;; amdgpu-corpus repo=pytorch/pytorch kind=compiled arch=gfx906 opt=O3
	.amdgcn_target "amdgcn-amd-amdhsa--gfx906"
	.amdhsa_code_object_version 6
	.section	.text._ZN2at6native29vectorized_elementwise_kernelILi16ENS0_13BinaryFunctorIhhbNS0_12_GLOBAL__N_116CompareEqFunctorIhEEEESt5arrayIPcLm3EEEEviT0_T1_,"axG",@progbits,_ZN2at6native29vectorized_elementwise_kernelILi16ENS0_13BinaryFunctorIhhbNS0_12_GLOBAL__N_116CompareEqFunctorIhEEEESt5arrayIPcLm3EEEEviT0_T1_,comdat
	.globl	_ZN2at6native29vectorized_elementwise_kernelILi16ENS0_13BinaryFunctorIhhbNS0_12_GLOBAL__N_116CompareEqFunctorIhEEEESt5arrayIPcLm3EEEEviT0_T1_ ; -- Begin function _ZN2at6native29vectorized_elementwise_kernelILi16ENS0_13BinaryFunctorIhhbNS0_12_GLOBAL__N_116CompareEqFunctorIhEEEESt5arrayIPcLm3EEEEviT0_T1_
	.p2align	8
	.type	_ZN2at6native29vectorized_elementwise_kernelILi16ENS0_13BinaryFunctorIhhbNS0_12_GLOBAL__N_116CompareEqFunctorIhEEEESt5arrayIPcLm3EEEEviT0_T1_,@function
_ZN2at6native29vectorized_elementwise_kernelILi16ENS0_13BinaryFunctorIhhbNS0_12_GLOBAL__N_116CompareEqFunctorIhEEEESt5arrayIPcLm3EEEEviT0_T1_: ; @_ZN2at6native29vectorized_elementwise_kernelILi16ENS0_13BinaryFunctorIhhbNS0_12_GLOBAL__N_116CompareEqFunctorIhEEEESt5arrayIPcLm3EEEEviT0_T1_
; %bb.0:
	s_load_dwordx2 s[12:13], s[4:5], 0x0
	s_load_dwordx4 s[8:11], s[4:5], 0x8
	s_load_dwordx2 s[14:15], s[4:5], 0x18
	s_lshl_b32 s33, s6, 12
	s_mov_b64 s[0:1], -1
	s_waitcnt lgkmcnt(0)
	s_sub_i32 s12, s12, s33
	s_cmpk_gt_i32 s12, 0xfff
	s_cbranch_scc0 .LBB0_2
; %bb.1:
	s_ashr_i32 s2, s33, 31
	s_add_u32 s0, s10, s33
	s_addc_u32 s1, s11, s2
	v_lshlrev_b32_e32 v9, 4, v0
	global_load_dwordx4 v[1:4], v9, s[0:1]
	s_add_u32 s0, s14, s33
	s_addc_u32 s1, s15, s2
	global_load_dwordx4 v[5:8], v9, s[0:1]
	s_movk_i32 s0, 0xff
	s_cmp_eq_u32 s13, 0
	s_cselect_b64 s[16:17], -1, 0
	s_add_u32 s6, s8, s33
	s_addc_u32 s7, s9, s2
	s_waitcnt vmcnt(1)
	v_and_b32_sdwa v10, v1, s0 dst_sel:DWORD dst_unused:UNUSED_PAD src0_sel:WORD_1 src1_sel:DWORD
	v_and_b32_sdwa v11, v2, s0 dst_sel:DWORD dst_unused:UNUSED_PAD src0_sel:WORD_1 src1_sel:DWORD
	;; [unrolled: 1-line block ×4, first 2 shown]
	s_waitcnt vmcnt(0)
	v_and_b32_sdwa v14, v5, s0 dst_sel:DWORD dst_unused:UNUSED_PAD src0_sel:WORD_1 src1_sel:DWORD
	v_and_b32_sdwa v15, v6, s0 dst_sel:DWORD dst_unused:UNUSED_PAD src0_sel:WORD_1 src1_sel:DWORD
	;; [unrolled: 1-line block ×4, first 2 shown]
	v_cmp_ne_u16_sdwa s[0:1], v1, v5 src0_sel:BYTE_1 src1_sel:BYTE_1
	v_cmp_ne_u16_sdwa s[2:3], v1, v5 src0_sel:BYTE_0 src1_sel:BYTE_0
	v_cmp_ne_u16_sdwa s[18:19], v2, v6 src0_sel:BYTE_1 src1_sel:BYTE_1
	s_xor_b64 s[0:1], s[16:17], s[0:1]
	v_cmp_ne_u16_sdwa s[4:5], v1, v5 src0_sel:BYTE_3 src1_sel:BYTE_3
	v_cmp_ne_u16_sdwa s[20:21], v2, v6 src0_sel:BYTE_0 src1_sel:BYTE_0
	v_cmp_ne_u16_sdwa s[24:25], v3, v7 src0_sel:BYTE_1 src1_sel:BYTE_1
	v_cndmask_b32_e64 v1, 0, 1, s[0:1]
	s_xor_b64 s[0:1], s[16:17], s[2:3]
	s_xor_b64 s[2:3], s[16:17], s[18:19]
	v_cmp_ne_u16_sdwa s[22:23], v2, v6 src0_sel:BYTE_3 src1_sel:BYTE_3
	v_cmp_ne_u16_sdwa s[26:27], v3, v7 src0_sel:BYTE_0 src1_sel:BYTE_0
	v_cmp_ne_u16_sdwa s[30:31], v4, v8 src0_sel:BYTE_1 src1_sel:BYTE_1
	v_cmp_ne_u16_sdwa s[34:35], v4, v8 src0_sel:BYTE_0 src1_sel:BYTE_0
	v_cmp_ne_u16_sdwa s[36:37], v4, v8 src0_sel:BYTE_3 src1_sel:BYTE_3
	v_cndmask_b32_e64 v2, 0, 1, s[0:1]
	s_xor_b64 s[0:1], s[16:17], s[4:5]
	v_cndmask_b32_e64 v4, 0, 1, s[2:3]
	s_xor_b64 s[2:3], s[16:17], s[20:21]
	s_xor_b64 s[4:5], s[16:17], s[24:25]
	v_cmp_ne_u16_sdwa s[28:29], v3, v7 src0_sel:BYTE_3 src1_sel:BYTE_3
	v_cndmask_b32_e64 v3, 0, 1, s[0:1]
	v_cmp_ne_u16_e64 s[0:1], v11, v15
	v_cndmask_b32_e64 v5, 0, 1, s[2:3]
	s_xor_b64 s[2:3], s[16:17], s[22:23]
	v_cndmask_b32_e64 v7, 0, 1, s[4:5]
	s_xor_b64 s[4:5], s[16:17], s[26:27]
	s_xor_b64 s[18:19], s[16:17], s[30:31]
	v_cndmask_b32_e64 v6, 0, 1, s[2:3]
	v_cmp_ne_u16_e64 s[2:3], v12, v16
	v_cndmask_b32_e64 v8, 0, 1, s[4:5]
	s_xor_b64 s[4:5], s[16:17], s[28:29]
	v_cndmask_b32_e64 v11, 0, 1, s[18:19]
	s_xor_b64 s[18:19], s[16:17], s[34:35]
	s_xor_b64 s[0:1], s[16:17], s[0:1]
	v_cmp_ne_u16_e32 vcc, v10, v14
	v_cndmask_b32_e64 v10, 0, 1, s[4:5]
	v_cmp_ne_u16_e64 s[4:5], v13, v17
	v_cndmask_b32_e64 v12, 0, 1, s[18:19]
	s_xor_b64 s[18:19], s[16:17], s[36:37]
	v_cndmask_b32_e64 v15, 0, 1, s[0:1]
	s_xor_b64 s[0:1], s[16:17], s[2:3]
	v_cndmask_b32_e64 v13, 0, 1, s[18:19]
	s_xor_b64 s[18:19], s[16:17], vcc
	v_cndmask_b32_e64 v16, 0, 1, s[0:1]
	s_xor_b64 s[0:1], s[16:17], s[4:5]
	v_lshlrev_b16_e32 v1, 8, v1
	v_lshlrev_b16_e32 v3, 8, v3
	v_cndmask_b32_e64 v14, 0, 1, s[18:19]
	v_lshlrev_b16_e32 v4, 8, v4
	v_lshlrev_b16_e32 v6, 8, v6
	;; [unrolled: 1-line block ×6, first 2 shown]
	v_cndmask_b32_e64 v17, 0, 1, s[0:1]
	v_or_b32_e32 v1, v2, v1
	v_or_b32_sdwa v2, v14, v3 dst_sel:WORD_1 dst_unused:UNUSED_PAD src0_sel:DWORD src1_sel:DWORD
	v_or_b32_e32 v3, v5, v4
	v_or_b32_sdwa v4, v15, v6 dst_sel:WORD_1 dst_unused:UNUSED_PAD src0_sel:DWORD src1_sel:DWORD
	;; [unrolled: 2-line block ×4, first 2 shown]
	v_or_b32_sdwa v1, v1, v2 dst_sel:DWORD dst_unused:UNUSED_PAD src0_sel:WORD_0 src1_sel:DWORD
	v_or_b32_sdwa v2, v3, v4 dst_sel:DWORD dst_unused:UNUSED_PAD src0_sel:WORD_0 src1_sel:DWORD
	;; [unrolled: 1-line block ×4, first 2 shown]
	global_store_dwordx4 v9, v[1:4], s[6:7]
	s_mov_b64 s[0:1], 0
.LBB0_2:
	s_andn2_b64 vcc, exec, s[0:1]
	s_cbranch_vccnz .LBB0_54
; %bb.3:
	v_cmp_gt_i32_e32 vcc, s12, v0
	v_cmp_le_i32_e64 s[0:1], s12, v0
                                        ; implicit-def: $vgpr5
	s_and_saveexec_b64 s[2:3], s[0:1]
	s_xor_b64 s[0:1], exec, s[2:3]
; %bb.4:
	v_or_b32_e32 v5, 0x100, v0
; %bb.5:
	s_or_saveexec_b64 s[2:3], s[0:1]
	v_mov_b32_e32 v36, 0
	s_mov_b64 s[4:5], 0
	v_or_b32_e32 v6, s33, v0
	v_mov_b32_e32 v35, 0
	v_mov_b32_e32 v34, 0
	;; [unrolled: 1-line block ×29, first 2 shown]
	s_xor_b64 exec, exec, s[2:3]
	s_cbranch_execz .LBB0_37
; %bb.6:
	global_load_ubyte v7, v6, s[10:11]
	global_load_ubyte v8, v6, s[14:15]
	v_or_b32_e32 v5, 0x100, v0
	v_cmp_gt_u32_e64 s[0:1], s12, v5
	s_mov_b64 s[6:7], 0
	v_mov_b32_e32 v9, 0
	v_mov_b32_e32 v10, 0
	;; [unrolled: 1-line block ×28, first 2 shown]
	s_and_saveexec_b64 s[4:5], s[0:1]
	s_cbranch_execz .LBB0_36
; %bb.7:
	v_add_u32_e32 v3, s33, v0
	global_load_ubyte v10, v3, s[10:11] offset:256
	global_load_ubyte v9, v3, s[14:15] offset:256
	v_or_b32_e32 v1, 0x200, v0
	v_mov_b32_e32 v11, 0
	v_cmp_gt_u32_e64 s[0:1], s12, v1
	s_mov_b64 s[16:17], 0
	v_mov_b32_e32 v13, 0
	v_mov_b32_e32 v12, 0
	;; [unrolled: 1-line block ×25, first 2 shown]
	s_and_saveexec_b64 s[6:7], s[0:1]
	s_cbranch_execz .LBB0_35
; %bb.8:
	v_mov_b32_e32 v2, s11
	v_add_co_u32_e64 v1, s[0:1], s10, v3
	v_addc_co_u32_e64 v2, s[0:1], 0, v2, s[0:1]
	v_mov_b32_e32 v4, s15
	v_add_co_u32_e64 v3, s[0:1], s14, v3
	v_addc_co_u32_e64 v4, s[0:1], 0, v4, s[0:1]
	global_load_ubyte v13, v[1:2], off offset:512
	global_load_ubyte v11, v[3:4], off offset:512
	v_or_b32_e32 v12, 0x300, v0
	v_cmp_gt_u32_e64 s[0:1], s12, v12
	s_mov_b64 s[14:15], 0
	v_mov_b32_e32 v12, 0
	v_mov_b32_e32 v15, 0
	;; [unrolled: 1-line block ×24, first 2 shown]
	s_and_saveexec_b64 s[10:11], s[0:1]
	s_cbranch_execz .LBB0_34
; %bb.9:
	global_load_ubyte v15, v[1:2], off offset:768
	global_load_ubyte v12, v[3:4], off offset:768
	v_or_b32_e32 v14, 0x400, v0
	v_cmp_gt_u32_e64 s[0:1], s12, v14
	v_mov_b32_e32 v16, 0
	v_mov_b32_e32 v17, 0
	;; [unrolled: 1-line block ×22, first 2 shown]
	s_and_saveexec_b64 s[14:15], s[0:1]
	s_cbranch_execz .LBB0_33
; %bb.10:
	global_load_ubyte v17, v[1:2], off offset:1024
	global_load_ubyte v16, v[3:4], off offset:1024
	v_or_b32_e32 v14, 0x500, v0
	v_cmp_gt_u32_e64 s[0:1], s12, v14
	s_mov_b64 s[18:19], 0
	v_mov_b32_e32 v18, 0
	v_mov_b32_e32 v21, 0
	;; [unrolled: 1-line block ×20, first 2 shown]
	s_and_saveexec_b64 s[16:17], s[0:1]
	s_cbranch_execz .LBB0_32
; %bb.11:
	global_load_ubyte v21, v[1:2], off offset:1280
	global_load_ubyte v18, v[3:4], off offset:1280
	v_or_b32_e32 v14, 0x600, v0
	v_cmp_gt_u32_e64 s[0:1], s12, v14
	s_mov_b64 s[20:21], 0
	v_mov_b32_e32 v14, 0
	v_mov_b32_e32 v19, 0
	;; [unrolled: 1-line block ×18, first 2 shown]
	s_and_saveexec_b64 s[18:19], s[0:1]
	s_cbranch_execz .LBB0_31
; %bb.12:
	global_load_ubyte v19, v[1:2], off offset:1536
	global_load_ubyte v14, v[3:4], off offset:1536
	v_or_b32_e32 v20, 0x700, v0
	v_cmp_gt_u32_e64 s[0:1], s12, v20
	s_mov_b64 s[22:23], 0
	v_mov_b32_e32 v20, 0
	v_mov_b32_e32 v22, 0
	;; [unrolled: 1-line block ×16, first 2 shown]
	s_and_saveexec_b64 s[20:21], s[0:1]
	s_cbranch_execz .LBB0_30
; %bb.13:
	global_load_ubyte v22, v[1:2], off offset:1792
	global_load_ubyte v20, v[3:4], off offset:1792
	v_or_b32_e32 v23, 0x800, v0
	v_cmp_gt_u32_e64 s[0:1], s12, v23
	s_mov_b64 s[24:25], 0
	v_mov_b32_e32 v23, 0
	v_mov_b32_e32 v24, 0
	;; [unrolled: 1-line block ×14, first 2 shown]
	s_and_saveexec_b64 s[22:23], s[0:1]
	s_cbranch_execz .LBB0_29
; %bb.14:
	global_load_ubyte v24, v[1:2], off offset:2048
	global_load_ubyte v23, v[3:4], off offset:2048
	v_or_b32_e32 v25, 0x900, v0
	v_cmp_gt_u32_e64 s[0:1], s12, v25
	s_mov_b64 s[26:27], 0
	v_mov_b32_e32 v25, 0
	v_mov_b32_e32 v26, 0
	v_mov_b32_e32 v27, 0
	v_mov_b32_e32 v28, 0
	v_mov_b32_e32 v29, 0
	v_mov_b32_e32 v30, 0
	v_mov_b32_e32 v31, 0
	v_mov_b32_e32 v32, 0
	v_mov_b32_e32 v33, 0
	v_mov_b32_e32 v34, 0
	v_mov_b32_e32 v35, 0
	v_mov_b32_e32 v36, 0
	s_and_saveexec_b64 s[24:25], s[0:1]
	s_cbranch_execz .LBB0_28
; %bb.15:
	global_load_ubyte v26, v[1:2], off offset:2304
	global_load_ubyte v25, v[3:4], off offset:2304
	v_or_b32_e32 v27, 0xa00, v0
	v_cmp_gt_u32_e64 s[0:1], s12, v27
	s_mov_b64 s[28:29], 0
	v_mov_b32_e32 v27, 0
	v_mov_b32_e32 v28, 0
	;; [unrolled: 1-line block ×10, first 2 shown]
	s_and_saveexec_b64 s[26:27], s[0:1]
	s_cbranch_execz .LBB0_27
; %bb.16:
	global_load_ubyte v28, v[1:2], off offset:2560
	global_load_ubyte v27, v[3:4], off offset:2560
	v_or_b32_e32 v29, 0xb00, v0
	v_cmp_gt_u32_e64 s[0:1], s12, v29
	s_mov_b64 s[30:31], 0
	v_mov_b32_e32 v29, 0
	v_mov_b32_e32 v30, 0
	;; [unrolled: 1-line block ×8, first 2 shown]
	s_and_saveexec_b64 s[28:29], s[0:1]
	s_cbranch_execz .LBB0_26
; %bb.17:
	global_load_ubyte v30, v[1:2], off offset:2816
	global_load_ubyte v29, v[3:4], off offset:2816
	v_or_b32_e32 v31, 0xc00, v0
	v_cmp_gt_u32_e64 s[0:1], s12, v31
	s_mov_b64 s[34:35], 0
	v_mov_b32_e32 v31, 0
	v_mov_b32_e32 v32, 0
	;; [unrolled: 1-line block ×6, first 2 shown]
	s_and_saveexec_b64 s[30:31], s[0:1]
	s_cbranch_execz .LBB0_25
; %bb.18:
	global_load_ubyte v32, v[1:2], off offset:3072
	global_load_ubyte v31, v[3:4], off offset:3072
	v_or_b32_e32 v33, 0xd00, v0
	v_cmp_gt_u32_e64 s[0:1], s12, v33
	s_mov_b64 s[36:37], 0
	v_mov_b32_e32 v33, 0
	v_mov_b32_e32 v34, 0
	;; [unrolled: 1-line block ×4, first 2 shown]
	s_and_saveexec_b64 s[34:35], s[0:1]
	s_cbranch_execz .LBB0_24
; %bb.19:
	global_load_ubyte v34, v[1:2], off offset:3328
	global_load_ubyte v33, v[3:4], off offset:3328
	v_or_b32_e32 v35, 0xe00, v0
	v_cmp_gt_u32_e64 s[0:1], s12, v35
	s_mov_b64 s[38:39], 0
	v_mov_b32_e32 v35, 0
	v_mov_b32_e32 v36, 0
	s_and_saveexec_b64 s[36:37], s[0:1]
	s_cbranch_execz .LBB0_23
; %bb.20:
	global_load_ubyte v36, v[1:2], off offset:3584
	global_load_ubyte v35, v[3:4], off offset:3584
	v_or_b32_e32 v37, 0xf00, v0
	v_cmp_gt_u32_e64 s[0:1], s12, v37
	s_mov_b64 s[40:41], 0
	s_and_saveexec_b64 s[38:39], s[0:1]
	s_cbranch_execz .LBB0_22
; %bb.21:
	global_load_ubyte v37, v[1:2], off offset:3840
	global_load_ubyte v38, v[3:4], off offset:3840
	s_waitcnt vmcnt(0)
	v_cmp_ne_u16_e64 s[0:1], v37, v38
	s_and_b64 s[40:41], s[0:1], exec
.LBB0_22:
	s_or_b64 exec, exec, s[38:39]
	s_and_b64 s[38:39], s[40:41], exec
.LBB0_23:
	s_or_b64 exec, exec, s[36:37]
	s_and_b64 s[36:37], s[38:39], exec
.LBB0_24:
	s_or_b64 exec, exec, s[34:35]
	s_and_b64 s[34:35], s[36:37], exec
.LBB0_25:
	s_or_b64 exec, exec, s[30:31]
	s_and_b64 s[30:31], s[34:35], exec
.LBB0_26:
	s_or_b64 exec, exec, s[28:29]
	s_and_b64 s[28:29], s[30:31], exec
.LBB0_27:
	s_or_b64 exec, exec, s[26:27]
	s_and_b64 s[26:27], s[28:29], exec
.LBB0_28:
	s_or_b64 exec, exec, s[24:25]
	s_and_b64 s[24:25], s[26:27], exec
.LBB0_29:
	s_or_b64 exec, exec, s[22:23]
	s_and_b64 s[22:23], s[24:25], exec
.LBB0_30:
	s_or_b64 exec, exec, s[20:21]
	s_and_b64 s[20:21], s[22:23], exec
.LBB0_31:
	s_or_b64 exec, exec, s[18:19]
	s_and_b64 s[18:19], s[20:21], exec
.LBB0_32:
	s_or_b64 exec, exec, s[16:17]
	s_and_b64 s[16:17], s[18:19], exec
.LBB0_33:
	s_or_b64 exec, exec, s[14:15]
	s_and_b64 s[14:15], s[16:17], exec
.LBB0_34:
	s_or_b64 exec, exec, s[10:11]
	s_and_b64 s[16:17], s[14:15], exec
.LBB0_35:
	s_or_b64 exec, exec, s[6:7]
	s_and_b64 s[6:7], s[16:17], exec
.LBB0_36:
	s_or_b64 exec, exec, s[4:5]
	s_and_b64 s[4:5], s[6:7], exec
.LBB0_37:
	s_or_b64 exec, exec, s[2:3]
	s_cmp_eq_u32 s13, 0
	s_cselect_b64 s[2:3], -1, 0
	s_waitcnt vmcnt(0)
	v_cmp_ne_u16_sdwa s[0:1], v7, v8 src0_sel:BYTE_0 src1_sel:BYTE_0
	s_xor_b64 s[0:1], s[2:3], s[0:1]
	v_cndmask_b32_e64 v1, 0, 1, s[0:1]
	v_cmp_ne_u16_sdwa s[0:1], v10, v9 src0_sel:BYTE_0 src1_sel:BYTE_0
	s_xor_b64 s[0:1], s[2:3], s[0:1]
	v_cndmask_b32_e64 v2, 0, 1, s[0:1]
	v_cndmask_b32_e32 v1, 0, v1, vcc
	v_lshlrev_b16_e32 v2, 8, v2
	v_or_b32_e32 v2, v1, v2
	v_and_b32_e32 v2, 0xffff, v2
	v_cmp_gt_i32_e64 s[0:1], s12, v5
	v_cndmask_b32_e64 v1, v1, v2, s[0:1]
	v_cmp_ne_u16_sdwa s[0:1], v13, v11 src0_sel:BYTE_0 src1_sel:BYTE_0
	s_xor_b64 s[0:1], s[2:3], s[0:1]
	v_or_b32_e32 v2, 0x200, v0
	v_cndmask_b32_e64 v3, 0, 1, s[0:1]
	v_lshl_or_b32 v3, v3, 16, v1
	v_cmp_gt_i32_e64 s[0:1], s12, v2
	v_cndmask_b32_e64 v1, v1, v3, s[0:1]
	v_cmp_ne_u16_sdwa s[0:1], v15, v12 src0_sel:BYTE_0 src1_sel:BYTE_0
	s_xor_b64 s[0:1], s[2:3], s[0:1]
	s_movk_i32 s6, 0xff
	v_cndmask_b32_e64 v4, 0, 1, s[0:1]
	v_and_b32_sdwa v2, v1, s6 dst_sel:DWORD dst_unused:UNUSED_PAD src0_sel:WORD_1 src1_sel:DWORD
	v_lshlrev_b16_e32 v4, 8, v4
	s_mov_b32 s7, 0xffff
	v_or_b32_e32 v3, 0x300, v0
	v_or_b32_sdwa v2, v2, v4 dst_sel:WORD_1 dst_unused:UNUSED_PAD src0_sel:DWORD src1_sel:DWORD
	v_and_or_b32 v2, v1, s7, v2
	v_cmp_gt_i32_e64 s[0:1], s12, v3
	v_cndmask_b32_e64 v4, v1, v2, s[0:1]
	v_cmp_ne_u16_sdwa s[0:1], v17, v16 src0_sel:BYTE_0 src1_sel:BYTE_0
	s_xor_b64 s[0:1], s[2:3], s[0:1]
	v_cndmask_b32_e64 v1, 0, 1, s[0:1]
	v_or_b32_e32 v2, 0x400, v0
	v_and_b32_e32 v1, 0xffff, v1
	v_cmp_gt_i32_e64 s[0:1], s12, v2
	v_cndmask_b32_e64 v1, 0, v1, s[0:1]
	v_cmp_ne_u16_sdwa s[0:1], v21, v18 src0_sel:BYTE_0 src1_sel:BYTE_0
	s_xor_b64 s[0:1], s[2:3], s[0:1]
	v_cndmask_b32_e64 v3, 0, 1, s[0:1]
	v_lshlrev_b16_e32 v3, 8, v3
	v_or_b32_e32 v2, 0x500, v0
	v_or_b32_sdwa v3, v1, v3 dst_sel:DWORD dst_unused:UNUSED_PAD src0_sel:BYTE_0 src1_sel:DWORD
	v_and_b32_e32 v3, 0xffff, v3
	v_cmp_gt_i32_e64 s[0:1], s12, v2
	v_cndmask_b32_e64 v1, v1, v3, s[0:1]
	v_cmp_ne_u16_sdwa s[0:1], v19, v14 src0_sel:BYTE_0 src1_sel:BYTE_0
	s_movk_i32 s10, 0xff00
	s_xor_b64 s[0:1], s[2:3], s[0:1]
	v_and_b32_sdwa v2, v1, s10 dst_sel:DWORD dst_unused:UNUSED_PAD src0_sel:WORD_1 src1_sel:DWORD
	v_cndmask_b32_e64 v3, 0, 1, s[0:1]
	v_or_b32_sdwa v2, v3, v2 dst_sel:WORD_1 dst_unused:UNUSED_PAD src0_sel:DWORD src1_sel:DWORD
	v_or_b32_e32 v3, 0x600, v0
	v_and_or_b32 v2, v1, s7, v2
	v_cmp_gt_i32_e64 s[0:1], s12, v3
	v_cndmask_b32_e64 v1, v1, v2, s[0:1]
	v_cmp_ne_u16_sdwa s[0:1], v22, v20 src0_sel:BYTE_0 src1_sel:BYTE_0
	s_xor_b64 s[0:1], s[2:3], s[0:1]
	v_cndmask_b32_e64 v7, 0, 1, s[0:1]
	v_and_b32_sdwa v2, v1, s6 dst_sel:DWORD dst_unused:UNUSED_PAD src0_sel:WORD_1 src1_sel:DWORD
	v_lshlrev_b16_e32 v7, 8, v7
	v_or_b32_e32 v3, 0x700, v0
	v_or_b32_sdwa v2, v2, v7 dst_sel:WORD_1 dst_unused:UNUSED_PAD src0_sel:DWORD src1_sel:DWORD
	v_and_or_b32 v2, v1, s7, v2
	v_cmp_gt_i32_e64 s[0:1], s12, v3
	v_cndmask_b32_e64 v3, v1, v2, s[0:1]
	v_cmp_ne_u16_sdwa s[0:1], v24, v23 src0_sel:BYTE_0 src1_sel:BYTE_0
	v_or_b32_e32 v1, 0x800, v0
	s_xor_b64 s[0:1], s[2:3], s[0:1]
	v_cndmask_b32_e64 v2, 0, 1, s[0:1]
	v_cmp_gt_i32_e64 s[0:1], s12, v1
	v_cndmask_b32_e64 v1, 0, v2, s[0:1]
	v_cmp_ne_u16_sdwa s[0:1], v26, v25 src0_sel:BYTE_0 src1_sel:BYTE_0
	s_xor_b64 s[0:1], s[2:3], s[0:1]
	v_cndmask_b32_e64 v7, 0, 1, s[0:1]
	v_lshlrev_b16_e32 v7, 8, v7
	v_or_b32_e32 v2, 0x900, v0
	v_or_b32_e32 v7, v1, v7
	v_and_b32_e32 v7, 0xffff, v7
	v_cmp_gt_i32_e64 s[0:1], s12, v2
	v_cndmask_b32_e64 v1, v1, v7, s[0:1]
	v_cmp_ne_u16_sdwa s[0:1], v28, v27 src0_sel:BYTE_0 src1_sel:BYTE_0
	s_xor_b64 s[0:1], s[2:3], s[0:1]
	v_cndmask_b32_e64 v7, 0, 1, s[0:1]
	v_or_b32_e32 v2, 0xa00, v0
	v_lshlrev_b32_e32 v7, 16, v7
	s_movk_i32 s0, 0x1ff
	v_and_or_b32 v7, v1, s0, v7
	v_cmp_gt_i32_e64 s[0:1], s12, v2
	v_cndmask_b32_e64 v1, v1, v7, s[0:1]
	v_cmp_ne_u16_sdwa s[0:1], v30, v29 src0_sel:BYTE_0 src1_sel:BYTE_0
	s_xor_b64 s[0:1], s[2:3], s[0:1]
	v_cndmask_b32_e64 v8, 0, 1, s[0:1]
	v_and_b32_sdwa v2, v1, s6 dst_sel:DWORD dst_unused:UNUSED_PAD src0_sel:WORD_1 src1_sel:DWORD
	v_lshlrev_b16_e32 v8, 8, v8
	v_or_b32_e32 v7, 0xb00, v0
	v_or_b32_sdwa v2, v2, v8 dst_sel:WORD_1 dst_unused:UNUSED_PAD src0_sel:DWORD src1_sel:DWORD
	v_and_or_b32 v2, v1, s7, v2
	v_cmp_gt_i32_e64 s[0:1], s12, v7
	v_cndmask_b32_e64 v2, v1, v2, s[0:1]
	v_cmp_ne_u16_sdwa s[0:1], v32, v31 src0_sel:BYTE_0 src1_sel:BYTE_0
	v_or_b32_e32 v1, 0xc00, v0
	s_xor_b64 s[0:1], s[2:3], s[0:1]
	v_cndmask_b32_e64 v7, 0, 1, s[0:1]
	v_cmp_gt_i32_e64 s[0:1], s12, v1
	v_cndmask_b32_e64 v1, 0, v7, s[0:1]
	v_cmp_ne_u16_sdwa s[0:1], v34, v33 src0_sel:BYTE_0 src1_sel:BYTE_0
	s_xor_b64 s[0:1], s[2:3], s[0:1]
	v_cndmask_b32_e64 v8, 0, 1, s[0:1]
	v_lshlrev_b16_e32 v8, 8, v8
	v_or_b32_e32 v7, 0xd00, v0
	v_or_b32_sdwa v8, v1, v8 dst_sel:DWORD dst_unused:UNUSED_PAD src0_sel:BYTE_0 src1_sel:DWORD
	v_and_b32_e32 v8, 0xffff, v8
	v_cmp_gt_i32_e64 s[0:1], s12, v7
	v_cndmask_b32_e64 v1, v1, v8, s[0:1]
	v_cmp_ne_u16_sdwa s[0:1], v36, v35 src0_sel:BYTE_0 src1_sel:BYTE_0
	s_xor_b64 s[0:1], s[2:3], s[0:1]
	v_and_b32_sdwa v7, v1, s10 dst_sel:DWORD dst_unused:UNUSED_PAD src0_sel:WORD_1 src1_sel:DWORD
	v_cndmask_b32_e64 v8, 0, 1, s[0:1]
	v_or_b32_sdwa v7, v8, v7 dst_sel:WORD_1 dst_unused:UNUSED_PAD src0_sel:DWORD src1_sel:DWORD
	v_or_b32_e32 v8, 0xe00, v0
	v_and_or_b32 v7, v1, s7, v7
	v_cmp_gt_i32_e64 s[0:1], s12, v8
	v_cndmask_b32_e64 v1, v1, v7, s[0:1]
	s_xor_b64 s[0:1], s[2:3], s[4:5]
	v_cndmask_b32_e64 v9, 0, 1, s[0:1]
	v_and_b32_sdwa v7, v1, s6 dst_sel:DWORD dst_unused:UNUSED_PAD src0_sel:WORD_1 src1_sel:DWORD
	v_lshlrev_b16_e32 v9, 8, v9
	v_or_b32_e32 v8, 0xf00, v0
	v_or_b32_sdwa v7, v7, v9 dst_sel:WORD_1 dst_unused:UNUSED_PAD src0_sel:DWORD src1_sel:DWORD
	v_and_or_b32 v7, v1, s7, v7
	v_cmp_gt_i32_e64 s[0:1], s12, v8
	v_cndmask_b32_e64 v1, v1, v7, s[0:1]
	s_and_saveexec_b64 s[0:1], vcc
	s_cbranch_execnz .LBB0_55
; %bb.38:
	s_or_b64 exec, exec, s[0:1]
	v_cmp_gt_i32_e32 vcc, s12, v0
	s_and_saveexec_b64 s[0:1], vcc
	s_cbranch_execnz .LBB0_56
.LBB0_39:
	s_or_b64 exec, exec, s[0:1]
	v_cmp_gt_i32_e32 vcc, s12, v0
	s_and_saveexec_b64 s[0:1], vcc
	s_cbranch_execnz .LBB0_57
.LBB0_40:
	s_or_b64 exec, exec, s[0:1]
	v_cmp_gt_i32_e32 vcc, s12, v0
	s_and_saveexec_b64 s[0:1], vcc
	s_cbranch_execnz .LBB0_58
.LBB0_41:
	s_or_b64 exec, exec, s[0:1]
	v_cmp_gt_i32_e32 vcc, s12, v0
	s_and_saveexec_b64 s[0:1], vcc
	s_cbranch_execnz .LBB0_59
.LBB0_42:
	s_or_b64 exec, exec, s[0:1]
	v_cmp_gt_i32_e32 vcc, s12, v0
	s_and_saveexec_b64 s[0:1], vcc
	s_cbranch_execnz .LBB0_60
.LBB0_43:
	s_or_b64 exec, exec, s[0:1]
	v_cmp_gt_i32_e32 vcc, s12, v0
	s_and_saveexec_b64 s[0:1], vcc
	s_cbranch_execnz .LBB0_61
.LBB0_44:
	s_or_b64 exec, exec, s[0:1]
	v_cmp_gt_i32_e32 vcc, s12, v0
	s_and_saveexec_b64 s[0:1], vcc
	s_cbranch_execnz .LBB0_62
.LBB0_45:
	s_or_b64 exec, exec, s[0:1]
	v_cmp_gt_i32_e32 vcc, s12, v0
	s_and_saveexec_b64 s[0:1], vcc
	s_cbranch_execnz .LBB0_63
.LBB0_46:
	s_or_b64 exec, exec, s[0:1]
	v_cmp_gt_i32_e32 vcc, s12, v0
	s_and_saveexec_b64 s[0:1], vcc
	s_cbranch_execnz .LBB0_64
.LBB0_47:
	s_or_b64 exec, exec, s[0:1]
	v_cmp_gt_i32_e32 vcc, s12, v0
	s_and_saveexec_b64 s[0:1], vcc
	s_cbranch_execnz .LBB0_65
.LBB0_48:
	s_or_b64 exec, exec, s[0:1]
	v_cmp_gt_i32_e32 vcc, s12, v0
	s_and_saveexec_b64 s[0:1], vcc
	s_cbranch_execnz .LBB0_66
.LBB0_49:
	s_or_b64 exec, exec, s[0:1]
	v_cmp_gt_i32_e32 vcc, s12, v0
	s_and_saveexec_b64 s[0:1], vcc
	s_cbranch_execnz .LBB0_67
.LBB0_50:
	s_or_b64 exec, exec, s[0:1]
	v_cmp_gt_i32_e32 vcc, s12, v0
	s_and_saveexec_b64 s[0:1], vcc
	s_cbranch_execnz .LBB0_68
.LBB0_51:
	s_or_b64 exec, exec, s[0:1]
	v_cmp_gt_i32_e32 vcc, s12, v0
	s_and_saveexec_b64 s[0:1], vcc
	s_cbranch_execnz .LBB0_69
.LBB0_52:
	s_or_b64 exec, exec, s[0:1]
	v_cmp_gt_i32_e32 vcc, s12, v0
	s_and_saveexec_b64 s[0:1], vcc
	s_cbranch_execz .LBB0_54
.LBB0_53:
	v_lshrrev_b32_e32 v1, 24, v1
	v_add_u32_e32 v0, s33, v0
	global_store_byte v0, v1, s[8:9]
.LBB0_54:
	s_endpgm
.LBB0_55:
	v_mov_b32_e32 v0, v5
	global_store_byte v6, v4, s[8:9]
	s_or_b64 exec, exec, s[0:1]
	v_cmp_gt_i32_e32 vcc, s12, v0
	s_and_saveexec_b64 s[0:1], vcc
	s_cbranch_execz .LBB0_39
.LBB0_56:
	v_lshrrev_b32_e32 v5, 8, v4
	v_add_u32_e32 v6, s33, v0
	v_add_u32_e32 v0, 0x100, v0
	global_store_byte v6, v5, s[8:9]
	s_or_b64 exec, exec, s[0:1]
	v_cmp_gt_i32_e32 vcc, s12, v0
	s_and_saveexec_b64 s[0:1], vcc
	s_cbranch_execz .LBB0_40
.LBB0_57:
	v_add_u32_e32 v5, s33, v0
	v_add_u32_e32 v0, 0x100, v0
	global_store_byte_d16_hi v5, v4, s[8:9]
	s_or_b64 exec, exec, s[0:1]
	v_cmp_gt_i32_e32 vcc, s12, v0
	s_and_saveexec_b64 s[0:1], vcc
	s_cbranch_execz .LBB0_41
.LBB0_58:
	v_lshrrev_b32_e32 v4, 24, v4
	v_add_u32_e32 v5, s33, v0
	v_add_u32_e32 v0, 0x100, v0
	global_store_byte v5, v4, s[8:9]
	s_or_b64 exec, exec, s[0:1]
	v_cmp_gt_i32_e32 vcc, s12, v0
	s_and_saveexec_b64 s[0:1], vcc
	s_cbranch_execz .LBB0_42
.LBB0_59:
	v_add_u32_e32 v4, s33, v0
	v_add_u32_e32 v0, 0x100, v0
	global_store_byte v4, v3, s[8:9]
	s_or_b64 exec, exec, s[0:1]
	v_cmp_gt_i32_e32 vcc, s12, v0
	s_and_saveexec_b64 s[0:1], vcc
	s_cbranch_execz .LBB0_43
.LBB0_60:
	v_lshrrev_b32_e32 v4, 8, v3
	v_add_u32_e32 v5, s33, v0
	v_add_u32_e32 v0, 0x100, v0
	global_store_byte v5, v4, s[8:9]
	s_or_b64 exec, exec, s[0:1]
	v_cmp_gt_i32_e32 vcc, s12, v0
	s_and_saveexec_b64 s[0:1], vcc
	s_cbranch_execz .LBB0_44
.LBB0_61:
	v_add_u32_e32 v4, s33, v0
	v_add_u32_e32 v0, 0x100, v0
	global_store_byte_d16_hi v4, v3, s[8:9]
	s_or_b64 exec, exec, s[0:1]
	v_cmp_gt_i32_e32 vcc, s12, v0
	s_and_saveexec_b64 s[0:1], vcc
	s_cbranch_execz .LBB0_45
.LBB0_62:
	v_lshrrev_b32_e32 v3, 24, v3
	v_add_u32_e32 v4, s33, v0
	v_add_u32_e32 v0, 0x100, v0
	global_store_byte v4, v3, s[8:9]
	s_or_b64 exec, exec, s[0:1]
	v_cmp_gt_i32_e32 vcc, s12, v0
	s_and_saveexec_b64 s[0:1], vcc
	s_cbranch_execz .LBB0_46
.LBB0_63:
	v_add_u32_e32 v3, s33, v0
	v_add_u32_e32 v0, 0x100, v0
	global_store_byte v3, v2, s[8:9]
	s_or_b64 exec, exec, s[0:1]
	v_cmp_gt_i32_e32 vcc, s12, v0
	s_and_saveexec_b64 s[0:1], vcc
	s_cbranch_execz .LBB0_47
.LBB0_64:
	v_lshrrev_b32_e32 v3, 8, v2
	v_add_u32_e32 v4, s33, v0
	v_add_u32_e32 v0, 0x100, v0
	global_store_byte v4, v3, s[8:9]
	s_or_b64 exec, exec, s[0:1]
	v_cmp_gt_i32_e32 vcc, s12, v0
	s_and_saveexec_b64 s[0:1], vcc
	s_cbranch_execz .LBB0_48
.LBB0_65:
	v_add_u32_e32 v3, s33, v0
	v_add_u32_e32 v0, 0x100, v0
	global_store_byte_d16_hi v3, v2, s[8:9]
	s_or_b64 exec, exec, s[0:1]
	v_cmp_gt_i32_e32 vcc, s12, v0
	s_and_saveexec_b64 s[0:1], vcc
	s_cbranch_execz .LBB0_49
.LBB0_66:
	v_lshrrev_b32_e32 v2, 24, v2
	v_add_u32_e32 v3, s33, v0
	v_add_u32_e32 v0, 0x100, v0
	global_store_byte v3, v2, s[8:9]
	s_or_b64 exec, exec, s[0:1]
	v_cmp_gt_i32_e32 vcc, s12, v0
	s_and_saveexec_b64 s[0:1], vcc
	s_cbranch_execz .LBB0_50
.LBB0_67:
	v_add_u32_e32 v2, s33, v0
	v_add_u32_e32 v0, 0x100, v0
	global_store_byte v2, v1, s[8:9]
	s_or_b64 exec, exec, s[0:1]
	v_cmp_gt_i32_e32 vcc, s12, v0
	s_and_saveexec_b64 s[0:1], vcc
	s_cbranch_execz .LBB0_51
.LBB0_68:
	v_lshrrev_b32_e32 v2, 8, v1
	v_add_u32_e32 v3, s33, v0
	v_add_u32_e32 v0, 0x100, v0
	global_store_byte v3, v2, s[8:9]
	s_or_b64 exec, exec, s[0:1]
	v_cmp_gt_i32_e32 vcc, s12, v0
	s_and_saveexec_b64 s[0:1], vcc
	s_cbranch_execz .LBB0_52
.LBB0_69:
	v_add_u32_e32 v2, s33, v0
	v_add_u32_e32 v0, 0x100, v0
	global_store_byte_d16_hi v2, v1, s[8:9]
	s_or_b64 exec, exec, s[0:1]
	v_cmp_gt_i32_e32 vcc, s12, v0
	s_and_saveexec_b64 s[0:1], vcc
	s_cbranch_execnz .LBB0_53
	s_branch .LBB0_54
	.section	.rodata,"a",@progbits
	.p2align	6, 0x0
	.amdhsa_kernel _ZN2at6native29vectorized_elementwise_kernelILi16ENS0_13BinaryFunctorIhhbNS0_12_GLOBAL__N_116CompareEqFunctorIhEEEESt5arrayIPcLm3EEEEviT0_T1_
		.amdhsa_group_segment_fixed_size 0
		.amdhsa_private_segment_fixed_size 0
		.amdhsa_kernarg_size 32
		.amdhsa_user_sgpr_count 6
		.amdhsa_user_sgpr_private_segment_buffer 1
		.amdhsa_user_sgpr_dispatch_ptr 0
		.amdhsa_user_sgpr_queue_ptr 0
		.amdhsa_user_sgpr_kernarg_segment_ptr 1
		.amdhsa_user_sgpr_dispatch_id 0
		.amdhsa_user_sgpr_flat_scratch_init 0
		.amdhsa_user_sgpr_private_segment_size 0
		.amdhsa_uses_dynamic_stack 0
		.amdhsa_system_sgpr_private_segment_wavefront_offset 0
		.amdhsa_system_sgpr_workgroup_id_x 1
		.amdhsa_system_sgpr_workgroup_id_y 0
		.amdhsa_system_sgpr_workgroup_id_z 0
		.amdhsa_system_sgpr_workgroup_info 0
		.amdhsa_system_vgpr_workitem_id 0
		.amdhsa_next_free_vgpr 39
		.amdhsa_next_free_sgpr 42
		.amdhsa_reserve_vcc 1
		.amdhsa_reserve_flat_scratch 0
		.amdhsa_float_round_mode_32 0
		.amdhsa_float_round_mode_16_64 0
		.amdhsa_float_denorm_mode_32 3
		.amdhsa_float_denorm_mode_16_64 3
		.amdhsa_dx10_clamp 1
		.amdhsa_ieee_mode 1
		.amdhsa_fp16_overflow 0
		.amdhsa_exception_fp_ieee_invalid_op 0
		.amdhsa_exception_fp_denorm_src 0
		.amdhsa_exception_fp_ieee_div_zero 0
		.amdhsa_exception_fp_ieee_overflow 0
		.amdhsa_exception_fp_ieee_underflow 0
		.amdhsa_exception_fp_ieee_inexact 0
		.amdhsa_exception_int_div_zero 0
	.end_amdhsa_kernel
	.section	.text._ZN2at6native29vectorized_elementwise_kernelILi16ENS0_13BinaryFunctorIhhbNS0_12_GLOBAL__N_116CompareEqFunctorIhEEEESt5arrayIPcLm3EEEEviT0_T1_,"axG",@progbits,_ZN2at6native29vectorized_elementwise_kernelILi16ENS0_13BinaryFunctorIhhbNS0_12_GLOBAL__N_116CompareEqFunctorIhEEEESt5arrayIPcLm3EEEEviT0_T1_,comdat
.Lfunc_end0:
	.size	_ZN2at6native29vectorized_elementwise_kernelILi16ENS0_13BinaryFunctorIhhbNS0_12_GLOBAL__N_116CompareEqFunctorIhEEEESt5arrayIPcLm3EEEEviT0_T1_, .Lfunc_end0-_ZN2at6native29vectorized_elementwise_kernelILi16ENS0_13BinaryFunctorIhhbNS0_12_GLOBAL__N_116CompareEqFunctorIhEEEESt5arrayIPcLm3EEEEviT0_T1_
                                        ; -- End function
	.set _ZN2at6native29vectorized_elementwise_kernelILi16ENS0_13BinaryFunctorIhhbNS0_12_GLOBAL__N_116CompareEqFunctorIhEEEESt5arrayIPcLm3EEEEviT0_T1_.num_vgpr, 39
	.set _ZN2at6native29vectorized_elementwise_kernelILi16ENS0_13BinaryFunctorIhhbNS0_12_GLOBAL__N_116CompareEqFunctorIhEEEESt5arrayIPcLm3EEEEviT0_T1_.num_agpr, 0
	.set _ZN2at6native29vectorized_elementwise_kernelILi16ENS0_13BinaryFunctorIhhbNS0_12_GLOBAL__N_116CompareEqFunctorIhEEEESt5arrayIPcLm3EEEEviT0_T1_.numbered_sgpr, 42
	.set _ZN2at6native29vectorized_elementwise_kernelILi16ENS0_13BinaryFunctorIhhbNS0_12_GLOBAL__N_116CompareEqFunctorIhEEEESt5arrayIPcLm3EEEEviT0_T1_.num_named_barrier, 0
	.set _ZN2at6native29vectorized_elementwise_kernelILi16ENS0_13BinaryFunctorIhhbNS0_12_GLOBAL__N_116CompareEqFunctorIhEEEESt5arrayIPcLm3EEEEviT0_T1_.private_seg_size, 0
	.set _ZN2at6native29vectorized_elementwise_kernelILi16ENS0_13BinaryFunctorIhhbNS0_12_GLOBAL__N_116CompareEqFunctorIhEEEESt5arrayIPcLm3EEEEviT0_T1_.uses_vcc, 1
	.set _ZN2at6native29vectorized_elementwise_kernelILi16ENS0_13BinaryFunctorIhhbNS0_12_GLOBAL__N_116CompareEqFunctorIhEEEESt5arrayIPcLm3EEEEviT0_T1_.uses_flat_scratch, 0
	.set _ZN2at6native29vectorized_elementwise_kernelILi16ENS0_13BinaryFunctorIhhbNS0_12_GLOBAL__N_116CompareEqFunctorIhEEEESt5arrayIPcLm3EEEEviT0_T1_.has_dyn_sized_stack, 0
	.set _ZN2at6native29vectorized_elementwise_kernelILi16ENS0_13BinaryFunctorIhhbNS0_12_GLOBAL__N_116CompareEqFunctorIhEEEESt5arrayIPcLm3EEEEviT0_T1_.has_recursion, 0
	.set _ZN2at6native29vectorized_elementwise_kernelILi16ENS0_13BinaryFunctorIhhbNS0_12_GLOBAL__N_116CompareEqFunctorIhEEEESt5arrayIPcLm3EEEEviT0_T1_.has_indirect_call, 0
	.section	.AMDGPU.csdata,"",@progbits
; Kernel info:
; codeLenInByte = 4284
; TotalNumSgprs: 46
; NumVgprs: 39
; ScratchSize: 0
; MemoryBound: 0
; FloatMode: 240
; IeeeMode: 1
; LDSByteSize: 0 bytes/workgroup (compile time only)
; SGPRBlocks: 5
; VGPRBlocks: 9
; NumSGPRsForWavesPerEU: 46
; NumVGPRsForWavesPerEU: 39
; Occupancy: 6
; WaveLimiterHint : 0
; COMPUTE_PGM_RSRC2:SCRATCH_EN: 0
; COMPUTE_PGM_RSRC2:USER_SGPR: 6
; COMPUTE_PGM_RSRC2:TRAP_HANDLER: 0
; COMPUTE_PGM_RSRC2:TGID_X_EN: 1
; COMPUTE_PGM_RSRC2:TGID_Y_EN: 0
; COMPUTE_PGM_RSRC2:TGID_Z_EN: 0
; COMPUTE_PGM_RSRC2:TIDIG_COMP_CNT: 0
	.section	.text._ZN2at6native29vectorized_elementwise_kernelILi8ENS0_13BinaryFunctorIhhbNS0_12_GLOBAL__N_116CompareEqFunctorIhEEEESt5arrayIPcLm3EEEEviT0_T1_,"axG",@progbits,_ZN2at6native29vectorized_elementwise_kernelILi8ENS0_13BinaryFunctorIhhbNS0_12_GLOBAL__N_116CompareEqFunctorIhEEEESt5arrayIPcLm3EEEEviT0_T1_,comdat
	.globl	_ZN2at6native29vectorized_elementwise_kernelILi8ENS0_13BinaryFunctorIhhbNS0_12_GLOBAL__N_116CompareEqFunctorIhEEEESt5arrayIPcLm3EEEEviT0_T1_ ; -- Begin function _ZN2at6native29vectorized_elementwise_kernelILi8ENS0_13BinaryFunctorIhhbNS0_12_GLOBAL__N_116CompareEqFunctorIhEEEESt5arrayIPcLm3EEEEviT0_T1_
	.p2align	8
	.type	_ZN2at6native29vectorized_elementwise_kernelILi8ENS0_13BinaryFunctorIhhbNS0_12_GLOBAL__N_116CompareEqFunctorIhEEEESt5arrayIPcLm3EEEEviT0_T1_,@function
_ZN2at6native29vectorized_elementwise_kernelILi8ENS0_13BinaryFunctorIhhbNS0_12_GLOBAL__N_116CompareEqFunctorIhEEEESt5arrayIPcLm3EEEEviT0_T1_: ; @_ZN2at6native29vectorized_elementwise_kernelILi8ENS0_13BinaryFunctorIhhbNS0_12_GLOBAL__N_116CompareEqFunctorIhEEEESt5arrayIPcLm3EEEEviT0_T1_
; %bb.0:
	s_load_dwordx2 s[14:15], s[4:5], 0x0
	s_load_dwordx4 s[16:19], s[4:5], 0x8
	s_load_dwordx2 s[20:21], s[4:5], 0x18
	s_lshl_b32 s33, s6, 12
	s_mov_b64 s[0:1], -1
	s_waitcnt lgkmcnt(0)
	s_sub_i32 s14, s14, s33
	s_cmpk_gt_i32 s14, 0xfff
	s_cbranch_scc0 .LBB1_2
; %bb.1:
	s_ashr_i32 s34, s33, 31
	s_add_u32 s0, s18, s33
	s_addc_u32 s1, s19, s34
	v_lshlrev_b32_e32 v9, 3, v0
	global_load_dwordx2 v[1:2], v9, s[0:1]
	global_load_dwordx2 v[3:4], v9, s[0:1] offset:2048
	s_add_u32 s0, s20, s33
	s_addc_u32 s1, s21, s34
	global_load_dwordx2 v[5:6], v9, s[0:1]
	global_load_dwordx2 v[7:8], v9, s[0:1] offset:2048
	s_movk_i32 s0, 0xff
	s_cmp_eq_u32 s15, 0
	s_cselect_b64 s[22:23], -1, 0
	s_mov_b32 s12, 0xffffff
	s_waitcnt vmcnt(3)
	v_and_b32_sdwa v11, v1, s0 dst_sel:DWORD dst_unused:UNUSED_PAD src0_sel:WORD_1 src1_sel:DWORD
	v_and_b32_sdwa v13, v2, s0 dst_sel:DWORD dst_unused:UNUSED_PAD src0_sel:WORD_1 src1_sel:DWORD
	s_waitcnt vmcnt(2)
	v_and_b32_sdwa v15, v3, s0 dst_sel:DWORD dst_unused:UNUSED_PAD src0_sel:WORD_1 src1_sel:DWORD
	v_and_b32_sdwa v17, v4, s0 dst_sel:DWORD dst_unused:UNUSED_PAD src0_sel:WORD_1 src1_sel:DWORD
	;; [unrolled: 3-line block ×4, first 2 shown]
	v_cmp_ne_u16_sdwa s[0:1], v1, v5 src0_sel:BYTE_0 src1_sel:BYTE_0
	v_lshrrev_b32_e32 v10, 8, v1
	v_xor_b32_e32 v1, v5, v1
	s_xor_b64 s[0:1], s[22:23], s[0:1]
	v_lshrrev_b32_e32 v12, 8, v2
	v_lshrrev_b32_e32 v18, 8, v5
	v_lshrrev_b32_e32 v20, 8, v6
	v_cmp_ne_u16_sdwa s[2:3], v2, v6 src0_sel:BYTE_0 src1_sel:BYTE_0
	v_cndmask_b32_e64 v5, 0, 1, s[0:1]
	v_cmp_lt_u32_e64 s[0:1], s12, v1
	s_xor_b64 s[2:3], s[22:23], s[2:3]
	v_cmp_ne_u16_sdwa s[26:27], v12, v20 src0_sel:BYTE_0 src1_sel:BYTE_0
	s_xor_b64 s[0:1], s[22:23], s[0:1]
	v_lshrrev_b32_e32 v14, 8, v3
	v_lshrrev_b32_e32 v16, 8, v4
	;; [unrolled: 1-line block ×3, first 2 shown]
	v_xor_b32_e32 v2, v6, v2
	v_cmp_ne_u16_sdwa s[6:7], v3, v7 src0_sel:BYTE_0 src1_sel:BYTE_0
	v_xor_b32_e32 v3, v7, v3
	v_cmp_ne_u16_sdwa s[10:11], v4, v8 src0_sel:BYTE_0 src1_sel:BYTE_0
	v_xor_b32_e32 v4, v8, v4
	v_cndmask_b32_e64 v6, 0, 1, s[2:3]
	v_cmp_ne_u16_e64 s[2:3], v13, v21
	v_cndmask_b32_e64 v8, 0, 1, s[0:1]
	s_xor_b64 s[0:1], s[22:23], s[26:27]
	v_lshrrev_b32_e32 v22, 8, v7
	v_cmp_lt_u32_e64 s[4:5], s12, v2
	v_cmp_lt_u32_e64 s[8:9], s12, v3
	;; [unrolled: 1-line block ×3, first 2 shown]
	v_cndmask_b32_e64 v4, 0, 1, s[0:1]
	s_xor_b64 s[0:1], s[22:23], s[2:3]
	v_cmp_ne_u16_sdwa s[24:25], v10, v18 src0_sel:BYTE_0 src1_sel:BYTE_0
	s_xor_b64 s[6:7], s[22:23], s[6:7]
	v_cmp_ne_u16_sdwa s[28:29], v14, v22 src0_sel:BYTE_0 src1_sel:BYTE_0
	v_cndmask_b32_e64 v10, 0, 1, s[0:1]
	s_xor_b64 s[0:1], s[22:23], s[4:5]
	v_cmp_ne_u16_e32 vcc, v11, v19
	v_cndmask_b32_e64 v1, 0, 1, s[6:7]
	v_cmp_ne_u16_e64 s[6:7], v15, v23
	v_cndmask_b32_e64 v11, 0, 1, s[0:1]
	s_xor_b64 s[0:1], s[22:23], s[28:29]
	v_cndmask_b32_e64 v12, 0, 1, s[0:1]
	s_xor_b64 s[0:1], s[22:23], s[6:7]
	s_xor_b64 s[10:11], s[22:23], s[10:11]
	v_cmp_ne_u16_sdwa s[30:31], v16, v24 src0_sel:BYTE_0 src1_sel:BYTE_0
	v_cndmask_b32_e64 v13, 0, 1, s[0:1]
	s_xor_b64 s[0:1], s[22:23], s[8:9]
	v_cndmask_b32_e64 v2, 0, 1, s[10:11]
	v_cmp_ne_u16_e64 s[10:11], v17, v25
	s_xor_b64 s[24:25], s[22:23], s[24:25]
	v_cndmask_b32_e64 v14, 0, 1, s[0:1]
	s_xor_b64 s[0:1], s[22:23], s[30:31]
	v_cndmask_b32_e64 v3, 0, 1, s[24:25]
	v_cndmask_b32_e64 v15, 0, 1, s[0:1]
	s_xor_b64 s[0:1], s[22:23], s[10:11]
	s_xor_b64 s[24:25], s[22:23], vcc
	v_cndmask_b32_e64 v16, 0, 1, s[0:1]
	s_xor_b64 s[0:1], s[22:23], s[12:13]
	v_lshlrev_b16_e32 v4, 8, v4
	v_lshlrev_b16_e32 v3, 8, v3
	v_cndmask_b32_e64 v7, 0, 1, s[24:25]
	v_cndmask_b32_e64 v17, 0, 1, s[0:1]
	v_or_b32_e32 v4, v6, v4
	v_lshlrev_b16_e32 v6, 8, v11
	v_or_b32_e32 v3, v5, v3
	v_lshlrev_b16_e32 v5, 8, v8
	v_lshlrev_b16_e32 v15, 8, v15
	;; [unrolled: 1-line block ×5, first 2 shown]
	v_or_b32_sdwa v6, v10, v6 dst_sel:WORD_1 dst_unused:UNUSED_PAD src0_sel:DWORD src1_sel:DWORD
	v_or_b32_sdwa v5, v7, v5 dst_sel:WORD_1 dst_unused:UNUSED_PAD src0_sel:DWORD src1_sel:DWORD
	s_add_u32 s0, s16, s33
	v_or_b32_e32 v2, v2, v15
	v_or_b32_sdwa v15, v16, v17 dst_sel:WORD_1 dst_unused:UNUSED_PAD src0_sel:DWORD src1_sel:DWORD
	v_or_b32_e32 v1, v1, v12
	v_or_b32_sdwa v12, v13, v14 dst_sel:WORD_1 dst_unused:UNUSED_PAD src0_sel:DWORD src1_sel:DWORD
	v_or_b32_sdwa v4, v4, v6 dst_sel:DWORD dst_unused:UNUSED_PAD src0_sel:WORD_0 src1_sel:DWORD
	v_or_b32_sdwa v3, v3, v5 dst_sel:DWORD dst_unused:UNUSED_PAD src0_sel:WORD_0 src1_sel:DWORD
	s_addc_u32 s1, s17, s34
	v_or_b32_sdwa v2, v2, v15 dst_sel:DWORD dst_unused:UNUSED_PAD src0_sel:WORD_0 src1_sel:DWORD
	v_or_b32_sdwa v1, v1, v12 dst_sel:DWORD dst_unused:UNUSED_PAD src0_sel:WORD_0 src1_sel:DWORD
	global_store_dwordx2 v9, v[3:4], s[0:1]
	global_store_dwordx2 v9, v[1:2], s[0:1] offset:2048
	s_mov_b64 s[0:1], 0
.LBB1_2:
	s_andn2_b64 vcc, exec, s[0:1]
	s_cbranch_vccnz .LBB1_54
; %bb.3:
	v_cmp_gt_i32_e32 vcc, s14, v0
	v_cmp_le_i32_e64 s[0:1], s14, v0
                                        ; implicit-def: $vgpr5
	s_and_saveexec_b64 s[2:3], s[0:1]
	s_xor_b64 s[0:1], exec, s[2:3]
; %bb.4:
	v_or_b32_e32 v5, 0x100, v0
; %bb.5:
	s_or_saveexec_b64 s[2:3], s[0:1]
	v_mov_b32_e32 v36, 0
	s_mov_b64 s[4:5], 0
	v_or_b32_e32 v6, s33, v0
	v_mov_b32_e32 v35, 0
	v_mov_b32_e32 v34, 0
	;; [unrolled: 1-line block ×29, first 2 shown]
	s_xor_b64 exec, exec, s[2:3]
	s_cbranch_execz .LBB1_37
; %bb.6:
	global_load_ubyte v7, v6, s[18:19]
	global_load_ubyte v8, v6, s[20:21]
	v_or_b32_e32 v5, 0x100, v0
	v_cmp_gt_u32_e64 s[0:1], s14, v5
	s_mov_b64 s[6:7], 0
	v_mov_b32_e32 v9, 0
	v_mov_b32_e32 v10, 0
	;; [unrolled: 1-line block ×28, first 2 shown]
	s_and_saveexec_b64 s[4:5], s[0:1]
	s_cbranch_execz .LBB1_36
; %bb.7:
	v_add_u32_e32 v3, s33, v0
	global_load_ubyte v10, v3, s[18:19] offset:256
	global_load_ubyte v9, v3, s[20:21] offset:256
	v_or_b32_e32 v1, 0x200, v0
	v_mov_b32_e32 v11, 0
	v_cmp_gt_u32_e64 s[0:1], s14, v1
	s_mov_b64 s[8:9], 0
	v_mov_b32_e32 v13, 0
	v_mov_b32_e32 v12, 0
	;; [unrolled: 1-line block ×25, first 2 shown]
	s_and_saveexec_b64 s[6:7], s[0:1]
	s_cbranch_execz .LBB1_35
; %bb.8:
	v_mov_b32_e32 v2, s19
	v_add_co_u32_e64 v1, s[0:1], s18, v3
	v_addc_co_u32_e64 v2, s[0:1], 0, v2, s[0:1]
	v_mov_b32_e32 v4, s21
	v_add_co_u32_e64 v3, s[0:1], s20, v3
	v_addc_co_u32_e64 v4, s[0:1], 0, v4, s[0:1]
	global_load_ubyte v13, v[1:2], off offset:512
	global_load_ubyte v11, v[3:4], off offset:512
	v_or_b32_e32 v12, 0x300, v0
	v_cmp_gt_u32_e64 s[0:1], s14, v12
	s_mov_b64 s[10:11], 0
	v_mov_b32_e32 v12, 0
	v_mov_b32_e32 v15, 0
	;; [unrolled: 1-line block ×24, first 2 shown]
	s_and_saveexec_b64 s[8:9], s[0:1]
	s_cbranch_execz .LBB1_34
; %bb.9:
	global_load_ubyte v15, v[1:2], off offset:768
	global_load_ubyte v12, v[3:4], off offset:768
	v_or_b32_e32 v14, 0x400, v0
	v_cmp_gt_u32_e64 s[0:1], s14, v14
	s_mov_b64 s[12:13], 0
	v_mov_b32_e32 v16, 0
	v_mov_b32_e32 v17, 0
	;; [unrolled: 1-line block ×22, first 2 shown]
	s_and_saveexec_b64 s[10:11], s[0:1]
	s_cbranch_execz .LBB1_33
; %bb.10:
	global_load_ubyte v17, v[1:2], off offset:1024
	global_load_ubyte v16, v[3:4], off offset:1024
	v_or_b32_e32 v14, 0x500, v0
	v_cmp_gt_u32_e64 s[0:1], s14, v14
	s_mov_b64 s[18:19], 0
	v_mov_b32_e32 v18, 0
	v_mov_b32_e32 v21, 0
	;; [unrolled: 1-line block ×20, first 2 shown]
	s_and_saveexec_b64 s[12:13], s[0:1]
	s_cbranch_execz .LBB1_32
; %bb.11:
	global_load_ubyte v21, v[1:2], off offset:1280
	global_load_ubyte v18, v[3:4], off offset:1280
	v_or_b32_e32 v14, 0x600, v0
	v_cmp_gt_u32_e64 s[0:1], s14, v14
	s_mov_b64 s[20:21], 0
	v_mov_b32_e32 v14, 0
	v_mov_b32_e32 v19, 0
	;; [unrolled: 1-line block ×18, first 2 shown]
	s_and_saveexec_b64 s[18:19], s[0:1]
	s_cbranch_execz .LBB1_31
; %bb.12:
	global_load_ubyte v19, v[1:2], off offset:1536
	global_load_ubyte v14, v[3:4], off offset:1536
	v_or_b32_e32 v20, 0x700, v0
	v_cmp_gt_u32_e64 s[0:1], s14, v20
	s_mov_b64 s[22:23], 0
	v_mov_b32_e32 v20, 0
	v_mov_b32_e32 v22, 0
	;; [unrolled: 1-line block ×16, first 2 shown]
	s_and_saveexec_b64 s[20:21], s[0:1]
	s_cbranch_execz .LBB1_30
; %bb.13:
	global_load_ubyte v22, v[1:2], off offset:1792
	global_load_ubyte v20, v[3:4], off offset:1792
	v_or_b32_e32 v23, 0x800, v0
	v_cmp_gt_u32_e64 s[0:1], s14, v23
	s_mov_b64 s[24:25], 0
	v_mov_b32_e32 v23, 0
	v_mov_b32_e32 v24, 0
	;; [unrolled: 1-line block ×14, first 2 shown]
	s_and_saveexec_b64 s[22:23], s[0:1]
	s_cbranch_execz .LBB1_29
; %bb.14:
	global_load_ubyte v24, v[1:2], off offset:2048
	global_load_ubyte v23, v[3:4], off offset:2048
	v_or_b32_e32 v25, 0x900, v0
	v_cmp_gt_u32_e64 s[0:1], s14, v25
	s_mov_b64 s[26:27], 0
	v_mov_b32_e32 v25, 0
	v_mov_b32_e32 v26, 0
	;; [unrolled: 1-line block ×12, first 2 shown]
	s_and_saveexec_b64 s[24:25], s[0:1]
	s_cbranch_execz .LBB1_28
; %bb.15:
	global_load_ubyte v26, v[1:2], off offset:2304
	global_load_ubyte v25, v[3:4], off offset:2304
	v_or_b32_e32 v27, 0xa00, v0
	v_cmp_gt_u32_e64 s[0:1], s14, v27
	s_mov_b64 s[28:29], 0
	v_mov_b32_e32 v27, 0
	v_mov_b32_e32 v28, 0
	;; [unrolled: 1-line block ×10, first 2 shown]
	s_and_saveexec_b64 s[26:27], s[0:1]
	s_cbranch_execz .LBB1_27
; %bb.16:
	global_load_ubyte v28, v[1:2], off offset:2560
	global_load_ubyte v27, v[3:4], off offset:2560
	v_or_b32_e32 v29, 0xb00, v0
	v_cmp_gt_u32_e64 s[0:1], s14, v29
	s_mov_b64 s[30:31], 0
	v_mov_b32_e32 v29, 0
	v_mov_b32_e32 v30, 0
	;; [unrolled: 1-line block ×8, first 2 shown]
	s_and_saveexec_b64 s[28:29], s[0:1]
	s_cbranch_execz .LBB1_26
; %bb.17:
	global_load_ubyte v30, v[1:2], off offset:2816
	global_load_ubyte v29, v[3:4], off offset:2816
	v_or_b32_e32 v31, 0xc00, v0
	v_cmp_gt_u32_e64 s[0:1], s14, v31
	s_mov_b64 s[34:35], 0
	v_mov_b32_e32 v31, 0
	v_mov_b32_e32 v32, 0
	;; [unrolled: 1-line block ×6, first 2 shown]
	s_and_saveexec_b64 s[30:31], s[0:1]
	s_cbranch_execz .LBB1_25
; %bb.18:
	global_load_ubyte v32, v[1:2], off offset:3072
	global_load_ubyte v31, v[3:4], off offset:3072
	v_or_b32_e32 v33, 0xd00, v0
	v_cmp_gt_u32_e64 s[0:1], s14, v33
	s_mov_b64 s[36:37], 0
	v_mov_b32_e32 v33, 0
	v_mov_b32_e32 v34, 0
	;; [unrolled: 1-line block ×4, first 2 shown]
	s_and_saveexec_b64 s[34:35], s[0:1]
	s_cbranch_execz .LBB1_24
; %bb.19:
	global_load_ubyte v34, v[1:2], off offset:3328
	global_load_ubyte v33, v[3:4], off offset:3328
	v_or_b32_e32 v35, 0xe00, v0
	v_cmp_gt_u32_e64 s[0:1], s14, v35
	s_mov_b64 s[38:39], 0
	v_mov_b32_e32 v35, 0
	v_mov_b32_e32 v36, 0
	s_and_saveexec_b64 s[36:37], s[0:1]
	s_cbranch_execz .LBB1_23
; %bb.20:
	global_load_ubyte v36, v[1:2], off offset:3584
	global_load_ubyte v35, v[3:4], off offset:3584
	v_or_b32_e32 v37, 0xf00, v0
	v_cmp_gt_u32_e64 s[0:1], s14, v37
	s_mov_b64 s[40:41], 0
	s_and_saveexec_b64 s[38:39], s[0:1]
	s_cbranch_execz .LBB1_22
; %bb.21:
	global_load_ubyte v37, v[1:2], off offset:3840
	global_load_ubyte v38, v[3:4], off offset:3840
	s_waitcnt vmcnt(0)
	v_cmp_ne_u16_e64 s[0:1], v37, v38
	s_and_b64 s[40:41], s[0:1], exec
.LBB1_22:
	s_or_b64 exec, exec, s[38:39]
	s_and_b64 s[38:39], s[40:41], exec
.LBB1_23:
	s_or_b64 exec, exec, s[36:37]
	s_and_b64 s[36:37], s[38:39], exec
.LBB1_24:
	s_or_b64 exec, exec, s[34:35]
	s_and_b64 s[34:35], s[36:37], exec
.LBB1_25:
	s_or_b64 exec, exec, s[30:31]
	s_and_b64 s[30:31], s[34:35], exec
.LBB1_26:
	s_or_b64 exec, exec, s[28:29]
	s_and_b64 s[28:29], s[30:31], exec
.LBB1_27:
	s_or_b64 exec, exec, s[26:27]
	s_and_b64 s[26:27], s[28:29], exec
.LBB1_28:
	s_or_b64 exec, exec, s[24:25]
	s_and_b64 s[24:25], s[26:27], exec
.LBB1_29:
	s_or_b64 exec, exec, s[22:23]
	s_and_b64 s[22:23], s[24:25], exec
.LBB1_30:
	s_or_b64 exec, exec, s[20:21]
	s_and_b64 s[20:21], s[22:23], exec
.LBB1_31:
	s_or_b64 exec, exec, s[18:19]
	s_and_b64 s[18:19], s[20:21], exec
.LBB1_32:
	s_or_b64 exec, exec, s[12:13]
	s_and_b64 s[12:13], s[18:19], exec
.LBB1_33:
	s_or_b64 exec, exec, s[10:11]
	s_and_b64 s[10:11], s[12:13], exec
.LBB1_34:
	s_or_b64 exec, exec, s[8:9]
	s_and_b64 s[8:9], s[10:11], exec
.LBB1_35:
	s_or_b64 exec, exec, s[6:7]
	s_and_b64 s[6:7], s[8:9], exec
.LBB1_36:
	s_or_b64 exec, exec, s[4:5]
	s_and_b64 s[4:5], s[6:7], exec
.LBB1_37:
	s_or_b64 exec, exec, s[2:3]
	s_cmp_eq_u32 s15, 0
	s_cselect_b64 s[2:3], -1, 0
	s_waitcnt vmcnt(0)
	v_cmp_ne_u16_sdwa s[0:1], v7, v8 src0_sel:BYTE_0 src1_sel:BYTE_0
	s_xor_b64 s[0:1], s[2:3], s[0:1]
	v_cndmask_b32_e64 v1, 0, 1, s[0:1]
	v_cmp_ne_u16_sdwa s[0:1], v10, v9 src0_sel:BYTE_0 src1_sel:BYTE_0
	s_xor_b64 s[0:1], s[2:3], s[0:1]
	v_cndmask_b32_e64 v2, 0, 1, s[0:1]
	v_cndmask_b32_e32 v1, 0, v1, vcc
	v_lshlrev_b16_e32 v2, 8, v2
	v_or_b32_e32 v2, v1, v2
	v_and_b32_e32 v2, 0xffff, v2
	v_cmp_gt_i32_e64 s[0:1], s14, v5
	v_cndmask_b32_e64 v1, v1, v2, s[0:1]
	v_cmp_ne_u16_sdwa s[0:1], v13, v11 src0_sel:BYTE_0 src1_sel:BYTE_0
	s_xor_b64 s[0:1], s[2:3], s[0:1]
	v_or_b32_e32 v2, 0x200, v0
	v_cndmask_b32_e64 v3, 0, 1, s[0:1]
	v_lshl_or_b32 v3, v3, 16, v1
	v_cmp_gt_i32_e64 s[0:1], s14, v2
	v_cndmask_b32_e64 v1, v1, v3, s[0:1]
	v_cmp_ne_u16_sdwa s[0:1], v15, v12 src0_sel:BYTE_0 src1_sel:BYTE_0
	s_xor_b64 s[0:1], s[2:3], s[0:1]
	s_movk_i32 s6, 0xff
	v_cndmask_b32_e64 v4, 0, 1, s[0:1]
	v_and_b32_sdwa v2, v1, s6 dst_sel:DWORD dst_unused:UNUSED_PAD src0_sel:WORD_1 src1_sel:DWORD
	v_lshlrev_b16_e32 v4, 8, v4
	s_mov_b32 s7, 0xffff
	v_or_b32_e32 v3, 0x300, v0
	v_or_b32_sdwa v2, v2, v4 dst_sel:WORD_1 dst_unused:UNUSED_PAD src0_sel:DWORD src1_sel:DWORD
	v_and_or_b32 v2, v1, s7, v2
	v_cmp_gt_i32_e64 s[0:1], s14, v3
	v_cndmask_b32_e64 v4, v1, v2, s[0:1]
	v_cmp_ne_u16_sdwa s[0:1], v17, v16 src0_sel:BYTE_0 src1_sel:BYTE_0
	s_xor_b64 s[0:1], s[2:3], s[0:1]
	v_cndmask_b32_e64 v1, 0, 1, s[0:1]
	v_or_b32_e32 v2, 0x400, v0
	v_and_b32_e32 v1, 0xffff, v1
	v_cmp_gt_i32_e64 s[0:1], s14, v2
	v_cndmask_b32_e64 v1, 0, v1, s[0:1]
	v_cmp_ne_u16_sdwa s[0:1], v21, v18 src0_sel:BYTE_0 src1_sel:BYTE_0
	s_xor_b64 s[0:1], s[2:3], s[0:1]
	v_cndmask_b32_e64 v3, 0, 1, s[0:1]
	v_lshlrev_b16_e32 v3, 8, v3
	v_or_b32_e32 v2, 0x500, v0
	v_or_b32_sdwa v3, v1, v3 dst_sel:DWORD dst_unused:UNUSED_PAD src0_sel:BYTE_0 src1_sel:DWORD
	v_and_b32_e32 v3, 0xffff, v3
	v_cmp_gt_i32_e64 s[0:1], s14, v2
	v_cndmask_b32_e64 v1, v1, v3, s[0:1]
	v_cmp_ne_u16_sdwa s[0:1], v19, v14 src0_sel:BYTE_0 src1_sel:BYTE_0
	s_movk_i32 s8, 0xff00
	s_xor_b64 s[0:1], s[2:3], s[0:1]
	v_and_b32_sdwa v2, v1, s8 dst_sel:DWORD dst_unused:UNUSED_PAD src0_sel:WORD_1 src1_sel:DWORD
	v_cndmask_b32_e64 v3, 0, 1, s[0:1]
	v_or_b32_sdwa v2, v3, v2 dst_sel:WORD_1 dst_unused:UNUSED_PAD src0_sel:DWORD src1_sel:DWORD
	v_or_b32_e32 v3, 0x600, v0
	v_and_or_b32 v2, v1, s7, v2
	v_cmp_gt_i32_e64 s[0:1], s14, v3
	v_cndmask_b32_e64 v1, v1, v2, s[0:1]
	v_cmp_ne_u16_sdwa s[0:1], v22, v20 src0_sel:BYTE_0 src1_sel:BYTE_0
	s_xor_b64 s[0:1], s[2:3], s[0:1]
	v_cndmask_b32_e64 v7, 0, 1, s[0:1]
	v_and_b32_sdwa v2, v1, s6 dst_sel:DWORD dst_unused:UNUSED_PAD src0_sel:WORD_1 src1_sel:DWORD
	v_lshlrev_b16_e32 v7, 8, v7
	v_or_b32_e32 v3, 0x700, v0
	v_or_b32_sdwa v2, v2, v7 dst_sel:WORD_1 dst_unused:UNUSED_PAD src0_sel:DWORD src1_sel:DWORD
	v_and_or_b32 v2, v1, s7, v2
	v_cmp_gt_i32_e64 s[0:1], s14, v3
	v_cndmask_b32_e64 v3, v1, v2, s[0:1]
	v_cmp_ne_u16_sdwa s[0:1], v24, v23 src0_sel:BYTE_0 src1_sel:BYTE_0
	v_or_b32_e32 v1, 0x800, v0
	s_xor_b64 s[0:1], s[2:3], s[0:1]
	v_cndmask_b32_e64 v2, 0, 1, s[0:1]
	v_cmp_gt_i32_e64 s[0:1], s14, v1
	v_cndmask_b32_e64 v1, 0, v2, s[0:1]
	v_cmp_ne_u16_sdwa s[0:1], v26, v25 src0_sel:BYTE_0 src1_sel:BYTE_0
	s_xor_b64 s[0:1], s[2:3], s[0:1]
	v_cndmask_b32_e64 v7, 0, 1, s[0:1]
	v_lshlrev_b16_e32 v7, 8, v7
	v_or_b32_e32 v2, 0x900, v0
	v_or_b32_e32 v7, v1, v7
	v_and_b32_e32 v7, 0xffff, v7
	v_cmp_gt_i32_e64 s[0:1], s14, v2
	v_cndmask_b32_e64 v1, v1, v7, s[0:1]
	v_cmp_ne_u16_sdwa s[0:1], v28, v27 src0_sel:BYTE_0 src1_sel:BYTE_0
	s_xor_b64 s[0:1], s[2:3], s[0:1]
	v_cndmask_b32_e64 v7, 0, 1, s[0:1]
	v_or_b32_e32 v2, 0xa00, v0
	v_lshlrev_b32_e32 v7, 16, v7
	s_movk_i32 s0, 0x1ff
	v_and_or_b32 v7, v1, s0, v7
	v_cmp_gt_i32_e64 s[0:1], s14, v2
	v_cndmask_b32_e64 v1, v1, v7, s[0:1]
	v_cmp_ne_u16_sdwa s[0:1], v30, v29 src0_sel:BYTE_0 src1_sel:BYTE_0
	s_xor_b64 s[0:1], s[2:3], s[0:1]
	v_cndmask_b32_e64 v8, 0, 1, s[0:1]
	v_and_b32_sdwa v2, v1, s6 dst_sel:DWORD dst_unused:UNUSED_PAD src0_sel:WORD_1 src1_sel:DWORD
	v_lshlrev_b16_e32 v8, 8, v8
	v_or_b32_e32 v7, 0xb00, v0
	v_or_b32_sdwa v2, v2, v8 dst_sel:WORD_1 dst_unused:UNUSED_PAD src0_sel:DWORD src1_sel:DWORD
	v_and_or_b32 v2, v1, s7, v2
	v_cmp_gt_i32_e64 s[0:1], s14, v7
	v_cndmask_b32_e64 v2, v1, v2, s[0:1]
	v_cmp_ne_u16_sdwa s[0:1], v32, v31 src0_sel:BYTE_0 src1_sel:BYTE_0
	v_or_b32_e32 v1, 0xc00, v0
	s_xor_b64 s[0:1], s[2:3], s[0:1]
	v_cndmask_b32_e64 v7, 0, 1, s[0:1]
	v_cmp_gt_i32_e64 s[0:1], s14, v1
	v_cndmask_b32_e64 v1, 0, v7, s[0:1]
	v_cmp_ne_u16_sdwa s[0:1], v34, v33 src0_sel:BYTE_0 src1_sel:BYTE_0
	s_xor_b64 s[0:1], s[2:3], s[0:1]
	v_cndmask_b32_e64 v8, 0, 1, s[0:1]
	v_lshlrev_b16_e32 v8, 8, v8
	v_or_b32_e32 v7, 0xd00, v0
	v_or_b32_sdwa v8, v1, v8 dst_sel:DWORD dst_unused:UNUSED_PAD src0_sel:BYTE_0 src1_sel:DWORD
	v_and_b32_e32 v8, 0xffff, v8
	v_cmp_gt_i32_e64 s[0:1], s14, v7
	v_cndmask_b32_e64 v1, v1, v8, s[0:1]
	v_cmp_ne_u16_sdwa s[0:1], v36, v35 src0_sel:BYTE_0 src1_sel:BYTE_0
	s_xor_b64 s[0:1], s[2:3], s[0:1]
	v_and_b32_sdwa v7, v1, s8 dst_sel:DWORD dst_unused:UNUSED_PAD src0_sel:WORD_1 src1_sel:DWORD
	v_cndmask_b32_e64 v8, 0, 1, s[0:1]
	v_or_b32_sdwa v7, v8, v7 dst_sel:WORD_1 dst_unused:UNUSED_PAD src0_sel:DWORD src1_sel:DWORD
	v_or_b32_e32 v8, 0xe00, v0
	v_and_or_b32 v7, v1, s7, v7
	v_cmp_gt_i32_e64 s[0:1], s14, v8
	v_cndmask_b32_e64 v1, v1, v7, s[0:1]
	s_xor_b64 s[0:1], s[2:3], s[4:5]
	v_cndmask_b32_e64 v9, 0, 1, s[0:1]
	v_and_b32_sdwa v7, v1, s6 dst_sel:DWORD dst_unused:UNUSED_PAD src0_sel:WORD_1 src1_sel:DWORD
	v_lshlrev_b16_e32 v9, 8, v9
	v_or_b32_e32 v8, 0xf00, v0
	v_or_b32_sdwa v7, v7, v9 dst_sel:WORD_1 dst_unused:UNUSED_PAD src0_sel:DWORD src1_sel:DWORD
	v_and_or_b32 v7, v1, s7, v7
	v_cmp_gt_i32_e64 s[0:1], s14, v8
	v_cndmask_b32_e64 v1, v1, v7, s[0:1]
	s_and_saveexec_b64 s[0:1], vcc
	s_cbranch_execnz .LBB1_55
; %bb.38:
	s_or_b64 exec, exec, s[0:1]
	v_cmp_gt_i32_e32 vcc, s14, v0
	s_and_saveexec_b64 s[0:1], vcc
	s_cbranch_execnz .LBB1_56
.LBB1_39:
	s_or_b64 exec, exec, s[0:1]
	v_cmp_gt_i32_e32 vcc, s14, v0
	s_and_saveexec_b64 s[0:1], vcc
	s_cbranch_execnz .LBB1_57
.LBB1_40:
	s_or_b64 exec, exec, s[0:1]
	v_cmp_gt_i32_e32 vcc, s14, v0
	s_and_saveexec_b64 s[0:1], vcc
	s_cbranch_execnz .LBB1_58
.LBB1_41:
	s_or_b64 exec, exec, s[0:1]
	v_cmp_gt_i32_e32 vcc, s14, v0
	s_and_saveexec_b64 s[0:1], vcc
	s_cbranch_execnz .LBB1_59
.LBB1_42:
	s_or_b64 exec, exec, s[0:1]
	v_cmp_gt_i32_e32 vcc, s14, v0
	s_and_saveexec_b64 s[0:1], vcc
	s_cbranch_execnz .LBB1_60
.LBB1_43:
	s_or_b64 exec, exec, s[0:1]
	v_cmp_gt_i32_e32 vcc, s14, v0
	s_and_saveexec_b64 s[0:1], vcc
	s_cbranch_execnz .LBB1_61
.LBB1_44:
	s_or_b64 exec, exec, s[0:1]
	v_cmp_gt_i32_e32 vcc, s14, v0
	s_and_saveexec_b64 s[0:1], vcc
	s_cbranch_execnz .LBB1_62
.LBB1_45:
	s_or_b64 exec, exec, s[0:1]
	v_cmp_gt_i32_e32 vcc, s14, v0
	s_and_saveexec_b64 s[0:1], vcc
	s_cbranch_execnz .LBB1_63
.LBB1_46:
	s_or_b64 exec, exec, s[0:1]
	v_cmp_gt_i32_e32 vcc, s14, v0
	s_and_saveexec_b64 s[0:1], vcc
	s_cbranch_execnz .LBB1_64
.LBB1_47:
	s_or_b64 exec, exec, s[0:1]
	v_cmp_gt_i32_e32 vcc, s14, v0
	s_and_saveexec_b64 s[0:1], vcc
	s_cbranch_execnz .LBB1_65
.LBB1_48:
	s_or_b64 exec, exec, s[0:1]
	v_cmp_gt_i32_e32 vcc, s14, v0
	s_and_saveexec_b64 s[0:1], vcc
	s_cbranch_execnz .LBB1_66
.LBB1_49:
	s_or_b64 exec, exec, s[0:1]
	v_cmp_gt_i32_e32 vcc, s14, v0
	s_and_saveexec_b64 s[0:1], vcc
	s_cbranch_execnz .LBB1_67
.LBB1_50:
	s_or_b64 exec, exec, s[0:1]
	v_cmp_gt_i32_e32 vcc, s14, v0
	s_and_saveexec_b64 s[0:1], vcc
	s_cbranch_execnz .LBB1_68
.LBB1_51:
	s_or_b64 exec, exec, s[0:1]
	v_cmp_gt_i32_e32 vcc, s14, v0
	s_and_saveexec_b64 s[0:1], vcc
	s_cbranch_execnz .LBB1_69
.LBB1_52:
	s_or_b64 exec, exec, s[0:1]
	v_cmp_gt_i32_e32 vcc, s14, v0
	s_and_saveexec_b64 s[0:1], vcc
	s_cbranch_execz .LBB1_54
.LBB1_53:
	v_lshrrev_b32_e32 v1, 24, v1
	v_add_u32_e32 v0, s33, v0
	global_store_byte v0, v1, s[16:17]
.LBB1_54:
	s_endpgm
.LBB1_55:
	v_mov_b32_e32 v0, v5
	global_store_byte v6, v4, s[16:17]
	s_or_b64 exec, exec, s[0:1]
	v_cmp_gt_i32_e32 vcc, s14, v0
	s_and_saveexec_b64 s[0:1], vcc
	s_cbranch_execz .LBB1_39
.LBB1_56:
	v_lshrrev_b32_e32 v5, 8, v4
	v_add_u32_e32 v6, s33, v0
	v_add_u32_e32 v0, 0x100, v0
	global_store_byte v6, v5, s[16:17]
	s_or_b64 exec, exec, s[0:1]
	v_cmp_gt_i32_e32 vcc, s14, v0
	s_and_saveexec_b64 s[0:1], vcc
	s_cbranch_execz .LBB1_40
.LBB1_57:
	v_add_u32_e32 v5, s33, v0
	v_add_u32_e32 v0, 0x100, v0
	global_store_byte_d16_hi v5, v4, s[16:17]
	s_or_b64 exec, exec, s[0:1]
	v_cmp_gt_i32_e32 vcc, s14, v0
	s_and_saveexec_b64 s[0:1], vcc
	s_cbranch_execz .LBB1_41
.LBB1_58:
	v_lshrrev_b32_e32 v4, 24, v4
	v_add_u32_e32 v5, s33, v0
	v_add_u32_e32 v0, 0x100, v0
	global_store_byte v5, v4, s[16:17]
	s_or_b64 exec, exec, s[0:1]
	v_cmp_gt_i32_e32 vcc, s14, v0
	s_and_saveexec_b64 s[0:1], vcc
	s_cbranch_execz .LBB1_42
.LBB1_59:
	v_add_u32_e32 v4, s33, v0
	v_add_u32_e32 v0, 0x100, v0
	global_store_byte v4, v3, s[16:17]
	s_or_b64 exec, exec, s[0:1]
	v_cmp_gt_i32_e32 vcc, s14, v0
	s_and_saveexec_b64 s[0:1], vcc
	s_cbranch_execz .LBB1_43
.LBB1_60:
	v_lshrrev_b32_e32 v4, 8, v3
	v_add_u32_e32 v5, s33, v0
	v_add_u32_e32 v0, 0x100, v0
	global_store_byte v5, v4, s[16:17]
	s_or_b64 exec, exec, s[0:1]
	v_cmp_gt_i32_e32 vcc, s14, v0
	s_and_saveexec_b64 s[0:1], vcc
	s_cbranch_execz .LBB1_44
.LBB1_61:
	v_add_u32_e32 v4, s33, v0
	v_add_u32_e32 v0, 0x100, v0
	global_store_byte_d16_hi v4, v3, s[16:17]
	s_or_b64 exec, exec, s[0:1]
	v_cmp_gt_i32_e32 vcc, s14, v0
	s_and_saveexec_b64 s[0:1], vcc
	s_cbranch_execz .LBB1_45
.LBB1_62:
	v_lshrrev_b32_e32 v3, 24, v3
	v_add_u32_e32 v4, s33, v0
	v_add_u32_e32 v0, 0x100, v0
	global_store_byte v4, v3, s[16:17]
	s_or_b64 exec, exec, s[0:1]
	v_cmp_gt_i32_e32 vcc, s14, v0
	s_and_saveexec_b64 s[0:1], vcc
	s_cbranch_execz .LBB1_46
.LBB1_63:
	v_add_u32_e32 v3, s33, v0
	v_add_u32_e32 v0, 0x100, v0
	global_store_byte v3, v2, s[16:17]
	s_or_b64 exec, exec, s[0:1]
	v_cmp_gt_i32_e32 vcc, s14, v0
	s_and_saveexec_b64 s[0:1], vcc
	s_cbranch_execz .LBB1_47
.LBB1_64:
	v_lshrrev_b32_e32 v3, 8, v2
	v_add_u32_e32 v4, s33, v0
	v_add_u32_e32 v0, 0x100, v0
	global_store_byte v4, v3, s[16:17]
	s_or_b64 exec, exec, s[0:1]
	v_cmp_gt_i32_e32 vcc, s14, v0
	s_and_saveexec_b64 s[0:1], vcc
	s_cbranch_execz .LBB1_48
.LBB1_65:
	v_add_u32_e32 v3, s33, v0
	v_add_u32_e32 v0, 0x100, v0
	global_store_byte_d16_hi v3, v2, s[16:17]
	s_or_b64 exec, exec, s[0:1]
	v_cmp_gt_i32_e32 vcc, s14, v0
	s_and_saveexec_b64 s[0:1], vcc
	s_cbranch_execz .LBB1_49
.LBB1_66:
	v_lshrrev_b32_e32 v2, 24, v2
	v_add_u32_e32 v3, s33, v0
	v_add_u32_e32 v0, 0x100, v0
	global_store_byte v3, v2, s[16:17]
	s_or_b64 exec, exec, s[0:1]
	v_cmp_gt_i32_e32 vcc, s14, v0
	s_and_saveexec_b64 s[0:1], vcc
	s_cbranch_execz .LBB1_50
.LBB1_67:
	v_add_u32_e32 v2, s33, v0
	v_add_u32_e32 v0, 0x100, v0
	global_store_byte v2, v1, s[16:17]
	s_or_b64 exec, exec, s[0:1]
	v_cmp_gt_i32_e32 vcc, s14, v0
	s_and_saveexec_b64 s[0:1], vcc
	s_cbranch_execz .LBB1_51
.LBB1_68:
	v_lshrrev_b32_e32 v2, 8, v1
	v_add_u32_e32 v3, s33, v0
	v_add_u32_e32 v0, 0x100, v0
	global_store_byte v3, v2, s[16:17]
	s_or_b64 exec, exec, s[0:1]
	v_cmp_gt_i32_e32 vcc, s14, v0
	s_and_saveexec_b64 s[0:1], vcc
	s_cbranch_execz .LBB1_52
.LBB1_69:
	v_add_u32_e32 v2, s33, v0
	v_add_u32_e32 v0, 0x100, v0
	global_store_byte_d16_hi v2, v1, s[16:17]
	s_or_b64 exec, exec, s[0:1]
	v_cmp_gt_i32_e32 vcc, s14, v0
	s_and_saveexec_b64 s[0:1], vcc
	s_cbranch_execnz .LBB1_53
	s_branch .LBB1_54
	.section	.rodata,"a",@progbits
	.p2align	6, 0x0
	.amdhsa_kernel _ZN2at6native29vectorized_elementwise_kernelILi8ENS0_13BinaryFunctorIhhbNS0_12_GLOBAL__N_116CompareEqFunctorIhEEEESt5arrayIPcLm3EEEEviT0_T1_
		.amdhsa_group_segment_fixed_size 0
		.amdhsa_private_segment_fixed_size 0
		.amdhsa_kernarg_size 32
		.amdhsa_user_sgpr_count 6
		.amdhsa_user_sgpr_private_segment_buffer 1
		.amdhsa_user_sgpr_dispatch_ptr 0
		.amdhsa_user_sgpr_queue_ptr 0
		.amdhsa_user_sgpr_kernarg_segment_ptr 1
		.amdhsa_user_sgpr_dispatch_id 0
		.amdhsa_user_sgpr_flat_scratch_init 0
		.amdhsa_user_sgpr_private_segment_size 0
		.amdhsa_uses_dynamic_stack 0
		.amdhsa_system_sgpr_private_segment_wavefront_offset 0
		.amdhsa_system_sgpr_workgroup_id_x 1
		.amdhsa_system_sgpr_workgroup_id_y 0
		.amdhsa_system_sgpr_workgroup_id_z 0
		.amdhsa_system_sgpr_workgroup_info 0
		.amdhsa_system_vgpr_workitem_id 0
		.amdhsa_next_free_vgpr 39
		.amdhsa_next_free_sgpr 42
		.amdhsa_reserve_vcc 1
		.amdhsa_reserve_flat_scratch 0
		.amdhsa_float_round_mode_32 0
		.amdhsa_float_round_mode_16_64 0
		.amdhsa_float_denorm_mode_32 3
		.amdhsa_float_denorm_mode_16_64 3
		.amdhsa_dx10_clamp 1
		.amdhsa_ieee_mode 1
		.amdhsa_fp16_overflow 0
		.amdhsa_exception_fp_ieee_invalid_op 0
		.amdhsa_exception_fp_denorm_src 0
		.amdhsa_exception_fp_ieee_div_zero 0
		.amdhsa_exception_fp_ieee_overflow 0
		.amdhsa_exception_fp_ieee_underflow 0
		.amdhsa_exception_fp_ieee_inexact 0
		.amdhsa_exception_int_div_zero 0
	.end_amdhsa_kernel
	.section	.text._ZN2at6native29vectorized_elementwise_kernelILi8ENS0_13BinaryFunctorIhhbNS0_12_GLOBAL__N_116CompareEqFunctorIhEEEESt5arrayIPcLm3EEEEviT0_T1_,"axG",@progbits,_ZN2at6native29vectorized_elementwise_kernelILi8ENS0_13BinaryFunctorIhhbNS0_12_GLOBAL__N_116CompareEqFunctorIhEEEESt5arrayIPcLm3EEEEviT0_T1_,comdat
.Lfunc_end1:
	.size	_ZN2at6native29vectorized_elementwise_kernelILi8ENS0_13BinaryFunctorIhhbNS0_12_GLOBAL__N_116CompareEqFunctorIhEEEESt5arrayIPcLm3EEEEviT0_T1_, .Lfunc_end1-_ZN2at6native29vectorized_elementwise_kernelILi8ENS0_13BinaryFunctorIhhbNS0_12_GLOBAL__N_116CompareEqFunctorIhEEEESt5arrayIPcLm3EEEEviT0_T1_
                                        ; -- End function
	.set _ZN2at6native29vectorized_elementwise_kernelILi8ENS0_13BinaryFunctorIhhbNS0_12_GLOBAL__N_116CompareEqFunctorIhEEEESt5arrayIPcLm3EEEEviT0_T1_.num_vgpr, 39
	.set _ZN2at6native29vectorized_elementwise_kernelILi8ENS0_13BinaryFunctorIhhbNS0_12_GLOBAL__N_116CompareEqFunctorIhEEEESt5arrayIPcLm3EEEEviT0_T1_.num_agpr, 0
	.set _ZN2at6native29vectorized_elementwise_kernelILi8ENS0_13BinaryFunctorIhhbNS0_12_GLOBAL__N_116CompareEqFunctorIhEEEESt5arrayIPcLm3EEEEviT0_T1_.numbered_sgpr, 42
	.set _ZN2at6native29vectorized_elementwise_kernelILi8ENS0_13BinaryFunctorIhhbNS0_12_GLOBAL__N_116CompareEqFunctorIhEEEESt5arrayIPcLm3EEEEviT0_T1_.num_named_barrier, 0
	.set _ZN2at6native29vectorized_elementwise_kernelILi8ENS0_13BinaryFunctorIhhbNS0_12_GLOBAL__N_116CompareEqFunctorIhEEEESt5arrayIPcLm3EEEEviT0_T1_.private_seg_size, 0
	.set _ZN2at6native29vectorized_elementwise_kernelILi8ENS0_13BinaryFunctorIhhbNS0_12_GLOBAL__N_116CompareEqFunctorIhEEEESt5arrayIPcLm3EEEEviT0_T1_.uses_vcc, 1
	.set _ZN2at6native29vectorized_elementwise_kernelILi8ENS0_13BinaryFunctorIhhbNS0_12_GLOBAL__N_116CompareEqFunctorIhEEEESt5arrayIPcLm3EEEEviT0_T1_.uses_flat_scratch, 0
	.set _ZN2at6native29vectorized_elementwise_kernelILi8ENS0_13BinaryFunctorIhhbNS0_12_GLOBAL__N_116CompareEqFunctorIhEEEESt5arrayIPcLm3EEEEviT0_T1_.has_dyn_sized_stack, 0
	.set _ZN2at6native29vectorized_elementwise_kernelILi8ENS0_13BinaryFunctorIhhbNS0_12_GLOBAL__N_116CompareEqFunctorIhEEEESt5arrayIPcLm3EEEEviT0_T1_.has_recursion, 0
	.set _ZN2at6native29vectorized_elementwise_kernelILi8ENS0_13BinaryFunctorIhhbNS0_12_GLOBAL__N_116CompareEqFunctorIhEEEESt5arrayIPcLm3EEEEviT0_T1_.has_indirect_call, 0
	.section	.AMDGPU.csdata,"",@progbits
; Kernel info:
; codeLenInByte = 4376
; TotalNumSgprs: 46
; NumVgprs: 39
; ScratchSize: 0
; MemoryBound: 0
; FloatMode: 240
; IeeeMode: 1
; LDSByteSize: 0 bytes/workgroup (compile time only)
; SGPRBlocks: 5
; VGPRBlocks: 9
; NumSGPRsForWavesPerEU: 46
; NumVGPRsForWavesPerEU: 39
; Occupancy: 6
; WaveLimiterHint : 1
; COMPUTE_PGM_RSRC2:SCRATCH_EN: 0
; COMPUTE_PGM_RSRC2:USER_SGPR: 6
; COMPUTE_PGM_RSRC2:TRAP_HANDLER: 0
; COMPUTE_PGM_RSRC2:TGID_X_EN: 1
; COMPUTE_PGM_RSRC2:TGID_Y_EN: 0
; COMPUTE_PGM_RSRC2:TGID_Z_EN: 0
; COMPUTE_PGM_RSRC2:TIDIG_COMP_CNT: 0
	.section	.text._ZN2at6native29vectorized_elementwise_kernelILi4ENS0_13BinaryFunctorIhhbNS0_12_GLOBAL__N_116CompareEqFunctorIhEEEESt5arrayIPcLm3EEEEviT0_T1_,"axG",@progbits,_ZN2at6native29vectorized_elementwise_kernelILi4ENS0_13BinaryFunctorIhhbNS0_12_GLOBAL__N_116CompareEqFunctorIhEEEESt5arrayIPcLm3EEEEviT0_T1_,comdat
	.globl	_ZN2at6native29vectorized_elementwise_kernelILi4ENS0_13BinaryFunctorIhhbNS0_12_GLOBAL__N_116CompareEqFunctorIhEEEESt5arrayIPcLm3EEEEviT0_T1_ ; -- Begin function _ZN2at6native29vectorized_elementwise_kernelILi4ENS0_13BinaryFunctorIhhbNS0_12_GLOBAL__N_116CompareEqFunctorIhEEEESt5arrayIPcLm3EEEEviT0_T1_
	.p2align	8
	.type	_ZN2at6native29vectorized_elementwise_kernelILi4ENS0_13BinaryFunctorIhhbNS0_12_GLOBAL__N_116CompareEqFunctorIhEEEESt5arrayIPcLm3EEEEviT0_T1_,@function
_ZN2at6native29vectorized_elementwise_kernelILi4ENS0_13BinaryFunctorIhhbNS0_12_GLOBAL__N_116CompareEqFunctorIhEEEESt5arrayIPcLm3EEEEviT0_T1_: ; @_ZN2at6native29vectorized_elementwise_kernelILi4ENS0_13BinaryFunctorIhhbNS0_12_GLOBAL__N_116CompareEqFunctorIhEEEESt5arrayIPcLm3EEEEviT0_T1_
; %bb.0:
	s_load_dwordx2 s[14:15], s[4:5], 0x0
	s_load_dwordx4 s[16:19], s[4:5], 0x8
	s_load_dwordx2 s[20:21], s[4:5], 0x18
	s_lshl_b32 s33, s6, 12
	s_mov_b64 s[0:1], -1
	s_waitcnt lgkmcnt(0)
	s_sub_i32 s14, s14, s33
	s_cmpk_gt_i32 s14, 0xfff
	s_cbranch_scc0 .LBB2_2
; %bb.1:
	s_ashr_i32 s34, s33, 31
	s_add_u32 s0, s18, s33
	s_addc_u32 s1, s19, s34
	v_lshlrev_b32_e32 v1, 2, v0
	global_load_dword v2, v1, s[0:1]
	global_load_dword v3, v1, s[0:1] offset:1024
	global_load_dword v4, v1, s[0:1] offset:2048
	;; [unrolled: 1-line block ×3, first 2 shown]
	s_add_u32 s0, s20, s33
	s_addc_u32 s1, s21, s34
	global_load_dword v6, v1, s[0:1]
	global_load_dword v7, v1, s[0:1] offset:1024
	global_load_dword v8, v1, s[0:1] offset:2048
	;; [unrolled: 1-line block ×3, first 2 shown]
	s_movk_i32 s0, 0xff
	s_cmp_eq_u32 s15, 0
	s_cselect_b64 s[22:23], -1, 0
	s_mov_b32 s12, 0xffffff
	s_waitcnt vmcnt(7)
	v_and_b32_sdwa v11, v2, s0 dst_sel:DWORD dst_unused:UNUSED_PAD src0_sel:WORD_1 src1_sel:DWORD
	s_waitcnt vmcnt(6)
	v_and_b32_sdwa v13, v3, s0 dst_sel:DWORD dst_unused:UNUSED_PAD src0_sel:WORD_1 src1_sel:DWORD
	;; [unrolled: 2-line block ×8, first 2 shown]
	v_cmp_ne_u16_sdwa s[0:1], v2, v6 src0_sel:BYTE_0 src1_sel:BYTE_0
	v_lshrrev_b32_e32 v10, 8, v2
	v_xor_b32_e32 v2, v6, v2
	s_xor_b64 s[0:1], s[22:23], s[0:1]
	v_lshrrev_b32_e32 v12, 8, v3
	v_lshrrev_b32_e32 v18, 8, v6
	;; [unrolled: 1-line block ×3, first 2 shown]
	v_cmp_ne_u16_sdwa s[2:3], v3, v7 src0_sel:BYTE_0 src1_sel:BYTE_0
	v_cndmask_b32_e64 v6, 0, 1, s[0:1]
	v_cmp_lt_u32_e64 s[0:1], s12, v2
	s_xor_b64 s[2:3], s[22:23], s[2:3]
	v_cmp_ne_u16_sdwa s[26:27], v12, v20 src0_sel:BYTE_0 src1_sel:BYTE_0
	s_xor_b64 s[0:1], s[22:23], s[0:1]
	v_lshrrev_b32_e32 v14, 8, v4
	v_lshrrev_b32_e32 v22, 8, v8
	v_xor_b32_e32 v3, v7, v3
	v_cmp_ne_u16_sdwa s[6:7], v4, v8 src0_sel:BYTE_0 src1_sel:BYTE_0
	v_xor_b32_e32 v4, v8, v4
	v_cndmask_b32_e64 v2, 0, 1, s[2:3]
	v_cmp_ne_u16_e64 s[2:3], v13, v21
	v_cndmask_b32_e64 v8, 0, 1, s[0:1]
	s_xor_b64 s[0:1], s[22:23], s[26:27]
	v_lshrrev_b32_e32 v16, 8, v5
	v_lshrrev_b32_e32 v24, 8, v9
	v_cmp_ne_u16_sdwa s[10:11], v5, v9 src0_sel:BYTE_0 src1_sel:BYTE_0
	v_xor_b32_e32 v5, v9, v5
	v_cmp_lt_u32_e64 s[4:5], s12, v3
	v_cndmask_b32_e64 v9, 0, 1, s[0:1]
	s_xor_b64 s[0:1], s[22:23], s[2:3]
	v_cmp_ne_u16_sdwa s[24:25], v10, v18 src0_sel:BYTE_0 src1_sel:BYTE_0
	s_xor_b64 s[6:7], s[22:23], s[6:7]
	v_cmp_ne_u16_sdwa s[28:29], v14, v22 src0_sel:BYTE_0 src1_sel:BYTE_0
	v_cndmask_b32_e64 v10, 0, 1, s[0:1]
	s_xor_b64 s[0:1], s[22:23], s[4:5]
	v_cmp_ne_u16_e32 vcc, v11, v19
	v_cndmask_b32_e64 v3, 0, 1, s[6:7]
	v_cmp_ne_u16_e64 s[6:7], v15, v23
	v_cndmask_b32_e64 v11, 0, 1, s[0:1]
	s_xor_b64 s[0:1], s[22:23], s[28:29]
	v_cmp_lt_u32_e64 s[8:9], s12, v4
	v_cndmask_b32_e64 v12, 0, 1, s[0:1]
	s_xor_b64 s[0:1], s[22:23], s[6:7]
	s_xor_b64 s[10:11], s[22:23], s[10:11]
	v_cmp_ne_u16_sdwa s[30:31], v16, v24 src0_sel:BYTE_0 src1_sel:BYTE_0
	v_cndmask_b32_e64 v13, 0, 1, s[0:1]
	s_xor_b64 s[0:1], s[22:23], s[8:9]
	v_cndmask_b32_e64 v4, 0, 1, s[10:11]
	v_cmp_ne_u16_e64 s[10:11], v17, v25
	s_xor_b64 s[24:25], s[22:23], s[24:25]
	v_cndmask_b32_e64 v14, 0, 1, s[0:1]
	s_xor_b64 s[0:1], s[22:23], s[30:31]
	v_cmp_lt_u32_e64 s[12:13], s12, v5
	v_cndmask_b32_e64 v5, 0, 1, s[24:25]
	v_cndmask_b32_e64 v15, 0, 1, s[0:1]
	s_xor_b64 s[0:1], s[22:23], s[10:11]
	s_xor_b64 s[24:25], s[22:23], vcc
	v_cndmask_b32_e64 v16, 0, 1, s[0:1]
	s_xor_b64 s[0:1], s[22:23], s[12:13]
	v_lshlrev_b16_e32 v5, 8, v5
	v_cndmask_b32_e64 v7, 0, 1, s[24:25]
	v_cndmask_b32_e64 v17, 0, 1, s[0:1]
	v_lshlrev_b16_e32 v12, 8, v12
	v_lshlrev_b16_e32 v9, 8, v9
	v_or_b32_e32 v5, v6, v5
	v_lshlrev_b16_e32 v6, 8, v8
	v_lshlrev_b16_e32 v15, 8, v15
	;; [unrolled: 1-line block ×3, first 2 shown]
	v_or_b32_e32 v3, v3, v12
	v_lshlrev_b16_e32 v12, 8, v14
	v_or_b32_e32 v2, v2, v9
	v_lshlrev_b16_e32 v9, 8, v11
	v_or_b32_sdwa v6, v7, v6 dst_sel:WORD_1 dst_unused:UNUSED_PAD src0_sel:DWORD src1_sel:DWORD
	s_add_u32 s0, s16, s33
	v_or_b32_e32 v4, v4, v15
	v_or_b32_sdwa v15, v16, v17 dst_sel:WORD_1 dst_unused:UNUSED_PAD src0_sel:DWORD src1_sel:DWORD
	v_or_b32_sdwa v12, v13, v12 dst_sel:WORD_1 dst_unused:UNUSED_PAD src0_sel:DWORD src1_sel:DWORD
	;; [unrolled: 1-line block ×3, first 2 shown]
	v_or_b32_sdwa v5, v5, v6 dst_sel:DWORD dst_unused:UNUSED_PAD src0_sel:WORD_0 src1_sel:DWORD
	s_addc_u32 s1, s17, s34
	v_or_b32_sdwa v4, v4, v15 dst_sel:DWORD dst_unused:UNUSED_PAD src0_sel:WORD_0 src1_sel:DWORD
	v_or_b32_sdwa v3, v3, v12 dst_sel:DWORD dst_unused:UNUSED_PAD src0_sel:WORD_0 src1_sel:DWORD
	v_or_b32_sdwa v2, v2, v9 dst_sel:DWORD dst_unused:UNUSED_PAD src0_sel:WORD_0 src1_sel:DWORD
	global_store_dword v1, v5, s[0:1]
	global_store_dword v1, v2, s[0:1] offset:1024
	global_store_dword v1, v3, s[0:1] offset:2048
	;; [unrolled: 1-line block ×3, first 2 shown]
	s_mov_b64 s[0:1], 0
.LBB2_2:
	s_andn2_b64 vcc, exec, s[0:1]
	s_cbranch_vccnz .LBB2_54
; %bb.3:
	v_cmp_gt_i32_e32 vcc, s14, v0
	v_cmp_le_i32_e64 s[0:1], s14, v0
                                        ; implicit-def: $vgpr5
	s_and_saveexec_b64 s[2:3], s[0:1]
	s_xor_b64 s[0:1], exec, s[2:3]
; %bb.4:
	v_or_b32_e32 v5, 0x100, v0
; %bb.5:
	s_or_saveexec_b64 s[2:3], s[0:1]
	v_mov_b32_e32 v36, 0
	s_mov_b64 s[4:5], 0
	v_or_b32_e32 v6, s33, v0
	v_mov_b32_e32 v35, 0
	v_mov_b32_e32 v34, 0
	;; [unrolled: 1-line block ×29, first 2 shown]
	s_xor_b64 exec, exec, s[2:3]
	s_cbranch_execz .LBB2_37
; %bb.6:
	global_load_ubyte v7, v6, s[18:19]
	global_load_ubyte v8, v6, s[20:21]
	v_or_b32_e32 v5, 0x100, v0
	v_cmp_gt_u32_e64 s[0:1], s14, v5
	s_mov_b64 s[6:7], 0
	v_mov_b32_e32 v9, 0
	v_mov_b32_e32 v10, 0
	;; [unrolled: 1-line block ×28, first 2 shown]
	s_and_saveexec_b64 s[4:5], s[0:1]
	s_cbranch_execz .LBB2_36
; %bb.7:
	v_add_u32_e32 v3, s33, v0
	global_load_ubyte v10, v3, s[18:19] offset:256
	global_load_ubyte v9, v3, s[20:21] offset:256
	v_or_b32_e32 v1, 0x200, v0
	v_mov_b32_e32 v11, 0
	v_cmp_gt_u32_e64 s[0:1], s14, v1
	s_mov_b64 s[8:9], 0
	v_mov_b32_e32 v13, 0
	v_mov_b32_e32 v12, 0
	;; [unrolled: 1-line block ×25, first 2 shown]
	s_and_saveexec_b64 s[6:7], s[0:1]
	s_cbranch_execz .LBB2_35
; %bb.8:
	v_mov_b32_e32 v2, s19
	v_add_co_u32_e64 v1, s[0:1], s18, v3
	v_addc_co_u32_e64 v2, s[0:1], 0, v2, s[0:1]
	v_mov_b32_e32 v4, s21
	v_add_co_u32_e64 v3, s[0:1], s20, v3
	v_addc_co_u32_e64 v4, s[0:1], 0, v4, s[0:1]
	global_load_ubyte v13, v[1:2], off offset:512
	global_load_ubyte v11, v[3:4], off offset:512
	v_or_b32_e32 v12, 0x300, v0
	v_cmp_gt_u32_e64 s[0:1], s14, v12
	s_mov_b64 s[10:11], 0
	v_mov_b32_e32 v12, 0
	v_mov_b32_e32 v15, 0
	;; [unrolled: 1-line block ×24, first 2 shown]
	s_and_saveexec_b64 s[8:9], s[0:1]
	s_cbranch_execz .LBB2_34
; %bb.9:
	global_load_ubyte v15, v[1:2], off offset:768
	global_load_ubyte v12, v[3:4], off offset:768
	v_or_b32_e32 v14, 0x400, v0
	v_cmp_gt_u32_e64 s[0:1], s14, v14
	s_mov_b64 s[12:13], 0
	v_mov_b32_e32 v16, 0
	v_mov_b32_e32 v17, 0
	;; [unrolled: 1-line block ×22, first 2 shown]
	s_and_saveexec_b64 s[10:11], s[0:1]
	s_cbranch_execz .LBB2_33
; %bb.10:
	global_load_ubyte v17, v[1:2], off offset:1024
	global_load_ubyte v16, v[3:4], off offset:1024
	v_or_b32_e32 v14, 0x500, v0
	v_cmp_gt_u32_e64 s[0:1], s14, v14
	s_mov_b64 s[18:19], 0
	v_mov_b32_e32 v18, 0
	v_mov_b32_e32 v21, 0
	;; [unrolled: 1-line block ×20, first 2 shown]
	s_and_saveexec_b64 s[12:13], s[0:1]
	s_cbranch_execz .LBB2_32
; %bb.11:
	global_load_ubyte v21, v[1:2], off offset:1280
	global_load_ubyte v18, v[3:4], off offset:1280
	v_or_b32_e32 v14, 0x600, v0
	v_cmp_gt_u32_e64 s[0:1], s14, v14
	s_mov_b64 s[20:21], 0
	v_mov_b32_e32 v14, 0
	v_mov_b32_e32 v19, 0
	;; [unrolled: 1-line block ×18, first 2 shown]
	s_and_saveexec_b64 s[18:19], s[0:1]
	s_cbranch_execz .LBB2_31
; %bb.12:
	global_load_ubyte v19, v[1:2], off offset:1536
	global_load_ubyte v14, v[3:4], off offset:1536
	v_or_b32_e32 v20, 0x700, v0
	v_cmp_gt_u32_e64 s[0:1], s14, v20
	s_mov_b64 s[22:23], 0
	v_mov_b32_e32 v20, 0
	v_mov_b32_e32 v22, 0
	;; [unrolled: 1-line block ×16, first 2 shown]
	s_and_saveexec_b64 s[20:21], s[0:1]
	s_cbranch_execz .LBB2_30
; %bb.13:
	global_load_ubyte v22, v[1:2], off offset:1792
	global_load_ubyte v20, v[3:4], off offset:1792
	v_or_b32_e32 v23, 0x800, v0
	v_cmp_gt_u32_e64 s[0:1], s14, v23
	s_mov_b64 s[24:25], 0
	v_mov_b32_e32 v23, 0
	v_mov_b32_e32 v24, 0
	;; [unrolled: 1-line block ×14, first 2 shown]
	s_and_saveexec_b64 s[22:23], s[0:1]
	s_cbranch_execz .LBB2_29
; %bb.14:
	global_load_ubyte v24, v[1:2], off offset:2048
	global_load_ubyte v23, v[3:4], off offset:2048
	v_or_b32_e32 v25, 0x900, v0
	v_cmp_gt_u32_e64 s[0:1], s14, v25
	s_mov_b64 s[26:27], 0
	v_mov_b32_e32 v25, 0
	v_mov_b32_e32 v26, 0
	;; [unrolled: 1-line block ×12, first 2 shown]
	s_and_saveexec_b64 s[24:25], s[0:1]
	s_cbranch_execz .LBB2_28
; %bb.15:
	global_load_ubyte v26, v[1:2], off offset:2304
	global_load_ubyte v25, v[3:4], off offset:2304
	v_or_b32_e32 v27, 0xa00, v0
	v_cmp_gt_u32_e64 s[0:1], s14, v27
	s_mov_b64 s[28:29], 0
	v_mov_b32_e32 v27, 0
	v_mov_b32_e32 v28, 0
	;; [unrolled: 1-line block ×10, first 2 shown]
	s_and_saveexec_b64 s[26:27], s[0:1]
	s_cbranch_execz .LBB2_27
; %bb.16:
	global_load_ubyte v28, v[1:2], off offset:2560
	global_load_ubyte v27, v[3:4], off offset:2560
	v_or_b32_e32 v29, 0xb00, v0
	v_cmp_gt_u32_e64 s[0:1], s14, v29
	s_mov_b64 s[30:31], 0
	v_mov_b32_e32 v29, 0
	v_mov_b32_e32 v30, 0
	;; [unrolled: 1-line block ×8, first 2 shown]
	s_and_saveexec_b64 s[28:29], s[0:1]
	s_cbranch_execz .LBB2_26
; %bb.17:
	global_load_ubyte v30, v[1:2], off offset:2816
	global_load_ubyte v29, v[3:4], off offset:2816
	v_or_b32_e32 v31, 0xc00, v0
	v_cmp_gt_u32_e64 s[0:1], s14, v31
	s_mov_b64 s[34:35], 0
	v_mov_b32_e32 v31, 0
	v_mov_b32_e32 v32, 0
	;; [unrolled: 1-line block ×6, first 2 shown]
	s_and_saveexec_b64 s[30:31], s[0:1]
	s_cbranch_execz .LBB2_25
; %bb.18:
	global_load_ubyte v32, v[1:2], off offset:3072
	global_load_ubyte v31, v[3:4], off offset:3072
	v_or_b32_e32 v33, 0xd00, v0
	v_cmp_gt_u32_e64 s[0:1], s14, v33
	s_mov_b64 s[36:37], 0
	v_mov_b32_e32 v33, 0
	v_mov_b32_e32 v34, 0
	;; [unrolled: 1-line block ×4, first 2 shown]
	s_and_saveexec_b64 s[34:35], s[0:1]
	s_cbranch_execz .LBB2_24
; %bb.19:
	global_load_ubyte v34, v[1:2], off offset:3328
	global_load_ubyte v33, v[3:4], off offset:3328
	v_or_b32_e32 v35, 0xe00, v0
	v_cmp_gt_u32_e64 s[0:1], s14, v35
	s_mov_b64 s[38:39], 0
	v_mov_b32_e32 v35, 0
	v_mov_b32_e32 v36, 0
	s_and_saveexec_b64 s[36:37], s[0:1]
	s_cbranch_execz .LBB2_23
; %bb.20:
	global_load_ubyte v36, v[1:2], off offset:3584
	global_load_ubyte v35, v[3:4], off offset:3584
	v_or_b32_e32 v37, 0xf00, v0
	v_cmp_gt_u32_e64 s[0:1], s14, v37
	s_mov_b64 s[40:41], 0
	s_and_saveexec_b64 s[38:39], s[0:1]
	s_cbranch_execz .LBB2_22
; %bb.21:
	global_load_ubyte v37, v[1:2], off offset:3840
	global_load_ubyte v38, v[3:4], off offset:3840
	s_waitcnt vmcnt(0)
	v_cmp_ne_u16_e64 s[0:1], v37, v38
	s_and_b64 s[40:41], s[0:1], exec
.LBB2_22:
	s_or_b64 exec, exec, s[38:39]
	s_and_b64 s[38:39], s[40:41], exec
.LBB2_23:
	s_or_b64 exec, exec, s[36:37]
	s_and_b64 s[36:37], s[38:39], exec
.LBB2_24:
	s_or_b64 exec, exec, s[34:35]
	s_and_b64 s[34:35], s[36:37], exec
.LBB2_25:
	s_or_b64 exec, exec, s[30:31]
	s_and_b64 s[30:31], s[34:35], exec
.LBB2_26:
	s_or_b64 exec, exec, s[28:29]
	s_and_b64 s[28:29], s[30:31], exec
.LBB2_27:
	s_or_b64 exec, exec, s[26:27]
	s_and_b64 s[26:27], s[28:29], exec
.LBB2_28:
	s_or_b64 exec, exec, s[24:25]
	s_and_b64 s[24:25], s[26:27], exec
.LBB2_29:
	s_or_b64 exec, exec, s[22:23]
	s_and_b64 s[22:23], s[24:25], exec
.LBB2_30:
	s_or_b64 exec, exec, s[20:21]
	s_and_b64 s[20:21], s[22:23], exec
.LBB2_31:
	s_or_b64 exec, exec, s[18:19]
	s_and_b64 s[18:19], s[20:21], exec
.LBB2_32:
	s_or_b64 exec, exec, s[12:13]
	s_and_b64 s[12:13], s[18:19], exec
.LBB2_33:
	s_or_b64 exec, exec, s[10:11]
	s_and_b64 s[10:11], s[12:13], exec
.LBB2_34:
	s_or_b64 exec, exec, s[8:9]
	s_and_b64 s[8:9], s[10:11], exec
.LBB2_35:
	s_or_b64 exec, exec, s[6:7]
	s_and_b64 s[6:7], s[8:9], exec
.LBB2_36:
	s_or_b64 exec, exec, s[4:5]
	s_and_b64 s[4:5], s[6:7], exec
.LBB2_37:
	s_or_b64 exec, exec, s[2:3]
	s_cmp_eq_u32 s15, 0
	s_cselect_b64 s[2:3], -1, 0
	s_waitcnt vmcnt(0)
	v_cmp_ne_u16_sdwa s[0:1], v7, v8 src0_sel:BYTE_0 src1_sel:BYTE_0
	s_xor_b64 s[0:1], s[2:3], s[0:1]
	v_cndmask_b32_e64 v1, 0, 1, s[0:1]
	v_cmp_ne_u16_sdwa s[0:1], v10, v9 src0_sel:BYTE_0 src1_sel:BYTE_0
	s_xor_b64 s[0:1], s[2:3], s[0:1]
	v_cndmask_b32_e64 v2, 0, 1, s[0:1]
	v_cndmask_b32_e32 v1, 0, v1, vcc
	v_lshlrev_b16_e32 v2, 8, v2
	v_or_b32_e32 v2, v1, v2
	v_and_b32_e32 v2, 0xffff, v2
	v_cmp_gt_i32_e64 s[0:1], s14, v5
	v_cndmask_b32_e64 v1, v1, v2, s[0:1]
	v_cmp_ne_u16_sdwa s[0:1], v13, v11 src0_sel:BYTE_0 src1_sel:BYTE_0
	s_xor_b64 s[0:1], s[2:3], s[0:1]
	v_or_b32_e32 v2, 0x200, v0
	v_cndmask_b32_e64 v3, 0, 1, s[0:1]
	v_lshl_or_b32 v3, v3, 16, v1
	v_cmp_gt_i32_e64 s[0:1], s14, v2
	v_cndmask_b32_e64 v1, v1, v3, s[0:1]
	v_cmp_ne_u16_sdwa s[0:1], v15, v12 src0_sel:BYTE_0 src1_sel:BYTE_0
	s_xor_b64 s[0:1], s[2:3], s[0:1]
	s_movk_i32 s6, 0xff
	v_cndmask_b32_e64 v4, 0, 1, s[0:1]
	v_and_b32_sdwa v2, v1, s6 dst_sel:DWORD dst_unused:UNUSED_PAD src0_sel:WORD_1 src1_sel:DWORD
	v_lshlrev_b16_e32 v4, 8, v4
	s_mov_b32 s7, 0xffff
	v_or_b32_e32 v3, 0x300, v0
	v_or_b32_sdwa v2, v2, v4 dst_sel:WORD_1 dst_unused:UNUSED_PAD src0_sel:DWORD src1_sel:DWORD
	v_and_or_b32 v2, v1, s7, v2
	v_cmp_gt_i32_e64 s[0:1], s14, v3
	v_cndmask_b32_e64 v4, v1, v2, s[0:1]
	v_cmp_ne_u16_sdwa s[0:1], v17, v16 src0_sel:BYTE_0 src1_sel:BYTE_0
	s_xor_b64 s[0:1], s[2:3], s[0:1]
	v_cndmask_b32_e64 v1, 0, 1, s[0:1]
	v_or_b32_e32 v2, 0x400, v0
	v_and_b32_e32 v1, 0xffff, v1
	v_cmp_gt_i32_e64 s[0:1], s14, v2
	v_cndmask_b32_e64 v1, 0, v1, s[0:1]
	v_cmp_ne_u16_sdwa s[0:1], v21, v18 src0_sel:BYTE_0 src1_sel:BYTE_0
	s_xor_b64 s[0:1], s[2:3], s[0:1]
	v_cndmask_b32_e64 v3, 0, 1, s[0:1]
	v_lshlrev_b16_e32 v3, 8, v3
	v_or_b32_e32 v2, 0x500, v0
	v_or_b32_sdwa v3, v1, v3 dst_sel:DWORD dst_unused:UNUSED_PAD src0_sel:BYTE_0 src1_sel:DWORD
	v_and_b32_e32 v3, 0xffff, v3
	v_cmp_gt_i32_e64 s[0:1], s14, v2
	v_cndmask_b32_e64 v1, v1, v3, s[0:1]
	v_cmp_ne_u16_sdwa s[0:1], v19, v14 src0_sel:BYTE_0 src1_sel:BYTE_0
	s_movk_i32 s8, 0xff00
	s_xor_b64 s[0:1], s[2:3], s[0:1]
	v_and_b32_sdwa v2, v1, s8 dst_sel:DWORD dst_unused:UNUSED_PAD src0_sel:WORD_1 src1_sel:DWORD
	v_cndmask_b32_e64 v3, 0, 1, s[0:1]
	v_or_b32_sdwa v2, v3, v2 dst_sel:WORD_1 dst_unused:UNUSED_PAD src0_sel:DWORD src1_sel:DWORD
	v_or_b32_e32 v3, 0x600, v0
	v_and_or_b32 v2, v1, s7, v2
	v_cmp_gt_i32_e64 s[0:1], s14, v3
	v_cndmask_b32_e64 v1, v1, v2, s[0:1]
	v_cmp_ne_u16_sdwa s[0:1], v22, v20 src0_sel:BYTE_0 src1_sel:BYTE_0
	s_xor_b64 s[0:1], s[2:3], s[0:1]
	v_cndmask_b32_e64 v7, 0, 1, s[0:1]
	v_and_b32_sdwa v2, v1, s6 dst_sel:DWORD dst_unused:UNUSED_PAD src0_sel:WORD_1 src1_sel:DWORD
	v_lshlrev_b16_e32 v7, 8, v7
	v_or_b32_e32 v3, 0x700, v0
	v_or_b32_sdwa v2, v2, v7 dst_sel:WORD_1 dst_unused:UNUSED_PAD src0_sel:DWORD src1_sel:DWORD
	v_and_or_b32 v2, v1, s7, v2
	v_cmp_gt_i32_e64 s[0:1], s14, v3
	v_cndmask_b32_e64 v3, v1, v2, s[0:1]
	v_cmp_ne_u16_sdwa s[0:1], v24, v23 src0_sel:BYTE_0 src1_sel:BYTE_0
	v_or_b32_e32 v1, 0x800, v0
	s_xor_b64 s[0:1], s[2:3], s[0:1]
	v_cndmask_b32_e64 v2, 0, 1, s[0:1]
	v_cmp_gt_i32_e64 s[0:1], s14, v1
	v_cndmask_b32_e64 v1, 0, v2, s[0:1]
	v_cmp_ne_u16_sdwa s[0:1], v26, v25 src0_sel:BYTE_0 src1_sel:BYTE_0
	s_xor_b64 s[0:1], s[2:3], s[0:1]
	v_cndmask_b32_e64 v7, 0, 1, s[0:1]
	v_lshlrev_b16_e32 v7, 8, v7
	v_or_b32_e32 v2, 0x900, v0
	v_or_b32_e32 v7, v1, v7
	v_and_b32_e32 v7, 0xffff, v7
	v_cmp_gt_i32_e64 s[0:1], s14, v2
	v_cndmask_b32_e64 v1, v1, v7, s[0:1]
	v_cmp_ne_u16_sdwa s[0:1], v28, v27 src0_sel:BYTE_0 src1_sel:BYTE_0
	s_xor_b64 s[0:1], s[2:3], s[0:1]
	v_cndmask_b32_e64 v7, 0, 1, s[0:1]
	v_or_b32_e32 v2, 0xa00, v0
	v_lshlrev_b32_e32 v7, 16, v7
	s_movk_i32 s0, 0x1ff
	v_and_or_b32 v7, v1, s0, v7
	v_cmp_gt_i32_e64 s[0:1], s14, v2
	v_cndmask_b32_e64 v1, v1, v7, s[0:1]
	v_cmp_ne_u16_sdwa s[0:1], v30, v29 src0_sel:BYTE_0 src1_sel:BYTE_0
	s_xor_b64 s[0:1], s[2:3], s[0:1]
	v_cndmask_b32_e64 v8, 0, 1, s[0:1]
	v_and_b32_sdwa v2, v1, s6 dst_sel:DWORD dst_unused:UNUSED_PAD src0_sel:WORD_1 src1_sel:DWORD
	v_lshlrev_b16_e32 v8, 8, v8
	v_or_b32_e32 v7, 0xb00, v0
	v_or_b32_sdwa v2, v2, v8 dst_sel:WORD_1 dst_unused:UNUSED_PAD src0_sel:DWORD src1_sel:DWORD
	v_and_or_b32 v2, v1, s7, v2
	v_cmp_gt_i32_e64 s[0:1], s14, v7
	v_cndmask_b32_e64 v2, v1, v2, s[0:1]
	v_cmp_ne_u16_sdwa s[0:1], v32, v31 src0_sel:BYTE_0 src1_sel:BYTE_0
	v_or_b32_e32 v1, 0xc00, v0
	s_xor_b64 s[0:1], s[2:3], s[0:1]
	v_cndmask_b32_e64 v7, 0, 1, s[0:1]
	v_cmp_gt_i32_e64 s[0:1], s14, v1
	v_cndmask_b32_e64 v1, 0, v7, s[0:1]
	v_cmp_ne_u16_sdwa s[0:1], v34, v33 src0_sel:BYTE_0 src1_sel:BYTE_0
	s_xor_b64 s[0:1], s[2:3], s[0:1]
	v_cndmask_b32_e64 v8, 0, 1, s[0:1]
	v_lshlrev_b16_e32 v8, 8, v8
	v_or_b32_e32 v7, 0xd00, v0
	v_or_b32_sdwa v8, v1, v8 dst_sel:DWORD dst_unused:UNUSED_PAD src0_sel:BYTE_0 src1_sel:DWORD
	v_and_b32_e32 v8, 0xffff, v8
	v_cmp_gt_i32_e64 s[0:1], s14, v7
	v_cndmask_b32_e64 v1, v1, v8, s[0:1]
	v_cmp_ne_u16_sdwa s[0:1], v36, v35 src0_sel:BYTE_0 src1_sel:BYTE_0
	s_xor_b64 s[0:1], s[2:3], s[0:1]
	v_and_b32_sdwa v7, v1, s8 dst_sel:DWORD dst_unused:UNUSED_PAD src0_sel:WORD_1 src1_sel:DWORD
	v_cndmask_b32_e64 v8, 0, 1, s[0:1]
	v_or_b32_sdwa v7, v8, v7 dst_sel:WORD_1 dst_unused:UNUSED_PAD src0_sel:DWORD src1_sel:DWORD
	v_or_b32_e32 v8, 0xe00, v0
	v_and_or_b32 v7, v1, s7, v7
	v_cmp_gt_i32_e64 s[0:1], s14, v8
	v_cndmask_b32_e64 v1, v1, v7, s[0:1]
	s_xor_b64 s[0:1], s[2:3], s[4:5]
	v_cndmask_b32_e64 v9, 0, 1, s[0:1]
	v_and_b32_sdwa v7, v1, s6 dst_sel:DWORD dst_unused:UNUSED_PAD src0_sel:WORD_1 src1_sel:DWORD
	v_lshlrev_b16_e32 v9, 8, v9
	v_or_b32_e32 v8, 0xf00, v0
	v_or_b32_sdwa v7, v7, v9 dst_sel:WORD_1 dst_unused:UNUSED_PAD src0_sel:DWORD src1_sel:DWORD
	v_and_or_b32 v7, v1, s7, v7
	v_cmp_gt_i32_e64 s[0:1], s14, v8
	v_cndmask_b32_e64 v1, v1, v7, s[0:1]
	s_and_saveexec_b64 s[0:1], vcc
	s_cbranch_execnz .LBB2_55
; %bb.38:
	s_or_b64 exec, exec, s[0:1]
	v_cmp_gt_i32_e32 vcc, s14, v0
	s_and_saveexec_b64 s[0:1], vcc
	s_cbranch_execnz .LBB2_56
.LBB2_39:
	s_or_b64 exec, exec, s[0:1]
	v_cmp_gt_i32_e32 vcc, s14, v0
	s_and_saveexec_b64 s[0:1], vcc
	s_cbranch_execnz .LBB2_57
.LBB2_40:
	s_or_b64 exec, exec, s[0:1]
	v_cmp_gt_i32_e32 vcc, s14, v0
	s_and_saveexec_b64 s[0:1], vcc
	s_cbranch_execnz .LBB2_58
.LBB2_41:
	s_or_b64 exec, exec, s[0:1]
	v_cmp_gt_i32_e32 vcc, s14, v0
	s_and_saveexec_b64 s[0:1], vcc
	s_cbranch_execnz .LBB2_59
.LBB2_42:
	s_or_b64 exec, exec, s[0:1]
	v_cmp_gt_i32_e32 vcc, s14, v0
	s_and_saveexec_b64 s[0:1], vcc
	s_cbranch_execnz .LBB2_60
.LBB2_43:
	s_or_b64 exec, exec, s[0:1]
	v_cmp_gt_i32_e32 vcc, s14, v0
	s_and_saveexec_b64 s[0:1], vcc
	s_cbranch_execnz .LBB2_61
.LBB2_44:
	s_or_b64 exec, exec, s[0:1]
	v_cmp_gt_i32_e32 vcc, s14, v0
	s_and_saveexec_b64 s[0:1], vcc
	s_cbranch_execnz .LBB2_62
.LBB2_45:
	s_or_b64 exec, exec, s[0:1]
	v_cmp_gt_i32_e32 vcc, s14, v0
	s_and_saveexec_b64 s[0:1], vcc
	s_cbranch_execnz .LBB2_63
.LBB2_46:
	s_or_b64 exec, exec, s[0:1]
	v_cmp_gt_i32_e32 vcc, s14, v0
	s_and_saveexec_b64 s[0:1], vcc
	s_cbranch_execnz .LBB2_64
.LBB2_47:
	s_or_b64 exec, exec, s[0:1]
	v_cmp_gt_i32_e32 vcc, s14, v0
	s_and_saveexec_b64 s[0:1], vcc
	s_cbranch_execnz .LBB2_65
.LBB2_48:
	s_or_b64 exec, exec, s[0:1]
	v_cmp_gt_i32_e32 vcc, s14, v0
	s_and_saveexec_b64 s[0:1], vcc
	s_cbranch_execnz .LBB2_66
.LBB2_49:
	s_or_b64 exec, exec, s[0:1]
	v_cmp_gt_i32_e32 vcc, s14, v0
	s_and_saveexec_b64 s[0:1], vcc
	s_cbranch_execnz .LBB2_67
.LBB2_50:
	s_or_b64 exec, exec, s[0:1]
	v_cmp_gt_i32_e32 vcc, s14, v0
	s_and_saveexec_b64 s[0:1], vcc
	s_cbranch_execnz .LBB2_68
.LBB2_51:
	s_or_b64 exec, exec, s[0:1]
	v_cmp_gt_i32_e32 vcc, s14, v0
	s_and_saveexec_b64 s[0:1], vcc
	s_cbranch_execnz .LBB2_69
.LBB2_52:
	s_or_b64 exec, exec, s[0:1]
	v_cmp_gt_i32_e32 vcc, s14, v0
	s_and_saveexec_b64 s[0:1], vcc
	s_cbranch_execz .LBB2_54
.LBB2_53:
	v_lshrrev_b32_e32 v1, 24, v1
	v_add_u32_e32 v0, s33, v0
	global_store_byte v0, v1, s[16:17]
.LBB2_54:
	s_endpgm
.LBB2_55:
	v_mov_b32_e32 v0, v5
	global_store_byte v6, v4, s[16:17]
	s_or_b64 exec, exec, s[0:1]
	v_cmp_gt_i32_e32 vcc, s14, v0
	s_and_saveexec_b64 s[0:1], vcc
	s_cbranch_execz .LBB2_39
.LBB2_56:
	v_lshrrev_b32_e32 v5, 8, v4
	v_add_u32_e32 v6, s33, v0
	v_add_u32_e32 v0, 0x100, v0
	global_store_byte v6, v5, s[16:17]
	s_or_b64 exec, exec, s[0:1]
	v_cmp_gt_i32_e32 vcc, s14, v0
	s_and_saveexec_b64 s[0:1], vcc
	s_cbranch_execz .LBB2_40
.LBB2_57:
	v_add_u32_e32 v5, s33, v0
	v_add_u32_e32 v0, 0x100, v0
	global_store_byte_d16_hi v5, v4, s[16:17]
	s_or_b64 exec, exec, s[0:1]
	v_cmp_gt_i32_e32 vcc, s14, v0
	s_and_saveexec_b64 s[0:1], vcc
	s_cbranch_execz .LBB2_41
.LBB2_58:
	v_lshrrev_b32_e32 v4, 24, v4
	v_add_u32_e32 v5, s33, v0
	v_add_u32_e32 v0, 0x100, v0
	global_store_byte v5, v4, s[16:17]
	s_or_b64 exec, exec, s[0:1]
	v_cmp_gt_i32_e32 vcc, s14, v0
	s_and_saveexec_b64 s[0:1], vcc
	s_cbranch_execz .LBB2_42
.LBB2_59:
	v_add_u32_e32 v4, s33, v0
	v_add_u32_e32 v0, 0x100, v0
	global_store_byte v4, v3, s[16:17]
	s_or_b64 exec, exec, s[0:1]
	v_cmp_gt_i32_e32 vcc, s14, v0
	s_and_saveexec_b64 s[0:1], vcc
	s_cbranch_execz .LBB2_43
.LBB2_60:
	v_lshrrev_b32_e32 v4, 8, v3
	v_add_u32_e32 v5, s33, v0
	v_add_u32_e32 v0, 0x100, v0
	global_store_byte v5, v4, s[16:17]
	s_or_b64 exec, exec, s[0:1]
	v_cmp_gt_i32_e32 vcc, s14, v0
	s_and_saveexec_b64 s[0:1], vcc
	s_cbranch_execz .LBB2_44
.LBB2_61:
	v_add_u32_e32 v4, s33, v0
	v_add_u32_e32 v0, 0x100, v0
	global_store_byte_d16_hi v4, v3, s[16:17]
	s_or_b64 exec, exec, s[0:1]
	v_cmp_gt_i32_e32 vcc, s14, v0
	s_and_saveexec_b64 s[0:1], vcc
	s_cbranch_execz .LBB2_45
.LBB2_62:
	v_lshrrev_b32_e32 v3, 24, v3
	v_add_u32_e32 v4, s33, v0
	v_add_u32_e32 v0, 0x100, v0
	global_store_byte v4, v3, s[16:17]
	s_or_b64 exec, exec, s[0:1]
	v_cmp_gt_i32_e32 vcc, s14, v0
	s_and_saveexec_b64 s[0:1], vcc
	s_cbranch_execz .LBB2_46
.LBB2_63:
	v_add_u32_e32 v3, s33, v0
	v_add_u32_e32 v0, 0x100, v0
	global_store_byte v3, v2, s[16:17]
	s_or_b64 exec, exec, s[0:1]
	v_cmp_gt_i32_e32 vcc, s14, v0
	s_and_saveexec_b64 s[0:1], vcc
	s_cbranch_execz .LBB2_47
.LBB2_64:
	v_lshrrev_b32_e32 v3, 8, v2
	v_add_u32_e32 v4, s33, v0
	v_add_u32_e32 v0, 0x100, v0
	global_store_byte v4, v3, s[16:17]
	s_or_b64 exec, exec, s[0:1]
	v_cmp_gt_i32_e32 vcc, s14, v0
	s_and_saveexec_b64 s[0:1], vcc
	s_cbranch_execz .LBB2_48
.LBB2_65:
	v_add_u32_e32 v3, s33, v0
	v_add_u32_e32 v0, 0x100, v0
	global_store_byte_d16_hi v3, v2, s[16:17]
	s_or_b64 exec, exec, s[0:1]
	v_cmp_gt_i32_e32 vcc, s14, v0
	s_and_saveexec_b64 s[0:1], vcc
	s_cbranch_execz .LBB2_49
.LBB2_66:
	v_lshrrev_b32_e32 v2, 24, v2
	v_add_u32_e32 v3, s33, v0
	v_add_u32_e32 v0, 0x100, v0
	global_store_byte v3, v2, s[16:17]
	s_or_b64 exec, exec, s[0:1]
	v_cmp_gt_i32_e32 vcc, s14, v0
	s_and_saveexec_b64 s[0:1], vcc
	s_cbranch_execz .LBB2_50
.LBB2_67:
	v_add_u32_e32 v2, s33, v0
	v_add_u32_e32 v0, 0x100, v0
	global_store_byte v2, v1, s[16:17]
	s_or_b64 exec, exec, s[0:1]
	v_cmp_gt_i32_e32 vcc, s14, v0
	s_and_saveexec_b64 s[0:1], vcc
	s_cbranch_execz .LBB2_51
.LBB2_68:
	v_lshrrev_b32_e32 v2, 8, v1
	v_add_u32_e32 v3, s33, v0
	v_add_u32_e32 v0, 0x100, v0
	global_store_byte v3, v2, s[16:17]
	s_or_b64 exec, exec, s[0:1]
	v_cmp_gt_i32_e32 vcc, s14, v0
	s_and_saveexec_b64 s[0:1], vcc
	s_cbranch_execz .LBB2_52
.LBB2_69:
	v_add_u32_e32 v2, s33, v0
	v_add_u32_e32 v0, 0x100, v0
	global_store_byte_d16_hi v2, v1, s[16:17]
	s_or_b64 exec, exec, s[0:1]
	v_cmp_gt_i32_e32 vcc, s14, v0
	s_and_saveexec_b64 s[0:1], vcc
	s_cbranch_execnz .LBB2_53
	s_branch .LBB2_54
	.section	.rodata,"a",@progbits
	.p2align	6, 0x0
	.amdhsa_kernel _ZN2at6native29vectorized_elementwise_kernelILi4ENS0_13BinaryFunctorIhhbNS0_12_GLOBAL__N_116CompareEqFunctorIhEEEESt5arrayIPcLm3EEEEviT0_T1_
		.amdhsa_group_segment_fixed_size 0
		.amdhsa_private_segment_fixed_size 0
		.amdhsa_kernarg_size 32
		.amdhsa_user_sgpr_count 6
		.amdhsa_user_sgpr_private_segment_buffer 1
		.amdhsa_user_sgpr_dispatch_ptr 0
		.amdhsa_user_sgpr_queue_ptr 0
		.amdhsa_user_sgpr_kernarg_segment_ptr 1
		.amdhsa_user_sgpr_dispatch_id 0
		.amdhsa_user_sgpr_flat_scratch_init 0
		.amdhsa_user_sgpr_private_segment_size 0
		.amdhsa_uses_dynamic_stack 0
		.amdhsa_system_sgpr_private_segment_wavefront_offset 0
		.amdhsa_system_sgpr_workgroup_id_x 1
		.amdhsa_system_sgpr_workgroup_id_y 0
		.amdhsa_system_sgpr_workgroup_id_z 0
		.amdhsa_system_sgpr_workgroup_info 0
		.amdhsa_system_vgpr_workitem_id 0
		.amdhsa_next_free_vgpr 39
		.amdhsa_next_free_sgpr 42
		.amdhsa_reserve_vcc 1
		.amdhsa_reserve_flat_scratch 0
		.amdhsa_float_round_mode_32 0
		.amdhsa_float_round_mode_16_64 0
		.amdhsa_float_denorm_mode_32 3
		.amdhsa_float_denorm_mode_16_64 3
		.amdhsa_dx10_clamp 1
		.amdhsa_ieee_mode 1
		.amdhsa_fp16_overflow 0
		.amdhsa_exception_fp_ieee_invalid_op 0
		.amdhsa_exception_fp_denorm_src 0
		.amdhsa_exception_fp_ieee_div_zero 0
		.amdhsa_exception_fp_ieee_overflow 0
		.amdhsa_exception_fp_ieee_underflow 0
		.amdhsa_exception_fp_ieee_inexact 0
		.amdhsa_exception_int_div_zero 0
	.end_amdhsa_kernel
	.section	.text._ZN2at6native29vectorized_elementwise_kernelILi4ENS0_13BinaryFunctorIhhbNS0_12_GLOBAL__N_116CompareEqFunctorIhEEEESt5arrayIPcLm3EEEEviT0_T1_,"axG",@progbits,_ZN2at6native29vectorized_elementwise_kernelILi4ENS0_13BinaryFunctorIhhbNS0_12_GLOBAL__N_116CompareEqFunctorIhEEEESt5arrayIPcLm3EEEEviT0_T1_,comdat
.Lfunc_end2:
	.size	_ZN2at6native29vectorized_elementwise_kernelILi4ENS0_13BinaryFunctorIhhbNS0_12_GLOBAL__N_116CompareEqFunctorIhEEEESt5arrayIPcLm3EEEEviT0_T1_, .Lfunc_end2-_ZN2at6native29vectorized_elementwise_kernelILi4ENS0_13BinaryFunctorIhhbNS0_12_GLOBAL__N_116CompareEqFunctorIhEEEESt5arrayIPcLm3EEEEviT0_T1_
                                        ; -- End function
	.set _ZN2at6native29vectorized_elementwise_kernelILi4ENS0_13BinaryFunctorIhhbNS0_12_GLOBAL__N_116CompareEqFunctorIhEEEESt5arrayIPcLm3EEEEviT0_T1_.num_vgpr, 39
	.set _ZN2at6native29vectorized_elementwise_kernelILi4ENS0_13BinaryFunctorIhhbNS0_12_GLOBAL__N_116CompareEqFunctorIhEEEESt5arrayIPcLm3EEEEviT0_T1_.num_agpr, 0
	.set _ZN2at6native29vectorized_elementwise_kernelILi4ENS0_13BinaryFunctorIhhbNS0_12_GLOBAL__N_116CompareEqFunctorIhEEEESt5arrayIPcLm3EEEEviT0_T1_.numbered_sgpr, 42
	.set _ZN2at6native29vectorized_elementwise_kernelILi4ENS0_13BinaryFunctorIhhbNS0_12_GLOBAL__N_116CompareEqFunctorIhEEEESt5arrayIPcLm3EEEEviT0_T1_.num_named_barrier, 0
	.set _ZN2at6native29vectorized_elementwise_kernelILi4ENS0_13BinaryFunctorIhhbNS0_12_GLOBAL__N_116CompareEqFunctorIhEEEESt5arrayIPcLm3EEEEviT0_T1_.private_seg_size, 0
	.set _ZN2at6native29vectorized_elementwise_kernelILi4ENS0_13BinaryFunctorIhhbNS0_12_GLOBAL__N_116CompareEqFunctorIhEEEESt5arrayIPcLm3EEEEviT0_T1_.uses_vcc, 1
	.set _ZN2at6native29vectorized_elementwise_kernelILi4ENS0_13BinaryFunctorIhhbNS0_12_GLOBAL__N_116CompareEqFunctorIhEEEESt5arrayIPcLm3EEEEviT0_T1_.uses_flat_scratch, 0
	.set _ZN2at6native29vectorized_elementwise_kernelILi4ENS0_13BinaryFunctorIhhbNS0_12_GLOBAL__N_116CompareEqFunctorIhEEEESt5arrayIPcLm3EEEEviT0_T1_.has_dyn_sized_stack, 0
	.set _ZN2at6native29vectorized_elementwise_kernelILi4ENS0_13BinaryFunctorIhhbNS0_12_GLOBAL__N_116CompareEqFunctorIhEEEESt5arrayIPcLm3EEEEviT0_T1_.has_recursion, 0
	.set _ZN2at6native29vectorized_elementwise_kernelILi4ENS0_13BinaryFunctorIhhbNS0_12_GLOBAL__N_116CompareEqFunctorIhEEEESt5arrayIPcLm3EEEEviT0_T1_.has_indirect_call, 0
	.section	.AMDGPU.csdata,"",@progbits
; Kernel info:
; codeLenInByte = 4440
; TotalNumSgprs: 46
; NumVgprs: 39
; ScratchSize: 0
; MemoryBound: 0
; FloatMode: 240
; IeeeMode: 1
; LDSByteSize: 0 bytes/workgroup (compile time only)
; SGPRBlocks: 5
; VGPRBlocks: 9
; NumSGPRsForWavesPerEU: 46
; NumVGPRsForWavesPerEU: 39
; Occupancy: 6
; WaveLimiterHint : 1
; COMPUTE_PGM_RSRC2:SCRATCH_EN: 0
; COMPUTE_PGM_RSRC2:USER_SGPR: 6
; COMPUTE_PGM_RSRC2:TRAP_HANDLER: 0
; COMPUTE_PGM_RSRC2:TGID_X_EN: 1
; COMPUTE_PGM_RSRC2:TGID_Y_EN: 0
; COMPUTE_PGM_RSRC2:TGID_Z_EN: 0
; COMPUTE_PGM_RSRC2:TIDIG_COMP_CNT: 0
	.section	.text._ZN2at6native29vectorized_elementwise_kernelILi2ENS0_13BinaryFunctorIhhbNS0_12_GLOBAL__N_116CompareEqFunctorIhEEEESt5arrayIPcLm3EEEEviT0_T1_,"axG",@progbits,_ZN2at6native29vectorized_elementwise_kernelILi2ENS0_13BinaryFunctorIhhbNS0_12_GLOBAL__N_116CompareEqFunctorIhEEEESt5arrayIPcLm3EEEEviT0_T1_,comdat
	.globl	_ZN2at6native29vectorized_elementwise_kernelILi2ENS0_13BinaryFunctorIhhbNS0_12_GLOBAL__N_116CompareEqFunctorIhEEEESt5arrayIPcLm3EEEEviT0_T1_ ; -- Begin function _ZN2at6native29vectorized_elementwise_kernelILi2ENS0_13BinaryFunctorIhhbNS0_12_GLOBAL__N_116CompareEqFunctorIhEEEESt5arrayIPcLm3EEEEviT0_T1_
	.p2align	8
	.type	_ZN2at6native29vectorized_elementwise_kernelILi2ENS0_13BinaryFunctorIhhbNS0_12_GLOBAL__N_116CompareEqFunctorIhEEEESt5arrayIPcLm3EEEEviT0_T1_,@function
_ZN2at6native29vectorized_elementwise_kernelILi2ENS0_13BinaryFunctorIhhbNS0_12_GLOBAL__N_116CompareEqFunctorIhEEEESt5arrayIPcLm3EEEEviT0_T1_: ; @_ZN2at6native29vectorized_elementwise_kernelILi2ENS0_13BinaryFunctorIhhbNS0_12_GLOBAL__N_116CompareEqFunctorIhEEEESt5arrayIPcLm3EEEEviT0_T1_
; %bb.0:
	s_load_dwordx2 s[14:15], s[4:5], 0x0
	s_load_dwordx4 s[16:19], s[4:5], 0x8
	s_load_dwordx2 s[20:21], s[4:5], 0x18
	s_lshl_b32 s33, s6, 12
	s_mov_b64 s[0:1], -1
	s_waitcnt lgkmcnt(0)
	s_sub_i32 s14, s14, s33
	s_cmpk_gt_i32 s14, 0xfff
	s_cbranch_scc0 .LBB3_2
; %bb.1:
	s_ashr_i32 s26, s33, 31
	s_add_u32 s0, s18, s33
	s_addc_u32 s1, s19, s26
	s_add_u32 s2, s20, s33
	v_lshlrev_b32_e32 v1, 1, v0
	s_addc_u32 s3, s21, s26
	global_load_ushort v2, v1, s[2:3]
	global_load_ushort v3, v1, s[0:1]
	global_load_ushort v4, v1, s[0:1] offset:512
	global_load_ushort v5, v1, s[2:3] offset:512
	;; [unrolled: 1-line block ×13, first 2 shown]
                                        ; kill: killed $sgpr0 killed $sgpr1
	global_load_ushort v17, v1, s[2:3] offset:3584
	s_cmp_eq_u32 s15, 0
	s_cselect_b64 s[22:23], -1, 0
	s_movk_i32 s27, 0xff
	s_waitcnt vmcnt(14)
	v_cmp_ne_u16_sdwa s[0:1], v3, v2 src0_sel:BYTE_0 src1_sel:BYTE_0
	s_xor_b64 s[0:1], s[22:23], s[0:1]
	s_waitcnt vmcnt(12)
	v_cmp_ne_u16_sdwa s[2:3], v4, v5 src0_sel:BYTE_0 src1_sel:BYTE_0
	v_xor_b32_e32 v2, v2, v3
	v_xor_b32_e32 v3, v5, v4
	s_waitcnt vmcnt(10)
	v_cmp_ne_u16_sdwa s[4:5], v7, v6 src0_sel:BYTE_0 src1_sel:BYTE_0
	v_xor_b32_e32 v4, v6, v7
	s_waitcnt vmcnt(8)
	v_cmp_ne_u16_sdwa s[6:7], v8, v9 src0_sel:BYTE_0 src1_sel:BYTE_0
	s_waitcnt vmcnt(6)
	v_cmp_ne_u16_sdwa s[8:9], v11, v10 src0_sel:BYTE_0 src1_sel:BYTE_0
	v_xor_b32_e32 v6, v10, v11
	v_cndmask_b32_e64 v10, 0, 1, s[0:1]
	s_xor_b64 s[0:1], s[22:23], s[2:3]
	v_cmp_lt_u16_e32 vcc, s27, v2
	v_cndmask_b32_e64 v2, 0, 1, s[0:1]
	v_cmp_lt_u16_e64 s[0:1], s27, v3
	s_xor_b64 s[2:3], s[22:23], s[4:5]
	v_xor_b32_e32 v5, v9, v8
	v_cndmask_b32_e64 v3, 0, 1, s[2:3]
	v_cmp_lt_u16_e64 s[2:3], s27, v4
	s_xor_b64 s[4:5], s[22:23], s[6:7]
	s_xor_b64 s[0:1], s[22:23], s[0:1]
	s_waitcnt vmcnt(4)
	v_cmp_ne_u16_sdwa s[10:11], v12, v13 src0_sel:BYTE_0 src1_sel:BYTE_0
	v_cndmask_b32_e64 v4, 0, 1, s[4:5]
	v_cmp_lt_u16_e64 s[4:5], s27, v5
	s_xor_b64 s[6:7], s[22:23], s[8:9]
	v_cndmask_b32_e64 v11, 0, 1, s[0:1]
	s_xor_b64 s[0:1], s[22:23], s[2:3]
	v_xor_b32_e32 v7, v13, v12
	s_waitcnt vmcnt(2)
	v_cmp_ne_u16_sdwa s[12:13], v15, v14 src0_sel:BYTE_0 src1_sel:BYTE_0
	v_cndmask_b32_e64 v5, 0, 1, s[6:7]
	v_cmp_lt_u16_e64 s[6:7], s27, v6
	s_xor_b64 s[8:9], s[22:23], s[10:11]
	v_cndmask_b32_e64 v12, 0, 1, s[0:1]
	s_xor_b64 s[0:1], s[22:23], s[4:5]
	v_xor_b32_e32 v8, v14, v15
	;; [unrolled: 8-line block ×3, first 2 shown]
	v_cndmask_b32_e64 v7, 0, 1, s[10:11]
	v_cmp_lt_u16_e64 s[10:11], s27, v8
	s_xor_b64 s[12:13], s[22:23], s[24:25]
	v_cndmask_b32_e64 v14, 0, 1, s[0:1]
	s_xor_b64 s[0:1], s[22:23], s[8:9]
	v_cndmask_b32_e64 v8, 0, 1, s[12:13]
	v_cmp_lt_u16_e64 s[12:13], s27, v9
	s_xor_b64 s[24:25], s[22:23], vcc
	v_cndmask_b32_e64 v15, 0, 1, s[0:1]
	s_xor_b64 s[0:1], s[22:23], s[10:11]
	v_cndmask_b32_e64 v9, 0, 1, s[24:25]
	v_cndmask_b32_e64 v16, 0, 1, s[0:1]
	s_xor_b64 s[0:1], s[22:23], s[12:13]
	v_cndmask_b32_e64 v17, 0, 1, s[0:1]
	v_lshlrev_b16_e32 v9, 8, v9
	s_add_u32 s0, s16, s33
	v_lshlrev_b16_e32 v17, 8, v17
	v_lshlrev_b16_e32 v16, 8, v16
	;; [unrolled: 1-line block ×7, first 2 shown]
	v_or_b32_e32 v9, v10, v9
	s_addc_u32 s1, s17, s26
	v_or_b32_e32 v8, v8, v17
	v_or_b32_e32 v7, v7, v16
	;; [unrolled: 1-line block ×7, first 2 shown]
	global_store_short v1, v9, s[0:1]
	global_store_short v1, v2, s[0:1] offset:512
	global_store_short v1, v3, s[0:1] offset:1024
	;; [unrolled: 1-line block ×7, first 2 shown]
	s_mov_b64 s[0:1], 0
.LBB3_2:
	s_andn2_b64 vcc, exec, s[0:1]
	s_cbranch_vccnz .LBB3_54
; %bb.3:
	v_cmp_gt_i32_e32 vcc, s14, v0
	v_cmp_le_i32_e64 s[0:1], s14, v0
                                        ; implicit-def: $vgpr5
	s_and_saveexec_b64 s[2:3], s[0:1]
	s_xor_b64 s[0:1], exec, s[2:3]
; %bb.4:
	v_or_b32_e32 v5, 0x100, v0
; %bb.5:
	s_or_saveexec_b64 s[2:3], s[0:1]
	v_mov_b32_e32 v36, 0
	s_mov_b64 s[4:5], 0
	v_or_b32_e32 v6, s33, v0
	v_mov_b32_e32 v35, 0
	v_mov_b32_e32 v34, 0
	;; [unrolled: 1-line block ×29, first 2 shown]
	s_xor_b64 exec, exec, s[2:3]
	s_cbranch_execz .LBB3_37
; %bb.6:
	global_load_ubyte v7, v6, s[18:19]
	global_load_ubyte v8, v6, s[20:21]
	v_or_b32_e32 v5, 0x100, v0
	v_cmp_gt_u32_e64 s[0:1], s14, v5
	s_mov_b64 s[6:7], 0
	v_mov_b32_e32 v9, 0
	v_mov_b32_e32 v10, 0
	;; [unrolled: 1-line block ×28, first 2 shown]
	s_and_saveexec_b64 s[4:5], s[0:1]
	s_cbranch_execz .LBB3_36
; %bb.7:
	v_add_u32_e32 v3, s33, v0
	global_load_ubyte v10, v3, s[18:19] offset:256
	global_load_ubyte v9, v3, s[20:21] offset:256
	v_or_b32_e32 v1, 0x200, v0
	v_mov_b32_e32 v11, 0
	v_cmp_gt_u32_e64 s[0:1], s14, v1
	s_mov_b64 s[8:9], 0
	v_mov_b32_e32 v13, 0
	v_mov_b32_e32 v12, 0
	;; [unrolled: 1-line block ×25, first 2 shown]
	s_and_saveexec_b64 s[6:7], s[0:1]
	s_cbranch_execz .LBB3_35
; %bb.8:
	v_mov_b32_e32 v2, s19
	v_add_co_u32_e64 v1, s[0:1], s18, v3
	v_addc_co_u32_e64 v2, s[0:1], 0, v2, s[0:1]
	v_mov_b32_e32 v4, s21
	v_add_co_u32_e64 v3, s[0:1], s20, v3
	v_addc_co_u32_e64 v4, s[0:1], 0, v4, s[0:1]
	global_load_ubyte v13, v[1:2], off offset:512
	global_load_ubyte v11, v[3:4], off offset:512
	v_or_b32_e32 v12, 0x300, v0
	v_cmp_gt_u32_e64 s[0:1], s14, v12
	s_mov_b64 s[10:11], 0
	v_mov_b32_e32 v12, 0
	v_mov_b32_e32 v15, 0
	;; [unrolled: 1-line block ×24, first 2 shown]
	s_and_saveexec_b64 s[8:9], s[0:1]
	s_cbranch_execz .LBB3_34
; %bb.9:
	global_load_ubyte v15, v[1:2], off offset:768
	global_load_ubyte v12, v[3:4], off offset:768
	v_or_b32_e32 v14, 0x400, v0
	v_cmp_gt_u32_e64 s[0:1], s14, v14
	s_mov_b64 s[12:13], 0
	v_mov_b32_e32 v16, 0
	v_mov_b32_e32 v17, 0
	;; [unrolled: 1-line block ×22, first 2 shown]
	s_and_saveexec_b64 s[10:11], s[0:1]
	s_cbranch_execz .LBB3_33
; %bb.10:
	global_load_ubyte v17, v[1:2], off offset:1024
	global_load_ubyte v16, v[3:4], off offset:1024
	v_or_b32_e32 v14, 0x500, v0
	v_cmp_gt_u32_e64 s[0:1], s14, v14
	s_mov_b64 s[18:19], 0
	v_mov_b32_e32 v18, 0
	v_mov_b32_e32 v21, 0
	;; [unrolled: 1-line block ×20, first 2 shown]
	s_and_saveexec_b64 s[12:13], s[0:1]
	s_cbranch_execz .LBB3_32
; %bb.11:
	global_load_ubyte v21, v[1:2], off offset:1280
	global_load_ubyte v18, v[3:4], off offset:1280
	v_or_b32_e32 v14, 0x600, v0
	v_cmp_gt_u32_e64 s[0:1], s14, v14
	s_mov_b64 s[20:21], 0
	v_mov_b32_e32 v14, 0
	v_mov_b32_e32 v19, 0
	;; [unrolled: 1-line block ×18, first 2 shown]
	s_and_saveexec_b64 s[18:19], s[0:1]
	s_cbranch_execz .LBB3_31
; %bb.12:
	global_load_ubyte v19, v[1:2], off offset:1536
	global_load_ubyte v14, v[3:4], off offset:1536
	v_or_b32_e32 v20, 0x700, v0
	v_cmp_gt_u32_e64 s[0:1], s14, v20
	s_mov_b64 s[22:23], 0
	v_mov_b32_e32 v20, 0
	v_mov_b32_e32 v22, 0
	;; [unrolled: 1-line block ×16, first 2 shown]
	s_and_saveexec_b64 s[20:21], s[0:1]
	s_cbranch_execz .LBB3_30
; %bb.13:
	global_load_ubyte v22, v[1:2], off offset:1792
	global_load_ubyte v20, v[3:4], off offset:1792
	v_or_b32_e32 v23, 0x800, v0
	v_cmp_gt_u32_e64 s[0:1], s14, v23
	s_mov_b64 s[24:25], 0
	v_mov_b32_e32 v23, 0
	v_mov_b32_e32 v24, 0
	;; [unrolled: 1-line block ×14, first 2 shown]
	s_and_saveexec_b64 s[22:23], s[0:1]
	s_cbranch_execz .LBB3_29
; %bb.14:
	global_load_ubyte v24, v[1:2], off offset:2048
	global_load_ubyte v23, v[3:4], off offset:2048
	v_or_b32_e32 v25, 0x900, v0
	v_cmp_gt_u32_e64 s[0:1], s14, v25
	s_mov_b64 s[26:27], 0
	v_mov_b32_e32 v25, 0
	v_mov_b32_e32 v26, 0
	;; [unrolled: 1-line block ×12, first 2 shown]
	s_and_saveexec_b64 s[24:25], s[0:1]
	s_cbranch_execz .LBB3_28
; %bb.15:
	global_load_ubyte v26, v[1:2], off offset:2304
	global_load_ubyte v25, v[3:4], off offset:2304
	v_or_b32_e32 v27, 0xa00, v0
	v_cmp_gt_u32_e64 s[0:1], s14, v27
	s_mov_b64 s[28:29], 0
	v_mov_b32_e32 v27, 0
	v_mov_b32_e32 v28, 0
	;; [unrolled: 1-line block ×10, first 2 shown]
	s_and_saveexec_b64 s[26:27], s[0:1]
	s_cbranch_execz .LBB3_27
; %bb.16:
	global_load_ubyte v28, v[1:2], off offset:2560
	global_load_ubyte v27, v[3:4], off offset:2560
	v_or_b32_e32 v29, 0xb00, v0
	v_cmp_gt_u32_e64 s[0:1], s14, v29
	s_mov_b64 s[30:31], 0
	v_mov_b32_e32 v29, 0
	v_mov_b32_e32 v30, 0
	;; [unrolled: 1-line block ×8, first 2 shown]
	s_and_saveexec_b64 s[28:29], s[0:1]
	s_cbranch_execz .LBB3_26
; %bb.17:
	global_load_ubyte v30, v[1:2], off offset:2816
	global_load_ubyte v29, v[3:4], off offset:2816
	v_or_b32_e32 v31, 0xc00, v0
	v_cmp_gt_u32_e64 s[0:1], s14, v31
	s_mov_b64 s[34:35], 0
	v_mov_b32_e32 v31, 0
	v_mov_b32_e32 v32, 0
	;; [unrolled: 1-line block ×6, first 2 shown]
	s_and_saveexec_b64 s[30:31], s[0:1]
	s_cbranch_execz .LBB3_25
; %bb.18:
	global_load_ubyte v32, v[1:2], off offset:3072
	global_load_ubyte v31, v[3:4], off offset:3072
	v_or_b32_e32 v33, 0xd00, v0
	v_cmp_gt_u32_e64 s[0:1], s14, v33
	s_mov_b64 s[36:37], 0
	v_mov_b32_e32 v33, 0
	v_mov_b32_e32 v34, 0
	;; [unrolled: 1-line block ×4, first 2 shown]
	s_and_saveexec_b64 s[34:35], s[0:1]
	s_cbranch_execz .LBB3_24
; %bb.19:
	global_load_ubyte v34, v[1:2], off offset:3328
	global_load_ubyte v33, v[3:4], off offset:3328
	v_or_b32_e32 v35, 0xe00, v0
	v_cmp_gt_u32_e64 s[0:1], s14, v35
	s_mov_b64 s[38:39], 0
	v_mov_b32_e32 v35, 0
	v_mov_b32_e32 v36, 0
	s_and_saveexec_b64 s[36:37], s[0:1]
	s_cbranch_execz .LBB3_23
; %bb.20:
	global_load_ubyte v36, v[1:2], off offset:3584
	global_load_ubyte v35, v[3:4], off offset:3584
	v_or_b32_e32 v37, 0xf00, v0
	v_cmp_gt_u32_e64 s[0:1], s14, v37
	s_mov_b64 s[40:41], 0
	s_and_saveexec_b64 s[38:39], s[0:1]
	s_cbranch_execz .LBB3_22
; %bb.21:
	global_load_ubyte v37, v[1:2], off offset:3840
	global_load_ubyte v38, v[3:4], off offset:3840
	s_waitcnt vmcnt(0)
	v_cmp_ne_u16_e64 s[0:1], v37, v38
	s_and_b64 s[40:41], s[0:1], exec
.LBB3_22:
	s_or_b64 exec, exec, s[38:39]
	s_and_b64 s[38:39], s[40:41], exec
.LBB3_23:
	s_or_b64 exec, exec, s[36:37]
	s_and_b64 s[36:37], s[38:39], exec
.LBB3_24:
	s_or_b64 exec, exec, s[34:35]
	s_and_b64 s[34:35], s[36:37], exec
.LBB3_25:
	s_or_b64 exec, exec, s[30:31]
	s_and_b64 s[30:31], s[34:35], exec
.LBB3_26:
	s_or_b64 exec, exec, s[28:29]
	s_and_b64 s[28:29], s[30:31], exec
.LBB3_27:
	s_or_b64 exec, exec, s[26:27]
	s_and_b64 s[26:27], s[28:29], exec
.LBB3_28:
	s_or_b64 exec, exec, s[24:25]
	s_and_b64 s[24:25], s[26:27], exec
.LBB3_29:
	s_or_b64 exec, exec, s[22:23]
	s_and_b64 s[22:23], s[24:25], exec
.LBB3_30:
	s_or_b64 exec, exec, s[20:21]
	s_and_b64 s[20:21], s[22:23], exec
.LBB3_31:
	s_or_b64 exec, exec, s[18:19]
	s_and_b64 s[18:19], s[20:21], exec
.LBB3_32:
	s_or_b64 exec, exec, s[12:13]
	s_and_b64 s[12:13], s[18:19], exec
.LBB3_33:
	s_or_b64 exec, exec, s[10:11]
	s_and_b64 s[10:11], s[12:13], exec
.LBB3_34:
	s_or_b64 exec, exec, s[8:9]
	s_and_b64 s[8:9], s[10:11], exec
.LBB3_35:
	s_or_b64 exec, exec, s[6:7]
	s_and_b64 s[6:7], s[8:9], exec
.LBB3_36:
	s_or_b64 exec, exec, s[4:5]
	s_and_b64 s[4:5], s[6:7], exec
.LBB3_37:
	s_or_b64 exec, exec, s[2:3]
	s_cmp_eq_u32 s15, 0
	s_cselect_b64 s[2:3], -1, 0
	s_waitcnt vmcnt(0)
	v_cmp_ne_u16_sdwa s[0:1], v7, v8 src0_sel:BYTE_0 src1_sel:BYTE_0
	s_xor_b64 s[0:1], s[2:3], s[0:1]
	v_cndmask_b32_e64 v1, 0, 1, s[0:1]
	v_cmp_ne_u16_sdwa s[0:1], v10, v9 src0_sel:BYTE_0 src1_sel:BYTE_0
	s_xor_b64 s[0:1], s[2:3], s[0:1]
	v_cndmask_b32_e64 v2, 0, 1, s[0:1]
	v_cndmask_b32_e32 v1, 0, v1, vcc
	v_lshlrev_b16_e32 v2, 8, v2
	v_or_b32_e32 v2, v1, v2
	v_and_b32_e32 v2, 0xffff, v2
	v_cmp_gt_i32_e64 s[0:1], s14, v5
	v_cndmask_b32_e64 v1, v1, v2, s[0:1]
	v_cmp_ne_u16_sdwa s[0:1], v13, v11 src0_sel:BYTE_0 src1_sel:BYTE_0
	s_xor_b64 s[0:1], s[2:3], s[0:1]
	v_or_b32_e32 v2, 0x200, v0
	v_cndmask_b32_e64 v3, 0, 1, s[0:1]
	v_lshl_or_b32 v3, v3, 16, v1
	v_cmp_gt_i32_e64 s[0:1], s14, v2
	v_cndmask_b32_e64 v1, v1, v3, s[0:1]
	v_cmp_ne_u16_sdwa s[0:1], v15, v12 src0_sel:BYTE_0 src1_sel:BYTE_0
	s_xor_b64 s[0:1], s[2:3], s[0:1]
	s_movk_i32 s6, 0xff
	v_cndmask_b32_e64 v4, 0, 1, s[0:1]
	v_and_b32_sdwa v2, v1, s6 dst_sel:DWORD dst_unused:UNUSED_PAD src0_sel:WORD_1 src1_sel:DWORD
	v_lshlrev_b16_e32 v4, 8, v4
	s_mov_b32 s7, 0xffff
	v_or_b32_e32 v3, 0x300, v0
	v_or_b32_sdwa v2, v2, v4 dst_sel:WORD_1 dst_unused:UNUSED_PAD src0_sel:DWORD src1_sel:DWORD
	v_and_or_b32 v2, v1, s7, v2
	v_cmp_gt_i32_e64 s[0:1], s14, v3
	v_cndmask_b32_e64 v4, v1, v2, s[0:1]
	v_cmp_ne_u16_sdwa s[0:1], v17, v16 src0_sel:BYTE_0 src1_sel:BYTE_0
	s_xor_b64 s[0:1], s[2:3], s[0:1]
	v_cndmask_b32_e64 v1, 0, 1, s[0:1]
	v_or_b32_e32 v2, 0x400, v0
	v_and_b32_e32 v1, 0xffff, v1
	v_cmp_gt_i32_e64 s[0:1], s14, v2
	v_cndmask_b32_e64 v1, 0, v1, s[0:1]
	v_cmp_ne_u16_sdwa s[0:1], v21, v18 src0_sel:BYTE_0 src1_sel:BYTE_0
	s_xor_b64 s[0:1], s[2:3], s[0:1]
	v_cndmask_b32_e64 v3, 0, 1, s[0:1]
	v_lshlrev_b16_e32 v3, 8, v3
	v_or_b32_e32 v2, 0x500, v0
	v_or_b32_sdwa v3, v1, v3 dst_sel:DWORD dst_unused:UNUSED_PAD src0_sel:BYTE_0 src1_sel:DWORD
	v_and_b32_e32 v3, 0xffff, v3
	v_cmp_gt_i32_e64 s[0:1], s14, v2
	v_cndmask_b32_e64 v1, v1, v3, s[0:1]
	v_cmp_ne_u16_sdwa s[0:1], v19, v14 src0_sel:BYTE_0 src1_sel:BYTE_0
	s_movk_i32 s8, 0xff00
	s_xor_b64 s[0:1], s[2:3], s[0:1]
	v_and_b32_sdwa v2, v1, s8 dst_sel:DWORD dst_unused:UNUSED_PAD src0_sel:WORD_1 src1_sel:DWORD
	v_cndmask_b32_e64 v3, 0, 1, s[0:1]
	v_or_b32_sdwa v2, v3, v2 dst_sel:WORD_1 dst_unused:UNUSED_PAD src0_sel:DWORD src1_sel:DWORD
	v_or_b32_e32 v3, 0x600, v0
	v_and_or_b32 v2, v1, s7, v2
	v_cmp_gt_i32_e64 s[0:1], s14, v3
	v_cndmask_b32_e64 v1, v1, v2, s[0:1]
	v_cmp_ne_u16_sdwa s[0:1], v22, v20 src0_sel:BYTE_0 src1_sel:BYTE_0
	s_xor_b64 s[0:1], s[2:3], s[0:1]
	v_cndmask_b32_e64 v7, 0, 1, s[0:1]
	v_and_b32_sdwa v2, v1, s6 dst_sel:DWORD dst_unused:UNUSED_PAD src0_sel:WORD_1 src1_sel:DWORD
	v_lshlrev_b16_e32 v7, 8, v7
	v_or_b32_e32 v3, 0x700, v0
	v_or_b32_sdwa v2, v2, v7 dst_sel:WORD_1 dst_unused:UNUSED_PAD src0_sel:DWORD src1_sel:DWORD
	v_and_or_b32 v2, v1, s7, v2
	v_cmp_gt_i32_e64 s[0:1], s14, v3
	v_cndmask_b32_e64 v3, v1, v2, s[0:1]
	v_cmp_ne_u16_sdwa s[0:1], v24, v23 src0_sel:BYTE_0 src1_sel:BYTE_0
	v_or_b32_e32 v1, 0x800, v0
	s_xor_b64 s[0:1], s[2:3], s[0:1]
	v_cndmask_b32_e64 v2, 0, 1, s[0:1]
	v_cmp_gt_i32_e64 s[0:1], s14, v1
	v_cndmask_b32_e64 v1, 0, v2, s[0:1]
	v_cmp_ne_u16_sdwa s[0:1], v26, v25 src0_sel:BYTE_0 src1_sel:BYTE_0
	s_xor_b64 s[0:1], s[2:3], s[0:1]
	v_cndmask_b32_e64 v7, 0, 1, s[0:1]
	v_lshlrev_b16_e32 v7, 8, v7
	v_or_b32_e32 v2, 0x900, v0
	v_or_b32_e32 v7, v1, v7
	v_and_b32_e32 v7, 0xffff, v7
	v_cmp_gt_i32_e64 s[0:1], s14, v2
	v_cndmask_b32_e64 v1, v1, v7, s[0:1]
	v_cmp_ne_u16_sdwa s[0:1], v28, v27 src0_sel:BYTE_0 src1_sel:BYTE_0
	s_xor_b64 s[0:1], s[2:3], s[0:1]
	v_cndmask_b32_e64 v7, 0, 1, s[0:1]
	v_or_b32_e32 v2, 0xa00, v0
	v_lshlrev_b32_e32 v7, 16, v7
	s_movk_i32 s0, 0x1ff
	v_and_or_b32 v7, v1, s0, v7
	v_cmp_gt_i32_e64 s[0:1], s14, v2
	v_cndmask_b32_e64 v1, v1, v7, s[0:1]
	v_cmp_ne_u16_sdwa s[0:1], v30, v29 src0_sel:BYTE_0 src1_sel:BYTE_0
	s_xor_b64 s[0:1], s[2:3], s[0:1]
	v_cndmask_b32_e64 v8, 0, 1, s[0:1]
	v_and_b32_sdwa v2, v1, s6 dst_sel:DWORD dst_unused:UNUSED_PAD src0_sel:WORD_1 src1_sel:DWORD
	v_lshlrev_b16_e32 v8, 8, v8
	v_or_b32_e32 v7, 0xb00, v0
	v_or_b32_sdwa v2, v2, v8 dst_sel:WORD_1 dst_unused:UNUSED_PAD src0_sel:DWORD src1_sel:DWORD
	v_and_or_b32 v2, v1, s7, v2
	v_cmp_gt_i32_e64 s[0:1], s14, v7
	v_cndmask_b32_e64 v2, v1, v2, s[0:1]
	v_cmp_ne_u16_sdwa s[0:1], v32, v31 src0_sel:BYTE_0 src1_sel:BYTE_0
	v_or_b32_e32 v1, 0xc00, v0
	s_xor_b64 s[0:1], s[2:3], s[0:1]
	v_cndmask_b32_e64 v7, 0, 1, s[0:1]
	v_cmp_gt_i32_e64 s[0:1], s14, v1
	v_cndmask_b32_e64 v1, 0, v7, s[0:1]
	v_cmp_ne_u16_sdwa s[0:1], v34, v33 src0_sel:BYTE_0 src1_sel:BYTE_0
	s_xor_b64 s[0:1], s[2:3], s[0:1]
	v_cndmask_b32_e64 v8, 0, 1, s[0:1]
	v_lshlrev_b16_e32 v8, 8, v8
	v_or_b32_e32 v7, 0xd00, v0
	v_or_b32_sdwa v8, v1, v8 dst_sel:DWORD dst_unused:UNUSED_PAD src0_sel:BYTE_0 src1_sel:DWORD
	v_and_b32_e32 v8, 0xffff, v8
	v_cmp_gt_i32_e64 s[0:1], s14, v7
	v_cndmask_b32_e64 v1, v1, v8, s[0:1]
	v_cmp_ne_u16_sdwa s[0:1], v36, v35 src0_sel:BYTE_0 src1_sel:BYTE_0
	s_xor_b64 s[0:1], s[2:3], s[0:1]
	v_and_b32_sdwa v7, v1, s8 dst_sel:DWORD dst_unused:UNUSED_PAD src0_sel:WORD_1 src1_sel:DWORD
	v_cndmask_b32_e64 v8, 0, 1, s[0:1]
	v_or_b32_sdwa v7, v8, v7 dst_sel:WORD_1 dst_unused:UNUSED_PAD src0_sel:DWORD src1_sel:DWORD
	v_or_b32_e32 v8, 0xe00, v0
	v_and_or_b32 v7, v1, s7, v7
	v_cmp_gt_i32_e64 s[0:1], s14, v8
	v_cndmask_b32_e64 v1, v1, v7, s[0:1]
	s_xor_b64 s[0:1], s[2:3], s[4:5]
	v_cndmask_b32_e64 v9, 0, 1, s[0:1]
	v_and_b32_sdwa v7, v1, s6 dst_sel:DWORD dst_unused:UNUSED_PAD src0_sel:WORD_1 src1_sel:DWORD
	v_lshlrev_b16_e32 v9, 8, v9
	v_or_b32_e32 v8, 0xf00, v0
	v_or_b32_sdwa v7, v7, v9 dst_sel:WORD_1 dst_unused:UNUSED_PAD src0_sel:DWORD src1_sel:DWORD
	v_and_or_b32 v7, v1, s7, v7
	v_cmp_gt_i32_e64 s[0:1], s14, v8
	v_cndmask_b32_e64 v1, v1, v7, s[0:1]
	s_and_saveexec_b64 s[0:1], vcc
	s_cbranch_execnz .LBB3_55
; %bb.38:
	s_or_b64 exec, exec, s[0:1]
	v_cmp_gt_i32_e32 vcc, s14, v0
	s_and_saveexec_b64 s[0:1], vcc
	s_cbranch_execnz .LBB3_56
.LBB3_39:
	s_or_b64 exec, exec, s[0:1]
	v_cmp_gt_i32_e32 vcc, s14, v0
	s_and_saveexec_b64 s[0:1], vcc
	s_cbranch_execnz .LBB3_57
.LBB3_40:
	s_or_b64 exec, exec, s[0:1]
	v_cmp_gt_i32_e32 vcc, s14, v0
	s_and_saveexec_b64 s[0:1], vcc
	s_cbranch_execnz .LBB3_58
.LBB3_41:
	s_or_b64 exec, exec, s[0:1]
	v_cmp_gt_i32_e32 vcc, s14, v0
	s_and_saveexec_b64 s[0:1], vcc
	s_cbranch_execnz .LBB3_59
.LBB3_42:
	s_or_b64 exec, exec, s[0:1]
	v_cmp_gt_i32_e32 vcc, s14, v0
	s_and_saveexec_b64 s[0:1], vcc
	s_cbranch_execnz .LBB3_60
.LBB3_43:
	s_or_b64 exec, exec, s[0:1]
	v_cmp_gt_i32_e32 vcc, s14, v0
	s_and_saveexec_b64 s[0:1], vcc
	s_cbranch_execnz .LBB3_61
.LBB3_44:
	s_or_b64 exec, exec, s[0:1]
	v_cmp_gt_i32_e32 vcc, s14, v0
	s_and_saveexec_b64 s[0:1], vcc
	s_cbranch_execnz .LBB3_62
.LBB3_45:
	s_or_b64 exec, exec, s[0:1]
	v_cmp_gt_i32_e32 vcc, s14, v0
	s_and_saveexec_b64 s[0:1], vcc
	s_cbranch_execnz .LBB3_63
.LBB3_46:
	s_or_b64 exec, exec, s[0:1]
	v_cmp_gt_i32_e32 vcc, s14, v0
	s_and_saveexec_b64 s[0:1], vcc
	s_cbranch_execnz .LBB3_64
.LBB3_47:
	s_or_b64 exec, exec, s[0:1]
	v_cmp_gt_i32_e32 vcc, s14, v0
	s_and_saveexec_b64 s[0:1], vcc
	s_cbranch_execnz .LBB3_65
.LBB3_48:
	s_or_b64 exec, exec, s[0:1]
	v_cmp_gt_i32_e32 vcc, s14, v0
	s_and_saveexec_b64 s[0:1], vcc
	s_cbranch_execnz .LBB3_66
.LBB3_49:
	s_or_b64 exec, exec, s[0:1]
	v_cmp_gt_i32_e32 vcc, s14, v0
	s_and_saveexec_b64 s[0:1], vcc
	s_cbranch_execnz .LBB3_67
.LBB3_50:
	s_or_b64 exec, exec, s[0:1]
	v_cmp_gt_i32_e32 vcc, s14, v0
	s_and_saveexec_b64 s[0:1], vcc
	s_cbranch_execnz .LBB3_68
.LBB3_51:
	s_or_b64 exec, exec, s[0:1]
	v_cmp_gt_i32_e32 vcc, s14, v0
	s_and_saveexec_b64 s[0:1], vcc
	s_cbranch_execnz .LBB3_69
.LBB3_52:
	s_or_b64 exec, exec, s[0:1]
	v_cmp_gt_i32_e32 vcc, s14, v0
	s_and_saveexec_b64 s[0:1], vcc
	s_cbranch_execz .LBB3_54
.LBB3_53:
	v_lshrrev_b32_e32 v1, 24, v1
	v_add_u32_e32 v0, s33, v0
	global_store_byte v0, v1, s[16:17]
.LBB3_54:
	s_endpgm
.LBB3_55:
	v_mov_b32_e32 v0, v5
	global_store_byte v6, v4, s[16:17]
	s_or_b64 exec, exec, s[0:1]
	v_cmp_gt_i32_e32 vcc, s14, v0
	s_and_saveexec_b64 s[0:1], vcc
	s_cbranch_execz .LBB3_39
.LBB3_56:
	v_lshrrev_b32_e32 v5, 8, v4
	v_add_u32_e32 v6, s33, v0
	v_add_u32_e32 v0, 0x100, v0
	global_store_byte v6, v5, s[16:17]
	s_or_b64 exec, exec, s[0:1]
	v_cmp_gt_i32_e32 vcc, s14, v0
	s_and_saveexec_b64 s[0:1], vcc
	s_cbranch_execz .LBB3_40
.LBB3_57:
	v_add_u32_e32 v5, s33, v0
	v_add_u32_e32 v0, 0x100, v0
	global_store_byte_d16_hi v5, v4, s[16:17]
	s_or_b64 exec, exec, s[0:1]
	v_cmp_gt_i32_e32 vcc, s14, v0
	s_and_saveexec_b64 s[0:1], vcc
	s_cbranch_execz .LBB3_41
.LBB3_58:
	v_lshrrev_b32_e32 v4, 24, v4
	v_add_u32_e32 v5, s33, v0
	v_add_u32_e32 v0, 0x100, v0
	global_store_byte v5, v4, s[16:17]
	s_or_b64 exec, exec, s[0:1]
	v_cmp_gt_i32_e32 vcc, s14, v0
	s_and_saveexec_b64 s[0:1], vcc
	s_cbranch_execz .LBB3_42
.LBB3_59:
	v_add_u32_e32 v4, s33, v0
	v_add_u32_e32 v0, 0x100, v0
	global_store_byte v4, v3, s[16:17]
	s_or_b64 exec, exec, s[0:1]
	v_cmp_gt_i32_e32 vcc, s14, v0
	s_and_saveexec_b64 s[0:1], vcc
	s_cbranch_execz .LBB3_43
.LBB3_60:
	v_lshrrev_b32_e32 v4, 8, v3
	v_add_u32_e32 v5, s33, v0
	v_add_u32_e32 v0, 0x100, v0
	global_store_byte v5, v4, s[16:17]
	s_or_b64 exec, exec, s[0:1]
	v_cmp_gt_i32_e32 vcc, s14, v0
	s_and_saveexec_b64 s[0:1], vcc
	s_cbranch_execz .LBB3_44
.LBB3_61:
	v_add_u32_e32 v4, s33, v0
	v_add_u32_e32 v0, 0x100, v0
	global_store_byte_d16_hi v4, v3, s[16:17]
	s_or_b64 exec, exec, s[0:1]
	v_cmp_gt_i32_e32 vcc, s14, v0
	s_and_saveexec_b64 s[0:1], vcc
	s_cbranch_execz .LBB3_45
.LBB3_62:
	v_lshrrev_b32_e32 v3, 24, v3
	v_add_u32_e32 v4, s33, v0
	v_add_u32_e32 v0, 0x100, v0
	global_store_byte v4, v3, s[16:17]
	s_or_b64 exec, exec, s[0:1]
	v_cmp_gt_i32_e32 vcc, s14, v0
	s_and_saveexec_b64 s[0:1], vcc
	s_cbranch_execz .LBB3_46
.LBB3_63:
	v_add_u32_e32 v3, s33, v0
	v_add_u32_e32 v0, 0x100, v0
	global_store_byte v3, v2, s[16:17]
	s_or_b64 exec, exec, s[0:1]
	v_cmp_gt_i32_e32 vcc, s14, v0
	s_and_saveexec_b64 s[0:1], vcc
	s_cbranch_execz .LBB3_47
.LBB3_64:
	v_lshrrev_b32_e32 v3, 8, v2
	v_add_u32_e32 v4, s33, v0
	v_add_u32_e32 v0, 0x100, v0
	global_store_byte v4, v3, s[16:17]
	s_or_b64 exec, exec, s[0:1]
	v_cmp_gt_i32_e32 vcc, s14, v0
	s_and_saveexec_b64 s[0:1], vcc
	s_cbranch_execz .LBB3_48
.LBB3_65:
	v_add_u32_e32 v3, s33, v0
	v_add_u32_e32 v0, 0x100, v0
	global_store_byte_d16_hi v3, v2, s[16:17]
	s_or_b64 exec, exec, s[0:1]
	v_cmp_gt_i32_e32 vcc, s14, v0
	s_and_saveexec_b64 s[0:1], vcc
	s_cbranch_execz .LBB3_49
.LBB3_66:
	v_lshrrev_b32_e32 v2, 24, v2
	v_add_u32_e32 v3, s33, v0
	v_add_u32_e32 v0, 0x100, v0
	global_store_byte v3, v2, s[16:17]
	s_or_b64 exec, exec, s[0:1]
	v_cmp_gt_i32_e32 vcc, s14, v0
	s_and_saveexec_b64 s[0:1], vcc
	s_cbranch_execz .LBB3_50
.LBB3_67:
	v_add_u32_e32 v2, s33, v0
	v_add_u32_e32 v0, 0x100, v0
	global_store_byte v2, v1, s[16:17]
	s_or_b64 exec, exec, s[0:1]
	v_cmp_gt_i32_e32 vcc, s14, v0
	s_and_saveexec_b64 s[0:1], vcc
	s_cbranch_execz .LBB3_51
.LBB3_68:
	v_lshrrev_b32_e32 v2, 8, v1
	v_add_u32_e32 v3, s33, v0
	v_add_u32_e32 v0, 0x100, v0
	global_store_byte v3, v2, s[16:17]
	s_or_b64 exec, exec, s[0:1]
	v_cmp_gt_i32_e32 vcc, s14, v0
	s_and_saveexec_b64 s[0:1], vcc
	s_cbranch_execz .LBB3_52
.LBB3_69:
	v_add_u32_e32 v2, s33, v0
	v_add_u32_e32 v0, 0x100, v0
	global_store_byte_d16_hi v2, v1, s[16:17]
	s_or_b64 exec, exec, s[0:1]
	v_cmp_gt_i32_e32 vcc, s14, v0
	s_and_saveexec_b64 s[0:1], vcc
	s_cbranch_execnz .LBB3_53
	s_branch .LBB3_54
	.section	.rodata,"a",@progbits
	.p2align	6, 0x0
	.amdhsa_kernel _ZN2at6native29vectorized_elementwise_kernelILi2ENS0_13BinaryFunctorIhhbNS0_12_GLOBAL__N_116CompareEqFunctorIhEEEESt5arrayIPcLm3EEEEviT0_T1_
		.amdhsa_group_segment_fixed_size 0
		.amdhsa_private_segment_fixed_size 0
		.amdhsa_kernarg_size 32
		.amdhsa_user_sgpr_count 6
		.amdhsa_user_sgpr_private_segment_buffer 1
		.amdhsa_user_sgpr_dispatch_ptr 0
		.amdhsa_user_sgpr_queue_ptr 0
		.amdhsa_user_sgpr_kernarg_segment_ptr 1
		.amdhsa_user_sgpr_dispatch_id 0
		.amdhsa_user_sgpr_flat_scratch_init 0
		.amdhsa_user_sgpr_private_segment_size 0
		.amdhsa_uses_dynamic_stack 0
		.amdhsa_system_sgpr_private_segment_wavefront_offset 0
		.amdhsa_system_sgpr_workgroup_id_x 1
		.amdhsa_system_sgpr_workgroup_id_y 0
		.amdhsa_system_sgpr_workgroup_id_z 0
		.amdhsa_system_sgpr_workgroup_info 0
		.amdhsa_system_vgpr_workitem_id 0
		.amdhsa_next_free_vgpr 39
		.amdhsa_next_free_sgpr 42
		.amdhsa_reserve_vcc 1
		.amdhsa_reserve_flat_scratch 0
		.amdhsa_float_round_mode_32 0
		.amdhsa_float_round_mode_16_64 0
		.amdhsa_float_denorm_mode_32 3
		.amdhsa_float_denorm_mode_16_64 3
		.amdhsa_dx10_clamp 1
		.amdhsa_ieee_mode 1
		.amdhsa_fp16_overflow 0
		.amdhsa_exception_fp_ieee_invalid_op 0
		.amdhsa_exception_fp_denorm_src 0
		.amdhsa_exception_fp_ieee_div_zero 0
		.amdhsa_exception_fp_ieee_overflow 0
		.amdhsa_exception_fp_ieee_underflow 0
		.amdhsa_exception_fp_ieee_inexact 0
		.amdhsa_exception_int_div_zero 0
	.end_amdhsa_kernel
	.section	.text._ZN2at6native29vectorized_elementwise_kernelILi2ENS0_13BinaryFunctorIhhbNS0_12_GLOBAL__N_116CompareEqFunctorIhEEEESt5arrayIPcLm3EEEEviT0_T1_,"axG",@progbits,_ZN2at6native29vectorized_elementwise_kernelILi2ENS0_13BinaryFunctorIhhbNS0_12_GLOBAL__N_116CompareEqFunctorIhEEEESt5arrayIPcLm3EEEEviT0_T1_,comdat
.Lfunc_end3:
	.size	_ZN2at6native29vectorized_elementwise_kernelILi2ENS0_13BinaryFunctorIhhbNS0_12_GLOBAL__N_116CompareEqFunctorIhEEEESt5arrayIPcLm3EEEEviT0_T1_, .Lfunc_end3-_ZN2at6native29vectorized_elementwise_kernelILi2ENS0_13BinaryFunctorIhhbNS0_12_GLOBAL__N_116CompareEqFunctorIhEEEESt5arrayIPcLm3EEEEviT0_T1_
                                        ; -- End function
	.set _ZN2at6native29vectorized_elementwise_kernelILi2ENS0_13BinaryFunctorIhhbNS0_12_GLOBAL__N_116CompareEqFunctorIhEEEESt5arrayIPcLm3EEEEviT0_T1_.num_vgpr, 39
	.set _ZN2at6native29vectorized_elementwise_kernelILi2ENS0_13BinaryFunctorIhhbNS0_12_GLOBAL__N_116CompareEqFunctorIhEEEESt5arrayIPcLm3EEEEviT0_T1_.num_agpr, 0
	.set _ZN2at6native29vectorized_elementwise_kernelILi2ENS0_13BinaryFunctorIhhbNS0_12_GLOBAL__N_116CompareEqFunctorIhEEEESt5arrayIPcLm3EEEEviT0_T1_.numbered_sgpr, 42
	.set _ZN2at6native29vectorized_elementwise_kernelILi2ENS0_13BinaryFunctorIhhbNS0_12_GLOBAL__N_116CompareEqFunctorIhEEEESt5arrayIPcLm3EEEEviT0_T1_.num_named_barrier, 0
	.set _ZN2at6native29vectorized_elementwise_kernelILi2ENS0_13BinaryFunctorIhhbNS0_12_GLOBAL__N_116CompareEqFunctorIhEEEESt5arrayIPcLm3EEEEviT0_T1_.private_seg_size, 0
	.set _ZN2at6native29vectorized_elementwise_kernelILi2ENS0_13BinaryFunctorIhhbNS0_12_GLOBAL__N_116CompareEqFunctorIhEEEESt5arrayIPcLm3EEEEviT0_T1_.uses_vcc, 1
	.set _ZN2at6native29vectorized_elementwise_kernelILi2ENS0_13BinaryFunctorIhhbNS0_12_GLOBAL__N_116CompareEqFunctorIhEEEESt5arrayIPcLm3EEEEviT0_T1_.uses_flat_scratch, 0
	.set _ZN2at6native29vectorized_elementwise_kernelILi2ENS0_13BinaryFunctorIhhbNS0_12_GLOBAL__N_116CompareEqFunctorIhEEEESt5arrayIPcLm3EEEEviT0_T1_.has_dyn_sized_stack, 0
	.set _ZN2at6native29vectorized_elementwise_kernelILi2ENS0_13BinaryFunctorIhhbNS0_12_GLOBAL__N_116CompareEqFunctorIhEEEESt5arrayIPcLm3EEEEviT0_T1_.has_recursion, 0
	.set _ZN2at6native29vectorized_elementwise_kernelILi2ENS0_13BinaryFunctorIhhbNS0_12_GLOBAL__N_116CompareEqFunctorIhEEEESt5arrayIPcLm3EEEEviT0_T1_.has_indirect_call, 0
	.section	.AMDGPU.csdata,"",@progbits
; Kernel info:
; codeLenInByte = 4400
; TotalNumSgprs: 46
; NumVgprs: 39
; ScratchSize: 0
; MemoryBound: 0
; FloatMode: 240
; IeeeMode: 1
; LDSByteSize: 0 bytes/workgroup (compile time only)
; SGPRBlocks: 5
; VGPRBlocks: 9
; NumSGPRsForWavesPerEU: 46
; NumVGPRsForWavesPerEU: 39
; Occupancy: 6
; WaveLimiterHint : 1
; COMPUTE_PGM_RSRC2:SCRATCH_EN: 0
; COMPUTE_PGM_RSRC2:USER_SGPR: 6
; COMPUTE_PGM_RSRC2:TRAP_HANDLER: 0
; COMPUTE_PGM_RSRC2:TGID_X_EN: 1
; COMPUTE_PGM_RSRC2:TGID_Y_EN: 0
; COMPUTE_PGM_RSRC2:TGID_Z_EN: 0
; COMPUTE_PGM_RSRC2:TIDIG_COMP_CNT: 0
	.section	.text._ZN2at6native27unrolled_elementwise_kernelINS0_13BinaryFunctorIhhbNS0_12_GLOBAL__N_116CompareEqFunctorIhEEEESt5arrayIPcLm3EELi4E23TrivialOffsetCalculatorILi2EjESA_ILi1EjENS0_6memory15LoadWithoutCastENSD_16StoreWithoutCastEEEviT_T0_T2_T3_T4_T5_,"axG",@progbits,_ZN2at6native27unrolled_elementwise_kernelINS0_13BinaryFunctorIhhbNS0_12_GLOBAL__N_116CompareEqFunctorIhEEEESt5arrayIPcLm3EELi4E23TrivialOffsetCalculatorILi2EjESA_ILi1EjENS0_6memory15LoadWithoutCastENSD_16StoreWithoutCastEEEviT_T0_T2_T3_T4_T5_,comdat
	.globl	_ZN2at6native27unrolled_elementwise_kernelINS0_13BinaryFunctorIhhbNS0_12_GLOBAL__N_116CompareEqFunctorIhEEEESt5arrayIPcLm3EELi4E23TrivialOffsetCalculatorILi2EjESA_ILi1EjENS0_6memory15LoadWithoutCastENSD_16StoreWithoutCastEEEviT_T0_T2_T3_T4_T5_ ; -- Begin function _ZN2at6native27unrolled_elementwise_kernelINS0_13BinaryFunctorIhhbNS0_12_GLOBAL__N_116CompareEqFunctorIhEEEESt5arrayIPcLm3EELi4E23TrivialOffsetCalculatorILi2EjESA_ILi1EjENS0_6memory15LoadWithoutCastENSD_16StoreWithoutCastEEEviT_T0_T2_T3_T4_T5_
	.p2align	8
	.type	_ZN2at6native27unrolled_elementwise_kernelINS0_13BinaryFunctorIhhbNS0_12_GLOBAL__N_116CompareEqFunctorIhEEEESt5arrayIPcLm3EELi4E23TrivialOffsetCalculatorILi2EjESA_ILi1EjENS0_6memory15LoadWithoutCastENSD_16StoreWithoutCastEEEviT_T0_T2_T3_T4_T5_,@function
_ZN2at6native27unrolled_elementwise_kernelINS0_13BinaryFunctorIhhbNS0_12_GLOBAL__N_116CompareEqFunctorIhEEEESt5arrayIPcLm3EELi4E23TrivialOffsetCalculatorILi2EjESA_ILi1EjENS0_6memory15LoadWithoutCastENSD_16StoreWithoutCastEEEviT_T0_T2_T3_T4_T5_: ; @_ZN2at6native27unrolled_elementwise_kernelINS0_13BinaryFunctorIhhbNS0_12_GLOBAL__N_116CompareEqFunctorIhEEEESt5arrayIPcLm3EELi4E23TrivialOffsetCalculatorILi2EjESA_ILi1EjENS0_6memory15LoadWithoutCastENSD_16StoreWithoutCastEEEviT_T0_T2_T3_T4_T5_
; %bb.0:
	s_load_dwordx2 s[2:3], s[4:5], 0x0
	s_load_dwordx4 s[8:11], s[4:5], 0x8
	s_load_dwordx2 s[12:13], s[4:5], 0x18
	s_lshl_b32 s20, s6, 10
                                        ; implicit-def: $vgpr1
	s_waitcnt lgkmcnt(0)
	s_sub_i32 s2, s2, s20
	v_cmp_gt_i32_e32 vcc, s2, v0
	v_cmp_le_i32_e64 s[0:1], s2, v0
	s_and_saveexec_b64 s[4:5], s[0:1]
	s_xor_b64 s[0:1], exec, s[4:5]
; %bb.1:
	v_or_b32_e32 v1, 0x100, v0
; %bb.2:
	s_or_saveexec_b64 s[4:5], s[0:1]
	v_mov_b32_e32 v3, 0
	s_mov_b64 s[6:7], 0
	v_or_b32_e32 v2, s20, v0
	v_mov_b32_e32 v5, 0
	v_mov_b32_e32 v7, 0
	;; [unrolled: 1-line block ×5, first 2 shown]
	s_xor_b64 exec, exec, s[4:5]
	s_cbranch_execz .LBB4_10
; %bb.3:
	global_load_ubyte v4, v2, s[10:11]
	global_load_ubyte v8, v2, s[12:13]
	v_or_b32_e32 v1, 0x100, v0
	v_cmp_gt_u32_e64 s[0:1], s2, v1
	s_mov_b64 s[14:15], 0
	v_mov_b32_e32 v6, 0
	v_mov_b32_e32 v7, 0
	;; [unrolled: 1-line block ×4, first 2 shown]
	s_and_saveexec_b64 s[6:7], s[0:1]
	s_cbranch_execz .LBB4_9
; %bb.4:
	v_add_u32_e32 v3, s20, v1
	global_load_ubyte v7, v3, s[10:11]
	global_load_ubyte v6, v3, s[12:13]
	v_or_b32_e32 v9, 0x200, v0
	v_cmp_gt_u32_e64 s[0:1], s2, v9
	s_mov_b64 s[16:17], 0
	v_mov_b32_e32 v5, 0
	v_mov_b32_e32 v3, 0
	s_and_saveexec_b64 s[14:15], s[0:1]
	s_cbranch_execz .LBB4_8
; %bb.5:
	v_add_u32_e32 v9, s20, v9
	global_load_ubyte v3, v9, s[10:11]
	global_load_ubyte v5, v9, s[12:13]
	v_or_b32_e32 v9, 0x300, v0
	v_cmp_gt_u32_e64 s[0:1], s2, v9
	s_mov_b64 s[18:19], 0
	s_and_saveexec_b64 s[16:17], s[0:1]
	s_cbranch_execz .LBB4_7
; %bb.6:
	v_add_u32_e32 v9, s20, v9
	global_load_ubyte v10, v9, s[10:11]
	global_load_ubyte v11, v9, s[12:13]
	s_waitcnt vmcnt(0)
	v_cmp_ne_u16_e64 s[0:1], v10, v11
	s_and_b64 s[18:19], s[0:1], exec
.LBB4_7:
	s_or_b64 exec, exec, s[16:17]
	s_and_b64 s[16:17], s[18:19], exec
.LBB4_8:
	s_or_b64 exec, exec, s[14:15]
	s_and_b64 s[14:15], s[16:17], exec
.LBB4_9:
	s_or_b64 exec, exec, s[6:7]
	s_and_b64 s[6:7], s[14:15], exec
.LBB4_10:
	s_or_b64 exec, exec, s[4:5]
	s_cmp_eq_u32 s3, 0
	s_cselect_b64 s[4:5], -1, 0
	s_waitcnt vmcnt(0)
	v_cmp_ne_u16_sdwa s[0:1], v4, v8 src0_sel:BYTE_0 src1_sel:BYTE_0
	s_xor_b64 s[0:1], s[4:5], s[0:1]
	v_cndmask_b32_e64 v4, 0, 1, s[0:1]
	v_cmp_ne_u16_sdwa s[0:1], v7, v6 src0_sel:BYTE_0 src1_sel:BYTE_0
	s_xor_b64 s[0:1], s[4:5], s[0:1]
	v_cndmask_b32_e64 v6, 0, 1, s[0:1]
	v_cndmask_b32_e32 v4, 0, v4, vcc
	v_lshlrev_b16_e32 v6, 8, v6
	v_or_b32_e32 v6, v4, v6
	v_and_b32_e32 v6, 0xffff, v6
	v_cmp_gt_i32_e64 s[0:1], s2, v1
	v_cndmask_b32_e64 v4, v4, v6, s[0:1]
	v_cmp_ne_u16_sdwa s[0:1], v3, v5 src0_sel:BYTE_0 src1_sel:BYTE_0
	s_xor_b64 s[0:1], s[4:5], s[0:1]
	v_cndmask_b32_e64 v3, 0, 1, s[0:1]
	v_or_b32_e32 v6, 0x200, v0
	v_lshlrev_b32_e32 v3, 16, v3
	v_or_b32_e32 v3, v4, v3
	v_cmp_gt_i32_e64 s[0:1], s2, v6
	v_cndmask_b32_e64 v3, v4, v3, s[0:1]
	s_xor_b64 s[0:1], s[4:5], s[6:7]
	s_movk_i32 s3, 0xff
	v_cndmask_b32_e64 v6, 0, 1, s[0:1]
	v_and_b32_sdwa v4, v3, s3 dst_sel:DWORD dst_unused:UNUSED_PAD src0_sel:WORD_1 src1_sel:DWORD
	v_lshlrev_b16_e32 v6, 8, v6
	s_mov_b32 s10, 0xffff
	v_or_b32_e32 v5, 0x300, v0
	v_or_b32_sdwa v4, v4, v6 dst_sel:WORD_1 dst_unused:UNUSED_PAD src0_sel:DWORD src1_sel:DWORD
	v_and_or_b32 v4, v3, s10, v4
	v_cmp_gt_i32_e64 s[0:1], s2, v5
	v_cndmask_b32_e64 v3, v3, v4, s[0:1]
	s_and_saveexec_b64 s[0:1], vcc
	s_cbranch_execnz .LBB4_15
; %bb.11:
	s_or_b64 exec, exec, s[0:1]
	v_cmp_gt_i32_e32 vcc, s2, v0
	s_and_saveexec_b64 s[0:1], vcc
	s_cbranch_execnz .LBB4_16
.LBB4_12:
	s_or_b64 exec, exec, s[0:1]
	v_cmp_gt_i32_e32 vcc, s2, v0
	s_and_saveexec_b64 s[0:1], vcc
	s_cbranch_execnz .LBB4_17
.LBB4_13:
	s_or_b64 exec, exec, s[0:1]
	v_cmp_gt_i32_e32 vcc, s2, v0
	s_and_saveexec_b64 s[0:1], vcc
	s_cbranch_execnz .LBB4_18
.LBB4_14:
	s_endpgm
.LBB4_15:
	v_mov_b32_e32 v0, v1
	global_store_byte v2, v3, s[8:9]
	s_or_b64 exec, exec, s[0:1]
	v_cmp_gt_i32_e32 vcc, s2, v0
	s_and_saveexec_b64 s[0:1], vcc
	s_cbranch_execz .LBB4_12
.LBB4_16:
	v_add_u32_e32 v1, 0x100, v0
	v_add_u32_e32 v0, s20, v0
	v_lshrrev_b32_e32 v2, 8, v3
	global_store_byte v0, v2, s[8:9]
	v_mov_b32_e32 v0, v1
	s_or_b64 exec, exec, s[0:1]
	v_cmp_gt_i32_e32 vcc, s2, v0
	s_and_saveexec_b64 s[0:1], vcc
	s_cbranch_execz .LBB4_13
.LBB4_17:
	v_add_u32_e32 v1, 0x100, v0
	v_add_u32_e32 v0, s20, v0
	global_store_byte_d16_hi v0, v3, s[8:9]
	v_mov_b32_e32 v0, v1
	s_or_b64 exec, exec, s[0:1]
	v_cmp_gt_i32_e32 vcc, s2, v0
	s_and_saveexec_b64 s[0:1], vcc
	s_cbranch_execz .LBB4_14
.LBB4_18:
	v_add_u32_e32 v0, s20, v0
	v_lshrrev_b32_e32 v1, 24, v3
	global_store_byte v0, v1, s[8:9]
	s_endpgm
	.section	.rodata,"a",@progbits
	.p2align	6, 0x0
	.amdhsa_kernel _ZN2at6native27unrolled_elementwise_kernelINS0_13BinaryFunctorIhhbNS0_12_GLOBAL__N_116CompareEqFunctorIhEEEESt5arrayIPcLm3EELi4E23TrivialOffsetCalculatorILi2EjESA_ILi1EjENS0_6memory15LoadWithoutCastENSD_16StoreWithoutCastEEEviT_T0_T2_T3_T4_T5_
		.amdhsa_group_segment_fixed_size 0
		.amdhsa_private_segment_fixed_size 0
		.amdhsa_kernarg_size 36
		.amdhsa_user_sgpr_count 6
		.amdhsa_user_sgpr_private_segment_buffer 1
		.amdhsa_user_sgpr_dispatch_ptr 0
		.amdhsa_user_sgpr_queue_ptr 0
		.amdhsa_user_sgpr_kernarg_segment_ptr 1
		.amdhsa_user_sgpr_dispatch_id 0
		.amdhsa_user_sgpr_flat_scratch_init 0
		.amdhsa_user_sgpr_private_segment_size 0
		.amdhsa_uses_dynamic_stack 0
		.amdhsa_system_sgpr_private_segment_wavefront_offset 0
		.amdhsa_system_sgpr_workgroup_id_x 1
		.amdhsa_system_sgpr_workgroup_id_y 0
		.amdhsa_system_sgpr_workgroup_id_z 0
		.amdhsa_system_sgpr_workgroup_info 0
		.amdhsa_system_vgpr_workitem_id 0
		.amdhsa_next_free_vgpr 12
		.amdhsa_next_free_sgpr 21
		.amdhsa_reserve_vcc 1
		.amdhsa_reserve_flat_scratch 0
		.amdhsa_float_round_mode_32 0
		.amdhsa_float_round_mode_16_64 0
		.amdhsa_float_denorm_mode_32 3
		.amdhsa_float_denorm_mode_16_64 3
		.amdhsa_dx10_clamp 1
		.amdhsa_ieee_mode 1
		.amdhsa_fp16_overflow 0
		.amdhsa_exception_fp_ieee_invalid_op 0
		.amdhsa_exception_fp_denorm_src 0
		.amdhsa_exception_fp_ieee_div_zero 0
		.amdhsa_exception_fp_ieee_overflow 0
		.amdhsa_exception_fp_ieee_underflow 0
		.amdhsa_exception_fp_ieee_inexact 0
		.amdhsa_exception_int_div_zero 0
	.end_amdhsa_kernel
	.section	.text._ZN2at6native27unrolled_elementwise_kernelINS0_13BinaryFunctorIhhbNS0_12_GLOBAL__N_116CompareEqFunctorIhEEEESt5arrayIPcLm3EELi4E23TrivialOffsetCalculatorILi2EjESA_ILi1EjENS0_6memory15LoadWithoutCastENSD_16StoreWithoutCastEEEviT_T0_T2_T3_T4_T5_,"axG",@progbits,_ZN2at6native27unrolled_elementwise_kernelINS0_13BinaryFunctorIhhbNS0_12_GLOBAL__N_116CompareEqFunctorIhEEEESt5arrayIPcLm3EELi4E23TrivialOffsetCalculatorILi2EjESA_ILi1EjENS0_6memory15LoadWithoutCastENSD_16StoreWithoutCastEEEviT_T0_T2_T3_T4_T5_,comdat
.Lfunc_end4:
	.size	_ZN2at6native27unrolled_elementwise_kernelINS0_13BinaryFunctorIhhbNS0_12_GLOBAL__N_116CompareEqFunctorIhEEEESt5arrayIPcLm3EELi4E23TrivialOffsetCalculatorILi2EjESA_ILi1EjENS0_6memory15LoadWithoutCastENSD_16StoreWithoutCastEEEviT_T0_T2_T3_T4_T5_, .Lfunc_end4-_ZN2at6native27unrolled_elementwise_kernelINS0_13BinaryFunctorIhhbNS0_12_GLOBAL__N_116CompareEqFunctorIhEEEESt5arrayIPcLm3EELi4E23TrivialOffsetCalculatorILi2EjESA_ILi1EjENS0_6memory15LoadWithoutCastENSD_16StoreWithoutCastEEEviT_T0_T2_T3_T4_T5_
                                        ; -- End function
	.set _ZN2at6native27unrolled_elementwise_kernelINS0_13BinaryFunctorIhhbNS0_12_GLOBAL__N_116CompareEqFunctorIhEEEESt5arrayIPcLm3EELi4E23TrivialOffsetCalculatorILi2EjESA_ILi1EjENS0_6memory15LoadWithoutCastENSD_16StoreWithoutCastEEEviT_T0_T2_T3_T4_T5_.num_vgpr, 12
	.set _ZN2at6native27unrolled_elementwise_kernelINS0_13BinaryFunctorIhhbNS0_12_GLOBAL__N_116CompareEqFunctorIhEEEESt5arrayIPcLm3EELi4E23TrivialOffsetCalculatorILi2EjESA_ILi1EjENS0_6memory15LoadWithoutCastENSD_16StoreWithoutCastEEEviT_T0_T2_T3_T4_T5_.num_agpr, 0
	.set _ZN2at6native27unrolled_elementwise_kernelINS0_13BinaryFunctorIhhbNS0_12_GLOBAL__N_116CompareEqFunctorIhEEEESt5arrayIPcLm3EELi4E23TrivialOffsetCalculatorILi2EjESA_ILi1EjENS0_6memory15LoadWithoutCastENSD_16StoreWithoutCastEEEviT_T0_T2_T3_T4_T5_.numbered_sgpr, 21
	.set _ZN2at6native27unrolled_elementwise_kernelINS0_13BinaryFunctorIhhbNS0_12_GLOBAL__N_116CompareEqFunctorIhEEEESt5arrayIPcLm3EELi4E23TrivialOffsetCalculatorILi2EjESA_ILi1EjENS0_6memory15LoadWithoutCastENSD_16StoreWithoutCastEEEviT_T0_T2_T3_T4_T5_.num_named_barrier, 0
	.set _ZN2at6native27unrolled_elementwise_kernelINS0_13BinaryFunctorIhhbNS0_12_GLOBAL__N_116CompareEqFunctorIhEEEESt5arrayIPcLm3EELi4E23TrivialOffsetCalculatorILi2EjESA_ILi1EjENS0_6memory15LoadWithoutCastENSD_16StoreWithoutCastEEEviT_T0_T2_T3_T4_T5_.private_seg_size, 0
	.set _ZN2at6native27unrolled_elementwise_kernelINS0_13BinaryFunctorIhhbNS0_12_GLOBAL__N_116CompareEqFunctorIhEEEESt5arrayIPcLm3EELi4E23TrivialOffsetCalculatorILi2EjESA_ILi1EjENS0_6memory15LoadWithoutCastENSD_16StoreWithoutCastEEEviT_T0_T2_T3_T4_T5_.uses_vcc, 1
	.set _ZN2at6native27unrolled_elementwise_kernelINS0_13BinaryFunctorIhhbNS0_12_GLOBAL__N_116CompareEqFunctorIhEEEESt5arrayIPcLm3EELi4E23TrivialOffsetCalculatorILi2EjESA_ILi1EjENS0_6memory15LoadWithoutCastENSD_16StoreWithoutCastEEEviT_T0_T2_T3_T4_T5_.uses_flat_scratch, 0
	.set _ZN2at6native27unrolled_elementwise_kernelINS0_13BinaryFunctorIhhbNS0_12_GLOBAL__N_116CompareEqFunctorIhEEEESt5arrayIPcLm3EELi4E23TrivialOffsetCalculatorILi2EjESA_ILi1EjENS0_6memory15LoadWithoutCastENSD_16StoreWithoutCastEEEviT_T0_T2_T3_T4_T5_.has_dyn_sized_stack, 0
	.set _ZN2at6native27unrolled_elementwise_kernelINS0_13BinaryFunctorIhhbNS0_12_GLOBAL__N_116CompareEqFunctorIhEEEESt5arrayIPcLm3EELi4E23TrivialOffsetCalculatorILi2EjESA_ILi1EjENS0_6memory15LoadWithoutCastENSD_16StoreWithoutCastEEEviT_T0_T2_T3_T4_T5_.has_recursion, 0
	.set _ZN2at6native27unrolled_elementwise_kernelINS0_13BinaryFunctorIhhbNS0_12_GLOBAL__N_116CompareEqFunctorIhEEEESt5arrayIPcLm3EELi4E23TrivialOffsetCalculatorILi2EjESA_ILi1EjENS0_6memory15LoadWithoutCastENSD_16StoreWithoutCastEEEviT_T0_T2_T3_T4_T5_.has_indirect_call, 0
	.section	.AMDGPU.csdata,"",@progbits
; Kernel info:
; codeLenInByte = 744
; TotalNumSgprs: 25
; NumVgprs: 12
; ScratchSize: 0
; MemoryBound: 0
; FloatMode: 240
; IeeeMode: 1
; LDSByteSize: 0 bytes/workgroup (compile time only)
; SGPRBlocks: 3
; VGPRBlocks: 2
; NumSGPRsForWavesPerEU: 25
; NumVGPRsForWavesPerEU: 12
; Occupancy: 10
; WaveLimiterHint : 0
; COMPUTE_PGM_RSRC2:SCRATCH_EN: 0
; COMPUTE_PGM_RSRC2:USER_SGPR: 6
; COMPUTE_PGM_RSRC2:TRAP_HANDLER: 0
; COMPUTE_PGM_RSRC2:TGID_X_EN: 1
; COMPUTE_PGM_RSRC2:TGID_Y_EN: 0
; COMPUTE_PGM_RSRC2:TGID_Z_EN: 0
; COMPUTE_PGM_RSRC2:TIDIG_COMP_CNT: 0
	.section	.text._ZN2at6native32elementwise_kernel_manual_unrollILi128ELi8EZNS0_22gpu_kernel_impl_nocastINS0_13BinaryFunctorIhhbNS0_12_GLOBAL__N_116CompareEqFunctorIhEEEEEEvRNS_18TensorIteratorBaseERKT_EUlibE_EEviT1_,"axG",@progbits,_ZN2at6native32elementwise_kernel_manual_unrollILi128ELi8EZNS0_22gpu_kernel_impl_nocastINS0_13BinaryFunctorIhhbNS0_12_GLOBAL__N_116CompareEqFunctorIhEEEEEEvRNS_18TensorIteratorBaseERKT_EUlibE_EEviT1_,comdat
	.globl	_ZN2at6native32elementwise_kernel_manual_unrollILi128ELi8EZNS0_22gpu_kernel_impl_nocastINS0_13BinaryFunctorIhhbNS0_12_GLOBAL__N_116CompareEqFunctorIhEEEEEEvRNS_18TensorIteratorBaseERKT_EUlibE_EEviT1_ ; -- Begin function _ZN2at6native32elementwise_kernel_manual_unrollILi128ELi8EZNS0_22gpu_kernel_impl_nocastINS0_13BinaryFunctorIhhbNS0_12_GLOBAL__N_116CompareEqFunctorIhEEEEEEvRNS_18TensorIteratorBaseERKT_EUlibE_EEviT1_
	.p2align	8
	.type	_ZN2at6native32elementwise_kernel_manual_unrollILi128ELi8EZNS0_22gpu_kernel_impl_nocastINS0_13BinaryFunctorIhhbNS0_12_GLOBAL__N_116CompareEqFunctorIhEEEEEEvRNS_18TensorIteratorBaseERKT_EUlibE_EEviT1_,@function
_ZN2at6native32elementwise_kernel_manual_unrollILi128ELi8EZNS0_22gpu_kernel_impl_nocastINS0_13BinaryFunctorIhhbNS0_12_GLOBAL__N_116CompareEqFunctorIhEEEEEEvRNS_18TensorIteratorBaseERKT_EUlibE_EEviT1_: ; @_ZN2at6native32elementwise_kernel_manual_unrollILi128ELi8EZNS0_22gpu_kernel_impl_nocastINS0_13BinaryFunctorIhhbNS0_12_GLOBAL__N_116CompareEqFunctorIhEEEEEEvRNS_18TensorIteratorBaseERKT_EUlibE_EEviT1_
; %bb.0:
	s_load_dword s38, s[4:5], 0x0
	s_load_dword s33, s[4:5], 0x8
	s_add_u32 s12, s4, 8
	s_addc_u32 s13, s5, 0
	v_lshl_or_b32 v31, s6, 10, v0
	v_or_b32_e32 v41, 0x380, v31
	s_waitcnt lgkmcnt(0)
	s_add_i32 s36, s33, -1
	s_cmp_gt_u32 s36, 1
	v_cmp_le_i32_e32 vcc, s38, v41
	s_cselect_b64 s[14:15], -1, 0
	s_and_saveexec_b64 s[0:1], vcc
	s_xor_b64 s[16:17], exec, s[0:1]
	s_cbranch_execz .LBB5_106
; %bb.1:
	s_load_dwordx4 s[8:11], s[12:13], 0x4
	s_load_dwordx2 s[24:25], s[12:13], 0x14
	s_load_dwordx4 s[4:7], s[12:13], 0xc4
	s_load_dwordx2 s[22:23], s[12:13], 0xd4
	s_load_dword s20, s[12:13], 0x1a0
	s_cmp_lg_u32 s33, 0
	s_load_dwordx2 s[18:19], s[12:13], 0x198
	s_load_dwordx4 s[0:3], s[12:13], 0x188
	s_cselect_b64 s[28:29], -1, 0
	s_min_u32 s37, s36, 15
	s_cmp_gt_u32 s33, 1
	s_cselect_b64 s[26:27], -1, 0
	s_waitcnt lgkmcnt(0)
	s_cmp_eq_u32 s20, 0
	s_cselect_b64 s[20:21], -1, 0
	v_cmp_gt_i32_e32 vcc, s38, v31
	s_and_saveexec_b64 s[30:31], vcc
	s_cbranch_execnz .LBB5_9
; %bb.2:
	s_or_b64 exec, exec, s[30:31]
	v_cmp_gt_i32_e32 vcc, s38, v31
	s_and_saveexec_b64 s[30:31], vcc
	s_cbranch_execnz .LBB5_21
.LBB5_3:
	s_or_b64 exec, exec, s[30:31]
	v_cmp_gt_i32_e32 vcc, s38, v31
	s_and_saveexec_b64 s[30:31], vcc
	s_cbranch_execnz .LBB5_33
.LBB5_4:
	s_or_b64 exec, exec, s[30:31]
	v_cmp_gt_i32_e32 vcc, s38, v31
	s_and_saveexec_b64 s[30:31], vcc
	s_cbranch_execnz .LBB5_45
.LBB5_5:
	s_or_b64 exec, exec, s[30:31]
	v_cmp_gt_i32_e32 vcc, s38, v31
	s_and_saveexec_b64 s[30:31], vcc
	s_cbranch_execnz .LBB5_57
.LBB5_6:
	s_or_b64 exec, exec, s[30:31]
	v_cmp_gt_i32_e32 vcc, s38, v31
	s_and_saveexec_b64 s[30:31], vcc
	s_cbranch_execnz .LBB5_69
.LBB5_7:
	s_or_b64 exec, exec, s[30:31]
	v_cmp_gt_i32_e32 vcc, s38, v31
	s_and_saveexec_b64 s[30:31], vcc
	s_cbranch_execnz .LBB5_81
.LBB5_8:
	s_or_b64 exec, exec, s[30:31]
	v_cmp_gt_i32_e32 vcc, s38, v31
	s_and_saveexec_b64 s[30:31], vcc
	s_cbranch_execnz .LBB5_93
	s_branch .LBB5_105
.LBB5_9:
	s_andn2_b64 vcc, exec, s[14:15]
	s_cbranch_vccnz .LBB5_15
; %bb.10:
	s_andn2_b64 vcc, exec, s[28:29]
	s_cbranch_vccnz .LBB5_16
; %bb.11:
	s_add_i32 s34, s37, 1
	s_and_b32 s39, s34, 30
	s_add_u32 s34, s12, 0xffffffe8
	s_addc_u32 s35, s13, -1
	v_mov_b32_e32 v2, 0
	v_mov_b32_e32 v4, 0
	;; [unrolled: 1-line block ×4, first 2 shown]
.LBB5_12:                               ; =>This Inner Loop Header: Depth=1
	s_load_dwordx4 s[40:43], s[34:35], 0x1c
	s_load_dwordx2 s[48:49], s[34:35], 0x2c
	s_load_dwordx2 s[50:51], s[34:35], 0xec
	s_load_dwordx4 s[44:47], s[34:35], 0xdc
	s_add_u32 s34, s34, 24
	s_waitcnt lgkmcnt(0)
	v_mul_hi_u32 v3, s41, v1
	s_addc_u32 s35, s35, 0
	s_add_i32 s39, s39, -2
	s_cmp_lg_u32 s39, 0
	v_add_u32_e32 v3, v1, v3
	v_lshrrev_b32_e32 v3, s42, v3
	v_mul_lo_u32 v5, v3, s40
	v_mul_hi_u32 v6, s48, v3
	v_sub_u32_e32 v5, v1, v5
	v_add_u32_e32 v1, v3, v6
	v_lshrrev_b32_e32 v1, s49, v1
	v_mul_lo_u32 v8, v1, s43
	v_mul_lo_u32 v6, v5, s44
	;; [unrolled: 1-line block ×4, first 2 shown]
	v_sub_u32_e32 v3, v3, v8
	v_mul_lo_u32 v8, v3, s47
	v_mul_lo_u32 v9, v3, s50
	;; [unrolled: 1-line block ×3, first 2 shown]
	v_add3_u32 v0, v6, v0, v8
	v_add3_u32 v4, v7, v4, v9
	;; [unrolled: 1-line block ×3, first 2 shown]
	s_cbranch_scc1 .LBB5_12
; %bb.13:
	s_bitcmp1_b32 s37, 0
	s_cselect_b64 s[40:41], -1, 0
	s_and_b64 vcc, exec, s[40:41]
	s_cbranch_vccnz .LBB5_17
; %bb.14:
	s_load_dwordx2 s[40:41], s[34:35], 0x1c
	s_load_dword s39, s[34:35], 0x24
	s_load_dwordx2 s[42:43], s[34:35], 0xdc
	s_waitcnt lgkmcnt(0)
	v_mul_hi_u32 v3, s41, v1
	v_add_u32_e32 v3, v1, v3
	v_lshrrev_b32_e32 v3, s39, v3
	v_mul_lo_u32 v3, v3, s40
	s_load_dword s39, s[34:35], 0xe4
	v_sub_u32_e32 v3, v1, v3
	v_mad_u64_u32 v[0:1], s[34:35], v3, s42, v[0:1]
	v_mad_u64_u32 v[4:5], s[34:35], v3, s43, v[4:5]
	s_waitcnt lgkmcnt(0)
	v_mad_u64_u32 v[2:3], s[34:35], v3, s39, v[2:3]
	s_cbranch_execz .LBB5_18
	s_branch .LBB5_20
.LBB5_15:
                                        ; implicit-def: $vgpr0
                                        ; implicit-def: $vgpr4
                                        ; implicit-def: $vgpr2
	s_branch .LBB5_18
.LBB5_16:
	v_mov_b32_e32 v0, 0
	v_mov_b32_e32 v4, 0
	;; [unrolled: 1-line block ×3, first 2 shown]
.LBB5_17:
	s_cbranch_execnz .LBB5_20
.LBB5_18:
	v_mul_hi_u32 v0, s9, v31
	s_andn2_b64 vcc, exec, s[26:27]
	v_add_u32_e32 v0, v31, v0
	v_lshrrev_b32_e32 v1, s10, v0
	v_mul_lo_u32 v0, v1, s8
	v_sub_u32_e32 v2, v31, v0
	v_mul_lo_u32 v0, v2, s4
	v_mul_lo_u32 v4, v2, s5
	;; [unrolled: 1-line block ×3, first 2 shown]
	s_cbranch_vccnz .LBB5_20
; %bb.19:
	v_mul_hi_u32 v3, s24, v1
	v_add_u32_e32 v3, v1, v3
	v_lshrrev_b32_e32 v3, s25, v3
	v_mul_lo_u32 v3, v3, s11
	v_sub_u32_e32 v3, v1, v3
	v_mad_u64_u32 v[0:1], s[34:35], v3, s7, v[0:1]
	v_mad_u64_u32 v[4:5], s[34:35], v3, s22, v[4:5]
	;; [unrolled: 1-line block ×3, first 2 shown]
.LBB5_20:
	global_load_ubyte v1, v4, s[2:3]
	global_load_ubyte v3, v2, s[18:19]
	v_add_u32_e32 v31, 0x80, v31
	s_waitcnt vmcnt(0)
	v_cmp_ne_u16_e32 vcc, v1, v3
	s_xor_b64 s[34:35], s[20:21], vcc
	v_cndmask_b32_e64 v1, 0, 1, s[34:35]
	global_store_byte v0, v1, s[0:1]
	s_or_b64 exec, exec, s[30:31]
	v_cmp_gt_i32_e32 vcc, s38, v31
	s_and_saveexec_b64 s[30:31], vcc
	s_cbranch_execz .LBB5_3
.LBB5_21:
	s_andn2_b64 vcc, exec, s[14:15]
	s_cbranch_vccnz .LBB5_27
; %bb.22:
	s_andn2_b64 vcc, exec, s[28:29]
	s_cbranch_vccnz .LBB5_28
; %bb.23:
	s_add_i32 s34, s37, 1
	s_and_b32 s39, s34, 30
	s_add_u32 s34, s12, 0xffffffe8
	s_addc_u32 s35, s13, -1
	v_mov_b32_e32 v2, 0
	v_mov_b32_e32 v4, 0
	v_mov_b32_e32 v0, 0
	v_mov_b32_e32 v1, v31
.LBB5_24:                               ; =>This Inner Loop Header: Depth=1
	s_load_dwordx4 s[40:43], s[34:35], 0x1c
	s_load_dwordx2 s[48:49], s[34:35], 0x2c
	s_load_dwordx2 s[50:51], s[34:35], 0xec
	s_load_dwordx4 s[44:47], s[34:35], 0xdc
	s_add_u32 s34, s34, 24
	s_waitcnt lgkmcnt(0)
	v_mul_hi_u32 v3, s41, v1
	s_addc_u32 s35, s35, 0
	s_add_i32 s39, s39, -2
	s_cmp_eq_u32 s39, 0
	v_add_u32_e32 v3, v1, v3
	v_lshrrev_b32_e32 v3, s42, v3
	v_mul_lo_u32 v5, v3, s40
	v_mul_hi_u32 v6, s48, v3
	v_sub_u32_e32 v5, v1, v5
	v_add_u32_e32 v1, v3, v6
	v_lshrrev_b32_e32 v1, s49, v1
	v_mul_lo_u32 v8, v1, s43
	v_mul_lo_u32 v6, v5, s44
	v_mul_lo_u32 v7, v5, s45
	v_mul_lo_u32 v5, v5, s46
	v_sub_u32_e32 v3, v3, v8
	v_mul_lo_u32 v8, v3, s47
	v_mul_lo_u32 v9, v3, s50
	;; [unrolled: 1-line block ×3, first 2 shown]
	v_add3_u32 v0, v6, v0, v8
	v_add3_u32 v4, v7, v4, v9
	;; [unrolled: 1-line block ×3, first 2 shown]
	s_cbranch_scc0 .LBB5_24
; %bb.25:
	s_bitcmp1_b32 s37, 0
	s_cselect_b64 s[40:41], -1, 0
	s_and_b64 vcc, exec, s[40:41]
	s_cbranch_vccnz .LBB5_29
; %bb.26:
	s_load_dwordx2 s[40:41], s[34:35], 0x1c
	s_load_dword s39, s[34:35], 0x24
	s_load_dwordx2 s[42:43], s[34:35], 0xdc
	s_waitcnt lgkmcnt(0)
	v_mul_hi_u32 v3, s41, v1
	v_add_u32_e32 v3, v1, v3
	v_lshrrev_b32_e32 v3, s39, v3
	v_mul_lo_u32 v3, v3, s40
	s_load_dword s39, s[34:35], 0xe4
	v_sub_u32_e32 v3, v1, v3
	v_mad_u64_u32 v[0:1], s[34:35], v3, s42, v[0:1]
	v_mad_u64_u32 v[4:5], s[34:35], v3, s43, v[4:5]
	s_waitcnt lgkmcnt(0)
	v_mad_u64_u32 v[2:3], s[34:35], v3, s39, v[2:3]
	s_branch .LBB5_29
.LBB5_27:
                                        ; implicit-def: $vgpr0
                                        ; implicit-def: $vgpr4
                                        ; implicit-def: $vgpr2
	s_branch .LBB5_30
.LBB5_28:
	v_mov_b32_e32 v0, 0
	v_mov_b32_e32 v4, 0
	;; [unrolled: 1-line block ×3, first 2 shown]
.LBB5_29:
	s_cbranch_execnz .LBB5_32
.LBB5_30:
	v_mul_hi_u32 v0, s9, v31
	s_andn2_b64 vcc, exec, s[26:27]
	v_add_u32_e32 v0, v31, v0
	v_lshrrev_b32_e32 v1, s10, v0
	v_mul_lo_u32 v0, v1, s8
	v_sub_u32_e32 v2, v31, v0
	v_mul_lo_u32 v0, v2, s4
	v_mul_lo_u32 v4, v2, s5
	v_mul_lo_u32 v2, v2, s6
	s_cbranch_vccnz .LBB5_32
; %bb.31:
	v_mul_hi_u32 v3, s24, v1
	v_add_u32_e32 v3, v1, v3
	v_lshrrev_b32_e32 v3, s25, v3
	v_mul_lo_u32 v3, v3, s11
	v_sub_u32_e32 v3, v1, v3
	v_mad_u64_u32 v[0:1], s[34:35], v3, s7, v[0:1]
	v_mad_u64_u32 v[4:5], s[34:35], v3, s22, v[4:5]
	;; [unrolled: 1-line block ×3, first 2 shown]
.LBB5_32:
	global_load_ubyte v1, v4, s[2:3]
	global_load_ubyte v3, v2, s[18:19]
	v_add_u32_e32 v31, 0x80, v31
	s_waitcnt vmcnt(0)
	v_cmp_ne_u16_e32 vcc, v1, v3
	s_xor_b64 s[34:35], s[20:21], vcc
	v_cndmask_b32_e64 v1, 0, 1, s[34:35]
	global_store_byte v0, v1, s[0:1]
	s_or_b64 exec, exec, s[30:31]
	v_cmp_gt_i32_e32 vcc, s38, v31
	s_and_saveexec_b64 s[30:31], vcc
	s_cbranch_execz .LBB5_4
.LBB5_33:
	s_andn2_b64 vcc, exec, s[14:15]
	s_cbranch_vccnz .LBB5_39
; %bb.34:
	s_andn2_b64 vcc, exec, s[28:29]
	s_cbranch_vccnz .LBB5_40
; %bb.35:
	s_add_i32 s34, s37, 1
	s_and_b32 s39, s34, 30
	s_add_u32 s34, s12, 0xffffffe8
	s_addc_u32 s35, s13, -1
	v_mov_b32_e32 v2, 0
	v_mov_b32_e32 v4, 0
	;; [unrolled: 1-line block ×4, first 2 shown]
.LBB5_36:                               ; =>This Inner Loop Header: Depth=1
	s_load_dwordx4 s[40:43], s[34:35], 0x1c
	s_load_dwordx2 s[48:49], s[34:35], 0x2c
	s_load_dwordx2 s[50:51], s[34:35], 0xec
	s_load_dwordx4 s[44:47], s[34:35], 0xdc
	s_add_u32 s34, s34, 24
	s_waitcnt lgkmcnt(0)
	v_mul_hi_u32 v3, s41, v1
	s_addc_u32 s35, s35, 0
	s_add_i32 s39, s39, -2
	s_cmp_eq_u32 s39, 0
	v_add_u32_e32 v3, v1, v3
	v_lshrrev_b32_e32 v3, s42, v3
	v_mul_lo_u32 v5, v3, s40
	v_mul_hi_u32 v6, s48, v3
	v_sub_u32_e32 v5, v1, v5
	v_add_u32_e32 v1, v3, v6
	v_lshrrev_b32_e32 v1, s49, v1
	v_mul_lo_u32 v8, v1, s43
	v_mul_lo_u32 v6, v5, s44
	;; [unrolled: 1-line block ×4, first 2 shown]
	v_sub_u32_e32 v3, v3, v8
	v_mul_lo_u32 v8, v3, s47
	v_mul_lo_u32 v9, v3, s50
	;; [unrolled: 1-line block ×3, first 2 shown]
	v_add3_u32 v0, v6, v0, v8
	v_add3_u32 v4, v7, v4, v9
	;; [unrolled: 1-line block ×3, first 2 shown]
	s_cbranch_scc0 .LBB5_36
; %bb.37:
	s_bitcmp1_b32 s37, 0
	s_cselect_b64 s[40:41], -1, 0
	s_and_b64 vcc, exec, s[40:41]
	s_cbranch_vccnz .LBB5_41
; %bb.38:
	s_load_dwordx2 s[40:41], s[34:35], 0x1c
	s_load_dword s39, s[34:35], 0x24
	s_load_dwordx2 s[42:43], s[34:35], 0xdc
	s_waitcnt lgkmcnt(0)
	v_mul_hi_u32 v3, s41, v1
	v_add_u32_e32 v3, v1, v3
	v_lshrrev_b32_e32 v3, s39, v3
	v_mul_lo_u32 v3, v3, s40
	s_load_dword s39, s[34:35], 0xe4
	v_sub_u32_e32 v3, v1, v3
	v_mad_u64_u32 v[0:1], s[34:35], v3, s42, v[0:1]
	v_mad_u64_u32 v[4:5], s[34:35], v3, s43, v[4:5]
	s_waitcnt lgkmcnt(0)
	v_mad_u64_u32 v[2:3], s[34:35], v3, s39, v[2:3]
	s_branch .LBB5_41
.LBB5_39:
                                        ; implicit-def: $vgpr0
                                        ; implicit-def: $vgpr4
                                        ; implicit-def: $vgpr2
	s_branch .LBB5_42
.LBB5_40:
	v_mov_b32_e32 v0, 0
	v_mov_b32_e32 v4, 0
	;; [unrolled: 1-line block ×3, first 2 shown]
.LBB5_41:
	s_cbranch_execnz .LBB5_44
.LBB5_42:
	v_mul_hi_u32 v0, s9, v31
	s_andn2_b64 vcc, exec, s[26:27]
	v_add_u32_e32 v0, v31, v0
	v_lshrrev_b32_e32 v1, s10, v0
	v_mul_lo_u32 v0, v1, s8
	v_sub_u32_e32 v2, v31, v0
	v_mul_lo_u32 v0, v2, s4
	v_mul_lo_u32 v4, v2, s5
	;; [unrolled: 1-line block ×3, first 2 shown]
	s_cbranch_vccnz .LBB5_44
; %bb.43:
	v_mul_hi_u32 v3, s24, v1
	v_add_u32_e32 v3, v1, v3
	v_lshrrev_b32_e32 v3, s25, v3
	v_mul_lo_u32 v3, v3, s11
	v_sub_u32_e32 v3, v1, v3
	v_mad_u64_u32 v[0:1], s[34:35], v3, s7, v[0:1]
	v_mad_u64_u32 v[4:5], s[34:35], v3, s22, v[4:5]
	;; [unrolled: 1-line block ×3, first 2 shown]
.LBB5_44:
	global_load_ubyte v1, v4, s[2:3]
	global_load_ubyte v3, v2, s[18:19]
	v_add_u32_e32 v31, 0x80, v31
	s_waitcnt vmcnt(0)
	v_cmp_ne_u16_e32 vcc, v1, v3
	s_xor_b64 s[34:35], s[20:21], vcc
	v_cndmask_b32_e64 v1, 0, 1, s[34:35]
	global_store_byte v0, v1, s[0:1]
	s_or_b64 exec, exec, s[30:31]
	v_cmp_gt_i32_e32 vcc, s38, v31
	s_and_saveexec_b64 s[30:31], vcc
	s_cbranch_execz .LBB5_5
.LBB5_45:
	s_andn2_b64 vcc, exec, s[14:15]
	s_cbranch_vccnz .LBB5_51
; %bb.46:
	s_andn2_b64 vcc, exec, s[28:29]
	s_cbranch_vccnz .LBB5_52
; %bb.47:
	s_add_i32 s34, s37, 1
	s_and_b32 s39, s34, 30
	s_add_u32 s34, s12, 0xffffffe8
	s_addc_u32 s35, s13, -1
	v_mov_b32_e32 v2, 0
	v_mov_b32_e32 v4, 0
	;; [unrolled: 1-line block ×4, first 2 shown]
.LBB5_48:                               ; =>This Inner Loop Header: Depth=1
	s_load_dwordx4 s[40:43], s[34:35], 0x1c
	s_load_dwordx2 s[48:49], s[34:35], 0x2c
	s_load_dwordx2 s[50:51], s[34:35], 0xec
	s_load_dwordx4 s[44:47], s[34:35], 0xdc
	s_add_u32 s34, s34, 24
	s_waitcnt lgkmcnt(0)
	v_mul_hi_u32 v3, s41, v1
	s_addc_u32 s35, s35, 0
	s_add_i32 s39, s39, -2
	s_cmp_eq_u32 s39, 0
	v_add_u32_e32 v3, v1, v3
	v_lshrrev_b32_e32 v3, s42, v3
	v_mul_lo_u32 v5, v3, s40
	v_mul_hi_u32 v6, s48, v3
	v_sub_u32_e32 v5, v1, v5
	v_add_u32_e32 v1, v3, v6
	v_lshrrev_b32_e32 v1, s49, v1
	v_mul_lo_u32 v8, v1, s43
	v_mul_lo_u32 v6, v5, s44
	v_mul_lo_u32 v7, v5, s45
	v_mul_lo_u32 v5, v5, s46
	v_sub_u32_e32 v3, v3, v8
	v_mul_lo_u32 v8, v3, s47
	v_mul_lo_u32 v9, v3, s50
	;; [unrolled: 1-line block ×3, first 2 shown]
	v_add3_u32 v0, v6, v0, v8
	v_add3_u32 v4, v7, v4, v9
	;; [unrolled: 1-line block ×3, first 2 shown]
	s_cbranch_scc0 .LBB5_48
; %bb.49:
	s_bitcmp1_b32 s37, 0
	s_cselect_b64 s[40:41], -1, 0
	s_and_b64 vcc, exec, s[40:41]
	s_cbranch_vccnz .LBB5_53
; %bb.50:
	s_load_dwordx2 s[40:41], s[34:35], 0x1c
	s_load_dword s39, s[34:35], 0x24
	s_load_dwordx2 s[42:43], s[34:35], 0xdc
	s_waitcnt lgkmcnt(0)
	v_mul_hi_u32 v3, s41, v1
	v_add_u32_e32 v3, v1, v3
	v_lshrrev_b32_e32 v3, s39, v3
	v_mul_lo_u32 v3, v3, s40
	s_load_dword s39, s[34:35], 0xe4
	v_sub_u32_e32 v3, v1, v3
	v_mad_u64_u32 v[0:1], s[34:35], v3, s42, v[0:1]
	v_mad_u64_u32 v[4:5], s[34:35], v3, s43, v[4:5]
	s_waitcnt lgkmcnt(0)
	v_mad_u64_u32 v[2:3], s[34:35], v3, s39, v[2:3]
	s_branch .LBB5_53
.LBB5_51:
                                        ; implicit-def: $vgpr0
                                        ; implicit-def: $vgpr4
                                        ; implicit-def: $vgpr2
	s_branch .LBB5_54
.LBB5_52:
	v_mov_b32_e32 v0, 0
	v_mov_b32_e32 v4, 0
	;; [unrolled: 1-line block ×3, first 2 shown]
.LBB5_53:
	s_cbranch_execnz .LBB5_56
.LBB5_54:
	v_mul_hi_u32 v0, s9, v31
	s_andn2_b64 vcc, exec, s[26:27]
	v_add_u32_e32 v0, v31, v0
	v_lshrrev_b32_e32 v1, s10, v0
	v_mul_lo_u32 v0, v1, s8
	v_sub_u32_e32 v2, v31, v0
	v_mul_lo_u32 v0, v2, s4
	v_mul_lo_u32 v4, v2, s5
	v_mul_lo_u32 v2, v2, s6
	s_cbranch_vccnz .LBB5_56
; %bb.55:
	v_mul_hi_u32 v3, s24, v1
	v_add_u32_e32 v3, v1, v3
	v_lshrrev_b32_e32 v3, s25, v3
	v_mul_lo_u32 v3, v3, s11
	v_sub_u32_e32 v3, v1, v3
	v_mad_u64_u32 v[0:1], s[34:35], v3, s7, v[0:1]
	v_mad_u64_u32 v[4:5], s[34:35], v3, s22, v[4:5]
	;; [unrolled: 1-line block ×3, first 2 shown]
.LBB5_56:
	global_load_ubyte v1, v4, s[2:3]
	global_load_ubyte v3, v2, s[18:19]
	v_add_u32_e32 v31, 0x80, v31
	s_waitcnt vmcnt(0)
	v_cmp_ne_u16_e32 vcc, v1, v3
	s_xor_b64 s[34:35], s[20:21], vcc
	v_cndmask_b32_e64 v1, 0, 1, s[34:35]
	global_store_byte v0, v1, s[0:1]
	s_or_b64 exec, exec, s[30:31]
	v_cmp_gt_i32_e32 vcc, s38, v31
	s_and_saveexec_b64 s[30:31], vcc
	s_cbranch_execz .LBB5_6
.LBB5_57:
	s_andn2_b64 vcc, exec, s[14:15]
	s_cbranch_vccnz .LBB5_63
; %bb.58:
	s_andn2_b64 vcc, exec, s[28:29]
	s_cbranch_vccnz .LBB5_64
; %bb.59:
	s_add_i32 s34, s37, 1
	s_and_b32 s39, s34, 30
	s_add_u32 s34, s12, 0xffffffe8
	s_addc_u32 s35, s13, -1
	v_mov_b32_e32 v2, 0
	v_mov_b32_e32 v4, 0
	;; [unrolled: 1-line block ×4, first 2 shown]
.LBB5_60:                               ; =>This Inner Loop Header: Depth=1
	s_load_dwordx4 s[40:43], s[34:35], 0x1c
	s_load_dwordx2 s[48:49], s[34:35], 0x2c
	s_load_dwordx2 s[50:51], s[34:35], 0xec
	s_load_dwordx4 s[44:47], s[34:35], 0xdc
	s_add_u32 s34, s34, 24
	s_waitcnt lgkmcnt(0)
	v_mul_hi_u32 v3, s41, v1
	s_addc_u32 s35, s35, 0
	s_add_i32 s39, s39, -2
	s_cmp_eq_u32 s39, 0
	v_add_u32_e32 v3, v1, v3
	v_lshrrev_b32_e32 v3, s42, v3
	v_mul_lo_u32 v5, v3, s40
	v_mul_hi_u32 v6, s48, v3
	v_sub_u32_e32 v5, v1, v5
	v_add_u32_e32 v1, v3, v6
	v_lshrrev_b32_e32 v1, s49, v1
	v_mul_lo_u32 v8, v1, s43
	v_mul_lo_u32 v6, v5, s44
	;; [unrolled: 1-line block ×4, first 2 shown]
	v_sub_u32_e32 v3, v3, v8
	v_mul_lo_u32 v8, v3, s47
	v_mul_lo_u32 v9, v3, s50
	;; [unrolled: 1-line block ×3, first 2 shown]
	v_add3_u32 v0, v6, v0, v8
	v_add3_u32 v4, v7, v4, v9
	;; [unrolled: 1-line block ×3, first 2 shown]
	s_cbranch_scc0 .LBB5_60
; %bb.61:
	s_bitcmp1_b32 s37, 0
	s_cselect_b64 s[40:41], -1, 0
	s_and_b64 vcc, exec, s[40:41]
	s_cbranch_vccnz .LBB5_65
; %bb.62:
	s_load_dwordx2 s[40:41], s[34:35], 0x1c
	s_load_dword s39, s[34:35], 0x24
	s_load_dwordx2 s[42:43], s[34:35], 0xdc
	s_waitcnt lgkmcnt(0)
	v_mul_hi_u32 v3, s41, v1
	v_add_u32_e32 v3, v1, v3
	v_lshrrev_b32_e32 v3, s39, v3
	v_mul_lo_u32 v3, v3, s40
	s_load_dword s39, s[34:35], 0xe4
	v_sub_u32_e32 v3, v1, v3
	v_mad_u64_u32 v[0:1], s[34:35], v3, s42, v[0:1]
	v_mad_u64_u32 v[4:5], s[34:35], v3, s43, v[4:5]
	s_waitcnt lgkmcnt(0)
	v_mad_u64_u32 v[2:3], s[34:35], v3, s39, v[2:3]
	s_branch .LBB5_65
.LBB5_63:
                                        ; implicit-def: $vgpr0
                                        ; implicit-def: $vgpr4
                                        ; implicit-def: $vgpr2
	s_branch .LBB5_66
.LBB5_64:
	v_mov_b32_e32 v0, 0
	v_mov_b32_e32 v4, 0
	;; [unrolled: 1-line block ×3, first 2 shown]
.LBB5_65:
	s_cbranch_execnz .LBB5_68
.LBB5_66:
	v_mul_hi_u32 v0, s9, v31
	s_andn2_b64 vcc, exec, s[26:27]
	v_add_u32_e32 v0, v31, v0
	v_lshrrev_b32_e32 v1, s10, v0
	v_mul_lo_u32 v0, v1, s8
	v_sub_u32_e32 v2, v31, v0
	v_mul_lo_u32 v0, v2, s4
	v_mul_lo_u32 v4, v2, s5
	;; [unrolled: 1-line block ×3, first 2 shown]
	s_cbranch_vccnz .LBB5_68
; %bb.67:
	v_mul_hi_u32 v3, s24, v1
	v_add_u32_e32 v3, v1, v3
	v_lshrrev_b32_e32 v3, s25, v3
	v_mul_lo_u32 v3, v3, s11
	v_sub_u32_e32 v3, v1, v3
	v_mad_u64_u32 v[0:1], s[34:35], v3, s7, v[0:1]
	v_mad_u64_u32 v[4:5], s[34:35], v3, s22, v[4:5]
	;; [unrolled: 1-line block ×3, first 2 shown]
.LBB5_68:
	global_load_ubyte v1, v4, s[2:3]
	global_load_ubyte v3, v2, s[18:19]
	v_add_u32_e32 v31, 0x80, v31
	s_waitcnt vmcnt(0)
	v_cmp_ne_u16_e32 vcc, v1, v3
	s_xor_b64 s[34:35], s[20:21], vcc
	v_cndmask_b32_e64 v1, 0, 1, s[34:35]
	global_store_byte v0, v1, s[0:1]
	s_or_b64 exec, exec, s[30:31]
	v_cmp_gt_i32_e32 vcc, s38, v31
	s_and_saveexec_b64 s[30:31], vcc
	s_cbranch_execz .LBB5_7
.LBB5_69:
	s_andn2_b64 vcc, exec, s[14:15]
	s_cbranch_vccnz .LBB5_75
; %bb.70:
	s_andn2_b64 vcc, exec, s[28:29]
	s_cbranch_vccnz .LBB5_76
; %bb.71:
	s_add_i32 s34, s37, 1
	s_and_b32 s39, s34, 30
	s_add_u32 s34, s12, 0xffffffe8
	s_addc_u32 s35, s13, -1
	v_mov_b32_e32 v2, 0
	v_mov_b32_e32 v4, 0
	v_mov_b32_e32 v0, 0
	v_mov_b32_e32 v1, v31
.LBB5_72:                               ; =>This Inner Loop Header: Depth=1
	s_load_dwordx4 s[40:43], s[34:35], 0x1c
	s_load_dwordx2 s[48:49], s[34:35], 0x2c
	s_load_dwordx2 s[50:51], s[34:35], 0xec
	s_load_dwordx4 s[44:47], s[34:35], 0xdc
	s_add_u32 s34, s34, 24
	s_waitcnt lgkmcnt(0)
	v_mul_hi_u32 v3, s41, v1
	s_addc_u32 s35, s35, 0
	s_add_i32 s39, s39, -2
	s_cmp_eq_u32 s39, 0
	v_add_u32_e32 v3, v1, v3
	v_lshrrev_b32_e32 v3, s42, v3
	v_mul_lo_u32 v5, v3, s40
	v_mul_hi_u32 v6, s48, v3
	v_sub_u32_e32 v5, v1, v5
	v_add_u32_e32 v1, v3, v6
	v_lshrrev_b32_e32 v1, s49, v1
	v_mul_lo_u32 v8, v1, s43
	v_mul_lo_u32 v6, v5, s44
	;; [unrolled: 1-line block ×4, first 2 shown]
	v_sub_u32_e32 v3, v3, v8
	v_mul_lo_u32 v8, v3, s47
	v_mul_lo_u32 v9, v3, s50
	;; [unrolled: 1-line block ×3, first 2 shown]
	v_add3_u32 v0, v6, v0, v8
	v_add3_u32 v4, v7, v4, v9
	;; [unrolled: 1-line block ×3, first 2 shown]
	s_cbranch_scc0 .LBB5_72
; %bb.73:
	s_bitcmp1_b32 s37, 0
	s_cselect_b64 s[40:41], -1, 0
	s_and_b64 vcc, exec, s[40:41]
	s_cbranch_vccnz .LBB5_77
; %bb.74:
	s_load_dwordx2 s[40:41], s[34:35], 0x1c
	s_load_dword s39, s[34:35], 0x24
	s_load_dwordx2 s[42:43], s[34:35], 0xdc
	s_waitcnt lgkmcnt(0)
	v_mul_hi_u32 v3, s41, v1
	v_add_u32_e32 v3, v1, v3
	v_lshrrev_b32_e32 v3, s39, v3
	v_mul_lo_u32 v3, v3, s40
	s_load_dword s39, s[34:35], 0xe4
	v_sub_u32_e32 v3, v1, v3
	v_mad_u64_u32 v[0:1], s[34:35], v3, s42, v[0:1]
	v_mad_u64_u32 v[4:5], s[34:35], v3, s43, v[4:5]
	s_waitcnt lgkmcnt(0)
	v_mad_u64_u32 v[2:3], s[34:35], v3, s39, v[2:3]
	s_branch .LBB5_77
.LBB5_75:
                                        ; implicit-def: $vgpr0
                                        ; implicit-def: $vgpr4
                                        ; implicit-def: $vgpr2
	s_branch .LBB5_78
.LBB5_76:
	v_mov_b32_e32 v0, 0
	v_mov_b32_e32 v4, 0
	;; [unrolled: 1-line block ×3, first 2 shown]
.LBB5_77:
	s_cbranch_execnz .LBB5_80
.LBB5_78:
	v_mul_hi_u32 v0, s9, v31
	s_andn2_b64 vcc, exec, s[26:27]
	v_add_u32_e32 v0, v31, v0
	v_lshrrev_b32_e32 v1, s10, v0
	v_mul_lo_u32 v0, v1, s8
	v_sub_u32_e32 v2, v31, v0
	v_mul_lo_u32 v0, v2, s4
	v_mul_lo_u32 v4, v2, s5
	;; [unrolled: 1-line block ×3, first 2 shown]
	s_cbranch_vccnz .LBB5_80
; %bb.79:
	v_mul_hi_u32 v3, s24, v1
	v_add_u32_e32 v3, v1, v3
	v_lshrrev_b32_e32 v3, s25, v3
	v_mul_lo_u32 v3, v3, s11
	v_sub_u32_e32 v3, v1, v3
	v_mad_u64_u32 v[0:1], s[34:35], v3, s7, v[0:1]
	v_mad_u64_u32 v[4:5], s[34:35], v3, s22, v[4:5]
	v_mad_u64_u32 v[2:3], s[34:35], v3, s23, v[2:3]
.LBB5_80:
	global_load_ubyte v1, v4, s[2:3]
	global_load_ubyte v3, v2, s[18:19]
	v_add_u32_e32 v31, 0x80, v31
	s_waitcnt vmcnt(0)
	v_cmp_ne_u16_e32 vcc, v1, v3
	s_xor_b64 s[34:35], s[20:21], vcc
	v_cndmask_b32_e64 v1, 0, 1, s[34:35]
	global_store_byte v0, v1, s[0:1]
	s_or_b64 exec, exec, s[30:31]
	v_cmp_gt_i32_e32 vcc, s38, v31
	s_and_saveexec_b64 s[30:31], vcc
	s_cbranch_execz .LBB5_8
.LBB5_81:
	s_andn2_b64 vcc, exec, s[14:15]
	s_cbranch_vccnz .LBB5_87
; %bb.82:
	s_andn2_b64 vcc, exec, s[28:29]
	s_cbranch_vccnz .LBB5_88
; %bb.83:
	s_add_i32 s34, s37, 1
	s_and_b32 s39, s34, 30
	s_add_u32 s34, s12, 0xffffffe8
	s_addc_u32 s35, s13, -1
	v_mov_b32_e32 v2, 0
	v_mov_b32_e32 v4, 0
	;; [unrolled: 1-line block ×4, first 2 shown]
.LBB5_84:                               ; =>This Inner Loop Header: Depth=1
	s_load_dwordx4 s[40:43], s[34:35], 0x1c
	s_load_dwordx2 s[48:49], s[34:35], 0x2c
	s_load_dwordx2 s[50:51], s[34:35], 0xec
	s_load_dwordx4 s[44:47], s[34:35], 0xdc
	s_add_u32 s34, s34, 24
	s_waitcnt lgkmcnt(0)
	v_mul_hi_u32 v3, s41, v1
	s_addc_u32 s35, s35, 0
	s_add_i32 s39, s39, -2
	s_cmp_eq_u32 s39, 0
	v_add_u32_e32 v3, v1, v3
	v_lshrrev_b32_e32 v3, s42, v3
	v_mul_lo_u32 v5, v3, s40
	v_mul_hi_u32 v6, s48, v3
	v_sub_u32_e32 v5, v1, v5
	v_add_u32_e32 v1, v3, v6
	v_lshrrev_b32_e32 v1, s49, v1
	v_mul_lo_u32 v8, v1, s43
	v_mul_lo_u32 v6, v5, s44
	;; [unrolled: 1-line block ×4, first 2 shown]
	v_sub_u32_e32 v3, v3, v8
	v_mul_lo_u32 v8, v3, s47
	v_mul_lo_u32 v9, v3, s50
	;; [unrolled: 1-line block ×3, first 2 shown]
	v_add3_u32 v0, v6, v0, v8
	v_add3_u32 v4, v7, v4, v9
	;; [unrolled: 1-line block ×3, first 2 shown]
	s_cbranch_scc0 .LBB5_84
; %bb.85:
	s_bitcmp1_b32 s37, 0
	s_cselect_b64 s[40:41], -1, 0
	s_and_b64 vcc, exec, s[40:41]
	s_cbranch_vccnz .LBB5_89
; %bb.86:
	s_load_dwordx2 s[40:41], s[34:35], 0x1c
	s_load_dword s39, s[34:35], 0x24
	s_load_dwordx2 s[42:43], s[34:35], 0xdc
	s_waitcnt lgkmcnt(0)
	v_mul_hi_u32 v3, s41, v1
	v_add_u32_e32 v3, v1, v3
	v_lshrrev_b32_e32 v3, s39, v3
	v_mul_lo_u32 v3, v3, s40
	s_load_dword s39, s[34:35], 0xe4
	v_sub_u32_e32 v3, v1, v3
	v_mad_u64_u32 v[0:1], s[34:35], v3, s42, v[0:1]
	v_mad_u64_u32 v[4:5], s[34:35], v3, s43, v[4:5]
	s_waitcnt lgkmcnt(0)
	v_mad_u64_u32 v[2:3], s[34:35], v3, s39, v[2:3]
	s_branch .LBB5_89
.LBB5_87:
                                        ; implicit-def: $vgpr0
                                        ; implicit-def: $vgpr4
                                        ; implicit-def: $vgpr2
	s_branch .LBB5_90
.LBB5_88:
	v_mov_b32_e32 v0, 0
	v_mov_b32_e32 v4, 0
	;; [unrolled: 1-line block ×3, first 2 shown]
.LBB5_89:
	s_cbranch_execnz .LBB5_92
.LBB5_90:
	v_mul_hi_u32 v0, s9, v31
	s_andn2_b64 vcc, exec, s[26:27]
	v_add_u32_e32 v0, v31, v0
	v_lshrrev_b32_e32 v1, s10, v0
	v_mul_lo_u32 v0, v1, s8
	v_sub_u32_e32 v2, v31, v0
	v_mul_lo_u32 v0, v2, s4
	v_mul_lo_u32 v4, v2, s5
	;; [unrolled: 1-line block ×3, first 2 shown]
	s_cbranch_vccnz .LBB5_92
; %bb.91:
	v_mul_hi_u32 v3, s24, v1
	v_add_u32_e32 v3, v1, v3
	v_lshrrev_b32_e32 v3, s25, v3
	v_mul_lo_u32 v3, v3, s11
	v_sub_u32_e32 v3, v1, v3
	v_mad_u64_u32 v[0:1], s[34:35], v3, s7, v[0:1]
	v_mad_u64_u32 v[4:5], s[34:35], v3, s22, v[4:5]
	;; [unrolled: 1-line block ×3, first 2 shown]
.LBB5_92:
	global_load_ubyte v1, v4, s[2:3]
	global_load_ubyte v3, v2, s[18:19]
	v_add_u32_e32 v31, 0x80, v31
	s_waitcnt vmcnt(0)
	v_cmp_ne_u16_e32 vcc, v1, v3
	s_xor_b64 s[34:35], s[20:21], vcc
	v_cndmask_b32_e64 v1, 0, 1, s[34:35]
	global_store_byte v0, v1, s[0:1]
	s_or_b64 exec, exec, s[30:31]
	v_cmp_gt_i32_e32 vcc, s38, v31
	s_and_saveexec_b64 s[30:31], vcc
	s_cbranch_execz .LBB5_105
.LBB5_93:
	s_andn2_b64 vcc, exec, s[14:15]
	s_cbranch_vccnz .LBB5_99
; %bb.94:
	s_andn2_b64 vcc, exec, s[28:29]
	s_cbranch_vccnz .LBB5_100
; %bb.95:
	s_add_i32 s28, s37, 1
	s_and_b32 s34, s28, 30
	s_add_u32 s28, s12, 0xffffffe8
	s_addc_u32 s29, s13, -1
	v_mov_b32_e32 v4, 0
	v_mov_b32_e32 v2, 0
	;; [unrolled: 1-line block ×4, first 2 shown]
.LBB5_96:                               ; =>This Inner Loop Header: Depth=1
	s_load_dwordx4 s[40:43], s[28:29], 0x1c
	s_load_dwordx2 s[38:39], s[28:29], 0x2c
	s_load_dwordx2 s[48:49], s[28:29], 0xec
	s_load_dwordx4 s[44:47], s[28:29], 0xdc
	s_add_u32 s28, s28, 24
	s_waitcnt lgkmcnt(0)
	v_mul_hi_u32 v3, s41, v1
	s_addc_u32 s29, s29, 0
	s_add_i32 s34, s34, -2
	s_cmp_eq_u32 s34, 0
	v_add_u32_e32 v3, v1, v3
	v_lshrrev_b32_e32 v3, s42, v3
	v_mul_lo_u32 v5, v3, s40
	v_mul_hi_u32 v6, s38, v3
	v_sub_u32_e32 v5, v1, v5
	v_add_u32_e32 v1, v3, v6
	v_lshrrev_b32_e32 v1, s39, v1
	v_mul_lo_u32 v8, v1, s43
	v_mul_lo_u32 v6, v5, s44
	v_mul_lo_u32 v7, v5, s45
	v_mul_lo_u32 v5, v5, s46
	v_sub_u32_e32 v3, v3, v8
	v_mul_lo_u32 v8, v3, s47
	v_mul_lo_u32 v9, v3, s48
	;; [unrolled: 1-line block ×3, first 2 shown]
	v_add3_u32 v0, v6, v0, v8
	v_add3_u32 v2, v7, v2, v9
	;; [unrolled: 1-line block ×3, first 2 shown]
	s_cbranch_scc0 .LBB5_96
; %bb.97:
	s_bitcmp1_b32 s37, 0
	s_cselect_b64 s[34:35], -1, 0
	s_and_b64 vcc, exec, s[34:35]
	s_cbranch_vccnz .LBB5_101
; %bb.98:
	s_load_dwordx2 s[34:35], s[28:29], 0x1c
	s_load_dword s37, s[28:29], 0x24
	s_load_dwordx2 s[38:39], s[28:29], 0xdc
	s_waitcnt lgkmcnt(0)
	v_mul_hi_u32 v3, s35, v1
	v_add_u32_e32 v3, v1, v3
	v_lshrrev_b32_e32 v3, s37, v3
	v_mul_lo_u32 v3, v3, s34
	s_load_dword s34, s[28:29], 0xe4
	v_sub_u32_e32 v5, v1, v3
	v_mad_u64_u32 v[0:1], s[28:29], v5, s38, v[0:1]
	v_mad_u64_u32 v[2:3], s[28:29], v5, s39, v[2:3]
	s_waitcnt lgkmcnt(0)
	v_mad_u64_u32 v[4:5], s[28:29], v5, s34, v[4:5]
	s_branch .LBB5_101
.LBB5_99:
                                        ; implicit-def: $vgpr0
                                        ; implicit-def: $vgpr2
                                        ; implicit-def: $vgpr4
	s_branch .LBB5_102
.LBB5_100:
	v_mov_b32_e32 v0, 0
	v_mov_b32_e32 v2, 0
	;; [unrolled: 1-line block ×3, first 2 shown]
.LBB5_101:
	s_cbranch_execnz .LBB5_104
.LBB5_102:
	v_mul_hi_u32 v0, s9, v31
	s_andn2_b64 vcc, exec, s[26:27]
	v_add_u32_e32 v0, v31, v0
	v_lshrrev_b32_e32 v1, s10, v0
	v_mul_lo_u32 v0, v1, s8
	v_sub_u32_e32 v3, v31, v0
	v_mul_lo_u32 v0, v3, s4
	v_mul_lo_u32 v2, v3, s5
	;; [unrolled: 1-line block ×3, first 2 shown]
	s_cbranch_vccnz .LBB5_104
; %bb.103:
	v_mul_hi_u32 v3, s24, v1
	v_add_u32_e32 v3, v1, v3
	v_lshrrev_b32_e32 v3, s25, v3
	v_mul_lo_u32 v3, v3, s11
	v_sub_u32_e32 v5, v1, v3
	v_mad_u64_u32 v[0:1], s[4:5], v5, s7, v[0:1]
	v_mad_u64_u32 v[2:3], s[4:5], v5, s22, v[2:3]
	;; [unrolled: 1-line block ×3, first 2 shown]
.LBB5_104:
	global_load_ubyte v1, v2, s[2:3]
	global_load_ubyte v3, v4, s[18:19]
	s_waitcnt vmcnt(0)
	v_cmp_ne_u16_e32 vcc, v1, v3
	s_xor_b64 s[2:3], s[20:21], vcc
	v_cndmask_b32_e64 v1, 0, 1, s[2:3]
	global_store_byte v0, v1, s[0:1]
.LBB5_105:
	s_or_b64 exec, exec, s[30:31]
                                        ; implicit-def: $vgpr41
                                        ; implicit-def: $vgpr31
.LBB5_106:
	s_andn2_saveexec_b64 s[0:1], s[16:17]
	s_cbranch_execz .LBB5_113
; %bb.107:
	v_cndmask_b32_e64 v0, 0, 1, s[14:15]
	v_cmp_ne_u32_e64 s[0:1], 1, v0
	s_andn2_b64 vcc, exec, s[14:15]
	s_cbranch_vccnz .LBB5_114
; %bb.108:
	s_cmp_lg_u32 s33, 0
	s_cbranch_scc0 .LBB5_115
; %bb.109:
	s_min_u32 s4, s36, 15
	s_add_i32 s2, s4, 1
	s_and_b32 s5, s2, 30
	s_add_u32 s2, s12, 0xffffffe8
	s_addc_u32 s3, s13, -1
	v_mov_b32_e32 v2, 0
	v_mov_b32_e32 v4, 0
	;; [unrolled: 1-line block ×4, first 2 shown]
.LBB5_110:                              ; =>This Inner Loop Header: Depth=1
	s_load_dwordx4 s[8:11], s[2:3], 0x1c
	s_load_dwordx2 s[6:7], s[2:3], 0x2c
	s_load_dwordx2 s[14:15], s[2:3], 0xec
	s_load_dwordx4 s[16:19], s[2:3], 0xdc
	s_add_u32 s2, s2, 24
	s_waitcnt lgkmcnt(0)
	v_mul_hi_u32 v3, s9, v1
	s_addc_u32 s3, s3, 0
	s_add_i32 s5, s5, -2
	s_cmp_lg_u32 s5, 0
	v_add_u32_e32 v3, v1, v3
	v_lshrrev_b32_e32 v3, s10, v3
	v_mul_lo_u32 v5, v3, s8
	v_mul_hi_u32 v6, s6, v3
	v_sub_u32_e32 v5, v1, v5
	v_add_u32_e32 v1, v3, v6
	v_lshrrev_b32_e32 v1, s7, v1
	v_mul_lo_u32 v8, v1, s11
	v_mul_lo_u32 v6, v5, s16
	;; [unrolled: 1-line block ×4, first 2 shown]
	v_sub_u32_e32 v3, v3, v8
	v_mul_lo_u32 v8, v3, s19
	v_mul_lo_u32 v9, v3, s14
	;; [unrolled: 1-line block ×3, first 2 shown]
	v_add3_u32 v0, v6, v0, v8
	v_add3_u32 v4, v7, v4, v9
	v_add3_u32 v2, v5, v2, v3
	s_cbranch_scc1 .LBB5_110
; %bb.111:
	s_bitcmp1_b32 s4, 0
	s_cselect_b64 s[4:5], -1, 0
	s_and_b64 vcc, exec, s[4:5]
	s_cbranch_vccnz .LBB5_116
; %bb.112:
	s_load_dwordx2 s[4:5], s[2:3], 0x1c
	s_load_dword s8, s[2:3], 0x24
	s_load_dwordx2 s[6:7], s[2:3], 0xdc
	s_waitcnt lgkmcnt(0)
	v_mul_hi_u32 v3, s5, v1
	v_add_u32_e32 v3, v1, v3
	v_lshrrev_b32_e32 v3, s8, v3
	v_mul_lo_u32 v3, v3, s4
	s_load_dword s4, s[2:3], 0xe4
	v_sub_u32_e32 v3, v1, v3
	v_mad_u64_u32 v[0:1], s[2:3], v3, s6, v[0:1]
	v_mad_u64_u32 v[4:5], s[2:3], v3, s7, v[4:5]
	s_waitcnt lgkmcnt(0)
	v_mad_u64_u32 v[2:3], s[2:3], v3, s4, v[2:3]
	s_cbranch_execz .LBB5_117
	s_branch .LBB5_119
.LBB5_113:
	s_endpgm
.LBB5_114:
                                        ; implicit-def: $vgpr0
                                        ; implicit-def: $vgpr4
                                        ; implicit-def: $vgpr2
	s_branch .LBB5_117
.LBB5_115:
	v_mov_b32_e32 v0, 0
	v_mov_b32_e32 v4, 0
	;; [unrolled: 1-line block ×3, first 2 shown]
.LBB5_116:
	s_cbranch_execnz .LBB5_119
.LBB5_117:
	s_load_dwordx4 s[4:7], s[12:13], 0x4
	s_load_dwordx4 s[8:11], s[12:13], 0xc4
	s_cmp_lt_u32 s33, 2
	s_waitcnt lgkmcnt(0)
	v_mul_hi_u32 v0, s5, v31
	v_add_u32_e32 v0, v31, v0
	v_lshrrev_b32_e32 v1, s6, v0
	v_mul_lo_u32 v0, v1, s4
	v_sub_u32_e32 v2, v31, v0
	v_mul_lo_u32 v0, v2, s8
	v_mul_lo_u32 v4, v2, s9
	;; [unrolled: 1-line block ×3, first 2 shown]
	s_cbranch_scc1 .LBB5_119
; %bb.118:
	s_load_dwordx4 s[4:7], s[12:13], 0x10
	s_load_dwordx4 s[8:11], s[12:13], 0xd0
	s_waitcnt lgkmcnt(0)
	v_mul_hi_u32 v3, s5, v1
	v_add_u32_e32 v3, v1, v3
	v_lshrrev_b32_e32 v3, s6, v3
	v_mul_lo_u32 v3, v3, s4
	v_sub_u32_e32 v3, v1, v3
	v_mad_u64_u32 v[0:1], s[2:3], v3, s8, v[0:1]
	v_mad_u64_u32 v[4:5], s[2:3], v3, s9, v[4:5]
	;; [unrolled: 1-line block ×3, first 2 shown]
.LBB5_119:
	s_and_b64 vcc, exec, s[0:1]
	v_add_u32_e32 v1, 0x80, v31
	s_cbranch_vccnz .LBB5_125
; %bb.120:
	s_cmp_lg_u32 s33, 0
	s_cbranch_scc0 .LBB5_126
; %bb.121:
	s_min_u32 s4, s36, 15
	s_add_i32 s2, s4, 1
	s_and_b32 s5, s2, 30
	s_add_u32 s2, s12, 0xffffffe8
	s_addc_u32 s3, s13, -1
	v_mov_b32_e32 v7, 0
	v_mov_b32_e32 v9, 0
	;; [unrolled: 1-line block ×4, first 2 shown]
.LBB5_122:                              ; =>This Inner Loop Header: Depth=1
	s_load_dwordx4 s[8:11], s[2:3], 0x1c
	s_load_dwordx2 s[6:7], s[2:3], 0x2c
	s_load_dwordx2 s[14:15], s[2:3], 0xec
	s_load_dwordx4 s[16:19], s[2:3], 0xdc
	s_add_u32 s2, s2, 24
	s_waitcnt lgkmcnt(0)
	v_mul_hi_u32 v6, s9, v3
	s_addc_u32 s3, s3, 0
	s_add_i32 s5, s5, -2
	s_cmp_lg_u32 s5, 0
	v_add_u32_e32 v6, v3, v6
	v_lshrrev_b32_e32 v6, s10, v6
	v_mul_lo_u32 v8, v6, s8
	v_mul_hi_u32 v10, s6, v6
	v_sub_u32_e32 v8, v3, v8
	v_add_u32_e32 v3, v6, v10
	v_lshrrev_b32_e32 v3, s7, v3
	v_mul_lo_u32 v12, v3, s11
	v_mul_lo_u32 v10, v8, s16
	;; [unrolled: 1-line block ×4, first 2 shown]
	v_sub_u32_e32 v6, v6, v12
	v_mul_lo_u32 v12, v6, s19
	v_mul_lo_u32 v13, v6, s14
	v_mul_lo_u32 v6, v6, s15
	v_add3_u32 v5, v10, v5, v12
	v_add3_u32 v9, v11, v9, v13
	;; [unrolled: 1-line block ×3, first 2 shown]
	s_cbranch_scc1 .LBB5_122
; %bb.123:
	s_bitcmp1_b32 s4, 0
	s_cselect_b64 s[4:5], -1, 0
	s_and_b64 vcc, exec, s[4:5]
	s_cbranch_vccnz .LBB5_127
; %bb.124:
	s_load_dwordx2 s[4:5], s[2:3], 0x1c
	s_load_dword s8, s[2:3], 0x24
	s_load_dwordx2 s[6:7], s[2:3], 0xdc
	s_waitcnt lgkmcnt(0)
	v_mul_hi_u32 v6, s5, v3
	v_add_u32_e32 v6, v3, v6
	v_lshrrev_b32_e32 v6, s8, v6
	v_mul_lo_u32 v6, v6, s4
	s_load_dword s4, s[2:3], 0xe4
	v_sub_u32_e32 v3, v3, v6
	v_mad_u64_u32 v[5:6], s[2:3], v3, s6, v[5:6]
	v_mad_u64_u32 v[9:10], s[2:3], v3, s7, v[9:10]
	s_waitcnt lgkmcnt(0)
	v_mad_u64_u32 v[7:8], s[2:3], v3, s4, v[7:8]
	s_cbranch_execz .LBB5_128
	s_branch .LBB5_130
.LBB5_125:
                                        ; implicit-def: $vgpr5
                                        ; implicit-def: $vgpr9
                                        ; implicit-def: $vgpr7
	s_branch .LBB5_128
.LBB5_126:
	v_mov_b32_e32 v5, 0
	v_mov_b32_e32 v9, 0
	;; [unrolled: 1-line block ×3, first 2 shown]
.LBB5_127:
	s_cbranch_execnz .LBB5_130
.LBB5_128:
	s_load_dwordx4 s[4:7], s[12:13], 0x4
	s_load_dwordx4 s[8:11], s[12:13], 0xc4
	s_cmp_lt_u32 s33, 2
	s_waitcnt lgkmcnt(0)
	v_mul_hi_u32 v3, s5, v1
	v_add_u32_e32 v3, v1, v3
	v_lshrrev_b32_e32 v3, s6, v3
	v_mul_lo_u32 v5, v3, s4
	v_sub_u32_e32 v1, v1, v5
	v_mul_lo_u32 v5, v1, s8
	v_mul_lo_u32 v9, v1, s9
	v_mul_lo_u32 v7, v1, s10
	s_cbranch_scc1 .LBB5_130
; %bb.129:
	s_load_dwordx4 s[4:7], s[12:13], 0x10
	s_load_dwordx4 s[8:11], s[12:13], 0xd0
	s_waitcnt lgkmcnt(0)
	v_mul_hi_u32 v1, s5, v3
	v_add_u32_e32 v1, v3, v1
	v_lshrrev_b32_e32 v1, s6, v1
	v_mul_lo_u32 v1, v1, s4
	v_sub_u32_e32 v1, v3, v1
	v_mad_u64_u32 v[5:6], s[2:3], v1, s8, v[5:6]
	v_mad_u64_u32 v[9:10], s[2:3], v1, s9, v[9:10]
	;; [unrolled: 1-line block ×3, first 2 shown]
.LBB5_130:
	s_and_b64 vcc, exec, s[0:1]
	v_add_u32_e32 v1, 0x100, v31
	s_cbranch_vccnz .LBB5_136
; %bb.131:
	s_cmp_lg_u32 s33, 0
	s_cbranch_scc0 .LBB5_137
; %bb.132:
	s_min_u32 s4, s36, 15
	s_add_i32 s2, s4, 1
	s_and_b32 s5, s2, 30
	s_add_u32 s2, s12, 0xffffffe8
	s_addc_u32 s3, s13, -1
	v_mov_b32_e32 v12, 0
	v_mov_b32_e32 v14, 0
	;; [unrolled: 1-line block ×4, first 2 shown]
.LBB5_133:                              ; =>This Inner Loop Header: Depth=1
	s_load_dwordx4 s[8:11], s[2:3], 0x1c
	s_load_dwordx2 s[6:7], s[2:3], 0x2c
	s_load_dwordx2 s[14:15], s[2:3], 0xec
	s_load_dwordx4 s[16:19], s[2:3], 0xdc
	s_add_u32 s2, s2, 24
	s_waitcnt lgkmcnt(0)
	v_mul_hi_u32 v6, s9, v3
	s_addc_u32 s3, s3, 0
	s_add_i32 s5, s5, -2
	s_cmp_lg_u32 s5, 0
	v_add_u32_e32 v6, v3, v6
	v_lshrrev_b32_e32 v6, s10, v6
	v_mul_lo_u32 v8, v6, s8
	v_mul_hi_u32 v11, s6, v6
	v_sub_u32_e32 v8, v3, v8
	v_add_u32_e32 v3, v6, v11
	v_lshrrev_b32_e32 v3, s7, v3
	v_mul_lo_u32 v15, v3, s11
	v_mul_lo_u32 v11, v8, s16
	;; [unrolled: 1-line block ×4, first 2 shown]
	v_sub_u32_e32 v6, v6, v15
	v_mul_lo_u32 v15, v6, s19
	v_mul_lo_u32 v16, v6, s14
	v_mul_lo_u32 v6, v6, s15
	v_add3_u32 v10, v11, v10, v15
	v_add3_u32 v14, v13, v14, v16
	;; [unrolled: 1-line block ×3, first 2 shown]
	s_cbranch_scc1 .LBB5_133
; %bb.134:
	s_bitcmp1_b32 s4, 0
	s_cselect_b64 s[4:5], -1, 0
	s_and_b64 vcc, exec, s[4:5]
	s_cbranch_vccnz .LBB5_138
; %bb.135:
	s_load_dwordx2 s[4:5], s[2:3], 0x1c
	s_load_dword s8, s[2:3], 0x24
	s_load_dwordx2 s[6:7], s[2:3], 0xdc
	s_waitcnt lgkmcnt(0)
	v_mul_hi_u32 v6, s5, v3
	v_add_u32_e32 v6, v3, v6
	v_lshrrev_b32_e32 v6, s8, v6
	v_mul_lo_u32 v6, v6, s4
	s_load_dword s4, s[2:3], 0xe4
	v_sub_u32_e32 v3, v3, v6
	v_mad_u64_u32 v[10:11], s[2:3], v3, s6, v[10:11]
	v_mad_u64_u32 v[14:15], s[2:3], v3, s7, v[14:15]
	s_waitcnt lgkmcnt(0)
	v_mad_u64_u32 v[12:13], s[2:3], v3, s4, v[12:13]
	s_cbranch_execz .LBB5_139
	s_branch .LBB5_141
.LBB5_136:
                                        ; implicit-def: $vgpr10
                                        ; implicit-def: $vgpr14
                                        ; implicit-def: $vgpr12
	s_branch .LBB5_139
.LBB5_137:
	v_mov_b32_e32 v10, 0
	v_mov_b32_e32 v14, 0
	;; [unrolled: 1-line block ×3, first 2 shown]
.LBB5_138:
	s_cbranch_execnz .LBB5_141
.LBB5_139:
	s_load_dwordx4 s[4:7], s[12:13], 0x4
	s_load_dwordx4 s[8:11], s[12:13], 0xc4
	s_cmp_lt_u32 s33, 2
	s_waitcnt lgkmcnt(0)
	v_mul_hi_u32 v3, s5, v1
	v_add_u32_e32 v3, v1, v3
	v_lshrrev_b32_e32 v3, s6, v3
	v_mul_lo_u32 v6, v3, s4
	v_sub_u32_e32 v1, v1, v6
	v_mul_lo_u32 v10, v1, s8
	v_mul_lo_u32 v14, v1, s9
	;; [unrolled: 1-line block ×3, first 2 shown]
	s_cbranch_scc1 .LBB5_141
; %bb.140:
	s_load_dwordx4 s[4:7], s[12:13], 0x10
	s_load_dwordx4 s[8:11], s[12:13], 0xd0
	s_waitcnt lgkmcnt(0)
	v_mul_hi_u32 v1, s5, v3
	v_add_u32_e32 v1, v3, v1
	v_lshrrev_b32_e32 v1, s6, v1
	v_mul_lo_u32 v1, v1, s4
	v_sub_u32_e32 v1, v3, v1
	v_mad_u64_u32 v[10:11], s[2:3], v1, s8, v[10:11]
	v_mad_u64_u32 v[14:15], s[2:3], v1, s9, v[14:15]
	;; [unrolled: 1-line block ×3, first 2 shown]
.LBB5_141:
	s_and_b64 vcc, exec, s[0:1]
	v_add_u32_e32 v1, 0x180, v31
	s_cbranch_vccnz .LBB5_147
; %bb.142:
	s_cmp_lg_u32 s33, 0
	s_cbranch_scc0 .LBB5_148
; %bb.143:
	s_min_u32 s4, s36, 15
	s_add_i32 s2, s4, 1
	s_and_b32 s5, s2, 30
	s_add_u32 s2, s12, 0xffffffe8
	s_addc_u32 s3, s13, -1
	v_mov_b32_e32 v17, 0
	v_mov_b32_e32 v19, 0
	v_mov_b32_e32 v15, 0
	v_mov_b32_e32 v3, v1
.LBB5_144:                              ; =>This Inner Loop Header: Depth=1
	s_load_dwordx4 s[8:11], s[2:3], 0x1c
	s_load_dwordx2 s[6:7], s[2:3], 0x2c
	s_load_dwordx2 s[14:15], s[2:3], 0xec
	s_load_dwordx4 s[16:19], s[2:3], 0xdc
	s_add_u32 s2, s2, 24
	s_waitcnt lgkmcnt(0)
	v_mul_hi_u32 v6, s9, v3
	s_addc_u32 s3, s3, 0
	s_add_i32 s5, s5, -2
	s_cmp_lg_u32 s5, 0
	v_add_u32_e32 v6, v3, v6
	v_lshrrev_b32_e32 v6, s10, v6
	v_mul_lo_u32 v8, v6, s8
	v_mul_hi_u32 v11, s6, v6
	v_sub_u32_e32 v8, v3, v8
	v_add_u32_e32 v3, v6, v11
	v_lshrrev_b32_e32 v3, s7, v3
	v_mul_lo_u32 v16, v3, s11
	v_mul_lo_u32 v11, v8, s16
	;; [unrolled: 1-line block ×4, first 2 shown]
	v_sub_u32_e32 v6, v6, v16
	v_mul_lo_u32 v16, v6, s19
	v_mul_lo_u32 v18, v6, s14
	v_mul_lo_u32 v6, v6, s15
	v_add3_u32 v15, v11, v15, v16
	v_add3_u32 v19, v13, v19, v18
	;; [unrolled: 1-line block ×3, first 2 shown]
	s_cbranch_scc1 .LBB5_144
; %bb.145:
	s_bitcmp1_b32 s4, 0
	s_cselect_b64 s[4:5], -1, 0
	s_and_b64 vcc, exec, s[4:5]
	s_cbranch_vccnz .LBB5_149
; %bb.146:
	s_load_dwordx2 s[4:5], s[2:3], 0x1c
	s_load_dword s8, s[2:3], 0x24
	s_load_dwordx2 s[6:7], s[2:3], 0xdc
	s_waitcnt lgkmcnt(0)
	v_mul_hi_u32 v6, s5, v3
	v_add_u32_e32 v6, v3, v6
	v_lshrrev_b32_e32 v6, s8, v6
	v_mul_lo_u32 v6, v6, s4
	s_load_dword s4, s[2:3], 0xe4
	v_sub_u32_e32 v3, v3, v6
	v_mad_u64_u32 v[15:16], s[2:3], v3, s6, v[15:16]
	v_mad_u64_u32 v[19:20], s[2:3], v3, s7, v[19:20]
	s_waitcnt lgkmcnt(0)
	v_mad_u64_u32 v[17:18], s[2:3], v3, s4, v[17:18]
	s_cbranch_execz .LBB5_150
	s_branch .LBB5_152
.LBB5_147:
                                        ; implicit-def: $vgpr15
                                        ; implicit-def: $vgpr19
                                        ; implicit-def: $vgpr17
	s_branch .LBB5_150
.LBB5_148:
	v_mov_b32_e32 v15, 0
	v_mov_b32_e32 v19, 0
	;; [unrolled: 1-line block ×3, first 2 shown]
.LBB5_149:
	s_cbranch_execnz .LBB5_152
.LBB5_150:
	s_load_dwordx4 s[4:7], s[12:13], 0x4
	s_load_dwordx4 s[8:11], s[12:13], 0xc4
	s_cmp_lt_u32 s33, 2
	s_waitcnt lgkmcnt(0)
	v_mul_hi_u32 v3, s5, v1
	v_add_u32_e32 v3, v1, v3
	v_lshrrev_b32_e32 v3, s6, v3
	v_mul_lo_u32 v6, v3, s4
	v_sub_u32_e32 v1, v1, v6
	v_mul_lo_u32 v15, v1, s8
	v_mul_lo_u32 v19, v1, s9
	v_mul_lo_u32 v17, v1, s10
	s_cbranch_scc1 .LBB5_152
; %bb.151:
	s_load_dwordx4 s[4:7], s[12:13], 0x10
	s_load_dwordx4 s[8:11], s[12:13], 0xd0
	s_waitcnt lgkmcnt(0)
	v_mul_hi_u32 v1, s5, v3
	v_add_u32_e32 v1, v3, v1
	v_lshrrev_b32_e32 v1, s6, v1
	v_mul_lo_u32 v1, v1, s4
	v_sub_u32_e32 v1, v3, v1
	v_mad_u64_u32 v[15:16], s[2:3], v1, s8, v[15:16]
	v_mad_u64_u32 v[19:20], s[2:3], v1, s9, v[19:20]
	;; [unrolled: 1-line block ×3, first 2 shown]
.LBB5_152:
	s_and_b64 vcc, exec, s[0:1]
	v_add_u32_e32 v1, 0x200, v31
	s_cbranch_vccnz .LBB5_158
; %bb.153:
	s_cmp_lg_u32 s33, 0
	s_cbranch_scc0 .LBB5_159
; %bb.154:
	s_min_u32 s4, s36, 15
	s_add_i32 s2, s4, 1
	s_and_b32 s5, s2, 30
	s_add_u32 s2, s12, 0xffffffe8
	s_addc_u32 s3, s13, -1
	v_mov_b32_e32 v22, 0
	v_mov_b32_e32 v24, 0
	;; [unrolled: 1-line block ×4, first 2 shown]
.LBB5_155:                              ; =>This Inner Loop Header: Depth=1
	s_load_dwordx4 s[8:11], s[2:3], 0x1c
	s_load_dwordx2 s[6:7], s[2:3], 0x2c
	s_load_dwordx2 s[14:15], s[2:3], 0xec
	s_load_dwordx4 s[16:19], s[2:3], 0xdc
	s_add_u32 s2, s2, 24
	s_waitcnt lgkmcnt(0)
	v_mul_hi_u32 v6, s9, v3
	s_addc_u32 s3, s3, 0
	s_add_i32 s5, s5, -2
	s_cmp_lg_u32 s5, 0
	v_add_u32_e32 v6, v3, v6
	v_lshrrev_b32_e32 v6, s10, v6
	v_mul_lo_u32 v8, v6, s8
	v_mul_hi_u32 v11, s6, v6
	v_sub_u32_e32 v8, v3, v8
	v_add_u32_e32 v3, v6, v11
	v_lshrrev_b32_e32 v3, s7, v3
	v_mul_lo_u32 v16, v3, s11
	v_mul_lo_u32 v11, v8, s16
	;; [unrolled: 1-line block ×4, first 2 shown]
	v_sub_u32_e32 v6, v6, v16
	v_mul_lo_u32 v16, v6, s19
	v_mul_lo_u32 v18, v6, s14
	;; [unrolled: 1-line block ×3, first 2 shown]
	v_add3_u32 v20, v11, v20, v16
	v_add3_u32 v24, v13, v24, v18
	;; [unrolled: 1-line block ×3, first 2 shown]
	s_cbranch_scc1 .LBB5_155
; %bb.156:
	s_bitcmp1_b32 s4, 0
	s_cselect_b64 s[4:5], -1, 0
	s_and_b64 vcc, exec, s[4:5]
	s_cbranch_vccnz .LBB5_160
; %bb.157:
	s_load_dwordx2 s[4:5], s[2:3], 0x1c
	s_load_dword s8, s[2:3], 0x24
	s_load_dwordx2 s[6:7], s[2:3], 0xdc
	s_waitcnt lgkmcnt(0)
	v_mul_hi_u32 v6, s5, v3
	v_add_u32_e32 v6, v3, v6
	v_lshrrev_b32_e32 v6, s8, v6
	v_mul_lo_u32 v6, v6, s4
	s_load_dword s4, s[2:3], 0xe4
	v_sub_u32_e32 v3, v3, v6
	v_mad_u64_u32 v[20:21], s[2:3], v3, s6, v[20:21]
	v_mad_u64_u32 v[24:25], s[2:3], v3, s7, v[24:25]
	s_waitcnt lgkmcnt(0)
	v_mad_u64_u32 v[22:23], s[2:3], v3, s4, v[22:23]
	s_cbranch_execz .LBB5_161
	s_branch .LBB5_163
.LBB5_158:
                                        ; implicit-def: $vgpr20
                                        ; implicit-def: $vgpr24
                                        ; implicit-def: $vgpr22
	s_branch .LBB5_161
.LBB5_159:
	v_mov_b32_e32 v20, 0
	v_mov_b32_e32 v24, 0
	;; [unrolled: 1-line block ×3, first 2 shown]
.LBB5_160:
	s_cbranch_execnz .LBB5_163
.LBB5_161:
	s_load_dwordx4 s[4:7], s[12:13], 0x4
	s_load_dwordx4 s[8:11], s[12:13], 0xc4
	s_cmp_lt_u32 s33, 2
	s_waitcnt lgkmcnt(0)
	v_mul_hi_u32 v3, s5, v1
	v_add_u32_e32 v3, v1, v3
	v_lshrrev_b32_e32 v3, s6, v3
	v_mul_lo_u32 v6, v3, s4
	v_sub_u32_e32 v1, v1, v6
	v_mul_lo_u32 v20, v1, s8
	v_mul_lo_u32 v24, v1, s9
	;; [unrolled: 1-line block ×3, first 2 shown]
	s_cbranch_scc1 .LBB5_163
; %bb.162:
	s_load_dwordx4 s[4:7], s[12:13], 0x10
	s_load_dwordx4 s[8:11], s[12:13], 0xd0
	s_waitcnt lgkmcnt(0)
	v_mul_hi_u32 v1, s5, v3
	v_add_u32_e32 v1, v3, v1
	v_lshrrev_b32_e32 v1, s6, v1
	v_mul_lo_u32 v1, v1, s4
	v_sub_u32_e32 v1, v3, v1
	v_mad_u64_u32 v[20:21], s[2:3], v1, s8, v[20:21]
	v_mad_u64_u32 v[24:25], s[2:3], v1, s9, v[24:25]
	;; [unrolled: 1-line block ×3, first 2 shown]
.LBB5_163:
	s_and_b64 vcc, exec, s[0:1]
	v_add_u32_e32 v1, 0x280, v31
	s_cbranch_vccnz .LBB5_169
; %bb.164:
	s_cmp_lg_u32 s33, 0
	s_cbranch_scc0 .LBB5_170
; %bb.165:
	s_min_u32 s4, s36, 15
	s_add_i32 s2, s4, 1
	s_and_b32 s5, s2, 30
	s_add_u32 s2, s12, 0xffffffe8
	s_addc_u32 s3, s13, -1
	v_mov_b32_e32 v27, 0
	v_mov_b32_e32 v29, 0
	;; [unrolled: 1-line block ×4, first 2 shown]
.LBB5_166:                              ; =>This Inner Loop Header: Depth=1
	s_load_dwordx4 s[8:11], s[2:3], 0x1c
	s_load_dwordx2 s[6:7], s[2:3], 0x2c
	s_load_dwordx2 s[14:15], s[2:3], 0xec
	s_load_dwordx4 s[16:19], s[2:3], 0xdc
	s_add_u32 s2, s2, 24
	s_waitcnt lgkmcnt(0)
	v_mul_hi_u32 v6, s9, v3
	s_addc_u32 s3, s3, 0
	s_add_i32 s5, s5, -2
	s_cmp_lg_u32 s5, 0
	v_add_u32_e32 v6, v3, v6
	v_lshrrev_b32_e32 v6, s10, v6
	v_mul_lo_u32 v8, v6, s8
	v_mul_hi_u32 v11, s6, v6
	v_sub_u32_e32 v8, v3, v8
	v_add_u32_e32 v3, v6, v11
	v_lshrrev_b32_e32 v3, s7, v3
	v_mul_lo_u32 v16, v3, s11
	v_mul_lo_u32 v11, v8, s16
	;; [unrolled: 1-line block ×4, first 2 shown]
	v_sub_u32_e32 v6, v6, v16
	v_mul_lo_u32 v16, v6, s19
	v_mul_lo_u32 v18, v6, s14
	;; [unrolled: 1-line block ×3, first 2 shown]
	v_add3_u32 v25, v11, v25, v16
	v_add3_u32 v29, v13, v29, v18
	;; [unrolled: 1-line block ×3, first 2 shown]
	s_cbranch_scc1 .LBB5_166
; %bb.167:
	s_bitcmp1_b32 s4, 0
	s_cselect_b64 s[4:5], -1, 0
	s_and_b64 vcc, exec, s[4:5]
	s_cbranch_vccnz .LBB5_171
; %bb.168:
	s_load_dwordx2 s[4:5], s[2:3], 0x1c
	s_load_dword s8, s[2:3], 0x24
	s_load_dwordx2 s[6:7], s[2:3], 0xdc
	s_waitcnt lgkmcnt(0)
	v_mul_hi_u32 v6, s5, v3
	v_add_u32_e32 v6, v3, v6
	v_lshrrev_b32_e32 v6, s8, v6
	v_mul_lo_u32 v6, v6, s4
	s_load_dword s4, s[2:3], 0xe4
	v_sub_u32_e32 v3, v3, v6
	v_mad_u64_u32 v[25:26], s[2:3], v3, s6, v[25:26]
	v_mad_u64_u32 v[29:30], s[2:3], v3, s7, v[29:30]
	s_waitcnt lgkmcnt(0)
	v_mad_u64_u32 v[27:28], s[2:3], v3, s4, v[27:28]
	s_cbranch_execz .LBB5_172
	s_branch .LBB5_174
.LBB5_169:
                                        ; implicit-def: $vgpr25
                                        ; implicit-def: $vgpr29
                                        ; implicit-def: $vgpr27
	s_branch .LBB5_172
.LBB5_170:
	v_mov_b32_e32 v25, 0
	v_mov_b32_e32 v29, 0
	;; [unrolled: 1-line block ×3, first 2 shown]
.LBB5_171:
	s_cbranch_execnz .LBB5_174
.LBB5_172:
	s_load_dwordx4 s[4:7], s[12:13], 0x4
	s_load_dwordx4 s[8:11], s[12:13], 0xc4
	s_cmp_lt_u32 s33, 2
	s_waitcnt lgkmcnt(0)
	v_mul_hi_u32 v3, s5, v1
	v_add_u32_e32 v3, v1, v3
	v_lshrrev_b32_e32 v3, s6, v3
	v_mul_lo_u32 v6, v3, s4
	v_sub_u32_e32 v1, v1, v6
	v_mul_lo_u32 v25, v1, s8
	v_mul_lo_u32 v29, v1, s9
	v_mul_lo_u32 v27, v1, s10
	s_cbranch_scc1 .LBB5_174
; %bb.173:
	s_load_dwordx4 s[4:7], s[12:13], 0x10
	s_load_dwordx4 s[8:11], s[12:13], 0xd0
	s_waitcnt lgkmcnt(0)
	v_mul_hi_u32 v1, s5, v3
	v_add_u32_e32 v1, v3, v1
	v_lshrrev_b32_e32 v1, s6, v1
	v_mul_lo_u32 v1, v1, s4
	v_sub_u32_e32 v1, v3, v1
	v_mad_u64_u32 v[25:26], s[2:3], v1, s8, v[25:26]
	v_mad_u64_u32 v[29:30], s[2:3], v1, s9, v[29:30]
	;; [unrolled: 1-line block ×3, first 2 shown]
.LBB5_174:
	s_and_b64 vcc, exec, s[0:1]
	v_add_u32_e32 v1, 0x300, v31
	s_cbranch_vccnz .LBB5_180
; %bb.175:
	s_cmp_lg_u32 s33, 0
	s_cbranch_scc0 .LBB5_181
; %bb.176:
	s_min_u32 s4, s36, 15
	s_add_i32 s2, s4, 1
	s_and_b32 s5, s2, 30
	s_add_u32 s2, s12, 0xffffffe8
	s_addc_u32 s3, s13, -1
	v_mov_b32_e32 v34, 0
	v_mov_b32_e32 v32, 0
	;; [unrolled: 1-line block ×4, first 2 shown]
.LBB5_177:                              ; =>This Inner Loop Header: Depth=1
	s_load_dwordx4 s[8:11], s[2:3], 0x1c
	s_load_dwordx2 s[6:7], s[2:3], 0x2c
	s_load_dwordx2 s[14:15], s[2:3], 0xec
	s_load_dwordx4 s[16:19], s[2:3], 0xdc
	s_add_u32 s2, s2, 24
	s_waitcnt lgkmcnt(0)
	v_mul_hi_u32 v6, s9, v3
	s_addc_u32 s3, s3, 0
	s_add_i32 s5, s5, -2
	s_cmp_lg_u32 s5, 0
	v_add_u32_e32 v6, v3, v6
	v_lshrrev_b32_e32 v6, s10, v6
	v_mul_lo_u32 v8, v6, s8
	v_mul_hi_u32 v11, s6, v6
	v_sub_u32_e32 v8, v3, v8
	v_add_u32_e32 v3, v6, v11
	v_lshrrev_b32_e32 v3, s7, v3
	v_mul_lo_u32 v16, v3, s11
	v_mul_lo_u32 v11, v8, s16
	;; [unrolled: 1-line block ×4, first 2 shown]
	v_sub_u32_e32 v6, v6, v16
	v_mul_lo_u32 v16, v6, s19
	v_mul_lo_u32 v18, v6, s14
	;; [unrolled: 1-line block ×3, first 2 shown]
	v_add3_u32 v30, v11, v30, v16
	v_add3_u32 v32, v13, v32, v18
	;; [unrolled: 1-line block ×3, first 2 shown]
	s_cbranch_scc1 .LBB5_177
; %bb.178:
	s_bitcmp1_b32 s4, 0
	s_cselect_b64 s[4:5], -1, 0
	s_and_b64 vcc, exec, s[4:5]
	s_cbranch_vccnz .LBB5_182
; %bb.179:
	s_load_dwordx2 s[4:5], s[2:3], 0x1c
	s_load_dword s8, s[2:3], 0x24
	s_load_dwordx2 s[6:7], s[2:3], 0xdc
	s_waitcnt lgkmcnt(0)
	v_mul_hi_u32 v6, s5, v3
	v_add_u32_e32 v6, v3, v6
	v_lshrrev_b32_e32 v6, s8, v6
	v_mul_lo_u32 v6, v6, s4
	s_load_dword s4, s[2:3], 0xe4
	v_sub_u32_e32 v3, v3, v6
	v_mad_u64_u32 v[30:31], s[2:3], v3, s6, v[30:31]
	v_mad_u64_u32 v[32:33], s[2:3], v3, s7, v[32:33]
	s_waitcnt lgkmcnt(0)
	v_mad_u64_u32 v[34:35], s[2:3], v3, s4, v[34:35]
	s_cbranch_execz .LBB5_183
	s_branch .LBB5_185
.LBB5_180:
                                        ; implicit-def: $vgpr30
                                        ; implicit-def: $vgpr32
                                        ; implicit-def: $vgpr34
	s_branch .LBB5_183
.LBB5_181:
	v_mov_b32_e32 v30, 0
	v_mov_b32_e32 v32, 0
	;; [unrolled: 1-line block ×3, first 2 shown]
.LBB5_182:
	s_cbranch_execnz .LBB5_185
.LBB5_183:
	s_load_dwordx4 s[4:7], s[12:13], 0x4
	s_load_dwordx4 s[8:11], s[12:13], 0xc4
	s_cmp_lt_u32 s33, 2
	s_waitcnt lgkmcnt(0)
	v_mul_hi_u32 v3, s5, v1
	v_add_u32_e32 v3, v1, v3
	v_lshrrev_b32_e32 v3, s6, v3
	v_mul_lo_u32 v6, v3, s4
	v_sub_u32_e32 v1, v1, v6
	v_mul_lo_u32 v30, v1, s8
	v_mul_lo_u32 v32, v1, s9
	;; [unrolled: 1-line block ×3, first 2 shown]
	s_cbranch_scc1 .LBB5_185
; %bb.184:
	s_load_dwordx4 s[4:7], s[12:13], 0x10
	s_load_dwordx4 s[8:11], s[12:13], 0xd0
	s_waitcnt lgkmcnt(0)
	v_mul_hi_u32 v1, s5, v3
	v_add_u32_e32 v1, v3, v1
	v_lshrrev_b32_e32 v1, s6, v1
	v_mul_lo_u32 v1, v1, s4
	v_sub_u32_e32 v1, v3, v1
	v_mad_u64_u32 v[30:31], s[2:3], v1, s8, v[30:31]
	v_mad_u64_u32 v[32:33], s[2:3], v1, s9, v[32:33]
	;; [unrolled: 1-line block ×3, first 2 shown]
.LBB5_185:
	s_and_b64 vcc, exec, s[0:1]
	s_cbranch_vccnz .LBB5_191
; %bb.186:
	s_cmp_lg_u32 s33, 0
	s_cbranch_scc0 .LBB5_192
; %bb.187:
	s_min_u32 s2, s36, 15
	s_add_i32 s0, s2, 1
	s_and_b32 s3, s0, 30
	s_add_u32 s0, s12, 0xffffffe8
	s_addc_u32 s1, s13, -1
	v_mov_b32_e32 v39, 0
	v_mov_b32_e32 v37, 0
	v_mov_b32_e32 v35, 0
	v_mov_b32_e32 v1, v41
.LBB5_188:                              ; =>This Inner Loop Header: Depth=1
	s_load_dwordx4 s[4:7], s[0:1], 0x1c
	s_load_dwordx2 s[14:15], s[0:1], 0x2c
	s_load_dwordx2 s[16:17], s[0:1], 0xec
	s_load_dwordx4 s[8:11], s[0:1], 0xdc
	s_add_u32 s0, s0, 24
	s_waitcnt lgkmcnt(0)
	v_mul_hi_u32 v3, s5, v1
	s_addc_u32 s1, s1, 0
	s_add_i32 s3, s3, -2
	s_cmp_lg_u32 s3, 0
	v_add_u32_e32 v3, v1, v3
	v_lshrrev_b32_e32 v3, s6, v3
	v_mul_lo_u32 v6, v3, s4
	v_mul_hi_u32 v8, s14, v3
	v_sub_u32_e32 v6, v1, v6
	v_add_u32_e32 v1, v3, v8
	v_lshrrev_b32_e32 v1, s15, v1
	v_mul_lo_u32 v13, v1, s7
	v_mul_lo_u32 v8, v6, s8
	v_mul_lo_u32 v11, v6, s9
	v_mul_lo_u32 v6, v6, s10
	v_sub_u32_e32 v3, v3, v13
	v_mul_lo_u32 v13, v3, s11
	v_mul_lo_u32 v16, v3, s16
	;; [unrolled: 1-line block ×3, first 2 shown]
	v_add3_u32 v35, v8, v35, v13
	v_add3_u32 v37, v11, v37, v16
	v_add3_u32 v39, v6, v39, v3
	s_cbranch_scc1 .LBB5_188
; %bb.189:
	s_bitcmp1_b32 s2, 0
	s_cselect_b64 s[2:3], -1, 0
	s_and_b64 vcc, exec, s[2:3]
	s_cbranch_vccnz .LBB5_193
; %bb.190:
	s_load_dwordx2 s[2:3], s[0:1], 0x1c
	s_load_dword s6, s[0:1], 0x24
	s_load_dwordx2 s[4:5], s[0:1], 0xdc
	s_waitcnt lgkmcnt(0)
	v_mul_hi_u32 v3, s3, v1
	v_add_u32_e32 v3, v1, v3
	v_lshrrev_b32_e32 v3, s6, v3
	v_mul_lo_u32 v3, v3, s2
	s_load_dword s2, s[0:1], 0xe4
	v_sub_u32_e32 v1, v1, v3
	v_mad_u64_u32 v[35:36], s[0:1], v1, s4, v[35:36]
	v_mad_u64_u32 v[37:38], s[0:1], v1, s5, v[37:38]
	s_waitcnt lgkmcnt(0)
	v_mad_u64_u32 v[39:40], s[0:1], v1, s2, v[39:40]
	s_cbranch_execz .LBB5_194
	s_branch .LBB5_196
.LBB5_191:
                                        ; implicit-def: $vgpr35
                                        ; implicit-def: $vgpr37
                                        ; implicit-def: $vgpr39
	s_branch .LBB5_194
.LBB5_192:
	v_mov_b32_e32 v35, 0
	v_mov_b32_e32 v37, 0
	;; [unrolled: 1-line block ×3, first 2 shown]
.LBB5_193:
	s_cbranch_execnz .LBB5_196
.LBB5_194:
	s_load_dwordx4 s[0:3], s[12:13], 0x4
	s_load_dwordx4 s[4:7], s[12:13], 0xc4
	s_cmp_lt_u32 s33, 2
	s_waitcnt lgkmcnt(0)
	v_mul_hi_u32 v1, s1, v41
	v_add_u32_e32 v1, v41, v1
	v_lshrrev_b32_e32 v1, s2, v1
	v_mul_lo_u32 v3, v1, s0
	v_sub_u32_e32 v3, v41, v3
	v_mul_lo_u32 v35, v3, s4
	v_mul_lo_u32 v37, v3, s5
	;; [unrolled: 1-line block ×3, first 2 shown]
	s_cbranch_scc1 .LBB5_196
; %bb.195:
	s_load_dwordx4 s[0:3], s[12:13], 0x10
	s_load_dwordx4 s[4:7], s[12:13], 0xd0
	s_waitcnt lgkmcnt(0)
	v_mul_hi_u32 v3, s1, v1
	v_add_u32_e32 v3, v1, v3
	v_lshrrev_b32_e32 v3, s2, v3
	v_mul_lo_u32 v3, v3, s0
	v_sub_u32_e32 v1, v1, v3
	v_mad_u64_u32 v[35:36], s[0:1], v1, s4, v[35:36]
	v_mad_u64_u32 v[37:38], s[0:1], v1, s5, v[37:38]
	;; [unrolled: 1-line block ×3, first 2 shown]
.LBB5_196:
	s_load_dwordx4 s[16:19], s[12:13], 0x188
	s_load_dwordx2 s[0:1], s[12:13], 0x198
	s_waitcnt lgkmcnt(0)
	global_load_ubyte v1, v4, s[18:19]
	s_nop 0
	global_load_ubyte v3, v2, s[0:1]
	global_load_ubyte v6, v9, s[18:19]
	global_load_ubyte v8, v7, s[0:1]
	global_load_ubyte v11, v14, s[18:19]
	global_load_ubyte v13, v12, s[0:1]
	global_load_ubyte v16, v19, s[18:19]
	global_load_ubyte v18, v17, s[0:1]
                                        ; kill: killed $vgpr4
                                        ; kill: killed $vgpr9
                                        ; kill: killed $vgpr2
                                        ; kill: killed $vgpr14
                                        ; kill: killed $vgpr7
                                        ; kill: killed $vgpr19
                                        ; kill: killed $vgpr12
                                        ; kill: killed $vgpr17
	global_load_ubyte v2, v24, s[18:19]
	global_load_ubyte v4, v22, s[0:1]
	;; [unrolled: 1-line block ×8, first 2 shown]
	s_load_dword s0, s[12:13], 0x1a0
	s_waitcnt lgkmcnt(0)
	s_cmp_eq_u32 s0, 0
	s_cselect_b64 s[14:15], -1, 0
	s_waitcnt vmcnt(14)
	v_cmp_ne_u16_e32 vcc, v1, v3
	s_xor_b64 s[18:19], s[14:15], vcc
	s_waitcnt vmcnt(12)
	v_cmp_ne_u16_e64 s[0:1], v6, v8
	s_xor_b64 s[0:1], s[14:15], s[0:1]
	s_waitcnt vmcnt(10)
	v_cmp_ne_u16_e64 s[2:3], v11, v13
	v_cndmask_b32_e64 v1, 0, 1, s[18:19]
	s_waitcnt vmcnt(8)
	v_cmp_ne_u16_e64 s[4:5], v16, v18
	s_waitcnt vmcnt(6)
	v_cmp_ne_u16_e64 s[6:7], v2, v4
	v_cndmask_b32_e64 v2, 0, 1, s[0:1]
	s_xor_b64 s[0:1], s[14:15], s[2:3]
	v_cndmask_b32_e64 v3, 0, 1, s[0:1]
	s_xor_b64 s[0:1], s[14:15], s[4:5]
	s_waitcnt vmcnt(4)
	v_cmp_ne_u16_e64 s[8:9], v7, v9
	v_cndmask_b32_e64 v4, 0, 1, s[0:1]
	s_xor_b64 s[0:1], s[14:15], s[6:7]
	s_waitcnt vmcnt(2)
	v_cmp_ne_u16_e64 s[10:11], v12, v14
	;; [unrolled: 4-line block ×3, first 2 shown]
	v_cndmask_b32_e64 v7, 0, 1, s[0:1]
	s_xor_b64 s[0:1], s[14:15], s[10:11]
	v_cndmask_b32_e64 v8, 0, 1, s[0:1]
	s_xor_b64 s[0:1], s[14:15], s[12:13]
	v_cndmask_b32_e64 v9, 0, 1, s[0:1]
	global_store_byte v0, v1, s[16:17]
	global_store_byte v5, v2, s[16:17]
	;; [unrolled: 1-line block ×8, first 2 shown]
	s_endpgm
	.section	.rodata,"a",@progbits
	.p2align	6, 0x0
	.amdhsa_kernel _ZN2at6native32elementwise_kernel_manual_unrollILi128ELi8EZNS0_22gpu_kernel_impl_nocastINS0_13BinaryFunctorIhhbNS0_12_GLOBAL__N_116CompareEqFunctorIhEEEEEEvRNS_18TensorIteratorBaseERKT_EUlibE_EEviT1_
		.amdhsa_group_segment_fixed_size 0
		.amdhsa_private_segment_fixed_size 0
		.amdhsa_kernarg_size 432
		.amdhsa_user_sgpr_count 6
		.amdhsa_user_sgpr_private_segment_buffer 1
		.amdhsa_user_sgpr_dispatch_ptr 0
		.amdhsa_user_sgpr_queue_ptr 0
		.amdhsa_user_sgpr_kernarg_segment_ptr 1
		.amdhsa_user_sgpr_dispatch_id 0
		.amdhsa_user_sgpr_flat_scratch_init 0
		.amdhsa_user_sgpr_private_segment_size 0
		.amdhsa_uses_dynamic_stack 0
		.amdhsa_system_sgpr_private_segment_wavefront_offset 0
		.amdhsa_system_sgpr_workgroup_id_x 1
		.amdhsa_system_sgpr_workgroup_id_y 0
		.amdhsa_system_sgpr_workgroup_id_z 0
		.amdhsa_system_sgpr_workgroup_info 0
		.amdhsa_system_vgpr_workitem_id 0
		.amdhsa_next_free_vgpr 42
		.amdhsa_next_free_sgpr 52
		.amdhsa_reserve_vcc 1
		.amdhsa_reserve_flat_scratch 0
		.amdhsa_float_round_mode_32 0
		.amdhsa_float_round_mode_16_64 0
		.amdhsa_float_denorm_mode_32 3
		.amdhsa_float_denorm_mode_16_64 3
		.amdhsa_dx10_clamp 1
		.amdhsa_ieee_mode 1
		.amdhsa_fp16_overflow 0
		.amdhsa_exception_fp_ieee_invalid_op 0
		.amdhsa_exception_fp_denorm_src 0
		.amdhsa_exception_fp_ieee_div_zero 0
		.amdhsa_exception_fp_ieee_overflow 0
		.amdhsa_exception_fp_ieee_underflow 0
		.amdhsa_exception_fp_ieee_inexact 0
		.amdhsa_exception_int_div_zero 0
	.end_amdhsa_kernel
	.section	.text._ZN2at6native32elementwise_kernel_manual_unrollILi128ELi8EZNS0_22gpu_kernel_impl_nocastINS0_13BinaryFunctorIhhbNS0_12_GLOBAL__N_116CompareEqFunctorIhEEEEEEvRNS_18TensorIteratorBaseERKT_EUlibE_EEviT1_,"axG",@progbits,_ZN2at6native32elementwise_kernel_manual_unrollILi128ELi8EZNS0_22gpu_kernel_impl_nocastINS0_13BinaryFunctorIhhbNS0_12_GLOBAL__N_116CompareEqFunctorIhEEEEEEvRNS_18TensorIteratorBaseERKT_EUlibE_EEviT1_,comdat
.Lfunc_end5:
	.size	_ZN2at6native32elementwise_kernel_manual_unrollILi128ELi8EZNS0_22gpu_kernel_impl_nocastINS0_13BinaryFunctorIhhbNS0_12_GLOBAL__N_116CompareEqFunctorIhEEEEEEvRNS_18TensorIteratorBaseERKT_EUlibE_EEviT1_, .Lfunc_end5-_ZN2at6native32elementwise_kernel_manual_unrollILi128ELi8EZNS0_22gpu_kernel_impl_nocastINS0_13BinaryFunctorIhhbNS0_12_GLOBAL__N_116CompareEqFunctorIhEEEEEEvRNS_18TensorIteratorBaseERKT_EUlibE_EEviT1_
                                        ; -- End function
	.set _ZN2at6native32elementwise_kernel_manual_unrollILi128ELi8EZNS0_22gpu_kernel_impl_nocastINS0_13BinaryFunctorIhhbNS0_12_GLOBAL__N_116CompareEqFunctorIhEEEEEEvRNS_18TensorIteratorBaseERKT_EUlibE_EEviT1_.num_vgpr, 42
	.set _ZN2at6native32elementwise_kernel_manual_unrollILi128ELi8EZNS0_22gpu_kernel_impl_nocastINS0_13BinaryFunctorIhhbNS0_12_GLOBAL__N_116CompareEqFunctorIhEEEEEEvRNS_18TensorIteratorBaseERKT_EUlibE_EEviT1_.num_agpr, 0
	.set _ZN2at6native32elementwise_kernel_manual_unrollILi128ELi8EZNS0_22gpu_kernel_impl_nocastINS0_13BinaryFunctorIhhbNS0_12_GLOBAL__N_116CompareEqFunctorIhEEEEEEvRNS_18TensorIteratorBaseERKT_EUlibE_EEviT1_.numbered_sgpr, 52
	.set _ZN2at6native32elementwise_kernel_manual_unrollILi128ELi8EZNS0_22gpu_kernel_impl_nocastINS0_13BinaryFunctorIhhbNS0_12_GLOBAL__N_116CompareEqFunctorIhEEEEEEvRNS_18TensorIteratorBaseERKT_EUlibE_EEviT1_.num_named_barrier, 0
	.set _ZN2at6native32elementwise_kernel_manual_unrollILi128ELi8EZNS0_22gpu_kernel_impl_nocastINS0_13BinaryFunctorIhhbNS0_12_GLOBAL__N_116CompareEqFunctorIhEEEEEEvRNS_18TensorIteratorBaseERKT_EUlibE_EEviT1_.private_seg_size, 0
	.set _ZN2at6native32elementwise_kernel_manual_unrollILi128ELi8EZNS0_22gpu_kernel_impl_nocastINS0_13BinaryFunctorIhhbNS0_12_GLOBAL__N_116CompareEqFunctorIhEEEEEEvRNS_18TensorIteratorBaseERKT_EUlibE_EEviT1_.uses_vcc, 1
	.set _ZN2at6native32elementwise_kernel_manual_unrollILi128ELi8EZNS0_22gpu_kernel_impl_nocastINS0_13BinaryFunctorIhhbNS0_12_GLOBAL__N_116CompareEqFunctorIhEEEEEEvRNS_18TensorIteratorBaseERKT_EUlibE_EEviT1_.uses_flat_scratch, 0
	.set _ZN2at6native32elementwise_kernel_manual_unrollILi128ELi8EZNS0_22gpu_kernel_impl_nocastINS0_13BinaryFunctorIhhbNS0_12_GLOBAL__N_116CompareEqFunctorIhEEEEEEvRNS_18TensorIteratorBaseERKT_EUlibE_EEviT1_.has_dyn_sized_stack, 0
	.set _ZN2at6native32elementwise_kernel_manual_unrollILi128ELi8EZNS0_22gpu_kernel_impl_nocastINS0_13BinaryFunctorIhhbNS0_12_GLOBAL__N_116CompareEqFunctorIhEEEEEEvRNS_18TensorIteratorBaseERKT_EUlibE_EEviT1_.has_recursion, 0
	.set _ZN2at6native32elementwise_kernel_manual_unrollILi128ELi8EZNS0_22gpu_kernel_impl_nocastINS0_13BinaryFunctorIhhbNS0_12_GLOBAL__N_116CompareEqFunctorIhEEEEEEvRNS_18TensorIteratorBaseERKT_EUlibE_EEviT1_.has_indirect_call, 0
	.section	.AMDGPU.csdata,"",@progbits
; Kernel info:
; codeLenInByte = 9384
; TotalNumSgprs: 56
; NumVgprs: 42
; ScratchSize: 0
; MemoryBound: 0
; FloatMode: 240
; IeeeMode: 1
; LDSByteSize: 0 bytes/workgroup (compile time only)
; SGPRBlocks: 6
; VGPRBlocks: 10
; NumSGPRsForWavesPerEU: 56
; NumVGPRsForWavesPerEU: 42
; Occupancy: 5
; WaveLimiterHint : 1
; COMPUTE_PGM_RSRC2:SCRATCH_EN: 0
; COMPUTE_PGM_RSRC2:USER_SGPR: 6
; COMPUTE_PGM_RSRC2:TRAP_HANDLER: 0
; COMPUTE_PGM_RSRC2:TGID_X_EN: 1
; COMPUTE_PGM_RSRC2:TGID_Y_EN: 0
; COMPUTE_PGM_RSRC2:TGID_Z_EN: 0
; COMPUTE_PGM_RSRC2:TIDIG_COMP_CNT: 0
	.section	.text._ZN2at6native32elementwise_kernel_manual_unrollILi128ELi4EZNS0_15gpu_kernel_implINS0_13BinaryFunctorIhhbNS0_12_GLOBAL__N_116CompareEqFunctorIhEEEEEEvRNS_18TensorIteratorBaseERKT_EUlibE_EEviT1_,"axG",@progbits,_ZN2at6native32elementwise_kernel_manual_unrollILi128ELi4EZNS0_15gpu_kernel_implINS0_13BinaryFunctorIhhbNS0_12_GLOBAL__N_116CompareEqFunctorIhEEEEEEvRNS_18TensorIteratorBaseERKT_EUlibE_EEviT1_,comdat
	.globl	_ZN2at6native32elementwise_kernel_manual_unrollILi128ELi4EZNS0_15gpu_kernel_implINS0_13BinaryFunctorIhhbNS0_12_GLOBAL__N_116CompareEqFunctorIhEEEEEEvRNS_18TensorIteratorBaseERKT_EUlibE_EEviT1_ ; -- Begin function _ZN2at6native32elementwise_kernel_manual_unrollILi128ELi4EZNS0_15gpu_kernel_implINS0_13BinaryFunctorIhhbNS0_12_GLOBAL__N_116CompareEqFunctorIhEEEEEEvRNS_18TensorIteratorBaseERKT_EUlibE_EEviT1_
	.p2align	8
	.type	_ZN2at6native32elementwise_kernel_manual_unrollILi128ELi4EZNS0_15gpu_kernel_implINS0_13BinaryFunctorIhhbNS0_12_GLOBAL__N_116CompareEqFunctorIhEEEEEEvRNS_18TensorIteratorBaseERKT_EUlibE_EEviT1_,@function
_ZN2at6native32elementwise_kernel_manual_unrollILi128ELi4EZNS0_15gpu_kernel_implINS0_13BinaryFunctorIhhbNS0_12_GLOBAL__N_116CompareEqFunctorIhEEEEEEvRNS_18TensorIteratorBaseERKT_EUlibE_EEviT1_: ; @_ZN2at6native32elementwise_kernel_manual_unrollILi128ELi4EZNS0_15gpu_kernel_implINS0_13BinaryFunctorIhhbNS0_12_GLOBAL__N_116CompareEqFunctorIhEEEEEEvRNS_18TensorIteratorBaseERKT_EUlibE_EEviT1_
; %bb.0:
	s_load_dword s33, s[4:5], 0x30
	s_load_dword s50, s[4:5], 0x0
	s_load_dwordx4 s[8:11], s[4:5], 0x8
	s_load_dwordx2 s[2:3], s[4:5], 0x18
	s_load_dwordx4 s[12:15], s[4:5], 0x20
	v_lshl_or_b32 v11, s6, 9, v0
	v_or_b32_e32 v0, 0x180, v11
	s_waitcnt lgkmcnt(0)
	s_lshr_b32 s57, s33, 8
	s_lshr_b32 s56, s33, 16
	v_cmp_le_i32_e32 vcc, s50, v0
	s_mov_b64 s[4:5], 0
	s_mov_b64 s[16:17], 0
	s_and_saveexec_b64 s[0:1], vcc
	s_xor_b64 s[6:7], exec, s[0:1]
	s_cbranch_execz .LBB6_1512
; %bb.1:
	s_cmp_eq_u32 s15, 0
	s_cselect_b64 s[16:17], -1, 0
	v_cmp_gt_i32_e32 vcc, s50, v11
	s_mov_b64 s[0:1], -1
	s_mov_b64 s[28:29], 0
	s_mov_b64 s[22:23], 0
	;; [unrolled: 1-line block ×4, first 2 shown]
	s_and_saveexec_b64 s[24:25], vcc
	s_cbranch_execz .LBB6_375
; %bb.2:
	v_mul_lo_u32 v0, v11, s13
	v_mov_b32_e32 v1, s11
	s_and_b32 s20, s57, 0xff
	s_cmp_lt_i32 s20, 11
	v_ashrrev_i32_e32 v3, 31, v0
	v_add_co_u32_e32 v2, vcc, s10, v0
	v_addc_co_u32_e32 v3, vcc, v1, v3, vcc
	s_cbranch_scc1 .LBB6_9
; %bb.3:
	s_and_b32 s21, 0xffff, s20
	s_cmp_gt_i32 s21, 25
	s_cbranch_scc0 .LBB6_18
; %bb.4:
	s_cmp_gt_i32 s21, 28
	s_cbranch_scc0 .LBB6_28
; %bb.5:
	;; [unrolled: 3-line block ×4, first 2 shown]
	s_cmp_eq_u32 s21, 46
	s_cbranch_scc0 .LBB6_37
; %bb.8:
	global_load_dword v0, v[2:3], off
	s_mov_b32 s0, 0x2f800000
	s_mov_b32 s1, 0xcf800000
	s_waitcnt vmcnt(0)
	v_lshlrev_b32_e32 v0, 16, v0
	v_trunc_f32_e32 v0, v0
	v_mul_f32_e64 v1, |v0|, s0
	v_floor_f32_e32 v1, v1
	v_fma_f32 v1, v1, s1, |v0|
	v_cvt_u32_f32_e32 v1, v1
	v_ashrrev_i32_e32 v0, 31, v0
	s_mov_b64 s[0:1], -1
	v_xor_b32_e32 v1, v1, v0
	v_sub_u32_e32 v0, v1, v0
	s_branch .LBB6_39
.LBB6_9:
                                        ; implicit-def: $vgpr0
	s_mov_b64 s[0:1], 0
	s_cbranch_execnz .LBB6_101
.LBB6_10:
	s_andn2_b64 vcc, exec, s[0:1]
	s_cbranch_vccnz .LBB6_148
.LBB6_11:
	s_waitcnt vmcnt(0)
	v_mul_lo_u32 v1, v11, s14
	v_mov_b32_e32 v2, s3
	s_and_b32 s26, s56, 0xff
	s_cmp_lt_i32 s26, 11
	v_ashrrev_i32_e32 v3, 31, v1
	v_add_co_u32_e32 v1, vcc, s2, v1
	v_addc_co_u32_e32 v2, vcc, v2, v3, vcc
	s_cbranch_scc1 .LBB6_19
; %bb.12:
	s_and_b32 s27, 0xffff, s26
	s_cmp_gt_i32 s27, 25
	s_cbranch_scc0 .LBB6_29
; %bb.13:
	s_cmp_gt_i32 s27, 28
	s_cbranch_scc0 .LBB6_32
; %bb.14:
	;; [unrolled: 3-line block ×4, first 2 shown]
	s_cmp_eq_u32 s27, 46
	s_mov_b64 s[18:19], 0
	s_cbranch_scc0 .LBB6_149
; %bb.17:
	global_load_dword v3, v[1:2], off
	s_mov_b32 s0, 0x2f800000
	s_mov_b32 s1, 0xcf800000
	s_mov_b64 s[20:21], 0
	s_waitcnt vmcnt(0)
	v_lshlrev_b32_e32 v3, 16, v3
	v_trunc_f32_e32 v3, v3
	v_mul_f32_e64 v4, |v3|, s0
	v_floor_f32_e32 v4, v4
	v_fma_f32 v4, v4, s1, |v3|
	v_cvt_u32_f32_e32 v4, v4
	v_ashrrev_i32_e32 v3, 31, v3
	s_mov_b64 s[0:1], -1
	v_xor_b32_e32 v4, v4, v3
	v_sub_u32_e32 v3, v4, v3
	s_branch .LBB6_151
.LBB6_18:
	s_mov_b64 s[0:1], 0
                                        ; implicit-def: $vgpr0
	s_cbranch_execnz .LBB6_68
	s_branch .LBB6_100
.LBB6_19:
	s_mov_b64 s[20:21], 0
                                        ; implicit-def: $vgpr3
	s_mov_b64 s[0:1], 0
	s_cbranch_execnz .LBB6_324
.LBB6_20:
	s_andn2_b64 vcc, exec, s[0:1]
	s_cbranch_vccnz .LBB6_372
.LBB6_21:
	v_mul_lo_u32 v1, v11, s12
	s_waitcnt vmcnt(0)
	v_cmp_ne_u16_sdwa s[0:1], v0, v3 src0_sel:BYTE_0 src1_sel:BYTE_0
	v_mov_b32_e32 v2, s9
	s_xor_b64 s[18:19], s[16:17], s[0:1]
	v_ashrrev_i32_e32 v3, 31, v1
	s_and_b32 s36, s33, 0xff
	v_add_co_u32_e32 v0, vcc, s8, v1
	s_cmp_lt_i32 s36, 11
	v_addc_co_u32_e32 v1, vcc, v2, v3, vcc
	s_cbranch_scc1 .LBB6_30
; %bb.22:
	s_and_b32 s37, 0xffff, s36
	s_cmp_gt_i32 s37, 25
	s_cbranch_scc0 .LBB6_33
; %bb.23:
	s_cmp_gt_i32 s37, 28
	s_cbranch_scc0 .LBB6_36
; %bb.24:
	;; [unrolled: 3-line block ×4, first 2 shown]
	s_mov_b64 s[30:31], 0
	s_mov_b64 s[0:1], -1
	s_cmp_eq_u32 s37, 46
	s_mov_b64 s[26:27], 0
	s_cbranch_scc0 .LBB6_155
; %bb.27:
	v_cndmask_b32_e64 v2, 0, 1.0, s[18:19]
	v_bfe_u32 v3, v2, 16, 1
	s_movk_i32 s0, 0x7fff
	v_add3_u32 v2, v2, v3, s0
	v_lshrrev_b32_e32 v2, 16, v2
	global_store_dword v[0:1], v2, off
	s_mov_b64 s[26:27], -1
	s_mov_b64 s[0:1], 0
	s_branch .LBB6_155
.LBB6_28:
	s_mov_b64 s[18:19], -1
	s_mov_b64 s[0:1], 0
                                        ; implicit-def: $vgpr0
	s_branch .LBB6_51
.LBB6_29:
	s_mov_b64 s[18:19], -1
	s_mov_b64 s[20:21], 0
	s_mov_b64 s[0:1], 0
                                        ; implicit-def: $vgpr3
	s_branch .LBB6_290
.LBB6_30:
	s_mov_b64 s[30:31], -1
	s_mov_b64 s[0:1], 0
	s_mov_b64 s[26:27], 0
	s_branch .LBB6_224
.LBB6_31:
	s_mov_b64 s[18:19], -1
	s_mov_b64 s[0:1], 0
                                        ; implicit-def: $vgpr0
	s_branch .LBB6_46
.LBB6_32:
	s_mov_b64 s[18:19], -1
	s_mov_b64 s[20:21], 0
	s_mov_b64 s[0:1], 0
                                        ; implicit-def: $vgpr3
	s_branch .LBB6_273
.LBB6_33:
	s_mov_b64 s[30:31], -1
	s_mov_b64 s[0:1], 0
	s_mov_b64 s[26:27], 0
	s_branch .LBB6_182
.LBB6_34:
	s_mov_b64 s[18:19], -1
	s_branch .LBB6_38
.LBB6_35:
	s_mov_b64 s[18:19], -1
	s_mov_b64 s[20:21], 0
	s_mov_b64 s[0:1], 0
                                        ; implicit-def: $vgpr3
	s_branch .LBB6_268
.LBB6_36:
	s_mov_b64 s[30:31], -1
	s_mov_b64 s[0:1], 0
	s_mov_b64 s[26:27], 0
	s_branch .LBB6_165
.LBB6_37:
	s_mov_b64 s[22:23], -1
.LBB6_38:
	s_mov_b64 s[0:1], 0
                                        ; implicit-def: $vgpr0
.LBB6_39:
	s_and_b64 vcc, exec, s[18:19]
	s_cbranch_vccz .LBB6_45
; %bb.40:
	s_cmp_eq_u32 s21, 44
	s_cbranch_scc0 .LBB6_44
; %bb.41:
	global_load_ubyte v0, v[2:3], off
	s_mov_b32 s0, 0x2f800000
	s_mov_b32 s1, 0xcf800000
	s_mov_b64 s[22:23], 0
	s_waitcnt vmcnt(0)
	v_lshlrev_b32_e32 v1, 23, v0
	v_trunc_f32_e32 v1, v1
	v_mul_f32_e64 v4, |v1|, s0
	v_floor_f32_e32 v4, v4
	v_fma_f32 v4, v4, s1, |v1|
	v_cvt_u32_f32_e32 v4, v4
	v_ashrrev_i32_e32 v1, 31, v1
	v_cmp_ne_u32_e32 vcc, 0, v0
	s_mov_b64 s[0:1], -1
	v_xor_b32_e32 v4, v4, v1
	v_sub_u32_e32 v1, v4, v1
	v_cndmask_b32_e32 v0, 0, v1, vcc
	s_branch .LBB6_45
.LBB6_42:
	s_mov_b64 s[18:19], -1
	s_mov_b64 s[20:21], 0
	s_branch .LBB6_150
.LBB6_43:
	s_mov_b64 s[30:31], -1
	s_mov_b64 s[0:1], 0
	s_mov_b64 s[26:27], 0
	s_branch .LBB6_161
.LBB6_44:
	s_mov_b64 s[22:23], -1
                                        ; implicit-def: $vgpr0
.LBB6_45:
	s_mov_b64 s[18:19], 0
.LBB6_46:
	s_and_b64 vcc, exec, s[18:19]
	s_cbranch_vccz .LBB6_50
; %bb.47:
	s_cmp_eq_u32 s21, 29
	s_cbranch_scc0 .LBB6_49
; %bb.48:
	global_load_dwordx2 v[0:1], v[2:3], off
	s_mov_b64 s[0:1], -1
	s_mov_b64 s[22:23], 0
	s_branch .LBB6_50
.LBB6_49:
	s_mov_b64 s[22:23], -1
                                        ; implicit-def: $vgpr0
.LBB6_50:
	s_mov_b64 s[18:19], 0
.LBB6_51:
	s_and_b64 vcc, exec, s[18:19]
	s_cbranch_vccz .LBB6_67
; %bb.52:
	s_cmp_lt_i32 s21, 27
	s_cbranch_scc1 .LBB6_55
; %bb.53:
	s_cmp_gt_i32 s21, 27
	s_cbranch_scc0 .LBB6_56
; %bb.54:
	global_load_dword v0, v[2:3], off
	s_mov_b64 s[0:1], 0
	s_branch .LBB6_57
.LBB6_55:
	s_mov_b64 s[0:1], -1
                                        ; implicit-def: $vgpr0
	s_branch .LBB6_60
.LBB6_56:
	s_mov_b64 s[0:1], -1
                                        ; implicit-def: $vgpr0
.LBB6_57:
	s_andn2_b64 vcc, exec, s[0:1]
	s_cbranch_vccnz .LBB6_59
; %bb.58:
	global_load_ushort v0, v[2:3], off
.LBB6_59:
	s_mov_b64 s[0:1], 0
.LBB6_60:
	s_andn2_b64 vcc, exec, s[0:1]
	s_cbranch_vccnz .LBB6_66
; %bb.61:
	global_load_ubyte v1, v[2:3], off
	s_movk_i32 s0, 0x7f
	s_mov_b64 s[18:19], 0
	s_waitcnt vmcnt(0)
	v_cmp_lt_i16_e32 vcc, s0, v1
	s_and_saveexec_b64 s[0:1], vcc
	s_xor_b64 s[0:1], exec, s[0:1]
	s_cbranch_execz .LBB6_77
; %bb.62:
	s_movk_i32 s18, 0x80
	v_cmp_ne_u16_e32 vcc, s18, v1
	s_and_b64 s[18:19], vcc, exec
	s_andn2_saveexec_b64 s[0:1], s[0:1]
	s_cbranch_execnz .LBB6_78
.LBB6_63:
	s_or_b64 exec, exec, s[0:1]
	v_mov_b32_e32 v0, 0
	s_and_saveexec_b64 s[0:1], s[18:19]
	s_cbranch_execz .LBB6_65
.LBB6_64:
	v_lshlrev_b32_e32 v0, 24, v1
	v_and_b32_e32 v1, 0xffff, v1
	v_and_b32_e32 v4, 7, v1
	v_ffbh_u32_e32 v6, v4
	v_min_u32_e32 v6, 32, v6
	v_subrev_u32_e32 v7, 28, v6
	v_bfe_u32 v5, v1, 3, 4
	v_lshlrev_b32_e32 v1, v7, v1
	v_sub_u32_e32 v6, 29, v6
	v_and_b32_e32 v1, 7, v1
	v_cmp_eq_u32_e32 vcc, 0, v5
	v_cndmask_b32_e32 v5, v5, v6, vcc
	v_cndmask_b32_e32 v1, v4, v1, vcc
	v_mov_b32_e32 v4, 0x3b800000
	v_lshlrev_b32_e32 v1, 20, v1
	v_and_b32_e32 v0, 0x80000000, v0
	v_lshl_add_u32 v4, v5, 23, v4
	v_or3_b32 v0, v0, v4, v1
	v_trunc_f32_e32 v0, v0
	s_mov_b32 s18, 0x2f800000
	v_mul_f32_e64 v1, |v0|, s18
	v_floor_f32_e32 v1, v1
	s_mov_b32 s18, 0xcf800000
	v_fma_f32 v1, v1, s18, |v0|
	v_cvt_u32_f32_e32 v1, v1
	v_ashrrev_i32_e32 v0, 31, v0
	v_xor_b32_e32 v1, v1, v0
	v_sub_u32_e32 v0, v1, v0
.LBB6_65:
	s_or_b64 exec, exec, s[0:1]
.LBB6_66:
	s_mov_b64 s[0:1], -1
.LBB6_67:
	s_branch .LBB6_100
.LBB6_68:
	s_cmp_gt_i32 s21, 22
	s_cbranch_scc0 .LBB6_76
; %bb.69:
	s_cmp_lt_i32 s21, 24
	s_cbranch_scc1 .LBB6_79
; %bb.70:
	s_cmp_gt_i32 s21, 24
	s_cbranch_scc0 .LBB6_80
; %bb.71:
	global_load_ubyte v1, v[2:3], off
	s_movk_i32 s0, 0x7f
	s_mov_b64 s[18:19], 0
	s_waitcnt vmcnt(0)
	v_cmp_lt_i16_e32 vcc, s0, v1
	s_and_saveexec_b64 s[0:1], vcc
	s_xor_b64 s[0:1], exec, s[0:1]
	s_cbranch_execz .LBB6_92
; %bb.72:
	s_movk_i32 s18, 0x80
	v_cmp_ne_u16_e32 vcc, s18, v1
	s_and_b64 s[18:19], vcc, exec
	s_andn2_saveexec_b64 s[0:1], s[0:1]
	s_cbranch_execnz .LBB6_93
.LBB6_73:
	s_or_b64 exec, exec, s[0:1]
	v_mov_b32_e32 v0, 0
	s_and_saveexec_b64 s[0:1], s[18:19]
	s_cbranch_execz .LBB6_75
.LBB6_74:
	v_lshlrev_b32_e32 v0, 24, v1
	v_and_b32_e32 v1, 0xffff, v1
	v_and_b32_e32 v4, 3, v1
	v_ffbh_u32_e32 v6, v4
	v_min_u32_e32 v6, 32, v6
	v_subrev_u32_e32 v7, 29, v6
	v_bfe_u32 v5, v1, 2, 5
	v_lshlrev_b32_e32 v1, v7, v1
	v_sub_u32_e32 v6, 30, v6
	v_and_b32_e32 v1, 3, v1
	v_cmp_eq_u32_e32 vcc, 0, v5
	v_cndmask_b32_e32 v5, v5, v6, vcc
	v_cndmask_b32_e32 v1, v4, v1, vcc
	v_mov_b32_e32 v4, 0x37800000
	v_lshlrev_b32_e32 v1, 21, v1
	v_and_b32_e32 v0, 0x80000000, v0
	v_lshl_add_u32 v4, v5, 23, v4
	v_or3_b32 v0, v0, v4, v1
	v_trunc_f32_e32 v0, v0
	s_mov_b32 s18, 0x2f800000
	v_mul_f32_e64 v1, |v0|, s18
	v_floor_f32_e32 v1, v1
	s_mov_b32 s18, 0xcf800000
	v_fma_f32 v1, v1, s18, |v0|
	v_cvt_u32_f32_e32 v1, v1
	v_ashrrev_i32_e32 v0, 31, v0
	v_xor_b32_e32 v1, v1, v0
	v_sub_u32_e32 v0, v1, v0
.LBB6_75:
	s_or_b64 exec, exec, s[0:1]
	s_mov_b64 s[0:1], 0
	s_branch .LBB6_81
.LBB6_76:
	s_mov_b64 s[18:19], -1
                                        ; implicit-def: $vgpr0
	s_branch .LBB6_87
.LBB6_77:
	s_andn2_saveexec_b64 s[0:1], s[0:1]
	s_cbranch_execz .LBB6_63
.LBB6_78:
	v_cmp_ne_u16_e32 vcc, 0, v1
	s_andn2_b64 s[18:19], s[18:19], exec
	s_and_b64 s[26:27], vcc, exec
	s_or_b64 s[18:19], s[18:19], s[26:27]
	s_or_b64 exec, exec, s[0:1]
	v_mov_b32_e32 v0, 0
	s_and_saveexec_b64 s[0:1], s[18:19]
	s_cbranch_execnz .LBB6_64
	s_branch .LBB6_65
.LBB6_79:
	s_mov_b64 s[0:1], -1
                                        ; implicit-def: $vgpr0
	s_branch .LBB6_84
.LBB6_80:
	s_mov_b64 s[0:1], -1
                                        ; implicit-def: $vgpr0
.LBB6_81:
	s_and_b64 vcc, exec, s[0:1]
	s_cbranch_vccz .LBB6_83
; %bb.82:
	global_load_ubyte v0, v[2:3], off
	s_mov_b32 s0, 0x7f800000
	s_brev_b32 s1, 1
	s_mov_b32 s18, 0x2f800000
	s_waitcnt vmcnt(0)
	v_lshlrev_b32_e32 v0, 24, v0
	v_and_b32_e32 v1, 0x7f000000, v0
	v_ffbh_u32_e32 v4, v1
	v_min_u32_e32 v4, 32, v4
	v_sub_u32_e64 v4, v4, 4 clamp
	v_lshlrev_b32_e32 v6, v4, v1
	v_lshlrev_b32_e32 v4, 23, v4
	v_lshrrev_b32_e32 v6, 4, v6
	v_add_u32_e32 v5, 0x1000000, v1
	v_sub_u32_e32 v4, v6, v4
	v_ashrrev_i32_e32 v5, 8, v5
	v_add_u32_e32 v4, 0x3c000000, v4
	v_and_or_b32 v4, v5, s0, v4
	v_cmp_ne_u32_e32 vcc, 0, v1
	v_cndmask_b32_e32 v1, 0, v4, vcc
	v_and_or_b32 v0, v0, s1, v1
	v_trunc_f32_e32 v0, v0
	v_mul_f32_e64 v1, |v0|, s18
	v_floor_f32_e32 v1, v1
	s_mov_b32 s0, 0xcf800000
	v_fma_f32 v1, v1, s0, |v0|
	v_cvt_u32_f32_e32 v1, v1
	v_ashrrev_i32_e32 v0, 31, v0
	v_xor_b32_e32 v1, v1, v0
	v_sub_u32_e32 v0, v1, v0
.LBB6_83:
	s_mov_b64 s[0:1], 0
.LBB6_84:
	s_andn2_b64 vcc, exec, s[0:1]
	s_cbranch_vccnz .LBB6_86
; %bb.85:
	global_load_ubyte v0, v[2:3], off
	s_movk_i32 s0, 0x7f00
	s_brev_b32 s1, 16
	s_brev_b32 s18, 1
	s_mov_b32 s19, 0x2f800000
	s_waitcnt vmcnt(0)
	v_lshlrev_b16_e32 v1, 8, v0
	v_lshlrev_b32_e32 v0, 25, v0
	v_lshrrev_b32_e32 v4, 4, v0
	v_and_or_b32 v5, v1, s0, 0.5
	v_or_b32_e32 v4, 0x70000000, v4
	v_add_f32_e32 v5, -0.5, v5
	v_mul_f32_e32 v4, 0x7800000, v4
	v_cmp_gt_u32_e32 vcc, s1, v0
	v_bfe_i32 v1, v1, 0, 16
	v_cndmask_b32_e32 v0, v4, v5, vcc
	v_and_or_b32 v0, v1, s18, v0
	v_trunc_f32_e32 v0, v0
	v_mul_f32_e64 v1, |v0|, s19
	v_floor_f32_e32 v1, v1
	s_mov_b32 s0, 0xcf800000
	v_fma_f32 v1, v1, s0, |v0|
	v_cvt_u32_f32_e32 v1, v1
	v_ashrrev_i32_e32 v0, 31, v0
	v_xor_b32_e32 v1, v1, v0
	v_sub_u32_e32 v0, v1, v0
.LBB6_86:
	s_mov_b64 s[18:19], 0
	s_mov_b64 s[0:1], -1
.LBB6_87:
	s_andn2_b64 vcc, exec, s[18:19]
	s_cbranch_vccnz .LBB6_100
; %bb.88:
	s_cmp_gt_i32 s21, 14
	s_cbranch_scc0 .LBB6_91
; %bb.89:
	s_cmp_eq_u32 s21, 15
	s_cbranch_scc0 .LBB6_94
; %bb.90:
	global_load_ushort v0, v[2:3], off
	s_mov_b32 s0, 0x2f800000
	s_mov_b32 s1, 0xcf800000
	s_mov_b64 s[22:23], 0
	s_waitcnt vmcnt(0)
	v_lshlrev_b32_e32 v0, 16, v0
	v_trunc_f32_e32 v0, v0
	v_mul_f32_e64 v1, |v0|, s0
	v_floor_f32_e32 v1, v1
	v_fma_f32 v1, v1, s1, |v0|
	v_cvt_u32_f32_e32 v1, v1
	v_ashrrev_i32_e32 v0, 31, v0
	s_mov_b64 s[0:1], -1
	v_xor_b32_e32 v1, v1, v0
	v_sub_u32_e32 v0, v1, v0
	s_branch .LBB6_95
.LBB6_91:
	s_mov_b64 s[18:19], -1
                                        ; implicit-def: $vgpr0
	s_branch .LBB6_96
.LBB6_92:
	s_andn2_saveexec_b64 s[0:1], s[0:1]
	s_cbranch_execz .LBB6_73
.LBB6_93:
	v_cmp_ne_u16_e32 vcc, 0, v1
	s_andn2_b64 s[18:19], s[18:19], exec
	s_and_b64 s[26:27], vcc, exec
	s_or_b64 s[18:19], s[18:19], s[26:27]
	s_or_b64 exec, exec, s[0:1]
	v_mov_b32_e32 v0, 0
	s_and_saveexec_b64 s[0:1], s[18:19]
	s_cbranch_execnz .LBB6_74
	s_branch .LBB6_75
.LBB6_94:
	s_mov_b64 s[22:23], -1
                                        ; implicit-def: $vgpr0
.LBB6_95:
	s_mov_b64 s[18:19], 0
.LBB6_96:
	s_and_b64 vcc, exec, s[18:19]
	s_cbranch_vccz .LBB6_100
; %bb.97:
	s_cmp_eq_u32 s21, 11
	s_cbranch_scc0 .LBB6_99
; %bb.98:
	global_load_ubyte v0, v[2:3], off
	s_mov_b64 s[0:1], -1
	s_mov_b64 s[22:23], 0
	s_waitcnt vmcnt(0)
	v_cmp_ne_u16_e32 vcc, 0, v0
	v_cndmask_b32_e64 v0, 0, 1, vcc
	s_branch .LBB6_100
.LBB6_99:
	s_mov_b64 s[22:23], -1
                                        ; implicit-def: $vgpr0
.LBB6_100:
	s_branch .LBB6_10
.LBB6_101:
	s_and_b32 s18, 0xffff, s20
	s_cmp_lt_i32 s18, 5
	s_cbranch_scc1 .LBB6_106
; %bb.102:
	s_cmp_lt_i32 s18, 8
	s_cbranch_scc1 .LBB6_107
; %bb.103:
	;; [unrolled: 3-line block ×3, first 2 shown]
	s_cmp_gt_i32 s18, 9
	s_cbranch_scc0 .LBB6_109
; %bb.105:
	global_load_dwordx2 v[0:1], v[2:3], off
	s_movk_i32 s0, 0xffe0
	s_waitcnt vmcnt(0)
	v_trunc_f64_e32 v[0:1], v[0:1]
	v_ldexp_f64 v[4:5], v[0:1], s0
	s_mov_b32 s0, 0
	s_mov_b32 s1, 0xc1f00000
	v_floor_f64_e32 v[4:5], v[4:5]
	v_fma_f64 v[0:1], v[4:5], s[0:1], v[0:1]
	s_mov_b64 s[0:1], 0
	v_cvt_u32_f64_e32 v0, v[0:1]
	s_branch .LBB6_110
.LBB6_106:
                                        ; implicit-def: $vgpr0
	s_branch .LBB6_128
.LBB6_107:
	s_mov_b64 s[0:1], -1
                                        ; implicit-def: $vgpr0
	s_branch .LBB6_116
.LBB6_108:
	s_mov_b64 s[0:1], -1
                                        ; implicit-def: $vgpr0
	s_branch .LBB6_113
.LBB6_109:
	s_mov_b64 s[0:1], -1
                                        ; implicit-def: $vgpr0
.LBB6_110:
	s_andn2_b64 vcc, exec, s[0:1]
	s_cbranch_vccnz .LBB6_112
; %bb.111:
	global_load_dword v0, v[2:3], off
	s_mov_b32 s0, 0x2f800000
	s_waitcnt vmcnt(0)
	v_trunc_f32_e32 v0, v0
	v_mul_f32_e64 v1, |v0|, s0
	v_floor_f32_e32 v1, v1
	s_mov_b32 s0, 0xcf800000
	v_fma_f32 v1, v1, s0, |v0|
	v_cvt_u32_f32_e32 v1, v1
	v_ashrrev_i32_e32 v0, 31, v0
	v_xor_b32_e32 v1, v1, v0
	v_sub_u32_e32 v0, v1, v0
.LBB6_112:
	s_mov_b64 s[0:1], 0
.LBB6_113:
	s_andn2_b64 vcc, exec, s[0:1]
	s_cbranch_vccnz .LBB6_115
; %bb.114:
	global_load_dword v0, v[2:3], off
	s_waitcnt vmcnt(0)
	v_cvt_f32_f16_e32 v0, v0
	v_cvt_i32_f32_e32 v0, v0
.LBB6_115:
	s_mov_b64 s[0:1], 0
.LBB6_116:
	s_andn2_b64 vcc, exec, s[0:1]
	s_cbranch_vccnz .LBB6_127
; %bb.117:
	s_cmp_lt_i32 s18, 6
	s_cbranch_scc1 .LBB6_120
; %bb.118:
	s_cmp_gt_i32 s18, 6
	s_cbranch_scc0 .LBB6_121
; %bb.119:
	global_load_dwordx2 v[0:1], v[2:3], off
	s_movk_i32 s0, 0xffe0
	s_waitcnt vmcnt(0)
	v_trunc_f64_e32 v[0:1], v[0:1]
	v_ldexp_f64 v[4:5], v[0:1], s0
	s_mov_b32 s0, 0
	s_mov_b32 s1, 0xc1f00000
	v_floor_f64_e32 v[4:5], v[4:5]
	v_fma_f64 v[0:1], v[4:5], s[0:1], v[0:1]
	s_mov_b64 s[0:1], 0
	v_cvt_u32_f64_e32 v0, v[0:1]
	s_branch .LBB6_122
.LBB6_120:
	s_mov_b64 s[0:1], -1
                                        ; implicit-def: $vgpr0
	s_branch .LBB6_125
.LBB6_121:
	s_mov_b64 s[0:1], -1
                                        ; implicit-def: $vgpr0
.LBB6_122:
	s_andn2_b64 vcc, exec, s[0:1]
	s_cbranch_vccnz .LBB6_124
; %bb.123:
	global_load_dword v0, v[2:3], off
	s_mov_b32 s0, 0x2f800000
	s_waitcnt vmcnt(0)
	v_trunc_f32_e32 v0, v0
	v_mul_f32_e64 v1, |v0|, s0
	v_floor_f32_e32 v1, v1
	s_mov_b32 s0, 0xcf800000
	v_fma_f32 v1, v1, s0, |v0|
	v_cvt_u32_f32_e32 v1, v1
	v_ashrrev_i32_e32 v0, 31, v0
	v_xor_b32_e32 v1, v1, v0
	v_sub_u32_e32 v0, v1, v0
.LBB6_124:
	s_mov_b64 s[0:1], 0
.LBB6_125:
	s_andn2_b64 vcc, exec, s[0:1]
	s_cbranch_vccnz .LBB6_127
; %bb.126:
	global_load_ushort v0, v[2:3], off
	s_waitcnt vmcnt(0)
	v_cvt_f32_f16_e32 v0, v0
	v_cvt_i32_f32_e32 v0, v0
.LBB6_127:
	s_cbranch_execnz .LBB6_147
.LBB6_128:
	s_cmp_lt_i32 s18, 2
	s_cbranch_scc1 .LBB6_132
; %bb.129:
	s_cmp_lt_i32 s18, 3
	s_cbranch_scc1 .LBB6_133
; %bb.130:
	s_cmp_gt_i32 s18, 3
	s_cbranch_scc0 .LBB6_134
; %bb.131:
	global_load_dwordx2 v[0:1], v[2:3], off
	s_mov_b64 s[0:1], 0
	s_branch .LBB6_135
.LBB6_132:
	s_mov_b64 s[0:1], -1
                                        ; implicit-def: $vgpr0
	s_branch .LBB6_141
.LBB6_133:
	s_mov_b64 s[0:1], -1
                                        ; implicit-def: $vgpr0
	s_branch .LBB6_138
.LBB6_134:
	s_mov_b64 s[0:1], -1
                                        ; implicit-def: $vgpr0
.LBB6_135:
	s_andn2_b64 vcc, exec, s[0:1]
	s_cbranch_vccnz .LBB6_137
; %bb.136:
	global_load_dword v0, v[2:3], off
.LBB6_137:
	s_mov_b64 s[0:1], 0
.LBB6_138:
	s_andn2_b64 vcc, exec, s[0:1]
	s_cbranch_vccnz .LBB6_140
; %bb.139:
	global_load_ushort v0, v[2:3], off
.LBB6_140:
	s_mov_b64 s[0:1], 0
.LBB6_141:
	s_andn2_b64 vcc, exec, s[0:1]
	s_cbranch_vccnz .LBB6_147
; %bb.142:
	s_cmp_gt_i32 s18, 0
	s_cbranch_scc0 .LBB6_144
; %bb.143:
	global_load_ubyte v0, v[2:3], off
	s_mov_b64 s[0:1], 0
	s_branch .LBB6_145
.LBB6_144:
	s_mov_b64 s[0:1], -1
                                        ; implicit-def: $vgpr0
.LBB6_145:
	s_andn2_b64 vcc, exec, s[0:1]
	s_cbranch_vccnz .LBB6_147
; %bb.146:
	global_load_ubyte v0, v[2:3], off
.LBB6_147:
	s_branch .LBB6_11
.LBB6_148:
	s_mov_b64 s[0:1], 0
	s_mov_b64 s[20:21], 0
	s_branch .LBB6_373
.LBB6_149:
	s_mov_b64 s[20:21], -1
.LBB6_150:
	s_mov_b64 s[0:1], 0
                                        ; implicit-def: $vgpr3
.LBB6_151:
	s_and_b64 vcc, exec, s[18:19]
	s_cbranch_vccz .LBB6_267
; %bb.152:
	s_cmp_eq_u32 s27, 44
	s_cbranch_scc0 .LBB6_266
; %bb.153:
	global_load_ubyte v3, v[1:2], off
	s_mov_b32 s0, 0x2f800000
	s_mov_b32 s1, 0xcf800000
	s_mov_b64 s[20:21], 0
	s_waitcnt vmcnt(0)
	v_lshlrev_b32_e32 v4, 23, v3
	v_trunc_f32_e32 v4, v4
	v_mul_f32_e64 v5, |v4|, s0
	v_floor_f32_e32 v5, v5
	v_fma_f32 v5, v5, s1, |v4|
	v_cvt_u32_f32_e32 v5, v5
	v_ashrrev_i32_e32 v4, 31, v4
	v_cmp_ne_u32_e32 vcc, 0, v3
	s_mov_b64 s[0:1], -1
	v_xor_b32_e32 v5, v5, v4
	v_sub_u32_e32 v4, v5, v4
	v_cndmask_b32_e32 v3, 0, v4, vcc
	s_branch .LBB6_267
.LBB6_154:
	s_mov_b64 s[30:31], -1
	s_mov_b64 s[0:1], 0
	s_mov_b64 s[26:27], 0
.LBB6_155:
	s_and_b64 vcc, exec, s[30:31]
	s_cbranch_vccz .LBB6_160
; %bb.156:
	s_cmp_eq_u32 s37, 44
	s_mov_b64 s[0:1], -1
	s_cbranch_scc0 .LBB6_160
; %bb.157:
	v_cndmask_b32_e64 v3, 0, 1.0, s[18:19]
	v_lshrrev_b32_e32 v2, 23, v3
	s_movk_i32 s0, 0xff
	v_cmp_ne_u32_e32 vcc, s0, v2
	v_mov_b32_e32 v4, 0xff
	s_and_saveexec_b64 s[26:27], vcc
; %bb.158:
	s_mov_b32 s0, 0x3fffff
	v_and_b32_e32 v4, 0x400000, v3
	v_and_or_b32 v3, v3, s0, v2
	v_cmp_ne_u32_e32 vcc, 0, v4
	v_cmp_ne_u32_e64 s[0:1], 0, v3
	s_and_b64 s[0:1], vcc, s[0:1]
	v_cndmask_b32_e64 v3, 0, 1, s[0:1]
	v_add_u32_e32 v4, v2, v3
; %bb.159:
	s_or_b64 exec, exec, s[26:27]
	s_mov_b64 s[26:27], -1
	s_mov_b64 s[0:1], 0
	global_store_byte v[0:1], v4, off
.LBB6_160:
	s_mov_b64 s[30:31], 0
.LBB6_161:
	s_and_b64 vcc, exec, s[30:31]
	s_cbranch_vccz .LBB6_164
; %bb.162:
	s_cmp_eq_u32 s37, 29
	s_mov_b64 s[0:1], -1
	s_cbranch_scc0 .LBB6_164
; %bb.163:
	s_mov_b32 s0, 0
	v_cndmask_b32_e64 v2, 0, 1, s[18:19]
	v_mov_b32_e32 v3, s0
	global_store_dwordx2 v[0:1], v[2:3], off
	s_mov_b64 s[26:27], -1
	s_mov_b64 s[0:1], 0
.LBB6_164:
	s_mov_b64 s[30:31], 0
.LBB6_165:
	s_and_b64 vcc, exec, s[30:31]
	s_cbranch_vccz .LBB6_181
; %bb.166:
	s_cmp_lt_i32 s37, 27
	s_mov_b64 s[26:27], -1
	s_cbranch_scc1 .LBB6_172
; %bb.167:
	s_cmp_gt_i32 s37, 27
	s_cbranch_scc0 .LBB6_169
; %bb.168:
	v_cndmask_b32_e64 v2, 0, 1, s[18:19]
	s_mov_b64 s[26:27], 0
	global_store_dword v[0:1], v2, off
.LBB6_169:
	s_andn2_b64 vcc, exec, s[26:27]
	s_cbranch_vccnz .LBB6_171
; %bb.170:
	v_cndmask_b32_e64 v2, 0, 1, s[18:19]
	global_store_short v[0:1], v2, off
.LBB6_171:
	s_mov_b64 s[26:27], 0
.LBB6_172:
	s_andn2_b64 vcc, exec, s[26:27]
	s_cbranch_vccnz .LBB6_180
; %bb.173:
	v_cndmask_b32_e64 v3, 0, 1.0, s[18:19]
	s_mov_b32 s26, 0x43800000
	v_cmp_gt_u32_e32 vcc, s26, v3
	v_mov_b32_e32 v4, 0x80
	s_and_saveexec_b64 s[26:27], vcc
	s_cbranch_execz .LBB6_179
; %bb.174:
	s_mov_b32 s30, 0x3bffffff
	v_cmp_lt_u32_e32 vcc, s30, v3
	s_mov_b64 s[30:31], 0
                                        ; implicit-def: $vgpr2
	s_and_saveexec_b64 s[34:35], vcc
	s_xor_b64 s[34:35], exec, s[34:35]
	s_cbranch_execz .LBB6_404
; %bb.175:
	v_bfe_u32 v2, v3, 20, 1
	s_mov_b32 s38, 0x487ffff
	v_add3_u32 v2, v3, v2, s38
	s_mov_b64 s[30:31], exec
	v_lshrrev_b32_e32 v2, 20, v2
                                        ; implicit-def: $vgpr3
	s_andn2_saveexec_b64 s[34:35], s[34:35]
	s_cbranch_execnz .LBB6_405
.LBB6_176:
	s_or_b64 exec, exec, s[34:35]
	v_mov_b32_e32 v4, 0
	s_and_saveexec_b64 s[34:35], s[30:31]
.LBB6_177:
	v_mov_b32_e32 v4, v2
.LBB6_178:
	s_or_b64 exec, exec, s[34:35]
.LBB6_179:
	s_or_b64 exec, exec, s[26:27]
	global_store_byte v[0:1], v4, off
.LBB6_180:
	s_mov_b64 s[26:27], -1
.LBB6_181:
	s_mov_b64 s[30:31], 0
.LBB6_182:
	s_and_b64 vcc, exec, s[30:31]
	s_cbranch_vccz .LBB6_223
; %bb.183:
	s_cmp_gt_i32 s37, 22
	s_mov_b64 s[30:31], -1
	s_cbranch_scc0 .LBB6_215
; %bb.184:
	s_cmp_lt_i32 s37, 24
	s_mov_b64 s[26:27], -1
	s_cbranch_scc1 .LBB6_204
; %bb.185:
	s_cmp_gt_i32 s37, 24
	s_cbranch_scc0 .LBB6_193
; %bb.186:
	v_cndmask_b32_e64 v3, 0, 1.0, s[18:19]
	s_mov_b32 s26, 0x47800000
	v_cmp_gt_u32_e32 vcc, s26, v3
	v_mov_b32_e32 v4, 0x80
	s_and_saveexec_b64 s[26:27], vcc
	s_cbranch_execz .LBB6_192
; %bb.187:
	s_mov_b32 s30, 0x37ffffff
	v_cmp_lt_u32_e32 vcc, s30, v3
	s_mov_b64 s[30:31], 0
                                        ; implicit-def: $vgpr2
	s_and_saveexec_b64 s[34:35], vcc
	s_xor_b64 s[34:35], exec, s[34:35]
	s_cbranch_execz .LBB6_519
; %bb.188:
	v_bfe_u32 v2, v3, 21, 1
	s_mov_b32 s38, 0x88fffff
	v_add3_u32 v2, v3, v2, s38
	s_mov_b64 s[30:31], exec
	v_lshrrev_b32_e32 v2, 21, v2
                                        ; implicit-def: $vgpr3
	s_andn2_saveexec_b64 s[34:35], s[34:35]
	s_cbranch_execnz .LBB6_520
.LBB6_189:
	s_or_b64 exec, exec, s[34:35]
	v_mov_b32_e32 v4, 0
	s_and_saveexec_b64 s[34:35], s[30:31]
.LBB6_190:
	v_mov_b32_e32 v4, v2
.LBB6_191:
	s_or_b64 exec, exec, s[34:35]
.LBB6_192:
	s_or_b64 exec, exec, s[26:27]
	s_mov_b64 s[26:27], 0
	global_store_byte v[0:1], v4, off
.LBB6_193:
	s_and_b64 vcc, exec, s[26:27]
	s_cbranch_vccz .LBB6_203
; %bb.194:
	v_cndmask_b32_e64 v2, 0, 1.0, s[18:19]
	s_mov_b32 s26, 0x43f00000
	v_cmp_gt_u32_e32 vcc, s26, v2
                                        ; implicit-def: $vgpr3
	s_and_saveexec_b64 s[26:27], vcc
	s_xor_b64 s[26:27], exec, s[26:27]
	s_cbranch_execz .LBB6_200
; %bb.195:
	s_mov_b32 s30, 0x3c7fffff
	v_cmp_lt_u32_e32 vcc, s30, v2
                                        ; implicit-def: $vgpr3
	s_and_saveexec_b64 s[30:31], vcc
	s_xor_b64 s[30:31], exec, s[30:31]
; %bb.196:
	v_bfe_u32 v3, v2, 20, 1
	s_mov_b32 s34, 0x407ffff
	v_add3_u32 v2, v2, v3, s34
	v_lshrrev_b32_e32 v3, 20, v2
	v_and_b32_e32 v2, 0xff00000, v2
	s_mov_b32 s34, 0x7f00000
	v_mov_b32_e32 v4, 0x7e
	v_cmp_ne_u32_e32 vcc, s34, v2
	v_cndmask_b32_e32 v3, v4, v3, vcc
                                        ; implicit-def: $vgpr2
; %bb.197:
	s_andn2_saveexec_b64 s[30:31], s[30:31]
; %bb.198:
	v_add_f32_e32 v3, 0x46800000, v2
; %bb.199:
	s_or_b64 exec, exec, s[30:31]
                                        ; implicit-def: $vgpr2
.LBB6_200:
	s_andn2_saveexec_b64 s[26:27], s[26:27]
; %bb.201:
	s_mov_b32 s30, 0x7f800000
	v_mov_b32_e32 v3, 0x7e
	v_mov_b32_e32 v4, 0x7f
	v_cmp_lt_u32_e32 vcc, s30, v2
	v_cndmask_b32_e32 v3, v3, v4, vcc
; %bb.202:
	s_or_b64 exec, exec, s[26:27]
	global_store_byte v[0:1], v3, off
.LBB6_203:
	s_mov_b64 s[26:27], 0
.LBB6_204:
	s_andn2_b64 vcc, exec, s[26:27]
	s_cbranch_vccnz .LBB6_214
; %bb.205:
	v_cndmask_b32_e64 v2, 0, 1.0, s[18:19]
	s_mov_b32 s26, 0x47800000
	v_cmp_gt_u32_e32 vcc, s26, v2
                                        ; implicit-def: $vgpr3
	s_and_saveexec_b64 s[26:27], vcc
	s_xor_b64 s[26:27], exec, s[26:27]
	s_cbranch_execz .LBB6_211
; %bb.206:
	s_mov_b32 s30, 0x387fffff
	v_cmp_lt_u32_e32 vcc, s30, v2
                                        ; implicit-def: $vgpr3
	s_and_saveexec_b64 s[30:31], vcc
	s_xor_b64 s[30:31], exec, s[30:31]
; %bb.207:
	v_bfe_u32 v3, v2, 21, 1
	s_mov_b32 s34, 0x80fffff
	v_add3_u32 v2, v2, v3, s34
	v_lshrrev_b32_e32 v3, 21, v2
                                        ; implicit-def: $vgpr2
; %bb.208:
	s_andn2_saveexec_b64 s[30:31], s[30:31]
; %bb.209:
	v_add_f32_e32 v3, 0x43000000, v2
; %bb.210:
	s_or_b64 exec, exec, s[30:31]
                                        ; implicit-def: $vgpr2
.LBB6_211:
	s_andn2_saveexec_b64 s[26:27], s[26:27]
; %bb.212:
	s_mov_b32 s30, 0x7f800000
	v_mov_b32_e32 v3, 0x7c
	v_mov_b32_e32 v4, 0x7f
	v_cmp_lt_u32_e32 vcc, s30, v2
	v_cndmask_b32_e32 v3, v3, v4, vcc
; %bb.213:
	s_or_b64 exec, exec, s[26:27]
	global_store_byte v[0:1], v3, off
.LBB6_214:
	s_mov_b64 s[30:31], 0
	s_mov_b64 s[26:27], -1
.LBB6_215:
	s_andn2_b64 vcc, exec, s[30:31]
	s_cbranch_vccnz .LBB6_223
; %bb.216:
	s_cmp_gt_i32 s37, 14
	s_mov_b64 s[30:31], -1
	s_cbranch_scc0 .LBB6_220
; %bb.217:
	s_cmp_eq_u32 s37, 15
	s_mov_b64 s[0:1], -1
	s_cbranch_scc0 .LBB6_219
; %bb.218:
	v_cndmask_b32_e64 v2, 0, 1.0, s[18:19]
	v_bfe_u32 v3, v2, 16, 1
	s_movk_i32 s0, 0x7fff
	v_add3_u32 v2, v2, v3, s0
	global_store_short_d16_hi v[0:1], v2, off
	s_mov_b64 s[26:27], -1
	s_mov_b64 s[0:1], 0
.LBB6_219:
	s_mov_b64 s[30:31], 0
.LBB6_220:
	s_and_b64 vcc, exec, s[30:31]
	s_cbranch_vccz .LBB6_223
; %bb.221:
	s_cmp_eq_u32 s37, 11
	s_mov_b64 s[0:1], -1
	s_cbranch_scc0 .LBB6_223
; %bb.222:
	v_cndmask_b32_e64 v2, 0, 1, s[18:19]
	s_mov_b64 s[26:27], -1
	s_mov_b64 s[0:1], 0
	global_store_byte v[0:1], v2, off
.LBB6_223:
	s_mov_b64 s[30:31], 0
.LBB6_224:
	s_and_b64 vcc, exec, s[30:31]
	s_cbranch_vccz .LBB6_263
; %bb.225:
	s_and_b32 s30, 0xffff, s36
	s_cmp_lt_i32 s30, 5
	s_mov_b64 s[26:27], -1
	s_cbranch_scc1 .LBB6_246
; %bb.226:
	s_cmp_lt_i32 s30, 8
	s_cbranch_scc1 .LBB6_236
; %bb.227:
	s_cmp_lt_i32 s30, 9
	s_cbranch_scc1 .LBB6_233
; %bb.228:
	s_cmp_gt_i32 s30, 9
	s_cbranch_scc0 .LBB6_230
; %bb.229:
	v_cndmask_b32_e64 v2, 0, 1, s[18:19]
	v_cvt_f64_u32_e32 v[2:3], v2
	v_mov_b32_e32 v4, 0
	v_mov_b32_e32 v5, v4
	s_mov_b64 s[26:27], 0
	global_store_dwordx4 v[0:1], v[2:5], off
.LBB6_230:
	s_andn2_b64 vcc, exec, s[26:27]
	s_cbranch_vccnz .LBB6_232
; %bb.231:
	v_cndmask_b32_e64 v2, 0, 1.0, s[18:19]
	v_mov_b32_e32 v3, 0
	global_store_dwordx2 v[0:1], v[2:3], off
.LBB6_232:
	s_mov_b64 s[26:27], 0
.LBB6_233:
	s_andn2_b64 vcc, exec, s[26:27]
	s_cbranch_vccnz .LBB6_235
; %bb.234:
	v_cndmask_b32_e64 v2, 0, 1.0, s[18:19]
	v_cvt_f16_f32_e32 v2, v2
	global_store_dword v[0:1], v2, off
.LBB6_235:
	s_mov_b64 s[26:27], 0
.LBB6_236:
	s_andn2_b64 vcc, exec, s[26:27]
	s_cbranch_vccnz .LBB6_245
; %bb.237:
	s_cmp_lt_i32 s30, 6
	s_mov_b64 s[26:27], -1
	s_cbranch_scc1 .LBB6_243
; %bb.238:
	s_cmp_gt_i32 s30, 6
	s_cbranch_scc0 .LBB6_240
; %bb.239:
	v_cndmask_b32_e64 v2, 0, 1, s[18:19]
	v_cvt_f64_u32_e32 v[2:3], v2
	s_mov_b64 s[26:27], 0
	global_store_dwordx2 v[0:1], v[2:3], off
.LBB6_240:
	s_andn2_b64 vcc, exec, s[26:27]
	s_cbranch_vccnz .LBB6_242
; %bb.241:
	v_cndmask_b32_e64 v2, 0, 1.0, s[18:19]
	global_store_dword v[0:1], v2, off
.LBB6_242:
	s_mov_b64 s[26:27], 0
.LBB6_243:
	s_andn2_b64 vcc, exec, s[26:27]
	s_cbranch_vccnz .LBB6_245
; %bb.244:
	v_cndmask_b32_e64 v2, 0, 1.0, s[18:19]
	v_cvt_f16_f32_e32 v2, v2
	global_store_short v[0:1], v2, off
.LBB6_245:
	s_mov_b64 s[26:27], 0
.LBB6_246:
	s_andn2_b64 vcc, exec, s[26:27]
	s_cbranch_vccnz .LBB6_262
; %bb.247:
	s_cmp_lt_i32 s30, 2
	s_mov_b64 s[26:27], -1
	s_cbranch_scc1 .LBB6_257
; %bb.248:
	s_cmp_lt_i32 s30, 3
	s_cbranch_scc1 .LBB6_254
; %bb.249:
	s_cmp_gt_i32 s30, 3
	s_cbranch_scc0 .LBB6_251
; %bb.250:
	s_mov_b32 s26, 0
	v_cndmask_b32_e64 v2, 0, 1, s[18:19]
	v_mov_b32_e32 v3, s26
	global_store_dwordx2 v[0:1], v[2:3], off
	s_mov_b64 s[26:27], 0
.LBB6_251:
	s_andn2_b64 vcc, exec, s[26:27]
	s_cbranch_vccnz .LBB6_253
; %bb.252:
	v_cndmask_b32_e64 v2, 0, 1, s[18:19]
	global_store_dword v[0:1], v2, off
.LBB6_253:
	s_mov_b64 s[26:27], 0
.LBB6_254:
	s_andn2_b64 vcc, exec, s[26:27]
	s_cbranch_vccnz .LBB6_256
; %bb.255:
	v_cndmask_b32_e64 v2, 0, 1, s[18:19]
	global_store_short v[0:1], v2, off
.LBB6_256:
	s_mov_b64 s[26:27], 0
.LBB6_257:
	s_andn2_b64 vcc, exec, s[26:27]
	s_cbranch_vccnz .LBB6_262
; %bb.258:
	s_mov_b64 s[26:27], -1
	s_cmp_gt_i32 s30, 0
	v_cndmask_b32_e64 v2, 0, 1, s[18:19]
	s_cbranch_scc0 .LBB6_260
; %bb.259:
	global_store_byte v[0:1], v2, off
	s_mov_b64 s[26:27], 0
.LBB6_260:
	s_andn2_b64 vcc, exec, s[26:27]
	s_cbranch_vccnz .LBB6_262
; %bb.261:
	global_store_byte v[0:1], v2, off
.LBB6_262:
	s_mov_b64 s[26:27], -1
.LBB6_263:
	s_andn2_b64 vcc, exec, s[26:27]
	s_cbranch_vccnz .LBB6_265
; %bb.264:
	v_add_u32_e32 v11, 0x80, v11
	s_mov_b64 s[26:27], -1
	s_branch .LBB6_374
.LBB6_265:
	s_mov_b64 s[26:27], 0
                                        ; implicit-def: $vgpr11
	s_branch .LBB6_374
.LBB6_266:
	s_mov_b64 s[20:21], -1
                                        ; implicit-def: $vgpr3
.LBB6_267:
	s_mov_b64 s[18:19], 0
.LBB6_268:
	s_and_b64 vcc, exec, s[18:19]
	s_cbranch_vccz .LBB6_272
; %bb.269:
	s_cmp_eq_u32 s27, 29
	s_cbranch_scc0 .LBB6_271
; %bb.270:
	global_load_dwordx2 v[3:4], v[1:2], off
	s_mov_b64 s[0:1], -1
	s_mov_b64 s[20:21], 0
	s_branch .LBB6_272
.LBB6_271:
	s_mov_b64 s[20:21], -1
                                        ; implicit-def: $vgpr3
.LBB6_272:
	s_mov_b64 s[18:19], 0
.LBB6_273:
	s_and_b64 vcc, exec, s[18:19]
	s_cbranch_vccz .LBB6_289
; %bb.274:
	s_cmp_lt_i32 s27, 27
	s_cbranch_scc1 .LBB6_277
; %bb.275:
	s_cmp_gt_i32 s27, 27
	s_cbranch_scc0 .LBB6_278
; %bb.276:
	global_load_dword v3, v[1:2], off
	s_mov_b64 s[0:1], 0
	s_branch .LBB6_279
.LBB6_277:
	s_mov_b64 s[0:1], -1
                                        ; implicit-def: $vgpr3
	s_branch .LBB6_282
.LBB6_278:
	s_mov_b64 s[0:1], -1
                                        ; implicit-def: $vgpr3
.LBB6_279:
	s_andn2_b64 vcc, exec, s[0:1]
	s_cbranch_vccnz .LBB6_281
; %bb.280:
	global_load_ushort v3, v[1:2], off
.LBB6_281:
	s_mov_b64 s[0:1], 0
.LBB6_282:
	s_andn2_b64 vcc, exec, s[0:1]
	s_cbranch_vccnz .LBB6_288
; %bb.283:
	global_load_ubyte v4, v[1:2], off
	s_movk_i32 s0, 0x7f
	s_mov_b64 s[18:19], 0
	s_waitcnt vmcnt(0)
	v_cmp_lt_i16_e32 vcc, s0, v4
	s_and_saveexec_b64 s[0:1], vcc
	s_xor_b64 s[0:1], exec, s[0:1]
	s_cbranch_execz .LBB6_300
; %bb.284:
	s_movk_i32 s18, 0x80
	v_cmp_ne_u16_e32 vcc, s18, v4
	s_and_b64 s[18:19], vcc, exec
	s_andn2_saveexec_b64 s[0:1], s[0:1]
	s_cbranch_execnz .LBB6_301
.LBB6_285:
	s_or_b64 exec, exec, s[0:1]
	v_mov_b32_e32 v3, 0
	s_and_saveexec_b64 s[0:1], s[18:19]
	s_cbranch_execz .LBB6_287
.LBB6_286:
	v_lshlrev_b32_e32 v3, 24, v4
	v_and_b32_e32 v4, 0xffff, v4
	v_and_b32_e32 v5, 7, v4
	v_ffbh_u32_e32 v7, v5
	v_min_u32_e32 v7, 32, v7
	v_subrev_u32_e32 v8, 28, v7
	v_bfe_u32 v6, v4, 3, 4
	v_lshlrev_b32_e32 v4, v8, v4
	v_sub_u32_e32 v7, 29, v7
	v_and_b32_e32 v4, 7, v4
	v_cmp_eq_u32_e32 vcc, 0, v6
	v_cndmask_b32_e32 v6, v6, v7, vcc
	v_cndmask_b32_e32 v4, v5, v4, vcc
	v_mov_b32_e32 v5, 0x3b800000
	v_lshlrev_b32_e32 v4, 20, v4
	v_and_b32_e32 v3, 0x80000000, v3
	v_lshl_add_u32 v5, v6, 23, v5
	v_or3_b32 v3, v3, v5, v4
	v_trunc_f32_e32 v3, v3
	s_mov_b32 s18, 0x2f800000
	v_mul_f32_e64 v4, |v3|, s18
	v_floor_f32_e32 v4, v4
	s_mov_b32 s18, 0xcf800000
	v_fma_f32 v4, v4, s18, |v3|
	v_cvt_u32_f32_e32 v4, v4
	v_ashrrev_i32_e32 v3, 31, v3
	v_xor_b32_e32 v4, v4, v3
	v_sub_u32_e32 v3, v4, v3
.LBB6_287:
	s_or_b64 exec, exec, s[0:1]
.LBB6_288:
	s_mov_b64 s[0:1], -1
.LBB6_289:
	s_mov_b64 s[18:19], 0
.LBB6_290:
	s_and_b64 vcc, exec, s[18:19]
	s_cbranch_vccz .LBB6_323
; %bb.291:
	s_cmp_gt_i32 s27, 22
	s_cbranch_scc0 .LBB6_299
; %bb.292:
	s_cmp_lt_i32 s27, 24
	s_cbranch_scc1 .LBB6_302
; %bb.293:
	s_cmp_gt_i32 s27, 24
	s_cbranch_scc0 .LBB6_303
; %bb.294:
	global_load_ubyte v4, v[1:2], off
	s_movk_i32 s0, 0x7f
	s_mov_b64 s[18:19], 0
	s_waitcnt vmcnt(0)
	v_cmp_lt_i16_e32 vcc, s0, v4
	s_and_saveexec_b64 s[0:1], vcc
	s_xor_b64 s[0:1], exec, s[0:1]
	s_cbranch_execz .LBB6_315
; %bb.295:
	s_movk_i32 s18, 0x80
	v_cmp_ne_u16_e32 vcc, s18, v4
	s_and_b64 s[18:19], vcc, exec
	s_andn2_saveexec_b64 s[0:1], s[0:1]
	s_cbranch_execnz .LBB6_316
.LBB6_296:
	s_or_b64 exec, exec, s[0:1]
	v_mov_b32_e32 v3, 0
	s_and_saveexec_b64 s[0:1], s[18:19]
	s_cbranch_execz .LBB6_298
.LBB6_297:
	v_lshlrev_b32_e32 v3, 24, v4
	v_and_b32_e32 v4, 0xffff, v4
	v_and_b32_e32 v5, 3, v4
	v_ffbh_u32_e32 v7, v5
	v_min_u32_e32 v7, 32, v7
	v_subrev_u32_e32 v8, 29, v7
	v_bfe_u32 v6, v4, 2, 5
	v_lshlrev_b32_e32 v4, v8, v4
	v_sub_u32_e32 v7, 30, v7
	v_and_b32_e32 v4, 3, v4
	v_cmp_eq_u32_e32 vcc, 0, v6
	v_cndmask_b32_e32 v6, v6, v7, vcc
	v_cndmask_b32_e32 v4, v5, v4, vcc
	v_mov_b32_e32 v5, 0x37800000
	v_lshlrev_b32_e32 v4, 21, v4
	v_and_b32_e32 v3, 0x80000000, v3
	v_lshl_add_u32 v5, v6, 23, v5
	v_or3_b32 v3, v3, v5, v4
	v_trunc_f32_e32 v3, v3
	s_mov_b32 s18, 0x2f800000
	v_mul_f32_e64 v4, |v3|, s18
	v_floor_f32_e32 v4, v4
	s_mov_b32 s18, 0xcf800000
	v_fma_f32 v4, v4, s18, |v3|
	v_cvt_u32_f32_e32 v4, v4
	v_ashrrev_i32_e32 v3, 31, v3
	v_xor_b32_e32 v4, v4, v3
	v_sub_u32_e32 v3, v4, v3
.LBB6_298:
	s_or_b64 exec, exec, s[0:1]
	s_mov_b64 s[0:1], 0
	s_branch .LBB6_304
.LBB6_299:
	s_mov_b64 s[18:19], -1
                                        ; implicit-def: $vgpr3
	s_branch .LBB6_310
.LBB6_300:
	s_andn2_saveexec_b64 s[0:1], s[0:1]
	s_cbranch_execz .LBB6_285
.LBB6_301:
	v_cmp_ne_u16_e32 vcc, 0, v4
	s_andn2_b64 s[18:19], s[18:19], exec
	s_and_b64 s[30:31], vcc, exec
	s_or_b64 s[18:19], s[18:19], s[30:31]
	s_or_b64 exec, exec, s[0:1]
	v_mov_b32_e32 v3, 0
	s_and_saveexec_b64 s[0:1], s[18:19]
	s_cbranch_execnz .LBB6_286
	s_branch .LBB6_287
.LBB6_302:
	s_mov_b64 s[0:1], -1
                                        ; implicit-def: $vgpr3
	s_branch .LBB6_307
.LBB6_303:
	s_mov_b64 s[0:1], -1
                                        ; implicit-def: $vgpr3
.LBB6_304:
	s_and_b64 vcc, exec, s[0:1]
	s_cbranch_vccz .LBB6_306
; %bb.305:
	global_load_ubyte v3, v[1:2], off
	s_mov_b32 s0, 0x7f800000
	s_brev_b32 s1, 1
	s_mov_b32 s18, 0x2f800000
	s_waitcnt vmcnt(0)
	v_lshlrev_b32_e32 v3, 24, v3
	v_and_b32_e32 v4, 0x7f000000, v3
	v_ffbh_u32_e32 v5, v4
	v_min_u32_e32 v5, 32, v5
	v_sub_u32_e64 v5, v5, 4 clamp
	v_lshlrev_b32_e32 v7, v5, v4
	v_lshlrev_b32_e32 v5, 23, v5
	v_lshrrev_b32_e32 v7, 4, v7
	v_add_u32_e32 v6, 0x1000000, v4
	v_sub_u32_e32 v5, v7, v5
	v_ashrrev_i32_e32 v6, 8, v6
	v_add_u32_e32 v5, 0x3c000000, v5
	v_and_or_b32 v5, v6, s0, v5
	v_cmp_ne_u32_e32 vcc, 0, v4
	v_cndmask_b32_e32 v4, 0, v5, vcc
	v_and_or_b32 v3, v3, s1, v4
	v_trunc_f32_e32 v3, v3
	v_mul_f32_e64 v4, |v3|, s18
	v_floor_f32_e32 v4, v4
	s_mov_b32 s0, 0xcf800000
	v_fma_f32 v4, v4, s0, |v3|
	v_cvt_u32_f32_e32 v4, v4
	v_ashrrev_i32_e32 v3, 31, v3
	v_xor_b32_e32 v4, v4, v3
	v_sub_u32_e32 v3, v4, v3
.LBB6_306:
	s_mov_b64 s[0:1], 0
.LBB6_307:
	s_andn2_b64 vcc, exec, s[0:1]
	s_cbranch_vccnz .LBB6_309
; %bb.308:
	global_load_ubyte v3, v[1:2], off
	s_movk_i32 s0, 0x7f00
	s_brev_b32 s1, 16
	s_brev_b32 s18, 1
	s_mov_b32 s19, 0x2f800000
	s_waitcnt vmcnt(0)
	v_lshlrev_b16_e32 v4, 8, v3
	v_lshlrev_b32_e32 v3, 25, v3
	v_lshrrev_b32_e32 v5, 4, v3
	v_and_or_b32 v6, v4, s0, 0.5
	v_or_b32_e32 v5, 0x70000000, v5
	v_add_f32_e32 v6, -0.5, v6
	v_mul_f32_e32 v5, 0x7800000, v5
	v_cmp_gt_u32_e32 vcc, s1, v3
	v_bfe_i32 v4, v4, 0, 16
	v_cndmask_b32_e32 v3, v5, v6, vcc
	v_and_or_b32 v3, v4, s18, v3
	v_trunc_f32_e32 v3, v3
	v_mul_f32_e64 v4, |v3|, s19
	v_floor_f32_e32 v4, v4
	s_mov_b32 s0, 0xcf800000
	v_fma_f32 v4, v4, s0, |v3|
	v_cvt_u32_f32_e32 v4, v4
	v_ashrrev_i32_e32 v3, 31, v3
	v_xor_b32_e32 v4, v4, v3
	v_sub_u32_e32 v3, v4, v3
.LBB6_309:
	s_mov_b64 s[18:19], 0
	s_mov_b64 s[0:1], -1
.LBB6_310:
	s_andn2_b64 vcc, exec, s[18:19]
	s_cbranch_vccnz .LBB6_323
; %bb.311:
	s_cmp_gt_i32 s27, 14
	s_cbranch_scc0 .LBB6_314
; %bb.312:
	s_cmp_eq_u32 s27, 15
	s_cbranch_scc0 .LBB6_317
; %bb.313:
	global_load_ushort v3, v[1:2], off
	s_mov_b32 s0, 0x2f800000
	s_mov_b32 s1, 0xcf800000
	s_mov_b64 s[20:21], 0
	s_waitcnt vmcnt(0)
	v_lshlrev_b32_e32 v3, 16, v3
	v_trunc_f32_e32 v3, v3
	v_mul_f32_e64 v4, |v3|, s0
	v_floor_f32_e32 v4, v4
	v_fma_f32 v4, v4, s1, |v3|
	v_cvt_u32_f32_e32 v4, v4
	v_ashrrev_i32_e32 v3, 31, v3
	s_mov_b64 s[0:1], -1
	v_xor_b32_e32 v4, v4, v3
	v_sub_u32_e32 v3, v4, v3
	s_branch .LBB6_318
.LBB6_314:
	s_mov_b64 s[18:19], -1
                                        ; implicit-def: $vgpr3
	s_branch .LBB6_319
.LBB6_315:
	s_andn2_saveexec_b64 s[0:1], s[0:1]
	s_cbranch_execz .LBB6_296
.LBB6_316:
	v_cmp_ne_u16_e32 vcc, 0, v4
	s_andn2_b64 s[18:19], s[18:19], exec
	s_and_b64 s[30:31], vcc, exec
	s_or_b64 s[18:19], s[18:19], s[30:31]
	s_or_b64 exec, exec, s[0:1]
	v_mov_b32_e32 v3, 0
	s_and_saveexec_b64 s[0:1], s[18:19]
	s_cbranch_execnz .LBB6_297
	s_branch .LBB6_298
.LBB6_317:
	s_mov_b64 s[20:21], -1
                                        ; implicit-def: $vgpr3
.LBB6_318:
	s_mov_b64 s[18:19], 0
.LBB6_319:
	s_and_b64 vcc, exec, s[18:19]
	s_cbranch_vccz .LBB6_323
; %bb.320:
	s_cmp_eq_u32 s27, 11
	s_cbranch_scc0 .LBB6_322
; %bb.321:
	global_load_ubyte v3, v[1:2], off
	s_mov_b64 s[0:1], -1
	s_mov_b64 s[20:21], 0
	s_waitcnt vmcnt(0)
	v_cmp_ne_u16_e32 vcc, 0, v3
	v_cndmask_b32_e64 v3, 0, 1, vcc
	s_branch .LBB6_323
.LBB6_322:
	s_mov_b64 s[20:21], -1
                                        ; implicit-def: $vgpr3
.LBB6_323:
	s_branch .LBB6_20
.LBB6_324:
	s_and_b32 s18, 0xffff, s26
	s_cmp_lt_i32 s18, 5
	s_cbranch_scc1 .LBB6_329
; %bb.325:
	s_cmp_lt_i32 s18, 8
	s_cbranch_scc1 .LBB6_330
; %bb.326:
	;; [unrolled: 3-line block ×3, first 2 shown]
	s_cmp_gt_i32 s18, 9
	s_cbranch_scc0 .LBB6_332
; %bb.328:
	global_load_dwordx2 v[3:4], v[1:2], off
	s_movk_i32 s0, 0xffe0
	s_waitcnt vmcnt(0)
	v_trunc_f64_e32 v[3:4], v[3:4]
	v_ldexp_f64 v[5:6], v[3:4], s0
	s_mov_b32 s0, 0
	s_mov_b32 s1, 0xc1f00000
	v_floor_f64_e32 v[5:6], v[5:6]
	v_fma_f64 v[3:4], v[5:6], s[0:1], v[3:4]
	s_mov_b64 s[0:1], 0
	v_cvt_u32_f64_e32 v3, v[3:4]
	s_branch .LBB6_333
.LBB6_329:
	s_mov_b64 s[0:1], -1
                                        ; implicit-def: $vgpr3
	s_branch .LBB6_351
.LBB6_330:
	s_mov_b64 s[0:1], -1
                                        ; implicit-def: $vgpr3
	s_branch .LBB6_339
.LBB6_331:
	s_mov_b64 s[0:1], -1
                                        ; implicit-def: $vgpr3
	s_branch .LBB6_336
.LBB6_332:
	s_mov_b64 s[0:1], -1
                                        ; implicit-def: $vgpr3
.LBB6_333:
	s_andn2_b64 vcc, exec, s[0:1]
	s_cbranch_vccnz .LBB6_335
; %bb.334:
	global_load_dword v3, v[1:2], off
	s_mov_b32 s0, 0x2f800000
	s_waitcnt vmcnt(0)
	v_trunc_f32_e32 v3, v3
	v_mul_f32_e64 v4, |v3|, s0
	v_floor_f32_e32 v4, v4
	s_mov_b32 s0, 0xcf800000
	v_fma_f32 v4, v4, s0, |v3|
	v_cvt_u32_f32_e32 v4, v4
	v_ashrrev_i32_e32 v3, 31, v3
	v_xor_b32_e32 v4, v4, v3
	v_sub_u32_e32 v3, v4, v3
.LBB6_335:
	s_mov_b64 s[0:1], 0
.LBB6_336:
	s_andn2_b64 vcc, exec, s[0:1]
	s_cbranch_vccnz .LBB6_338
; %bb.337:
	global_load_dword v3, v[1:2], off
	s_waitcnt vmcnt(0)
	v_cvt_f32_f16_e32 v3, v3
	v_cvt_i32_f32_e32 v3, v3
.LBB6_338:
	s_mov_b64 s[0:1], 0
.LBB6_339:
	s_andn2_b64 vcc, exec, s[0:1]
	s_cbranch_vccnz .LBB6_350
; %bb.340:
	s_cmp_lt_i32 s18, 6
	s_cbranch_scc1 .LBB6_343
; %bb.341:
	s_cmp_gt_i32 s18, 6
	s_cbranch_scc0 .LBB6_344
; %bb.342:
	global_load_dwordx2 v[3:4], v[1:2], off
	s_movk_i32 s0, 0xffe0
	s_waitcnt vmcnt(0)
	v_trunc_f64_e32 v[3:4], v[3:4]
	v_ldexp_f64 v[5:6], v[3:4], s0
	s_mov_b32 s0, 0
	s_mov_b32 s1, 0xc1f00000
	v_floor_f64_e32 v[5:6], v[5:6]
	v_fma_f64 v[3:4], v[5:6], s[0:1], v[3:4]
	s_mov_b64 s[0:1], 0
	v_cvt_u32_f64_e32 v3, v[3:4]
	s_branch .LBB6_345
.LBB6_343:
	s_mov_b64 s[0:1], -1
                                        ; implicit-def: $vgpr3
	s_branch .LBB6_348
.LBB6_344:
	s_mov_b64 s[0:1], -1
                                        ; implicit-def: $vgpr3
.LBB6_345:
	s_andn2_b64 vcc, exec, s[0:1]
	s_cbranch_vccnz .LBB6_347
; %bb.346:
	global_load_dword v3, v[1:2], off
	s_mov_b32 s0, 0x2f800000
	s_waitcnt vmcnt(0)
	v_trunc_f32_e32 v3, v3
	v_mul_f32_e64 v4, |v3|, s0
	v_floor_f32_e32 v4, v4
	s_mov_b32 s0, 0xcf800000
	v_fma_f32 v4, v4, s0, |v3|
	v_cvt_u32_f32_e32 v4, v4
	v_ashrrev_i32_e32 v3, 31, v3
	v_xor_b32_e32 v4, v4, v3
	v_sub_u32_e32 v3, v4, v3
.LBB6_347:
	s_mov_b64 s[0:1], 0
.LBB6_348:
	s_andn2_b64 vcc, exec, s[0:1]
	s_cbranch_vccnz .LBB6_350
; %bb.349:
	global_load_ushort v3, v[1:2], off
	s_waitcnt vmcnt(0)
	v_cvt_f32_f16_e32 v3, v3
	v_cvt_i32_f32_e32 v3, v3
.LBB6_350:
	s_mov_b64 s[0:1], 0
.LBB6_351:
	s_andn2_b64 vcc, exec, s[0:1]
	s_cbranch_vccnz .LBB6_371
; %bb.352:
	s_cmp_lt_i32 s18, 2
	s_cbranch_scc1 .LBB6_356
; %bb.353:
	s_cmp_lt_i32 s18, 3
	s_cbranch_scc1 .LBB6_357
; %bb.354:
	s_cmp_gt_i32 s18, 3
	s_cbranch_scc0 .LBB6_358
; %bb.355:
	global_load_dwordx2 v[3:4], v[1:2], off
	s_mov_b64 s[0:1], 0
	s_branch .LBB6_359
.LBB6_356:
	s_mov_b64 s[0:1], -1
                                        ; implicit-def: $vgpr3
	s_branch .LBB6_365
.LBB6_357:
	s_mov_b64 s[0:1], -1
                                        ; implicit-def: $vgpr3
	s_branch .LBB6_362
.LBB6_358:
	s_mov_b64 s[0:1], -1
                                        ; implicit-def: $vgpr3
.LBB6_359:
	s_andn2_b64 vcc, exec, s[0:1]
	s_cbranch_vccnz .LBB6_361
; %bb.360:
	global_load_dword v3, v[1:2], off
.LBB6_361:
	s_mov_b64 s[0:1], 0
.LBB6_362:
	s_andn2_b64 vcc, exec, s[0:1]
	s_cbranch_vccnz .LBB6_364
; %bb.363:
	global_load_ushort v3, v[1:2], off
.LBB6_364:
	s_mov_b64 s[0:1], 0
.LBB6_365:
	s_andn2_b64 vcc, exec, s[0:1]
	s_cbranch_vccnz .LBB6_371
; %bb.366:
	s_cmp_gt_i32 s18, 0
	s_cbranch_scc0 .LBB6_368
; %bb.367:
	global_load_ubyte v3, v[1:2], off
	s_mov_b64 s[0:1], 0
	s_branch .LBB6_369
.LBB6_368:
	s_mov_b64 s[0:1], -1
                                        ; implicit-def: $vgpr3
.LBB6_369:
	s_andn2_b64 vcc, exec, s[0:1]
	s_cbranch_vccnz .LBB6_371
; %bb.370:
	global_load_ubyte v3, v[1:2], off
.LBB6_371:
	s_branch .LBB6_21
.LBB6_372:
	s_mov_b64 s[0:1], 0
.LBB6_373:
                                        ; implicit-def: $vgpr11
	s_mov_b64 s[26:27], 0
.LBB6_374:
	s_and_b64 s[18:19], s[0:1], exec
	s_and_b64 s[20:21], s[20:21], exec
	;; [unrolled: 1-line block ×3, first 2 shown]
	s_orn2_b64 s[0:1], s[26:27], exec
.LBB6_375:
	s_or_b64 exec, exec, s[24:25]
	s_mov_b64 s[34:35], 0
	s_mov_b64 s[30:31], 0
                                        ; implicit-def: $sgpr58
                                        ; implicit-def: $vgpr2_vgpr3
                                        ; implicit-def: $vgpr0
	s_and_saveexec_b64 s[24:25], s[0:1]
	s_cbranch_execz .LBB6_384
; %bb.376:
	v_cmp_gt_i32_e32 vcc, s50, v11
	s_mov_b64 s[0:1], -1
	s_mov_b64 s[26:27], s[22:23]
	s_mov_b64 s[28:29], s[20:21]
	;; [unrolled: 1-line block ×3, first 2 shown]
	s_and_saveexec_b64 s[34:35], vcc
	s_cbranch_execz .LBB6_757
; %bb.377:
	s_waitcnt vmcnt(0)
	v_mul_lo_u32 v0, v11, s13
	v_mov_b32_e32 v1, s11
	s_and_b32 s30, s57, 0xff
	s_cmp_lt_i32 s30, 11
	v_ashrrev_i32_e32 v3, 31, v0
	v_add_co_u32_e32 v2, vcc, s10, v0
	v_addc_co_u32_e32 v3, vcc, v1, v3, vcc
	s_cbranch_scc1 .LBB6_387
; %bb.378:
	s_and_b32 s31, 0xffff, s30
	s_cmp_gt_i32 s31, 25
	s_cbranch_scc0 .LBB6_396
; %bb.379:
	s_cmp_gt_i32 s31, 28
	s_cbranch_scc0 .LBB6_398
; %bb.380:
	;; [unrolled: 3-line block ×4, first 2 shown]
	s_cmp_eq_u32 s31, 46
	s_mov_b64 s[28:29], 0
	s_cbranch_scc0 .LBB6_406
; %bb.383:
	global_load_dword v0, v[2:3], off
	s_mov_b32 s0, 0x2f800000
	s_mov_b32 s1, 0xcf800000
	s_mov_b64 s[26:27], 0
	s_waitcnt vmcnt(0)
	v_lshlrev_b32_e32 v0, 16, v0
	v_trunc_f32_e32 v0, v0
	v_mul_f32_e64 v1, |v0|, s0
	v_floor_f32_e32 v1, v1
	v_fma_f32 v1, v1, s1, |v0|
	v_cvt_u32_f32_e32 v1, v1
	v_ashrrev_i32_e32 v0, 31, v0
	s_mov_b64 s[0:1], -1
	v_xor_b32_e32 v1, v1, v0
	v_sub_u32_e32 v0, v1, v0
	s_branch .LBB6_407
.LBB6_384:
	s_or_b64 exec, exec, s[24:25]
	s_mov_b64 s[24:25], 0
	s_and_saveexec_b64 s[0:1], s[22:23]
	s_cbranch_execnz .LBB6_1220
.LBB6_385:
	s_or_b64 exec, exec, s[0:1]
	s_and_saveexec_b64 s[0:1], s[28:29]
	s_xor_b64 s[0:1], exec, s[0:1]
	s_cbranch_execz .LBB6_1221
.LBB6_386:
	s_waitcnt vmcnt(0)
	global_load_ubyte v0, v[2:3], off
	s_or_b64 s[30:31], s[30:31], exec
	s_waitcnt vmcnt(0)
	v_cmp_ne_u16_e32 vcc, 0, v0
	v_cndmask_b32_e64 v0, 0, 1, vcc
	s_or_b64 exec, exec, s[0:1]
	s_and_saveexec_b64 s[0:1], s[34:35]
	s_cbranch_execz .LBB6_1267
	s_branch .LBB6_1222
.LBB6_387:
	s_mov_b64 s[0:1], 0
                                        ; implicit-def: $vgpr0
	s_mov_b64 s[26:27], s[22:23]
	s_cbranch_execnz .LBB6_469
.LBB6_388:
	s_andn2_b64 vcc, exec, s[0:1]
	s_cbranch_vccnz .LBB6_517
.LBB6_389:
	s_waitcnt vmcnt(0)
	v_mul_lo_u32 v1, v11, s14
	v_mov_b32_e32 v2, s3
	s_and_b32 s36, s56, 0xff
	s_cmp_lt_i32 s36, 11
	v_ashrrev_i32_e32 v3, 31, v1
	v_add_co_u32_e32 v1, vcc, s2, v1
	v_addc_co_u32_e32 v2, vcc, v2, v3, vcc
	s_cbranch_scc1 .LBB6_397
; %bb.390:
	s_and_b32 s37, 0xffff, s36
	s_cmp_gt_i32 s37, 25
	s_cbranch_scc0 .LBB6_399
; %bb.391:
	s_cmp_gt_i32 s37, 28
	s_cbranch_scc0 .LBB6_401
; %bb.392:
	;; [unrolled: 3-line block ×4, first 2 shown]
	s_cmp_eq_u32 s37, 46
	s_mov_b64 s[30:31], 0
	s_cbranch_scc0 .LBB6_521
; %bb.395:
	global_load_dword v3, v[1:2], off
	s_mov_b32 s0, 0x2f800000
	s_mov_b32 s1, 0xcf800000
	s_mov_b64 s[28:29], 0
	s_waitcnt vmcnt(0)
	v_lshlrev_b32_e32 v3, 16, v3
	v_trunc_f32_e32 v3, v3
	v_mul_f32_e64 v4, |v3|, s0
	v_floor_f32_e32 v4, v4
	v_fma_f32 v4, v4, s1, |v3|
	v_cvt_u32_f32_e32 v4, v4
	v_ashrrev_i32_e32 v3, 31, v3
	s_mov_b64 s[0:1], -1
	v_xor_b32_e32 v4, v4, v3
	v_sub_u32_e32 v3, v4, v3
	s_branch .LBB6_522
.LBB6_396:
	s_mov_b64 s[28:29], -1
	s_mov_b64 s[0:1], 0
	s_mov_b64 s[26:27], s[22:23]
                                        ; implicit-def: $vgpr0
	s_branch .LBB6_435
.LBB6_397:
	s_mov_b64 s[30:31], -1
	s_mov_b64 s[0:1], 0
                                        ; implicit-def: $vgpr3
	s_mov_b64 s[28:29], s[20:21]
	s_branch .LBB6_583
.LBB6_398:
	s_mov_b64 s[28:29], -1
	s_mov_b64 s[0:1], 0
	s_mov_b64 s[26:27], s[22:23]
                                        ; implicit-def: $vgpr0
	s_branch .LBB6_418
.LBB6_399:
	s_mov_b64 s[30:31], -1
	s_mov_b64 s[0:1], 0
	s_mov_b64 s[28:29], s[20:21]
                                        ; implicit-def: $vgpr3
	s_branch .LBB6_549
.LBB6_400:
	s_mov_b64 s[28:29], -1
	s_mov_b64 s[0:1], 0
	s_mov_b64 s[26:27], s[22:23]
                                        ; implicit-def: $vgpr0
	s_branch .LBB6_413
.LBB6_401:
	s_mov_b64 s[30:31], -1
	s_mov_b64 s[0:1], 0
	s_mov_b64 s[28:29], s[20:21]
                                        ; implicit-def: $vgpr3
	s_branch .LBB6_532
.LBB6_402:
	s_mov_b64 s[28:29], -1
	s_mov_b64 s[0:1], 0
	s_mov_b64 s[26:27], s[22:23]
                                        ; implicit-def: $vgpr0
	s_branch .LBB6_407
.LBB6_403:
	s_mov_b64 s[30:31], -1
	s_mov_b64 s[0:1], 0
	s_mov_b64 s[28:29], s[20:21]
                                        ; implicit-def: $vgpr3
	s_branch .LBB6_527
.LBB6_404:
	s_andn2_saveexec_b64 s[34:35], s[34:35]
	s_cbranch_execz .LBB6_176
.LBB6_405:
	v_add_f32_e32 v2, 0x46000000, v3
	v_and_b32_e32 v2, 0xff, v2
	v_cmp_ne_u32_e32 vcc, 0, v2
	s_andn2_b64 s[30:31], s[30:31], exec
	s_and_b64 s[38:39], vcc, exec
	s_or_b64 s[30:31], s[30:31], s[38:39]
	s_or_b64 exec, exec, s[34:35]
	v_mov_b32_e32 v4, 0
	s_and_saveexec_b64 s[34:35], s[30:31]
	s_cbranch_execnz .LBB6_177
	s_branch .LBB6_178
.LBB6_406:
	s_mov_b64 s[26:27], -1
                                        ; implicit-def: $vgpr0
	s_mov_b64 s[0:1], 0
.LBB6_407:
	s_and_b64 vcc, exec, s[28:29]
	s_cbranch_vccz .LBB6_412
; %bb.408:
	s_cmp_eq_u32 s31, 44
	s_cbranch_scc0 .LBB6_411
; %bb.409:
	global_load_ubyte v0, v[2:3], off
	s_mov_b32 s0, 0x2f800000
	s_mov_b32 s1, 0xcf800000
	s_mov_b64 s[26:27], 0
	s_waitcnt vmcnt(0)
	v_lshlrev_b32_e32 v1, 23, v0
	v_trunc_f32_e32 v1, v1
	v_mul_f32_e64 v4, |v1|, s0
	v_floor_f32_e32 v4, v4
	v_fma_f32 v4, v4, s1, |v1|
	v_cvt_u32_f32_e32 v4, v4
	v_ashrrev_i32_e32 v1, 31, v1
	v_cmp_ne_u32_e32 vcc, 0, v0
	s_mov_b64 s[0:1], -1
	v_xor_b32_e32 v4, v4, v1
	v_sub_u32_e32 v1, v4, v1
	v_cndmask_b32_e32 v0, 0, v1, vcc
	s_branch .LBB6_412
.LBB6_410:
	s_mov_b64 s[30:31], -1
	s_mov_b64 s[0:1], 0
	s_mov_b64 s[28:29], s[20:21]
                                        ; implicit-def: $vgpr3
	s_branch .LBB6_522
.LBB6_411:
	s_mov_b64 s[26:27], -1
                                        ; implicit-def: $vgpr0
.LBB6_412:
	s_mov_b64 s[28:29], 0
.LBB6_413:
	s_and_b64 vcc, exec, s[28:29]
	s_cbranch_vccz .LBB6_417
; %bb.414:
	s_cmp_eq_u32 s31, 29
	s_cbranch_scc0 .LBB6_416
; %bb.415:
	global_load_dwordx2 v[0:1], v[2:3], off
	s_mov_b64 s[0:1], -1
	s_mov_b64 s[26:27], 0
	s_branch .LBB6_417
.LBB6_416:
	s_mov_b64 s[26:27], -1
                                        ; implicit-def: $vgpr0
.LBB6_417:
	s_mov_b64 s[28:29], 0
.LBB6_418:
	s_and_b64 vcc, exec, s[28:29]
	s_cbranch_vccz .LBB6_434
; %bb.419:
	s_cmp_lt_i32 s31, 27
	s_cbranch_scc1 .LBB6_422
; %bb.420:
	s_cmp_gt_i32 s31, 27
	s_cbranch_scc0 .LBB6_423
; %bb.421:
	global_load_dword v0, v[2:3], off
	s_mov_b64 s[0:1], 0
	s_branch .LBB6_424
.LBB6_422:
	s_mov_b64 s[0:1], -1
                                        ; implicit-def: $vgpr0
	s_branch .LBB6_427
.LBB6_423:
	s_mov_b64 s[0:1], -1
                                        ; implicit-def: $vgpr0
.LBB6_424:
	s_andn2_b64 vcc, exec, s[0:1]
	s_cbranch_vccnz .LBB6_426
; %bb.425:
	global_load_ushort v0, v[2:3], off
.LBB6_426:
	s_mov_b64 s[0:1], 0
.LBB6_427:
	s_andn2_b64 vcc, exec, s[0:1]
	s_cbranch_vccnz .LBB6_433
; %bb.428:
	global_load_ubyte v1, v[2:3], off
	s_movk_i32 s0, 0x7f
	s_mov_b64 s[28:29], 0
	s_waitcnt vmcnt(0)
	v_cmp_lt_i16_e32 vcc, s0, v1
	s_and_saveexec_b64 s[0:1], vcc
	s_xor_b64 s[0:1], exec, s[0:1]
	s_cbranch_execz .LBB6_445
; %bb.429:
	s_movk_i32 s28, 0x80
	v_cmp_ne_u16_e32 vcc, s28, v1
	s_and_b64 s[28:29], vcc, exec
	s_andn2_saveexec_b64 s[0:1], s[0:1]
	s_cbranch_execnz .LBB6_446
.LBB6_430:
	s_or_b64 exec, exec, s[0:1]
	v_mov_b32_e32 v0, 0
	s_and_saveexec_b64 s[0:1], s[28:29]
	s_cbranch_execz .LBB6_432
.LBB6_431:
	v_lshlrev_b32_e32 v0, 24, v1
	v_and_b32_e32 v1, 0xffff, v1
	v_and_b32_e32 v4, 7, v1
	v_ffbh_u32_e32 v6, v4
	v_min_u32_e32 v6, 32, v6
	v_subrev_u32_e32 v7, 28, v6
	v_bfe_u32 v5, v1, 3, 4
	v_lshlrev_b32_e32 v1, v7, v1
	v_sub_u32_e32 v6, 29, v6
	v_and_b32_e32 v1, 7, v1
	v_cmp_eq_u32_e32 vcc, 0, v5
	v_cndmask_b32_e32 v5, v5, v6, vcc
	v_cndmask_b32_e32 v1, v4, v1, vcc
	v_mov_b32_e32 v4, 0x3b800000
	v_lshlrev_b32_e32 v1, 20, v1
	v_and_b32_e32 v0, 0x80000000, v0
	v_lshl_add_u32 v4, v5, 23, v4
	v_or3_b32 v0, v0, v4, v1
	v_trunc_f32_e32 v0, v0
	s_mov_b32 s28, 0x2f800000
	v_mul_f32_e64 v1, |v0|, s28
	v_floor_f32_e32 v1, v1
	s_mov_b32 s28, 0xcf800000
	v_fma_f32 v1, v1, s28, |v0|
	v_cvt_u32_f32_e32 v1, v1
	v_ashrrev_i32_e32 v0, 31, v0
	v_xor_b32_e32 v1, v1, v0
	v_sub_u32_e32 v0, v1, v0
.LBB6_432:
	s_or_b64 exec, exec, s[0:1]
.LBB6_433:
	s_mov_b64 s[0:1], -1
.LBB6_434:
	s_mov_b64 s[28:29], 0
.LBB6_435:
	s_and_b64 vcc, exec, s[28:29]
	s_cbranch_vccz .LBB6_468
; %bb.436:
	s_cmp_gt_i32 s31, 22
	s_cbranch_scc0 .LBB6_444
; %bb.437:
	s_cmp_lt_i32 s31, 24
	s_cbranch_scc1 .LBB6_447
; %bb.438:
	s_cmp_gt_i32 s31, 24
	s_cbranch_scc0 .LBB6_448
; %bb.439:
	global_load_ubyte v1, v[2:3], off
	s_movk_i32 s0, 0x7f
	s_mov_b64 s[28:29], 0
	s_waitcnt vmcnt(0)
	v_cmp_lt_i16_e32 vcc, s0, v1
	s_and_saveexec_b64 s[0:1], vcc
	s_xor_b64 s[0:1], exec, s[0:1]
	s_cbranch_execz .LBB6_460
; %bb.440:
	s_movk_i32 s28, 0x80
	v_cmp_ne_u16_e32 vcc, s28, v1
	s_and_b64 s[28:29], vcc, exec
	s_andn2_saveexec_b64 s[0:1], s[0:1]
	s_cbranch_execnz .LBB6_461
.LBB6_441:
	s_or_b64 exec, exec, s[0:1]
	v_mov_b32_e32 v0, 0
	s_and_saveexec_b64 s[0:1], s[28:29]
	s_cbranch_execz .LBB6_443
.LBB6_442:
	v_lshlrev_b32_e32 v0, 24, v1
	v_and_b32_e32 v1, 0xffff, v1
	v_and_b32_e32 v4, 3, v1
	v_ffbh_u32_e32 v6, v4
	v_min_u32_e32 v6, 32, v6
	v_subrev_u32_e32 v7, 29, v6
	v_bfe_u32 v5, v1, 2, 5
	v_lshlrev_b32_e32 v1, v7, v1
	v_sub_u32_e32 v6, 30, v6
	v_and_b32_e32 v1, 3, v1
	v_cmp_eq_u32_e32 vcc, 0, v5
	v_cndmask_b32_e32 v5, v5, v6, vcc
	v_cndmask_b32_e32 v1, v4, v1, vcc
	v_mov_b32_e32 v4, 0x37800000
	v_lshlrev_b32_e32 v1, 21, v1
	v_and_b32_e32 v0, 0x80000000, v0
	v_lshl_add_u32 v4, v5, 23, v4
	v_or3_b32 v0, v0, v4, v1
	v_trunc_f32_e32 v0, v0
	s_mov_b32 s28, 0x2f800000
	v_mul_f32_e64 v1, |v0|, s28
	v_floor_f32_e32 v1, v1
	s_mov_b32 s28, 0xcf800000
	v_fma_f32 v1, v1, s28, |v0|
	v_cvt_u32_f32_e32 v1, v1
	v_ashrrev_i32_e32 v0, 31, v0
	v_xor_b32_e32 v1, v1, v0
	v_sub_u32_e32 v0, v1, v0
.LBB6_443:
	s_or_b64 exec, exec, s[0:1]
	s_mov_b64 s[0:1], 0
	s_branch .LBB6_449
.LBB6_444:
	s_mov_b64 s[28:29], -1
                                        ; implicit-def: $vgpr0
	s_branch .LBB6_455
.LBB6_445:
	s_andn2_saveexec_b64 s[0:1], s[0:1]
	s_cbranch_execz .LBB6_430
.LBB6_446:
	v_cmp_ne_u16_e32 vcc, 0, v1
	s_andn2_b64 s[28:29], s[28:29], exec
	s_and_b64 s[36:37], vcc, exec
	s_or_b64 s[28:29], s[28:29], s[36:37]
	s_or_b64 exec, exec, s[0:1]
	v_mov_b32_e32 v0, 0
	s_and_saveexec_b64 s[0:1], s[28:29]
	s_cbranch_execnz .LBB6_431
	s_branch .LBB6_432
.LBB6_447:
	s_mov_b64 s[0:1], -1
                                        ; implicit-def: $vgpr0
	s_branch .LBB6_452
.LBB6_448:
	s_mov_b64 s[0:1], -1
                                        ; implicit-def: $vgpr0
.LBB6_449:
	s_and_b64 vcc, exec, s[0:1]
	s_cbranch_vccz .LBB6_451
; %bb.450:
	global_load_ubyte v0, v[2:3], off
	s_mov_b32 s0, 0x7f800000
	s_brev_b32 s1, 1
	s_mov_b32 s28, 0x2f800000
	s_waitcnt vmcnt(0)
	v_lshlrev_b32_e32 v0, 24, v0
	v_and_b32_e32 v1, 0x7f000000, v0
	v_ffbh_u32_e32 v4, v1
	v_min_u32_e32 v4, 32, v4
	v_sub_u32_e64 v4, v4, 4 clamp
	v_lshlrev_b32_e32 v6, v4, v1
	v_lshlrev_b32_e32 v4, 23, v4
	v_lshrrev_b32_e32 v6, 4, v6
	v_add_u32_e32 v5, 0x1000000, v1
	v_sub_u32_e32 v4, v6, v4
	v_ashrrev_i32_e32 v5, 8, v5
	v_add_u32_e32 v4, 0x3c000000, v4
	v_and_or_b32 v4, v5, s0, v4
	v_cmp_ne_u32_e32 vcc, 0, v1
	v_cndmask_b32_e32 v1, 0, v4, vcc
	v_and_or_b32 v0, v0, s1, v1
	v_trunc_f32_e32 v0, v0
	v_mul_f32_e64 v1, |v0|, s28
	v_floor_f32_e32 v1, v1
	s_mov_b32 s0, 0xcf800000
	v_fma_f32 v1, v1, s0, |v0|
	v_cvt_u32_f32_e32 v1, v1
	v_ashrrev_i32_e32 v0, 31, v0
	v_xor_b32_e32 v1, v1, v0
	v_sub_u32_e32 v0, v1, v0
.LBB6_451:
	s_mov_b64 s[0:1], 0
.LBB6_452:
	s_andn2_b64 vcc, exec, s[0:1]
	s_cbranch_vccnz .LBB6_454
; %bb.453:
	global_load_ubyte v0, v[2:3], off
	s_movk_i32 s0, 0x7f00
	s_brev_b32 s1, 16
	s_brev_b32 s28, 1
	s_mov_b32 s29, 0x2f800000
	s_waitcnt vmcnt(0)
	v_lshlrev_b16_e32 v1, 8, v0
	v_lshlrev_b32_e32 v0, 25, v0
	v_lshrrev_b32_e32 v4, 4, v0
	v_and_or_b32 v5, v1, s0, 0.5
	v_or_b32_e32 v4, 0x70000000, v4
	v_add_f32_e32 v5, -0.5, v5
	v_mul_f32_e32 v4, 0x7800000, v4
	v_cmp_gt_u32_e32 vcc, s1, v0
	v_bfe_i32 v1, v1, 0, 16
	v_cndmask_b32_e32 v0, v4, v5, vcc
	v_and_or_b32 v0, v1, s28, v0
	v_trunc_f32_e32 v0, v0
	v_mul_f32_e64 v1, |v0|, s29
	v_floor_f32_e32 v1, v1
	s_mov_b32 s0, 0xcf800000
	v_fma_f32 v1, v1, s0, |v0|
	v_cvt_u32_f32_e32 v1, v1
	v_ashrrev_i32_e32 v0, 31, v0
	v_xor_b32_e32 v1, v1, v0
	v_sub_u32_e32 v0, v1, v0
.LBB6_454:
	s_mov_b64 s[28:29], 0
	s_mov_b64 s[0:1], -1
.LBB6_455:
	s_andn2_b64 vcc, exec, s[28:29]
	s_cbranch_vccnz .LBB6_468
; %bb.456:
	s_cmp_gt_i32 s31, 14
	s_cbranch_scc0 .LBB6_459
; %bb.457:
	s_cmp_eq_u32 s31, 15
	s_cbranch_scc0 .LBB6_462
; %bb.458:
	global_load_ushort v0, v[2:3], off
	s_mov_b32 s0, 0x2f800000
	s_mov_b32 s1, 0xcf800000
	s_mov_b64 s[26:27], 0
	s_waitcnt vmcnt(0)
	v_lshlrev_b32_e32 v0, 16, v0
	v_trunc_f32_e32 v0, v0
	v_mul_f32_e64 v1, |v0|, s0
	v_floor_f32_e32 v1, v1
	v_fma_f32 v1, v1, s1, |v0|
	v_cvt_u32_f32_e32 v1, v1
	v_ashrrev_i32_e32 v0, 31, v0
	s_mov_b64 s[0:1], -1
	v_xor_b32_e32 v1, v1, v0
	v_sub_u32_e32 v0, v1, v0
	s_branch .LBB6_463
.LBB6_459:
	s_mov_b64 s[28:29], -1
                                        ; implicit-def: $vgpr0
	s_branch .LBB6_464
.LBB6_460:
	s_andn2_saveexec_b64 s[0:1], s[0:1]
	s_cbranch_execz .LBB6_441
.LBB6_461:
	v_cmp_ne_u16_e32 vcc, 0, v1
	s_andn2_b64 s[28:29], s[28:29], exec
	s_and_b64 s[36:37], vcc, exec
	s_or_b64 s[28:29], s[28:29], s[36:37]
	s_or_b64 exec, exec, s[0:1]
	v_mov_b32_e32 v0, 0
	s_and_saveexec_b64 s[0:1], s[28:29]
	s_cbranch_execnz .LBB6_442
	s_branch .LBB6_443
.LBB6_462:
	s_mov_b64 s[26:27], -1
                                        ; implicit-def: $vgpr0
.LBB6_463:
	s_mov_b64 s[28:29], 0
.LBB6_464:
	s_and_b64 vcc, exec, s[28:29]
	s_cbranch_vccz .LBB6_468
; %bb.465:
	s_cmp_eq_u32 s31, 11
	s_cbranch_scc0 .LBB6_467
; %bb.466:
	global_load_ubyte v0, v[2:3], off
	s_mov_b64 s[0:1], -1
	s_mov_b64 s[26:27], 0
	s_waitcnt vmcnt(0)
	v_cmp_ne_u16_e32 vcc, 0, v0
	v_cndmask_b32_e64 v0, 0, 1, vcc
	s_branch .LBB6_468
.LBB6_467:
	s_mov_b64 s[26:27], -1
                                        ; implicit-def: $vgpr0
.LBB6_468:
	s_branch .LBB6_388
.LBB6_469:
	s_and_b32 s28, 0xffff, s30
	s_cmp_lt_i32 s28, 5
	s_cbranch_scc1 .LBB6_474
; %bb.470:
	s_cmp_lt_i32 s28, 8
	s_cbranch_scc1 .LBB6_475
; %bb.471:
	;; [unrolled: 3-line block ×3, first 2 shown]
	s_cmp_gt_i32 s28, 9
	s_cbranch_scc0 .LBB6_477
; %bb.473:
	global_load_dwordx2 v[0:1], v[2:3], off
	s_movk_i32 s0, 0xffe0
	s_waitcnt vmcnt(0)
	v_trunc_f64_e32 v[0:1], v[0:1]
	v_ldexp_f64 v[4:5], v[0:1], s0
	s_mov_b32 s0, 0
	s_mov_b32 s1, 0xc1f00000
	v_floor_f64_e32 v[4:5], v[4:5]
	v_fma_f64 v[0:1], v[4:5], s[0:1], v[0:1]
	s_mov_b64 s[0:1], 0
	v_cvt_u32_f64_e32 v0, v[0:1]
	s_branch .LBB6_478
.LBB6_474:
	s_mov_b64 s[0:1], -1
                                        ; implicit-def: $vgpr0
	s_branch .LBB6_496
.LBB6_475:
	s_mov_b64 s[0:1], -1
                                        ; implicit-def: $vgpr0
	s_branch .LBB6_484
.LBB6_476:
	s_mov_b64 s[0:1], -1
                                        ; implicit-def: $vgpr0
	s_branch .LBB6_481
.LBB6_477:
	s_mov_b64 s[0:1], -1
                                        ; implicit-def: $vgpr0
.LBB6_478:
	s_andn2_b64 vcc, exec, s[0:1]
	s_cbranch_vccnz .LBB6_480
; %bb.479:
	global_load_dword v0, v[2:3], off
	s_mov_b32 s0, 0x2f800000
	s_waitcnt vmcnt(0)
	v_trunc_f32_e32 v0, v0
	v_mul_f32_e64 v1, |v0|, s0
	v_floor_f32_e32 v1, v1
	s_mov_b32 s0, 0xcf800000
	v_fma_f32 v1, v1, s0, |v0|
	v_cvt_u32_f32_e32 v1, v1
	v_ashrrev_i32_e32 v0, 31, v0
	v_xor_b32_e32 v1, v1, v0
	v_sub_u32_e32 v0, v1, v0
.LBB6_480:
	s_mov_b64 s[0:1], 0
.LBB6_481:
	s_andn2_b64 vcc, exec, s[0:1]
	s_cbranch_vccnz .LBB6_483
; %bb.482:
	global_load_dword v0, v[2:3], off
	s_waitcnt vmcnt(0)
	v_cvt_f32_f16_e32 v0, v0
	v_cvt_i32_f32_e32 v0, v0
.LBB6_483:
	s_mov_b64 s[0:1], 0
.LBB6_484:
	s_andn2_b64 vcc, exec, s[0:1]
	s_cbranch_vccnz .LBB6_495
; %bb.485:
	s_cmp_lt_i32 s28, 6
	s_cbranch_scc1 .LBB6_488
; %bb.486:
	s_cmp_gt_i32 s28, 6
	s_cbranch_scc0 .LBB6_489
; %bb.487:
	global_load_dwordx2 v[0:1], v[2:3], off
	s_movk_i32 s0, 0xffe0
	s_waitcnt vmcnt(0)
	v_trunc_f64_e32 v[0:1], v[0:1]
	v_ldexp_f64 v[4:5], v[0:1], s0
	s_mov_b32 s0, 0
	s_mov_b32 s1, 0xc1f00000
	v_floor_f64_e32 v[4:5], v[4:5]
	v_fma_f64 v[0:1], v[4:5], s[0:1], v[0:1]
	s_mov_b64 s[0:1], 0
	v_cvt_u32_f64_e32 v0, v[0:1]
	s_branch .LBB6_490
.LBB6_488:
	s_mov_b64 s[0:1], -1
                                        ; implicit-def: $vgpr0
	s_branch .LBB6_493
.LBB6_489:
	s_mov_b64 s[0:1], -1
                                        ; implicit-def: $vgpr0
.LBB6_490:
	s_andn2_b64 vcc, exec, s[0:1]
	s_cbranch_vccnz .LBB6_492
; %bb.491:
	global_load_dword v0, v[2:3], off
	s_mov_b32 s0, 0x2f800000
	s_waitcnt vmcnt(0)
	v_trunc_f32_e32 v0, v0
	v_mul_f32_e64 v1, |v0|, s0
	v_floor_f32_e32 v1, v1
	s_mov_b32 s0, 0xcf800000
	v_fma_f32 v1, v1, s0, |v0|
	v_cvt_u32_f32_e32 v1, v1
	v_ashrrev_i32_e32 v0, 31, v0
	v_xor_b32_e32 v1, v1, v0
	v_sub_u32_e32 v0, v1, v0
.LBB6_492:
	s_mov_b64 s[0:1], 0
.LBB6_493:
	s_andn2_b64 vcc, exec, s[0:1]
	s_cbranch_vccnz .LBB6_495
; %bb.494:
	global_load_ushort v0, v[2:3], off
	s_waitcnt vmcnt(0)
	v_cvt_f32_f16_e32 v0, v0
	v_cvt_i32_f32_e32 v0, v0
.LBB6_495:
	s_mov_b64 s[0:1], 0
.LBB6_496:
	s_andn2_b64 vcc, exec, s[0:1]
	s_cbranch_vccnz .LBB6_516
; %bb.497:
	s_cmp_lt_i32 s28, 2
	s_cbranch_scc1 .LBB6_501
; %bb.498:
	s_cmp_lt_i32 s28, 3
	s_cbranch_scc1 .LBB6_502
; %bb.499:
	s_cmp_gt_i32 s28, 3
	s_cbranch_scc0 .LBB6_503
; %bb.500:
	global_load_dwordx2 v[0:1], v[2:3], off
	s_mov_b64 s[0:1], 0
	s_branch .LBB6_504
.LBB6_501:
	s_mov_b64 s[0:1], -1
                                        ; implicit-def: $vgpr0
	s_branch .LBB6_510
.LBB6_502:
	s_mov_b64 s[0:1], -1
                                        ; implicit-def: $vgpr0
	s_branch .LBB6_507
.LBB6_503:
	s_mov_b64 s[0:1], -1
                                        ; implicit-def: $vgpr0
.LBB6_504:
	s_andn2_b64 vcc, exec, s[0:1]
	s_cbranch_vccnz .LBB6_506
; %bb.505:
	global_load_dword v0, v[2:3], off
.LBB6_506:
	s_mov_b64 s[0:1], 0
.LBB6_507:
	s_andn2_b64 vcc, exec, s[0:1]
	s_cbranch_vccnz .LBB6_509
; %bb.508:
	global_load_ushort v0, v[2:3], off
.LBB6_509:
	s_mov_b64 s[0:1], 0
.LBB6_510:
	s_andn2_b64 vcc, exec, s[0:1]
	s_cbranch_vccnz .LBB6_516
; %bb.511:
	s_cmp_gt_i32 s28, 0
	s_cbranch_scc0 .LBB6_513
; %bb.512:
	global_load_ubyte v0, v[2:3], off
	s_mov_b64 s[0:1], 0
	s_branch .LBB6_514
.LBB6_513:
	s_mov_b64 s[0:1], -1
                                        ; implicit-def: $vgpr0
.LBB6_514:
	s_andn2_b64 vcc, exec, s[0:1]
	s_cbranch_vccnz .LBB6_516
; %bb.515:
	global_load_ubyte v0, v[2:3], off
.LBB6_516:
	s_branch .LBB6_389
.LBB6_517:
	s_mov_b64 s[36:37], 0
	s_mov_b64 s[0:1], s[18:19]
	;; [unrolled: 1-line block ×3, first 2 shown]
.LBB6_518:
                                        ; implicit-def: $vgpr11
	s_branch .LBB6_756
.LBB6_519:
	s_andn2_saveexec_b64 s[34:35], s[34:35]
	s_cbranch_execz .LBB6_189
.LBB6_520:
	v_add_f32_e32 v2, 0x42800000, v3
	v_and_b32_e32 v2, 0xff, v2
	v_cmp_ne_u32_e32 vcc, 0, v2
	s_andn2_b64 s[30:31], s[30:31], exec
	s_and_b64 s[38:39], vcc, exec
	s_or_b64 s[30:31], s[30:31], s[38:39]
	s_or_b64 exec, exec, s[34:35]
	v_mov_b32_e32 v4, 0
	s_and_saveexec_b64 s[34:35], s[30:31]
	s_cbranch_execnz .LBB6_190
	s_branch .LBB6_191
.LBB6_521:
	s_mov_b64 s[28:29], -1
                                        ; implicit-def: $vgpr3
	s_mov_b64 s[0:1], 0
.LBB6_522:
	s_and_b64 vcc, exec, s[30:31]
	s_cbranch_vccz .LBB6_526
; %bb.523:
	s_cmp_eq_u32 s37, 44
	s_cbranch_scc0 .LBB6_525
; %bb.524:
	global_load_ubyte v3, v[1:2], off
	s_mov_b32 s0, 0x2f800000
	s_mov_b32 s1, 0xcf800000
	s_mov_b64 s[28:29], 0
	s_waitcnt vmcnt(0)
	v_lshlrev_b32_e32 v4, 23, v3
	v_trunc_f32_e32 v4, v4
	v_mul_f32_e64 v5, |v4|, s0
	v_floor_f32_e32 v5, v5
	v_fma_f32 v5, v5, s1, |v4|
	v_cvt_u32_f32_e32 v5, v5
	v_ashrrev_i32_e32 v4, 31, v4
	v_cmp_ne_u32_e32 vcc, 0, v3
	s_mov_b64 s[0:1], -1
	v_xor_b32_e32 v5, v5, v4
	v_sub_u32_e32 v4, v5, v4
	v_cndmask_b32_e32 v3, 0, v4, vcc
	s_branch .LBB6_526
.LBB6_525:
	s_mov_b64 s[28:29], -1
                                        ; implicit-def: $vgpr3
.LBB6_526:
	s_mov_b64 s[30:31], 0
.LBB6_527:
	s_and_b64 vcc, exec, s[30:31]
	s_cbranch_vccz .LBB6_531
; %bb.528:
	s_cmp_eq_u32 s37, 29
	s_cbranch_scc0 .LBB6_530
; %bb.529:
	global_load_dwordx2 v[3:4], v[1:2], off
	s_mov_b64 s[0:1], -1
	s_mov_b64 s[28:29], 0
	s_branch .LBB6_531
.LBB6_530:
	s_mov_b64 s[28:29], -1
                                        ; implicit-def: $vgpr3
.LBB6_531:
	s_mov_b64 s[30:31], 0
.LBB6_532:
	s_and_b64 vcc, exec, s[30:31]
	s_cbranch_vccz .LBB6_548
; %bb.533:
	s_cmp_lt_i32 s37, 27
	s_cbranch_scc1 .LBB6_536
; %bb.534:
	s_cmp_gt_i32 s37, 27
	s_cbranch_scc0 .LBB6_537
; %bb.535:
	global_load_dword v3, v[1:2], off
	s_mov_b64 s[0:1], 0
	s_branch .LBB6_538
.LBB6_536:
	s_mov_b64 s[0:1], -1
                                        ; implicit-def: $vgpr3
	s_branch .LBB6_541
.LBB6_537:
	s_mov_b64 s[0:1], -1
                                        ; implicit-def: $vgpr3
.LBB6_538:
	s_andn2_b64 vcc, exec, s[0:1]
	s_cbranch_vccnz .LBB6_540
; %bb.539:
	global_load_ushort v3, v[1:2], off
.LBB6_540:
	s_mov_b64 s[0:1], 0
.LBB6_541:
	s_andn2_b64 vcc, exec, s[0:1]
	s_cbranch_vccnz .LBB6_547
; %bb.542:
	global_load_ubyte v4, v[1:2], off
	s_movk_i32 s0, 0x7f
	s_mov_b64 s[30:31], 0
	s_waitcnt vmcnt(0)
	v_cmp_lt_i16_e32 vcc, s0, v4
	s_and_saveexec_b64 s[0:1], vcc
	s_xor_b64 s[0:1], exec, s[0:1]
	s_cbranch_execz .LBB6_559
; %bb.543:
	s_movk_i32 s30, 0x80
	v_cmp_ne_u16_e32 vcc, s30, v4
	s_and_b64 s[30:31], vcc, exec
	s_andn2_saveexec_b64 s[0:1], s[0:1]
	s_cbranch_execnz .LBB6_560
.LBB6_544:
	s_or_b64 exec, exec, s[0:1]
	v_mov_b32_e32 v3, 0
	s_and_saveexec_b64 s[0:1], s[30:31]
	s_cbranch_execz .LBB6_546
.LBB6_545:
	v_lshlrev_b32_e32 v3, 24, v4
	v_and_b32_e32 v4, 0xffff, v4
	v_and_b32_e32 v5, 7, v4
	v_ffbh_u32_e32 v7, v5
	v_min_u32_e32 v7, 32, v7
	v_subrev_u32_e32 v8, 28, v7
	v_bfe_u32 v6, v4, 3, 4
	v_lshlrev_b32_e32 v4, v8, v4
	v_sub_u32_e32 v7, 29, v7
	v_and_b32_e32 v4, 7, v4
	v_cmp_eq_u32_e32 vcc, 0, v6
	v_cndmask_b32_e32 v6, v6, v7, vcc
	v_cndmask_b32_e32 v4, v5, v4, vcc
	v_mov_b32_e32 v5, 0x3b800000
	v_lshlrev_b32_e32 v4, 20, v4
	v_and_b32_e32 v3, 0x80000000, v3
	v_lshl_add_u32 v5, v6, 23, v5
	v_or3_b32 v3, v3, v5, v4
	v_trunc_f32_e32 v3, v3
	s_mov_b32 s30, 0x2f800000
	v_mul_f32_e64 v4, |v3|, s30
	v_floor_f32_e32 v4, v4
	s_mov_b32 s30, 0xcf800000
	v_fma_f32 v4, v4, s30, |v3|
	v_cvt_u32_f32_e32 v4, v4
	v_ashrrev_i32_e32 v3, 31, v3
	v_xor_b32_e32 v4, v4, v3
	v_sub_u32_e32 v3, v4, v3
.LBB6_546:
	s_or_b64 exec, exec, s[0:1]
.LBB6_547:
	s_mov_b64 s[0:1], -1
.LBB6_548:
	s_mov_b64 s[30:31], 0
.LBB6_549:
	s_and_b64 vcc, exec, s[30:31]
	s_cbranch_vccz .LBB6_582
; %bb.550:
	s_cmp_gt_i32 s37, 22
	s_cbranch_scc0 .LBB6_558
; %bb.551:
	s_cmp_lt_i32 s37, 24
	s_cbranch_scc1 .LBB6_561
; %bb.552:
	s_cmp_gt_i32 s37, 24
	s_cbranch_scc0 .LBB6_562
; %bb.553:
	global_load_ubyte v4, v[1:2], off
	s_movk_i32 s0, 0x7f
	s_mov_b64 s[30:31], 0
	s_waitcnt vmcnt(0)
	v_cmp_lt_i16_e32 vcc, s0, v4
	s_and_saveexec_b64 s[0:1], vcc
	s_xor_b64 s[0:1], exec, s[0:1]
	s_cbranch_execz .LBB6_574
; %bb.554:
	s_movk_i32 s30, 0x80
	v_cmp_ne_u16_e32 vcc, s30, v4
	s_and_b64 s[30:31], vcc, exec
	s_andn2_saveexec_b64 s[0:1], s[0:1]
	s_cbranch_execnz .LBB6_575
.LBB6_555:
	s_or_b64 exec, exec, s[0:1]
	v_mov_b32_e32 v3, 0
	s_and_saveexec_b64 s[0:1], s[30:31]
	s_cbranch_execz .LBB6_557
.LBB6_556:
	v_lshlrev_b32_e32 v3, 24, v4
	v_and_b32_e32 v4, 0xffff, v4
	v_and_b32_e32 v5, 3, v4
	v_ffbh_u32_e32 v7, v5
	v_min_u32_e32 v7, 32, v7
	v_subrev_u32_e32 v8, 29, v7
	v_bfe_u32 v6, v4, 2, 5
	v_lshlrev_b32_e32 v4, v8, v4
	v_sub_u32_e32 v7, 30, v7
	v_and_b32_e32 v4, 3, v4
	v_cmp_eq_u32_e32 vcc, 0, v6
	v_cndmask_b32_e32 v6, v6, v7, vcc
	v_cndmask_b32_e32 v4, v5, v4, vcc
	v_mov_b32_e32 v5, 0x37800000
	v_lshlrev_b32_e32 v4, 21, v4
	v_and_b32_e32 v3, 0x80000000, v3
	v_lshl_add_u32 v5, v6, 23, v5
	v_or3_b32 v3, v3, v5, v4
	v_trunc_f32_e32 v3, v3
	s_mov_b32 s30, 0x2f800000
	v_mul_f32_e64 v4, |v3|, s30
	v_floor_f32_e32 v4, v4
	s_mov_b32 s30, 0xcf800000
	v_fma_f32 v4, v4, s30, |v3|
	v_cvt_u32_f32_e32 v4, v4
	v_ashrrev_i32_e32 v3, 31, v3
	v_xor_b32_e32 v4, v4, v3
	v_sub_u32_e32 v3, v4, v3
.LBB6_557:
	s_or_b64 exec, exec, s[0:1]
	s_mov_b64 s[0:1], 0
	s_branch .LBB6_563
.LBB6_558:
	s_mov_b64 s[30:31], -1
                                        ; implicit-def: $vgpr3
	s_branch .LBB6_569
.LBB6_559:
	s_andn2_saveexec_b64 s[0:1], s[0:1]
	s_cbranch_execz .LBB6_544
.LBB6_560:
	v_cmp_ne_u16_e32 vcc, 0, v4
	s_andn2_b64 s[30:31], s[30:31], exec
	s_and_b64 s[38:39], vcc, exec
	s_or_b64 s[30:31], s[30:31], s[38:39]
	s_or_b64 exec, exec, s[0:1]
	v_mov_b32_e32 v3, 0
	s_and_saveexec_b64 s[0:1], s[30:31]
	s_cbranch_execnz .LBB6_545
	s_branch .LBB6_546
.LBB6_561:
	s_mov_b64 s[0:1], -1
                                        ; implicit-def: $vgpr3
	s_branch .LBB6_566
.LBB6_562:
	s_mov_b64 s[0:1], -1
                                        ; implicit-def: $vgpr3
.LBB6_563:
	s_and_b64 vcc, exec, s[0:1]
	s_cbranch_vccz .LBB6_565
; %bb.564:
	global_load_ubyte v3, v[1:2], off
	s_mov_b32 s0, 0x7f800000
	s_brev_b32 s1, 1
	s_mov_b32 s30, 0x2f800000
	s_waitcnt vmcnt(0)
	v_lshlrev_b32_e32 v3, 24, v3
	v_and_b32_e32 v4, 0x7f000000, v3
	v_ffbh_u32_e32 v5, v4
	v_min_u32_e32 v5, 32, v5
	v_sub_u32_e64 v5, v5, 4 clamp
	v_lshlrev_b32_e32 v7, v5, v4
	v_lshlrev_b32_e32 v5, 23, v5
	v_lshrrev_b32_e32 v7, 4, v7
	v_add_u32_e32 v6, 0x1000000, v4
	v_sub_u32_e32 v5, v7, v5
	v_ashrrev_i32_e32 v6, 8, v6
	v_add_u32_e32 v5, 0x3c000000, v5
	v_and_or_b32 v5, v6, s0, v5
	v_cmp_ne_u32_e32 vcc, 0, v4
	v_cndmask_b32_e32 v4, 0, v5, vcc
	v_and_or_b32 v3, v3, s1, v4
	v_trunc_f32_e32 v3, v3
	v_mul_f32_e64 v4, |v3|, s30
	v_floor_f32_e32 v4, v4
	s_mov_b32 s0, 0xcf800000
	v_fma_f32 v4, v4, s0, |v3|
	v_cvt_u32_f32_e32 v4, v4
	v_ashrrev_i32_e32 v3, 31, v3
	v_xor_b32_e32 v4, v4, v3
	v_sub_u32_e32 v3, v4, v3
.LBB6_565:
	s_mov_b64 s[0:1], 0
.LBB6_566:
	s_andn2_b64 vcc, exec, s[0:1]
	s_cbranch_vccnz .LBB6_568
; %bb.567:
	global_load_ubyte v3, v[1:2], off
	s_movk_i32 s0, 0x7f00
	s_brev_b32 s1, 16
	s_brev_b32 s30, 1
	s_mov_b32 s31, 0x2f800000
	s_waitcnt vmcnt(0)
	v_lshlrev_b16_e32 v4, 8, v3
	v_lshlrev_b32_e32 v3, 25, v3
	v_lshrrev_b32_e32 v5, 4, v3
	v_and_or_b32 v6, v4, s0, 0.5
	v_or_b32_e32 v5, 0x70000000, v5
	v_add_f32_e32 v6, -0.5, v6
	v_mul_f32_e32 v5, 0x7800000, v5
	v_cmp_gt_u32_e32 vcc, s1, v3
	v_bfe_i32 v4, v4, 0, 16
	v_cndmask_b32_e32 v3, v5, v6, vcc
	v_and_or_b32 v3, v4, s30, v3
	v_trunc_f32_e32 v3, v3
	v_mul_f32_e64 v4, |v3|, s31
	v_floor_f32_e32 v4, v4
	s_mov_b32 s0, 0xcf800000
	v_fma_f32 v4, v4, s0, |v3|
	v_cvt_u32_f32_e32 v4, v4
	v_ashrrev_i32_e32 v3, 31, v3
	v_xor_b32_e32 v4, v4, v3
	v_sub_u32_e32 v3, v4, v3
.LBB6_568:
	s_mov_b64 s[30:31], 0
	s_mov_b64 s[0:1], -1
.LBB6_569:
	s_andn2_b64 vcc, exec, s[30:31]
	s_cbranch_vccnz .LBB6_582
; %bb.570:
	s_cmp_gt_i32 s37, 14
	s_cbranch_scc0 .LBB6_573
; %bb.571:
	s_cmp_eq_u32 s37, 15
	s_cbranch_scc0 .LBB6_576
; %bb.572:
	global_load_ushort v3, v[1:2], off
	s_mov_b32 s0, 0x2f800000
	s_mov_b32 s1, 0xcf800000
	s_mov_b64 s[28:29], 0
	s_waitcnt vmcnt(0)
	v_lshlrev_b32_e32 v3, 16, v3
	v_trunc_f32_e32 v3, v3
	v_mul_f32_e64 v4, |v3|, s0
	v_floor_f32_e32 v4, v4
	v_fma_f32 v4, v4, s1, |v3|
	v_cvt_u32_f32_e32 v4, v4
	v_ashrrev_i32_e32 v3, 31, v3
	s_mov_b64 s[0:1], -1
	v_xor_b32_e32 v4, v4, v3
	v_sub_u32_e32 v3, v4, v3
	s_branch .LBB6_577
.LBB6_573:
	s_mov_b64 s[30:31], -1
                                        ; implicit-def: $vgpr3
	s_branch .LBB6_578
.LBB6_574:
	s_andn2_saveexec_b64 s[0:1], s[0:1]
	s_cbranch_execz .LBB6_555
.LBB6_575:
	v_cmp_ne_u16_e32 vcc, 0, v4
	s_andn2_b64 s[30:31], s[30:31], exec
	s_and_b64 s[38:39], vcc, exec
	s_or_b64 s[30:31], s[30:31], s[38:39]
	s_or_b64 exec, exec, s[0:1]
	v_mov_b32_e32 v3, 0
	s_and_saveexec_b64 s[0:1], s[30:31]
	s_cbranch_execnz .LBB6_556
	s_branch .LBB6_557
.LBB6_576:
	s_mov_b64 s[28:29], -1
                                        ; implicit-def: $vgpr3
.LBB6_577:
	s_mov_b64 s[30:31], 0
.LBB6_578:
	s_and_b64 vcc, exec, s[30:31]
	s_cbranch_vccz .LBB6_582
; %bb.579:
	s_cmp_eq_u32 s37, 11
	s_cbranch_scc0 .LBB6_581
; %bb.580:
	global_load_ubyte v3, v[1:2], off
	s_mov_b64 s[0:1], -1
	s_mov_b64 s[28:29], 0
	s_waitcnt vmcnt(0)
	v_cmp_ne_u16_e32 vcc, 0, v3
	v_cndmask_b32_e64 v3, 0, 1, vcc
	s_branch .LBB6_582
.LBB6_581:
	s_mov_b64 s[28:29], -1
                                        ; implicit-def: $vgpr3
.LBB6_582:
	s_mov_b64 s[30:31], 0
.LBB6_583:
	s_and_b64 vcc, exec, s[30:31]
	s_cbranch_vccz .LBB6_632
; %bb.584:
	s_and_b32 s30, 0xffff, s36
	s_cmp_lt_i32 s30, 5
	s_cbranch_scc1 .LBB6_589
; %bb.585:
	s_cmp_lt_i32 s30, 8
	s_cbranch_scc1 .LBB6_590
; %bb.586:
	;; [unrolled: 3-line block ×3, first 2 shown]
	s_cmp_gt_i32 s30, 9
	s_cbranch_scc0 .LBB6_592
; %bb.588:
	global_load_dwordx2 v[3:4], v[1:2], off
	s_movk_i32 s0, 0xffe0
	s_waitcnt vmcnt(0)
	v_trunc_f64_e32 v[3:4], v[3:4]
	v_ldexp_f64 v[5:6], v[3:4], s0
	s_mov_b32 s0, 0
	s_mov_b32 s1, 0xc1f00000
	v_floor_f64_e32 v[5:6], v[5:6]
	v_fma_f64 v[3:4], v[5:6], s[0:1], v[3:4]
	s_mov_b64 s[0:1], 0
	v_cvt_u32_f64_e32 v3, v[3:4]
	s_branch .LBB6_593
.LBB6_589:
	s_mov_b64 s[0:1], -1
                                        ; implicit-def: $vgpr3
	s_branch .LBB6_611
.LBB6_590:
	s_mov_b64 s[0:1], -1
                                        ; implicit-def: $vgpr3
	s_branch .LBB6_599
.LBB6_591:
	s_mov_b64 s[0:1], -1
                                        ; implicit-def: $vgpr3
	s_branch .LBB6_596
.LBB6_592:
	s_mov_b64 s[0:1], -1
                                        ; implicit-def: $vgpr3
.LBB6_593:
	s_andn2_b64 vcc, exec, s[0:1]
	s_cbranch_vccnz .LBB6_595
; %bb.594:
	global_load_dword v3, v[1:2], off
	s_mov_b32 s0, 0x2f800000
	s_waitcnt vmcnt(0)
	v_trunc_f32_e32 v3, v3
	v_mul_f32_e64 v4, |v3|, s0
	v_floor_f32_e32 v4, v4
	s_mov_b32 s0, 0xcf800000
	v_fma_f32 v4, v4, s0, |v3|
	v_cvt_u32_f32_e32 v4, v4
	v_ashrrev_i32_e32 v3, 31, v3
	v_xor_b32_e32 v4, v4, v3
	v_sub_u32_e32 v3, v4, v3
.LBB6_595:
	s_mov_b64 s[0:1], 0
.LBB6_596:
	s_andn2_b64 vcc, exec, s[0:1]
	s_cbranch_vccnz .LBB6_598
; %bb.597:
	global_load_dword v3, v[1:2], off
	s_waitcnt vmcnt(0)
	v_cvt_f32_f16_e32 v3, v3
	v_cvt_i32_f32_e32 v3, v3
.LBB6_598:
	s_mov_b64 s[0:1], 0
.LBB6_599:
	s_andn2_b64 vcc, exec, s[0:1]
	s_cbranch_vccnz .LBB6_610
; %bb.600:
	s_cmp_lt_i32 s30, 6
	s_cbranch_scc1 .LBB6_603
; %bb.601:
	s_cmp_gt_i32 s30, 6
	s_cbranch_scc0 .LBB6_604
; %bb.602:
	global_load_dwordx2 v[3:4], v[1:2], off
	s_movk_i32 s0, 0xffe0
	s_waitcnt vmcnt(0)
	v_trunc_f64_e32 v[3:4], v[3:4]
	v_ldexp_f64 v[5:6], v[3:4], s0
	s_mov_b32 s0, 0
	s_mov_b32 s1, 0xc1f00000
	v_floor_f64_e32 v[5:6], v[5:6]
	v_fma_f64 v[3:4], v[5:6], s[0:1], v[3:4]
	s_mov_b64 s[0:1], 0
	v_cvt_u32_f64_e32 v3, v[3:4]
	s_branch .LBB6_605
.LBB6_603:
	s_mov_b64 s[0:1], -1
                                        ; implicit-def: $vgpr3
	s_branch .LBB6_608
.LBB6_604:
	s_mov_b64 s[0:1], -1
                                        ; implicit-def: $vgpr3
.LBB6_605:
	s_andn2_b64 vcc, exec, s[0:1]
	s_cbranch_vccnz .LBB6_607
; %bb.606:
	global_load_dword v3, v[1:2], off
	s_mov_b32 s0, 0x2f800000
	s_waitcnt vmcnt(0)
	v_trunc_f32_e32 v3, v3
	v_mul_f32_e64 v4, |v3|, s0
	v_floor_f32_e32 v4, v4
	s_mov_b32 s0, 0xcf800000
	v_fma_f32 v4, v4, s0, |v3|
	v_cvt_u32_f32_e32 v4, v4
	v_ashrrev_i32_e32 v3, 31, v3
	v_xor_b32_e32 v4, v4, v3
	v_sub_u32_e32 v3, v4, v3
.LBB6_607:
	s_mov_b64 s[0:1], 0
.LBB6_608:
	s_andn2_b64 vcc, exec, s[0:1]
	s_cbranch_vccnz .LBB6_610
; %bb.609:
	global_load_ushort v3, v[1:2], off
	s_waitcnt vmcnt(0)
	v_cvt_f32_f16_e32 v3, v3
	v_cvt_i32_f32_e32 v3, v3
.LBB6_610:
	s_mov_b64 s[0:1], 0
.LBB6_611:
	s_andn2_b64 vcc, exec, s[0:1]
	s_cbranch_vccnz .LBB6_631
; %bb.612:
	s_cmp_lt_i32 s30, 2
	s_cbranch_scc1 .LBB6_616
; %bb.613:
	s_cmp_lt_i32 s30, 3
	s_cbranch_scc1 .LBB6_617
; %bb.614:
	s_cmp_gt_i32 s30, 3
	s_cbranch_scc0 .LBB6_618
; %bb.615:
	global_load_dwordx2 v[3:4], v[1:2], off
	s_mov_b64 s[0:1], 0
	s_branch .LBB6_619
.LBB6_616:
	s_mov_b64 s[0:1], -1
                                        ; implicit-def: $vgpr3
	s_branch .LBB6_625
.LBB6_617:
	s_mov_b64 s[0:1], -1
                                        ; implicit-def: $vgpr3
	s_branch .LBB6_622
.LBB6_618:
	s_mov_b64 s[0:1], -1
                                        ; implicit-def: $vgpr3
.LBB6_619:
	s_andn2_b64 vcc, exec, s[0:1]
	s_cbranch_vccnz .LBB6_621
; %bb.620:
	global_load_dword v3, v[1:2], off
.LBB6_621:
	s_mov_b64 s[0:1], 0
.LBB6_622:
	s_andn2_b64 vcc, exec, s[0:1]
	s_cbranch_vccnz .LBB6_624
; %bb.623:
	global_load_ushort v3, v[1:2], off
.LBB6_624:
	s_mov_b64 s[0:1], 0
.LBB6_625:
	s_andn2_b64 vcc, exec, s[0:1]
	s_cbranch_vccnz .LBB6_631
; %bb.626:
	s_cmp_gt_i32 s30, 0
	s_cbranch_scc0 .LBB6_628
; %bb.627:
	global_load_ubyte v3, v[1:2], off
	s_mov_b64 s[0:1], 0
	s_branch .LBB6_629
.LBB6_628:
	s_mov_b64 s[0:1], -1
                                        ; implicit-def: $vgpr3
.LBB6_629:
	s_andn2_b64 vcc, exec, s[0:1]
	s_cbranch_vccnz .LBB6_631
; %bb.630:
	global_load_ubyte v3, v[1:2], off
.LBB6_631:
	s_mov_b64 s[0:1], -1
.LBB6_632:
	s_andn2_b64 vcc, exec, s[0:1]
	s_cbranch_vccnz .LBB6_640
; %bb.633:
	v_mul_lo_u32 v1, v11, s12
	s_waitcnt vmcnt(0)
	v_cmp_ne_u16_sdwa s[0:1], v0, v3 src0_sel:BYTE_0 src1_sel:BYTE_0
	v_mov_b32_e32 v2, s9
	s_xor_b64 s[30:31], s[16:17], s[0:1]
	v_ashrrev_i32_e32 v3, 31, v1
	s_and_b32 s42, s33, 0xff
	v_add_co_u32_e32 v0, vcc, s8, v1
	s_cmp_lt_i32 s42, 11
	v_addc_co_u32_e32 v1, vcc, v2, v3, vcc
	s_cbranch_scc1 .LBB6_641
; %bb.634:
	s_and_b32 s43, 0xffff, s42
	s_cmp_gt_i32 s43, 25
	s_cbranch_scc0 .LBB6_642
; %bb.635:
	s_cmp_gt_i32 s43, 28
	s_cbranch_scc0 .LBB6_643
; %bb.636:
	;; [unrolled: 3-line block ×4, first 2 shown]
	s_mov_b64 s[38:39], 0
	s_mov_b64 s[0:1], -1
	s_cmp_eq_u32 s43, 46
	s_mov_b64 s[36:37], 0
	s_cbranch_scc0 .LBB6_646
; %bb.639:
	v_cndmask_b32_e64 v2, 0, 1.0, s[30:31]
	v_bfe_u32 v3, v2, 16, 1
	s_movk_i32 s0, 0x7fff
	v_add3_u32 v2, v2, v3, s0
	v_lshrrev_b32_e32 v2, 16, v2
	global_store_dword v[0:1], v2, off
	s_mov_b64 s[36:37], -1
	s_mov_b64 s[0:1], 0
	s_branch .LBB6_646
.LBB6_640:
	s_mov_b64 s[36:37], 0
                                        ; implicit-def: $vgpr11
	s_mov_b64 s[0:1], s[18:19]
	s_branch .LBB6_756
.LBB6_641:
	s_mov_b64 s[38:39], -1
	s_mov_b64 s[36:37], 0
	s_mov_b64 s[0:1], s[18:19]
	s_branch .LBB6_715
.LBB6_642:
	s_mov_b64 s[38:39], -1
	s_mov_b64 s[36:37], 0
	s_mov_b64 s[0:1], s[18:19]
	s_branch .LBB6_673
.LBB6_643:
	s_mov_b64 s[38:39], -1
	s_mov_b64 s[36:37], 0
	s_mov_b64 s[0:1], s[18:19]
	s_branch .LBB6_656
.LBB6_644:
	s_mov_b64 s[38:39], -1
	s_mov_b64 s[36:37], 0
	s_mov_b64 s[0:1], s[18:19]
	s_branch .LBB6_652
.LBB6_645:
	s_mov_b64 s[38:39], -1
	s_mov_b64 s[36:37], 0
	s_mov_b64 s[0:1], s[18:19]
.LBB6_646:
	s_and_b64 vcc, exec, s[38:39]
	s_cbranch_vccz .LBB6_651
; %bb.647:
	s_cmp_eq_u32 s43, 44
	s_mov_b64 s[0:1], -1
	s_cbranch_scc0 .LBB6_651
; %bb.648:
	v_cndmask_b32_e64 v3, 0, 1.0, s[30:31]
	v_lshrrev_b32_e32 v2, 23, v3
	s_movk_i32 s0, 0xff
	v_cmp_ne_u32_e32 vcc, s0, v2
	v_mov_b32_e32 v4, 0xff
	s_and_saveexec_b64 s[36:37], vcc
; %bb.649:
	s_mov_b32 s0, 0x3fffff
	v_and_b32_e32 v4, 0x400000, v3
	v_and_or_b32 v3, v3, s0, v2
	v_cmp_ne_u32_e32 vcc, 0, v4
	v_cmp_ne_u32_e64 s[0:1], 0, v3
	s_and_b64 s[0:1], vcc, s[0:1]
	v_cndmask_b32_e64 v3, 0, 1, s[0:1]
	v_add_u32_e32 v4, v2, v3
; %bb.650:
	s_or_b64 exec, exec, s[36:37]
	s_mov_b64 s[36:37], -1
	s_mov_b64 s[0:1], 0
	global_store_byte v[0:1], v4, off
.LBB6_651:
	s_mov_b64 s[38:39], 0
.LBB6_652:
	s_and_b64 vcc, exec, s[38:39]
	s_cbranch_vccz .LBB6_655
; %bb.653:
	s_cmp_eq_u32 s43, 29
	s_mov_b64 s[0:1], -1
	s_cbranch_scc0 .LBB6_655
; %bb.654:
	s_mov_b32 s0, 0
	v_cndmask_b32_e64 v2, 0, 1, s[30:31]
	v_mov_b32_e32 v3, s0
	global_store_dwordx2 v[0:1], v[2:3], off
	s_mov_b64 s[36:37], -1
	s_mov_b64 s[0:1], 0
.LBB6_655:
	s_mov_b64 s[38:39], 0
.LBB6_656:
	s_and_b64 vcc, exec, s[38:39]
	s_cbranch_vccz .LBB6_672
; %bb.657:
	s_cmp_lt_i32 s43, 27
	s_mov_b64 s[36:37], -1
	s_cbranch_scc1 .LBB6_663
; %bb.658:
	s_cmp_gt_i32 s43, 27
	s_cbranch_scc0 .LBB6_660
; %bb.659:
	v_cndmask_b32_e64 v2, 0, 1, s[30:31]
	s_mov_b64 s[36:37], 0
	global_store_dword v[0:1], v2, off
.LBB6_660:
	s_andn2_b64 vcc, exec, s[36:37]
	s_cbranch_vccnz .LBB6_662
; %bb.661:
	v_cndmask_b32_e64 v2, 0, 1, s[30:31]
	global_store_short v[0:1], v2, off
.LBB6_662:
	s_mov_b64 s[36:37], 0
.LBB6_663:
	s_andn2_b64 vcc, exec, s[36:37]
	s_cbranch_vccnz .LBB6_671
; %bb.664:
	v_cndmask_b32_e64 v3, 0, 1.0, s[30:31]
	s_mov_b32 s36, 0x43800000
	v_cmp_gt_u32_e32 vcc, s36, v3
	v_mov_b32_e32 v4, 0x80
	s_and_saveexec_b64 s[36:37], vcc
	s_cbranch_execz .LBB6_670
; %bb.665:
	s_mov_b32 s38, 0x3bffffff
	v_cmp_lt_u32_e32 vcc, s38, v3
	s_mov_b64 s[38:39], 0
                                        ; implicit-def: $vgpr2
	s_and_saveexec_b64 s[40:41], vcc
	s_xor_b64 s[40:41], exec, s[40:41]
	s_cbranch_execz .LBB6_772
; %bb.666:
	v_bfe_u32 v2, v3, 20, 1
	s_mov_b32 s44, 0x487ffff
	v_add3_u32 v2, v3, v2, s44
	s_mov_b64 s[38:39], exec
	v_lshrrev_b32_e32 v2, 20, v2
                                        ; implicit-def: $vgpr3
	s_andn2_saveexec_b64 s[40:41], s[40:41]
	s_cbranch_execnz .LBB6_773
.LBB6_667:
	s_or_b64 exec, exec, s[40:41]
	v_mov_b32_e32 v4, 0
	s_and_saveexec_b64 s[40:41], s[38:39]
.LBB6_668:
	v_mov_b32_e32 v4, v2
.LBB6_669:
	s_or_b64 exec, exec, s[40:41]
.LBB6_670:
	s_or_b64 exec, exec, s[36:37]
	global_store_byte v[0:1], v4, off
.LBB6_671:
	s_mov_b64 s[36:37], -1
.LBB6_672:
	s_mov_b64 s[38:39], 0
.LBB6_673:
	s_and_b64 vcc, exec, s[38:39]
	s_cbranch_vccz .LBB6_714
; %bb.674:
	s_cmp_gt_i32 s43, 22
	s_mov_b64 s[38:39], -1
	s_cbranch_scc0 .LBB6_706
; %bb.675:
	s_cmp_lt_i32 s43, 24
	s_mov_b64 s[36:37], -1
	s_cbranch_scc1 .LBB6_695
; %bb.676:
	s_cmp_gt_i32 s43, 24
	s_cbranch_scc0 .LBB6_684
; %bb.677:
	v_cndmask_b32_e64 v3, 0, 1.0, s[30:31]
	s_mov_b32 s36, 0x47800000
	v_cmp_gt_u32_e32 vcc, s36, v3
	v_mov_b32_e32 v4, 0x80
	s_and_saveexec_b64 s[36:37], vcc
	s_cbranch_execz .LBB6_683
; %bb.678:
	s_mov_b32 s38, 0x37ffffff
	v_cmp_lt_u32_e32 vcc, s38, v3
	s_mov_b64 s[38:39], 0
                                        ; implicit-def: $vgpr2
	s_and_saveexec_b64 s[40:41], vcc
	s_xor_b64 s[40:41], exec, s[40:41]
	s_cbranch_execz .LBB6_900
; %bb.679:
	v_bfe_u32 v2, v3, 21, 1
	s_mov_b32 s44, 0x88fffff
	v_add3_u32 v2, v3, v2, s44
	s_mov_b64 s[38:39], exec
	v_lshrrev_b32_e32 v2, 21, v2
                                        ; implicit-def: $vgpr3
	s_andn2_saveexec_b64 s[40:41], s[40:41]
	s_cbranch_execnz .LBB6_901
.LBB6_680:
	s_or_b64 exec, exec, s[40:41]
	v_mov_b32_e32 v4, 0
	s_and_saveexec_b64 s[40:41], s[38:39]
.LBB6_681:
	v_mov_b32_e32 v4, v2
.LBB6_682:
	s_or_b64 exec, exec, s[40:41]
.LBB6_683:
	s_or_b64 exec, exec, s[36:37]
	s_mov_b64 s[36:37], 0
	global_store_byte v[0:1], v4, off
.LBB6_684:
	s_and_b64 vcc, exec, s[36:37]
	s_cbranch_vccz .LBB6_694
; %bb.685:
	v_cndmask_b32_e64 v2, 0, 1.0, s[30:31]
	s_mov_b32 s36, 0x43f00000
	v_cmp_gt_u32_e32 vcc, s36, v2
                                        ; implicit-def: $vgpr3
	s_and_saveexec_b64 s[36:37], vcc
	s_xor_b64 s[36:37], exec, s[36:37]
	s_cbranch_execz .LBB6_691
; %bb.686:
	s_mov_b32 s38, 0x3c7fffff
	v_cmp_lt_u32_e32 vcc, s38, v2
                                        ; implicit-def: $vgpr3
	s_and_saveexec_b64 s[38:39], vcc
	s_xor_b64 s[38:39], exec, s[38:39]
; %bb.687:
	v_bfe_u32 v3, v2, 20, 1
	s_mov_b32 s40, 0x407ffff
	v_add3_u32 v2, v2, v3, s40
	v_lshrrev_b32_e32 v3, 20, v2
	v_and_b32_e32 v2, 0xff00000, v2
	s_mov_b32 s40, 0x7f00000
	v_mov_b32_e32 v4, 0x7e
	v_cmp_ne_u32_e32 vcc, s40, v2
	v_cndmask_b32_e32 v3, v4, v3, vcc
                                        ; implicit-def: $vgpr2
; %bb.688:
	s_andn2_saveexec_b64 s[38:39], s[38:39]
; %bb.689:
	v_add_f32_e32 v3, 0x46800000, v2
; %bb.690:
	s_or_b64 exec, exec, s[38:39]
                                        ; implicit-def: $vgpr2
.LBB6_691:
	s_andn2_saveexec_b64 s[36:37], s[36:37]
; %bb.692:
	s_mov_b32 s38, 0x7f800000
	v_mov_b32_e32 v3, 0x7e
	v_mov_b32_e32 v4, 0x7f
	v_cmp_lt_u32_e32 vcc, s38, v2
	v_cndmask_b32_e32 v3, v3, v4, vcc
; %bb.693:
	s_or_b64 exec, exec, s[36:37]
	global_store_byte v[0:1], v3, off
.LBB6_694:
	s_mov_b64 s[36:37], 0
.LBB6_695:
	s_andn2_b64 vcc, exec, s[36:37]
	s_cbranch_vccnz .LBB6_705
; %bb.696:
	v_cndmask_b32_e64 v2, 0, 1.0, s[30:31]
	s_mov_b32 s36, 0x47800000
	v_cmp_gt_u32_e32 vcc, s36, v2
                                        ; implicit-def: $vgpr3
	s_and_saveexec_b64 s[36:37], vcc
	s_xor_b64 s[36:37], exec, s[36:37]
	s_cbranch_execz .LBB6_702
; %bb.697:
	s_mov_b32 s38, 0x387fffff
	v_cmp_lt_u32_e32 vcc, s38, v2
                                        ; implicit-def: $vgpr3
	s_and_saveexec_b64 s[38:39], vcc
	s_xor_b64 s[38:39], exec, s[38:39]
; %bb.698:
	v_bfe_u32 v3, v2, 21, 1
	s_mov_b32 s40, 0x80fffff
	v_add3_u32 v2, v2, v3, s40
	v_lshrrev_b32_e32 v3, 21, v2
                                        ; implicit-def: $vgpr2
; %bb.699:
	s_andn2_saveexec_b64 s[38:39], s[38:39]
; %bb.700:
	v_add_f32_e32 v3, 0x43000000, v2
; %bb.701:
	s_or_b64 exec, exec, s[38:39]
                                        ; implicit-def: $vgpr2
.LBB6_702:
	s_andn2_saveexec_b64 s[36:37], s[36:37]
; %bb.703:
	s_mov_b32 s38, 0x7f800000
	v_mov_b32_e32 v3, 0x7c
	v_mov_b32_e32 v4, 0x7f
	v_cmp_lt_u32_e32 vcc, s38, v2
	v_cndmask_b32_e32 v3, v3, v4, vcc
; %bb.704:
	s_or_b64 exec, exec, s[36:37]
	global_store_byte v[0:1], v3, off
.LBB6_705:
	s_mov_b64 s[38:39], 0
	s_mov_b64 s[36:37], -1
.LBB6_706:
	s_andn2_b64 vcc, exec, s[38:39]
	s_cbranch_vccnz .LBB6_714
; %bb.707:
	s_cmp_gt_i32 s43, 14
	s_mov_b64 s[38:39], -1
	s_cbranch_scc0 .LBB6_711
; %bb.708:
	s_cmp_eq_u32 s43, 15
	s_mov_b64 s[0:1], -1
	s_cbranch_scc0 .LBB6_710
; %bb.709:
	v_cndmask_b32_e64 v2, 0, 1.0, s[30:31]
	v_bfe_u32 v3, v2, 16, 1
	s_movk_i32 s0, 0x7fff
	v_add3_u32 v2, v2, v3, s0
	global_store_short_d16_hi v[0:1], v2, off
	s_mov_b64 s[36:37], -1
	s_mov_b64 s[0:1], 0
.LBB6_710:
	s_mov_b64 s[38:39], 0
.LBB6_711:
	s_and_b64 vcc, exec, s[38:39]
	s_cbranch_vccz .LBB6_714
; %bb.712:
	s_cmp_eq_u32 s43, 11
	s_mov_b64 s[0:1], -1
	s_cbranch_scc0 .LBB6_714
; %bb.713:
	v_cndmask_b32_e64 v2, 0, 1, s[30:31]
	s_mov_b64 s[36:37], -1
	s_mov_b64 s[0:1], 0
	global_store_byte v[0:1], v2, off
.LBB6_714:
	s_mov_b64 s[38:39], 0
.LBB6_715:
	s_and_b64 vcc, exec, s[38:39]
	s_cbranch_vccz .LBB6_754
; %bb.716:
	s_and_b32 s38, 0xffff, s42
	s_cmp_lt_i32 s38, 5
	s_mov_b64 s[36:37], -1
	s_cbranch_scc1 .LBB6_737
; %bb.717:
	s_cmp_lt_i32 s38, 8
	s_cbranch_scc1 .LBB6_727
; %bb.718:
	s_cmp_lt_i32 s38, 9
	s_cbranch_scc1 .LBB6_724
; %bb.719:
	s_cmp_gt_i32 s38, 9
	s_cbranch_scc0 .LBB6_721
; %bb.720:
	v_cndmask_b32_e64 v2, 0, 1, s[30:31]
	v_cvt_f64_u32_e32 v[2:3], v2
	v_mov_b32_e32 v4, 0
	v_mov_b32_e32 v5, v4
	s_mov_b64 s[36:37], 0
	global_store_dwordx4 v[0:1], v[2:5], off
.LBB6_721:
	s_andn2_b64 vcc, exec, s[36:37]
	s_cbranch_vccnz .LBB6_723
; %bb.722:
	v_cndmask_b32_e64 v2, 0, 1.0, s[30:31]
	v_mov_b32_e32 v3, 0
	global_store_dwordx2 v[0:1], v[2:3], off
.LBB6_723:
	s_mov_b64 s[36:37], 0
.LBB6_724:
	s_andn2_b64 vcc, exec, s[36:37]
	s_cbranch_vccnz .LBB6_726
; %bb.725:
	v_cndmask_b32_e64 v2, 0, 1.0, s[30:31]
	v_cvt_f16_f32_e32 v2, v2
	global_store_dword v[0:1], v2, off
.LBB6_726:
	s_mov_b64 s[36:37], 0
.LBB6_727:
	s_andn2_b64 vcc, exec, s[36:37]
	s_cbranch_vccnz .LBB6_736
; %bb.728:
	s_cmp_lt_i32 s38, 6
	s_mov_b64 s[36:37], -1
	s_cbranch_scc1 .LBB6_734
; %bb.729:
	s_cmp_gt_i32 s38, 6
	s_cbranch_scc0 .LBB6_731
; %bb.730:
	v_cndmask_b32_e64 v2, 0, 1, s[30:31]
	v_cvt_f64_u32_e32 v[2:3], v2
	s_mov_b64 s[36:37], 0
	global_store_dwordx2 v[0:1], v[2:3], off
.LBB6_731:
	s_andn2_b64 vcc, exec, s[36:37]
	s_cbranch_vccnz .LBB6_733
; %bb.732:
	v_cndmask_b32_e64 v2, 0, 1.0, s[30:31]
	global_store_dword v[0:1], v2, off
.LBB6_733:
	s_mov_b64 s[36:37], 0
.LBB6_734:
	s_andn2_b64 vcc, exec, s[36:37]
	s_cbranch_vccnz .LBB6_736
; %bb.735:
	v_cndmask_b32_e64 v2, 0, 1.0, s[30:31]
	v_cvt_f16_f32_e32 v2, v2
	global_store_short v[0:1], v2, off
.LBB6_736:
	s_mov_b64 s[36:37], 0
.LBB6_737:
	s_andn2_b64 vcc, exec, s[36:37]
	s_cbranch_vccnz .LBB6_753
; %bb.738:
	s_cmp_lt_i32 s38, 2
	s_mov_b64 s[36:37], -1
	s_cbranch_scc1 .LBB6_748
; %bb.739:
	s_cmp_lt_i32 s38, 3
	s_cbranch_scc1 .LBB6_745
; %bb.740:
	s_cmp_gt_i32 s38, 3
	s_cbranch_scc0 .LBB6_742
; %bb.741:
	s_mov_b32 s36, 0
	v_cndmask_b32_e64 v2, 0, 1, s[30:31]
	v_mov_b32_e32 v3, s36
	s_mov_b64 s[36:37], 0
	global_store_dwordx2 v[0:1], v[2:3], off
.LBB6_742:
	s_andn2_b64 vcc, exec, s[36:37]
	s_cbranch_vccnz .LBB6_744
; %bb.743:
	v_cndmask_b32_e64 v2, 0, 1, s[30:31]
	global_store_dword v[0:1], v2, off
.LBB6_744:
	s_mov_b64 s[36:37], 0
.LBB6_745:
	s_andn2_b64 vcc, exec, s[36:37]
	s_cbranch_vccnz .LBB6_747
; %bb.746:
	v_cndmask_b32_e64 v2, 0, 1, s[30:31]
	global_store_short v[0:1], v2, off
.LBB6_747:
	s_mov_b64 s[36:37], 0
.LBB6_748:
	s_andn2_b64 vcc, exec, s[36:37]
	s_cbranch_vccnz .LBB6_753
; %bb.749:
	s_mov_b64 s[36:37], -1
	s_cmp_gt_i32 s38, 0
	v_cndmask_b32_e64 v2, 0, 1, s[30:31]
	s_cbranch_scc0 .LBB6_751
; %bb.750:
	s_mov_b64 s[36:37], 0
	global_store_byte v[0:1], v2, off
.LBB6_751:
	s_andn2_b64 vcc, exec, s[36:37]
	s_cbranch_vccnz .LBB6_753
; %bb.752:
	global_store_byte v[0:1], v2, off
.LBB6_753:
	s_mov_b64 s[36:37], -1
.LBB6_754:
	s_andn2_b64 vcc, exec, s[36:37]
	s_cbranch_vccnz .LBB6_767
; %bb.755:
	v_add_u32_e32 v11, 0x80, v11
	s_mov_b64 s[36:37], -1
.LBB6_756:
	s_andn2_b64 s[30:31], s[18:19], exec
	s_and_b64 s[0:1], s[0:1], exec
	s_or_b64 s[30:31], s[30:31], s[0:1]
	s_andn2_b64 s[0:1], s[20:21], exec
	s_and_b64 s[28:29], s[28:29], exec
	s_or_b64 s[28:29], s[0:1], s[28:29]
	;; [unrolled: 3-line block ×3, first 2 shown]
	s_orn2_b64 s[0:1], s[36:37], exec
.LBB6_757:
	s_or_b64 exec, exec, s[34:35]
	s_mov_b64 s[36:37], 0
	s_mov_b64 s[38:39], 0
	;; [unrolled: 1-line block ×3, first 2 shown]
                                        ; implicit-def: $sgpr58
                                        ; implicit-def: $vgpr2_vgpr3
                                        ; implicit-def: $vgpr0
	s_and_saveexec_b64 s[34:35], s[0:1]
	s_cbranch_execz .LBB6_1219
; %bb.758:
	v_cmp_gt_i32_e32 vcc, s50, v11
	s_mov_b64 s[48:49], -1
	s_mov_b64 s[0:1], s[26:27]
	s_mov_b64 s[40:41], s[28:29]
	;; [unrolled: 1-line block ×3, first 2 shown]
	s_and_saveexec_b64 s[36:37], vcc
	s_cbranch_execz .LBB6_1138
; %bb.759:
	s_waitcnt vmcnt(0)
	v_mul_lo_u32 v0, v11, s13
	v_mov_b32_e32 v1, s11
	s_and_b32 s42, s57, 0xff
	s_cmp_lt_i32 s42, 11
	v_ashrrev_i32_e32 v3, 31, v0
	v_add_co_u32_e32 v2, vcc, s10, v0
	v_addc_co_u32_e32 v3, vcc, v1, v3, vcc
	s_cbranch_scc1 .LBB6_766
; %bb.760:
	s_and_b32 s43, 0xffff, s42
	s_cmp_gt_i32 s43, 25
	s_cbranch_scc0 .LBB6_768
; %bb.761:
	s_cmp_gt_i32 s43, 28
	s_cbranch_scc0 .LBB6_769
; %bb.762:
	;; [unrolled: 3-line block ×4, first 2 shown]
	s_cmp_eq_u32 s43, 46
	s_mov_b64 s[40:41], 0
	s_cbranch_scc0 .LBB6_774
; %bb.765:
	global_load_dword v0, v[2:3], off
	s_mov_b32 s0, 0x2f800000
	s_mov_b32 s1, 0xcf800000
	s_waitcnt vmcnt(0)
	v_lshlrev_b32_e32 v0, 16, v0
	v_trunc_f32_e32 v0, v0
	v_mul_f32_e64 v1, |v0|, s0
	v_floor_f32_e32 v1, v1
	v_fma_f32 v1, v1, s1, |v0|
	v_cvt_u32_f32_e32 v1, v1
	v_ashrrev_i32_e32 v0, 31, v0
	s_mov_b64 s[0:1], -1
	v_xor_b32_e32 v1, v1, v0
	v_sub_u32_e32 v0, v1, v0
	s_branch .LBB6_775
.LBB6_766:
	s_mov_b64 s[40:41], -1
	s_mov_b64 s[0:1], 0
                                        ; implicit-def: $vgpr0
	s_mov_b64 s[38:39], s[26:27]
	s_branch .LBB6_836
.LBB6_767:
	s_mov_b64 s[36:37], 0
	s_branch .LBB6_518
.LBB6_768:
	s_mov_b64 s[40:41], -1
	s_mov_b64 s[0:1], 0
	s_mov_b64 s[38:39], s[26:27]
                                        ; implicit-def: $vgpr0
	s_branch .LBB6_802
.LBB6_769:
	s_mov_b64 s[40:41], -1
	s_mov_b64 s[0:1], 0
	s_mov_b64 s[38:39], s[26:27]
                                        ; implicit-def: $vgpr0
	s_branch .LBB6_785
.LBB6_770:
	s_mov_b64 s[40:41], -1
	s_mov_b64 s[0:1], 0
	s_mov_b64 s[38:39], s[26:27]
                                        ; implicit-def: $vgpr0
	s_branch .LBB6_780
.LBB6_771:
	s_mov_b64 s[40:41], -1
	s_mov_b64 s[0:1], 0
	s_mov_b64 s[38:39], s[26:27]
                                        ; implicit-def: $vgpr0
	s_branch .LBB6_775
.LBB6_772:
	s_andn2_saveexec_b64 s[40:41], s[40:41]
	s_cbranch_execz .LBB6_667
.LBB6_773:
	v_add_f32_e32 v2, 0x46000000, v3
	v_and_b32_e32 v2, 0xff, v2
	v_cmp_ne_u32_e32 vcc, 0, v2
	s_andn2_b64 s[38:39], s[38:39], exec
	s_and_b64 s[44:45], vcc, exec
	s_or_b64 s[38:39], s[38:39], s[44:45]
	s_or_b64 exec, exec, s[40:41]
	v_mov_b32_e32 v4, 0
	s_and_saveexec_b64 s[40:41], s[38:39]
	s_cbranch_execnz .LBB6_668
	s_branch .LBB6_669
.LBB6_774:
	s_mov_b64 s[38:39], -1
                                        ; implicit-def: $vgpr0
	s_mov_b64 s[0:1], 0
.LBB6_775:
	s_and_b64 vcc, exec, s[40:41]
	s_cbranch_vccz .LBB6_779
; %bb.776:
	s_cmp_eq_u32 s43, 44
	s_cbranch_scc0 .LBB6_778
; %bb.777:
	global_load_ubyte v0, v[2:3], off
	s_mov_b32 s0, 0x2f800000
	s_mov_b32 s1, 0xcf800000
	s_mov_b64 s[38:39], 0
	s_waitcnt vmcnt(0)
	v_lshlrev_b32_e32 v1, 23, v0
	v_trunc_f32_e32 v1, v1
	v_mul_f32_e64 v4, |v1|, s0
	v_floor_f32_e32 v4, v4
	v_fma_f32 v4, v4, s1, |v1|
	v_cvt_u32_f32_e32 v4, v4
	v_ashrrev_i32_e32 v1, 31, v1
	v_cmp_ne_u32_e32 vcc, 0, v0
	s_mov_b64 s[0:1], -1
	v_xor_b32_e32 v4, v4, v1
	v_sub_u32_e32 v1, v4, v1
	v_cndmask_b32_e32 v0, 0, v1, vcc
	s_branch .LBB6_779
.LBB6_778:
	s_mov_b64 s[38:39], -1
                                        ; implicit-def: $vgpr0
.LBB6_779:
	s_mov_b64 s[40:41], 0
.LBB6_780:
	s_and_b64 vcc, exec, s[40:41]
	s_cbranch_vccz .LBB6_784
; %bb.781:
	s_cmp_eq_u32 s43, 29
	s_cbranch_scc0 .LBB6_783
; %bb.782:
	global_load_dwordx2 v[0:1], v[2:3], off
	s_mov_b64 s[0:1], -1
	s_mov_b64 s[38:39], 0
	s_branch .LBB6_784
.LBB6_783:
	s_mov_b64 s[38:39], -1
                                        ; implicit-def: $vgpr0
.LBB6_784:
	s_mov_b64 s[40:41], 0
.LBB6_785:
	s_and_b64 vcc, exec, s[40:41]
	s_cbranch_vccz .LBB6_801
; %bb.786:
	s_cmp_lt_i32 s43, 27
	s_cbranch_scc1 .LBB6_789
; %bb.787:
	s_cmp_gt_i32 s43, 27
	s_cbranch_scc0 .LBB6_790
; %bb.788:
	global_load_dword v0, v[2:3], off
	s_mov_b64 s[0:1], 0
	s_branch .LBB6_791
.LBB6_789:
	s_mov_b64 s[0:1], -1
                                        ; implicit-def: $vgpr0
	s_branch .LBB6_794
.LBB6_790:
	s_mov_b64 s[0:1], -1
                                        ; implicit-def: $vgpr0
.LBB6_791:
	s_andn2_b64 vcc, exec, s[0:1]
	s_cbranch_vccnz .LBB6_793
; %bb.792:
	global_load_ushort v0, v[2:3], off
.LBB6_793:
	s_mov_b64 s[0:1], 0
.LBB6_794:
	s_andn2_b64 vcc, exec, s[0:1]
	s_cbranch_vccnz .LBB6_800
; %bb.795:
	global_load_ubyte v1, v[2:3], off
	s_movk_i32 s0, 0x7f
	s_mov_b64 s[40:41], 0
	s_waitcnt vmcnt(0)
	v_cmp_lt_i16_e32 vcc, s0, v1
	s_and_saveexec_b64 s[0:1], vcc
	s_xor_b64 s[0:1], exec, s[0:1]
	s_cbranch_execz .LBB6_812
; %bb.796:
	s_movk_i32 s40, 0x80
	v_cmp_ne_u16_e32 vcc, s40, v1
	s_and_b64 s[40:41], vcc, exec
	s_andn2_saveexec_b64 s[0:1], s[0:1]
	s_cbranch_execnz .LBB6_813
.LBB6_797:
	s_or_b64 exec, exec, s[0:1]
	v_mov_b32_e32 v0, 0
	s_and_saveexec_b64 s[0:1], s[40:41]
	s_cbranch_execz .LBB6_799
.LBB6_798:
	v_lshlrev_b32_e32 v0, 24, v1
	v_and_b32_e32 v1, 0xffff, v1
	v_and_b32_e32 v4, 7, v1
	v_ffbh_u32_e32 v6, v4
	v_min_u32_e32 v6, 32, v6
	v_subrev_u32_e32 v7, 28, v6
	v_bfe_u32 v5, v1, 3, 4
	v_lshlrev_b32_e32 v1, v7, v1
	v_sub_u32_e32 v6, 29, v6
	v_and_b32_e32 v1, 7, v1
	v_cmp_eq_u32_e32 vcc, 0, v5
	v_cndmask_b32_e32 v5, v5, v6, vcc
	v_cndmask_b32_e32 v1, v4, v1, vcc
	v_mov_b32_e32 v4, 0x3b800000
	v_lshlrev_b32_e32 v1, 20, v1
	v_and_b32_e32 v0, 0x80000000, v0
	v_lshl_add_u32 v4, v5, 23, v4
	v_or3_b32 v0, v0, v4, v1
	v_trunc_f32_e32 v0, v0
	s_mov_b32 s40, 0x2f800000
	v_mul_f32_e64 v1, |v0|, s40
	v_floor_f32_e32 v1, v1
	s_mov_b32 s40, 0xcf800000
	v_fma_f32 v1, v1, s40, |v0|
	v_cvt_u32_f32_e32 v1, v1
	v_ashrrev_i32_e32 v0, 31, v0
	v_xor_b32_e32 v1, v1, v0
	v_sub_u32_e32 v0, v1, v0
.LBB6_799:
	s_or_b64 exec, exec, s[0:1]
.LBB6_800:
	s_mov_b64 s[0:1], -1
.LBB6_801:
	s_mov_b64 s[40:41], 0
.LBB6_802:
	s_and_b64 vcc, exec, s[40:41]
	s_cbranch_vccz .LBB6_835
; %bb.803:
	s_cmp_gt_i32 s43, 22
	s_cbranch_scc0 .LBB6_811
; %bb.804:
	s_cmp_lt_i32 s43, 24
	s_cbranch_scc1 .LBB6_814
; %bb.805:
	s_cmp_gt_i32 s43, 24
	s_cbranch_scc0 .LBB6_815
; %bb.806:
	global_load_ubyte v1, v[2:3], off
	s_movk_i32 s0, 0x7f
	s_mov_b64 s[40:41], 0
	s_waitcnt vmcnt(0)
	v_cmp_lt_i16_e32 vcc, s0, v1
	s_and_saveexec_b64 s[0:1], vcc
	s_xor_b64 s[0:1], exec, s[0:1]
	s_cbranch_execz .LBB6_827
; %bb.807:
	s_movk_i32 s40, 0x80
	v_cmp_ne_u16_e32 vcc, s40, v1
	s_and_b64 s[40:41], vcc, exec
	s_andn2_saveexec_b64 s[0:1], s[0:1]
	s_cbranch_execnz .LBB6_828
.LBB6_808:
	s_or_b64 exec, exec, s[0:1]
	v_mov_b32_e32 v0, 0
	s_and_saveexec_b64 s[0:1], s[40:41]
	s_cbranch_execz .LBB6_810
.LBB6_809:
	v_lshlrev_b32_e32 v0, 24, v1
	v_and_b32_e32 v1, 0xffff, v1
	v_and_b32_e32 v4, 3, v1
	v_ffbh_u32_e32 v6, v4
	v_min_u32_e32 v6, 32, v6
	v_subrev_u32_e32 v7, 29, v6
	v_bfe_u32 v5, v1, 2, 5
	v_lshlrev_b32_e32 v1, v7, v1
	v_sub_u32_e32 v6, 30, v6
	v_and_b32_e32 v1, 3, v1
	v_cmp_eq_u32_e32 vcc, 0, v5
	v_cndmask_b32_e32 v5, v5, v6, vcc
	v_cndmask_b32_e32 v1, v4, v1, vcc
	v_mov_b32_e32 v4, 0x37800000
	v_lshlrev_b32_e32 v1, 21, v1
	v_and_b32_e32 v0, 0x80000000, v0
	v_lshl_add_u32 v4, v5, 23, v4
	v_or3_b32 v0, v0, v4, v1
	v_trunc_f32_e32 v0, v0
	s_mov_b32 s40, 0x2f800000
	v_mul_f32_e64 v1, |v0|, s40
	v_floor_f32_e32 v1, v1
	s_mov_b32 s40, 0xcf800000
	v_fma_f32 v1, v1, s40, |v0|
	v_cvt_u32_f32_e32 v1, v1
	v_ashrrev_i32_e32 v0, 31, v0
	v_xor_b32_e32 v1, v1, v0
	v_sub_u32_e32 v0, v1, v0
.LBB6_810:
	s_or_b64 exec, exec, s[0:1]
	s_mov_b64 s[0:1], 0
	s_branch .LBB6_816
.LBB6_811:
	s_mov_b64 s[40:41], -1
                                        ; implicit-def: $vgpr0
	s_branch .LBB6_822
.LBB6_812:
	s_andn2_saveexec_b64 s[0:1], s[0:1]
	s_cbranch_execz .LBB6_797
.LBB6_813:
	v_cmp_ne_u16_e32 vcc, 0, v1
	s_andn2_b64 s[40:41], s[40:41], exec
	s_and_b64 s[44:45], vcc, exec
	s_or_b64 s[40:41], s[40:41], s[44:45]
	s_or_b64 exec, exec, s[0:1]
	v_mov_b32_e32 v0, 0
	s_and_saveexec_b64 s[0:1], s[40:41]
	s_cbranch_execnz .LBB6_798
	s_branch .LBB6_799
.LBB6_814:
	s_mov_b64 s[0:1], -1
                                        ; implicit-def: $vgpr0
	s_branch .LBB6_819
.LBB6_815:
	s_mov_b64 s[0:1], -1
                                        ; implicit-def: $vgpr0
.LBB6_816:
	s_and_b64 vcc, exec, s[0:1]
	s_cbranch_vccz .LBB6_818
; %bb.817:
	global_load_ubyte v0, v[2:3], off
	s_mov_b32 s0, 0x7f800000
	s_brev_b32 s1, 1
	s_mov_b32 s40, 0x2f800000
	s_waitcnt vmcnt(0)
	v_lshlrev_b32_e32 v0, 24, v0
	v_and_b32_e32 v1, 0x7f000000, v0
	v_ffbh_u32_e32 v4, v1
	v_min_u32_e32 v4, 32, v4
	v_sub_u32_e64 v4, v4, 4 clamp
	v_lshlrev_b32_e32 v6, v4, v1
	v_lshlrev_b32_e32 v4, 23, v4
	v_lshrrev_b32_e32 v6, 4, v6
	v_add_u32_e32 v5, 0x1000000, v1
	v_sub_u32_e32 v4, v6, v4
	v_ashrrev_i32_e32 v5, 8, v5
	v_add_u32_e32 v4, 0x3c000000, v4
	v_and_or_b32 v4, v5, s0, v4
	v_cmp_ne_u32_e32 vcc, 0, v1
	v_cndmask_b32_e32 v1, 0, v4, vcc
	v_and_or_b32 v0, v0, s1, v1
	v_trunc_f32_e32 v0, v0
	v_mul_f32_e64 v1, |v0|, s40
	v_floor_f32_e32 v1, v1
	s_mov_b32 s0, 0xcf800000
	v_fma_f32 v1, v1, s0, |v0|
	v_cvt_u32_f32_e32 v1, v1
	v_ashrrev_i32_e32 v0, 31, v0
	v_xor_b32_e32 v1, v1, v0
	v_sub_u32_e32 v0, v1, v0
.LBB6_818:
	s_mov_b64 s[0:1], 0
.LBB6_819:
	s_andn2_b64 vcc, exec, s[0:1]
	s_cbranch_vccnz .LBB6_821
; %bb.820:
	global_load_ubyte v0, v[2:3], off
	s_movk_i32 s0, 0x7f00
	s_brev_b32 s1, 16
	s_brev_b32 s40, 1
	s_mov_b32 s41, 0x2f800000
	s_waitcnt vmcnt(0)
	v_lshlrev_b16_e32 v1, 8, v0
	v_lshlrev_b32_e32 v0, 25, v0
	v_lshrrev_b32_e32 v4, 4, v0
	v_and_or_b32 v5, v1, s0, 0.5
	v_or_b32_e32 v4, 0x70000000, v4
	v_add_f32_e32 v5, -0.5, v5
	v_mul_f32_e32 v4, 0x7800000, v4
	v_cmp_gt_u32_e32 vcc, s1, v0
	v_bfe_i32 v1, v1, 0, 16
	v_cndmask_b32_e32 v0, v4, v5, vcc
	v_and_or_b32 v0, v1, s40, v0
	v_trunc_f32_e32 v0, v0
	v_mul_f32_e64 v1, |v0|, s41
	v_floor_f32_e32 v1, v1
	s_mov_b32 s0, 0xcf800000
	v_fma_f32 v1, v1, s0, |v0|
	v_cvt_u32_f32_e32 v1, v1
	v_ashrrev_i32_e32 v0, 31, v0
	v_xor_b32_e32 v1, v1, v0
	v_sub_u32_e32 v0, v1, v0
.LBB6_821:
	s_mov_b64 s[40:41], 0
	s_mov_b64 s[0:1], -1
.LBB6_822:
	s_andn2_b64 vcc, exec, s[40:41]
	s_cbranch_vccnz .LBB6_835
; %bb.823:
	s_cmp_gt_i32 s43, 14
	s_cbranch_scc0 .LBB6_826
; %bb.824:
	s_cmp_eq_u32 s43, 15
	s_cbranch_scc0 .LBB6_829
; %bb.825:
	global_load_ushort v0, v[2:3], off
	s_mov_b32 s0, 0x2f800000
	s_mov_b32 s1, 0xcf800000
	s_mov_b64 s[38:39], 0
	s_waitcnt vmcnt(0)
	v_lshlrev_b32_e32 v0, 16, v0
	v_trunc_f32_e32 v0, v0
	v_mul_f32_e64 v1, |v0|, s0
	v_floor_f32_e32 v1, v1
	v_fma_f32 v1, v1, s1, |v0|
	v_cvt_u32_f32_e32 v1, v1
	v_ashrrev_i32_e32 v0, 31, v0
	s_mov_b64 s[0:1], -1
	v_xor_b32_e32 v1, v1, v0
	v_sub_u32_e32 v0, v1, v0
	s_branch .LBB6_830
.LBB6_826:
	s_mov_b64 s[40:41], -1
                                        ; implicit-def: $vgpr0
	s_branch .LBB6_831
.LBB6_827:
	s_andn2_saveexec_b64 s[0:1], s[0:1]
	s_cbranch_execz .LBB6_808
.LBB6_828:
	v_cmp_ne_u16_e32 vcc, 0, v1
	s_andn2_b64 s[40:41], s[40:41], exec
	s_and_b64 s[44:45], vcc, exec
	s_or_b64 s[40:41], s[40:41], s[44:45]
	s_or_b64 exec, exec, s[0:1]
	v_mov_b32_e32 v0, 0
	s_and_saveexec_b64 s[0:1], s[40:41]
	s_cbranch_execnz .LBB6_809
	s_branch .LBB6_810
.LBB6_829:
	s_mov_b64 s[38:39], -1
                                        ; implicit-def: $vgpr0
.LBB6_830:
	s_mov_b64 s[40:41], 0
.LBB6_831:
	s_and_b64 vcc, exec, s[40:41]
	s_cbranch_vccz .LBB6_835
; %bb.832:
	s_cmp_eq_u32 s43, 11
	s_cbranch_scc0 .LBB6_834
; %bb.833:
	global_load_ubyte v0, v[2:3], off
	s_mov_b64 s[0:1], -1
	s_mov_b64 s[38:39], 0
	s_waitcnt vmcnt(0)
	v_cmp_ne_u16_e32 vcc, 0, v0
	v_cndmask_b32_e64 v0, 0, 1, vcc
	s_branch .LBB6_835
.LBB6_834:
	s_mov_b64 s[38:39], -1
                                        ; implicit-def: $vgpr0
.LBB6_835:
	s_mov_b64 s[40:41], 0
.LBB6_836:
	s_and_b64 vcc, exec, s[40:41]
	s_cbranch_vccz .LBB6_885
; %bb.837:
	s_and_b32 s40, 0xffff, s42
	s_cmp_lt_i32 s40, 5
	s_cbranch_scc1 .LBB6_842
; %bb.838:
	s_cmp_lt_i32 s40, 8
	s_cbranch_scc1 .LBB6_843
; %bb.839:
	;; [unrolled: 3-line block ×3, first 2 shown]
	s_cmp_gt_i32 s40, 9
	s_cbranch_scc0 .LBB6_845
; %bb.841:
	global_load_dwordx2 v[0:1], v[2:3], off
	s_movk_i32 s0, 0xffe0
	s_waitcnt vmcnt(0)
	v_trunc_f64_e32 v[0:1], v[0:1]
	v_ldexp_f64 v[4:5], v[0:1], s0
	s_mov_b32 s0, 0
	s_mov_b32 s1, 0xc1f00000
	v_floor_f64_e32 v[4:5], v[4:5]
	v_fma_f64 v[0:1], v[4:5], s[0:1], v[0:1]
	s_mov_b64 s[0:1], 0
	v_cvt_u32_f64_e32 v0, v[0:1]
	s_branch .LBB6_846
.LBB6_842:
	s_mov_b64 s[0:1], -1
                                        ; implicit-def: $vgpr0
	s_branch .LBB6_864
.LBB6_843:
	s_mov_b64 s[0:1], -1
                                        ; implicit-def: $vgpr0
	s_branch .LBB6_852
.LBB6_844:
	s_mov_b64 s[0:1], -1
                                        ; implicit-def: $vgpr0
	s_branch .LBB6_849
.LBB6_845:
	s_mov_b64 s[0:1], -1
                                        ; implicit-def: $vgpr0
.LBB6_846:
	s_andn2_b64 vcc, exec, s[0:1]
	s_cbranch_vccnz .LBB6_848
; %bb.847:
	global_load_dword v0, v[2:3], off
	s_mov_b32 s0, 0x2f800000
	s_waitcnt vmcnt(0)
	v_trunc_f32_e32 v0, v0
	v_mul_f32_e64 v1, |v0|, s0
	v_floor_f32_e32 v1, v1
	s_mov_b32 s0, 0xcf800000
	v_fma_f32 v1, v1, s0, |v0|
	v_cvt_u32_f32_e32 v1, v1
	v_ashrrev_i32_e32 v0, 31, v0
	v_xor_b32_e32 v1, v1, v0
	v_sub_u32_e32 v0, v1, v0
.LBB6_848:
	s_mov_b64 s[0:1], 0
.LBB6_849:
	s_andn2_b64 vcc, exec, s[0:1]
	s_cbranch_vccnz .LBB6_851
; %bb.850:
	global_load_dword v0, v[2:3], off
	s_waitcnt vmcnt(0)
	v_cvt_f32_f16_e32 v0, v0
	v_cvt_i32_f32_e32 v0, v0
.LBB6_851:
	s_mov_b64 s[0:1], 0
.LBB6_852:
	s_andn2_b64 vcc, exec, s[0:1]
	s_cbranch_vccnz .LBB6_863
; %bb.853:
	s_cmp_lt_i32 s40, 6
	s_cbranch_scc1 .LBB6_856
; %bb.854:
	s_cmp_gt_i32 s40, 6
	s_cbranch_scc0 .LBB6_857
; %bb.855:
	global_load_dwordx2 v[0:1], v[2:3], off
	s_movk_i32 s0, 0xffe0
	s_waitcnt vmcnt(0)
	v_trunc_f64_e32 v[0:1], v[0:1]
	v_ldexp_f64 v[4:5], v[0:1], s0
	s_mov_b32 s0, 0
	s_mov_b32 s1, 0xc1f00000
	v_floor_f64_e32 v[4:5], v[4:5]
	v_fma_f64 v[0:1], v[4:5], s[0:1], v[0:1]
	s_mov_b64 s[0:1], 0
	v_cvt_u32_f64_e32 v0, v[0:1]
	s_branch .LBB6_858
.LBB6_856:
	s_mov_b64 s[0:1], -1
                                        ; implicit-def: $vgpr0
	s_branch .LBB6_861
.LBB6_857:
	s_mov_b64 s[0:1], -1
                                        ; implicit-def: $vgpr0
.LBB6_858:
	s_andn2_b64 vcc, exec, s[0:1]
	s_cbranch_vccnz .LBB6_860
; %bb.859:
	global_load_dword v0, v[2:3], off
	s_mov_b32 s0, 0x2f800000
	s_waitcnt vmcnt(0)
	v_trunc_f32_e32 v0, v0
	v_mul_f32_e64 v1, |v0|, s0
	v_floor_f32_e32 v1, v1
	s_mov_b32 s0, 0xcf800000
	v_fma_f32 v1, v1, s0, |v0|
	v_cvt_u32_f32_e32 v1, v1
	v_ashrrev_i32_e32 v0, 31, v0
	v_xor_b32_e32 v1, v1, v0
	v_sub_u32_e32 v0, v1, v0
.LBB6_860:
	s_mov_b64 s[0:1], 0
.LBB6_861:
	s_andn2_b64 vcc, exec, s[0:1]
	s_cbranch_vccnz .LBB6_863
; %bb.862:
	global_load_ushort v0, v[2:3], off
	s_waitcnt vmcnt(0)
	v_cvt_f32_f16_e32 v0, v0
	v_cvt_i32_f32_e32 v0, v0
.LBB6_863:
	s_mov_b64 s[0:1], 0
.LBB6_864:
	s_andn2_b64 vcc, exec, s[0:1]
	s_cbranch_vccnz .LBB6_884
; %bb.865:
	s_cmp_lt_i32 s40, 2
	s_cbranch_scc1 .LBB6_869
; %bb.866:
	s_cmp_lt_i32 s40, 3
	s_cbranch_scc1 .LBB6_870
; %bb.867:
	s_cmp_gt_i32 s40, 3
	s_cbranch_scc0 .LBB6_871
; %bb.868:
	global_load_dwordx2 v[0:1], v[2:3], off
	s_mov_b64 s[0:1], 0
	s_branch .LBB6_872
.LBB6_869:
	s_mov_b64 s[0:1], -1
                                        ; implicit-def: $vgpr0
	s_branch .LBB6_878
.LBB6_870:
	s_mov_b64 s[0:1], -1
                                        ; implicit-def: $vgpr0
	s_branch .LBB6_875
.LBB6_871:
	s_mov_b64 s[0:1], -1
                                        ; implicit-def: $vgpr0
.LBB6_872:
	s_andn2_b64 vcc, exec, s[0:1]
	s_cbranch_vccnz .LBB6_874
; %bb.873:
	global_load_dword v0, v[2:3], off
.LBB6_874:
	s_mov_b64 s[0:1], 0
.LBB6_875:
	s_andn2_b64 vcc, exec, s[0:1]
	s_cbranch_vccnz .LBB6_877
; %bb.876:
	global_load_ushort v0, v[2:3], off
.LBB6_877:
	s_mov_b64 s[0:1], 0
.LBB6_878:
	s_andn2_b64 vcc, exec, s[0:1]
	s_cbranch_vccnz .LBB6_884
; %bb.879:
	s_cmp_gt_i32 s40, 0
	s_cbranch_scc0 .LBB6_881
; %bb.880:
	global_load_ubyte v0, v[2:3], off
	s_mov_b64 s[0:1], 0
	s_branch .LBB6_882
.LBB6_881:
	s_mov_b64 s[0:1], -1
                                        ; implicit-def: $vgpr0
.LBB6_882:
	s_andn2_b64 vcc, exec, s[0:1]
	s_cbranch_vccnz .LBB6_884
; %bb.883:
	global_load_ubyte v0, v[2:3], off
.LBB6_884:
	s_mov_b64 s[0:1], -1
.LBB6_885:
	s_andn2_b64 vcc, exec, s[0:1]
	s_cbranch_vccnz .LBB6_893
; %bb.886:
	s_waitcnt vmcnt(0)
	v_mul_lo_u32 v1, v11, s14
	v_mov_b32_e32 v2, s3
	s_and_b32 s44, s56, 0xff
	s_cmp_lt_i32 s44, 11
	v_ashrrev_i32_e32 v3, 31, v1
	v_add_co_u32_e32 v1, vcc, s2, v1
	v_addc_co_u32_e32 v2, vcc, v2, v3, vcc
	s_cbranch_scc1 .LBB6_895
; %bb.887:
	s_and_b32 s45, 0xffff, s44
	s_cmp_gt_i32 s45, 25
	s_cbranch_scc0 .LBB6_896
; %bb.888:
	s_cmp_gt_i32 s45, 28
	s_cbranch_scc0 .LBB6_897
; %bb.889:
	;; [unrolled: 3-line block ×4, first 2 shown]
	s_cmp_eq_u32 s45, 46
	s_mov_b64 s[42:43], 0
	s_cbranch_scc0 .LBB6_902
; %bb.892:
	global_load_dword v3, v[1:2], off
	s_mov_b32 s0, 0x2f800000
	s_mov_b32 s1, 0xcf800000
	s_mov_b64 s[40:41], 0
	s_waitcnt vmcnt(0)
	v_lshlrev_b32_e32 v3, 16, v3
	v_trunc_f32_e32 v3, v3
	v_mul_f32_e64 v4, |v3|, s0
	v_floor_f32_e32 v4, v4
	v_fma_f32 v4, v4, s1, |v3|
	v_cvt_u32_f32_e32 v4, v4
	v_ashrrev_i32_e32 v3, 31, v3
	s_mov_b64 s[0:1], -1
	v_xor_b32_e32 v4, v4, v3
	v_sub_u32_e32 v3, v4, v3
	s_branch .LBB6_903
.LBB6_893:
	s_mov_b64 s[44:45], 0
	s_mov_b64 s[0:1], s[30:31]
	;; [unrolled: 1-line block ×3, first 2 shown]
.LBB6_894:
                                        ; implicit-def: $vgpr11
	s_branch .LBB6_1137
.LBB6_895:
	s_mov_b64 s[42:43], -1
	s_mov_b64 s[0:1], 0
                                        ; implicit-def: $vgpr3
	s_mov_b64 s[40:41], s[28:29]
	s_branch .LBB6_964
.LBB6_896:
	s_mov_b64 s[42:43], -1
	s_mov_b64 s[0:1], 0
	s_mov_b64 s[40:41], s[28:29]
                                        ; implicit-def: $vgpr3
	s_branch .LBB6_930
.LBB6_897:
	s_mov_b64 s[42:43], -1
	s_mov_b64 s[0:1], 0
	s_mov_b64 s[40:41], s[28:29]
                                        ; implicit-def: $vgpr3
	s_branch .LBB6_913
.LBB6_898:
	s_mov_b64 s[42:43], -1
	s_mov_b64 s[0:1], 0
	s_mov_b64 s[40:41], s[28:29]
                                        ; implicit-def: $vgpr3
	s_branch .LBB6_908
.LBB6_899:
	s_mov_b64 s[42:43], -1
	s_mov_b64 s[0:1], 0
	s_mov_b64 s[40:41], s[28:29]
                                        ; implicit-def: $vgpr3
	s_branch .LBB6_903
.LBB6_900:
	s_andn2_saveexec_b64 s[40:41], s[40:41]
	s_cbranch_execz .LBB6_680
.LBB6_901:
	v_add_f32_e32 v2, 0x42800000, v3
	v_and_b32_e32 v2, 0xff, v2
	v_cmp_ne_u32_e32 vcc, 0, v2
	s_andn2_b64 s[38:39], s[38:39], exec
	s_and_b64 s[44:45], vcc, exec
	s_or_b64 s[38:39], s[38:39], s[44:45]
	s_or_b64 exec, exec, s[40:41]
	v_mov_b32_e32 v4, 0
	s_and_saveexec_b64 s[40:41], s[38:39]
	s_cbranch_execnz .LBB6_681
	s_branch .LBB6_682
.LBB6_902:
	s_mov_b64 s[40:41], -1
                                        ; implicit-def: $vgpr3
	s_mov_b64 s[0:1], 0
.LBB6_903:
	s_and_b64 vcc, exec, s[42:43]
	s_cbranch_vccz .LBB6_907
; %bb.904:
	s_cmp_eq_u32 s45, 44
	s_cbranch_scc0 .LBB6_906
; %bb.905:
	global_load_ubyte v3, v[1:2], off
	s_mov_b32 s0, 0x2f800000
	s_mov_b32 s1, 0xcf800000
	s_mov_b64 s[40:41], 0
	s_waitcnt vmcnt(0)
	v_lshlrev_b32_e32 v4, 23, v3
	v_trunc_f32_e32 v4, v4
	v_mul_f32_e64 v5, |v4|, s0
	v_floor_f32_e32 v5, v5
	v_fma_f32 v5, v5, s1, |v4|
	v_cvt_u32_f32_e32 v5, v5
	v_ashrrev_i32_e32 v4, 31, v4
	v_cmp_ne_u32_e32 vcc, 0, v3
	s_mov_b64 s[0:1], -1
	v_xor_b32_e32 v5, v5, v4
	v_sub_u32_e32 v4, v5, v4
	v_cndmask_b32_e32 v3, 0, v4, vcc
	s_branch .LBB6_907
.LBB6_906:
	s_mov_b64 s[40:41], -1
                                        ; implicit-def: $vgpr3
.LBB6_907:
	s_mov_b64 s[42:43], 0
.LBB6_908:
	s_and_b64 vcc, exec, s[42:43]
	s_cbranch_vccz .LBB6_912
; %bb.909:
	s_cmp_eq_u32 s45, 29
	s_cbranch_scc0 .LBB6_911
; %bb.910:
	global_load_dwordx2 v[3:4], v[1:2], off
	s_mov_b64 s[0:1], -1
	s_mov_b64 s[40:41], 0
	s_branch .LBB6_912
.LBB6_911:
	s_mov_b64 s[40:41], -1
                                        ; implicit-def: $vgpr3
.LBB6_912:
	s_mov_b64 s[42:43], 0
.LBB6_913:
	s_and_b64 vcc, exec, s[42:43]
	s_cbranch_vccz .LBB6_929
; %bb.914:
	s_cmp_lt_i32 s45, 27
	s_cbranch_scc1 .LBB6_917
; %bb.915:
	s_cmp_gt_i32 s45, 27
	s_cbranch_scc0 .LBB6_918
; %bb.916:
	global_load_dword v3, v[1:2], off
	s_mov_b64 s[0:1], 0
	s_branch .LBB6_919
.LBB6_917:
	s_mov_b64 s[0:1], -1
                                        ; implicit-def: $vgpr3
	s_branch .LBB6_922
.LBB6_918:
	s_mov_b64 s[0:1], -1
                                        ; implicit-def: $vgpr3
.LBB6_919:
	s_andn2_b64 vcc, exec, s[0:1]
	s_cbranch_vccnz .LBB6_921
; %bb.920:
	global_load_ushort v3, v[1:2], off
.LBB6_921:
	s_mov_b64 s[0:1], 0
.LBB6_922:
	s_andn2_b64 vcc, exec, s[0:1]
	s_cbranch_vccnz .LBB6_928
; %bb.923:
	global_load_ubyte v4, v[1:2], off
	s_movk_i32 s0, 0x7f
	s_mov_b64 s[42:43], 0
	s_waitcnt vmcnt(0)
	v_cmp_lt_i16_e32 vcc, s0, v4
	s_and_saveexec_b64 s[0:1], vcc
	s_xor_b64 s[0:1], exec, s[0:1]
	s_cbranch_execz .LBB6_940
; %bb.924:
	s_movk_i32 s42, 0x80
	v_cmp_ne_u16_e32 vcc, s42, v4
	s_and_b64 s[42:43], vcc, exec
	s_andn2_saveexec_b64 s[0:1], s[0:1]
	s_cbranch_execnz .LBB6_941
.LBB6_925:
	s_or_b64 exec, exec, s[0:1]
	v_mov_b32_e32 v3, 0
	s_and_saveexec_b64 s[0:1], s[42:43]
	s_cbranch_execz .LBB6_927
.LBB6_926:
	v_lshlrev_b32_e32 v3, 24, v4
	v_and_b32_e32 v4, 0xffff, v4
	v_and_b32_e32 v5, 7, v4
	v_ffbh_u32_e32 v7, v5
	v_min_u32_e32 v7, 32, v7
	v_subrev_u32_e32 v8, 28, v7
	v_bfe_u32 v6, v4, 3, 4
	v_lshlrev_b32_e32 v4, v8, v4
	v_sub_u32_e32 v7, 29, v7
	v_and_b32_e32 v4, 7, v4
	v_cmp_eq_u32_e32 vcc, 0, v6
	v_cndmask_b32_e32 v6, v6, v7, vcc
	v_cndmask_b32_e32 v4, v5, v4, vcc
	v_mov_b32_e32 v5, 0x3b800000
	v_lshlrev_b32_e32 v4, 20, v4
	v_and_b32_e32 v3, 0x80000000, v3
	v_lshl_add_u32 v5, v6, 23, v5
	v_or3_b32 v3, v3, v5, v4
	v_trunc_f32_e32 v3, v3
	s_mov_b32 s42, 0x2f800000
	v_mul_f32_e64 v4, |v3|, s42
	v_floor_f32_e32 v4, v4
	s_mov_b32 s42, 0xcf800000
	v_fma_f32 v4, v4, s42, |v3|
	v_cvt_u32_f32_e32 v4, v4
	v_ashrrev_i32_e32 v3, 31, v3
	v_xor_b32_e32 v4, v4, v3
	v_sub_u32_e32 v3, v4, v3
.LBB6_927:
	s_or_b64 exec, exec, s[0:1]
.LBB6_928:
	s_mov_b64 s[0:1], -1
.LBB6_929:
	s_mov_b64 s[42:43], 0
.LBB6_930:
	s_and_b64 vcc, exec, s[42:43]
	s_cbranch_vccz .LBB6_963
; %bb.931:
	s_cmp_gt_i32 s45, 22
	s_cbranch_scc0 .LBB6_939
; %bb.932:
	s_cmp_lt_i32 s45, 24
	s_cbranch_scc1 .LBB6_942
; %bb.933:
	s_cmp_gt_i32 s45, 24
	s_cbranch_scc0 .LBB6_943
; %bb.934:
	global_load_ubyte v4, v[1:2], off
	s_movk_i32 s0, 0x7f
	s_mov_b64 s[42:43], 0
	s_waitcnt vmcnt(0)
	v_cmp_lt_i16_e32 vcc, s0, v4
	s_and_saveexec_b64 s[0:1], vcc
	s_xor_b64 s[0:1], exec, s[0:1]
	s_cbranch_execz .LBB6_955
; %bb.935:
	s_movk_i32 s42, 0x80
	v_cmp_ne_u16_e32 vcc, s42, v4
	s_and_b64 s[42:43], vcc, exec
	s_andn2_saveexec_b64 s[0:1], s[0:1]
	s_cbranch_execnz .LBB6_956
.LBB6_936:
	s_or_b64 exec, exec, s[0:1]
	v_mov_b32_e32 v3, 0
	s_and_saveexec_b64 s[0:1], s[42:43]
	s_cbranch_execz .LBB6_938
.LBB6_937:
	v_lshlrev_b32_e32 v3, 24, v4
	v_and_b32_e32 v4, 0xffff, v4
	v_and_b32_e32 v5, 3, v4
	v_ffbh_u32_e32 v7, v5
	v_min_u32_e32 v7, 32, v7
	v_subrev_u32_e32 v8, 29, v7
	v_bfe_u32 v6, v4, 2, 5
	v_lshlrev_b32_e32 v4, v8, v4
	v_sub_u32_e32 v7, 30, v7
	v_and_b32_e32 v4, 3, v4
	v_cmp_eq_u32_e32 vcc, 0, v6
	v_cndmask_b32_e32 v6, v6, v7, vcc
	v_cndmask_b32_e32 v4, v5, v4, vcc
	v_mov_b32_e32 v5, 0x37800000
	v_lshlrev_b32_e32 v4, 21, v4
	v_and_b32_e32 v3, 0x80000000, v3
	v_lshl_add_u32 v5, v6, 23, v5
	v_or3_b32 v3, v3, v5, v4
	v_trunc_f32_e32 v3, v3
	s_mov_b32 s42, 0x2f800000
	v_mul_f32_e64 v4, |v3|, s42
	v_floor_f32_e32 v4, v4
	s_mov_b32 s42, 0xcf800000
	v_fma_f32 v4, v4, s42, |v3|
	v_cvt_u32_f32_e32 v4, v4
	v_ashrrev_i32_e32 v3, 31, v3
	v_xor_b32_e32 v4, v4, v3
	v_sub_u32_e32 v3, v4, v3
.LBB6_938:
	s_or_b64 exec, exec, s[0:1]
	s_mov_b64 s[0:1], 0
	s_branch .LBB6_944
.LBB6_939:
	s_mov_b64 s[42:43], -1
                                        ; implicit-def: $vgpr3
	s_branch .LBB6_950
.LBB6_940:
	s_andn2_saveexec_b64 s[0:1], s[0:1]
	s_cbranch_execz .LBB6_925
.LBB6_941:
	v_cmp_ne_u16_e32 vcc, 0, v4
	s_andn2_b64 s[42:43], s[42:43], exec
	s_and_b64 s[46:47], vcc, exec
	s_or_b64 s[42:43], s[42:43], s[46:47]
	s_or_b64 exec, exec, s[0:1]
	v_mov_b32_e32 v3, 0
	s_and_saveexec_b64 s[0:1], s[42:43]
	s_cbranch_execnz .LBB6_926
	s_branch .LBB6_927
.LBB6_942:
	s_mov_b64 s[0:1], -1
                                        ; implicit-def: $vgpr3
	s_branch .LBB6_947
.LBB6_943:
	s_mov_b64 s[0:1], -1
                                        ; implicit-def: $vgpr3
.LBB6_944:
	s_and_b64 vcc, exec, s[0:1]
	s_cbranch_vccz .LBB6_946
; %bb.945:
	global_load_ubyte v3, v[1:2], off
	s_mov_b32 s0, 0x7f800000
	s_brev_b32 s1, 1
	s_mov_b32 s42, 0x2f800000
	s_waitcnt vmcnt(0)
	v_lshlrev_b32_e32 v3, 24, v3
	v_and_b32_e32 v4, 0x7f000000, v3
	v_ffbh_u32_e32 v5, v4
	v_min_u32_e32 v5, 32, v5
	v_sub_u32_e64 v5, v5, 4 clamp
	v_lshlrev_b32_e32 v7, v5, v4
	v_lshlrev_b32_e32 v5, 23, v5
	v_lshrrev_b32_e32 v7, 4, v7
	v_add_u32_e32 v6, 0x1000000, v4
	v_sub_u32_e32 v5, v7, v5
	v_ashrrev_i32_e32 v6, 8, v6
	v_add_u32_e32 v5, 0x3c000000, v5
	v_and_or_b32 v5, v6, s0, v5
	v_cmp_ne_u32_e32 vcc, 0, v4
	v_cndmask_b32_e32 v4, 0, v5, vcc
	v_and_or_b32 v3, v3, s1, v4
	v_trunc_f32_e32 v3, v3
	v_mul_f32_e64 v4, |v3|, s42
	v_floor_f32_e32 v4, v4
	s_mov_b32 s0, 0xcf800000
	v_fma_f32 v4, v4, s0, |v3|
	v_cvt_u32_f32_e32 v4, v4
	v_ashrrev_i32_e32 v3, 31, v3
	v_xor_b32_e32 v4, v4, v3
	v_sub_u32_e32 v3, v4, v3
.LBB6_946:
	s_mov_b64 s[0:1], 0
.LBB6_947:
	s_andn2_b64 vcc, exec, s[0:1]
	s_cbranch_vccnz .LBB6_949
; %bb.948:
	global_load_ubyte v3, v[1:2], off
	s_movk_i32 s0, 0x7f00
	s_brev_b32 s1, 16
	s_brev_b32 s42, 1
	s_mov_b32 s43, 0x2f800000
	s_waitcnt vmcnt(0)
	v_lshlrev_b16_e32 v4, 8, v3
	v_lshlrev_b32_e32 v3, 25, v3
	v_lshrrev_b32_e32 v5, 4, v3
	v_and_or_b32 v6, v4, s0, 0.5
	v_or_b32_e32 v5, 0x70000000, v5
	v_add_f32_e32 v6, -0.5, v6
	v_mul_f32_e32 v5, 0x7800000, v5
	v_cmp_gt_u32_e32 vcc, s1, v3
	v_bfe_i32 v4, v4, 0, 16
	v_cndmask_b32_e32 v3, v5, v6, vcc
	v_and_or_b32 v3, v4, s42, v3
	v_trunc_f32_e32 v3, v3
	v_mul_f32_e64 v4, |v3|, s43
	v_floor_f32_e32 v4, v4
	s_mov_b32 s0, 0xcf800000
	v_fma_f32 v4, v4, s0, |v3|
	v_cvt_u32_f32_e32 v4, v4
	v_ashrrev_i32_e32 v3, 31, v3
	v_xor_b32_e32 v4, v4, v3
	v_sub_u32_e32 v3, v4, v3
.LBB6_949:
	s_mov_b64 s[42:43], 0
	s_mov_b64 s[0:1], -1
.LBB6_950:
	s_andn2_b64 vcc, exec, s[42:43]
	s_cbranch_vccnz .LBB6_963
; %bb.951:
	s_cmp_gt_i32 s45, 14
	s_cbranch_scc0 .LBB6_954
; %bb.952:
	s_cmp_eq_u32 s45, 15
	s_cbranch_scc0 .LBB6_957
; %bb.953:
	global_load_ushort v3, v[1:2], off
	s_mov_b32 s0, 0x2f800000
	s_mov_b32 s1, 0xcf800000
	s_mov_b64 s[40:41], 0
	s_waitcnt vmcnt(0)
	v_lshlrev_b32_e32 v3, 16, v3
	v_trunc_f32_e32 v3, v3
	v_mul_f32_e64 v4, |v3|, s0
	v_floor_f32_e32 v4, v4
	v_fma_f32 v4, v4, s1, |v3|
	v_cvt_u32_f32_e32 v4, v4
	v_ashrrev_i32_e32 v3, 31, v3
	s_mov_b64 s[0:1], -1
	v_xor_b32_e32 v4, v4, v3
	v_sub_u32_e32 v3, v4, v3
	s_branch .LBB6_958
.LBB6_954:
	s_mov_b64 s[42:43], -1
                                        ; implicit-def: $vgpr3
	s_branch .LBB6_959
.LBB6_955:
	s_andn2_saveexec_b64 s[0:1], s[0:1]
	s_cbranch_execz .LBB6_936
.LBB6_956:
	v_cmp_ne_u16_e32 vcc, 0, v4
	s_andn2_b64 s[42:43], s[42:43], exec
	s_and_b64 s[46:47], vcc, exec
	s_or_b64 s[42:43], s[42:43], s[46:47]
	s_or_b64 exec, exec, s[0:1]
	v_mov_b32_e32 v3, 0
	s_and_saveexec_b64 s[0:1], s[42:43]
	s_cbranch_execnz .LBB6_937
	s_branch .LBB6_938
.LBB6_957:
	s_mov_b64 s[40:41], -1
                                        ; implicit-def: $vgpr3
.LBB6_958:
	s_mov_b64 s[42:43], 0
.LBB6_959:
	s_and_b64 vcc, exec, s[42:43]
	s_cbranch_vccz .LBB6_963
; %bb.960:
	s_cmp_eq_u32 s45, 11
	s_cbranch_scc0 .LBB6_962
; %bb.961:
	global_load_ubyte v3, v[1:2], off
	s_mov_b64 s[0:1], -1
	s_mov_b64 s[40:41], 0
	s_waitcnt vmcnt(0)
	v_cmp_ne_u16_e32 vcc, 0, v3
	v_cndmask_b32_e64 v3, 0, 1, vcc
	s_branch .LBB6_963
.LBB6_962:
	s_mov_b64 s[40:41], -1
                                        ; implicit-def: $vgpr3
.LBB6_963:
	s_mov_b64 s[42:43], 0
.LBB6_964:
	s_and_b64 vcc, exec, s[42:43]
	s_cbranch_vccz .LBB6_1013
; %bb.965:
	s_and_b32 s42, 0xffff, s44
	s_cmp_lt_i32 s42, 5
	s_cbranch_scc1 .LBB6_970
; %bb.966:
	s_cmp_lt_i32 s42, 8
	s_cbranch_scc1 .LBB6_971
; %bb.967:
	;; [unrolled: 3-line block ×3, first 2 shown]
	s_cmp_gt_i32 s42, 9
	s_cbranch_scc0 .LBB6_973
; %bb.969:
	global_load_dwordx2 v[3:4], v[1:2], off
	s_movk_i32 s0, 0xffe0
	s_waitcnt vmcnt(0)
	v_trunc_f64_e32 v[3:4], v[3:4]
	v_ldexp_f64 v[5:6], v[3:4], s0
	s_mov_b32 s0, 0
	s_mov_b32 s1, 0xc1f00000
	v_floor_f64_e32 v[5:6], v[5:6]
	v_fma_f64 v[3:4], v[5:6], s[0:1], v[3:4]
	s_mov_b64 s[0:1], 0
	v_cvt_u32_f64_e32 v3, v[3:4]
	s_branch .LBB6_974
.LBB6_970:
	s_mov_b64 s[0:1], -1
                                        ; implicit-def: $vgpr3
	s_branch .LBB6_992
.LBB6_971:
	s_mov_b64 s[0:1], -1
                                        ; implicit-def: $vgpr3
	s_branch .LBB6_980
.LBB6_972:
	s_mov_b64 s[0:1], -1
                                        ; implicit-def: $vgpr3
	s_branch .LBB6_977
.LBB6_973:
	s_mov_b64 s[0:1], -1
                                        ; implicit-def: $vgpr3
.LBB6_974:
	s_andn2_b64 vcc, exec, s[0:1]
	s_cbranch_vccnz .LBB6_976
; %bb.975:
	global_load_dword v3, v[1:2], off
	s_mov_b32 s0, 0x2f800000
	s_waitcnt vmcnt(0)
	v_trunc_f32_e32 v3, v3
	v_mul_f32_e64 v4, |v3|, s0
	v_floor_f32_e32 v4, v4
	s_mov_b32 s0, 0xcf800000
	v_fma_f32 v4, v4, s0, |v3|
	v_cvt_u32_f32_e32 v4, v4
	v_ashrrev_i32_e32 v3, 31, v3
	v_xor_b32_e32 v4, v4, v3
	v_sub_u32_e32 v3, v4, v3
.LBB6_976:
	s_mov_b64 s[0:1], 0
.LBB6_977:
	s_andn2_b64 vcc, exec, s[0:1]
	s_cbranch_vccnz .LBB6_979
; %bb.978:
	global_load_dword v3, v[1:2], off
	s_waitcnt vmcnt(0)
	v_cvt_f32_f16_e32 v3, v3
	v_cvt_i32_f32_e32 v3, v3
.LBB6_979:
	s_mov_b64 s[0:1], 0
.LBB6_980:
	s_andn2_b64 vcc, exec, s[0:1]
	s_cbranch_vccnz .LBB6_991
; %bb.981:
	s_cmp_lt_i32 s42, 6
	s_cbranch_scc1 .LBB6_984
; %bb.982:
	s_cmp_gt_i32 s42, 6
	s_cbranch_scc0 .LBB6_985
; %bb.983:
	global_load_dwordx2 v[3:4], v[1:2], off
	s_movk_i32 s0, 0xffe0
	s_waitcnt vmcnt(0)
	v_trunc_f64_e32 v[3:4], v[3:4]
	v_ldexp_f64 v[5:6], v[3:4], s0
	s_mov_b32 s0, 0
	s_mov_b32 s1, 0xc1f00000
	v_floor_f64_e32 v[5:6], v[5:6]
	v_fma_f64 v[3:4], v[5:6], s[0:1], v[3:4]
	s_mov_b64 s[0:1], 0
	v_cvt_u32_f64_e32 v3, v[3:4]
	s_branch .LBB6_986
.LBB6_984:
	s_mov_b64 s[0:1], -1
                                        ; implicit-def: $vgpr3
	s_branch .LBB6_989
.LBB6_985:
	s_mov_b64 s[0:1], -1
                                        ; implicit-def: $vgpr3
.LBB6_986:
	s_andn2_b64 vcc, exec, s[0:1]
	s_cbranch_vccnz .LBB6_988
; %bb.987:
	global_load_dword v3, v[1:2], off
	s_mov_b32 s0, 0x2f800000
	s_waitcnt vmcnt(0)
	v_trunc_f32_e32 v3, v3
	v_mul_f32_e64 v4, |v3|, s0
	v_floor_f32_e32 v4, v4
	s_mov_b32 s0, 0xcf800000
	v_fma_f32 v4, v4, s0, |v3|
	v_cvt_u32_f32_e32 v4, v4
	v_ashrrev_i32_e32 v3, 31, v3
	v_xor_b32_e32 v4, v4, v3
	v_sub_u32_e32 v3, v4, v3
.LBB6_988:
	s_mov_b64 s[0:1], 0
.LBB6_989:
	s_andn2_b64 vcc, exec, s[0:1]
	s_cbranch_vccnz .LBB6_991
; %bb.990:
	global_load_ushort v3, v[1:2], off
	s_waitcnt vmcnt(0)
	v_cvt_f32_f16_e32 v3, v3
	v_cvt_i32_f32_e32 v3, v3
.LBB6_991:
	s_mov_b64 s[0:1], 0
.LBB6_992:
	s_andn2_b64 vcc, exec, s[0:1]
	s_cbranch_vccnz .LBB6_1012
; %bb.993:
	s_cmp_lt_i32 s42, 2
	s_cbranch_scc1 .LBB6_997
; %bb.994:
	s_cmp_lt_i32 s42, 3
	s_cbranch_scc1 .LBB6_998
; %bb.995:
	s_cmp_gt_i32 s42, 3
	s_cbranch_scc0 .LBB6_999
; %bb.996:
	global_load_dwordx2 v[3:4], v[1:2], off
	s_mov_b64 s[0:1], 0
	s_branch .LBB6_1000
.LBB6_997:
	s_mov_b64 s[0:1], -1
                                        ; implicit-def: $vgpr3
	s_branch .LBB6_1006
.LBB6_998:
	s_mov_b64 s[0:1], -1
                                        ; implicit-def: $vgpr3
	s_branch .LBB6_1003
.LBB6_999:
	s_mov_b64 s[0:1], -1
                                        ; implicit-def: $vgpr3
.LBB6_1000:
	s_andn2_b64 vcc, exec, s[0:1]
	s_cbranch_vccnz .LBB6_1002
; %bb.1001:
	global_load_dword v3, v[1:2], off
.LBB6_1002:
	s_mov_b64 s[0:1], 0
.LBB6_1003:
	s_andn2_b64 vcc, exec, s[0:1]
	s_cbranch_vccnz .LBB6_1005
; %bb.1004:
	global_load_ushort v3, v[1:2], off
.LBB6_1005:
	s_mov_b64 s[0:1], 0
.LBB6_1006:
	s_andn2_b64 vcc, exec, s[0:1]
	s_cbranch_vccnz .LBB6_1012
; %bb.1007:
	s_cmp_gt_i32 s42, 0
	s_cbranch_scc0 .LBB6_1009
; %bb.1008:
	global_load_ubyte v3, v[1:2], off
	s_mov_b64 s[0:1], 0
	s_branch .LBB6_1010
.LBB6_1009:
	s_mov_b64 s[0:1], -1
                                        ; implicit-def: $vgpr3
.LBB6_1010:
	s_andn2_b64 vcc, exec, s[0:1]
	s_cbranch_vccnz .LBB6_1012
; %bb.1011:
	global_load_ubyte v3, v[1:2], off
.LBB6_1012:
	s_mov_b64 s[0:1], -1
.LBB6_1013:
	s_andn2_b64 vcc, exec, s[0:1]
	s_cbranch_vccnz .LBB6_1021
; %bb.1014:
	v_mul_lo_u32 v1, v11, s12
	s_waitcnt vmcnt(0)
	v_cmp_ne_u16_sdwa s[0:1], v0, v3 src0_sel:BYTE_0 src1_sel:BYTE_0
	v_mov_b32_e32 v2, s9
	s_xor_b64 s[42:43], s[16:17], s[0:1]
	v_ashrrev_i32_e32 v3, 31, v1
	s_and_b32 s51, s33, 0xff
	v_add_co_u32_e32 v0, vcc, s8, v1
	s_cmp_lt_i32 s51, 11
	v_addc_co_u32_e32 v1, vcc, v2, v3, vcc
	s_cbranch_scc1 .LBB6_1022
; %bb.1015:
	s_and_b32 s52, 0xffff, s51
	s_cmp_gt_i32 s52, 25
	s_cbranch_scc0 .LBB6_1023
; %bb.1016:
	s_cmp_gt_i32 s52, 28
	s_cbranch_scc0 .LBB6_1024
; %bb.1017:
	;; [unrolled: 3-line block ×4, first 2 shown]
	s_mov_b64 s[46:47], 0
	s_mov_b64 s[0:1], -1
	s_cmp_eq_u32 s52, 46
	s_mov_b64 s[44:45], 0
	s_cbranch_scc0 .LBB6_1027
; %bb.1020:
	v_cndmask_b32_e64 v2, 0, 1.0, s[42:43]
	v_bfe_u32 v3, v2, 16, 1
	s_movk_i32 s0, 0x7fff
	v_add3_u32 v2, v2, v3, s0
	v_lshrrev_b32_e32 v2, 16, v2
	global_store_dword v[0:1], v2, off
	s_mov_b64 s[44:45], -1
	s_mov_b64 s[0:1], 0
	s_branch .LBB6_1027
.LBB6_1021:
	s_mov_b64 s[44:45], 0
                                        ; implicit-def: $vgpr11
	s_mov_b64 s[0:1], s[30:31]
	s_branch .LBB6_1137
.LBB6_1022:
	s_mov_b64 s[46:47], -1
	s_mov_b64 s[44:45], 0
	s_mov_b64 s[0:1], s[30:31]
	s_branch .LBB6_1096
.LBB6_1023:
	s_mov_b64 s[46:47], -1
	s_mov_b64 s[44:45], 0
	s_mov_b64 s[0:1], s[30:31]
	s_branch .LBB6_1054
.LBB6_1024:
	s_mov_b64 s[46:47], -1
	s_mov_b64 s[44:45], 0
	s_mov_b64 s[0:1], s[30:31]
	s_branch .LBB6_1037
.LBB6_1025:
	s_mov_b64 s[46:47], -1
	s_mov_b64 s[44:45], 0
	s_mov_b64 s[0:1], s[30:31]
	s_branch .LBB6_1033
.LBB6_1026:
	s_mov_b64 s[46:47], -1
	s_mov_b64 s[44:45], 0
	s_mov_b64 s[0:1], s[30:31]
.LBB6_1027:
	s_and_b64 vcc, exec, s[46:47]
	s_cbranch_vccz .LBB6_1032
; %bb.1028:
	s_cmp_eq_u32 s52, 44
	s_mov_b64 s[0:1], -1
	s_cbranch_scc0 .LBB6_1032
; %bb.1029:
	v_cndmask_b32_e64 v3, 0, 1.0, s[42:43]
	v_lshrrev_b32_e32 v2, 23, v3
	s_movk_i32 s0, 0xff
	v_cmp_ne_u32_e32 vcc, s0, v2
	v_mov_b32_e32 v4, 0xff
	s_and_saveexec_b64 s[44:45], vcc
; %bb.1030:
	s_mov_b32 s0, 0x3fffff
	v_and_b32_e32 v4, 0x400000, v3
	v_and_or_b32 v3, v3, s0, v2
	v_cmp_ne_u32_e32 vcc, 0, v4
	v_cmp_ne_u32_e64 s[0:1], 0, v3
	s_and_b64 s[0:1], vcc, s[0:1]
	v_cndmask_b32_e64 v3, 0, 1, s[0:1]
	v_add_u32_e32 v4, v2, v3
; %bb.1031:
	s_or_b64 exec, exec, s[44:45]
	s_mov_b64 s[44:45], -1
	s_mov_b64 s[0:1], 0
	global_store_byte v[0:1], v4, off
.LBB6_1032:
	s_mov_b64 s[46:47], 0
.LBB6_1033:
	s_and_b64 vcc, exec, s[46:47]
	s_cbranch_vccz .LBB6_1036
; %bb.1034:
	s_cmp_eq_u32 s52, 29
	s_mov_b64 s[0:1], -1
	s_cbranch_scc0 .LBB6_1036
; %bb.1035:
	s_mov_b32 s0, 0
	v_cndmask_b32_e64 v2, 0, 1, s[42:43]
	v_mov_b32_e32 v3, s0
	global_store_dwordx2 v[0:1], v[2:3], off
	s_mov_b64 s[44:45], -1
	s_mov_b64 s[0:1], 0
.LBB6_1036:
	s_mov_b64 s[46:47], 0
.LBB6_1037:
	s_and_b64 vcc, exec, s[46:47]
	s_cbranch_vccz .LBB6_1053
; %bb.1038:
	s_cmp_lt_i32 s52, 27
	s_mov_b64 s[44:45], -1
	s_cbranch_scc1 .LBB6_1044
; %bb.1039:
	s_cmp_gt_i32 s52, 27
	s_cbranch_scc0 .LBB6_1041
; %bb.1040:
	v_cndmask_b32_e64 v2, 0, 1, s[42:43]
	s_mov_b64 s[44:45], 0
	global_store_dword v[0:1], v2, off
.LBB6_1041:
	s_andn2_b64 vcc, exec, s[44:45]
	s_cbranch_vccnz .LBB6_1043
; %bb.1042:
	v_cndmask_b32_e64 v2, 0, 1, s[42:43]
	global_store_short v[0:1], v2, off
.LBB6_1043:
	s_mov_b64 s[44:45], 0
.LBB6_1044:
	s_andn2_b64 vcc, exec, s[44:45]
	s_cbranch_vccnz .LBB6_1052
; %bb.1045:
	v_cndmask_b32_e64 v3, 0, 1.0, s[42:43]
	s_mov_b32 s44, 0x43800000
	v_cmp_gt_u32_e32 vcc, s44, v3
	v_mov_b32_e32 v4, 0x80
	s_and_saveexec_b64 s[44:45], vcc
	s_cbranch_execz .LBB6_1051
; %bb.1046:
	s_mov_b32 s46, 0x3bffffff
	v_cmp_lt_u32_e32 vcc, s46, v3
	s_mov_b64 s[46:47], 0
                                        ; implicit-def: $vgpr2
	s_and_saveexec_b64 s[48:49], vcc
	s_xor_b64 s[48:49], exec, s[48:49]
	s_cbranch_execz .LBB6_1153
; %bb.1047:
	v_bfe_u32 v2, v3, 20, 1
	s_mov_b32 s53, 0x487ffff
	v_add3_u32 v2, v3, v2, s53
	s_mov_b64 s[46:47], exec
	v_lshrrev_b32_e32 v2, 20, v2
                                        ; implicit-def: $vgpr3
	s_andn2_saveexec_b64 s[48:49], s[48:49]
	s_cbranch_execnz .LBB6_1154
.LBB6_1048:
	s_or_b64 exec, exec, s[48:49]
	v_mov_b32_e32 v4, 0
	s_and_saveexec_b64 s[48:49], s[46:47]
.LBB6_1049:
	v_mov_b32_e32 v4, v2
.LBB6_1050:
	s_or_b64 exec, exec, s[48:49]
.LBB6_1051:
	s_or_b64 exec, exec, s[44:45]
	global_store_byte v[0:1], v4, off
.LBB6_1052:
	s_mov_b64 s[44:45], -1
.LBB6_1053:
	s_mov_b64 s[46:47], 0
.LBB6_1054:
	s_and_b64 vcc, exec, s[46:47]
	s_cbranch_vccz .LBB6_1095
; %bb.1055:
	s_cmp_gt_i32 s52, 22
	s_mov_b64 s[46:47], -1
	s_cbranch_scc0 .LBB6_1087
; %bb.1056:
	s_cmp_lt_i32 s52, 24
	s_mov_b64 s[44:45], -1
	s_cbranch_scc1 .LBB6_1076
; %bb.1057:
	s_cmp_gt_i32 s52, 24
	s_cbranch_scc0 .LBB6_1065
; %bb.1058:
	v_cndmask_b32_e64 v3, 0, 1.0, s[42:43]
	s_mov_b32 s44, 0x47800000
	v_cmp_gt_u32_e32 vcc, s44, v3
	v_mov_b32_e32 v4, 0x80
	s_and_saveexec_b64 s[44:45], vcc
	s_cbranch_execz .LBB6_1064
; %bb.1059:
	s_mov_b32 s46, 0x37ffffff
	v_cmp_lt_u32_e32 vcc, s46, v3
	s_mov_b64 s[46:47], 0
                                        ; implicit-def: $vgpr2
	s_and_saveexec_b64 s[48:49], vcc
	s_xor_b64 s[48:49], exec, s[48:49]
	s_cbranch_execz .LBB6_2147
; %bb.1060:
	v_bfe_u32 v2, v3, 21, 1
	s_mov_b32 s53, 0x88fffff
	v_add3_u32 v2, v3, v2, s53
	s_mov_b64 s[46:47], exec
	v_lshrrev_b32_e32 v2, 21, v2
                                        ; implicit-def: $vgpr3
	s_andn2_saveexec_b64 s[48:49], s[48:49]
	s_cbranch_execnz .LBB6_2148
.LBB6_1061:
	s_or_b64 exec, exec, s[48:49]
	v_mov_b32_e32 v4, 0
	s_and_saveexec_b64 s[48:49], s[46:47]
.LBB6_1062:
	v_mov_b32_e32 v4, v2
.LBB6_1063:
	s_or_b64 exec, exec, s[48:49]
.LBB6_1064:
	s_or_b64 exec, exec, s[44:45]
	s_mov_b64 s[44:45], 0
	global_store_byte v[0:1], v4, off
.LBB6_1065:
	s_and_b64 vcc, exec, s[44:45]
	s_cbranch_vccz .LBB6_1075
; %bb.1066:
	v_cndmask_b32_e64 v2, 0, 1.0, s[42:43]
	s_mov_b32 s44, 0x43f00000
	v_cmp_gt_u32_e32 vcc, s44, v2
                                        ; implicit-def: $vgpr3
	s_and_saveexec_b64 s[44:45], vcc
	s_xor_b64 s[44:45], exec, s[44:45]
	s_cbranch_execz .LBB6_1072
; %bb.1067:
	s_mov_b32 s46, 0x3c7fffff
	v_cmp_lt_u32_e32 vcc, s46, v2
                                        ; implicit-def: $vgpr3
	s_and_saveexec_b64 s[46:47], vcc
	s_xor_b64 s[46:47], exec, s[46:47]
; %bb.1068:
	v_bfe_u32 v3, v2, 20, 1
	s_mov_b32 s48, 0x407ffff
	v_add3_u32 v2, v2, v3, s48
	v_lshrrev_b32_e32 v3, 20, v2
	v_and_b32_e32 v2, 0xff00000, v2
	s_mov_b32 s48, 0x7f00000
	v_mov_b32_e32 v4, 0x7e
	v_cmp_ne_u32_e32 vcc, s48, v2
	v_cndmask_b32_e32 v3, v4, v3, vcc
                                        ; implicit-def: $vgpr2
; %bb.1069:
	s_andn2_saveexec_b64 s[46:47], s[46:47]
; %bb.1070:
	v_add_f32_e32 v3, 0x46800000, v2
; %bb.1071:
	s_or_b64 exec, exec, s[46:47]
                                        ; implicit-def: $vgpr2
.LBB6_1072:
	s_andn2_saveexec_b64 s[44:45], s[44:45]
; %bb.1073:
	s_mov_b32 s46, 0x7f800000
	v_mov_b32_e32 v3, 0x7e
	v_mov_b32_e32 v4, 0x7f
	v_cmp_lt_u32_e32 vcc, s46, v2
	v_cndmask_b32_e32 v3, v3, v4, vcc
; %bb.1074:
	s_or_b64 exec, exec, s[44:45]
	global_store_byte v[0:1], v3, off
.LBB6_1075:
	s_mov_b64 s[44:45], 0
.LBB6_1076:
	s_andn2_b64 vcc, exec, s[44:45]
	s_cbranch_vccnz .LBB6_1086
; %bb.1077:
	v_cndmask_b32_e64 v2, 0, 1.0, s[42:43]
	s_mov_b32 s44, 0x47800000
	v_cmp_gt_u32_e32 vcc, s44, v2
                                        ; implicit-def: $vgpr3
	s_and_saveexec_b64 s[44:45], vcc
	s_xor_b64 s[44:45], exec, s[44:45]
	s_cbranch_execz .LBB6_1083
; %bb.1078:
	s_mov_b32 s46, 0x387fffff
	v_cmp_lt_u32_e32 vcc, s46, v2
                                        ; implicit-def: $vgpr3
	s_and_saveexec_b64 s[46:47], vcc
	s_xor_b64 s[46:47], exec, s[46:47]
; %bb.1079:
	v_bfe_u32 v3, v2, 21, 1
	s_mov_b32 s48, 0x80fffff
	v_add3_u32 v2, v2, v3, s48
	v_lshrrev_b32_e32 v3, 21, v2
                                        ; implicit-def: $vgpr2
; %bb.1080:
	s_andn2_saveexec_b64 s[46:47], s[46:47]
; %bb.1081:
	v_add_f32_e32 v3, 0x43000000, v2
; %bb.1082:
	s_or_b64 exec, exec, s[46:47]
                                        ; implicit-def: $vgpr2
.LBB6_1083:
	s_andn2_saveexec_b64 s[44:45], s[44:45]
; %bb.1084:
	s_mov_b32 s46, 0x7f800000
	v_mov_b32_e32 v3, 0x7c
	v_mov_b32_e32 v4, 0x7f
	v_cmp_lt_u32_e32 vcc, s46, v2
	v_cndmask_b32_e32 v3, v3, v4, vcc
; %bb.1085:
	s_or_b64 exec, exec, s[44:45]
	global_store_byte v[0:1], v3, off
.LBB6_1086:
	s_mov_b64 s[46:47], 0
	s_mov_b64 s[44:45], -1
.LBB6_1087:
	s_andn2_b64 vcc, exec, s[46:47]
	s_cbranch_vccnz .LBB6_1095
; %bb.1088:
	s_cmp_gt_i32 s52, 14
	s_mov_b64 s[46:47], -1
	s_cbranch_scc0 .LBB6_1092
; %bb.1089:
	s_cmp_eq_u32 s52, 15
	s_mov_b64 s[0:1], -1
	s_cbranch_scc0 .LBB6_1091
; %bb.1090:
	v_cndmask_b32_e64 v2, 0, 1.0, s[42:43]
	v_bfe_u32 v3, v2, 16, 1
	s_movk_i32 s0, 0x7fff
	v_add3_u32 v2, v2, v3, s0
	global_store_short_d16_hi v[0:1], v2, off
	s_mov_b64 s[44:45], -1
	s_mov_b64 s[0:1], 0
.LBB6_1091:
	s_mov_b64 s[46:47], 0
.LBB6_1092:
	s_and_b64 vcc, exec, s[46:47]
	s_cbranch_vccz .LBB6_1095
; %bb.1093:
	s_cmp_eq_u32 s52, 11
	s_mov_b64 s[0:1], -1
	s_cbranch_scc0 .LBB6_1095
; %bb.1094:
	v_cndmask_b32_e64 v2, 0, 1, s[42:43]
	s_mov_b64 s[44:45], -1
	s_mov_b64 s[0:1], 0
	global_store_byte v[0:1], v2, off
.LBB6_1095:
	s_mov_b64 s[46:47], 0
.LBB6_1096:
	s_and_b64 vcc, exec, s[46:47]
	s_cbranch_vccz .LBB6_1135
; %bb.1097:
	s_and_b32 s46, 0xffff, s51
	s_cmp_lt_i32 s46, 5
	s_mov_b64 s[44:45], -1
	s_cbranch_scc1 .LBB6_1118
; %bb.1098:
	s_cmp_lt_i32 s46, 8
	s_cbranch_scc1 .LBB6_1108
; %bb.1099:
	s_cmp_lt_i32 s46, 9
	s_cbranch_scc1 .LBB6_1105
; %bb.1100:
	s_cmp_gt_i32 s46, 9
	s_cbranch_scc0 .LBB6_1102
; %bb.1101:
	v_cndmask_b32_e64 v2, 0, 1, s[42:43]
	v_cvt_f64_u32_e32 v[2:3], v2
	v_mov_b32_e32 v4, 0
	v_mov_b32_e32 v5, v4
	s_mov_b64 s[44:45], 0
	global_store_dwordx4 v[0:1], v[2:5], off
.LBB6_1102:
	s_andn2_b64 vcc, exec, s[44:45]
	s_cbranch_vccnz .LBB6_1104
; %bb.1103:
	v_cndmask_b32_e64 v2, 0, 1.0, s[42:43]
	v_mov_b32_e32 v3, 0
	global_store_dwordx2 v[0:1], v[2:3], off
.LBB6_1104:
	s_mov_b64 s[44:45], 0
.LBB6_1105:
	s_andn2_b64 vcc, exec, s[44:45]
	s_cbranch_vccnz .LBB6_1107
; %bb.1106:
	v_cndmask_b32_e64 v2, 0, 1.0, s[42:43]
	v_cvt_f16_f32_e32 v2, v2
	global_store_dword v[0:1], v2, off
.LBB6_1107:
	s_mov_b64 s[44:45], 0
.LBB6_1108:
	s_andn2_b64 vcc, exec, s[44:45]
	s_cbranch_vccnz .LBB6_1117
; %bb.1109:
	s_cmp_lt_i32 s46, 6
	s_mov_b64 s[44:45], -1
	s_cbranch_scc1 .LBB6_1115
; %bb.1110:
	s_cmp_gt_i32 s46, 6
	s_cbranch_scc0 .LBB6_1112
; %bb.1111:
	v_cndmask_b32_e64 v2, 0, 1, s[42:43]
	v_cvt_f64_u32_e32 v[2:3], v2
	s_mov_b64 s[44:45], 0
	global_store_dwordx2 v[0:1], v[2:3], off
.LBB6_1112:
	s_andn2_b64 vcc, exec, s[44:45]
	s_cbranch_vccnz .LBB6_1114
; %bb.1113:
	v_cndmask_b32_e64 v2, 0, 1.0, s[42:43]
	global_store_dword v[0:1], v2, off
.LBB6_1114:
	s_mov_b64 s[44:45], 0
.LBB6_1115:
	s_andn2_b64 vcc, exec, s[44:45]
	s_cbranch_vccnz .LBB6_1117
; %bb.1116:
	v_cndmask_b32_e64 v2, 0, 1.0, s[42:43]
	v_cvt_f16_f32_e32 v2, v2
	global_store_short v[0:1], v2, off
.LBB6_1117:
	s_mov_b64 s[44:45], 0
.LBB6_1118:
	s_andn2_b64 vcc, exec, s[44:45]
	s_cbranch_vccnz .LBB6_1134
; %bb.1119:
	s_cmp_lt_i32 s46, 2
	s_mov_b64 s[44:45], -1
	s_cbranch_scc1 .LBB6_1129
; %bb.1120:
	s_cmp_lt_i32 s46, 3
	s_cbranch_scc1 .LBB6_1126
; %bb.1121:
	s_cmp_gt_i32 s46, 3
	s_cbranch_scc0 .LBB6_1123
; %bb.1122:
	s_mov_b32 s44, 0
	v_cndmask_b32_e64 v2, 0, 1, s[42:43]
	v_mov_b32_e32 v3, s44
	s_mov_b64 s[44:45], 0
	global_store_dwordx2 v[0:1], v[2:3], off
.LBB6_1123:
	s_andn2_b64 vcc, exec, s[44:45]
	s_cbranch_vccnz .LBB6_1125
; %bb.1124:
	v_cndmask_b32_e64 v2, 0, 1, s[42:43]
	global_store_dword v[0:1], v2, off
.LBB6_1125:
	s_mov_b64 s[44:45], 0
.LBB6_1126:
	s_andn2_b64 vcc, exec, s[44:45]
	s_cbranch_vccnz .LBB6_1128
; %bb.1127:
	v_cndmask_b32_e64 v2, 0, 1, s[42:43]
	global_store_short v[0:1], v2, off
.LBB6_1128:
	s_mov_b64 s[44:45], 0
.LBB6_1129:
	s_andn2_b64 vcc, exec, s[44:45]
	s_cbranch_vccnz .LBB6_1134
; %bb.1130:
	s_mov_b64 s[44:45], -1
	s_cmp_gt_i32 s46, 0
	v_cndmask_b32_e64 v2, 0, 1, s[42:43]
	s_cbranch_scc0 .LBB6_1132
; %bb.1131:
	s_mov_b64 s[44:45], 0
	global_store_byte v[0:1], v2, off
.LBB6_1132:
	s_andn2_b64 vcc, exec, s[44:45]
	s_cbranch_vccnz .LBB6_1134
; %bb.1133:
	global_store_byte v[0:1], v2, off
.LBB6_1134:
	s_mov_b64 s[44:45], -1
.LBB6_1135:
	s_andn2_b64 vcc, exec, s[44:45]
	s_cbranch_vccnz .LBB6_1148
; %bb.1136:
	v_add_u32_e32 v11, 0x80, v11
	s_mov_b64 s[44:45], -1
.LBB6_1137:
	s_andn2_b64 s[42:43], s[30:31], exec
	s_and_b64 s[0:1], s[0:1], exec
	s_or_b64 s[42:43], s[42:43], s[0:1]
	s_andn2_b64 s[0:1], s[28:29], exec
	s_and_b64 s[40:41], s[40:41], exec
	s_or_b64 s[40:41], s[0:1], s[40:41]
	;; [unrolled: 3-line block ×3, first 2 shown]
	s_orn2_b64 s[48:49], s[44:45], exec
.LBB6_1138:
	s_or_b64 exec, exec, s[36:37]
	s_mov_b64 s[44:45], 0
	s_mov_b64 s[38:39], 0
	;; [unrolled: 1-line block ×3, first 2 shown]
                                        ; implicit-def: $sgpr58
                                        ; implicit-def: $vgpr2_vgpr3
                                        ; implicit-def: $vgpr0
	s_and_saveexec_b64 s[36:37], s[48:49]
	s_cbranch_execz .LBB6_1218
; %bb.1139:
	v_cmp_gt_i32_e32 vcc, s50, v11
	s_mov_b64 s[48:49], 0
	s_mov_b64 s[50:51], s[0:1]
	;; [unrolled: 1-line block ×4, first 2 shown]
                                        ; implicit-def: $sgpr58
                                        ; implicit-def: $vgpr2_vgpr3
                                        ; implicit-def: $vgpr0
	s_and_saveexec_b64 s[38:39], vcc
	s_cbranch_execz .LBB6_1217
; %bb.1140:
	s_waitcnt vmcnt(0)
	v_mul_lo_u32 v0, v11, s13
	v_mov_b32_e32 v1, s11
	s_and_b32 s58, s57, 0xff
	s_cmp_lt_i32 s58, 11
	v_ashrrev_i32_e32 v3, 31, v0
	v_add_co_u32_e32 v2, vcc, s10, v0
	v_addc_co_u32_e32 v3, vcc, v1, v3, vcc
	s_cbranch_scc1 .LBB6_1147
; %bb.1141:
	s_and_b32 s52, 0xffff, s58
	s_cmp_gt_i32 s52, 25
	s_cbranch_scc0 .LBB6_1149
; %bb.1142:
	s_cmp_gt_i32 s52, 28
	s_cbranch_scc0 .LBB6_1150
; %bb.1143:
	;; [unrolled: 3-line block ×4, first 2 shown]
	s_cmp_eq_u32 s52, 46
	s_mov_b64 s[50:51], 0
	s_cbranch_scc0 .LBB6_1155
; %bb.1146:
	global_load_dword v0, v[2:3], off
	s_mov_b32 s44, 0x2f800000
	s_mov_b32 s45, 0xcf800000
	s_mov_b64 s[48:49], -1
	s_waitcnt vmcnt(0)
	v_lshlrev_b32_e32 v0, 16, v0
	v_trunc_f32_e32 v0, v0
	v_mul_f32_e64 v1, |v0|, s44
	v_floor_f32_e32 v1, v1
	v_fma_f32 v1, v1, s45, |v0|
	v_cvt_u32_f32_e32 v1, v1
	v_ashrrev_i32_e32 v0, 31, v0
	s_mov_b64 s[44:45], 0
	v_xor_b32_e32 v1, v1, v0
	v_sub_u32_e32 v0, v1, v0
	s_branch .LBB6_1157
.LBB6_1147:
	s_mov_b64 s[50:51], -1
                                        ; implicit-def: $vgpr0
	s_mov_b64 s[44:45], s[0:1]
	s_branch .LBB6_1216
.LBB6_1148:
	s_mov_b64 s[44:45], 0
	s_branch .LBB6_894
.LBB6_1149:
	s_mov_b64 s[50:51], -1
	s_mov_b64 s[44:45], s[0:1]
                                        ; implicit-def: $vgpr0
	s_branch .LBB6_1184
.LBB6_1150:
	s_mov_b64 s[50:51], -1
	s_mov_b64 s[44:45], s[0:1]
                                        ; implicit-def: $vgpr0
	s_branch .LBB6_1167
.LBB6_1151:
	s_mov_b64 s[50:51], -1
	s_mov_b64 s[44:45], s[0:1]
                                        ; implicit-def: $vgpr0
	s_branch .LBB6_1162
.LBB6_1152:
	s_mov_b64 s[50:51], -1
	s_mov_b64 s[44:45], s[0:1]
	s_branch .LBB6_1156
.LBB6_1153:
	s_andn2_saveexec_b64 s[48:49], s[48:49]
	s_cbranch_execz .LBB6_1048
.LBB6_1154:
	v_add_f32_e32 v2, 0x46000000, v3
	v_and_b32_e32 v2, 0xff, v2
	v_cmp_ne_u32_e32 vcc, 0, v2
	s_andn2_b64 s[46:47], s[46:47], exec
	s_and_b64 s[54:55], vcc, exec
	s_or_b64 s[46:47], s[46:47], s[54:55]
	s_or_b64 exec, exec, s[48:49]
	v_mov_b32_e32 v4, 0
	s_and_saveexec_b64 s[48:49], s[46:47]
	s_cbranch_execnz .LBB6_1049
	s_branch .LBB6_1050
.LBB6_1155:
	s_mov_b64 s[44:45], -1
.LBB6_1156:
                                        ; implicit-def: $vgpr0
.LBB6_1157:
	s_and_b64 vcc, exec, s[50:51]
	s_cbranch_vccz .LBB6_1161
; %bb.1158:
	s_cmp_eq_u32 s52, 44
	s_cbranch_scc0 .LBB6_1160
; %bb.1159:
	global_load_ubyte v0, v[2:3], off
	s_mov_b32 s44, 0x2f800000
	s_mov_b32 s45, 0xcf800000
	s_mov_b64 s[48:49], -1
	s_waitcnt vmcnt(0)
	v_lshlrev_b32_e32 v1, 23, v0
	v_trunc_f32_e32 v1, v1
	v_mul_f32_e64 v4, |v1|, s44
	v_floor_f32_e32 v4, v4
	v_fma_f32 v4, v4, s45, |v1|
	v_cvt_u32_f32_e32 v4, v4
	v_ashrrev_i32_e32 v1, 31, v1
	v_cmp_ne_u32_e32 vcc, 0, v0
	s_mov_b64 s[44:45], 0
	v_xor_b32_e32 v4, v4, v1
	v_sub_u32_e32 v1, v4, v1
	v_cndmask_b32_e32 v0, 0, v1, vcc
	s_branch .LBB6_1161
.LBB6_1160:
	s_mov_b64 s[44:45], -1
                                        ; implicit-def: $vgpr0
.LBB6_1161:
	s_mov_b64 s[50:51], 0
.LBB6_1162:
	s_and_b64 vcc, exec, s[50:51]
	s_cbranch_vccz .LBB6_1166
; %bb.1163:
	s_cmp_eq_u32 s52, 29
	s_cbranch_scc0 .LBB6_1165
; %bb.1164:
	global_load_dwordx2 v[0:1], v[2:3], off
	s_mov_b64 s[44:45], 0
	s_mov_b64 s[48:49], -1
	s_branch .LBB6_1166
.LBB6_1165:
	s_mov_b64 s[44:45], -1
                                        ; implicit-def: $vgpr0
.LBB6_1166:
	s_mov_b64 s[50:51], 0
.LBB6_1167:
	s_and_b64 vcc, exec, s[50:51]
	s_cbranch_vccz .LBB6_1183
; %bb.1168:
	s_cmp_lt_i32 s52, 27
	s_cbranch_scc1 .LBB6_1171
; %bb.1169:
	s_cmp_gt_i32 s52, 27
	s_cbranch_scc0 .LBB6_1172
; %bb.1170:
	global_load_dword v0, v[2:3], off
	s_mov_b64 s[48:49], 0
	s_branch .LBB6_1173
.LBB6_1171:
	s_mov_b64 s[48:49], -1
                                        ; implicit-def: $vgpr0
	s_branch .LBB6_1176
.LBB6_1172:
	s_mov_b64 s[48:49], -1
                                        ; implicit-def: $vgpr0
.LBB6_1173:
	s_andn2_b64 vcc, exec, s[48:49]
	s_cbranch_vccnz .LBB6_1175
; %bb.1174:
	global_load_ushort v0, v[2:3], off
.LBB6_1175:
	s_mov_b64 s[48:49], 0
.LBB6_1176:
	s_andn2_b64 vcc, exec, s[48:49]
	s_cbranch_vccnz .LBB6_1182
; %bb.1177:
	global_load_ubyte v1, v[2:3], off
	s_movk_i32 s48, 0x7f
	s_mov_b64 s[50:51], 0
	s_waitcnt vmcnt(0)
	v_cmp_lt_i16_e32 vcc, s48, v1
	s_and_saveexec_b64 s[48:49], vcc
	s_xor_b64 s[48:49], exec, s[48:49]
	s_cbranch_execz .LBB6_1194
; %bb.1178:
	s_movk_i32 s50, 0x80
	v_cmp_ne_u16_e32 vcc, s50, v1
	s_and_b64 s[50:51], vcc, exec
	s_andn2_saveexec_b64 s[48:49], s[48:49]
	s_cbranch_execnz .LBB6_1195
.LBB6_1179:
	s_or_b64 exec, exec, s[48:49]
	v_mov_b32_e32 v0, 0
	s_and_saveexec_b64 s[48:49], s[50:51]
	s_cbranch_execz .LBB6_1181
.LBB6_1180:
	v_lshlrev_b32_e32 v0, 24, v1
	v_and_b32_e32 v1, 0xffff, v1
	v_and_b32_e32 v4, 7, v1
	v_ffbh_u32_e32 v6, v4
	v_min_u32_e32 v6, 32, v6
	v_subrev_u32_e32 v7, 28, v6
	v_bfe_u32 v5, v1, 3, 4
	v_lshlrev_b32_e32 v1, v7, v1
	v_sub_u32_e32 v6, 29, v6
	v_and_b32_e32 v1, 7, v1
	v_cmp_eq_u32_e32 vcc, 0, v5
	v_cndmask_b32_e32 v5, v5, v6, vcc
	v_cndmask_b32_e32 v1, v4, v1, vcc
	v_mov_b32_e32 v4, 0x3b800000
	v_lshlrev_b32_e32 v1, 20, v1
	v_and_b32_e32 v0, 0x80000000, v0
	v_lshl_add_u32 v4, v5, 23, v4
	v_or3_b32 v0, v0, v4, v1
	v_trunc_f32_e32 v0, v0
	s_mov_b32 s50, 0x2f800000
	v_mul_f32_e64 v1, |v0|, s50
	v_floor_f32_e32 v1, v1
	s_mov_b32 s50, 0xcf800000
	v_fma_f32 v1, v1, s50, |v0|
	v_cvt_u32_f32_e32 v1, v1
	v_ashrrev_i32_e32 v0, 31, v0
	v_xor_b32_e32 v1, v1, v0
	v_sub_u32_e32 v0, v1, v0
.LBB6_1181:
	s_or_b64 exec, exec, s[48:49]
.LBB6_1182:
	s_mov_b64 s[48:49], -1
.LBB6_1183:
	s_mov_b64 s[50:51], 0
.LBB6_1184:
	s_and_b64 vcc, exec, s[50:51]
	s_cbranch_vccz .LBB6_1215
; %bb.1185:
	s_cmp_gt_i32 s52, 22
	s_cbranch_scc0 .LBB6_1193
; %bb.1186:
	s_cmp_lt_i32 s52, 24
	s_cbranch_scc1 .LBB6_1196
; %bb.1187:
	s_cmp_gt_i32 s52, 24
	s_cbranch_scc0 .LBB6_1197
; %bb.1188:
	global_load_ubyte v1, v[2:3], off
	s_movk_i32 s46, 0x7f
	s_mov_b64 s[48:49], 0
	s_waitcnt vmcnt(0)
	v_cmp_lt_i16_e32 vcc, s46, v1
	s_and_saveexec_b64 s[46:47], vcc
	s_xor_b64 s[46:47], exec, s[46:47]
	s_cbranch_execz .LBB6_1209
; %bb.1189:
	s_movk_i32 s48, 0x80
	v_cmp_ne_u16_e32 vcc, s48, v1
	s_and_b64 s[48:49], vcc, exec
	s_andn2_saveexec_b64 s[46:47], s[46:47]
	s_cbranch_execnz .LBB6_1210
.LBB6_1190:
	s_or_b64 exec, exec, s[46:47]
	v_mov_b32_e32 v0, 0
	s_and_saveexec_b64 s[46:47], s[48:49]
	s_cbranch_execz .LBB6_1192
.LBB6_1191:
	v_lshlrev_b32_e32 v0, 24, v1
	v_and_b32_e32 v1, 0xffff, v1
	v_and_b32_e32 v4, 3, v1
	v_ffbh_u32_e32 v6, v4
	v_min_u32_e32 v6, 32, v6
	v_subrev_u32_e32 v7, 29, v6
	v_bfe_u32 v5, v1, 2, 5
	v_lshlrev_b32_e32 v1, v7, v1
	v_sub_u32_e32 v6, 30, v6
	v_and_b32_e32 v1, 3, v1
	v_cmp_eq_u32_e32 vcc, 0, v5
	v_cndmask_b32_e32 v5, v5, v6, vcc
	v_cndmask_b32_e32 v1, v4, v1, vcc
	v_mov_b32_e32 v4, 0x37800000
	v_lshlrev_b32_e32 v1, 21, v1
	v_and_b32_e32 v0, 0x80000000, v0
	v_lshl_add_u32 v4, v5, 23, v4
	v_or3_b32 v0, v0, v4, v1
	v_trunc_f32_e32 v0, v0
	s_mov_b32 s48, 0x2f800000
	v_mul_f32_e64 v1, |v0|, s48
	v_floor_f32_e32 v1, v1
	s_mov_b32 s48, 0xcf800000
	v_fma_f32 v1, v1, s48, |v0|
	v_cvt_u32_f32_e32 v1, v1
	v_ashrrev_i32_e32 v0, 31, v0
	v_xor_b32_e32 v1, v1, v0
	v_sub_u32_e32 v0, v1, v0
.LBB6_1192:
	s_or_b64 exec, exec, s[46:47]
	s_mov_b64 s[46:47], 0
	s_branch .LBB6_1198
.LBB6_1193:
	s_mov_b64 s[46:47], -1
                                        ; implicit-def: $vgpr0
	s_branch .LBB6_1204
.LBB6_1194:
	s_andn2_saveexec_b64 s[48:49], s[48:49]
	s_cbranch_execz .LBB6_1179
.LBB6_1195:
	v_cmp_ne_u16_e32 vcc, 0, v1
	s_andn2_b64 s[50:51], s[50:51], exec
	s_and_b64 s[54:55], vcc, exec
	s_or_b64 s[50:51], s[50:51], s[54:55]
	s_or_b64 exec, exec, s[48:49]
	v_mov_b32_e32 v0, 0
	s_and_saveexec_b64 s[48:49], s[50:51]
	s_cbranch_execnz .LBB6_1180
	s_branch .LBB6_1181
.LBB6_1196:
	s_mov_b64 s[46:47], -1
                                        ; implicit-def: $vgpr0
	s_branch .LBB6_1201
.LBB6_1197:
	s_mov_b64 s[46:47], -1
                                        ; implicit-def: $vgpr0
.LBB6_1198:
	s_and_b64 vcc, exec, s[46:47]
	s_cbranch_vccz .LBB6_1200
; %bb.1199:
	global_load_ubyte v0, v[2:3], off
	s_mov_b32 s46, 0x7f800000
	s_brev_b32 s47, 1
	s_mov_b32 s48, 0x2f800000
	s_waitcnt vmcnt(0)
	v_lshlrev_b32_e32 v0, 24, v0
	v_and_b32_e32 v1, 0x7f000000, v0
	v_ffbh_u32_e32 v4, v1
	v_min_u32_e32 v4, 32, v4
	v_sub_u32_e64 v4, v4, 4 clamp
	v_lshlrev_b32_e32 v6, v4, v1
	v_lshlrev_b32_e32 v4, 23, v4
	v_lshrrev_b32_e32 v6, 4, v6
	v_add_u32_e32 v5, 0x1000000, v1
	v_sub_u32_e32 v4, v6, v4
	v_ashrrev_i32_e32 v5, 8, v5
	v_add_u32_e32 v4, 0x3c000000, v4
	v_and_or_b32 v4, v5, s46, v4
	v_cmp_ne_u32_e32 vcc, 0, v1
	v_cndmask_b32_e32 v1, 0, v4, vcc
	v_and_or_b32 v0, v0, s47, v1
	v_trunc_f32_e32 v0, v0
	v_mul_f32_e64 v1, |v0|, s48
	v_floor_f32_e32 v1, v1
	s_mov_b32 s46, 0xcf800000
	v_fma_f32 v1, v1, s46, |v0|
	v_cvt_u32_f32_e32 v1, v1
	v_ashrrev_i32_e32 v0, 31, v0
	v_xor_b32_e32 v1, v1, v0
	v_sub_u32_e32 v0, v1, v0
.LBB6_1200:
	s_mov_b64 s[46:47], 0
.LBB6_1201:
	s_andn2_b64 vcc, exec, s[46:47]
	s_cbranch_vccnz .LBB6_1203
; %bb.1202:
	global_load_ubyte v0, v[2:3], off
	s_movk_i32 s46, 0x7f00
	s_brev_b32 s47, 16
	s_brev_b32 s48, 1
	s_mov_b32 s49, 0x2f800000
	s_waitcnt vmcnt(0)
	v_lshlrev_b16_e32 v1, 8, v0
	v_lshlrev_b32_e32 v0, 25, v0
	v_lshrrev_b32_e32 v4, 4, v0
	v_and_or_b32 v5, v1, s46, 0.5
	v_or_b32_e32 v4, 0x70000000, v4
	v_add_f32_e32 v5, -0.5, v5
	v_mul_f32_e32 v4, 0x7800000, v4
	v_cmp_gt_u32_e32 vcc, s47, v0
	v_bfe_i32 v1, v1, 0, 16
	v_cndmask_b32_e32 v0, v4, v5, vcc
	v_and_or_b32 v0, v1, s48, v0
	v_trunc_f32_e32 v0, v0
	v_mul_f32_e64 v1, |v0|, s49
	v_floor_f32_e32 v1, v1
	s_mov_b32 s46, 0xcf800000
	v_fma_f32 v1, v1, s46, |v0|
	v_cvt_u32_f32_e32 v1, v1
	v_ashrrev_i32_e32 v0, 31, v0
	v_xor_b32_e32 v1, v1, v0
	v_sub_u32_e32 v0, v1, v0
.LBB6_1203:
	s_mov_b64 s[46:47], 0
	s_mov_b64 s[48:49], -1
.LBB6_1204:
	s_andn2_b64 vcc, exec, s[46:47]
	s_mov_b64 s[46:47], 0
	s_cbranch_vccnz .LBB6_1215
; %bb.1205:
	s_cmp_gt_i32 s52, 14
	s_cbranch_scc0 .LBB6_1208
; %bb.1206:
	s_cmp_eq_u32 s52, 15
	s_cbranch_scc0 .LBB6_1211
; %bb.1207:
	global_load_ushort v0, v[2:3], off
	s_mov_b32 s44, 0x2f800000
	s_mov_b32 s45, 0xcf800000
	s_mov_b64 s[48:49], -1
	s_waitcnt vmcnt(0)
	v_lshlrev_b32_e32 v0, 16, v0
	v_trunc_f32_e32 v0, v0
	v_mul_f32_e64 v1, |v0|, s44
	v_floor_f32_e32 v1, v1
	v_fma_f32 v1, v1, s45, |v0|
	v_cvt_u32_f32_e32 v1, v1
	v_ashrrev_i32_e32 v0, 31, v0
	s_mov_b64 s[44:45], 0
	v_xor_b32_e32 v1, v1, v0
	v_sub_u32_e32 v0, v1, v0
	s_branch .LBB6_1212
.LBB6_1208:
	s_mov_b64 s[50:51], -1
                                        ; implicit-def: $vgpr0
	s_branch .LBB6_1213
.LBB6_1209:
	s_andn2_saveexec_b64 s[46:47], s[46:47]
	s_cbranch_execz .LBB6_1190
.LBB6_1210:
	v_cmp_ne_u16_e32 vcc, 0, v1
	s_andn2_b64 s[48:49], s[48:49], exec
	s_and_b64 s[50:51], vcc, exec
	s_or_b64 s[48:49], s[48:49], s[50:51]
	s_or_b64 exec, exec, s[46:47]
	v_mov_b32_e32 v0, 0
	s_and_saveexec_b64 s[46:47], s[48:49]
	s_cbranch_execnz .LBB6_1191
	s_branch .LBB6_1192
.LBB6_1211:
	s_mov_b64 s[44:45], -1
                                        ; implicit-def: $vgpr0
.LBB6_1212:
	s_mov_b64 s[50:51], 0
.LBB6_1213:
	s_and_b64 vcc, exec, s[50:51]
	s_cbranch_vccz .LBB6_1215
; %bb.1214:
	s_cmp_lg_u32 s52, 11
	s_cselect_b64 s[50:51], -1, 0
	s_andn2_b64 s[44:45], s[44:45], exec
	s_and_b64 s[50:51], s[50:51], exec
	s_mov_b64 s[46:47], -1
	s_or_b64 s[44:45], s[44:45], s[50:51]
.LBB6_1215:
	s_mov_b64 s[50:51], 0
.LBB6_1216:
	s_and_b64 s[54:55], s[48:49], exec
	s_and_b64 s[48:49], s[46:47], exec
	s_andn2_b64 s[46:47], s[0:1], exec
	s_and_b64 s[44:45], s[44:45], exec
	s_and_b64 s[52:53], s[50:51], exec
	s_or_b64 s[50:51], s[46:47], s[44:45]
.LBB6_1217:
	s_or_b64 exec, exec, s[38:39]
	s_and_b64 s[44:45], s[48:49], exec
	s_andn2_b64 s[0:1], s[0:1], exec
	s_and_b64 s[48:49], s[50:51], exec
	s_and_b64 s[46:47], s[54:55], exec
	;; [unrolled: 1-line block ×3, first 2 shown]
	s_or_b64 s[0:1], s[0:1], s[48:49]
.LBB6_1218:
	s_or_b64 exec, exec, s[36:37]
	s_andn2_b64 s[30:31], s[30:31], exec
	s_and_b64 s[36:37], s[42:43], exec
	s_or_b64 s[30:31], s[30:31], s[36:37]
	s_andn2_b64 s[28:29], s[28:29], exec
	s_and_b64 s[36:37], s[40:41], exec
	s_andn2_b64 s[26:27], s[26:27], exec
	s_and_b64 s[0:1], s[0:1], exec
	s_or_b64 s[28:29], s[28:29], s[36:37]
	s_and_b64 s[40:41], s[46:47], exec
	s_and_b64 s[38:39], s[38:39], exec
	;; [unrolled: 1-line block ×3, first 2 shown]
	s_or_b64 s[26:27], s[26:27], s[0:1]
.LBB6_1219:
	s_or_b64 exec, exec, s[34:35]
	s_andn2_b64 s[0:1], s[18:19], exec
	s_and_b64 s[18:19], s[30:31], exec
	s_or_b64 s[18:19], s[0:1], s[18:19]
	s_andn2_b64 s[0:1], s[20:21], exec
	s_and_b64 s[20:21], s[28:29], exec
	s_or_b64 s[20:21], s[0:1], s[20:21]
	s_andn2_b64 s[0:1], s[22:23], exec
	s_and_b64 s[22:23], s[26:27], exec
	s_and_b64 s[30:31], s[40:41], exec
	;; [unrolled: 1-line block ×4, first 2 shown]
	s_or_b64 s[22:23], s[0:1], s[22:23]
	s_or_b64 exec, exec, s[24:25]
	s_mov_b64 s[24:25], 0
	s_and_saveexec_b64 s[0:1], s[22:23]
	s_cbranch_execz .LBB6_385
.LBB6_1220:
	s_mov_b64 s[24:25], exec
	s_andn2_b64 s[28:29], s[28:29], exec
	s_trap 2
	s_or_b64 exec, exec, s[0:1]
	s_and_saveexec_b64 s[0:1], s[28:29]
	s_xor_b64 s[0:1], exec, s[0:1]
	s_cbranch_execnz .LBB6_386
.LBB6_1221:
	s_or_b64 exec, exec, s[0:1]
	s_and_saveexec_b64 s[0:1], s[34:35]
	s_cbranch_execz .LBB6_1267
.LBB6_1222:
	s_sext_i32_i16 s22, s58
	s_cmp_lt_i32 s22, 5
	s_cbranch_scc1 .LBB6_1227
; %bb.1223:
	s_cmp_lt_i32 s22, 8
	s_cbranch_scc1 .LBB6_1228
; %bb.1224:
	;; [unrolled: 3-line block ×3, first 2 shown]
	s_cmp_gt_i32 s22, 9
	s_cbranch_scc0 .LBB6_1230
; %bb.1226:
	s_waitcnt vmcnt(0)
	global_load_dwordx2 v[0:1], v[2:3], off
	s_movk_i32 s22, 0xffe0
	s_waitcnt vmcnt(0)
	v_trunc_f64_e32 v[0:1], v[0:1]
	v_ldexp_f64 v[4:5], v[0:1], s22
	s_mov_b32 s22, 0
	s_mov_b32 s23, 0xc1f00000
	v_floor_f64_e32 v[4:5], v[4:5]
	v_fma_f64 v[0:1], v[4:5], s[22:23], v[0:1]
	s_mov_b64 s[22:23], 0
	v_cvt_u32_f64_e32 v0, v[0:1]
	s_branch .LBB6_1231
.LBB6_1227:
                                        ; implicit-def: $vgpr0
	s_branch .LBB6_1248
.LBB6_1228:
                                        ; implicit-def: $vgpr0
	s_branch .LBB6_1237
.LBB6_1229:
	s_mov_b64 s[22:23], -1
                                        ; implicit-def: $vgpr0
	s_branch .LBB6_1234
.LBB6_1230:
	s_mov_b64 s[22:23], -1
                                        ; implicit-def: $vgpr0
.LBB6_1231:
	s_andn2_b64 vcc, exec, s[22:23]
	s_cbranch_vccnz .LBB6_1233
; %bb.1232:
	s_waitcnt vmcnt(0)
	global_load_dword v0, v[2:3], off
	s_mov_b32 s22, 0x2f800000
	s_waitcnt vmcnt(0)
	v_trunc_f32_e32 v0, v0
	v_mul_f32_e64 v1, |v0|, s22
	v_floor_f32_e32 v1, v1
	s_mov_b32 s22, 0xcf800000
	v_fma_f32 v1, v1, s22, |v0|
	v_cvt_u32_f32_e32 v1, v1
	v_ashrrev_i32_e32 v0, 31, v0
	v_xor_b32_e32 v1, v1, v0
	v_sub_u32_e32 v0, v1, v0
.LBB6_1233:
	s_mov_b64 s[22:23], 0
.LBB6_1234:
	s_andn2_b64 vcc, exec, s[22:23]
	s_cbranch_vccnz .LBB6_1236
; %bb.1235:
	s_waitcnt vmcnt(0)
	global_load_dword v0, v[2:3], off
	s_waitcnt vmcnt(0)
	v_cvt_f32_f16_e32 v0, v0
	v_cvt_i32_f32_e32 v0, v0
.LBB6_1236:
	s_cbranch_execnz .LBB6_1247
.LBB6_1237:
	s_sext_i32_i16 s22, s58
	s_cmp_lt_i32 s22, 6
	s_cbranch_scc1 .LBB6_1240
; %bb.1238:
	s_cmp_gt_i32 s22, 6
	s_cbranch_scc0 .LBB6_1241
; %bb.1239:
	s_waitcnt vmcnt(0)
	global_load_dwordx2 v[0:1], v[2:3], off
	s_movk_i32 s22, 0xffe0
	s_waitcnt vmcnt(0)
	v_trunc_f64_e32 v[0:1], v[0:1]
	v_ldexp_f64 v[4:5], v[0:1], s22
	s_mov_b32 s22, 0
	s_mov_b32 s23, 0xc1f00000
	v_floor_f64_e32 v[4:5], v[4:5]
	v_fma_f64 v[0:1], v[4:5], s[22:23], v[0:1]
	s_mov_b64 s[22:23], 0
	v_cvt_u32_f64_e32 v0, v[0:1]
	s_branch .LBB6_1242
.LBB6_1240:
	s_mov_b64 s[22:23], -1
                                        ; implicit-def: $vgpr0
	s_branch .LBB6_1245
.LBB6_1241:
	s_mov_b64 s[22:23], -1
                                        ; implicit-def: $vgpr0
.LBB6_1242:
	s_andn2_b64 vcc, exec, s[22:23]
	s_cbranch_vccnz .LBB6_1244
; %bb.1243:
	s_waitcnt vmcnt(0)
	global_load_dword v0, v[2:3], off
	s_mov_b32 s22, 0x2f800000
	s_waitcnt vmcnt(0)
	v_trunc_f32_e32 v0, v0
	v_mul_f32_e64 v1, |v0|, s22
	v_floor_f32_e32 v1, v1
	s_mov_b32 s22, 0xcf800000
	v_fma_f32 v1, v1, s22, |v0|
	v_cvt_u32_f32_e32 v1, v1
	v_ashrrev_i32_e32 v0, 31, v0
	v_xor_b32_e32 v1, v1, v0
	v_sub_u32_e32 v0, v1, v0
.LBB6_1244:
	s_mov_b64 s[22:23], 0
.LBB6_1245:
	s_andn2_b64 vcc, exec, s[22:23]
	s_cbranch_vccnz .LBB6_1247
; %bb.1246:
	s_waitcnt vmcnt(0)
	global_load_ushort v0, v[2:3], off
	s_waitcnt vmcnt(0)
	v_cvt_f32_f16_e32 v0, v0
	v_cvt_i32_f32_e32 v0, v0
.LBB6_1247:
	s_cbranch_execnz .LBB6_1266
.LBB6_1248:
	s_sext_i32_i16 s22, s58
	s_cmp_lt_i32 s22, 2
	s_cbranch_scc1 .LBB6_1252
; %bb.1249:
	s_cmp_lt_i32 s22, 3
	s_cbranch_scc1 .LBB6_1253
; %bb.1250:
	s_cmp_gt_i32 s22, 3
	s_cbranch_scc0 .LBB6_1254
; %bb.1251:
	s_waitcnt vmcnt(0)
	global_load_dwordx2 v[0:1], v[2:3], off
	s_mov_b64 s[22:23], 0
	s_branch .LBB6_1255
.LBB6_1252:
                                        ; implicit-def: $vgpr0
	s_branch .LBB6_1261
.LBB6_1253:
	s_mov_b64 s[22:23], -1
                                        ; implicit-def: $vgpr0
	s_branch .LBB6_1258
.LBB6_1254:
	s_mov_b64 s[22:23], -1
                                        ; implicit-def: $vgpr0
.LBB6_1255:
	s_andn2_b64 vcc, exec, s[22:23]
	s_cbranch_vccnz .LBB6_1257
; %bb.1256:
	s_waitcnt vmcnt(0)
	global_load_dword v0, v[2:3], off
.LBB6_1257:
	s_mov_b64 s[22:23], 0
.LBB6_1258:
	s_andn2_b64 vcc, exec, s[22:23]
	s_cbranch_vccnz .LBB6_1260
; %bb.1259:
	s_waitcnt vmcnt(0)
	global_load_ushort v0, v[2:3], off
.LBB6_1260:
	s_cbranch_execnz .LBB6_1266
.LBB6_1261:
	s_sext_i32_i16 s22, s58
	s_cmp_gt_i32 s22, 0
	s_cbranch_scc0 .LBB6_1263
; %bb.1262:
	s_waitcnt vmcnt(0)
	global_load_ubyte v0, v[2:3], off
	s_mov_b64 s[22:23], 0
	s_branch .LBB6_1264
.LBB6_1263:
	s_mov_b64 s[22:23], -1
                                        ; implicit-def: $vgpr0
.LBB6_1264:
	s_andn2_b64 vcc, exec, s[22:23]
	s_cbranch_vccnz .LBB6_1266
; %bb.1265:
	s_waitcnt vmcnt(0)
	global_load_ubyte v0, v[2:3], off
.LBB6_1266:
	s_or_b64 s[30:31], s[30:31], exec
.LBB6_1267:
	s_or_b64 exec, exec, s[0:1]
	s_mov_b64 s[28:29], 0
	s_mov_b64 s[34:35], 0
	;; [unrolled: 1-line block ×3, first 2 shown]
                                        ; implicit-def: $sgpr36
                                        ; implicit-def: $vgpr1_vgpr2
                                        ; implicit-def: $vgpr3
	s_and_saveexec_b64 s[0:1], s[30:31]
	s_cbranch_execz .LBB6_1275
; %bb.1268:
	s_waitcnt vmcnt(0)
	v_mul_lo_u32 v1, v11, s14
	v_mov_b32_e32 v2, s3
	s_and_b32 s36, s56, 0xff
	s_cmp_lt_i32 s36, 11
	v_ashrrev_i32_e32 v3, 31, v1
	v_add_co_u32_e32 v1, vcc, s2, v1
	v_addc_co_u32_e32 v2, vcc, v2, v3, vcc
	s_cbranch_scc1 .LBB6_1278
; %bb.1269:
	s_and_b32 s34, 0xffff, s36
	s_cmp_gt_i32 s34, 25
	s_cbranch_scc0 .LBB6_1279
; %bb.1270:
	s_cmp_gt_i32 s34, 28
	s_cbranch_scc0 .LBB6_1280
; %bb.1271:
	;; [unrolled: 3-line block ×4, first 2 shown]
	s_cmp_eq_u32 s34, 46
	s_mov_b64 s[30:31], 0
	s_cbranch_scc0 .LBB6_1283
; %bb.1274:
	global_load_dword v3, v[1:2], off
	s_mov_b32 s22, 0x2f800000
	s_mov_b32 s23, 0xcf800000
	s_mov_b64 s[26:27], -1
	s_waitcnt vmcnt(0)
	v_lshlrev_b32_e32 v3, 16, v3
	v_trunc_f32_e32 v3, v3
	v_mul_f32_e64 v4, |v3|, s22
	v_floor_f32_e32 v4, v4
	v_fma_f32 v4, v4, s23, |v3|
	v_cvt_u32_f32_e32 v4, v4
	v_ashrrev_i32_e32 v3, 31, v3
	s_mov_b64 s[22:23], 0
	v_xor_b32_e32 v4, v4, v3
	v_sub_u32_e32 v3, v4, v3
	s_branch .LBB6_1285
.LBB6_1275:
	s_or_b64 exec, exec, s[0:1]
	s_and_saveexec_b64 s[0:1], s[20:21]
	s_cbranch_execnz .LBB6_1344
.LBB6_1276:
	s_or_b64 exec, exec, s[0:1]
	s_and_saveexec_b64 s[0:1], s[28:29]
	s_xor_b64 s[0:1], exec, s[0:1]
	s_cbranch_execz .LBB6_1345
.LBB6_1277:
	s_waitcnt vmcnt(0)
	global_load_ubyte v3, v[1:2], off
	s_or_b64 s[26:27], s[26:27], exec
	s_waitcnt vmcnt(0)
	v_cmp_ne_u16_e32 vcc, 0, v3
	v_cndmask_b32_e64 v3, 0, 1, vcc
	s_or_b64 exec, exec, s[0:1]
	s_and_saveexec_b64 s[0:1], s[34:35]
	s_cbranch_execz .LBB6_1391
	s_branch .LBB6_1346
.LBB6_1278:
	s_mov_b64 s[30:31], -1
                                        ; implicit-def: $vgpr3
	s_mov_b64 s[22:23], s[20:21]
	s_branch .LBB6_1343
.LBB6_1279:
	s_mov_b64 s[22:23], s[20:21]
                                        ; implicit-def: $vgpr3
	s_cbranch_execnz .LBB6_1312
	s_branch .LBB6_1342
.LBB6_1280:
	s_mov_b64 s[30:31], -1
	s_mov_b64 s[22:23], s[20:21]
                                        ; implicit-def: $vgpr3
	s_branch .LBB6_1295
.LBB6_1281:
	s_mov_b64 s[30:31], -1
	s_mov_b64 s[22:23], s[20:21]
                                        ; implicit-def: $vgpr3
	s_branch .LBB6_1290
.LBB6_1282:
	s_mov_b64 s[30:31], -1
	s_mov_b64 s[22:23], s[20:21]
	s_branch .LBB6_1284
.LBB6_1283:
	s_mov_b64 s[22:23], -1
.LBB6_1284:
                                        ; implicit-def: $vgpr3
.LBB6_1285:
	s_and_b64 vcc, exec, s[30:31]
	s_cbranch_vccz .LBB6_1289
; %bb.1286:
	s_cmp_eq_u32 s34, 44
	s_cbranch_scc0 .LBB6_1288
; %bb.1287:
	global_load_ubyte v3, v[1:2], off
	s_mov_b32 s22, 0x2f800000
	s_mov_b32 s23, 0xcf800000
	s_mov_b64 s[26:27], -1
	s_waitcnt vmcnt(0)
	v_lshlrev_b32_e32 v4, 23, v3
	v_trunc_f32_e32 v4, v4
	v_mul_f32_e64 v5, |v4|, s22
	v_floor_f32_e32 v5, v5
	v_fma_f32 v5, v5, s23, |v4|
	v_cvt_u32_f32_e32 v5, v5
	v_ashrrev_i32_e32 v4, 31, v4
	v_cmp_ne_u32_e32 vcc, 0, v3
	s_mov_b64 s[22:23], 0
	v_xor_b32_e32 v5, v5, v4
	v_sub_u32_e32 v4, v5, v4
	v_cndmask_b32_e32 v3, 0, v4, vcc
	s_branch .LBB6_1289
.LBB6_1288:
	s_mov_b64 s[22:23], -1
                                        ; implicit-def: $vgpr3
.LBB6_1289:
	s_mov_b64 s[30:31], 0
.LBB6_1290:
	s_and_b64 vcc, exec, s[30:31]
	s_cbranch_vccz .LBB6_1294
; %bb.1291:
	s_cmp_eq_u32 s34, 29
	s_cbranch_scc0 .LBB6_1293
; %bb.1292:
	global_load_dwordx2 v[3:4], v[1:2], off
	s_mov_b64 s[22:23], 0
	s_mov_b64 s[26:27], -1
	s_branch .LBB6_1294
.LBB6_1293:
	s_mov_b64 s[22:23], -1
                                        ; implicit-def: $vgpr3
.LBB6_1294:
	s_mov_b64 s[30:31], 0
.LBB6_1295:
	s_and_b64 vcc, exec, s[30:31]
	s_cbranch_vccz .LBB6_1311
; %bb.1296:
	s_cmp_lt_i32 s34, 27
	s_cbranch_scc1 .LBB6_1299
; %bb.1297:
	s_cmp_gt_i32 s34, 27
	s_cbranch_scc0 .LBB6_1300
; %bb.1298:
	global_load_dword v3, v[1:2], off
	s_mov_b64 s[26:27], 0
	s_branch .LBB6_1301
.LBB6_1299:
	s_mov_b64 s[26:27], -1
                                        ; implicit-def: $vgpr3
	s_branch .LBB6_1304
.LBB6_1300:
	s_mov_b64 s[26:27], -1
                                        ; implicit-def: $vgpr3
.LBB6_1301:
	s_andn2_b64 vcc, exec, s[26:27]
	s_cbranch_vccnz .LBB6_1303
; %bb.1302:
	global_load_ushort v3, v[1:2], off
.LBB6_1303:
	s_mov_b64 s[26:27], 0
.LBB6_1304:
	s_andn2_b64 vcc, exec, s[26:27]
	s_cbranch_vccnz .LBB6_1310
; %bb.1305:
	global_load_ubyte v4, v[1:2], off
	s_movk_i32 s26, 0x7f
	s_mov_b64 s[30:31], 0
	s_waitcnt vmcnt(0)
	v_cmp_lt_i16_e32 vcc, s26, v4
	s_and_saveexec_b64 s[26:27], vcc
	s_xor_b64 s[26:27], exec, s[26:27]
	s_cbranch_execz .LBB6_1321
; %bb.1306:
	s_movk_i32 s30, 0x80
	v_cmp_ne_u16_e32 vcc, s30, v4
	s_and_b64 s[30:31], vcc, exec
	s_andn2_saveexec_b64 s[26:27], s[26:27]
	s_cbranch_execnz .LBB6_1322
.LBB6_1307:
	s_or_b64 exec, exec, s[26:27]
	v_mov_b32_e32 v3, 0
	s_and_saveexec_b64 s[26:27], s[30:31]
	s_cbranch_execz .LBB6_1309
.LBB6_1308:
	v_lshlrev_b32_e32 v3, 24, v4
	v_and_b32_e32 v4, 0xffff, v4
	v_and_b32_e32 v5, 7, v4
	v_ffbh_u32_e32 v7, v5
	v_min_u32_e32 v7, 32, v7
	v_subrev_u32_e32 v8, 28, v7
	v_bfe_u32 v6, v4, 3, 4
	v_lshlrev_b32_e32 v4, v8, v4
	v_sub_u32_e32 v7, 29, v7
	v_and_b32_e32 v4, 7, v4
	v_cmp_eq_u32_e32 vcc, 0, v6
	v_cndmask_b32_e32 v6, v6, v7, vcc
	v_cndmask_b32_e32 v4, v5, v4, vcc
	v_mov_b32_e32 v5, 0x3b800000
	v_lshlrev_b32_e32 v4, 20, v4
	v_and_b32_e32 v3, 0x80000000, v3
	v_lshl_add_u32 v5, v6, 23, v5
	v_or3_b32 v3, v3, v5, v4
	v_trunc_f32_e32 v3, v3
	s_mov_b32 s30, 0x2f800000
	v_mul_f32_e64 v4, |v3|, s30
	v_floor_f32_e32 v4, v4
	s_mov_b32 s30, 0xcf800000
	v_fma_f32 v4, v4, s30, |v3|
	v_cvt_u32_f32_e32 v4, v4
	v_ashrrev_i32_e32 v3, 31, v3
	v_xor_b32_e32 v4, v4, v3
	v_sub_u32_e32 v3, v4, v3
.LBB6_1309:
	s_or_b64 exec, exec, s[26:27]
.LBB6_1310:
	s_mov_b64 s[26:27], -1
.LBB6_1311:
	s_branch .LBB6_1342
.LBB6_1312:
	s_cmp_gt_i32 s34, 22
	s_cbranch_scc0 .LBB6_1320
; %bb.1313:
	s_cmp_lt_i32 s34, 24
	s_cbranch_scc1 .LBB6_1323
; %bb.1314:
	s_cmp_gt_i32 s34, 24
	s_cbranch_scc0 .LBB6_1324
; %bb.1315:
	global_load_ubyte v4, v[1:2], off
	s_movk_i32 s26, 0x7f
	s_waitcnt vmcnt(0)
	v_cmp_lt_i16_e32 vcc, s26, v4
	s_and_saveexec_b64 s[26:27], vcc
	s_xor_b64 s[26:27], exec, s[26:27]
	s_cbranch_execz .LBB6_1336
; %bb.1316:
	s_movk_i32 s28, 0x80
	v_cmp_ne_u16_e32 vcc, s28, v4
	s_and_b64 s[28:29], vcc, exec
	s_andn2_saveexec_b64 s[26:27], s[26:27]
	s_cbranch_execnz .LBB6_1337
.LBB6_1317:
	s_or_b64 exec, exec, s[26:27]
	v_mov_b32_e32 v3, 0
	s_and_saveexec_b64 s[26:27], s[28:29]
	s_cbranch_execz .LBB6_1319
.LBB6_1318:
	v_lshlrev_b32_e32 v3, 24, v4
	v_and_b32_e32 v4, 0xffff, v4
	v_and_b32_e32 v5, 3, v4
	v_ffbh_u32_e32 v7, v5
	v_min_u32_e32 v7, 32, v7
	v_subrev_u32_e32 v8, 29, v7
	v_bfe_u32 v6, v4, 2, 5
	v_lshlrev_b32_e32 v4, v8, v4
	v_sub_u32_e32 v7, 30, v7
	v_and_b32_e32 v4, 3, v4
	v_cmp_eq_u32_e32 vcc, 0, v6
	v_cndmask_b32_e32 v6, v6, v7, vcc
	v_cndmask_b32_e32 v4, v5, v4, vcc
	v_mov_b32_e32 v5, 0x37800000
	v_lshlrev_b32_e32 v4, 21, v4
	v_and_b32_e32 v3, 0x80000000, v3
	v_lshl_add_u32 v5, v6, 23, v5
	v_or3_b32 v3, v3, v5, v4
	v_trunc_f32_e32 v3, v3
	s_mov_b32 s28, 0x2f800000
	v_mul_f32_e64 v4, |v3|, s28
	v_floor_f32_e32 v4, v4
	s_mov_b32 s28, 0xcf800000
	v_fma_f32 v4, v4, s28, |v3|
	v_cvt_u32_f32_e32 v4, v4
	v_ashrrev_i32_e32 v3, 31, v3
	v_xor_b32_e32 v4, v4, v3
	v_sub_u32_e32 v3, v4, v3
.LBB6_1319:
	s_or_b64 exec, exec, s[26:27]
	s_mov_b64 s[26:27], 0
	s_branch .LBB6_1325
.LBB6_1320:
	s_mov_b64 s[28:29], -1
                                        ; implicit-def: $vgpr3
	s_branch .LBB6_1331
.LBB6_1321:
	s_andn2_saveexec_b64 s[26:27], s[26:27]
	s_cbranch_execz .LBB6_1307
.LBB6_1322:
	v_cmp_ne_u16_e32 vcc, 0, v4
	s_andn2_b64 s[30:31], s[30:31], exec
	s_and_b64 s[38:39], vcc, exec
	s_or_b64 s[30:31], s[30:31], s[38:39]
	s_or_b64 exec, exec, s[26:27]
	v_mov_b32_e32 v3, 0
	s_and_saveexec_b64 s[26:27], s[30:31]
	s_cbranch_execnz .LBB6_1308
	s_branch .LBB6_1309
.LBB6_1323:
	s_mov_b64 s[26:27], -1
                                        ; implicit-def: $vgpr3
	s_branch .LBB6_1328
.LBB6_1324:
	s_mov_b64 s[26:27], -1
                                        ; implicit-def: $vgpr3
.LBB6_1325:
	s_and_b64 vcc, exec, s[26:27]
	s_cbranch_vccz .LBB6_1327
; %bb.1326:
	global_load_ubyte v3, v[1:2], off
	s_mov_b32 s26, 0x7f800000
	s_brev_b32 s27, 1
	s_mov_b32 s28, 0x2f800000
	s_waitcnt vmcnt(0)
	v_lshlrev_b32_e32 v3, 24, v3
	v_and_b32_e32 v4, 0x7f000000, v3
	v_ffbh_u32_e32 v5, v4
	v_min_u32_e32 v5, 32, v5
	v_sub_u32_e64 v5, v5, 4 clamp
	v_lshlrev_b32_e32 v7, v5, v4
	v_lshlrev_b32_e32 v5, 23, v5
	v_lshrrev_b32_e32 v7, 4, v7
	v_add_u32_e32 v6, 0x1000000, v4
	v_sub_u32_e32 v5, v7, v5
	v_ashrrev_i32_e32 v6, 8, v6
	v_add_u32_e32 v5, 0x3c000000, v5
	v_and_or_b32 v5, v6, s26, v5
	v_cmp_ne_u32_e32 vcc, 0, v4
	v_cndmask_b32_e32 v4, 0, v5, vcc
	v_and_or_b32 v3, v3, s27, v4
	v_trunc_f32_e32 v3, v3
	v_mul_f32_e64 v4, |v3|, s28
	v_floor_f32_e32 v4, v4
	s_mov_b32 s26, 0xcf800000
	v_fma_f32 v4, v4, s26, |v3|
	v_cvt_u32_f32_e32 v4, v4
	v_ashrrev_i32_e32 v3, 31, v3
	v_xor_b32_e32 v4, v4, v3
	v_sub_u32_e32 v3, v4, v3
.LBB6_1327:
	s_mov_b64 s[26:27], 0
.LBB6_1328:
	s_andn2_b64 vcc, exec, s[26:27]
	s_cbranch_vccnz .LBB6_1330
; %bb.1329:
	global_load_ubyte v3, v[1:2], off
	s_movk_i32 s26, 0x7f00
	s_brev_b32 s27, 16
	s_brev_b32 s28, 1
	s_mov_b32 s29, 0x2f800000
	s_waitcnt vmcnt(0)
	v_lshlrev_b16_e32 v4, 8, v3
	v_lshlrev_b32_e32 v3, 25, v3
	v_lshrrev_b32_e32 v5, 4, v3
	v_and_or_b32 v6, v4, s26, 0.5
	v_or_b32_e32 v5, 0x70000000, v5
	v_add_f32_e32 v6, -0.5, v6
	v_mul_f32_e32 v5, 0x7800000, v5
	v_cmp_gt_u32_e32 vcc, s27, v3
	v_bfe_i32 v4, v4, 0, 16
	v_cndmask_b32_e32 v3, v5, v6, vcc
	v_and_or_b32 v3, v4, s28, v3
	v_trunc_f32_e32 v3, v3
	v_mul_f32_e64 v4, |v3|, s29
	v_floor_f32_e32 v4, v4
	s_mov_b32 s26, 0xcf800000
	v_fma_f32 v4, v4, s26, |v3|
	v_cvt_u32_f32_e32 v4, v4
	v_ashrrev_i32_e32 v3, 31, v3
	v_xor_b32_e32 v4, v4, v3
	v_sub_u32_e32 v3, v4, v3
.LBB6_1330:
	s_mov_b64 s[28:29], 0
	s_mov_b64 s[26:27], -1
.LBB6_1331:
	s_andn2_b64 vcc, exec, s[28:29]
	s_mov_b64 s[28:29], 0
	s_cbranch_vccnz .LBB6_1342
; %bb.1332:
	s_cmp_gt_i32 s34, 14
	s_cbranch_scc0 .LBB6_1335
; %bb.1333:
	s_cmp_eq_u32 s34, 15
	s_cbranch_scc0 .LBB6_1338
; %bb.1334:
	global_load_ushort v3, v[1:2], off
	s_mov_b32 s22, 0x2f800000
	s_mov_b32 s23, 0xcf800000
	s_mov_b64 s[26:27], -1
	s_waitcnt vmcnt(0)
	v_lshlrev_b32_e32 v3, 16, v3
	v_trunc_f32_e32 v3, v3
	v_mul_f32_e64 v4, |v3|, s22
	v_floor_f32_e32 v4, v4
	v_fma_f32 v4, v4, s23, |v3|
	v_cvt_u32_f32_e32 v4, v4
	v_ashrrev_i32_e32 v3, 31, v3
	s_mov_b64 s[22:23], 0
	v_xor_b32_e32 v4, v4, v3
	v_sub_u32_e32 v3, v4, v3
	s_branch .LBB6_1339
.LBB6_1335:
	s_mov_b64 s[30:31], -1
                                        ; implicit-def: $vgpr3
	s_branch .LBB6_1340
.LBB6_1336:
	s_andn2_saveexec_b64 s[26:27], s[26:27]
	s_cbranch_execz .LBB6_1317
.LBB6_1337:
	v_cmp_ne_u16_e32 vcc, 0, v4
	s_andn2_b64 s[28:29], s[28:29], exec
	s_and_b64 s[30:31], vcc, exec
	s_or_b64 s[28:29], s[28:29], s[30:31]
	s_or_b64 exec, exec, s[26:27]
	v_mov_b32_e32 v3, 0
	s_and_saveexec_b64 s[26:27], s[28:29]
	s_cbranch_execnz .LBB6_1318
	s_branch .LBB6_1319
.LBB6_1338:
	s_mov_b64 s[22:23], -1
                                        ; implicit-def: $vgpr3
.LBB6_1339:
	s_mov_b64 s[30:31], 0
.LBB6_1340:
	s_and_b64 vcc, exec, s[30:31]
	s_cbranch_vccz .LBB6_1342
; %bb.1341:
	s_cmp_lg_u32 s34, 11
	s_cselect_b64 s[30:31], -1, 0
	s_andn2_b64 s[22:23], s[22:23], exec
	s_and_b64 s[30:31], s[30:31], exec
	s_mov_b64 s[28:29], -1
	s_or_b64 s[22:23], s[22:23], s[30:31]
.LBB6_1342:
	s_mov_b64 s[30:31], 0
.LBB6_1343:
	s_andn2_b64 s[20:21], s[20:21], exec
	s_and_b64 s[22:23], s[22:23], exec
	s_and_b64 s[26:27], s[26:27], exec
	s_and_b64 s[34:35], s[30:31], exec
	s_and_b64 s[28:29], s[28:29], exec
	s_or_b64 s[20:21], s[20:21], s[22:23]
	s_or_b64 exec, exec, s[0:1]
	s_and_saveexec_b64 s[0:1], s[20:21]
	s_cbranch_execz .LBB6_1276
.LBB6_1344:
	s_or_b64 s[24:25], s[24:25], exec
	s_andn2_b64 s[28:29], s[28:29], exec
	s_trap 2
	s_or_b64 exec, exec, s[0:1]
	s_and_saveexec_b64 s[0:1], s[28:29]
	s_xor_b64 s[0:1], exec, s[0:1]
	s_cbranch_execnz .LBB6_1277
.LBB6_1345:
	s_or_b64 exec, exec, s[0:1]
	s_and_saveexec_b64 s[0:1], s[34:35]
	s_cbranch_execz .LBB6_1391
.LBB6_1346:
	s_sext_i32_i16 s20, s36
	s_cmp_lt_i32 s20, 5
	s_cbranch_scc1 .LBB6_1351
; %bb.1347:
	s_cmp_lt_i32 s20, 8
	s_cbranch_scc1 .LBB6_1352
; %bb.1348:
	;; [unrolled: 3-line block ×3, first 2 shown]
	s_cmp_gt_i32 s20, 9
	s_cbranch_scc0 .LBB6_1354
; %bb.1350:
	s_waitcnt vmcnt(0)
	global_load_dwordx2 v[3:4], v[1:2], off
	s_movk_i32 s20, 0xffe0
	s_waitcnt vmcnt(0)
	v_trunc_f64_e32 v[3:4], v[3:4]
	v_ldexp_f64 v[5:6], v[3:4], s20
	s_mov_b32 s20, 0
	s_mov_b32 s21, 0xc1f00000
	v_floor_f64_e32 v[5:6], v[5:6]
	v_fma_f64 v[3:4], v[5:6], s[20:21], v[3:4]
	s_mov_b64 s[20:21], 0
	v_cvt_u32_f64_e32 v3, v[3:4]
	s_branch .LBB6_1355
.LBB6_1351:
                                        ; implicit-def: $vgpr3
	s_branch .LBB6_1372
.LBB6_1352:
                                        ; implicit-def: $vgpr3
	s_branch .LBB6_1361
.LBB6_1353:
	s_mov_b64 s[20:21], -1
                                        ; implicit-def: $vgpr3
	s_branch .LBB6_1358
.LBB6_1354:
	s_mov_b64 s[20:21], -1
                                        ; implicit-def: $vgpr3
.LBB6_1355:
	s_andn2_b64 vcc, exec, s[20:21]
	s_cbranch_vccnz .LBB6_1357
; %bb.1356:
	s_waitcnt vmcnt(0)
	global_load_dword v3, v[1:2], off
	s_mov_b32 s20, 0x2f800000
	s_waitcnt vmcnt(0)
	v_trunc_f32_e32 v3, v3
	v_mul_f32_e64 v4, |v3|, s20
	v_floor_f32_e32 v4, v4
	s_mov_b32 s20, 0xcf800000
	v_fma_f32 v4, v4, s20, |v3|
	v_cvt_u32_f32_e32 v4, v4
	v_ashrrev_i32_e32 v3, 31, v3
	v_xor_b32_e32 v4, v4, v3
	v_sub_u32_e32 v3, v4, v3
.LBB6_1357:
	s_mov_b64 s[20:21], 0
.LBB6_1358:
	s_andn2_b64 vcc, exec, s[20:21]
	s_cbranch_vccnz .LBB6_1360
; %bb.1359:
	s_waitcnt vmcnt(0)
	global_load_dword v3, v[1:2], off
	s_waitcnt vmcnt(0)
	v_cvt_f32_f16_e32 v3, v3
	v_cvt_i32_f32_e32 v3, v3
.LBB6_1360:
	s_cbranch_execnz .LBB6_1371
.LBB6_1361:
	s_sext_i32_i16 s20, s36
	s_cmp_lt_i32 s20, 6
	s_cbranch_scc1 .LBB6_1364
; %bb.1362:
	s_cmp_gt_i32 s20, 6
	s_cbranch_scc0 .LBB6_1365
; %bb.1363:
	s_waitcnt vmcnt(0)
	global_load_dwordx2 v[3:4], v[1:2], off
	s_movk_i32 s20, 0xffe0
	s_waitcnt vmcnt(0)
	v_trunc_f64_e32 v[3:4], v[3:4]
	v_ldexp_f64 v[5:6], v[3:4], s20
	s_mov_b32 s20, 0
	s_mov_b32 s21, 0xc1f00000
	v_floor_f64_e32 v[5:6], v[5:6]
	v_fma_f64 v[3:4], v[5:6], s[20:21], v[3:4]
	s_mov_b64 s[20:21], 0
	v_cvt_u32_f64_e32 v3, v[3:4]
	s_branch .LBB6_1366
.LBB6_1364:
	s_mov_b64 s[20:21], -1
                                        ; implicit-def: $vgpr3
	s_branch .LBB6_1369
.LBB6_1365:
	s_mov_b64 s[20:21], -1
                                        ; implicit-def: $vgpr3
.LBB6_1366:
	s_andn2_b64 vcc, exec, s[20:21]
	s_cbranch_vccnz .LBB6_1368
; %bb.1367:
	s_waitcnt vmcnt(0)
	global_load_dword v3, v[1:2], off
	s_mov_b32 s20, 0x2f800000
	s_waitcnt vmcnt(0)
	v_trunc_f32_e32 v3, v3
	v_mul_f32_e64 v4, |v3|, s20
	v_floor_f32_e32 v4, v4
	s_mov_b32 s20, 0xcf800000
	v_fma_f32 v4, v4, s20, |v3|
	v_cvt_u32_f32_e32 v4, v4
	v_ashrrev_i32_e32 v3, 31, v3
	v_xor_b32_e32 v4, v4, v3
	v_sub_u32_e32 v3, v4, v3
.LBB6_1368:
	s_mov_b64 s[20:21], 0
.LBB6_1369:
	s_andn2_b64 vcc, exec, s[20:21]
	s_cbranch_vccnz .LBB6_1371
; %bb.1370:
	s_waitcnt vmcnt(0)
	global_load_ushort v3, v[1:2], off
	s_waitcnt vmcnt(0)
	v_cvt_f32_f16_e32 v3, v3
	v_cvt_i32_f32_e32 v3, v3
.LBB6_1371:
	s_cbranch_execnz .LBB6_1390
.LBB6_1372:
	s_sext_i32_i16 s20, s36
	s_cmp_lt_i32 s20, 2
	s_cbranch_scc1 .LBB6_1376
; %bb.1373:
	s_cmp_lt_i32 s20, 3
	s_cbranch_scc1 .LBB6_1377
; %bb.1374:
	s_cmp_gt_i32 s20, 3
	s_cbranch_scc0 .LBB6_1378
; %bb.1375:
	s_waitcnt vmcnt(0)
	global_load_dwordx2 v[3:4], v[1:2], off
	s_mov_b64 s[20:21], 0
	s_branch .LBB6_1379
.LBB6_1376:
                                        ; implicit-def: $vgpr3
	s_branch .LBB6_1385
.LBB6_1377:
	s_mov_b64 s[20:21], -1
                                        ; implicit-def: $vgpr3
	s_branch .LBB6_1382
.LBB6_1378:
	s_mov_b64 s[20:21], -1
                                        ; implicit-def: $vgpr3
.LBB6_1379:
	s_andn2_b64 vcc, exec, s[20:21]
	s_cbranch_vccnz .LBB6_1381
; %bb.1380:
	s_waitcnt vmcnt(0)
	global_load_dword v3, v[1:2], off
.LBB6_1381:
	s_mov_b64 s[20:21], 0
.LBB6_1382:
	s_andn2_b64 vcc, exec, s[20:21]
	s_cbranch_vccnz .LBB6_1384
; %bb.1383:
	s_waitcnt vmcnt(0)
	global_load_ushort v3, v[1:2], off
.LBB6_1384:
	s_cbranch_execnz .LBB6_1390
.LBB6_1385:
	s_sext_i32_i16 s20, s36
	s_cmp_gt_i32 s20, 0
	s_cbranch_scc0 .LBB6_1387
; %bb.1386:
	s_waitcnt vmcnt(0)
	global_load_ubyte v3, v[1:2], off
	s_mov_b64 s[20:21], 0
	s_branch .LBB6_1388
.LBB6_1387:
	s_mov_b64 s[20:21], -1
                                        ; implicit-def: $vgpr3
.LBB6_1388:
	s_andn2_b64 vcc, exec, s[20:21]
	s_cbranch_vccnz .LBB6_1390
; %bb.1389:
	s_waitcnt vmcnt(0)
	global_load_ubyte v3, v[1:2], off
.LBB6_1390:
	s_or_b64 s[26:27], s[26:27], exec
.LBB6_1391:
	s_or_b64 exec, exec, s[0:1]
	s_mov_b64 s[30:31], 0
	s_mov_b64 s[28:29], 0
                                        ; implicit-def: $sgpr20_sgpr21
                                        ; implicit-def: $sgpr34
                                        ; implicit-def: $vgpr1_vgpr2
	s_and_saveexec_b64 s[22:23], s[26:27]
	s_cbranch_execz .LBB6_1466
; %bb.1392:
	s_waitcnt vmcnt(0)
	v_mul_lo_u32 v1, v11, s12
	v_cmp_ne_u16_sdwa s[0:1], v0, v3 src0_sel:BYTE_0 src1_sel:BYTE_0
	v_mov_b32_e32 v0, s9
	s_xor_b64 s[20:21], s[16:17], s[0:1]
	v_ashrrev_i32_e32 v2, 31, v1
	s_and_b32 s34, s33, 0xff
	v_add_co_u32_e32 v1, vcc, s8, v1
	s_cmp_lt_i32 s34, 11
	v_addc_co_u32_e32 v2, vcc, v0, v2, vcc
	s_cbranch_scc1 .LBB6_1469
; %bb.1393:
	s_and_b32 s35, 0xffff, s34
	s_mov_b64 s[26:27], -1
	s_cmp_gt_i32 s35, 25
	s_mov_b64 s[0:1], s[18:19]
	s_cbranch_scc0 .LBB6_1426
; %bb.1394:
	s_mov_b64 s[16:17], -1
	s_cmp_gt_i32 s35, 28
	s_mov_b64 s[0:1], s[18:19]
	s_cbranch_scc0 .LBB6_1410
; %bb.1395:
	s_cmp_gt_i32 s35, 43
	s_mov_b64 s[0:1], s[18:19]
	s_cbranch_scc0 .LBB6_1406
; %bb.1396:
	;; [unrolled: 4-line block ×3, first 2 shown]
	s_cmp_eq_u32 s35, 46
	s_mov_b64 s[0:1], -1
	s_cbranch_scc0 .LBB6_1399
; %bb.1398:
	v_cndmask_b32_e64 v0, 0, 1.0, s[20:21]
	v_bfe_u32 v3, v0, 16, 1
	s_movk_i32 s0, 0x7fff
	v_add3_u32 v0, v0, v3, s0
	v_lshrrev_b32_e32 v0, 16, v0
	global_store_dword v[1:2], v0, off
	s_mov_b64 s[0:1], 0
.LBB6_1399:
	s_mov_b64 s[16:17], 0
.LBB6_1400:
	s_and_b64 vcc, exec, s[16:17]
	s_cbranch_vccz .LBB6_1405
; %bb.1401:
	s_cmp_eq_u32 s35, 44
	s_mov_b64 s[0:1], -1
	s_cbranch_scc0 .LBB6_1405
; %bb.1402:
	v_cndmask_b32_e64 v3, 0, 1.0, s[20:21]
	v_lshrrev_b32_e32 v0, 23, v3
	s_movk_i32 s0, 0xff
	v_cmp_ne_u32_e32 vcc, s0, v0
	v_mov_b32_e32 v4, 0xff
	s_and_saveexec_b64 s[16:17], vcc
; %bb.1403:
	s_mov_b32 s0, 0x3fffff
	v_and_b32_e32 v4, 0x400000, v3
	v_and_or_b32 v3, v3, s0, v0
	v_cmp_ne_u32_e32 vcc, 0, v4
	v_cmp_ne_u32_e64 s[0:1], 0, v3
	s_and_b64 s[0:1], vcc, s[0:1]
	v_cndmask_b32_e64 v3, 0, 1, s[0:1]
	v_add_u32_e32 v4, v0, v3
; %bb.1404:
	s_or_b64 exec, exec, s[16:17]
	s_mov_b64 s[0:1], 0
	global_store_byte v[1:2], v4, off
.LBB6_1405:
	s_mov_b64 s[16:17], 0
.LBB6_1406:
	s_and_b64 vcc, exec, s[16:17]
	s_cbranch_vccz .LBB6_1409
; %bb.1407:
	s_cmp_eq_u32 s35, 29
	s_mov_b64 s[0:1], -1
	s_cbranch_scc0 .LBB6_1409
; %bb.1408:
	s_mov_b32 s0, 0
	v_cndmask_b32_e64 v3, 0, 1, s[20:21]
	v_mov_b32_e32 v4, s0
	global_store_dwordx2 v[1:2], v[3:4], off
	s_mov_b64 s[0:1], 0
.LBB6_1409:
	s_mov_b64 s[16:17], 0
.LBB6_1410:
	s_and_b64 vcc, exec, s[16:17]
	s_cbranch_vccz .LBB6_1425
; %bb.1411:
	s_cmp_lt_i32 s35, 27
	s_mov_b64 s[16:17], -1
	s_cbranch_scc1 .LBB6_1417
; %bb.1412:
	s_cmp_gt_i32 s35, 27
	v_cndmask_b32_e64 v0, 0, 1, s[20:21]
	s_cbranch_scc0 .LBB6_1414
; %bb.1413:
	s_mov_b64 s[16:17], 0
	global_store_dword v[1:2], v0, off
.LBB6_1414:
	s_andn2_b64 vcc, exec, s[16:17]
	s_cbranch_vccnz .LBB6_1416
; %bb.1415:
	global_store_short v[1:2], v0, off
.LBB6_1416:
	s_mov_b64 s[16:17], 0
.LBB6_1417:
	s_andn2_b64 vcc, exec, s[16:17]
	s_cbranch_vccnz .LBB6_1425
; %bb.1418:
	v_cndmask_b32_e64 v3, 0, 1.0, s[20:21]
	s_mov_b32 s16, 0x43800000
	v_cmp_gt_u32_e32 vcc, s16, v3
	v_mov_b32_e32 v4, 0x80
	s_and_saveexec_b64 s[16:17], vcc
	s_cbranch_execz .LBB6_1424
; %bb.1419:
	s_mov_b32 s26, 0x3bffffff
	v_cmp_lt_u32_e32 vcc, s26, v3
	s_mov_b64 s[26:27], 0
                                        ; implicit-def: $vgpr0
	s_and_saveexec_b64 s[28:29], vcc
	s_xor_b64 s[28:29], exec, s[28:29]
	s_cbranch_execz .LBB6_1526
; %bb.1420:
	v_bfe_u32 v0, v3, 20, 1
	s_mov_b32 s30, 0x487ffff
	v_add3_u32 v0, v3, v0, s30
	s_mov_b64 s[26:27], exec
	v_lshrrev_b32_e32 v0, 20, v0
                                        ; implicit-def: $vgpr3
	s_andn2_saveexec_b64 s[28:29], s[28:29]
	s_cbranch_execnz .LBB6_1527
.LBB6_1421:
	s_or_b64 exec, exec, s[28:29]
	v_mov_b32_e32 v4, 0
	s_and_saveexec_b64 s[28:29], s[26:27]
.LBB6_1422:
	v_mov_b32_e32 v4, v0
.LBB6_1423:
	s_or_b64 exec, exec, s[28:29]
.LBB6_1424:
	s_or_b64 exec, exec, s[16:17]
	global_store_byte v[1:2], v4, off
.LBB6_1425:
	s_mov_b64 s[26:27], 0
.LBB6_1426:
	s_mov_b64 s[16:17], 0
	s_and_b64 vcc, exec, s[26:27]
	s_cbranch_vccz .LBB6_1470
; %bb.1427:
	s_cmp_gt_i32 s35, 22
	s_mov_b64 s[26:27], -1
	s_cbranch_scc0 .LBB6_1459
; %bb.1428:
	s_cmp_lt_i32 s35, 24
	s_cbranch_scc1 .LBB6_1448
; %bb.1429:
	s_cmp_gt_i32 s35, 24
	s_cbranch_scc0 .LBB6_1437
; %bb.1430:
	v_cndmask_b32_e64 v3, 0, 1.0, s[20:21]
	s_mov_b32 s26, 0x47800000
	v_cmp_gt_u32_e32 vcc, s26, v3
	v_mov_b32_e32 v4, 0x80
	s_and_saveexec_b64 s[26:27], vcc
	s_cbranch_execz .LBB6_1436
; %bb.1431:
	s_mov_b32 s28, 0x37ffffff
	v_cmp_lt_u32_e32 vcc, s28, v3
	s_mov_b64 s[28:29], 0
                                        ; implicit-def: $vgpr0
	s_and_saveexec_b64 s[30:31], vcc
	s_xor_b64 s[30:31], exec, s[30:31]
	s_cbranch_execz .LBB6_1646
; %bb.1432:
	v_bfe_u32 v0, v3, 21, 1
	s_mov_b32 s36, 0x88fffff
	v_add3_u32 v0, v3, v0, s36
	s_mov_b64 s[28:29], exec
	v_lshrrev_b32_e32 v0, 21, v0
                                        ; implicit-def: $vgpr3
	s_andn2_saveexec_b64 s[30:31], s[30:31]
	s_cbranch_execnz .LBB6_1647
.LBB6_1433:
	s_or_b64 exec, exec, s[30:31]
	v_mov_b32_e32 v4, 0
	s_and_saveexec_b64 s[30:31], s[28:29]
.LBB6_1434:
	v_mov_b32_e32 v4, v0
.LBB6_1435:
	s_or_b64 exec, exec, s[30:31]
.LBB6_1436:
	s_or_b64 exec, exec, s[26:27]
	s_mov_b64 s[26:27], 0
	global_store_byte v[1:2], v4, off
.LBB6_1437:
	s_and_b64 vcc, exec, s[26:27]
	s_cbranch_vccz .LBB6_1447
; %bb.1438:
	v_cndmask_b32_e64 v0, 0, 1.0, s[20:21]
	s_mov_b32 s26, 0x43f00000
	v_cmp_gt_u32_e32 vcc, s26, v0
                                        ; implicit-def: $vgpr3
	s_and_saveexec_b64 s[26:27], vcc
	s_xor_b64 s[26:27], exec, s[26:27]
	s_cbranch_execz .LBB6_1444
; %bb.1439:
	s_mov_b32 s28, 0x3c7fffff
	v_cmp_lt_u32_e32 vcc, s28, v0
                                        ; implicit-def: $vgpr3
	s_and_saveexec_b64 s[28:29], vcc
	s_xor_b64 s[28:29], exec, s[28:29]
; %bb.1440:
	v_bfe_u32 v3, v0, 20, 1
	s_mov_b32 s30, 0x407ffff
	v_add3_u32 v0, v0, v3, s30
	v_lshrrev_b32_e32 v3, 20, v0
	v_and_b32_e32 v0, 0xff00000, v0
	s_mov_b32 s30, 0x7f00000
	v_mov_b32_e32 v4, 0x7e
	v_cmp_ne_u32_e32 vcc, s30, v0
	v_cndmask_b32_e32 v3, v4, v3, vcc
                                        ; implicit-def: $vgpr0
; %bb.1441:
	s_andn2_saveexec_b64 s[28:29], s[28:29]
; %bb.1442:
	v_add_f32_e32 v3, 0x46800000, v0
; %bb.1443:
	s_or_b64 exec, exec, s[28:29]
                                        ; implicit-def: $vgpr0
.LBB6_1444:
	s_andn2_saveexec_b64 s[26:27], s[26:27]
; %bb.1445:
	s_mov_b32 s28, 0x7f800000
	v_mov_b32_e32 v3, 0x7e
	v_mov_b32_e32 v4, 0x7f
	v_cmp_lt_u32_e32 vcc, s28, v0
	v_cndmask_b32_e32 v3, v3, v4, vcc
; %bb.1446:
	s_or_b64 exec, exec, s[26:27]
	global_store_byte v[1:2], v3, off
.LBB6_1447:
	s_mov_b64 s[26:27], 0
.LBB6_1448:
	s_andn2_b64 vcc, exec, s[26:27]
	s_cbranch_vccnz .LBB6_1458
; %bb.1449:
	v_cndmask_b32_e64 v0, 0, 1.0, s[20:21]
	s_mov_b32 s26, 0x47800000
	v_cmp_gt_u32_e32 vcc, s26, v0
                                        ; implicit-def: $vgpr3
	s_and_saveexec_b64 s[26:27], vcc
	s_xor_b64 s[26:27], exec, s[26:27]
	s_cbranch_execz .LBB6_1455
; %bb.1450:
	s_mov_b32 s28, 0x387fffff
	v_cmp_lt_u32_e32 vcc, s28, v0
                                        ; implicit-def: $vgpr3
	s_and_saveexec_b64 s[28:29], vcc
	s_xor_b64 s[28:29], exec, s[28:29]
; %bb.1451:
	v_bfe_u32 v3, v0, 21, 1
	s_mov_b32 s30, 0x80fffff
	v_add3_u32 v0, v0, v3, s30
	v_lshrrev_b32_e32 v3, 21, v0
                                        ; implicit-def: $vgpr0
; %bb.1452:
	s_andn2_saveexec_b64 s[28:29], s[28:29]
; %bb.1453:
	v_add_f32_e32 v3, 0x43000000, v0
; %bb.1454:
	s_or_b64 exec, exec, s[28:29]
                                        ; implicit-def: $vgpr0
.LBB6_1455:
	s_andn2_saveexec_b64 s[26:27], s[26:27]
; %bb.1456:
	s_mov_b32 s28, 0x7f800000
	v_mov_b32_e32 v3, 0x7c
	v_mov_b32_e32 v4, 0x7f
	v_cmp_lt_u32_e32 vcc, s28, v0
	v_cndmask_b32_e32 v3, v3, v4, vcc
; %bb.1457:
	s_or_b64 exec, exec, s[26:27]
	global_store_byte v[1:2], v3, off
.LBB6_1458:
	s_mov_b64 s[26:27], 0
.LBB6_1459:
	s_andn2_b64 vcc, exec, s[26:27]
	s_mov_b64 s[26:27], 0
	s_cbranch_vccnz .LBB6_1471
; %bb.1460:
	s_cmp_gt_i32 s35, 14
	s_mov_b64 s[28:29], -1
	s_cbranch_scc0 .LBB6_1464
; %bb.1461:
	s_cmp_eq_u32 s35, 15
	s_mov_b64 s[0:1], -1
	s_cbranch_scc0 .LBB6_1463
; %bb.1462:
	v_cndmask_b32_e64 v0, 0, 1.0, s[20:21]
	v_bfe_u32 v3, v0, 16, 1
	s_movk_i32 s0, 0x7fff
	v_add3_u32 v0, v0, v3, s0
	global_store_short_d16_hi v[1:2], v0, off
	s_mov_b64 s[0:1], 0
.LBB6_1463:
	s_mov_b64 s[28:29], 0
.LBB6_1464:
	s_and_b64 vcc, exec, s[28:29]
	s_cbranch_vccz .LBB6_1471
; %bb.1465:
	s_cmp_lg_u32 s35, 11
	s_cselect_b64 s[28:29], -1, 0
	s_andn2_b64 s[0:1], s[0:1], exec
	s_and_b64 s[28:29], s[28:29], exec
	s_mov_b64 s[26:27], -1
	s_or_b64 s[0:1], s[0:1], s[28:29]
	s_branch .LBB6_1471
.LBB6_1466:
	s_or_b64 exec, exec, s[22:23]
	s_and_saveexec_b64 s[0:1], s[18:19]
	s_cbranch_execnz .LBB6_1472
.LBB6_1467:
	s_or_b64 exec, exec, s[0:1]
	s_and_saveexec_b64 s[0:1], s[30:31]
	s_xor_b64 s[0:1], exec, s[0:1]
	s_cbranch_execz .LBB6_1473
.LBB6_1468:
	s_waitcnt vmcnt(0)
	v_cndmask_b32_e64 v0, 0, 1, s[20:21]
	global_store_byte v[1:2], v0, off
	s_or_b64 exec, exec, s[0:1]
	s_and_saveexec_b64 s[0:1], s[28:29]
	s_xor_b64 s[0:1], exec, s[0:1]
	s_cbranch_execz .LBB6_1511
	s_branch .LBB6_1474
.LBB6_1469:
	s_mov_b64 s[26:27], 0
	s_mov_b64 s[16:17], -1
	s_mov_b64 s[0:1], s[18:19]
	s_branch .LBB6_1471
.LBB6_1470:
	s_mov_b64 s[26:27], 0
.LBB6_1471:
	s_and_b64 s[28:29], s[16:17], exec
	s_andn2_b64 s[16:17], s[18:19], exec
	s_and_b64 s[0:1], s[0:1], exec
	s_and_b64 s[30:31], s[26:27], exec
	s_or_b64 s[18:19], s[16:17], s[0:1]
	s_or_b64 exec, exec, s[22:23]
	s_and_saveexec_b64 s[0:1], s[18:19]
	s_cbranch_execz .LBB6_1467
.LBB6_1472:
	s_or_b64 s[24:25], s[24:25], exec
	s_andn2_b64 s[30:31], s[30:31], exec
	s_trap 2
	s_or_b64 exec, exec, s[0:1]
	s_and_saveexec_b64 s[0:1], s[30:31]
	s_xor_b64 s[0:1], exec, s[0:1]
	s_cbranch_execnz .LBB6_1468
.LBB6_1473:
	s_or_b64 exec, exec, s[0:1]
	s_and_saveexec_b64 s[0:1], s[28:29]
	s_xor_b64 s[0:1], exec, s[0:1]
	s_cbranch_execz .LBB6_1511
.LBB6_1474:
	s_sext_i32_i16 s18, s34
	s_cmp_lt_i32 s18, 5
	s_mov_b64 s[16:17], -1
	s_cbranch_scc1 .LBB6_1495
; %bb.1475:
	s_cmp_lt_i32 s18, 8
	s_cbranch_scc1 .LBB6_1485
; %bb.1476:
	s_cmp_lt_i32 s18, 9
	s_cbranch_scc1 .LBB6_1482
; %bb.1477:
	s_cmp_gt_i32 s18, 9
	s_cbranch_scc0 .LBB6_1479
; %bb.1478:
	s_waitcnt vmcnt(0)
	v_cndmask_b32_e64 v0, 0, 1, s[20:21]
	v_cvt_f64_u32_e32 v[3:4], v0
	v_mov_b32_e32 v5, 0
	v_mov_b32_e32 v6, v5
	s_mov_b64 s[16:17], 0
	global_store_dwordx4 v[1:2], v[3:6], off
.LBB6_1479:
	s_andn2_b64 vcc, exec, s[16:17]
	s_cbranch_vccnz .LBB6_1481
; %bb.1480:
	s_waitcnt vmcnt(0)
	v_cndmask_b32_e64 v3, 0, 1.0, s[20:21]
	v_mov_b32_e32 v4, 0
	global_store_dwordx2 v[1:2], v[3:4], off
.LBB6_1481:
	s_mov_b64 s[16:17], 0
.LBB6_1482:
	s_andn2_b64 vcc, exec, s[16:17]
	s_cbranch_vccnz .LBB6_1484
; %bb.1483:
	s_waitcnt vmcnt(0)
	v_cndmask_b32_e64 v0, 0, 1.0, s[20:21]
	v_cvt_f16_f32_e32 v0, v0
	global_store_dword v[1:2], v0, off
.LBB6_1484:
	s_mov_b64 s[16:17], 0
.LBB6_1485:
	s_andn2_b64 vcc, exec, s[16:17]
	s_cbranch_vccnz .LBB6_1494
; %bb.1486:
	s_sext_i32_i16 s18, s34
	s_cmp_lt_i32 s18, 6
	s_mov_b64 s[16:17], -1
	s_cbranch_scc1 .LBB6_1492
; %bb.1487:
	s_cmp_gt_i32 s18, 6
	s_cbranch_scc0 .LBB6_1489
; %bb.1488:
	s_waitcnt vmcnt(0)
	v_cndmask_b32_e64 v0, 0, 1, s[20:21]
	v_cvt_f64_u32_e32 v[3:4], v0
	s_mov_b64 s[16:17], 0
	global_store_dwordx2 v[1:2], v[3:4], off
.LBB6_1489:
	s_andn2_b64 vcc, exec, s[16:17]
	s_cbranch_vccnz .LBB6_1491
; %bb.1490:
	s_waitcnt vmcnt(0)
	v_cndmask_b32_e64 v0, 0, 1.0, s[20:21]
	global_store_dword v[1:2], v0, off
.LBB6_1491:
	s_mov_b64 s[16:17], 0
.LBB6_1492:
	s_andn2_b64 vcc, exec, s[16:17]
	s_cbranch_vccnz .LBB6_1494
; %bb.1493:
	s_waitcnt vmcnt(0)
	v_cndmask_b32_e64 v0, 0, 1.0, s[20:21]
	v_cvt_f16_f32_e32 v0, v0
	global_store_short v[1:2], v0, off
.LBB6_1494:
	s_mov_b64 s[16:17], 0
.LBB6_1495:
	s_andn2_b64 vcc, exec, s[16:17]
	s_cbranch_vccnz .LBB6_1511
; %bb.1496:
	s_sext_i32_i16 s18, s34
	s_cmp_lt_i32 s18, 2
	s_mov_b64 s[16:17], -1
	s_cbranch_scc1 .LBB6_1506
; %bb.1497:
	s_cmp_lt_i32 s18, 3
	s_cbranch_scc1 .LBB6_1503
; %bb.1498:
	s_cmp_gt_i32 s18, 3
	s_cbranch_scc0 .LBB6_1500
; %bb.1499:
	s_mov_b32 s16, 0
	s_waitcnt vmcnt(0)
	v_cndmask_b32_e64 v3, 0, 1, s[20:21]
	v_mov_b32_e32 v4, s16
	s_mov_b64 s[16:17], 0
	global_store_dwordx2 v[1:2], v[3:4], off
.LBB6_1500:
	s_andn2_b64 vcc, exec, s[16:17]
	s_cbranch_vccnz .LBB6_1502
; %bb.1501:
	s_waitcnt vmcnt(0)
	v_cndmask_b32_e64 v0, 0, 1, s[20:21]
	global_store_dword v[1:2], v0, off
.LBB6_1502:
	s_mov_b64 s[16:17], 0
.LBB6_1503:
	s_andn2_b64 vcc, exec, s[16:17]
	s_cbranch_vccnz .LBB6_1505
; %bb.1504:
	s_waitcnt vmcnt(0)
	v_cndmask_b32_e64 v0, 0, 1, s[20:21]
	global_store_short v[1:2], v0, off
.LBB6_1505:
	s_mov_b64 s[16:17], 0
.LBB6_1506:
	s_andn2_b64 vcc, exec, s[16:17]
	s_cbranch_vccnz .LBB6_1511
; %bb.1507:
	s_sext_i32_i16 s18, s34
	s_mov_b64 s[16:17], -1
	s_cmp_gt_i32 s18, 0
	s_waitcnt vmcnt(0)
	v_cndmask_b32_e64 v0, 0, 1, s[20:21]
	s_cbranch_scc0 .LBB6_1509
; %bb.1508:
	s_mov_b64 s[16:17], 0
	global_store_byte v[1:2], v0, off
.LBB6_1509:
	s_andn2_b64 vcc, exec, s[16:17]
	s_cbranch_vccnz .LBB6_1511
; %bb.1510:
	global_store_byte v[1:2], v0, off
.LBB6_1511:
	s_or_b64 exec, exec, s[0:1]
	s_and_b64 s[16:17], s[24:25], exec
                                        ; implicit-def: $vgpr11
.LBB6_1512:
	s_or_saveexec_b64 s[6:7], s[6:7]
	s_mov_b64 s[0:1], 0
                                        ; implicit-def: $sgpr20_sgpr21
                                        ; implicit-def: $sgpr24
                                        ; implicit-def: $vgpr0_vgpr1
	s_xor_b64 exec, exec, s[6:7]
	s_cbranch_execz .LBB6_2949
; %bb.1513:
	v_mul_lo_u32 v5, s13, v11
	s_waitcnt vmcnt(0)
	v_mov_b32_e32 v0, s11
	s_and_b32 s24, s57, 0xff
	s_cmp_lt_i32 s24, 11
	v_ashrrev_i32_e32 v1, 31, v5
	v_add_co_u32_e32 v2, vcc, s10, v5
	v_addc_co_u32_e32 v3, vcc, v0, v1, vcc
	s_cbranch_scc1 .LBB6_1520
; %bb.1514:
	s_and_b32 s22, 0xffff, s24
	s_cmp_gt_i32 s22, 25
	s_cbranch_scc0 .LBB6_1522
; %bb.1515:
	s_cmp_gt_i32 s22, 28
	s_cbranch_scc0 .LBB6_1523
; %bb.1516:
	;; [unrolled: 3-line block ×4, first 2 shown]
	s_cmp_eq_u32 s22, 46
	s_mov_b64 s[18:19], 0
	s_cbranch_scc0 .LBB6_1528
; %bb.1519:
	global_load_dword v0, v[2:3], off
	s_mov_b32 s0, 0x2f800000
	s_mov_b32 s1, 0xcf800000
	s_mov_b64 s[20:21], -1
	s_waitcnt vmcnt(0)
	v_lshlrev_b32_e32 v0, 16, v0
	v_trunc_f32_e32 v0, v0
	v_mul_f32_e64 v1, |v0|, s0
	v_floor_f32_e32 v1, v1
	v_fma_f32 v1, v1, s1, |v0|
	v_cvt_u32_f32_e32 v1, v1
	v_ashrrev_i32_e32 v0, 31, v0
	s_mov_b64 s[0:1], 0
	v_xor_b32_e32 v1, v1, v0
	v_sub_u32_e32 v0, v1, v0
	s_branch .LBB6_1529
.LBB6_1520:
	s_mov_b64 s[20:21], 0
                                        ; implicit-def: $vgpr0
	s_mov_b64 s[18:19], s[16:17]
	s_cbranch_execnz .LBB6_1587
.LBB6_1521:
	s_andn2_b64 vcc, exec, s[20:21]
	s_cbranch_vccz .LBB6_1632
	s_branch .LBB6_2947
.LBB6_1522:
	s_mov_b64 s[20:21], 0
                                        ; implicit-def: $vgpr0
	s_cbranch_execnz .LBB6_1554
	s_branch .LBB6_1583
.LBB6_1523:
	s_mov_b64 s[20:21], 0
                                        ; implicit-def: $vgpr0
	s_cbranch_execz .LBB6_1553
	s_branch .LBB6_1538
.LBB6_1524:
	s_mov_b64 s[20:21], 0
                                        ; implicit-def: $vgpr0
	s_cbranch_execnz .LBB6_1534
	s_branch .LBB6_1537
.LBB6_1525:
	s_mov_b64 s[18:19], -1
	s_mov_b64 s[20:21], 0
                                        ; implicit-def: $vgpr0
	s_branch .LBB6_1529
.LBB6_1526:
	s_andn2_saveexec_b64 s[28:29], s[28:29]
	s_cbranch_execz .LBB6_1421
.LBB6_1527:
	v_add_f32_e32 v0, 0x46000000, v3
	v_and_b32_e32 v0, 0xff, v0
	v_cmp_ne_u32_e32 vcc, 0, v0
	s_andn2_b64 s[26:27], s[26:27], exec
	s_and_b64 s[30:31], vcc, exec
	s_or_b64 s[26:27], s[26:27], s[30:31]
	s_or_b64 exec, exec, s[28:29]
	v_mov_b32_e32 v4, 0
	s_and_saveexec_b64 s[28:29], s[26:27]
	s_cbranch_execnz .LBB6_1422
	s_branch .LBB6_1423
.LBB6_1528:
	s_mov_b64 s[0:1], -1
                                        ; implicit-def: $vgpr0
	s_mov_b64 s[20:21], 0
.LBB6_1529:
	s_and_b64 vcc, exec, s[18:19]
	s_cbranch_vccz .LBB6_1532
; %bb.1530:
	s_cmp_eq_u32 s22, 44
	s_cbranch_scc0 .LBB6_1533
; %bb.1531:
	global_load_ubyte v0, v[2:3], off
	s_mov_b32 s0, 0x2f800000
	s_mov_b32 s1, 0xcf800000
	s_mov_b64 s[20:21], -1
	s_waitcnt vmcnt(0)
	v_lshlrev_b32_e32 v1, 23, v0
	v_trunc_f32_e32 v1, v1
	v_mul_f32_e64 v4, |v1|, s0
	v_floor_f32_e32 v4, v4
	v_fma_f32 v4, v4, s1, |v1|
	v_cvt_u32_f32_e32 v4, v4
	v_ashrrev_i32_e32 v1, 31, v1
	v_cmp_ne_u32_e32 vcc, 0, v0
	s_mov_b64 s[0:1], 0
	v_xor_b32_e32 v4, v4, v1
	v_sub_u32_e32 v1, v4, v1
	v_cndmask_b32_e32 v0, 0, v1, vcc
.LBB6_1532:
	s_branch .LBB6_1537
.LBB6_1533:
	s_mov_b64 s[0:1], -1
                                        ; implicit-def: $vgpr0
	s_branch .LBB6_1537
.LBB6_1534:
	s_cmp_eq_u32 s22, 29
	s_cbranch_scc0 .LBB6_1536
; %bb.1535:
	global_load_dwordx2 v[0:1], v[2:3], off
	s_mov_b64 s[0:1], 0
	s_mov_b64 s[20:21], -1
	s_branch .LBB6_1537
.LBB6_1536:
	s_mov_b64 s[0:1], -1
                                        ; implicit-def: $vgpr0
.LBB6_1537:
	s_branch .LBB6_1553
.LBB6_1538:
	s_cmp_lt_i32 s22, 27
	s_cbranch_scc1 .LBB6_1541
; %bb.1539:
	s_cmp_gt_i32 s22, 27
	s_cbranch_scc0 .LBB6_1542
; %bb.1540:
	global_load_dword v0, v[2:3], off
	s_mov_b64 s[18:19], 0
	s_branch .LBB6_1543
.LBB6_1541:
	s_mov_b64 s[18:19], -1
                                        ; implicit-def: $vgpr0
	s_branch .LBB6_1546
.LBB6_1542:
	s_mov_b64 s[18:19], -1
                                        ; implicit-def: $vgpr0
.LBB6_1543:
	s_andn2_b64 vcc, exec, s[18:19]
	s_cbranch_vccnz .LBB6_1545
; %bb.1544:
	global_load_ushort v0, v[2:3], off
.LBB6_1545:
	s_mov_b64 s[18:19], 0
.LBB6_1546:
	s_andn2_b64 vcc, exec, s[18:19]
	s_cbranch_vccnz .LBB6_1552
; %bb.1547:
	global_load_ubyte v1, v[2:3], off
	s_movk_i32 s18, 0x7f
	s_mov_b64 s[20:21], 0
	s_waitcnt vmcnt(0)
	v_cmp_lt_i16_e32 vcc, s18, v1
	s_and_saveexec_b64 s[18:19], vcc
	s_xor_b64 s[18:19], exec, s[18:19]
	s_cbranch_execz .LBB6_1563
; %bb.1548:
	s_movk_i32 s20, 0x80
	v_cmp_ne_u16_e32 vcc, s20, v1
	s_and_b64 s[20:21], vcc, exec
	s_andn2_saveexec_b64 s[18:19], s[18:19]
	s_cbranch_execnz .LBB6_1564
.LBB6_1549:
	s_or_b64 exec, exec, s[18:19]
	v_mov_b32_e32 v0, 0
	s_and_saveexec_b64 s[18:19], s[20:21]
	s_cbranch_execz .LBB6_1551
.LBB6_1550:
	v_lshlrev_b32_e32 v0, 24, v1
	v_and_b32_e32 v1, 0xffff, v1
	v_and_b32_e32 v4, 7, v1
	v_ffbh_u32_e32 v7, v4
	v_min_u32_e32 v7, 32, v7
	v_subrev_u32_e32 v8, 28, v7
	v_bfe_u32 v6, v1, 3, 4
	v_lshlrev_b32_e32 v1, v8, v1
	v_sub_u32_e32 v7, 29, v7
	v_and_b32_e32 v1, 7, v1
	v_cmp_eq_u32_e32 vcc, 0, v6
	v_cndmask_b32_e32 v6, v6, v7, vcc
	v_cndmask_b32_e32 v1, v4, v1, vcc
	v_mov_b32_e32 v4, 0x3b800000
	v_lshlrev_b32_e32 v1, 20, v1
	v_and_b32_e32 v0, 0x80000000, v0
	v_lshl_add_u32 v4, v6, 23, v4
	v_or3_b32 v0, v0, v4, v1
	v_trunc_f32_e32 v0, v0
	s_mov_b32 s20, 0x2f800000
	v_mul_f32_e64 v1, |v0|, s20
	v_floor_f32_e32 v1, v1
	s_mov_b32 s20, 0xcf800000
	v_fma_f32 v1, v1, s20, |v0|
	v_cvt_u32_f32_e32 v1, v1
	v_ashrrev_i32_e32 v0, 31, v0
	v_xor_b32_e32 v1, v1, v0
	v_sub_u32_e32 v0, v1, v0
.LBB6_1551:
	s_or_b64 exec, exec, s[18:19]
.LBB6_1552:
	s_mov_b64 s[20:21], -1
.LBB6_1553:
	s_branch .LBB6_1583
.LBB6_1554:
	s_cmp_gt_i32 s22, 22
	s_cbranch_scc0 .LBB6_1562
; %bb.1555:
	s_cmp_lt_i32 s22, 24
	s_cbranch_scc1 .LBB6_1565
; %bb.1556:
	s_cmp_gt_i32 s22, 24
	s_cbranch_scc0 .LBB6_1566
; %bb.1557:
	global_load_ubyte v1, v[2:3], off
	s_movk_i32 s4, 0x7f
	s_mov_b64 s[18:19], 0
	s_waitcnt vmcnt(0)
	v_cmp_lt_i16_e32 vcc, s4, v1
	s_and_saveexec_b64 s[4:5], vcc
	s_xor_b64 s[4:5], exec, s[4:5]
	s_cbranch_execz .LBB6_1577
; %bb.1558:
	s_movk_i32 s18, 0x80
	v_cmp_ne_u16_e32 vcc, s18, v1
	s_and_b64 s[18:19], vcc, exec
	s_andn2_saveexec_b64 s[4:5], s[4:5]
	s_cbranch_execnz .LBB6_1578
.LBB6_1559:
	s_or_b64 exec, exec, s[4:5]
	v_mov_b32_e32 v0, 0
	s_and_saveexec_b64 s[4:5], s[18:19]
	s_cbranch_execz .LBB6_1561
.LBB6_1560:
	v_lshlrev_b32_e32 v0, 24, v1
	v_and_b32_e32 v1, 0xffff, v1
	v_and_b32_e32 v4, 3, v1
	v_ffbh_u32_e32 v7, v4
	v_min_u32_e32 v7, 32, v7
	v_subrev_u32_e32 v8, 29, v7
	v_bfe_u32 v6, v1, 2, 5
	v_lshlrev_b32_e32 v1, v8, v1
	v_sub_u32_e32 v7, 30, v7
	v_and_b32_e32 v1, 3, v1
	v_cmp_eq_u32_e32 vcc, 0, v6
	v_cndmask_b32_e32 v6, v6, v7, vcc
	v_cndmask_b32_e32 v1, v4, v1, vcc
	v_mov_b32_e32 v4, 0x37800000
	v_lshlrev_b32_e32 v1, 21, v1
	v_and_b32_e32 v0, 0x80000000, v0
	v_lshl_add_u32 v4, v6, 23, v4
	v_or3_b32 v0, v0, v4, v1
	v_trunc_f32_e32 v0, v0
	s_mov_b32 s18, 0x2f800000
	v_mul_f32_e64 v1, |v0|, s18
	v_floor_f32_e32 v1, v1
	s_mov_b32 s18, 0xcf800000
	v_fma_f32 v1, v1, s18, |v0|
	v_cvt_u32_f32_e32 v1, v1
	v_ashrrev_i32_e32 v0, 31, v0
	v_xor_b32_e32 v1, v1, v0
	v_sub_u32_e32 v0, v1, v0
.LBB6_1561:
	s_or_b64 exec, exec, s[4:5]
	s_mov_b64 s[4:5], 0
	s_branch .LBB6_1567
.LBB6_1562:
                                        ; implicit-def: $vgpr0
	s_mov_b64 s[4:5], 0
	s_branch .LBB6_1573
.LBB6_1563:
	s_andn2_saveexec_b64 s[18:19], s[18:19]
	s_cbranch_execz .LBB6_1549
.LBB6_1564:
	v_cmp_ne_u16_e32 vcc, 0, v1
	s_andn2_b64 s[20:21], s[20:21], exec
	s_and_b64 s[26:27], vcc, exec
	s_or_b64 s[20:21], s[20:21], s[26:27]
	s_or_b64 exec, exec, s[18:19]
	v_mov_b32_e32 v0, 0
	s_and_saveexec_b64 s[18:19], s[20:21]
	s_cbranch_execnz .LBB6_1550
	s_branch .LBB6_1551
.LBB6_1565:
	s_mov_b64 s[4:5], -1
                                        ; implicit-def: $vgpr0
	s_branch .LBB6_1570
.LBB6_1566:
	s_mov_b64 s[4:5], -1
                                        ; implicit-def: $vgpr0
.LBB6_1567:
	s_and_b64 vcc, exec, s[4:5]
	s_cbranch_vccz .LBB6_1569
; %bb.1568:
	global_load_ubyte v0, v[2:3], off
	s_mov_b32 s4, 0x7f800000
	s_brev_b32 s5, 1
	s_mov_b32 s18, 0x2f800000
	s_waitcnt vmcnt(0)
	v_lshlrev_b32_e32 v0, 24, v0
	v_and_b32_e32 v1, 0x7f000000, v0
	v_ffbh_u32_e32 v4, v1
	v_min_u32_e32 v4, 32, v4
	v_sub_u32_e64 v4, v4, 4 clamp
	v_lshlrev_b32_e32 v7, v4, v1
	v_lshlrev_b32_e32 v4, 23, v4
	v_lshrrev_b32_e32 v7, 4, v7
	v_add_u32_e32 v6, 0x1000000, v1
	v_sub_u32_e32 v4, v7, v4
	v_ashrrev_i32_e32 v6, 8, v6
	v_add_u32_e32 v4, 0x3c000000, v4
	v_and_or_b32 v4, v6, s4, v4
	v_cmp_ne_u32_e32 vcc, 0, v1
	v_cndmask_b32_e32 v1, 0, v4, vcc
	v_and_or_b32 v0, v0, s5, v1
	v_trunc_f32_e32 v0, v0
	v_mul_f32_e64 v1, |v0|, s18
	v_floor_f32_e32 v1, v1
	s_mov_b32 s4, 0xcf800000
	v_fma_f32 v1, v1, s4, |v0|
	v_cvt_u32_f32_e32 v1, v1
	v_ashrrev_i32_e32 v0, 31, v0
	v_xor_b32_e32 v1, v1, v0
	v_sub_u32_e32 v0, v1, v0
.LBB6_1569:
	s_mov_b64 s[4:5], 0
.LBB6_1570:
	s_andn2_b64 vcc, exec, s[4:5]
	s_cbranch_vccnz .LBB6_1572
; %bb.1571:
	global_load_ubyte v0, v[2:3], off
	s_movk_i32 s4, 0x7f00
	s_brev_b32 s5, 16
	s_brev_b32 s18, 1
	s_mov_b32 s19, 0x2f800000
	s_waitcnt vmcnt(0)
	v_lshlrev_b16_e32 v1, 8, v0
	v_lshlrev_b32_e32 v0, 25, v0
	v_lshrrev_b32_e32 v4, 4, v0
	v_and_or_b32 v6, v1, s4, 0.5
	v_or_b32_e32 v4, 0x70000000, v4
	v_add_f32_e32 v6, -0.5, v6
	v_mul_f32_e32 v4, 0x7800000, v4
	v_cmp_gt_u32_e32 vcc, s5, v0
	v_bfe_i32 v1, v1, 0, 16
	v_cndmask_b32_e32 v0, v4, v6, vcc
	v_and_or_b32 v0, v1, s18, v0
	v_trunc_f32_e32 v0, v0
	v_mul_f32_e64 v1, |v0|, s19
	v_floor_f32_e32 v1, v1
	s_mov_b32 s4, 0xcf800000
	v_fma_f32 v1, v1, s4, |v0|
	v_cvt_u32_f32_e32 v1, v1
	v_ashrrev_i32_e32 v0, 31, v0
	v_xor_b32_e32 v1, v1, v0
	v_sub_u32_e32 v0, v1, v0
.LBB6_1572:
	s_mov_b64 s[20:21], -1
	s_mov_b64 s[4:5], 0
	s_cbranch_execnz .LBB6_1583
.LBB6_1573:
	s_cmp_gt_i32 s22, 14
	s_cbranch_scc0 .LBB6_1576
; %bb.1574:
	s_cmp_eq_u32 s22, 15
	s_cbranch_scc0 .LBB6_1579
; %bb.1575:
	global_load_ushort v0, v[2:3], off
	s_mov_b32 s0, 0x2f800000
	s_mov_b32 s1, 0xcf800000
	s_mov_b64 s[20:21], -1
	s_waitcnt vmcnt(0)
	v_lshlrev_b32_e32 v0, 16, v0
	v_trunc_f32_e32 v0, v0
	v_mul_f32_e64 v1, |v0|, s0
	v_floor_f32_e32 v1, v1
	v_fma_f32 v1, v1, s1, |v0|
	v_cvt_u32_f32_e32 v1, v1
	v_ashrrev_i32_e32 v0, 31, v0
	s_mov_b64 s[0:1], 0
	v_xor_b32_e32 v1, v1, v0
	v_sub_u32_e32 v0, v1, v0
	s_branch .LBB6_1580
.LBB6_1576:
	s_mov_b64 s[18:19], -1
                                        ; implicit-def: $vgpr0
	s_branch .LBB6_1581
.LBB6_1577:
	s_andn2_saveexec_b64 s[4:5], s[4:5]
	s_cbranch_execz .LBB6_1559
.LBB6_1578:
	v_cmp_ne_u16_e32 vcc, 0, v1
	s_andn2_b64 s[18:19], s[18:19], exec
	s_and_b64 s[20:21], vcc, exec
	s_or_b64 s[18:19], s[18:19], s[20:21]
	s_or_b64 exec, exec, s[4:5]
	v_mov_b32_e32 v0, 0
	s_and_saveexec_b64 s[4:5], s[18:19]
	s_cbranch_execnz .LBB6_1560
	s_branch .LBB6_1561
.LBB6_1579:
	s_mov_b64 s[0:1], -1
                                        ; implicit-def: $vgpr0
.LBB6_1580:
	s_mov_b64 s[18:19], 0
.LBB6_1581:
	s_and_b64 vcc, exec, s[18:19]
	s_cbranch_vccz .LBB6_1583
; %bb.1582:
	s_cmp_lg_u32 s22, 11
	s_mov_b64 s[4:5], -1
	s_cselect_b64 s[0:1], -1, 0
.LBB6_1583:
	s_and_b64 vcc, exec, s[0:1]
	s_mov_b64 s[18:19], s[16:17]
	s_cbranch_vccnz .LBB6_1644
; %bb.1584:
	s_andn2_b64 vcc, exec, s[4:5]
	s_cbranch_vccnz .LBB6_1586
.LBB6_1585:
	global_load_ubyte v0, v[2:3], off
	s_mov_b64 s[20:21], -1
	s_waitcnt vmcnt(0)
	v_cmp_ne_u16_e32 vcc, 0, v0
	v_cndmask_b32_e64 v0, 0, 1, vcc
.LBB6_1586:
	s_branch .LBB6_1521
.LBB6_1587:
	s_and_b32 s4, 0xffff, s24
	s_cmp_lt_i32 s4, 5
	s_cbranch_scc1 .LBB6_1592
; %bb.1588:
	s_cmp_lt_i32 s4, 8
	s_cbranch_scc1 .LBB6_1593
; %bb.1589:
	;; [unrolled: 3-line block ×3, first 2 shown]
	s_cmp_gt_i32 s4, 9
	s_cbranch_scc0 .LBB6_1595
; %bb.1591:
	global_load_dwordx2 v[0:1], v[2:3], off
	s_movk_i32 s0, 0xffe0
	s_waitcnt vmcnt(0)
	v_trunc_f64_e32 v[0:1], v[0:1]
	v_ldexp_f64 v[6:7], v[0:1], s0
	s_mov_b32 s0, 0
	s_mov_b32 s1, 0xc1f00000
	v_floor_f64_e32 v[6:7], v[6:7]
	v_fma_f64 v[0:1], v[6:7], s[0:1], v[0:1]
	s_mov_b64 s[0:1], 0
	v_cvt_u32_f64_e32 v0, v[0:1]
	s_branch .LBB6_1596
.LBB6_1592:
                                        ; implicit-def: $vgpr0
	s_branch .LBB6_1613
.LBB6_1593:
                                        ; implicit-def: $vgpr0
	s_branch .LBB6_1602
.LBB6_1594:
	s_mov_b64 s[0:1], -1
                                        ; implicit-def: $vgpr0
	s_branch .LBB6_1599
.LBB6_1595:
	s_mov_b64 s[0:1], -1
                                        ; implicit-def: $vgpr0
.LBB6_1596:
	s_andn2_b64 vcc, exec, s[0:1]
	s_cbranch_vccnz .LBB6_1598
; %bb.1597:
	global_load_dword v0, v[2:3], off
	s_mov_b32 s0, 0x2f800000
	s_waitcnt vmcnt(0)
	v_trunc_f32_e32 v0, v0
	v_mul_f32_e64 v1, |v0|, s0
	v_floor_f32_e32 v1, v1
	s_mov_b32 s0, 0xcf800000
	v_fma_f32 v1, v1, s0, |v0|
	v_cvt_u32_f32_e32 v1, v1
	v_ashrrev_i32_e32 v0, 31, v0
	v_xor_b32_e32 v1, v1, v0
	v_sub_u32_e32 v0, v1, v0
.LBB6_1598:
	s_mov_b64 s[0:1], 0
.LBB6_1599:
	s_andn2_b64 vcc, exec, s[0:1]
	s_cbranch_vccnz .LBB6_1601
; %bb.1600:
	global_load_dword v0, v[2:3], off
	s_waitcnt vmcnt(0)
	v_cvt_f32_f16_e32 v0, v0
	v_cvt_i32_f32_e32 v0, v0
.LBB6_1601:
	s_cbranch_execnz .LBB6_1612
.LBB6_1602:
	s_cmp_lt_i32 s4, 6
	s_cbranch_scc1 .LBB6_1605
; %bb.1603:
	s_cmp_gt_i32 s4, 6
	s_cbranch_scc0 .LBB6_1606
; %bb.1604:
	global_load_dwordx2 v[0:1], v[2:3], off
	s_movk_i32 s0, 0xffe0
	s_waitcnt vmcnt(0)
	v_trunc_f64_e32 v[0:1], v[0:1]
	v_ldexp_f64 v[6:7], v[0:1], s0
	s_mov_b32 s0, 0
	s_mov_b32 s1, 0xc1f00000
	v_floor_f64_e32 v[6:7], v[6:7]
	v_fma_f64 v[0:1], v[6:7], s[0:1], v[0:1]
	s_mov_b64 s[0:1], 0
	v_cvt_u32_f64_e32 v0, v[0:1]
	s_branch .LBB6_1607
.LBB6_1605:
	s_mov_b64 s[0:1], -1
                                        ; implicit-def: $vgpr0
	s_branch .LBB6_1610
.LBB6_1606:
	s_mov_b64 s[0:1], -1
                                        ; implicit-def: $vgpr0
.LBB6_1607:
	s_andn2_b64 vcc, exec, s[0:1]
	s_cbranch_vccnz .LBB6_1609
; %bb.1608:
	global_load_dword v0, v[2:3], off
	s_mov_b32 s0, 0x2f800000
	s_waitcnt vmcnt(0)
	v_trunc_f32_e32 v0, v0
	v_mul_f32_e64 v1, |v0|, s0
	v_floor_f32_e32 v1, v1
	s_mov_b32 s0, 0xcf800000
	v_fma_f32 v1, v1, s0, |v0|
	v_cvt_u32_f32_e32 v1, v1
	v_ashrrev_i32_e32 v0, 31, v0
	v_xor_b32_e32 v1, v1, v0
	v_sub_u32_e32 v0, v1, v0
.LBB6_1609:
	s_mov_b64 s[0:1], 0
.LBB6_1610:
	s_andn2_b64 vcc, exec, s[0:1]
	s_cbranch_vccnz .LBB6_1612
; %bb.1611:
	global_load_ushort v0, v[2:3], off
	s_waitcnt vmcnt(0)
	v_cvt_f32_f16_e32 v0, v0
	v_cvt_i32_f32_e32 v0, v0
.LBB6_1612:
	s_cbranch_execnz .LBB6_1631
.LBB6_1613:
	s_cmp_lt_i32 s4, 2
	s_cbranch_scc1 .LBB6_1617
; %bb.1614:
	s_cmp_lt_i32 s4, 3
	s_cbranch_scc1 .LBB6_1618
; %bb.1615:
	s_cmp_gt_i32 s4, 3
	s_cbranch_scc0 .LBB6_1619
; %bb.1616:
	global_load_dwordx2 v[0:1], v[2:3], off
	s_mov_b64 s[0:1], 0
	s_branch .LBB6_1620
.LBB6_1617:
                                        ; implicit-def: $vgpr0
	s_branch .LBB6_1626
.LBB6_1618:
	s_mov_b64 s[0:1], -1
                                        ; implicit-def: $vgpr0
	s_branch .LBB6_1623
.LBB6_1619:
	s_mov_b64 s[0:1], -1
                                        ; implicit-def: $vgpr0
.LBB6_1620:
	s_andn2_b64 vcc, exec, s[0:1]
	s_cbranch_vccnz .LBB6_1622
; %bb.1621:
	global_load_dword v0, v[2:3], off
.LBB6_1622:
	s_mov_b64 s[0:1], 0
.LBB6_1623:
	s_andn2_b64 vcc, exec, s[0:1]
	s_cbranch_vccnz .LBB6_1625
; %bb.1624:
	global_load_ushort v0, v[2:3], off
.LBB6_1625:
	s_cbranch_execnz .LBB6_1631
.LBB6_1626:
	s_cmp_gt_i32 s4, 0
	s_cbranch_scc0 .LBB6_1628
; %bb.1627:
	global_load_ubyte v0, v[2:3], off
	s_mov_b64 s[0:1], 0
	s_branch .LBB6_1629
.LBB6_1628:
	s_mov_b64 s[0:1], -1
                                        ; implicit-def: $vgpr0
.LBB6_1629:
	s_andn2_b64 vcc, exec, s[0:1]
	s_cbranch_vccnz .LBB6_1631
; %bb.1630:
	global_load_ubyte v0, v[2:3], off
.LBB6_1631:
.LBB6_1632:
	v_mul_lo_u32 v6, s14, v11
	s_waitcnt vmcnt(0)
	v_mov_b32_e32 v1, s3
	s_and_b32 s25, s56, 0xff
	s_cmp_lt_i32 s25, 11
	v_ashrrev_i32_e32 v2, 31, v6
	v_add_co_u32_e32 v3, vcc, s2, v6
	v_addc_co_u32_e32 v4, vcc, v1, v2, vcc
	s_cbranch_scc1 .LBB6_1639
; %bb.1633:
	s_and_b32 s26, 0xffff, s25
	s_cmp_gt_i32 s26, 25
	s_mov_b64 s[4:5], 0
	s_cbranch_scc0 .LBB6_1641
; %bb.1634:
	s_cmp_gt_i32 s26, 28
	s_cbranch_scc0 .LBB6_1642
; %bb.1635:
	s_cmp_gt_i32 s26, 43
	;; [unrolled: 3-line block ×3, first 2 shown]
	s_cbranch_scc0 .LBB6_1645
; %bb.1637:
	s_cmp_eq_u32 s26, 46
	s_mov_b64 s[22:23], 0
	s_cbranch_scc0 .LBB6_1648
; %bb.1638:
	global_load_dword v1, v[3:4], off
	s_mov_b32 s0, 0x2f800000
	s_mov_b32 s1, 0xcf800000
	s_mov_b64 s[20:21], -1
	s_waitcnt vmcnt(0)
	v_lshlrev_b32_e32 v1, 16, v1
	v_trunc_f32_e32 v1, v1
	v_mul_f32_e64 v2, |v1|, s0
	v_floor_f32_e32 v2, v2
	v_fma_f32 v2, v2, s1, |v1|
	v_cvt_u32_f32_e32 v2, v2
	v_ashrrev_i32_e32 v1, 31, v1
	s_mov_b64 s[0:1], 0
	v_xor_b32_e32 v2, v2, v1
	v_sub_u32_e32 v1, v2, v1
	s_branch .LBB6_1649
.LBB6_1639:
	s_mov_b64 s[20:21], 0
                                        ; implicit-def: $vgpr1
	s_cbranch_execnz .LBB6_1710
.LBB6_1640:
	s_andn2_b64 vcc, exec, s[20:21]
	s_cbranch_vccnz .LBB6_2947
	s_branch .LBB6_1757
.LBB6_1641:
	s_mov_b64 s[20:21], 0
	s_mov_b64 s[0:1], 0
                                        ; implicit-def: $vgpr1
	s_cbranch_execnz .LBB6_1676
	s_branch .LBB6_1706
.LBB6_1642:
	s_mov_b64 s[22:23], -1
	s_mov_b64 s[20:21], 0
	s_mov_b64 s[0:1], 0
                                        ; implicit-def: $vgpr1
	s_branch .LBB6_1659
.LBB6_1643:
	s_mov_b64 s[22:23], -1
	s_mov_b64 s[20:21], 0
	s_mov_b64 s[0:1], 0
                                        ; implicit-def: $vgpr1
	s_branch .LBB6_1654
.LBB6_1644:
	s_or_b64 s[18:19], s[16:17], exec
	s_trap 2
	s_cbranch_execz .LBB6_1585
	s_branch .LBB6_1586
.LBB6_1645:
	s_mov_b64 s[22:23], -1
	s_mov_b64 s[20:21], 0
	s_mov_b64 s[0:1], 0
                                        ; implicit-def: $vgpr1
	s_branch .LBB6_1649
.LBB6_1646:
	s_andn2_saveexec_b64 s[30:31], s[30:31]
	s_cbranch_execz .LBB6_1433
.LBB6_1647:
	v_add_f32_e32 v0, 0x42800000, v3
	v_and_b32_e32 v0, 0xff, v0
	v_cmp_ne_u32_e32 vcc, 0, v0
	s_andn2_b64 s[28:29], s[28:29], exec
	s_and_b64 s[36:37], vcc, exec
	s_or_b64 s[28:29], s[28:29], s[36:37]
	s_or_b64 exec, exec, s[30:31]
	v_mov_b32_e32 v4, 0
	s_and_saveexec_b64 s[30:31], s[28:29]
	s_cbranch_execnz .LBB6_1434
	s_branch .LBB6_1435
.LBB6_1648:
	s_mov_b64 s[0:1], -1
                                        ; implicit-def: $vgpr1
	s_mov_b64 s[20:21], 0
.LBB6_1649:
	s_and_b64 vcc, exec, s[22:23]
	s_cbranch_vccz .LBB6_1653
; %bb.1650:
	s_cmp_eq_u32 s26, 44
	s_cbranch_scc0 .LBB6_1652
; %bb.1651:
	global_load_ubyte v1, v[3:4], off
	s_mov_b32 s0, 0x2f800000
	s_mov_b32 s1, 0xcf800000
	s_mov_b64 s[20:21], -1
	s_waitcnt vmcnt(0)
	v_lshlrev_b32_e32 v2, 23, v1
	v_trunc_f32_e32 v2, v2
	v_mul_f32_e64 v7, |v2|, s0
	v_floor_f32_e32 v7, v7
	v_fma_f32 v7, v7, s1, |v2|
	v_cvt_u32_f32_e32 v7, v7
	v_ashrrev_i32_e32 v2, 31, v2
	v_cmp_ne_u32_e32 vcc, 0, v1
	s_mov_b64 s[0:1], 0
	v_xor_b32_e32 v7, v7, v2
	v_sub_u32_e32 v2, v7, v2
	v_cndmask_b32_e32 v1, 0, v2, vcc
	s_branch .LBB6_1653
.LBB6_1652:
	s_mov_b64 s[0:1], -1
                                        ; implicit-def: $vgpr1
.LBB6_1653:
	s_mov_b64 s[22:23], 0
.LBB6_1654:
	s_and_b64 vcc, exec, s[22:23]
	s_cbranch_vccz .LBB6_1658
; %bb.1655:
	s_cmp_eq_u32 s26, 29
	s_cbranch_scc0 .LBB6_1657
; %bb.1656:
	global_load_dwordx2 v[1:2], v[3:4], off
	s_mov_b64 s[0:1], 0
	s_mov_b64 s[20:21], -1
	s_branch .LBB6_1658
.LBB6_1657:
	s_mov_b64 s[0:1], -1
                                        ; implicit-def: $vgpr1
.LBB6_1658:
	s_mov_b64 s[22:23], 0
.LBB6_1659:
	s_and_b64 vcc, exec, s[22:23]
	s_cbranch_vccz .LBB6_1675
; %bb.1660:
	s_cmp_lt_i32 s26, 27
	s_cbranch_scc1 .LBB6_1663
; %bb.1661:
	s_cmp_gt_i32 s26, 27
	s_cbranch_scc0 .LBB6_1664
; %bb.1662:
	global_load_dword v1, v[3:4], off
	s_mov_b64 s[20:21], 0
	s_branch .LBB6_1665
.LBB6_1663:
	s_mov_b64 s[20:21], -1
                                        ; implicit-def: $vgpr1
	s_branch .LBB6_1668
.LBB6_1664:
	s_mov_b64 s[20:21], -1
                                        ; implicit-def: $vgpr1
.LBB6_1665:
	s_andn2_b64 vcc, exec, s[20:21]
	s_cbranch_vccnz .LBB6_1667
; %bb.1666:
	global_load_ushort v1, v[3:4], off
.LBB6_1667:
	s_mov_b64 s[20:21], 0
.LBB6_1668:
	s_andn2_b64 vcc, exec, s[20:21]
	s_cbranch_vccnz .LBB6_1674
; %bb.1669:
	global_load_ubyte v2, v[3:4], off
	s_movk_i32 s20, 0x7f
	s_mov_b64 s[22:23], 0
	s_waitcnt vmcnt(0)
	v_cmp_lt_i16_e32 vcc, s20, v2
	s_and_saveexec_b64 s[20:21], vcc
	s_xor_b64 s[20:21], exec, s[20:21]
	s_cbranch_execz .LBB6_1685
; %bb.1670:
	s_movk_i32 s22, 0x80
	v_cmp_ne_u16_e32 vcc, s22, v2
	s_and_b64 s[22:23], vcc, exec
	s_andn2_saveexec_b64 s[20:21], s[20:21]
	s_cbranch_execnz .LBB6_1686
.LBB6_1671:
	s_or_b64 exec, exec, s[20:21]
	v_mov_b32_e32 v1, 0
	s_and_saveexec_b64 s[20:21], s[22:23]
	s_cbranch_execz .LBB6_1673
.LBB6_1672:
	v_lshlrev_b32_e32 v1, 24, v2
	v_and_b32_e32 v2, 0xffff, v2
	v_and_b32_e32 v7, 7, v2
	v_ffbh_u32_e32 v9, v7
	v_min_u32_e32 v9, 32, v9
	v_subrev_u32_e32 v10, 28, v9
	v_bfe_u32 v8, v2, 3, 4
	v_lshlrev_b32_e32 v2, v10, v2
	v_sub_u32_e32 v9, 29, v9
	v_and_b32_e32 v2, 7, v2
	v_cmp_eq_u32_e32 vcc, 0, v8
	v_cndmask_b32_e32 v8, v8, v9, vcc
	v_cndmask_b32_e32 v2, v7, v2, vcc
	v_mov_b32_e32 v7, 0x3b800000
	v_lshlrev_b32_e32 v2, 20, v2
	v_and_b32_e32 v1, 0x80000000, v1
	v_lshl_add_u32 v7, v8, 23, v7
	v_or3_b32 v1, v1, v7, v2
	v_trunc_f32_e32 v1, v1
	s_mov_b32 s22, 0x2f800000
	v_mul_f32_e64 v2, |v1|, s22
	v_floor_f32_e32 v2, v2
	s_mov_b32 s22, 0xcf800000
	v_fma_f32 v2, v2, s22, |v1|
	v_cvt_u32_f32_e32 v2, v2
	v_ashrrev_i32_e32 v1, 31, v1
	v_xor_b32_e32 v2, v2, v1
	v_sub_u32_e32 v1, v2, v1
.LBB6_1673:
	s_or_b64 exec, exec, s[20:21]
.LBB6_1674:
	s_mov_b64 s[20:21], -1
.LBB6_1675:
	s_branch .LBB6_1706
.LBB6_1676:
	s_cmp_gt_i32 s26, 22
	s_cbranch_scc0 .LBB6_1684
; %bb.1677:
	s_cmp_lt_i32 s26, 24
	s_cbranch_scc1 .LBB6_1687
; %bb.1678:
	s_cmp_gt_i32 s26, 24
	s_cbranch_scc0 .LBB6_1688
; %bb.1679:
	global_load_ubyte v2, v[3:4], off
	s_movk_i32 s4, 0x7f
	s_mov_b64 s[20:21], 0
	s_waitcnt vmcnt(0)
	v_cmp_lt_i16_e32 vcc, s4, v2
	s_and_saveexec_b64 s[4:5], vcc
	s_xor_b64 s[4:5], exec, s[4:5]
	s_cbranch_execz .LBB6_1700
; %bb.1680:
	s_movk_i32 s20, 0x80
	v_cmp_ne_u16_e32 vcc, s20, v2
	s_and_b64 s[20:21], vcc, exec
	s_andn2_saveexec_b64 s[4:5], s[4:5]
	s_cbranch_execnz .LBB6_1701
.LBB6_1681:
	s_or_b64 exec, exec, s[4:5]
	v_mov_b32_e32 v1, 0
	s_and_saveexec_b64 s[4:5], s[20:21]
	s_cbranch_execz .LBB6_1683
.LBB6_1682:
	v_lshlrev_b32_e32 v1, 24, v2
	v_and_b32_e32 v2, 0xffff, v2
	v_and_b32_e32 v7, 3, v2
	v_ffbh_u32_e32 v9, v7
	v_min_u32_e32 v9, 32, v9
	v_subrev_u32_e32 v10, 29, v9
	v_bfe_u32 v8, v2, 2, 5
	v_lshlrev_b32_e32 v2, v10, v2
	v_sub_u32_e32 v9, 30, v9
	v_and_b32_e32 v2, 3, v2
	v_cmp_eq_u32_e32 vcc, 0, v8
	v_cndmask_b32_e32 v8, v8, v9, vcc
	v_cndmask_b32_e32 v2, v7, v2, vcc
	v_mov_b32_e32 v7, 0x37800000
	v_lshlrev_b32_e32 v2, 21, v2
	v_and_b32_e32 v1, 0x80000000, v1
	v_lshl_add_u32 v7, v8, 23, v7
	v_or3_b32 v1, v1, v7, v2
	v_trunc_f32_e32 v1, v1
	s_mov_b32 s20, 0x2f800000
	v_mul_f32_e64 v2, |v1|, s20
	v_floor_f32_e32 v2, v2
	s_mov_b32 s20, 0xcf800000
	v_fma_f32 v2, v2, s20, |v1|
	v_cvt_u32_f32_e32 v2, v2
	v_ashrrev_i32_e32 v1, 31, v1
	v_xor_b32_e32 v2, v2, v1
	v_sub_u32_e32 v1, v2, v1
.LBB6_1683:
	s_or_b64 exec, exec, s[4:5]
	s_mov_b64 s[4:5], 0
	s_branch .LBB6_1689
.LBB6_1684:
	s_mov_b64 s[4:5], -1
                                        ; implicit-def: $vgpr1
	s_branch .LBB6_1695
.LBB6_1685:
	s_andn2_saveexec_b64 s[20:21], s[20:21]
	s_cbranch_execz .LBB6_1671
.LBB6_1686:
	v_cmp_ne_u16_e32 vcc, 0, v2
	s_andn2_b64 s[22:23], s[22:23], exec
	s_and_b64 s[28:29], vcc, exec
	s_or_b64 s[22:23], s[22:23], s[28:29]
	s_or_b64 exec, exec, s[20:21]
	v_mov_b32_e32 v1, 0
	s_and_saveexec_b64 s[20:21], s[22:23]
	s_cbranch_execnz .LBB6_1672
	s_branch .LBB6_1673
.LBB6_1687:
	s_mov_b64 s[4:5], -1
                                        ; implicit-def: $vgpr1
	s_branch .LBB6_1692
.LBB6_1688:
	s_mov_b64 s[4:5], -1
                                        ; implicit-def: $vgpr1
.LBB6_1689:
	s_and_b64 vcc, exec, s[4:5]
	s_cbranch_vccz .LBB6_1691
; %bb.1690:
	global_load_ubyte v1, v[3:4], off
	s_mov_b32 s4, 0x7f800000
	s_brev_b32 s5, 1
	s_mov_b32 s20, 0x2f800000
	s_waitcnt vmcnt(0)
	v_lshlrev_b32_e32 v1, 24, v1
	v_and_b32_e32 v2, 0x7f000000, v1
	v_ffbh_u32_e32 v7, v2
	v_min_u32_e32 v7, 32, v7
	v_sub_u32_e64 v7, v7, 4 clamp
	v_lshlrev_b32_e32 v9, v7, v2
	v_lshlrev_b32_e32 v7, 23, v7
	v_lshrrev_b32_e32 v9, 4, v9
	v_add_u32_e32 v8, 0x1000000, v2
	v_sub_u32_e32 v7, v9, v7
	v_ashrrev_i32_e32 v8, 8, v8
	v_add_u32_e32 v7, 0x3c000000, v7
	v_and_or_b32 v7, v8, s4, v7
	v_cmp_ne_u32_e32 vcc, 0, v2
	v_cndmask_b32_e32 v2, 0, v7, vcc
	v_and_or_b32 v1, v1, s5, v2
	v_trunc_f32_e32 v1, v1
	v_mul_f32_e64 v2, |v1|, s20
	v_floor_f32_e32 v2, v2
	s_mov_b32 s4, 0xcf800000
	v_fma_f32 v2, v2, s4, |v1|
	v_cvt_u32_f32_e32 v2, v2
	v_ashrrev_i32_e32 v1, 31, v1
	v_xor_b32_e32 v2, v2, v1
	v_sub_u32_e32 v1, v2, v1
.LBB6_1691:
	s_mov_b64 s[4:5], 0
.LBB6_1692:
	s_andn2_b64 vcc, exec, s[4:5]
	s_cbranch_vccnz .LBB6_1694
; %bb.1693:
	global_load_ubyte v1, v[3:4], off
	s_movk_i32 s4, 0x7f00
	s_brev_b32 s5, 16
	s_brev_b32 s20, 1
	s_mov_b32 s21, 0x2f800000
	s_waitcnt vmcnt(0)
	v_lshlrev_b16_e32 v2, 8, v1
	v_lshlrev_b32_e32 v1, 25, v1
	v_lshrrev_b32_e32 v7, 4, v1
	v_and_or_b32 v8, v2, s4, 0.5
	v_or_b32_e32 v7, 0x70000000, v7
	v_add_f32_e32 v8, -0.5, v8
	v_mul_f32_e32 v7, 0x7800000, v7
	v_cmp_gt_u32_e32 vcc, s5, v1
	v_bfe_i32 v2, v2, 0, 16
	v_cndmask_b32_e32 v1, v7, v8, vcc
	v_and_or_b32 v1, v2, s20, v1
	v_trunc_f32_e32 v1, v1
	v_mul_f32_e64 v2, |v1|, s21
	v_floor_f32_e32 v2, v2
	s_mov_b32 s4, 0xcf800000
	v_fma_f32 v2, v2, s4, |v1|
	v_cvt_u32_f32_e32 v2, v2
	v_ashrrev_i32_e32 v1, 31, v1
	v_xor_b32_e32 v2, v2, v1
	v_sub_u32_e32 v1, v2, v1
.LBB6_1694:
	s_mov_b64 s[4:5], 0
	s_mov_b64 s[20:21], -1
.LBB6_1695:
	s_andn2_b64 vcc, exec, s[4:5]
	s_mov_b64 s[4:5], 0
	s_cbranch_vccnz .LBB6_1706
; %bb.1696:
	s_cmp_gt_i32 s26, 14
	s_cbranch_scc0 .LBB6_1699
; %bb.1697:
	s_cmp_eq_u32 s26, 15
	s_cbranch_scc0 .LBB6_1702
; %bb.1698:
	global_load_ushort v1, v[3:4], off
	s_mov_b32 s0, 0x2f800000
	s_mov_b32 s1, 0xcf800000
	s_mov_b64 s[20:21], -1
	s_waitcnt vmcnt(0)
	v_lshlrev_b32_e32 v1, 16, v1
	v_trunc_f32_e32 v1, v1
	v_mul_f32_e64 v2, |v1|, s0
	v_floor_f32_e32 v2, v2
	v_fma_f32 v2, v2, s1, |v1|
	v_cvt_u32_f32_e32 v2, v2
	v_ashrrev_i32_e32 v1, 31, v1
	s_mov_b64 s[0:1], 0
	v_xor_b32_e32 v2, v2, v1
	v_sub_u32_e32 v1, v2, v1
	s_branch .LBB6_1703
.LBB6_1699:
	s_mov_b64 s[22:23], -1
                                        ; implicit-def: $vgpr1
	s_branch .LBB6_1704
.LBB6_1700:
	s_andn2_saveexec_b64 s[4:5], s[4:5]
	s_cbranch_execz .LBB6_1681
.LBB6_1701:
	v_cmp_ne_u16_e32 vcc, 0, v2
	s_andn2_b64 s[20:21], s[20:21], exec
	s_and_b64 s[22:23], vcc, exec
	s_or_b64 s[20:21], s[20:21], s[22:23]
	s_or_b64 exec, exec, s[4:5]
	v_mov_b32_e32 v1, 0
	s_and_saveexec_b64 s[4:5], s[20:21]
	s_cbranch_execnz .LBB6_1682
	s_branch .LBB6_1683
.LBB6_1702:
	s_mov_b64 s[0:1], -1
                                        ; implicit-def: $vgpr1
.LBB6_1703:
	s_mov_b64 s[22:23], 0
.LBB6_1704:
	s_and_b64 vcc, exec, s[22:23]
	s_cbranch_vccz .LBB6_1706
; %bb.1705:
	s_cmp_lg_u32 s26, 11
	s_mov_b64 s[4:5], -1
	s_cselect_b64 s[0:1], -1, 0
.LBB6_1706:
	s_and_b64 vcc, exec, s[0:1]
	s_cbranch_vccnz .LBB6_1769
; %bb.1707:
	s_andn2_b64 vcc, exec, s[4:5]
	s_cbranch_vccnz .LBB6_1709
.LBB6_1708:
	global_load_ubyte v1, v[3:4], off
	s_mov_b64 s[20:21], -1
	s_waitcnt vmcnt(0)
	v_cmp_ne_u16_e32 vcc, 0, v1
	v_cndmask_b32_e64 v1, 0, 1, vcc
.LBB6_1709:
	s_branch .LBB6_1640
.LBB6_1710:
	s_and_b32 s4, 0xffff, s25
	s_cmp_lt_i32 s4, 5
	s_cbranch_scc1 .LBB6_1715
; %bb.1711:
	s_cmp_lt_i32 s4, 8
	s_cbranch_scc1 .LBB6_1716
; %bb.1712:
	;; [unrolled: 3-line block ×3, first 2 shown]
	s_cmp_gt_i32 s4, 9
	s_cbranch_scc0 .LBB6_1718
; %bb.1714:
	global_load_dwordx2 v[1:2], v[3:4], off
	s_movk_i32 s0, 0xffe0
	s_waitcnt vmcnt(0)
	v_trunc_f64_e32 v[1:2], v[1:2]
	v_ldexp_f64 v[7:8], v[1:2], s0
	s_mov_b32 s0, 0
	s_mov_b32 s1, 0xc1f00000
	v_floor_f64_e32 v[7:8], v[7:8]
	v_fma_f64 v[1:2], v[7:8], s[0:1], v[1:2]
	s_mov_b64 s[0:1], 0
	v_cvt_u32_f64_e32 v1, v[1:2]
	s_branch .LBB6_1719
.LBB6_1715:
                                        ; implicit-def: $vgpr1
	s_branch .LBB6_1737
.LBB6_1716:
	s_mov_b64 s[0:1], -1
                                        ; implicit-def: $vgpr1
	s_branch .LBB6_1725
.LBB6_1717:
	s_mov_b64 s[0:1], -1
                                        ; implicit-def: $vgpr1
	s_branch .LBB6_1722
.LBB6_1718:
	s_mov_b64 s[0:1], -1
                                        ; implicit-def: $vgpr1
.LBB6_1719:
	s_andn2_b64 vcc, exec, s[0:1]
	s_cbranch_vccnz .LBB6_1721
; %bb.1720:
	global_load_dword v1, v[3:4], off
	s_mov_b32 s0, 0x2f800000
	s_waitcnt vmcnt(0)
	v_trunc_f32_e32 v1, v1
	v_mul_f32_e64 v2, |v1|, s0
	v_floor_f32_e32 v2, v2
	s_mov_b32 s0, 0xcf800000
	v_fma_f32 v2, v2, s0, |v1|
	v_cvt_u32_f32_e32 v2, v2
	v_ashrrev_i32_e32 v1, 31, v1
	v_xor_b32_e32 v2, v2, v1
	v_sub_u32_e32 v1, v2, v1
.LBB6_1721:
	s_mov_b64 s[0:1], 0
.LBB6_1722:
	s_andn2_b64 vcc, exec, s[0:1]
	s_cbranch_vccnz .LBB6_1724
; %bb.1723:
	global_load_dword v1, v[3:4], off
	s_waitcnt vmcnt(0)
	v_cvt_f32_f16_e32 v1, v1
	v_cvt_i32_f32_e32 v1, v1
.LBB6_1724:
	s_mov_b64 s[0:1], 0
.LBB6_1725:
	s_andn2_b64 vcc, exec, s[0:1]
	s_cbranch_vccnz .LBB6_1736
; %bb.1726:
	s_cmp_lt_i32 s4, 6
	s_cbranch_scc1 .LBB6_1729
; %bb.1727:
	s_cmp_gt_i32 s4, 6
	s_cbranch_scc0 .LBB6_1730
; %bb.1728:
	global_load_dwordx2 v[1:2], v[3:4], off
	s_movk_i32 s0, 0xffe0
	s_waitcnt vmcnt(0)
	v_trunc_f64_e32 v[1:2], v[1:2]
	v_ldexp_f64 v[7:8], v[1:2], s0
	s_mov_b32 s0, 0
	s_mov_b32 s1, 0xc1f00000
	v_floor_f64_e32 v[7:8], v[7:8]
	v_fma_f64 v[1:2], v[7:8], s[0:1], v[1:2]
	s_mov_b64 s[0:1], 0
	v_cvt_u32_f64_e32 v1, v[1:2]
	s_branch .LBB6_1731
.LBB6_1729:
	s_mov_b64 s[0:1], -1
                                        ; implicit-def: $vgpr1
	s_branch .LBB6_1734
.LBB6_1730:
	s_mov_b64 s[0:1], -1
                                        ; implicit-def: $vgpr1
.LBB6_1731:
	s_andn2_b64 vcc, exec, s[0:1]
	s_cbranch_vccnz .LBB6_1733
; %bb.1732:
	global_load_dword v1, v[3:4], off
	s_mov_b32 s0, 0x2f800000
	s_waitcnt vmcnt(0)
	v_trunc_f32_e32 v1, v1
	v_mul_f32_e64 v2, |v1|, s0
	v_floor_f32_e32 v2, v2
	s_mov_b32 s0, 0xcf800000
	v_fma_f32 v2, v2, s0, |v1|
	v_cvt_u32_f32_e32 v2, v2
	v_ashrrev_i32_e32 v1, 31, v1
	v_xor_b32_e32 v2, v2, v1
	v_sub_u32_e32 v1, v2, v1
.LBB6_1733:
	s_mov_b64 s[0:1], 0
.LBB6_1734:
	s_andn2_b64 vcc, exec, s[0:1]
	s_cbranch_vccnz .LBB6_1736
; %bb.1735:
	global_load_ushort v1, v[3:4], off
	s_waitcnt vmcnt(0)
	v_cvt_f32_f16_e32 v1, v1
	v_cvt_i32_f32_e32 v1, v1
.LBB6_1736:
	s_cbranch_execnz .LBB6_1756
.LBB6_1737:
	s_cmp_lt_i32 s4, 2
	s_cbranch_scc1 .LBB6_1741
; %bb.1738:
	s_cmp_lt_i32 s4, 3
	s_cbranch_scc1 .LBB6_1742
; %bb.1739:
	s_cmp_gt_i32 s4, 3
	s_cbranch_scc0 .LBB6_1743
; %bb.1740:
	global_load_dwordx2 v[1:2], v[3:4], off
	s_mov_b64 s[0:1], 0
	s_branch .LBB6_1744
.LBB6_1741:
	s_mov_b64 s[0:1], -1
                                        ; implicit-def: $vgpr1
	s_branch .LBB6_1750
.LBB6_1742:
	s_mov_b64 s[0:1], -1
                                        ; implicit-def: $vgpr1
	s_branch .LBB6_1747
.LBB6_1743:
	s_mov_b64 s[0:1], -1
                                        ; implicit-def: $vgpr1
.LBB6_1744:
	s_andn2_b64 vcc, exec, s[0:1]
	s_cbranch_vccnz .LBB6_1746
; %bb.1745:
	global_load_dword v1, v[3:4], off
.LBB6_1746:
	s_mov_b64 s[0:1], 0
.LBB6_1747:
	s_andn2_b64 vcc, exec, s[0:1]
	s_cbranch_vccnz .LBB6_1749
; %bb.1748:
	global_load_ushort v1, v[3:4], off
.LBB6_1749:
	s_mov_b64 s[0:1], 0
.LBB6_1750:
	s_andn2_b64 vcc, exec, s[0:1]
	s_cbranch_vccnz .LBB6_1756
; %bb.1751:
	s_cmp_gt_i32 s4, 0
	s_cbranch_scc0 .LBB6_1753
; %bb.1752:
	global_load_ubyte v1, v[3:4], off
	s_mov_b64 s[0:1], 0
	s_branch .LBB6_1754
.LBB6_1753:
	s_mov_b64 s[0:1], -1
                                        ; implicit-def: $vgpr1
.LBB6_1754:
	s_andn2_b64 vcc, exec, s[0:1]
	s_cbranch_vccnz .LBB6_1756
; %bb.1755:
	global_load_ubyte v1, v[3:4], off
.LBB6_1756:
.LBB6_1757:
	s_lshl_b32 s13, s13, 7
	v_add_u32_e32 v7, s13, v5
	s_waitcnt vmcnt(0)
	v_ashrrev_i32_e32 v2, 31, v7
	v_mov_b32_e32 v3, s11
	v_add_co_u32_e32 v4, vcc, s10, v7
	s_cmp_lt_i32 s24, 11
	v_addc_co_u32_e32 v5, vcc, v3, v2, vcc
	s_cbranch_scc1 .LBB6_1764
; %bb.1758:
	s_and_b32 s26, 0xffff, s24
	s_cmp_gt_i32 s26, 25
	s_mov_b64 s[4:5], 0
	s_cbranch_scc0 .LBB6_1766
; %bb.1759:
	s_cmp_gt_i32 s26, 28
	s_cbranch_scc0 .LBB6_1767
; %bb.1760:
	s_cmp_gt_i32 s26, 43
	s_cbranch_scc0 .LBB6_1768
; %bb.1761:
	s_cmp_gt_i32 s26, 45
	s_cbranch_scc0 .LBB6_1770
; %bb.1762:
	s_cmp_eq_u32 s26, 46
	s_mov_b64 s[22:23], 0
	s_cbranch_scc0 .LBB6_1771
; %bb.1763:
	global_load_dword v2, v[4:5], off
	s_mov_b32 s0, 0x2f800000
	s_mov_b32 s1, 0xcf800000
	s_mov_b64 s[20:21], -1
	s_waitcnt vmcnt(0)
	v_lshlrev_b32_e32 v2, 16, v2
	v_trunc_f32_e32 v2, v2
	v_mul_f32_e64 v3, |v2|, s0
	v_floor_f32_e32 v3, v3
	v_fma_f32 v3, v3, s1, |v2|
	v_cvt_u32_f32_e32 v3, v3
	v_ashrrev_i32_e32 v2, 31, v2
	s_mov_b64 s[0:1], 0
	v_xor_b32_e32 v3, v3, v2
	v_sub_u32_e32 v2, v3, v2
	s_branch .LBB6_1772
.LBB6_1764:
	s_mov_b64 s[20:21], 0
                                        ; implicit-def: $vgpr2
	s_cbranch_execnz .LBB6_1834
.LBB6_1765:
	s_andn2_b64 vcc, exec, s[20:21]
	s_cbranch_vccnz .LBB6_2947
	s_branch .LBB6_1882
.LBB6_1766:
	s_mov_b64 s[22:23], -1
	s_mov_b64 s[20:21], 0
	s_mov_b64 s[0:1], 0
                                        ; implicit-def: $vgpr2
	s_branch .LBB6_1799
.LBB6_1767:
	s_mov_b64 s[22:23], -1
	s_mov_b64 s[20:21], 0
	s_mov_b64 s[0:1], 0
                                        ; implicit-def: $vgpr2
	s_branch .LBB6_1782
.LBB6_1768:
	s_mov_b64 s[22:23], -1
	s_mov_b64 s[20:21], 0
	s_mov_b64 s[0:1], 0
                                        ; implicit-def: $vgpr2
	s_branch .LBB6_1777
.LBB6_1769:
	s_trap 2
	s_or_b64 s[18:19], s[18:19], exec
	s_cbranch_execz .LBB6_1708
	s_branch .LBB6_1709
.LBB6_1770:
	s_mov_b64 s[22:23], -1
	s_mov_b64 s[20:21], 0
	s_mov_b64 s[0:1], 0
                                        ; implicit-def: $vgpr2
	s_branch .LBB6_1772
.LBB6_1771:
	s_mov_b64 s[0:1], -1
                                        ; implicit-def: $vgpr2
	s_mov_b64 s[20:21], 0
.LBB6_1772:
	s_and_b64 vcc, exec, s[22:23]
	s_cbranch_vccz .LBB6_1776
; %bb.1773:
	s_cmp_eq_u32 s26, 44
	s_cbranch_scc0 .LBB6_1775
; %bb.1774:
	global_load_ubyte v2, v[4:5], off
	s_mov_b32 s0, 0x2f800000
	s_mov_b32 s1, 0xcf800000
	s_mov_b64 s[20:21], -1
	s_waitcnt vmcnt(0)
	v_lshlrev_b32_e32 v3, 23, v2
	v_trunc_f32_e32 v3, v3
	v_mul_f32_e64 v8, |v3|, s0
	v_floor_f32_e32 v8, v8
	v_fma_f32 v8, v8, s1, |v3|
	v_cvt_u32_f32_e32 v8, v8
	v_ashrrev_i32_e32 v3, 31, v3
	v_cmp_ne_u32_e32 vcc, 0, v2
	s_mov_b64 s[0:1], 0
	v_xor_b32_e32 v8, v8, v3
	v_sub_u32_e32 v3, v8, v3
	v_cndmask_b32_e32 v2, 0, v3, vcc
	s_branch .LBB6_1776
.LBB6_1775:
	s_mov_b64 s[0:1], -1
                                        ; implicit-def: $vgpr2
.LBB6_1776:
	s_mov_b64 s[22:23], 0
.LBB6_1777:
	s_and_b64 vcc, exec, s[22:23]
	s_cbranch_vccz .LBB6_1781
; %bb.1778:
	s_cmp_eq_u32 s26, 29
	s_cbranch_scc0 .LBB6_1780
; %bb.1779:
	global_load_dwordx2 v[2:3], v[4:5], off
	s_mov_b64 s[0:1], 0
	s_mov_b64 s[20:21], -1
	s_branch .LBB6_1781
.LBB6_1780:
	s_mov_b64 s[0:1], -1
                                        ; implicit-def: $vgpr2
.LBB6_1781:
	s_mov_b64 s[22:23], 0
.LBB6_1782:
	s_and_b64 vcc, exec, s[22:23]
	s_cbranch_vccz .LBB6_1798
; %bb.1783:
	s_cmp_lt_i32 s26, 27
	s_cbranch_scc1 .LBB6_1786
; %bb.1784:
	s_cmp_gt_i32 s26, 27
	s_cbranch_scc0 .LBB6_1787
; %bb.1785:
	global_load_dword v2, v[4:5], off
	s_mov_b64 s[20:21], 0
	s_branch .LBB6_1788
.LBB6_1786:
	s_mov_b64 s[20:21], -1
                                        ; implicit-def: $vgpr2
	s_branch .LBB6_1791
.LBB6_1787:
	s_mov_b64 s[20:21], -1
                                        ; implicit-def: $vgpr2
.LBB6_1788:
	s_andn2_b64 vcc, exec, s[20:21]
	s_cbranch_vccnz .LBB6_1790
; %bb.1789:
	global_load_ushort v2, v[4:5], off
.LBB6_1790:
	s_mov_b64 s[20:21], 0
.LBB6_1791:
	s_andn2_b64 vcc, exec, s[20:21]
	s_cbranch_vccnz .LBB6_1797
; %bb.1792:
	global_load_ubyte v3, v[4:5], off
	s_movk_i32 s20, 0x7f
	s_mov_b64 s[22:23], 0
	s_waitcnt vmcnt(0)
	v_cmp_lt_i16_e32 vcc, s20, v3
	s_and_saveexec_b64 s[20:21], vcc
	s_xor_b64 s[20:21], exec, s[20:21]
	s_cbranch_execz .LBB6_1809
; %bb.1793:
	s_movk_i32 s22, 0x80
	v_cmp_ne_u16_e32 vcc, s22, v3
	s_and_b64 s[22:23], vcc, exec
	s_andn2_saveexec_b64 s[20:21], s[20:21]
	s_cbranch_execnz .LBB6_1810
.LBB6_1794:
	s_or_b64 exec, exec, s[20:21]
	v_mov_b32_e32 v2, 0
	s_and_saveexec_b64 s[20:21], s[22:23]
	s_cbranch_execz .LBB6_1796
.LBB6_1795:
	v_lshlrev_b32_e32 v2, 24, v3
	v_and_b32_e32 v3, 0xffff, v3
	v_and_b32_e32 v8, 7, v3
	v_ffbh_u32_e32 v10, v8
	v_min_u32_e32 v10, 32, v10
	v_subrev_u32_e32 v12, 28, v10
	v_bfe_u32 v9, v3, 3, 4
	v_lshlrev_b32_e32 v3, v12, v3
	v_sub_u32_e32 v10, 29, v10
	v_and_b32_e32 v3, 7, v3
	v_cmp_eq_u32_e32 vcc, 0, v9
	v_cndmask_b32_e32 v9, v9, v10, vcc
	v_cndmask_b32_e32 v3, v8, v3, vcc
	v_mov_b32_e32 v8, 0x3b800000
	v_lshlrev_b32_e32 v3, 20, v3
	v_and_b32_e32 v2, 0x80000000, v2
	v_lshl_add_u32 v8, v9, 23, v8
	v_or3_b32 v2, v2, v8, v3
	v_trunc_f32_e32 v2, v2
	s_mov_b32 s22, 0x2f800000
	v_mul_f32_e64 v3, |v2|, s22
	v_floor_f32_e32 v3, v3
	s_mov_b32 s22, 0xcf800000
	v_fma_f32 v3, v3, s22, |v2|
	v_cvt_u32_f32_e32 v3, v3
	v_ashrrev_i32_e32 v2, 31, v2
	v_xor_b32_e32 v3, v3, v2
	v_sub_u32_e32 v2, v3, v2
.LBB6_1796:
	s_or_b64 exec, exec, s[20:21]
.LBB6_1797:
	s_mov_b64 s[20:21], -1
.LBB6_1798:
	s_mov_b64 s[22:23], 0
.LBB6_1799:
	s_and_b64 vcc, exec, s[22:23]
	s_cbranch_vccz .LBB6_1830
; %bb.1800:
	s_cmp_gt_i32 s26, 22
	s_cbranch_scc0 .LBB6_1808
; %bb.1801:
	s_cmp_lt_i32 s26, 24
	s_cbranch_scc1 .LBB6_1811
; %bb.1802:
	s_cmp_gt_i32 s26, 24
	s_cbranch_scc0 .LBB6_1812
; %bb.1803:
	global_load_ubyte v3, v[4:5], off
	s_movk_i32 s4, 0x7f
	s_mov_b64 s[20:21], 0
	s_waitcnt vmcnt(0)
	v_cmp_lt_i16_e32 vcc, s4, v3
	s_and_saveexec_b64 s[4:5], vcc
	s_xor_b64 s[4:5], exec, s[4:5]
	s_cbranch_execz .LBB6_1824
; %bb.1804:
	s_movk_i32 s20, 0x80
	v_cmp_ne_u16_e32 vcc, s20, v3
	s_and_b64 s[20:21], vcc, exec
	s_andn2_saveexec_b64 s[4:5], s[4:5]
	s_cbranch_execnz .LBB6_1825
.LBB6_1805:
	s_or_b64 exec, exec, s[4:5]
	v_mov_b32_e32 v2, 0
	s_and_saveexec_b64 s[4:5], s[20:21]
	s_cbranch_execz .LBB6_1807
.LBB6_1806:
	v_lshlrev_b32_e32 v2, 24, v3
	v_and_b32_e32 v3, 0xffff, v3
	v_and_b32_e32 v8, 3, v3
	v_ffbh_u32_e32 v10, v8
	v_min_u32_e32 v10, 32, v10
	v_subrev_u32_e32 v12, 29, v10
	v_bfe_u32 v9, v3, 2, 5
	v_lshlrev_b32_e32 v3, v12, v3
	v_sub_u32_e32 v10, 30, v10
	v_and_b32_e32 v3, 3, v3
	v_cmp_eq_u32_e32 vcc, 0, v9
	v_cndmask_b32_e32 v9, v9, v10, vcc
	v_cndmask_b32_e32 v3, v8, v3, vcc
	v_mov_b32_e32 v8, 0x37800000
	v_lshlrev_b32_e32 v3, 21, v3
	v_and_b32_e32 v2, 0x80000000, v2
	v_lshl_add_u32 v8, v9, 23, v8
	v_or3_b32 v2, v2, v8, v3
	v_trunc_f32_e32 v2, v2
	s_mov_b32 s20, 0x2f800000
	v_mul_f32_e64 v3, |v2|, s20
	v_floor_f32_e32 v3, v3
	s_mov_b32 s20, 0xcf800000
	v_fma_f32 v3, v3, s20, |v2|
	v_cvt_u32_f32_e32 v3, v3
	v_ashrrev_i32_e32 v2, 31, v2
	v_xor_b32_e32 v3, v3, v2
	v_sub_u32_e32 v2, v3, v2
.LBB6_1807:
	s_or_b64 exec, exec, s[4:5]
	s_mov_b64 s[4:5], 0
	s_branch .LBB6_1813
.LBB6_1808:
	s_mov_b64 s[4:5], -1
                                        ; implicit-def: $vgpr2
	s_branch .LBB6_1819
.LBB6_1809:
	s_andn2_saveexec_b64 s[20:21], s[20:21]
	s_cbranch_execz .LBB6_1794
.LBB6_1810:
	v_cmp_ne_u16_e32 vcc, 0, v3
	s_andn2_b64 s[22:23], s[22:23], exec
	s_and_b64 s[28:29], vcc, exec
	s_or_b64 s[22:23], s[22:23], s[28:29]
	s_or_b64 exec, exec, s[20:21]
	v_mov_b32_e32 v2, 0
	s_and_saveexec_b64 s[20:21], s[22:23]
	s_cbranch_execnz .LBB6_1795
	s_branch .LBB6_1796
.LBB6_1811:
	s_mov_b64 s[4:5], -1
                                        ; implicit-def: $vgpr2
	s_branch .LBB6_1816
.LBB6_1812:
	s_mov_b64 s[4:5], -1
                                        ; implicit-def: $vgpr2
.LBB6_1813:
	s_and_b64 vcc, exec, s[4:5]
	s_cbranch_vccz .LBB6_1815
; %bb.1814:
	global_load_ubyte v2, v[4:5], off
	s_mov_b32 s4, 0x7f800000
	s_brev_b32 s5, 1
	s_mov_b32 s20, 0x2f800000
	s_waitcnt vmcnt(0)
	v_lshlrev_b32_e32 v2, 24, v2
	v_and_b32_e32 v3, 0x7f000000, v2
	v_ffbh_u32_e32 v8, v3
	v_min_u32_e32 v8, 32, v8
	v_sub_u32_e64 v8, v8, 4 clamp
	v_lshlrev_b32_e32 v10, v8, v3
	v_lshlrev_b32_e32 v8, 23, v8
	v_lshrrev_b32_e32 v10, 4, v10
	v_add_u32_e32 v9, 0x1000000, v3
	v_sub_u32_e32 v8, v10, v8
	v_ashrrev_i32_e32 v9, 8, v9
	v_add_u32_e32 v8, 0x3c000000, v8
	v_and_or_b32 v8, v9, s4, v8
	v_cmp_ne_u32_e32 vcc, 0, v3
	v_cndmask_b32_e32 v3, 0, v8, vcc
	v_and_or_b32 v2, v2, s5, v3
	v_trunc_f32_e32 v2, v2
	v_mul_f32_e64 v3, |v2|, s20
	v_floor_f32_e32 v3, v3
	s_mov_b32 s4, 0xcf800000
	v_fma_f32 v3, v3, s4, |v2|
	v_cvt_u32_f32_e32 v3, v3
	v_ashrrev_i32_e32 v2, 31, v2
	v_xor_b32_e32 v3, v3, v2
	v_sub_u32_e32 v2, v3, v2
.LBB6_1815:
	s_mov_b64 s[4:5], 0
.LBB6_1816:
	s_andn2_b64 vcc, exec, s[4:5]
	s_cbranch_vccnz .LBB6_1818
; %bb.1817:
	global_load_ubyte v2, v[4:5], off
	s_movk_i32 s4, 0x7f00
	s_brev_b32 s5, 16
	s_brev_b32 s20, 1
	s_mov_b32 s21, 0x2f800000
	s_waitcnt vmcnt(0)
	v_lshlrev_b16_e32 v3, 8, v2
	v_lshlrev_b32_e32 v2, 25, v2
	v_lshrrev_b32_e32 v8, 4, v2
	v_and_or_b32 v9, v3, s4, 0.5
	v_or_b32_e32 v8, 0x70000000, v8
	v_add_f32_e32 v9, -0.5, v9
	v_mul_f32_e32 v8, 0x7800000, v8
	v_cmp_gt_u32_e32 vcc, s5, v2
	v_bfe_i32 v3, v3, 0, 16
	v_cndmask_b32_e32 v2, v8, v9, vcc
	v_and_or_b32 v2, v3, s20, v2
	v_trunc_f32_e32 v2, v2
	v_mul_f32_e64 v3, |v2|, s21
	v_floor_f32_e32 v3, v3
	s_mov_b32 s4, 0xcf800000
	v_fma_f32 v3, v3, s4, |v2|
	v_cvt_u32_f32_e32 v3, v3
	v_ashrrev_i32_e32 v2, 31, v2
	v_xor_b32_e32 v3, v3, v2
	v_sub_u32_e32 v2, v3, v2
.LBB6_1818:
	s_mov_b64 s[4:5], 0
	s_mov_b64 s[20:21], -1
.LBB6_1819:
	s_andn2_b64 vcc, exec, s[4:5]
	s_mov_b64 s[4:5], 0
	s_cbranch_vccnz .LBB6_1830
; %bb.1820:
	s_cmp_gt_i32 s26, 14
	s_cbranch_scc0 .LBB6_1823
; %bb.1821:
	s_cmp_eq_u32 s26, 15
	s_cbranch_scc0 .LBB6_1826
; %bb.1822:
	global_load_ushort v2, v[4:5], off
	s_mov_b32 s0, 0x2f800000
	s_mov_b32 s1, 0xcf800000
	s_mov_b64 s[20:21], -1
	s_waitcnt vmcnt(0)
	v_lshlrev_b32_e32 v2, 16, v2
	v_trunc_f32_e32 v2, v2
	v_mul_f32_e64 v3, |v2|, s0
	v_floor_f32_e32 v3, v3
	v_fma_f32 v3, v3, s1, |v2|
	v_cvt_u32_f32_e32 v3, v3
	v_ashrrev_i32_e32 v2, 31, v2
	s_mov_b64 s[0:1], 0
	v_xor_b32_e32 v3, v3, v2
	v_sub_u32_e32 v2, v3, v2
	s_branch .LBB6_1827
.LBB6_1823:
	s_mov_b64 s[22:23], -1
                                        ; implicit-def: $vgpr2
	s_branch .LBB6_1828
.LBB6_1824:
	s_andn2_saveexec_b64 s[4:5], s[4:5]
	s_cbranch_execz .LBB6_1805
.LBB6_1825:
	v_cmp_ne_u16_e32 vcc, 0, v3
	s_andn2_b64 s[20:21], s[20:21], exec
	s_and_b64 s[22:23], vcc, exec
	s_or_b64 s[20:21], s[20:21], s[22:23]
	s_or_b64 exec, exec, s[4:5]
	v_mov_b32_e32 v2, 0
	s_and_saveexec_b64 s[4:5], s[20:21]
	s_cbranch_execnz .LBB6_1806
	s_branch .LBB6_1807
.LBB6_1826:
	s_mov_b64 s[0:1], -1
                                        ; implicit-def: $vgpr2
.LBB6_1827:
	s_mov_b64 s[22:23], 0
.LBB6_1828:
	s_and_b64 vcc, exec, s[22:23]
	s_cbranch_vccz .LBB6_1830
; %bb.1829:
	s_cmp_lg_u32 s26, 11
	s_mov_b64 s[4:5], -1
	s_cselect_b64 s[0:1], -1, 0
.LBB6_1830:
	s_and_b64 vcc, exec, s[0:1]
	s_cbranch_vccnz .LBB6_1893
; %bb.1831:
	s_andn2_b64 vcc, exec, s[4:5]
	s_cbranch_vccnz .LBB6_1833
.LBB6_1832:
	global_load_ubyte v2, v[4:5], off
	s_mov_b64 s[20:21], -1
	s_waitcnt vmcnt(0)
	v_cmp_ne_u16_e32 vcc, 0, v2
	v_cndmask_b32_e64 v2, 0, 1, vcc
.LBB6_1833:
	s_branch .LBB6_1765
.LBB6_1834:
	s_and_b32 s4, 0xffff, s24
	s_cmp_lt_i32 s4, 5
	s_cbranch_scc1 .LBB6_1839
; %bb.1835:
	s_cmp_lt_i32 s4, 8
	s_cbranch_scc1 .LBB6_1840
; %bb.1836:
	;; [unrolled: 3-line block ×3, first 2 shown]
	s_cmp_gt_i32 s4, 9
	s_cbranch_scc0 .LBB6_1842
; %bb.1838:
	global_load_dwordx2 v[2:3], v[4:5], off
	s_movk_i32 s0, 0xffe0
	s_waitcnt vmcnt(0)
	v_trunc_f64_e32 v[2:3], v[2:3]
	v_ldexp_f64 v[8:9], v[2:3], s0
	s_mov_b32 s0, 0
	s_mov_b32 s1, 0xc1f00000
	v_floor_f64_e32 v[8:9], v[8:9]
	v_fma_f64 v[2:3], v[8:9], s[0:1], v[2:3]
	s_mov_b64 s[0:1], 0
	v_cvt_u32_f64_e32 v2, v[2:3]
	s_branch .LBB6_1843
.LBB6_1839:
	s_mov_b64 s[0:1], -1
                                        ; implicit-def: $vgpr2
	s_branch .LBB6_1861
.LBB6_1840:
	s_mov_b64 s[0:1], -1
                                        ; implicit-def: $vgpr2
	s_branch .LBB6_1849
.LBB6_1841:
	s_mov_b64 s[0:1], -1
                                        ; implicit-def: $vgpr2
	s_branch .LBB6_1846
.LBB6_1842:
	s_mov_b64 s[0:1], -1
                                        ; implicit-def: $vgpr2
.LBB6_1843:
	s_andn2_b64 vcc, exec, s[0:1]
	s_cbranch_vccnz .LBB6_1845
; %bb.1844:
	global_load_dword v2, v[4:5], off
	s_mov_b32 s0, 0x2f800000
	s_waitcnt vmcnt(0)
	v_trunc_f32_e32 v2, v2
	v_mul_f32_e64 v3, |v2|, s0
	v_floor_f32_e32 v3, v3
	s_mov_b32 s0, 0xcf800000
	v_fma_f32 v3, v3, s0, |v2|
	v_cvt_u32_f32_e32 v3, v3
	v_ashrrev_i32_e32 v2, 31, v2
	v_xor_b32_e32 v3, v3, v2
	v_sub_u32_e32 v2, v3, v2
.LBB6_1845:
	s_mov_b64 s[0:1], 0
.LBB6_1846:
	s_andn2_b64 vcc, exec, s[0:1]
	s_cbranch_vccnz .LBB6_1848
; %bb.1847:
	global_load_dword v2, v[4:5], off
	s_waitcnt vmcnt(0)
	v_cvt_f32_f16_e32 v2, v2
	v_cvt_i32_f32_e32 v2, v2
.LBB6_1848:
	s_mov_b64 s[0:1], 0
.LBB6_1849:
	s_andn2_b64 vcc, exec, s[0:1]
	s_cbranch_vccnz .LBB6_1860
; %bb.1850:
	s_cmp_lt_i32 s4, 6
	s_cbranch_scc1 .LBB6_1853
; %bb.1851:
	s_cmp_gt_i32 s4, 6
	s_cbranch_scc0 .LBB6_1854
; %bb.1852:
	global_load_dwordx2 v[2:3], v[4:5], off
	s_movk_i32 s0, 0xffe0
	s_waitcnt vmcnt(0)
	v_trunc_f64_e32 v[2:3], v[2:3]
	v_ldexp_f64 v[8:9], v[2:3], s0
	s_mov_b32 s0, 0
	s_mov_b32 s1, 0xc1f00000
	v_floor_f64_e32 v[8:9], v[8:9]
	v_fma_f64 v[2:3], v[8:9], s[0:1], v[2:3]
	s_mov_b64 s[0:1], 0
	v_cvt_u32_f64_e32 v2, v[2:3]
	s_branch .LBB6_1855
.LBB6_1853:
	s_mov_b64 s[0:1], -1
                                        ; implicit-def: $vgpr2
	s_branch .LBB6_1858
.LBB6_1854:
	s_mov_b64 s[0:1], -1
                                        ; implicit-def: $vgpr2
.LBB6_1855:
	s_andn2_b64 vcc, exec, s[0:1]
	s_cbranch_vccnz .LBB6_1857
; %bb.1856:
	global_load_dword v2, v[4:5], off
	s_mov_b32 s0, 0x2f800000
	s_waitcnt vmcnt(0)
	v_trunc_f32_e32 v2, v2
	v_mul_f32_e64 v3, |v2|, s0
	v_floor_f32_e32 v3, v3
	s_mov_b32 s0, 0xcf800000
	v_fma_f32 v3, v3, s0, |v2|
	v_cvt_u32_f32_e32 v3, v3
	v_ashrrev_i32_e32 v2, 31, v2
	v_xor_b32_e32 v3, v3, v2
	v_sub_u32_e32 v2, v3, v2
.LBB6_1857:
	s_mov_b64 s[0:1], 0
.LBB6_1858:
	s_andn2_b64 vcc, exec, s[0:1]
	s_cbranch_vccnz .LBB6_1860
; %bb.1859:
	global_load_ushort v2, v[4:5], off
	s_waitcnt vmcnt(0)
	v_cvt_f32_f16_e32 v2, v2
	v_cvt_i32_f32_e32 v2, v2
.LBB6_1860:
	s_mov_b64 s[0:1], 0
.LBB6_1861:
	s_andn2_b64 vcc, exec, s[0:1]
	s_cbranch_vccnz .LBB6_1881
; %bb.1862:
	s_cmp_lt_i32 s4, 2
	s_cbranch_scc1 .LBB6_1866
; %bb.1863:
	s_cmp_lt_i32 s4, 3
	s_cbranch_scc1 .LBB6_1867
; %bb.1864:
	s_cmp_gt_i32 s4, 3
	s_cbranch_scc0 .LBB6_1868
; %bb.1865:
	global_load_dwordx2 v[2:3], v[4:5], off
	s_mov_b64 s[0:1], 0
	s_branch .LBB6_1869
.LBB6_1866:
	s_mov_b64 s[0:1], -1
                                        ; implicit-def: $vgpr2
	s_branch .LBB6_1875
.LBB6_1867:
	s_mov_b64 s[0:1], -1
                                        ; implicit-def: $vgpr2
	s_branch .LBB6_1872
.LBB6_1868:
	s_mov_b64 s[0:1], -1
                                        ; implicit-def: $vgpr2
.LBB6_1869:
	s_andn2_b64 vcc, exec, s[0:1]
	s_cbranch_vccnz .LBB6_1871
; %bb.1870:
	global_load_dword v2, v[4:5], off
.LBB6_1871:
	s_mov_b64 s[0:1], 0
.LBB6_1872:
	s_andn2_b64 vcc, exec, s[0:1]
	s_cbranch_vccnz .LBB6_1874
; %bb.1873:
	global_load_ushort v2, v[4:5], off
.LBB6_1874:
	s_mov_b64 s[0:1], 0
.LBB6_1875:
	s_andn2_b64 vcc, exec, s[0:1]
	s_cbranch_vccnz .LBB6_1881
; %bb.1876:
	s_cmp_gt_i32 s4, 0
	s_cbranch_scc0 .LBB6_1878
; %bb.1877:
	global_load_ubyte v2, v[4:5], off
	s_mov_b64 s[0:1], 0
	s_branch .LBB6_1879
.LBB6_1878:
	s_mov_b64 s[0:1], -1
                                        ; implicit-def: $vgpr2
.LBB6_1879:
	s_andn2_b64 vcc, exec, s[0:1]
	s_cbranch_vccnz .LBB6_1881
; %bb.1880:
	global_load_ubyte v2, v[4:5], off
.LBB6_1881:
.LBB6_1882:
	s_lshl_b32 s14, s14, 7
	v_add_u32_e32 v8, s14, v6
	s_waitcnt vmcnt(0)
	v_ashrrev_i32_e32 v3, 31, v8
	v_mov_b32_e32 v4, s3
	v_add_co_u32_e32 v5, vcc, s2, v8
	s_cmp_lt_i32 s25, 11
	v_addc_co_u32_e32 v6, vcc, v4, v3, vcc
	s_cbranch_scc1 .LBB6_1889
; %bb.1883:
	s_and_b32 s26, 0xffff, s25
	s_cmp_gt_i32 s26, 25
	s_mov_b64 s[4:5], 0
	s_cbranch_scc0 .LBB6_1890
; %bb.1884:
	s_cmp_gt_i32 s26, 28
	s_cbranch_scc0 .LBB6_1891
; %bb.1885:
	s_cmp_gt_i32 s26, 43
	;; [unrolled: 3-line block ×3, first 2 shown]
	s_cbranch_scc0 .LBB6_1894
; %bb.1887:
	s_cmp_eq_u32 s26, 46
	s_mov_b64 s[22:23], 0
	s_cbranch_scc0 .LBB6_1895
; %bb.1888:
	global_load_dword v3, v[5:6], off
	s_mov_b32 s0, 0x2f800000
	s_mov_b32 s1, 0xcf800000
	s_mov_b64 s[20:21], -1
	s_waitcnt vmcnt(0)
	v_lshlrev_b32_e32 v3, 16, v3
	v_trunc_f32_e32 v3, v3
	v_mul_f32_e64 v4, |v3|, s0
	v_floor_f32_e32 v4, v4
	v_fma_f32 v4, v4, s1, |v3|
	v_cvt_u32_f32_e32 v4, v4
	v_ashrrev_i32_e32 v3, 31, v3
	s_mov_b64 s[0:1], 0
	v_xor_b32_e32 v4, v4, v3
	v_sub_u32_e32 v3, v4, v3
	s_branch .LBB6_1896
.LBB6_1889:
	s_mov_b64 s[0:1], -1
	s_mov_b64 s[20:21], 0
                                        ; implicit-def: $vgpr3
	s_branch .LBB6_1958
.LBB6_1890:
	s_mov_b64 s[22:23], -1
	s_mov_b64 s[20:21], 0
	s_mov_b64 s[0:1], 0
                                        ; implicit-def: $vgpr3
	s_branch .LBB6_1923
.LBB6_1891:
	s_mov_b64 s[22:23], -1
	s_mov_b64 s[20:21], 0
	s_mov_b64 s[0:1], 0
                                        ; implicit-def: $vgpr3
	s_branch .LBB6_1906
.LBB6_1892:
	s_mov_b64 s[22:23], -1
	s_mov_b64 s[20:21], 0
	s_mov_b64 s[0:1], 0
                                        ; implicit-def: $vgpr3
	s_branch .LBB6_1901
.LBB6_1893:
	s_trap 2
	s_or_b64 s[18:19], s[18:19], exec
	s_cbranch_execz .LBB6_1832
	s_branch .LBB6_1833
.LBB6_1894:
	s_mov_b64 s[22:23], -1
	s_mov_b64 s[20:21], 0
	s_mov_b64 s[0:1], 0
                                        ; implicit-def: $vgpr3
	s_branch .LBB6_1896
.LBB6_1895:
	s_mov_b64 s[0:1], -1
                                        ; implicit-def: $vgpr3
	s_mov_b64 s[20:21], 0
.LBB6_1896:
	s_and_b64 vcc, exec, s[22:23]
	s_cbranch_vccz .LBB6_1900
; %bb.1897:
	s_cmp_eq_u32 s26, 44
	s_cbranch_scc0 .LBB6_1899
; %bb.1898:
	global_load_ubyte v3, v[5:6], off
	s_mov_b32 s0, 0x2f800000
	s_mov_b32 s1, 0xcf800000
	s_mov_b64 s[20:21], -1
	s_waitcnt vmcnt(0)
	v_lshlrev_b32_e32 v4, 23, v3
	v_trunc_f32_e32 v4, v4
	v_mul_f32_e64 v9, |v4|, s0
	v_floor_f32_e32 v9, v9
	v_fma_f32 v9, v9, s1, |v4|
	v_cvt_u32_f32_e32 v9, v9
	v_ashrrev_i32_e32 v4, 31, v4
	v_cmp_ne_u32_e32 vcc, 0, v3
	s_mov_b64 s[0:1], 0
	v_xor_b32_e32 v9, v9, v4
	v_sub_u32_e32 v4, v9, v4
	v_cndmask_b32_e32 v3, 0, v4, vcc
	s_branch .LBB6_1900
.LBB6_1899:
	s_mov_b64 s[0:1], -1
                                        ; implicit-def: $vgpr3
.LBB6_1900:
	s_mov_b64 s[22:23], 0
.LBB6_1901:
	s_and_b64 vcc, exec, s[22:23]
	s_cbranch_vccz .LBB6_1905
; %bb.1902:
	s_cmp_eq_u32 s26, 29
	s_cbranch_scc0 .LBB6_1904
; %bb.1903:
	global_load_dwordx2 v[3:4], v[5:6], off
	s_mov_b64 s[0:1], 0
	s_mov_b64 s[20:21], -1
	s_branch .LBB6_1905
.LBB6_1904:
	s_mov_b64 s[0:1], -1
                                        ; implicit-def: $vgpr3
.LBB6_1905:
	s_mov_b64 s[22:23], 0
.LBB6_1906:
	s_and_b64 vcc, exec, s[22:23]
	s_cbranch_vccz .LBB6_1922
; %bb.1907:
	s_cmp_lt_i32 s26, 27
	s_cbranch_scc1 .LBB6_1910
; %bb.1908:
	s_cmp_gt_i32 s26, 27
	s_cbranch_scc0 .LBB6_1911
; %bb.1909:
	global_load_dword v3, v[5:6], off
	s_mov_b64 s[20:21], 0
	s_branch .LBB6_1912
.LBB6_1910:
	s_mov_b64 s[20:21], -1
                                        ; implicit-def: $vgpr3
	s_branch .LBB6_1915
.LBB6_1911:
	s_mov_b64 s[20:21], -1
                                        ; implicit-def: $vgpr3
.LBB6_1912:
	s_andn2_b64 vcc, exec, s[20:21]
	s_cbranch_vccnz .LBB6_1914
; %bb.1913:
	global_load_ushort v3, v[5:6], off
.LBB6_1914:
	s_mov_b64 s[20:21], 0
.LBB6_1915:
	s_andn2_b64 vcc, exec, s[20:21]
	s_cbranch_vccnz .LBB6_1921
; %bb.1916:
	global_load_ubyte v4, v[5:6], off
	s_movk_i32 s20, 0x7f
	s_mov_b64 s[22:23], 0
	s_waitcnt vmcnt(0)
	v_cmp_lt_i16_e32 vcc, s20, v4
	s_and_saveexec_b64 s[20:21], vcc
	s_xor_b64 s[20:21], exec, s[20:21]
	s_cbranch_execz .LBB6_1933
; %bb.1917:
	s_movk_i32 s22, 0x80
	v_cmp_ne_u16_e32 vcc, s22, v4
	s_and_b64 s[22:23], vcc, exec
	s_andn2_saveexec_b64 s[20:21], s[20:21]
	s_cbranch_execnz .LBB6_1934
.LBB6_1918:
	s_or_b64 exec, exec, s[20:21]
	v_mov_b32_e32 v3, 0
	s_and_saveexec_b64 s[20:21], s[22:23]
	s_cbranch_execz .LBB6_1920
.LBB6_1919:
	v_lshlrev_b32_e32 v3, 24, v4
	v_and_b32_e32 v4, 0xffff, v4
	v_and_b32_e32 v9, 7, v4
	v_ffbh_u32_e32 v12, v9
	v_min_u32_e32 v12, 32, v12
	v_subrev_u32_e32 v13, 28, v12
	v_bfe_u32 v10, v4, 3, 4
	v_lshlrev_b32_e32 v4, v13, v4
	v_sub_u32_e32 v12, 29, v12
	v_and_b32_e32 v4, 7, v4
	v_cmp_eq_u32_e32 vcc, 0, v10
	v_cndmask_b32_e32 v10, v10, v12, vcc
	v_cndmask_b32_e32 v4, v9, v4, vcc
	v_mov_b32_e32 v9, 0x3b800000
	v_lshlrev_b32_e32 v4, 20, v4
	v_and_b32_e32 v3, 0x80000000, v3
	v_lshl_add_u32 v9, v10, 23, v9
	v_or3_b32 v3, v3, v9, v4
	v_trunc_f32_e32 v3, v3
	s_mov_b32 s22, 0x2f800000
	v_mul_f32_e64 v4, |v3|, s22
	v_floor_f32_e32 v4, v4
	s_mov_b32 s22, 0xcf800000
	v_fma_f32 v4, v4, s22, |v3|
	v_cvt_u32_f32_e32 v4, v4
	v_ashrrev_i32_e32 v3, 31, v3
	v_xor_b32_e32 v4, v4, v3
	v_sub_u32_e32 v3, v4, v3
.LBB6_1920:
	s_or_b64 exec, exec, s[20:21]
.LBB6_1921:
	s_mov_b64 s[20:21], -1
.LBB6_1922:
	s_mov_b64 s[22:23], 0
.LBB6_1923:
	s_and_b64 vcc, exec, s[22:23]
	s_cbranch_vccz .LBB6_1954
; %bb.1924:
	s_cmp_gt_i32 s26, 22
	s_cbranch_scc0 .LBB6_1932
; %bb.1925:
	s_cmp_lt_i32 s26, 24
	s_cbranch_scc1 .LBB6_1935
; %bb.1926:
	s_cmp_gt_i32 s26, 24
	s_cbranch_scc0 .LBB6_1936
; %bb.1927:
	global_load_ubyte v4, v[5:6], off
	s_movk_i32 s4, 0x7f
	s_mov_b64 s[20:21], 0
	s_waitcnt vmcnt(0)
	v_cmp_lt_i16_e32 vcc, s4, v4
	s_and_saveexec_b64 s[4:5], vcc
	s_xor_b64 s[4:5], exec, s[4:5]
	s_cbranch_execz .LBB6_1948
; %bb.1928:
	s_movk_i32 s20, 0x80
	v_cmp_ne_u16_e32 vcc, s20, v4
	s_and_b64 s[20:21], vcc, exec
	s_andn2_saveexec_b64 s[4:5], s[4:5]
	s_cbranch_execnz .LBB6_1949
.LBB6_1929:
	s_or_b64 exec, exec, s[4:5]
	v_mov_b32_e32 v3, 0
	s_and_saveexec_b64 s[4:5], s[20:21]
	s_cbranch_execz .LBB6_1931
.LBB6_1930:
	v_lshlrev_b32_e32 v3, 24, v4
	v_and_b32_e32 v4, 0xffff, v4
	v_and_b32_e32 v9, 3, v4
	v_ffbh_u32_e32 v12, v9
	v_min_u32_e32 v12, 32, v12
	v_subrev_u32_e32 v13, 29, v12
	v_bfe_u32 v10, v4, 2, 5
	v_lshlrev_b32_e32 v4, v13, v4
	v_sub_u32_e32 v12, 30, v12
	v_and_b32_e32 v4, 3, v4
	v_cmp_eq_u32_e32 vcc, 0, v10
	v_cndmask_b32_e32 v10, v10, v12, vcc
	v_cndmask_b32_e32 v4, v9, v4, vcc
	v_mov_b32_e32 v9, 0x37800000
	v_lshlrev_b32_e32 v4, 21, v4
	v_and_b32_e32 v3, 0x80000000, v3
	v_lshl_add_u32 v9, v10, 23, v9
	v_or3_b32 v3, v3, v9, v4
	v_trunc_f32_e32 v3, v3
	s_mov_b32 s20, 0x2f800000
	v_mul_f32_e64 v4, |v3|, s20
	v_floor_f32_e32 v4, v4
	s_mov_b32 s20, 0xcf800000
	v_fma_f32 v4, v4, s20, |v3|
	v_cvt_u32_f32_e32 v4, v4
	v_ashrrev_i32_e32 v3, 31, v3
	v_xor_b32_e32 v4, v4, v3
	v_sub_u32_e32 v3, v4, v3
.LBB6_1931:
	s_or_b64 exec, exec, s[4:5]
	s_mov_b64 s[4:5], 0
	s_branch .LBB6_1937
.LBB6_1932:
	s_mov_b64 s[4:5], -1
                                        ; implicit-def: $vgpr3
	s_branch .LBB6_1943
.LBB6_1933:
	s_andn2_saveexec_b64 s[20:21], s[20:21]
	s_cbranch_execz .LBB6_1918
.LBB6_1934:
	v_cmp_ne_u16_e32 vcc, 0, v4
	s_andn2_b64 s[22:23], s[22:23], exec
	s_and_b64 s[28:29], vcc, exec
	s_or_b64 s[22:23], s[22:23], s[28:29]
	s_or_b64 exec, exec, s[20:21]
	v_mov_b32_e32 v3, 0
	s_and_saveexec_b64 s[20:21], s[22:23]
	s_cbranch_execnz .LBB6_1919
	s_branch .LBB6_1920
.LBB6_1935:
	s_mov_b64 s[4:5], -1
                                        ; implicit-def: $vgpr3
	s_branch .LBB6_1940
.LBB6_1936:
	s_mov_b64 s[4:5], -1
                                        ; implicit-def: $vgpr3
.LBB6_1937:
	s_and_b64 vcc, exec, s[4:5]
	s_cbranch_vccz .LBB6_1939
; %bb.1938:
	global_load_ubyte v3, v[5:6], off
	s_mov_b32 s4, 0x7f800000
	s_brev_b32 s5, 1
	s_mov_b32 s20, 0x2f800000
	s_waitcnt vmcnt(0)
	v_lshlrev_b32_e32 v3, 24, v3
	v_and_b32_e32 v4, 0x7f000000, v3
	v_ffbh_u32_e32 v9, v4
	v_min_u32_e32 v9, 32, v9
	v_sub_u32_e64 v9, v9, 4 clamp
	v_lshlrev_b32_e32 v12, v9, v4
	v_lshlrev_b32_e32 v9, 23, v9
	v_lshrrev_b32_e32 v12, 4, v12
	v_add_u32_e32 v10, 0x1000000, v4
	v_sub_u32_e32 v9, v12, v9
	v_ashrrev_i32_e32 v10, 8, v10
	v_add_u32_e32 v9, 0x3c000000, v9
	v_and_or_b32 v9, v10, s4, v9
	v_cmp_ne_u32_e32 vcc, 0, v4
	v_cndmask_b32_e32 v4, 0, v9, vcc
	v_and_or_b32 v3, v3, s5, v4
	v_trunc_f32_e32 v3, v3
	v_mul_f32_e64 v4, |v3|, s20
	v_floor_f32_e32 v4, v4
	s_mov_b32 s4, 0xcf800000
	v_fma_f32 v4, v4, s4, |v3|
	v_cvt_u32_f32_e32 v4, v4
	v_ashrrev_i32_e32 v3, 31, v3
	v_xor_b32_e32 v4, v4, v3
	v_sub_u32_e32 v3, v4, v3
.LBB6_1939:
	s_mov_b64 s[4:5], 0
.LBB6_1940:
	s_andn2_b64 vcc, exec, s[4:5]
	s_cbranch_vccnz .LBB6_1942
; %bb.1941:
	global_load_ubyte v3, v[5:6], off
	s_movk_i32 s4, 0x7f00
	s_brev_b32 s5, 16
	s_brev_b32 s20, 1
	s_mov_b32 s21, 0x2f800000
	s_waitcnt vmcnt(0)
	v_lshlrev_b16_e32 v4, 8, v3
	v_lshlrev_b32_e32 v3, 25, v3
	v_lshrrev_b32_e32 v9, 4, v3
	v_and_or_b32 v10, v4, s4, 0.5
	v_or_b32_e32 v9, 0x70000000, v9
	v_add_f32_e32 v10, -0.5, v10
	v_mul_f32_e32 v9, 0x7800000, v9
	v_cmp_gt_u32_e32 vcc, s5, v3
	v_bfe_i32 v4, v4, 0, 16
	v_cndmask_b32_e32 v3, v9, v10, vcc
	v_and_or_b32 v3, v4, s20, v3
	v_trunc_f32_e32 v3, v3
	v_mul_f32_e64 v4, |v3|, s21
	v_floor_f32_e32 v4, v4
	s_mov_b32 s4, 0xcf800000
	v_fma_f32 v4, v4, s4, |v3|
	v_cvt_u32_f32_e32 v4, v4
	v_ashrrev_i32_e32 v3, 31, v3
	v_xor_b32_e32 v4, v4, v3
	v_sub_u32_e32 v3, v4, v3
.LBB6_1942:
	s_mov_b64 s[4:5], 0
	s_mov_b64 s[20:21], -1
.LBB6_1943:
	s_andn2_b64 vcc, exec, s[4:5]
	s_mov_b64 s[4:5], 0
	s_cbranch_vccnz .LBB6_1954
; %bb.1944:
	s_cmp_gt_i32 s26, 14
	s_cbranch_scc0 .LBB6_1947
; %bb.1945:
	s_cmp_eq_u32 s26, 15
	s_cbranch_scc0 .LBB6_1950
; %bb.1946:
	global_load_ushort v3, v[5:6], off
	s_mov_b32 s0, 0x2f800000
	s_mov_b32 s1, 0xcf800000
	s_mov_b64 s[20:21], -1
	s_waitcnt vmcnt(0)
	v_lshlrev_b32_e32 v3, 16, v3
	v_trunc_f32_e32 v3, v3
	v_mul_f32_e64 v4, |v3|, s0
	v_floor_f32_e32 v4, v4
	v_fma_f32 v4, v4, s1, |v3|
	v_cvt_u32_f32_e32 v4, v4
	v_ashrrev_i32_e32 v3, 31, v3
	s_mov_b64 s[0:1], 0
	v_xor_b32_e32 v4, v4, v3
	v_sub_u32_e32 v3, v4, v3
	s_branch .LBB6_1951
.LBB6_1947:
	s_mov_b64 s[22:23], -1
                                        ; implicit-def: $vgpr3
	s_branch .LBB6_1952
.LBB6_1948:
	s_andn2_saveexec_b64 s[4:5], s[4:5]
	s_cbranch_execz .LBB6_1929
.LBB6_1949:
	v_cmp_ne_u16_e32 vcc, 0, v4
	s_andn2_b64 s[20:21], s[20:21], exec
	s_and_b64 s[22:23], vcc, exec
	s_or_b64 s[20:21], s[20:21], s[22:23]
	s_or_b64 exec, exec, s[4:5]
	v_mov_b32_e32 v3, 0
	s_and_saveexec_b64 s[4:5], s[20:21]
	s_cbranch_execnz .LBB6_1930
	s_branch .LBB6_1931
.LBB6_1950:
	s_mov_b64 s[0:1], -1
                                        ; implicit-def: $vgpr3
.LBB6_1951:
	s_mov_b64 s[22:23], 0
.LBB6_1952:
	s_and_b64 vcc, exec, s[22:23]
	s_cbranch_vccz .LBB6_1954
; %bb.1953:
	s_cmp_lg_u32 s26, 11
	s_mov_b64 s[4:5], -1
	s_cselect_b64 s[0:1], -1, 0
.LBB6_1954:
	s_and_b64 vcc, exec, s[0:1]
	s_cbranch_vccnz .LBB6_2019
; %bb.1955:
	s_andn2_b64 vcc, exec, s[4:5]
	s_cbranch_vccnz .LBB6_1957
.LBB6_1956:
	global_load_ubyte v3, v[5:6], off
	s_mov_b64 s[20:21], -1
	s_waitcnt vmcnt(0)
	v_cmp_ne_u16_e32 vcc, 0, v3
	v_cndmask_b32_e64 v3, 0, 1, vcc
.LBB6_1957:
	s_mov_b64 s[0:1], 0
.LBB6_1958:
	s_and_b64 vcc, exec, s[0:1]
	s_cbranch_vccz .LBB6_2007
; %bb.1959:
	s_and_b32 s4, 0xffff, s25
	s_cmp_lt_i32 s4, 5
	s_cbranch_scc1 .LBB6_1964
; %bb.1960:
	s_cmp_lt_i32 s4, 8
	s_cbranch_scc1 .LBB6_1965
; %bb.1961:
	s_cmp_lt_i32 s4, 9
	s_cbranch_scc1 .LBB6_1966
; %bb.1962:
	s_cmp_gt_i32 s4, 9
	s_cbranch_scc0 .LBB6_1967
; %bb.1963:
	global_load_dwordx2 v[3:4], v[5:6], off
	s_movk_i32 s0, 0xffe0
	s_waitcnt vmcnt(0)
	v_trunc_f64_e32 v[3:4], v[3:4]
	v_ldexp_f64 v[9:10], v[3:4], s0
	s_mov_b32 s0, 0
	s_mov_b32 s1, 0xc1f00000
	v_floor_f64_e32 v[9:10], v[9:10]
	v_fma_f64 v[3:4], v[9:10], s[0:1], v[3:4]
	s_mov_b64 s[0:1], 0
	v_cvt_u32_f64_e32 v3, v[3:4]
	s_branch .LBB6_1968
.LBB6_1964:
	s_mov_b64 s[0:1], -1
                                        ; implicit-def: $vgpr3
	s_branch .LBB6_1986
.LBB6_1965:
	s_mov_b64 s[0:1], -1
                                        ; implicit-def: $vgpr3
	s_branch .LBB6_1974
.LBB6_1966:
	s_mov_b64 s[0:1], -1
                                        ; implicit-def: $vgpr3
	s_branch .LBB6_1971
.LBB6_1967:
	s_mov_b64 s[0:1], -1
                                        ; implicit-def: $vgpr3
.LBB6_1968:
	s_andn2_b64 vcc, exec, s[0:1]
	s_cbranch_vccnz .LBB6_1970
; %bb.1969:
	global_load_dword v3, v[5:6], off
	s_mov_b32 s0, 0x2f800000
	s_waitcnt vmcnt(0)
	v_trunc_f32_e32 v3, v3
	v_mul_f32_e64 v4, |v3|, s0
	v_floor_f32_e32 v4, v4
	s_mov_b32 s0, 0xcf800000
	v_fma_f32 v4, v4, s0, |v3|
	v_cvt_u32_f32_e32 v4, v4
	v_ashrrev_i32_e32 v3, 31, v3
	v_xor_b32_e32 v4, v4, v3
	v_sub_u32_e32 v3, v4, v3
.LBB6_1970:
	s_mov_b64 s[0:1], 0
.LBB6_1971:
	s_andn2_b64 vcc, exec, s[0:1]
	s_cbranch_vccnz .LBB6_1973
; %bb.1972:
	global_load_dword v3, v[5:6], off
	s_waitcnt vmcnt(0)
	v_cvt_f32_f16_e32 v3, v3
	v_cvt_i32_f32_e32 v3, v3
.LBB6_1973:
	s_mov_b64 s[0:1], 0
.LBB6_1974:
	s_andn2_b64 vcc, exec, s[0:1]
	s_cbranch_vccnz .LBB6_1985
; %bb.1975:
	s_cmp_lt_i32 s4, 6
	s_cbranch_scc1 .LBB6_1978
; %bb.1976:
	s_cmp_gt_i32 s4, 6
	s_cbranch_scc0 .LBB6_1979
; %bb.1977:
	global_load_dwordx2 v[3:4], v[5:6], off
	s_movk_i32 s0, 0xffe0
	s_waitcnt vmcnt(0)
	v_trunc_f64_e32 v[3:4], v[3:4]
	v_ldexp_f64 v[9:10], v[3:4], s0
	s_mov_b32 s0, 0
	s_mov_b32 s1, 0xc1f00000
	v_floor_f64_e32 v[9:10], v[9:10]
	v_fma_f64 v[3:4], v[9:10], s[0:1], v[3:4]
	s_mov_b64 s[0:1], 0
	v_cvt_u32_f64_e32 v3, v[3:4]
	s_branch .LBB6_1980
.LBB6_1978:
	s_mov_b64 s[0:1], -1
                                        ; implicit-def: $vgpr3
	s_branch .LBB6_1983
.LBB6_1979:
	s_mov_b64 s[0:1], -1
                                        ; implicit-def: $vgpr3
.LBB6_1980:
	s_andn2_b64 vcc, exec, s[0:1]
	s_cbranch_vccnz .LBB6_1982
; %bb.1981:
	global_load_dword v3, v[5:6], off
	s_mov_b32 s0, 0x2f800000
	s_waitcnt vmcnt(0)
	v_trunc_f32_e32 v3, v3
	v_mul_f32_e64 v4, |v3|, s0
	v_floor_f32_e32 v4, v4
	s_mov_b32 s0, 0xcf800000
	v_fma_f32 v4, v4, s0, |v3|
	v_cvt_u32_f32_e32 v4, v4
	v_ashrrev_i32_e32 v3, 31, v3
	v_xor_b32_e32 v4, v4, v3
	v_sub_u32_e32 v3, v4, v3
.LBB6_1982:
	s_mov_b64 s[0:1], 0
.LBB6_1983:
	s_andn2_b64 vcc, exec, s[0:1]
	s_cbranch_vccnz .LBB6_1985
; %bb.1984:
	global_load_ushort v3, v[5:6], off
	s_waitcnt vmcnt(0)
	v_cvt_f32_f16_e32 v3, v3
	v_cvt_i32_f32_e32 v3, v3
.LBB6_1985:
	s_mov_b64 s[0:1], 0
.LBB6_1986:
	s_andn2_b64 vcc, exec, s[0:1]
	s_cbranch_vccnz .LBB6_2006
; %bb.1987:
	s_cmp_lt_i32 s4, 2
	s_cbranch_scc1 .LBB6_1991
; %bb.1988:
	s_cmp_lt_i32 s4, 3
	s_cbranch_scc1 .LBB6_1992
; %bb.1989:
	s_cmp_gt_i32 s4, 3
	s_cbranch_scc0 .LBB6_1993
; %bb.1990:
	global_load_dwordx2 v[3:4], v[5:6], off
	s_mov_b64 s[0:1], 0
	s_branch .LBB6_1994
.LBB6_1991:
	s_mov_b64 s[0:1], -1
                                        ; implicit-def: $vgpr3
	s_branch .LBB6_2000
.LBB6_1992:
	s_mov_b64 s[0:1], -1
                                        ; implicit-def: $vgpr3
	s_branch .LBB6_1997
.LBB6_1993:
	s_mov_b64 s[0:1], -1
                                        ; implicit-def: $vgpr3
.LBB6_1994:
	s_andn2_b64 vcc, exec, s[0:1]
	s_cbranch_vccnz .LBB6_1996
; %bb.1995:
	global_load_dword v3, v[5:6], off
.LBB6_1996:
	s_mov_b64 s[0:1], 0
.LBB6_1997:
	s_andn2_b64 vcc, exec, s[0:1]
	s_cbranch_vccnz .LBB6_1999
; %bb.1998:
	global_load_ushort v3, v[5:6], off
.LBB6_1999:
	s_mov_b64 s[0:1], 0
.LBB6_2000:
	s_andn2_b64 vcc, exec, s[0:1]
	s_cbranch_vccnz .LBB6_2006
; %bb.2001:
	s_cmp_gt_i32 s4, 0
	s_cbranch_scc0 .LBB6_2003
; %bb.2002:
	global_load_ubyte v3, v[5:6], off
	s_mov_b64 s[0:1], 0
	s_branch .LBB6_2004
.LBB6_2003:
	s_mov_b64 s[0:1], -1
                                        ; implicit-def: $vgpr3
.LBB6_2004:
	s_andn2_b64 vcc, exec, s[0:1]
	s_cbranch_vccnz .LBB6_2006
; %bb.2005:
	global_load_ubyte v3, v[5:6], off
.LBB6_2006:
	s_mov_b64 s[20:21], -1
.LBB6_2007:
	s_andn2_b64 vcc, exec, s[20:21]
	s_cbranch_vccnz .LBB6_2947
; %bb.2008:
	v_add_u32_e32 v9, s13, v7
	s_waitcnt vmcnt(0)
	v_ashrrev_i32_e32 v4, 31, v9
	v_mov_b32_e32 v5, s11
	v_add_co_u32_e32 v6, vcc, s10, v9
	s_cmp_lt_i32 s24, 11
	v_addc_co_u32_e32 v7, vcc, v5, v4, vcc
	s_cbranch_scc1 .LBB6_2015
; %bb.2009:
	s_and_b32 s26, 0xffff, s24
	s_cmp_gt_i32 s26, 25
	s_mov_b64 s[4:5], 0
	s_cbranch_scc0 .LBB6_2016
; %bb.2010:
	s_cmp_gt_i32 s26, 28
	s_cbranch_scc0 .LBB6_2017
; %bb.2011:
	s_cmp_gt_i32 s26, 43
	;; [unrolled: 3-line block ×3, first 2 shown]
	s_cbranch_scc0 .LBB6_2020
; %bb.2013:
	s_cmp_eq_u32 s26, 46
	s_mov_b64 s[22:23], 0
	s_cbranch_scc0 .LBB6_2021
; %bb.2014:
	global_load_dword v4, v[6:7], off
	s_mov_b32 s0, 0x2f800000
	s_mov_b32 s1, 0xcf800000
	s_mov_b64 s[20:21], -1
	s_waitcnt vmcnt(0)
	v_lshlrev_b32_e32 v4, 16, v4
	v_trunc_f32_e32 v4, v4
	v_mul_f32_e64 v5, |v4|, s0
	v_floor_f32_e32 v5, v5
	v_fma_f32 v5, v5, s1, |v4|
	v_cvt_u32_f32_e32 v5, v5
	v_ashrrev_i32_e32 v4, 31, v4
	s_mov_b64 s[0:1], 0
	v_xor_b32_e32 v5, v5, v4
	v_sub_u32_e32 v4, v5, v4
	s_branch .LBB6_2022
.LBB6_2015:
	s_mov_b64 s[0:1], -1
	s_mov_b64 s[20:21], 0
                                        ; implicit-def: $vgpr4
	s_branch .LBB6_2084
.LBB6_2016:
	s_mov_b64 s[22:23], -1
	s_mov_b64 s[20:21], 0
	s_mov_b64 s[0:1], 0
                                        ; implicit-def: $vgpr4
	s_branch .LBB6_2049
.LBB6_2017:
	s_mov_b64 s[22:23], -1
	s_mov_b64 s[20:21], 0
	s_mov_b64 s[0:1], 0
                                        ; implicit-def: $vgpr4
	s_branch .LBB6_2032
.LBB6_2018:
	s_mov_b64 s[22:23], -1
	s_mov_b64 s[20:21], 0
	s_mov_b64 s[0:1], 0
                                        ; implicit-def: $vgpr4
	s_branch .LBB6_2027
.LBB6_2019:
	s_trap 2
	s_or_b64 s[18:19], s[18:19], exec
	s_cbranch_execz .LBB6_1956
	s_branch .LBB6_1957
.LBB6_2020:
	s_mov_b64 s[22:23], -1
	s_mov_b64 s[20:21], 0
	s_mov_b64 s[0:1], 0
                                        ; implicit-def: $vgpr4
	s_branch .LBB6_2022
.LBB6_2021:
	s_mov_b64 s[0:1], -1
                                        ; implicit-def: $vgpr4
	s_mov_b64 s[20:21], 0
.LBB6_2022:
	s_and_b64 vcc, exec, s[22:23]
	s_cbranch_vccz .LBB6_2026
; %bb.2023:
	s_cmp_eq_u32 s26, 44
	s_cbranch_scc0 .LBB6_2025
; %bb.2024:
	global_load_ubyte v4, v[6:7], off
	s_mov_b32 s0, 0x2f800000
	s_mov_b32 s1, 0xcf800000
	s_mov_b64 s[20:21], -1
	s_waitcnt vmcnt(0)
	v_lshlrev_b32_e32 v5, 23, v4
	v_trunc_f32_e32 v5, v5
	v_mul_f32_e64 v10, |v5|, s0
	v_floor_f32_e32 v10, v10
	v_fma_f32 v10, v10, s1, |v5|
	v_cvt_u32_f32_e32 v10, v10
	v_ashrrev_i32_e32 v5, 31, v5
	v_cmp_ne_u32_e32 vcc, 0, v4
	s_mov_b64 s[0:1], 0
	v_xor_b32_e32 v10, v10, v5
	v_sub_u32_e32 v5, v10, v5
	v_cndmask_b32_e32 v4, 0, v5, vcc
	s_branch .LBB6_2026
.LBB6_2025:
	s_mov_b64 s[0:1], -1
                                        ; implicit-def: $vgpr4
.LBB6_2026:
	s_mov_b64 s[22:23], 0
.LBB6_2027:
	s_and_b64 vcc, exec, s[22:23]
	s_cbranch_vccz .LBB6_2031
; %bb.2028:
	s_cmp_eq_u32 s26, 29
	s_cbranch_scc0 .LBB6_2030
; %bb.2029:
	global_load_dwordx2 v[4:5], v[6:7], off
	s_mov_b64 s[0:1], 0
	s_mov_b64 s[20:21], -1
	s_branch .LBB6_2031
.LBB6_2030:
	s_mov_b64 s[0:1], -1
                                        ; implicit-def: $vgpr4
.LBB6_2031:
	s_mov_b64 s[22:23], 0
.LBB6_2032:
	s_and_b64 vcc, exec, s[22:23]
	s_cbranch_vccz .LBB6_2048
; %bb.2033:
	s_cmp_lt_i32 s26, 27
	s_cbranch_scc1 .LBB6_2036
; %bb.2034:
	s_cmp_gt_i32 s26, 27
	s_cbranch_scc0 .LBB6_2037
; %bb.2035:
	global_load_dword v4, v[6:7], off
	s_mov_b64 s[20:21], 0
	s_branch .LBB6_2038
.LBB6_2036:
	s_mov_b64 s[20:21], -1
                                        ; implicit-def: $vgpr4
	s_branch .LBB6_2041
.LBB6_2037:
	s_mov_b64 s[20:21], -1
                                        ; implicit-def: $vgpr4
.LBB6_2038:
	s_andn2_b64 vcc, exec, s[20:21]
	s_cbranch_vccnz .LBB6_2040
; %bb.2039:
	global_load_ushort v4, v[6:7], off
.LBB6_2040:
	s_mov_b64 s[20:21], 0
.LBB6_2041:
	s_andn2_b64 vcc, exec, s[20:21]
	s_cbranch_vccnz .LBB6_2047
; %bb.2042:
	global_load_ubyte v5, v[6:7], off
	s_movk_i32 s20, 0x7f
	s_mov_b64 s[22:23], 0
	s_waitcnt vmcnt(0)
	v_cmp_lt_i16_e32 vcc, s20, v5
	s_and_saveexec_b64 s[20:21], vcc
	s_xor_b64 s[20:21], exec, s[20:21]
	s_cbranch_execz .LBB6_2059
; %bb.2043:
	s_movk_i32 s22, 0x80
	v_cmp_ne_u16_e32 vcc, s22, v5
	s_and_b64 s[22:23], vcc, exec
	s_andn2_saveexec_b64 s[20:21], s[20:21]
	s_cbranch_execnz .LBB6_2060
.LBB6_2044:
	s_or_b64 exec, exec, s[20:21]
	v_mov_b32_e32 v4, 0
	s_and_saveexec_b64 s[20:21], s[22:23]
	s_cbranch_execz .LBB6_2046
.LBB6_2045:
	v_lshlrev_b32_e32 v4, 24, v5
	v_and_b32_e32 v5, 0xffff, v5
	v_and_b32_e32 v10, 7, v5
	v_ffbh_u32_e32 v13, v10
	v_min_u32_e32 v13, 32, v13
	v_subrev_u32_e32 v14, 28, v13
	v_bfe_u32 v12, v5, 3, 4
	v_lshlrev_b32_e32 v5, v14, v5
	v_sub_u32_e32 v13, 29, v13
	v_and_b32_e32 v5, 7, v5
	v_cmp_eq_u32_e32 vcc, 0, v12
	v_cndmask_b32_e32 v12, v12, v13, vcc
	v_cndmask_b32_e32 v5, v10, v5, vcc
	v_mov_b32_e32 v10, 0x3b800000
	v_lshlrev_b32_e32 v5, 20, v5
	v_and_b32_e32 v4, 0x80000000, v4
	v_lshl_add_u32 v10, v12, 23, v10
	v_or3_b32 v4, v4, v10, v5
	v_trunc_f32_e32 v4, v4
	s_mov_b32 s22, 0x2f800000
	v_mul_f32_e64 v5, |v4|, s22
	v_floor_f32_e32 v5, v5
	s_mov_b32 s22, 0xcf800000
	v_fma_f32 v5, v5, s22, |v4|
	v_cvt_u32_f32_e32 v5, v5
	v_ashrrev_i32_e32 v4, 31, v4
	v_xor_b32_e32 v5, v5, v4
	v_sub_u32_e32 v4, v5, v4
.LBB6_2046:
	s_or_b64 exec, exec, s[20:21]
.LBB6_2047:
	s_mov_b64 s[20:21], -1
.LBB6_2048:
	s_mov_b64 s[22:23], 0
.LBB6_2049:
	s_and_b64 vcc, exec, s[22:23]
	s_cbranch_vccz .LBB6_2080
; %bb.2050:
	s_cmp_gt_i32 s26, 22
	s_cbranch_scc0 .LBB6_2058
; %bb.2051:
	s_cmp_lt_i32 s26, 24
	s_cbranch_scc1 .LBB6_2061
; %bb.2052:
	s_cmp_gt_i32 s26, 24
	s_cbranch_scc0 .LBB6_2062
; %bb.2053:
	global_load_ubyte v5, v[6:7], off
	s_movk_i32 s4, 0x7f
	s_mov_b64 s[20:21], 0
	s_waitcnt vmcnt(0)
	v_cmp_lt_i16_e32 vcc, s4, v5
	s_and_saveexec_b64 s[4:5], vcc
	s_xor_b64 s[4:5], exec, s[4:5]
	s_cbranch_execz .LBB6_2074
; %bb.2054:
	s_movk_i32 s20, 0x80
	v_cmp_ne_u16_e32 vcc, s20, v5
	s_and_b64 s[20:21], vcc, exec
	s_andn2_saveexec_b64 s[4:5], s[4:5]
	s_cbranch_execnz .LBB6_2075
.LBB6_2055:
	s_or_b64 exec, exec, s[4:5]
	v_mov_b32_e32 v4, 0
	s_and_saveexec_b64 s[4:5], s[20:21]
	s_cbranch_execz .LBB6_2057
.LBB6_2056:
	v_lshlrev_b32_e32 v4, 24, v5
	v_and_b32_e32 v5, 0xffff, v5
	v_and_b32_e32 v10, 3, v5
	v_ffbh_u32_e32 v13, v10
	v_min_u32_e32 v13, 32, v13
	v_subrev_u32_e32 v14, 29, v13
	v_bfe_u32 v12, v5, 2, 5
	v_lshlrev_b32_e32 v5, v14, v5
	v_sub_u32_e32 v13, 30, v13
	v_and_b32_e32 v5, 3, v5
	v_cmp_eq_u32_e32 vcc, 0, v12
	v_cndmask_b32_e32 v12, v12, v13, vcc
	v_cndmask_b32_e32 v5, v10, v5, vcc
	v_mov_b32_e32 v10, 0x37800000
	v_lshlrev_b32_e32 v5, 21, v5
	v_and_b32_e32 v4, 0x80000000, v4
	v_lshl_add_u32 v10, v12, 23, v10
	v_or3_b32 v4, v4, v10, v5
	v_trunc_f32_e32 v4, v4
	s_mov_b32 s20, 0x2f800000
	v_mul_f32_e64 v5, |v4|, s20
	v_floor_f32_e32 v5, v5
	s_mov_b32 s20, 0xcf800000
	v_fma_f32 v5, v5, s20, |v4|
	v_cvt_u32_f32_e32 v5, v5
	v_ashrrev_i32_e32 v4, 31, v4
	v_xor_b32_e32 v5, v5, v4
	v_sub_u32_e32 v4, v5, v4
.LBB6_2057:
	s_or_b64 exec, exec, s[4:5]
	s_mov_b64 s[4:5], 0
	s_branch .LBB6_2063
.LBB6_2058:
	s_mov_b64 s[4:5], -1
                                        ; implicit-def: $vgpr4
	s_branch .LBB6_2069
.LBB6_2059:
	s_andn2_saveexec_b64 s[20:21], s[20:21]
	s_cbranch_execz .LBB6_2044
.LBB6_2060:
	v_cmp_ne_u16_e32 vcc, 0, v5
	s_andn2_b64 s[22:23], s[22:23], exec
	s_and_b64 s[28:29], vcc, exec
	s_or_b64 s[22:23], s[22:23], s[28:29]
	s_or_b64 exec, exec, s[20:21]
	v_mov_b32_e32 v4, 0
	s_and_saveexec_b64 s[20:21], s[22:23]
	s_cbranch_execnz .LBB6_2045
	s_branch .LBB6_2046
.LBB6_2061:
	s_mov_b64 s[4:5], -1
                                        ; implicit-def: $vgpr4
	s_branch .LBB6_2066
.LBB6_2062:
	s_mov_b64 s[4:5], -1
                                        ; implicit-def: $vgpr4
.LBB6_2063:
	s_and_b64 vcc, exec, s[4:5]
	s_cbranch_vccz .LBB6_2065
; %bb.2064:
	global_load_ubyte v4, v[6:7], off
	s_mov_b32 s4, 0x7f800000
	s_brev_b32 s5, 1
	s_mov_b32 s20, 0x2f800000
	s_waitcnt vmcnt(0)
	v_lshlrev_b32_e32 v4, 24, v4
	v_and_b32_e32 v5, 0x7f000000, v4
	v_ffbh_u32_e32 v10, v5
	v_min_u32_e32 v10, 32, v10
	v_sub_u32_e64 v10, v10, 4 clamp
	v_lshlrev_b32_e32 v13, v10, v5
	v_lshlrev_b32_e32 v10, 23, v10
	v_lshrrev_b32_e32 v13, 4, v13
	v_add_u32_e32 v12, 0x1000000, v5
	v_sub_u32_e32 v10, v13, v10
	v_ashrrev_i32_e32 v12, 8, v12
	v_add_u32_e32 v10, 0x3c000000, v10
	v_and_or_b32 v10, v12, s4, v10
	v_cmp_ne_u32_e32 vcc, 0, v5
	v_cndmask_b32_e32 v5, 0, v10, vcc
	v_and_or_b32 v4, v4, s5, v5
	v_trunc_f32_e32 v4, v4
	v_mul_f32_e64 v5, |v4|, s20
	v_floor_f32_e32 v5, v5
	s_mov_b32 s4, 0xcf800000
	v_fma_f32 v5, v5, s4, |v4|
	v_cvt_u32_f32_e32 v5, v5
	v_ashrrev_i32_e32 v4, 31, v4
	v_xor_b32_e32 v5, v5, v4
	v_sub_u32_e32 v4, v5, v4
.LBB6_2065:
	s_mov_b64 s[4:5], 0
.LBB6_2066:
	s_andn2_b64 vcc, exec, s[4:5]
	s_cbranch_vccnz .LBB6_2068
; %bb.2067:
	global_load_ubyte v4, v[6:7], off
	s_movk_i32 s4, 0x7f00
	s_brev_b32 s5, 16
	s_brev_b32 s20, 1
	s_mov_b32 s21, 0x2f800000
	s_waitcnt vmcnt(0)
	v_lshlrev_b16_e32 v5, 8, v4
	v_lshlrev_b32_e32 v4, 25, v4
	v_lshrrev_b32_e32 v10, 4, v4
	v_and_or_b32 v12, v5, s4, 0.5
	v_or_b32_e32 v10, 0x70000000, v10
	v_add_f32_e32 v12, -0.5, v12
	v_mul_f32_e32 v10, 0x7800000, v10
	v_cmp_gt_u32_e32 vcc, s5, v4
	v_bfe_i32 v5, v5, 0, 16
	v_cndmask_b32_e32 v4, v10, v12, vcc
	v_and_or_b32 v4, v5, s20, v4
	v_trunc_f32_e32 v4, v4
	v_mul_f32_e64 v5, |v4|, s21
	v_floor_f32_e32 v5, v5
	s_mov_b32 s4, 0xcf800000
	v_fma_f32 v5, v5, s4, |v4|
	v_cvt_u32_f32_e32 v5, v5
	v_ashrrev_i32_e32 v4, 31, v4
	v_xor_b32_e32 v5, v5, v4
	v_sub_u32_e32 v4, v5, v4
.LBB6_2068:
	s_mov_b64 s[4:5], 0
	s_mov_b64 s[20:21], -1
.LBB6_2069:
	s_andn2_b64 vcc, exec, s[4:5]
	s_mov_b64 s[4:5], 0
	s_cbranch_vccnz .LBB6_2080
; %bb.2070:
	s_cmp_gt_i32 s26, 14
	s_cbranch_scc0 .LBB6_2073
; %bb.2071:
	s_cmp_eq_u32 s26, 15
	s_cbranch_scc0 .LBB6_2076
; %bb.2072:
	global_load_ushort v4, v[6:7], off
	s_mov_b32 s0, 0x2f800000
	s_mov_b32 s1, 0xcf800000
	s_mov_b64 s[20:21], -1
	s_waitcnt vmcnt(0)
	v_lshlrev_b32_e32 v4, 16, v4
	v_trunc_f32_e32 v4, v4
	v_mul_f32_e64 v5, |v4|, s0
	v_floor_f32_e32 v5, v5
	v_fma_f32 v5, v5, s1, |v4|
	v_cvt_u32_f32_e32 v5, v5
	v_ashrrev_i32_e32 v4, 31, v4
	s_mov_b64 s[0:1], 0
	v_xor_b32_e32 v5, v5, v4
	v_sub_u32_e32 v4, v5, v4
	s_branch .LBB6_2077
.LBB6_2073:
	s_mov_b64 s[22:23], -1
                                        ; implicit-def: $vgpr4
	s_branch .LBB6_2078
.LBB6_2074:
	s_andn2_saveexec_b64 s[4:5], s[4:5]
	s_cbranch_execz .LBB6_2055
.LBB6_2075:
	v_cmp_ne_u16_e32 vcc, 0, v5
	s_andn2_b64 s[20:21], s[20:21], exec
	s_and_b64 s[22:23], vcc, exec
	s_or_b64 s[20:21], s[20:21], s[22:23]
	s_or_b64 exec, exec, s[4:5]
	v_mov_b32_e32 v4, 0
	s_and_saveexec_b64 s[4:5], s[20:21]
	s_cbranch_execnz .LBB6_2056
	s_branch .LBB6_2057
.LBB6_2076:
	s_mov_b64 s[0:1], -1
                                        ; implicit-def: $vgpr4
.LBB6_2077:
	s_mov_b64 s[22:23], 0
.LBB6_2078:
	s_and_b64 vcc, exec, s[22:23]
	s_cbranch_vccz .LBB6_2080
; %bb.2079:
	s_cmp_lg_u32 s26, 11
	s_mov_b64 s[4:5], -1
	s_cselect_b64 s[0:1], -1, 0
.LBB6_2080:
	s_and_b64 vcc, exec, s[0:1]
	s_cbranch_vccnz .LBB6_2145
; %bb.2081:
	s_andn2_b64 vcc, exec, s[4:5]
	s_cbranch_vccnz .LBB6_2083
.LBB6_2082:
	global_load_ubyte v4, v[6:7], off
	s_mov_b64 s[20:21], -1
	s_waitcnt vmcnt(0)
	v_cmp_ne_u16_e32 vcc, 0, v4
	v_cndmask_b32_e64 v4, 0, 1, vcc
.LBB6_2083:
	s_mov_b64 s[0:1], 0
.LBB6_2084:
	s_and_b64 vcc, exec, s[0:1]
	s_cbranch_vccz .LBB6_2133
; %bb.2085:
	s_and_b32 s4, 0xffff, s24
	s_cmp_lt_i32 s4, 5
	s_cbranch_scc1 .LBB6_2090
; %bb.2086:
	s_cmp_lt_i32 s4, 8
	s_cbranch_scc1 .LBB6_2091
; %bb.2087:
	;; [unrolled: 3-line block ×3, first 2 shown]
	s_cmp_gt_i32 s4, 9
	s_cbranch_scc0 .LBB6_2093
; %bb.2089:
	global_load_dwordx2 v[4:5], v[6:7], off
	s_movk_i32 s0, 0xffe0
	s_waitcnt vmcnt(0)
	v_trunc_f64_e32 v[4:5], v[4:5]
	v_ldexp_f64 v[12:13], v[4:5], s0
	s_mov_b32 s0, 0
	s_mov_b32 s1, 0xc1f00000
	v_floor_f64_e32 v[12:13], v[12:13]
	v_fma_f64 v[4:5], v[12:13], s[0:1], v[4:5]
	s_mov_b64 s[0:1], 0
	v_cvt_u32_f64_e32 v4, v[4:5]
	s_branch .LBB6_2094
.LBB6_2090:
	s_mov_b64 s[0:1], -1
                                        ; implicit-def: $vgpr4
	s_branch .LBB6_2112
.LBB6_2091:
	s_mov_b64 s[0:1], -1
                                        ; implicit-def: $vgpr4
	s_branch .LBB6_2100
.LBB6_2092:
	s_mov_b64 s[0:1], -1
                                        ; implicit-def: $vgpr4
	s_branch .LBB6_2097
.LBB6_2093:
	s_mov_b64 s[0:1], -1
                                        ; implicit-def: $vgpr4
.LBB6_2094:
	s_andn2_b64 vcc, exec, s[0:1]
	s_cbranch_vccnz .LBB6_2096
; %bb.2095:
	global_load_dword v4, v[6:7], off
	s_mov_b32 s0, 0x2f800000
	s_waitcnt vmcnt(0)
	v_trunc_f32_e32 v4, v4
	v_mul_f32_e64 v5, |v4|, s0
	v_floor_f32_e32 v5, v5
	s_mov_b32 s0, 0xcf800000
	v_fma_f32 v5, v5, s0, |v4|
	v_cvt_u32_f32_e32 v5, v5
	v_ashrrev_i32_e32 v4, 31, v4
	v_xor_b32_e32 v5, v5, v4
	v_sub_u32_e32 v4, v5, v4
.LBB6_2096:
	s_mov_b64 s[0:1], 0
.LBB6_2097:
	s_andn2_b64 vcc, exec, s[0:1]
	s_cbranch_vccnz .LBB6_2099
; %bb.2098:
	global_load_dword v4, v[6:7], off
	s_waitcnt vmcnt(0)
	v_cvt_f32_f16_e32 v4, v4
	v_cvt_i32_f32_e32 v4, v4
.LBB6_2099:
	s_mov_b64 s[0:1], 0
.LBB6_2100:
	s_andn2_b64 vcc, exec, s[0:1]
	s_cbranch_vccnz .LBB6_2111
; %bb.2101:
	s_cmp_lt_i32 s4, 6
	s_cbranch_scc1 .LBB6_2104
; %bb.2102:
	s_cmp_gt_i32 s4, 6
	s_cbranch_scc0 .LBB6_2105
; %bb.2103:
	global_load_dwordx2 v[4:5], v[6:7], off
	s_movk_i32 s0, 0xffe0
	s_waitcnt vmcnt(0)
	v_trunc_f64_e32 v[4:5], v[4:5]
	v_ldexp_f64 v[12:13], v[4:5], s0
	s_mov_b32 s0, 0
	s_mov_b32 s1, 0xc1f00000
	v_floor_f64_e32 v[12:13], v[12:13]
	v_fma_f64 v[4:5], v[12:13], s[0:1], v[4:5]
	s_mov_b64 s[0:1], 0
	v_cvt_u32_f64_e32 v4, v[4:5]
	s_branch .LBB6_2106
.LBB6_2104:
	s_mov_b64 s[0:1], -1
                                        ; implicit-def: $vgpr4
	s_branch .LBB6_2109
.LBB6_2105:
	s_mov_b64 s[0:1], -1
                                        ; implicit-def: $vgpr4
.LBB6_2106:
	s_andn2_b64 vcc, exec, s[0:1]
	s_cbranch_vccnz .LBB6_2108
; %bb.2107:
	global_load_dword v4, v[6:7], off
	s_mov_b32 s0, 0x2f800000
	s_waitcnt vmcnt(0)
	v_trunc_f32_e32 v4, v4
	v_mul_f32_e64 v5, |v4|, s0
	v_floor_f32_e32 v5, v5
	s_mov_b32 s0, 0xcf800000
	v_fma_f32 v5, v5, s0, |v4|
	v_cvt_u32_f32_e32 v5, v5
	v_ashrrev_i32_e32 v4, 31, v4
	v_xor_b32_e32 v5, v5, v4
	v_sub_u32_e32 v4, v5, v4
.LBB6_2108:
	s_mov_b64 s[0:1], 0
.LBB6_2109:
	s_andn2_b64 vcc, exec, s[0:1]
	s_cbranch_vccnz .LBB6_2111
; %bb.2110:
	global_load_ushort v4, v[6:7], off
	s_waitcnt vmcnt(0)
	v_cvt_f32_f16_e32 v4, v4
	v_cvt_i32_f32_e32 v4, v4
.LBB6_2111:
	s_mov_b64 s[0:1], 0
.LBB6_2112:
	s_andn2_b64 vcc, exec, s[0:1]
	s_cbranch_vccnz .LBB6_2132
; %bb.2113:
	s_cmp_lt_i32 s4, 2
	s_cbranch_scc1 .LBB6_2117
; %bb.2114:
	s_cmp_lt_i32 s4, 3
	s_cbranch_scc1 .LBB6_2118
; %bb.2115:
	s_cmp_gt_i32 s4, 3
	s_cbranch_scc0 .LBB6_2119
; %bb.2116:
	global_load_dwordx2 v[4:5], v[6:7], off
	s_mov_b64 s[0:1], 0
	s_branch .LBB6_2120
.LBB6_2117:
	s_mov_b64 s[0:1], -1
                                        ; implicit-def: $vgpr4
	s_branch .LBB6_2126
.LBB6_2118:
	s_mov_b64 s[0:1], -1
                                        ; implicit-def: $vgpr4
	s_branch .LBB6_2123
.LBB6_2119:
	s_mov_b64 s[0:1], -1
                                        ; implicit-def: $vgpr4
.LBB6_2120:
	s_andn2_b64 vcc, exec, s[0:1]
	s_cbranch_vccnz .LBB6_2122
; %bb.2121:
	global_load_dword v4, v[6:7], off
.LBB6_2122:
	s_mov_b64 s[0:1], 0
.LBB6_2123:
	s_andn2_b64 vcc, exec, s[0:1]
	s_cbranch_vccnz .LBB6_2125
; %bb.2124:
	global_load_ushort v4, v[6:7], off
.LBB6_2125:
	s_mov_b64 s[0:1], 0
.LBB6_2126:
	s_andn2_b64 vcc, exec, s[0:1]
	s_cbranch_vccnz .LBB6_2132
; %bb.2127:
	s_cmp_gt_i32 s4, 0
	s_cbranch_scc0 .LBB6_2129
; %bb.2128:
	global_load_ubyte v4, v[6:7], off
	s_mov_b64 s[0:1], 0
	s_branch .LBB6_2130
.LBB6_2129:
	s_mov_b64 s[0:1], -1
                                        ; implicit-def: $vgpr4
.LBB6_2130:
	s_andn2_b64 vcc, exec, s[0:1]
	s_cbranch_vccnz .LBB6_2132
; %bb.2131:
	global_load_ubyte v4, v[6:7], off
.LBB6_2132:
	s_mov_b64 s[20:21], -1
.LBB6_2133:
	s_andn2_b64 vcc, exec, s[20:21]
	s_cbranch_vccnz .LBB6_2947
; %bb.2134:
	v_add_u32_e32 v10, s14, v8
	s_waitcnt vmcnt(0)
	v_ashrrev_i32_e32 v5, 31, v10
	v_mov_b32_e32 v6, s3
	v_add_co_u32_e32 v7, vcc, s2, v10
	s_cmp_lt_i32 s25, 11
	v_addc_co_u32_e32 v8, vcc, v6, v5, vcc
	s_cbranch_scc1 .LBB6_2141
; %bb.2135:
	s_and_b32 s26, 0xffff, s25
	s_cmp_gt_i32 s26, 25
	s_mov_b64 s[4:5], 0
	s_cbranch_scc0 .LBB6_2142
; %bb.2136:
	s_cmp_gt_i32 s26, 28
	s_cbranch_scc0 .LBB6_2143
; %bb.2137:
	s_cmp_gt_i32 s26, 43
	;; [unrolled: 3-line block ×3, first 2 shown]
	s_cbranch_scc0 .LBB6_2146
; %bb.2139:
	s_cmp_eq_u32 s26, 46
	s_mov_b64 s[22:23], 0
	s_cbranch_scc0 .LBB6_2149
; %bb.2140:
	global_load_dword v5, v[7:8], off
	s_mov_b32 s0, 0x2f800000
	s_mov_b32 s1, 0xcf800000
	s_mov_b64 s[20:21], -1
	s_waitcnt vmcnt(0)
	v_lshlrev_b32_e32 v5, 16, v5
	v_trunc_f32_e32 v5, v5
	v_mul_f32_e64 v6, |v5|, s0
	v_floor_f32_e32 v6, v6
	v_fma_f32 v6, v6, s1, |v5|
	v_cvt_u32_f32_e32 v6, v6
	v_ashrrev_i32_e32 v5, 31, v5
	s_mov_b64 s[0:1], 0
	v_xor_b32_e32 v6, v6, v5
	v_sub_u32_e32 v5, v6, v5
	s_branch .LBB6_2150
.LBB6_2141:
	s_mov_b64 s[0:1], -1
	s_mov_b64 s[20:21], 0
                                        ; implicit-def: $vgpr5
	s_branch .LBB6_2212
.LBB6_2142:
	s_mov_b64 s[22:23], -1
	s_mov_b64 s[20:21], 0
	s_mov_b64 s[0:1], 0
                                        ; implicit-def: $vgpr5
	s_branch .LBB6_2177
.LBB6_2143:
	s_mov_b64 s[22:23], -1
	s_mov_b64 s[20:21], 0
	s_mov_b64 s[0:1], 0
                                        ; implicit-def: $vgpr5
	s_branch .LBB6_2160
.LBB6_2144:
	s_mov_b64 s[22:23], -1
	s_mov_b64 s[20:21], 0
	s_mov_b64 s[0:1], 0
                                        ; implicit-def: $vgpr5
	s_branch .LBB6_2155
.LBB6_2145:
	s_trap 2
	s_or_b64 s[18:19], s[18:19], exec
	s_cbranch_execz .LBB6_2082
	s_branch .LBB6_2083
.LBB6_2146:
	s_mov_b64 s[22:23], -1
	s_mov_b64 s[20:21], 0
	s_mov_b64 s[0:1], 0
                                        ; implicit-def: $vgpr5
	s_branch .LBB6_2150
.LBB6_2147:
	s_andn2_saveexec_b64 s[48:49], s[48:49]
	s_cbranch_execz .LBB6_1061
.LBB6_2148:
	v_add_f32_e32 v2, 0x42800000, v3
	v_and_b32_e32 v2, 0xff, v2
	v_cmp_ne_u32_e32 vcc, 0, v2
	s_andn2_b64 s[46:47], s[46:47], exec
	s_and_b64 s[54:55], vcc, exec
	s_or_b64 s[46:47], s[46:47], s[54:55]
	s_or_b64 exec, exec, s[48:49]
	v_mov_b32_e32 v4, 0
	s_and_saveexec_b64 s[48:49], s[46:47]
	s_cbranch_execnz .LBB6_1062
	s_branch .LBB6_1063
.LBB6_2149:
	s_mov_b64 s[0:1], -1
                                        ; implicit-def: $vgpr5
	s_mov_b64 s[20:21], 0
.LBB6_2150:
	s_and_b64 vcc, exec, s[22:23]
	s_cbranch_vccz .LBB6_2154
; %bb.2151:
	s_cmp_eq_u32 s26, 44
	s_cbranch_scc0 .LBB6_2153
; %bb.2152:
	global_load_ubyte v5, v[7:8], off
	s_mov_b32 s0, 0x2f800000
	s_mov_b32 s1, 0xcf800000
	s_mov_b64 s[20:21], -1
	s_waitcnt vmcnt(0)
	v_lshlrev_b32_e32 v6, 23, v5
	v_trunc_f32_e32 v6, v6
	v_mul_f32_e64 v12, |v6|, s0
	v_floor_f32_e32 v12, v12
	v_fma_f32 v12, v12, s1, |v6|
	v_cvt_u32_f32_e32 v12, v12
	v_ashrrev_i32_e32 v6, 31, v6
	v_cmp_ne_u32_e32 vcc, 0, v5
	s_mov_b64 s[0:1], 0
	v_xor_b32_e32 v12, v12, v6
	v_sub_u32_e32 v6, v12, v6
	v_cndmask_b32_e32 v5, 0, v6, vcc
	s_branch .LBB6_2154
.LBB6_2153:
	s_mov_b64 s[0:1], -1
                                        ; implicit-def: $vgpr5
.LBB6_2154:
	s_mov_b64 s[22:23], 0
.LBB6_2155:
	s_and_b64 vcc, exec, s[22:23]
	s_cbranch_vccz .LBB6_2159
; %bb.2156:
	s_cmp_eq_u32 s26, 29
	s_cbranch_scc0 .LBB6_2158
; %bb.2157:
	global_load_dwordx2 v[5:6], v[7:8], off
	s_mov_b64 s[0:1], 0
	s_mov_b64 s[20:21], -1
	s_branch .LBB6_2159
.LBB6_2158:
	s_mov_b64 s[0:1], -1
                                        ; implicit-def: $vgpr5
.LBB6_2159:
	s_mov_b64 s[22:23], 0
.LBB6_2160:
	s_and_b64 vcc, exec, s[22:23]
	s_cbranch_vccz .LBB6_2176
; %bb.2161:
	s_cmp_lt_i32 s26, 27
	s_cbranch_scc1 .LBB6_2164
; %bb.2162:
	s_cmp_gt_i32 s26, 27
	s_cbranch_scc0 .LBB6_2165
; %bb.2163:
	global_load_dword v5, v[7:8], off
	s_mov_b64 s[20:21], 0
	s_branch .LBB6_2166
.LBB6_2164:
	s_mov_b64 s[20:21], -1
                                        ; implicit-def: $vgpr5
	s_branch .LBB6_2169
.LBB6_2165:
	s_mov_b64 s[20:21], -1
                                        ; implicit-def: $vgpr5
.LBB6_2166:
	s_andn2_b64 vcc, exec, s[20:21]
	s_cbranch_vccnz .LBB6_2168
; %bb.2167:
	global_load_ushort v5, v[7:8], off
.LBB6_2168:
	s_mov_b64 s[20:21], 0
.LBB6_2169:
	s_andn2_b64 vcc, exec, s[20:21]
	s_cbranch_vccnz .LBB6_2175
; %bb.2170:
	global_load_ubyte v6, v[7:8], off
	s_movk_i32 s20, 0x7f
	s_mov_b64 s[22:23], 0
	s_waitcnt vmcnt(0)
	v_cmp_lt_i16_e32 vcc, s20, v6
	s_and_saveexec_b64 s[20:21], vcc
	s_xor_b64 s[20:21], exec, s[20:21]
	s_cbranch_execz .LBB6_2187
; %bb.2171:
	s_movk_i32 s22, 0x80
	v_cmp_ne_u16_e32 vcc, s22, v6
	s_and_b64 s[22:23], vcc, exec
	s_andn2_saveexec_b64 s[20:21], s[20:21]
	s_cbranch_execnz .LBB6_2188
.LBB6_2172:
	s_or_b64 exec, exec, s[20:21]
	v_mov_b32_e32 v5, 0
	s_and_saveexec_b64 s[20:21], s[22:23]
	s_cbranch_execz .LBB6_2174
.LBB6_2173:
	v_lshlrev_b32_e32 v5, 24, v6
	v_and_b32_e32 v6, 0xffff, v6
	v_and_b32_e32 v12, 7, v6
	v_ffbh_u32_e32 v14, v12
	v_min_u32_e32 v14, 32, v14
	v_subrev_u32_e32 v15, 28, v14
	v_bfe_u32 v13, v6, 3, 4
	v_lshlrev_b32_e32 v6, v15, v6
	v_sub_u32_e32 v14, 29, v14
	v_and_b32_e32 v6, 7, v6
	v_cmp_eq_u32_e32 vcc, 0, v13
	v_cndmask_b32_e32 v13, v13, v14, vcc
	v_cndmask_b32_e32 v6, v12, v6, vcc
	v_mov_b32_e32 v12, 0x3b800000
	v_lshlrev_b32_e32 v6, 20, v6
	v_and_b32_e32 v5, 0x80000000, v5
	v_lshl_add_u32 v12, v13, 23, v12
	v_or3_b32 v5, v5, v12, v6
	v_trunc_f32_e32 v5, v5
	s_mov_b32 s22, 0x2f800000
	v_mul_f32_e64 v6, |v5|, s22
	v_floor_f32_e32 v6, v6
	s_mov_b32 s22, 0xcf800000
	v_fma_f32 v6, v6, s22, |v5|
	v_cvt_u32_f32_e32 v6, v6
	v_ashrrev_i32_e32 v5, 31, v5
	v_xor_b32_e32 v6, v6, v5
	v_sub_u32_e32 v5, v6, v5
.LBB6_2174:
	s_or_b64 exec, exec, s[20:21]
.LBB6_2175:
	s_mov_b64 s[20:21], -1
.LBB6_2176:
	s_mov_b64 s[22:23], 0
.LBB6_2177:
	s_and_b64 vcc, exec, s[22:23]
	s_cbranch_vccz .LBB6_2208
; %bb.2178:
	s_cmp_gt_i32 s26, 22
	s_cbranch_scc0 .LBB6_2186
; %bb.2179:
	s_cmp_lt_i32 s26, 24
	s_cbranch_scc1 .LBB6_2189
; %bb.2180:
	s_cmp_gt_i32 s26, 24
	s_cbranch_scc0 .LBB6_2190
; %bb.2181:
	global_load_ubyte v6, v[7:8], off
	s_movk_i32 s4, 0x7f
	s_mov_b64 s[20:21], 0
	s_waitcnt vmcnt(0)
	v_cmp_lt_i16_e32 vcc, s4, v6
	s_and_saveexec_b64 s[4:5], vcc
	s_xor_b64 s[4:5], exec, s[4:5]
	s_cbranch_execz .LBB6_2202
; %bb.2182:
	s_movk_i32 s20, 0x80
	v_cmp_ne_u16_e32 vcc, s20, v6
	s_and_b64 s[20:21], vcc, exec
	s_andn2_saveexec_b64 s[4:5], s[4:5]
	s_cbranch_execnz .LBB6_2203
.LBB6_2183:
	s_or_b64 exec, exec, s[4:5]
	v_mov_b32_e32 v5, 0
	s_and_saveexec_b64 s[4:5], s[20:21]
	s_cbranch_execz .LBB6_2185
.LBB6_2184:
	v_lshlrev_b32_e32 v5, 24, v6
	v_and_b32_e32 v6, 0xffff, v6
	v_and_b32_e32 v12, 3, v6
	v_ffbh_u32_e32 v14, v12
	v_min_u32_e32 v14, 32, v14
	v_subrev_u32_e32 v15, 29, v14
	v_bfe_u32 v13, v6, 2, 5
	v_lshlrev_b32_e32 v6, v15, v6
	v_sub_u32_e32 v14, 30, v14
	v_and_b32_e32 v6, 3, v6
	v_cmp_eq_u32_e32 vcc, 0, v13
	v_cndmask_b32_e32 v13, v13, v14, vcc
	v_cndmask_b32_e32 v6, v12, v6, vcc
	v_mov_b32_e32 v12, 0x37800000
	v_lshlrev_b32_e32 v6, 21, v6
	v_and_b32_e32 v5, 0x80000000, v5
	v_lshl_add_u32 v12, v13, 23, v12
	v_or3_b32 v5, v5, v12, v6
	v_trunc_f32_e32 v5, v5
	s_mov_b32 s20, 0x2f800000
	v_mul_f32_e64 v6, |v5|, s20
	v_floor_f32_e32 v6, v6
	s_mov_b32 s20, 0xcf800000
	v_fma_f32 v6, v6, s20, |v5|
	v_cvt_u32_f32_e32 v6, v6
	v_ashrrev_i32_e32 v5, 31, v5
	v_xor_b32_e32 v6, v6, v5
	v_sub_u32_e32 v5, v6, v5
.LBB6_2185:
	s_or_b64 exec, exec, s[4:5]
	s_mov_b64 s[4:5], 0
	s_branch .LBB6_2191
.LBB6_2186:
	s_mov_b64 s[4:5], -1
                                        ; implicit-def: $vgpr5
	s_branch .LBB6_2197
.LBB6_2187:
	s_andn2_saveexec_b64 s[20:21], s[20:21]
	s_cbranch_execz .LBB6_2172
.LBB6_2188:
	v_cmp_ne_u16_e32 vcc, 0, v6
	s_andn2_b64 s[22:23], s[22:23], exec
	s_and_b64 s[28:29], vcc, exec
	s_or_b64 s[22:23], s[22:23], s[28:29]
	s_or_b64 exec, exec, s[20:21]
	v_mov_b32_e32 v5, 0
	s_and_saveexec_b64 s[20:21], s[22:23]
	s_cbranch_execnz .LBB6_2173
	s_branch .LBB6_2174
.LBB6_2189:
	s_mov_b64 s[4:5], -1
                                        ; implicit-def: $vgpr5
	s_branch .LBB6_2194
.LBB6_2190:
	s_mov_b64 s[4:5], -1
                                        ; implicit-def: $vgpr5
.LBB6_2191:
	s_and_b64 vcc, exec, s[4:5]
	s_cbranch_vccz .LBB6_2193
; %bb.2192:
	global_load_ubyte v5, v[7:8], off
	s_mov_b32 s4, 0x7f800000
	s_brev_b32 s5, 1
	s_mov_b32 s20, 0x2f800000
	s_waitcnt vmcnt(0)
	v_lshlrev_b32_e32 v5, 24, v5
	v_and_b32_e32 v6, 0x7f000000, v5
	v_ffbh_u32_e32 v12, v6
	v_min_u32_e32 v12, 32, v12
	v_sub_u32_e64 v12, v12, 4 clamp
	v_lshlrev_b32_e32 v14, v12, v6
	v_lshlrev_b32_e32 v12, 23, v12
	v_lshrrev_b32_e32 v14, 4, v14
	v_add_u32_e32 v13, 0x1000000, v6
	v_sub_u32_e32 v12, v14, v12
	v_ashrrev_i32_e32 v13, 8, v13
	v_add_u32_e32 v12, 0x3c000000, v12
	v_and_or_b32 v12, v13, s4, v12
	v_cmp_ne_u32_e32 vcc, 0, v6
	v_cndmask_b32_e32 v6, 0, v12, vcc
	v_and_or_b32 v5, v5, s5, v6
	v_trunc_f32_e32 v5, v5
	v_mul_f32_e64 v6, |v5|, s20
	v_floor_f32_e32 v6, v6
	s_mov_b32 s4, 0xcf800000
	v_fma_f32 v6, v6, s4, |v5|
	v_cvt_u32_f32_e32 v6, v6
	v_ashrrev_i32_e32 v5, 31, v5
	v_xor_b32_e32 v6, v6, v5
	v_sub_u32_e32 v5, v6, v5
.LBB6_2193:
	s_mov_b64 s[4:5], 0
.LBB6_2194:
	s_andn2_b64 vcc, exec, s[4:5]
	s_cbranch_vccnz .LBB6_2196
; %bb.2195:
	global_load_ubyte v5, v[7:8], off
	s_movk_i32 s4, 0x7f00
	s_brev_b32 s5, 16
	s_brev_b32 s20, 1
	s_mov_b32 s21, 0x2f800000
	s_waitcnt vmcnt(0)
	v_lshlrev_b16_e32 v6, 8, v5
	v_lshlrev_b32_e32 v5, 25, v5
	v_lshrrev_b32_e32 v12, 4, v5
	v_and_or_b32 v13, v6, s4, 0.5
	v_or_b32_e32 v12, 0x70000000, v12
	v_add_f32_e32 v13, -0.5, v13
	v_mul_f32_e32 v12, 0x7800000, v12
	v_cmp_gt_u32_e32 vcc, s5, v5
	v_bfe_i32 v6, v6, 0, 16
	v_cndmask_b32_e32 v5, v12, v13, vcc
	v_and_or_b32 v5, v6, s20, v5
	v_trunc_f32_e32 v5, v5
	v_mul_f32_e64 v6, |v5|, s21
	v_floor_f32_e32 v6, v6
	s_mov_b32 s4, 0xcf800000
	v_fma_f32 v6, v6, s4, |v5|
	v_cvt_u32_f32_e32 v6, v6
	v_ashrrev_i32_e32 v5, 31, v5
	v_xor_b32_e32 v6, v6, v5
	v_sub_u32_e32 v5, v6, v5
.LBB6_2196:
	s_mov_b64 s[4:5], 0
	s_mov_b64 s[20:21], -1
.LBB6_2197:
	s_andn2_b64 vcc, exec, s[4:5]
	s_mov_b64 s[4:5], 0
	s_cbranch_vccnz .LBB6_2208
; %bb.2198:
	s_cmp_gt_i32 s26, 14
	s_cbranch_scc0 .LBB6_2201
; %bb.2199:
	s_cmp_eq_u32 s26, 15
	s_cbranch_scc0 .LBB6_2204
; %bb.2200:
	global_load_ushort v5, v[7:8], off
	s_mov_b32 s0, 0x2f800000
	s_mov_b32 s1, 0xcf800000
	s_mov_b64 s[20:21], -1
	s_waitcnt vmcnt(0)
	v_lshlrev_b32_e32 v5, 16, v5
	v_trunc_f32_e32 v5, v5
	v_mul_f32_e64 v6, |v5|, s0
	v_floor_f32_e32 v6, v6
	v_fma_f32 v6, v6, s1, |v5|
	v_cvt_u32_f32_e32 v6, v6
	v_ashrrev_i32_e32 v5, 31, v5
	s_mov_b64 s[0:1], 0
	v_xor_b32_e32 v6, v6, v5
	v_sub_u32_e32 v5, v6, v5
	s_branch .LBB6_2205
.LBB6_2201:
	s_mov_b64 s[22:23], -1
                                        ; implicit-def: $vgpr5
	s_branch .LBB6_2206
.LBB6_2202:
	s_andn2_saveexec_b64 s[4:5], s[4:5]
	s_cbranch_execz .LBB6_2183
.LBB6_2203:
	v_cmp_ne_u16_e32 vcc, 0, v6
	s_andn2_b64 s[20:21], s[20:21], exec
	s_and_b64 s[22:23], vcc, exec
	s_or_b64 s[20:21], s[20:21], s[22:23]
	s_or_b64 exec, exec, s[4:5]
	v_mov_b32_e32 v5, 0
	s_and_saveexec_b64 s[4:5], s[20:21]
	s_cbranch_execnz .LBB6_2184
	s_branch .LBB6_2185
.LBB6_2204:
	s_mov_b64 s[0:1], -1
                                        ; implicit-def: $vgpr5
.LBB6_2205:
	s_mov_b64 s[22:23], 0
.LBB6_2206:
	s_and_b64 vcc, exec, s[22:23]
	s_cbranch_vccz .LBB6_2208
; %bb.2207:
	s_cmp_lg_u32 s26, 11
	s_mov_b64 s[4:5], -1
	s_cselect_b64 s[0:1], -1, 0
.LBB6_2208:
	s_and_b64 vcc, exec, s[0:1]
	s_cbranch_vccnz .LBB6_2273
; %bb.2209:
	s_andn2_b64 vcc, exec, s[4:5]
	s_cbranch_vccnz .LBB6_2211
.LBB6_2210:
	global_load_ubyte v5, v[7:8], off
	s_mov_b64 s[20:21], -1
	s_waitcnt vmcnt(0)
	v_cmp_ne_u16_e32 vcc, 0, v5
	v_cndmask_b32_e64 v5, 0, 1, vcc
.LBB6_2211:
	s_mov_b64 s[0:1], 0
.LBB6_2212:
	s_and_b64 vcc, exec, s[0:1]
	s_cbranch_vccz .LBB6_2261
; %bb.2213:
	s_and_b32 s4, 0xffff, s25
	s_cmp_lt_i32 s4, 5
	s_cbranch_scc1 .LBB6_2218
; %bb.2214:
	s_cmp_lt_i32 s4, 8
	s_cbranch_scc1 .LBB6_2219
; %bb.2215:
	;; [unrolled: 3-line block ×3, first 2 shown]
	s_cmp_gt_i32 s4, 9
	s_cbranch_scc0 .LBB6_2221
; %bb.2217:
	global_load_dwordx2 v[5:6], v[7:8], off
	s_movk_i32 s0, 0xffe0
	s_waitcnt vmcnt(0)
	v_trunc_f64_e32 v[5:6], v[5:6]
	v_ldexp_f64 v[12:13], v[5:6], s0
	s_mov_b32 s0, 0
	s_mov_b32 s1, 0xc1f00000
	v_floor_f64_e32 v[12:13], v[12:13]
	v_fma_f64 v[5:6], v[12:13], s[0:1], v[5:6]
	s_mov_b64 s[0:1], 0
	v_cvt_u32_f64_e32 v5, v[5:6]
	s_branch .LBB6_2222
.LBB6_2218:
	s_mov_b64 s[0:1], -1
                                        ; implicit-def: $vgpr5
	s_branch .LBB6_2240
.LBB6_2219:
	s_mov_b64 s[0:1], -1
                                        ; implicit-def: $vgpr5
	s_branch .LBB6_2228
.LBB6_2220:
	s_mov_b64 s[0:1], -1
                                        ; implicit-def: $vgpr5
	s_branch .LBB6_2225
.LBB6_2221:
	s_mov_b64 s[0:1], -1
                                        ; implicit-def: $vgpr5
.LBB6_2222:
	s_andn2_b64 vcc, exec, s[0:1]
	s_cbranch_vccnz .LBB6_2224
; %bb.2223:
	global_load_dword v5, v[7:8], off
	s_mov_b32 s0, 0x2f800000
	s_waitcnt vmcnt(0)
	v_trunc_f32_e32 v5, v5
	v_mul_f32_e64 v6, |v5|, s0
	v_floor_f32_e32 v6, v6
	s_mov_b32 s0, 0xcf800000
	v_fma_f32 v6, v6, s0, |v5|
	v_cvt_u32_f32_e32 v6, v6
	v_ashrrev_i32_e32 v5, 31, v5
	v_xor_b32_e32 v6, v6, v5
	v_sub_u32_e32 v5, v6, v5
.LBB6_2224:
	s_mov_b64 s[0:1], 0
.LBB6_2225:
	s_andn2_b64 vcc, exec, s[0:1]
	s_cbranch_vccnz .LBB6_2227
; %bb.2226:
	global_load_dword v5, v[7:8], off
	s_waitcnt vmcnt(0)
	v_cvt_f32_f16_e32 v5, v5
	v_cvt_i32_f32_e32 v5, v5
.LBB6_2227:
	s_mov_b64 s[0:1], 0
.LBB6_2228:
	s_andn2_b64 vcc, exec, s[0:1]
	s_cbranch_vccnz .LBB6_2239
; %bb.2229:
	s_cmp_lt_i32 s4, 6
	s_cbranch_scc1 .LBB6_2232
; %bb.2230:
	s_cmp_gt_i32 s4, 6
	s_cbranch_scc0 .LBB6_2233
; %bb.2231:
	global_load_dwordx2 v[5:6], v[7:8], off
	s_movk_i32 s0, 0xffe0
	s_waitcnt vmcnt(0)
	v_trunc_f64_e32 v[5:6], v[5:6]
	v_ldexp_f64 v[12:13], v[5:6], s0
	s_mov_b32 s0, 0
	s_mov_b32 s1, 0xc1f00000
	v_floor_f64_e32 v[12:13], v[12:13]
	v_fma_f64 v[5:6], v[12:13], s[0:1], v[5:6]
	s_mov_b64 s[0:1], 0
	v_cvt_u32_f64_e32 v5, v[5:6]
	s_branch .LBB6_2234
.LBB6_2232:
	s_mov_b64 s[0:1], -1
                                        ; implicit-def: $vgpr5
	s_branch .LBB6_2237
.LBB6_2233:
	s_mov_b64 s[0:1], -1
                                        ; implicit-def: $vgpr5
.LBB6_2234:
	s_andn2_b64 vcc, exec, s[0:1]
	s_cbranch_vccnz .LBB6_2236
; %bb.2235:
	global_load_dword v5, v[7:8], off
	s_mov_b32 s0, 0x2f800000
	s_waitcnt vmcnt(0)
	v_trunc_f32_e32 v5, v5
	v_mul_f32_e64 v6, |v5|, s0
	v_floor_f32_e32 v6, v6
	s_mov_b32 s0, 0xcf800000
	v_fma_f32 v6, v6, s0, |v5|
	v_cvt_u32_f32_e32 v6, v6
	v_ashrrev_i32_e32 v5, 31, v5
	v_xor_b32_e32 v6, v6, v5
	v_sub_u32_e32 v5, v6, v5
.LBB6_2236:
	s_mov_b64 s[0:1], 0
.LBB6_2237:
	s_andn2_b64 vcc, exec, s[0:1]
	s_cbranch_vccnz .LBB6_2239
; %bb.2238:
	global_load_ushort v5, v[7:8], off
	s_waitcnt vmcnt(0)
	v_cvt_f32_f16_e32 v5, v5
	v_cvt_i32_f32_e32 v5, v5
.LBB6_2239:
	s_mov_b64 s[0:1], 0
.LBB6_2240:
	s_andn2_b64 vcc, exec, s[0:1]
	s_cbranch_vccnz .LBB6_2260
; %bb.2241:
	s_cmp_lt_i32 s4, 2
	s_cbranch_scc1 .LBB6_2245
; %bb.2242:
	s_cmp_lt_i32 s4, 3
	s_cbranch_scc1 .LBB6_2246
; %bb.2243:
	s_cmp_gt_i32 s4, 3
	s_cbranch_scc0 .LBB6_2247
; %bb.2244:
	global_load_dwordx2 v[5:6], v[7:8], off
	s_mov_b64 s[0:1], 0
	s_branch .LBB6_2248
.LBB6_2245:
	s_mov_b64 s[0:1], -1
                                        ; implicit-def: $vgpr5
	s_branch .LBB6_2254
.LBB6_2246:
	s_mov_b64 s[0:1], -1
                                        ; implicit-def: $vgpr5
	s_branch .LBB6_2251
.LBB6_2247:
	s_mov_b64 s[0:1], -1
                                        ; implicit-def: $vgpr5
.LBB6_2248:
	s_andn2_b64 vcc, exec, s[0:1]
	s_cbranch_vccnz .LBB6_2250
; %bb.2249:
	global_load_dword v5, v[7:8], off
.LBB6_2250:
	s_mov_b64 s[0:1], 0
.LBB6_2251:
	s_andn2_b64 vcc, exec, s[0:1]
	s_cbranch_vccnz .LBB6_2253
; %bb.2252:
	global_load_ushort v5, v[7:8], off
.LBB6_2253:
	s_mov_b64 s[0:1], 0
.LBB6_2254:
	s_andn2_b64 vcc, exec, s[0:1]
	s_cbranch_vccnz .LBB6_2260
; %bb.2255:
	s_cmp_gt_i32 s4, 0
	s_cbranch_scc0 .LBB6_2257
; %bb.2256:
	global_load_ubyte v5, v[7:8], off
	s_mov_b64 s[0:1], 0
	s_branch .LBB6_2258
.LBB6_2257:
	s_mov_b64 s[0:1], -1
                                        ; implicit-def: $vgpr5
.LBB6_2258:
	s_andn2_b64 vcc, exec, s[0:1]
	s_cbranch_vccnz .LBB6_2260
; %bb.2259:
	global_load_ubyte v5, v[7:8], off
.LBB6_2260:
	s_mov_b64 s[20:21], -1
.LBB6_2261:
	s_andn2_b64 vcc, exec, s[20:21]
	s_cbranch_vccnz .LBB6_2947
; %bb.2262:
	s_waitcnt vmcnt(0)
	v_add_u32_e32 v6, s13, v9
	v_ashrrev_i32_e32 v7, 31, v6
	v_mov_b32_e32 v9, s11
	v_add_co_u32_e32 v8, vcc, s10, v6
	s_cmp_lt_i32 s24, 11
	v_addc_co_u32_e32 v9, vcc, v9, v7, vcc
	s_cbranch_scc1 .LBB6_2269
; %bb.2263:
	s_and_b32 s13, 0xffff, s24
	s_cmp_gt_i32 s13, 25
	s_mov_b64 s[4:5], 0
	s_cbranch_scc0 .LBB6_2270
; %bb.2264:
	s_cmp_gt_i32 s13, 28
	s_cbranch_scc0 .LBB6_2271
; %bb.2265:
	s_cmp_gt_i32 s13, 43
	;; [unrolled: 3-line block ×3, first 2 shown]
	s_cbranch_scc0 .LBB6_2274
; %bb.2267:
	s_cmp_eq_u32 s13, 46
	s_mov_b64 s[20:21], 0
	s_cbranch_scc0 .LBB6_2275
; %bb.2268:
	global_load_dword v6, v[8:9], off
	s_mov_b32 s0, 0x2f800000
	s_mov_b32 s1, 0xcf800000
	s_mov_b64 s[10:11], -1
	s_waitcnt vmcnt(0)
	v_lshlrev_b32_e32 v6, 16, v6
	v_trunc_f32_e32 v6, v6
	v_mul_f32_e64 v7, |v6|, s0
	v_floor_f32_e32 v7, v7
	v_fma_f32 v7, v7, s1, |v6|
	v_cvt_u32_f32_e32 v7, v7
	v_ashrrev_i32_e32 v6, 31, v6
	s_mov_b64 s[0:1], 0
	v_xor_b32_e32 v7, v7, v6
	v_sub_u32_e32 v6, v7, v6
	s_branch .LBB6_2276
.LBB6_2269:
	s_mov_b64 s[0:1], -1
	s_mov_b64 s[10:11], 0
                                        ; implicit-def: $vgpr6
	s_branch .LBB6_2338
.LBB6_2270:
	s_mov_b64 s[20:21], -1
	s_mov_b64 s[10:11], 0
	s_mov_b64 s[0:1], 0
                                        ; implicit-def: $vgpr6
	s_branch .LBB6_2303
.LBB6_2271:
	s_mov_b64 s[20:21], -1
	s_mov_b64 s[10:11], 0
	s_mov_b64 s[0:1], 0
                                        ; implicit-def: $vgpr6
	s_branch .LBB6_2286
.LBB6_2272:
	s_mov_b64 s[20:21], -1
	s_mov_b64 s[10:11], 0
	s_mov_b64 s[0:1], 0
                                        ; implicit-def: $vgpr6
	s_branch .LBB6_2281
.LBB6_2273:
	s_trap 2
	s_or_b64 s[18:19], s[18:19], exec
	s_cbranch_execz .LBB6_2210
	s_branch .LBB6_2211
.LBB6_2274:
	s_mov_b64 s[20:21], -1
	s_mov_b64 s[10:11], 0
	s_mov_b64 s[0:1], 0
                                        ; implicit-def: $vgpr6
	s_branch .LBB6_2276
.LBB6_2275:
	s_mov_b64 s[0:1], -1
                                        ; implicit-def: $vgpr6
	s_mov_b64 s[10:11], 0
.LBB6_2276:
	s_and_b64 vcc, exec, s[20:21]
	s_cbranch_vccz .LBB6_2280
; %bb.2277:
	s_cmp_eq_u32 s13, 44
	s_cbranch_scc0 .LBB6_2279
; %bb.2278:
	global_load_ubyte v6, v[8:9], off
	s_mov_b32 s0, 0x2f800000
	s_mov_b32 s1, 0xcf800000
	s_mov_b64 s[10:11], -1
	s_waitcnt vmcnt(0)
	v_lshlrev_b32_e32 v7, 23, v6
	v_trunc_f32_e32 v7, v7
	v_mul_f32_e64 v12, |v7|, s0
	v_floor_f32_e32 v12, v12
	v_fma_f32 v12, v12, s1, |v7|
	v_cvt_u32_f32_e32 v12, v12
	v_ashrrev_i32_e32 v7, 31, v7
	v_cmp_ne_u32_e32 vcc, 0, v6
	s_mov_b64 s[0:1], 0
	v_xor_b32_e32 v12, v12, v7
	v_sub_u32_e32 v7, v12, v7
	v_cndmask_b32_e32 v6, 0, v7, vcc
	s_branch .LBB6_2280
.LBB6_2279:
	s_mov_b64 s[0:1], -1
                                        ; implicit-def: $vgpr6
.LBB6_2280:
	s_mov_b64 s[20:21], 0
.LBB6_2281:
	s_and_b64 vcc, exec, s[20:21]
	s_cbranch_vccz .LBB6_2285
; %bb.2282:
	s_cmp_eq_u32 s13, 29
	s_cbranch_scc0 .LBB6_2284
; %bb.2283:
	global_load_dwordx2 v[6:7], v[8:9], off
	s_mov_b64 s[0:1], 0
	s_mov_b64 s[10:11], -1
	s_branch .LBB6_2285
.LBB6_2284:
	s_mov_b64 s[0:1], -1
                                        ; implicit-def: $vgpr6
.LBB6_2285:
	s_mov_b64 s[20:21], 0
.LBB6_2286:
	s_and_b64 vcc, exec, s[20:21]
	s_cbranch_vccz .LBB6_2302
; %bb.2287:
	s_cmp_lt_i32 s13, 27
	s_cbranch_scc1 .LBB6_2290
; %bb.2288:
	s_cmp_gt_i32 s13, 27
	s_cbranch_scc0 .LBB6_2291
; %bb.2289:
	global_load_dword v6, v[8:9], off
	s_mov_b64 s[10:11], 0
	s_branch .LBB6_2292
.LBB6_2290:
	s_mov_b64 s[10:11], -1
                                        ; implicit-def: $vgpr6
	s_branch .LBB6_2295
.LBB6_2291:
	s_mov_b64 s[10:11], -1
                                        ; implicit-def: $vgpr6
.LBB6_2292:
	s_andn2_b64 vcc, exec, s[10:11]
	s_cbranch_vccnz .LBB6_2294
; %bb.2293:
	global_load_ushort v6, v[8:9], off
.LBB6_2294:
	s_mov_b64 s[10:11], 0
.LBB6_2295:
	s_andn2_b64 vcc, exec, s[10:11]
	s_cbranch_vccnz .LBB6_2301
; %bb.2296:
	global_load_ubyte v7, v[8:9], off
	s_movk_i32 s10, 0x7f
	s_mov_b64 s[20:21], 0
	s_waitcnt vmcnt(0)
	v_cmp_lt_i16_e32 vcc, s10, v7
	s_and_saveexec_b64 s[10:11], vcc
	s_xor_b64 s[10:11], exec, s[10:11]
	s_cbranch_execz .LBB6_2313
; %bb.2297:
	s_movk_i32 s20, 0x80
	v_cmp_ne_u16_e32 vcc, s20, v7
	s_and_b64 s[20:21], vcc, exec
	s_andn2_saveexec_b64 s[10:11], s[10:11]
	s_cbranch_execnz .LBB6_2314
.LBB6_2298:
	s_or_b64 exec, exec, s[10:11]
	v_mov_b32_e32 v6, 0
	s_and_saveexec_b64 s[10:11], s[20:21]
	s_cbranch_execz .LBB6_2300
.LBB6_2299:
	v_lshlrev_b32_e32 v6, 24, v7
	v_and_b32_e32 v7, 0xffff, v7
	v_and_b32_e32 v12, 7, v7
	v_ffbh_u32_e32 v14, v12
	v_min_u32_e32 v14, 32, v14
	v_subrev_u32_e32 v15, 28, v14
	v_bfe_u32 v13, v7, 3, 4
	v_lshlrev_b32_e32 v7, v15, v7
	v_sub_u32_e32 v14, 29, v14
	v_and_b32_e32 v7, 7, v7
	v_cmp_eq_u32_e32 vcc, 0, v13
	v_cndmask_b32_e32 v13, v13, v14, vcc
	v_cndmask_b32_e32 v7, v12, v7, vcc
	v_mov_b32_e32 v12, 0x3b800000
	v_lshlrev_b32_e32 v7, 20, v7
	v_and_b32_e32 v6, 0x80000000, v6
	v_lshl_add_u32 v12, v13, 23, v12
	v_or3_b32 v6, v6, v12, v7
	v_trunc_f32_e32 v6, v6
	s_mov_b32 s20, 0x2f800000
	v_mul_f32_e64 v7, |v6|, s20
	v_floor_f32_e32 v7, v7
	s_mov_b32 s20, 0xcf800000
	v_fma_f32 v7, v7, s20, |v6|
	v_cvt_u32_f32_e32 v7, v7
	v_ashrrev_i32_e32 v6, 31, v6
	v_xor_b32_e32 v7, v7, v6
	v_sub_u32_e32 v6, v7, v6
.LBB6_2300:
	s_or_b64 exec, exec, s[10:11]
.LBB6_2301:
	s_mov_b64 s[10:11], -1
.LBB6_2302:
	s_mov_b64 s[20:21], 0
.LBB6_2303:
	s_and_b64 vcc, exec, s[20:21]
	s_cbranch_vccz .LBB6_2334
; %bb.2304:
	s_cmp_gt_i32 s13, 22
	s_cbranch_scc0 .LBB6_2312
; %bb.2305:
	s_cmp_lt_i32 s13, 24
	s_cbranch_scc1 .LBB6_2315
; %bb.2306:
	s_cmp_gt_i32 s13, 24
	s_cbranch_scc0 .LBB6_2316
; %bb.2307:
	global_load_ubyte v7, v[8:9], off
	s_movk_i32 s4, 0x7f
	s_mov_b64 s[10:11], 0
	s_waitcnt vmcnt(0)
	v_cmp_lt_i16_e32 vcc, s4, v7
	s_and_saveexec_b64 s[4:5], vcc
	s_xor_b64 s[4:5], exec, s[4:5]
	s_cbranch_execz .LBB6_2328
; %bb.2308:
	s_movk_i32 s10, 0x80
	v_cmp_ne_u16_e32 vcc, s10, v7
	s_and_b64 s[10:11], vcc, exec
	s_andn2_saveexec_b64 s[4:5], s[4:5]
	s_cbranch_execnz .LBB6_2329
.LBB6_2309:
	s_or_b64 exec, exec, s[4:5]
	v_mov_b32_e32 v6, 0
	s_and_saveexec_b64 s[4:5], s[10:11]
	s_cbranch_execz .LBB6_2311
.LBB6_2310:
	v_lshlrev_b32_e32 v6, 24, v7
	v_and_b32_e32 v7, 0xffff, v7
	v_and_b32_e32 v12, 3, v7
	v_ffbh_u32_e32 v14, v12
	v_min_u32_e32 v14, 32, v14
	v_subrev_u32_e32 v15, 29, v14
	v_bfe_u32 v13, v7, 2, 5
	v_lshlrev_b32_e32 v7, v15, v7
	v_sub_u32_e32 v14, 30, v14
	v_and_b32_e32 v7, 3, v7
	v_cmp_eq_u32_e32 vcc, 0, v13
	v_cndmask_b32_e32 v13, v13, v14, vcc
	v_cndmask_b32_e32 v7, v12, v7, vcc
	v_mov_b32_e32 v12, 0x37800000
	v_lshlrev_b32_e32 v7, 21, v7
	v_and_b32_e32 v6, 0x80000000, v6
	v_lshl_add_u32 v12, v13, 23, v12
	v_or3_b32 v6, v6, v12, v7
	v_trunc_f32_e32 v6, v6
	s_mov_b32 s10, 0x2f800000
	v_mul_f32_e64 v7, |v6|, s10
	v_floor_f32_e32 v7, v7
	s_mov_b32 s10, 0xcf800000
	v_fma_f32 v7, v7, s10, |v6|
	v_cvt_u32_f32_e32 v7, v7
	v_ashrrev_i32_e32 v6, 31, v6
	v_xor_b32_e32 v7, v7, v6
	v_sub_u32_e32 v6, v7, v6
.LBB6_2311:
	s_or_b64 exec, exec, s[4:5]
	s_mov_b64 s[4:5], 0
	s_branch .LBB6_2317
.LBB6_2312:
	s_mov_b64 s[4:5], -1
                                        ; implicit-def: $vgpr6
	s_branch .LBB6_2323
.LBB6_2313:
	s_andn2_saveexec_b64 s[10:11], s[10:11]
	s_cbranch_execz .LBB6_2298
.LBB6_2314:
	v_cmp_ne_u16_e32 vcc, 0, v7
	s_andn2_b64 s[20:21], s[20:21], exec
	s_and_b64 s[22:23], vcc, exec
	s_or_b64 s[20:21], s[20:21], s[22:23]
	s_or_b64 exec, exec, s[10:11]
	v_mov_b32_e32 v6, 0
	s_and_saveexec_b64 s[10:11], s[20:21]
	s_cbranch_execnz .LBB6_2299
	s_branch .LBB6_2300
.LBB6_2315:
	s_mov_b64 s[4:5], -1
                                        ; implicit-def: $vgpr6
	s_branch .LBB6_2320
.LBB6_2316:
	s_mov_b64 s[4:5], -1
                                        ; implicit-def: $vgpr6
.LBB6_2317:
	s_and_b64 vcc, exec, s[4:5]
	s_cbranch_vccz .LBB6_2319
; %bb.2318:
	global_load_ubyte v6, v[8:9], off
	s_mov_b32 s4, 0x7f800000
	s_brev_b32 s5, 1
	s_mov_b32 s10, 0x2f800000
	s_waitcnt vmcnt(0)
	v_lshlrev_b32_e32 v6, 24, v6
	v_and_b32_e32 v7, 0x7f000000, v6
	v_ffbh_u32_e32 v12, v7
	v_min_u32_e32 v12, 32, v12
	v_sub_u32_e64 v12, v12, 4 clamp
	v_lshlrev_b32_e32 v14, v12, v7
	v_lshlrev_b32_e32 v12, 23, v12
	v_lshrrev_b32_e32 v14, 4, v14
	v_add_u32_e32 v13, 0x1000000, v7
	v_sub_u32_e32 v12, v14, v12
	v_ashrrev_i32_e32 v13, 8, v13
	v_add_u32_e32 v12, 0x3c000000, v12
	v_and_or_b32 v12, v13, s4, v12
	v_cmp_ne_u32_e32 vcc, 0, v7
	v_cndmask_b32_e32 v7, 0, v12, vcc
	v_and_or_b32 v6, v6, s5, v7
	v_trunc_f32_e32 v6, v6
	v_mul_f32_e64 v7, |v6|, s10
	v_floor_f32_e32 v7, v7
	s_mov_b32 s4, 0xcf800000
	v_fma_f32 v7, v7, s4, |v6|
	v_cvt_u32_f32_e32 v7, v7
	v_ashrrev_i32_e32 v6, 31, v6
	v_xor_b32_e32 v7, v7, v6
	v_sub_u32_e32 v6, v7, v6
.LBB6_2319:
	s_mov_b64 s[4:5], 0
.LBB6_2320:
	s_andn2_b64 vcc, exec, s[4:5]
	s_cbranch_vccnz .LBB6_2322
; %bb.2321:
	global_load_ubyte v6, v[8:9], off
	s_movk_i32 s4, 0x7f00
	s_brev_b32 s5, 16
	s_brev_b32 s10, 1
	s_mov_b32 s11, 0x2f800000
	s_waitcnt vmcnt(0)
	v_lshlrev_b16_e32 v7, 8, v6
	v_lshlrev_b32_e32 v6, 25, v6
	v_lshrrev_b32_e32 v12, 4, v6
	v_and_or_b32 v13, v7, s4, 0.5
	v_or_b32_e32 v12, 0x70000000, v12
	v_add_f32_e32 v13, -0.5, v13
	v_mul_f32_e32 v12, 0x7800000, v12
	v_cmp_gt_u32_e32 vcc, s5, v6
	v_bfe_i32 v7, v7, 0, 16
	v_cndmask_b32_e32 v6, v12, v13, vcc
	v_and_or_b32 v6, v7, s10, v6
	v_trunc_f32_e32 v6, v6
	v_mul_f32_e64 v7, |v6|, s11
	v_floor_f32_e32 v7, v7
	s_mov_b32 s4, 0xcf800000
	v_fma_f32 v7, v7, s4, |v6|
	v_cvt_u32_f32_e32 v7, v7
	v_ashrrev_i32_e32 v6, 31, v6
	v_xor_b32_e32 v7, v7, v6
	v_sub_u32_e32 v6, v7, v6
.LBB6_2322:
	s_mov_b64 s[4:5], 0
	s_mov_b64 s[10:11], -1
.LBB6_2323:
	s_andn2_b64 vcc, exec, s[4:5]
	s_mov_b64 s[4:5], 0
	s_cbranch_vccnz .LBB6_2334
; %bb.2324:
	s_cmp_gt_i32 s13, 14
	s_cbranch_scc0 .LBB6_2327
; %bb.2325:
	s_cmp_eq_u32 s13, 15
	s_cbranch_scc0 .LBB6_2330
; %bb.2326:
	global_load_ushort v6, v[8:9], off
	s_mov_b32 s0, 0x2f800000
	s_mov_b32 s1, 0xcf800000
	s_mov_b64 s[10:11], -1
	s_waitcnt vmcnt(0)
	v_lshlrev_b32_e32 v6, 16, v6
	v_trunc_f32_e32 v6, v6
	v_mul_f32_e64 v7, |v6|, s0
	v_floor_f32_e32 v7, v7
	v_fma_f32 v7, v7, s1, |v6|
	v_cvt_u32_f32_e32 v7, v7
	v_ashrrev_i32_e32 v6, 31, v6
	s_mov_b64 s[0:1], 0
	v_xor_b32_e32 v7, v7, v6
	v_sub_u32_e32 v6, v7, v6
	s_branch .LBB6_2331
.LBB6_2327:
	s_mov_b64 s[20:21], -1
                                        ; implicit-def: $vgpr6
	s_branch .LBB6_2332
.LBB6_2328:
	s_andn2_saveexec_b64 s[4:5], s[4:5]
	s_cbranch_execz .LBB6_2309
.LBB6_2329:
	v_cmp_ne_u16_e32 vcc, 0, v7
	s_andn2_b64 s[10:11], s[10:11], exec
	s_and_b64 s[20:21], vcc, exec
	s_or_b64 s[10:11], s[10:11], s[20:21]
	s_or_b64 exec, exec, s[4:5]
	v_mov_b32_e32 v6, 0
	s_and_saveexec_b64 s[4:5], s[10:11]
	s_cbranch_execnz .LBB6_2310
	s_branch .LBB6_2311
.LBB6_2330:
	s_mov_b64 s[0:1], -1
                                        ; implicit-def: $vgpr6
.LBB6_2331:
	s_mov_b64 s[20:21], 0
.LBB6_2332:
	s_and_b64 vcc, exec, s[20:21]
	s_cbranch_vccz .LBB6_2334
; %bb.2333:
	s_cmp_lg_u32 s13, 11
	s_mov_b64 s[4:5], -1
	s_cselect_b64 s[0:1], -1, 0
.LBB6_2334:
	s_and_b64 vcc, exec, s[0:1]
	s_cbranch_vccnz .LBB6_2399
; %bb.2335:
	s_andn2_b64 vcc, exec, s[4:5]
	s_cbranch_vccnz .LBB6_2337
.LBB6_2336:
	global_load_ubyte v6, v[8:9], off
	s_mov_b64 s[10:11], -1
	s_waitcnt vmcnt(0)
	v_cmp_ne_u16_e32 vcc, 0, v6
	v_cndmask_b32_e64 v6, 0, 1, vcc
.LBB6_2337:
	s_mov_b64 s[0:1], 0
.LBB6_2338:
	s_and_b64 vcc, exec, s[0:1]
	s_cbranch_vccz .LBB6_2387
; %bb.2339:
	s_and_b32 s4, 0xffff, s24
	s_cmp_lt_i32 s4, 5
	s_cbranch_scc1 .LBB6_2344
; %bb.2340:
	s_cmp_lt_i32 s4, 8
	s_cbranch_scc1 .LBB6_2345
; %bb.2341:
	;; [unrolled: 3-line block ×3, first 2 shown]
	s_cmp_gt_i32 s4, 9
	s_cbranch_scc0 .LBB6_2347
; %bb.2343:
	global_load_dwordx2 v[6:7], v[8:9], off
	s_movk_i32 s0, 0xffe0
	s_waitcnt vmcnt(0)
	v_trunc_f64_e32 v[6:7], v[6:7]
	v_ldexp_f64 v[12:13], v[6:7], s0
	s_mov_b32 s0, 0
	s_mov_b32 s1, 0xc1f00000
	v_floor_f64_e32 v[12:13], v[12:13]
	v_fma_f64 v[6:7], v[12:13], s[0:1], v[6:7]
	s_mov_b64 s[0:1], 0
	v_cvt_u32_f64_e32 v6, v[6:7]
	s_branch .LBB6_2348
.LBB6_2344:
	s_mov_b64 s[0:1], -1
                                        ; implicit-def: $vgpr6
	s_branch .LBB6_2366
.LBB6_2345:
	s_mov_b64 s[0:1], -1
                                        ; implicit-def: $vgpr6
	s_branch .LBB6_2354
.LBB6_2346:
	s_mov_b64 s[0:1], -1
                                        ; implicit-def: $vgpr6
	s_branch .LBB6_2351
.LBB6_2347:
	s_mov_b64 s[0:1], -1
                                        ; implicit-def: $vgpr6
.LBB6_2348:
	s_andn2_b64 vcc, exec, s[0:1]
	s_cbranch_vccnz .LBB6_2350
; %bb.2349:
	global_load_dword v6, v[8:9], off
	s_mov_b32 s0, 0x2f800000
	s_waitcnt vmcnt(0)
	v_trunc_f32_e32 v6, v6
	v_mul_f32_e64 v7, |v6|, s0
	v_floor_f32_e32 v7, v7
	s_mov_b32 s0, 0xcf800000
	v_fma_f32 v7, v7, s0, |v6|
	v_cvt_u32_f32_e32 v7, v7
	v_ashrrev_i32_e32 v6, 31, v6
	v_xor_b32_e32 v7, v7, v6
	v_sub_u32_e32 v6, v7, v6
.LBB6_2350:
	s_mov_b64 s[0:1], 0
.LBB6_2351:
	s_andn2_b64 vcc, exec, s[0:1]
	s_cbranch_vccnz .LBB6_2353
; %bb.2352:
	global_load_dword v6, v[8:9], off
	s_waitcnt vmcnt(0)
	v_cvt_f32_f16_e32 v6, v6
	v_cvt_i32_f32_e32 v6, v6
.LBB6_2353:
	s_mov_b64 s[0:1], 0
.LBB6_2354:
	s_andn2_b64 vcc, exec, s[0:1]
	s_cbranch_vccnz .LBB6_2365
; %bb.2355:
	s_cmp_lt_i32 s4, 6
	s_cbranch_scc1 .LBB6_2358
; %bb.2356:
	s_cmp_gt_i32 s4, 6
	s_cbranch_scc0 .LBB6_2359
; %bb.2357:
	global_load_dwordx2 v[6:7], v[8:9], off
	s_movk_i32 s0, 0xffe0
	s_waitcnt vmcnt(0)
	v_trunc_f64_e32 v[6:7], v[6:7]
	v_ldexp_f64 v[12:13], v[6:7], s0
	s_mov_b32 s0, 0
	s_mov_b32 s1, 0xc1f00000
	v_floor_f64_e32 v[12:13], v[12:13]
	v_fma_f64 v[6:7], v[12:13], s[0:1], v[6:7]
	s_mov_b64 s[0:1], 0
	v_cvt_u32_f64_e32 v6, v[6:7]
	s_branch .LBB6_2360
.LBB6_2358:
	s_mov_b64 s[0:1], -1
                                        ; implicit-def: $vgpr6
	s_branch .LBB6_2363
.LBB6_2359:
	s_mov_b64 s[0:1], -1
                                        ; implicit-def: $vgpr6
.LBB6_2360:
	s_andn2_b64 vcc, exec, s[0:1]
	s_cbranch_vccnz .LBB6_2362
; %bb.2361:
	global_load_dword v6, v[8:9], off
	s_mov_b32 s0, 0x2f800000
	s_waitcnt vmcnt(0)
	v_trunc_f32_e32 v6, v6
	v_mul_f32_e64 v7, |v6|, s0
	v_floor_f32_e32 v7, v7
	s_mov_b32 s0, 0xcf800000
	v_fma_f32 v7, v7, s0, |v6|
	v_cvt_u32_f32_e32 v7, v7
	v_ashrrev_i32_e32 v6, 31, v6
	v_xor_b32_e32 v7, v7, v6
	v_sub_u32_e32 v6, v7, v6
.LBB6_2362:
	s_mov_b64 s[0:1], 0
.LBB6_2363:
	s_andn2_b64 vcc, exec, s[0:1]
	s_cbranch_vccnz .LBB6_2365
; %bb.2364:
	global_load_ushort v6, v[8:9], off
	s_waitcnt vmcnt(0)
	v_cvt_f32_f16_e32 v6, v6
	v_cvt_i32_f32_e32 v6, v6
.LBB6_2365:
	s_mov_b64 s[0:1], 0
.LBB6_2366:
	s_andn2_b64 vcc, exec, s[0:1]
	s_cbranch_vccnz .LBB6_2386
; %bb.2367:
	s_cmp_lt_i32 s4, 2
	s_cbranch_scc1 .LBB6_2371
; %bb.2368:
	s_cmp_lt_i32 s4, 3
	s_cbranch_scc1 .LBB6_2372
; %bb.2369:
	s_cmp_gt_i32 s4, 3
	s_cbranch_scc0 .LBB6_2373
; %bb.2370:
	global_load_dwordx2 v[6:7], v[8:9], off
	s_mov_b64 s[0:1], 0
	s_branch .LBB6_2374
.LBB6_2371:
	s_mov_b64 s[0:1], -1
                                        ; implicit-def: $vgpr6
	s_branch .LBB6_2380
.LBB6_2372:
	s_mov_b64 s[0:1], -1
                                        ; implicit-def: $vgpr6
	s_branch .LBB6_2377
.LBB6_2373:
	s_mov_b64 s[0:1], -1
                                        ; implicit-def: $vgpr6
.LBB6_2374:
	s_andn2_b64 vcc, exec, s[0:1]
	s_cbranch_vccnz .LBB6_2376
; %bb.2375:
	global_load_dword v6, v[8:9], off
.LBB6_2376:
	s_mov_b64 s[0:1], 0
.LBB6_2377:
	s_andn2_b64 vcc, exec, s[0:1]
	s_cbranch_vccnz .LBB6_2379
; %bb.2378:
	global_load_ushort v6, v[8:9], off
.LBB6_2379:
	s_mov_b64 s[0:1], 0
.LBB6_2380:
	s_andn2_b64 vcc, exec, s[0:1]
	s_cbranch_vccnz .LBB6_2386
; %bb.2381:
	s_cmp_gt_i32 s4, 0
	s_cbranch_scc0 .LBB6_2383
; %bb.2382:
	global_load_ubyte v6, v[8:9], off
	s_mov_b64 s[0:1], 0
	s_branch .LBB6_2384
.LBB6_2383:
	s_mov_b64 s[0:1], -1
                                        ; implicit-def: $vgpr6
.LBB6_2384:
	s_andn2_b64 vcc, exec, s[0:1]
	s_cbranch_vccnz .LBB6_2386
; %bb.2385:
	global_load_ubyte v6, v[8:9], off
.LBB6_2386:
	s_mov_b64 s[10:11], -1
.LBB6_2387:
	s_andn2_b64 vcc, exec, s[10:11]
	s_cbranch_vccnz .LBB6_2947
; %bb.2388:
	s_waitcnt vmcnt(0)
	v_add_u32_e32 v7, s14, v10
	v_ashrrev_i32_e32 v8, 31, v7
	v_mov_b32_e32 v10, s3
	v_add_co_u32_e32 v9, vcc, s2, v7
	s_cmp_lt_i32 s25, 11
	v_addc_co_u32_e32 v10, vcc, v10, v8, vcc
	s_cbranch_scc1 .LBB6_2395
; %bb.2389:
	s_and_b32 s13, 0xffff, s25
	s_cmp_gt_i32 s13, 25
	s_mov_b64 s[2:3], 0
	s_cbranch_scc0 .LBB6_2396
; %bb.2390:
	s_cmp_gt_i32 s13, 28
	s_cbranch_scc0 .LBB6_2397
; %bb.2391:
	s_cmp_gt_i32 s13, 43
	;; [unrolled: 3-line block ×3, first 2 shown]
	s_cbranch_scc0 .LBB6_2400
; %bb.2393:
	s_cmp_eq_u32 s13, 46
	s_mov_b64 s[10:11], 0
	s_cbranch_scc0 .LBB6_2401
; %bb.2394:
	global_load_dword v7, v[9:10], off
	s_mov_b32 s0, 0x2f800000
	s_mov_b32 s1, 0xcf800000
	s_mov_b64 s[4:5], -1
	s_waitcnt vmcnt(0)
	v_lshlrev_b32_e32 v7, 16, v7
	v_trunc_f32_e32 v7, v7
	v_mul_f32_e64 v8, |v7|, s0
	v_floor_f32_e32 v8, v8
	v_fma_f32 v8, v8, s1, |v7|
	v_cvt_u32_f32_e32 v8, v8
	v_ashrrev_i32_e32 v7, 31, v7
	s_mov_b64 s[0:1], 0
	v_xor_b32_e32 v8, v8, v7
	v_sub_u32_e32 v7, v8, v7
	s_branch .LBB6_2402
.LBB6_2395:
	s_mov_b64 s[0:1], -1
	s_mov_b64 s[4:5], 0
                                        ; implicit-def: $vgpr7
	s_branch .LBB6_2464
.LBB6_2396:
	s_mov_b64 s[10:11], -1
	s_mov_b64 s[4:5], 0
	s_mov_b64 s[0:1], 0
                                        ; implicit-def: $vgpr7
	s_branch .LBB6_2429
.LBB6_2397:
	s_mov_b64 s[10:11], -1
	s_mov_b64 s[4:5], 0
	s_mov_b64 s[0:1], 0
                                        ; implicit-def: $vgpr7
	s_branch .LBB6_2412
.LBB6_2398:
	s_mov_b64 s[10:11], -1
	s_mov_b64 s[4:5], 0
	s_mov_b64 s[0:1], 0
                                        ; implicit-def: $vgpr7
	s_branch .LBB6_2407
.LBB6_2399:
	s_trap 2
	s_or_b64 s[18:19], s[18:19], exec
	s_cbranch_execz .LBB6_2336
	s_branch .LBB6_2337
.LBB6_2400:
	s_mov_b64 s[10:11], -1
	s_mov_b64 s[4:5], 0
	s_mov_b64 s[0:1], 0
                                        ; implicit-def: $vgpr7
	s_branch .LBB6_2402
.LBB6_2401:
	s_mov_b64 s[0:1], -1
                                        ; implicit-def: $vgpr7
	s_mov_b64 s[4:5], 0
.LBB6_2402:
	s_and_b64 vcc, exec, s[10:11]
	s_cbranch_vccz .LBB6_2406
; %bb.2403:
	s_cmp_eq_u32 s13, 44
	s_cbranch_scc0 .LBB6_2405
; %bb.2404:
	global_load_ubyte v7, v[9:10], off
	s_mov_b32 s0, 0x2f800000
	s_mov_b32 s1, 0xcf800000
	s_mov_b64 s[4:5], -1
	s_waitcnt vmcnt(0)
	v_lshlrev_b32_e32 v8, 23, v7
	v_trunc_f32_e32 v8, v8
	v_mul_f32_e64 v12, |v8|, s0
	v_floor_f32_e32 v12, v12
	v_fma_f32 v12, v12, s1, |v8|
	v_cvt_u32_f32_e32 v12, v12
	v_ashrrev_i32_e32 v8, 31, v8
	v_cmp_ne_u32_e32 vcc, 0, v7
	s_mov_b64 s[0:1], 0
	v_xor_b32_e32 v12, v12, v8
	v_sub_u32_e32 v8, v12, v8
	v_cndmask_b32_e32 v7, 0, v8, vcc
	s_branch .LBB6_2406
.LBB6_2405:
	s_mov_b64 s[0:1], -1
                                        ; implicit-def: $vgpr7
.LBB6_2406:
	s_mov_b64 s[10:11], 0
.LBB6_2407:
	s_and_b64 vcc, exec, s[10:11]
	s_cbranch_vccz .LBB6_2411
; %bb.2408:
	s_cmp_eq_u32 s13, 29
	s_cbranch_scc0 .LBB6_2410
; %bb.2409:
	global_load_dwordx2 v[7:8], v[9:10], off
	s_mov_b64 s[0:1], 0
	s_mov_b64 s[4:5], -1
	s_branch .LBB6_2411
.LBB6_2410:
	s_mov_b64 s[0:1], -1
                                        ; implicit-def: $vgpr7
.LBB6_2411:
	s_mov_b64 s[10:11], 0
.LBB6_2412:
	s_and_b64 vcc, exec, s[10:11]
	s_cbranch_vccz .LBB6_2428
; %bb.2413:
	s_cmp_lt_i32 s13, 27
	s_cbranch_scc1 .LBB6_2416
; %bb.2414:
	s_cmp_gt_i32 s13, 27
	s_cbranch_scc0 .LBB6_2417
; %bb.2415:
	global_load_dword v7, v[9:10], off
	s_mov_b64 s[4:5], 0
	s_branch .LBB6_2418
.LBB6_2416:
	s_mov_b64 s[4:5], -1
                                        ; implicit-def: $vgpr7
	s_branch .LBB6_2421
.LBB6_2417:
	s_mov_b64 s[4:5], -1
                                        ; implicit-def: $vgpr7
.LBB6_2418:
	s_andn2_b64 vcc, exec, s[4:5]
	s_cbranch_vccnz .LBB6_2420
; %bb.2419:
	global_load_ushort v7, v[9:10], off
.LBB6_2420:
	s_mov_b64 s[4:5], 0
.LBB6_2421:
	s_andn2_b64 vcc, exec, s[4:5]
	s_cbranch_vccnz .LBB6_2427
; %bb.2422:
	global_load_ubyte v8, v[9:10], off
	s_movk_i32 s4, 0x7f
	s_mov_b64 s[10:11], 0
	s_waitcnt vmcnt(0)
	v_cmp_lt_i16_e32 vcc, s4, v8
	s_and_saveexec_b64 s[4:5], vcc
	s_xor_b64 s[4:5], exec, s[4:5]
	s_cbranch_execz .LBB6_2439
; %bb.2423:
	s_movk_i32 s10, 0x80
	v_cmp_ne_u16_e32 vcc, s10, v8
	s_and_b64 s[10:11], vcc, exec
	s_andn2_saveexec_b64 s[4:5], s[4:5]
	s_cbranch_execnz .LBB6_2440
.LBB6_2424:
	s_or_b64 exec, exec, s[4:5]
	v_mov_b32_e32 v7, 0
	s_and_saveexec_b64 s[4:5], s[10:11]
	s_cbranch_execz .LBB6_2426
.LBB6_2425:
	v_lshlrev_b32_e32 v7, 24, v8
	v_and_b32_e32 v8, 0xffff, v8
	v_and_b32_e32 v12, 7, v8
	v_ffbh_u32_e32 v14, v12
	v_min_u32_e32 v14, 32, v14
	v_subrev_u32_e32 v15, 28, v14
	v_bfe_u32 v13, v8, 3, 4
	v_lshlrev_b32_e32 v8, v15, v8
	v_sub_u32_e32 v14, 29, v14
	v_and_b32_e32 v8, 7, v8
	v_cmp_eq_u32_e32 vcc, 0, v13
	v_cndmask_b32_e32 v13, v13, v14, vcc
	v_cndmask_b32_e32 v8, v12, v8, vcc
	v_mov_b32_e32 v12, 0x3b800000
	v_lshlrev_b32_e32 v8, 20, v8
	v_and_b32_e32 v7, 0x80000000, v7
	v_lshl_add_u32 v12, v13, 23, v12
	v_or3_b32 v7, v7, v12, v8
	v_trunc_f32_e32 v7, v7
	s_mov_b32 s10, 0x2f800000
	v_mul_f32_e64 v8, |v7|, s10
	v_floor_f32_e32 v8, v8
	s_mov_b32 s10, 0xcf800000
	v_fma_f32 v8, v8, s10, |v7|
	v_cvt_u32_f32_e32 v8, v8
	v_ashrrev_i32_e32 v7, 31, v7
	v_xor_b32_e32 v8, v8, v7
	v_sub_u32_e32 v7, v8, v7
.LBB6_2426:
	s_or_b64 exec, exec, s[4:5]
.LBB6_2427:
	s_mov_b64 s[4:5], -1
.LBB6_2428:
	s_mov_b64 s[10:11], 0
.LBB6_2429:
	s_and_b64 vcc, exec, s[10:11]
	s_cbranch_vccz .LBB6_2460
; %bb.2430:
	s_cmp_gt_i32 s13, 22
	s_cbranch_scc0 .LBB6_2438
; %bb.2431:
	s_cmp_lt_i32 s13, 24
	s_cbranch_scc1 .LBB6_2441
; %bb.2432:
	s_cmp_gt_i32 s13, 24
	s_cbranch_scc0 .LBB6_2442
; %bb.2433:
	global_load_ubyte v8, v[9:10], off
	s_movk_i32 s2, 0x7f
	s_mov_b64 s[4:5], 0
	s_waitcnt vmcnt(0)
	v_cmp_lt_i16_e32 vcc, s2, v8
	s_and_saveexec_b64 s[2:3], vcc
	s_xor_b64 s[2:3], exec, s[2:3]
	s_cbranch_execz .LBB6_2454
; %bb.2434:
	s_movk_i32 s4, 0x80
	v_cmp_ne_u16_e32 vcc, s4, v8
	s_and_b64 s[4:5], vcc, exec
	s_andn2_saveexec_b64 s[2:3], s[2:3]
	s_cbranch_execnz .LBB6_2455
.LBB6_2435:
	s_or_b64 exec, exec, s[2:3]
	v_mov_b32_e32 v7, 0
	s_and_saveexec_b64 s[2:3], s[4:5]
	s_cbranch_execz .LBB6_2437
.LBB6_2436:
	v_lshlrev_b32_e32 v7, 24, v8
	v_and_b32_e32 v8, 0xffff, v8
	v_and_b32_e32 v12, 3, v8
	v_ffbh_u32_e32 v14, v12
	v_min_u32_e32 v14, 32, v14
	v_subrev_u32_e32 v15, 29, v14
	v_bfe_u32 v13, v8, 2, 5
	v_lshlrev_b32_e32 v8, v15, v8
	v_sub_u32_e32 v14, 30, v14
	v_and_b32_e32 v8, 3, v8
	v_cmp_eq_u32_e32 vcc, 0, v13
	v_cndmask_b32_e32 v13, v13, v14, vcc
	v_cndmask_b32_e32 v8, v12, v8, vcc
	v_mov_b32_e32 v12, 0x37800000
	v_lshlrev_b32_e32 v8, 21, v8
	v_and_b32_e32 v7, 0x80000000, v7
	v_lshl_add_u32 v12, v13, 23, v12
	v_or3_b32 v7, v7, v12, v8
	v_trunc_f32_e32 v7, v7
	s_mov_b32 s4, 0x2f800000
	v_mul_f32_e64 v8, |v7|, s4
	v_floor_f32_e32 v8, v8
	s_mov_b32 s4, 0xcf800000
	v_fma_f32 v8, v8, s4, |v7|
	v_cvt_u32_f32_e32 v8, v8
	v_ashrrev_i32_e32 v7, 31, v7
	v_xor_b32_e32 v8, v8, v7
	v_sub_u32_e32 v7, v8, v7
.LBB6_2437:
	s_or_b64 exec, exec, s[2:3]
	s_mov_b64 s[2:3], 0
	s_branch .LBB6_2443
.LBB6_2438:
	s_mov_b64 s[2:3], -1
                                        ; implicit-def: $vgpr7
	s_branch .LBB6_2449
.LBB6_2439:
	s_andn2_saveexec_b64 s[4:5], s[4:5]
	s_cbranch_execz .LBB6_2424
.LBB6_2440:
	v_cmp_ne_u16_e32 vcc, 0, v8
	s_andn2_b64 s[10:11], s[10:11], exec
	s_and_b64 s[20:21], vcc, exec
	s_or_b64 s[10:11], s[10:11], s[20:21]
	s_or_b64 exec, exec, s[4:5]
	v_mov_b32_e32 v7, 0
	s_and_saveexec_b64 s[4:5], s[10:11]
	s_cbranch_execnz .LBB6_2425
	s_branch .LBB6_2426
.LBB6_2441:
	s_mov_b64 s[2:3], -1
                                        ; implicit-def: $vgpr7
	s_branch .LBB6_2446
.LBB6_2442:
	s_mov_b64 s[2:3], -1
                                        ; implicit-def: $vgpr7
.LBB6_2443:
	s_and_b64 vcc, exec, s[2:3]
	s_cbranch_vccz .LBB6_2445
; %bb.2444:
	global_load_ubyte v7, v[9:10], off
	s_mov_b32 s2, 0x7f800000
	s_brev_b32 s3, 1
	s_mov_b32 s4, 0x2f800000
	s_waitcnt vmcnt(0)
	v_lshlrev_b32_e32 v7, 24, v7
	v_and_b32_e32 v8, 0x7f000000, v7
	v_ffbh_u32_e32 v12, v8
	v_min_u32_e32 v12, 32, v12
	v_sub_u32_e64 v12, v12, 4 clamp
	v_lshlrev_b32_e32 v14, v12, v8
	v_lshlrev_b32_e32 v12, 23, v12
	v_lshrrev_b32_e32 v14, 4, v14
	v_add_u32_e32 v13, 0x1000000, v8
	v_sub_u32_e32 v12, v14, v12
	v_ashrrev_i32_e32 v13, 8, v13
	v_add_u32_e32 v12, 0x3c000000, v12
	v_and_or_b32 v12, v13, s2, v12
	v_cmp_ne_u32_e32 vcc, 0, v8
	v_cndmask_b32_e32 v8, 0, v12, vcc
	v_and_or_b32 v7, v7, s3, v8
	v_trunc_f32_e32 v7, v7
	v_mul_f32_e64 v8, |v7|, s4
	v_floor_f32_e32 v8, v8
	s_mov_b32 s2, 0xcf800000
	v_fma_f32 v8, v8, s2, |v7|
	v_cvt_u32_f32_e32 v8, v8
	v_ashrrev_i32_e32 v7, 31, v7
	v_xor_b32_e32 v8, v8, v7
	v_sub_u32_e32 v7, v8, v7
.LBB6_2445:
	s_mov_b64 s[2:3], 0
.LBB6_2446:
	s_andn2_b64 vcc, exec, s[2:3]
	s_cbranch_vccnz .LBB6_2448
; %bb.2447:
	global_load_ubyte v7, v[9:10], off
	s_movk_i32 s2, 0x7f00
	s_brev_b32 s3, 16
	s_brev_b32 s4, 1
	s_mov_b32 s5, 0x2f800000
	s_waitcnt vmcnt(0)
	v_lshlrev_b16_e32 v8, 8, v7
	v_lshlrev_b32_e32 v7, 25, v7
	v_lshrrev_b32_e32 v12, 4, v7
	v_and_or_b32 v13, v8, s2, 0.5
	v_or_b32_e32 v12, 0x70000000, v12
	v_add_f32_e32 v13, -0.5, v13
	v_mul_f32_e32 v12, 0x7800000, v12
	v_cmp_gt_u32_e32 vcc, s3, v7
	v_bfe_i32 v8, v8, 0, 16
	v_cndmask_b32_e32 v7, v12, v13, vcc
	v_and_or_b32 v7, v8, s4, v7
	v_trunc_f32_e32 v7, v7
	v_mul_f32_e64 v8, |v7|, s5
	v_floor_f32_e32 v8, v8
	s_mov_b32 s2, 0xcf800000
	v_fma_f32 v8, v8, s2, |v7|
	v_cvt_u32_f32_e32 v8, v8
	v_ashrrev_i32_e32 v7, 31, v7
	v_xor_b32_e32 v8, v8, v7
	v_sub_u32_e32 v7, v8, v7
.LBB6_2448:
	s_mov_b64 s[2:3], 0
	s_mov_b64 s[4:5], -1
.LBB6_2449:
	s_andn2_b64 vcc, exec, s[2:3]
	s_mov_b64 s[2:3], 0
	s_cbranch_vccnz .LBB6_2460
; %bb.2450:
	s_cmp_gt_i32 s13, 14
	s_cbranch_scc0 .LBB6_2453
; %bb.2451:
	s_cmp_eq_u32 s13, 15
	s_cbranch_scc0 .LBB6_2456
; %bb.2452:
	global_load_ushort v7, v[9:10], off
	s_mov_b32 s0, 0x2f800000
	s_mov_b32 s1, 0xcf800000
	s_mov_b64 s[4:5], -1
	s_waitcnt vmcnt(0)
	v_lshlrev_b32_e32 v7, 16, v7
	v_trunc_f32_e32 v7, v7
	v_mul_f32_e64 v8, |v7|, s0
	v_floor_f32_e32 v8, v8
	v_fma_f32 v8, v8, s1, |v7|
	v_cvt_u32_f32_e32 v8, v8
	v_ashrrev_i32_e32 v7, 31, v7
	s_mov_b64 s[0:1], 0
	v_xor_b32_e32 v8, v8, v7
	v_sub_u32_e32 v7, v8, v7
	s_branch .LBB6_2457
.LBB6_2453:
	s_mov_b64 s[10:11], -1
                                        ; implicit-def: $vgpr7
	s_branch .LBB6_2458
.LBB6_2454:
	s_andn2_saveexec_b64 s[2:3], s[2:3]
	s_cbranch_execz .LBB6_2435
.LBB6_2455:
	v_cmp_ne_u16_e32 vcc, 0, v8
	s_andn2_b64 s[4:5], s[4:5], exec
	s_and_b64 s[10:11], vcc, exec
	s_or_b64 s[4:5], s[4:5], s[10:11]
	s_or_b64 exec, exec, s[2:3]
	v_mov_b32_e32 v7, 0
	s_and_saveexec_b64 s[2:3], s[4:5]
	s_cbranch_execnz .LBB6_2436
	s_branch .LBB6_2437
.LBB6_2456:
	s_mov_b64 s[0:1], -1
                                        ; implicit-def: $vgpr7
.LBB6_2457:
	s_mov_b64 s[10:11], 0
.LBB6_2458:
	s_and_b64 vcc, exec, s[10:11]
	s_cbranch_vccz .LBB6_2460
; %bb.2459:
	s_cmp_lg_u32 s13, 11
	s_mov_b64 s[2:3], -1
	s_cselect_b64 s[0:1], -1, 0
.LBB6_2460:
	s_and_b64 vcc, exec, s[0:1]
	s_cbranch_vccnz .LBB6_2993
; %bb.2461:
	s_andn2_b64 vcc, exec, s[2:3]
	s_cbranch_vccnz .LBB6_2463
.LBB6_2462:
	global_load_ubyte v7, v[9:10], off
	s_mov_b64 s[4:5], -1
	s_waitcnt vmcnt(0)
	v_cmp_ne_u16_e32 vcc, 0, v7
	v_cndmask_b32_e64 v7, 0, 1, vcc
.LBB6_2463:
	s_mov_b64 s[0:1], 0
.LBB6_2464:
	s_and_b64 vcc, exec, s[0:1]
	s_cbranch_vccz .LBB6_2513
; %bb.2465:
	s_and_b32 s2, 0xffff, s25
	s_cmp_lt_i32 s2, 5
	s_cbranch_scc1 .LBB6_2470
; %bb.2466:
	s_cmp_lt_i32 s2, 8
	s_cbranch_scc1 .LBB6_2471
; %bb.2467:
	;; [unrolled: 3-line block ×3, first 2 shown]
	s_cmp_gt_i32 s2, 9
	s_cbranch_scc0 .LBB6_2473
; %bb.2469:
	global_load_dwordx2 v[7:8], v[9:10], off
	s_movk_i32 s0, 0xffe0
	s_waitcnt vmcnt(0)
	v_trunc_f64_e32 v[7:8], v[7:8]
	v_ldexp_f64 v[12:13], v[7:8], s0
	s_mov_b32 s0, 0
	s_mov_b32 s1, 0xc1f00000
	v_floor_f64_e32 v[12:13], v[12:13]
	v_fma_f64 v[7:8], v[12:13], s[0:1], v[7:8]
	s_mov_b64 s[0:1], 0
	v_cvt_u32_f64_e32 v7, v[7:8]
	s_branch .LBB6_2474
.LBB6_2470:
	s_mov_b64 s[0:1], -1
                                        ; implicit-def: $vgpr7
	s_branch .LBB6_2492
.LBB6_2471:
	s_mov_b64 s[0:1], -1
                                        ; implicit-def: $vgpr7
	s_branch .LBB6_2480
.LBB6_2472:
	s_mov_b64 s[0:1], -1
                                        ; implicit-def: $vgpr7
	s_branch .LBB6_2477
.LBB6_2473:
	s_mov_b64 s[0:1], -1
                                        ; implicit-def: $vgpr7
.LBB6_2474:
	s_andn2_b64 vcc, exec, s[0:1]
	s_cbranch_vccnz .LBB6_2476
; %bb.2475:
	global_load_dword v7, v[9:10], off
	s_mov_b32 s0, 0x2f800000
	s_waitcnt vmcnt(0)
	v_trunc_f32_e32 v7, v7
	v_mul_f32_e64 v8, |v7|, s0
	v_floor_f32_e32 v8, v8
	s_mov_b32 s0, 0xcf800000
	v_fma_f32 v8, v8, s0, |v7|
	v_cvt_u32_f32_e32 v8, v8
	v_ashrrev_i32_e32 v7, 31, v7
	v_xor_b32_e32 v8, v8, v7
	v_sub_u32_e32 v7, v8, v7
.LBB6_2476:
	s_mov_b64 s[0:1], 0
.LBB6_2477:
	s_andn2_b64 vcc, exec, s[0:1]
	s_cbranch_vccnz .LBB6_2479
; %bb.2478:
	global_load_dword v7, v[9:10], off
	s_waitcnt vmcnt(0)
	v_cvt_f32_f16_e32 v7, v7
	v_cvt_i32_f32_e32 v7, v7
.LBB6_2479:
	s_mov_b64 s[0:1], 0
.LBB6_2480:
	s_andn2_b64 vcc, exec, s[0:1]
	s_cbranch_vccnz .LBB6_2491
; %bb.2481:
	s_cmp_lt_i32 s2, 6
	s_cbranch_scc1 .LBB6_2484
; %bb.2482:
	s_cmp_gt_i32 s2, 6
	s_cbranch_scc0 .LBB6_2485
; %bb.2483:
	global_load_dwordx2 v[7:8], v[9:10], off
	s_movk_i32 s0, 0xffe0
	s_waitcnt vmcnt(0)
	v_trunc_f64_e32 v[7:8], v[7:8]
	v_ldexp_f64 v[12:13], v[7:8], s0
	s_mov_b32 s0, 0
	s_mov_b32 s1, 0xc1f00000
	v_floor_f64_e32 v[12:13], v[12:13]
	v_fma_f64 v[7:8], v[12:13], s[0:1], v[7:8]
	s_mov_b64 s[0:1], 0
	v_cvt_u32_f64_e32 v7, v[7:8]
	s_branch .LBB6_2486
.LBB6_2484:
	s_mov_b64 s[0:1], -1
                                        ; implicit-def: $vgpr7
	s_branch .LBB6_2489
.LBB6_2485:
	s_mov_b64 s[0:1], -1
                                        ; implicit-def: $vgpr7
.LBB6_2486:
	s_andn2_b64 vcc, exec, s[0:1]
	s_cbranch_vccnz .LBB6_2488
; %bb.2487:
	global_load_dword v7, v[9:10], off
	s_mov_b32 s0, 0x2f800000
	s_waitcnt vmcnt(0)
	v_trunc_f32_e32 v7, v7
	v_mul_f32_e64 v8, |v7|, s0
	v_floor_f32_e32 v8, v8
	s_mov_b32 s0, 0xcf800000
	v_fma_f32 v8, v8, s0, |v7|
	v_cvt_u32_f32_e32 v8, v8
	v_ashrrev_i32_e32 v7, 31, v7
	v_xor_b32_e32 v8, v8, v7
	v_sub_u32_e32 v7, v8, v7
.LBB6_2488:
	s_mov_b64 s[0:1], 0
.LBB6_2489:
	s_andn2_b64 vcc, exec, s[0:1]
	s_cbranch_vccnz .LBB6_2491
; %bb.2490:
	global_load_ushort v7, v[9:10], off
	s_waitcnt vmcnt(0)
	v_cvt_f32_f16_e32 v7, v7
	v_cvt_i32_f32_e32 v7, v7
.LBB6_2491:
	s_mov_b64 s[0:1], 0
.LBB6_2492:
	s_andn2_b64 vcc, exec, s[0:1]
	s_cbranch_vccnz .LBB6_2512
; %bb.2493:
	s_cmp_lt_i32 s2, 2
	s_cbranch_scc1 .LBB6_2497
; %bb.2494:
	s_cmp_lt_i32 s2, 3
	s_cbranch_scc1 .LBB6_2498
; %bb.2495:
	s_cmp_gt_i32 s2, 3
	s_cbranch_scc0 .LBB6_2499
; %bb.2496:
	global_load_dwordx2 v[7:8], v[9:10], off
	s_mov_b64 s[0:1], 0
	s_branch .LBB6_2500
.LBB6_2497:
	s_mov_b64 s[0:1], -1
                                        ; implicit-def: $vgpr7
	s_branch .LBB6_2506
.LBB6_2498:
	s_mov_b64 s[0:1], -1
                                        ; implicit-def: $vgpr7
	s_branch .LBB6_2503
.LBB6_2499:
	s_mov_b64 s[0:1], -1
                                        ; implicit-def: $vgpr7
.LBB6_2500:
	s_andn2_b64 vcc, exec, s[0:1]
	s_cbranch_vccnz .LBB6_2502
; %bb.2501:
	global_load_dword v7, v[9:10], off
.LBB6_2502:
	s_mov_b64 s[0:1], 0
.LBB6_2503:
	s_andn2_b64 vcc, exec, s[0:1]
	s_cbranch_vccnz .LBB6_2505
; %bb.2504:
	global_load_ushort v7, v[9:10], off
.LBB6_2505:
	s_mov_b64 s[0:1], 0
.LBB6_2506:
	s_andn2_b64 vcc, exec, s[0:1]
	s_cbranch_vccnz .LBB6_2512
; %bb.2507:
	s_cmp_gt_i32 s2, 0
	s_cbranch_scc0 .LBB6_2509
; %bb.2508:
	global_load_ubyte v7, v[9:10], off
	s_mov_b64 s[0:1], 0
	s_branch .LBB6_2510
.LBB6_2509:
	s_mov_b64 s[0:1], -1
                                        ; implicit-def: $vgpr7
.LBB6_2510:
	s_andn2_b64 vcc, exec, s[0:1]
	s_cbranch_vccnz .LBB6_2512
; %bb.2511:
	global_load_ubyte v7, v[9:10], off
.LBB6_2512:
	s_mov_b64 s[4:5], -1
.LBB6_2513:
	s_andn2_b64 vcc, exec, s[4:5]
	s_cbranch_vccnz .LBB6_2947
; %bb.2514:
	s_waitcnt vmcnt(0)
	v_mul_lo_u32 v8, s12, v11
	s_cmp_eq_u32 s15, 0
	s_cselect_b64 s[2:3], -1, 0
	v_cmp_ne_u16_sdwa s[0:1], v0, v1 src0_sel:BYTE_0 src1_sel:BYTE_0
	s_xor_b64 s[4:5], s[2:3], s[0:1]
	v_ashrrev_i32_e32 v1, 31, v8
	v_mov_b32_e32 v9, s9
	s_and_b32 s24, s33, 0xff
	v_add_co_u32_e32 v0, vcc, s8, v8
	s_cmp_lt_i32 s24, 11
	v_addc_co_u32_e32 v1, vcc, v9, v1, vcc
	s_cbranch_scc1 .LBB6_2592
; %bb.2515:
	s_and_b32 s13, 0xffff, s24
	s_mov_b64 s[20:21], -1
	s_mov_b64 s[10:11], 0
	s_cmp_gt_i32 s13, 25
	s_mov_b64 s[14:15], 0
	s_mov_b64 s[0:1], 0
	s_cbranch_scc0 .LBB6_2548
; %bb.2516:
	s_cmp_gt_i32 s13, 28
	s_cbranch_scc0 .LBB6_2531
; %bb.2517:
	s_cmp_gt_i32 s13, 43
	;; [unrolled: 3-line block ×3, first 2 shown]
	s_cbranch_scc0 .LBB6_2521
; %bb.2519:
	s_mov_b64 s[0:1], -1
	s_mov_b64 s[20:21], 0
	s_cmp_eq_u32 s13, 46
	s_cbranch_scc0 .LBB6_2521
; %bb.2520:
	v_cndmask_b32_e64 v9, 0, 1.0, s[4:5]
	v_bfe_u32 v10, v9, 16, 1
	s_movk_i32 s0, 0x7fff
	v_add3_u32 v9, v9, v10, s0
	v_lshrrev_b32_e32 v9, 16, v9
	global_store_dword v[0:1], v9, off
	s_mov_b64 s[0:1], 0
	s_mov_b64 s[14:15], -1
.LBB6_2521:
	s_and_b64 vcc, exec, s[20:21]
	s_cbranch_vccz .LBB6_2526
; %bb.2522:
	s_cmp_eq_u32 s13, 44
	s_mov_b64 s[0:1], -1
	s_cbranch_scc0 .LBB6_2526
; %bb.2523:
	v_cndmask_b32_e64 v10, 0, 1.0, s[4:5]
	v_lshrrev_b32_e32 v9, 23, v10
	s_movk_i32 s0, 0xff
	v_cmp_ne_u32_e32 vcc, s0, v9
	v_mov_b32_e32 v11, 0xff
	s_and_saveexec_b64 s[14:15], vcc
; %bb.2524:
	s_mov_b32 s0, 0x3fffff
	v_and_b32_e32 v11, 0x400000, v10
	v_and_or_b32 v10, v10, s0, v9
	v_cmp_ne_u32_e32 vcc, 0, v11
	v_cmp_ne_u32_e64 s[0:1], 0, v10
	s_and_b64 s[0:1], vcc, s[0:1]
	v_cndmask_b32_e64 v10, 0, 1, s[0:1]
	v_add_u32_e32 v11, v9, v10
; %bb.2525:
	s_or_b64 exec, exec, s[14:15]
	s_mov_b64 s[0:1], 0
	s_mov_b64 s[14:15], -1
	global_store_byte v[0:1], v11, off
.LBB6_2526:
	s_mov_b64 s[20:21], 0
.LBB6_2527:
	s_and_b64 vcc, exec, s[20:21]
	s_cbranch_vccz .LBB6_2530
; %bb.2528:
	s_cmp_eq_u32 s13, 29
	s_mov_b64 s[0:1], -1
	s_cbranch_scc0 .LBB6_2530
; %bb.2529:
	s_mov_b32 s0, 0
	v_cndmask_b32_e64 v9, 0, 1, s[4:5]
	v_mov_b32_e32 v10, s0
	global_store_dwordx2 v[0:1], v[9:10], off
	s_mov_b64 s[0:1], 0
	s_mov_b64 s[14:15], -1
.LBB6_2530:
	s_mov_b64 s[20:21], 0
.LBB6_2531:
	s_and_b64 vcc, exec, s[20:21]
	s_cbranch_vccz .LBB6_2547
; %bb.2532:
	s_cmp_lt_i32 s13, 27
	s_mov_b64 s[14:15], -1
	s_cbranch_scc1 .LBB6_2538
; %bb.2533:
	s_cmp_gt_i32 s13, 27
	s_cbranch_scc0 .LBB6_2535
; %bb.2534:
	v_cndmask_b32_e64 v9, 0, 1, s[4:5]
	s_mov_b64 s[14:15], 0
	global_store_dword v[0:1], v9, off
.LBB6_2535:
	s_andn2_b64 vcc, exec, s[14:15]
	s_cbranch_vccnz .LBB6_2537
; %bb.2536:
	v_cndmask_b32_e64 v9, 0, 1, s[4:5]
	global_store_short v[0:1], v9, off
.LBB6_2537:
	s_mov_b64 s[14:15], 0
.LBB6_2538:
	s_andn2_b64 vcc, exec, s[14:15]
	s_cbranch_vccnz .LBB6_2546
; %bb.2539:
	v_cndmask_b32_e64 v10, 0, 1.0, s[4:5]
	s_mov_b32 s14, 0x43800000
	v_cmp_gt_u32_e32 vcc, s14, v10
	v_mov_b32_e32 v11, 0x80
	s_and_saveexec_b64 s[14:15], vcc
	s_cbranch_execz .LBB6_2545
; %bb.2540:
	s_mov_b32 s20, 0x3bffffff
	v_cmp_lt_u32_e32 vcc, s20, v10
	s_mov_b64 s[20:21], 0
                                        ; implicit-def: $vgpr9
	s_and_saveexec_b64 s[22:23], vcc
	s_xor_b64 s[22:23], exec, s[22:23]
	s_cbranch_execz .LBB6_2994
; %bb.2541:
	v_bfe_u32 v9, v10, 20, 1
	s_mov_b32 s25, 0x487ffff
	v_add3_u32 v9, v10, v9, s25
	s_mov_b64 s[20:21], exec
	v_lshrrev_b32_e32 v9, 20, v9
                                        ; implicit-def: $vgpr10
	s_andn2_saveexec_b64 s[22:23], s[22:23]
	s_cbranch_execnz .LBB6_2995
.LBB6_2542:
	s_or_b64 exec, exec, s[22:23]
	v_mov_b32_e32 v11, 0
	s_and_saveexec_b64 s[22:23], s[20:21]
.LBB6_2543:
	v_mov_b32_e32 v11, v9
.LBB6_2544:
	s_or_b64 exec, exec, s[22:23]
.LBB6_2545:
	s_or_b64 exec, exec, s[14:15]
	global_store_byte v[0:1], v11, off
.LBB6_2546:
	s_mov_b64 s[14:15], -1
.LBB6_2547:
	s_mov_b64 s[20:21], 0
.LBB6_2548:
	s_and_b64 vcc, exec, s[20:21]
	s_cbranch_vccz .LBB6_2588
; %bb.2549:
	s_cmp_gt_i32 s13, 22
	s_mov_b64 s[10:11], -1
	s_cbranch_scc0 .LBB6_2581
; %bb.2550:
	s_cmp_lt_i32 s13, 24
	s_cbranch_scc1 .LBB6_2570
; %bb.2551:
	s_cmp_gt_i32 s13, 24
	s_cbranch_scc0 .LBB6_2559
; %bb.2552:
	v_cndmask_b32_e64 v10, 0, 1.0, s[4:5]
	s_mov_b32 s10, 0x47800000
	v_cmp_gt_u32_e32 vcc, s10, v10
	v_mov_b32_e32 v11, 0x80
	s_and_saveexec_b64 s[10:11], vcc
	s_cbranch_execz .LBB6_2558
; %bb.2553:
	s_mov_b32 s14, 0x37ffffff
	v_cmp_lt_u32_e32 vcc, s14, v10
	s_mov_b64 s[14:15], 0
                                        ; implicit-def: $vgpr9
	s_and_saveexec_b64 s[20:21], vcc
	s_xor_b64 s[20:21], exec, s[20:21]
	s_cbranch_execz .LBB6_2997
; %bb.2554:
	v_bfe_u32 v9, v10, 21, 1
	s_mov_b32 s22, 0x88fffff
	v_add3_u32 v9, v10, v9, s22
	s_mov_b64 s[14:15], exec
	v_lshrrev_b32_e32 v9, 21, v9
                                        ; implicit-def: $vgpr10
	s_andn2_saveexec_b64 s[20:21], s[20:21]
	s_cbranch_execnz .LBB6_2998
.LBB6_2555:
	s_or_b64 exec, exec, s[20:21]
	v_mov_b32_e32 v11, 0
	s_and_saveexec_b64 s[20:21], s[14:15]
.LBB6_2556:
	v_mov_b32_e32 v11, v9
.LBB6_2557:
	s_or_b64 exec, exec, s[20:21]
.LBB6_2558:
	s_or_b64 exec, exec, s[10:11]
	s_mov_b64 s[10:11], 0
	global_store_byte v[0:1], v11, off
.LBB6_2559:
	s_and_b64 vcc, exec, s[10:11]
	s_cbranch_vccz .LBB6_2569
; %bb.2560:
	v_cndmask_b32_e64 v9, 0, 1.0, s[4:5]
	s_mov_b32 s10, 0x43f00000
	v_cmp_gt_u32_e32 vcc, s10, v9
                                        ; implicit-def: $vgpr10
	s_and_saveexec_b64 s[10:11], vcc
	s_xor_b64 s[10:11], exec, s[10:11]
	s_cbranch_execz .LBB6_2566
; %bb.2561:
	s_mov_b32 s14, 0x3c7fffff
	v_cmp_lt_u32_e32 vcc, s14, v9
                                        ; implicit-def: $vgpr10
	s_and_saveexec_b64 s[14:15], vcc
	s_xor_b64 s[14:15], exec, s[14:15]
; %bb.2562:
	v_bfe_u32 v10, v9, 20, 1
	s_mov_b32 s20, 0x407ffff
	v_add3_u32 v9, v9, v10, s20
	v_lshrrev_b32_e32 v10, 20, v9
	v_and_b32_e32 v9, 0xff00000, v9
	s_mov_b32 s20, 0x7f00000
	v_mov_b32_e32 v11, 0x7e
	v_cmp_ne_u32_e32 vcc, s20, v9
	v_cndmask_b32_e32 v10, v11, v10, vcc
                                        ; implicit-def: $vgpr9
; %bb.2563:
	s_andn2_saveexec_b64 s[14:15], s[14:15]
; %bb.2564:
	v_add_f32_e32 v10, 0x46800000, v9
; %bb.2565:
	s_or_b64 exec, exec, s[14:15]
                                        ; implicit-def: $vgpr9
.LBB6_2566:
	s_andn2_saveexec_b64 s[10:11], s[10:11]
; %bb.2567:
	s_mov_b32 s14, 0x7f800000
	v_mov_b32_e32 v10, 0x7e
	v_mov_b32_e32 v11, 0x7f
	v_cmp_lt_u32_e32 vcc, s14, v9
	v_cndmask_b32_e32 v10, v10, v11, vcc
; %bb.2568:
	s_or_b64 exec, exec, s[10:11]
	global_store_byte v[0:1], v10, off
.LBB6_2569:
	s_mov_b64 s[10:11], 0
.LBB6_2570:
	s_andn2_b64 vcc, exec, s[10:11]
	s_cbranch_vccnz .LBB6_2580
; %bb.2571:
	v_cndmask_b32_e64 v9, 0, 1.0, s[4:5]
	s_mov_b32 s10, 0x47800000
	v_cmp_gt_u32_e32 vcc, s10, v9
                                        ; implicit-def: $vgpr10
	s_and_saveexec_b64 s[10:11], vcc
	s_xor_b64 s[10:11], exec, s[10:11]
	s_cbranch_execz .LBB6_2577
; %bb.2572:
	s_mov_b32 s14, 0x387fffff
	v_cmp_lt_u32_e32 vcc, s14, v9
                                        ; implicit-def: $vgpr10
	s_and_saveexec_b64 s[14:15], vcc
	s_xor_b64 s[14:15], exec, s[14:15]
; %bb.2573:
	v_bfe_u32 v10, v9, 21, 1
	s_mov_b32 s20, 0x80fffff
	v_add3_u32 v9, v9, v10, s20
	v_lshrrev_b32_e32 v10, 21, v9
                                        ; implicit-def: $vgpr9
; %bb.2574:
	s_andn2_saveexec_b64 s[14:15], s[14:15]
; %bb.2575:
	v_add_f32_e32 v10, 0x43000000, v9
; %bb.2576:
	s_or_b64 exec, exec, s[14:15]
                                        ; implicit-def: $vgpr9
.LBB6_2577:
	s_andn2_saveexec_b64 s[10:11], s[10:11]
; %bb.2578:
	s_mov_b32 s14, 0x7f800000
	v_mov_b32_e32 v10, 0x7c
	v_mov_b32_e32 v11, 0x7f
	v_cmp_lt_u32_e32 vcc, s14, v9
	v_cndmask_b32_e32 v10, v10, v11, vcc
; %bb.2579:
	s_or_b64 exec, exec, s[10:11]
	global_store_byte v[0:1], v10, off
.LBB6_2580:
	s_mov_b64 s[10:11], 0
	s_mov_b64 s[14:15], -1
.LBB6_2581:
	s_andn2_b64 vcc, exec, s[10:11]
	s_mov_b64 s[10:11], 0
	s_cbranch_vccnz .LBB6_2588
; %bb.2582:
	s_cmp_gt_i32 s13, 14
	s_mov_b64 s[20:21], -1
	s_cbranch_scc0 .LBB6_2586
; %bb.2583:
	s_cmp_eq_u32 s13, 15
	s_mov_b64 s[0:1], -1
	s_cbranch_scc0 .LBB6_2585
; %bb.2584:
	v_cndmask_b32_e64 v9, 0, 1.0, s[4:5]
	v_bfe_u32 v10, v9, 16, 1
	s_movk_i32 s0, 0x7fff
	v_add3_u32 v9, v9, v10, s0
	global_store_short_d16_hi v[0:1], v9, off
	s_mov_b64 s[0:1], 0
	s_mov_b64 s[14:15], -1
.LBB6_2585:
	s_mov_b64 s[20:21], 0
.LBB6_2586:
	s_and_b64 vcc, exec, s[20:21]
	s_cbranch_vccz .LBB6_2588
; %bb.2587:
	s_cmp_lg_u32 s13, 11
	s_mov_b64 s[10:11], -1
	s_cselect_b64 s[0:1], -1, 0
.LBB6_2588:
	s_and_b64 vcc, exec, s[0:1]
	s_cbranch_vccnz .LBB6_2996
; %bb.2589:
	s_andn2_b64 vcc, exec, s[10:11]
	s_cbranch_vccnz .LBB6_2591
.LBB6_2590:
	v_cndmask_b32_e64 v9, 0, 1, s[4:5]
	s_mov_b64 s[14:15], -1
	global_store_byte v[0:1], v9, off
.LBB6_2591:
	s_mov_b64 s[0:1], 0
	s_branch .LBB6_2593
.LBB6_2592:
	s_mov_b64 s[0:1], -1
	s_mov_b64 s[14:15], 0
.LBB6_2593:
	s_and_b64 vcc, exec, s[0:1]
	s_cbranch_vccz .LBB6_2632
; %bb.2594:
	s_and_b32 s10, 0xffff, s24
	s_cmp_lt_i32 s10, 5
	s_mov_b64 s[0:1], -1
	s_cbranch_scc1 .LBB6_2615
; %bb.2595:
	s_cmp_lt_i32 s10, 8
	s_cbranch_scc1 .LBB6_2605
; %bb.2596:
	s_cmp_lt_i32 s10, 9
	s_cbranch_scc1 .LBB6_2602
; %bb.2597:
	s_cmp_gt_i32 s10, 9
	s_cbranch_scc0 .LBB6_2599
; %bb.2598:
	v_cndmask_b32_e64 v9, 0, 1, s[4:5]
	v_cvt_f64_u32_e32 v[9:10], v9
	v_mov_b32_e32 v11, 0
	v_mov_b32_e32 v12, v11
	s_mov_b64 s[0:1], 0
	global_store_dwordx4 v[0:1], v[9:12], off
.LBB6_2599:
	s_andn2_b64 vcc, exec, s[0:1]
	s_cbranch_vccnz .LBB6_2601
; %bb.2600:
	v_cndmask_b32_e64 v9, 0, 1.0, s[4:5]
	v_mov_b32_e32 v10, 0
	global_store_dwordx2 v[0:1], v[9:10], off
.LBB6_2601:
	s_mov_b64 s[0:1], 0
.LBB6_2602:
	s_andn2_b64 vcc, exec, s[0:1]
	s_cbranch_vccnz .LBB6_2604
; %bb.2603:
	v_cndmask_b32_e64 v9, 0, 1.0, s[4:5]
	v_cvt_f16_f32_e32 v9, v9
	global_store_dword v[0:1], v9, off
.LBB6_2604:
	s_mov_b64 s[0:1], 0
.LBB6_2605:
	s_andn2_b64 vcc, exec, s[0:1]
	s_cbranch_vccnz .LBB6_2614
; %bb.2606:
	s_cmp_lt_i32 s10, 6
	s_mov_b64 s[0:1], -1
	s_cbranch_scc1 .LBB6_2612
; %bb.2607:
	s_cmp_gt_i32 s10, 6
	s_cbranch_scc0 .LBB6_2609
; %bb.2608:
	v_cndmask_b32_e64 v9, 0, 1, s[4:5]
	v_cvt_f64_u32_e32 v[9:10], v9
	s_mov_b64 s[0:1], 0
	global_store_dwordx2 v[0:1], v[9:10], off
.LBB6_2609:
	s_andn2_b64 vcc, exec, s[0:1]
	s_cbranch_vccnz .LBB6_2611
; %bb.2610:
	v_cndmask_b32_e64 v9, 0, 1.0, s[4:5]
	global_store_dword v[0:1], v9, off
.LBB6_2611:
	s_mov_b64 s[0:1], 0
.LBB6_2612:
	s_andn2_b64 vcc, exec, s[0:1]
	s_cbranch_vccnz .LBB6_2614
; %bb.2613:
	v_cndmask_b32_e64 v9, 0, 1.0, s[4:5]
	v_cvt_f16_f32_e32 v9, v9
	global_store_short v[0:1], v9, off
.LBB6_2614:
	s_mov_b64 s[0:1], 0
.LBB6_2615:
	s_andn2_b64 vcc, exec, s[0:1]
	s_cbranch_vccnz .LBB6_2631
; %bb.2616:
	s_cmp_lt_i32 s10, 2
	s_mov_b64 s[0:1], -1
	s_cbranch_scc1 .LBB6_2626
; %bb.2617:
	s_cmp_lt_i32 s10, 3
	s_cbranch_scc1 .LBB6_2623
; %bb.2618:
	s_cmp_gt_i32 s10, 3
	s_cbranch_scc0 .LBB6_2620
; %bb.2619:
	s_mov_b32 s0, 0
	v_cndmask_b32_e64 v9, 0, 1, s[4:5]
	v_mov_b32_e32 v10, s0
	global_store_dwordx2 v[0:1], v[9:10], off
	s_mov_b64 s[0:1], 0
.LBB6_2620:
	s_andn2_b64 vcc, exec, s[0:1]
	s_cbranch_vccnz .LBB6_2622
; %bb.2621:
	v_cndmask_b32_e64 v9, 0, 1, s[4:5]
	global_store_dword v[0:1], v9, off
.LBB6_2622:
	s_mov_b64 s[0:1], 0
.LBB6_2623:
	s_andn2_b64 vcc, exec, s[0:1]
	s_cbranch_vccnz .LBB6_2625
; %bb.2624:
	v_cndmask_b32_e64 v9, 0, 1, s[4:5]
	global_store_short v[0:1], v9, off
.LBB6_2625:
	s_mov_b64 s[0:1], 0
.LBB6_2626:
	s_andn2_b64 vcc, exec, s[0:1]
	s_cbranch_vccnz .LBB6_2631
; %bb.2627:
	s_mov_b64 s[0:1], -1
	s_cmp_gt_i32 s10, 0
	v_cndmask_b32_e64 v9, 0, 1, s[4:5]
	s_cbranch_scc0 .LBB6_2629
; %bb.2628:
	global_store_byte v[0:1], v9, off
	s_mov_b64 s[0:1], 0
.LBB6_2629:
	s_andn2_b64 vcc, exec, s[0:1]
	s_cbranch_vccnz .LBB6_2631
; %bb.2630:
	global_store_byte v[0:1], v9, off
.LBB6_2631:
	s_mov_b64 s[14:15], -1
.LBB6_2632:
	s_andn2_b64 vcc, exec, s[14:15]
	s_cbranch_vccnz .LBB6_2947
; %bb.2633:
	s_lshl_b32 s22, s12, 7
	v_cmp_ne_u16_sdwa s[0:1], v2, v3 src0_sel:BYTE_0 src1_sel:BYTE_0
	v_add_u32_e32 v2, s22, v8
	s_xor_b64 s[4:5], s[2:3], s[0:1]
	v_ashrrev_i32_e32 v1, 31, v2
	v_mov_b32_e32 v3, s9
	v_add_co_u32_e32 v0, vcc, s8, v2
	s_cmp_lt_i32 s24, 11
	v_addc_co_u32_e32 v1, vcc, v3, v1, vcc
	s_cbranch_scc1 .LBB6_2711
; %bb.2634:
	s_and_b32 s23, 0xffff, s24
	s_mov_b64 s[14:15], -1
	s_mov_b64 s[10:11], 0
	s_cmp_gt_i32 s23, 25
	s_mov_b64 s[12:13], 0
	s_mov_b64 s[0:1], 0
	s_cbranch_scc0 .LBB6_2667
; %bb.2635:
	s_cmp_gt_i32 s23, 28
	s_cbranch_scc0 .LBB6_2650
; %bb.2636:
	s_cmp_gt_i32 s23, 43
	;; [unrolled: 3-line block ×3, first 2 shown]
	s_cbranch_scc0 .LBB6_2640
; %bb.2638:
	s_mov_b64 s[0:1], -1
	s_mov_b64 s[14:15], 0
	s_cmp_eq_u32 s23, 46
	s_cbranch_scc0 .LBB6_2640
; %bb.2639:
	v_cndmask_b32_e64 v3, 0, 1.0, s[4:5]
	v_bfe_u32 v8, v3, 16, 1
	s_movk_i32 s0, 0x7fff
	v_add3_u32 v3, v3, v8, s0
	v_lshrrev_b32_e32 v3, 16, v3
	global_store_dword v[0:1], v3, off
	s_mov_b64 s[0:1], 0
	s_mov_b64 s[12:13], -1
.LBB6_2640:
	s_and_b64 vcc, exec, s[14:15]
	s_cbranch_vccz .LBB6_2645
; %bb.2641:
	s_cmp_eq_u32 s23, 44
	s_mov_b64 s[0:1], -1
	s_cbranch_scc0 .LBB6_2645
; %bb.2642:
	v_cndmask_b32_e64 v8, 0, 1.0, s[4:5]
	v_lshrrev_b32_e32 v3, 23, v8
	s_movk_i32 s0, 0xff
	v_cmp_ne_u32_e32 vcc, s0, v3
	v_mov_b32_e32 v9, 0xff
	s_and_saveexec_b64 s[12:13], vcc
; %bb.2643:
	s_mov_b32 s0, 0x3fffff
	v_and_b32_e32 v9, 0x400000, v8
	v_and_or_b32 v8, v8, s0, v3
	v_cmp_ne_u32_e32 vcc, 0, v9
	v_cmp_ne_u32_e64 s[0:1], 0, v8
	s_and_b64 s[0:1], vcc, s[0:1]
	v_cndmask_b32_e64 v8, 0, 1, s[0:1]
	v_add_u32_e32 v9, v3, v8
; %bb.2644:
	s_or_b64 exec, exec, s[12:13]
	s_mov_b64 s[0:1], 0
	s_mov_b64 s[12:13], -1
	global_store_byte v[0:1], v9, off
.LBB6_2645:
	s_mov_b64 s[14:15], 0
.LBB6_2646:
	s_and_b64 vcc, exec, s[14:15]
	s_cbranch_vccz .LBB6_2649
; %bb.2647:
	s_cmp_eq_u32 s23, 29
	s_mov_b64 s[0:1], -1
	s_cbranch_scc0 .LBB6_2649
; %bb.2648:
	s_mov_b32 s0, 0
	v_cndmask_b32_e64 v8, 0, 1, s[4:5]
	v_mov_b32_e32 v9, s0
	global_store_dwordx2 v[0:1], v[8:9], off
	s_mov_b64 s[0:1], 0
	s_mov_b64 s[12:13], -1
.LBB6_2649:
	s_mov_b64 s[14:15], 0
.LBB6_2650:
	s_and_b64 vcc, exec, s[14:15]
	s_cbranch_vccz .LBB6_2666
; %bb.2651:
	s_cmp_lt_i32 s23, 27
	s_mov_b64 s[12:13], -1
	s_cbranch_scc1 .LBB6_2657
; %bb.2652:
	s_cmp_gt_i32 s23, 27
	s_cbranch_scc0 .LBB6_2654
; %bb.2653:
	v_cndmask_b32_e64 v3, 0, 1, s[4:5]
	s_mov_b64 s[12:13], 0
	global_store_dword v[0:1], v3, off
.LBB6_2654:
	s_andn2_b64 vcc, exec, s[12:13]
	s_cbranch_vccnz .LBB6_2656
; %bb.2655:
	v_cndmask_b32_e64 v3, 0, 1, s[4:5]
	global_store_short v[0:1], v3, off
.LBB6_2656:
	s_mov_b64 s[12:13], 0
.LBB6_2657:
	s_andn2_b64 vcc, exec, s[12:13]
	s_cbranch_vccnz .LBB6_2665
; %bb.2658:
	v_cndmask_b32_e64 v8, 0, 1.0, s[4:5]
	s_mov_b32 s12, 0x43800000
	v_cmp_gt_u32_e32 vcc, s12, v8
	v_mov_b32_e32 v9, 0x80
	s_and_saveexec_b64 s[12:13], vcc
	s_cbranch_execz .LBB6_2664
; %bb.2659:
	s_mov_b32 s14, 0x3bffffff
	v_cmp_lt_u32_e32 vcc, s14, v8
	s_mov_b64 s[14:15], 0
                                        ; implicit-def: $vgpr3
	s_and_saveexec_b64 s[20:21], vcc
	s_xor_b64 s[20:21], exec, s[20:21]
	s_cbranch_execz .LBB6_2999
; %bb.2660:
	v_bfe_u32 v3, v8, 20, 1
	s_mov_b32 s25, 0x487ffff
	v_add3_u32 v3, v8, v3, s25
	s_mov_b64 s[14:15], exec
	v_lshrrev_b32_e32 v3, 20, v3
                                        ; implicit-def: $vgpr8
	s_andn2_saveexec_b64 s[20:21], s[20:21]
	s_cbranch_execnz .LBB6_3000
.LBB6_2661:
	s_or_b64 exec, exec, s[20:21]
	v_mov_b32_e32 v9, 0
	s_and_saveexec_b64 s[20:21], s[14:15]
.LBB6_2662:
	v_mov_b32_e32 v9, v3
.LBB6_2663:
	s_or_b64 exec, exec, s[20:21]
.LBB6_2664:
	s_or_b64 exec, exec, s[12:13]
	global_store_byte v[0:1], v9, off
.LBB6_2665:
	s_mov_b64 s[12:13], -1
.LBB6_2666:
	s_mov_b64 s[14:15], 0
.LBB6_2667:
	s_and_b64 vcc, exec, s[14:15]
	s_cbranch_vccz .LBB6_2707
; %bb.2668:
	s_cmp_gt_i32 s23, 22
	s_mov_b64 s[10:11], -1
	s_cbranch_scc0 .LBB6_2700
; %bb.2669:
	s_cmp_lt_i32 s23, 24
	s_cbranch_scc1 .LBB6_2689
; %bb.2670:
	s_cmp_gt_i32 s23, 24
	s_cbranch_scc0 .LBB6_2678
; %bb.2671:
	v_cndmask_b32_e64 v8, 0, 1.0, s[4:5]
	s_mov_b32 s10, 0x47800000
	v_cmp_gt_u32_e32 vcc, s10, v8
	v_mov_b32_e32 v9, 0x80
	s_and_saveexec_b64 s[10:11], vcc
	s_cbranch_execz .LBB6_2677
; %bb.2672:
	s_mov_b32 s12, 0x37ffffff
	v_cmp_lt_u32_e32 vcc, s12, v8
	s_mov_b64 s[12:13], 0
                                        ; implicit-def: $vgpr3
	s_and_saveexec_b64 s[14:15], vcc
	s_xor_b64 s[14:15], exec, s[14:15]
	s_cbranch_execz .LBB6_3002
; %bb.2673:
	v_bfe_u32 v3, v8, 21, 1
	s_mov_b32 s20, 0x88fffff
	v_add3_u32 v3, v8, v3, s20
	s_mov_b64 s[12:13], exec
	v_lshrrev_b32_e32 v3, 21, v3
                                        ; implicit-def: $vgpr8
	s_andn2_saveexec_b64 s[14:15], s[14:15]
	s_cbranch_execnz .LBB6_3003
.LBB6_2674:
	s_or_b64 exec, exec, s[14:15]
	v_mov_b32_e32 v9, 0
	s_and_saveexec_b64 s[14:15], s[12:13]
.LBB6_2675:
	v_mov_b32_e32 v9, v3
.LBB6_2676:
	s_or_b64 exec, exec, s[14:15]
.LBB6_2677:
	s_or_b64 exec, exec, s[10:11]
	s_mov_b64 s[10:11], 0
	global_store_byte v[0:1], v9, off
.LBB6_2678:
	s_and_b64 vcc, exec, s[10:11]
	s_cbranch_vccz .LBB6_2688
; %bb.2679:
	v_cndmask_b32_e64 v3, 0, 1.0, s[4:5]
	s_mov_b32 s10, 0x43f00000
	v_cmp_gt_u32_e32 vcc, s10, v3
                                        ; implicit-def: $vgpr8
	s_and_saveexec_b64 s[10:11], vcc
	s_xor_b64 s[10:11], exec, s[10:11]
	s_cbranch_execz .LBB6_2685
; %bb.2680:
	s_mov_b32 s12, 0x3c7fffff
	v_cmp_lt_u32_e32 vcc, s12, v3
                                        ; implicit-def: $vgpr8
	s_and_saveexec_b64 s[12:13], vcc
	s_xor_b64 s[12:13], exec, s[12:13]
; %bb.2681:
	v_bfe_u32 v8, v3, 20, 1
	s_mov_b32 s14, 0x407ffff
	v_add3_u32 v3, v3, v8, s14
	v_lshrrev_b32_e32 v8, 20, v3
	v_and_b32_e32 v3, 0xff00000, v3
	s_mov_b32 s14, 0x7f00000
	v_mov_b32_e32 v9, 0x7e
	v_cmp_ne_u32_e32 vcc, s14, v3
	v_cndmask_b32_e32 v8, v9, v8, vcc
                                        ; implicit-def: $vgpr3
; %bb.2682:
	s_andn2_saveexec_b64 s[12:13], s[12:13]
; %bb.2683:
	v_add_f32_e32 v8, 0x46800000, v3
; %bb.2684:
	s_or_b64 exec, exec, s[12:13]
                                        ; implicit-def: $vgpr3
.LBB6_2685:
	s_andn2_saveexec_b64 s[10:11], s[10:11]
; %bb.2686:
	s_mov_b32 s12, 0x7f800000
	v_mov_b32_e32 v8, 0x7e
	v_mov_b32_e32 v9, 0x7f
	v_cmp_lt_u32_e32 vcc, s12, v3
	v_cndmask_b32_e32 v8, v8, v9, vcc
; %bb.2687:
	s_or_b64 exec, exec, s[10:11]
	global_store_byte v[0:1], v8, off
.LBB6_2688:
	s_mov_b64 s[10:11], 0
.LBB6_2689:
	s_andn2_b64 vcc, exec, s[10:11]
	s_cbranch_vccnz .LBB6_2699
; %bb.2690:
	v_cndmask_b32_e64 v3, 0, 1.0, s[4:5]
	s_mov_b32 s10, 0x47800000
	v_cmp_gt_u32_e32 vcc, s10, v3
                                        ; implicit-def: $vgpr8
	s_and_saveexec_b64 s[10:11], vcc
	s_xor_b64 s[10:11], exec, s[10:11]
	s_cbranch_execz .LBB6_2696
; %bb.2691:
	s_mov_b32 s12, 0x387fffff
	v_cmp_lt_u32_e32 vcc, s12, v3
                                        ; implicit-def: $vgpr8
	s_and_saveexec_b64 s[12:13], vcc
	s_xor_b64 s[12:13], exec, s[12:13]
; %bb.2692:
	v_bfe_u32 v8, v3, 21, 1
	s_mov_b32 s14, 0x80fffff
	v_add3_u32 v3, v3, v8, s14
	v_lshrrev_b32_e32 v8, 21, v3
                                        ; implicit-def: $vgpr3
; %bb.2693:
	s_andn2_saveexec_b64 s[12:13], s[12:13]
; %bb.2694:
	v_add_f32_e32 v8, 0x43000000, v3
; %bb.2695:
	s_or_b64 exec, exec, s[12:13]
                                        ; implicit-def: $vgpr3
.LBB6_2696:
	s_andn2_saveexec_b64 s[10:11], s[10:11]
; %bb.2697:
	s_mov_b32 s12, 0x7f800000
	v_mov_b32_e32 v8, 0x7c
	v_mov_b32_e32 v9, 0x7f
	v_cmp_lt_u32_e32 vcc, s12, v3
	v_cndmask_b32_e32 v8, v8, v9, vcc
; %bb.2698:
	s_or_b64 exec, exec, s[10:11]
	global_store_byte v[0:1], v8, off
.LBB6_2699:
	s_mov_b64 s[10:11], 0
	s_mov_b64 s[12:13], -1
.LBB6_2700:
	s_andn2_b64 vcc, exec, s[10:11]
	s_mov_b64 s[10:11], 0
	s_cbranch_vccnz .LBB6_2707
; %bb.2701:
	s_cmp_gt_i32 s23, 14
	s_mov_b64 s[14:15], -1
	s_cbranch_scc0 .LBB6_2705
; %bb.2702:
	s_cmp_eq_u32 s23, 15
	s_mov_b64 s[0:1], -1
	s_cbranch_scc0 .LBB6_2704
; %bb.2703:
	v_cndmask_b32_e64 v3, 0, 1.0, s[4:5]
	v_bfe_u32 v8, v3, 16, 1
	s_movk_i32 s0, 0x7fff
	v_add3_u32 v3, v3, v8, s0
	global_store_short_d16_hi v[0:1], v3, off
	s_mov_b64 s[0:1], 0
	s_mov_b64 s[12:13], -1
.LBB6_2704:
	s_mov_b64 s[14:15], 0
.LBB6_2705:
	s_and_b64 vcc, exec, s[14:15]
	s_cbranch_vccz .LBB6_2707
; %bb.2706:
	s_cmp_lg_u32 s23, 11
	s_mov_b64 s[10:11], -1
	s_cselect_b64 s[0:1], -1, 0
.LBB6_2707:
	s_and_b64 vcc, exec, s[0:1]
	s_cbranch_vccnz .LBB6_3001
; %bb.2708:
	s_andn2_b64 vcc, exec, s[10:11]
	s_cbranch_vccnz .LBB6_2710
.LBB6_2709:
	v_cndmask_b32_e64 v3, 0, 1, s[4:5]
	s_mov_b64 s[12:13], -1
	global_store_byte v[0:1], v3, off
.LBB6_2710:
	s_mov_b64 s[0:1], 0
	s_branch .LBB6_2712
.LBB6_2711:
	s_mov_b64 s[0:1], -1
	s_mov_b64 s[12:13], 0
.LBB6_2712:
	s_and_b64 vcc, exec, s[0:1]
	s_cbranch_vccz .LBB6_2751
; %bb.2713:
	s_and_b32 s10, 0xffff, s24
	s_cmp_lt_i32 s10, 5
	s_mov_b64 s[0:1], -1
	s_cbranch_scc1 .LBB6_2734
; %bb.2714:
	s_cmp_lt_i32 s10, 8
	s_cbranch_scc1 .LBB6_2724
; %bb.2715:
	s_cmp_lt_i32 s10, 9
	s_cbranch_scc1 .LBB6_2721
; %bb.2716:
	s_cmp_gt_i32 s10, 9
	s_cbranch_scc0 .LBB6_2718
; %bb.2717:
	v_cndmask_b32_e64 v3, 0, 1, s[4:5]
	v_cvt_f64_u32_e32 v[8:9], v3
	v_mov_b32_e32 v10, 0
	v_mov_b32_e32 v11, v10
	s_mov_b64 s[0:1], 0
	global_store_dwordx4 v[0:1], v[8:11], off
.LBB6_2718:
	s_andn2_b64 vcc, exec, s[0:1]
	s_cbranch_vccnz .LBB6_2720
; %bb.2719:
	v_cndmask_b32_e64 v8, 0, 1.0, s[4:5]
	v_mov_b32_e32 v9, 0
	global_store_dwordx2 v[0:1], v[8:9], off
.LBB6_2720:
	s_mov_b64 s[0:1], 0
.LBB6_2721:
	s_andn2_b64 vcc, exec, s[0:1]
	s_cbranch_vccnz .LBB6_2723
; %bb.2722:
	v_cndmask_b32_e64 v3, 0, 1.0, s[4:5]
	v_cvt_f16_f32_e32 v3, v3
	global_store_dword v[0:1], v3, off
.LBB6_2723:
	s_mov_b64 s[0:1], 0
.LBB6_2724:
	s_andn2_b64 vcc, exec, s[0:1]
	s_cbranch_vccnz .LBB6_2733
; %bb.2725:
	s_cmp_lt_i32 s10, 6
	s_mov_b64 s[0:1], -1
	s_cbranch_scc1 .LBB6_2731
; %bb.2726:
	s_cmp_gt_i32 s10, 6
	s_cbranch_scc0 .LBB6_2728
; %bb.2727:
	v_cndmask_b32_e64 v3, 0, 1, s[4:5]
	v_cvt_f64_u32_e32 v[8:9], v3
	s_mov_b64 s[0:1], 0
	global_store_dwordx2 v[0:1], v[8:9], off
.LBB6_2728:
	s_andn2_b64 vcc, exec, s[0:1]
	s_cbranch_vccnz .LBB6_2730
; %bb.2729:
	v_cndmask_b32_e64 v3, 0, 1.0, s[4:5]
	global_store_dword v[0:1], v3, off
.LBB6_2730:
	s_mov_b64 s[0:1], 0
.LBB6_2731:
	s_andn2_b64 vcc, exec, s[0:1]
	s_cbranch_vccnz .LBB6_2733
; %bb.2732:
	v_cndmask_b32_e64 v3, 0, 1.0, s[4:5]
	v_cvt_f16_f32_e32 v3, v3
	global_store_short v[0:1], v3, off
.LBB6_2733:
	s_mov_b64 s[0:1], 0
.LBB6_2734:
	s_andn2_b64 vcc, exec, s[0:1]
	s_cbranch_vccnz .LBB6_2750
; %bb.2735:
	s_cmp_lt_i32 s10, 2
	s_mov_b64 s[0:1], -1
	s_cbranch_scc1 .LBB6_2745
; %bb.2736:
	s_cmp_lt_i32 s10, 3
	s_cbranch_scc1 .LBB6_2742
; %bb.2737:
	s_cmp_gt_i32 s10, 3
	s_cbranch_scc0 .LBB6_2739
; %bb.2738:
	s_mov_b32 s0, 0
	v_cndmask_b32_e64 v8, 0, 1, s[4:5]
	v_mov_b32_e32 v9, s0
	global_store_dwordx2 v[0:1], v[8:9], off
	s_mov_b64 s[0:1], 0
.LBB6_2739:
	s_andn2_b64 vcc, exec, s[0:1]
	s_cbranch_vccnz .LBB6_2741
; %bb.2740:
	v_cndmask_b32_e64 v3, 0, 1, s[4:5]
	global_store_dword v[0:1], v3, off
.LBB6_2741:
	s_mov_b64 s[0:1], 0
.LBB6_2742:
	s_andn2_b64 vcc, exec, s[0:1]
	s_cbranch_vccnz .LBB6_2744
; %bb.2743:
	v_cndmask_b32_e64 v3, 0, 1, s[4:5]
	global_store_short v[0:1], v3, off
.LBB6_2744:
	s_mov_b64 s[0:1], 0
.LBB6_2745:
	s_andn2_b64 vcc, exec, s[0:1]
	s_cbranch_vccnz .LBB6_2750
; %bb.2746:
	s_mov_b64 s[0:1], -1
	s_cmp_gt_i32 s10, 0
	v_cndmask_b32_e64 v3, 0, 1, s[4:5]
	s_cbranch_scc0 .LBB6_2748
; %bb.2747:
	global_store_byte v[0:1], v3, off
	s_mov_b64 s[0:1], 0
.LBB6_2748:
	s_andn2_b64 vcc, exec, s[0:1]
	s_cbranch_vccnz .LBB6_2750
; %bb.2749:
	global_store_byte v[0:1], v3, off
.LBB6_2750:
	s_mov_b64 s[12:13], -1
.LBB6_2751:
	s_andn2_b64 vcc, exec, s[12:13]
	s_cbranch_vccnz .LBB6_2947
; %bb.2752:
	v_cmp_ne_u16_sdwa s[0:1], v4, v5 src0_sel:BYTE_0 src1_sel:BYTE_0
	v_add_u32_e32 v2, s22, v2
	s_xor_b64 s[4:5], s[2:3], s[0:1]
	v_ashrrev_i32_e32 v1, 31, v2
	v_mov_b32_e32 v3, s9
	v_add_co_u32_e32 v0, vcc, s8, v2
	s_cmp_lt_i32 s24, 11
	v_addc_co_u32_e32 v1, vcc, v3, v1, vcc
	s_cbranch_scc1 .LBB6_2830
; %bb.2753:
	s_and_b32 s23, 0xffff, s24
	s_mov_b64 s[14:15], -1
	s_mov_b64 s[10:11], 0
	s_cmp_gt_i32 s23, 25
	s_mov_b64 s[12:13], 0
	s_mov_b64 s[0:1], 0
	s_cbranch_scc0 .LBB6_2786
; %bb.2754:
	s_cmp_gt_i32 s23, 28
	s_cbranch_scc0 .LBB6_2769
; %bb.2755:
	s_cmp_gt_i32 s23, 43
	;; [unrolled: 3-line block ×3, first 2 shown]
	s_cbranch_scc0 .LBB6_2759
; %bb.2757:
	s_mov_b64 s[0:1], -1
	s_mov_b64 s[14:15], 0
	s_cmp_eq_u32 s23, 46
	s_cbranch_scc0 .LBB6_2759
; %bb.2758:
	v_cndmask_b32_e64 v3, 0, 1.0, s[4:5]
	v_bfe_u32 v4, v3, 16, 1
	s_movk_i32 s0, 0x7fff
	v_add3_u32 v3, v3, v4, s0
	v_lshrrev_b32_e32 v3, 16, v3
	global_store_dword v[0:1], v3, off
	s_mov_b64 s[0:1], 0
	s_mov_b64 s[12:13], -1
.LBB6_2759:
	s_and_b64 vcc, exec, s[14:15]
	s_cbranch_vccz .LBB6_2764
; %bb.2760:
	s_cmp_eq_u32 s23, 44
	s_mov_b64 s[0:1], -1
	s_cbranch_scc0 .LBB6_2764
; %bb.2761:
	v_cndmask_b32_e64 v4, 0, 1.0, s[4:5]
	v_lshrrev_b32_e32 v3, 23, v4
	s_movk_i32 s0, 0xff
	v_cmp_ne_u32_e32 vcc, s0, v3
	v_mov_b32_e32 v5, 0xff
	s_and_saveexec_b64 s[12:13], vcc
; %bb.2762:
	s_mov_b32 s0, 0x3fffff
	v_and_b32_e32 v5, 0x400000, v4
	v_and_or_b32 v4, v4, s0, v3
	v_cmp_ne_u32_e32 vcc, 0, v5
	v_cmp_ne_u32_e64 s[0:1], 0, v4
	s_and_b64 s[0:1], vcc, s[0:1]
	v_cndmask_b32_e64 v4, 0, 1, s[0:1]
	v_add_u32_e32 v5, v3, v4
; %bb.2763:
	s_or_b64 exec, exec, s[12:13]
	s_mov_b64 s[0:1], 0
	s_mov_b64 s[12:13], -1
	global_store_byte v[0:1], v5, off
.LBB6_2764:
	s_mov_b64 s[14:15], 0
.LBB6_2765:
	s_and_b64 vcc, exec, s[14:15]
	s_cbranch_vccz .LBB6_2768
; %bb.2766:
	s_cmp_eq_u32 s23, 29
	s_mov_b64 s[0:1], -1
	s_cbranch_scc0 .LBB6_2768
; %bb.2767:
	s_mov_b32 s0, 0
	v_cndmask_b32_e64 v3, 0, 1, s[4:5]
	v_mov_b32_e32 v4, s0
	global_store_dwordx2 v[0:1], v[3:4], off
	s_mov_b64 s[0:1], 0
	s_mov_b64 s[12:13], -1
.LBB6_2768:
	s_mov_b64 s[14:15], 0
.LBB6_2769:
	s_and_b64 vcc, exec, s[14:15]
	s_cbranch_vccz .LBB6_2785
; %bb.2770:
	s_cmp_lt_i32 s23, 27
	s_mov_b64 s[12:13], -1
	s_cbranch_scc1 .LBB6_2776
; %bb.2771:
	s_cmp_gt_i32 s23, 27
	s_cbranch_scc0 .LBB6_2773
; %bb.2772:
	v_cndmask_b32_e64 v3, 0, 1, s[4:5]
	s_mov_b64 s[12:13], 0
	global_store_dword v[0:1], v3, off
.LBB6_2773:
	s_andn2_b64 vcc, exec, s[12:13]
	s_cbranch_vccnz .LBB6_2775
; %bb.2774:
	v_cndmask_b32_e64 v3, 0, 1, s[4:5]
	global_store_short v[0:1], v3, off
.LBB6_2775:
	s_mov_b64 s[12:13], 0
.LBB6_2776:
	s_andn2_b64 vcc, exec, s[12:13]
	s_cbranch_vccnz .LBB6_2784
; %bb.2777:
	v_cndmask_b32_e64 v4, 0, 1.0, s[4:5]
	s_mov_b32 s12, 0x43800000
	v_cmp_gt_u32_e32 vcc, s12, v4
	v_mov_b32_e32 v5, 0x80
	s_and_saveexec_b64 s[12:13], vcc
	s_cbranch_execz .LBB6_2783
; %bb.2778:
	s_mov_b32 s14, 0x3bffffff
	v_cmp_lt_u32_e32 vcc, s14, v4
	s_mov_b64 s[14:15], 0
                                        ; implicit-def: $vgpr3
	s_and_saveexec_b64 s[20:21], vcc
	s_xor_b64 s[20:21], exec, s[20:21]
	s_cbranch_execz .LBB6_3004
; %bb.2779:
	v_bfe_u32 v3, v4, 20, 1
	s_mov_b32 s25, 0x487ffff
	v_add3_u32 v3, v4, v3, s25
	s_mov_b64 s[14:15], exec
	v_lshrrev_b32_e32 v3, 20, v3
                                        ; implicit-def: $vgpr4
	s_andn2_saveexec_b64 s[20:21], s[20:21]
	s_cbranch_execnz .LBB6_3005
.LBB6_2780:
	s_or_b64 exec, exec, s[20:21]
	v_mov_b32_e32 v5, 0
	s_and_saveexec_b64 s[20:21], s[14:15]
.LBB6_2781:
	v_mov_b32_e32 v5, v3
.LBB6_2782:
	s_or_b64 exec, exec, s[20:21]
.LBB6_2783:
	s_or_b64 exec, exec, s[12:13]
	global_store_byte v[0:1], v5, off
.LBB6_2784:
	s_mov_b64 s[12:13], -1
.LBB6_2785:
	s_mov_b64 s[14:15], 0
.LBB6_2786:
	s_and_b64 vcc, exec, s[14:15]
	s_cbranch_vccz .LBB6_2826
; %bb.2787:
	s_cmp_gt_i32 s23, 22
	s_mov_b64 s[10:11], -1
	s_cbranch_scc0 .LBB6_2819
; %bb.2788:
	s_cmp_lt_i32 s23, 24
	s_cbranch_scc1 .LBB6_2808
; %bb.2789:
	s_cmp_gt_i32 s23, 24
	s_cbranch_scc0 .LBB6_2797
; %bb.2790:
	v_cndmask_b32_e64 v4, 0, 1.0, s[4:5]
	s_mov_b32 s10, 0x47800000
	v_cmp_gt_u32_e32 vcc, s10, v4
	v_mov_b32_e32 v5, 0x80
	s_and_saveexec_b64 s[10:11], vcc
	s_cbranch_execz .LBB6_2796
; %bb.2791:
	s_mov_b32 s12, 0x37ffffff
	v_cmp_lt_u32_e32 vcc, s12, v4
	s_mov_b64 s[12:13], 0
                                        ; implicit-def: $vgpr3
	s_and_saveexec_b64 s[14:15], vcc
	s_xor_b64 s[14:15], exec, s[14:15]
	s_cbranch_execz .LBB6_3007
; %bb.2792:
	v_bfe_u32 v3, v4, 21, 1
	s_mov_b32 s20, 0x88fffff
	v_add3_u32 v3, v4, v3, s20
	s_mov_b64 s[12:13], exec
	v_lshrrev_b32_e32 v3, 21, v3
                                        ; implicit-def: $vgpr4
	s_andn2_saveexec_b64 s[14:15], s[14:15]
	s_cbranch_execnz .LBB6_3008
.LBB6_2793:
	s_or_b64 exec, exec, s[14:15]
	v_mov_b32_e32 v5, 0
	s_and_saveexec_b64 s[14:15], s[12:13]
.LBB6_2794:
	v_mov_b32_e32 v5, v3
.LBB6_2795:
	s_or_b64 exec, exec, s[14:15]
.LBB6_2796:
	s_or_b64 exec, exec, s[10:11]
	s_mov_b64 s[10:11], 0
	global_store_byte v[0:1], v5, off
.LBB6_2797:
	s_and_b64 vcc, exec, s[10:11]
	s_cbranch_vccz .LBB6_2807
; %bb.2798:
	v_cndmask_b32_e64 v3, 0, 1.0, s[4:5]
	s_mov_b32 s10, 0x43f00000
	v_cmp_gt_u32_e32 vcc, s10, v3
                                        ; implicit-def: $vgpr4
	s_and_saveexec_b64 s[10:11], vcc
	s_xor_b64 s[10:11], exec, s[10:11]
	s_cbranch_execz .LBB6_2804
; %bb.2799:
	s_mov_b32 s12, 0x3c7fffff
	v_cmp_lt_u32_e32 vcc, s12, v3
                                        ; implicit-def: $vgpr4
	s_and_saveexec_b64 s[12:13], vcc
	s_xor_b64 s[12:13], exec, s[12:13]
; %bb.2800:
	v_bfe_u32 v4, v3, 20, 1
	s_mov_b32 s14, 0x407ffff
	v_add3_u32 v3, v3, v4, s14
	v_lshrrev_b32_e32 v4, 20, v3
	v_and_b32_e32 v3, 0xff00000, v3
	s_mov_b32 s14, 0x7f00000
	v_mov_b32_e32 v5, 0x7e
	v_cmp_ne_u32_e32 vcc, s14, v3
	v_cndmask_b32_e32 v4, v5, v4, vcc
                                        ; implicit-def: $vgpr3
; %bb.2801:
	s_andn2_saveexec_b64 s[12:13], s[12:13]
; %bb.2802:
	v_add_f32_e32 v4, 0x46800000, v3
; %bb.2803:
	s_or_b64 exec, exec, s[12:13]
                                        ; implicit-def: $vgpr3
.LBB6_2804:
	s_andn2_saveexec_b64 s[10:11], s[10:11]
; %bb.2805:
	s_mov_b32 s12, 0x7f800000
	v_mov_b32_e32 v4, 0x7e
	v_mov_b32_e32 v5, 0x7f
	v_cmp_lt_u32_e32 vcc, s12, v3
	v_cndmask_b32_e32 v4, v4, v5, vcc
; %bb.2806:
	s_or_b64 exec, exec, s[10:11]
	global_store_byte v[0:1], v4, off
.LBB6_2807:
	s_mov_b64 s[10:11], 0
.LBB6_2808:
	s_andn2_b64 vcc, exec, s[10:11]
	s_cbranch_vccnz .LBB6_2818
; %bb.2809:
	v_cndmask_b32_e64 v3, 0, 1.0, s[4:5]
	s_mov_b32 s10, 0x47800000
	v_cmp_gt_u32_e32 vcc, s10, v3
                                        ; implicit-def: $vgpr4
	s_and_saveexec_b64 s[10:11], vcc
	s_xor_b64 s[10:11], exec, s[10:11]
	s_cbranch_execz .LBB6_2815
; %bb.2810:
	s_mov_b32 s12, 0x387fffff
	v_cmp_lt_u32_e32 vcc, s12, v3
                                        ; implicit-def: $vgpr4
	s_and_saveexec_b64 s[12:13], vcc
	s_xor_b64 s[12:13], exec, s[12:13]
; %bb.2811:
	v_bfe_u32 v4, v3, 21, 1
	s_mov_b32 s14, 0x80fffff
	v_add3_u32 v3, v3, v4, s14
	v_lshrrev_b32_e32 v4, 21, v3
                                        ; implicit-def: $vgpr3
; %bb.2812:
	s_andn2_saveexec_b64 s[12:13], s[12:13]
; %bb.2813:
	v_add_f32_e32 v4, 0x43000000, v3
; %bb.2814:
	s_or_b64 exec, exec, s[12:13]
                                        ; implicit-def: $vgpr3
.LBB6_2815:
	s_andn2_saveexec_b64 s[10:11], s[10:11]
; %bb.2816:
	s_mov_b32 s12, 0x7f800000
	v_mov_b32_e32 v4, 0x7c
	v_mov_b32_e32 v5, 0x7f
	v_cmp_lt_u32_e32 vcc, s12, v3
	v_cndmask_b32_e32 v4, v4, v5, vcc
; %bb.2817:
	s_or_b64 exec, exec, s[10:11]
	global_store_byte v[0:1], v4, off
.LBB6_2818:
	s_mov_b64 s[10:11], 0
	s_mov_b64 s[12:13], -1
.LBB6_2819:
	s_andn2_b64 vcc, exec, s[10:11]
	s_mov_b64 s[10:11], 0
	s_cbranch_vccnz .LBB6_2826
; %bb.2820:
	s_cmp_gt_i32 s23, 14
	s_mov_b64 s[14:15], -1
	s_cbranch_scc0 .LBB6_2824
; %bb.2821:
	s_cmp_eq_u32 s23, 15
	s_mov_b64 s[0:1], -1
	s_cbranch_scc0 .LBB6_2823
; %bb.2822:
	v_cndmask_b32_e64 v3, 0, 1.0, s[4:5]
	v_bfe_u32 v4, v3, 16, 1
	s_movk_i32 s0, 0x7fff
	v_add3_u32 v3, v3, v4, s0
	global_store_short_d16_hi v[0:1], v3, off
	s_mov_b64 s[0:1], 0
	s_mov_b64 s[12:13], -1
.LBB6_2823:
	s_mov_b64 s[14:15], 0
.LBB6_2824:
	s_and_b64 vcc, exec, s[14:15]
	s_cbranch_vccz .LBB6_2826
; %bb.2825:
	s_cmp_lg_u32 s23, 11
	s_mov_b64 s[10:11], -1
	s_cselect_b64 s[0:1], -1, 0
.LBB6_2826:
	s_and_b64 vcc, exec, s[0:1]
	s_cbranch_vccnz .LBB6_3006
; %bb.2827:
	s_andn2_b64 vcc, exec, s[10:11]
	s_cbranch_vccnz .LBB6_2829
.LBB6_2828:
	v_cndmask_b32_e64 v3, 0, 1, s[4:5]
	s_mov_b64 s[12:13], -1
	global_store_byte v[0:1], v3, off
.LBB6_2829:
	s_mov_b64 s[0:1], 0
	s_branch .LBB6_2831
.LBB6_2830:
	s_mov_b64 s[0:1], -1
	s_mov_b64 s[12:13], 0
.LBB6_2831:
	s_and_b64 vcc, exec, s[0:1]
	s_cbranch_vccz .LBB6_2870
; %bb.2832:
	s_and_b32 s10, 0xffff, s24
	s_cmp_lt_i32 s10, 5
	s_mov_b64 s[0:1], -1
	s_cbranch_scc1 .LBB6_2853
; %bb.2833:
	s_cmp_lt_i32 s10, 8
	s_cbranch_scc1 .LBB6_2843
; %bb.2834:
	s_cmp_lt_i32 s10, 9
	s_cbranch_scc1 .LBB6_2840
; %bb.2835:
	s_cmp_gt_i32 s10, 9
	s_cbranch_scc0 .LBB6_2837
; %bb.2836:
	v_cndmask_b32_e64 v3, 0, 1, s[4:5]
	v_cvt_f64_u32_e32 v[8:9], v3
	v_mov_b32_e32 v10, 0
	v_mov_b32_e32 v11, v10
	s_mov_b64 s[0:1], 0
	global_store_dwordx4 v[0:1], v[8:11], off
.LBB6_2837:
	s_andn2_b64 vcc, exec, s[0:1]
	s_cbranch_vccnz .LBB6_2839
; %bb.2838:
	v_cndmask_b32_e64 v3, 0, 1.0, s[4:5]
	v_mov_b32_e32 v4, 0
	global_store_dwordx2 v[0:1], v[3:4], off
.LBB6_2839:
	s_mov_b64 s[0:1], 0
.LBB6_2840:
	s_andn2_b64 vcc, exec, s[0:1]
	s_cbranch_vccnz .LBB6_2842
; %bb.2841:
	v_cndmask_b32_e64 v3, 0, 1.0, s[4:5]
	v_cvt_f16_f32_e32 v3, v3
	global_store_dword v[0:1], v3, off
.LBB6_2842:
	s_mov_b64 s[0:1], 0
.LBB6_2843:
	s_andn2_b64 vcc, exec, s[0:1]
	s_cbranch_vccnz .LBB6_2852
; %bb.2844:
	s_cmp_lt_i32 s10, 6
	s_mov_b64 s[0:1], -1
	s_cbranch_scc1 .LBB6_2850
; %bb.2845:
	s_cmp_gt_i32 s10, 6
	s_cbranch_scc0 .LBB6_2847
; %bb.2846:
	v_cndmask_b32_e64 v3, 0, 1, s[4:5]
	v_cvt_f64_u32_e32 v[3:4], v3
	s_mov_b64 s[0:1], 0
	global_store_dwordx2 v[0:1], v[3:4], off
.LBB6_2847:
	s_andn2_b64 vcc, exec, s[0:1]
	s_cbranch_vccnz .LBB6_2849
; %bb.2848:
	v_cndmask_b32_e64 v3, 0, 1.0, s[4:5]
	global_store_dword v[0:1], v3, off
.LBB6_2849:
	s_mov_b64 s[0:1], 0
.LBB6_2850:
	s_andn2_b64 vcc, exec, s[0:1]
	s_cbranch_vccnz .LBB6_2852
; %bb.2851:
	v_cndmask_b32_e64 v3, 0, 1.0, s[4:5]
	v_cvt_f16_f32_e32 v3, v3
	global_store_short v[0:1], v3, off
.LBB6_2852:
	s_mov_b64 s[0:1], 0
.LBB6_2853:
	s_andn2_b64 vcc, exec, s[0:1]
	s_cbranch_vccnz .LBB6_2869
; %bb.2854:
	s_cmp_lt_i32 s10, 2
	s_mov_b64 s[0:1], -1
	s_cbranch_scc1 .LBB6_2864
; %bb.2855:
	s_cmp_lt_i32 s10, 3
	s_cbranch_scc1 .LBB6_2861
; %bb.2856:
	s_cmp_gt_i32 s10, 3
	s_cbranch_scc0 .LBB6_2858
; %bb.2857:
	s_mov_b32 s0, 0
	v_cndmask_b32_e64 v3, 0, 1, s[4:5]
	v_mov_b32_e32 v4, s0
	global_store_dwordx2 v[0:1], v[3:4], off
	s_mov_b64 s[0:1], 0
.LBB6_2858:
	s_andn2_b64 vcc, exec, s[0:1]
	s_cbranch_vccnz .LBB6_2860
; %bb.2859:
	v_cndmask_b32_e64 v3, 0, 1, s[4:5]
	global_store_dword v[0:1], v3, off
.LBB6_2860:
	s_mov_b64 s[0:1], 0
.LBB6_2861:
	s_andn2_b64 vcc, exec, s[0:1]
	s_cbranch_vccnz .LBB6_2863
; %bb.2862:
	v_cndmask_b32_e64 v3, 0, 1, s[4:5]
	global_store_short v[0:1], v3, off
.LBB6_2863:
	s_mov_b64 s[0:1], 0
.LBB6_2864:
	s_andn2_b64 vcc, exec, s[0:1]
	s_cbranch_vccnz .LBB6_2869
; %bb.2865:
	s_mov_b64 s[0:1], -1
	s_cmp_gt_i32 s10, 0
	v_cndmask_b32_e64 v3, 0, 1, s[4:5]
	s_cbranch_scc0 .LBB6_2867
; %bb.2866:
	global_store_byte v[0:1], v3, off
	s_mov_b64 s[0:1], 0
.LBB6_2867:
	s_andn2_b64 vcc, exec, s[0:1]
	s_cbranch_vccnz .LBB6_2869
; %bb.2868:
	global_store_byte v[0:1], v3, off
.LBB6_2869:
	s_mov_b64 s[12:13], -1
.LBB6_2870:
	s_andn2_b64 vcc, exec, s[12:13]
	s_cbranch_vccnz .LBB6_2947
; %bb.2871:
	v_cmp_ne_u16_sdwa s[0:1], v6, v7 src0_sel:BYTE_0 src1_sel:BYTE_0
	v_add_u32_e32 v0, s22, v2
	s_xor_b64 s[20:21], s[2:3], s[0:1]
	v_ashrrev_i32_e32 v1, 31, v0
	v_mov_b32_e32 v2, s9
	v_add_co_u32_e32 v0, vcc, s8, v0
	s_cmp_lt_i32 s24, 11
	v_addc_co_u32_e32 v1, vcc, v2, v1, vcc
	s_cbranch_scc1 .LBB6_2992
; %bb.2872:
	s_and_b32 s12, 0xffff, s24
	s_mov_b64 s[4:5], -1
	s_mov_b64 s[2:3], 0
	s_cmp_gt_i32 s12, 25
	s_mov_b64 s[0:1], 0
	s_cbranch_scc0 .LBB6_2905
; %bb.2873:
	s_cmp_gt_i32 s12, 28
	s_cbranch_scc0 .LBB6_2889
; %bb.2874:
	s_cmp_gt_i32 s12, 43
	;; [unrolled: 3-line block ×3, first 2 shown]
	s_cbranch_scc0 .LBB6_2879
; %bb.2876:
	s_cmp_eq_u32 s12, 46
	s_mov_b64 s[0:1], -1
	s_cbranch_scc0 .LBB6_2878
; %bb.2877:
	v_cndmask_b32_e64 v2, 0, 1.0, s[20:21]
	v_bfe_u32 v3, v2, 16, 1
	s_movk_i32 s0, 0x7fff
	v_add3_u32 v2, v2, v3, s0
	v_lshrrev_b32_e32 v2, 16, v2
	global_store_dword v[0:1], v2, off
	s_mov_b64 s[0:1], 0
.LBB6_2878:
	s_mov_b64 s[4:5], 0
.LBB6_2879:
	s_and_b64 vcc, exec, s[4:5]
	s_cbranch_vccz .LBB6_2884
; %bb.2880:
	s_cmp_eq_u32 s12, 44
	s_mov_b64 s[0:1], -1
	s_cbranch_scc0 .LBB6_2884
; %bb.2881:
	v_cndmask_b32_e64 v3, 0, 1.0, s[20:21]
	v_lshrrev_b32_e32 v2, 23, v3
	s_movk_i32 s0, 0xff
	v_cmp_ne_u32_e32 vcc, s0, v2
	v_mov_b32_e32 v4, 0xff
	s_and_saveexec_b64 s[4:5], vcc
; %bb.2882:
	s_mov_b32 s0, 0x3fffff
	v_and_b32_e32 v4, 0x400000, v3
	v_and_or_b32 v3, v3, s0, v2
	v_cmp_ne_u32_e32 vcc, 0, v4
	v_cmp_ne_u32_e64 s[0:1], 0, v3
	s_and_b64 s[0:1], vcc, s[0:1]
	v_cndmask_b32_e64 v3, 0, 1, s[0:1]
	v_add_u32_e32 v4, v2, v3
; %bb.2883:
	s_or_b64 exec, exec, s[4:5]
	s_mov_b64 s[0:1], 0
	global_store_byte v[0:1], v4, off
.LBB6_2884:
	s_mov_b64 s[4:5], 0
.LBB6_2885:
	s_and_b64 vcc, exec, s[4:5]
	s_cbranch_vccz .LBB6_2888
; %bb.2886:
	s_cmp_eq_u32 s12, 29
	s_mov_b64 s[0:1], -1
	s_cbranch_scc0 .LBB6_2888
; %bb.2887:
	s_mov_b32 s0, 0
	v_cndmask_b32_e64 v2, 0, 1, s[20:21]
	v_mov_b32_e32 v3, s0
	global_store_dwordx2 v[0:1], v[2:3], off
	s_mov_b64 s[0:1], 0
.LBB6_2888:
	s_mov_b64 s[4:5], 0
.LBB6_2889:
	s_and_b64 vcc, exec, s[4:5]
	s_cbranch_vccz .LBB6_2904
; %bb.2890:
	s_cmp_lt_i32 s12, 27
	s_mov_b64 s[4:5], -1
	s_cbranch_scc1 .LBB6_2896
; %bb.2891:
	s_cmp_gt_i32 s12, 27
	v_cndmask_b32_e64 v2, 0, 1, s[20:21]
	s_cbranch_scc0 .LBB6_2893
; %bb.2892:
	global_store_dword v[0:1], v2, off
	s_mov_b64 s[4:5], 0
.LBB6_2893:
	s_andn2_b64 vcc, exec, s[4:5]
	s_cbranch_vccnz .LBB6_2895
; %bb.2894:
	global_store_short v[0:1], v2, off
.LBB6_2895:
	s_mov_b64 s[4:5], 0
.LBB6_2896:
	s_andn2_b64 vcc, exec, s[4:5]
	s_cbranch_vccnz .LBB6_2904
; %bb.2897:
	v_cndmask_b32_e64 v3, 0, 1.0, s[20:21]
	s_mov_b32 s4, 0x43800000
	v_cmp_gt_u32_e32 vcc, s4, v3
	v_mov_b32_e32 v4, 0x80
	s_and_saveexec_b64 s[4:5], vcc
	s_cbranch_execz .LBB6_2903
; %bb.2898:
	s_mov_b32 s8, 0x3bffffff
	v_cmp_lt_u32_e32 vcc, s8, v3
	s_mov_b64 s[8:9], 0
                                        ; implicit-def: $vgpr2
	s_and_saveexec_b64 s[10:11], vcc
	s_xor_b64 s[10:11], exec, s[10:11]
	s_cbranch_execz .LBB6_3009
; %bb.2899:
	v_bfe_u32 v2, v3, 20, 1
	s_mov_b32 s13, 0x487ffff
	v_add3_u32 v2, v3, v2, s13
	s_mov_b64 s[8:9], exec
	v_lshrrev_b32_e32 v2, 20, v2
                                        ; implicit-def: $vgpr3
	s_andn2_saveexec_b64 s[10:11], s[10:11]
	s_cbranch_execnz .LBB6_3010
.LBB6_2900:
	s_or_b64 exec, exec, s[10:11]
	v_mov_b32_e32 v4, 0
	s_and_saveexec_b64 s[10:11], s[8:9]
.LBB6_2901:
	v_mov_b32_e32 v4, v2
.LBB6_2902:
	s_or_b64 exec, exec, s[10:11]
.LBB6_2903:
	s_or_b64 exec, exec, s[4:5]
	global_store_byte v[0:1], v4, off
.LBB6_2904:
	s_mov_b64 s[4:5], 0
.LBB6_2905:
	s_and_b64 vcc, exec, s[4:5]
	s_cbranch_vccz .LBB6_2945
; %bb.2906:
	s_cmp_gt_i32 s12, 22
	s_mov_b64 s[2:3], -1
	s_cbranch_scc0 .LBB6_2938
; %bb.2907:
	s_cmp_lt_i32 s12, 24
	s_cbranch_scc1 .LBB6_2927
; %bb.2908:
	s_cmp_gt_i32 s12, 24
	s_cbranch_scc0 .LBB6_2916
; %bb.2909:
	v_cndmask_b32_e64 v3, 0, 1.0, s[20:21]
	s_mov_b32 s2, 0x47800000
	v_cmp_gt_u32_e32 vcc, s2, v3
	v_mov_b32_e32 v4, 0x80
	s_and_saveexec_b64 s[2:3], vcc
	s_cbranch_execz .LBB6_2915
; %bb.2910:
	s_mov_b32 s4, 0x37ffffff
	v_cmp_lt_u32_e32 vcc, s4, v3
	s_mov_b64 s[4:5], 0
                                        ; implicit-def: $vgpr2
	s_and_saveexec_b64 s[8:9], vcc
	s_xor_b64 s[8:9], exec, s[8:9]
	s_cbranch_execz .LBB6_3012
; %bb.2911:
	v_bfe_u32 v2, v3, 21, 1
	s_mov_b32 s10, 0x88fffff
	v_add3_u32 v2, v3, v2, s10
	s_mov_b64 s[4:5], exec
	v_lshrrev_b32_e32 v2, 21, v2
                                        ; implicit-def: $vgpr3
	s_andn2_saveexec_b64 s[8:9], s[8:9]
	s_cbranch_execnz .LBB6_3013
.LBB6_2912:
	s_or_b64 exec, exec, s[8:9]
	v_mov_b32_e32 v4, 0
	s_and_saveexec_b64 s[8:9], s[4:5]
.LBB6_2913:
	v_mov_b32_e32 v4, v2
.LBB6_2914:
	s_or_b64 exec, exec, s[8:9]
.LBB6_2915:
	s_or_b64 exec, exec, s[2:3]
	s_mov_b64 s[2:3], 0
	global_store_byte v[0:1], v4, off
.LBB6_2916:
	s_and_b64 vcc, exec, s[2:3]
	s_cbranch_vccz .LBB6_2926
; %bb.2917:
	v_cndmask_b32_e64 v2, 0, 1.0, s[20:21]
	s_mov_b32 s2, 0x43f00000
	v_cmp_gt_u32_e32 vcc, s2, v2
                                        ; implicit-def: $vgpr3
	s_and_saveexec_b64 s[2:3], vcc
	s_xor_b64 s[2:3], exec, s[2:3]
	s_cbranch_execz .LBB6_2923
; %bb.2918:
	s_mov_b32 s4, 0x3c7fffff
	v_cmp_lt_u32_e32 vcc, s4, v2
                                        ; implicit-def: $vgpr3
	s_and_saveexec_b64 s[4:5], vcc
	s_xor_b64 s[4:5], exec, s[4:5]
; %bb.2919:
	v_bfe_u32 v3, v2, 20, 1
	s_mov_b32 s8, 0x407ffff
	v_add3_u32 v2, v2, v3, s8
	v_lshrrev_b32_e32 v3, 20, v2
	v_and_b32_e32 v2, 0xff00000, v2
	s_mov_b32 s8, 0x7f00000
	v_mov_b32_e32 v4, 0x7e
	v_cmp_ne_u32_e32 vcc, s8, v2
	v_cndmask_b32_e32 v3, v4, v3, vcc
                                        ; implicit-def: $vgpr2
; %bb.2920:
	s_andn2_saveexec_b64 s[4:5], s[4:5]
; %bb.2921:
	v_add_f32_e32 v3, 0x46800000, v2
; %bb.2922:
	s_or_b64 exec, exec, s[4:5]
                                        ; implicit-def: $vgpr2
.LBB6_2923:
	s_andn2_saveexec_b64 s[2:3], s[2:3]
; %bb.2924:
	s_mov_b32 s4, 0x7f800000
	v_mov_b32_e32 v3, 0x7e
	v_mov_b32_e32 v4, 0x7f
	v_cmp_lt_u32_e32 vcc, s4, v2
	v_cndmask_b32_e32 v3, v3, v4, vcc
; %bb.2925:
	s_or_b64 exec, exec, s[2:3]
	global_store_byte v[0:1], v3, off
.LBB6_2926:
	s_mov_b64 s[2:3], 0
.LBB6_2927:
	s_andn2_b64 vcc, exec, s[2:3]
	s_cbranch_vccnz .LBB6_2937
; %bb.2928:
	v_cndmask_b32_e64 v2, 0, 1.0, s[20:21]
	s_mov_b32 s2, 0x47800000
	v_cmp_gt_u32_e32 vcc, s2, v2
                                        ; implicit-def: $vgpr3
	s_and_saveexec_b64 s[2:3], vcc
	s_xor_b64 s[2:3], exec, s[2:3]
	s_cbranch_execz .LBB6_2934
; %bb.2929:
	s_mov_b32 s4, 0x387fffff
	v_cmp_lt_u32_e32 vcc, s4, v2
                                        ; implicit-def: $vgpr3
	s_and_saveexec_b64 s[4:5], vcc
	s_xor_b64 s[4:5], exec, s[4:5]
; %bb.2930:
	v_bfe_u32 v3, v2, 21, 1
	s_mov_b32 s8, 0x80fffff
	v_add3_u32 v2, v2, v3, s8
	v_lshrrev_b32_e32 v3, 21, v2
                                        ; implicit-def: $vgpr2
; %bb.2931:
	s_andn2_saveexec_b64 s[4:5], s[4:5]
; %bb.2932:
	v_add_f32_e32 v3, 0x43000000, v2
; %bb.2933:
	s_or_b64 exec, exec, s[4:5]
                                        ; implicit-def: $vgpr2
.LBB6_2934:
	s_andn2_saveexec_b64 s[2:3], s[2:3]
; %bb.2935:
	s_mov_b32 s4, 0x7f800000
	v_mov_b32_e32 v3, 0x7c
	v_mov_b32_e32 v4, 0x7f
	v_cmp_lt_u32_e32 vcc, s4, v2
	v_cndmask_b32_e32 v3, v3, v4, vcc
; %bb.2936:
	s_or_b64 exec, exec, s[2:3]
	global_store_byte v[0:1], v3, off
.LBB6_2937:
	s_mov_b64 s[2:3], 0
.LBB6_2938:
	s_andn2_b64 vcc, exec, s[2:3]
	s_mov_b64 s[2:3], 0
	s_cbranch_vccnz .LBB6_2945
; %bb.2939:
	s_cmp_gt_i32 s12, 14
	s_mov_b64 s[4:5], -1
	s_cbranch_scc0 .LBB6_2943
; %bb.2940:
	s_cmp_eq_u32 s12, 15
	s_mov_b64 s[0:1], -1
	s_cbranch_scc0 .LBB6_2942
; %bb.2941:
	v_cndmask_b32_e64 v2, 0, 1.0, s[20:21]
	v_bfe_u32 v3, v2, 16, 1
	s_movk_i32 s0, 0x7fff
	v_add3_u32 v2, v2, v3, s0
	global_store_short_d16_hi v[0:1], v2, off
	s_mov_b64 s[0:1], 0
.LBB6_2942:
	s_mov_b64 s[4:5], 0
.LBB6_2943:
	s_and_b64 vcc, exec, s[4:5]
	s_cbranch_vccz .LBB6_2945
; %bb.2944:
	s_cmp_lg_u32 s12, 11
	s_mov_b64 s[2:3], -1
	s_cselect_b64 s[0:1], -1, 0
.LBB6_2945:
	s_and_b64 vcc, exec, s[0:1]
	s_cbranch_vccnz .LBB6_3011
.LBB6_2946:
	s_mov_b64 s[0:1], 0
	s_branch .LBB6_2948
.LBB6_2947:
	s_mov_b64 s[0:1], 0
	s_mov_b64 s[2:3], 0
                                        ; implicit-def: $sgpr20_sgpr21
                                        ; implicit-def: $sgpr24
                                        ; implicit-def: $vgpr0_vgpr1
.LBB6_2948:
	s_and_b64 s[4:5], s[2:3], exec
	s_andn2_b64 s[2:3], s[16:17], exec
	s_and_b64 s[8:9], s[18:19], exec
	s_and_b64 s[0:1], s[0:1], exec
	s_or_b64 s[16:17], s[2:3], s[8:9]
.LBB6_2949:
	s_or_b64 exec, exec, s[6:7]
	s_and_saveexec_b64 s[2:3], s[16:17]
	s_cbranch_execz .LBB6_2952
; %bb.2950:
	; divergent unreachable
	s_or_b64 exec, exec, s[2:3]
	s_and_saveexec_b64 s[2:3], s[4:5]
	s_xor_b64 s[2:3], exec, s[2:3]
	s_cbranch_execnz .LBB6_2953
.LBB6_2951:
	s_or_b64 exec, exec, s[2:3]
	s_and_saveexec_b64 s[2:3], s[0:1]
	s_cbranch_execnz .LBB6_2954
	s_branch .LBB6_2991
.LBB6_2952:
	s_or_b64 exec, exec, s[2:3]
	s_and_saveexec_b64 s[2:3], s[4:5]
	s_xor_b64 s[2:3], exec, s[2:3]
	s_cbranch_execz .LBB6_2951
.LBB6_2953:
	s_waitcnt vmcnt(0)
	v_cndmask_b32_e64 v2, 0, 1, s[20:21]
	global_store_byte v[0:1], v2, off
	s_or_b64 exec, exec, s[2:3]
	s_and_saveexec_b64 s[2:3], s[0:1]
	s_cbranch_execz .LBB6_2991
.LBB6_2954:
	s_sext_i32_i16 s2, s24
	s_cmp_lt_i32 s2, 5
	s_mov_b64 s[0:1], -1
	s_cbranch_scc1 .LBB6_2975
; %bb.2955:
	s_cmp_lt_i32 s2, 8
	s_cbranch_scc1 .LBB6_2965
; %bb.2956:
	s_cmp_lt_i32 s2, 9
	s_cbranch_scc1 .LBB6_2962
; %bb.2957:
	s_cmp_gt_i32 s2, 9
	s_cbranch_scc0 .LBB6_2959
; %bb.2958:
	s_waitcnt vmcnt(0)
	v_cndmask_b32_e64 v2, 0, 1, s[20:21]
	v_cvt_f64_u32_e32 v[2:3], v2
	v_mov_b32_e32 v4, 0
	v_mov_b32_e32 v5, v4
	s_mov_b64 s[0:1], 0
	global_store_dwordx4 v[0:1], v[2:5], off
.LBB6_2959:
	s_andn2_b64 vcc, exec, s[0:1]
	s_cbranch_vccnz .LBB6_2961
; %bb.2960:
	s_waitcnt vmcnt(0)
	v_cndmask_b32_e64 v2, 0, 1.0, s[20:21]
	v_mov_b32_e32 v3, 0
	global_store_dwordx2 v[0:1], v[2:3], off
.LBB6_2961:
	s_mov_b64 s[0:1], 0
.LBB6_2962:
	s_andn2_b64 vcc, exec, s[0:1]
	s_cbranch_vccnz .LBB6_2964
; %bb.2963:
	s_waitcnt vmcnt(0)
	v_cndmask_b32_e64 v2, 0, 1.0, s[20:21]
	v_cvt_f16_f32_e32 v2, v2
	global_store_dword v[0:1], v2, off
.LBB6_2964:
	s_mov_b64 s[0:1], 0
.LBB6_2965:
	s_andn2_b64 vcc, exec, s[0:1]
	s_cbranch_vccnz .LBB6_2974
; %bb.2966:
	s_sext_i32_i16 s2, s24
	s_cmp_lt_i32 s2, 6
	s_mov_b64 s[0:1], -1
	s_cbranch_scc1 .LBB6_2972
; %bb.2967:
	s_cmp_gt_i32 s2, 6
	s_cbranch_scc0 .LBB6_2969
; %bb.2968:
	s_waitcnt vmcnt(0)
	v_cndmask_b32_e64 v2, 0, 1, s[20:21]
	v_cvt_f64_u32_e32 v[2:3], v2
	s_mov_b64 s[0:1], 0
	global_store_dwordx2 v[0:1], v[2:3], off
.LBB6_2969:
	s_andn2_b64 vcc, exec, s[0:1]
	s_cbranch_vccnz .LBB6_2971
; %bb.2970:
	s_waitcnt vmcnt(0)
	v_cndmask_b32_e64 v2, 0, 1.0, s[20:21]
	global_store_dword v[0:1], v2, off
.LBB6_2971:
	s_mov_b64 s[0:1], 0
.LBB6_2972:
	s_andn2_b64 vcc, exec, s[0:1]
	s_cbranch_vccnz .LBB6_2974
; %bb.2973:
	s_waitcnt vmcnt(0)
	v_cndmask_b32_e64 v2, 0, 1.0, s[20:21]
	v_cvt_f16_f32_e32 v2, v2
	global_store_short v[0:1], v2, off
.LBB6_2974:
	s_mov_b64 s[0:1], 0
.LBB6_2975:
	s_andn2_b64 vcc, exec, s[0:1]
	s_cbranch_vccnz .LBB6_2991
; %bb.2976:
	s_sext_i32_i16 s2, s24
	s_cmp_lt_i32 s2, 2
	s_mov_b64 s[0:1], -1
	s_cbranch_scc1 .LBB6_2986
; %bb.2977:
	s_cmp_lt_i32 s2, 3
	s_cbranch_scc1 .LBB6_2983
; %bb.2978:
	s_cmp_gt_i32 s2, 3
	s_cbranch_scc0 .LBB6_2980
; %bb.2979:
	s_mov_b32 s0, 0
	s_waitcnt vmcnt(0)
	v_cndmask_b32_e64 v2, 0, 1, s[20:21]
	v_mov_b32_e32 v3, s0
	global_store_dwordx2 v[0:1], v[2:3], off
	s_mov_b64 s[0:1], 0
.LBB6_2980:
	s_andn2_b64 vcc, exec, s[0:1]
	s_cbranch_vccnz .LBB6_2982
; %bb.2981:
	s_waitcnt vmcnt(0)
	v_cndmask_b32_e64 v2, 0, 1, s[20:21]
	global_store_dword v[0:1], v2, off
.LBB6_2982:
	s_mov_b64 s[0:1], 0
.LBB6_2983:
	s_andn2_b64 vcc, exec, s[0:1]
	s_cbranch_vccnz .LBB6_2985
; %bb.2984:
	s_waitcnt vmcnt(0)
	v_cndmask_b32_e64 v2, 0, 1, s[20:21]
	global_store_short v[0:1], v2, off
.LBB6_2985:
	s_mov_b64 s[0:1], 0
.LBB6_2986:
	s_andn2_b64 vcc, exec, s[0:1]
	s_cbranch_vccnz .LBB6_2991
; %bb.2987:
	s_sext_i32_i16 s2, s24
	s_mov_b64 s[0:1], -1
	s_cmp_gt_i32 s2, 0
	s_waitcnt vmcnt(0)
	v_cndmask_b32_e64 v2, 0, 1, s[20:21]
	s_cbranch_scc0 .LBB6_2989
; %bb.2988:
	global_store_byte v[0:1], v2, off
	s_mov_b64 s[0:1], 0
.LBB6_2989:
	s_andn2_b64 vcc, exec, s[0:1]
	s_cbranch_vccnz .LBB6_2991
; %bb.2990:
	global_store_byte v[0:1], v2, off
	s_endpgm
.LBB6_2991:
	s_endpgm
.LBB6_2992:
	s_mov_b64 s[2:3], 0
	s_mov_b64 s[0:1], -1
	s_branch .LBB6_2948
.LBB6_2993:
	s_trap 2
	s_or_b64 s[18:19], s[18:19], exec
	s_cbranch_execz .LBB6_2462
	s_branch .LBB6_2463
.LBB6_2994:
	s_andn2_saveexec_b64 s[22:23], s[22:23]
	s_cbranch_execz .LBB6_2542
.LBB6_2995:
	v_add_f32_e32 v9, 0x46000000, v10
	v_and_b32_e32 v9, 0xff, v9
	v_cmp_ne_u32_e32 vcc, 0, v9
	s_andn2_b64 s[20:21], s[20:21], exec
	s_and_b64 s[26:27], vcc, exec
	s_or_b64 s[20:21], s[20:21], s[26:27]
	s_or_b64 exec, exec, s[22:23]
	v_mov_b32_e32 v11, 0
	s_and_saveexec_b64 s[22:23], s[20:21]
	s_cbranch_execnz .LBB6_2543
	s_branch .LBB6_2544
.LBB6_2996:
	s_trap 2
	s_or_b64 s[18:19], s[18:19], exec
	s_cbranch_execz .LBB6_2590
	s_branch .LBB6_2591
.LBB6_2997:
	s_andn2_saveexec_b64 s[20:21], s[20:21]
	s_cbranch_execz .LBB6_2555
.LBB6_2998:
	v_add_f32_e32 v9, 0x42800000, v10
	v_and_b32_e32 v9, 0xff, v9
	v_cmp_ne_u32_e32 vcc, 0, v9
	s_andn2_b64 s[14:15], s[14:15], exec
	s_and_b64 s[22:23], vcc, exec
	s_or_b64 s[14:15], s[14:15], s[22:23]
	s_or_b64 exec, exec, s[20:21]
	v_mov_b32_e32 v11, 0
	s_and_saveexec_b64 s[20:21], s[14:15]
	s_cbranch_execnz .LBB6_2556
	s_branch .LBB6_2557
.LBB6_2999:
	s_andn2_saveexec_b64 s[20:21], s[20:21]
	s_cbranch_execz .LBB6_2661
.LBB6_3000:
	v_add_f32_e32 v3, 0x46000000, v8
	v_and_b32_e32 v3, 0xff, v3
	v_cmp_ne_u32_e32 vcc, 0, v3
	s_andn2_b64 s[14:15], s[14:15], exec
	s_and_b64 s[26:27], vcc, exec
	s_or_b64 s[14:15], s[14:15], s[26:27]
	s_or_b64 exec, exec, s[20:21]
	v_mov_b32_e32 v9, 0
	s_and_saveexec_b64 s[20:21], s[14:15]
	s_cbranch_execnz .LBB6_2662
	s_branch .LBB6_2663
.LBB6_3001:
	s_trap 2
	s_or_b64 s[18:19], s[18:19], exec
	s_cbranch_execz .LBB6_2709
	s_branch .LBB6_2710
.LBB6_3002:
	s_andn2_saveexec_b64 s[14:15], s[14:15]
	s_cbranch_execz .LBB6_2674
.LBB6_3003:
	v_add_f32_e32 v3, 0x42800000, v8
	v_and_b32_e32 v3, 0xff, v3
	v_cmp_ne_u32_e32 vcc, 0, v3
	s_andn2_b64 s[12:13], s[12:13], exec
	s_and_b64 s[20:21], vcc, exec
	s_or_b64 s[12:13], s[12:13], s[20:21]
	s_or_b64 exec, exec, s[14:15]
	v_mov_b32_e32 v9, 0
	s_and_saveexec_b64 s[14:15], s[12:13]
	s_cbranch_execnz .LBB6_2675
	s_branch .LBB6_2676
.LBB6_3004:
	s_andn2_saveexec_b64 s[20:21], s[20:21]
	s_cbranch_execz .LBB6_2780
.LBB6_3005:
	v_add_f32_e32 v3, 0x46000000, v4
	v_and_b32_e32 v3, 0xff, v3
	v_cmp_ne_u32_e32 vcc, 0, v3
	s_andn2_b64 s[14:15], s[14:15], exec
	s_and_b64 s[26:27], vcc, exec
	s_or_b64 s[14:15], s[14:15], s[26:27]
	s_or_b64 exec, exec, s[20:21]
	v_mov_b32_e32 v5, 0
	s_and_saveexec_b64 s[20:21], s[14:15]
	s_cbranch_execnz .LBB6_2781
	s_branch .LBB6_2782
.LBB6_3006:
	s_trap 2
	s_or_b64 s[18:19], s[18:19], exec
	s_cbranch_execz .LBB6_2828
	s_branch .LBB6_2829
.LBB6_3007:
	s_andn2_saveexec_b64 s[14:15], s[14:15]
	s_cbranch_execz .LBB6_2793
.LBB6_3008:
	v_add_f32_e32 v3, 0x42800000, v4
	v_and_b32_e32 v3, 0xff, v3
	v_cmp_ne_u32_e32 vcc, 0, v3
	s_andn2_b64 s[12:13], s[12:13], exec
	s_and_b64 s[20:21], vcc, exec
	s_or_b64 s[12:13], s[12:13], s[20:21]
	s_or_b64 exec, exec, s[14:15]
	v_mov_b32_e32 v5, 0
	s_and_saveexec_b64 s[14:15], s[12:13]
	s_cbranch_execnz .LBB6_2794
	s_branch .LBB6_2795
.LBB6_3009:
	s_andn2_saveexec_b64 s[10:11], s[10:11]
	s_cbranch_execz .LBB6_2900
.LBB6_3010:
	v_add_f32_e32 v2, 0x46000000, v3
	v_and_b32_e32 v2, 0xff, v2
	v_cmp_ne_u32_e32 vcc, 0, v2
	s_andn2_b64 s[8:9], s[8:9], exec
	s_and_b64 s[14:15], vcc, exec
	s_or_b64 s[8:9], s[8:9], s[14:15]
	s_or_b64 exec, exec, s[10:11]
	v_mov_b32_e32 v4, 0
	s_and_saveexec_b64 s[10:11], s[8:9]
	s_cbranch_execnz .LBB6_2901
	s_branch .LBB6_2902
.LBB6_3011:
	s_mov_b64 s[2:3], 0
	s_or_b64 s[18:19], s[18:19], exec
	s_trap 2
	s_branch .LBB6_2946
.LBB6_3012:
	s_andn2_saveexec_b64 s[8:9], s[8:9]
	s_cbranch_execz .LBB6_2912
.LBB6_3013:
	v_add_f32_e32 v2, 0x42800000, v3
	v_and_b32_e32 v2, 0xff, v2
	v_cmp_ne_u32_e32 vcc, 0, v2
	s_andn2_b64 s[4:5], s[4:5], exec
	s_and_b64 s[10:11], vcc, exec
	s_or_b64 s[4:5], s[4:5], s[10:11]
	s_or_b64 exec, exec, s[8:9]
	v_mov_b32_e32 v4, 0
	s_and_saveexec_b64 s[8:9], s[4:5]
	s_cbranch_execnz .LBB6_2913
	s_branch .LBB6_2914
	.section	.rodata,"a",@progbits
	.p2align	6, 0x0
	.amdhsa_kernel _ZN2at6native32elementwise_kernel_manual_unrollILi128ELi4EZNS0_15gpu_kernel_implINS0_13BinaryFunctorIhhbNS0_12_GLOBAL__N_116CompareEqFunctorIhEEEEEEvRNS_18TensorIteratorBaseERKT_EUlibE_EEviT1_
		.amdhsa_group_segment_fixed_size 0
		.amdhsa_private_segment_fixed_size 0
		.amdhsa_kernarg_size 56
		.amdhsa_user_sgpr_count 6
		.amdhsa_user_sgpr_private_segment_buffer 1
		.amdhsa_user_sgpr_dispatch_ptr 0
		.amdhsa_user_sgpr_queue_ptr 0
		.amdhsa_user_sgpr_kernarg_segment_ptr 1
		.amdhsa_user_sgpr_dispatch_id 0
		.amdhsa_user_sgpr_flat_scratch_init 0
		.amdhsa_user_sgpr_private_segment_size 0
		.amdhsa_uses_dynamic_stack 0
		.amdhsa_system_sgpr_private_segment_wavefront_offset 0
		.amdhsa_system_sgpr_workgroup_id_x 1
		.amdhsa_system_sgpr_workgroup_id_y 0
		.amdhsa_system_sgpr_workgroup_id_z 0
		.amdhsa_system_sgpr_workgroup_info 0
		.amdhsa_system_vgpr_workitem_id 0
		.amdhsa_next_free_vgpr 16
		.amdhsa_next_free_sgpr 59
		.amdhsa_reserve_vcc 1
		.amdhsa_reserve_flat_scratch 0
		.amdhsa_float_round_mode_32 0
		.amdhsa_float_round_mode_16_64 0
		.amdhsa_float_denorm_mode_32 3
		.amdhsa_float_denorm_mode_16_64 3
		.amdhsa_dx10_clamp 1
		.amdhsa_ieee_mode 1
		.amdhsa_fp16_overflow 0
		.amdhsa_exception_fp_ieee_invalid_op 0
		.amdhsa_exception_fp_denorm_src 0
		.amdhsa_exception_fp_ieee_div_zero 0
		.amdhsa_exception_fp_ieee_overflow 0
		.amdhsa_exception_fp_ieee_underflow 0
		.amdhsa_exception_fp_ieee_inexact 0
		.amdhsa_exception_int_div_zero 0
	.end_amdhsa_kernel
	.section	.text._ZN2at6native32elementwise_kernel_manual_unrollILi128ELi4EZNS0_15gpu_kernel_implINS0_13BinaryFunctorIhhbNS0_12_GLOBAL__N_116CompareEqFunctorIhEEEEEEvRNS_18TensorIteratorBaseERKT_EUlibE_EEviT1_,"axG",@progbits,_ZN2at6native32elementwise_kernel_manual_unrollILi128ELi4EZNS0_15gpu_kernel_implINS0_13BinaryFunctorIhhbNS0_12_GLOBAL__N_116CompareEqFunctorIhEEEEEEvRNS_18TensorIteratorBaseERKT_EUlibE_EEviT1_,comdat
.Lfunc_end6:
	.size	_ZN2at6native32elementwise_kernel_manual_unrollILi128ELi4EZNS0_15gpu_kernel_implINS0_13BinaryFunctorIhhbNS0_12_GLOBAL__N_116CompareEqFunctorIhEEEEEEvRNS_18TensorIteratorBaseERKT_EUlibE_EEviT1_, .Lfunc_end6-_ZN2at6native32elementwise_kernel_manual_unrollILi128ELi4EZNS0_15gpu_kernel_implINS0_13BinaryFunctorIhhbNS0_12_GLOBAL__N_116CompareEqFunctorIhEEEEEEvRNS_18TensorIteratorBaseERKT_EUlibE_EEviT1_
                                        ; -- End function
	.set _ZN2at6native32elementwise_kernel_manual_unrollILi128ELi4EZNS0_15gpu_kernel_implINS0_13BinaryFunctorIhhbNS0_12_GLOBAL__N_116CompareEqFunctorIhEEEEEEvRNS_18TensorIteratorBaseERKT_EUlibE_EEviT1_.num_vgpr, 16
	.set _ZN2at6native32elementwise_kernel_manual_unrollILi128ELi4EZNS0_15gpu_kernel_implINS0_13BinaryFunctorIhhbNS0_12_GLOBAL__N_116CompareEqFunctorIhEEEEEEvRNS_18TensorIteratorBaseERKT_EUlibE_EEviT1_.num_agpr, 0
	.set _ZN2at6native32elementwise_kernel_manual_unrollILi128ELi4EZNS0_15gpu_kernel_implINS0_13BinaryFunctorIhhbNS0_12_GLOBAL__N_116CompareEqFunctorIhEEEEEEvRNS_18TensorIteratorBaseERKT_EUlibE_EEviT1_.numbered_sgpr, 59
	.set _ZN2at6native32elementwise_kernel_manual_unrollILi128ELi4EZNS0_15gpu_kernel_implINS0_13BinaryFunctorIhhbNS0_12_GLOBAL__N_116CompareEqFunctorIhEEEEEEvRNS_18TensorIteratorBaseERKT_EUlibE_EEviT1_.num_named_barrier, 0
	.set _ZN2at6native32elementwise_kernel_manual_unrollILi128ELi4EZNS0_15gpu_kernel_implINS0_13BinaryFunctorIhhbNS0_12_GLOBAL__N_116CompareEqFunctorIhEEEEEEvRNS_18TensorIteratorBaseERKT_EUlibE_EEviT1_.private_seg_size, 0
	.set _ZN2at6native32elementwise_kernel_manual_unrollILi128ELi4EZNS0_15gpu_kernel_implINS0_13BinaryFunctorIhhbNS0_12_GLOBAL__N_116CompareEqFunctorIhEEEEEEvRNS_18TensorIteratorBaseERKT_EUlibE_EEviT1_.uses_vcc, 1
	.set _ZN2at6native32elementwise_kernel_manual_unrollILi128ELi4EZNS0_15gpu_kernel_implINS0_13BinaryFunctorIhhbNS0_12_GLOBAL__N_116CompareEqFunctorIhEEEEEEvRNS_18TensorIteratorBaseERKT_EUlibE_EEviT1_.uses_flat_scratch, 0
	.set _ZN2at6native32elementwise_kernel_manual_unrollILi128ELi4EZNS0_15gpu_kernel_implINS0_13BinaryFunctorIhhbNS0_12_GLOBAL__N_116CompareEqFunctorIhEEEEEEvRNS_18TensorIteratorBaseERKT_EUlibE_EEviT1_.has_dyn_sized_stack, 0
	.set _ZN2at6native32elementwise_kernel_manual_unrollILi128ELi4EZNS0_15gpu_kernel_implINS0_13BinaryFunctorIhhbNS0_12_GLOBAL__N_116CompareEqFunctorIhEEEEEEvRNS_18TensorIteratorBaseERKT_EUlibE_EEviT1_.has_recursion, 0
	.set _ZN2at6native32elementwise_kernel_manual_unrollILi128ELi4EZNS0_15gpu_kernel_implINS0_13BinaryFunctorIhhbNS0_12_GLOBAL__N_116CompareEqFunctorIhEEEEEEvRNS_18TensorIteratorBaseERKT_EUlibE_EEviT1_.has_indirect_call, 0
	.section	.AMDGPU.csdata,"",@progbits
; Kernel info:
; codeLenInByte = 52416
; TotalNumSgprs: 63
; NumVgprs: 16
; ScratchSize: 0
; MemoryBound: 1
; FloatMode: 240
; IeeeMode: 1
; LDSByteSize: 0 bytes/workgroup (compile time only)
; SGPRBlocks: 7
; VGPRBlocks: 3
; NumSGPRsForWavesPerEU: 63
; NumVGPRsForWavesPerEU: 16
; Occupancy: 10
; WaveLimiterHint : 0
; COMPUTE_PGM_RSRC2:SCRATCH_EN: 0
; COMPUTE_PGM_RSRC2:USER_SGPR: 6
; COMPUTE_PGM_RSRC2:TRAP_HANDLER: 0
; COMPUTE_PGM_RSRC2:TGID_X_EN: 1
; COMPUTE_PGM_RSRC2:TGID_Y_EN: 0
; COMPUTE_PGM_RSRC2:TGID_Z_EN: 0
; COMPUTE_PGM_RSRC2:TIDIG_COMP_CNT: 0
	.section	.text._ZN2at6native32elementwise_kernel_manual_unrollILi128ELi4EZNS0_15gpu_kernel_implINS0_13BinaryFunctorIhhbNS0_12_GLOBAL__N_116CompareEqFunctorIhEEEEEEvRNS_18TensorIteratorBaseERKT_EUlibE0_EEviT1_,"axG",@progbits,_ZN2at6native32elementwise_kernel_manual_unrollILi128ELi4EZNS0_15gpu_kernel_implINS0_13BinaryFunctorIhhbNS0_12_GLOBAL__N_116CompareEqFunctorIhEEEEEEvRNS_18TensorIteratorBaseERKT_EUlibE0_EEviT1_,comdat
	.globl	_ZN2at6native32elementwise_kernel_manual_unrollILi128ELi4EZNS0_15gpu_kernel_implINS0_13BinaryFunctorIhhbNS0_12_GLOBAL__N_116CompareEqFunctorIhEEEEEEvRNS_18TensorIteratorBaseERKT_EUlibE0_EEviT1_ ; -- Begin function _ZN2at6native32elementwise_kernel_manual_unrollILi128ELi4EZNS0_15gpu_kernel_implINS0_13BinaryFunctorIhhbNS0_12_GLOBAL__N_116CompareEqFunctorIhEEEEEEvRNS_18TensorIteratorBaseERKT_EUlibE0_EEviT1_
	.p2align	8
	.type	_ZN2at6native32elementwise_kernel_manual_unrollILi128ELi4EZNS0_15gpu_kernel_implINS0_13BinaryFunctorIhhbNS0_12_GLOBAL__N_116CompareEqFunctorIhEEEEEEvRNS_18TensorIteratorBaseERKT_EUlibE0_EEviT1_,@function
_ZN2at6native32elementwise_kernel_manual_unrollILi128ELi4EZNS0_15gpu_kernel_implINS0_13BinaryFunctorIhhbNS0_12_GLOBAL__N_116CompareEqFunctorIhEEEEEEvRNS_18TensorIteratorBaseERKT_EUlibE0_EEviT1_: ; @_ZN2at6native32elementwise_kernel_manual_unrollILi128ELi4EZNS0_15gpu_kernel_implINS0_13BinaryFunctorIhhbNS0_12_GLOBAL__N_116CompareEqFunctorIhEEEEEEvRNS_18TensorIteratorBaseERKT_EUlibE0_EEviT1_
; %bb.0:
	s_load_dword s70, s[4:5], 0x0
	s_load_dword s33, s[4:5], 0x8
	s_add_u32 s2, s4, 8
	s_addc_u32 s3, s5, 0
	v_lshl_or_b32 v10, s6, 9, v0
	v_or_b32_e32 v20, 0x180, v10
	s_waitcnt lgkmcnt(0)
	s_add_i32 s72, s33, -1
	s_cmp_gt_u32 s72, 1
	v_cmp_le_i32_e32 vcc, s70, v20
	s_cselect_b64 s[24:25], -1, 0
	s_mov_b64 s[6:7], 0
	s_mov_b64 s[12:13], 0
	s_and_saveexec_b64 s[0:1], vcc
	s_xor_b64 s[26:27], exec, s[0:1]
	s_cbranch_execz .LBB7_1557
; %bb.1:
	s_cmp_lg_u32 s33, 0
	s_load_dwordx4 s[16:19], s[2:3], 0x4
	s_load_dwordx2 s[34:35], s[2:3], 0x14
	s_load_dwordx8 s[8:15], s[2:3], 0x188
	s_load_dwordx4 s[20:23], s[2:3], 0xc4
	s_load_dwordx2 s[30:31], s[2:3], 0xd4
	s_cselect_b64 s[38:39], -1, 0
	s_min_u32 s75, s72, 15
	s_cmp_gt_u32 s33, 1
	s_cselect_b64 s[36:37], -1, 0
	s_waitcnt lgkmcnt(0)
	s_lshr_b32 s74, s15, 8
	s_lshr_b32 s73, s15, 16
	s_cmp_eq_u32 s14, 0
	s_cselect_b64 s[28:29], -1, 0
	v_cmp_gt_i32_e32 vcc, s70, v10
	s_mov_b64 s[0:1], -1
	s_mov_b64 s[50:51], 0
	s_mov_b64 s[44:45], 0
	;; [unrolled: 1-line block ×4, first 2 shown]
	s_and_saveexec_b64 s[46:47], vcc
	s_cbranch_execz .LBB7_386
; %bb.2:
	s_andn2_b64 vcc, exec, s[24:25]
	s_cbranch_vccnz .LBB7_8
; %bb.3:
	s_andn2_b64 vcc, exec, s[38:39]
	s_cbranch_vccnz .LBB7_9
; %bb.4:
	s_add_i32 s0, s75, 1
	s_and_b32 s14, s0, 30
	s_add_u32 s0, s2, 0xffffffe8
	s_addc_u32 s1, s3, -1
	v_mov_b32_e32 v3, 0
	v_mov_b32_e32 v5, 0
	;; [unrolled: 1-line block ×4, first 2 shown]
.LBB7_5:                                ; =>This Inner Loop Header: Depth=1
	s_load_dwordx4 s[40:43], s[0:1], 0x1c
	s_load_dwordx2 s[44:45], s[0:1], 0x2c
	s_load_dwordx2 s[48:49], s[0:1], 0xec
	s_load_dwordx4 s[52:55], s[0:1], 0xdc
	s_add_u32 s0, s0, 24
	s_waitcnt lgkmcnt(0)
	v_mul_hi_u32 v2, s41, v1
	s_addc_u32 s1, s1, 0
	s_add_i32 s14, s14, -2
	s_cmp_lg_u32 s14, 0
	v_add_u32_e32 v2, v1, v2
	v_lshrrev_b32_e32 v2, s42, v2
	v_mul_lo_u32 v4, v2, s40
	v_mul_hi_u32 v6, s44, v2
	v_sub_u32_e32 v4, v1, v4
	v_add_u32_e32 v1, v2, v6
	v_lshrrev_b32_e32 v1, s45, v1
	v_mul_lo_u32 v8, v1, s43
	v_mul_lo_u32 v6, v4, s52
	;; [unrolled: 1-line block ×4, first 2 shown]
	v_sub_u32_e32 v2, v2, v8
	v_mul_lo_u32 v8, v2, s55
	v_mul_lo_u32 v9, v2, s48
	;; [unrolled: 1-line block ×3, first 2 shown]
	v_add3_u32 v0, v6, v0, v8
	v_add3_u32 v5, v7, v5, v9
	v_add3_u32 v3, v4, v3, v2
	s_cbranch_scc1 .LBB7_5
; %bb.6:
	s_bitcmp1_b32 s75, 0
	s_cselect_b64 s[40:41], -1, 0
	s_and_b64 vcc, exec, s[40:41]
	s_cbranch_vccnz .LBB7_10
; %bb.7:
	s_load_dwordx2 s[40:41], s[0:1], 0x1c
	s_load_dword s14, s[0:1], 0x24
	s_load_dwordx2 s[42:43], s[0:1], 0xdc
	s_waitcnt lgkmcnt(0)
	v_mul_hi_u32 v2, s41, v1
	v_add_u32_e32 v2, v1, v2
	v_lshrrev_b32_e32 v2, s14, v2
	v_mul_lo_u32 v2, v2, s40
	s_load_dword s14, s[0:1], 0xe4
	v_sub_u32_e32 v2, v1, v2
	v_mad_u64_u32 v[0:1], s[0:1], v2, s42, v[0:1]
	v_mad_u64_u32 v[5:6], s[0:1], v2, s43, v[5:6]
	s_waitcnt lgkmcnt(0)
	v_mad_u64_u32 v[3:4], s[0:1], v2, s14, v[3:4]
	s_cbranch_execz .LBB7_11
	s_branch .LBB7_13
.LBB7_8:
                                        ; implicit-def: $vgpr0
                                        ; implicit-def: $vgpr5
                                        ; implicit-def: $vgpr3
	s_andn2_b64 vcc, exec, s[0:1]
	s_cbranch_vccz .LBB7_11
	s_branch .LBB7_13
.LBB7_9:
	v_mov_b32_e32 v0, 0
	v_mov_b32_e32 v5, 0
	;; [unrolled: 1-line block ×3, first 2 shown]
.LBB7_10:
	s_cbranch_execnz .LBB7_13
.LBB7_11:
	v_mul_hi_u32 v0, s17, v10
	s_andn2_b64 vcc, exec, s[36:37]
	v_add_u32_e32 v0, v10, v0
	v_lshrrev_b32_e32 v1, s18, v0
	v_mul_lo_u32 v0, v1, s16
	v_sub_u32_e32 v2, v10, v0
	v_mul_lo_u32 v0, v2, s20
	v_mul_lo_u32 v5, v2, s21
	;; [unrolled: 1-line block ×3, first 2 shown]
	s_cbranch_vccnz .LBB7_13
; %bb.12:
	v_mul_hi_u32 v2, s34, v1
	v_add_u32_e32 v2, v1, v2
	v_lshrrev_b32_e32 v2, s35, v2
	v_mul_lo_u32 v2, v2, s19
	v_sub_u32_e32 v2, v1, v2
	v_mad_u64_u32 v[0:1], s[0:1], v2, s23, v[0:1]
	v_mad_u64_u32 v[5:6], s[0:1], v2, s30, v[5:6]
	;; [unrolled: 1-line block ×3, first 2 shown]
.LBB7_13:
	v_mov_b32_e32 v1, s11
	s_and_b32 s14, s74, 0xff
	v_add_co_u32_e32 v4, vcc, s10, v5
	s_cmp_lt_i32 s14, 11
	v_addc_co_u32_e32 v5, vcc, 0, v1, vcc
	s_cbranch_scc1 .LBB7_20
; %bb.14:
	s_and_b32 s42, 0xffff, s14
	s_cmp_gt_i32 s42, 25
	s_cbranch_scc0 .LBB7_29
; %bb.15:
	s_cmp_gt_i32 s42, 28
	s_cbranch_scc0 .LBB7_39
; %bb.16:
	;; [unrolled: 3-line block ×4, first 2 shown]
	s_cmp_eq_u32 s42, 46
	s_mov_b64 s[40:41], 0
	s_cbranch_scc0 .LBB7_48
; %bb.19:
	global_load_dword v1, v[4:5], off
	s_mov_b32 s0, 0x2f800000
	s_mov_b32 s1, 0xcf800000
	s_mov_b64 s[44:45], 0
	s_waitcnt vmcnt(0)
	v_lshlrev_b32_e32 v1, 16, v1
	v_trunc_f32_e32 v1, v1
	v_mul_f32_e64 v2, |v1|, s0
	v_floor_f32_e32 v2, v2
	v_fma_f32 v2, v2, s1, |v1|
	v_cvt_u32_f32_e32 v2, v2
	v_ashrrev_i32_e32 v1, 31, v1
	s_mov_b64 s[0:1], -1
	v_xor_b32_e32 v2, v2, v1
	v_sub_u32_e32 v1, v2, v1
	s_branch .LBB7_50
.LBB7_20:
	s_mov_b64 s[44:45], 0
                                        ; implicit-def: $vgpr1
	s_mov_b64 s[0:1], 0
	s_cbranch_execnz .LBB7_112
.LBB7_21:
	s_andn2_b64 vcc, exec, s[0:1]
	s_cbranch_vccnz .LBB7_159
.LBB7_22:
	v_mov_b32_e32 v4, s13
	s_and_b32 s14, s73, 0xff
	s_waitcnt vmcnt(0)
	v_add_co_u32_e32 v2, vcc, s12, v3
	s_cmp_lt_i32 s14, 11
	v_addc_co_u32_e32 v3, vcc, 0, v4, vcc
	s_cbranch_scc1 .LBB7_30
; %bb.23:
	s_and_b32 s48, 0xffff, s14
	s_cmp_gt_i32 s48, 25
	s_cbranch_scc0 .LBB7_40
; %bb.24:
	s_cmp_gt_i32 s48, 28
	s_cbranch_scc0 .LBB7_43
; %bb.25:
	;; [unrolled: 3-line block ×4, first 2 shown]
	s_cmp_eq_u32 s48, 46
	s_mov_b64 s[40:41], 0
	s_cbranch_scc0 .LBB7_160
; %bb.28:
	global_load_dword v4, v[2:3], off
	s_mov_b32 s0, 0x2f800000
	s_mov_b32 s1, 0xcf800000
	s_mov_b64 s[42:43], 0
	s_waitcnt vmcnt(0)
	v_lshlrev_b32_e32 v4, 16, v4
	v_trunc_f32_e32 v4, v4
	v_mul_f32_e64 v5, |v4|, s0
	v_floor_f32_e32 v5, v5
	v_fma_f32 v5, v5, s1, |v4|
	v_cvt_u32_f32_e32 v5, v5
	v_ashrrev_i32_e32 v4, 31, v4
	s_mov_b64 s[0:1], -1
	v_xor_b32_e32 v5, v5, v4
	v_sub_u32_e32 v4, v5, v4
	s_branch .LBB7_162
.LBB7_29:
	s_mov_b64 s[44:45], 0
	s_mov_b64 s[0:1], 0
                                        ; implicit-def: $vgpr1
	s_cbranch_execnz .LBB7_79
	s_branch .LBB7_111
.LBB7_30:
	s_mov_b64 s[42:43], 0
                                        ; implicit-def: $vgpr4
	s_mov_b64 s[0:1], 0
	s_cbranch_execnz .LBB7_335
.LBB7_31:
	s_andn2_b64 vcc, exec, s[0:1]
	s_cbranch_vccnz .LBB7_383
.LBB7_32:
	s_waitcnt vmcnt(0)
	v_cmp_ne_u16_sdwa s[0:1], v1, v4 src0_sel:BYTE_0 src1_sel:BYTE_0
	s_xor_b64 s[40:41], s[28:29], s[0:1]
	v_mov_b32_e32 v1, s9
	s_and_b32 s14, s15, 0xff
	v_add_co_u32_e32 v0, vcc, s8, v0
	s_cmp_lt_i32 s14, 11
	v_addc_co_u32_e32 v1, vcc, 0, v1, vcc
	s_cbranch_scc1 .LBB7_41
; %bb.33:
	s_and_b32 s56, 0xffff, s14
	s_cmp_gt_i32 s56, 25
	s_cbranch_scc0 .LBB7_44
; %bb.34:
	s_cmp_gt_i32 s56, 28
	s_cbranch_scc0 .LBB7_47
; %bb.35:
	;; [unrolled: 3-line block ×4, first 2 shown]
	s_mov_b64 s[52:53], 0
	s_mov_b64 s[0:1], -1
	s_cmp_eq_u32 s56, 46
	s_mov_b64 s[48:49], 0
	s_cbranch_scc0 .LBB7_166
; %bb.38:
	v_cndmask_b32_e64 v2, 0, 1.0, s[40:41]
	v_bfe_u32 v3, v2, 16, 1
	s_movk_i32 s0, 0x7fff
	v_add3_u32 v2, v2, v3, s0
	v_lshrrev_b32_e32 v2, 16, v2
	global_store_dword v[0:1], v2, off
	s_mov_b64 s[48:49], -1
	s_mov_b64 s[0:1], 0
	s_branch .LBB7_166
.LBB7_39:
	s_mov_b64 s[40:41], -1
	s_mov_b64 s[44:45], 0
	s_mov_b64 s[0:1], 0
                                        ; implicit-def: $vgpr1
	s_branch .LBB7_62
.LBB7_40:
	s_mov_b64 s[40:41], -1
	s_mov_b64 s[42:43], 0
	s_mov_b64 s[0:1], 0
                                        ; implicit-def: $vgpr4
	s_branch .LBB7_301
.LBB7_41:
	s_mov_b64 s[52:53], -1
	s_mov_b64 s[0:1], 0
	s_mov_b64 s[48:49], 0
	s_branch .LBB7_235
.LBB7_42:
	s_mov_b64 s[40:41], -1
	s_mov_b64 s[44:45], 0
	s_mov_b64 s[0:1], 0
                                        ; implicit-def: $vgpr1
	s_branch .LBB7_57
.LBB7_43:
	s_mov_b64 s[40:41], -1
	s_mov_b64 s[42:43], 0
	s_mov_b64 s[0:1], 0
                                        ; implicit-def: $vgpr4
	s_branch .LBB7_284
.LBB7_44:
	s_mov_b64 s[52:53], -1
	s_mov_b64 s[0:1], 0
	s_mov_b64 s[48:49], 0
	s_branch .LBB7_193
.LBB7_45:
	s_mov_b64 s[40:41], -1
	s_mov_b64 s[44:45], 0
	s_branch .LBB7_49
.LBB7_46:
	s_mov_b64 s[40:41], -1
	s_mov_b64 s[42:43], 0
	s_mov_b64 s[0:1], 0
                                        ; implicit-def: $vgpr4
	s_branch .LBB7_279
.LBB7_47:
	s_mov_b64 s[52:53], -1
	s_mov_b64 s[0:1], 0
	s_mov_b64 s[48:49], 0
	s_branch .LBB7_176
.LBB7_48:
	s_mov_b64 s[44:45], -1
.LBB7_49:
	s_mov_b64 s[0:1], 0
                                        ; implicit-def: $vgpr1
.LBB7_50:
	s_and_b64 vcc, exec, s[40:41]
	s_cbranch_vccz .LBB7_56
; %bb.51:
	s_cmp_eq_u32 s42, 44
	s_cbranch_scc0 .LBB7_55
; %bb.52:
	global_load_ubyte v1, v[4:5], off
	s_mov_b32 s0, 0x2f800000
	s_mov_b32 s1, 0xcf800000
	s_mov_b64 s[44:45], 0
	s_waitcnt vmcnt(0)
	v_lshlrev_b32_e32 v2, 23, v1
	v_trunc_f32_e32 v2, v2
	v_mul_f32_e64 v6, |v2|, s0
	v_floor_f32_e32 v6, v6
	v_fma_f32 v6, v6, s1, |v2|
	v_cvt_u32_f32_e32 v6, v6
	v_ashrrev_i32_e32 v2, 31, v2
	v_cmp_ne_u32_e32 vcc, 0, v1
	s_mov_b64 s[0:1], -1
	v_xor_b32_e32 v6, v6, v2
	v_sub_u32_e32 v2, v6, v2
	v_cndmask_b32_e32 v1, 0, v2, vcc
	s_branch .LBB7_56
.LBB7_53:
	s_mov_b64 s[40:41], -1
	s_mov_b64 s[42:43], 0
	s_branch .LBB7_161
.LBB7_54:
	s_mov_b64 s[52:53], -1
	s_mov_b64 s[0:1], 0
	s_mov_b64 s[48:49], 0
	s_branch .LBB7_172
.LBB7_55:
	s_mov_b64 s[44:45], -1
                                        ; implicit-def: $vgpr1
.LBB7_56:
	s_mov_b64 s[40:41], 0
.LBB7_57:
	s_and_b64 vcc, exec, s[40:41]
	s_cbranch_vccz .LBB7_61
; %bb.58:
	s_cmp_eq_u32 s42, 29
	s_cbranch_scc0 .LBB7_60
; %bb.59:
	global_load_dwordx2 v[1:2], v[4:5], off
	s_mov_b64 s[0:1], -1
	s_mov_b64 s[44:45], 0
	s_branch .LBB7_61
.LBB7_60:
	s_mov_b64 s[44:45], -1
                                        ; implicit-def: $vgpr1
.LBB7_61:
	s_mov_b64 s[40:41], 0
.LBB7_62:
	s_and_b64 vcc, exec, s[40:41]
	s_cbranch_vccz .LBB7_78
; %bb.63:
	s_cmp_lt_i32 s42, 27
	s_cbranch_scc1 .LBB7_66
; %bb.64:
	s_cmp_gt_i32 s42, 27
	s_cbranch_scc0 .LBB7_67
; %bb.65:
	global_load_dword v1, v[4:5], off
	s_mov_b64 s[0:1], 0
	s_branch .LBB7_68
.LBB7_66:
	s_mov_b64 s[0:1], -1
                                        ; implicit-def: $vgpr1
	s_branch .LBB7_71
.LBB7_67:
	s_mov_b64 s[0:1], -1
                                        ; implicit-def: $vgpr1
.LBB7_68:
	s_andn2_b64 vcc, exec, s[0:1]
	s_cbranch_vccnz .LBB7_70
; %bb.69:
	global_load_ushort v1, v[4:5], off
.LBB7_70:
	s_mov_b64 s[0:1], 0
.LBB7_71:
	s_andn2_b64 vcc, exec, s[0:1]
	s_cbranch_vccnz .LBB7_77
; %bb.72:
	global_load_ubyte v2, v[4:5], off
	s_movk_i32 s0, 0x7f
	s_mov_b64 s[40:41], 0
	s_waitcnt vmcnt(0)
	v_cmp_lt_i16_e32 vcc, s0, v2
	s_and_saveexec_b64 s[0:1], vcc
	s_xor_b64 s[0:1], exec, s[0:1]
	s_cbranch_execz .LBB7_88
; %bb.73:
	s_movk_i32 s40, 0x80
	v_cmp_ne_u16_e32 vcc, s40, v2
	s_and_b64 s[40:41], vcc, exec
	s_andn2_saveexec_b64 s[0:1], s[0:1]
	s_cbranch_execnz .LBB7_89
.LBB7_74:
	s_or_b64 exec, exec, s[0:1]
	v_mov_b32_e32 v1, 0
	s_and_saveexec_b64 s[0:1], s[40:41]
	s_cbranch_execz .LBB7_76
.LBB7_75:
	v_lshlrev_b32_e32 v1, 24, v2
	v_and_b32_e32 v2, 0xffff, v2
	v_and_b32_e32 v6, 7, v2
	v_ffbh_u32_e32 v8, v6
	v_min_u32_e32 v8, 32, v8
	v_subrev_u32_e32 v9, 28, v8
	v_bfe_u32 v7, v2, 3, 4
	v_lshlrev_b32_e32 v2, v9, v2
	v_sub_u32_e32 v8, 29, v8
	v_and_b32_e32 v2, 7, v2
	v_cmp_eq_u32_e32 vcc, 0, v7
	v_cndmask_b32_e32 v7, v7, v8, vcc
	v_cndmask_b32_e32 v2, v6, v2, vcc
	v_mov_b32_e32 v6, 0x3b800000
	v_lshlrev_b32_e32 v2, 20, v2
	v_and_b32_e32 v1, 0x80000000, v1
	v_lshl_add_u32 v6, v7, 23, v6
	v_or3_b32 v1, v1, v6, v2
	v_trunc_f32_e32 v1, v1
	s_mov_b32 s40, 0x2f800000
	v_mul_f32_e64 v2, |v1|, s40
	v_floor_f32_e32 v2, v2
	s_mov_b32 s40, 0xcf800000
	v_fma_f32 v2, v2, s40, |v1|
	v_cvt_u32_f32_e32 v2, v2
	v_ashrrev_i32_e32 v1, 31, v1
	v_xor_b32_e32 v2, v2, v1
	v_sub_u32_e32 v1, v2, v1
.LBB7_76:
	s_or_b64 exec, exec, s[0:1]
.LBB7_77:
	s_mov_b64 s[0:1], -1
.LBB7_78:
	s_branch .LBB7_111
.LBB7_79:
	s_cmp_gt_i32 s42, 22
	s_cbranch_scc0 .LBB7_87
; %bb.80:
	s_cmp_lt_i32 s42, 24
	s_cbranch_scc1 .LBB7_90
; %bb.81:
	s_cmp_gt_i32 s42, 24
	s_cbranch_scc0 .LBB7_91
; %bb.82:
	global_load_ubyte v2, v[4:5], off
	s_movk_i32 s0, 0x7f
	s_mov_b64 s[40:41], 0
	s_waitcnt vmcnt(0)
	v_cmp_lt_i16_e32 vcc, s0, v2
	s_and_saveexec_b64 s[0:1], vcc
	s_xor_b64 s[0:1], exec, s[0:1]
	s_cbranch_execz .LBB7_103
; %bb.83:
	s_movk_i32 s40, 0x80
	v_cmp_ne_u16_e32 vcc, s40, v2
	s_and_b64 s[40:41], vcc, exec
	s_andn2_saveexec_b64 s[0:1], s[0:1]
	s_cbranch_execnz .LBB7_104
.LBB7_84:
	s_or_b64 exec, exec, s[0:1]
	v_mov_b32_e32 v1, 0
	s_and_saveexec_b64 s[0:1], s[40:41]
	s_cbranch_execz .LBB7_86
.LBB7_85:
	v_lshlrev_b32_e32 v1, 24, v2
	v_and_b32_e32 v2, 0xffff, v2
	v_and_b32_e32 v6, 3, v2
	v_ffbh_u32_e32 v8, v6
	v_min_u32_e32 v8, 32, v8
	v_subrev_u32_e32 v9, 29, v8
	v_bfe_u32 v7, v2, 2, 5
	v_lshlrev_b32_e32 v2, v9, v2
	v_sub_u32_e32 v8, 30, v8
	v_and_b32_e32 v2, 3, v2
	v_cmp_eq_u32_e32 vcc, 0, v7
	v_cndmask_b32_e32 v7, v7, v8, vcc
	v_cndmask_b32_e32 v2, v6, v2, vcc
	v_mov_b32_e32 v6, 0x37800000
	v_lshlrev_b32_e32 v2, 21, v2
	v_and_b32_e32 v1, 0x80000000, v1
	v_lshl_add_u32 v6, v7, 23, v6
	v_or3_b32 v1, v1, v6, v2
	v_trunc_f32_e32 v1, v1
	s_mov_b32 s40, 0x2f800000
	v_mul_f32_e64 v2, |v1|, s40
	v_floor_f32_e32 v2, v2
	s_mov_b32 s40, 0xcf800000
	v_fma_f32 v2, v2, s40, |v1|
	v_cvt_u32_f32_e32 v2, v2
	v_ashrrev_i32_e32 v1, 31, v1
	v_xor_b32_e32 v2, v2, v1
	v_sub_u32_e32 v1, v2, v1
.LBB7_86:
	s_or_b64 exec, exec, s[0:1]
	s_mov_b64 s[0:1], 0
	s_branch .LBB7_92
.LBB7_87:
	s_mov_b64 s[40:41], -1
                                        ; implicit-def: $vgpr1
	s_branch .LBB7_98
.LBB7_88:
	s_andn2_saveexec_b64 s[0:1], s[0:1]
	s_cbranch_execz .LBB7_74
.LBB7_89:
	v_cmp_ne_u16_e32 vcc, 0, v2
	s_andn2_b64 s[40:41], s[40:41], exec
	s_and_b64 s[48:49], vcc, exec
	s_or_b64 s[40:41], s[40:41], s[48:49]
	s_or_b64 exec, exec, s[0:1]
	v_mov_b32_e32 v1, 0
	s_and_saveexec_b64 s[0:1], s[40:41]
	s_cbranch_execnz .LBB7_75
	s_branch .LBB7_76
.LBB7_90:
	s_mov_b64 s[0:1], -1
                                        ; implicit-def: $vgpr1
	s_branch .LBB7_95
.LBB7_91:
	s_mov_b64 s[0:1], -1
                                        ; implicit-def: $vgpr1
.LBB7_92:
	s_and_b64 vcc, exec, s[0:1]
	s_cbranch_vccz .LBB7_94
; %bb.93:
	global_load_ubyte v1, v[4:5], off
	s_mov_b32 s0, 0x7f800000
	s_brev_b32 s1, 1
	s_mov_b32 s40, 0x2f800000
	s_waitcnt vmcnt(0)
	v_lshlrev_b32_e32 v1, 24, v1
	v_and_b32_e32 v2, 0x7f000000, v1
	v_ffbh_u32_e32 v6, v2
	v_min_u32_e32 v6, 32, v6
	v_sub_u32_e64 v6, v6, 4 clamp
	v_lshlrev_b32_e32 v8, v6, v2
	v_lshlrev_b32_e32 v6, 23, v6
	v_lshrrev_b32_e32 v8, 4, v8
	v_add_u32_e32 v7, 0x1000000, v2
	v_sub_u32_e32 v6, v8, v6
	v_ashrrev_i32_e32 v7, 8, v7
	v_add_u32_e32 v6, 0x3c000000, v6
	v_and_or_b32 v6, v7, s0, v6
	v_cmp_ne_u32_e32 vcc, 0, v2
	v_cndmask_b32_e32 v2, 0, v6, vcc
	v_and_or_b32 v1, v1, s1, v2
	v_trunc_f32_e32 v1, v1
	v_mul_f32_e64 v2, |v1|, s40
	v_floor_f32_e32 v2, v2
	s_mov_b32 s0, 0xcf800000
	v_fma_f32 v2, v2, s0, |v1|
	v_cvt_u32_f32_e32 v2, v2
	v_ashrrev_i32_e32 v1, 31, v1
	v_xor_b32_e32 v2, v2, v1
	v_sub_u32_e32 v1, v2, v1
.LBB7_94:
	s_mov_b64 s[0:1], 0
.LBB7_95:
	s_andn2_b64 vcc, exec, s[0:1]
	s_cbranch_vccnz .LBB7_97
; %bb.96:
	global_load_ubyte v1, v[4:5], off
	s_movk_i32 s0, 0x7f00
	s_brev_b32 s1, 16
	s_brev_b32 s40, 1
	s_mov_b32 s41, 0x2f800000
	s_waitcnt vmcnt(0)
	v_lshlrev_b16_e32 v2, 8, v1
	v_lshlrev_b32_e32 v1, 25, v1
	v_lshrrev_b32_e32 v6, 4, v1
	v_and_or_b32 v7, v2, s0, 0.5
	v_or_b32_e32 v6, 0x70000000, v6
	v_add_f32_e32 v7, -0.5, v7
	v_mul_f32_e32 v6, 0x7800000, v6
	v_cmp_gt_u32_e32 vcc, s1, v1
	v_bfe_i32 v2, v2, 0, 16
	v_cndmask_b32_e32 v1, v6, v7, vcc
	v_and_or_b32 v1, v2, s40, v1
	v_trunc_f32_e32 v1, v1
	v_mul_f32_e64 v2, |v1|, s41
	v_floor_f32_e32 v2, v2
	s_mov_b32 s0, 0xcf800000
	v_fma_f32 v2, v2, s0, |v1|
	v_cvt_u32_f32_e32 v2, v2
	v_ashrrev_i32_e32 v1, 31, v1
	v_xor_b32_e32 v2, v2, v1
	v_sub_u32_e32 v1, v2, v1
.LBB7_97:
	s_mov_b64 s[40:41], 0
	s_mov_b64 s[0:1], -1
.LBB7_98:
	s_andn2_b64 vcc, exec, s[40:41]
	s_cbranch_vccnz .LBB7_111
; %bb.99:
	s_cmp_gt_i32 s42, 14
	s_cbranch_scc0 .LBB7_102
; %bb.100:
	s_cmp_eq_u32 s42, 15
	s_cbranch_scc0 .LBB7_105
; %bb.101:
	global_load_ushort v1, v[4:5], off
	s_mov_b32 s0, 0x2f800000
	s_mov_b32 s1, 0xcf800000
	s_mov_b64 s[44:45], 0
	s_waitcnt vmcnt(0)
	v_lshlrev_b32_e32 v1, 16, v1
	v_trunc_f32_e32 v1, v1
	v_mul_f32_e64 v2, |v1|, s0
	v_floor_f32_e32 v2, v2
	v_fma_f32 v2, v2, s1, |v1|
	v_cvt_u32_f32_e32 v2, v2
	v_ashrrev_i32_e32 v1, 31, v1
	s_mov_b64 s[0:1], -1
	v_xor_b32_e32 v2, v2, v1
	v_sub_u32_e32 v1, v2, v1
	s_branch .LBB7_106
.LBB7_102:
	s_mov_b64 s[40:41], -1
                                        ; implicit-def: $vgpr1
	s_branch .LBB7_107
.LBB7_103:
	s_andn2_saveexec_b64 s[0:1], s[0:1]
	s_cbranch_execz .LBB7_84
.LBB7_104:
	v_cmp_ne_u16_e32 vcc, 0, v2
	s_andn2_b64 s[40:41], s[40:41], exec
	s_and_b64 s[48:49], vcc, exec
	s_or_b64 s[40:41], s[40:41], s[48:49]
	s_or_b64 exec, exec, s[0:1]
	v_mov_b32_e32 v1, 0
	s_and_saveexec_b64 s[0:1], s[40:41]
	s_cbranch_execnz .LBB7_85
	s_branch .LBB7_86
.LBB7_105:
	s_mov_b64 s[44:45], -1
                                        ; implicit-def: $vgpr1
.LBB7_106:
	s_mov_b64 s[40:41], 0
.LBB7_107:
	s_and_b64 vcc, exec, s[40:41]
	s_cbranch_vccz .LBB7_111
; %bb.108:
	s_cmp_eq_u32 s42, 11
	s_cbranch_scc0 .LBB7_110
; %bb.109:
	global_load_ubyte v1, v[4:5], off
	s_mov_b64 s[0:1], -1
	s_mov_b64 s[44:45], 0
	s_waitcnt vmcnt(0)
	v_cmp_ne_u16_e32 vcc, 0, v1
	v_cndmask_b32_e64 v1, 0, 1, vcc
	s_branch .LBB7_111
.LBB7_110:
	s_mov_b64 s[44:45], -1
                                        ; implicit-def: $vgpr1
.LBB7_111:
	s_branch .LBB7_21
.LBB7_112:
	s_and_b32 s14, 0xffff, s14
	s_cmp_lt_i32 s14, 5
	s_cbranch_scc1 .LBB7_117
; %bb.113:
	s_cmp_lt_i32 s14, 8
	s_cbranch_scc1 .LBB7_118
; %bb.114:
	;; [unrolled: 3-line block ×3, first 2 shown]
	s_cmp_gt_i32 s14, 9
	s_cbranch_scc0 .LBB7_120
; %bb.116:
	global_load_dwordx2 v[1:2], v[4:5], off
	s_movk_i32 s0, 0xffe0
	s_waitcnt vmcnt(0)
	v_trunc_f64_e32 v[1:2], v[1:2]
	v_ldexp_f64 v[6:7], v[1:2], s0
	s_mov_b32 s0, 0
	s_mov_b32 s1, 0xc1f00000
	v_floor_f64_e32 v[6:7], v[6:7]
	v_fma_f64 v[1:2], v[6:7], s[0:1], v[1:2]
	s_mov_b64 s[0:1], 0
	v_cvt_u32_f64_e32 v1, v[1:2]
	s_branch .LBB7_121
.LBB7_117:
                                        ; implicit-def: $vgpr1
	s_branch .LBB7_139
.LBB7_118:
	s_mov_b64 s[0:1], -1
                                        ; implicit-def: $vgpr1
	s_branch .LBB7_127
.LBB7_119:
	s_mov_b64 s[0:1], -1
                                        ; implicit-def: $vgpr1
	s_branch .LBB7_124
.LBB7_120:
	s_mov_b64 s[0:1], -1
                                        ; implicit-def: $vgpr1
.LBB7_121:
	s_andn2_b64 vcc, exec, s[0:1]
	s_cbranch_vccnz .LBB7_123
; %bb.122:
	global_load_dword v1, v[4:5], off
	s_mov_b32 s0, 0x2f800000
	s_waitcnt vmcnt(0)
	v_trunc_f32_e32 v1, v1
	v_mul_f32_e64 v2, |v1|, s0
	v_floor_f32_e32 v2, v2
	s_mov_b32 s0, 0xcf800000
	v_fma_f32 v2, v2, s0, |v1|
	v_cvt_u32_f32_e32 v2, v2
	v_ashrrev_i32_e32 v1, 31, v1
	v_xor_b32_e32 v2, v2, v1
	v_sub_u32_e32 v1, v2, v1
.LBB7_123:
	s_mov_b64 s[0:1], 0
.LBB7_124:
	s_andn2_b64 vcc, exec, s[0:1]
	s_cbranch_vccnz .LBB7_126
; %bb.125:
	global_load_dword v1, v[4:5], off
	s_waitcnt vmcnt(0)
	v_cvt_f32_f16_e32 v1, v1
	v_cvt_i32_f32_e32 v1, v1
.LBB7_126:
	s_mov_b64 s[0:1], 0
.LBB7_127:
	s_andn2_b64 vcc, exec, s[0:1]
	s_cbranch_vccnz .LBB7_138
; %bb.128:
	s_cmp_lt_i32 s14, 6
	s_cbranch_scc1 .LBB7_131
; %bb.129:
	s_cmp_gt_i32 s14, 6
	s_cbranch_scc0 .LBB7_132
; %bb.130:
	global_load_dwordx2 v[1:2], v[4:5], off
	s_movk_i32 s0, 0xffe0
	s_waitcnt vmcnt(0)
	v_trunc_f64_e32 v[1:2], v[1:2]
	v_ldexp_f64 v[6:7], v[1:2], s0
	s_mov_b32 s0, 0
	s_mov_b32 s1, 0xc1f00000
	v_floor_f64_e32 v[6:7], v[6:7]
	v_fma_f64 v[1:2], v[6:7], s[0:1], v[1:2]
	s_mov_b64 s[0:1], 0
	v_cvt_u32_f64_e32 v1, v[1:2]
	s_branch .LBB7_133
.LBB7_131:
	s_mov_b64 s[0:1], -1
                                        ; implicit-def: $vgpr1
	s_branch .LBB7_136
.LBB7_132:
	s_mov_b64 s[0:1], -1
                                        ; implicit-def: $vgpr1
.LBB7_133:
	s_andn2_b64 vcc, exec, s[0:1]
	s_cbranch_vccnz .LBB7_135
; %bb.134:
	global_load_dword v1, v[4:5], off
	s_mov_b32 s0, 0x2f800000
	s_waitcnt vmcnt(0)
	v_trunc_f32_e32 v1, v1
	v_mul_f32_e64 v2, |v1|, s0
	v_floor_f32_e32 v2, v2
	s_mov_b32 s0, 0xcf800000
	v_fma_f32 v2, v2, s0, |v1|
	v_cvt_u32_f32_e32 v2, v2
	v_ashrrev_i32_e32 v1, 31, v1
	v_xor_b32_e32 v2, v2, v1
	v_sub_u32_e32 v1, v2, v1
.LBB7_135:
	s_mov_b64 s[0:1], 0
.LBB7_136:
	s_andn2_b64 vcc, exec, s[0:1]
	s_cbranch_vccnz .LBB7_138
; %bb.137:
	global_load_ushort v1, v[4:5], off
	s_waitcnt vmcnt(0)
	v_cvt_f32_f16_e32 v1, v1
	v_cvt_i32_f32_e32 v1, v1
.LBB7_138:
	s_cbranch_execnz .LBB7_158
.LBB7_139:
	s_cmp_lt_i32 s14, 2
	s_cbranch_scc1 .LBB7_143
; %bb.140:
	s_cmp_lt_i32 s14, 3
	s_cbranch_scc1 .LBB7_144
; %bb.141:
	s_cmp_gt_i32 s14, 3
	s_cbranch_scc0 .LBB7_145
; %bb.142:
	global_load_dwordx2 v[1:2], v[4:5], off
	s_mov_b64 s[0:1], 0
	s_branch .LBB7_146
.LBB7_143:
	s_mov_b64 s[0:1], -1
                                        ; implicit-def: $vgpr1
	s_branch .LBB7_152
.LBB7_144:
	s_mov_b64 s[0:1], -1
                                        ; implicit-def: $vgpr1
	s_branch .LBB7_149
.LBB7_145:
	s_mov_b64 s[0:1], -1
                                        ; implicit-def: $vgpr1
.LBB7_146:
	s_andn2_b64 vcc, exec, s[0:1]
	s_cbranch_vccnz .LBB7_148
; %bb.147:
	global_load_dword v1, v[4:5], off
.LBB7_148:
	s_mov_b64 s[0:1], 0
.LBB7_149:
	s_andn2_b64 vcc, exec, s[0:1]
	s_cbranch_vccnz .LBB7_151
; %bb.150:
	global_load_ushort v1, v[4:5], off
.LBB7_151:
	s_mov_b64 s[0:1], 0
.LBB7_152:
	s_andn2_b64 vcc, exec, s[0:1]
	s_cbranch_vccnz .LBB7_158
; %bb.153:
	s_cmp_gt_i32 s14, 0
	s_cbranch_scc0 .LBB7_155
; %bb.154:
	global_load_ubyte v1, v[4:5], off
	s_mov_b64 s[0:1], 0
	s_branch .LBB7_156
.LBB7_155:
	s_mov_b64 s[0:1], -1
                                        ; implicit-def: $vgpr1
.LBB7_156:
	s_andn2_b64 vcc, exec, s[0:1]
	s_cbranch_vccnz .LBB7_158
; %bb.157:
	global_load_ubyte v1, v[4:5], off
.LBB7_158:
	s_branch .LBB7_22
.LBB7_159:
	s_mov_b64 s[0:1], 0
	s_mov_b64 s[42:43], 0
	s_branch .LBB7_384
.LBB7_160:
	s_mov_b64 s[42:43], -1
.LBB7_161:
	s_mov_b64 s[0:1], 0
                                        ; implicit-def: $vgpr4
.LBB7_162:
	s_and_b64 vcc, exec, s[40:41]
	s_cbranch_vccz .LBB7_278
; %bb.163:
	s_cmp_eq_u32 s48, 44
	s_cbranch_scc0 .LBB7_277
; %bb.164:
	global_load_ubyte v4, v[2:3], off
	s_mov_b32 s0, 0x2f800000
	s_mov_b32 s1, 0xcf800000
	s_mov_b64 s[42:43], 0
	s_waitcnt vmcnt(0)
	v_lshlrev_b32_e32 v5, 23, v4
	v_trunc_f32_e32 v5, v5
	v_mul_f32_e64 v6, |v5|, s0
	v_floor_f32_e32 v6, v6
	v_fma_f32 v6, v6, s1, |v5|
	v_cvt_u32_f32_e32 v6, v6
	v_ashrrev_i32_e32 v5, 31, v5
	v_cmp_ne_u32_e32 vcc, 0, v4
	s_mov_b64 s[0:1], -1
	v_xor_b32_e32 v6, v6, v5
	v_sub_u32_e32 v5, v6, v5
	v_cndmask_b32_e32 v4, 0, v5, vcc
	s_branch .LBB7_278
.LBB7_165:
	s_mov_b64 s[52:53], -1
	s_mov_b64 s[0:1], 0
	s_mov_b64 s[48:49], 0
.LBB7_166:
	s_and_b64 vcc, exec, s[52:53]
	s_cbranch_vccz .LBB7_171
; %bb.167:
	s_cmp_eq_u32 s56, 44
	s_mov_b64 s[0:1], -1
	s_cbranch_scc0 .LBB7_171
; %bb.168:
	v_cndmask_b32_e64 v3, 0, 1.0, s[40:41]
	v_lshrrev_b32_e32 v2, 23, v3
	s_movk_i32 s0, 0xff
	v_cmp_ne_u32_e32 vcc, s0, v2
	v_mov_b32_e32 v4, 0xff
	s_and_saveexec_b64 s[48:49], vcc
; %bb.169:
	s_mov_b32 s0, 0x3fffff
	v_and_b32_e32 v4, 0x400000, v3
	v_and_or_b32 v3, v3, s0, v2
	v_cmp_ne_u32_e32 vcc, 0, v4
	v_cmp_ne_u32_e64 s[0:1], 0, v3
	s_and_b64 s[0:1], vcc, s[0:1]
	v_cndmask_b32_e64 v3, 0, 1, s[0:1]
	v_add_u32_e32 v4, v2, v3
; %bb.170:
	s_or_b64 exec, exec, s[48:49]
	s_mov_b64 s[48:49], -1
	s_mov_b64 s[0:1], 0
	global_store_byte v[0:1], v4, off
.LBB7_171:
	s_mov_b64 s[52:53], 0
.LBB7_172:
	s_and_b64 vcc, exec, s[52:53]
	s_cbranch_vccz .LBB7_175
; %bb.173:
	s_cmp_eq_u32 s56, 29
	s_mov_b64 s[0:1], -1
	s_cbranch_scc0 .LBB7_175
; %bb.174:
	s_mov_b32 s0, 0
	v_cndmask_b32_e64 v2, 0, 1, s[40:41]
	v_mov_b32_e32 v3, s0
	global_store_dwordx2 v[0:1], v[2:3], off
	s_mov_b64 s[48:49], -1
	s_mov_b64 s[0:1], 0
.LBB7_175:
	s_mov_b64 s[52:53], 0
.LBB7_176:
	s_and_b64 vcc, exec, s[52:53]
	s_cbranch_vccz .LBB7_192
; %bb.177:
	s_cmp_lt_i32 s56, 27
	s_mov_b64 s[48:49], -1
	s_cbranch_scc1 .LBB7_183
; %bb.178:
	s_cmp_gt_i32 s56, 27
	s_cbranch_scc0 .LBB7_180
; %bb.179:
	v_cndmask_b32_e64 v2, 0, 1, s[40:41]
	s_mov_b64 s[48:49], 0
	global_store_dword v[0:1], v2, off
.LBB7_180:
	s_andn2_b64 vcc, exec, s[48:49]
	s_cbranch_vccnz .LBB7_182
; %bb.181:
	v_cndmask_b32_e64 v2, 0, 1, s[40:41]
	global_store_short v[0:1], v2, off
.LBB7_182:
	s_mov_b64 s[48:49], 0
.LBB7_183:
	s_andn2_b64 vcc, exec, s[48:49]
	s_cbranch_vccnz .LBB7_191
; %bb.184:
	v_cndmask_b32_e64 v3, 0, 1.0, s[40:41]
	s_mov_b32 s48, 0x43800000
	v_cmp_gt_u32_e32 vcc, s48, v3
	v_mov_b32_e32 v4, 0x80
	s_and_saveexec_b64 s[48:49], vcc
	s_cbranch_execz .LBB7_190
; %bb.185:
	s_mov_b32 s52, 0x3bffffff
	v_cmp_lt_u32_e32 vcc, s52, v3
	s_mov_b64 s[52:53], 0
                                        ; implicit-def: $vgpr2
	s_and_saveexec_b64 s[54:55], vcc
	s_xor_b64 s[54:55], exec, s[54:55]
	s_cbranch_execz .LBB7_426
; %bb.186:
	v_bfe_u32 v2, v3, 20, 1
	s_mov_b32 s57, 0x487ffff
	v_add3_u32 v2, v3, v2, s57
	s_mov_b64 s[52:53], exec
	v_lshrrev_b32_e32 v2, 20, v2
                                        ; implicit-def: $vgpr3
	s_andn2_saveexec_b64 s[54:55], s[54:55]
	s_cbranch_execnz .LBB7_427
.LBB7_187:
	s_or_b64 exec, exec, s[54:55]
	v_mov_b32_e32 v4, 0
	s_and_saveexec_b64 s[54:55], s[52:53]
.LBB7_188:
	v_mov_b32_e32 v4, v2
.LBB7_189:
	s_or_b64 exec, exec, s[54:55]
.LBB7_190:
	s_or_b64 exec, exec, s[48:49]
	global_store_byte v[0:1], v4, off
.LBB7_191:
	s_mov_b64 s[48:49], -1
.LBB7_192:
	s_mov_b64 s[52:53], 0
.LBB7_193:
	s_and_b64 vcc, exec, s[52:53]
	s_cbranch_vccz .LBB7_234
; %bb.194:
	s_cmp_gt_i32 s56, 22
	s_mov_b64 s[52:53], -1
	s_cbranch_scc0 .LBB7_226
; %bb.195:
	s_cmp_lt_i32 s56, 24
	s_mov_b64 s[48:49], -1
	s_cbranch_scc1 .LBB7_215
; %bb.196:
	s_cmp_gt_i32 s56, 24
	s_cbranch_scc0 .LBB7_204
; %bb.197:
	v_cndmask_b32_e64 v3, 0, 1.0, s[40:41]
	s_mov_b32 s48, 0x47800000
	v_cmp_gt_u32_e32 vcc, s48, v3
	v_mov_b32_e32 v4, 0x80
	s_and_saveexec_b64 s[48:49], vcc
	s_cbranch_execz .LBB7_203
; %bb.198:
	s_mov_b32 s52, 0x37ffffff
	v_cmp_lt_u32_e32 vcc, s52, v3
	s_mov_b64 s[52:53], 0
                                        ; implicit-def: $vgpr2
	s_and_saveexec_b64 s[54:55], vcc
	s_xor_b64 s[54:55], exec, s[54:55]
	s_cbranch_execz .LBB7_541
; %bb.199:
	v_bfe_u32 v2, v3, 21, 1
	s_mov_b32 s57, 0x88fffff
	v_add3_u32 v2, v3, v2, s57
	s_mov_b64 s[52:53], exec
	v_lshrrev_b32_e32 v2, 21, v2
                                        ; implicit-def: $vgpr3
	s_andn2_saveexec_b64 s[54:55], s[54:55]
	s_cbranch_execnz .LBB7_542
.LBB7_200:
	s_or_b64 exec, exec, s[54:55]
	v_mov_b32_e32 v4, 0
	s_and_saveexec_b64 s[54:55], s[52:53]
.LBB7_201:
	v_mov_b32_e32 v4, v2
.LBB7_202:
	s_or_b64 exec, exec, s[54:55]
.LBB7_203:
	s_or_b64 exec, exec, s[48:49]
	s_mov_b64 s[48:49], 0
	global_store_byte v[0:1], v4, off
.LBB7_204:
	s_and_b64 vcc, exec, s[48:49]
	s_cbranch_vccz .LBB7_214
; %bb.205:
	v_cndmask_b32_e64 v2, 0, 1.0, s[40:41]
	s_mov_b32 s48, 0x43f00000
	v_cmp_gt_u32_e32 vcc, s48, v2
                                        ; implicit-def: $vgpr3
	s_and_saveexec_b64 s[48:49], vcc
	s_xor_b64 s[48:49], exec, s[48:49]
	s_cbranch_execz .LBB7_211
; %bb.206:
	s_mov_b32 s52, 0x3c7fffff
	v_cmp_lt_u32_e32 vcc, s52, v2
                                        ; implicit-def: $vgpr3
	s_and_saveexec_b64 s[52:53], vcc
	s_xor_b64 s[52:53], exec, s[52:53]
; %bb.207:
	v_bfe_u32 v3, v2, 20, 1
	s_mov_b32 s54, 0x407ffff
	v_add3_u32 v2, v2, v3, s54
	v_lshrrev_b32_e32 v3, 20, v2
	v_and_b32_e32 v2, 0xff00000, v2
	s_mov_b32 s54, 0x7f00000
	v_mov_b32_e32 v4, 0x7e
	v_cmp_ne_u32_e32 vcc, s54, v2
	v_cndmask_b32_e32 v3, v4, v3, vcc
                                        ; implicit-def: $vgpr2
; %bb.208:
	s_andn2_saveexec_b64 s[52:53], s[52:53]
; %bb.209:
	v_add_f32_e32 v3, 0x46800000, v2
; %bb.210:
	s_or_b64 exec, exec, s[52:53]
                                        ; implicit-def: $vgpr2
.LBB7_211:
	s_andn2_saveexec_b64 s[48:49], s[48:49]
; %bb.212:
	s_mov_b32 s52, 0x7f800000
	v_mov_b32_e32 v3, 0x7e
	v_mov_b32_e32 v4, 0x7f
	v_cmp_lt_u32_e32 vcc, s52, v2
	v_cndmask_b32_e32 v3, v3, v4, vcc
; %bb.213:
	s_or_b64 exec, exec, s[48:49]
	global_store_byte v[0:1], v3, off
.LBB7_214:
	s_mov_b64 s[48:49], 0
.LBB7_215:
	s_andn2_b64 vcc, exec, s[48:49]
	s_cbranch_vccnz .LBB7_225
; %bb.216:
	v_cndmask_b32_e64 v2, 0, 1.0, s[40:41]
	s_mov_b32 s48, 0x47800000
	v_cmp_gt_u32_e32 vcc, s48, v2
                                        ; implicit-def: $vgpr3
	s_and_saveexec_b64 s[48:49], vcc
	s_xor_b64 s[48:49], exec, s[48:49]
	s_cbranch_execz .LBB7_222
; %bb.217:
	s_mov_b32 s52, 0x387fffff
	v_cmp_lt_u32_e32 vcc, s52, v2
                                        ; implicit-def: $vgpr3
	s_and_saveexec_b64 s[52:53], vcc
	s_xor_b64 s[52:53], exec, s[52:53]
; %bb.218:
	v_bfe_u32 v3, v2, 21, 1
	s_mov_b32 s54, 0x80fffff
	v_add3_u32 v2, v2, v3, s54
	v_lshrrev_b32_e32 v3, 21, v2
                                        ; implicit-def: $vgpr2
; %bb.219:
	s_andn2_saveexec_b64 s[52:53], s[52:53]
; %bb.220:
	v_add_f32_e32 v3, 0x43000000, v2
; %bb.221:
	s_or_b64 exec, exec, s[52:53]
                                        ; implicit-def: $vgpr2
.LBB7_222:
	s_andn2_saveexec_b64 s[48:49], s[48:49]
; %bb.223:
	s_mov_b32 s52, 0x7f800000
	v_mov_b32_e32 v3, 0x7c
	v_mov_b32_e32 v4, 0x7f
	v_cmp_lt_u32_e32 vcc, s52, v2
	v_cndmask_b32_e32 v3, v3, v4, vcc
; %bb.224:
	s_or_b64 exec, exec, s[48:49]
	global_store_byte v[0:1], v3, off
.LBB7_225:
	s_mov_b64 s[52:53], 0
	s_mov_b64 s[48:49], -1
.LBB7_226:
	s_andn2_b64 vcc, exec, s[52:53]
	s_cbranch_vccnz .LBB7_234
; %bb.227:
	s_cmp_gt_i32 s56, 14
	s_mov_b64 s[52:53], -1
	s_cbranch_scc0 .LBB7_231
; %bb.228:
	s_cmp_eq_u32 s56, 15
	s_mov_b64 s[0:1], -1
	s_cbranch_scc0 .LBB7_230
; %bb.229:
	v_cndmask_b32_e64 v2, 0, 1.0, s[40:41]
	v_bfe_u32 v3, v2, 16, 1
	s_movk_i32 s0, 0x7fff
	v_add3_u32 v2, v2, v3, s0
	global_store_short_d16_hi v[0:1], v2, off
	s_mov_b64 s[48:49], -1
	s_mov_b64 s[0:1], 0
.LBB7_230:
	s_mov_b64 s[52:53], 0
.LBB7_231:
	s_and_b64 vcc, exec, s[52:53]
	s_cbranch_vccz .LBB7_234
; %bb.232:
	s_cmp_eq_u32 s56, 11
	s_mov_b64 s[0:1], -1
	s_cbranch_scc0 .LBB7_234
; %bb.233:
	v_cndmask_b32_e64 v2, 0, 1, s[40:41]
	s_mov_b64 s[48:49], -1
	s_mov_b64 s[0:1], 0
	global_store_byte v[0:1], v2, off
.LBB7_234:
	s_mov_b64 s[52:53], 0
.LBB7_235:
	s_and_b64 vcc, exec, s[52:53]
	s_cbranch_vccz .LBB7_274
; %bb.236:
	s_and_b32 s14, 0xffff, s14
	s_cmp_lt_i32 s14, 5
	s_mov_b64 s[48:49], -1
	s_cbranch_scc1 .LBB7_257
; %bb.237:
	s_cmp_lt_i32 s14, 8
	s_cbranch_scc1 .LBB7_247
; %bb.238:
	s_cmp_lt_i32 s14, 9
	s_cbranch_scc1 .LBB7_244
; %bb.239:
	s_cmp_gt_i32 s14, 9
	s_cbranch_scc0 .LBB7_241
; %bb.240:
	v_cndmask_b32_e64 v2, 0, 1, s[40:41]
	v_cvt_f64_u32_e32 v[2:3], v2
	v_mov_b32_e32 v4, 0
	v_mov_b32_e32 v5, v4
	s_mov_b64 s[48:49], 0
	global_store_dwordx4 v[0:1], v[2:5], off
.LBB7_241:
	s_andn2_b64 vcc, exec, s[48:49]
	s_cbranch_vccnz .LBB7_243
; %bb.242:
	v_cndmask_b32_e64 v2, 0, 1.0, s[40:41]
	v_mov_b32_e32 v3, 0
	global_store_dwordx2 v[0:1], v[2:3], off
.LBB7_243:
	s_mov_b64 s[48:49], 0
.LBB7_244:
	s_andn2_b64 vcc, exec, s[48:49]
	s_cbranch_vccnz .LBB7_246
; %bb.245:
	v_cndmask_b32_e64 v2, 0, 1.0, s[40:41]
	v_cvt_f16_f32_e32 v2, v2
	global_store_dword v[0:1], v2, off
.LBB7_246:
	s_mov_b64 s[48:49], 0
.LBB7_247:
	s_andn2_b64 vcc, exec, s[48:49]
	s_cbranch_vccnz .LBB7_256
; %bb.248:
	s_cmp_lt_i32 s14, 6
	s_mov_b64 s[48:49], -1
	s_cbranch_scc1 .LBB7_254
; %bb.249:
	s_cmp_gt_i32 s14, 6
	s_cbranch_scc0 .LBB7_251
; %bb.250:
	v_cndmask_b32_e64 v2, 0, 1, s[40:41]
	v_cvt_f64_u32_e32 v[2:3], v2
	s_mov_b64 s[48:49], 0
	global_store_dwordx2 v[0:1], v[2:3], off
.LBB7_251:
	s_andn2_b64 vcc, exec, s[48:49]
	s_cbranch_vccnz .LBB7_253
; %bb.252:
	v_cndmask_b32_e64 v2, 0, 1.0, s[40:41]
	global_store_dword v[0:1], v2, off
.LBB7_253:
	s_mov_b64 s[48:49], 0
.LBB7_254:
	s_andn2_b64 vcc, exec, s[48:49]
	s_cbranch_vccnz .LBB7_256
; %bb.255:
	v_cndmask_b32_e64 v2, 0, 1.0, s[40:41]
	v_cvt_f16_f32_e32 v2, v2
	global_store_short v[0:1], v2, off
.LBB7_256:
	s_mov_b64 s[48:49], 0
.LBB7_257:
	s_andn2_b64 vcc, exec, s[48:49]
	s_cbranch_vccnz .LBB7_273
; %bb.258:
	s_cmp_lt_i32 s14, 2
	s_mov_b64 s[48:49], -1
	s_cbranch_scc1 .LBB7_268
; %bb.259:
	s_cmp_lt_i32 s14, 3
	s_cbranch_scc1 .LBB7_265
; %bb.260:
	s_cmp_gt_i32 s14, 3
	s_cbranch_scc0 .LBB7_262
; %bb.261:
	s_mov_b32 s48, 0
	v_cndmask_b32_e64 v2, 0, 1, s[40:41]
	v_mov_b32_e32 v3, s48
	global_store_dwordx2 v[0:1], v[2:3], off
	s_mov_b64 s[48:49], 0
.LBB7_262:
	s_andn2_b64 vcc, exec, s[48:49]
	s_cbranch_vccnz .LBB7_264
; %bb.263:
	v_cndmask_b32_e64 v2, 0, 1, s[40:41]
	global_store_dword v[0:1], v2, off
.LBB7_264:
	s_mov_b64 s[48:49], 0
.LBB7_265:
	s_andn2_b64 vcc, exec, s[48:49]
	s_cbranch_vccnz .LBB7_267
; %bb.266:
	v_cndmask_b32_e64 v2, 0, 1, s[40:41]
	global_store_short v[0:1], v2, off
.LBB7_267:
	s_mov_b64 s[48:49], 0
.LBB7_268:
	s_andn2_b64 vcc, exec, s[48:49]
	s_cbranch_vccnz .LBB7_273
; %bb.269:
	s_cmp_gt_i32 s14, 0
	s_mov_b64 s[48:49], -1
	s_cbranch_scc0 .LBB7_271
; %bb.270:
	v_cndmask_b32_e64 v2, 0, 1, s[40:41]
	global_store_byte v[0:1], v2, off
	s_mov_b64 s[48:49], 0
.LBB7_271:
	s_andn2_b64 vcc, exec, s[48:49]
	s_cbranch_vccnz .LBB7_273
; %bb.272:
	v_cndmask_b32_e64 v2, 0, 1, s[40:41]
	global_store_byte v[0:1], v2, off
.LBB7_273:
	s_mov_b64 s[48:49], -1
.LBB7_274:
	s_andn2_b64 vcc, exec, s[48:49]
	s_cbranch_vccnz .LBB7_276
; %bb.275:
	v_add_u32_e32 v10, 0x80, v10
	s_mov_b64 s[48:49], -1
	s_branch .LBB7_385
.LBB7_276:
	s_mov_b64 s[48:49], 0
                                        ; implicit-def: $vgpr10
	s_branch .LBB7_385
.LBB7_277:
	s_mov_b64 s[42:43], -1
                                        ; implicit-def: $vgpr4
.LBB7_278:
	s_mov_b64 s[40:41], 0
.LBB7_279:
	s_and_b64 vcc, exec, s[40:41]
	s_cbranch_vccz .LBB7_283
; %bb.280:
	s_cmp_eq_u32 s48, 29
	s_cbranch_scc0 .LBB7_282
; %bb.281:
	global_load_dwordx2 v[4:5], v[2:3], off
	s_mov_b64 s[0:1], -1
	s_mov_b64 s[42:43], 0
	s_branch .LBB7_283
.LBB7_282:
	s_mov_b64 s[42:43], -1
                                        ; implicit-def: $vgpr4
.LBB7_283:
	s_mov_b64 s[40:41], 0
.LBB7_284:
	s_and_b64 vcc, exec, s[40:41]
	s_cbranch_vccz .LBB7_300
; %bb.285:
	s_cmp_lt_i32 s48, 27
	s_cbranch_scc1 .LBB7_288
; %bb.286:
	s_cmp_gt_i32 s48, 27
	s_cbranch_scc0 .LBB7_289
; %bb.287:
	global_load_dword v4, v[2:3], off
	s_mov_b64 s[0:1], 0
	s_branch .LBB7_290
.LBB7_288:
	s_mov_b64 s[0:1], -1
                                        ; implicit-def: $vgpr4
	s_branch .LBB7_293
.LBB7_289:
	s_mov_b64 s[0:1], -1
                                        ; implicit-def: $vgpr4
.LBB7_290:
	s_andn2_b64 vcc, exec, s[0:1]
	s_cbranch_vccnz .LBB7_292
; %bb.291:
	global_load_ushort v4, v[2:3], off
.LBB7_292:
	s_mov_b64 s[0:1], 0
.LBB7_293:
	s_andn2_b64 vcc, exec, s[0:1]
	s_cbranch_vccnz .LBB7_299
; %bb.294:
	global_load_ubyte v5, v[2:3], off
	s_movk_i32 s0, 0x7f
	s_mov_b64 s[40:41], 0
	s_waitcnt vmcnt(0)
	v_cmp_lt_i16_e32 vcc, s0, v5
	s_and_saveexec_b64 s[0:1], vcc
	s_xor_b64 s[0:1], exec, s[0:1]
	s_cbranch_execz .LBB7_311
; %bb.295:
	s_movk_i32 s40, 0x80
	v_cmp_ne_u16_e32 vcc, s40, v5
	s_and_b64 s[40:41], vcc, exec
	s_andn2_saveexec_b64 s[0:1], s[0:1]
	s_cbranch_execnz .LBB7_312
.LBB7_296:
	s_or_b64 exec, exec, s[0:1]
	v_mov_b32_e32 v4, 0
	s_and_saveexec_b64 s[0:1], s[40:41]
	s_cbranch_execz .LBB7_298
.LBB7_297:
	v_lshlrev_b32_e32 v4, 24, v5
	v_and_b32_e32 v5, 0xffff, v5
	v_and_b32_e32 v6, 7, v5
	v_ffbh_u32_e32 v8, v6
	v_min_u32_e32 v8, 32, v8
	v_subrev_u32_e32 v9, 28, v8
	v_bfe_u32 v7, v5, 3, 4
	v_lshlrev_b32_e32 v5, v9, v5
	v_sub_u32_e32 v8, 29, v8
	v_and_b32_e32 v5, 7, v5
	v_cmp_eq_u32_e32 vcc, 0, v7
	v_cndmask_b32_e32 v7, v7, v8, vcc
	v_cndmask_b32_e32 v5, v6, v5, vcc
	v_mov_b32_e32 v6, 0x3b800000
	v_lshlrev_b32_e32 v5, 20, v5
	v_and_b32_e32 v4, 0x80000000, v4
	v_lshl_add_u32 v6, v7, 23, v6
	v_or3_b32 v4, v4, v6, v5
	v_trunc_f32_e32 v4, v4
	s_mov_b32 s40, 0x2f800000
	v_mul_f32_e64 v5, |v4|, s40
	v_floor_f32_e32 v5, v5
	s_mov_b32 s40, 0xcf800000
	v_fma_f32 v5, v5, s40, |v4|
	v_cvt_u32_f32_e32 v5, v5
	v_ashrrev_i32_e32 v4, 31, v4
	v_xor_b32_e32 v5, v5, v4
	v_sub_u32_e32 v4, v5, v4
.LBB7_298:
	s_or_b64 exec, exec, s[0:1]
.LBB7_299:
	s_mov_b64 s[0:1], -1
.LBB7_300:
	s_mov_b64 s[40:41], 0
.LBB7_301:
	s_and_b64 vcc, exec, s[40:41]
	s_cbranch_vccz .LBB7_334
; %bb.302:
	s_cmp_gt_i32 s48, 22
	s_cbranch_scc0 .LBB7_310
; %bb.303:
	s_cmp_lt_i32 s48, 24
	s_cbranch_scc1 .LBB7_313
; %bb.304:
	s_cmp_gt_i32 s48, 24
	s_cbranch_scc0 .LBB7_314
; %bb.305:
	global_load_ubyte v5, v[2:3], off
	s_movk_i32 s0, 0x7f
	s_mov_b64 s[40:41], 0
	s_waitcnt vmcnt(0)
	v_cmp_lt_i16_e32 vcc, s0, v5
	s_and_saveexec_b64 s[0:1], vcc
	s_xor_b64 s[0:1], exec, s[0:1]
	s_cbranch_execz .LBB7_326
; %bb.306:
	s_movk_i32 s40, 0x80
	v_cmp_ne_u16_e32 vcc, s40, v5
	s_and_b64 s[40:41], vcc, exec
	s_andn2_saveexec_b64 s[0:1], s[0:1]
	s_cbranch_execnz .LBB7_327
.LBB7_307:
	s_or_b64 exec, exec, s[0:1]
	v_mov_b32_e32 v4, 0
	s_and_saveexec_b64 s[0:1], s[40:41]
	s_cbranch_execz .LBB7_309
.LBB7_308:
	v_lshlrev_b32_e32 v4, 24, v5
	v_and_b32_e32 v5, 0xffff, v5
	v_and_b32_e32 v6, 3, v5
	v_ffbh_u32_e32 v8, v6
	v_min_u32_e32 v8, 32, v8
	v_subrev_u32_e32 v9, 29, v8
	v_bfe_u32 v7, v5, 2, 5
	v_lshlrev_b32_e32 v5, v9, v5
	v_sub_u32_e32 v8, 30, v8
	v_and_b32_e32 v5, 3, v5
	v_cmp_eq_u32_e32 vcc, 0, v7
	v_cndmask_b32_e32 v7, v7, v8, vcc
	v_cndmask_b32_e32 v5, v6, v5, vcc
	v_mov_b32_e32 v6, 0x37800000
	v_lshlrev_b32_e32 v5, 21, v5
	v_and_b32_e32 v4, 0x80000000, v4
	v_lshl_add_u32 v6, v7, 23, v6
	v_or3_b32 v4, v4, v6, v5
	v_trunc_f32_e32 v4, v4
	s_mov_b32 s40, 0x2f800000
	v_mul_f32_e64 v5, |v4|, s40
	v_floor_f32_e32 v5, v5
	s_mov_b32 s40, 0xcf800000
	v_fma_f32 v5, v5, s40, |v4|
	v_cvt_u32_f32_e32 v5, v5
	v_ashrrev_i32_e32 v4, 31, v4
	v_xor_b32_e32 v5, v5, v4
	v_sub_u32_e32 v4, v5, v4
.LBB7_309:
	s_or_b64 exec, exec, s[0:1]
	s_mov_b64 s[0:1], 0
	s_branch .LBB7_315
.LBB7_310:
	s_mov_b64 s[40:41], -1
                                        ; implicit-def: $vgpr4
	s_branch .LBB7_321
.LBB7_311:
	s_andn2_saveexec_b64 s[0:1], s[0:1]
	s_cbranch_execz .LBB7_296
.LBB7_312:
	v_cmp_ne_u16_e32 vcc, 0, v5
	s_andn2_b64 s[40:41], s[40:41], exec
	s_and_b64 s[52:53], vcc, exec
	s_or_b64 s[40:41], s[40:41], s[52:53]
	s_or_b64 exec, exec, s[0:1]
	v_mov_b32_e32 v4, 0
	s_and_saveexec_b64 s[0:1], s[40:41]
	s_cbranch_execnz .LBB7_297
	s_branch .LBB7_298
.LBB7_313:
	s_mov_b64 s[0:1], -1
                                        ; implicit-def: $vgpr4
	s_branch .LBB7_318
.LBB7_314:
	s_mov_b64 s[0:1], -1
                                        ; implicit-def: $vgpr4
.LBB7_315:
	s_and_b64 vcc, exec, s[0:1]
	s_cbranch_vccz .LBB7_317
; %bb.316:
	global_load_ubyte v4, v[2:3], off
	s_mov_b32 s0, 0x7f800000
	s_brev_b32 s1, 1
	s_mov_b32 s40, 0x2f800000
	s_waitcnt vmcnt(0)
	v_lshlrev_b32_e32 v4, 24, v4
	v_and_b32_e32 v5, 0x7f000000, v4
	v_ffbh_u32_e32 v6, v5
	v_min_u32_e32 v6, 32, v6
	v_sub_u32_e64 v6, v6, 4 clamp
	v_lshlrev_b32_e32 v8, v6, v5
	v_lshlrev_b32_e32 v6, 23, v6
	v_lshrrev_b32_e32 v8, 4, v8
	v_add_u32_e32 v7, 0x1000000, v5
	v_sub_u32_e32 v6, v8, v6
	v_ashrrev_i32_e32 v7, 8, v7
	v_add_u32_e32 v6, 0x3c000000, v6
	v_and_or_b32 v6, v7, s0, v6
	v_cmp_ne_u32_e32 vcc, 0, v5
	v_cndmask_b32_e32 v5, 0, v6, vcc
	v_and_or_b32 v4, v4, s1, v5
	v_trunc_f32_e32 v4, v4
	v_mul_f32_e64 v5, |v4|, s40
	v_floor_f32_e32 v5, v5
	s_mov_b32 s0, 0xcf800000
	v_fma_f32 v5, v5, s0, |v4|
	v_cvt_u32_f32_e32 v5, v5
	v_ashrrev_i32_e32 v4, 31, v4
	v_xor_b32_e32 v5, v5, v4
	v_sub_u32_e32 v4, v5, v4
.LBB7_317:
	s_mov_b64 s[0:1], 0
.LBB7_318:
	s_andn2_b64 vcc, exec, s[0:1]
	s_cbranch_vccnz .LBB7_320
; %bb.319:
	global_load_ubyte v4, v[2:3], off
	s_movk_i32 s0, 0x7f00
	s_brev_b32 s1, 16
	s_brev_b32 s40, 1
	s_mov_b32 s41, 0x2f800000
	s_waitcnt vmcnt(0)
	v_lshlrev_b16_e32 v5, 8, v4
	v_lshlrev_b32_e32 v4, 25, v4
	v_lshrrev_b32_e32 v6, 4, v4
	v_and_or_b32 v7, v5, s0, 0.5
	v_or_b32_e32 v6, 0x70000000, v6
	v_add_f32_e32 v7, -0.5, v7
	v_mul_f32_e32 v6, 0x7800000, v6
	v_cmp_gt_u32_e32 vcc, s1, v4
	v_bfe_i32 v5, v5, 0, 16
	v_cndmask_b32_e32 v4, v6, v7, vcc
	v_and_or_b32 v4, v5, s40, v4
	v_trunc_f32_e32 v4, v4
	v_mul_f32_e64 v5, |v4|, s41
	v_floor_f32_e32 v5, v5
	s_mov_b32 s0, 0xcf800000
	v_fma_f32 v5, v5, s0, |v4|
	v_cvt_u32_f32_e32 v5, v5
	v_ashrrev_i32_e32 v4, 31, v4
	v_xor_b32_e32 v5, v5, v4
	v_sub_u32_e32 v4, v5, v4
.LBB7_320:
	s_mov_b64 s[40:41], 0
	s_mov_b64 s[0:1], -1
.LBB7_321:
	s_andn2_b64 vcc, exec, s[40:41]
	s_cbranch_vccnz .LBB7_334
; %bb.322:
	s_cmp_gt_i32 s48, 14
	s_cbranch_scc0 .LBB7_325
; %bb.323:
	s_cmp_eq_u32 s48, 15
	s_cbranch_scc0 .LBB7_328
; %bb.324:
	global_load_ushort v4, v[2:3], off
	s_mov_b32 s0, 0x2f800000
	s_mov_b32 s1, 0xcf800000
	s_mov_b64 s[42:43], 0
	s_waitcnt vmcnt(0)
	v_lshlrev_b32_e32 v4, 16, v4
	v_trunc_f32_e32 v4, v4
	v_mul_f32_e64 v5, |v4|, s0
	v_floor_f32_e32 v5, v5
	v_fma_f32 v5, v5, s1, |v4|
	v_cvt_u32_f32_e32 v5, v5
	v_ashrrev_i32_e32 v4, 31, v4
	s_mov_b64 s[0:1], -1
	v_xor_b32_e32 v5, v5, v4
	v_sub_u32_e32 v4, v5, v4
	s_branch .LBB7_329
.LBB7_325:
	s_mov_b64 s[40:41], -1
                                        ; implicit-def: $vgpr4
	s_branch .LBB7_330
.LBB7_326:
	s_andn2_saveexec_b64 s[0:1], s[0:1]
	s_cbranch_execz .LBB7_307
.LBB7_327:
	v_cmp_ne_u16_e32 vcc, 0, v5
	s_andn2_b64 s[40:41], s[40:41], exec
	s_and_b64 s[52:53], vcc, exec
	s_or_b64 s[40:41], s[40:41], s[52:53]
	s_or_b64 exec, exec, s[0:1]
	v_mov_b32_e32 v4, 0
	s_and_saveexec_b64 s[0:1], s[40:41]
	s_cbranch_execnz .LBB7_308
	s_branch .LBB7_309
.LBB7_328:
	s_mov_b64 s[42:43], -1
                                        ; implicit-def: $vgpr4
.LBB7_329:
	s_mov_b64 s[40:41], 0
.LBB7_330:
	s_and_b64 vcc, exec, s[40:41]
	s_cbranch_vccz .LBB7_334
; %bb.331:
	s_cmp_eq_u32 s48, 11
	s_cbranch_scc0 .LBB7_333
; %bb.332:
	global_load_ubyte v4, v[2:3], off
	s_mov_b64 s[0:1], -1
	s_mov_b64 s[42:43], 0
	s_waitcnt vmcnt(0)
	v_cmp_ne_u16_e32 vcc, 0, v4
	v_cndmask_b32_e64 v4, 0, 1, vcc
	s_branch .LBB7_334
.LBB7_333:
	s_mov_b64 s[42:43], -1
                                        ; implicit-def: $vgpr4
.LBB7_334:
	s_branch .LBB7_31
.LBB7_335:
	s_and_b32 s14, 0xffff, s14
	s_cmp_lt_i32 s14, 5
	s_cbranch_scc1 .LBB7_340
; %bb.336:
	s_cmp_lt_i32 s14, 8
	s_cbranch_scc1 .LBB7_341
; %bb.337:
	;; [unrolled: 3-line block ×3, first 2 shown]
	s_cmp_gt_i32 s14, 9
	s_cbranch_scc0 .LBB7_343
; %bb.339:
	global_load_dwordx2 v[4:5], v[2:3], off
	s_movk_i32 s0, 0xffe0
	s_waitcnt vmcnt(0)
	v_trunc_f64_e32 v[4:5], v[4:5]
	v_ldexp_f64 v[6:7], v[4:5], s0
	s_mov_b32 s0, 0
	s_mov_b32 s1, 0xc1f00000
	v_floor_f64_e32 v[6:7], v[6:7]
	v_fma_f64 v[4:5], v[6:7], s[0:1], v[4:5]
	s_mov_b64 s[0:1], 0
	v_cvt_u32_f64_e32 v4, v[4:5]
	s_branch .LBB7_344
.LBB7_340:
	s_mov_b64 s[0:1], -1
                                        ; implicit-def: $vgpr4
	s_branch .LBB7_362
.LBB7_341:
	s_mov_b64 s[0:1], -1
                                        ; implicit-def: $vgpr4
	s_branch .LBB7_350
.LBB7_342:
	s_mov_b64 s[0:1], -1
                                        ; implicit-def: $vgpr4
	s_branch .LBB7_347
.LBB7_343:
	s_mov_b64 s[0:1], -1
                                        ; implicit-def: $vgpr4
.LBB7_344:
	s_andn2_b64 vcc, exec, s[0:1]
	s_cbranch_vccnz .LBB7_346
; %bb.345:
	global_load_dword v4, v[2:3], off
	s_mov_b32 s0, 0x2f800000
	s_waitcnt vmcnt(0)
	v_trunc_f32_e32 v4, v4
	v_mul_f32_e64 v5, |v4|, s0
	v_floor_f32_e32 v5, v5
	s_mov_b32 s0, 0xcf800000
	v_fma_f32 v5, v5, s0, |v4|
	v_cvt_u32_f32_e32 v5, v5
	v_ashrrev_i32_e32 v4, 31, v4
	v_xor_b32_e32 v5, v5, v4
	v_sub_u32_e32 v4, v5, v4
.LBB7_346:
	s_mov_b64 s[0:1], 0
.LBB7_347:
	s_andn2_b64 vcc, exec, s[0:1]
	s_cbranch_vccnz .LBB7_349
; %bb.348:
	global_load_dword v4, v[2:3], off
	s_waitcnt vmcnt(0)
	v_cvt_f32_f16_e32 v4, v4
	v_cvt_i32_f32_e32 v4, v4
.LBB7_349:
	s_mov_b64 s[0:1], 0
.LBB7_350:
	s_andn2_b64 vcc, exec, s[0:1]
	s_cbranch_vccnz .LBB7_361
; %bb.351:
	s_cmp_lt_i32 s14, 6
	s_cbranch_scc1 .LBB7_354
; %bb.352:
	s_cmp_gt_i32 s14, 6
	s_cbranch_scc0 .LBB7_355
; %bb.353:
	global_load_dwordx2 v[4:5], v[2:3], off
	s_movk_i32 s0, 0xffe0
	s_waitcnt vmcnt(0)
	v_trunc_f64_e32 v[4:5], v[4:5]
	v_ldexp_f64 v[6:7], v[4:5], s0
	s_mov_b32 s0, 0
	s_mov_b32 s1, 0xc1f00000
	v_floor_f64_e32 v[6:7], v[6:7]
	v_fma_f64 v[4:5], v[6:7], s[0:1], v[4:5]
	s_mov_b64 s[0:1], 0
	v_cvt_u32_f64_e32 v4, v[4:5]
	s_branch .LBB7_356
.LBB7_354:
	s_mov_b64 s[0:1], -1
                                        ; implicit-def: $vgpr4
	s_branch .LBB7_359
.LBB7_355:
	s_mov_b64 s[0:1], -1
                                        ; implicit-def: $vgpr4
.LBB7_356:
	s_andn2_b64 vcc, exec, s[0:1]
	s_cbranch_vccnz .LBB7_358
; %bb.357:
	global_load_dword v4, v[2:3], off
	s_mov_b32 s0, 0x2f800000
	s_waitcnt vmcnt(0)
	v_trunc_f32_e32 v4, v4
	v_mul_f32_e64 v5, |v4|, s0
	v_floor_f32_e32 v5, v5
	s_mov_b32 s0, 0xcf800000
	v_fma_f32 v5, v5, s0, |v4|
	v_cvt_u32_f32_e32 v5, v5
	v_ashrrev_i32_e32 v4, 31, v4
	v_xor_b32_e32 v5, v5, v4
	v_sub_u32_e32 v4, v5, v4
.LBB7_358:
	s_mov_b64 s[0:1], 0
.LBB7_359:
	s_andn2_b64 vcc, exec, s[0:1]
	s_cbranch_vccnz .LBB7_361
; %bb.360:
	global_load_ushort v4, v[2:3], off
	s_waitcnt vmcnt(0)
	v_cvt_f32_f16_e32 v4, v4
	v_cvt_i32_f32_e32 v4, v4
.LBB7_361:
	s_mov_b64 s[0:1], 0
.LBB7_362:
	s_andn2_b64 vcc, exec, s[0:1]
	s_cbranch_vccnz .LBB7_382
; %bb.363:
	s_cmp_lt_i32 s14, 2
	s_cbranch_scc1 .LBB7_367
; %bb.364:
	s_cmp_lt_i32 s14, 3
	s_cbranch_scc1 .LBB7_368
; %bb.365:
	s_cmp_gt_i32 s14, 3
	s_cbranch_scc0 .LBB7_369
; %bb.366:
	global_load_dwordx2 v[4:5], v[2:3], off
	s_mov_b64 s[0:1], 0
	s_branch .LBB7_370
.LBB7_367:
	s_mov_b64 s[0:1], -1
                                        ; implicit-def: $vgpr4
	s_branch .LBB7_376
.LBB7_368:
	s_mov_b64 s[0:1], -1
                                        ; implicit-def: $vgpr4
	s_branch .LBB7_373
.LBB7_369:
	s_mov_b64 s[0:1], -1
                                        ; implicit-def: $vgpr4
.LBB7_370:
	s_andn2_b64 vcc, exec, s[0:1]
	s_cbranch_vccnz .LBB7_372
; %bb.371:
	global_load_dword v4, v[2:3], off
.LBB7_372:
	s_mov_b64 s[0:1], 0
.LBB7_373:
	s_andn2_b64 vcc, exec, s[0:1]
	s_cbranch_vccnz .LBB7_375
; %bb.374:
	global_load_ushort v4, v[2:3], off
.LBB7_375:
	s_mov_b64 s[0:1], 0
.LBB7_376:
	s_andn2_b64 vcc, exec, s[0:1]
	s_cbranch_vccnz .LBB7_382
; %bb.377:
	s_cmp_gt_i32 s14, 0
	s_cbranch_scc0 .LBB7_379
; %bb.378:
	global_load_ubyte v4, v[2:3], off
	s_mov_b64 s[0:1], 0
	s_branch .LBB7_380
.LBB7_379:
	s_mov_b64 s[0:1], -1
                                        ; implicit-def: $vgpr4
.LBB7_380:
	s_andn2_b64 vcc, exec, s[0:1]
	s_cbranch_vccnz .LBB7_382
; %bb.381:
	global_load_ubyte v4, v[2:3], off
.LBB7_382:
	s_branch .LBB7_32
.LBB7_383:
	s_mov_b64 s[0:1], 0
.LBB7_384:
                                        ; implicit-def: $vgpr10
	s_mov_b64 s[48:49], 0
.LBB7_385:
	s_and_b64 s[40:41], s[0:1], exec
	s_and_b64 s[42:43], s[42:43], exec
	s_and_b64 s[44:45], s[44:45], exec
	s_orn2_b64 s[0:1], s[48:49], exec
.LBB7_386:
	s_or_b64 exec, exec, s[46:47]
	s_mov_b64 s[54:55], 0
	s_mov_b64 s[52:53], 0
                                        ; implicit-def: $sgpr14
                                        ; implicit-def: $vgpr4_vgpr5
                                        ; implicit-def: $vgpr0
                                        ; implicit-def: $vgpr3
                                        ; implicit-def: $vgpr1
	s_and_saveexec_b64 s[46:47], s[0:1]
	s_cbranch_execz .LBB7_394
; %bb.387:
	v_cmp_gt_i32_e32 vcc, s70, v10
	s_mov_b64 s[0:1], -1
	s_mov_b64 s[48:49], s[44:45]
	s_mov_b64 s[50:51], s[42:43]
	;; [unrolled: 1-line block ×3, first 2 shown]
	s_and_saveexec_b64 s[54:55], vcc
	s_cbranch_execz .LBB7_779
; %bb.388:
	s_andn2_b64 vcc, exec, s[24:25]
	s_cbranch_vccnz .LBB7_397
; %bb.389:
	s_andn2_b64 vcc, exec, s[38:39]
	s_cbranch_vccnz .LBB7_398
; %bb.390:
	s_add_i32 s0, s75, 1
	s_and_b32 s14, s0, 30
	s_add_u32 s0, s2, 0xffffffe8
	s_addc_u32 s1, s3, -1
	v_mov_b32_e32 v3, 0
	s_waitcnt vmcnt(0)
	v_mov_b32_e32 v5, 0
	v_mov_b32_e32 v0, 0
	;; [unrolled: 1-line block ×3, first 2 shown]
.LBB7_391:                              ; =>This Inner Loop Header: Depth=1
	s_load_dwordx4 s[48:51], s[0:1], 0x1c
	s_load_dwordx2 s[52:53], s[0:1], 0x2c
	s_load_dwordx2 s[60:61], s[0:1], 0xec
	s_load_dwordx4 s[56:59], s[0:1], 0xdc
	s_add_u32 s0, s0, 24
	s_waitcnt lgkmcnt(0)
	v_mul_hi_u32 v2, s49, v1
	s_addc_u32 s1, s1, 0
	s_add_i32 s14, s14, -2
	s_cmp_eq_u32 s14, 0
	v_add_u32_e32 v2, v1, v2
	v_lshrrev_b32_e32 v2, s50, v2
	v_mul_lo_u32 v4, v2, s48
	v_mul_hi_u32 v6, s52, v2
	v_sub_u32_e32 v4, v1, v4
	v_add_u32_e32 v1, v2, v6
	v_lshrrev_b32_e32 v1, s53, v1
	v_mul_lo_u32 v8, v1, s51
	v_mul_lo_u32 v6, v4, s56
	;; [unrolled: 1-line block ×4, first 2 shown]
	v_sub_u32_e32 v2, v2, v8
	v_mul_lo_u32 v8, v2, s59
	v_mul_lo_u32 v9, v2, s60
	;; [unrolled: 1-line block ×3, first 2 shown]
	v_add3_u32 v0, v6, v0, v8
	v_add3_u32 v5, v7, v5, v9
	;; [unrolled: 1-line block ×3, first 2 shown]
	s_cbranch_scc0 .LBB7_391
; %bb.392:
	s_bitcmp1_b32 s75, 0
	s_cselect_b64 s[48:49], -1, 0
	s_and_b64 vcc, exec, s[48:49]
	s_cbranch_vccnz .LBB7_399
; %bb.393:
	s_load_dwordx2 s[48:49], s[0:1], 0x1c
	s_load_dword s14, s[0:1], 0x24
	s_load_dwordx2 s[50:51], s[0:1], 0xdc
	s_waitcnt lgkmcnt(0)
	v_mul_hi_u32 v2, s49, v1
	v_add_u32_e32 v2, v1, v2
	v_lshrrev_b32_e32 v2, s14, v2
	v_mul_lo_u32 v2, v2, s48
	s_load_dword s14, s[0:1], 0xe4
	v_sub_u32_e32 v2, v1, v2
	v_mad_u64_u32 v[0:1], s[0:1], v2, s50, v[0:1]
	v_mad_u64_u32 v[5:6], s[0:1], v2, s51, v[5:6]
	s_waitcnt lgkmcnt(0)
	v_mad_u64_u32 v[3:4], s[0:1], v2, s14, v[3:4]
	s_branch .LBB7_399
.LBB7_394:
	s_or_b64 exec, exec, s[46:47]
	s_mov_b64 s[10:11], 0
	s_and_saveexec_b64 s[0:1], s[44:45]
	s_cbranch_execnz .LBB7_1265
.LBB7_395:
	s_or_b64 exec, exec, s[0:1]
	s_and_saveexec_b64 s[0:1], s[50:51]
	s_xor_b64 s[0:1], exec, s[0:1]
	s_cbranch_execz .LBB7_1266
.LBB7_396:
	s_waitcnt vmcnt(0)
	global_load_ubyte v1, v[4:5], off
	s_or_b64 s[52:53], s[52:53], exec
	s_waitcnt vmcnt(0)
	v_cmp_ne_u16_e32 vcc, 0, v1
	v_cndmask_b32_e64 v1, 0, 1, vcc
	s_or_b64 exec, exec, s[0:1]
	s_and_saveexec_b64 s[0:1], s[54:55]
	s_cbranch_execz .LBB7_1312
	s_branch .LBB7_1267
.LBB7_397:
                                        ; implicit-def: $vgpr0
                                        ; implicit-def: $vgpr5
                                        ; implicit-def: $vgpr3
	s_andn2_b64 vcc, exec, s[0:1]
	s_cbranch_vccz .LBB7_400
	s_branch .LBB7_402
.LBB7_398:
	v_mov_b32_e32 v0, 0
	s_waitcnt vmcnt(0)
	v_mov_b32_e32 v5, 0
	v_mov_b32_e32 v3, 0
.LBB7_399:
	s_cbranch_execnz .LBB7_402
.LBB7_400:
	v_mul_hi_u32 v0, s17, v10
	s_andn2_b64 vcc, exec, s[36:37]
	v_add_u32_e32 v0, v10, v0
	s_waitcnt vmcnt(0)
	v_lshrrev_b32_e32 v1, s18, v0
	v_mul_lo_u32 v0, v1, s16
	v_sub_u32_e32 v2, v10, v0
	v_mul_lo_u32 v0, v2, s20
	v_mul_lo_u32 v5, v2, s21
	;; [unrolled: 1-line block ×3, first 2 shown]
	s_cbranch_vccnz .LBB7_402
; %bb.401:
	v_mul_hi_u32 v2, s34, v1
	v_add_u32_e32 v2, v1, v2
	v_lshrrev_b32_e32 v2, s35, v2
	v_mul_lo_u32 v2, v2, s19
	v_sub_u32_e32 v2, v1, v2
	v_mad_u64_u32 v[0:1], s[0:1], v2, s23, v[0:1]
	v_mad_u64_u32 v[5:6], s[0:1], v2, s30, v[5:6]
	;; [unrolled: 1-line block ×3, first 2 shown]
.LBB7_402:
	s_waitcnt vmcnt(0)
	v_mov_b32_e32 v1, s11
	s_and_b32 s14, s74, 0xff
	v_add_co_u32_e32 v4, vcc, s10, v5
	s_cmp_lt_i32 s14, 11
	v_addc_co_u32_e32 v5, vcc, 0, v1, vcc
	s_cbranch_scc1 .LBB7_409
; %bb.403:
	s_and_b32 s52, 0xffff, s14
	s_cmp_gt_i32 s52, 25
	s_cbranch_scc0 .LBB7_418
; %bb.404:
	s_cmp_gt_i32 s52, 28
	s_cbranch_scc0 .LBB7_420
; %bb.405:
	;; [unrolled: 3-line block ×4, first 2 shown]
	s_cmp_eq_u32 s52, 46
	s_mov_b64 s[50:51], 0
	s_cbranch_scc0 .LBB7_428
; %bb.408:
	global_load_dword v1, v[4:5], off
	s_mov_b32 s0, 0x2f800000
	s_mov_b32 s1, 0xcf800000
	s_mov_b64 s[48:49], 0
	s_waitcnt vmcnt(0)
	v_lshlrev_b32_e32 v1, 16, v1
	v_trunc_f32_e32 v1, v1
	v_mul_f32_e64 v2, |v1|, s0
	v_floor_f32_e32 v2, v2
	v_fma_f32 v2, v2, s1, |v1|
	v_cvt_u32_f32_e32 v2, v2
	v_ashrrev_i32_e32 v1, 31, v1
	s_mov_b64 s[0:1], -1
	v_xor_b32_e32 v2, v2, v1
	v_sub_u32_e32 v1, v2, v1
	s_branch .LBB7_429
.LBB7_409:
	s_mov_b64 s[0:1], 0
                                        ; implicit-def: $vgpr1
	s_mov_b64 s[48:49], s[44:45]
	s_cbranch_execnz .LBB7_491
.LBB7_410:
	s_andn2_b64 vcc, exec, s[0:1]
	s_cbranch_vccnz .LBB7_539
.LBB7_411:
	v_mov_b32_e32 v4, s13
	s_and_b32 s14, s73, 0xff
	s_waitcnt vmcnt(0)
	v_add_co_u32_e32 v2, vcc, s12, v3
	s_cmp_lt_i32 s14, 11
	v_addc_co_u32_e32 v3, vcc, 0, v4, vcc
	s_cbranch_scc1 .LBB7_419
; %bb.412:
	s_and_b32 s56, 0xffff, s14
	s_cmp_gt_i32 s56, 25
	s_cbranch_scc0 .LBB7_421
; %bb.413:
	s_cmp_gt_i32 s56, 28
	s_cbranch_scc0 .LBB7_423
; %bb.414:
	;; [unrolled: 3-line block ×4, first 2 shown]
	s_cmp_eq_u32 s56, 46
	s_mov_b64 s[52:53], 0
	s_cbranch_scc0 .LBB7_543
; %bb.417:
	global_load_dword v4, v[2:3], off
	s_mov_b32 s0, 0x2f800000
	s_mov_b32 s1, 0xcf800000
	s_mov_b64 s[50:51], 0
	s_waitcnt vmcnt(0)
	v_lshlrev_b32_e32 v4, 16, v4
	v_trunc_f32_e32 v4, v4
	v_mul_f32_e64 v5, |v4|, s0
	v_floor_f32_e32 v5, v5
	v_fma_f32 v5, v5, s1, |v4|
	v_cvt_u32_f32_e32 v5, v5
	v_ashrrev_i32_e32 v4, 31, v4
	s_mov_b64 s[0:1], -1
	v_xor_b32_e32 v5, v5, v4
	v_sub_u32_e32 v4, v5, v4
	s_branch .LBB7_544
.LBB7_418:
	s_mov_b64 s[50:51], -1
	s_mov_b64 s[0:1], 0
	s_mov_b64 s[48:49], s[44:45]
                                        ; implicit-def: $vgpr1
	s_branch .LBB7_457
.LBB7_419:
	s_mov_b64 s[52:53], -1
	s_mov_b64 s[0:1], 0
                                        ; implicit-def: $vgpr4
	s_mov_b64 s[50:51], s[42:43]
	s_branch .LBB7_605
.LBB7_420:
	s_mov_b64 s[50:51], -1
	s_mov_b64 s[0:1], 0
	s_mov_b64 s[48:49], s[44:45]
                                        ; implicit-def: $vgpr1
	s_branch .LBB7_440
.LBB7_421:
	s_mov_b64 s[52:53], -1
	s_mov_b64 s[0:1], 0
	s_mov_b64 s[50:51], s[42:43]
                                        ; implicit-def: $vgpr4
	s_branch .LBB7_571
.LBB7_422:
	s_mov_b64 s[50:51], -1
	s_mov_b64 s[0:1], 0
	s_mov_b64 s[48:49], s[44:45]
                                        ; implicit-def: $vgpr1
	s_branch .LBB7_435
.LBB7_423:
	s_mov_b64 s[52:53], -1
	s_mov_b64 s[0:1], 0
	s_mov_b64 s[50:51], s[42:43]
                                        ; implicit-def: $vgpr4
	s_branch .LBB7_554
.LBB7_424:
	s_mov_b64 s[50:51], -1
	s_mov_b64 s[0:1], 0
	s_mov_b64 s[48:49], s[44:45]
                                        ; implicit-def: $vgpr1
	s_branch .LBB7_429
.LBB7_425:
	s_mov_b64 s[52:53], -1
	s_mov_b64 s[0:1], 0
	s_mov_b64 s[50:51], s[42:43]
                                        ; implicit-def: $vgpr4
	s_branch .LBB7_549
.LBB7_426:
	s_andn2_saveexec_b64 s[54:55], s[54:55]
	s_cbranch_execz .LBB7_187
.LBB7_427:
	v_add_f32_e32 v2, 0x46000000, v3
	v_and_b32_e32 v2, 0xff, v2
	v_cmp_ne_u32_e32 vcc, 0, v2
	s_andn2_b64 s[52:53], s[52:53], exec
	s_and_b64 s[58:59], vcc, exec
	s_or_b64 s[52:53], s[52:53], s[58:59]
	s_or_b64 exec, exec, s[54:55]
	v_mov_b32_e32 v4, 0
	s_and_saveexec_b64 s[54:55], s[52:53]
	s_cbranch_execnz .LBB7_188
	s_branch .LBB7_189
.LBB7_428:
	s_mov_b64 s[48:49], -1
                                        ; implicit-def: $vgpr1
	s_mov_b64 s[0:1], 0
.LBB7_429:
	s_and_b64 vcc, exec, s[50:51]
	s_cbranch_vccz .LBB7_434
; %bb.430:
	s_cmp_eq_u32 s52, 44
	s_cbranch_scc0 .LBB7_433
; %bb.431:
	global_load_ubyte v1, v[4:5], off
	s_mov_b32 s0, 0x2f800000
	s_mov_b32 s1, 0xcf800000
	s_mov_b64 s[48:49], 0
	s_waitcnt vmcnt(0)
	v_lshlrev_b32_e32 v2, 23, v1
	v_trunc_f32_e32 v2, v2
	v_mul_f32_e64 v6, |v2|, s0
	v_floor_f32_e32 v6, v6
	v_fma_f32 v6, v6, s1, |v2|
	v_cvt_u32_f32_e32 v6, v6
	v_ashrrev_i32_e32 v2, 31, v2
	v_cmp_ne_u32_e32 vcc, 0, v1
	s_mov_b64 s[0:1], -1
	v_xor_b32_e32 v6, v6, v2
	v_sub_u32_e32 v2, v6, v2
	v_cndmask_b32_e32 v1, 0, v2, vcc
	s_branch .LBB7_434
.LBB7_432:
	s_mov_b64 s[52:53], -1
	s_mov_b64 s[0:1], 0
	s_mov_b64 s[50:51], s[42:43]
                                        ; implicit-def: $vgpr4
	s_branch .LBB7_544
.LBB7_433:
	s_mov_b64 s[48:49], -1
                                        ; implicit-def: $vgpr1
.LBB7_434:
	s_mov_b64 s[50:51], 0
.LBB7_435:
	s_and_b64 vcc, exec, s[50:51]
	s_cbranch_vccz .LBB7_439
; %bb.436:
	s_cmp_eq_u32 s52, 29
	s_cbranch_scc0 .LBB7_438
; %bb.437:
	global_load_dwordx2 v[1:2], v[4:5], off
	s_mov_b64 s[0:1], -1
	s_mov_b64 s[48:49], 0
	s_branch .LBB7_439
.LBB7_438:
	s_mov_b64 s[48:49], -1
                                        ; implicit-def: $vgpr1
.LBB7_439:
	s_mov_b64 s[50:51], 0
.LBB7_440:
	s_and_b64 vcc, exec, s[50:51]
	s_cbranch_vccz .LBB7_456
; %bb.441:
	s_cmp_lt_i32 s52, 27
	s_cbranch_scc1 .LBB7_444
; %bb.442:
	s_cmp_gt_i32 s52, 27
	s_cbranch_scc0 .LBB7_445
; %bb.443:
	global_load_dword v1, v[4:5], off
	s_mov_b64 s[0:1], 0
	s_branch .LBB7_446
.LBB7_444:
	s_mov_b64 s[0:1], -1
                                        ; implicit-def: $vgpr1
	s_branch .LBB7_449
.LBB7_445:
	s_mov_b64 s[0:1], -1
                                        ; implicit-def: $vgpr1
.LBB7_446:
	s_andn2_b64 vcc, exec, s[0:1]
	s_cbranch_vccnz .LBB7_448
; %bb.447:
	global_load_ushort v1, v[4:5], off
.LBB7_448:
	s_mov_b64 s[0:1], 0
.LBB7_449:
	s_andn2_b64 vcc, exec, s[0:1]
	s_cbranch_vccnz .LBB7_455
; %bb.450:
	global_load_ubyte v2, v[4:5], off
	s_movk_i32 s0, 0x7f
	s_mov_b64 s[50:51], 0
	s_waitcnt vmcnt(0)
	v_cmp_lt_i16_e32 vcc, s0, v2
	s_and_saveexec_b64 s[0:1], vcc
	s_xor_b64 s[0:1], exec, s[0:1]
	s_cbranch_execz .LBB7_467
; %bb.451:
	s_movk_i32 s50, 0x80
	v_cmp_ne_u16_e32 vcc, s50, v2
	s_and_b64 s[50:51], vcc, exec
	s_andn2_saveexec_b64 s[0:1], s[0:1]
	s_cbranch_execnz .LBB7_468
.LBB7_452:
	s_or_b64 exec, exec, s[0:1]
	v_mov_b32_e32 v1, 0
	s_and_saveexec_b64 s[0:1], s[50:51]
	s_cbranch_execz .LBB7_454
.LBB7_453:
	v_lshlrev_b32_e32 v1, 24, v2
	v_and_b32_e32 v2, 0xffff, v2
	v_and_b32_e32 v6, 7, v2
	v_ffbh_u32_e32 v8, v6
	v_min_u32_e32 v8, 32, v8
	v_subrev_u32_e32 v9, 28, v8
	v_bfe_u32 v7, v2, 3, 4
	v_lshlrev_b32_e32 v2, v9, v2
	v_sub_u32_e32 v8, 29, v8
	v_and_b32_e32 v2, 7, v2
	v_cmp_eq_u32_e32 vcc, 0, v7
	v_cndmask_b32_e32 v7, v7, v8, vcc
	v_cndmask_b32_e32 v2, v6, v2, vcc
	v_mov_b32_e32 v6, 0x3b800000
	v_lshlrev_b32_e32 v2, 20, v2
	v_and_b32_e32 v1, 0x80000000, v1
	v_lshl_add_u32 v6, v7, 23, v6
	v_or3_b32 v1, v1, v6, v2
	v_trunc_f32_e32 v1, v1
	s_mov_b32 s50, 0x2f800000
	v_mul_f32_e64 v2, |v1|, s50
	v_floor_f32_e32 v2, v2
	s_mov_b32 s50, 0xcf800000
	v_fma_f32 v2, v2, s50, |v1|
	v_cvt_u32_f32_e32 v2, v2
	v_ashrrev_i32_e32 v1, 31, v1
	v_xor_b32_e32 v2, v2, v1
	v_sub_u32_e32 v1, v2, v1
.LBB7_454:
	s_or_b64 exec, exec, s[0:1]
.LBB7_455:
	s_mov_b64 s[0:1], -1
.LBB7_456:
	s_mov_b64 s[50:51], 0
.LBB7_457:
	s_and_b64 vcc, exec, s[50:51]
	s_cbranch_vccz .LBB7_490
; %bb.458:
	s_cmp_gt_i32 s52, 22
	s_cbranch_scc0 .LBB7_466
; %bb.459:
	s_cmp_lt_i32 s52, 24
	s_cbranch_scc1 .LBB7_469
; %bb.460:
	s_cmp_gt_i32 s52, 24
	s_cbranch_scc0 .LBB7_470
; %bb.461:
	global_load_ubyte v2, v[4:5], off
	s_movk_i32 s0, 0x7f
	s_mov_b64 s[50:51], 0
	s_waitcnt vmcnt(0)
	v_cmp_lt_i16_e32 vcc, s0, v2
	s_and_saveexec_b64 s[0:1], vcc
	s_xor_b64 s[0:1], exec, s[0:1]
	s_cbranch_execz .LBB7_482
; %bb.462:
	s_movk_i32 s50, 0x80
	v_cmp_ne_u16_e32 vcc, s50, v2
	s_and_b64 s[50:51], vcc, exec
	s_andn2_saveexec_b64 s[0:1], s[0:1]
	s_cbranch_execnz .LBB7_483
.LBB7_463:
	s_or_b64 exec, exec, s[0:1]
	v_mov_b32_e32 v1, 0
	s_and_saveexec_b64 s[0:1], s[50:51]
	s_cbranch_execz .LBB7_465
.LBB7_464:
	v_lshlrev_b32_e32 v1, 24, v2
	v_and_b32_e32 v2, 0xffff, v2
	v_and_b32_e32 v6, 3, v2
	v_ffbh_u32_e32 v8, v6
	v_min_u32_e32 v8, 32, v8
	v_subrev_u32_e32 v9, 29, v8
	v_bfe_u32 v7, v2, 2, 5
	v_lshlrev_b32_e32 v2, v9, v2
	v_sub_u32_e32 v8, 30, v8
	v_and_b32_e32 v2, 3, v2
	v_cmp_eq_u32_e32 vcc, 0, v7
	v_cndmask_b32_e32 v7, v7, v8, vcc
	v_cndmask_b32_e32 v2, v6, v2, vcc
	v_mov_b32_e32 v6, 0x37800000
	v_lshlrev_b32_e32 v2, 21, v2
	v_and_b32_e32 v1, 0x80000000, v1
	v_lshl_add_u32 v6, v7, 23, v6
	v_or3_b32 v1, v1, v6, v2
	v_trunc_f32_e32 v1, v1
	s_mov_b32 s50, 0x2f800000
	v_mul_f32_e64 v2, |v1|, s50
	v_floor_f32_e32 v2, v2
	s_mov_b32 s50, 0xcf800000
	v_fma_f32 v2, v2, s50, |v1|
	v_cvt_u32_f32_e32 v2, v2
	v_ashrrev_i32_e32 v1, 31, v1
	v_xor_b32_e32 v2, v2, v1
	v_sub_u32_e32 v1, v2, v1
.LBB7_465:
	s_or_b64 exec, exec, s[0:1]
	s_mov_b64 s[0:1], 0
	s_branch .LBB7_471
.LBB7_466:
	s_mov_b64 s[50:51], -1
                                        ; implicit-def: $vgpr1
	s_branch .LBB7_477
.LBB7_467:
	s_andn2_saveexec_b64 s[0:1], s[0:1]
	s_cbranch_execz .LBB7_452
.LBB7_468:
	v_cmp_ne_u16_e32 vcc, 0, v2
	s_andn2_b64 s[50:51], s[50:51], exec
	s_and_b64 s[56:57], vcc, exec
	s_or_b64 s[50:51], s[50:51], s[56:57]
	s_or_b64 exec, exec, s[0:1]
	v_mov_b32_e32 v1, 0
	s_and_saveexec_b64 s[0:1], s[50:51]
	s_cbranch_execnz .LBB7_453
	s_branch .LBB7_454
.LBB7_469:
	s_mov_b64 s[0:1], -1
                                        ; implicit-def: $vgpr1
	s_branch .LBB7_474
.LBB7_470:
	s_mov_b64 s[0:1], -1
                                        ; implicit-def: $vgpr1
.LBB7_471:
	s_and_b64 vcc, exec, s[0:1]
	s_cbranch_vccz .LBB7_473
; %bb.472:
	global_load_ubyte v1, v[4:5], off
	s_mov_b32 s0, 0x7f800000
	s_brev_b32 s1, 1
	s_mov_b32 s50, 0x2f800000
	s_waitcnt vmcnt(0)
	v_lshlrev_b32_e32 v1, 24, v1
	v_and_b32_e32 v2, 0x7f000000, v1
	v_ffbh_u32_e32 v6, v2
	v_min_u32_e32 v6, 32, v6
	v_sub_u32_e64 v6, v6, 4 clamp
	v_lshlrev_b32_e32 v8, v6, v2
	v_lshlrev_b32_e32 v6, 23, v6
	v_lshrrev_b32_e32 v8, 4, v8
	v_add_u32_e32 v7, 0x1000000, v2
	v_sub_u32_e32 v6, v8, v6
	v_ashrrev_i32_e32 v7, 8, v7
	v_add_u32_e32 v6, 0x3c000000, v6
	v_and_or_b32 v6, v7, s0, v6
	v_cmp_ne_u32_e32 vcc, 0, v2
	v_cndmask_b32_e32 v2, 0, v6, vcc
	v_and_or_b32 v1, v1, s1, v2
	v_trunc_f32_e32 v1, v1
	v_mul_f32_e64 v2, |v1|, s50
	v_floor_f32_e32 v2, v2
	s_mov_b32 s0, 0xcf800000
	v_fma_f32 v2, v2, s0, |v1|
	v_cvt_u32_f32_e32 v2, v2
	v_ashrrev_i32_e32 v1, 31, v1
	v_xor_b32_e32 v2, v2, v1
	v_sub_u32_e32 v1, v2, v1
.LBB7_473:
	s_mov_b64 s[0:1], 0
.LBB7_474:
	s_andn2_b64 vcc, exec, s[0:1]
	s_cbranch_vccnz .LBB7_476
; %bb.475:
	global_load_ubyte v1, v[4:5], off
	s_movk_i32 s0, 0x7f00
	s_brev_b32 s1, 16
	s_brev_b32 s50, 1
	s_mov_b32 s51, 0x2f800000
	s_waitcnt vmcnt(0)
	v_lshlrev_b16_e32 v2, 8, v1
	v_lshlrev_b32_e32 v1, 25, v1
	v_lshrrev_b32_e32 v6, 4, v1
	v_and_or_b32 v7, v2, s0, 0.5
	v_or_b32_e32 v6, 0x70000000, v6
	v_add_f32_e32 v7, -0.5, v7
	v_mul_f32_e32 v6, 0x7800000, v6
	v_cmp_gt_u32_e32 vcc, s1, v1
	v_bfe_i32 v2, v2, 0, 16
	v_cndmask_b32_e32 v1, v6, v7, vcc
	v_and_or_b32 v1, v2, s50, v1
	v_trunc_f32_e32 v1, v1
	v_mul_f32_e64 v2, |v1|, s51
	v_floor_f32_e32 v2, v2
	s_mov_b32 s0, 0xcf800000
	v_fma_f32 v2, v2, s0, |v1|
	v_cvt_u32_f32_e32 v2, v2
	v_ashrrev_i32_e32 v1, 31, v1
	v_xor_b32_e32 v2, v2, v1
	v_sub_u32_e32 v1, v2, v1
.LBB7_476:
	s_mov_b64 s[50:51], 0
	s_mov_b64 s[0:1], -1
.LBB7_477:
	s_andn2_b64 vcc, exec, s[50:51]
	s_cbranch_vccnz .LBB7_490
; %bb.478:
	s_cmp_gt_i32 s52, 14
	s_cbranch_scc0 .LBB7_481
; %bb.479:
	s_cmp_eq_u32 s52, 15
	s_cbranch_scc0 .LBB7_484
; %bb.480:
	global_load_ushort v1, v[4:5], off
	s_mov_b32 s0, 0x2f800000
	s_mov_b32 s1, 0xcf800000
	s_mov_b64 s[48:49], 0
	s_waitcnt vmcnt(0)
	v_lshlrev_b32_e32 v1, 16, v1
	v_trunc_f32_e32 v1, v1
	v_mul_f32_e64 v2, |v1|, s0
	v_floor_f32_e32 v2, v2
	v_fma_f32 v2, v2, s1, |v1|
	v_cvt_u32_f32_e32 v2, v2
	v_ashrrev_i32_e32 v1, 31, v1
	s_mov_b64 s[0:1], -1
	v_xor_b32_e32 v2, v2, v1
	v_sub_u32_e32 v1, v2, v1
	s_branch .LBB7_485
.LBB7_481:
	s_mov_b64 s[50:51], -1
                                        ; implicit-def: $vgpr1
	s_branch .LBB7_486
.LBB7_482:
	s_andn2_saveexec_b64 s[0:1], s[0:1]
	s_cbranch_execz .LBB7_463
.LBB7_483:
	v_cmp_ne_u16_e32 vcc, 0, v2
	s_andn2_b64 s[50:51], s[50:51], exec
	s_and_b64 s[56:57], vcc, exec
	s_or_b64 s[50:51], s[50:51], s[56:57]
	s_or_b64 exec, exec, s[0:1]
	v_mov_b32_e32 v1, 0
	s_and_saveexec_b64 s[0:1], s[50:51]
	s_cbranch_execnz .LBB7_464
	s_branch .LBB7_465
.LBB7_484:
	s_mov_b64 s[48:49], -1
                                        ; implicit-def: $vgpr1
.LBB7_485:
	s_mov_b64 s[50:51], 0
.LBB7_486:
	s_and_b64 vcc, exec, s[50:51]
	s_cbranch_vccz .LBB7_490
; %bb.487:
	s_cmp_eq_u32 s52, 11
	s_cbranch_scc0 .LBB7_489
; %bb.488:
	global_load_ubyte v1, v[4:5], off
	s_mov_b64 s[0:1], -1
	s_mov_b64 s[48:49], 0
	s_waitcnt vmcnt(0)
	v_cmp_ne_u16_e32 vcc, 0, v1
	v_cndmask_b32_e64 v1, 0, 1, vcc
	s_branch .LBB7_490
.LBB7_489:
	s_mov_b64 s[48:49], -1
                                        ; implicit-def: $vgpr1
.LBB7_490:
	s_branch .LBB7_410
.LBB7_491:
	s_and_b32 s14, 0xffff, s14
	s_cmp_lt_i32 s14, 5
	s_cbranch_scc1 .LBB7_496
; %bb.492:
	s_cmp_lt_i32 s14, 8
	s_cbranch_scc1 .LBB7_497
; %bb.493:
	;; [unrolled: 3-line block ×3, first 2 shown]
	s_cmp_gt_i32 s14, 9
	s_cbranch_scc0 .LBB7_499
; %bb.495:
	global_load_dwordx2 v[1:2], v[4:5], off
	s_movk_i32 s0, 0xffe0
	s_waitcnt vmcnt(0)
	v_trunc_f64_e32 v[1:2], v[1:2]
	v_ldexp_f64 v[6:7], v[1:2], s0
	s_mov_b32 s0, 0
	s_mov_b32 s1, 0xc1f00000
	v_floor_f64_e32 v[6:7], v[6:7]
	v_fma_f64 v[1:2], v[6:7], s[0:1], v[1:2]
	s_mov_b64 s[0:1], 0
	v_cvt_u32_f64_e32 v1, v[1:2]
	s_branch .LBB7_500
.LBB7_496:
	s_mov_b64 s[0:1], -1
                                        ; implicit-def: $vgpr1
	s_branch .LBB7_518
.LBB7_497:
	s_mov_b64 s[0:1], -1
                                        ; implicit-def: $vgpr1
	s_branch .LBB7_506
.LBB7_498:
	s_mov_b64 s[0:1], -1
                                        ; implicit-def: $vgpr1
	s_branch .LBB7_503
.LBB7_499:
	s_mov_b64 s[0:1], -1
                                        ; implicit-def: $vgpr1
.LBB7_500:
	s_andn2_b64 vcc, exec, s[0:1]
	s_cbranch_vccnz .LBB7_502
; %bb.501:
	global_load_dword v1, v[4:5], off
	s_mov_b32 s0, 0x2f800000
	s_waitcnt vmcnt(0)
	v_trunc_f32_e32 v1, v1
	v_mul_f32_e64 v2, |v1|, s0
	v_floor_f32_e32 v2, v2
	s_mov_b32 s0, 0xcf800000
	v_fma_f32 v2, v2, s0, |v1|
	v_cvt_u32_f32_e32 v2, v2
	v_ashrrev_i32_e32 v1, 31, v1
	v_xor_b32_e32 v2, v2, v1
	v_sub_u32_e32 v1, v2, v1
.LBB7_502:
	s_mov_b64 s[0:1], 0
.LBB7_503:
	s_andn2_b64 vcc, exec, s[0:1]
	s_cbranch_vccnz .LBB7_505
; %bb.504:
	global_load_dword v1, v[4:5], off
	s_waitcnt vmcnt(0)
	v_cvt_f32_f16_e32 v1, v1
	v_cvt_i32_f32_e32 v1, v1
.LBB7_505:
	s_mov_b64 s[0:1], 0
.LBB7_506:
	s_andn2_b64 vcc, exec, s[0:1]
	s_cbranch_vccnz .LBB7_517
; %bb.507:
	s_cmp_lt_i32 s14, 6
	s_cbranch_scc1 .LBB7_510
; %bb.508:
	s_cmp_gt_i32 s14, 6
	s_cbranch_scc0 .LBB7_511
; %bb.509:
	global_load_dwordx2 v[1:2], v[4:5], off
	s_movk_i32 s0, 0xffe0
	s_waitcnt vmcnt(0)
	v_trunc_f64_e32 v[1:2], v[1:2]
	v_ldexp_f64 v[6:7], v[1:2], s0
	s_mov_b32 s0, 0
	s_mov_b32 s1, 0xc1f00000
	v_floor_f64_e32 v[6:7], v[6:7]
	v_fma_f64 v[1:2], v[6:7], s[0:1], v[1:2]
	s_mov_b64 s[0:1], 0
	v_cvt_u32_f64_e32 v1, v[1:2]
	s_branch .LBB7_512
.LBB7_510:
	s_mov_b64 s[0:1], -1
                                        ; implicit-def: $vgpr1
	s_branch .LBB7_515
.LBB7_511:
	s_mov_b64 s[0:1], -1
                                        ; implicit-def: $vgpr1
.LBB7_512:
	s_andn2_b64 vcc, exec, s[0:1]
	s_cbranch_vccnz .LBB7_514
; %bb.513:
	global_load_dword v1, v[4:5], off
	s_mov_b32 s0, 0x2f800000
	s_waitcnt vmcnt(0)
	v_trunc_f32_e32 v1, v1
	v_mul_f32_e64 v2, |v1|, s0
	v_floor_f32_e32 v2, v2
	s_mov_b32 s0, 0xcf800000
	v_fma_f32 v2, v2, s0, |v1|
	v_cvt_u32_f32_e32 v2, v2
	v_ashrrev_i32_e32 v1, 31, v1
	v_xor_b32_e32 v2, v2, v1
	v_sub_u32_e32 v1, v2, v1
.LBB7_514:
	s_mov_b64 s[0:1], 0
.LBB7_515:
	s_andn2_b64 vcc, exec, s[0:1]
	s_cbranch_vccnz .LBB7_517
; %bb.516:
	global_load_ushort v1, v[4:5], off
	s_waitcnt vmcnt(0)
	v_cvt_f32_f16_e32 v1, v1
	v_cvt_i32_f32_e32 v1, v1
.LBB7_517:
	s_mov_b64 s[0:1], 0
.LBB7_518:
	s_andn2_b64 vcc, exec, s[0:1]
	s_cbranch_vccnz .LBB7_538
; %bb.519:
	s_cmp_lt_i32 s14, 2
	s_cbranch_scc1 .LBB7_523
; %bb.520:
	s_cmp_lt_i32 s14, 3
	s_cbranch_scc1 .LBB7_524
; %bb.521:
	s_cmp_gt_i32 s14, 3
	s_cbranch_scc0 .LBB7_525
; %bb.522:
	global_load_dwordx2 v[1:2], v[4:5], off
	s_mov_b64 s[0:1], 0
	s_branch .LBB7_526
.LBB7_523:
	s_mov_b64 s[0:1], -1
                                        ; implicit-def: $vgpr1
	s_branch .LBB7_532
.LBB7_524:
	s_mov_b64 s[0:1], -1
                                        ; implicit-def: $vgpr1
	s_branch .LBB7_529
.LBB7_525:
	s_mov_b64 s[0:1], -1
                                        ; implicit-def: $vgpr1
.LBB7_526:
	s_andn2_b64 vcc, exec, s[0:1]
	s_cbranch_vccnz .LBB7_528
; %bb.527:
	global_load_dword v1, v[4:5], off
.LBB7_528:
	s_mov_b64 s[0:1], 0
.LBB7_529:
	s_andn2_b64 vcc, exec, s[0:1]
	s_cbranch_vccnz .LBB7_531
; %bb.530:
	global_load_ushort v1, v[4:5], off
.LBB7_531:
	s_mov_b64 s[0:1], 0
.LBB7_532:
	s_andn2_b64 vcc, exec, s[0:1]
	s_cbranch_vccnz .LBB7_538
; %bb.533:
	s_cmp_gt_i32 s14, 0
	s_cbranch_scc0 .LBB7_535
; %bb.534:
	global_load_ubyte v1, v[4:5], off
	s_mov_b64 s[0:1], 0
	s_branch .LBB7_536
.LBB7_535:
	s_mov_b64 s[0:1], -1
                                        ; implicit-def: $vgpr1
.LBB7_536:
	s_andn2_b64 vcc, exec, s[0:1]
	s_cbranch_vccnz .LBB7_538
; %bb.537:
	global_load_ubyte v1, v[4:5], off
.LBB7_538:
	s_branch .LBB7_411
.LBB7_539:
	s_mov_b64 s[56:57], 0
	s_mov_b64 s[0:1], s[40:41]
	;; [unrolled: 1-line block ×3, first 2 shown]
.LBB7_540:
                                        ; implicit-def: $vgpr10
	s_branch .LBB7_778
.LBB7_541:
	s_andn2_saveexec_b64 s[54:55], s[54:55]
	s_cbranch_execz .LBB7_200
.LBB7_542:
	v_add_f32_e32 v2, 0x42800000, v3
	v_and_b32_e32 v2, 0xff, v2
	v_cmp_ne_u32_e32 vcc, 0, v2
	s_andn2_b64 s[52:53], s[52:53], exec
	s_and_b64 s[58:59], vcc, exec
	s_or_b64 s[52:53], s[52:53], s[58:59]
	s_or_b64 exec, exec, s[54:55]
	v_mov_b32_e32 v4, 0
	s_and_saveexec_b64 s[54:55], s[52:53]
	s_cbranch_execnz .LBB7_201
	s_branch .LBB7_202
.LBB7_543:
	s_mov_b64 s[50:51], -1
                                        ; implicit-def: $vgpr4
	s_mov_b64 s[0:1], 0
.LBB7_544:
	s_and_b64 vcc, exec, s[52:53]
	s_cbranch_vccz .LBB7_548
; %bb.545:
	s_cmp_eq_u32 s56, 44
	s_cbranch_scc0 .LBB7_547
; %bb.546:
	global_load_ubyte v4, v[2:3], off
	s_mov_b32 s0, 0x2f800000
	s_mov_b32 s1, 0xcf800000
	s_mov_b64 s[50:51], 0
	s_waitcnt vmcnt(0)
	v_lshlrev_b32_e32 v5, 23, v4
	v_trunc_f32_e32 v5, v5
	v_mul_f32_e64 v6, |v5|, s0
	v_floor_f32_e32 v6, v6
	v_fma_f32 v6, v6, s1, |v5|
	v_cvt_u32_f32_e32 v6, v6
	v_ashrrev_i32_e32 v5, 31, v5
	v_cmp_ne_u32_e32 vcc, 0, v4
	s_mov_b64 s[0:1], -1
	v_xor_b32_e32 v6, v6, v5
	v_sub_u32_e32 v5, v6, v5
	v_cndmask_b32_e32 v4, 0, v5, vcc
	s_branch .LBB7_548
.LBB7_547:
	s_mov_b64 s[50:51], -1
                                        ; implicit-def: $vgpr4
.LBB7_548:
	s_mov_b64 s[52:53], 0
.LBB7_549:
	s_and_b64 vcc, exec, s[52:53]
	s_cbranch_vccz .LBB7_553
; %bb.550:
	s_cmp_eq_u32 s56, 29
	s_cbranch_scc0 .LBB7_552
; %bb.551:
	global_load_dwordx2 v[4:5], v[2:3], off
	s_mov_b64 s[0:1], -1
	s_mov_b64 s[50:51], 0
	s_branch .LBB7_553
.LBB7_552:
	s_mov_b64 s[50:51], -1
                                        ; implicit-def: $vgpr4
.LBB7_553:
	s_mov_b64 s[52:53], 0
.LBB7_554:
	s_and_b64 vcc, exec, s[52:53]
	s_cbranch_vccz .LBB7_570
; %bb.555:
	s_cmp_lt_i32 s56, 27
	s_cbranch_scc1 .LBB7_558
; %bb.556:
	s_cmp_gt_i32 s56, 27
	s_cbranch_scc0 .LBB7_559
; %bb.557:
	global_load_dword v4, v[2:3], off
	s_mov_b64 s[0:1], 0
	s_branch .LBB7_560
.LBB7_558:
	s_mov_b64 s[0:1], -1
                                        ; implicit-def: $vgpr4
	s_branch .LBB7_563
.LBB7_559:
	s_mov_b64 s[0:1], -1
                                        ; implicit-def: $vgpr4
.LBB7_560:
	s_andn2_b64 vcc, exec, s[0:1]
	s_cbranch_vccnz .LBB7_562
; %bb.561:
	global_load_ushort v4, v[2:3], off
.LBB7_562:
	s_mov_b64 s[0:1], 0
.LBB7_563:
	s_andn2_b64 vcc, exec, s[0:1]
	s_cbranch_vccnz .LBB7_569
; %bb.564:
	global_load_ubyte v5, v[2:3], off
	s_movk_i32 s0, 0x7f
	s_mov_b64 s[52:53], 0
	s_waitcnt vmcnt(0)
	v_cmp_lt_i16_e32 vcc, s0, v5
	s_and_saveexec_b64 s[0:1], vcc
	s_xor_b64 s[0:1], exec, s[0:1]
	s_cbranch_execz .LBB7_581
; %bb.565:
	s_movk_i32 s52, 0x80
	v_cmp_ne_u16_e32 vcc, s52, v5
	s_and_b64 s[52:53], vcc, exec
	s_andn2_saveexec_b64 s[0:1], s[0:1]
	s_cbranch_execnz .LBB7_582
.LBB7_566:
	s_or_b64 exec, exec, s[0:1]
	v_mov_b32_e32 v4, 0
	s_and_saveexec_b64 s[0:1], s[52:53]
	s_cbranch_execz .LBB7_568
.LBB7_567:
	v_lshlrev_b32_e32 v4, 24, v5
	v_and_b32_e32 v5, 0xffff, v5
	v_and_b32_e32 v6, 7, v5
	v_ffbh_u32_e32 v8, v6
	v_min_u32_e32 v8, 32, v8
	v_subrev_u32_e32 v9, 28, v8
	v_bfe_u32 v7, v5, 3, 4
	v_lshlrev_b32_e32 v5, v9, v5
	v_sub_u32_e32 v8, 29, v8
	v_and_b32_e32 v5, 7, v5
	v_cmp_eq_u32_e32 vcc, 0, v7
	v_cndmask_b32_e32 v7, v7, v8, vcc
	v_cndmask_b32_e32 v5, v6, v5, vcc
	v_mov_b32_e32 v6, 0x3b800000
	v_lshlrev_b32_e32 v5, 20, v5
	v_and_b32_e32 v4, 0x80000000, v4
	v_lshl_add_u32 v6, v7, 23, v6
	v_or3_b32 v4, v4, v6, v5
	v_trunc_f32_e32 v4, v4
	s_mov_b32 s52, 0x2f800000
	v_mul_f32_e64 v5, |v4|, s52
	v_floor_f32_e32 v5, v5
	s_mov_b32 s52, 0xcf800000
	v_fma_f32 v5, v5, s52, |v4|
	v_cvt_u32_f32_e32 v5, v5
	v_ashrrev_i32_e32 v4, 31, v4
	v_xor_b32_e32 v5, v5, v4
	v_sub_u32_e32 v4, v5, v4
.LBB7_568:
	s_or_b64 exec, exec, s[0:1]
.LBB7_569:
	s_mov_b64 s[0:1], -1
.LBB7_570:
	s_mov_b64 s[52:53], 0
.LBB7_571:
	s_and_b64 vcc, exec, s[52:53]
	s_cbranch_vccz .LBB7_604
; %bb.572:
	s_cmp_gt_i32 s56, 22
	s_cbranch_scc0 .LBB7_580
; %bb.573:
	s_cmp_lt_i32 s56, 24
	s_cbranch_scc1 .LBB7_583
; %bb.574:
	s_cmp_gt_i32 s56, 24
	s_cbranch_scc0 .LBB7_584
; %bb.575:
	global_load_ubyte v5, v[2:3], off
	s_movk_i32 s0, 0x7f
	s_mov_b64 s[52:53], 0
	s_waitcnt vmcnt(0)
	v_cmp_lt_i16_e32 vcc, s0, v5
	s_and_saveexec_b64 s[0:1], vcc
	s_xor_b64 s[0:1], exec, s[0:1]
	s_cbranch_execz .LBB7_596
; %bb.576:
	s_movk_i32 s52, 0x80
	v_cmp_ne_u16_e32 vcc, s52, v5
	s_and_b64 s[52:53], vcc, exec
	s_andn2_saveexec_b64 s[0:1], s[0:1]
	s_cbranch_execnz .LBB7_597
.LBB7_577:
	s_or_b64 exec, exec, s[0:1]
	v_mov_b32_e32 v4, 0
	s_and_saveexec_b64 s[0:1], s[52:53]
	s_cbranch_execz .LBB7_579
.LBB7_578:
	v_lshlrev_b32_e32 v4, 24, v5
	v_and_b32_e32 v5, 0xffff, v5
	v_and_b32_e32 v6, 3, v5
	v_ffbh_u32_e32 v8, v6
	v_min_u32_e32 v8, 32, v8
	v_subrev_u32_e32 v9, 29, v8
	v_bfe_u32 v7, v5, 2, 5
	v_lshlrev_b32_e32 v5, v9, v5
	v_sub_u32_e32 v8, 30, v8
	v_and_b32_e32 v5, 3, v5
	v_cmp_eq_u32_e32 vcc, 0, v7
	v_cndmask_b32_e32 v7, v7, v8, vcc
	v_cndmask_b32_e32 v5, v6, v5, vcc
	v_mov_b32_e32 v6, 0x37800000
	v_lshlrev_b32_e32 v5, 21, v5
	v_and_b32_e32 v4, 0x80000000, v4
	v_lshl_add_u32 v6, v7, 23, v6
	v_or3_b32 v4, v4, v6, v5
	v_trunc_f32_e32 v4, v4
	s_mov_b32 s52, 0x2f800000
	v_mul_f32_e64 v5, |v4|, s52
	v_floor_f32_e32 v5, v5
	s_mov_b32 s52, 0xcf800000
	v_fma_f32 v5, v5, s52, |v4|
	v_cvt_u32_f32_e32 v5, v5
	v_ashrrev_i32_e32 v4, 31, v4
	v_xor_b32_e32 v5, v5, v4
	v_sub_u32_e32 v4, v5, v4
.LBB7_579:
	s_or_b64 exec, exec, s[0:1]
	s_mov_b64 s[0:1], 0
	s_branch .LBB7_585
.LBB7_580:
	s_mov_b64 s[52:53], -1
                                        ; implicit-def: $vgpr4
	s_branch .LBB7_591
.LBB7_581:
	s_andn2_saveexec_b64 s[0:1], s[0:1]
	s_cbranch_execz .LBB7_566
.LBB7_582:
	v_cmp_ne_u16_e32 vcc, 0, v5
	s_andn2_b64 s[52:53], s[52:53], exec
	s_and_b64 s[58:59], vcc, exec
	s_or_b64 s[52:53], s[52:53], s[58:59]
	s_or_b64 exec, exec, s[0:1]
	v_mov_b32_e32 v4, 0
	s_and_saveexec_b64 s[0:1], s[52:53]
	s_cbranch_execnz .LBB7_567
	s_branch .LBB7_568
.LBB7_583:
	s_mov_b64 s[0:1], -1
                                        ; implicit-def: $vgpr4
	s_branch .LBB7_588
.LBB7_584:
	s_mov_b64 s[0:1], -1
                                        ; implicit-def: $vgpr4
.LBB7_585:
	s_and_b64 vcc, exec, s[0:1]
	s_cbranch_vccz .LBB7_587
; %bb.586:
	global_load_ubyte v4, v[2:3], off
	s_mov_b32 s0, 0x7f800000
	s_brev_b32 s1, 1
	s_mov_b32 s52, 0x2f800000
	s_waitcnt vmcnt(0)
	v_lshlrev_b32_e32 v4, 24, v4
	v_and_b32_e32 v5, 0x7f000000, v4
	v_ffbh_u32_e32 v6, v5
	v_min_u32_e32 v6, 32, v6
	v_sub_u32_e64 v6, v6, 4 clamp
	v_lshlrev_b32_e32 v8, v6, v5
	v_lshlrev_b32_e32 v6, 23, v6
	v_lshrrev_b32_e32 v8, 4, v8
	v_add_u32_e32 v7, 0x1000000, v5
	v_sub_u32_e32 v6, v8, v6
	v_ashrrev_i32_e32 v7, 8, v7
	v_add_u32_e32 v6, 0x3c000000, v6
	v_and_or_b32 v6, v7, s0, v6
	v_cmp_ne_u32_e32 vcc, 0, v5
	v_cndmask_b32_e32 v5, 0, v6, vcc
	v_and_or_b32 v4, v4, s1, v5
	v_trunc_f32_e32 v4, v4
	v_mul_f32_e64 v5, |v4|, s52
	v_floor_f32_e32 v5, v5
	s_mov_b32 s0, 0xcf800000
	v_fma_f32 v5, v5, s0, |v4|
	v_cvt_u32_f32_e32 v5, v5
	v_ashrrev_i32_e32 v4, 31, v4
	v_xor_b32_e32 v5, v5, v4
	v_sub_u32_e32 v4, v5, v4
.LBB7_587:
	s_mov_b64 s[0:1], 0
.LBB7_588:
	s_andn2_b64 vcc, exec, s[0:1]
	s_cbranch_vccnz .LBB7_590
; %bb.589:
	global_load_ubyte v4, v[2:3], off
	s_movk_i32 s0, 0x7f00
	s_brev_b32 s1, 16
	s_brev_b32 s52, 1
	s_mov_b32 s53, 0x2f800000
	s_waitcnt vmcnt(0)
	v_lshlrev_b16_e32 v5, 8, v4
	v_lshlrev_b32_e32 v4, 25, v4
	v_lshrrev_b32_e32 v6, 4, v4
	v_and_or_b32 v7, v5, s0, 0.5
	v_or_b32_e32 v6, 0x70000000, v6
	v_add_f32_e32 v7, -0.5, v7
	v_mul_f32_e32 v6, 0x7800000, v6
	v_cmp_gt_u32_e32 vcc, s1, v4
	v_bfe_i32 v5, v5, 0, 16
	v_cndmask_b32_e32 v4, v6, v7, vcc
	v_and_or_b32 v4, v5, s52, v4
	v_trunc_f32_e32 v4, v4
	v_mul_f32_e64 v5, |v4|, s53
	v_floor_f32_e32 v5, v5
	s_mov_b32 s0, 0xcf800000
	v_fma_f32 v5, v5, s0, |v4|
	v_cvt_u32_f32_e32 v5, v5
	v_ashrrev_i32_e32 v4, 31, v4
	v_xor_b32_e32 v5, v5, v4
	v_sub_u32_e32 v4, v5, v4
.LBB7_590:
	s_mov_b64 s[52:53], 0
	s_mov_b64 s[0:1], -1
.LBB7_591:
	s_andn2_b64 vcc, exec, s[52:53]
	s_cbranch_vccnz .LBB7_604
; %bb.592:
	s_cmp_gt_i32 s56, 14
	s_cbranch_scc0 .LBB7_595
; %bb.593:
	s_cmp_eq_u32 s56, 15
	s_cbranch_scc0 .LBB7_598
; %bb.594:
	global_load_ushort v4, v[2:3], off
	s_mov_b32 s0, 0x2f800000
	s_mov_b32 s1, 0xcf800000
	s_mov_b64 s[50:51], 0
	s_waitcnt vmcnt(0)
	v_lshlrev_b32_e32 v4, 16, v4
	v_trunc_f32_e32 v4, v4
	v_mul_f32_e64 v5, |v4|, s0
	v_floor_f32_e32 v5, v5
	v_fma_f32 v5, v5, s1, |v4|
	v_cvt_u32_f32_e32 v5, v5
	v_ashrrev_i32_e32 v4, 31, v4
	s_mov_b64 s[0:1], -1
	v_xor_b32_e32 v5, v5, v4
	v_sub_u32_e32 v4, v5, v4
	s_branch .LBB7_599
.LBB7_595:
	s_mov_b64 s[52:53], -1
                                        ; implicit-def: $vgpr4
	s_branch .LBB7_600
.LBB7_596:
	s_andn2_saveexec_b64 s[0:1], s[0:1]
	s_cbranch_execz .LBB7_577
.LBB7_597:
	v_cmp_ne_u16_e32 vcc, 0, v5
	s_andn2_b64 s[52:53], s[52:53], exec
	s_and_b64 s[58:59], vcc, exec
	s_or_b64 s[52:53], s[52:53], s[58:59]
	s_or_b64 exec, exec, s[0:1]
	v_mov_b32_e32 v4, 0
	s_and_saveexec_b64 s[0:1], s[52:53]
	s_cbranch_execnz .LBB7_578
	s_branch .LBB7_579
.LBB7_598:
	s_mov_b64 s[50:51], -1
                                        ; implicit-def: $vgpr4
.LBB7_599:
	s_mov_b64 s[52:53], 0
.LBB7_600:
	s_and_b64 vcc, exec, s[52:53]
	s_cbranch_vccz .LBB7_604
; %bb.601:
	s_cmp_eq_u32 s56, 11
	s_cbranch_scc0 .LBB7_603
; %bb.602:
	global_load_ubyte v4, v[2:3], off
	s_mov_b64 s[0:1], -1
	s_mov_b64 s[50:51], 0
	s_waitcnt vmcnt(0)
	v_cmp_ne_u16_e32 vcc, 0, v4
	v_cndmask_b32_e64 v4, 0, 1, vcc
	s_branch .LBB7_604
.LBB7_603:
	s_mov_b64 s[50:51], -1
                                        ; implicit-def: $vgpr4
.LBB7_604:
	s_mov_b64 s[52:53], 0
.LBB7_605:
	s_and_b64 vcc, exec, s[52:53]
	s_cbranch_vccz .LBB7_654
; %bb.606:
	s_and_b32 s14, 0xffff, s14
	s_cmp_lt_i32 s14, 5
	s_cbranch_scc1 .LBB7_611
; %bb.607:
	s_cmp_lt_i32 s14, 8
	s_cbranch_scc1 .LBB7_612
; %bb.608:
	;; [unrolled: 3-line block ×3, first 2 shown]
	s_cmp_gt_i32 s14, 9
	s_cbranch_scc0 .LBB7_614
; %bb.610:
	global_load_dwordx2 v[4:5], v[2:3], off
	s_movk_i32 s0, 0xffe0
	s_waitcnt vmcnt(0)
	v_trunc_f64_e32 v[4:5], v[4:5]
	v_ldexp_f64 v[6:7], v[4:5], s0
	s_mov_b32 s0, 0
	s_mov_b32 s1, 0xc1f00000
	v_floor_f64_e32 v[6:7], v[6:7]
	v_fma_f64 v[4:5], v[6:7], s[0:1], v[4:5]
	s_mov_b64 s[0:1], 0
	v_cvt_u32_f64_e32 v4, v[4:5]
	s_branch .LBB7_615
.LBB7_611:
	s_mov_b64 s[0:1], -1
                                        ; implicit-def: $vgpr4
	s_branch .LBB7_633
.LBB7_612:
	s_mov_b64 s[0:1], -1
                                        ; implicit-def: $vgpr4
	s_branch .LBB7_621
.LBB7_613:
	s_mov_b64 s[0:1], -1
                                        ; implicit-def: $vgpr4
	s_branch .LBB7_618
.LBB7_614:
	s_mov_b64 s[0:1], -1
                                        ; implicit-def: $vgpr4
.LBB7_615:
	s_andn2_b64 vcc, exec, s[0:1]
	s_cbranch_vccnz .LBB7_617
; %bb.616:
	global_load_dword v4, v[2:3], off
	s_mov_b32 s0, 0x2f800000
	s_waitcnt vmcnt(0)
	v_trunc_f32_e32 v4, v4
	v_mul_f32_e64 v5, |v4|, s0
	v_floor_f32_e32 v5, v5
	s_mov_b32 s0, 0xcf800000
	v_fma_f32 v5, v5, s0, |v4|
	v_cvt_u32_f32_e32 v5, v5
	v_ashrrev_i32_e32 v4, 31, v4
	v_xor_b32_e32 v5, v5, v4
	v_sub_u32_e32 v4, v5, v4
.LBB7_617:
	s_mov_b64 s[0:1], 0
.LBB7_618:
	s_andn2_b64 vcc, exec, s[0:1]
	s_cbranch_vccnz .LBB7_620
; %bb.619:
	global_load_dword v4, v[2:3], off
	s_waitcnt vmcnt(0)
	v_cvt_f32_f16_e32 v4, v4
	v_cvt_i32_f32_e32 v4, v4
.LBB7_620:
	s_mov_b64 s[0:1], 0
.LBB7_621:
	s_andn2_b64 vcc, exec, s[0:1]
	s_cbranch_vccnz .LBB7_632
; %bb.622:
	s_cmp_lt_i32 s14, 6
	s_cbranch_scc1 .LBB7_625
; %bb.623:
	s_cmp_gt_i32 s14, 6
	s_cbranch_scc0 .LBB7_626
; %bb.624:
	global_load_dwordx2 v[4:5], v[2:3], off
	s_movk_i32 s0, 0xffe0
	s_waitcnt vmcnt(0)
	v_trunc_f64_e32 v[4:5], v[4:5]
	v_ldexp_f64 v[6:7], v[4:5], s0
	s_mov_b32 s0, 0
	s_mov_b32 s1, 0xc1f00000
	v_floor_f64_e32 v[6:7], v[6:7]
	v_fma_f64 v[4:5], v[6:7], s[0:1], v[4:5]
	s_mov_b64 s[0:1], 0
	v_cvt_u32_f64_e32 v4, v[4:5]
	s_branch .LBB7_627
.LBB7_625:
	s_mov_b64 s[0:1], -1
                                        ; implicit-def: $vgpr4
	s_branch .LBB7_630
.LBB7_626:
	s_mov_b64 s[0:1], -1
                                        ; implicit-def: $vgpr4
.LBB7_627:
	s_andn2_b64 vcc, exec, s[0:1]
	s_cbranch_vccnz .LBB7_629
; %bb.628:
	global_load_dword v4, v[2:3], off
	s_mov_b32 s0, 0x2f800000
	s_waitcnt vmcnt(0)
	v_trunc_f32_e32 v4, v4
	v_mul_f32_e64 v5, |v4|, s0
	v_floor_f32_e32 v5, v5
	s_mov_b32 s0, 0xcf800000
	v_fma_f32 v5, v5, s0, |v4|
	v_cvt_u32_f32_e32 v5, v5
	v_ashrrev_i32_e32 v4, 31, v4
	v_xor_b32_e32 v5, v5, v4
	v_sub_u32_e32 v4, v5, v4
.LBB7_629:
	s_mov_b64 s[0:1], 0
.LBB7_630:
	s_andn2_b64 vcc, exec, s[0:1]
	s_cbranch_vccnz .LBB7_632
; %bb.631:
	global_load_ushort v4, v[2:3], off
	s_waitcnt vmcnt(0)
	v_cvt_f32_f16_e32 v4, v4
	v_cvt_i32_f32_e32 v4, v4
.LBB7_632:
	s_mov_b64 s[0:1], 0
.LBB7_633:
	s_andn2_b64 vcc, exec, s[0:1]
	s_cbranch_vccnz .LBB7_653
; %bb.634:
	s_cmp_lt_i32 s14, 2
	s_cbranch_scc1 .LBB7_638
; %bb.635:
	s_cmp_lt_i32 s14, 3
	s_cbranch_scc1 .LBB7_639
; %bb.636:
	s_cmp_gt_i32 s14, 3
	s_cbranch_scc0 .LBB7_640
; %bb.637:
	global_load_dwordx2 v[4:5], v[2:3], off
	s_mov_b64 s[0:1], 0
	s_branch .LBB7_641
.LBB7_638:
	s_mov_b64 s[0:1], -1
                                        ; implicit-def: $vgpr4
	s_branch .LBB7_647
.LBB7_639:
	s_mov_b64 s[0:1], -1
                                        ; implicit-def: $vgpr4
	s_branch .LBB7_644
.LBB7_640:
	s_mov_b64 s[0:1], -1
                                        ; implicit-def: $vgpr4
.LBB7_641:
	s_andn2_b64 vcc, exec, s[0:1]
	s_cbranch_vccnz .LBB7_643
; %bb.642:
	global_load_dword v4, v[2:3], off
.LBB7_643:
	s_mov_b64 s[0:1], 0
.LBB7_644:
	s_andn2_b64 vcc, exec, s[0:1]
	s_cbranch_vccnz .LBB7_646
; %bb.645:
	global_load_ushort v4, v[2:3], off
.LBB7_646:
	s_mov_b64 s[0:1], 0
.LBB7_647:
	s_andn2_b64 vcc, exec, s[0:1]
	s_cbranch_vccnz .LBB7_653
; %bb.648:
	s_cmp_gt_i32 s14, 0
	s_cbranch_scc0 .LBB7_650
; %bb.649:
	global_load_ubyte v4, v[2:3], off
	s_mov_b64 s[0:1], 0
	s_branch .LBB7_651
.LBB7_650:
	s_mov_b64 s[0:1], -1
                                        ; implicit-def: $vgpr4
.LBB7_651:
	s_andn2_b64 vcc, exec, s[0:1]
	s_cbranch_vccnz .LBB7_653
; %bb.652:
	global_load_ubyte v4, v[2:3], off
.LBB7_653:
	s_mov_b64 s[0:1], -1
.LBB7_654:
	s_andn2_b64 vcc, exec, s[0:1]
	s_cbranch_vccnz .LBB7_662
; %bb.655:
	s_waitcnt vmcnt(0)
	v_cmp_ne_u16_sdwa s[0:1], v1, v4 src0_sel:BYTE_0 src1_sel:BYTE_0
	s_xor_b64 s[52:53], s[28:29], s[0:1]
	v_mov_b32_e32 v1, s9
	s_and_b32 s14, s15, 0xff
	v_add_co_u32_e32 v0, vcc, s8, v0
	s_cmp_lt_i32 s14, 11
	v_addc_co_u32_e32 v1, vcc, 0, v1, vcc
	s_cbranch_scc1 .LBB7_663
; %bb.656:
	s_and_b32 s62, 0xffff, s14
	s_cmp_gt_i32 s62, 25
	s_cbranch_scc0 .LBB7_664
; %bb.657:
	s_cmp_gt_i32 s62, 28
	s_cbranch_scc0 .LBB7_665
; %bb.658:
	;; [unrolled: 3-line block ×4, first 2 shown]
	s_mov_b64 s[58:59], 0
	s_mov_b64 s[0:1], -1
	s_cmp_eq_u32 s62, 46
	s_mov_b64 s[56:57], 0
	s_cbranch_scc0 .LBB7_668
; %bb.661:
	v_cndmask_b32_e64 v2, 0, 1.0, s[52:53]
	v_bfe_u32 v3, v2, 16, 1
	s_movk_i32 s0, 0x7fff
	v_add3_u32 v2, v2, v3, s0
	v_lshrrev_b32_e32 v2, 16, v2
	global_store_dword v[0:1], v2, off
	s_mov_b64 s[56:57], -1
	s_mov_b64 s[0:1], 0
	s_branch .LBB7_668
.LBB7_662:
	s_mov_b64 s[56:57], 0
                                        ; implicit-def: $vgpr10
	s_mov_b64 s[0:1], s[40:41]
	s_branch .LBB7_778
.LBB7_663:
	s_mov_b64 s[58:59], -1
	s_mov_b64 s[56:57], 0
	s_mov_b64 s[0:1], s[40:41]
	s_branch .LBB7_737
.LBB7_664:
	s_mov_b64 s[58:59], -1
	s_mov_b64 s[56:57], 0
	s_mov_b64 s[0:1], s[40:41]
	s_branch .LBB7_695
.LBB7_665:
	s_mov_b64 s[58:59], -1
	s_mov_b64 s[56:57], 0
	s_mov_b64 s[0:1], s[40:41]
	s_branch .LBB7_678
.LBB7_666:
	s_mov_b64 s[58:59], -1
	s_mov_b64 s[56:57], 0
	s_mov_b64 s[0:1], s[40:41]
	s_branch .LBB7_674
.LBB7_667:
	s_mov_b64 s[58:59], -1
	s_mov_b64 s[56:57], 0
	s_mov_b64 s[0:1], s[40:41]
.LBB7_668:
	s_and_b64 vcc, exec, s[58:59]
	s_cbranch_vccz .LBB7_673
; %bb.669:
	s_cmp_eq_u32 s62, 44
	s_mov_b64 s[0:1], -1
	s_cbranch_scc0 .LBB7_673
; %bb.670:
	v_cndmask_b32_e64 v3, 0, 1.0, s[52:53]
	v_lshrrev_b32_e32 v2, 23, v3
	s_movk_i32 s0, 0xff
	v_cmp_ne_u32_e32 vcc, s0, v2
	v_mov_b32_e32 v4, 0xff
	s_and_saveexec_b64 s[56:57], vcc
; %bb.671:
	s_mov_b32 s0, 0x3fffff
	v_and_b32_e32 v4, 0x400000, v3
	v_and_or_b32 v3, v3, s0, v2
	v_cmp_ne_u32_e32 vcc, 0, v4
	v_cmp_ne_u32_e64 s[0:1], 0, v3
	s_and_b64 s[0:1], vcc, s[0:1]
	v_cndmask_b32_e64 v3, 0, 1, s[0:1]
	v_add_u32_e32 v4, v2, v3
; %bb.672:
	s_or_b64 exec, exec, s[56:57]
	s_mov_b64 s[56:57], -1
	s_mov_b64 s[0:1], 0
	global_store_byte v[0:1], v4, off
.LBB7_673:
	s_mov_b64 s[58:59], 0
.LBB7_674:
	s_and_b64 vcc, exec, s[58:59]
	s_cbranch_vccz .LBB7_677
; %bb.675:
	s_cmp_eq_u32 s62, 29
	s_mov_b64 s[0:1], -1
	s_cbranch_scc0 .LBB7_677
; %bb.676:
	s_mov_b32 s0, 0
	v_cndmask_b32_e64 v2, 0, 1, s[52:53]
	v_mov_b32_e32 v3, s0
	global_store_dwordx2 v[0:1], v[2:3], off
	s_mov_b64 s[56:57], -1
	s_mov_b64 s[0:1], 0
.LBB7_677:
	s_mov_b64 s[58:59], 0
.LBB7_678:
	s_and_b64 vcc, exec, s[58:59]
	s_cbranch_vccz .LBB7_694
; %bb.679:
	s_cmp_lt_i32 s62, 27
	s_mov_b64 s[56:57], -1
	s_cbranch_scc1 .LBB7_685
; %bb.680:
	s_cmp_gt_i32 s62, 27
	s_cbranch_scc0 .LBB7_682
; %bb.681:
	v_cndmask_b32_e64 v2, 0, 1, s[52:53]
	s_mov_b64 s[56:57], 0
	global_store_dword v[0:1], v2, off
.LBB7_682:
	s_andn2_b64 vcc, exec, s[56:57]
	s_cbranch_vccnz .LBB7_684
; %bb.683:
	v_cndmask_b32_e64 v2, 0, 1, s[52:53]
	global_store_short v[0:1], v2, off
.LBB7_684:
	s_mov_b64 s[56:57], 0
.LBB7_685:
	s_andn2_b64 vcc, exec, s[56:57]
	s_cbranch_vccnz .LBB7_693
; %bb.686:
	v_cndmask_b32_e64 v3, 0, 1.0, s[52:53]
	s_mov_b32 s56, 0x43800000
	v_cmp_gt_u32_e32 vcc, s56, v3
	v_mov_b32_e32 v4, 0x80
	s_and_saveexec_b64 s[56:57], vcc
	s_cbranch_execz .LBB7_692
; %bb.687:
	s_mov_b32 s58, 0x3bffffff
	v_cmp_lt_u32_e32 vcc, s58, v3
	s_mov_b64 s[58:59], 0
                                        ; implicit-def: $vgpr2
	s_and_saveexec_b64 s[60:61], vcc
	s_xor_b64 s[60:61], exec, s[60:61]
	s_cbranch_execz .LBB7_806
; %bb.688:
	v_bfe_u32 v2, v3, 20, 1
	s_mov_b32 s63, 0x487ffff
	v_add3_u32 v2, v3, v2, s63
	s_mov_b64 s[58:59], exec
	v_lshrrev_b32_e32 v2, 20, v2
                                        ; implicit-def: $vgpr3
	s_andn2_saveexec_b64 s[60:61], s[60:61]
	s_cbranch_execnz .LBB7_807
.LBB7_689:
	s_or_b64 exec, exec, s[60:61]
	v_mov_b32_e32 v4, 0
	s_and_saveexec_b64 s[60:61], s[58:59]
.LBB7_690:
	v_mov_b32_e32 v4, v2
.LBB7_691:
	s_or_b64 exec, exec, s[60:61]
.LBB7_692:
	s_or_b64 exec, exec, s[56:57]
	global_store_byte v[0:1], v4, off
.LBB7_693:
	s_mov_b64 s[56:57], -1
.LBB7_694:
	s_mov_b64 s[58:59], 0
.LBB7_695:
	s_and_b64 vcc, exec, s[58:59]
	s_cbranch_vccz .LBB7_736
; %bb.696:
	s_cmp_gt_i32 s62, 22
	s_mov_b64 s[58:59], -1
	s_cbranch_scc0 .LBB7_728
; %bb.697:
	s_cmp_lt_i32 s62, 24
	s_mov_b64 s[56:57], -1
	s_cbranch_scc1 .LBB7_717
; %bb.698:
	s_cmp_gt_i32 s62, 24
	s_cbranch_scc0 .LBB7_706
; %bb.699:
	v_cndmask_b32_e64 v3, 0, 1.0, s[52:53]
	s_mov_b32 s56, 0x47800000
	v_cmp_gt_u32_e32 vcc, s56, v3
	v_mov_b32_e32 v4, 0x80
	s_and_saveexec_b64 s[56:57], vcc
	s_cbranch_execz .LBB7_705
; %bb.700:
	s_mov_b32 s58, 0x37ffffff
	v_cmp_lt_u32_e32 vcc, s58, v3
	s_mov_b64 s[58:59], 0
                                        ; implicit-def: $vgpr2
	s_and_saveexec_b64 s[60:61], vcc
	s_xor_b64 s[60:61], exec, s[60:61]
	s_cbranch_execz .LBB7_934
; %bb.701:
	v_bfe_u32 v2, v3, 21, 1
	s_mov_b32 s63, 0x88fffff
	v_add3_u32 v2, v3, v2, s63
	s_mov_b64 s[58:59], exec
	v_lshrrev_b32_e32 v2, 21, v2
                                        ; implicit-def: $vgpr3
	s_andn2_saveexec_b64 s[60:61], s[60:61]
	s_cbranch_execnz .LBB7_935
.LBB7_702:
	s_or_b64 exec, exec, s[60:61]
	v_mov_b32_e32 v4, 0
	s_and_saveexec_b64 s[60:61], s[58:59]
.LBB7_703:
	v_mov_b32_e32 v4, v2
.LBB7_704:
	s_or_b64 exec, exec, s[60:61]
.LBB7_705:
	s_or_b64 exec, exec, s[56:57]
	s_mov_b64 s[56:57], 0
	global_store_byte v[0:1], v4, off
.LBB7_706:
	s_and_b64 vcc, exec, s[56:57]
	s_cbranch_vccz .LBB7_716
; %bb.707:
	v_cndmask_b32_e64 v2, 0, 1.0, s[52:53]
	s_mov_b32 s56, 0x43f00000
	v_cmp_gt_u32_e32 vcc, s56, v2
                                        ; implicit-def: $vgpr3
	s_and_saveexec_b64 s[56:57], vcc
	s_xor_b64 s[56:57], exec, s[56:57]
	s_cbranch_execz .LBB7_713
; %bb.708:
	s_mov_b32 s58, 0x3c7fffff
	v_cmp_lt_u32_e32 vcc, s58, v2
                                        ; implicit-def: $vgpr3
	s_and_saveexec_b64 s[58:59], vcc
	s_xor_b64 s[58:59], exec, s[58:59]
; %bb.709:
	v_bfe_u32 v3, v2, 20, 1
	s_mov_b32 s60, 0x407ffff
	v_add3_u32 v2, v2, v3, s60
	v_lshrrev_b32_e32 v3, 20, v2
	v_and_b32_e32 v2, 0xff00000, v2
	s_mov_b32 s60, 0x7f00000
	v_mov_b32_e32 v4, 0x7e
	v_cmp_ne_u32_e32 vcc, s60, v2
	v_cndmask_b32_e32 v3, v4, v3, vcc
                                        ; implicit-def: $vgpr2
; %bb.710:
	s_andn2_saveexec_b64 s[58:59], s[58:59]
; %bb.711:
	v_add_f32_e32 v3, 0x46800000, v2
; %bb.712:
	s_or_b64 exec, exec, s[58:59]
                                        ; implicit-def: $vgpr2
.LBB7_713:
	s_andn2_saveexec_b64 s[56:57], s[56:57]
; %bb.714:
	s_mov_b32 s58, 0x7f800000
	v_mov_b32_e32 v3, 0x7e
	v_mov_b32_e32 v4, 0x7f
	v_cmp_lt_u32_e32 vcc, s58, v2
	v_cndmask_b32_e32 v3, v3, v4, vcc
; %bb.715:
	s_or_b64 exec, exec, s[56:57]
	global_store_byte v[0:1], v3, off
.LBB7_716:
	s_mov_b64 s[56:57], 0
.LBB7_717:
	s_andn2_b64 vcc, exec, s[56:57]
	s_cbranch_vccnz .LBB7_727
; %bb.718:
	v_cndmask_b32_e64 v2, 0, 1.0, s[52:53]
	s_mov_b32 s56, 0x47800000
	v_cmp_gt_u32_e32 vcc, s56, v2
                                        ; implicit-def: $vgpr3
	s_and_saveexec_b64 s[56:57], vcc
	s_xor_b64 s[56:57], exec, s[56:57]
	s_cbranch_execz .LBB7_724
; %bb.719:
	s_mov_b32 s58, 0x387fffff
	v_cmp_lt_u32_e32 vcc, s58, v2
                                        ; implicit-def: $vgpr3
	s_and_saveexec_b64 s[58:59], vcc
	s_xor_b64 s[58:59], exec, s[58:59]
; %bb.720:
	v_bfe_u32 v3, v2, 21, 1
	s_mov_b32 s60, 0x80fffff
	v_add3_u32 v2, v2, v3, s60
	v_lshrrev_b32_e32 v3, 21, v2
                                        ; implicit-def: $vgpr2
; %bb.721:
	s_andn2_saveexec_b64 s[58:59], s[58:59]
; %bb.722:
	v_add_f32_e32 v3, 0x43000000, v2
; %bb.723:
	s_or_b64 exec, exec, s[58:59]
                                        ; implicit-def: $vgpr2
.LBB7_724:
	s_andn2_saveexec_b64 s[56:57], s[56:57]
; %bb.725:
	s_mov_b32 s58, 0x7f800000
	v_mov_b32_e32 v3, 0x7c
	v_mov_b32_e32 v4, 0x7f
	v_cmp_lt_u32_e32 vcc, s58, v2
	v_cndmask_b32_e32 v3, v3, v4, vcc
; %bb.726:
	s_or_b64 exec, exec, s[56:57]
	global_store_byte v[0:1], v3, off
.LBB7_727:
	s_mov_b64 s[58:59], 0
	s_mov_b64 s[56:57], -1
.LBB7_728:
	s_andn2_b64 vcc, exec, s[58:59]
	s_cbranch_vccnz .LBB7_736
; %bb.729:
	s_cmp_gt_i32 s62, 14
	s_mov_b64 s[58:59], -1
	s_cbranch_scc0 .LBB7_733
; %bb.730:
	s_cmp_eq_u32 s62, 15
	s_mov_b64 s[0:1], -1
	s_cbranch_scc0 .LBB7_732
; %bb.731:
	v_cndmask_b32_e64 v2, 0, 1.0, s[52:53]
	v_bfe_u32 v3, v2, 16, 1
	s_movk_i32 s0, 0x7fff
	v_add3_u32 v2, v2, v3, s0
	global_store_short_d16_hi v[0:1], v2, off
	s_mov_b64 s[56:57], -1
	s_mov_b64 s[0:1], 0
.LBB7_732:
	s_mov_b64 s[58:59], 0
.LBB7_733:
	s_and_b64 vcc, exec, s[58:59]
	s_cbranch_vccz .LBB7_736
; %bb.734:
	s_cmp_eq_u32 s62, 11
	s_mov_b64 s[0:1], -1
	s_cbranch_scc0 .LBB7_736
; %bb.735:
	v_cndmask_b32_e64 v2, 0, 1, s[52:53]
	s_mov_b64 s[56:57], -1
	s_mov_b64 s[0:1], 0
	global_store_byte v[0:1], v2, off
.LBB7_736:
	s_mov_b64 s[58:59], 0
.LBB7_737:
	s_and_b64 vcc, exec, s[58:59]
	s_cbranch_vccz .LBB7_776
; %bb.738:
	s_and_b32 s14, 0xffff, s14
	s_cmp_lt_i32 s14, 5
	s_mov_b64 s[56:57], -1
	s_cbranch_scc1 .LBB7_759
; %bb.739:
	s_cmp_lt_i32 s14, 8
	s_cbranch_scc1 .LBB7_749
; %bb.740:
	s_cmp_lt_i32 s14, 9
	s_cbranch_scc1 .LBB7_746
; %bb.741:
	s_cmp_gt_i32 s14, 9
	s_cbranch_scc0 .LBB7_743
; %bb.742:
	v_cndmask_b32_e64 v2, 0, 1, s[52:53]
	v_cvt_f64_u32_e32 v[2:3], v2
	v_mov_b32_e32 v4, 0
	v_mov_b32_e32 v5, v4
	s_mov_b64 s[56:57], 0
	global_store_dwordx4 v[0:1], v[2:5], off
.LBB7_743:
	s_andn2_b64 vcc, exec, s[56:57]
	s_cbranch_vccnz .LBB7_745
; %bb.744:
	v_cndmask_b32_e64 v2, 0, 1.0, s[52:53]
	v_mov_b32_e32 v3, 0
	global_store_dwordx2 v[0:1], v[2:3], off
.LBB7_745:
	s_mov_b64 s[56:57], 0
.LBB7_746:
	s_andn2_b64 vcc, exec, s[56:57]
	s_cbranch_vccnz .LBB7_748
; %bb.747:
	v_cndmask_b32_e64 v2, 0, 1.0, s[52:53]
	v_cvt_f16_f32_e32 v2, v2
	global_store_dword v[0:1], v2, off
.LBB7_748:
	s_mov_b64 s[56:57], 0
.LBB7_749:
	s_andn2_b64 vcc, exec, s[56:57]
	s_cbranch_vccnz .LBB7_758
; %bb.750:
	s_cmp_lt_i32 s14, 6
	s_mov_b64 s[56:57], -1
	s_cbranch_scc1 .LBB7_756
; %bb.751:
	s_cmp_gt_i32 s14, 6
	s_cbranch_scc0 .LBB7_753
; %bb.752:
	v_cndmask_b32_e64 v2, 0, 1, s[52:53]
	v_cvt_f64_u32_e32 v[2:3], v2
	s_mov_b64 s[56:57], 0
	global_store_dwordx2 v[0:1], v[2:3], off
.LBB7_753:
	s_andn2_b64 vcc, exec, s[56:57]
	s_cbranch_vccnz .LBB7_755
; %bb.754:
	v_cndmask_b32_e64 v2, 0, 1.0, s[52:53]
	global_store_dword v[0:1], v2, off
.LBB7_755:
	s_mov_b64 s[56:57], 0
.LBB7_756:
	s_andn2_b64 vcc, exec, s[56:57]
	s_cbranch_vccnz .LBB7_758
; %bb.757:
	v_cndmask_b32_e64 v2, 0, 1.0, s[52:53]
	v_cvt_f16_f32_e32 v2, v2
	global_store_short v[0:1], v2, off
.LBB7_758:
	s_mov_b64 s[56:57], 0
.LBB7_759:
	s_andn2_b64 vcc, exec, s[56:57]
	s_cbranch_vccnz .LBB7_775
; %bb.760:
	s_cmp_lt_i32 s14, 2
	s_mov_b64 s[56:57], -1
	s_cbranch_scc1 .LBB7_770
; %bb.761:
	s_cmp_lt_i32 s14, 3
	s_cbranch_scc1 .LBB7_767
; %bb.762:
	s_cmp_gt_i32 s14, 3
	s_cbranch_scc0 .LBB7_764
; %bb.763:
	s_mov_b32 s56, 0
	v_cndmask_b32_e64 v2, 0, 1, s[52:53]
	v_mov_b32_e32 v3, s56
	s_mov_b64 s[56:57], 0
	global_store_dwordx2 v[0:1], v[2:3], off
.LBB7_764:
	s_andn2_b64 vcc, exec, s[56:57]
	s_cbranch_vccnz .LBB7_766
; %bb.765:
	v_cndmask_b32_e64 v2, 0, 1, s[52:53]
	global_store_dword v[0:1], v2, off
.LBB7_766:
	s_mov_b64 s[56:57], 0
.LBB7_767:
	s_andn2_b64 vcc, exec, s[56:57]
	s_cbranch_vccnz .LBB7_769
; %bb.768:
	v_cndmask_b32_e64 v2, 0, 1, s[52:53]
	global_store_short v[0:1], v2, off
.LBB7_769:
	s_mov_b64 s[56:57], 0
.LBB7_770:
	s_andn2_b64 vcc, exec, s[56:57]
	s_cbranch_vccnz .LBB7_775
; %bb.771:
	s_mov_b64 s[56:57], -1
	s_cmp_gt_i32 s14, 0
	v_cndmask_b32_e64 v2, 0, 1, s[52:53]
	s_cbranch_scc0 .LBB7_773
; %bb.772:
	s_mov_b64 s[56:57], 0
	global_store_byte v[0:1], v2, off
.LBB7_773:
	s_andn2_b64 vcc, exec, s[56:57]
	s_cbranch_vccnz .LBB7_775
; %bb.774:
	global_store_byte v[0:1], v2, off
.LBB7_775:
	s_mov_b64 s[56:57], -1
.LBB7_776:
	s_andn2_b64 vcc, exec, s[56:57]
	s_cbranch_vccnz .LBB7_788
; %bb.777:
	v_add_u32_e32 v10, 0x80, v10
	s_mov_b64 s[56:57], -1
.LBB7_778:
	s_andn2_b64 s[52:53], s[40:41], exec
	s_and_b64 s[0:1], s[0:1], exec
	s_or_b64 s[52:53], s[52:53], s[0:1]
	s_andn2_b64 s[0:1], s[42:43], exec
	s_and_b64 s[50:51], s[50:51], exec
	s_or_b64 s[50:51], s[0:1], s[50:51]
	;; [unrolled: 3-line block ×3, first 2 shown]
	s_orn2_b64 s[0:1], s[56:57], exec
.LBB7_779:
	s_or_b64 exec, exec, s[54:55]
	s_mov_b64 s[56:57], 0
	s_mov_b64 s[58:59], 0
	;; [unrolled: 1-line block ×3, first 2 shown]
                                        ; implicit-def: $sgpr14
                                        ; implicit-def: $vgpr4_vgpr5
                                        ; implicit-def: $vgpr0
                                        ; implicit-def: $vgpr3
                                        ; implicit-def: $vgpr1
	s_and_saveexec_b64 s[54:55], s[0:1]
	s_cbranch_execz .LBB7_1264
; %bb.780:
	v_cmp_gt_i32_e32 vcc, s70, v10
	s_mov_b64 s[68:69], -1
	s_mov_b64 s[0:1], s[48:49]
	s_mov_b64 s[60:61], s[50:51]
	s_mov_b64 s[62:63], s[52:53]
	s_and_saveexec_b64 s[56:57], vcc
	s_cbranch_execz .LBB7_1172
; %bb.781:
	s_andn2_b64 vcc, exec, s[24:25]
	s_cbranch_vccnz .LBB7_787
; %bb.782:
	s_andn2_b64 vcc, exec, s[38:39]
	s_cbranch_vccnz .LBB7_789
; %bb.783:
	s_add_i32 s0, s75, 1
	s_and_b32 s14, s0, 30
	s_add_u32 s0, s2, 0xffffffe8
	s_addc_u32 s1, s3, -1
	v_mov_b32_e32 v3, 0
	s_waitcnt vmcnt(0)
	v_mov_b32_e32 v5, 0
	v_mov_b32_e32 v0, 0
	;; [unrolled: 1-line block ×3, first 2 shown]
.LBB7_784:                              ; =>This Inner Loop Header: Depth=1
	s_load_dwordx4 s[60:63], s[0:1], 0x1c
	s_load_dwordx2 s[58:59], s[0:1], 0x2c
	s_load_dwordx2 s[68:69], s[0:1], 0xec
	s_load_dwordx4 s[64:67], s[0:1], 0xdc
	s_add_u32 s0, s0, 24
	s_waitcnt lgkmcnt(0)
	v_mul_hi_u32 v2, s61, v1
	s_addc_u32 s1, s1, 0
	s_add_i32 s14, s14, -2
	s_cmp_eq_u32 s14, 0
	v_add_u32_e32 v2, v1, v2
	v_lshrrev_b32_e32 v2, s62, v2
	v_mul_lo_u32 v4, v2, s60
	v_mul_hi_u32 v6, s58, v2
	v_sub_u32_e32 v4, v1, v4
	v_add_u32_e32 v1, v2, v6
	v_lshrrev_b32_e32 v1, s59, v1
	v_mul_lo_u32 v8, v1, s63
	v_mul_lo_u32 v6, v4, s64
	;; [unrolled: 1-line block ×4, first 2 shown]
	v_sub_u32_e32 v2, v2, v8
	v_mul_lo_u32 v8, v2, s67
	v_mul_lo_u32 v9, v2, s68
	;; [unrolled: 1-line block ×3, first 2 shown]
	v_add3_u32 v0, v6, v0, v8
	v_add3_u32 v5, v7, v5, v9
	;; [unrolled: 1-line block ×3, first 2 shown]
	s_cbranch_scc0 .LBB7_784
; %bb.785:
	s_bitcmp1_b32 s75, 0
	s_cselect_b64 s[58:59], -1, 0
	s_and_b64 vcc, exec, s[58:59]
	s_cbranch_vccnz .LBB7_790
; %bb.786:
	s_load_dwordx2 s[58:59], s[0:1], 0x1c
	s_load_dword s14, s[0:1], 0x24
	s_load_dwordx2 s[60:61], s[0:1], 0xdc
	s_waitcnt lgkmcnt(0)
	v_mul_hi_u32 v2, s59, v1
	v_add_u32_e32 v2, v1, v2
	v_lshrrev_b32_e32 v2, s14, v2
	v_mul_lo_u32 v2, v2, s58
	s_load_dword s14, s[0:1], 0xe4
	v_sub_u32_e32 v2, v1, v2
	v_mad_u64_u32 v[0:1], s[0:1], v2, s60, v[0:1]
	v_mad_u64_u32 v[5:6], s[0:1], v2, s61, v[5:6]
	s_waitcnt lgkmcnt(0)
	v_mad_u64_u32 v[3:4], s[0:1], v2, s14, v[3:4]
	s_branch .LBB7_790
.LBB7_787:
	s_mov_b64 s[0:1], -1
                                        ; implicit-def: $vgpr0
                                        ; implicit-def: $vgpr5
                                        ; implicit-def: $vgpr3
	s_branch .LBB7_791
.LBB7_788:
	s_mov_b64 s[56:57], 0
	s_branch .LBB7_540
.LBB7_789:
	v_mov_b32_e32 v0, 0
	s_waitcnt vmcnt(0)
	v_mov_b32_e32 v5, 0
	v_mov_b32_e32 v3, 0
.LBB7_790:
	s_mov_b64 s[0:1], 0
.LBB7_791:
	s_andn2_b64 vcc, exec, s[0:1]
	s_cbranch_vccnz .LBB7_794
; %bb.792:
	v_mul_hi_u32 v0, s17, v10
	s_andn2_b64 vcc, exec, s[36:37]
	v_add_u32_e32 v0, v10, v0
	s_waitcnt vmcnt(0)
	v_lshrrev_b32_e32 v1, s18, v0
	v_mul_lo_u32 v0, v1, s16
	v_sub_u32_e32 v2, v10, v0
	v_mul_lo_u32 v0, v2, s20
	v_mul_lo_u32 v5, v2, s21
	v_mul_lo_u32 v3, v2, s22
	s_cbranch_vccnz .LBB7_794
; %bb.793:
	v_mul_hi_u32 v2, s34, v1
	v_add_u32_e32 v2, v1, v2
	v_lshrrev_b32_e32 v2, s35, v2
	v_mul_lo_u32 v2, v2, s19
	v_sub_u32_e32 v2, v1, v2
	v_mad_u64_u32 v[0:1], s[0:1], v2, s23, v[0:1]
	v_mad_u64_u32 v[5:6], s[0:1], v2, s30, v[5:6]
	;; [unrolled: 1-line block ×3, first 2 shown]
.LBB7_794:
	s_waitcnt vmcnt(0)
	v_mov_b32_e32 v1, s11
	s_and_b32 s14, s74, 0xff
	v_add_co_u32_e32 v4, vcc, s10, v5
	s_cmp_lt_i32 s14, 11
	v_addc_co_u32_e32 v5, vcc, 0, v1, vcc
	s_cbranch_scc1 .LBB7_801
; %bb.795:
	s_and_b32 s62, 0xffff, s14
	s_cmp_gt_i32 s62, 25
	s_cbranch_scc0 .LBB7_802
; %bb.796:
	s_cmp_gt_i32 s62, 28
	s_cbranch_scc0 .LBB7_803
; %bb.797:
	;; [unrolled: 3-line block ×4, first 2 shown]
	s_cmp_eq_u32 s62, 46
	s_mov_b64 s[60:61], 0
	s_cbranch_scc0 .LBB7_808
; %bb.800:
	global_load_dword v1, v[4:5], off
	s_mov_b32 s0, 0x2f800000
	s_mov_b32 s1, 0xcf800000
	s_mov_b64 s[58:59], 0
	s_waitcnt vmcnt(0)
	v_lshlrev_b32_e32 v1, 16, v1
	v_trunc_f32_e32 v1, v1
	v_mul_f32_e64 v2, |v1|, s0
	v_floor_f32_e32 v2, v2
	v_fma_f32 v2, v2, s1, |v1|
	v_cvt_u32_f32_e32 v2, v2
	v_ashrrev_i32_e32 v1, 31, v1
	s_mov_b64 s[0:1], -1
	v_xor_b32_e32 v2, v2, v1
	v_sub_u32_e32 v1, v2, v1
	s_branch .LBB7_809
.LBB7_801:
	s_mov_b64 s[60:61], -1
	s_mov_b64 s[0:1], 0
                                        ; implicit-def: $vgpr1
	s_mov_b64 s[58:59], s[48:49]
	s_branch .LBB7_870
.LBB7_802:
	s_mov_b64 s[60:61], -1
	s_mov_b64 s[0:1], 0
	s_mov_b64 s[58:59], s[48:49]
                                        ; implicit-def: $vgpr1
	s_branch .LBB7_836
.LBB7_803:
	s_mov_b64 s[60:61], -1
	s_mov_b64 s[0:1], 0
	s_mov_b64 s[58:59], s[48:49]
                                        ; implicit-def: $vgpr1
	s_branch .LBB7_819
.LBB7_804:
	s_mov_b64 s[60:61], -1
	s_mov_b64 s[0:1], 0
	s_mov_b64 s[58:59], s[48:49]
                                        ; implicit-def: $vgpr1
	s_branch .LBB7_814
.LBB7_805:
	s_mov_b64 s[60:61], -1
	s_mov_b64 s[0:1], 0
	s_mov_b64 s[58:59], s[48:49]
                                        ; implicit-def: $vgpr1
	s_branch .LBB7_809
.LBB7_806:
	s_andn2_saveexec_b64 s[60:61], s[60:61]
	s_cbranch_execz .LBB7_689
.LBB7_807:
	v_add_f32_e32 v2, 0x46000000, v3
	v_and_b32_e32 v2, 0xff, v2
	v_cmp_ne_u32_e32 vcc, 0, v2
	s_andn2_b64 s[58:59], s[58:59], exec
	s_and_b64 s[64:65], vcc, exec
	s_or_b64 s[58:59], s[58:59], s[64:65]
	s_or_b64 exec, exec, s[60:61]
	v_mov_b32_e32 v4, 0
	s_and_saveexec_b64 s[60:61], s[58:59]
	s_cbranch_execnz .LBB7_690
	s_branch .LBB7_691
.LBB7_808:
	s_mov_b64 s[58:59], -1
                                        ; implicit-def: $vgpr1
	s_mov_b64 s[0:1], 0
.LBB7_809:
	s_and_b64 vcc, exec, s[60:61]
	s_cbranch_vccz .LBB7_813
; %bb.810:
	s_cmp_eq_u32 s62, 44
	s_cbranch_scc0 .LBB7_812
; %bb.811:
	global_load_ubyte v1, v[4:5], off
	s_mov_b32 s0, 0x2f800000
	s_mov_b32 s1, 0xcf800000
	s_mov_b64 s[58:59], 0
	s_waitcnt vmcnt(0)
	v_lshlrev_b32_e32 v2, 23, v1
	v_trunc_f32_e32 v2, v2
	v_mul_f32_e64 v6, |v2|, s0
	v_floor_f32_e32 v6, v6
	v_fma_f32 v6, v6, s1, |v2|
	v_cvt_u32_f32_e32 v6, v6
	v_ashrrev_i32_e32 v2, 31, v2
	v_cmp_ne_u32_e32 vcc, 0, v1
	s_mov_b64 s[0:1], -1
	v_xor_b32_e32 v6, v6, v2
	v_sub_u32_e32 v2, v6, v2
	v_cndmask_b32_e32 v1, 0, v2, vcc
	s_branch .LBB7_813
.LBB7_812:
	s_mov_b64 s[58:59], -1
                                        ; implicit-def: $vgpr1
.LBB7_813:
	s_mov_b64 s[60:61], 0
.LBB7_814:
	s_and_b64 vcc, exec, s[60:61]
	s_cbranch_vccz .LBB7_818
; %bb.815:
	s_cmp_eq_u32 s62, 29
	s_cbranch_scc0 .LBB7_817
; %bb.816:
	global_load_dwordx2 v[1:2], v[4:5], off
	s_mov_b64 s[0:1], -1
	s_mov_b64 s[58:59], 0
	s_branch .LBB7_818
.LBB7_817:
	s_mov_b64 s[58:59], -1
                                        ; implicit-def: $vgpr1
.LBB7_818:
	s_mov_b64 s[60:61], 0
.LBB7_819:
	s_and_b64 vcc, exec, s[60:61]
	s_cbranch_vccz .LBB7_835
; %bb.820:
	s_cmp_lt_i32 s62, 27
	s_cbranch_scc1 .LBB7_823
; %bb.821:
	s_cmp_gt_i32 s62, 27
	s_cbranch_scc0 .LBB7_824
; %bb.822:
	global_load_dword v1, v[4:5], off
	s_mov_b64 s[0:1], 0
	s_branch .LBB7_825
.LBB7_823:
	s_mov_b64 s[0:1], -1
                                        ; implicit-def: $vgpr1
	s_branch .LBB7_828
.LBB7_824:
	s_mov_b64 s[0:1], -1
                                        ; implicit-def: $vgpr1
.LBB7_825:
	s_andn2_b64 vcc, exec, s[0:1]
	s_cbranch_vccnz .LBB7_827
; %bb.826:
	global_load_ushort v1, v[4:5], off
.LBB7_827:
	s_mov_b64 s[0:1], 0
.LBB7_828:
	s_andn2_b64 vcc, exec, s[0:1]
	s_cbranch_vccnz .LBB7_834
; %bb.829:
	global_load_ubyte v2, v[4:5], off
	s_movk_i32 s0, 0x7f
	s_mov_b64 s[60:61], 0
	s_waitcnt vmcnt(0)
	v_cmp_lt_i16_e32 vcc, s0, v2
	s_and_saveexec_b64 s[0:1], vcc
	s_xor_b64 s[0:1], exec, s[0:1]
	s_cbranch_execz .LBB7_846
; %bb.830:
	s_movk_i32 s60, 0x80
	v_cmp_ne_u16_e32 vcc, s60, v2
	s_and_b64 s[60:61], vcc, exec
	s_andn2_saveexec_b64 s[0:1], s[0:1]
	s_cbranch_execnz .LBB7_847
.LBB7_831:
	s_or_b64 exec, exec, s[0:1]
	v_mov_b32_e32 v1, 0
	s_and_saveexec_b64 s[0:1], s[60:61]
	s_cbranch_execz .LBB7_833
.LBB7_832:
	v_lshlrev_b32_e32 v1, 24, v2
	v_and_b32_e32 v2, 0xffff, v2
	v_and_b32_e32 v6, 7, v2
	v_ffbh_u32_e32 v8, v6
	v_min_u32_e32 v8, 32, v8
	v_subrev_u32_e32 v9, 28, v8
	v_bfe_u32 v7, v2, 3, 4
	v_lshlrev_b32_e32 v2, v9, v2
	v_sub_u32_e32 v8, 29, v8
	v_and_b32_e32 v2, 7, v2
	v_cmp_eq_u32_e32 vcc, 0, v7
	v_cndmask_b32_e32 v7, v7, v8, vcc
	v_cndmask_b32_e32 v2, v6, v2, vcc
	v_mov_b32_e32 v6, 0x3b800000
	v_lshlrev_b32_e32 v2, 20, v2
	v_and_b32_e32 v1, 0x80000000, v1
	v_lshl_add_u32 v6, v7, 23, v6
	v_or3_b32 v1, v1, v6, v2
	v_trunc_f32_e32 v1, v1
	s_mov_b32 s60, 0x2f800000
	v_mul_f32_e64 v2, |v1|, s60
	v_floor_f32_e32 v2, v2
	s_mov_b32 s60, 0xcf800000
	v_fma_f32 v2, v2, s60, |v1|
	v_cvt_u32_f32_e32 v2, v2
	v_ashrrev_i32_e32 v1, 31, v1
	v_xor_b32_e32 v2, v2, v1
	v_sub_u32_e32 v1, v2, v1
.LBB7_833:
	s_or_b64 exec, exec, s[0:1]
.LBB7_834:
	s_mov_b64 s[0:1], -1
.LBB7_835:
	s_mov_b64 s[60:61], 0
.LBB7_836:
	s_and_b64 vcc, exec, s[60:61]
	s_cbranch_vccz .LBB7_869
; %bb.837:
	s_cmp_gt_i32 s62, 22
	s_cbranch_scc0 .LBB7_845
; %bb.838:
	s_cmp_lt_i32 s62, 24
	s_cbranch_scc1 .LBB7_848
; %bb.839:
	s_cmp_gt_i32 s62, 24
	s_cbranch_scc0 .LBB7_849
; %bb.840:
	global_load_ubyte v2, v[4:5], off
	s_movk_i32 s0, 0x7f
	s_mov_b64 s[60:61], 0
	s_waitcnt vmcnt(0)
	v_cmp_lt_i16_e32 vcc, s0, v2
	s_and_saveexec_b64 s[0:1], vcc
	s_xor_b64 s[0:1], exec, s[0:1]
	s_cbranch_execz .LBB7_861
; %bb.841:
	s_movk_i32 s60, 0x80
	v_cmp_ne_u16_e32 vcc, s60, v2
	s_and_b64 s[60:61], vcc, exec
	s_andn2_saveexec_b64 s[0:1], s[0:1]
	s_cbranch_execnz .LBB7_862
.LBB7_842:
	s_or_b64 exec, exec, s[0:1]
	v_mov_b32_e32 v1, 0
	s_and_saveexec_b64 s[0:1], s[60:61]
	s_cbranch_execz .LBB7_844
.LBB7_843:
	v_lshlrev_b32_e32 v1, 24, v2
	v_and_b32_e32 v2, 0xffff, v2
	v_and_b32_e32 v6, 3, v2
	v_ffbh_u32_e32 v8, v6
	v_min_u32_e32 v8, 32, v8
	v_subrev_u32_e32 v9, 29, v8
	v_bfe_u32 v7, v2, 2, 5
	v_lshlrev_b32_e32 v2, v9, v2
	v_sub_u32_e32 v8, 30, v8
	v_and_b32_e32 v2, 3, v2
	v_cmp_eq_u32_e32 vcc, 0, v7
	v_cndmask_b32_e32 v7, v7, v8, vcc
	v_cndmask_b32_e32 v2, v6, v2, vcc
	v_mov_b32_e32 v6, 0x37800000
	v_lshlrev_b32_e32 v2, 21, v2
	v_and_b32_e32 v1, 0x80000000, v1
	v_lshl_add_u32 v6, v7, 23, v6
	v_or3_b32 v1, v1, v6, v2
	v_trunc_f32_e32 v1, v1
	s_mov_b32 s60, 0x2f800000
	v_mul_f32_e64 v2, |v1|, s60
	v_floor_f32_e32 v2, v2
	s_mov_b32 s60, 0xcf800000
	v_fma_f32 v2, v2, s60, |v1|
	v_cvt_u32_f32_e32 v2, v2
	v_ashrrev_i32_e32 v1, 31, v1
	v_xor_b32_e32 v2, v2, v1
	v_sub_u32_e32 v1, v2, v1
.LBB7_844:
	s_or_b64 exec, exec, s[0:1]
	s_mov_b64 s[0:1], 0
	s_branch .LBB7_850
.LBB7_845:
	s_mov_b64 s[60:61], -1
                                        ; implicit-def: $vgpr1
	s_branch .LBB7_856
.LBB7_846:
	s_andn2_saveexec_b64 s[0:1], s[0:1]
	s_cbranch_execz .LBB7_831
.LBB7_847:
	v_cmp_ne_u16_e32 vcc, 0, v2
	s_andn2_b64 s[60:61], s[60:61], exec
	s_and_b64 s[64:65], vcc, exec
	s_or_b64 s[60:61], s[60:61], s[64:65]
	s_or_b64 exec, exec, s[0:1]
	v_mov_b32_e32 v1, 0
	s_and_saveexec_b64 s[0:1], s[60:61]
	s_cbranch_execnz .LBB7_832
	s_branch .LBB7_833
.LBB7_848:
	s_mov_b64 s[0:1], -1
                                        ; implicit-def: $vgpr1
	s_branch .LBB7_853
.LBB7_849:
	s_mov_b64 s[0:1], -1
                                        ; implicit-def: $vgpr1
.LBB7_850:
	s_and_b64 vcc, exec, s[0:1]
	s_cbranch_vccz .LBB7_852
; %bb.851:
	global_load_ubyte v1, v[4:5], off
	s_mov_b32 s0, 0x7f800000
	s_brev_b32 s1, 1
	s_mov_b32 s60, 0x2f800000
	s_waitcnt vmcnt(0)
	v_lshlrev_b32_e32 v1, 24, v1
	v_and_b32_e32 v2, 0x7f000000, v1
	v_ffbh_u32_e32 v6, v2
	v_min_u32_e32 v6, 32, v6
	v_sub_u32_e64 v6, v6, 4 clamp
	v_lshlrev_b32_e32 v8, v6, v2
	v_lshlrev_b32_e32 v6, 23, v6
	v_lshrrev_b32_e32 v8, 4, v8
	v_add_u32_e32 v7, 0x1000000, v2
	v_sub_u32_e32 v6, v8, v6
	v_ashrrev_i32_e32 v7, 8, v7
	v_add_u32_e32 v6, 0x3c000000, v6
	v_and_or_b32 v6, v7, s0, v6
	v_cmp_ne_u32_e32 vcc, 0, v2
	v_cndmask_b32_e32 v2, 0, v6, vcc
	v_and_or_b32 v1, v1, s1, v2
	v_trunc_f32_e32 v1, v1
	v_mul_f32_e64 v2, |v1|, s60
	v_floor_f32_e32 v2, v2
	s_mov_b32 s0, 0xcf800000
	v_fma_f32 v2, v2, s0, |v1|
	v_cvt_u32_f32_e32 v2, v2
	v_ashrrev_i32_e32 v1, 31, v1
	v_xor_b32_e32 v2, v2, v1
	v_sub_u32_e32 v1, v2, v1
.LBB7_852:
	s_mov_b64 s[0:1], 0
.LBB7_853:
	s_andn2_b64 vcc, exec, s[0:1]
	s_cbranch_vccnz .LBB7_855
; %bb.854:
	global_load_ubyte v1, v[4:5], off
	s_movk_i32 s0, 0x7f00
	s_brev_b32 s1, 16
	s_brev_b32 s60, 1
	s_mov_b32 s61, 0x2f800000
	s_waitcnt vmcnt(0)
	v_lshlrev_b16_e32 v2, 8, v1
	v_lshlrev_b32_e32 v1, 25, v1
	v_lshrrev_b32_e32 v6, 4, v1
	v_and_or_b32 v7, v2, s0, 0.5
	v_or_b32_e32 v6, 0x70000000, v6
	v_add_f32_e32 v7, -0.5, v7
	v_mul_f32_e32 v6, 0x7800000, v6
	v_cmp_gt_u32_e32 vcc, s1, v1
	v_bfe_i32 v2, v2, 0, 16
	v_cndmask_b32_e32 v1, v6, v7, vcc
	v_and_or_b32 v1, v2, s60, v1
	v_trunc_f32_e32 v1, v1
	v_mul_f32_e64 v2, |v1|, s61
	v_floor_f32_e32 v2, v2
	s_mov_b32 s0, 0xcf800000
	v_fma_f32 v2, v2, s0, |v1|
	v_cvt_u32_f32_e32 v2, v2
	v_ashrrev_i32_e32 v1, 31, v1
	v_xor_b32_e32 v2, v2, v1
	v_sub_u32_e32 v1, v2, v1
.LBB7_855:
	s_mov_b64 s[60:61], 0
	s_mov_b64 s[0:1], -1
.LBB7_856:
	s_andn2_b64 vcc, exec, s[60:61]
	s_cbranch_vccnz .LBB7_869
; %bb.857:
	s_cmp_gt_i32 s62, 14
	s_cbranch_scc0 .LBB7_860
; %bb.858:
	s_cmp_eq_u32 s62, 15
	s_cbranch_scc0 .LBB7_863
; %bb.859:
	global_load_ushort v1, v[4:5], off
	s_mov_b32 s0, 0x2f800000
	s_mov_b32 s1, 0xcf800000
	s_mov_b64 s[58:59], 0
	s_waitcnt vmcnt(0)
	v_lshlrev_b32_e32 v1, 16, v1
	v_trunc_f32_e32 v1, v1
	v_mul_f32_e64 v2, |v1|, s0
	v_floor_f32_e32 v2, v2
	v_fma_f32 v2, v2, s1, |v1|
	v_cvt_u32_f32_e32 v2, v2
	v_ashrrev_i32_e32 v1, 31, v1
	s_mov_b64 s[0:1], -1
	v_xor_b32_e32 v2, v2, v1
	v_sub_u32_e32 v1, v2, v1
	s_branch .LBB7_864
.LBB7_860:
	s_mov_b64 s[60:61], -1
                                        ; implicit-def: $vgpr1
	s_branch .LBB7_865
.LBB7_861:
	s_andn2_saveexec_b64 s[0:1], s[0:1]
	s_cbranch_execz .LBB7_842
.LBB7_862:
	v_cmp_ne_u16_e32 vcc, 0, v2
	s_andn2_b64 s[60:61], s[60:61], exec
	s_and_b64 s[64:65], vcc, exec
	s_or_b64 s[60:61], s[60:61], s[64:65]
	s_or_b64 exec, exec, s[0:1]
	v_mov_b32_e32 v1, 0
	s_and_saveexec_b64 s[0:1], s[60:61]
	s_cbranch_execnz .LBB7_843
	s_branch .LBB7_844
.LBB7_863:
	s_mov_b64 s[58:59], -1
                                        ; implicit-def: $vgpr1
.LBB7_864:
	s_mov_b64 s[60:61], 0
.LBB7_865:
	s_and_b64 vcc, exec, s[60:61]
	s_cbranch_vccz .LBB7_869
; %bb.866:
	s_cmp_eq_u32 s62, 11
	s_cbranch_scc0 .LBB7_868
; %bb.867:
	global_load_ubyte v1, v[4:5], off
	s_mov_b64 s[0:1], -1
	s_mov_b64 s[58:59], 0
	s_waitcnt vmcnt(0)
	v_cmp_ne_u16_e32 vcc, 0, v1
	v_cndmask_b32_e64 v1, 0, 1, vcc
	s_branch .LBB7_869
.LBB7_868:
	s_mov_b64 s[58:59], -1
                                        ; implicit-def: $vgpr1
.LBB7_869:
	s_mov_b64 s[60:61], 0
.LBB7_870:
	s_and_b64 vcc, exec, s[60:61]
	s_cbranch_vccz .LBB7_919
; %bb.871:
	s_and_b32 s14, 0xffff, s14
	s_cmp_lt_i32 s14, 5
	s_cbranch_scc1 .LBB7_876
; %bb.872:
	s_cmp_lt_i32 s14, 8
	s_cbranch_scc1 .LBB7_877
; %bb.873:
	;; [unrolled: 3-line block ×3, first 2 shown]
	s_cmp_gt_i32 s14, 9
	s_cbranch_scc0 .LBB7_879
; %bb.875:
	global_load_dwordx2 v[1:2], v[4:5], off
	s_movk_i32 s0, 0xffe0
	s_waitcnt vmcnt(0)
	v_trunc_f64_e32 v[1:2], v[1:2]
	v_ldexp_f64 v[6:7], v[1:2], s0
	s_mov_b32 s0, 0
	s_mov_b32 s1, 0xc1f00000
	v_floor_f64_e32 v[6:7], v[6:7]
	v_fma_f64 v[1:2], v[6:7], s[0:1], v[1:2]
	s_mov_b64 s[0:1], 0
	v_cvt_u32_f64_e32 v1, v[1:2]
	s_branch .LBB7_880
.LBB7_876:
	s_mov_b64 s[0:1], -1
                                        ; implicit-def: $vgpr1
	s_branch .LBB7_898
.LBB7_877:
	s_mov_b64 s[0:1], -1
                                        ; implicit-def: $vgpr1
	s_branch .LBB7_886
.LBB7_878:
	s_mov_b64 s[0:1], -1
                                        ; implicit-def: $vgpr1
	s_branch .LBB7_883
.LBB7_879:
	s_mov_b64 s[0:1], -1
                                        ; implicit-def: $vgpr1
.LBB7_880:
	s_andn2_b64 vcc, exec, s[0:1]
	s_cbranch_vccnz .LBB7_882
; %bb.881:
	global_load_dword v1, v[4:5], off
	s_mov_b32 s0, 0x2f800000
	s_waitcnt vmcnt(0)
	v_trunc_f32_e32 v1, v1
	v_mul_f32_e64 v2, |v1|, s0
	v_floor_f32_e32 v2, v2
	s_mov_b32 s0, 0xcf800000
	v_fma_f32 v2, v2, s0, |v1|
	v_cvt_u32_f32_e32 v2, v2
	v_ashrrev_i32_e32 v1, 31, v1
	v_xor_b32_e32 v2, v2, v1
	v_sub_u32_e32 v1, v2, v1
.LBB7_882:
	s_mov_b64 s[0:1], 0
.LBB7_883:
	s_andn2_b64 vcc, exec, s[0:1]
	s_cbranch_vccnz .LBB7_885
; %bb.884:
	global_load_dword v1, v[4:5], off
	s_waitcnt vmcnt(0)
	v_cvt_f32_f16_e32 v1, v1
	v_cvt_i32_f32_e32 v1, v1
.LBB7_885:
	s_mov_b64 s[0:1], 0
.LBB7_886:
	s_andn2_b64 vcc, exec, s[0:1]
	s_cbranch_vccnz .LBB7_897
; %bb.887:
	s_cmp_lt_i32 s14, 6
	s_cbranch_scc1 .LBB7_890
; %bb.888:
	s_cmp_gt_i32 s14, 6
	s_cbranch_scc0 .LBB7_891
; %bb.889:
	global_load_dwordx2 v[1:2], v[4:5], off
	s_movk_i32 s0, 0xffe0
	s_waitcnt vmcnt(0)
	v_trunc_f64_e32 v[1:2], v[1:2]
	v_ldexp_f64 v[6:7], v[1:2], s0
	s_mov_b32 s0, 0
	s_mov_b32 s1, 0xc1f00000
	v_floor_f64_e32 v[6:7], v[6:7]
	v_fma_f64 v[1:2], v[6:7], s[0:1], v[1:2]
	s_mov_b64 s[0:1], 0
	v_cvt_u32_f64_e32 v1, v[1:2]
	s_branch .LBB7_892
.LBB7_890:
	s_mov_b64 s[0:1], -1
                                        ; implicit-def: $vgpr1
	s_branch .LBB7_895
.LBB7_891:
	s_mov_b64 s[0:1], -1
                                        ; implicit-def: $vgpr1
.LBB7_892:
	s_andn2_b64 vcc, exec, s[0:1]
	s_cbranch_vccnz .LBB7_894
; %bb.893:
	global_load_dword v1, v[4:5], off
	s_mov_b32 s0, 0x2f800000
	s_waitcnt vmcnt(0)
	v_trunc_f32_e32 v1, v1
	v_mul_f32_e64 v2, |v1|, s0
	v_floor_f32_e32 v2, v2
	s_mov_b32 s0, 0xcf800000
	v_fma_f32 v2, v2, s0, |v1|
	v_cvt_u32_f32_e32 v2, v2
	v_ashrrev_i32_e32 v1, 31, v1
	v_xor_b32_e32 v2, v2, v1
	v_sub_u32_e32 v1, v2, v1
.LBB7_894:
	s_mov_b64 s[0:1], 0
.LBB7_895:
	s_andn2_b64 vcc, exec, s[0:1]
	s_cbranch_vccnz .LBB7_897
; %bb.896:
	global_load_ushort v1, v[4:5], off
	s_waitcnt vmcnt(0)
	v_cvt_f32_f16_e32 v1, v1
	v_cvt_i32_f32_e32 v1, v1
.LBB7_897:
	s_mov_b64 s[0:1], 0
.LBB7_898:
	s_andn2_b64 vcc, exec, s[0:1]
	s_cbranch_vccnz .LBB7_918
; %bb.899:
	s_cmp_lt_i32 s14, 2
	s_cbranch_scc1 .LBB7_903
; %bb.900:
	s_cmp_lt_i32 s14, 3
	s_cbranch_scc1 .LBB7_904
; %bb.901:
	s_cmp_gt_i32 s14, 3
	s_cbranch_scc0 .LBB7_905
; %bb.902:
	global_load_dwordx2 v[1:2], v[4:5], off
	s_mov_b64 s[0:1], 0
	s_branch .LBB7_906
.LBB7_903:
	s_mov_b64 s[0:1], -1
                                        ; implicit-def: $vgpr1
	s_branch .LBB7_912
.LBB7_904:
	s_mov_b64 s[0:1], -1
                                        ; implicit-def: $vgpr1
	s_branch .LBB7_909
.LBB7_905:
	s_mov_b64 s[0:1], -1
                                        ; implicit-def: $vgpr1
.LBB7_906:
	s_andn2_b64 vcc, exec, s[0:1]
	s_cbranch_vccnz .LBB7_908
; %bb.907:
	global_load_dword v1, v[4:5], off
.LBB7_908:
	s_mov_b64 s[0:1], 0
.LBB7_909:
	s_andn2_b64 vcc, exec, s[0:1]
	s_cbranch_vccnz .LBB7_911
; %bb.910:
	global_load_ushort v1, v[4:5], off
.LBB7_911:
	s_mov_b64 s[0:1], 0
.LBB7_912:
	s_andn2_b64 vcc, exec, s[0:1]
	s_cbranch_vccnz .LBB7_918
; %bb.913:
	s_cmp_gt_i32 s14, 0
	s_cbranch_scc0 .LBB7_915
; %bb.914:
	global_load_ubyte v1, v[4:5], off
	s_mov_b64 s[0:1], 0
	s_branch .LBB7_916
.LBB7_915:
	s_mov_b64 s[0:1], -1
                                        ; implicit-def: $vgpr1
.LBB7_916:
	s_andn2_b64 vcc, exec, s[0:1]
	s_cbranch_vccnz .LBB7_918
; %bb.917:
	global_load_ubyte v1, v[4:5], off
.LBB7_918:
	s_mov_b64 s[0:1], -1
.LBB7_919:
	s_andn2_b64 vcc, exec, s[0:1]
	s_cbranch_vccnz .LBB7_927
; %bb.920:
	v_mov_b32_e32 v4, s13
	s_and_b32 s14, s73, 0xff
	s_waitcnt vmcnt(0)
	v_add_co_u32_e32 v2, vcc, s12, v3
	s_cmp_lt_i32 s14, 11
	v_addc_co_u32_e32 v3, vcc, 0, v4, vcc
	s_cbranch_scc1 .LBB7_929
; %bb.921:
	s_and_b32 s64, 0xffff, s14
	s_cmp_gt_i32 s64, 25
	s_cbranch_scc0 .LBB7_930
; %bb.922:
	s_cmp_gt_i32 s64, 28
	s_cbranch_scc0 .LBB7_931
; %bb.923:
	;; [unrolled: 3-line block ×4, first 2 shown]
	s_cmp_eq_u32 s64, 46
	s_mov_b64 s[62:63], 0
	s_cbranch_scc0 .LBB7_936
; %bb.926:
	global_load_dword v4, v[2:3], off
	s_mov_b32 s0, 0x2f800000
	s_mov_b32 s1, 0xcf800000
	s_mov_b64 s[60:61], 0
	s_waitcnt vmcnt(0)
	v_lshlrev_b32_e32 v4, 16, v4
	v_trunc_f32_e32 v4, v4
	v_mul_f32_e64 v5, |v4|, s0
	v_floor_f32_e32 v5, v5
	v_fma_f32 v5, v5, s1, |v4|
	v_cvt_u32_f32_e32 v5, v5
	v_ashrrev_i32_e32 v4, 31, v4
	s_mov_b64 s[0:1], -1
	v_xor_b32_e32 v5, v5, v4
	v_sub_u32_e32 v4, v5, v4
	s_branch .LBB7_937
.LBB7_927:
	s_mov_b64 s[64:65], 0
	s_mov_b64 s[0:1], s[52:53]
	s_mov_b64 s[60:61], s[50:51]
.LBB7_928:
                                        ; implicit-def: $vgpr10
	s_branch .LBB7_1171
.LBB7_929:
	s_mov_b64 s[62:63], -1
	s_mov_b64 s[0:1], 0
                                        ; implicit-def: $vgpr4
	s_mov_b64 s[60:61], s[50:51]
	s_branch .LBB7_998
.LBB7_930:
	s_mov_b64 s[62:63], -1
	s_mov_b64 s[0:1], 0
	s_mov_b64 s[60:61], s[50:51]
                                        ; implicit-def: $vgpr4
	s_branch .LBB7_964
.LBB7_931:
	s_mov_b64 s[62:63], -1
	s_mov_b64 s[0:1], 0
	s_mov_b64 s[60:61], s[50:51]
                                        ; implicit-def: $vgpr4
	s_branch .LBB7_947
.LBB7_932:
	s_mov_b64 s[62:63], -1
	s_mov_b64 s[0:1], 0
	s_mov_b64 s[60:61], s[50:51]
                                        ; implicit-def: $vgpr4
	s_branch .LBB7_942
.LBB7_933:
	s_mov_b64 s[62:63], -1
	s_mov_b64 s[0:1], 0
	s_mov_b64 s[60:61], s[50:51]
                                        ; implicit-def: $vgpr4
	s_branch .LBB7_937
.LBB7_934:
	s_andn2_saveexec_b64 s[60:61], s[60:61]
	s_cbranch_execz .LBB7_702
.LBB7_935:
	v_add_f32_e32 v2, 0x42800000, v3
	v_and_b32_e32 v2, 0xff, v2
	v_cmp_ne_u32_e32 vcc, 0, v2
	s_andn2_b64 s[58:59], s[58:59], exec
	s_and_b64 s[64:65], vcc, exec
	s_or_b64 s[58:59], s[58:59], s[64:65]
	s_or_b64 exec, exec, s[60:61]
	v_mov_b32_e32 v4, 0
	s_and_saveexec_b64 s[60:61], s[58:59]
	s_cbranch_execnz .LBB7_703
	s_branch .LBB7_704
.LBB7_936:
	s_mov_b64 s[60:61], -1
                                        ; implicit-def: $vgpr4
	s_mov_b64 s[0:1], 0
.LBB7_937:
	s_and_b64 vcc, exec, s[62:63]
	s_cbranch_vccz .LBB7_941
; %bb.938:
	s_cmp_eq_u32 s64, 44
	s_cbranch_scc0 .LBB7_940
; %bb.939:
	global_load_ubyte v4, v[2:3], off
	s_mov_b32 s0, 0x2f800000
	s_mov_b32 s1, 0xcf800000
	s_mov_b64 s[60:61], 0
	s_waitcnt vmcnt(0)
	v_lshlrev_b32_e32 v5, 23, v4
	v_trunc_f32_e32 v5, v5
	v_mul_f32_e64 v6, |v5|, s0
	v_floor_f32_e32 v6, v6
	v_fma_f32 v6, v6, s1, |v5|
	v_cvt_u32_f32_e32 v6, v6
	v_ashrrev_i32_e32 v5, 31, v5
	v_cmp_ne_u32_e32 vcc, 0, v4
	s_mov_b64 s[0:1], -1
	v_xor_b32_e32 v6, v6, v5
	v_sub_u32_e32 v5, v6, v5
	v_cndmask_b32_e32 v4, 0, v5, vcc
	s_branch .LBB7_941
.LBB7_940:
	s_mov_b64 s[60:61], -1
                                        ; implicit-def: $vgpr4
.LBB7_941:
	s_mov_b64 s[62:63], 0
.LBB7_942:
	s_and_b64 vcc, exec, s[62:63]
	s_cbranch_vccz .LBB7_946
; %bb.943:
	s_cmp_eq_u32 s64, 29
	s_cbranch_scc0 .LBB7_945
; %bb.944:
	global_load_dwordx2 v[4:5], v[2:3], off
	s_mov_b64 s[0:1], -1
	s_mov_b64 s[60:61], 0
	s_branch .LBB7_946
.LBB7_945:
	s_mov_b64 s[60:61], -1
                                        ; implicit-def: $vgpr4
.LBB7_946:
	s_mov_b64 s[62:63], 0
.LBB7_947:
	s_and_b64 vcc, exec, s[62:63]
	s_cbranch_vccz .LBB7_963
; %bb.948:
	s_cmp_lt_i32 s64, 27
	s_cbranch_scc1 .LBB7_951
; %bb.949:
	s_cmp_gt_i32 s64, 27
	s_cbranch_scc0 .LBB7_952
; %bb.950:
	global_load_dword v4, v[2:3], off
	s_mov_b64 s[0:1], 0
	s_branch .LBB7_953
.LBB7_951:
	s_mov_b64 s[0:1], -1
                                        ; implicit-def: $vgpr4
	s_branch .LBB7_956
.LBB7_952:
	s_mov_b64 s[0:1], -1
                                        ; implicit-def: $vgpr4
.LBB7_953:
	s_andn2_b64 vcc, exec, s[0:1]
	s_cbranch_vccnz .LBB7_955
; %bb.954:
	global_load_ushort v4, v[2:3], off
.LBB7_955:
	s_mov_b64 s[0:1], 0
.LBB7_956:
	s_andn2_b64 vcc, exec, s[0:1]
	s_cbranch_vccnz .LBB7_962
; %bb.957:
	global_load_ubyte v5, v[2:3], off
	s_movk_i32 s0, 0x7f
	s_mov_b64 s[62:63], 0
	s_waitcnt vmcnt(0)
	v_cmp_lt_i16_e32 vcc, s0, v5
	s_and_saveexec_b64 s[0:1], vcc
	s_xor_b64 s[0:1], exec, s[0:1]
	s_cbranch_execz .LBB7_974
; %bb.958:
	s_movk_i32 s62, 0x80
	v_cmp_ne_u16_e32 vcc, s62, v5
	s_and_b64 s[62:63], vcc, exec
	s_andn2_saveexec_b64 s[0:1], s[0:1]
	s_cbranch_execnz .LBB7_975
.LBB7_959:
	s_or_b64 exec, exec, s[0:1]
	v_mov_b32_e32 v4, 0
	s_and_saveexec_b64 s[0:1], s[62:63]
	s_cbranch_execz .LBB7_961
.LBB7_960:
	v_lshlrev_b32_e32 v4, 24, v5
	v_and_b32_e32 v5, 0xffff, v5
	v_and_b32_e32 v6, 7, v5
	v_ffbh_u32_e32 v8, v6
	v_min_u32_e32 v8, 32, v8
	v_subrev_u32_e32 v9, 28, v8
	v_bfe_u32 v7, v5, 3, 4
	v_lshlrev_b32_e32 v5, v9, v5
	v_sub_u32_e32 v8, 29, v8
	v_and_b32_e32 v5, 7, v5
	v_cmp_eq_u32_e32 vcc, 0, v7
	v_cndmask_b32_e32 v7, v7, v8, vcc
	v_cndmask_b32_e32 v5, v6, v5, vcc
	v_mov_b32_e32 v6, 0x3b800000
	v_lshlrev_b32_e32 v5, 20, v5
	v_and_b32_e32 v4, 0x80000000, v4
	v_lshl_add_u32 v6, v7, 23, v6
	v_or3_b32 v4, v4, v6, v5
	v_trunc_f32_e32 v4, v4
	s_mov_b32 s62, 0x2f800000
	v_mul_f32_e64 v5, |v4|, s62
	v_floor_f32_e32 v5, v5
	s_mov_b32 s62, 0xcf800000
	v_fma_f32 v5, v5, s62, |v4|
	v_cvt_u32_f32_e32 v5, v5
	v_ashrrev_i32_e32 v4, 31, v4
	v_xor_b32_e32 v5, v5, v4
	v_sub_u32_e32 v4, v5, v4
.LBB7_961:
	s_or_b64 exec, exec, s[0:1]
.LBB7_962:
	s_mov_b64 s[0:1], -1
.LBB7_963:
	s_mov_b64 s[62:63], 0
.LBB7_964:
	s_and_b64 vcc, exec, s[62:63]
	s_cbranch_vccz .LBB7_997
; %bb.965:
	s_cmp_gt_i32 s64, 22
	s_cbranch_scc0 .LBB7_973
; %bb.966:
	s_cmp_lt_i32 s64, 24
	s_cbranch_scc1 .LBB7_976
; %bb.967:
	s_cmp_gt_i32 s64, 24
	s_cbranch_scc0 .LBB7_977
; %bb.968:
	global_load_ubyte v5, v[2:3], off
	s_movk_i32 s0, 0x7f
	s_mov_b64 s[62:63], 0
	s_waitcnt vmcnt(0)
	v_cmp_lt_i16_e32 vcc, s0, v5
	s_and_saveexec_b64 s[0:1], vcc
	s_xor_b64 s[0:1], exec, s[0:1]
	s_cbranch_execz .LBB7_989
; %bb.969:
	s_movk_i32 s62, 0x80
	v_cmp_ne_u16_e32 vcc, s62, v5
	s_and_b64 s[62:63], vcc, exec
	s_andn2_saveexec_b64 s[0:1], s[0:1]
	s_cbranch_execnz .LBB7_990
.LBB7_970:
	s_or_b64 exec, exec, s[0:1]
	v_mov_b32_e32 v4, 0
	s_and_saveexec_b64 s[0:1], s[62:63]
	s_cbranch_execz .LBB7_972
.LBB7_971:
	v_lshlrev_b32_e32 v4, 24, v5
	v_and_b32_e32 v5, 0xffff, v5
	v_and_b32_e32 v6, 3, v5
	v_ffbh_u32_e32 v8, v6
	v_min_u32_e32 v8, 32, v8
	v_subrev_u32_e32 v9, 29, v8
	v_bfe_u32 v7, v5, 2, 5
	v_lshlrev_b32_e32 v5, v9, v5
	v_sub_u32_e32 v8, 30, v8
	v_and_b32_e32 v5, 3, v5
	v_cmp_eq_u32_e32 vcc, 0, v7
	v_cndmask_b32_e32 v7, v7, v8, vcc
	v_cndmask_b32_e32 v5, v6, v5, vcc
	v_mov_b32_e32 v6, 0x37800000
	v_lshlrev_b32_e32 v5, 21, v5
	v_and_b32_e32 v4, 0x80000000, v4
	v_lshl_add_u32 v6, v7, 23, v6
	v_or3_b32 v4, v4, v6, v5
	v_trunc_f32_e32 v4, v4
	s_mov_b32 s62, 0x2f800000
	v_mul_f32_e64 v5, |v4|, s62
	v_floor_f32_e32 v5, v5
	s_mov_b32 s62, 0xcf800000
	v_fma_f32 v5, v5, s62, |v4|
	v_cvt_u32_f32_e32 v5, v5
	v_ashrrev_i32_e32 v4, 31, v4
	v_xor_b32_e32 v5, v5, v4
	v_sub_u32_e32 v4, v5, v4
.LBB7_972:
	s_or_b64 exec, exec, s[0:1]
	s_mov_b64 s[0:1], 0
	s_branch .LBB7_978
.LBB7_973:
	s_mov_b64 s[62:63], -1
                                        ; implicit-def: $vgpr4
	s_branch .LBB7_984
.LBB7_974:
	s_andn2_saveexec_b64 s[0:1], s[0:1]
	s_cbranch_execz .LBB7_959
.LBB7_975:
	v_cmp_ne_u16_e32 vcc, 0, v5
	s_andn2_b64 s[62:63], s[62:63], exec
	s_and_b64 s[66:67], vcc, exec
	s_or_b64 s[62:63], s[62:63], s[66:67]
	s_or_b64 exec, exec, s[0:1]
	v_mov_b32_e32 v4, 0
	s_and_saveexec_b64 s[0:1], s[62:63]
	s_cbranch_execnz .LBB7_960
	s_branch .LBB7_961
.LBB7_976:
	s_mov_b64 s[0:1], -1
                                        ; implicit-def: $vgpr4
	s_branch .LBB7_981
.LBB7_977:
	s_mov_b64 s[0:1], -1
                                        ; implicit-def: $vgpr4
.LBB7_978:
	s_and_b64 vcc, exec, s[0:1]
	s_cbranch_vccz .LBB7_980
; %bb.979:
	global_load_ubyte v4, v[2:3], off
	s_mov_b32 s0, 0x7f800000
	s_brev_b32 s1, 1
	s_mov_b32 s62, 0x2f800000
	s_waitcnt vmcnt(0)
	v_lshlrev_b32_e32 v4, 24, v4
	v_and_b32_e32 v5, 0x7f000000, v4
	v_ffbh_u32_e32 v6, v5
	v_min_u32_e32 v6, 32, v6
	v_sub_u32_e64 v6, v6, 4 clamp
	v_lshlrev_b32_e32 v8, v6, v5
	v_lshlrev_b32_e32 v6, 23, v6
	v_lshrrev_b32_e32 v8, 4, v8
	v_add_u32_e32 v7, 0x1000000, v5
	v_sub_u32_e32 v6, v8, v6
	v_ashrrev_i32_e32 v7, 8, v7
	v_add_u32_e32 v6, 0x3c000000, v6
	v_and_or_b32 v6, v7, s0, v6
	v_cmp_ne_u32_e32 vcc, 0, v5
	v_cndmask_b32_e32 v5, 0, v6, vcc
	v_and_or_b32 v4, v4, s1, v5
	v_trunc_f32_e32 v4, v4
	v_mul_f32_e64 v5, |v4|, s62
	v_floor_f32_e32 v5, v5
	s_mov_b32 s0, 0xcf800000
	v_fma_f32 v5, v5, s0, |v4|
	v_cvt_u32_f32_e32 v5, v5
	v_ashrrev_i32_e32 v4, 31, v4
	v_xor_b32_e32 v5, v5, v4
	v_sub_u32_e32 v4, v5, v4
.LBB7_980:
	s_mov_b64 s[0:1], 0
.LBB7_981:
	s_andn2_b64 vcc, exec, s[0:1]
	s_cbranch_vccnz .LBB7_983
; %bb.982:
	global_load_ubyte v4, v[2:3], off
	s_movk_i32 s0, 0x7f00
	s_brev_b32 s1, 16
	s_brev_b32 s62, 1
	s_mov_b32 s63, 0x2f800000
	s_waitcnt vmcnt(0)
	v_lshlrev_b16_e32 v5, 8, v4
	v_lshlrev_b32_e32 v4, 25, v4
	v_lshrrev_b32_e32 v6, 4, v4
	v_and_or_b32 v7, v5, s0, 0.5
	v_or_b32_e32 v6, 0x70000000, v6
	v_add_f32_e32 v7, -0.5, v7
	v_mul_f32_e32 v6, 0x7800000, v6
	v_cmp_gt_u32_e32 vcc, s1, v4
	v_bfe_i32 v5, v5, 0, 16
	v_cndmask_b32_e32 v4, v6, v7, vcc
	v_and_or_b32 v4, v5, s62, v4
	v_trunc_f32_e32 v4, v4
	v_mul_f32_e64 v5, |v4|, s63
	v_floor_f32_e32 v5, v5
	s_mov_b32 s0, 0xcf800000
	v_fma_f32 v5, v5, s0, |v4|
	v_cvt_u32_f32_e32 v5, v5
	v_ashrrev_i32_e32 v4, 31, v4
	v_xor_b32_e32 v5, v5, v4
	v_sub_u32_e32 v4, v5, v4
.LBB7_983:
	s_mov_b64 s[62:63], 0
	s_mov_b64 s[0:1], -1
.LBB7_984:
	s_andn2_b64 vcc, exec, s[62:63]
	s_cbranch_vccnz .LBB7_997
; %bb.985:
	s_cmp_gt_i32 s64, 14
	s_cbranch_scc0 .LBB7_988
; %bb.986:
	s_cmp_eq_u32 s64, 15
	s_cbranch_scc0 .LBB7_991
; %bb.987:
	global_load_ushort v4, v[2:3], off
	s_mov_b32 s0, 0x2f800000
	s_mov_b32 s1, 0xcf800000
	s_mov_b64 s[60:61], 0
	s_waitcnt vmcnt(0)
	v_lshlrev_b32_e32 v4, 16, v4
	v_trunc_f32_e32 v4, v4
	v_mul_f32_e64 v5, |v4|, s0
	v_floor_f32_e32 v5, v5
	v_fma_f32 v5, v5, s1, |v4|
	v_cvt_u32_f32_e32 v5, v5
	v_ashrrev_i32_e32 v4, 31, v4
	s_mov_b64 s[0:1], -1
	v_xor_b32_e32 v5, v5, v4
	v_sub_u32_e32 v4, v5, v4
	s_branch .LBB7_992
.LBB7_988:
	s_mov_b64 s[62:63], -1
                                        ; implicit-def: $vgpr4
	s_branch .LBB7_993
.LBB7_989:
	s_andn2_saveexec_b64 s[0:1], s[0:1]
	s_cbranch_execz .LBB7_970
.LBB7_990:
	v_cmp_ne_u16_e32 vcc, 0, v5
	s_andn2_b64 s[62:63], s[62:63], exec
	s_and_b64 s[66:67], vcc, exec
	s_or_b64 s[62:63], s[62:63], s[66:67]
	s_or_b64 exec, exec, s[0:1]
	v_mov_b32_e32 v4, 0
	s_and_saveexec_b64 s[0:1], s[62:63]
	s_cbranch_execnz .LBB7_971
	s_branch .LBB7_972
.LBB7_991:
	s_mov_b64 s[60:61], -1
                                        ; implicit-def: $vgpr4
.LBB7_992:
	s_mov_b64 s[62:63], 0
.LBB7_993:
	s_and_b64 vcc, exec, s[62:63]
	s_cbranch_vccz .LBB7_997
; %bb.994:
	s_cmp_eq_u32 s64, 11
	s_cbranch_scc0 .LBB7_996
; %bb.995:
	global_load_ubyte v4, v[2:3], off
	s_mov_b64 s[0:1], -1
	s_mov_b64 s[60:61], 0
	s_waitcnt vmcnt(0)
	v_cmp_ne_u16_e32 vcc, 0, v4
	v_cndmask_b32_e64 v4, 0, 1, vcc
	s_branch .LBB7_997
.LBB7_996:
	s_mov_b64 s[60:61], -1
                                        ; implicit-def: $vgpr4
.LBB7_997:
	s_mov_b64 s[62:63], 0
.LBB7_998:
	s_and_b64 vcc, exec, s[62:63]
	s_cbranch_vccz .LBB7_1047
; %bb.999:
	s_and_b32 s14, 0xffff, s14
	s_cmp_lt_i32 s14, 5
	s_cbranch_scc1 .LBB7_1004
; %bb.1000:
	s_cmp_lt_i32 s14, 8
	s_cbranch_scc1 .LBB7_1005
; %bb.1001:
	;; [unrolled: 3-line block ×3, first 2 shown]
	s_cmp_gt_i32 s14, 9
	s_cbranch_scc0 .LBB7_1007
; %bb.1003:
	global_load_dwordx2 v[4:5], v[2:3], off
	s_movk_i32 s0, 0xffe0
	s_waitcnt vmcnt(0)
	v_trunc_f64_e32 v[4:5], v[4:5]
	v_ldexp_f64 v[6:7], v[4:5], s0
	s_mov_b32 s0, 0
	s_mov_b32 s1, 0xc1f00000
	v_floor_f64_e32 v[6:7], v[6:7]
	v_fma_f64 v[4:5], v[6:7], s[0:1], v[4:5]
	s_mov_b64 s[0:1], 0
	v_cvt_u32_f64_e32 v4, v[4:5]
	s_branch .LBB7_1008
.LBB7_1004:
	s_mov_b64 s[0:1], -1
                                        ; implicit-def: $vgpr4
	s_branch .LBB7_1026
.LBB7_1005:
	s_mov_b64 s[0:1], -1
                                        ; implicit-def: $vgpr4
	s_branch .LBB7_1014
.LBB7_1006:
	s_mov_b64 s[0:1], -1
                                        ; implicit-def: $vgpr4
	s_branch .LBB7_1011
.LBB7_1007:
	s_mov_b64 s[0:1], -1
                                        ; implicit-def: $vgpr4
.LBB7_1008:
	s_andn2_b64 vcc, exec, s[0:1]
	s_cbranch_vccnz .LBB7_1010
; %bb.1009:
	global_load_dword v4, v[2:3], off
	s_mov_b32 s0, 0x2f800000
	s_waitcnt vmcnt(0)
	v_trunc_f32_e32 v4, v4
	v_mul_f32_e64 v5, |v4|, s0
	v_floor_f32_e32 v5, v5
	s_mov_b32 s0, 0xcf800000
	v_fma_f32 v5, v5, s0, |v4|
	v_cvt_u32_f32_e32 v5, v5
	v_ashrrev_i32_e32 v4, 31, v4
	v_xor_b32_e32 v5, v5, v4
	v_sub_u32_e32 v4, v5, v4
.LBB7_1010:
	s_mov_b64 s[0:1], 0
.LBB7_1011:
	s_andn2_b64 vcc, exec, s[0:1]
	s_cbranch_vccnz .LBB7_1013
; %bb.1012:
	global_load_dword v4, v[2:3], off
	s_waitcnt vmcnt(0)
	v_cvt_f32_f16_e32 v4, v4
	v_cvt_i32_f32_e32 v4, v4
.LBB7_1013:
	s_mov_b64 s[0:1], 0
.LBB7_1014:
	s_andn2_b64 vcc, exec, s[0:1]
	s_cbranch_vccnz .LBB7_1025
; %bb.1015:
	s_cmp_lt_i32 s14, 6
	s_cbranch_scc1 .LBB7_1018
; %bb.1016:
	s_cmp_gt_i32 s14, 6
	s_cbranch_scc0 .LBB7_1019
; %bb.1017:
	global_load_dwordx2 v[4:5], v[2:3], off
	s_movk_i32 s0, 0xffe0
	s_waitcnt vmcnt(0)
	v_trunc_f64_e32 v[4:5], v[4:5]
	v_ldexp_f64 v[6:7], v[4:5], s0
	s_mov_b32 s0, 0
	s_mov_b32 s1, 0xc1f00000
	v_floor_f64_e32 v[6:7], v[6:7]
	v_fma_f64 v[4:5], v[6:7], s[0:1], v[4:5]
	s_mov_b64 s[0:1], 0
	v_cvt_u32_f64_e32 v4, v[4:5]
	s_branch .LBB7_1020
.LBB7_1018:
	s_mov_b64 s[0:1], -1
                                        ; implicit-def: $vgpr4
	s_branch .LBB7_1023
.LBB7_1019:
	s_mov_b64 s[0:1], -1
                                        ; implicit-def: $vgpr4
.LBB7_1020:
	s_andn2_b64 vcc, exec, s[0:1]
	s_cbranch_vccnz .LBB7_1022
; %bb.1021:
	global_load_dword v4, v[2:3], off
	s_mov_b32 s0, 0x2f800000
	s_waitcnt vmcnt(0)
	v_trunc_f32_e32 v4, v4
	v_mul_f32_e64 v5, |v4|, s0
	v_floor_f32_e32 v5, v5
	s_mov_b32 s0, 0xcf800000
	v_fma_f32 v5, v5, s0, |v4|
	v_cvt_u32_f32_e32 v5, v5
	v_ashrrev_i32_e32 v4, 31, v4
	v_xor_b32_e32 v5, v5, v4
	v_sub_u32_e32 v4, v5, v4
.LBB7_1022:
	s_mov_b64 s[0:1], 0
.LBB7_1023:
	s_andn2_b64 vcc, exec, s[0:1]
	s_cbranch_vccnz .LBB7_1025
; %bb.1024:
	global_load_ushort v4, v[2:3], off
	s_waitcnt vmcnt(0)
	v_cvt_f32_f16_e32 v4, v4
	v_cvt_i32_f32_e32 v4, v4
.LBB7_1025:
	s_mov_b64 s[0:1], 0
.LBB7_1026:
	s_andn2_b64 vcc, exec, s[0:1]
	s_cbranch_vccnz .LBB7_1046
; %bb.1027:
	s_cmp_lt_i32 s14, 2
	s_cbranch_scc1 .LBB7_1031
; %bb.1028:
	s_cmp_lt_i32 s14, 3
	s_cbranch_scc1 .LBB7_1032
; %bb.1029:
	s_cmp_gt_i32 s14, 3
	s_cbranch_scc0 .LBB7_1033
; %bb.1030:
	global_load_dwordx2 v[4:5], v[2:3], off
	s_mov_b64 s[0:1], 0
	s_branch .LBB7_1034
.LBB7_1031:
	s_mov_b64 s[0:1], -1
                                        ; implicit-def: $vgpr4
	s_branch .LBB7_1040
.LBB7_1032:
	s_mov_b64 s[0:1], -1
                                        ; implicit-def: $vgpr4
	s_branch .LBB7_1037
.LBB7_1033:
	s_mov_b64 s[0:1], -1
                                        ; implicit-def: $vgpr4
.LBB7_1034:
	s_andn2_b64 vcc, exec, s[0:1]
	s_cbranch_vccnz .LBB7_1036
; %bb.1035:
	global_load_dword v4, v[2:3], off
.LBB7_1036:
	s_mov_b64 s[0:1], 0
.LBB7_1037:
	s_andn2_b64 vcc, exec, s[0:1]
	s_cbranch_vccnz .LBB7_1039
; %bb.1038:
	global_load_ushort v4, v[2:3], off
.LBB7_1039:
	s_mov_b64 s[0:1], 0
.LBB7_1040:
	s_andn2_b64 vcc, exec, s[0:1]
	s_cbranch_vccnz .LBB7_1046
; %bb.1041:
	s_cmp_gt_i32 s14, 0
	s_cbranch_scc0 .LBB7_1043
; %bb.1042:
	global_load_ubyte v4, v[2:3], off
	s_mov_b64 s[0:1], 0
	s_branch .LBB7_1044
.LBB7_1043:
	s_mov_b64 s[0:1], -1
                                        ; implicit-def: $vgpr4
.LBB7_1044:
	s_andn2_b64 vcc, exec, s[0:1]
	s_cbranch_vccnz .LBB7_1046
; %bb.1045:
	global_load_ubyte v4, v[2:3], off
.LBB7_1046:
	s_mov_b64 s[0:1], -1
.LBB7_1047:
	s_andn2_b64 vcc, exec, s[0:1]
	s_cbranch_vccnz .LBB7_1055
; %bb.1048:
	s_waitcnt vmcnt(0)
	v_cmp_ne_u16_sdwa s[0:1], v1, v4 src0_sel:BYTE_0 src1_sel:BYTE_0
	s_xor_b64 s[62:63], s[28:29], s[0:1]
	v_mov_b32_e32 v1, s9
	s_and_b32 s14, s15, 0xff
	v_add_co_u32_e32 v0, vcc, s8, v0
	s_cmp_lt_i32 s14, 11
	v_addc_co_u32_e32 v1, vcc, 0, v1, vcc
	s_cbranch_scc1 .LBB7_1056
; %bb.1049:
	s_and_b32 s71, 0xffff, s14
	s_cmp_gt_i32 s71, 25
	s_cbranch_scc0 .LBB7_1057
; %bb.1050:
	s_cmp_gt_i32 s71, 28
	s_cbranch_scc0 .LBB7_1058
; %bb.1051:
	;; [unrolled: 3-line block ×4, first 2 shown]
	s_mov_b64 s[66:67], 0
	s_mov_b64 s[0:1], -1
	s_cmp_eq_u32 s71, 46
	s_mov_b64 s[64:65], 0
	s_cbranch_scc0 .LBB7_1061
; %bb.1054:
	v_cndmask_b32_e64 v2, 0, 1.0, s[62:63]
	v_bfe_u32 v3, v2, 16, 1
	s_movk_i32 s0, 0x7fff
	v_add3_u32 v2, v2, v3, s0
	v_lshrrev_b32_e32 v2, 16, v2
	global_store_dword v[0:1], v2, off
	s_mov_b64 s[64:65], -1
	s_mov_b64 s[0:1], 0
	s_branch .LBB7_1061
.LBB7_1055:
	s_mov_b64 s[64:65], 0
                                        ; implicit-def: $vgpr10
	s_mov_b64 s[0:1], s[52:53]
	s_branch .LBB7_1171
.LBB7_1056:
	s_mov_b64 s[66:67], -1
	s_mov_b64 s[64:65], 0
	s_mov_b64 s[0:1], s[52:53]
	s_branch .LBB7_1130
.LBB7_1057:
	s_mov_b64 s[66:67], -1
	s_mov_b64 s[64:65], 0
	s_mov_b64 s[0:1], s[52:53]
	s_branch .LBB7_1088
.LBB7_1058:
	s_mov_b64 s[66:67], -1
	s_mov_b64 s[64:65], 0
	s_mov_b64 s[0:1], s[52:53]
	s_branch .LBB7_1071
.LBB7_1059:
	s_mov_b64 s[66:67], -1
	s_mov_b64 s[64:65], 0
	s_mov_b64 s[0:1], s[52:53]
	s_branch .LBB7_1067
.LBB7_1060:
	s_mov_b64 s[66:67], -1
	s_mov_b64 s[64:65], 0
	s_mov_b64 s[0:1], s[52:53]
.LBB7_1061:
	s_and_b64 vcc, exec, s[66:67]
	s_cbranch_vccz .LBB7_1066
; %bb.1062:
	s_cmp_eq_u32 s71, 44
	s_mov_b64 s[0:1], -1
	s_cbranch_scc0 .LBB7_1066
; %bb.1063:
	v_cndmask_b32_e64 v3, 0, 1.0, s[62:63]
	v_lshrrev_b32_e32 v2, 23, v3
	s_movk_i32 s0, 0xff
	v_cmp_ne_u32_e32 vcc, s0, v2
	v_mov_b32_e32 v4, 0xff
	s_and_saveexec_b64 s[64:65], vcc
; %bb.1064:
	s_mov_b32 s0, 0x3fffff
	v_and_b32_e32 v4, 0x400000, v3
	v_and_or_b32 v3, v3, s0, v2
	v_cmp_ne_u32_e32 vcc, 0, v4
	v_cmp_ne_u32_e64 s[0:1], 0, v3
	s_and_b64 s[0:1], vcc, s[0:1]
	v_cndmask_b32_e64 v3, 0, 1, s[0:1]
	v_add_u32_e32 v4, v2, v3
; %bb.1065:
	s_or_b64 exec, exec, s[64:65]
	s_mov_b64 s[64:65], -1
	s_mov_b64 s[0:1], 0
	global_store_byte v[0:1], v4, off
.LBB7_1066:
	s_mov_b64 s[66:67], 0
.LBB7_1067:
	s_and_b64 vcc, exec, s[66:67]
	s_cbranch_vccz .LBB7_1070
; %bb.1068:
	s_cmp_eq_u32 s71, 29
	s_mov_b64 s[0:1], -1
	s_cbranch_scc0 .LBB7_1070
; %bb.1069:
	s_mov_b32 s0, 0
	v_cndmask_b32_e64 v2, 0, 1, s[62:63]
	v_mov_b32_e32 v3, s0
	global_store_dwordx2 v[0:1], v[2:3], off
	s_mov_b64 s[64:65], -1
	s_mov_b64 s[0:1], 0
.LBB7_1070:
	s_mov_b64 s[66:67], 0
.LBB7_1071:
	s_and_b64 vcc, exec, s[66:67]
	s_cbranch_vccz .LBB7_1087
; %bb.1072:
	s_cmp_lt_i32 s71, 27
	s_mov_b64 s[64:65], -1
	s_cbranch_scc1 .LBB7_1078
; %bb.1073:
	s_cmp_gt_i32 s71, 27
	s_cbranch_scc0 .LBB7_1075
; %bb.1074:
	v_cndmask_b32_e64 v2, 0, 1, s[62:63]
	s_mov_b64 s[64:65], 0
	global_store_dword v[0:1], v2, off
.LBB7_1075:
	s_andn2_b64 vcc, exec, s[64:65]
	s_cbranch_vccnz .LBB7_1077
; %bb.1076:
	v_cndmask_b32_e64 v2, 0, 1, s[62:63]
	global_store_short v[0:1], v2, off
.LBB7_1077:
	s_mov_b64 s[64:65], 0
.LBB7_1078:
	s_andn2_b64 vcc, exec, s[64:65]
	s_cbranch_vccnz .LBB7_1086
; %bb.1079:
	v_cndmask_b32_e64 v3, 0, 1.0, s[62:63]
	s_mov_b32 s64, 0x43800000
	v_cmp_gt_u32_e32 vcc, s64, v3
	v_mov_b32_e32 v4, 0x80
	s_and_saveexec_b64 s[64:65], vcc
	s_cbranch_execz .LBB7_1085
; %bb.1080:
	s_mov_b32 s66, 0x3bffffff
	v_cmp_lt_u32_e32 vcc, s66, v3
	s_mov_b64 s[66:67], 0
                                        ; implicit-def: $vgpr2
	s_and_saveexec_b64 s[68:69], vcc
	s_xor_b64 s[68:69], exec, s[68:69]
	s_cbranch_execz .LBB7_1199
; %bb.1081:
	v_bfe_u32 v2, v3, 20, 1
	s_mov_b32 s76, 0x487ffff
	v_add3_u32 v2, v3, v2, s76
	s_mov_b64 s[66:67], exec
	v_lshrrev_b32_e32 v2, 20, v2
                                        ; implicit-def: $vgpr3
	s_andn2_saveexec_b64 s[68:69], s[68:69]
	s_cbranch_execnz .LBB7_1200
.LBB7_1082:
	s_or_b64 exec, exec, s[68:69]
	v_mov_b32_e32 v4, 0
	s_and_saveexec_b64 s[68:69], s[66:67]
.LBB7_1083:
	v_mov_b32_e32 v4, v2
.LBB7_1084:
	s_or_b64 exec, exec, s[68:69]
.LBB7_1085:
	s_or_b64 exec, exec, s[64:65]
	global_store_byte v[0:1], v4, off
.LBB7_1086:
	s_mov_b64 s[64:65], -1
.LBB7_1087:
	s_mov_b64 s[66:67], 0
.LBB7_1088:
	s_and_b64 vcc, exec, s[66:67]
	s_cbranch_vccz .LBB7_1129
; %bb.1089:
	s_cmp_gt_i32 s71, 22
	s_mov_b64 s[66:67], -1
	s_cbranch_scc0 .LBB7_1121
; %bb.1090:
	s_cmp_lt_i32 s71, 24
	s_mov_b64 s[64:65], -1
	s_cbranch_scc1 .LBB7_1110
; %bb.1091:
	s_cmp_gt_i32 s71, 24
	s_cbranch_scc0 .LBB7_1099
; %bb.1092:
	v_cndmask_b32_e64 v3, 0, 1.0, s[62:63]
	s_mov_b32 s64, 0x47800000
	v_cmp_gt_u32_e32 vcc, s64, v3
	v_mov_b32_e32 v4, 0x80
	s_and_saveexec_b64 s[64:65], vcc
	s_cbranch_execz .LBB7_1098
; %bb.1093:
	s_mov_b32 s66, 0x37ffffff
	v_cmp_lt_u32_e32 vcc, s66, v3
	s_mov_b64 s[66:67], 0
                                        ; implicit-def: $vgpr2
	s_and_saveexec_b64 s[68:69], vcc
	s_xor_b64 s[68:69], exec, s[68:69]
	s_cbranch_execz .LBB7_2236
; %bb.1094:
	v_bfe_u32 v2, v3, 21, 1
	s_mov_b32 s76, 0x88fffff
	v_add3_u32 v2, v3, v2, s76
	s_mov_b64 s[66:67], exec
	v_lshrrev_b32_e32 v2, 21, v2
                                        ; implicit-def: $vgpr3
	s_andn2_saveexec_b64 s[68:69], s[68:69]
	s_cbranch_execnz .LBB7_2237
.LBB7_1095:
	s_or_b64 exec, exec, s[68:69]
	v_mov_b32_e32 v4, 0
	s_and_saveexec_b64 s[68:69], s[66:67]
.LBB7_1096:
	v_mov_b32_e32 v4, v2
.LBB7_1097:
	s_or_b64 exec, exec, s[68:69]
.LBB7_1098:
	s_or_b64 exec, exec, s[64:65]
	s_mov_b64 s[64:65], 0
	global_store_byte v[0:1], v4, off
.LBB7_1099:
	s_and_b64 vcc, exec, s[64:65]
	s_cbranch_vccz .LBB7_1109
; %bb.1100:
	v_cndmask_b32_e64 v2, 0, 1.0, s[62:63]
	s_mov_b32 s64, 0x43f00000
	v_cmp_gt_u32_e32 vcc, s64, v2
                                        ; implicit-def: $vgpr3
	s_and_saveexec_b64 s[64:65], vcc
	s_xor_b64 s[64:65], exec, s[64:65]
	s_cbranch_execz .LBB7_1106
; %bb.1101:
	s_mov_b32 s66, 0x3c7fffff
	v_cmp_lt_u32_e32 vcc, s66, v2
                                        ; implicit-def: $vgpr3
	s_and_saveexec_b64 s[66:67], vcc
	s_xor_b64 s[66:67], exec, s[66:67]
; %bb.1102:
	v_bfe_u32 v3, v2, 20, 1
	s_mov_b32 s68, 0x407ffff
	v_add3_u32 v2, v2, v3, s68
	v_lshrrev_b32_e32 v3, 20, v2
	v_and_b32_e32 v2, 0xff00000, v2
	s_mov_b32 s68, 0x7f00000
	v_mov_b32_e32 v4, 0x7e
	v_cmp_ne_u32_e32 vcc, s68, v2
	v_cndmask_b32_e32 v3, v4, v3, vcc
                                        ; implicit-def: $vgpr2
; %bb.1103:
	s_andn2_saveexec_b64 s[66:67], s[66:67]
; %bb.1104:
	v_add_f32_e32 v3, 0x46800000, v2
; %bb.1105:
	s_or_b64 exec, exec, s[66:67]
                                        ; implicit-def: $vgpr2
.LBB7_1106:
	s_andn2_saveexec_b64 s[64:65], s[64:65]
; %bb.1107:
	s_mov_b32 s66, 0x7f800000
	v_mov_b32_e32 v3, 0x7e
	v_mov_b32_e32 v4, 0x7f
	v_cmp_lt_u32_e32 vcc, s66, v2
	v_cndmask_b32_e32 v3, v3, v4, vcc
; %bb.1108:
	s_or_b64 exec, exec, s[64:65]
	global_store_byte v[0:1], v3, off
.LBB7_1109:
	s_mov_b64 s[64:65], 0
.LBB7_1110:
	s_andn2_b64 vcc, exec, s[64:65]
	s_cbranch_vccnz .LBB7_1120
; %bb.1111:
	v_cndmask_b32_e64 v2, 0, 1.0, s[62:63]
	s_mov_b32 s64, 0x47800000
	v_cmp_gt_u32_e32 vcc, s64, v2
                                        ; implicit-def: $vgpr3
	s_and_saveexec_b64 s[64:65], vcc
	s_xor_b64 s[64:65], exec, s[64:65]
	s_cbranch_execz .LBB7_1117
; %bb.1112:
	s_mov_b32 s66, 0x387fffff
	v_cmp_lt_u32_e32 vcc, s66, v2
                                        ; implicit-def: $vgpr3
	s_and_saveexec_b64 s[66:67], vcc
	s_xor_b64 s[66:67], exec, s[66:67]
; %bb.1113:
	v_bfe_u32 v3, v2, 21, 1
	s_mov_b32 s68, 0x80fffff
	v_add3_u32 v2, v2, v3, s68
	v_lshrrev_b32_e32 v3, 21, v2
                                        ; implicit-def: $vgpr2
; %bb.1114:
	s_andn2_saveexec_b64 s[66:67], s[66:67]
; %bb.1115:
	v_add_f32_e32 v3, 0x43000000, v2
; %bb.1116:
	s_or_b64 exec, exec, s[66:67]
                                        ; implicit-def: $vgpr2
.LBB7_1117:
	s_andn2_saveexec_b64 s[64:65], s[64:65]
; %bb.1118:
	s_mov_b32 s66, 0x7f800000
	v_mov_b32_e32 v3, 0x7c
	v_mov_b32_e32 v4, 0x7f
	v_cmp_lt_u32_e32 vcc, s66, v2
	v_cndmask_b32_e32 v3, v3, v4, vcc
; %bb.1119:
	s_or_b64 exec, exec, s[64:65]
	global_store_byte v[0:1], v3, off
.LBB7_1120:
	s_mov_b64 s[66:67], 0
	s_mov_b64 s[64:65], -1
.LBB7_1121:
	s_andn2_b64 vcc, exec, s[66:67]
	s_cbranch_vccnz .LBB7_1129
; %bb.1122:
	s_cmp_gt_i32 s71, 14
	s_mov_b64 s[66:67], -1
	s_cbranch_scc0 .LBB7_1126
; %bb.1123:
	s_cmp_eq_u32 s71, 15
	s_mov_b64 s[0:1], -1
	s_cbranch_scc0 .LBB7_1125
; %bb.1124:
	v_cndmask_b32_e64 v2, 0, 1.0, s[62:63]
	v_bfe_u32 v3, v2, 16, 1
	s_movk_i32 s0, 0x7fff
	v_add3_u32 v2, v2, v3, s0
	global_store_short_d16_hi v[0:1], v2, off
	s_mov_b64 s[64:65], -1
	s_mov_b64 s[0:1], 0
.LBB7_1125:
	s_mov_b64 s[66:67], 0
.LBB7_1126:
	s_and_b64 vcc, exec, s[66:67]
	s_cbranch_vccz .LBB7_1129
; %bb.1127:
	s_cmp_eq_u32 s71, 11
	s_mov_b64 s[0:1], -1
	s_cbranch_scc0 .LBB7_1129
; %bb.1128:
	v_cndmask_b32_e64 v2, 0, 1, s[62:63]
	s_mov_b64 s[64:65], -1
	s_mov_b64 s[0:1], 0
	global_store_byte v[0:1], v2, off
.LBB7_1129:
	s_mov_b64 s[66:67], 0
.LBB7_1130:
	s_and_b64 vcc, exec, s[66:67]
	s_cbranch_vccz .LBB7_1169
; %bb.1131:
	s_and_b32 s14, 0xffff, s14
	s_cmp_lt_i32 s14, 5
	s_mov_b64 s[64:65], -1
	s_cbranch_scc1 .LBB7_1152
; %bb.1132:
	s_cmp_lt_i32 s14, 8
	s_cbranch_scc1 .LBB7_1142
; %bb.1133:
	s_cmp_lt_i32 s14, 9
	s_cbranch_scc1 .LBB7_1139
; %bb.1134:
	s_cmp_gt_i32 s14, 9
	s_cbranch_scc0 .LBB7_1136
; %bb.1135:
	v_cndmask_b32_e64 v2, 0, 1, s[62:63]
	v_cvt_f64_u32_e32 v[2:3], v2
	v_mov_b32_e32 v4, 0
	v_mov_b32_e32 v5, v4
	s_mov_b64 s[64:65], 0
	global_store_dwordx4 v[0:1], v[2:5], off
.LBB7_1136:
	s_andn2_b64 vcc, exec, s[64:65]
	s_cbranch_vccnz .LBB7_1138
; %bb.1137:
	v_cndmask_b32_e64 v2, 0, 1.0, s[62:63]
	v_mov_b32_e32 v3, 0
	global_store_dwordx2 v[0:1], v[2:3], off
.LBB7_1138:
	s_mov_b64 s[64:65], 0
.LBB7_1139:
	s_andn2_b64 vcc, exec, s[64:65]
	s_cbranch_vccnz .LBB7_1141
; %bb.1140:
	v_cndmask_b32_e64 v2, 0, 1.0, s[62:63]
	v_cvt_f16_f32_e32 v2, v2
	global_store_dword v[0:1], v2, off
.LBB7_1141:
	s_mov_b64 s[64:65], 0
.LBB7_1142:
	s_andn2_b64 vcc, exec, s[64:65]
	s_cbranch_vccnz .LBB7_1151
; %bb.1143:
	s_cmp_lt_i32 s14, 6
	s_mov_b64 s[64:65], -1
	s_cbranch_scc1 .LBB7_1149
; %bb.1144:
	s_cmp_gt_i32 s14, 6
	s_cbranch_scc0 .LBB7_1146
; %bb.1145:
	v_cndmask_b32_e64 v2, 0, 1, s[62:63]
	v_cvt_f64_u32_e32 v[2:3], v2
	s_mov_b64 s[64:65], 0
	global_store_dwordx2 v[0:1], v[2:3], off
.LBB7_1146:
	s_andn2_b64 vcc, exec, s[64:65]
	s_cbranch_vccnz .LBB7_1148
; %bb.1147:
	v_cndmask_b32_e64 v2, 0, 1.0, s[62:63]
	global_store_dword v[0:1], v2, off
.LBB7_1148:
	s_mov_b64 s[64:65], 0
.LBB7_1149:
	s_andn2_b64 vcc, exec, s[64:65]
	s_cbranch_vccnz .LBB7_1151
; %bb.1150:
	v_cndmask_b32_e64 v2, 0, 1.0, s[62:63]
	v_cvt_f16_f32_e32 v2, v2
	global_store_short v[0:1], v2, off
.LBB7_1151:
	s_mov_b64 s[64:65], 0
.LBB7_1152:
	s_andn2_b64 vcc, exec, s[64:65]
	s_cbranch_vccnz .LBB7_1168
; %bb.1153:
	s_cmp_lt_i32 s14, 2
	s_mov_b64 s[64:65], -1
	s_cbranch_scc1 .LBB7_1163
; %bb.1154:
	s_cmp_lt_i32 s14, 3
	s_cbranch_scc1 .LBB7_1160
; %bb.1155:
	s_cmp_gt_i32 s14, 3
	s_cbranch_scc0 .LBB7_1157
; %bb.1156:
	s_mov_b32 s64, 0
	v_cndmask_b32_e64 v2, 0, 1, s[62:63]
	v_mov_b32_e32 v3, s64
	s_mov_b64 s[64:65], 0
	global_store_dwordx2 v[0:1], v[2:3], off
.LBB7_1157:
	s_andn2_b64 vcc, exec, s[64:65]
	s_cbranch_vccnz .LBB7_1159
; %bb.1158:
	v_cndmask_b32_e64 v2, 0, 1, s[62:63]
	global_store_dword v[0:1], v2, off
.LBB7_1159:
	s_mov_b64 s[64:65], 0
.LBB7_1160:
	s_andn2_b64 vcc, exec, s[64:65]
	s_cbranch_vccnz .LBB7_1162
; %bb.1161:
	v_cndmask_b32_e64 v2, 0, 1, s[62:63]
	global_store_short v[0:1], v2, off
.LBB7_1162:
	s_mov_b64 s[64:65], 0
.LBB7_1163:
	s_andn2_b64 vcc, exec, s[64:65]
	s_cbranch_vccnz .LBB7_1168
; %bb.1164:
	s_mov_b64 s[64:65], -1
	s_cmp_gt_i32 s14, 0
	v_cndmask_b32_e64 v2, 0, 1, s[62:63]
	s_cbranch_scc0 .LBB7_1166
; %bb.1165:
	s_mov_b64 s[64:65], 0
	global_store_byte v[0:1], v2, off
.LBB7_1166:
	s_andn2_b64 vcc, exec, s[64:65]
	s_cbranch_vccnz .LBB7_1168
; %bb.1167:
	global_store_byte v[0:1], v2, off
.LBB7_1168:
	s_mov_b64 s[64:65], -1
.LBB7_1169:
	s_andn2_b64 vcc, exec, s[64:65]
	s_cbranch_vccnz .LBB7_1181
; %bb.1170:
	v_add_u32_e32 v10, 0x80, v10
	s_mov_b64 s[64:65], -1
.LBB7_1171:
	s_andn2_b64 s[62:63], s[52:53], exec
	s_and_b64 s[0:1], s[0:1], exec
	s_or_b64 s[62:63], s[62:63], s[0:1]
	s_andn2_b64 s[0:1], s[50:51], exec
	s_and_b64 s[60:61], s[60:61], exec
	s_or_b64 s[60:61], s[0:1], s[60:61]
	s_andn2_b64 s[0:1], s[48:49], exec
	s_and_b64 s[58:59], s[58:59], exec
	s_or_b64 s[0:1], s[0:1], s[58:59]
	s_orn2_b64 s[68:69], s[64:65], exec
.LBB7_1172:
	s_or_b64 exec, exec, s[56:57]
	s_mov_b64 s[64:65], 0
	s_mov_b64 s[58:59], 0
	;; [unrolled: 1-line block ×3, first 2 shown]
                                        ; implicit-def: $sgpr14
                                        ; implicit-def: $vgpr4_vgpr5
                                        ; implicit-def: $vgpr0
                                        ; implicit-def: $vgpr3
                                        ; implicit-def: $vgpr1
	s_and_saveexec_b64 s[56:57], s[68:69]
	s_cbranch_execz .LBB7_1263
; %bb.1173:
	v_cmp_gt_i32_e32 vcc, s70, v10
	s_mov_b64 s[68:69], s[0:1]
	s_mov_b64 s[70:71], 0
                                        ; implicit-def: $sgpr14
                                        ; implicit-def: $vgpr4_vgpr5
                                        ; implicit-def: $vgpr0
                                        ; implicit-def: $vgpr3
                                        ; implicit-def: $vgpr1
	s_and_saveexec_b64 s[58:59], vcc
	s_cbranch_execz .LBB7_1262
; %bb.1174:
	s_andn2_b64 vcc, exec, s[24:25]
	s_cbranch_vccnz .LBB7_1180
; %bb.1175:
	s_andn2_b64 vcc, exec, s[38:39]
	s_cbranch_vccnz .LBB7_1182
; %bb.1176:
	s_add_i32 s14, s75, 1
	s_and_b32 s14, s14, 30
	s_add_u32 s38, s2, 0xffffffe8
	s_addc_u32 s39, s3, -1
	v_mov_b32_e32 v3, 0
	s_waitcnt vmcnt(0)
	v_mov_b32_e32 v5, 0
	v_mov_b32_e32 v0, 0
	;; [unrolled: 1-line block ×3, first 2 shown]
.LBB7_1177:                             ; =>This Inner Loop Header: Depth=1
	s_load_dwordx4 s[64:67], s[38:39], 0x1c
	s_load_dwordx2 s[76:77], s[38:39], 0x2c
	s_load_dwordx2 s[78:79], s[38:39], 0xec
	s_load_dwordx4 s[68:71], s[38:39], 0xdc
	s_add_u32 s38, s38, 24
	s_waitcnt lgkmcnt(0)
	v_mul_hi_u32 v2, s65, v1
	s_addc_u32 s39, s39, 0
	s_add_i32 s14, s14, -2
	s_cmp_eq_u32 s14, 0
	v_add_u32_e32 v2, v1, v2
	v_lshrrev_b32_e32 v2, s66, v2
	v_mul_lo_u32 v4, v2, s64
	v_mul_hi_u32 v6, s76, v2
	v_sub_u32_e32 v4, v1, v4
	v_add_u32_e32 v1, v2, v6
	v_lshrrev_b32_e32 v1, s77, v1
	v_mul_lo_u32 v8, v1, s67
	v_mul_lo_u32 v6, v4, s68
	;; [unrolled: 1-line block ×4, first 2 shown]
	v_sub_u32_e32 v2, v2, v8
	v_mul_lo_u32 v8, v2, s71
	v_mul_lo_u32 v9, v2, s78
	;; [unrolled: 1-line block ×3, first 2 shown]
	v_add3_u32 v0, v6, v0, v8
	v_add3_u32 v5, v7, v5, v9
	;; [unrolled: 1-line block ×3, first 2 shown]
	s_cbranch_scc0 .LBB7_1177
; %bb.1178:
	s_bitcmp1_b32 s75, 0
	s_cselect_b64 s[64:65], -1, 0
	s_and_b64 vcc, exec, s[64:65]
	s_cbranch_vccnz .LBB7_1183
; %bb.1179:
	s_load_dwordx2 s[64:65], s[38:39], 0x1c
	s_load_dword s14, s[38:39], 0x24
	s_load_dwordx2 s[66:67], s[38:39], 0xdc
	s_waitcnt lgkmcnt(0)
	v_mul_hi_u32 v2, s65, v1
	v_add_u32_e32 v2, v1, v2
	v_lshrrev_b32_e32 v2, s14, v2
	v_mul_lo_u32 v2, v2, s64
	s_load_dword s14, s[38:39], 0xe4
	v_sub_u32_e32 v2, v1, v2
	v_mad_u64_u32 v[0:1], s[38:39], v2, s66, v[0:1]
	v_mad_u64_u32 v[5:6], s[38:39], v2, s67, v[5:6]
	s_waitcnt lgkmcnt(0)
	v_mad_u64_u32 v[3:4], s[38:39], v2, s14, v[3:4]
	s_branch .LBB7_1183
.LBB7_1180:
	s_mov_b64 s[38:39], -1
                                        ; implicit-def: $vgpr0
                                        ; implicit-def: $vgpr5
                                        ; implicit-def: $vgpr3
	s_branch .LBB7_1184
.LBB7_1181:
	s_mov_b64 s[64:65], 0
	s_branch .LBB7_928
.LBB7_1182:
	v_mov_b32_e32 v0, 0
	s_waitcnt vmcnt(0)
	v_mov_b32_e32 v5, 0
	v_mov_b32_e32 v3, 0
.LBB7_1183:
	s_mov_b64 s[38:39], 0
.LBB7_1184:
	s_andn2_b64 vcc, exec, s[38:39]
	s_cbranch_vccnz .LBB7_1187
; %bb.1185:
	v_mul_hi_u32 v0, s17, v10
	s_andn2_b64 vcc, exec, s[36:37]
	v_add_u32_e32 v0, v10, v0
	s_waitcnt vmcnt(0)
	v_lshrrev_b32_e32 v1, s18, v0
	v_mul_lo_u32 v0, v1, s16
	v_sub_u32_e32 v2, v10, v0
	v_mul_lo_u32 v0, v2, s20
	v_mul_lo_u32 v5, v2, s21
	v_mul_lo_u32 v3, v2, s22
	s_cbranch_vccnz .LBB7_1187
; %bb.1186:
	v_mul_hi_u32 v2, s34, v1
	v_add_u32_e32 v2, v1, v2
	v_lshrrev_b32_e32 v2, s35, v2
	v_mul_lo_u32 v2, v2, s19
	v_sub_u32_e32 v2, v1, v2
	v_mad_u64_u32 v[0:1], s[16:17], v2, s23, v[0:1]
	v_mad_u64_u32 v[5:6], s[16:17], v2, s30, v[5:6]
	;; [unrolled: 1-line block ×3, first 2 shown]
.LBB7_1187:
	s_waitcnt vmcnt(0)
	v_mov_b32_e32 v1, s11
	s_and_b32 s14, s74, 0xff
	v_add_co_u32_e32 v4, vcc, s10, v5
	s_cmp_lt_i32 s14, 11
	v_addc_co_u32_e32 v5, vcc, 0, v1, vcc
	s_cbranch_scc1 .LBB7_1194
; %bb.1188:
	s_and_b32 s22, 0xffff, s14
	s_cmp_gt_i32 s22, 25
	s_mov_b64 s[16:17], 0
	s_cbranch_scc0 .LBB7_1195
; %bb.1189:
	s_cmp_gt_i32 s22, 28
	s_cbranch_scc0 .LBB7_1196
; %bb.1190:
	s_cmp_gt_i32 s22, 43
	;; [unrolled: 3-line block ×3, first 2 shown]
	s_cbranch_scc0 .LBB7_1198
; %bb.1192:
	s_cmp_eq_u32 s22, 46
	s_mov_b64 s[20:21], 0
	s_cbranch_scc0 .LBB7_1201
; %bb.1193:
	global_load_dword v1, v[4:5], off
	s_mov_b32 s10, 0x2f800000
	s_mov_b32 s11, 0xcf800000
	s_mov_b64 s[18:19], -1
	s_waitcnt vmcnt(0)
	v_lshlrev_b32_e32 v1, 16, v1
	v_trunc_f32_e32 v1, v1
	v_mul_f32_e64 v2, |v1|, s10
	v_floor_f32_e32 v2, v2
	v_fma_f32 v2, v2, s11, |v1|
	v_cvt_u32_f32_e32 v2, v2
	v_ashrrev_i32_e32 v1, 31, v1
	s_mov_b64 s[10:11], 0
	v_xor_b32_e32 v2, v2, v1
	v_sub_u32_e32 v1, v2, v1
	s_branch .LBB7_1202
.LBB7_1194:
	s_mov_b64 s[20:21], -1
	s_mov_b64 s[18:19], 0
	s_mov_b64 s[16:17], 0
	;; [unrolled: 1-line block ×3, first 2 shown]
                                        ; implicit-def: $vgpr1
	s_branch .LBB7_1261
.LBB7_1195:
	s_mov_b64 s[20:21], -1
	s_mov_b64 s[18:19], 0
	s_mov_b64 s[10:11], s[0:1]
                                        ; implicit-def: $vgpr1
	s_branch .LBB7_1229
.LBB7_1196:
	s_mov_b64 s[20:21], -1
	s_mov_b64 s[18:19], 0
	s_mov_b64 s[10:11], s[0:1]
                                        ; implicit-def: $vgpr1
	s_branch .LBB7_1212
.LBB7_1197:
	s_mov_b64 s[20:21], -1
	s_mov_b64 s[18:19], 0
	s_mov_b64 s[10:11], s[0:1]
                                        ; implicit-def: $vgpr1
	s_branch .LBB7_1207
.LBB7_1198:
	s_mov_b64 s[20:21], -1
	s_mov_b64 s[18:19], 0
	s_mov_b64 s[10:11], s[0:1]
                                        ; implicit-def: $vgpr1
	s_branch .LBB7_1202
.LBB7_1199:
	s_andn2_saveexec_b64 s[68:69], s[68:69]
	s_cbranch_execz .LBB7_1082
.LBB7_1200:
	v_add_f32_e32 v2, 0x46000000, v3
	v_and_b32_e32 v2, 0xff, v2
	v_cmp_ne_u32_e32 vcc, 0, v2
	s_andn2_b64 s[66:67], s[66:67], exec
	s_and_b64 s[76:77], vcc, exec
	s_or_b64 s[66:67], s[66:67], s[76:77]
	s_or_b64 exec, exec, s[68:69]
	v_mov_b32_e32 v4, 0
	s_and_saveexec_b64 s[68:69], s[66:67]
	s_cbranch_execnz .LBB7_1083
	s_branch .LBB7_1084
.LBB7_1201:
	s_mov_b64 s[10:11], -1
                                        ; implicit-def: $vgpr1
	s_mov_b64 s[18:19], 0
.LBB7_1202:
	s_and_b64 vcc, exec, s[20:21]
	s_cbranch_vccz .LBB7_1206
; %bb.1203:
	s_cmp_eq_u32 s22, 44
	s_cbranch_scc0 .LBB7_1205
; %bb.1204:
	global_load_ubyte v1, v[4:5], off
	s_mov_b32 s10, 0x2f800000
	s_mov_b32 s11, 0xcf800000
	s_mov_b64 s[18:19], -1
	s_waitcnt vmcnt(0)
	v_lshlrev_b32_e32 v2, 23, v1
	v_trunc_f32_e32 v2, v2
	v_mul_f32_e64 v6, |v2|, s10
	v_floor_f32_e32 v6, v6
	v_fma_f32 v6, v6, s11, |v2|
	v_cvt_u32_f32_e32 v6, v6
	v_ashrrev_i32_e32 v2, 31, v2
	v_cmp_ne_u32_e32 vcc, 0, v1
	s_mov_b64 s[10:11], 0
	v_xor_b32_e32 v6, v6, v2
	v_sub_u32_e32 v2, v6, v2
	v_cndmask_b32_e32 v1, 0, v2, vcc
	s_branch .LBB7_1206
.LBB7_1205:
	s_mov_b64 s[10:11], -1
                                        ; implicit-def: $vgpr1
.LBB7_1206:
	s_mov_b64 s[20:21], 0
.LBB7_1207:
	s_and_b64 vcc, exec, s[20:21]
	s_cbranch_vccz .LBB7_1211
; %bb.1208:
	s_cmp_eq_u32 s22, 29
	s_cbranch_scc0 .LBB7_1210
; %bb.1209:
	global_load_dwordx2 v[1:2], v[4:5], off
	s_mov_b64 s[10:11], 0
	s_mov_b64 s[18:19], -1
	s_branch .LBB7_1211
.LBB7_1210:
	s_mov_b64 s[10:11], -1
                                        ; implicit-def: $vgpr1
.LBB7_1211:
	s_mov_b64 s[20:21], 0
.LBB7_1212:
	s_and_b64 vcc, exec, s[20:21]
	s_cbranch_vccz .LBB7_1228
; %bb.1213:
	s_cmp_lt_i32 s22, 27
	s_cbranch_scc1 .LBB7_1216
; %bb.1214:
	s_cmp_gt_i32 s22, 27
	s_cbranch_scc0 .LBB7_1217
; %bb.1215:
	global_load_dword v1, v[4:5], off
	s_mov_b64 s[18:19], 0
	s_branch .LBB7_1218
.LBB7_1216:
	s_mov_b64 s[18:19], -1
                                        ; implicit-def: $vgpr1
	s_branch .LBB7_1221
.LBB7_1217:
	s_mov_b64 s[18:19], -1
                                        ; implicit-def: $vgpr1
.LBB7_1218:
	s_andn2_b64 vcc, exec, s[18:19]
	s_cbranch_vccnz .LBB7_1220
; %bb.1219:
	global_load_ushort v1, v[4:5], off
.LBB7_1220:
	s_mov_b64 s[18:19], 0
.LBB7_1221:
	s_andn2_b64 vcc, exec, s[18:19]
	s_cbranch_vccnz .LBB7_1227
; %bb.1222:
	global_load_ubyte v2, v[4:5], off
	s_movk_i32 s18, 0x7f
	s_mov_b64 s[20:21], 0
	s_waitcnt vmcnt(0)
	v_cmp_lt_i16_e32 vcc, s18, v2
	s_and_saveexec_b64 s[18:19], vcc
	s_xor_b64 s[18:19], exec, s[18:19]
	s_cbranch_execz .LBB7_1239
; %bb.1223:
	s_movk_i32 s20, 0x80
	v_cmp_ne_u16_e32 vcc, s20, v2
	s_and_b64 s[20:21], vcc, exec
	s_andn2_saveexec_b64 s[18:19], s[18:19]
	s_cbranch_execnz .LBB7_1240
.LBB7_1224:
	s_or_b64 exec, exec, s[18:19]
	v_mov_b32_e32 v1, 0
	s_and_saveexec_b64 s[18:19], s[20:21]
	s_cbranch_execz .LBB7_1226
.LBB7_1225:
	v_lshlrev_b32_e32 v1, 24, v2
	v_and_b32_e32 v2, 0xffff, v2
	v_and_b32_e32 v6, 7, v2
	v_ffbh_u32_e32 v8, v6
	v_min_u32_e32 v8, 32, v8
	v_subrev_u32_e32 v9, 28, v8
	v_bfe_u32 v7, v2, 3, 4
	v_lshlrev_b32_e32 v2, v9, v2
	v_sub_u32_e32 v8, 29, v8
	v_and_b32_e32 v2, 7, v2
	v_cmp_eq_u32_e32 vcc, 0, v7
	v_cndmask_b32_e32 v7, v7, v8, vcc
	v_cndmask_b32_e32 v2, v6, v2, vcc
	v_mov_b32_e32 v6, 0x3b800000
	v_lshlrev_b32_e32 v2, 20, v2
	v_and_b32_e32 v1, 0x80000000, v1
	v_lshl_add_u32 v6, v7, 23, v6
	v_or3_b32 v1, v1, v6, v2
	v_trunc_f32_e32 v1, v1
	s_mov_b32 s20, 0x2f800000
	v_mul_f32_e64 v2, |v1|, s20
	v_floor_f32_e32 v2, v2
	s_mov_b32 s20, 0xcf800000
	v_fma_f32 v2, v2, s20, |v1|
	v_cvt_u32_f32_e32 v2, v2
	v_ashrrev_i32_e32 v1, 31, v1
	v_xor_b32_e32 v2, v2, v1
	v_sub_u32_e32 v1, v2, v1
.LBB7_1226:
	s_or_b64 exec, exec, s[18:19]
.LBB7_1227:
	s_mov_b64 s[18:19], -1
.LBB7_1228:
	s_mov_b64 s[20:21], 0
.LBB7_1229:
	s_and_b64 vcc, exec, s[20:21]
	s_cbranch_vccz .LBB7_1260
; %bb.1230:
	s_cmp_gt_i32 s22, 22
	s_cbranch_scc0 .LBB7_1238
; %bb.1231:
	s_cmp_lt_i32 s22, 24
	s_cbranch_scc1 .LBB7_1241
; %bb.1232:
	s_cmp_gt_i32 s22, 24
	s_cbranch_scc0 .LBB7_1242
; %bb.1233:
	global_load_ubyte v2, v[4:5], off
	s_movk_i32 s16, 0x7f
	s_mov_b64 s[18:19], 0
	s_waitcnt vmcnt(0)
	v_cmp_lt_i16_e32 vcc, s16, v2
	s_and_saveexec_b64 s[16:17], vcc
	s_xor_b64 s[16:17], exec, s[16:17]
	s_cbranch_execz .LBB7_1254
; %bb.1234:
	s_movk_i32 s18, 0x80
	v_cmp_ne_u16_e32 vcc, s18, v2
	s_and_b64 s[18:19], vcc, exec
	s_andn2_saveexec_b64 s[16:17], s[16:17]
	s_cbranch_execnz .LBB7_1255
.LBB7_1235:
	s_or_b64 exec, exec, s[16:17]
	v_mov_b32_e32 v1, 0
	s_and_saveexec_b64 s[16:17], s[18:19]
	s_cbranch_execz .LBB7_1237
.LBB7_1236:
	v_lshlrev_b32_e32 v1, 24, v2
	v_and_b32_e32 v2, 0xffff, v2
	v_and_b32_e32 v6, 3, v2
	v_ffbh_u32_e32 v8, v6
	v_min_u32_e32 v8, 32, v8
	v_subrev_u32_e32 v9, 29, v8
	v_bfe_u32 v7, v2, 2, 5
	v_lshlrev_b32_e32 v2, v9, v2
	v_sub_u32_e32 v8, 30, v8
	v_and_b32_e32 v2, 3, v2
	v_cmp_eq_u32_e32 vcc, 0, v7
	v_cndmask_b32_e32 v7, v7, v8, vcc
	v_cndmask_b32_e32 v2, v6, v2, vcc
	v_mov_b32_e32 v6, 0x37800000
	v_lshlrev_b32_e32 v2, 21, v2
	v_and_b32_e32 v1, 0x80000000, v1
	v_lshl_add_u32 v6, v7, 23, v6
	v_or3_b32 v1, v1, v6, v2
	v_trunc_f32_e32 v1, v1
	s_mov_b32 s18, 0x2f800000
	v_mul_f32_e64 v2, |v1|, s18
	v_floor_f32_e32 v2, v2
	s_mov_b32 s18, 0xcf800000
	v_fma_f32 v2, v2, s18, |v1|
	v_cvt_u32_f32_e32 v2, v2
	v_ashrrev_i32_e32 v1, 31, v1
	v_xor_b32_e32 v2, v2, v1
	v_sub_u32_e32 v1, v2, v1
.LBB7_1237:
	s_or_b64 exec, exec, s[16:17]
	s_mov_b64 s[16:17], 0
	s_branch .LBB7_1243
.LBB7_1238:
	s_mov_b64 s[16:17], -1
                                        ; implicit-def: $vgpr1
	s_branch .LBB7_1249
.LBB7_1239:
	s_andn2_saveexec_b64 s[18:19], s[18:19]
	s_cbranch_execz .LBB7_1224
.LBB7_1240:
	v_cmp_ne_u16_e32 vcc, 0, v2
	s_andn2_b64 s[20:21], s[20:21], exec
	s_and_b64 s[30:31], vcc, exec
	s_or_b64 s[20:21], s[20:21], s[30:31]
	s_or_b64 exec, exec, s[18:19]
	v_mov_b32_e32 v1, 0
	s_and_saveexec_b64 s[18:19], s[20:21]
	s_cbranch_execnz .LBB7_1225
	s_branch .LBB7_1226
.LBB7_1241:
	s_mov_b64 s[16:17], -1
                                        ; implicit-def: $vgpr1
	s_branch .LBB7_1246
.LBB7_1242:
	s_mov_b64 s[16:17], -1
                                        ; implicit-def: $vgpr1
.LBB7_1243:
	s_and_b64 vcc, exec, s[16:17]
	s_cbranch_vccz .LBB7_1245
; %bb.1244:
	global_load_ubyte v1, v[4:5], off
	s_mov_b32 s16, 0x7f800000
	s_brev_b32 s17, 1
	s_mov_b32 s18, 0x2f800000
	s_waitcnt vmcnt(0)
	v_lshlrev_b32_e32 v1, 24, v1
	v_and_b32_e32 v2, 0x7f000000, v1
	v_ffbh_u32_e32 v6, v2
	v_min_u32_e32 v6, 32, v6
	v_sub_u32_e64 v6, v6, 4 clamp
	v_lshlrev_b32_e32 v8, v6, v2
	v_lshlrev_b32_e32 v6, 23, v6
	v_lshrrev_b32_e32 v8, 4, v8
	v_add_u32_e32 v7, 0x1000000, v2
	v_sub_u32_e32 v6, v8, v6
	v_ashrrev_i32_e32 v7, 8, v7
	v_add_u32_e32 v6, 0x3c000000, v6
	v_and_or_b32 v6, v7, s16, v6
	v_cmp_ne_u32_e32 vcc, 0, v2
	v_cndmask_b32_e32 v2, 0, v6, vcc
	v_and_or_b32 v1, v1, s17, v2
	v_trunc_f32_e32 v1, v1
	v_mul_f32_e64 v2, |v1|, s18
	v_floor_f32_e32 v2, v2
	s_mov_b32 s16, 0xcf800000
	v_fma_f32 v2, v2, s16, |v1|
	v_cvt_u32_f32_e32 v2, v2
	v_ashrrev_i32_e32 v1, 31, v1
	v_xor_b32_e32 v2, v2, v1
	v_sub_u32_e32 v1, v2, v1
.LBB7_1245:
	s_mov_b64 s[16:17], 0
.LBB7_1246:
	s_andn2_b64 vcc, exec, s[16:17]
	s_cbranch_vccnz .LBB7_1248
; %bb.1247:
	global_load_ubyte v1, v[4:5], off
	s_movk_i32 s16, 0x7f00
	s_brev_b32 s17, 16
	s_brev_b32 s18, 1
	s_mov_b32 s19, 0x2f800000
	s_waitcnt vmcnt(0)
	v_lshlrev_b16_e32 v2, 8, v1
	v_lshlrev_b32_e32 v1, 25, v1
	v_lshrrev_b32_e32 v6, 4, v1
	v_and_or_b32 v7, v2, s16, 0.5
	v_or_b32_e32 v6, 0x70000000, v6
	v_add_f32_e32 v7, -0.5, v7
	v_mul_f32_e32 v6, 0x7800000, v6
	v_cmp_gt_u32_e32 vcc, s17, v1
	v_bfe_i32 v2, v2, 0, 16
	v_cndmask_b32_e32 v1, v6, v7, vcc
	v_and_or_b32 v1, v2, s18, v1
	v_trunc_f32_e32 v1, v1
	v_mul_f32_e64 v2, |v1|, s19
	v_floor_f32_e32 v2, v2
	s_mov_b32 s16, 0xcf800000
	v_fma_f32 v2, v2, s16, |v1|
	v_cvt_u32_f32_e32 v2, v2
	v_ashrrev_i32_e32 v1, 31, v1
	v_xor_b32_e32 v2, v2, v1
	v_sub_u32_e32 v1, v2, v1
.LBB7_1248:
	s_mov_b64 s[16:17], 0
	s_mov_b64 s[18:19], -1
.LBB7_1249:
	s_andn2_b64 vcc, exec, s[16:17]
	s_mov_b64 s[16:17], 0
	s_cbranch_vccnz .LBB7_1260
; %bb.1250:
	s_cmp_gt_i32 s22, 14
	s_cbranch_scc0 .LBB7_1253
; %bb.1251:
	s_cmp_eq_u32 s22, 15
	s_cbranch_scc0 .LBB7_1256
; %bb.1252:
	global_load_ushort v1, v[4:5], off
	s_mov_b32 s10, 0x2f800000
	s_mov_b32 s11, 0xcf800000
	s_mov_b64 s[18:19], -1
	s_waitcnt vmcnt(0)
	v_lshlrev_b32_e32 v1, 16, v1
	v_trunc_f32_e32 v1, v1
	v_mul_f32_e64 v2, |v1|, s10
	v_floor_f32_e32 v2, v2
	v_fma_f32 v2, v2, s11, |v1|
	v_cvt_u32_f32_e32 v2, v2
	v_ashrrev_i32_e32 v1, 31, v1
	s_mov_b64 s[10:11], 0
	v_xor_b32_e32 v2, v2, v1
	v_sub_u32_e32 v1, v2, v1
	s_branch .LBB7_1257
.LBB7_1253:
	s_mov_b64 s[20:21], -1
                                        ; implicit-def: $vgpr1
	s_branch .LBB7_1258
.LBB7_1254:
	s_andn2_saveexec_b64 s[16:17], s[16:17]
	s_cbranch_execz .LBB7_1235
.LBB7_1255:
	v_cmp_ne_u16_e32 vcc, 0, v2
	s_andn2_b64 s[18:19], s[18:19], exec
	s_and_b64 s[20:21], vcc, exec
	s_or_b64 s[18:19], s[18:19], s[20:21]
	s_or_b64 exec, exec, s[16:17]
	v_mov_b32_e32 v1, 0
	s_and_saveexec_b64 s[16:17], s[18:19]
	s_cbranch_execnz .LBB7_1236
	s_branch .LBB7_1237
.LBB7_1256:
	s_mov_b64 s[10:11], -1
                                        ; implicit-def: $vgpr1
.LBB7_1257:
	s_mov_b64 s[20:21], 0
.LBB7_1258:
	s_and_b64 vcc, exec, s[20:21]
	s_cbranch_vccz .LBB7_1260
; %bb.1259:
	s_cmp_lg_u32 s22, 11
	s_cselect_b64 s[20:21], -1, 0
	s_andn2_b64 s[10:11], s[10:11], exec
	s_and_b64 s[20:21], s[20:21], exec
	s_mov_b64 s[16:17], -1
	s_or_b64 s[10:11], s[10:11], s[20:21]
.LBB7_1260:
	s_mov_b64 s[20:21], 0
.LBB7_1261:
	s_and_b64 s[64:65], s[16:17], exec
	s_andn2_b64 s[16:17], s[0:1], exec
	s_and_b64 s[10:11], s[10:11], exec
	s_and_b64 s[66:67], s[18:19], exec
	;; [unrolled: 1-line block ×3, first 2 shown]
	s_or_b64 s[68:69], s[16:17], s[10:11]
.LBB7_1262:
	s_or_b64 exec, exec, s[58:59]
	s_andn2_b64 s[0:1], s[0:1], exec
	s_and_b64 s[10:11], s[68:69], exec
	s_and_b64 s[66:67], s[66:67], exec
	;; [unrolled: 1-line block ×4, first 2 shown]
	s_or_b64 s[0:1], s[0:1], s[10:11]
.LBB7_1263:
	s_or_b64 exec, exec, s[56:57]
	s_andn2_b64 s[10:11], s[52:53], exec
	s_and_b64 s[16:17], s[62:63], exec
	s_or_b64 s[52:53], s[10:11], s[16:17]
	s_andn2_b64 s[10:11], s[50:51], exec
	s_and_b64 s[16:17], s[60:61], exec
	s_or_b64 s[50:51], s[10:11], s[16:17]
	s_andn2_b64 s[10:11], s[48:49], exec
	s_and_b64 s[0:1], s[0:1], exec
	s_and_b64 s[60:61], s[66:67], exec
	;; [unrolled: 1-line block ×4, first 2 shown]
	s_or_b64 s[48:49], s[10:11], s[0:1]
.LBB7_1264:
	s_or_b64 exec, exec, s[54:55]
	s_andn2_b64 s[0:1], s[40:41], exec
	s_and_b64 s[10:11], s[52:53], exec
	s_or_b64 s[40:41], s[0:1], s[10:11]
	s_andn2_b64 s[0:1], s[42:43], exec
	s_and_b64 s[10:11], s[50:51], exec
	s_or_b64 s[42:43], s[0:1], s[10:11]
	s_andn2_b64 s[0:1], s[44:45], exec
	s_and_b64 s[10:11], s[48:49], exec
	s_and_b64 s[52:53], s[60:61], exec
	;; [unrolled: 1-line block ×4, first 2 shown]
	s_or_b64 s[44:45], s[0:1], s[10:11]
	s_or_b64 exec, exec, s[46:47]
	s_mov_b64 s[10:11], 0
	s_and_saveexec_b64 s[0:1], s[44:45]
	s_cbranch_execz .LBB7_395
.LBB7_1265:
	s_mov_b64 s[10:11], exec
	s_andn2_b64 s[50:51], s[50:51], exec
	s_trap 2
	s_or_b64 exec, exec, s[0:1]
	s_and_saveexec_b64 s[0:1], s[50:51]
	s_xor_b64 s[0:1], exec, s[0:1]
	s_cbranch_execnz .LBB7_396
.LBB7_1266:
	s_or_b64 exec, exec, s[0:1]
	s_and_saveexec_b64 s[0:1], s[54:55]
	s_cbranch_execz .LBB7_1312
.LBB7_1267:
	s_sext_i32_i16 s16, s14
	s_cmp_lt_i32 s16, 5
	s_cbranch_scc1 .LBB7_1272
; %bb.1268:
	s_cmp_lt_i32 s16, 8
	s_cbranch_scc1 .LBB7_1273
; %bb.1269:
	;; [unrolled: 3-line block ×3, first 2 shown]
	s_cmp_gt_i32 s16, 9
	s_cbranch_scc0 .LBB7_1275
; %bb.1271:
	s_waitcnt vmcnt(0)
	global_load_dwordx2 v[1:2], v[4:5], off
	s_movk_i32 s16, 0xffe0
	s_waitcnt vmcnt(0)
	v_trunc_f64_e32 v[1:2], v[1:2]
	v_ldexp_f64 v[6:7], v[1:2], s16
	s_mov_b32 s16, 0
	s_mov_b32 s17, 0xc1f00000
	v_floor_f64_e32 v[6:7], v[6:7]
	v_fma_f64 v[1:2], v[6:7], s[16:17], v[1:2]
	s_mov_b64 s[16:17], 0
	v_cvt_u32_f64_e32 v1, v[1:2]
	s_branch .LBB7_1276
.LBB7_1272:
                                        ; implicit-def: $vgpr1
	s_branch .LBB7_1293
.LBB7_1273:
                                        ; implicit-def: $vgpr1
	s_branch .LBB7_1282
.LBB7_1274:
	s_mov_b64 s[16:17], -1
                                        ; implicit-def: $vgpr1
	s_branch .LBB7_1279
.LBB7_1275:
	s_mov_b64 s[16:17], -1
                                        ; implicit-def: $vgpr1
.LBB7_1276:
	s_andn2_b64 vcc, exec, s[16:17]
	s_cbranch_vccnz .LBB7_1278
; %bb.1277:
	s_waitcnt vmcnt(0)
	global_load_dword v1, v[4:5], off
	s_mov_b32 s16, 0x2f800000
	s_waitcnt vmcnt(0)
	v_trunc_f32_e32 v1, v1
	v_mul_f32_e64 v2, |v1|, s16
	v_floor_f32_e32 v2, v2
	s_mov_b32 s16, 0xcf800000
	v_fma_f32 v2, v2, s16, |v1|
	v_cvt_u32_f32_e32 v2, v2
	v_ashrrev_i32_e32 v1, 31, v1
	v_xor_b32_e32 v2, v2, v1
	v_sub_u32_e32 v1, v2, v1
.LBB7_1278:
	s_mov_b64 s[16:17], 0
.LBB7_1279:
	s_andn2_b64 vcc, exec, s[16:17]
	s_cbranch_vccnz .LBB7_1281
; %bb.1280:
	s_waitcnt vmcnt(0)
	global_load_dword v1, v[4:5], off
	s_waitcnt vmcnt(0)
	v_cvt_f32_f16_e32 v1, v1
	v_cvt_i32_f32_e32 v1, v1
.LBB7_1281:
	s_cbranch_execnz .LBB7_1292
.LBB7_1282:
	s_sext_i32_i16 s16, s14
	s_cmp_lt_i32 s16, 6
	s_cbranch_scc1 .LBB7_1285
; %bb.1283:
	s_cmp_gt_i32 s16, 6
	s_cbranch_scc0 .LBB7_1286
; %bb.1284:
	s_waitcnt vmcnt(0)
	global_load_dwordx2 v[1:2], v[4:5], off
	s_movk_i32 s16, 0xffe0
	s_waitcnt vmcnt(0)
	v_trunc_f64_e32 v[1:2], v[1:2]
	v_ldexp_f64 v[6:7], v[1:2], s16
	s_mov_b32 s16, 0
	s_mov_b32 s17, 0xc1f00000
	v_floor_f64_e32 v[6:7], v[6:7]
	v_fma_f64 v[1:2], v[6:7], s[16:17], v[1:2]
	s_mov_b64 s[16:17], 0
	v_cvt_u32_f64_e32 v1, v[1:2]
	s_branch .LBB7_1287
.LBB7_1285:
	s_mov_b64 s[16:17], -1
                                        ; implicit-def: $vgpr1
	s_branch .LBB7_1290
.LBB7_1286:
	s_mov_b64 s[16:17], -1
                                        ; implicit-def: $vgpr1
.LBB7_1287:
	s_andn2_b64 vcc, exec, s[16:17]
	s_cbranch_vccnz .LBB7_1289
; %bb.1288:
	s_waitcnt vmcnt(0)
	global_load_dword v1, v[4:5], off
	s_mov_b32 s16, 0x2f800000
	s_waitcnt vmcnt(0)
	v_trunc_f32_e32 v1, v1
	v_mul_f32_e64 v2, |v1|, s16
	v_floor_f32_e32 v2, v2
	s_mov_b32 s16, 0xcf800000
	v_fma_f32 v2, v2, s16, |v1|
	v_cvt_u32_f32_e32 v2, v2
	v_ashrrev_i32_e32 v1, 31, v1
	v_xor_b32_e32 v2, v2, v1
	v_sub_u32_e32 v1, v2, v1
.LBB7_1289:
	s_mov_b64 s[16:17], 0
.LBB7_1290:
	s_andn2_b64 vcc, exec, s[16:17]
	s_cbranch_vccnz .LBB7_1292
; %bb.1291:
	s_waitcnt vmcnt(0)
	global_load_ushort v1, v[4:5], off
	s_waitcnt vmcnt(0)
	v_cvt_f32_f16_e32 v1, v1
	v_cvt_i32_f32_e32 v1, v1
.LBB7_1292:
	s_cbranch_execnz .LBB7_1311
.LBB7_1293:
	s_sext_i32_i16 s16, s14
	s_cmp_lt_i32 s16, 2
	s_cbranch_scc1 .LBB7_1297
; %bb.1294:
	s_cmp_lt_i32 s16, 3
	s_cbranch_scc1 .LBB7_1298
; %bb.1295:
	s_cmp_gt_i32 s16, 3
	s_cbranch_scc0 .LBB7_1299
; %bb.1296:
	s_waitcnt vmcnt(0)
	global_load_dwordx2 v[1:2], v[4:5], off
	s_mov_b64 s[16:17], 0
	s_branch .LBB7_1300
.LBB7_1297:
                                        ; implicit-def: $vgpr1
	s_branch .LBB7_1306
.LBB7_1298:
	s_mov_b64 s[16:17], -1
                                        ; implicit-def: $vgpr1
	s_branch .LBB7_1303
.LBB7_1299:
	s_mov_b64 s[16:17], -1
                                        ; implicit-def: $vgpr1
.LBB7_1300:
	s_andn2_b64 vcc, exec, s[16:17]
	s_cbranch_vccnz .LBB7_1302
; %bb.1301:
	s_waitcnt vmcnt(0)
	global_load_dword v1, v[4:5], off
.LBB7_1302:
	s_mov_b64 s[16:17], 0
.LBB7_1303:
	s_andn2_b64 vcc, exec, s[16:17]
	s_cbranch_vccnz .LBB7_1305
; %bb.1304:
	s_waitcnt vmcnt(0)
	global_load_ushort v1, v[4:5], off
.LBB7_1305:
	s_cbranch_execnz .LBB7_1311
.LBB7_1306:
	s_sext_i32_i16 s14, s14
	s_cmp_gt_i32 s14, 0
	s_cbranch_scc0 .LBB7_1308
; %bb.1307:
	s_waitcnt vmcnt(0)
	global_load_ubyte v1, v[4:5], off
	s_mov_b64 s[16:17], 0
	s_branch .LBB7_1309
.LBB7_1308:
	s_mov_b64 s[16:17], -1
                                        ; implicit-def: $vgpr1
.LBB7_1309:
	s_andn2_b64 vcc, exec, s[16:17]
	s_cbranch_vccnz .LBB7_1311
; %bb.1310:
	s_waitcnt vmcnt(0)
	global_load_ubyte v1, v[4:5], off
.LBB7_1311:
	s_or_b64 s[52:53], s[52:53], exec
.LBB7_1312:
	s_or_b64 exec, exec, s[0:1]
	s_mov_b64 s[16:17], 0
	s_mov_b64 s[20:21], 0
	s_mov_b64 s[18:19], 0
                                        ; implicit-def: $sgpr14
                                        ; implicit-def: $vgpr4_vgpr5
                                        ; implicit-def: $vgpr6
	s_and_saveexec_b64 s[0:1], s[52:53]
	s_cbranch_execz .LBB7_1320
; %bb.1313:
	s_waitcnt vmcnt(0)
	v_mov_b32_e32 v2, s13
	s_and_b32 s14, s73, 0xff
	v_add_co_u32_e32 v4, vcc, s12, v3
	s_cmp_lt_i32 s14, 11
	v_addc_co_u32_e32 v5, vcc, 0, v2, vcc
	s_cbranch_scc1 .LBB7_1323
; %bb.1314:
	s_and_b32 s22, 0xffff, s14
	s_cmp_gt_i32 s22, 25
	s_cbranch_scc0 .LBB7_1324
; %bb.1315:
	s_cmp_gt_i32 s22, 28
	s_cbranch_scc0 .LBB7_1325
; %bb.1316:
	;; [unrolled: 3-line block ×4, first 2 shown]
	s_cmp_eq_u32 s22, 46
	s_cbranch_scc0 .LBB7_1328
; %bb.1319:
	global_load_dword v2, v[4:5], off
	s_mov_b32 s12, 0x2f800000
	s_mov_b32 s13, 0xcf800000
	s_mov_b64 s[18:19], -1
	s_waitcnt vmcnt(0)
	v_lshlrev_b32_e32 v2, 16, v2
	v_trunc_f32_e32 v2, v2
	v_mul_f32_e64 v3, |v2|, s12
	v_floor_f32_e32 v3, v3
	v_fma_f32 v3, v3, s13, |v2|
	v_cvt_u32_f32_e32 v3, v3
	v_ashrrev_i32_e32 v2, 31, v2
	s_mov_b64 s[12:13], 0
	v_xor_b32_e32 v3, v3, v2
	v_sub_u32_e32 v6, v3, v2
	s_branch .LBB7_1330
.LBB7_1320:
	s_or_b64 exec, exec, s[0:1]
	s_and_saveexec_b64 s[0:1], s[42:43]
	s_cbranch_execnz .LBB7_1389
.LBB7_1321:
	s_or_b64 exec, exec, s[0:1]
	s_and_saveexec_b64 s[0:1], s[16:17]
	s_xor_b64 s[0:1], exec, s[0:1]
	s_cbranch_execz .LBB7_1390
.LBB7_1322:
	s_waitcnt vmcnt(0)
	global_load_ubyte v2, v[4:5], off
	s_or_b64 s[18:19], s[18:19], exec
	s_waitcnt vmcnt(0)
	v_cmp_ne_u16_e32 vcc, 0, v2
	v_cndmask_b32_e64 v6, 0, 1, vcc
	s_or_b64 exec, exec, s[0:1]
	s_and_saveexec_b64 s[0:1], s[20:21]
	s_cbranch_execz .LBB7_1436
	s_branch .LBB7_1391
.LBB7_1323:
	s_mov_b64 s[20:21], -1
                                        ; implicit-def: $vgpr6
	s_mov_b64 s[12:13], s[42:43]
	s_branch .LBB7_1388
.LBB7_1324:
	s_mov_b64 s[12:13], s[42:43]
                                        ; implicit-def: $vgpr6
	s_cbranch_execnz .LBB7_1357
	s_branch .LBB7_1387
.LBB7_1325:
	s_mov_b64 s[20:21], -1
	s_mov_b64 s[12:13], s[42:43]
                                        ; implicit-def: $vgpr6
	s_branch .LBB7_1340
.LBB7_1326:
	s_mov_b64 s[20:21], -1
	s_mov_b64 s[12:13], s[42:43]
                                        ; implicit-def: $vgpr6
	s_branch .LBB7_1335
.LBB7_1327:
	s_mov_b64 s[20:21], -1
	s_mov_b64 s[12:13], s[42:43]
	s_branch .LBB7_1329
.LBB7_1328:
	s_mov_b64 s[12:13], -1
.LBB7_1329:
                                        ; implicit-def: $vgpr6
.LBB7_1330:
	s_and_b64 vcc, exec, s[20:21]
	s_cbranch_vccz .LBB7_1334
; %bb.1331:
	s_cmp_eq_u32 s22, 44
	s_cbranch_scc0 .LBB7_1333
; %bb.1332:
	global_load_ubyte v2, v[4:5], off
	s_mov_b32 s12, 0x2f800000
	s_mov_b32 s13, 0xcf800000
	s_mov_b64 s[18:19], -1
	s_waitcnt vmcnt(0)
	v_lshlrev_b32_e32 v3, 23, v2
	v_trunc_f32_e32 v3, v3
	v_mul_f32_e64 v6, |v3|, s12
	v_floor_f32_e32 v6, v6
	v_fma_f32 v6, v6, s13, |v3|
	v_cvt_u32_f32_e32 v6, v6
	v_ashrrev_i32_e32 v3, 31, v3
	v_cmp_ne_u32_e32 vcc, 0, v2
	s_mov_b64 s[12:13], 0
	v_xor_b32_e32 v6, v6, v3
	v_sub_u32_e32 v3, v6, v3
	v_cndmask_b32_e32 v6, 0, v3, vcc
	s_branch .LBB7_1334
.LBB7_1333:
	s_mov_b64 s[12:13], -1
                                        ; implicit-def: $vgpr6
.LBB7_1334:
	s_mov_b64 s[20:21], 0
.LBB7_1335:
	s_and_b64 vcc, exec, s[20:21]
	s_cbranch_vccz .LBB7_1339
; %bb.1336:
	s_cmp_eq_u32 s22, 29
	s_cbranch_scc0 .LBB7_1338
; %bb.1337:
	global_load_dwordx2 v[6:7], v[4:5], off
	s_mov_b64 s[12:13], 0
	s_mov_b64 s[18:19], -1
	s_branch .LBB7_1339
.LBB7_1338:
	s_mov_b64 s[12:13], -1
                                        ; implicit-def: $vgpr6
.LBB7_1339:
	s_mov_b64 s[20:21], 0
.LBB7_1340:
	s_and_b64 vcc, exec, s[20:21]
	s_cbranch_vccz .LBB7_1356
; %bb.1341:
	s_cmp_lt_i32 s22, 27
	s_cbranch_scc1 .LBB7_1344
; %bb.1342:
	s_cmp_gt_i32 s22, 27
	s_cbranch_scc0 .LBB7_1345
; %bb.1343:
	global_load_dword v6, v[4:5], off
	s_mov_b64 s[18:19], 0
	s_branch .LBB7_1346
.LBB7_1344:
	s_mov_b64 s[18:19], -1
                                        ; implicit-def: $vgpr6
	s_branch .LBB7_1349
.LBB7_1345:
	s_mov_b64 s[18:19], -1
                                        ; implicit-def: $vgpr6
.LBB7_1346:
	s_andn2_b64 vcc, exec, s[18:19]
	s_cbranch_vccnz .LBB7_1348
; %bb.1347:
	global_load_ushort v6, v[4:5], off
.LBB7_1348:
	s_mov_b64 s[18:19], 0
.LBB7_1349:
	s_andn2_b64 vcc, exec, s[18:19]
	s_cbranch_vccnz .LBB7_1355
; %bb.1350:
	global_load_ubyte v2, v[4:5], off
	s_movk_i32 s18, 0x7f
	s_mov_b64 s[20:21], 0
	s_waitcnt vmcnt(0)
	v_cmp_lt_i16_e32 vcc, s18, v2
	s_and_saveexec_b64 s[18:19], vcc
	s_xor_b64 s[18:19], exec, s[18:19]
	s_cbranch_execz .LBB7_1366
; %bb.1351:
	s_movk_i32 s20, 0x80
	v_cmp_ne_u16_e32 vcc, s20, v2
	s_and_b64 s[20:21], vcc, exec
	s_andn2_saveexec_b64 s[18:19], s[18:19]
	s_cbranch_execnz .LBB7_1367
.LBB7_1352:
	s_or_b64 exec, exec, s[18:19]
	v_mov_b32_e32 v6, 0
	s_and_saveexec_b64 s[18:19], s[20:21]
	s_cbranch_execz .LBB7_1354
.LBB7_1353:
	v_lshlrev_b32_e32 v3, 24, v2
	v_and_b32_e32 v2, 0xffff, v2
	v_and_b32_e32 v6, 7, v2
	v_ffbh_u32_e32 v8, v6
	v_min_u32_e32 v8, 32, v8
	v_subrev_u32_e32 v9, 28, v8
	v_bfe_u32 v7, v2, 3, 4
	v_lshlrev_b32_e32 v2, v9, v2
	v_sub_u32_e32 v8, 29, v8
	v_and_b32_e32 v2, 7, v2
	v_cmp_eq_u32_e32 vcc, 0, v7
	v_cndmask_b32_e32 v7, v7, v8, vcc
	v_cndmask_b32_e32 v2, v6, v2, vcc
	v_mov_b32_e32 v6, 0x3b800000
	v_lshlrev_b32_e32 v2, 20, v2
	v_and_b32_e32 v3, 0x80000000, v3
	v_lshl_add_u32 v6, v7, 23, v6
	v_or3_b32 v2, v3, v6, v2
	v_trunc_f32_e32 v2, v2
	s_mov_b32 s20, 0x2f800000
	v_mul_f32_e64 v3, |v2|, s20
	v_floor_f32_e32 v3, v3
	s_mov_b32 s20, 0xcf800000
	v_fma_f32 v3, v3, s20, |v2|
	v_cvt_u32_f32_e32 v3, v3
	v_ashrrev_i32_e32 v2, 31, v2
	v_xor_b32_e32 v3, v3, v2
	v_sub_u32_e32 v6, v3, v2
.LBB7_1354:
	s_or_b64 exec, exec, s[18:19]
.LBB7_1355:
	s_mov_b64 s[18:19], -1
.LBB7_1356:
	s_branch .LBB7_1387
.LBB7_1357:
	s_cmp_gt_i32 s22, 22
	s_cbranch_scc0 .LBB7_1365
; %bb.1358:
	s_cmp_lt_i32 s22, 24
	s_cbranch_scc1 .LBB7_1368
; %bb.1359:
	s_cmp_gt_i32 s22, 24
	s_cbranch_scc0 .LBB7_1369
; %bb.1360:
	global_load_ubyte v2, v[4:5], off
	s_movk_i32 s16, 0x7f
	s_mov_b64 s[18:19], 0
	s_waitcnt vmcnt(0)
	v_cmp_lt_i16_e32 vcc, s16, v2
	s_and_saveexec_b64 s[16:17], vcc
	s_xor_b64 s[16:17], exec, s[16:17]
	s_cbranch_execz .LBB7_1381
; %bb.1361:
	s_movk_i32 s18, 0x80
	v_cmp_ne_u16_e32 vcc, s18, v2
	s_and_b64 s[18:19], vcc, exec
	s_andn2_saveexec_b64 s[16:17], s[16:17]
	s_cbranch_execnz .LBB7_1382
.LBB7_1362:
	s_or_b64 exec, exec, s[16:17]
	v_mov_b32_e32 v6, 0
	s_and_saveexec_b64 s[16:17], s[18:19]
	s_cbranch_execz .LBB7_1364
.LBB7_1363:
	v_lshlrev_b32_e32 v3, 24, v2
	v_and_b32_e32 v2, 0xffff, v2
	v_and_b32_e32 v6, 3, v2
	v_ffbh_u32_e32 v8, v6
	v_min_u32_e32 v8, 32, v8
	v_subrev_u32_e32 v9, 29, v8
	v_bfe_u32 v7, v2, 2, 5
	v_lshlrev_b32_e32 v2, v9, v2
	v_sub_u32_e32 v8, 30, v8
	v_and_b32_e32 v2, 3, v2
	v_cmp_eq_u32_e32 vcc, 0, v7
	v_cndmask_b32_e32 v7, v7, v8, vcc
	v_cndmask_b32_e32 v2, v6, v2, vcc
	v_mov_b32_e32 v6, 0x37800000
	v_lshlrev_b32_e32 v2, 21, v2
	v_and_b32_e32 v3, 0x80000000, v3
	v_lshl_add_u32 v6, v7, 23, v6
	v_or3_b32 v2, v3, v6, v2
	v_trunc_f32_e32 v2, v2
	s_mov_b32 s18, 0x2f800000
	v_mul_f32_e64 v3, |v2|, s18
	v_floor_f32_e32 v3, v3
	s_mov_b32 s18, 0xcf800000
	v_fma_f32 v3, v3, s18, |v2|
	v_cvt_u32_f32_e32 v3, v3
	v_ashrrev_i32_e32 v2, 31, v2
	v_xor_b32_e32 v3, v3, v2
	v_sub_u32_e32 v6, v3, v2
.LBB7_1364:
	s_or_b64 exec, exec, s[16:17]
	s_mov_b64 s[16:17], 0
	s_branch .LBB7_1370
.LBB7_1365:
	s_mov_b64 s[16:17], -1
                                        ; implicit-def: $vgpr6
	s_branch .LBB7_1376
.LBB7_1366:
	s_andn2_saveexec_b64 s[18:19], s[18:19]
	s_cbranch_execz .LBB7_1352
.LBB7_1367:
	v_cmp_ne_u16_e32 vcc, 0, v2
	s_andn2_b64 s[20:21], s[20:21], exec
	s_and_b64 s[30:31], vcc, exec
	s_or_b64 s[20:21], s[20:21], s[30:31]
	s_or_b64 exec, exec, s[18:19]
	v_mov_b32_e32 v6, 0
	s_and_saveexec_b64 s[18:19], s[20:21]
	s_cbranch_execnz .LBB7_1353
	s_branch .LBB7_1354
.LBB7_1368:
	s_mov_b64 s[16:17], -1
                                        ; implicit-def: $vgpr6
	s_branch .LBB7_1373
.LBB7_1369:
	s_mov_b64 s[16:17], -1
                                        ; implicit-def: $vgpr6
.LBB7_1370:
	s_and_b64 vcc, exec, s[16:17]
	s_cbranch_vccz .LBB7_1372
; %bb.1371:
	global_load_ubyte v2, v[4:5], off
	s_mov_b32 s16, 0x7f800000
	s_brev_b32 s17, 1
	s_mov_b32 s18, 0x2f800000
	s_waitcnt vmcnt(0)
	v_lshlrev_b32_e32 v2, 24, v2
	v_and_b32_e32 v3, 0x7f000000, v2
	v_ffbh_u32_e32 v6, v3
	v_min_u32_e32 v6, 32, v6
	v_sub_u32_e64 v6, v6, 4 clamp
	v_lshlrev_b32_e32 v8, v6, v3
	v_lshlrev_b32_e32 v6, 23, v6
	v_lshrrev_b32_e32 v8, 4, v8
	v_add_u32_e32 v7, 0x1000000, v3
	v_sub_u32_e32 v6, v8, v6
	v_ashrrev_i32_e32 v7, 8, v7
	v_add_u32_e32 v6, 0x3c000000, v6
	v_and_or_b32 v6, v7, s16, v6
	v_cmp_ne_u32_e32 vcc, 0, v3
	v_cndmask_b32_e32 v3, 0, v6, vcc
	v_and_or_b32 v2, v2, s17, v3
	v_trunc_f32_e32 v2, v2
	v_mul_f32_e64 v3, |v2|, s18
	v_floor_f32_e32 v3, v3
	s_mov_b32 s16, 0xcf800000
	v_fma_f32 v3, v3, s16, |v2|
	v_cvt_u32_f32_e32 v3, v3
	v_ashrrev_i32_e32 v2, 31, v2
	v_xor_b32_e32 v3, v3, v2
	v_sub_u32_e32 v6, v3, v2
.LBB7_1372:
	s_mov_b64 s[16:17], 0
.LBB7_1373:
	s_andn2_b64 vcc, exec, s[16:17]
	s_cbranch_vccnz .LBB7_1375
; %bb.1374:
	global_load_ubyte v2, v[4:5], off
	s_movk_i32 s16, 0x7f00
	s_brev_b32 s17, 16
	s_brev_b32 s18, 1
	s_mov_b32 s19, 0x2f800000
	s_waitcnt vmcnt(0)
	v_lshlrev_b16_e32 v3, 8, v2
	v_lshlrev_b32_e32 v2, 25, v2
	v_lshrrev_b32_e32 v6, 4, v2
	v_and_or_b32 v7, v3, s16, 0.5
	v_or_b32_e32 v6, 0x70000000, v6
	v_add_f32_e32 v7, -0.5, v7
	v_mul_f32_e32 v6, 0x7800000, v6
	v_cmp_gt_u32_e32 vcc, s17, v2
	v_bfe_i32 v3, v3, 0, 16
	v_cndmask_b32_e32 v2, v6, v7, vcc
	v_and_or_b32 v2, v3, s18, v2
	v_trunc_f32_e32 v2, v2
	v_mul_f32_e64 v3, |v2|, s19
	v_floor_f32_e32 v3, v3
	s_mov_b32 s16, 0xcf800000
	v_fma_f32 v3, v3, s16, |v2|
	v_cvt_u32_f32_e32 v3, v3
	v_ashrrev_i32_e32 v2, 31, v2
	v_xor_b32_e32 v3, v3, v2
	v_sub_u32_e32 v6, v3, v2
.LBB7_1375:
	s_mov_b64 s[16:17], 0
	s_mov_b64 s[18:19], -1
.LBB7_1376:
	s_andn2_b64 vcc, exec, s[16:17]
	s_mov_b64 s[16:17], 0
	s_cbranch_vccnz .LBB7_1387
; %bb.1377:
	s_cmp_gt_i32 s22, 14
	s_cbranch_scc0 .LBB7_1380
; %bb.1378:
	s_cmp_eq_u32 s22, 15
	s_cbranch_scc0 .LBB7_1383
; %bb.1379:
	global_load_ushort v2, v[4:5], off
	s_mov_b32 s12, 0x2f800000
	s_mov_b32 s13, 0xcf800000
	s_mov_b64 s[18:19], -1
	s_waitcnt vmcnt(0)
	v_lshlrev_b32_e32 v2, 16, v2
	v_trunc_f32_e32 v2, v2
	v_mul_f32_e64 v3, |v2|, s12
	v_floor_f32_e32 v3, v3
	v_fma_f32 v3, v3, s13, |v2|
	v_cvt_u32_f32_e32 v3, v3
	v_ashrrev_i32_e32 v2, 31, v2
	s_mov_b64 s[12:13], 0
	v_xor_b32_e32 v3, v3, v2
	v_sub_u32_e32 v6, v3, v2
	s_branch .LBB7_1384
.LBB7_1380:
	s_mov_b64 s[20:21], -1
                                        ; implicit-def: $vgpr6
	s_branch .LBB7_1385
.LBB7_1381:
	s_andn2_saveexec_b64 s[16:17], s[16:17]
	s_cbranch_execz .LBB7_1362
.LBB7_1382:
	v_cmp_ne_u16_e32 vcc, 0, v2
	s_andn2_b64 s[18:19], s[18:19], exec
	s_and_b64 s[20:21], vcc, exec
	s_or_b64 s[18:19], s[18:19], s[20:21]
	s_or_b64 exec, exec, s[16:17]
	v_mov_b32_e32 v6, 0
	s_and_saveexec_b64 s[16:17], s[18:19]
	s_cbranch_execnz .LBB7_1363
	s_branch .LBB7_1364
.LBB7_1383:
	s_mov_b64 s[12:13], -1
                                        ; implicit-def: $vgpr6
.LBB7_1384:
	s_mov_b64 s[20:21], 0
.LBB7_1385:
	s_and_b64 vcc, exec, s[20:21]
	s_cbranch_vccz .LBB7_1387
; %bb.1386:
	s_cmp_lg_u32 s22, 11
	s_cselect_b64 s[20:21], -1, 0
	s_andn2_b64 s[12:13], s[12:13], exec
	s_and_b64 s[20:21], s[20:21], exec
	s_mov_b64 s[16:17], -1
	s_or_b64 s[12:13], s[12:13], s[20:21]
.LBB7_1387:
	s_mov_b64 s[20:21], 0
.LBB7_1388:
	s_andn2_b64 s[22:23], s[42:43], exec
	s_and_b64 s[12:13], s[12:13], exec
	s_and_b64 s[18:19], s[18:19], exec
	;; [unrolled: 1-line block ×4, first 2 shown]
	s_or_b64 s[42:43], s[22:23], s[12:13]
	s_or_b64 exec, exec, s[0:1]
	s_and_saveexec_b64 s[0:1], s[42:43]
	s_cbranch_execz .LBB7_1321
.LBB7_1389:
	s_or_b64 s[10:11], s[10:11], exec
	s_andn2_b64 s[16:17], s[16:17], exec
	s_trap 2
	s_or_b64 exec, exec, s[0:1]
	s_and_saveexec_b64 s[0:1], s[16:17]
	s_xor_b64 s[0:1], exec, s[0:1]
	s_cbranch_execnz .LBB7_1322
.LBB7_1390:
	s_or_b64 exec, exec, s[0:1]
	s_and_saveexec_b64 s[0:1], s[20:21]
	s_cbranch_execz .LBB7_1436
.LBB7_1391:
	s_sext_i32_i16 s12, s14
	s_cmp_lt_i32 s12, 5
	s_cbranch_scc1 .LBB7_1396
; %bb.1392:
	s_cmp_lt_i32 s12, 8
	s_cbranch_scc1 .LBB7_1397
; %bb.1393:
	;; [unrolled: 3-line block ×3, first 2 shown]
	s_cmp_gt_i32 s12, 9
	s_cbranch_scc0 .LBB7_1399
; %bb.1395:
	s_waitcnt vmcnt(0)
	global_load_dwordx2 v[2:3], v[4:5], off
	s_movk_i32 s12, 0xffe0
	s_waitcnt vmcnt(0)
	v_trunc_f64_e32 v[2:3], v[2:3]
	v_ldexp_f64 v[6:7], v[2:3], s12
	s_mov_b32 s12, 0
	s_mov_b32 s13, 0xc1f00000
	v_floor_f64_e32 v[6:7], v[6:7]
	v_fma_f64 v[2:3], v[6:7], s[12:13], v[2:3]
	s_mov_b64 s[12:13], 0
	v_cvt_u32_f64_e32 v6, v[2:3]
	s_branch .LBB7_1400
.LBB7_1396:
                                        ; implicit-def: $vgpr6
	s_branch .LBB7_1417
.LBB7_1397:
                                        ; implicit-def: $vgpr6
	s_branch .LBB7_1406
.LBB7_1398:
	s_mov_b64 s[12:13], -1
                                        ; implicit-def: $vgpr6
	s_branch .LBB7_1403
.LBB7_1399:
	s_mov_b64 s[12:13], -1
                                        ; implicit-def: $vgpr6
.LBB7_1400:
	s_andn2_b64 vcc, exec, s[12:13]
	s_cbranch_vccnz .LBB7_1402
; %bb.1401:
	s_waitcnt vmcnt(0)
	global_load_dword v2, v[4:5], off
	s_mov_b32 s12, 0x2f800000
	s_waitcnt vmcnt(0)
	v_trunc_f32_e32 v2, v2
	v_mul_f32_e64 v3, |v2|, s12
	v_floor_f32_e32 v3, v3
	s_mov_b32 s12, 0xcf800000
	v_fma_f32 v3, v3, s12, |v2|
	v_cvt_u32_f32_e32 v3, v3
	v_ashrrev_i32_e32 v2, 31, v2
	v_xor_b32_e32 v3, v3, v2
	v_sub_u32_e32 v6, v3, v2
.LBB7_1402:
	s_mov_b64 s[12:13], 0
.LBB7_1403:
	s_andn2_b64 vcc, exec, s[12:13]
	s_cbranch_vccnz .LBB7_1405
; %bb.1404:
	s_waitcnt vmcnt(0)
	global_load_dword v2, v[4:5], off
	s_waitcnt vmcnt(0)
	v_cvt_f32_f16_e32 v2, v2
	v_cvt_i32_f32_e32 v6, v2
.LBB7_1405:
	s_cbranch_execnz .LBB7_1416
.LBB7_1406:
	s_sext_i32_i16 s12, s14
	s_cmp_lt_i32 s12, 6
	s_cbranch_scc1 .LBB7_1409
; %bb.1407:
	s_cmp_gt_i32 s12, 6
	s_cbranch_scc0 .LBB7_1410
; %bb.1408:
	s_waitcnt vmcnt(0)
	global_load_dwordx2 v[2:3], v[4:5], off
	s_movk_i32 s12, 0xffe0
	s_waitcnt vmcnt(0)
	v_trunc_f64_e32 v[2:3], v[2:3]
	v_ldexp_f64 v[6:7], v[2:3], s12
	s_mov_b32 s12, 0
	s_mov_b32 s13, 0xc1f00000
	v_floor_f64_e32 v[6:7], v[6:7]
	v_fma_f64 v[2:3], v[6:7], s[12:13], v[2:3]
	s_mov_b64 s[12:13], 0
	v_cvt_u32_f64_e32 v6, v[2:3]
	s_branch .LBB7_1411
.LBB7_1409:
	s_mov_b64 s[12:13], -1
                                        ; implicit-def: $vgpr6
	s_branch .LBB7_1414
.LBB7_1410:
	s_mov_b64 s[12:13], -1
                                        ; implicit-def: $vgpr6
.LBB7_1411:
	s_andn2_b64 vcc, exec, s[12:13]
	s_cbranch_vccnz .LBB7_1413
; %bb.1412:
	s_waitcnt vmcnt(0)
	global_load_dword v2, v[4:5], off
	s_mov_b32 s12, 0x2f800000
	s_waitcnt vmcnt(0)
	v_trunc_f32_e32 v2, v2
	v_mul_f32_e64 v3, |v2|, s12
	v_floor_f32_e32 v3, v3
	s_mov_b32 s12, 0xcf800000
	v_fma_f32 v3, v3, s12, |v2|
	v_cvt_u32_f32_e32 v3, v3
	v_ashrrev_i32_e32 v2, 31, v2
	v_xor_b32_e32 v3, v3, v2
	v_sub_u32_e32 v6, v3, v2
.LBB7_1413:
	s_mov_b64 s[12:13], 0
.LBB7_1414:
	s_andn2_b64 vcc, exec, s[12:13]
	s_cbranch_vccnz .LBB7_1416
; %bb.1415:
	s_waitcnt vmcnt(0)
	global_load_ushort v2, v[4:5], off
	s_waitcnt vmcnt(0)
	v_cvt_f32_f16_e32 v2, v2
	v_cvt_i32_f32_e32 v6, v2
.LBB7_1416:
	s_cbranch_execnz .LBB7_1435
.LBB7_1417:
	s_sext_i32_i16 s12, s14
	s_cmp_lt_i32 s12, 2
	s_cbranch_scc1 .LBB7_1421
; %bb.1418:
	s_cmp_lt_i32 s12, 3
	s_cbranch_scc1 .LBB7_1422
; %bb.1419:
	s_cmp_gt_i32 s12, 3
	s_cbranch_scc0 .LBB7_1423
; %bb.1420:
	s_waitcnt vmcnt(0)
	global_load_dwordx2 v[6:7], v[4:5], off
	s_mov_b64 s[12:13], 0
	s_branch .LBB7_1424
.LBB7_1421:
                                        ; implicit-def: $vgpr6
	s_branch .LBB7_1430
.LBB7_1422:
	s_mov_b64 s[12:13], -1
                                        ; implicit-def: $vgpr6
	s_branch .LBB7_1427
.LBB7_1423:
	s_mov_b64 s[12:13], -1
                                        ; implicit-def: $vgpr6
.LBB7_1424:
	s_andn2_b64 vcc, exec, s[12:13]
	s_cbranch_vccnz .LBB7_1426
; %bb.1425:
	s_waitcnt vmcnt(0)
	global_load_dword v6, v[4:5], off
.LBB7_1426:
	s_mov_b64 s[12:13], 0
.LBB7_1427:
	s_andn2_b64 vcc, exec, s[12:13]
	s_cbranch_vccnz .LBB7_1429
; %bb.1428:
	s_waitcnt vmcnt(0)
	global_load_ushort v6, v[4:5], off
.LBB7_1429:
	s_cbranch_execnz .LBB7_1435
.LBB7_1430:
	s_sext_i32_i16 s12, s14
	s_cmp_gt_i32 s12, 0
	s_cbranch_scc0 .LBB7_1432
; %bb.1431:
	s_waitcnt vmcnt(0)
	global_load_ubyte v6, v[4:5], off
	s_mov_b64 s[12:13], 0
	s_branch .LBB7_1433
.LBB7_1432:
	s_mov_b64 s[12:13], -1
                                        ; implicit-def: $vgpr6
.LBB7_1433:
	s_andn2_b64 vcc, exec, s[12:13]
	s_cbranch_vccnz .LBB7_1435
; %bb.1434:
	s_waitcnt vmcnt(0)
	global_load_ubyte v6, v[4:5], off
.LBB7_1435:
	s_or_b64 s[18:19], s[18:19], exec
.LBB7_1436:
	s_or_b64 exec, exec, s[0:1]
	s_mov_b64 s[22:23], 0
	s_mov_b64 s[20:21], 0
                                        ; implicit-def: $sgpr12_sgpr13
                                        ; implicit-def: $sgpr30
                                        ; implicit-def: $vgpr2_vgpr3
	s_and_saveexec_b64 s[16:17], s[18:19]
	s_cbranch_execz .LBB7_1511
; %bb.1437:
	s_waitcnt vmcnt(0)
	v_cmp_ne_u16_sdwa s[0:1], v1, v6 src0_sel:BYTE_0 src1_sel:BYTE_0
	s_xor_b64 s[12:13], s[28:29], s[0:1]
	v_mov_b32_e32 v1, s9
	s_and_b32 s30, s15, 0xff
	v_add_co_u32_e32 v2, vcc, s8, v0
	s_cmp_lt_i32 s30, 11
	v_addc_co_u32_e32 v3, vcc, 0, v1, vcc
	s_cbranch_scc1 .LBB7_1514
; %bb.1438:
	s_and_b32 s22, 0xffff, s30
	s_mov_b64 s[14:15], -1
	s_cmp_gt_i32 s22, 25
	s_mov_b64 s[0:1], s[40:41]
	s_cbranch_scc0 .LBB7_1471
; %bb.1439:
	s_mov_b64 s[8:9], -1
	s_cmp_gt_i32 s22, 28
	s_mov_b64 s[0:1], s[40:41]
	s_cbranch_scc0 .LBB7_1455
; %bb.1440:
	s_cmp_gt_i32 s22, 43
	s_mov_b64 s[0:1], s[40:41]
	s_cbranch_scc0 .LBB7_1451
; %bb.1441:
	;; [unrolled: 4-line block ×3, first 2 shown]
	s_cmp_eq_u32 s22, 46
	s_mov_b64 s[0:1], -1
	s_cbranch_scc0 .LBB7_1444
; %bb.1443:
	v_cndmask_b32_e64 v0, 0, 1.0, s[12:13]
	v_bfe_u32 v1, v0, 16, 1
	s_movk_i32 s0, 0x7fff
	v_add3_u32 v0, v0, v1, s0
	v_lshrrev_b32_e32 v0, 16, v0
	global_store_dword v[2:3], v0, off
	s_mov_b64 s[0:1], 0
.LBB7_1444:
	s_mov_b64 s[8:9], 0
.LBB7_1445:
	s_and_b64 vcc, exec, s[8:9]
	s_cbranch_vccz .LBB7_1450
; %bb.1446:
	s_cmp_eq_u32 s22, 44
	s_mov_b64 s[0:1], -1
	s_cbranch_scc0 .LBB7_1450
; %bb.1447:
	v_cndmask_b32_e64 v1, 0, 1.0, s[12:13]
	v_lshrrev_b32_e32 v0, 23, v1
	s_movk_i32 s0, 0xff
	v_cmp_ne_u32_e32 vcc, s0, v0
	v_mov_b32_e32 v4, 0xff
	s_and_saveexec_b64 s[8:9], vcc
; %bb.1448:
	s_mov_b32 s0, 0x3fffff
	v_and_b32_e32 v4, 0x400000, v1
	v_and_or_b32 v1, v1, s0, v0
	v_cmp_ne_u32_e32 vcc, 0, v4
	v_cmp_ne_u32_e64 s[0:1], 0, v1
	s_and_b64 s[0:1], vcc, s[0:1]
	v_cndmask_b32_e64 v1, 0, 1, s[0:1]
	v_add_u32_e32 v4, v0, v1
; %bb.1449:
	s_or_b64 exec, exec, s[8:9]
	s_mov_b64 s[0:1], 0
	global_store_byte v[2:3], v4, off
.LBB7_1450:
	s_mov_b64 s[8:9], 0
.LBB7_1451:
	s_and_b64 vcc, exec, s[8:9]
	s_cbranch_vccz .LBB7_1454
; %bb.1452:
	s_cmp_eq_u32 s22, 29
	s_mov_b64 s[0:1], -1
	s_cbranch_scc0 .LBB7_1454
; %bb.1453:
	s_mov_b32 s0, 0
	v_cndmask_b32_e64 v0, 0, 1, s[12:13]
	v_mov_b32_e32 v1, s0
	global_store_dwordx2 v[2:3], v[0:1], off
	s_mov_b64 s[0:1], 0
.LBB7_1454:
	s_mov_b64 s[8:9], 0
.LBB7_1455:
	s_and_b64 vcc, exec, s[8:9]
	s_cbranch_vccz .LBB7_1470
; %bb.1456:
	s_cmp_lt_i32 s22, 27
	s_mov_b64 s[8:9], -1
	s_cbranch_scc1 .LBB7_1462
; %bb.1457:
	s_cmp_gt_i32 s22, 27
	s_cbranch_scc0 .LBB7_1459
; %bb.1458:
	v_cndmask_b32_e64 v0, 0, 1, s[12:13]
	s_mov_b64 s[8:9], 0
	global_store_dword v[2:3], v0, off
.LBB7_1459:
	s_andn2_b64 vcc, exec, s[8:9]
	s_cbranch_vccnz .LBB7_1461
; %bb.1460:
	v_cndmask_b32_e64 v0, 0, 1, s[12:13]
	global_store_short v[2:3], v0, off
.LBB7_1461:
	s_mov_b64 s[8:9], 0
.LBB7_1462:
	s_andn2_b64 vcc, exec, s[8:9]
	s_cbranch_vccnz .LBB7_1470
; %bb.1463:
	v_cndmask_b32_e64 v1, 0, 1.0, s[12:13]
	s_mov_b32 s8, 0x43800000
	v_cmp_gt_u32_e32 vcc, s8, v1
	v_mov_b32_e32 v4, 0x80
	s_and_saveexec_b64 s[8:9], vcc
	s_cbranch_execz .LBB7_1469
; %bb.1464:
	s_mov_b32 s14, 0x3bffffff
	v_cmp_lt_u32_e32 vcc, s14, v1
	s_mov_b64 s[14:15], 0
                                        ; implicit-def: $vgpr0
	s_and_saveexec_b64 s[18:19], vcc
	s_xor_b64 s[18:19], exec, s[18:19]
	s_cbranch_execz .LBB7_1615
; %bb.1465:
	v_bfe_u32 v0, v1, 20, 1
	s_mov_b32 s20, 0x487ffff
	v_add3_u32 v0, v1, v0, s20
	s_mov_b64 s[14:15], exec
	v_lshrrev_b32_e32 v0, 20, v0
                                        ; implicit-def: $vgpr1
	s_andn2_saveexec_b64 s[18:19], s[18:19]
	s_cbranch_execnz .LBB7_1616
.LBB7_1466:
	s_or_b64 exec, exec, s[18:19]
	v_mov_b32_e32 v4, 0
	s_and_saveexec_b64 s[18:19], s[14:15]
.LBB7_1467:
	v_mov_b32_e32 v4, v0
.LBB7_1468:
	s_or_b64 exec, exec, s[18:19]
.LBB7_1469:
	s_or_b64 exec, exec, s[8:9]
	global_store_byte v[2:3], v4, off
.LBB7_1470:
	s_mov_b64 s[14:15], 0
.LBB7_1471:
	s_mov_b64 s[8:9], 0
	s_and_b64 vcc, exec, s[14:15]
	s_cbranch_vccz .LBB7_1515
; %bb.1472:
	s_cmp_gt_i32 s22, 22
	s_mov_b64 s[14:15], -1
	s_cbranch_scc0 .LBB7_1504
; %bb.1473:
	s_cmp_lt_i32 s22, 24
	s_cbranch_scc1 .LBB7_1493
; %bb.1474:
	s_cmp_gt_i32 s22, 24
	s_cbranch_scc0 .LBB7_1482
; %bb.1475:
	v_cndmask_b32_e64 v1, 0, 1.0, s[12:13]
	s_mov_b32 s14, 0x47800000
	v_cmp_gt_u32_e32 vcc, s14, v1
	v_mov_b32_e32 v4, 0x80
	s_and_saveexec_b64 s[14:15], vcc
	s_cbranch_execz .LBB7_1481
; %bb.1476:
	s_mov_b32 s18, 0x37ffffff
	v_cmp_lt_u32_e32 vcc, s18, v1
	s_mov_b64 s[18:19], 0
                                        ; implicit-def: $vgpr0
	s_and_saveexec_b64 s[20:21], vcc
	s_xor_b64 s[20:21], exec, s[20:21]
	s_cbranch_execz .LBB7_1735
; %bb.1477:
	v_bfe_u32 v0, v1, 21, 1
	s_mov_b32 s23, 0x88fffff
	v_add3_u32 v0, v1, v0, s23
	s_mov_b64 s[18:19], exec
	v_lshrrev_b32_e32 v0, 21, v0
                                        ; implicit-def: $vgpr1
	s_andn2_saveexec_b64 s[20:21], s[20:21]
	s_cbranch_execnz .LBB7_1736
.LBB7_1478:
	s_or_b64 exec, exec, s[20:21]
	v_mov_b32_e32 v4, 0
	s_and_saveexec_b64 s[20:21], s[18:19]
.LBB7_1479:
	v_mov_b32_e32 v4, v0
.LBB7_1480:
	s_or_b64 exec, exec, s[20:21]
.LBB7_1481:
	s_or_b64 exec, exec, s[14:15]
	s_mov_b64 s[14:15], 0
	global_store_byte v[2:3], v4, off
.LBB7_1482:
	s_and_b64 vcc, exec, s[14:15]
	s_cbranch_vccz .LBB7_1492
; %bb.1483:
	v_cndmask_b32_e64 v0, 0, 1.0, s[12:13]
	s_mov_b32 s14, 0x43f00000
	v_cmp_gt_u32_e32 vcc, s14, v0
                                        ; implicit-def: $vgpr1
	s_and_saveexec_b64 s[14:15], vcc
	s_xor_b64 s[14:15], exec, s[14:15]
	s_cbranch_execz .LBB7_1489
; %bb.1484:
	s_mov_b32 s18, 0x3c7fffff
	v_cmp_lt_u32_e32 vcc, s18, v0
                                        ; implicit-def: $vgpr1
	s_and_saveexec_b64 s[18:19], vcc
	s_xor_b64 s[18:19], exec, s[18:19]
; %bb.1485:
	v_bfe_u32 v1, v0, 20, 1
	s_mov_b32 s20, 0x407ffff
	v_add3_u32 v0, v0, v1, s20
	v_lshrrev_b32_e32 v1, 20, v0
	v_and_b32_e32 v0, 0xff00000, v0
	s_mov_b32 s20, 0x7f00000
	v_mov_b32_e32 v4, 0x7e
	v_cmp_ne_u32_e32 vcc, s20, v0
	v_cndmask_b32_e32 v1, v4, v1, vcc
                                        ; implicit-def: $vgpr0
; %bb.1486:
	s_andn2_saveexec_b64 s[18:19], s[18:19]
; %bb.1487:
	v_add_f32_e32 v1, 0x46800000, v0
; %bb.1488:
	s_or_b64 exec, exec, s[18:19]
                                        ; implicit-def: $vgpr0
.LBB7_1489:
	s_andn2_saveexec_b64 s[14:15], s[14:15]
; %bb.1490:
	s_mov_b32 s18, 0x7f800000
	v_mov_b32_e32 v1, 0x7e
	v_mov_b32_e32 v4, 0x7f
	v_cmp_lt_u32_e32 vcc, s18, v0
	v_cndmask_b32_e32 v1, v1, v4, vcc
; %bb.1491:
	s_or_b64 exec, exec, s[14:15]
	global_store_byte v[2:3], v1, off
.LBB7_1492:
	s_mov_b64 s[14:15], 0
.LBB7_1493:
	s_andn2_b64 vcc, exec, s[14:15]
	s_cbranch_vccnz .LBB7_1503
; %bb.1494:
	v_cndmask_b32_e64 v0, 0, 1.0, s[12:13]
	s_mov_b32 s14, 0x47800000
	v_cmp_gt_u32_e32 vcc, s14, v0
                                        ; implicit-def: $vgpr1
	s_and_saveexec_b64 s[14:15], vcc
	s_xor_b64 s[14:15], exec, s[14:15]
	s_cbranch_execz .LBB7_1500
; %bb.1495:
	s_mov_b32 s18, 0x387fffff
	v_cmp_lt_u32_e32 vcc, s18, v0
                                        ; implicit-def: $vgpr1
	s_and_saveexec_b64 s[18:19], vcc
	s_xor_b64 s[18:19], exec, s[18:19]
; %bb.1496:
	v_bfe_u32 v1, v0, 21, 1
	s_mov_b32 s20, 0x80fffff
	v_add3_u32 v0, v0, v1, s20
	v_lshrrev_b32_e32 v1, 21, v0
                                        ; implicit-def: $vgpr0
; %bb.1497:
	s_andn2_saveexec_b64 s[18:19], s[18:19]
; %bb.1498:
	v_add_f32_e32 v1, 0x43000000, v0
; %bb.1499:
	s_or_b64 exec, exec, s[18:19]
                                        ; implicit-def: $vgpr0
.LBB7_1500:
	s_andn2_saveexec_b64 s[14:15], s[14:15]
; %bb.1501:
	s_mov_b32 s18, 0x7f800000
	v_mov_b32_e32 v1, 0x7c
	v_mov_b32_e32 v4, 0x7f
	v_cmp_lt_u32_e32 vcc, s18, v0
	v_cndmask_b32_e32 v1, v1, v4, vcc
; %bb.1502:
	s_or_b64 exec, exec, s[14:15]
	global_store_byte v[2:3], v1, off
.LBB7_1503:
	s_mov_b64 s[14:15], 0
.LBB7_1504:
	s_andn2_b64 vcc, exec, s[14:15]
	s_mov_b64 s[14:15], 0
	s_cbranch_vccnz .LBB7_1516
; %bb.1505:
	s_cmp_gt_i32 s22, 14
	s_mov_b64 s[18:19], -1
	s_cbranch_scc0 .LBB7_1509
; %bb.1506:
	s_cmp_eq_u32 s22, 15
	s_mov_b64 s[0:1], -1
	s_cbranch_scc0 .LBB7_1508
; %bb.1507:
	v_cndmask_b32_e64 v0, 0, 1.0, s[12:13]
	v_bfe_u32 v1, v0, 16, 1
	s_movk_i32 s0, 0x7fff
	v_add3_u32 v0, v0, v1, s0
	global_store_short_d16_hi v[2:3], v0, off
	s_mov_b64 s[0:1], 0
.LBB7_1508:
	s_mov_b64 s[18:19], 0
.LBB7_1509:
	s_and_b64 vcc, exec, s[18:19]
	s_cbranch_vccz .LBB7_1516
; %bb.1510:
	s_cmp_lg_u32 s22, 11
	s_cselect_b64 s[18:19], -1, 0
	s_andn2_b64 s[0:1], s[0:1], exec
	s_and_b64 s[18:19], s[18:19], exec
	s_mov_b64 s[14:15], -1
	s_or_b64 s[0:1], s[0:1], s[18:19]
	s_branch .LBB7_1516
.LBB7_1511:
	s_or_b64 exec, exec, s[16:17]
	s_and_saveexec_b64 s[0:1], s[40:41]
	s_cbranch_execnz .LBB7_1517
.LBB7_1512:
	s_or_b64 exec, exec, s[0:1]
	s_and_saveexec_b64 s[0:1], s[22:23]
	s_xor_b64 s[0:1], exec, s[0:1]
	s_cbranch_execz .LBB7_1518
.LBB7_1513:
	v_cndmask_b32_e64 v0, 0, 1, s[12:13]
	s_waitcnt vmcnt(0)
	global_store_byte v[2:3], v0, off
	s_or_b64 exec, exec, s[0:1]
	s_and_saveexec_b64 s[0:1], s[20:21]
	s_xor_b64 s[0:1], exec, s[0:1]
	s_cbranch_execz .LBB7_1556
	s_branch .LBB7_1519
.LBB7_1514:
	s_mov_b64 s[14:15], 0
	s_mov_b64 s[8:9], -1
	s_mov_b64 s[0:1], s[40:41]
	s_branch .LBB7_1516
.LBB7_1515:
	s_mov_b64 s[14:15], 0
.LBB7_1516:
	s_and_b64 s[20:21], s[8:9], exec
	s_andn2_b64 s[8:9], s[40:41], exec
	s_and_b64 s[0:1], s[0:1], exec
	s_and_b64 s[22:23], s[14:15], exec
	s_or_b64 s[40:41], s[8:9], s[0:1]
	s_or_b64 exec, exec, s[16:17]
	s_and_saveexec_b64 s[0:1], s[40:41]
	s_cbranch_execz .LBB7_1512
.LBB7_1517:
	s_or_b64 s[10:11], s[10:11], exec
	s_andn2_b64 s[22:23], s[22:23], exec
	s_trap 2
	s_or_b64 exec, exec, s[0:1]
	s_and_saveexec_b64 s[0:1], s[22:23]
	s_xor_b64 s[0:1], exec, s[0:1]
	s_cbranch_execnz .LBB7_1513
.LBB7_1518:
	s_or_b64 exec, exec, s[0:1]
	s_and_saveexec_b64 s[0:1], s[20:21]
	s_xor_b64 s[0:1], exec, s[0:1]
	s_cbranch_execz .LBB7_1556
.LBB7_1519:
	s_sext_i32_i16 s14, s30
	s_cmp_lt_i32 s14, 5
	s_mov_b64 s[8:9], -1
	s_cbranch_scc1 .LBB7_1540
; %bb.1520:
	s_cmp_lt_i32 s14, 8
	s_cbranch_scc1 .LBB7_1530
; %bb.1521:
	s_cmp_lt_i32 s14, 9
	s_cbranch_scc1 .LBB7_1527
; %bb.1522:
	s_cmp_gt_i32 s14, 9
	s_cbranch_scc0 .LBB7_1524
; %bb.1523:
	v_cndmask_b32_e64 v0, 0, 1, s[12:13]
	s_waitcnt vmcnt(0)
	v_cvt_f64_u32_e32 v[4:5], v0
	v_mov_b32_e32 v6, 0
	v_mov_b32_e32 v7, v6
	s_mov_b64 s[8:9], 0
	global_store_dwordx4 v[2:3], v[4:7], off
.LBB7_1524:
	s_andn2_b64 vcc, exec, s[8:9]
	s_cbranch_vccnz .LBB7_1526
; %bb.1525:
	v_cndmask_b32_e64 v0, 0, 1.0, s[12:13]
	s_waitcnt vmcnt(0)
	v_mov_b32_e32 v1, 0
	global_store_dwordx2 v[2:3], v[0:1], off
.LBB7_1526:
	s_mov_b64 s[8:9], 0
.LBB7_1527:
	s_andn2_b64 vcc, exec, s[8:9]
	s_cbranch_vccnz .LBB7_1529
; %bb.1528:
	v_cndmask_b32_e64 v0, 0, 1.0, s[12:13]
	v_cvt_f16_f32_e32 v0, v0
	s_waitcnt vmcnt(0)
	global_store_dword v[2:3], v0, off
.LBB7_1529:
	s_mov_b64 s[8:9], 0
.LBB7_1530:
	s_andn2_b64 vcc, exec, s[8:9]
	s_cbranch_vccnz .LBB7_1539
; %bb.1531:
	s_sext_i32_i16 s14, s30
	s_cmp_lt_i32 s14, 6
	s_mov_b64 s[8:9], -1
	s_cbranch_scc1 .LBB7_1537
; %bb.1532:
	s_cmp_gt_i32 s14, 6
	s_cbranch_scc0 .LBB7_1534
; %bb.1533:
	v_cndmask_b32_e64 v0, 0, 1, s[12:13]
	s_waitcnt vmcnt(0)
	v_cvt_f64_u32_e32 v[0:1], v0
	s_mov_b64 s[8:9], 0
	global_store_dwordx2 v[2:3], v[0:1], off
.LBB7_1534:
	s_andn2_b64 vcc, exec, s[8:9]
	s_cbranch_vccnz .LBB7_1536
; %bb.1535:
	v_cndmask_b32_e64 v0, 0, 1.0, s[12:13]
	s_waitcnt vmcnt(0)
	global_store_dword v[2:3], v0, off
.LBB7_1536:
	s_mov_b64 s[8:9], 0
.LBB7_1537:
	s_andn2_b64 vcc, exec, s[8:9]
	s_cbranch_vccnz .LBB7_1539
; %bb.1538:
	v_cndmask_b32_e64 v0, 0, 1.0, s[12:13]
	v_cvt_f16_f32_e32 v0, v0
	s_waitcnt vmcnt(0)
	global_store_short v[2:3], v0, off
.LBB7_1539:
	s_mov_b64 s[8:9], 0
.LBB7_1540:
	s_andn2_b64 vcc, exec, s[8:9]
	s_cbranch_vccnz .LBB7_1556
; %bb.1541:
	s_sext_i32_i16 s14, s30
	s_cmp_lt_i32 s14, 2
	s_mov_b64 s[8:9], -1
	s_cbranch_scc1 .LBB7_1551
; %bb.1542:
	s_cmp_lt_i32 s14, 3
	s_cbranch_scc1 .LBB7_1548
; %bb.1543:
	s_cmp_gt_i32 s14, 3
	s_cbranch_scc0 .LBB7_1545
; %bb.1544:
	s_mov_b32 s8, 0
	v_cndmask_b32_e64 v0, 0, 1, s[12:13]
	s_waitcnt vmcnt(0)
	v_mov_b32_e32 v1, s8
	s_mov_b64 s[8:9], 0
	global_store_dwordx2 v[2:3], v[0:1], off
.LBB7_1545:
	s_andn2_b64 vcc, exec, s[8:9]
	s_cbranch_vccnz .LBB7_1547
; %bb.1546:
	v_cndmask_b32_e64 v0, 0, 1, s[12:13]
	s_waitcnt vmcnt(0)
	global_store_dword v[2:3], v0, off
.LBB7_1547:
	s_mov_b64 s[8:9], 0
.LBB7_1548:
	s_andn2_b64 vcc, exec, s[8:9]
	s_cbranch_vccnz .LBB7_1550
; %bb.1549:
	v_cndmask_b32_e64 v0, 0, 1, s[12:13]
	s_waitcnt vmcnt(0)
	global_store_short v[2:3], v0, off
.LBB7_1550:
	s_mov_b64 s[8:9], 0
.LBB7_1551:
	s_andn2_b64 vcc, exec, s[8:9]
	s_cbranch_vccnz .LBB7_1556
; %bb.1552:
	s_sext_i32_i16 s14, s30
	s_mov_b64 s[8:9], -1
	s_cmp_gt_i32 s14, 0
	v_cndmask_b32_e64 v0, 0, 1, s[12:13]
	s_cbranch_scc0 .LBB7_1554
; %bb.1553:
	s_mov_b64 s[8:9], 0
	s_waitcnt vmcnt(0)
	global_store_byte v[2:3], v0, off
.LBB7_1554:
	s_andn2_b64 vcc, exec, s[8:9]
	s_cbranch_vccnz .LBB7_1556
; %bb.1555:
	s_waitcnt vmcnt(0)
	global_store_byte v[2:3], v0, off
.LBB7_1556:
	s_or_b64 exec, exec, s[0:1]
	s_and_b64 s[12:13], s[10:11], exec
                                        ; implicit-def: $vgpr20
                                        ; implicit-def: $vgpr10
.LBB7_1557:
	s_or_saveexec_b64 s[14:15], s[26:27]
	s_mov_b64 s[0:1], 0
                                        ; implicit-def: $sgpr10_sgpr11
                                        ; implicit-def: $vgpr0_vgpr1
                                        ; implicit-def: $sgpr22
	s_xor_b64 exec, exec, s[14:15]
	s_cbranch_execz .LBB7_3038
; %bb.1558:
	v_cndmask_b32_e64 v0, 0, 1, s[24:25]
	v_cmp_ne_u32_e64 s[0:1], 1, v0
	s_andn2_b64 vcc, exec, s[24:25]
	s_cbranch_vccnz .LBB7_1564
; %bb.1559:
	s_cmp_lg_u32 s33, 0
	s_cbranch_scc0 .LBB7_1565
; %bb.1560:
	s_min_u32 s8, s72, 15
	s_add_i32 s6, s8, 1
	s_and_b32 s9, s6, 30
	s_add_u32 s6, s2, 0xffffffe8
	s_addc_u32 s7, s3, -1
	v_mov_b32_e32 v11, 0
	v_mov_b32_e32 v8, 0
	s_waitcnt vmcnt(0)
	v_mov_b32_e32 v6, 0
	v_mov_b32_e32 v0, v10
.LBB7_1561:                             ; =>This Inner Loop Header: Depth=1
	s_load_dwordx4 s[16:19], s[6:7], 0x1c
	s_load_dwordx2 s[10:11], s[6:7], 0x2c
	s_load_dwordx2 s[24:25], s[6:7], 0xec
	s_load_dwordx4 s[20:23], s[6:7], 0xdc
	s_add_u32 s6, s6, 24
	s_waitcnt lgkmcnt(0)
	v_mul_hi_u32 v1, s17, v0
	s_addc_u32 s7, s7, 0
	s_add_i32 s9, s9, -2
	s_cmp_lg_u32 s9, 0
	v_add_u32_e32 v1, v0, v1
	v_lshrrev_b32_e32 v1, s18, v1
	v_mul_lo_u32 v2, v1, s16
	v_mul_hi_u32 v3, s10, v1
	v_sub_u32_e32 v2, v0, v2
	v_add_u32_e32 v0, v1, v3
	v_lshrrev_b32_e32 v0, s11, v0
	v_mul_lo_u32 v5, v0, s19
	v_mul_lo_u32 v3, v2, s20
	;; [unrolled: 1-line block ×4, first 2 shown]
	v_sub_u32_e32 v1, v1, v5
	v_mul_lo_u32 v5, v1, s23
	v_mul_lo_u32 v7, v1, s24
	;; [unrolled: 1-line block ×3, first 2 shown]
	v_add3_u32 v6, v3, v6, v5
	v_add3_u32 v8, v4, v8, v7
	;; [unrolled: 1-line block ×3, first 2 shown]
	s_cbranch_scc1 .LBB7_1561
; %bb.1562:
	s_bitcmp1_b32 s8, 0
	s_cselect_b64 s[8:9], -1, 0
	s_and_b64 vcc, exec, s[8:9]
	s_cbranch_vccnz .LBB7_1566
; %bb.1563:
	s_load_dwordx2 s[8:9], s[6:7], 0x1c
	s_load_dword s16, s[6:7], 0x24
	s_load_dwordx2 s[10:11], s[6:7], 0xdc
	s_waitcnt lgkmcnt(0)
	v_mul_hi_u32 v1, s9, v0
	v_add_u32_e32 v1, v0, v1
	v_lshrrev_b32_e32 v1, s16, v1
	v_mul_lo_u32 v1, v1, s8
	s_load_dword s8, s[6:7], 0xe4
	v_sub_u32_e32 v0, v0, v1
	v_mad_u64_u32 v[6:7], s[6:7], v0, s10, v[6:7]
	v_mad_u64_u32 v[8:9], s[6:7], v0, s11, v[8:9]
	s_waitcnt lgkmcnt(0)
	v_mad_u64_u32 v[11:12], s[6:7], v0, s8, v[11:12]
	s_cbranch_execz .LBB7_1567
	s_branch .LBB7_1569
.LBB7_1564:
                                        ; implicit-def: $vgpr6
                                        ; implicit-def: $vgpr8
                                        ; implicit-def: $vgpr11
	s_branch .LBB7_1567
.LBB7_1565:
	s_waitcnt vmcnt(0)
	v_mov_b32_e32 v6, 0
	v_mov_b32_e32 v8, 0
	;; [unrolled: 1-line block ×3, first 2 shown]
.LBB7_1566:
	s_cbranch_execnz .LBB7_1569
.LBB7_1567:
	s_load_dwordx4 s[8:11], s[2:3], 0x4
	s_load_dwordx4 s[16:19], s[2:3], 0xc4
	s_cmp_lt_u32 s33, 2
	s_waitcnt lgkmcnt(0)
	v_mul_hi_u32 v0, s9, v10
	v_add_u32_e32 v0, v10, v0
	v_lshrrev_b32_e32 v0, s10, v0
	s_waitcnt vmcnt(0)
	v_mul_lo_u32 v1, v0, s8
	v_sub_u32_e32 v1, v10, v1
	v_mul_lo_u32 v6, v1, s16
	v_mul_lo_u32 v8, v1, s17
	v_mul_lo_u32 v11, v1, s18
	s_cbranch_scc1 .LBB7_1569
; %bb.1568:
	s_load_dwordx4 s[8:11], s[2:3], 0x10
	s_load_dwordx4 s[16:19], s[2:3], 0xd0
	s_waitcnt lgkmcnt(0)
	v_mul_hi_u32 v1, s9, v0
	v_add_u32_e32 v1, v0, v1
	v_lshrrev_b32_e32 v1, s10, v1
	v_mul_lo_u32 v1, v1, s8
	v_sub_u32_e32 v0, v0, v1
	v_mad_u64_u32 v[6:7], s[6:7], v0, s16, v[6:7]
	v_mad_u64_u32 v[8:9], s[6:7], v0, s17, v[8:9]
	;; [unrolled: 1-line block ×3, first 2 shown]
.LBB7_1569:
	s_and_b64 vcc, exec, s[0:1]
	v_add_u32_e32 v0, 0x80, v10
	s_cbranch_vccnz .LBB7_1575
; %bb.1570:
	s_cmp_lg_u32 s33, 0
	s_cbranch_scc0 .LBB7_1576
; %bb.1571:
	s_min_u32 s8, s72, 15
	s_add_i32 s6, s8, 1
	s_and_b32 s9, s6, 30
	s_add_u32 s6, s2, 0xffffffe8
	s_addc_u32 s7, s3, -1
	v_mov_b32_e32 v15, 0
	v_mov_b32_e32 v12, 0
	s_waitcnt vmcnt(0)
	v_mov_b32_e32 v4, 0
	v_mov_b32_e32 v1, v0
.LBB7_1572:                             ; =>This Inner Loop Header: Depth=1
	s_load_dwordx4 s[16:19], s[6:7], 0x1c
	s_load_dwordx2 s[10:11], s[6:7], 0x2c
	s_load_dwordx2 s[24:25], s[6:7], 0xec
	s_load_dwordx4 s[20:23], s[6:7], 0xdc
	s_add_u32 s6, s6, 24
	s_waitcnt lgkmcnt(0)
	v_mul_hi_u32 v2, s17, v1
	s_addc_u32 s7, s7, 0
	s_add_i32 s9, s9, -2
	s_cmp_lg_u32 s9, 0
	v_add_u32_e32 v2, v1, v2
	v_lshrrev_b32_e32 v2, s18, v2
	v_mul_lo_u32 v3, v2, s16
	v_mul_hi_u32 v5, s10, v2
	v_sub_u32_e32 v3, v1, v3
	v_add_u32_e32 v1, v2, v5
	v_lshrrev_b32_e32 v1, s11, v1
	v_mul_lo_u32 v9, v1, s19
	v_mul_lo_u32 v5, v3, s20
	;; [unrolled: 1-line block ×4, first 2 shown]
	v_sub_u32_e32 v2, v2, v9
	v_mul_lo_u32 v9, v2, s23
	v_mul_lo_u32 v13, v2, s24
	;; [unrolled: 1-line block ×3, first 2 shown]
	v_add3_u32 v4, v5, v4, v9
	v_add3_u32 v12, v7, v12, v13
	;; [unrolled: 1-line block ×3, first 2 shown]
	s_cbranch_scc1 .LBB7_1572
; %bb.1573:
	s_bitcmp1_b32 s8, 0
	s_cselect_b64 s[8:9], -1, 0
	s_and_b64 vcc, exec, s[8:9]
	s_cbranch_vccnz .LBB7_1577
; %bb.1574:
	s_load_dwordx2 s[8:9], s[6:7], 0x1c
	s_load_dword s16, s[6:7], 0x24
	s_load_dwordx2 s[10:11], s[6:7], 0xdc
	s_waitcnt lgkmcnt(0)
	v_mul_hi_u32 v2, s9, v1
	v_add_u32_e32 v2, v1, v2
	v_lshrrev_b32_e32 v2, s16, v2
	v_mul_lo_u32 v2, v2, s8
	s_load_dword s8, s[6:7], 0xe4
	v_sub_u32_e32 v1, v1, v2
	v_mad_u64_u32 v[4:5], s[6:7], v1, s10, v[4:5]
	v_mad_u64_u32 v[12:13], s[6:7], v1, s11, v[12:13]
	s_waitcnt lgkmcnt(0)
	v_mad_u64_u32 v[15:16], s[6:7], v1, s8, v[15:16]
	s_cbranch_execz .LBB7_1578
	s_branch .LBB7_1580
.LBB7_1575:
                                        ; implicit-def: $vgpr4
                                        ; implicit-def: $vgpr12
                                        ; implicit-def: $vgpr15
	s_branch .LBB7_1578
.LBB7_1576:
	s_waitcnt vmcnt(0)
	v_mov_b32_e32 v4, 0
	v_mov_b32_e32 v12, 0
	;; [unrolled: 1-line block ×3, first 2 shown]
.LBB7_1577:
	s_cbranch_execnz .LBB7_1580
.LBB7_1578:
	s_load_dwordx4 s[8:11], s[2:3], 0x4
	s_load_dwordx4 s[16:19], s[2:3], 0xc4
	s_cmp_lt_u32 s33, 2
	s_waitcnt vmcnt(0) lgkmcnt(0)
	v_mul_hi_u32 v1, s9, v0
	v_add_u32_e32 v1, v0, v1
	v_lshrrev_b32_e32 v1, s10, v1
	v_mul_lo_u32 v2, v1, s8
	v_sub_u32_e32 v0, v0, v2
	v_mul_lo_u32 v4, v0, s16
	v_mul_lo_u32 v12, v0, s17
	;; [unrolled: 1-line block ×3, first 2 shown]
	s_cbranch_scc1 .LBB7_1580
; %bb.1579:
	s_load_dwordx4 s[8:11], s[2:3], 0x10
	s_load_dwordx4 s[16:19], s[2:3], 0xd0
	s_waitcnt lgkmcnt(0)
	v_mul_hi_u32 v0, s9, v1
	v_add_u32_e32 v0, v1, v0
	v_lshrrev_b32_e32 v0, s10, v0
	v_mul_lo_u32 v0, v0, s8
	v_sub_u32_e32 v0, v1, v0
	v_mad_u64_u32 v[4:5], s[6:7], v0, s16, v[4:5]
	v_mad_u64_u32 v[12:13], s[6:7], v0, s17, v[12:13]
	;; [unrolled: 1-line block ×3, first 2 shown]
.LBB7_1580:
	s_and_b64 vcc, exec, s[0:1]
	v_add_u32_e32 v0, 0x100, v10
	s_cbranch_vccnz .LBB7_1586
; %bb.1581:
	s_cmp_lg_u32 s33, 0
	s_cbranch_scc0 .LBB7_1587
; %bb.1582:
	s_min_u32 s8, s72, 15
	s_add_i32 s6, s8, 1
	s_and_b32 s9, s6, 30
	s_add_u32 s6, s2, 0xffffffe8
	s_addc_u32 s7, s3, -1
	v_mov_b32_e32 v16, 0
	v_mov_b32_e32 v18, 0
	s_waitcnt vmcnt(0)
	v_mov_b32_e32 v2, 0
	v_mov_b32_e32 v1, v0
.LBB7_1583:                             ; =>This Inner Loop Header: Depth=1
	s_load_dwordx4 s[16:19], s[6:7], 0x1c
	s_load_dwordx2 s[10:11], s[6:7], 0x2c
	s_load_dwordx2 s[24:25], s[6:7], 0xec
	s_load_dwordx4 s[20:23], s[6:7], 0xdc
	s_add_u32 s6, s6, 24
	s_waitcnt lgkmcnt(0)
	v_mul_hi_u32 v3, s17, v1
	s_addc_u32 s7, s7, 0
	s_add_i32 s9, s9, -2
	s_cmp_lg_u32 s9, 0
	v_add_u32_e32 v3, v1, v3
	v_lshrrev_b32_e32 v3, s18, v3
	v_mul_lo_u32 v5, v3, s16
	v_mul_hi_u32 v7, s10, v3
	v_sub_u32_e32 v5, v1, v5
	v_add_u32_e32 v1, v3, v7
	v_lshrrev_b32_e32 v1, s11, v1
	v_mul_lo_u32 v10, v1, s19
	v_mul_lo_u32 v7, v5, s20
	v_mul_lo_u32 v9, v5, s21
	v_mul_lo_u32 v5, v5, s22
	v_sub_u32_e32 v3, v3, v10
	v_mul_lo_u32 v10, v3, s23
	v_mul_lo_u32 v13, v3, s24
	;; [unrolled: 1-line block ×3, first 2 shown]
	v_add3_u32 v2, v7, v2, v10
	v_add3_u32 v18, v9, v18, v13
	;; [unrolled: 1-line block ×3, first 2 shown]
	s_cbranch_scc1 .LBB7_1583
; %bb.1584:
	s_bitcmp1_b32 s8, 0
	s_cselect_b64 s[8:9], -1, 0
	s_and_b64 vcc, exec, s[8:9]
	s_cbranch_vccnz .LBB7_1588
; %bb.1585:
	s_load_dwordx2 s[8:9], s[6:7], 0x1c
	s_load_dword s16, s[6:7], 0x24
	s_load_dwordx2 s[10:11], s[6:7], 0xdc
	s_waitcnt lgkmcnt(0)
	v_mul_hi_u32 v3, s9, v1
	v_add_u32_e32 v3, v1, v3
	v_lshrrev_b32_e32 v3, s16, v3
	v_mul_lo_u32 v3, v3, s8
	s_load_dword s8, s[6:7], 0xe4
	v_sub_u32_e32 v1, v1, v3
	v_mad_u64_u32 v[2:3], s[6:7], v1, s10, v[2:3]
	v_mad_u64_u32 v[18:19], s[6:7], v1, s11, v[18:19]
	s_waitcnt lgkmcnt(0)
	v_mad_u64_u32 v[16:17], s[6:7], v1, s8, v[16:17]
	s_cbranch_execz .LBB7_1589
	s_branch .LBB7_1591
.LBB7_1586:
                                        ; implicit-def: $vgpr2
                                        ; implicit-def: $vgpr18
                                        ; implicit-def: $vgpr16
	s_branch .LBB7_1589
.LBB7_1587:
	s_waitcnt vmcnt(0)
	v_mov_b32_e32 v2, 0
	v_mov_b32_e32 v18, 0
	;; [unrolled: 1-line block ×3, first 2 shown]
.LBB7_1588:
	s_cbranch_execnz .LBB7_1591
.LBB7_1589:
	s_load_dwordx4 s[8:11], s[2:3], 0x4
	s_load_dwordx4 s[16:19], s[2:3], 0xc4
	s_cmp_lt_u32 s33, 2
	s_waitcnt vmcnt(0) lgkmcnt(0)
	v_mul_hi_u32 v1, s9, v0
	v_add_u32_e32 v1, v0, v1
	v_lshrrev_b32_e32 v1, s10, v1
	v_mul_lo_u32 v2, v1, s8
	v_sub_u32_e32 v0, v0, v2
	v_mul_lo_u32 v2, v0, s16
	v_mul_lo_u32 v18, v0, s17
	;; [unrolled: 1-line block ×3, first 2 shown]
	s_cbranch_scc1 .LBB7_1591
; %bb.1590:
	s_load_dwordx4 s[8:11], s[2:3], 0x10
	s_load_dwordx4 s[16:19], s[2:3], 0xd0
	s_waitcnt lgkmcnt(0)
	v_mul_hi_u32 v0, s9, v1
	v_add_u32_e32 v0, v1, v0
	v_lshrrev_b32_e32 v0, s10, v0
	v_mul_lo_u32 v0, v0, s8
	v_sub_u32_e32 v0, v1, v0
	v_mad_u64_u32 v[2:3], s[6:7], v0, s16, v[2:3]
	v_mad_u64_u32 v[18:19], s[6:7], v0, s17, v[18:19]
	;; [unrolled: 1-line block ×3, first 2 shown]
.LBB7_1591:
	s_and_b64 vcc, exec, s[0:1]
	s_cbranch_vccnz .LBB7_1597
; %bb.1592:
	s_cmp_lg_u32 s33, 0
	s_cbranch_scc0 .LBB7_1598
; %bb.1593:
	s_min_u32 s6, s72, 15
	s_add_i32 s0, s6, 1
	s_and_b32 s7, s0, 30
	s_add_u32 s0, s2, 0xffffffe8
	s_addc_u32 s1, s3, -1
	v_mov_b32_e32 v9, 0
	v_mov_b32_e32 v13, 0
	v_mov_b32_e32 v0, 0
	s_waitcnt vmcnt(0)
	v_mov_b32_e32 v1, v20
.LBB7_1594:                             ; =>This Inner Loop Header: Depth=1
	s_load_dwordx4 s[8:11], s[0:1], 0x1c
	s_load_dwordx2 s[20:21], s[0:1], 0x2c
	s_load_dwordx2 s[22:23], s[0:1], 0xec
	s_load_dwordx4 s[16:19], s[0:1], 0xdc
	s_add_u32 s0, s0, 24
	s_waitcnt lgkmcnt(0)
	v_mul_hi_u32 v3, s9, v1
	s_addc_u32 s1, s1, 0
	s_add_i32 s7, s7, -2
	s_cmp_lg_u32 s7, 0
	v_add_u32_e32 v3, v1, v3
	v_lshrrev_b32_e32 v3, s10, v3
	v_mul_lo_u32 v5, v3, s8
	v_mul_hi_u32 v7, s20, v3
	v_sub_u32_e32 v5, v1, v5
	v_add_u32_e32 v1, v3, v7
	v_lshrrev_b32_e32 v1, s21, v1
	v_mul_lo_u32 v14, v1, s11
	v_mul_lo_u32 v7, v5, s16
	;; [unrolled: 1-line block ×4, first 2 shown]
	v_sub_u32_e32 v3, v3, v14
	v_mul_lo_u32 v14, v3, s19
	v_mul_lo_u32 v17, v3, s22
	;; [unrolled: 1-line block ×3, first 2 shown]
	v_add3_u32 v0, v7, v0, v14
	v_add3_u32 v13, v10, v13, v17
	;; [unrolled: 1-line block ×3, first 2 shown]
	s_cbranch_scc1 .LBB7_1594
; %bb.1595:
	s_bitcmp1_b32 s6, 0
	s_cselect_b64 s[6:7], -1, 0
	s_and_b64 vcc, exec, s[6:7]
	s_cbranch_vccnz .LBB7_1599
; %bb.1596:
	s_load_dwordx2 s[6:7], s[0:1], 0x1c
	s_load_dword s10, s[0:1], 0x24
	s_load_dwordx2 s[8:9], s[0:1], 0xdc
	s_waitcnt lgkmcnt(0)
	v_mul_hi_u32 v3, s7, v1
	v_add_u32_e32 v3, v1, v3
	v_lshrrev_b32_e32 v3, s10, v3
	v_mul_lo_u32 v3, v3, s6
	s_load_dword s6, s[0:1], 0xe4
	v_sub_u32_e32 v3, v1, v3
	v_mad_u64_u32 v[0:1], s[0:1], v3, s8, v[0:1]
	v_mad_u64_u32 v[13:14], s[0:1], v3, s9, v[13:14]
	s_waitcnt lgkmcnt(0)
	v_mad_u64_u32 v[9:10], s[0:1], v3, s6, v[9:10]
	s_cbranch_execz .LBB7_1600
	s_branch .LBB7_1602
.LBB7_1597:
                                        ; implicit-def: $vgpr0
                                        ; implicit-def: $vgpr13
                                        ; implicit-def: $vgpr9
	s_branch .LBB7_1600
.LBB7_1598:
	v_mov_b32_e32 v0, 0
	v_mov_b32_e32 v13, 0
	;; [unrolled: 1-line block ×3, first 2 shown]
.LBB7_1599:
	s_cbranch_execnz .LBB7_1602
.LBB7_1600:
	s_load_dwordx4 s[8:11], s[2:3], 0x4
	s_load_dwordx4 s[16:19], s[2:3], 0xc4
	s_cmp_lt_u32 s33, 2
	s_waitcnt lgkmcnt(0)
	v_mul_hi_u32 v0, s9, v20
	v_add_u32_e32 v0, v20, v0
	s_waitcnt vmcnt(0)
	v_lshrrev_b32_e32 v1, s10, v0
	v_mul_lo_u32 v0, v1, s8
	v_sub_u32_e32 v3, v20, v0
	v_mul_lo_u32 v0, v3, s16
	v_mul_lo_u32 v13, v3, s17
	;; [unrolled: 1-line block ×3, first 2 shown]
	s_cbranch_scc1 .LBB7_1602
; %bb.1601:
	s_load_dwordx4 s[8:11], s[2:3], 0x10
	s_load_dwordx4 s[16:19], s[2:3], 0xd0
	s_waitcnt lgkmcnt(0)
	v_mul_hi_u32 v3, s9, v1
	v_add_u32_e32 v3, v1, v3
	v_lshrrev_b32_e32 v3, s10, v3
	v_mul_lo_u32 v3, v3, s8
	v_sub_u32_e32 v3, v1, v3
	v_mad_u64_u32 v[0:1], s[0:1], v3, s16, v[0:1]
	v_mad_u64_u32 v[13:14], s[0:1], v3, s17, v[13:14]
	;; [unrolled: 1-line block ×3, first 2 shown]
.LBB7_1602:
	s_load_dwordx4 s[8:11], s[2:3], 0x188
	s_load_dword s23, s[4:5], 0x1ac
	s_waitcnt vmcnt(0) lgkmcnt(0)
	v_mov_b32_e32 v1, s11
	s_bfe_u32 s18, s23, 0x80008
	v_add_co_u32_e32 v19, vcc, s10, v8
	s_cmp_lt_i32 s18, 11
	v_addc_co_u32_e32 v20, vcc, 0, v1, vcc
	s_cbranch_scc1 .LBB7_1609
; %bb.1603:
	s_and_b32 s19, 0xffff, s18
	s_cmp_gt_i32 s19, 25
	s_mov_b64 s[6:7], 0
	s_cbranch_scc0 .LBB7_1611
; %bb.1604:
	s_cmp_gt_i32 s19, 28
	s_cbranch_scc0 .LBB7_1612
; %bb.1605:
	s_cmp_gt_i32 s19, 43
	;; [unrolled: 3-line block ×3, first 2 shown]
	s_cbranch_scc0 .LBB7_1614
; %bb.1607:
	s_cmp_eq_u32 s19, 46
	s_mov_b64 s[4:5], 0
	s_cbranch_scc0 .LBB7_1617
; %bb.1608:
	global_load_dword v1, v[19:20], off
	s_mov_b32 s0, 0x2f800000
	s_mov_b32 s1, 0xcf800000
	s_mov_b64 s[16:17], -1
	s_waitcnt vmcnt(0)
	v_lshlrev_b32_e32 v1, 16, v1
	v_trunc_f32_e32 v1, v1
	v_mul_f32_e64 v3, |v1|, s0
	v_floor_f32_e32 v3, v3
	v_fma_f32 v3, v3, s1, |v1|
	v_cvt_u32_f32_e32 v3, v3
	v_ashrrev_i32_e32 v1, 31, v1
	s_mov_b64 s[0:1], 0
	v_xor_b32_e32 v3, v3, v1
	v_sub_u32_e32 v7, v3, v1
	s_branch .LBB7_1618
.LBB7_1609:
	s_mov_b64 s[16:17], 0
                                        ; implicit-def: $vgpr7
	s_mov_b64 s[4:5], s[12:13]
	s_cbranch_execnz .LBB7_1676
.LBB7_1610:
	s_andn2_b64 vcc, exec, s[16:17]
	s_cbranch_vccz .LBB7_1721
	s_branch .LBB7_3036
.LBB7_1611:
	s_mov_b64 s[16:17], 0
	s_mov_b64 s[0:1], 0
                                        ; implicit-def: $vgpr7
	s_cbranch_execnz .LBB7_1643
	s_branch .LBB7_1672
.LBB7_1612:
	s_mov_b64 s[16:17], 0
	s_mov_b64 s[0:1], 0
                                        ; implicit-def: $vgpr7
	s_cbranch_execz .LBB7_1642
	s_branch .LBB7_1627
.LBB7_1613:
	s_mov_b64 s[16:17], 0
	s_mov_b64 s[0:1], 0
                                        ; implicit-def: $vgpr7
	s_cbranch_execnz .LBB7_1623
	s_branch .LBB7_1626
.LBB7_1614:
	s_mov_b64 s[4:5], -1
	s_mov_b64 s[16:17], 0
	s_mov_b64 s[0:1], 0
                                        ; implicit-def: $vgpr7
	s_branch .LBB7_1618
.LBB7_1615:
	s_andn2_saveexec_b64 s[18:19], s[18:19]
	s_cbranch_execz .LBB7_1466
.LBB7_1616:
	v_add_f32_e32 v0, 0x46000000, v1
	v_and_b32_e32 v0, 0xff, v0
	v_cmp_ne_u32_e32 vcc, 0, v0
	s_andn2_b64 s[14:15], s[14:15], exec
	s_and_b64 s[20:21], vcc, exec
	s_or_b64 s[14:15], s[14:15], s[20:21]
	s_or_b64 exec, exec, s[18:19]
	v_mov_b32_e32 v4, 0
	s_and_saveexec_b64 s[18:19], s[14:15]
	s_cbranch_execnz .LBB7_1467
	s_branch .LBB7_1468
.LBB7_1617:
	s_mov_b64 s[0:1], -1
                                        ; implicit-def: $vgpr7
	s_mov_b64 s[16:17], 0
.LBB7_1618:
	s_and_b64 vcc, exec, s[4:5]
	s_cbranch_vccz .LBB7_1621
; %bb.1619:
	s_cmp_eq_u32 s19, 44
	s_cbranch_scc0 .LBB7_1622
; %bb.1620:
	global_load_ubyte v1, v[19:20], off
	s_mov_b32 s0, 0x2f800000
	s_mov_b32 s1, 0xcf800000
	s_mov_b64 s[16:17], -1
	s_waitcnt vmcnt(0)
	v_lshlrev_b32_e32 v3, 23, v1
	v_trunc_f32_e32 v3, v3
	v_mul_f32_e64 v5, |v3|, s0
	v_floor_f32_e32 v5, v5
	v_fma_f32 v5, v5, s1, |v3|
	v_cvt_u32_f32_e32 v5, v5
	v_ashrrev_i32_e32 v3, 31, v3
	v_cmp_ne_u32_e32 vcc, 0, v1
	s_mov_b64 s[0:1], 0
	v_xor_b32_e32 v5, v5, v3
	v_sub_u32_e32 v3, v5, v3
	v_cndmask_b32_e32 v7, 0, v3, vcc
.LBB7_1621:
	s_branch .LBB7_1626
.LBB7_1622:
	s_mov_b64 s[0:1], -1
                                        ; implicit-def: $vgpr7
	s_branch .LBB7_1626
.LBB7_1623:
	s_cmp_eq_u32 s19, 29
	s_cbranch_scc0 .LBB7_1625
; %bb.1624:
	global_load_dwordx2 v[7:8], v[19:20], off
	s_mov_b64 s[0:1], 0
	s_mov_b64 s[16:17], -1
	s_branch .LBB7_1626
.LBB7_1625:
	s_mov_b64 s[0:1], -1
                                        ; implicit-def: $vgpr7
.LBB7_1626:
	s_branch .LBB7_1642
.LBB7_1627:
	s_cmp_lt_i32 s19, 27
	s_cbranch_scc1 .LBB7_1630
; %bb.1628:
	s_cmp_gt_i32 s19, 27
	s_cbranch_scc0 .LBB7_1631
; %bb.1629:
	global_load_dword v7, v[19:20], off
	s_mov_b64 s[4:5], 0
	s_branch .LBB7_1632
.LBB7_1630:
	s_mov_b64 s[4:5], -1
                                        ; implicit-def: $vgpr7
	s_branch .LBB7_1635
.LBB7_1631:
	s_mov_b64 s[4:5], -1
                                        ; implicit-def: $vgpr7
.LBB7_1632:
	s_andn2_b64 vcc, exec, s[4:5]
	s_cbranch_vccnz .LBB7_1634
; %bb.1633:
	global_load_ushort v7, v[19:20], off
.LBB7_1634:
	s_mov_b64 s[4:5], 0
.LBB7_1635:
	s_andn2_b64 vcc, exec, s[4:5]
	s_cbranch_vccnz .LBB7_1641
; %bb.1636:
	global_load_ubyte v1, v[19:20], off
	s_movk_i32 s4, 0x7f
	s_mov_b64 s[16:17], 0
	s_waitcnt vmcnt(0)
	v_cmp_lt_i16_e32 vcc, s4, v1
	s_and_saveexec_b64 s[4:5], vcc
	s_xor_b64 s[4:5], exec, s[4:5]
	s_cbranch_execz .LBB7_1652
; %bb.1637:
	s_movk_i32 s16, 0x80
	v_cmp_ne_u16_e32 vcc, s16, v1
	s_and_b64 s[16:17], vcc, exec
	s_andn2_saveexec_b64 s[4:5], s[4:5]
	s_cbranch_execnz .LBB7_1653
.LBB7_1638:
	s_or_b64 exec, exec, s[4:5]
	v_mov_b32_e32 v7, 0
	s_and_saveexec_b64 s[4:5], s[16:17]
	s_cbranch_execz .LBB7_1640
.LBB7_1639:
	v_lshlrev_b32_e32 v3, 24, v1
	v_and_b32_e32 v1, 0xffff, v1
	v_and_b32_e32 v5, 7, v1
	v_ffbh_u32_e32 v8, v5
	v_min_u32_e32 v8, 32, v8
	v_subrev_u32_e32 v10, 28, v8
	v_bfe_u32 v7, v1, 3, 4
	v_lshlrev_b32_e32 v1, v10, v1
	v_sub_u32_e32 v8, 29, v8
	v_and_b32_e32 v1, 7, v1
	v_cmp_eq_u32_e32 vcc, 0, v7
	v_cndmask_b32_e32 v7, v7, v8, vcc
	v_cndmask_b32_e32 v1, v5, v1, vcc
	v_mov_b32_e32 v5, 0x3b800000
	v_lshlrev_b32_e32 v1, 20, v1
	v_and_b32_e32 v3, 0x80000000, v3
	v_lshl_add_u32 v5, v7, 23, v5
	v_or3_b32 v1, v3, v5, v1
	v_trunc_f32_e32 v1, v1
	s_mov_b32 s16, 0x2f800000
	v_mul_f32_e64 v3, |v1|, s16
	v_floor_f32_e32 v3, v3
	s_mov_b32 s16, 0xcf800000
	v_fma_f32 v3, v3, s16, |v1|
	v_cvt_u32_f32_e32 v3, v3
	v_ashrrev_i32_e32 v1, 31, v1
	v_xor_b32_e32 v3, v3, v1
	v_sub_u32_e32 v7, v3, v1
.LBB7_1640:
	s_or_b64 exec, exec, s[4:5]
.LBB7_1641:
	s_mov_b64 s[16:17], -1
.LBB7_1642:
	s_branch .LBB7_1672
.LBB7_1643:
	s_cmp_gt_i32 s19, 22
	s_cbranch_scc0 .LBB7_1651
; %bb.1644:
	s_cmp_lt_i32 s19, 24
	s_cbranch_scc1 .LBB7_1654
; %bb.1645:
	s_cmp_gt_i32 s19, 24
	s_cbranch_scc0 .LBB7_1655
; %bb.1646:
	global_load_ubyte v1, v[19:20], off
	s_movk_i32 s4, 0x7f
	s_waitcnt vmcnt(0)
	v_cmp_lt_i16_e32 vcc, s4, v1
	s_and_saveexec_b64 s[4:5], vcc
	s_xor_b64 s[4:5], exec, s[4:5]
	s_cbranch_execz .LBB7_1666
; %bb.1647:
	s_movk_i32 s6, 0x80
	v_cmp_ne_u16_e32 vcc, s6, v1
	s_and_b64 s[6:7], vcc, exec
	s_andn2_saveexec_b64 s[4:5], s[4:5]
	s_cbranch_execnz .LBB7_1667
.LBB7_1648:
	s_or_b64 exec, exec, s[4:5]
	v_mov_b32_e32 v7, 0
	s_and_saveexec_b64 s[4:5], s[6:7]
	s_cbranch_execz .LBB7_1650
.LBB7_1649:
	v_lshlrev_b32_e32 v3, 24, v1
	v_and_b32_e32 v1, 0xffff, v1
	v_and_b32_e32 v5, 3, v1
	v_ffbh_u32_e32 v8, v5
	v_min_u32_e32 v8, 32, v8
	v_subrev_u32_e32 v10, 29, v8
	v_bfe_u32 v7, v1, 2, 5
	v_lshlrev_b32_e32 v1, v10, v1
	v_sub_u32_e32 v8, 30, v8
	v_and_b32_e32 v1, 3, v1
	v_cmp_eq_u32_e32 vcc, 0, v7
	v_cndmask_b32_e32 v7, v7, v8, vcc
	v_cndmask_b32_e32 v1, v5, v1, vcc
	v_mov_b32_e32 v5, 0x37800000
	v_lshlrev_b32_e32 v1, 21, v1
	v_and_b32_e32 v3, 0x80000000, v3
	v_lshl_add_u32 v5, v7, 23, v5
	v_or3_b32 v1, v3, v5, v1
	v_trunc_f32_e32 v1, v1
	s_mov_b32 s6, 0x2f800000
	v_mul_f32_e64 v3, |v1|, s6
	v_floor_f32_e32 v3, v3
	s_mov_b32 s6, 0xcf800000
	v_fma_f32 v3, v3, s6, |v1|
	v_cvt_u32_f32_e32 v3, v3
	v_ashrrev_i32_e32 v1, 31, v1
	v_xor_b32_e32 v3, v3, v1
	v_sub_u32_e32 v7, v3, v1
.LBB7_1650:
	s_or_b64 exec, exec, s[4:5]
	s_mov_b64 s[4:5], 0
	s_branch .LBB7_1656
.LBB7_1651:
                                        ; implicit-def: $vgpr7
	s_mov_b64 s[6:7], 0
	s_branch .LBB7_1662
.LBB7_1652:
	s_andn2_saveexec_b64 s[4:5], s[4:5]
	s_cbranch_execz .LBB7_1638
.LBB7_1653:
	v_cmp_ne_u16_e32 vcc, 0, v1
	s_andn2_b64 s[16:17], s[16:17], exec
	s_and_b64 s[20:21], vcc, exec
	s_or_b64 s[16:17], s[16:17], s[20:21]
	s_or_b64 exec, exec, s[4:5]
	v_mov_b32_e32 v7, 0
	s_and_saveexec_b64 s[4:5], s[16:17]
	s_cbranch_execnz .LBB7_1639
	s_branch .LBB7_1640
.LBB7_1654:
	s_mov_b64 s[4:5], -1
                                        ; implicit-def: $vgpr7
	s_branch .LBB7_1659
.LBB7_1655:
	s_mov_b64 s[4:5], -1
                                        ; implicit-def: $vgpr7
.LBB7_1656:
	s_and_b64 vcc, exec, s[4:5]
	s_cbranch_vccz .LBB7_1658
; %bb.1657:
	global_load_ubyte v1, v[19:20], off
	s_mov_b32 s4, 0x7f800000
	s_brev_b32 s5, 1
	s_mov_b32 s6, 0x2f800000
	s_waitcnt vmcnt(0)
	v_lshlrev_b32_e32 v1, 24, v1
	v_and_b32_e32 v3, 0x7f000000, v1
	v_ffbh_u32_e32 v5, v3
	v_min_u32_e32 v5, 32, v5
	v_sub_u32_e64 v5, v5, 4 clamp
	v_lshlrev_b32_e32 v8, v5, v3
	v_lshlrev_b32_e32 v5, 23, v5
	v_lshrrev_b32_e32 v8, 4, v8
	v_add_u32_e32 v7, 0x1000000, v3
	v_sub_u32_e32 v5, v8, v5
	v_ashrrev_i32_e32 v7, 8, v7
	v_add_u32_e32 v5, 0x3c000000, v5
	v_and_or_b32 v5, v7, s4, v5
	v_cmp_ne_u32_e32 vcc, 0, v3
	v_cndmask_b32_e32 v3, 0, v5, vcc
	v_and_or_b32 v1, v1, s5, v3
	v_trunc_f32_e32 v1, v1
	v_mul_f32_e64 v3, |v1|, s6
	v_floor_f32_e32 v3, v3
	s_mov_b32 s4, 0xcf800000
	v_fma_f32 v3, v3, s4, |v1|
	v_cvt_u32_f32_e32 v3, v3
	v_ashrrev_i32_e32 v1, 31, v1
	v_xor_b32_e32 v3, v3, v1
	v_sub_u32_e32 v7, v3, v1
.LBB7_1658:
	s_mov_b64 s[4:5], 0
.LBB7_1659:
	s_andn2_b64 vcc, exec, s[4:5]
	s_cbranch_vccnz .LBB7_1661
; %bb.1660:
	global_load_ubyte v1, v[19:20], off
	s_movk_i32 s4, 0x7f00
	s_brev_b32 s5, 16
	s_brev_b32 s6, 1
	s_mov_b32 s7, 0x2f800000
	s_waitcnt vmcnt(0)
	v_lshlrev_b16_e32 v3, 8, v1
	v_lshlrev_b32_e32 v1, 25, v1
	v_lshrrev_b32_e32 v5, 4, v1
	v_and_or_b32 v7, v3, s4, 0.5
	v_or_b32_e32 v5, 0x70000000, v5
	v_add_f32_e32 v7, -0.5, v7
	v_mul_f32_e32 v5, 0x7800000, v5
	v_cmp_gt_u32_e32 vcc, s5, v1
	v_bfe_i32 v3, v3, 0, 16
	v_cndmask_b32_e32 v1, v5, v7, vcc
	v_and_or_b32 v1, v3, s6, v1
	v_trunc_f32_e32 v1, v1
	v_mul_f32_e64 v3, |v1|, s7
	v_floor_f32_e32 v3, v3
	s_mov_b32 s4, 0xcf800000
	v_fma_f32 v3, v3, s4, |v1|
	v_cvt_u32_f32_e32 v3, v3
	v_ashrrev_i32_e32 v1, 31, v1
	v_xor_b32_e32 v3, v3, v1
	v_sub_u32_e32 v7, v3, v1
.LBB7_1661:
	s_mov_b64 s[16:17], -1
	s_mov_b64 s[6:7], 0
	s_cbranch_execnz .LBB7_1672
.LBB7_1662:
	s_cmp_gt_i32 s19, 14
	s_cbranch_scc0 .LBB7_1665
; %bb.1663:
	s_cmp_eq_u32 s19, 15
	s_cbranch_scc0 .LBB7_1668
; %bb.1664:
	global_load_ushort v1, v[19:20], off
	s_mov_b32 s0, 0x2f800000
	s_mov_b32 s1, 0xcf800000
	s_mov_b64 s[16:17], -1
	s_waitcnt vmcnt(0)
	v_lshlrev_b32_e32 v1, 16, v1
	v_trunc_f32_e32 v1, v1
	v_mul_f32_e64 v3, |v1|, s0
	v_floor_f32_e32 v3, v3
	v_fma_f32 v3, v3, s1, |v1|
	v_cvt_u32_f32_e32 v3, v3
	v_ashrrev_i32_e32 v1, 31, v1
	s_mov_b64 s[0:1], 0
	v_xor_b32_e32 v3, v3, v1
	v_sub_u32_e32 v7, v3, v1
	s_branch .LBB7_1669
.LBB7_1665:
	s_mov_b64 s[4:5], -1
                                        ; implicit-def: $vgpr7
	s_branch .LBB7_1670
.LBB7_1666:
	s_andn2_saveexec_b64 s[4:5], s[4:5]
	s_cbranch_execz .LBB7_1648
.LBB7_1667:
	v_cmp_ne_u16_e32 vcc, 0, v1
	s_andn2_b64 s[6:7], s[6:7], exec
	s_and_b64 s[16:17], vcc, exec
	s_or_b64 s[6:7], s[6:7], s[16:17]
	s_or_b64 exec, exec, s[4:5]
	v_mov_b32_e32 v7, 0
	s_and_saveexec_b64 s[4:5], s[6:7]
	s_cbranch_execnz .LBB7_1649
	s_branch .LBB7_1650
.LBB7_1668:
	s_mov_b64 s[0:1], -1
                                        ; implicit-def: $vgpr7
.LBB7_1669:
	s_mov_b64 s[4:5], 0
.LBB7_1670:
	s_and_b64 vcc, exec, s[4:5]
	s_cbranch_vccz .LBB7_1672
; %bb.1671:
	s_cmp_lg_u32 s19, 11
	s_mov_b64 s[6:7], -1
	s_cselect_b64 s[0:1], -1, 0
.LBB7_1672:
	s_and_b64 vcc, exec, s[0:1]
	s_mov_b64 s[4:5], s[12:13]
	s_cbranch_vccnz .LBB7_1733
; %bb.1673:
	s_andn2_b64 vcc, exec, s[6:7]
	s_cbranch_vccnz .LBB7_1675
.LBB7_1674:
	global_load_ubyte v1, v[19:20], off
	s_mov_b64 s[16:17], -1
	s_waitcnt vmcnt(0)
	v_cmp_ne_u16_e32 vcc, 0, v1
	v_cndmask_b32_e64 v7, 0, 1, vcc
.LBB7_1675:
	s_branch .LBB7_1610
.LBB7_1676:
	s_and_b32 s6, 0xffff, s18
	s_cmp_lt_i32 s6, 5
	s_cbranch_scc1 .LBB7_1681
; %bb.1677:
	s_cmp_lt_i32 s6, 8
	s_cbranch_scc1 .LBB7_1682
; %bb.1678:
	;; [unrolled: 3-line block ×3, first 2 shown]
	s_cmp_gt_i32 s6, 9
	s_cbranch_scc0 .LBB7_1684
; %bb.1680:
	global_load_dwordx2 v[7:8], v[19:20], off
	s_movk_i32 s0, 0xffe0
	s_waitcnt vmcnt(0)
	v_trunc_f64_e32 v[7:8], v[7:8]
	v_ldexp_f64 v[21:22], v[7:8], s0
	s_mov_b32 s0, 0
	s_mov_b32 s1, 0xc1f00000
	v_floor_f64_e32 v[21:22], v[21:22]
	v_fma_f64 v[7:8], v[21:22], s[0:1], v[7:8]
	s_mov_b64 s[0:1], 0
	v_cvt_u32_f64_e32 v7, v[7:8]
	s_branch .LBB7_1685
.LBB7_1681:
                                        ; implicit-def: $vgpr7
	s_branch .LBB7_1702
.LBB7_1682:
                                        ; implicit-def: $vgpr7
	s_branch .LBB7_1691
.LBB7_1683:
	s_mov_b64 s[0:1], -1
                                        ; implicit-def: $vgpr7
	s_branch .LBB7_1688
.LBB7_1684:
	s_mov_b64 s[0:1], -1
                                        ; implicit-def: $vgpr7
.LBB7_1685:
	s_andn2_b64 vcc, exec, s[0:1]
	s_cbranch_vccnz .LBB7_1687
; %bb.1686:
	global_load_dword v1, v[19:20], off
	s_mov_b32 s0, 0x2f800000
	s_waitcnt vmcnt(0)
	v_trunc_f32_e32 v1, v1
	v_mul_f32_e64 v3, |v1|, s0
	v_floor_f32_e32 v3, v3
	s_mov_b32 s0, 0xcf800000
	v_fma_f32 v3, v3, s0, |v1|
	v_cvt_u32_f32_e32 v3, v3
	v_ashrrev_i32_e32 v1, 31, v1
	v_xor_b32_e32 v3, v3, v1
	v_sub_u32_e32 v7, v3, v1
.LBB7_1687:
	s_mov_b64 s[0:1], 0
.LBB7_1688:
	s_andn2_b64 vcc, exec, s[0:1]
	s_cbranch_vccnz .LBB7_1690
; %bb.1689:
	global_load_dword v1, v[19:20], off
	s_waitcnt vmcnt(0)
	v_cvt_f32_f16_e32 v1, v1
	v_cvt_i32_f32_e32 v7, v1
.LBB7_1690:
	s_cbranch_execnz .LBB7_1701
.LBB7_1691:
	s_cmp_lt_i32 s6, 6
	s_cbranch_scc1 .LBB7_1694
; %bb.1692:
	s_cmp_gt_i32 s6, 6
	s_cbranch_scc0 .LBB7_1695
; %bb.1693:
	global_load_dwordx2 v[7:8], v[19:20], off
	s_movk_i32 s0, 0xffe0
	s_waitcnt vmcnt(0)
	v_trunc_f64_e32 v[7:8], v[7:8]
	v_ldexp_f64 v[21:22], v[7:8], s0
	s_mov_b32 s0, 0
	s_mov_b32 s1, 0xc1f00000
	v_floor_f64_e32 v[21:22], v[21:22]
	v_fma_f64 v[7:8], v[21:22], s[0:1], v[7:8]
	s_mov_b64 s[0:1], 0
	v_cvt_u32_f64_e32 v7, v[7:8]
	s_branch .LBB7_1696
.LBB7_1694:
	s_mov_b64 s[0:1], -1
                                        ; implicit-def: $vgpr7
	s_branch .LBB7_1699
.LBB7_1695:
	s_mov_b64 s[0:1], -1
                                        ; implicit-def: $vgpr7
.LBB7_1696:
	s_andn2_b64 vcc, exec, s[0:1]
	s_cbranch_vccnz .LBB7_1698
; %bb.1697:
	global_load_dword v1, v[19:20], off
	s_mov_b32 s0, 0x2f800000
	s_waitcnt vmcnt(0)
	v_trunc_f32_e32 v1, v1
	v_mul_f32_e64 v3, |v1|, s0
	v_floor_f32_e32 v3, v3
	s_mov_b32 s0, 0xcf800000
	v_fma_f32 v3, v3, s0, |v1|
	v_cvt_u32_f32_e32 v3, v3
	v_ashrrev_i32_e32 v1, 31, v1
	v_xor_b32_e32 v3, v3, v1
	v_sub_u32_e32 v7, v3, v1
.LBB7_1698:
	s_mov_b64 s[0:1], 0
.LBB7_1699:
	s_andn2_b64 vcc, exec, s[0:1]
	s_cbranch_vccnz .LBB7_1701
; %bb.1700:
	global_load_ushort v1, v[19:20], off
	s_waitcnt vmcnt(0)
	v_cvt_f32_f16_e32 v1, v1
	v_cvt_i32_f32_e32 v7, v1
.LBB7_1701:
	s_cbranch_execnz .LBB7_1720
.LBB7_1702:
	s_cmp_lt_i32 s6, 2
	s_cbranch_scc1 .LBB7_1706
; %bb.1703:
	s_cmp_lt_i32 s6, 3
	s_cbranch_scc1 .LBB7_1707
; %bb.1704:
	s_cmp_gt_i32 s6, 3
	s_cbranch_scc0 .LBB7_1708
; %bb.1705:
	global_load_dwordx2 v[7:8], v[19:20], off
	s_mov_b64 s[0:1], 0
	s_branch .LBB7_1709
.LBB7_1706:
                                        ; implicit-def: $vgpr7
	s_branch .LBB7_1715
.LBB7_1707:
	s_mov_b64 s[0:1], -1
                                        ; implicit-def: $vgpr7
	s_branch .LBB7_1712
.LBB7_1708:
	s_mov_b64 s[0:1], -1
                                        ; implicit-def: $vgpr7
.LBB7_1709:
	s_andn2_b64 vcc, exec, s[0:1]
	s_cbranch_vccnz .LBB7_1711
; %bb.1710:
	global_load_dword v7, v[19:20], off
.LBB7_1711:
	s_mov_b64 s[0:1], 0
.LBB7_1712:
	s_andn2_b64 vcc, exec, s[0:1]
	s_cbranch_vccnz .LBB7_1714
; %bb.1713:
	global_load_ushort v7, v[19:20], off
.LBB7_1714:
	s_cbranch_execnz .LBB7_1720
.LBB7_1715:
	s_cmp_gt_i32 s6, 0
	s_cbranch_scc0 .LBB7_1717
; %bb.1716:
	global_load_ubyte v7, v[19:20], off
	s_mov_b64 s[0:1], 0
	s_branch .LBB7_1718
.LBB7_1717:
	s_mov_b64 s[0:1], -1
                                        ; implicit-def: $vgpr7
.LBB7_1718:
	s_andn2_b64 vcc, exec, s[0:1]
	s_cbranch_vccnz .LBB7_1720
; %bb.1719:
	global_load_ubyte v7, v[19:20], off
.LBB7_1720:
.LBB7_1721:
	s_load_dwordx2 s[0:1], s[2:3], 0x198
	s_bfe_u32 s22, s23, 0x80010
	s_cmp_lt_i32 s22, 11
	s_waitcnt lgkmcnt(0)
	v_mov_b32_e32 v1, s1
	v_add_co_u32_e32 v19, vcc, s0, v11
	v_addc_co_u32_e32 v20, vcc, 0, v1, vcc
	s_cbranch_scc1 .LBB7_1728
; %bb.1722:
	s_and_b32 s24, 0xffff, s22
	s_cmp_gt_i32 s24, 25
	s_mov_b64 s[16:17], 0
	s_cbranch_scc0 .LBB7_1730
; %bb.1723:
	s_cmp_gt_i32 s24, 28
	s_cbranch_scc0 .LBB7_1731
; %bb.1724:
	s_cmp_gt_i32 s24, 43
	;; [unrolled: 3-line block ×3, first 2 shown]
	s_cbranch_scc0 .LBB7_1734
; %bb.1726:
	s_cmp_eq_u32 s24, 46
	s_mov_b64 s[20:21], 0
	s_cbranch_scc0 .LBB7_1737
; %bb.1727:
	global_load_dword v1, v[19:20], off
	s_mov_b32 s6, 0x2f800000
	s_mov_b32 s7, 0xcf800000
	s_mov_b64 s[18:19], -1
	s_waitcnt vmcnt(0)
	v_lshlrev_b32_e32 v1, 16, v1
	v_trunc_f32_e32 v1, v1
	v_mul_f32_e64 v3, |v1|, s6
	v_floor_f32_e32 v3, v3
	v_fma_f32 v3, v3, s7, |v1|
	v_cvt_u32_f32_e32 v3, v3
	v_ashrrev_i32_e32 v1, 31, v1
	s_mov_b64 s[6:7], 0
	v_xor_b32_e32 v3, v3, v1
	v_sub_u32_e32 v10, v3, v1
	s_branch .LBB7_1738
.LBB7_1728:
	s_mov_b64 s[18:19], 0
                                        ; implicit-def: $vgpr10
	s_cbranch_execnz .LBB7_1799
.LBB7_1729:
	s_andn2_b64 vcc, exec, s[18:19]
	s_cbranch_vccnz .LBB7_3036
	s_branch .LBB7_1846
.LBB7_1730:
	s_mov_b64 s[18:19], 0
	s_mov_b64 s[6:7], 0
                                        ; implicit-def: $vgpr10
	s_cbranch_execnz .LBB7_1765
	s_branch .LBB7_1795
.LBB7_1731:
	s_mov_b64 s[20:21], -1
	s_mov_b64 s[18:19], 0
	s_mov_b64 s[6:7], 0
                                        ; implicit-def: $vgpr10
	s_branch .LBB7_1748
.LBB7_1732:
	s_mov_b64 s[20:21], -1
	s_mov_b64 s[18:19], 0
	s_mov_b64 s[6:7], 0
                                        ; implicit-def: $vgpr10
	s_branch .LBB7_1743
.LBB7_1733:
	s_or_b64 s[4:5], s[12:13], exec
	s_trap 2
	s_cbranch_execz .LBB7_1674
	s_branch .LBB7_1675
.LBB7_1734:
	s_mov_b64 s[20:21], -1
	s_mov_b64 s[18:19], 0
	s_mov_b64 s[6:7], 0
                                        ; implicit-def: $vgpr10
	s_branch .LBB7_1738
.LBB7_1735:
	s_andn2_saveexec_b64 s[20:21], s[20:21]
	s_cbranch_execz .LBB7_1478
.LBB7_1736:
	v_add_f32_e32 v0, 0x42800000, v1
	v_and_b32_e32 v0, 0xff, v0
	v_cmp_ne_u32_e32 vcc, 0, v0
	s_andn2_b64 s[18:19], s[18:19], exec
	s_and_b64 s[28:29], vcc, exec
	s_or_b64 s[18:19], s[18:19], s[28:29]
	s_or_b64 exec, exec, s[20:21]
	v_mov_b32_e32 v4, 0
	s_and_saveexec_b64 s[20:21], s[18:19]
	s_cbranch_execnz .LBB7_1479
	s_branch .LBB7_1480
.LBB7_1737:
	s_mov_b64 s[6:7], -1
                                        ; implicit-def: $vgpr10
	s_mov_b64 s[18:19], 0
.LBB7_1738:
	s_and_b64 vcc, exec, s[20:21]
	s_cbranch_vccz .LBB7_1742
; %bb.1739:
	s_cmp_eq_u32 s24, 44
	s_cbranch_scc0 .LBB7_1741
; %bb.1740:
	global_load_ubyte v1, v[19:20], off
	s_mov_b32 s6, 0x2f800000
	s_mov_b32 s7, 0xcf800000
	s_mov_b64 s[18:19], -1
	s_waitcnt vmcnt(0)
	v_lshlrev_b32_e32 v3, 23, v1
	v_trunc_f32_e32 v3, v3
	v_mul_f32_e64 v5, |v3|, s6
	v_floor_f32_e32 v5, v5
	v_fma_f32 v5, v5, s7, |v3|
	v_cvt_u32_f32_e32 v5, v5
	v_ashrrev_i32_e32 v3, 31, v3
	v_cmp_ne_u32_e32 vcc, 0, v1
	s_mov_b64 s[6:7], 0
	v_xor_b32_e32 v5, v5, v3
	v_sub_u32_e32 v3, v5, v3
	v_cndmask_b32_e32 v10, 0, v3, vcc
	s_branch .LBB7_1742
.LBB7_1741:
	s_mov_b64 s[6:7], -1
                                        ; implicit-def: $vgpr10
.LBB7_1742:
	s_mov_b64 s[20:21], 0
.LBB7_1743:
	s_and_b64 vcc, exec, s[20:21]
	s_cbranch_vccz .LBB7_1747
; %bb.1744:
	s_cmp_eq_u32 s24, 29
	s_cbranch_scc0 .LBB7_1746
; %bb.1745:
	global_load_dwordx2 v[10:11], v[19:20], off
	s_mov_b64 s[6:7], 0
	s_mov_b64 s[18:19], -1
	s_branch .LBB7_1747
.LBB7_1746:
	s_mov_b64 s[6:7], -1
                                        ; implicit-def: $vgpr10
.LBB7_1747:
	s_mov_b64 s[20:21], 0
.LBB7_1748:
	s_and_b64 vcc, exec, s[20:21]
	s_cbranch_vccz .LBB7_1764
; %bb.1749:
	s_cmp_lt_i32 s24, 27
	s_cbranch_scc1 .LBB7_1752
; %bb.1750:
	s_cmp_gt_i32 s24, 27
	s_cbranch_scc0 .LBB7_1753
; %bb.1751:
	global_load_dword v10, v[19:20], off
	s_mov_b64 s[18:19], 0
	s_branch .LBB7_1754
.LBB7_1752:
	s_mov_b64 s[18:19], -1
                                        ; implicit-def: $vgpr10
	s_branch .LBB7_1757
.LBB7_1753:
	s_mov_b64 s[18:19], -1
                                        ; implicit-def: $vgpr10
.LBB7_1754:
	s_andn2_b64 vcc, exec, s[18:19]
	s_cbranch_vccnz .LBB7_1756
; %bb.1755:
	global_load_ushort v10, v[19:20], off
.LBB7_1756:
	s_mov_b64 s[18:19], 0
.LBB7_1757:
	s_andn2_b64 vcc, exec, s[18:19]
	s_cbranch_vccnz .LBB7_1763
; %bb.1758:
	global_load_ubyte v1, v[19:20], off
	s_movk_i32 s18, 0x7f
	s_mov_b64 s[20:21], 0
	s_waitcnt vmcnt(0)
	v_cmp_lt_i16_e32 vcc, s18, v1
	s_and_saveexec_b64 s[18:19], vcc
	s_xor_b64 s[18:19], exec, s[18:19]
	s_cbranch_execz .LBB7_1774
; %bb.1759:
	s_movk_i32 s20, 0x80
	v_cmp_ne_u16_e32 vcc, s20, v1
	s_and_b64 s[20:21], vcc, exec
	s_andn2_saveexec_b64 s[18:19], s[18:19]
	s_cbranch_execnz .LBB7_1775
.LBB7_1760:
	s_or_b64 exec, exec, s[18:19]
	v_mov_b32_e32 v10, 0
	s_and_saveexec_b64 s[18:19], s[20:21]
	s_cbranch_execz .LBB7_1762
.LBB7_1761:
	v_lshlrev_b32_e32 v3, 24, v1
	v_and_b32_e32 v1, 0xffff, v1
	v_and_b32_e32 v5, 7, v1
	v_ffbh_u32_e32 v10, v5
	v_min_u32_e32 v10, 32, v10
	v_subrev_u32_e32 v11, 28, v10
	v_bfe_u32 v8, v1, 3, 4
	v_lshlrev_b32_e32 v1, v11, v1
	v_sub_u32_e32 v10, 29, v10
	v_and_b32_e32 v1, 7, v1
	v_cmp_eq_u32_e32 vcc, 0, v8
	v_cndmask_b32_e32 v8, v8, v10, vcc
	v_cndmask_b32_e32 v1, v5, v1, vcc
	v_mov_b32_e32 v5, 0x3b800000
	v_lshlrev_b32_e32 v1, 20, v1
	v_and_b32_e32 v3, 0x80000000, v3
	v_lshl_add_u32 v5, v8, 23, v5
	v_or3_b32 v1, v3, v5, v1
	v_trunc_f32_e32 v1, v1
	s_mov_b32 s20, 0x2f800000
	v_mul_f32_e64 v3, |v1|, s20
	v_floor_f32_e32 v3, v3
	s_mov_b32 s20, 0xcf800000
	v_fma_f32 v3, v3, s20, |v1|
	v_cvt_u32_f32_e32 v3, v3
	v_ashrrev_i32_e32 v1, 31, v1
	v_xor_b32_e32 v3, v3, v1
	v_sub_u32_e32 v10, v3, v1
.LBB7_1762:
	s_or_b64 exec, exec, s[18:19]
.LBB7_1763:
	s_mov_b64 s[18:19], -1
.LBB7_1764:
	s_branch .LBB7_1795
.LBB7_1765:
	s_cmp_gt_i32 s24, 22
	s_cbranch_scc0 .LBB7_1773
; %bb.1766:
	s_cmp_lt_i32 s24, 24
	s_cbranch_scc1 .LBB7_1776
; %bb.1767:
	s_cmp_gt_i32 s24, 24
	s_cbranch_scc0 .LBB7_1777
; %bb.1768:
	global_load_ubyte v1, v[19:20], off
	s_movk_i32 s16, 0x7f
	s_mov_b64 s[18:19], 0
	s_waitcnt vmcnt(0)
	v_cmp_lt_i16_e32 vcc, s16, v1
	s_and_saveexec_b64 s[16:17], vcc
	s_xor_b64 s[16:17], exec, s[16:17]
	s_cbranch_execz .LBB7_1789
; %bb.1769:
	s_movk_i32 s18, 0x80
	v_cmp_ne_u16_e32 vcc, s18, v1
	s_and_b64 s[18:19], vcc, exec
	s_andn2_saveexec_b64 s[16:17], s[16:17]
	s_cbranch_execnz .LBB7_1790
.LBB7_1770:
	s_or_b64 exec, exec, s[16:17]
	v_mov_b32_e32 v10, 0
	s_and_saveexec_b64 s[16:17], s[18:19]
	s_cbranch_execz .LBB7_1772
.LBB7_1771:
	v_lshlrev_b32_e32 v3, 24, v1
	v_and_b32_e32 v1, 0xffff, v1
	v_and_b32_e32 v5, 3, v1
	v_ffbh_u32_e32 v10, v5
	v_min_u32_e32 v10, 32, v10
	v_subrev_u32_e32 v11, 29, v10
	v_bfe_u32 v8, v1, 2, 5
	v_lshlrev_b32_e32 v1, v11, v1
	v_sub_u32_e32 v10, 30, v10
	v_and_b32_e32 v1, 3, v1
	v_cmp_eq_u32_e32 vcc, 0, v8
	v_cndmask_b32_e32 v8, v8, v10, vcc
	v_cndmask_b32_e32 v1, v5, v1, vcc
	v_mov_b32_e32 v5, 0x37800000
	v_lshlrev_b32_e32 v1, 21, v1
	v_and_b32_e32 v3, 0x80000000, v3
	v_lshl_add_u32 v5, v8, 23, v5
	v_or3_b32 v1, v3, v5, v1
	v_trunc_f32_e32 v1, v1
	s_mov_b32 s18, 0x2f800000
	v_mul_f32_e64 v3, |v1|, s18
	v_floor_f32_e32 v3, v3
	s_mov_b32 s18, 0xcf800000
	v_fma_f32 v3, v3, s18, |v1|
	v_cvt_u32_f32_e32 v3, v3
	v_ashrrev_i32_e32 v1, 31, v1
	v_xor_b32_e32 v3, v3, v1
	v_sub_u32_e32 v10, v3, v1
.LBB7_1772:
	s_or_b64 exec, exec, s[16:17]
	s_mov_b64 s[16:17], 0
	s_branch .LBB7_1778
.LBB7_1773:
	s_mov_b64 s[16:17], -1
                                        ; implicit-def: $vgpr10
	s_branch .LBB7_1784
.LBB7_1774:
	s_andn2_saveexec_b64 s[18:19], s[18:19]
	s_cbranch_execz .LBB7_1760
.LBB7_1775:
	v_cmp_ne_u16_e32 vcc, 0, v1
	s_andn2_b64 s[20:21], s[20:21], exec
	s_and_b64 s[26:27], vcc, exec
	s_or_b64 s[20:21], s[20:21], s[26:27]
	s_or_b64 exec, exec, s[18:19]
	v_mov_b32_e32 v10, 0
	s_and_saveexec_b64 s[18:19], s[20:21]
	s_cbranch_execnz .LBB7_1761
	s_branch .LBB7_1762
.LBB7_1776:
	s_mov_b64 s[16:17], -1
                                        ; implicit-def: $vgpr10
	s_branch .LBB7_1781
.LBB7_1777:
	s_mov_b64 s[16:17], -1
                                        ; implicit-def: $vgpr10
.LBB7_1778:
	s_and_b64 vcc, exec, s[16:17]
	s_cbranch_vccz .LBB7_1780
; %bb.1779:
	global_load_ubyte v1, v[19:20], off
	s_mov_b32 s16, 0x7f800000
	s_brev_b32 s17, 1
	s_mov_b32 s18, 0x2f800000
	s_waitcnt vmcnt(0)
	v_lshlrev_b32_e32 v1, 24, v1
	v_and_b32_e32 v3, 0x7f000000, v1
	v_ffbh_u32_e32 v5, v3
	v_min_u32_e32 v5, 32, v5
	v_sub_u32_e64 v5, v5, 4 clamp
	v_lshlrev_b32_e32 v10, v5, v3
	v_lshlrev_b32_e32 v5, 23, v5
	v_lshrrev_b32_e32 v10, 4, v10
	v_add_u32_e32 v8, 0x1000000, v3
	v_sub_u32_e32 v5, v10, v5
	v_ashrrev_i32_e32 v8, 8, v8
	v_add_u32_e32 v5, 0x3c000000, v5
	v_and_or_b32 v5, v8, s16, v5
	v_cmp_ne_u32_e32 vcc, 0, v3
	v_cndmask_b32_e32 v3, 0, v5, vcc
	v_and_or_b32 v1, v1, s17, v3
	v_trunc_f32_e32 v1, v1
	v_mul_f32_e64 v3, |v1|, s18
	v_floor_f32_e32 v3, v3
	s_mov_b32 s16, 0xcf800000
	v_fma_f32 v3, v3, s16, |v1|
	v_cvt_u32_f32_e32 v3, v3
	v_ashrrev_i32_e32 v1, 31, v1
	v_xor_b32_e32 v3, v3, v1
	v_sub_u32_e32 v10, v3, v1
.LBB7_1780:
	s_mov_b64 s[16:17], 0
.LBB7_1781:
	s_andn2_b64 vcc, exec, s[16:17]
	s_cbranch_vccnz .LBB7_1783
; %bb.1782:
	global_load_ubyte v1, v[19:20], off
	s_movk_i32 s16, 0x7f00
	s_brev_b32 s17, 16
	s_brev_b32 s18, 1
	s_mov_b32 s19, 0x2f800000
	s_waitcnt vmcnt(0)
	v_lshlrev_b16_e32 v3, 8, v1
	v_lshlrev_b32_e32 v1, 25, v1
	v_lshrrev_b32_e32 v5, 4, v1
	v_and_or_b32 v8, v3, s16, 0.5
	v_or_b32_e32 v5, 0x70000000, v5
	v_add_f32_e32 v8, -0.5, v8
	v_mul_f32_e32 v5, 0x7800000, v5
	v_cmp_gt_u32_e32 vcc, s17, v1
	v_bfe_i32 v3, v3, 0, 16
	v_cndmask_b32_e32 v1, v5, v8, vcc
	v_and_or_b32 v1, v3, s18, v1
	v_trunc_f32_e32 v1, v1
	v_mul_f32_e64 v3, |v1|, s19
	v_floor_f32_e32 v3, v3
	s_mov_b32 s16, 0xcf800000
	v_fma_f32 v3, v3, s16, |v1|
	v_cvt_u32_f32_e32 v3, v3
	v_ashrrev_i32_e32 v1, 31, v1
	v_xor_b32_e32 v3, v3, v1
	v_sub_u32_e32 v10, v3, v1
.LBB7_1783:
	s_mov_b64 s[16:17], 0
	s_mov_b64 s[18:19], -1
.LBB7_1784:
	s_andn2_b64 vcc, exec, s[16:17]
	s_mov_b64 s[16:17], 0
	s_cbranch_vccnz .LBB7_1795
; %bb.1785:
	s_cmp_gt_i32 s24, 14
	s_cbranch_scc0 .LBB7_1788
; %bb.1786:
	s_cmp_eq_u32 s24, 15
	s_cbranch_scc0 .LBB7_1791
; %bb.1787:
	global_load_ushort v1, v[19:20], off
	s_mov_b32 s6, 0x2f800000
	s_mov_b32 s7, 0xcf800000
	s_mov_b64 s[18:19], -1
	s_waitcnt vmcnt(0)
	v_lshlrev_b32_e32 v1, 16, v1
	v_trunc_f32_e32 v1, v1
	v_mul_f32_e64 v3, |v1|, s6
	v_floor_f32_e32 v3, v3
	v_fma_f32 v3, v3, s7, |v1|
	v_cvt_u32_f32_e32 v3, v3
	v_ashrrev_i32_e32 v1, 31, v1
	s_mov_b64 s[6:7], 0
	v_xor_b32_e32 v3, v3, v1
	v_sub_u32_e32 v10, v3, v1
	s_branch .LBB7_1792
.LBB7_1788:
	s_mov_b64 s[20:21], -1
                                        ; implicit-def: $vgpr10
	s_branch .LBB7_1793
.LBB7_1789:
	s_andn2_saveexec_b64 s[16:17], s[16:17]
	s_cbranch_execz .LBB7_1770
.LBB7_1790:
	v_cmp_ne_u16_e32 vcc, 0, v1
	s_andn2_b64 s[18:19], s[18:19], exec
	s_and_b64 s[20:21], vcc, exec
	s_or_b64 s[18:19], s[18:19], s[20:21]
	s_or_b64 exec, exec, s[16:17]
	v_mov_b32_e32 v10, 0
	s_and_saveexec_b64 s[16:17], s[18:19]
	s_cbranch_execnz .LBB7_1771
	s_branch .LBB7_1772
.LBB7_1791:
	s_mov_b64 s[6:7], -1
                                        ; implicit-def: $vgpr10
.LBB7_1792:
	s_mov_b64 s[20:21], 0
.LBB7_1793:
	s_and_b64 vcc, exec, s[20:21]
	s_cbranch_vccz .LBB7_1795
; %bb.1794:
	s_cmp_lg_u32 s24, 11
	s_mov_b64 s[16:17], -1
	s_cselect_b64 s[6:7], -1, 0
.LBB7_1795:
	s_and_b64 vcc, exec, s[6:7]
	s_cbranch_vccnz .LBB7_1858
; %bb.1796:
	s_andn2_b64 vcc, exec, s[16:17]
	s_cbranch_vccnz .LBB7_1798
.LBB7_1797:
	global_load_ubyte v1, v[19:20], off
	s_mov_b64 s[18:19], -1
	s_waitcnt vmcnt(0)
	v_cmp_ne_u16_e32 vcc, 0, v1
	v_cndmask_b32_e64 v10, 0, 1, vcc
.LBB7_1798:
	s_branch .LBB7_1729
.LBB7_1799:
	s_and_b32 s16, 0xffff, s22
	s_cmp_lt_i32 s16, 5
	s_cbranch_scc1 .LBB7_1804
; %bb.1800:
	s_cmp_lt_i32 s16, 8
	s_cbranch_scc1 .LBB7_1805
; %bb.1801:
	;; [unrolled: 3-line block ×3, first 2 shown]
	s_cmp_gt_i32 s16, 9
	s_cbranch_scc0 .LBB7_1807
; %bb.1803:
	global_load_dwordx2 v[10:11], v[19:20], off
	s_movk_i32 s6, 0xffe0
	s_waitcnt vmcnt(0)
	v_trunc_f64_e32 v[10:11], v[10:11]
	v_ldexp_f64 v[21:22], v[10:11], s6
	s_mov_b32 s6, 0
	s_mov_b32 s7, 0xc1f00000
	v_floor_f64_e32 v[21:22], v[21:22]
	v_fma_f64 v[10:11], v[21:22], s[6:7], v[10:11]
	s_mov_b64 s[6:7], 0
	v_cvt_u32_f64_e32 v10, v[10:11]
	s_branch .LBB7_1808
.LBB7_1804:
                                        ; implicit-def: $vgpr10
	s_branch .LBB7_1826
.LBB7_1805:
	s_mov_b64 s[6:7], -1
                                        ; implicit-def: $vgpr10
	s_branch .LBB7_1814
.LBB7_1806:
	s_mov_b64 s[6:7], -1
                                        ; implicit-def: $vgpr10
	s_branch .LBB7_1811
.LBB7_1807:
	s_mov_b64 s[6:7], -1
                                        ; implicit-def: $vgpr10
.LBB7_1808:
	s_andn2_b64 vcc, exec, s[6:7]
	s_cbranch_vccnz .LBB7_1810
; %bb.1809:
	global_load_dword v1, v[19:20], off
	s_mov_b32 s6, 0x2f800000
	s_waitcnt vmcnt(0)
	v_trunc_f32_e32 v1, v1
	v_mul_f32_e64 v3, |v1|, s6
	v_floor_f32_e32 v3, v3
	s_mov_b32 s6, 0xcf800000
	v_fma_f32 v3, v3, s6, |v1|
	v_cvt_u32_f32_e32 v3, v3
	v_ashrrev_i32_e32 v1, 31, v1
	v_xor_b32_e32 v3, v3, v1
	v_sub_u32_e32 v10, v3, v1
.LBB7_1810:
	s_mov_b64 s[6:7], 0
.LBB7_1811:
	s_andn2_b64 vcc, exec, s[6:7]
	s_cbranch_vccnz .LBB7_1813
; %bb.1812:
	global_load_dword v1, v[19:20], off
	s_waitcnt vmcnt(0)
	v_cvt_f32_f16_e32 v1, v1
	v_cvt_i32_f32_e32 v10, v1
.LBB7_1813:
	s_mov_b64 s[6:7], 0
.LBB7_1814:
	s_andn2_b64 vcc, exec, s[6:7]
	s_cbranch_vccnz .LBB7_1825
; %bb.1815:
	s_cmp_lt_i32 s16, 6
	s_cbranch_scc1 .LBB7_1818
; %bb.1816:
	s_cmp_gt_i32 s16, 6
	s_cbranch_scc0 .LBB7_1819
; %bb.1817:
	global_load_dwordx2 v[10:11], v[19:20], off
	s_movk_i32 s6, 0xffe0
	s_waitcnt vmcnt(0)
	v_trunc_f64_e32 v[10:11], v[10:11]
	v_ldexp_f64 v[21:22], v[10:11], s6
	s_mov_b32 s6, 0
	s_mov_b32 s7, 0xc1f00000
	v_floor_f64_e32 v[21:22], v[21:22]
	v_fma_f64 v[10:11], v[21:22], s[6:7], v[10:11]
	s_mov_b64 s[6:7], 0
	v_cvt_u32_f64_e32 v10, v[10:11]
	s_branch .LBB7_1820
.LBB7_1818:
	s_mov_b64 s[6:7], -1
                                        ; implicit-def: $vgpr10
	s_branch .LBB7_1823
.LBB7_1819:
	s_mov_b64 s[6:7], -1
                                        ; implicit-def: $vgpr10
.LBB7_1820:
	s_andn2_b64 vcc, exec, s[6:7]
	s_cbranch_vccnz .LBB7_1822
; %bb.1821:
	global_load_dword v1, v[19:20], off
	s_mov_b32 s6, 0x2f800000
	s_waitcnt vmcnt(0)
	v_trunc_f32_e32 v1, v1
	v_mul_f32_e64 v3, |v1|, s6
	v_floor_f32_e32 v3, v3
	s_mov_b32 s6, 0xcf800000
	v_fma_f32 v3, v3, s6, |v1|
	v_cvt_u32_f32_e32 v3, v3
	v_ashrrev_i32_e32 v1, 31, v1
	v_xor_b32_e32 v3, v3, v1
	v_sub_u32_e32 v10, v3, v1
.LBB7_1822:
	s_mov_b64 s[6:7], 0
.LBB7_1823:
	s_andn2_b64 vcc, exec, s[6:7]
	s_cbranch_vccnz .LBB7_1825
; %bb.1824:
	global_load_ushort v1, v[19:20], off
	s_waitcnt vmcnt(0)
	v_cvt_f32_f16_e32 v1, v1
	v_cvt_i32_f32_e32 v10, v1
.LBB7_1825:
	s_cbranch_execnz .LBB7_1845
.LBB7_1826:
	s_cmp_lt_i32 s16, 2
	s_cbranch_scc1 .LBB7_1830
; %bb.1827:
	s_cmp_lt_i32 s16, 3
	s_cbranch_scc1 .LBB7_1831
; %bb.1828:
	s_cmp_gt_i32 s16, 3
	s_cbranch_scc0 .LBB7_1832
; %bb.1829:
	global_load_dwordx2 v[10:11], v[19:20], off
	s_mov_b64 s[6:7], 0
	s_branch .LBB7_1833
.LBB7_1830:
	s_mov_b64 s[6:7], -1
                                        ; implicit-def: $vgpr10
	s_branch .LBB7_1839
.LBB7_1831:
	s_mov_b64 s[6:7], -1
                                        ; implicit-def: $vgpr10
	s_branch .LBB7_1836
.LBB7_1832:
	s_mov_b64 s[6:7], -1
                                        ; implicit-def: $vgpr10
.LBB7_1833:
	s_andn2_b64 vcc, exec, s[6:7]
	s_cbranch_vccnz .LBB7_1835
; %bb.1834:
	global_load_dword v10, v[19:20], off
.LBB7_1835:
	s_mov_b64 s[6:7], 0
.LBB7_1836:
	s_andn2_b64 vcc, exec, s[6:7]
	s_cbranch_vccnz .LBB7_1838
; %bb.1837:
	global_load_ushort v10, v[19:20], off
.LBB7_1838:
	s_mov_b64 s[6:7], 0
.LBB7_1839:
	s_andn2_b64 vcc, exec, s[6:7]
	s_cbranch_vccnz .LBB7_1845
; %bb.1840:
	s_cmp_gt_i32 s16, 0
	s_cbranch_scc0 .LBB7_1842
; %bb.1841:
	global_load_ubyte v10, v[19:20], off
	s_mov_b64 s[6:7], 0
	s_branch .LBB7_1843
.LBB7_1842:
	s_mov_b64 s[6:7], -1
                                        ; implicit-def: $vgpr10
.LBB7_1843:
	s_andn2_b64 vcc, exec, s[6:7]
	s_cbranch_vccnz .LBB7_1845
; %bb.1844:
	global_load_ubyte v10, v[19:20], off
.LBB7_1845:
.LBB7_1846:
	s_lshr_b32 s6, s23, 8
	v_mov_b32_e32 v1, s11
	s_and_b32 s22, s6, 0xff
	v_add_co_u32_e32 v19, vcc, s10, v12
	s_cmp_lt_i32 s22, 11
	v_addc_co_u32_e32 v20, vcc, 0, v1, vcc
	s_cbranch_scc1 .LBB7_1853
; %bb.1847:
	s_and_b32 s24, 0xffff, s22
	s_cmp_gt_i32 s24, 25
	s_mov_b64 s[16:17], 0
	s_cbranch_scc0 .LBB7_1855
; %bb.1848:
	s_cmp_gt_i32 s24, 28
	s_cbranch_scc0 .LBB7_1856
; %bb.1849:
	s_cmp_gt_i32 s24, 43
	;; [unrolled: 3-line block ×3, first 2 shown]
	s_cbranch_scc0 .LBB7_1859
; %bb.1851:
	s_cmp_eq_u32 s24, 46
	s_mov_b64 s[20:21], 0
	s_cbranch_scc0 .LBB7_1860
; %bb.1852:
	global_load_dword v1, v[19:20], off
	s_mov_b32 s6, 0x2f800000
	s_mov_b32 s7, 0xcf800000
	s_mov_b64 s[18:19], -1
	s_waitcnt vmcnt(0)
	v_lshlrev_b32_e32 v1, 16, v1
	v_trunc_f32_e32 v1, v1
	v_mul_f32_e64 v3, |v1|, s6
	v_floor_f32_e32 v3, v3
	v_fma_f32 v3, v3, s7, |v1|
	v_cvt_u32_f32_e32 v3, v3
	v_ashrrev_i32_e32 v1, 31, v1
	s_mov_b64 s[6:7], 0
	v_xor_b32_e32 v3, v3, v1
	v_sub_u32_e32 v11, v3, v1
	s_branch .LBB7_1861
.LBB7_1853:
	s_mov_b64 s[18:19], 0
                                        ; implicit-def: $vgpr11
	s_cbranch_execnz .LBB7_1923
.LBB7_1854:
	s_andn2_b64 vcc, exec, s[18:19]
	s_cbranch_vccnz .LBB7_3036
	s_branch .LBB7_1971
.LBB7_1855:
	s_mov_b64 s[20:21], -1
	s_mov_b64 s[18:19], 0
	s_mov_b64 s[6:7], 0
                                        ; implicit-def: $vgpr11
	s_branch .LBB7_1888
.LBB7_1856:
	s_mov_b64 s[20:21], -1
	s_mov_b64 s[18:19], 0
	s_mov_b64 s[6:7], 0
                                        ; implicit-def: $vgpr11
	s_branch .LBB7_1871
.LBB7_1857:
	s_mov_b64 s[20:21], -1
	s_mov_b64 s[18:19], 0
	s_mov_b64 s[6:7], 0
                                        ; implicit-def: $vgpr11
	s_branch .LBB7_1866
.LBB7_1858:
	s_trap 2
	s_or_b64 s[4:5], s[4:5], exec
	s_cbranch_execz .LBB7_1797
	s_branch .LBB7_1798
.LBB7_1859:
	s_mov_b64 s[20:21], -1
	s_mov_b64 s[18:19], 0
	s_mov_b64 s[6:7], 0
                                        ; implicit-def: $vgpr11
	s_branch .LBB7_1861
.LBB7_1860:
	s_mov_b64 s[6:7], -1
                                        ; implicit-def: $vgpr11
	s_mov_b64 s[18:19], 0
.LBB7_1861:
	s_and_b64 vcc, exec, s[20:21]
	s_cbranch_vccz .LBB7_1865
; %bb.1862:
	s_cmp_eq_u32 s24, 44
	s_cbranch_scc0 .LBB7_1864
; %bb.1863:
	global_load_ubyte v1, v[19:20], off
	s_mov_b32 s6, 0x2f800000
	s_mov_b32 s7, 0xcf800000
	s_mov_b64 s[18:19], -1
	s_waitcnt vmcnt(0)
	v_lshlrev_b32_e32 v3, 23, v1
	v_trunc_f32_e32 v3, v3
	v_mul_f32_e64 v5, |v3|, s6
	v_floor_f32_e32 v5, v5
	v_fma_f32 v5, v5, s7, |v3|
	v_cvt_u32_f32_e32 v5, v5
	v_ashrrev_i32_e32 v3, 31, v3
	v_cmp_ne_u32_e32 vcc, 0, v1
	s_mov_b64 s[6:7], 0
	v_xor_b32_e32 v5, v5, v3
	v_sub_u32_e32 v3, v5, v3
	v_cndmask_b32_e32 v11, 0, v3, vcc
	s_branch .LBB7_1865
.LBB7_1864:
	s_mov_b64 s[6:7], -1
                                        ; implicit-def: $vgpr11
.LBB7_1865:
	s_mov_b64 s[20:21], 0
.LBB7_1866:
	s_and_b64 vcc, exec, s[20:21]
	s_cbranch_vccz .LBB7_1870
; %bb.1867:
	s_cmp_eq_u32 s24, 29
	s_cbranch_scc0 .LBB7_1869
; %bb.1868:
	global_load_dwordx2 v[11:12], v[19:20], off
	s_mov_b64 s[6:7], 0
	s_mov_b64 s[18:19], -1
	s_branch .LBB7_1870
.LBB7_1869:
	s_mov_b64 s[6:7], -1
                                        ; implicit-def: $vgpr11
.LBB7_1870:
	s_mov_b64 s[20:21], 0
.LBB7_1871:
	s_and_b64 vcc, exec, s[20:21]
	s_cbranch_vccz .LBB7_1887
; %bb.1872:
	s_cmp_lt_i32 s24, 27
	s_cbranch_scc1 .LBB7_1875
; %bb.1873:
	s_cmp_gt_i32 s24, 27
	s_cbranch_scc0 .LBB7_1876
; %bb.1874:
	global_load_dword v11, v[19:20], off
	s_mov_b64 s[18:19], 0
	s_branch .LBB7_1877
.LBB7_1875:
	s_mov_b64 s[18:19], -1
                                        ; implicit-def: $vgpr11
	s_branch .LBB7_1880
.LBB7_1876:
	s_mov_b64 s[18:19], -1
                                        ; implicit-def: $vgpr11
.LBB7_1877:
	s_andn2_b64 vcc, exec, s[18:19]
	s_cbranch_vccnz .LBB7_1879
; %bb.1878:
	global_load_ushort v11, v[19:20], off
.LBB7_1879:
	s_mov_b64 s[18:19], 0
.LBB7_1880:
	s_andn2_b64 vcc, exec, s[18:19]
	s_cbranch_vccnz .LBB7_1886
; %bb.1881:
	global_load_ubyte v1, v[19:20], off
	s_movk_i32 s18, 0x7f
	s_mov_b64 s[20:21], 0
	s_waitcnt vmcnt(0)
	v_cmp_lt_i16_e32 vcc, s18, v1
	s_and_saveexec_b64 s[18:19], vcc
	s_xor_b64 s[18:19], exec, s[18:19]
	s_cbranch_execz .LBB7_1898
; %bb.1882:
	s_movk_i32 s20, 0x80
	v_cmp_ne_u16_e32 vcc, s20, v1
	s_and_b64 s[20:21], vcc, exec
	s_andn2_saveexec_b64 s[18:19], s[18:19]
	s_cbranch_execnz .LBB7_1899
.LBB7_1883:
	s_or_b64 exec, exec, s[18:19]
	v_mov_b32_e32 v11, 0
	s_and_saveexec_b64 s[18:19], s[20:21]
	s_cbranch_execz .LBB7_1885
.LBB7_1884:
	v_lshlrev_b32_e32 v3, 24, v1
	v_and_b32_e32 v1, 0xffff, v1
	v_and_b32_e32 v5, 7, v1
	v_ffbh_u32_e32 v11, v5
	v_min_u32_e32 v11, 32, v11
	v_subrev_u32_e32 v12, 28, v11
	v_bfe_u32 v8, v1, 3, 4
	v_lshlrev_b32_e32 v1, v12, v1
	v_sub_u32_e32 v11, 29, v11
	v_and_b32_e32 v1, 7, v1
	v_cmp_eq_u32_e32 vcc, 0, v8
	v_cndmask_b32_e32 v8, v8, v11, vcc
	v_cndmask_b32_e32 v1, v5, v1, vcc
	v_mov_b32_e32 v5, 0x3b800000
	v_lshlrev_b32_e32 v1, 20, v1
	v_and_b32_e32 v3, 0x80000000, v3
	v_lshl_add_u32 v5, v8, 23, v5
	v_or3_b32 v1, v3, v5, v1
	v_trunc_f32_e32 v1, v1
	s_mov_b32 s20, 0x2f800000
	v_mul_f32_e64 v3, |v1|, s20
	v_floor_f32_e32 v3, v3
	s_mov_b32 s20, 0xcf800000
	v_fma_f32 v3, v3, s20, |v1|
	v_cvt_u32_f32_e32 v3, v3
	v_ashrrev_i32_e32 v1, 31, v1
	v_xor_b32_e32 v3, v3, v1
	v_sub_u32_e32 v11, v3, v1
.LBB7_1885:
	s_or_b64 exec, exec, s[18:19]
.LBB7_1886:
	s_mov_b64 s[18:19], -1
.LBB7_1887:
	s_mov_b64 s[20:21], 0
.LBB7_1888:
	s_and_b64 vcc, exec, s[20:21]
	s_cbranch_vccz .LBB7_1919
; %bb.1889:
	s_cmp_gt_i32 s24, 22
	s_cbranch_scc0 .LBB7_1897
; %bb.1890:
	s_cmp_lt_i32 s24, 24
	s_cbranch_scc1 .LBB7_1900
; %bb.1891:
	s_cmp_gt_i32 s24, 24
	s_cbranch_scc0 .LBB7_1901
; %bb.1892:
	global_load_ubyte v1, v[19:20], off
	s_movk_i32 s16, 0x7f
	s_mov_b64 s[18:19], 0
	s_waitcnt vmcnt(0)
	v_cmp_lt_i16_e32 vcc, s16, v1
	s_and_saveexec_b64 s[16:17], vcc
	s_xor_b64 s[16:17], exec, s[16:17]
	s_cbranch_execz .LBB7_1913
; %bb.1893:
	s_movk_i32 s18, 0x80
	v_cmp_ne_u16_e32 vcc, s18, v1
	s_and_b64 s[18:19], vcc, exec
	s_andn2_saveexec_b64 s[16:17], s[16:17]
	s_cbranch_execnz .LBB7_1914
.LBB7_1894:
	s_or_b64 exec, exec, s[16:17]
	v_mov_b32_e32 v11, 0
	s_and_saveexec_b64 s[16:17], s[18:19]
	s_cbranch_execz .LBB7_1896
.LBB7_1895:
	v_lshlrev_b32_e32 v3, 24, v1
	v_and_b32_e32 v1, 0xffff, v1
	v_and_b32_e32 v5, 3, v1
	v_ffbh_u32_e32 v11, v5
	v_min_u32_e32 v11, 32, v11
	v_subrev_u32_e32 v12, 29, v11
	v_bfe_u32 v8, v1, 2, 5
	v_lshlrev_b32_e32 v1, v12, v1
	v_sub_u32_e32 v11, 30, v11
	v_and_b32_e32 v1, 3, v1
	v_cmp_eq_u32_e32 vcc, 0, v8
	v_cndmask_b32_e32 v8, v8, v11, vcc
	v_cndmask_b32_e32 v1, v5, v1, vcc
	v_mov_b32_e32 v5, 0x37800000
	v_lshlrev_b32_e32 v1, 21, v1
	v_and_b32_e32 v3, 0x80000000, v3
	v_lshl_add_u32 v5, v8, 23, v5
	v_or3_b32 v1, v3, v5, v1
	v_trunc_f32_e32 v1, v1
	s_mov_b32 s18, 0x2f800000
	v_mul_f32_e64 v3, |v1|, s18
	v_floor_f32_e32 v3, v3
	s_mov_b32 s18, 0xcf800000
	v_fma_f32 v3, v3, s18, |v1|
	v_cvt_u32_f32_e32 v3, v3
	v_ashrrev_i32_e32 v1, 31, v1
	v_xor_b32_e32 v3, v3, v1
	v_sub_u32_e32 v11, v3, v1
.LBB7_1896:
	s_or_b64 exec, exec, s[16:17]
	s_mov_b64 s[16:17], 0
	s_branch .LBB7_1902
.LBB7_1897:
	s_mov_b64 s[16:17], -1
                                        ; implicit-def: $vgpr11
	s_branch .LBB7_1908
.LBB7_1898:
	s_andn2_saveexec_b64 s[18:19], s[18:19]
	s_cbranch_execz .LBB7_1883
.LBB7_1899:
	v_cmp_ne_u16_e32 vcc, 0, v1
	s_andn2_b64 s[20:21], s[20:21], exec
	s_and_b64 s[26:27], vcc, exec
	s_or_b64 s[20:21], s[20:21], s[26:27]
	s_or_b64 exec, exec, s[18:19]
	v_mov_b32_e32 v11, 0
	s_and_saveexec_b64 s[18:19], s[20:21]
	s_cbranch_execnz .LBB7_1884
	s_branch .LBB7_1885
.LBB7_1900:
	s_mov_b64 s[16:17], -1
                                        ; implicit-def: $vgpr11
	s_branch .LBB7_1905
.LBB7_1901:
	s_mov_b64 s[16:17], -1
                                        ; implicit-def: $vgpr11
.LBB7_1902:
	s_and_b64 vcc, exec, s[16:17]
	s_cbranch_vccz .LBB7_1904
; %bb.1903:
	global_load_ubyte v1, v[19:20], off
	s_mov_b32 s16, 0x7f800000
	s_brev_b32 s17, 1
	s_mov_b32 s18, 0x2f800000
	s_waitcnt vmcnt(0)
	v_lshlrev_b32_e32 v1, 24, v1
	v_and_b32_e32 v3, 0x7f000000, v1
	v_ffbh_u32_e32 v5, v3
	v_min_u32_e32 v5, 32, v5
	v_sub_u32_e64 v5, v5, 4 clamp
	v_lshlrev_b32_e32 v11, v5, v3
	v_lshlrev_b32_e32 v5, 23, v5
	v_lshrrev_b32_e32 v11, 4, v11
	v_add_u32_e32 v8, 0x1000000, v3
	v_sub_u32_e32 v5, v11, v5
	v_ashrrev_i32_e32 v8, 8, v8
	v_add_u32_e32 v5, 0x3c000000, v5
	v_and_or_b32 v5, v8, s16, v5
	v_cmp_ne_u32_e32 vcc, 0, v3
	v_cndmask_b32_e32 v3, 0, v5, vcc
	v_and_or_b32 v1, v1, s17, v3
	v_trunc_f32_e32 v1, v1
	v_mul_f32_e64 v3, |v1|, s18
	v_floor_f32_e32 v3, v3
	s_mov_b32 s16, 0xcf800000
	v_fma_f32 v3, v3, s16, |v1|
	v_cvt_u32_f32_e32 v3, v3
	v_ashrrev_i32_e32 v1, 31, v1
	v_xor_b32_e32 v3, v3, v1
	v_sub_u32_e32 v11, v3, v1
.LBB7_1904:
	s_mov_b64 s[16:17], 0
.LBB7_1905:
	s_andn2_b64 vcc, exec, s[16:17]
	s_cbranch_vccnz .LBB7_1907
; %bb.1906:
	global_load_ubyte v1, v[19:20], off
	s_movk_i32 s16, 0x7f00
	s_brev_b32 s17, 16
	s_brev_b32 s18, 1
	s_mov_b32 s19, 0x2f800000
	s_waitcnt vmcnt(0)
	v_lshlrev_b16_e32 v3, 8, v1
	v_lshlrev_b32_e32 v1, 25, v1
	v_lshrrev_b32_e32 v5, 4, v1
	v_and_or_b32 v8, v3, s16, 0.5
	v_or_b32_e32 v5, 0x70000000, v5
	v_add_f32_e32 v8, -0.5, v8
	v_mul_f32_e32 v5, 0x7800000, v5
	v_cmp_gt_u32_e32 vcc, s17, v1
	v_bfe_i32 v3, v3, 0, 16
	v_cndmask_b32_e32 v1, v5, v8, vcc
	v_and_or_b32 v1, v3, s18, v1
	v_trunc_f32_e32 v1, v1
	v_mul_f32_e64 v3, |v1|, s19
	v_floor_f32_e32 v3, v3
	s_mov_b32 s16, 0xcf800000
	v_fma_f32 v3, v3, s16, |v1|
	v_cvt_u32_f32_e32 v3, v3
	v_ashrrev_i32_e32 v1, 31, v1
	v_xor_b32_e32 v3, v3, v1
	v_sub_u32_e32 v11, v3, v1
.LBB7_1907:
	s_mov_b64 s[16:17], 0
	s_mov_b64 s[18:19], -1
.LBB7_1908:
	s_andn2_b64 vcc, exec, s[16:17]
	s_mov_b64 s[16:17], 0
	s_cbranch_vccnz .LBB7_1919
; %bb.1909:
	s_cmp_gt_i32 s24, 14
	s_cbranch_scc0 .LBB7_1912
; %bb.1910:
	s_cmp_eq_u32 s24, 15
	s_cbranch_scc0 .LBB7_1915
; %bb.1911:
	global_load_ushort v1, v[19:20], off
	s_mov_b32 s6, 0x2f800000
	s_mov_b32 s7, 0xcf800000
	s_mov_b64 s[18:19], -1
	s_waitcnt vmcnt(0)
	v_lshlrev_b32_e32 v1, 16, v1
	v_trunc_f32_e32 v1, v1
	v_mul_f32_e64 v3, |v1|, s6
	v_floor_f32_e32 v3, v3
	v_fma_f32 v3, v3, s7, |v1|
	v_cvt_u32_f32_e32 v3, v3
	v_ashrrev_i32_e32 v1, 31, v1
	s_mov_b64 s[6:7], 0
	v_xor_b32_e32 v3, v3, v1
	v_sub_u32_e32 v11, v3, v1
	s_branch .LBB7_1916
.LBB7_1912:
	s_mov_b64 s[20:21], -1
                                        ; implicit-def: $vgpr11
	s_branch .LBB7_1917
.LBB7_1913:
	s_andn2_saveexec_b64 s[16:17], s[16:17]
	s_cbranch_execz .LBB7_1894
.LBB7_1914:
	v_cmp_ne_u16_e32 vcc, 0, v1
	s_andn2_b64 s[18:19], s[18:19], exec
	s_and_b64 s[20:21], vcc, exec
	s_or_b64 s[18:19], s[18:19], s[20:21]
	s_or_b64 exec, exec, s[16:17]
	v_mov_b32_e32 v11, 0
	s_and_saveexec_b64 s[16:17], s[18:19]
	s_cbranch_execnz .LBB7_1895
	s_branch .LBB7_1896
.LBB7_1915:
	s_mov_b64 s[6:7], -1
                                        ; implicit-def: $vgpr11
.LBB7_1916:
	s_mov_b64 s[20:21], 0
.LBB7_1917:
	s_and_b64 vcc, exec, s[20:21]
	s_cbranch_vccz .LBB7_1919
; %bb.1918:
	s_cmp_lg_u32 s24, 11
	s_mov_b64 s[16:17], -1
	s_cselect_b64 s[6:7], -1, 0
.LBB7_1919:
	s_and_b64 vcc, exec, s[6:7]
	s_cbranch_vccnz .LBB7_1982
; %bb.1920:
	s_andn2_b64 vcc, exec, s[16:17]
	s_cbranch_vccnz .LBB7_1922
.LBB7_1921:
	global_load_ubyte v1, v[19:20], off
	s_mov_b64 s[18:19], -1
	s_waitcnt vmcnt(0)
	v_cmp_ne_u16_e32 vcc, 0, v1
	v_cndmask_b32_e64 v11, 0, 1, vcc
.LBB7_1922:
	s_branch .LBB7_1854
.LBB7_1923:
	s_and_b32 s16, 0xffff, s22
	s_cmp_lt_i32 s16, 5
	s_cbranch_scc1 .LBB7_1928
; %bb.1924:
	s_cmp_lt_i32 s16, 8
	s_cbranch_scc1 .LBB7_1929
; %bb.1925:
	;; [unrolled: 3-line block ×3, first 2 shown]
	s_cmp_gt_i32 s16, 9
	s_cbranch_scc0 .LBB7_1931
; %bb.1927:
	global_load_dwordx2 v[11:12], v[19:20], off
	s_movk_i32 s6, 0xffe0
	s_waitcnt vmcnt(0)
	v_trunc_f64_e32 v[11:12], v[11:12]
	v_ldexp_f64 v[21:22], v[11:12], s6
	s_mov_b32 s6, 0
	s_mov_b32 s7, 0xc1f00000
	v_floor_f64_e32 v[21:22], v[21:22]
	v_fma_f64 v[11:12], v[21:22], s[6:7], v[11:12]
	s_mov_b64 s[6:7], 0
	v_cvt_u32_f64_e32 v11, v[11:12]
	s_branch .LBB7_1932
.LBB7_1928:
	s_mov_b64 s[6:7], -1
                                        ; implicit-def: $vgpr11
	s_branch .LBB7_1950
.LBB7_1929:
	s_mov_b64 s[6:7], -1
                                        ; implicit-def: $vgpr11
	s_branch .LBB7_1938
.LBB7_1930:
	s_mov_b64 s[6:7], -1
                                        ; implicit-def: $vgpr11
	s_branch .LBB7_1935
.LBB7_1931:
	s_mov_b64 s[6:7], -1
                                        ; implicit-def: $vgpr11
.LBB7_1932:
	s_andn2_b64 vcc, exec, s[6:7]
	s_cbranch_vccnz .LBB7_1934
; %bb.1933:
	global_load_dword v1, v[19:20], off
	s_mov_b32 s6, 0x2f800000
	s_waitcnt vmcnt(0)
	v_trunc_f32_e32 v1, v1
	v_mul_f32_e64 v3, |v1|, s6
	v_floor_f32_e32 v3, v3
	s_mov_b32 s6, 0xcf800000
	v_fma_f32 v3, v3, s6, |v1|
	v_cvt_u32_f32_e32 v3, v3
	v_ashrrev_i32_e32 v1, 31, v1
	v_xor_b32_e32 v3, v3, v1
	v_sub_u32_e32 v11, v3, v1
.LBB7_1934:
	s_mov_b64 s[6:7], 0
.LBB7_1935:
	s_andn2_b64 vcc, exec, s[6:7]
	s_cbranch_vccnz .LBB7_1937
; %bb.1936:
	global_load_dword v1, v[19:20], off
	s_waitcnt vmcnt(0)
	v_cvt_f32_f16_e32 v1, v1
	v_cvt_i32_f32_e32 v11, v1
.LBB7_1937:
	s_mov_b64 s[6:7], 0
.LBB7_1938:
	s_andn2_b64 vcc, exec, s[6:7]
	s_cbranch_vccnz .LBB7_1949
; %bb.1939:
	s_cmp_lt_i32 s16, 6
	s_cbranch_scc1 .LBB7_1942
; %bb.1940:
	s_cmp_gt_i32 s16, 6
	s_cbranch_scc0 .LBB7_1943
; %bb.1941:
	global_load_dwordx2 v[11:12], v[19:20], off
	s_movk_i32 s6, 0xffe0
	s_waitcnt vmcnt(0)
	v_trunc_f64_e32 v[11:12], v[11:12]
	v_ldexp_f64 v[21:22], v[11:12], s6
	s_mov_b32 s6, 0
	s_mov_b32 s7, 0xc1f00000
	v_floor_f64_e32 v[21:22], v[21:22]
	v_fma_f64 v[11:12], v[21:22], s[6:7], v[11:12]
	s_mov_b64 s[6:7], 0
	v_cvt_u32_f64_e32 v11, v[11:12]
	s_branch .LBB7_1944
.LBB7_1942:
	s_mov_b64 s[6:7], -1
                                        ; implicit-def: $vgpr11
	s_branch .LBB7_1947
.LBB7_1943:
	s_mov_b64 s[6:7], -1
                                        ; implicit-def: $vgpr11
.LBB7_1944:
	s_andn2_b64 vcc, exec, s[6:7]
	s_cbranch_vccnz .LBB7_1946
; %bb.1945:
	global_load_dword v1, v[19:20], off
	s_mov_b32 s6, 0x2f800000
	s_waitcnt vmcnt(0)
	v_trunc_f32_e32 v1, v1
	v_mul_f32_e64 v3, |v1|, s6
	v_floor_f32_e32 v3, v3
	s_mov_b32 s6, 0xcf800000
	v_fma_f32 v3, v3, s6, |v1|
	v_cvt_u32_f32_e32 v3, v3
	v_ashrrev_i32_e32 v1, 31, v1
	v_xor_b32_e32 v3, v3, v1
	v_sub_u32_e32 v11, v3, v1
.LBB7_1946:
	s_mov_b64 s[6:7], 0
.LBB7_1947:
	s_andn2_b64 vcc, exec, s[6:7]
	s_cbranch_vccnz .LBB7_1949
; %bb.1948:
	global_load_ushort v1, v[19:20], off
	s_waitcnt vmcnt(0)
	v_cvt_f32_f16_e32 v1, v1
	v_cvt_i32_f32_e32 v11, v1
.LBB7_1949:
	s_mov_b64 s[6:7], 0
.LBB7_1950:
	s_andn2_b64 vcc, exec, s[6:7]
	s_cbranch_vccnz .LBB7_1970
; %bb.1951:
	s_cmp_lt_i32 s16, 2
	s_cbranch_scc1 .LBB7_1955
; %bb.1952:
	s_cmp_lt_i32 s16, 3
	s_cbranch_scc1 .LBB7_1956
; %bb.1953:
	s_cmp_gt_i32 s16, 3
	s_cbranch_scc0 .LBB7_1957
; %bb.1954:
	global_load_dwordx2 v[11:12], v[19:20], off
	s_mov_b64 s[6:7], 0
	s_branch .LBB7_1958
.LBB7_1955:
	s_mov_b64 s[6:7], -1
                                        ; implicit-def: $vgpr11
	s_branch .LBB7_1964
.LBB7_1956:
	s_mov_b64 s[6:7], -1
                                        ; implicit-def: $vgpr11
	s_branch .LBB7_1961
.LBB7_1957:
	s_mov_b64 s[6:7], -1
                                        ; implicit-def: $vgpr11
.LBB7_1958:
	s_andn2_b64 vcc, exec, s[6:7]
	s_cbranch_vccnz .LBB7_1960
; %bb.1959:
	global_load_dword v11, v[19:20], off
.LBB7_1960:
	s_mov_b64 s[6:7], 0
.LBB7_1961:
	s_andn2_b64 vcc, exec, s[6:7]
	s_cbranch_vccnz .LBB7_1963
; %bb.1962:
	global_load_ushort v11, v[19:20], off
.LBB7_1963:
	s_mov_b64 s[6:7], 0
.LBB7_1964:
	s_andn2_b64 vcc, exec, s[6:7]
	s_cbranch_vccnz .LBB7_1970
; %bb.1965:
	s_cmp_gt_i32 s16, 0
	s_cbranch_scc0 .LBB7_1967
; %bb.1966:
	global_load_ubyte v11, v[19:20], off
	s_mov_b64 s[6:7], 0
	s_branch .LBB7_1968
.LBB7_1967:
	s_mov_b64 s[6:7], -1
                                        ; implicit-def: $vgpr11
.LBB7_1968:
	s_andn2_b64 vcc, exec, s[6:7]
	s_cbranch_vccnz .LBB7_1970
; %bb.1969:
	global_load_ubyte v11, v[19:20], off
.LBB7_1970:
.LBB7_1971:
	s_lshr_b32 s6, s23, 16
	v_mov_b32_e32 v1, s1
	s_and_b32 s23, s6, 0xff
	v_add_co_u32_e32 v19, vcc, s0, v15
	s_cmp_lt_i32 s23, 11
	v_addc_co_u32_e32 v20, vcc, 0, v1, vcc
	s_cbranch_scc1 .LBB7_1978
; %bb.1972:
	s_and_b32 s24, 0xffff, s23
	s_cmp_gt_i32 s24, 25
	s_mov_b64 s[16:17], 0
	s_cbranch_scc0 .LBB7_1979
; %bb.1973:
	s_cmp_gt_i32 s24, 28
	s_cbranch_scc0 .LBB7_1980
; %bb.1974:
	s_cmp_gt_i32 s24, 43
	;; [unrolled: 3-line block ×3, first 2 shown]
	s_cbranch_scc0 .LBB7_1983
; %bb.1976:
	s_cmp_eq_u32 s24, 46
	s_mov_b64 s[20:21], 0
	s_cbranch_scc0 .LBB7_1984
; %bb.1977:
	global_load_dword v1, v[19:20], off
	s_mov_b32 s6, 0x2f800000
	s_mov_b32 s7, 0xcf800000
	s_mov_b64 s[18:19], -1
	s_waitcnt vmcnt(0)
	v_lshlrev_b32_e32 v1, 16, v1
	v_trunc_f32_e32 v1, v1
	v_mul_f32_e64 v3, |v1|, s6
	v_floor_f32_e32 v3, v3
	v_fma_f32 v3, v3, s7, |v1|
	v_cvt_u32_f32_e32 v3, v3
	v_ashrrev_i32_e32 v1, 31, v1
	s_mov_b64 s[6:7], 0
	v_xor_b32_e32 v3, v3, v1
	v_sub_u32_e32 v14, v3, v1
	s_branch .LBB7_1985
.LBB7_1978:
	s_mov_b64 s[6:7], -1
	s_mov_b64 s[18:19], 0
                                        ; implicit-def: $vgpr14
	s_branch .LBB7_2047
.LBB7_1979:
	s_mov_b64 s[20:21], -1
	s_mov_b64 s[18:19], 0
	s_mov_b64 s[6:7], 0
                                        ; implicit-def: $vgpr14
	s_branch .LBB7_2012
.LBB7_1980:
	s_mov_b64 s[20:21], -1
	s_mov_b64 s[18:19], 0
	s_mov_b64 s[6:7], 0
                                        ; implicit-def: $vgpr14
	s_branch .LBB7_1995
.LBB7_1981:
	s_mov_b64 s[20:21], -1
	s_mov_b64 s[18:19], 0
	s_mov_b64 s[6:7], 0
                                        ; implicit-def: $vgpr14
	s_branch .LBB7_1990
.LBB7_1982:
	s_trap 2
	s_or_b64 s[4:5], s[4:5], exec
	s_cbranch_execz .LBB7_1921
	s_branch .LBB7_1922
.LBB7_1983:
	s_mov_b64 s[20:21], -1
	s_mov_b64 s[18:19], 0
	s_mov_b64 s[6:7], 0
                                        ; implicit-def: $vgpr14
	s_branch .LBB7_1985
.LBB7_1984:
	s_mov_b64 s[6:7], -1
                                        ; implicit-def: $vgpr14
	s_mov_b64 s[18:19], 0
.LBB7_1985:
	s_and_b64 vcc, exec, s[20:21]
	s_cbranch_vccz .LBB7_1989
; %bb.1986:
	s_cmp_eq_u32 s24, 44
	s_cbranch_scc0 .LBB7_1988
; %bb.1987:
	global_load_ubyte v1, v[19:20], off
	s_mov_b32 s6, 0x2f800000
	s_mov_b32 s7, 0xcf800000
	s_mov_b64 s[18:19], -1
	s_waitcnt vmcnt(0)
	v_lshlrev_b32_e32 v3, 23, v1
	v_trunc_f32_e32 v3, v3
	v_mul_f32_e64 v5, |v3|, s6
	v_floor_f32_e32 v5, v5
	v_fma_f32 v5, v5, s7, |v3|
	v_cvt_u32_f32_e32 v5, v5
	v_ashrrev_i32_e32 v3, 31, v3
	v_cmp_ne_u32_e32 vcc, 0, v1
	s_mov_b64 s[6:7], 0
	v_xor_b32_e32 v5, v5, v3
	v_sub_u32_e32 v3, v5, v3
	v_cndmask_b32_e32 v14, 0, v3, vcc
	s_branch .LBB7_1989
.LBB7_1988:
	s_mov_b64 s[6:7], -1
                                        ; implicit-def: $vgpr14
.LBB7_1989:
	s_mov_b64 s[20:21], 0
.LBB7_1990:
	s_and_b64 vcc, exec, s[20:21]
	s_cbranch_vccz .LBB7_1994
; %bb.1991:
	s_cmp_eq_u32 s24, 29
	s_cbranch_scc0 .LBB7_1993
; %bb.1992:
	global_load_dwordx2 v[14:15], v[19:20], off
	s_mov_b64 s[6:7], 0
	s_mov_b64 s[18:19], -1
	s_branch .LBB7_1994
.LBB7_1993:
	s_mov_b64 s[6:7], -1
                                        ; implicit-def: $vgpr14
.LBB7_1994:
	s_mov_b64 s[20:21], 0
.LBB7_1995:
	s_and_b64 vcc, exec, s[20:21]
	s_cbranch_vccz .LBB7_2011
; %bb.1996:
	s_cmp_lt_i32 s24, 27
	s_cbranch_scc1 .LBB7_1999
; %bb.1997:
	s_cmp_gt_i32 s24, 27
	s_cbranch_scc0 .LBB7_2000
; %bb.1998:
	global_load_dword v14, v[19:20], off
	s_mov_b64 s[18:19], 0
	s_branch .LBB7_2001
.LBB7_1999:
	s_mov_b64 s[18:19], -1
                                        ; implicit-def: $vgpr14
	s_branch .LBB7_2004
.LBB7_2000:
	s_mov_b64 s[18:19], -1
                                        ; implicit-def: $vgpr14
.LBB7_2001:
	s_andn2_b64 vcc, exec, s[18:19]
	s_cbranch_vccnz .LBB7_2003
; %bb.2002:
	global_load_ushort v14, v[19:20], off
.LBB7_2003:
	s_mov_b64 s[18:19], 0
.LBB7_2004:
	s_andn2_b64 vcc, exec, s[18:19]
	s_cbranch_vccnz .LBB7_2010
; %bb.2005:
	global_load_ubyte v1, v[19:20], off
	s_movk_i32 s18, 0x7f
	s_mov_b64 s[20:21], 0
	s_waitcnt vmcnt(0)
	v_cmp_lt_i16_e32 vcc, s18, v1
	s_and_saveexec_b64 s[18:19], vcc
	s_xor_b64 s[18:19], exec, s[18:19]
	s_cbranch_execz .LBB7_2022
; %bb.2006:
	s_movk_i32 s20, 0x80
	v_cmp_ne_u16_e32 vcc, s20, v1
	s_and_b64 s[20:21], vcc, exec
	s_andn2_saveexec_b64 s[18:19], s[18:19]
	s_cbranch_execnz .LBB7_2023
.LBB7_2007:
	s_or_b64 exec, exec, s[18:19]
	v_mov_b32_e32 v14, 0
	s_and_saveexec_b64 s[18:19], s[20:21]
	s_cbranch_execz .LBB7_2009
.LBB7_2008:
	v_lshlrev_b32_e32 v3, 24, v1
	v_and_b32_e32 v1, 0xffff, v1
	v_and_b32_e32 v5, 7, v1
	v_ffbh_u32_e32 v12, v5
	v_min_u32_e32 v12, 32, v12
	v_subrev_u32_e32 v14, 28, v12
	v_bfe_u32 v8, v1, 3, 4
	v_lshlrev_b32_e32 v1, v14, v1
	v_sub_u32_e32 v12, 29, v12
	v_and_b32_e32 v1, 7, v1
	v_cmp_eq_u32_e32 vcc, 0, v8
	v_cndmask_b32_e32 v8, v8, v12, vcc
	v_cndmask_b32_e32 v1, v5, v1, vcc
	v_mov_b32_e32 v5, 0x3b800000
	v_lshlrev_b32_e32 v1, 20, v1
	v_and_b32_e32 v3, 0x80000000, v3
	v_lshl_add_u32 v5, v8, 23, v5
	v_or3_b32 v1, v3, v5, v1
	v_trunc_f32_e32 v1, v1
	s_mov_b32 s20, 0x2f800000
	v_mul_f32_e64 v3, |v1|, s20
	v_floor_f32_e32 v3, v3
	s_mov_b32 s20, 0xcf800000
	v_fma_f32 v3, v3, s20, |v1|
	v_cvt_u32_f32_e32 v3, v3
	v_ashrrev_i32_e32 v1, 31, v1
	v_xor_b32_e32 v3, v3, v1
	v_sub_u32_e32 v14, v3, v1
.LBB7_2009:
	s_or_b64 exec, exec, s[18:19]
.LBB7_2010:
	s_mov_b64 s[18:19], -1
.LBB7_2011:
	s_mov_b64 s[20:21], 0
.LBB7_2012:
	s_and_b64 vcc, exec, s[20:21]
	s_cbranch_vccz .LBB7_2043
; %bb.2013:
	s_cmp_gt_i32 s24, 22
	s_cbranch_scc0 .LBB7_2021
; %bb.2014:
	s_cmp_lt_i32 s24, 24
	s_cbranch_scc1 .LBB7_2024
; %bb.2015:
	s_cmp_gt_i32 s24, 24
	s_cbranch_scc0 .LBB7_2025
; %bb.2016:
	global_load_ubyte v1, v[19:20], off
	s_movk_i32 s16, 0x7f
	s_mov_b64 s[18:19], 0
	s_waitcnt vmcnt(0)
	v_cmp_lt_i16_e32 vcc, s16, v1
	s_and_saveexec_b64 s[16:17], vcc
	s_xor_b64 s[16:17], exec, s[16:17]
	s_cbranch_execz .LBB7_2037
; %bb.2017:
	s_movk_i32 s18, 0x80
	v_cmp_ne_u16_e32 vcc, s18, v1
	s_and_b64 s[18:19], vcc, exec
	s_andn2_saveexec_b64 s[16:17], s[16:17]
	s_cbranch_execnz .LBB7_2038
.LBB7_2018:
	s_or_b64 exec, exec, s[16:17]
	v_mov_b32_e32 v14, 0
	s_and_saveexec_b64 s[16:17], s[18:19]
	s_cbranch_execz .LBB7_2020
.LBB7_2019:
	v_lshlrev_b32_e32 v3, 24, v1
	v_and_b32_e32 v1, 0xffff, v1
	v_and_b32_e32 v5, 3, v1
	v_ffbh_u32_e32 v12, v5
	v_min_u32_e32 v12, 32, v12
	v_subrev_u32_e32 v14, 29, v12
	v_bfe_u32 v8, v1, 2, 5
	v_lshlrev_b32_e32 v1, v14, v1
	v_sub_u32_e32 v12, 30, v12
	v_and_b32_e32 v1, 3, v1
	v_cmp_eq_u32_e32 vcc, 0, v8
	v_cndmask_b32_e32 v8, v8, v12, vcc
	v_cndmask_b32_e32 v1, v5, v1, vcc
	v_mov_b32_e32 v5, 0x37800000
	v_lshlrev_b32_e32 v1, 21, v1
	v_and_b32_e32 v3, 0x80000000, v3
	v_lshl_add_u32 v5, v8, 23, v5
	v_or3_b32 v1, v3, v5, v1
	v_trunc_f32_e32 v1, v1
	s_mov_b32 s18, 0x2f800000
	v_mul_f32_e64 v3, |v1|, s18
	v_floor_f32_e32 v3, v3
	s_mov_b32 s18, 0xcf800000
	v_fma_f32 v3, v3, s18, |v1|
	v_cvt_u32_f32_e32 v3, v3
	v_ashrrev_i32_e32 v1, 31, v1
	v_xor_b32_e32 v3, v3, v1
	v_sub_u32_e32 v14, v3, v1
.LBB7_2020:
	s_or_b64 exec, exec, s[16:17]
	s_mov_b64 s[16:17], 0
	s_branch .LBB7_2026
.LBB7_2021:
	s_mov_b64 s[16:17], -1
                                        ; implicit-def: $vgpr14
	s_branch .LBB7_2032
.LBB7_2022:
	s_andn2_saveexec_b64 s[18:19], s[18:19]
	s_cbranch_execz .LBB7_2007
.LBB7_2023:
	v_cmp_ne_u16_e32 vcc, 0, v1
	s_andn2_b64 s[20:21], s[20:21], exec
	s_and_b64 s[26:27], vcc, exec
	s_or_b64 s[20:21], s[20:21], s[26:27]
	s_or_b64 exec, exec, s[18:19]
	v_mov_b32_e32 v14, 0
	s_and_saveexec_b64 s[18:19], s[20:21]
	s_cbranch_execnz .LBB7_2008
	s_branch .LBB7_2009
.LBB7_2024:
	s_mov_b64 s[16:17], -1
                                        ; implicit-def: $vgpr14
	s_branch .LBB7_2029
.LBB7_2025:
	s_mov_b64 s[16:17], -1
                                        ; implicit-def: $vgpr14
.LBB7_2026:
	s_and_b64 vcc, exec, s[16:17]
	s_cbranch_vccz .LBB7_2028
; %bb.2027:
	global_load_ubyte v1, v[19:20], off
	s_mov_b32 s16, 0x7f800000
	s_brev_b32 s17, 1
	s_mov_b32 s18, 0x2f800000
	s_waitcnt vmcnt(0)
	v_lshlrev_b32_e32 v1, 24, v1
	v_and_b32_e32 v3, 0x7f000000, v1
	v_ffbh_u32_e32 v5, v3
	v_min_u32_e32 v5, 32, v5
	v_sub_u32_e64 v5, v5, 4 clamp
	v_lshlrev_b32_e32 v12, v5, v3
	v_lshlrev_b32_e32 v5, 23, v5
	v_lshrrev_b32_e32 v12, 4, v12
	v_add_u32_e32 v8, 0x1000000, v3
	v_sub_u32_e32 v5, v12, v5
	v_ashrrev_i32_e32 v8, 8, v8
	v_add_u32_e32 v5, 0x3c000000, v5
	v_and_or_b32 v5, v8, s16, v5
	v_cmp_ne_u32_e32 vcc, 0, v3
	v_cndmask_b32_e32 v3, 0, v5, vcc
	v_and_or_b32 v1, v1, s17, v3
	v_trunc_f32_e32 v1, v1
	v_mul_f32_e64 v3, |v1|, s18
	v_floor_f32_e32 v3, v3
	s_mov_b32 s16, 0xcf800000
	v_fma_f32 v3, v3, s16, |v1|
	v_cvt_u32_f32_e32 v3, v3
	v_ashrrev_i32_e32 v1, 31, v1
	v_xor_b32_e32 v3, v3, v1
	v_sub_u32_e32 v14, v3, v1
.LBB7_2028:
	s_mov_b64 s[16:17], 0
.LBB7_2029:
	s_andn2_b64 vcc, exec, s[16:17]
	s_cbranch_vccnz .LBB7_2031
; %bb.2030:
	global_load_ubyte v1, v[19:20], off
	s_movk_i32 s16, 0x7f00
	s_brev_b32 s17, 16
	s_brev_b32 s18, 1
	s_mov_b32 s19, 0x2f800000
	s_waitcnt vmcnt(0)
	v_lshlrev_b16_e32 v3, 8, v1
	v_lshlrev_b32_e32 v1, 25, v1
	v_lshrrev_b32_e32 v5, 4, v1
	v_and_or_b32 v8, v3, s16, 0.5
	v_or_b32_e32 v5, 0x70000000, v5
	v_add_f32_e32 v8, -0.5, v8
	v_mul_f32_e32 v5, 0x7800000, v5
	v_cmp_gt_u32_e32 vcc, s17, v1
	v_bfe_i32 v3, v3, 0, 16
	v_cndmask_b32_e32 v1, v5, v8, vcc
	v_and_or_b32 v1, v3, s18, v1
	v_trunc_f32_e32 v1, v1
	v_mul_f32_e64 v3, |v1|, s19
	v_floor_f32_e32 v3, v3
	s_mov_b32 s16, 0xcf800000
	v_fma_f32 v3, v3, s16, |v1|
	v_cvt_u32_f32_e32 v3, v3
	v_ashrrev_i32_e32 v1, 31, v1
	v_xor_b32_e32 v3, v3, v1
	v_sub_u32_e32 v14, v3, v1
.LBB7_2031:
	s_mov_b64 s[16:17], 0
	s_mov_b64 s[18:19], -1
.LBB7_2032:
	s_andn2_b64 vcc, exec, s[16:17]
	s_mov_b64 s[16:17], 0
	s_cbranch_vccnz .LBB7_2043
; %bb.2033:
	s_cmp_gt_i32 s24, 14
	s_cbranch_scc0 .LBB7_2036
; %bb.2034:
	s_cmp_eq_u32 s24, 15
	s_cbranch_scc0 .LBB7_2039
; %bb.2035:
	global_load_ushort v1, v[19:20], off
	s_mov_b32 s6, 0x2f800000
	s_mov_b32 s7, 0xcf800000
	s_mov_b64 s[18:19], -1
	s_waitcnt vmcnt(0)
	v_lshlrev_b32_e32 v1, 16, v1
	v_trunc_f32_e32 v1, v1
	v_mul_f32_e64 v3, |v1|, s6
	v_floor_f32_e32 v3, v3
	v_fma_f32 v3, v3, s7, |v1|
	v_cvt_u32_f32_e32 v3, v3
	v_ashrrev_i32_e32 v1, 31, v1
	s_mov_b64 s[6:7], 0
	v_xor_b32_e32 v3, v3, v1
	v_sub_u32_e32 v14, v3, v1
	s_branch .LBB7_2040
.LBB7_2036:
	s_mov_b64 s[20:21], -1
                                        ; implicit-def: $vgpr14
	s_branch .LBB7_2041
.LBB7_2037:
	s_andn2_saveexec_b64 s[16:17], s[16:17]
	s_cbranch_execz .LBB7_2018
.LBB7_2038:
	v_cmp_ne_u16_e32 vcc, 0, v1
	s_andn2_b64 s[18:19], s[18:19], exec
	s_and_b64 s[20:21], vcc, exec
	s_or_b64 s[18:19], s[18:19], s[20:21]
	s_or_b64 exec, exec, s[16:17]
	v_mov_b32_e32 v14, 0
	s_and_saveexec_b64 s[16:17], s[18:19]
	s_cbranch_execnz .LBB7_2019
	s_branch .LBB7_2020
.LBB7_2039:
	s_mov_b64 s[6:7], -1
                                        ; implicit-def: $vgpr14
.LBB7_2040:
	s_mov_b64 s[20:21], 0
.LBB7_2041:
	s_and_b64 vcc, exec, s[20:21]
	s_cbranch_vccz .LBB7_2043
; %bb.2042:
	s_cmp_lg_u32 s24, 11
	s_mov_b64 s[16:17], -1
	s_cselect_b64 s[6:7], -1, 0
.LBB7_2043:
	s_and_b64 vcc, exec, s[6:7]
	s_cbranch_vccnz .LBB7_2108
; %bb.2044:
	s_andn2_b64 vcc, exec, s[16:17]
	s_cbranch_vccnz .LBB7_2046
.LBB7_2045:
	global_load_ubyte v1, v[19:20], off
	s_mov_b64 s[18:19], -1
	s_waitcnt vmcnt(0)
	v_cmp_ne_u16_e32 vcc, 0, v1
	v_cndmask_b32_e64 v14, 0, 1, vcc
.LBB7_2046:
	s_mov_b64 s[6:7], 0
.LBB7_2047:
	s_and_b64 vcc, exec, s[6:7]
	s_cbranch_vccz .LBB7_2096
; %bb.2048:
	s_and_b32 s16, 0xffff, s23
	s_cmp_lt_i32 s16, 5
	s_cbranch_scc1 .LBB7_2053
; %bb.2049:
	s_cmp_lt_i32 s16, 8
	s_cbranch_scc1 .LBB7_2054
; %bb.2050:
	s_cmp_lt_i32 s16, 9
	s_cbranch_scc1 .LBB7_2055
; %bb.2051:
	s_cmp_gt_i32 s16, 9
	s_cbranch_scc0 .LBB7_2056
; %bb.2052:
	global_load_dwordx2 v[14:15], v[19:20], off
	s_movk_i32 s6, 0xffe0
	s_waitcnt vmcnt(0)
	v_trunc_f64_e32 v[14:15], v[14:15]
	v_ldexp_f64 v[21:22], v[14:15], s6
	s_mov_b32 s6, 0
	s_mov_b32 s7, 0xc1f00000
	v_floor_f64_e32 v[21:22], v[21:22]
	v_fma_f64 v[14:15], v[21:22], s[6:7], v[14:15]
	s_mov_b64 s[6:7], 0
	v_cvt_u32_f64_e32 v14, v[14:15]
	s_branch .LBB7_2057
.LBB7_2053:
	s_mov_b64 s[6:7], -1
                                        ; implicit-def: $vgpr14
	s_branch .LBB7_2075
.LBB7_2054:
	s_mov_b64 s[6:7], -1
                                        ; implicit-def: $vgpr14
	s_branch .LBB7_2063
.LBB7_2055:
	s_mov_b64 s[6:7], -1
                                        ; implicit-def: $vgpr14
	s_branch .LBB7_2060
.LBB7_2056:
	s_mov_b64 s[6:7], -1
                                        ; implicit-def: $vgpr14
.LBB7_2057:
	s_andn2_b64 vcc, exec, s[6:7]
	s_cbranch_vccnz .LBB7_2059
; %bb.2058:
	global_load_dword v1, v[19:20], off
	s_mov_b32 s6, 0x2f800000
	s_waitcnt vmcnt(0)
	v_trunc_f32_e32 v1, v1
	v_mul_f32_e64 v3, |v1|, s6
	v_floor_f32_e32 v3, v3
	s_mov_b32 s6, 0xcf800000
	v_fma_f32 v3, v3, s6, |v1|
	v_cvt_u32_f32_e32 v3, v3
	v_ashrrev_i32_e32 v1, 31, v1
	v_xor_b32_e32 v3, v3, v1
	v_sub_u32_e32 v14, v3, v1
.LBB7_2059:
	s_mov_b64 s[6:7], 0
.LBB7_2060:
	s_andn2_b64 vcc, exec, s[6:7]
	s_cbranch_vccnz .LBB7_2062
; %bb.2061:
	global_load_dword v1, v[19:20], off
	s_waitcnt vmcnt(0)
	v_cvt_f32_f16_e32 v1, v1
	v_cvt_i32_f32_e32 v14, v1
.LBB7_2062:
	s_mov_b64 s[6:7], 0
.LBB7_2063:
	s_andn2_b64 vcc, exec, s[6:7]
	s_cbranch_vccnz .LBB7_2074
; %bb.2064:
	s_cmp_lt_i32 s16, 6
	s_cbranch_scc1 .LBB7_2067
; %bb.2065:
	s_cmp_gt_i32 s16, 6
	s_cbranch_scc0 .LBB7_2068
; %bb.2066:
	global_load_dwordx2 v[14:15], v[19:20], off
	s_movk_i32 s6, 0xffe0
	s_waitcnt vmcnt(0)
	v_trunc_f64_e32 v[14:15], v[14:15]
	v_ldexp_f64 v[21:22], v[14:15], s6
	s_mov_b32 s6, 0
	s_mov_b32 s7, 0xc1f00000
	v_floor_f64_e32 v[21:22], v[21:22]
	v_fma_f64 v[14:15], v[21:22], s[6:7], v[14:15]
	s_mov_b64 s[6:7], 0
	v_cvt_u32_f64_e32 v14, v[14:15]
	s_branch .LBB7_2069
.LBB7_2067:
	s_mov_b64 s[6:7], -1
                                        ; implicit-def: $vgpr14
	s_branch .LBB7_2072
.LBB7_2068:
	s_mov_b64 s[6:7], -1
                                        ; implicit-def: $vgpr14
.LBB7_2069:
	s_andn2_b64 vcc, exec, s[6:7]
	s_cbranch_vccnz .LBB7_2071
; %bb.2070:
	global_load_dword v1, v[19:20], off
	s_mov_b32 s6, 0x2f800000
	s_waitcnt vmcnt(0)
	v_trunc_f32_e32 v1, v1
	v_mul_f32_e64 v3, |v1|, s6
	v_floor_f32_e32 v3, v3
	s_mov_b32 s6, 0xcf800000
	v_fma_f32 v3, v3, s6, |v1|
	v_cvt_u32_f32_e32 v3, v3
	v_ashrrev_i32_e32 v1, 31, v1
	v_xor_b32_e32 v3, v3, v1
	v_sub_u32_e32 v14, v3, v1
.LBB7_2071:
	s_mov_b64 s[6:7], 0
.LBB7_2072:
	s_andn2_b64 vcc, exec, s[6:7]
	s_cbranch_vccnz .LBB7_2074
; %bb.2073:
	global_load_ushort v1, v[19:20], off
	s_waitcnt vmcnt(0)
	v_cvt_f32_f16_e32 v1, v1
	v_cvt_i32_f32_e32 v14, v1
.LBB7_2074:
	s_mov_b64 s[6:7], 0
.LBB7_2075:
	s_andn2_b64 vcc, exec, s[6:7]
	s_cbranch_vccnz .LBB7_2095
; %bb.2076:
	s_cmp_lt_i32 s16, 2
	s_cbranch_scc1 .LBB7_2080
; %bb.2077:
	s_cmp_lt_i32 s16, 3
	s_cbranch_scc1 .LBB7_2081
; %bb.2078:
	s_cmp_gt_i32 s16, 3
	s_cbranch_scc0 .LBB7_2082
; %bb.2079:
	global_load_dwordx2 v[14:15], v[19:20], off
	s_mov_b64 s[6:7], 0
	s_branch .LBB7_2083
.LBB7_2080:
	s_mov_b64 s[6:7], -1
                                        ; implicit-def: $vgpr14
	s_branch .LBB7_2089
.LBB7_2081:
	s_mov_b64 s[6:7], -1
                                        ; implicit-def: $vgpr14
	s_branch .LBB7_2086
.LBB7_2082:
	s_mov_b64 s[6:7], -1
                                        ; implicit-def: $vgpr14
.LBB7_2083:
	s_andn2_b64 vcc, exec, s[6:7]
	s_cbranch_vccnz .LBB7_2085
; %bb.2084:
	global_load_dword v14, v[19:20], off
.LBB7_2085:
	s_mov_b64 s[6:7], 0
.LBB7_2086:
	s_andn2_b64 vcc, exec, s[6:7]
	s_cbranch_vccnz .LBB7_2088
; %bb.2087:
	global_load_ushort v14, v[19:20], off
.LBB7_2088:
	s_mov_b64 s[6:7], 0
.LBB7_2089:
	s_andn2_b64 vcc, exec, s[6:7]
	s_cbranch_vccnz .LBB7_2095
; %bb.2090:
	s_cmp_gt_i32 s16, 0
	s_cbranch_scc0 .LBB7_2092
; %bb.2091:
	global_load_ubyte v14, v[19:20], off
	s_mov_b64 s[6:7], 0
	s_branch .LBB7_2093
.LBB7_2092:
	s_mov_b64 s[6:7], -1
                                        ; implicit-def: $vgpr14
.LBB7_2093:
	s_andn2_b64 vcc, exec, s[6:7]
	s_cbranch_vccnz .LBB7_2095
; %bb.2094:
	global_load_ubyte v14, v[19:20], off
.LBB7_2095:
	s_mov_b64 s[18:19], -1
.LBB7_2096:
	s_andn2_b64 vcc, exec, s[18:19]
	s_cbranch_vccnz .LBB7_3036
; %bb.2097:
	v_mov_b32_e32 v1, s11
	v_add_co_u32_e32 v19, vcc, s10, v18
	s_cmp_lt_i32 s22, 11
	v_addc_co_u32_e32 v20, vcc, 0, v1, vcc
	s_cbranch_scc1 .LBB7_2104
; %bb.2098:
	s_and_b32 s24, 0xffff, s22
	s_cmp_gt_i32 s24, 25
	s_mov_b64 s[16:17], 0
	s_cbranch_scc0 .LBB7_2105
; %bb.2099:
	s_cmp_gt_i32 s24, 28
	s_cbranch_scc0 .LBB7_2106
; %bb.2100:
	s_cmp_gt_i32 s24, 43
	;; [unrolled: 3-line block ×3, first 2 shown]
	s_cbranch_scc0 .LBB7_2109
; %bb.2102:
	s_cmp_eq_u32 s24, 46
	s_mov_b64 s[20:21], 0
	s_cbranch_scc0 .LBB7_2110
; %bb.2103:
	global_load_dword v1, v[19:20], off
	s_mov_b32 s6, 0x2f800000
	s_mov_b32 s7, 0xcf800000
	s_mov_b64 s[18:19], -1
	s_waitcnt vmcnt(0)
	v_lshlrev_b32_e32 v1, 16, v1
	v_trunc_f32_e32 v1, v1
	v_mul_f32_e64 v3, |v1|, s6
	v_floor_f32_e32 v3, v3
	v_fma_f32 v3, v3, s7, |v1|
	v_cvt_u32_f32_e32 v3, v3
	v_ashrrev_i32_e32 v1, 31, v1
	s_mov_b64 s[6:7], 0
	v_xor_b32_e32 v3, v3, v1
	v_sub_u32_e32 v17, v3, v1
	s_branch .LBB7_2111
.LBB7_2104:
	s_mov_b64 s[6:7], -1
	s_mov_b64 s[18:19], 0
                                        ; implicit-def: $vgpr17
	s_branch .LBB7_2173
.LBB7_2105:
	s_mov_b64 s[20:21], -1
	s_mov_b64 s[18:19], 0
	s_mov_b64 s[6:7], 0
                                        ; implicit-def: $vgpr17
	s_branch .LBB7_2138
.LBB7_2106:
	s_mov_b64 s[20:21], -1
	s_mov_b64 s[18:19], 0
	s_mov_b64 s[6:7], 0
                                        ; implicit-def: $vgpr17
	s_branch .LBB7_2121
.LBB7_2107:
	s_mov_b64 s[20:21], -1
	s_mov_b64 s[18:19], 0
	s_mov_b64 s[6:7], 0
                                        ; implicit-def: $vgpr17
	s_branch .LBB7_2116
.LBB7_2108:
	s_trap 2
	s_or_b64 s[4:5], s[4:5], exec
	s_cbranch_execz .LBB7_2045
	s_branch .LBB7_2046
.LBB7_2109:
	s_mov_b64 s[20:21], -1
	s_mov_b64 s[18:19], 0
	s_mov_b64 s[6:7], 0
                                        ; implicit-def: $vgpr17
	s_branch .LBB7_2111
.LBB7_2110:
	s_mov_b64 s[6:7], -1
                                        ; implicit-def: $vgpr17
	s_mov_b64 s[18:19], 0
.LBB7_2111:
	s_and_b64 vcc, exec, s[20:21]
	s_cbranch_vccz .LBB7_2115
; %bb.2112:
	s_cmp_eq_u32 s24, 44
	s_cbranch_scc0 .LBB7_2114
; %bb.2113:
	global_load_ubyte v1, v[19:20], off
	s_mov_b32 s6, 0x2f800000
	s_mov_b32 s7, 0xcf800000
	s_mov_b64 s[18:19], -1
	s_waitcnt vmcnt(0)
	v_lshlrev_b32_e32 v3, 23, v1
	v_trunc_f32_e32 v3, v3
	v_mul_f32_e64 v5, |v3|, s6
	v_floor_f32_e32 v5, v5
	v_fma_f32 v5, v5, s7, |v3|
	v_cvt_u32_f32_e32 v5, v5
	v_ashrrev_i32_e32 v3, 31, v3
	v_cmp_ne_u32_e32 vcc, 0, v1
	s_mov_b64 s[6:7], 0
	v_xor_b32_e32 v5, v5, v3
	v_sub_u32_e32 v3, v5, v3
	v_cndmask_b32_e32 v17, 0, v3, vcc
	s_branch .LBB7_2115
.LBB7_2114:
	s_mov_b64 s[6:7], -1
                                        ; implicit-def: $vgpr17
.LBB7_2115:
	s_mov_b64 s[20:21], 0
.LBB7_2116:
	s_and_b64 vcc, exec, s[20:21]
	s_cbranch_vccz .LBB7_2120
; %bb.2117:
	s_cmp_eq_u32 s24, 29
	s_cbranch_scc0 .LBB7_2119
; %bb.2118:
	global_load_dwordx2 v[17:18], v[19:20], off
	s_mov_b64 s[6:7], 0
	s_mov_b64 s[18:19], -1
	s_branch .LBB7_2120
.LBB7_2119:
	s_mov_b64 s[6:7], -1
                                        ; implicit-def: $vgpr17
.LBB7_2120:
	s_mov_b64 s[20:21], 0
.LBB7_2121:
	s_and_b64 vcc, exec, s[20:21]
	s_cbranch_vccz .LBB7_2137
; %bb.2122:
	s_cmp_lt_i32 s24, 27
	s_cbranch_scc1 .LBB7_2125
; %bb.2123:
	s_cmp_gt_i32 s24, 27
	s_cbranch_scc0 .LBB7_2126
; %bb.2124:
	global_load_dword v17, v[19:20], off
	s_mov_b64 s[18:19], 0
	s_branch .LBB7_2127
.LBB7_2125:
	s_mov_b64 s[18:19], -1
                                        ; implicit-def: $vgpr17
	s_branch .LBB7_2130
.LBB7_2126:
	s_mov_b64 s[18:19], -1
                                        ; implicit-def: $vgpr17
.LBB7_2127:
	s_andn2_b64 vcc, exec, s[18:19]
	s_cbranch_vccnz .LBB7_2129
; %bb.2128:
	global_load_ushort v17, v[19:20], off
.LBB7_2129:
	s_mov_b64 s[18:19], 0
.LBB7_2130:
	s_andn2_b64 vcc, exec, s[18:19]
	s_cbranch_vccnz .LBB7_2136
; %bb.2131:
	global_load_ubyte v1, v[19:20], off
	s_movk_i32 s18, 0x7f
	s_mov_b64 s[20:21], 0
	s_waitcnt vmcnt(0)
	v_cmp_lt_i16_e32 vcc, s18, v1
	s_and_saveexec_b64 s[18:19], vcc
	s_xor_b64 s[18:19], exec, s[18:19]
	s_cbranch_execz .LBB7_2148
; %bb.2132:
	s_movk_i32 s20, 0x80
	v_cmp_ne_u16_e32 vcc, s20, v1
	s_and_b64 s[20:21], vcc, exec
	s_andn2_saveexec_b64 s[18:19], s[18:19]
	s_cbranch_execnz .LBB7_2149
.LBB7_2133:
	s_or_b64 exec, exec, s[18:19]
	v_mov_b32_e32 v17, 0
	s_and_saveexec_b64 s[18:19], s[20:21]
	s_cbranch_execz .LBB7_2135
.LBB7_2134:
	v_lshlrev_b32_e32 v3, 24, v1
	v_and_b32_e32 v1, 0xffff, v1
	v_and_b32_e32 v5, 7, v1
	v_ffbh_u32_e32 v12, v5
	v_min_u32_e32 v12, 32, v12
	v_subrev_u32_e32 v15, 28, v12
	v_bfe_u32 v8, v1, 3, 4
	v_lshlrev_b32_e32 v1, v15, v1
	v_sub_u32_e32 v12, 29, v12
	v_and_b32_e32 v1, 7, v1
	v_cmp_eq_u32_e32 vcc, 0, v8
	v_cndmask_b32_e32 v8, v8, v12, vcc
	v_cndmask_b32_e32 v1, v5, v1, vcc
	v_mov_b32_e32 v5, 0x3b800000
	v_lshlrev_b32_e32 v1, 20, v1
	v_and_b32_e32 v3, 0x80000000, v3
	v_lshl_add_u32 v5, v8, 23, v5
	v_or3_b32 v1, v3, v5, v1
	v_trunc_f32_e32 v1, v1
	s_mov_b32 s20, 0x2f800000
	v_mul_f32_e64 v3, |v1|, s20
	v_floor_f32_e32 v3, v3
	s_mov_b32 s20, 0xcf800000
	v_fma_f32 v3, v3, s20, |v1|
	v_cvt_u32_f32_e32 v3, v3
	v_ashrrev_i32_e32 v1, 31, v1
	v_xor_b32_e32 v3, v3, v1
	v_sub_u32_e32 v17, v3, v1
.LBB7_2135:
	s_or_b64 exec, exec, s[18:19]
.LBB7_2136:
	s_mov_b64 s[18:19], -1
.LBB7_2137:
	s_mov_b64 s[20:21], 0
.LBB7_2138:
	s_and_b64 vcc, exec, s[20:21]
	s_cbranch_vccz .LBB7_2169
; %bb.2139:
	s_cmp_gt_i32 s24, 22
	s_cbranch_scc0 .LBB7_2147
; %bb.2140:
	s_cmp_lt_i32 s24, 24
	s_cbranch_scc1 .LBB7_2150
; %bb.2141:
	s_cmp_gt_i32 s24, 24
	s_cbranch_scc0 .LBB7_2151
; %bb.2142:
	global_load_ubyte v1, v[19:20], off
	s_movk_i32 s16, 0x7f
	s_mov_b64 s[18:19], 0
	s_waitcnt vmcnt(0)
	v_cmp_lt_i16_e32 vcc, s16, v1
	s_and_saveexec_b64 s[16:17], vcc
	s_xor_b64 s[16:17], exec, s[16:17]
	s_cbranch_execz .LBB7_2163
; %bb.2143:
	s_movk_i32 s18, 0x80
	v_cmp_ne_u16_e32 vcc, s18, v1
	s_and_b64 s[18:19], vcc, exec
	s_andn2_saveexec_b64 s[16:17], s[16:17]
	s_cbranch_execnz .LBB7_2164
.LBB7_2144:
	s_or_b64 exec, exec, s[16:17]
	v_mov_b32_e32 v17, 0
	s_and_saveexec_b64 s[16:17], s[18:19]
	s_cbranch_execz .LBB7_2146
.LBB7_2145:
	v_lshlrev_b32_e32 v3, 24, v1
	v_and_b32_e32 v1, 0xffff, v1
	v_and_b32_e32 v5, 3, v1
	v_ffbh_u32_e32 v12, v5
	v_min_u32_e32 v12, 32, v12
	v_subrev_u32_e32 v15, 29, v12
	v_bfe_u32 v8, v1, 2, 5
	v_lshlrev_b32_e32 v1, v15, v1
	v_sub_u32_e32 v12, 30, v12
	v_and_b32_e32 v1, 3, v1
	v_cmp_eq_u32_e32 vcc, 0, v8
	v_cndmask_b32_e32 v8, v8, v12, vcc
	v_cndmask_b32_e32 v1, v5, v1, vcc
	v_mov_b32_e32 v5, 0x37800000
	v_lshlrev_b32_e32 v1, 21, v1
	v_and_b32_e32 v3, 0x80000000, v3
	v_lshl_add_u32 v5, v8, 23, v5
	v_or3_b32 v1, v3, v5, v1
	v_trunc_f32_e32 v1, v1
	s_mov_b32 s18, 0x2f800000
	v_mul_f32_e64 v3, |v1|, s18
	v_floor_f32_e32 v3, v3
	s_mov_b32 s18, 0xcf800000
	v_fma_f32 v3, v3, s18, |v1|
	v_cvt_u32_f32_e32 v3, v3
	v_ashrrev_i32_e32 v1, 31, v1
	v_xor_b32_e32 v3, v3, v1
	v_sub_u32_e32 v17, v3, v1
.LBB7_2146:
	s_or_b64 exec, exec, s[16:17]
	s_mov_b64 s[16:17], 0
	s_branch .LBB7_2152
.LBB7_2147:
	s_mov_b64 s[16:17], -1
                                        ; implicit-def: $vgpr17
	s_branch .LBB7_2158
.LBB7_2148:
	s_andn2_saveexec_b64 s[18:19], s[18:19]
	s_cbranch_execz .LBB7_2133
.LBB7_2149:
	v_cmp_ne_u16_e32 vcc, 0, v1
	s_andn2_b64 s[20:21], s[20:21], exec
	s_and_b64 s[26:27], vcc, exec
	s_or_b64 s[20:21], s[20:21], s[26:27]
	s_or_b64 exec, exec, s[18:19]
	v_mov_b32_e32 v17, 0
	s_and_saveexec_b64 s[18:19], s[20:21]
	s_cbranch_execnz .LBB7_2134
	s_branch .LBB7_2135
.LBB7_2150:
	s_mov_b64 s[16:17], -1
                                        ; implicit-def: $vgpr17
	s_branch .LBB7_2155
.LBB7_2151:
	s_mov_b64 s[16:17], -1
                                        ; implicit-def: $vgpr17
.LBB7_2152:
	s_and_b64 vcc, exec, s[16:17]
	s_cbranch_vccz .LBB7_2154
; %bb.2153:
	global_load_ubyte v1, v[19:20], off
	s_mov_b32 s16, 0x7f800000
	s_brev_b32 s17, 1
	s_mov_b32 s18, 0x2f800000
	s_waitcnt vmcnt(0)
	v_lshlrev_b32_e32 v1, 24, v1
	v_and_b32_e32 v3, 0x7f000000, v1
	v_ffbh_u32_e32 v5, v3
	v_min_u32_e32 v5, 32, v5
	v_sub_u32_e64 v5, v5, 4 clamp
	v_lshlrev_b32_e32 v12, v5, v3
	v_lshlrev_b32_e32 v5, 23, v5
	v_lshrrev_b32_e32 v12, 4, v12
	v_add_u32_e32 v8, 0x1000000, v3
	v_sub_u32_e32 v5, v12, v5
	v_ashrrev_i32_e32 v8, 8, v8
	v_add_u32_e32 v5, 0x3c000000, v5
	v_and_or_b32 v5, v8, s16, v5
	v_cmp_ne_u32_e32 vcc, 0, v3
	v_cndmask_b32_e32 v3, 0, v5, vcc
	v_and_or_b32 v1, v1, s17, v3
	v_trunc_f32_e32 v1, v1
	v_mul_f32_e64 v3, |v1|, s18
	v_floor_f32_e32 v3, v3
	s_mov_b32 s16, 0xcf800000
	v_fma_f32 v3, v3, s16, |v1|
	v_cvt_u32_f32_e32 v3, v3
	v_ashrrev_i32_e32 v1, 31, v1
	v_xor_b32_e32 v3, v3, v1
	v_sub_u32_e32 v17, v3, v1
.LBB7_2154:
	s_mov_b64 s[16:17], 0
.LBB7_2155:
	s_andn2_b64 vcc, exec, s[16:17]
	s_cbranch_vccnz .LBB7_2157
; %bb.2156:
	global_load_ubyte v1, v[19:20], off
	s_movk_i32 s16, 0x7f00
	s_brev_b32 s17, 16
	s_brev_b32 s18, 1
	s_mov_b32 s19, 0x2f800000
	s_waitcnt vmcnt(0)
	v_lshlrev_b16_e32 v3, 8, v1
	v_lshlrev_b32_e32 v1, 25, v1
	v_lshrrev_b32_e32 v5, 4, v1
	v_and_or_b32 v8, v3, s16, 0.5
	v_or_b32_e32 v5, 0x70000000, v5
	v_add_f32_e32 v8, -0.5, v8
	v_mul_f32_e32 v5, 0x7800000, v5
	v_cmp_gt_u32_e32 vcc, s17, v1
	v_bfe_i32 v3, v3, 0, 16
	v_cndmask_b32_e32 v1, v5, v8, vcc
	v_and_or_b32 v1, v3, s18, v1
	v_trunc_f32_e32 v1, v1
	v_mul_f32_e64 v3, |v1|, s19
	v_floor_f32_e32 v3, v3
	s_mov_b32 s16, 0xcf800000
	v_fma_f32 v3, v3, s16, |v1|
	v_cvt_u32_f32_e32 v3, v3
	v_ashrrev_i32_e32 v1, 31, v1
	v_xor_b32_e32 v3, v3, v1
	v_sub_u32_e32 v17, v3, v1
.LBB7_2157:
	s_mov_b64 s[16:17], 0
	s_mov_b64 s[18:19], -1
.LBB7_2158:
	s_andn2_b64 vcc, exec, s[16:17]
	s_mov_b64 s[16:17], 0
	s_cbranch_vccnz .LBB7_2169
; %bb.2159:
	s_cmp_gt_i32 s24, 14
	s_cbranch_scc0 .LBB7_2162
; %bb.2160:
	s_cmp_eq_u32 s24, 15
	s_cbranch_scc0 .LBB7_2165
; %bb.2161:
	global_load_ushort v1, v[19:20], off
	s_mov_b32 s6, 0x2f800000
	s_mov_b32 s7, 0xcf800000
	s_mov_b64 s[18:19], -1
	s_waitcnt vmcnt(0)
	v_lshlrev_b32_e32 v1, 16, v1
	v_trunc_f32_e32 v1, v1
	v_mul_f32_e64 v3, |v1|, s6
	v_floor_f32_e32 v3, v3
	v_fma_f32 v3, v3, s7, |v1|
	v_cvt_u32_f32_e32 v3, v3
	v_ashrrev_i32_e32 v1, 31, v1
	s_mov_b64 s[6:7], 0
	v_xor_b32_e32 v3, v3, v1
	v_sub_u32_e32 v17, v3, v1
	s_branch .LBB7_2166
.LBB7_2162:
	s_mov_b64 s[20:21], -1
                                        ; implicit-def: $vgpr17
	s_branch .LBB7_2167
.LBB7_2163:
	s_andn2_saveexec_b64 s[16:17], s[16:17]
	s_cbranch_execz .LBB7_2144
.LBB7_2164:
	v_cmp_ne_u16_e32 vcc, 0, v1
	s_andn2_b64 s[18:19], s[18:19], exec
	s_and_b64 s[20:21], vcc, exec
	s_or_b64 s[18:19], s[18:19], s[20:21]
	s_or_b64 exec, exec, s[16:17]
	v_mov_b32_e32 v17, 0
	s_and_saveexec_b64 s[16:17], s[18:19]
	s_cbranch_execnz .LBB7_2145
	s_branch .LBB7_2146
.LBB7_2165:
	s_mov_b64 s[6:7], -1
                                        ; implicit-def: $vgpr17
.LBB7_2166:
	s_mov_b64 s[20:21], 0
.LBB7_2167:
	s_and_b64 vcc, exec, s[20:21]
	s_cbranch_vccz .LBB7_2169
; %bb.2168:
	s_cmp_lg_u32 s24, 11
	s_mov_b64 s[16:17], -1
	s_cselect_b64 s[6:7], -1, 0
.LBB7_2169:
	s_and_b64 vcc, exec, s[6:7]
	s_cbranch_vccnz .LBB7_2234
; %bb.2170:
	s_andn2_b64 vcc, exec, s[16:17]
	s_cbranch_vccnz .LBB7_2172
.LBB7_2171:
	global_load_ubyte v1, v[19:20], off
	s_mov_b64 s[18:19], -1
	s_waitcnt vmcnt(0)
	v_cmp_ne_u16_e32 vcc, 0, v1
	v_cndmask_b32_e64 v17, 0, 1, vcc
.LBB7_2172:
	s_mov_b64 s[6:7], 0
.LBB7_2173:
	s_and_b64 vcc, exec, s[6:7]
	s_cbranch_vccz .LBB7_2222
; %bb.2174:
	s_and_b32 s16, 0xffff, s22
	s_cmp_lt_i32 s16, 5
	s_cbranch_scc1 .LBB7_2179
; %bb.2175:
	s_cmp_lt_i32 s16, 8
	s_cbranch_scc1 .LBB7_2180
; %bb.2176:
	s_cmp_lt_i32 s16, 9
	s_cbranch_scc1 .LBB7_2181
; %bb.2177:
	s_cmp_gt_i32 s16, 9
	s_cbranch_scc0 .LBB7_2182
; %bb.2178:
	global_load_dwordx2 v[17:18], v[19:20], off
	s_movk_i32 s6, 0xffe0
	s_waitcnt vmcnt(0)
	v_trunc_f64_e32 v[17:18], v[17:18]
	v_ldexp_f64 v[21:22], v[17:18], s6
	s_mov_b32 s6, 0
	s_mov_b32 s7, 0xc1f00000
	v_floor_f64_e32 v[21:22], v[21:22]
	v_fma_f64 v[17:18], v[21:22], s[6:7], v[17:18]
	s_mov_b64 s[6:7], 0
	v_cvt_u32_f64_e32 v17, v[17:18]
	s_branch .LBB7_2183
.LBB7_2179:
	s_mov_b64 s[6:7], -1
                                        ; implicit-def: $vgpr17
	s_branch .LBB7_2201
.LBB7_2180:
	s_mov_b64 s[6:7], -1
                                        ; implicit-def: $vgpr17
	s_branch .LBB7_2189
.LBB7_2181:
	s_mov_b64 s[6:7], -1
                                        ; implicit-def: $vgpr17
	s_branch .LBB7_2186
.LBB7_2182:
	s_mov_b64 s[6:7], -1
                                        ; implicit-def: $vgpr17
.LBB7_2183:
	s_andn2_b64 vcc, exec, s[6:7]
	s_cbranch_vccnz .LBB7_2185
; %bb.2184:
	global_load_dword v1, v[19:20], off
	s_mov_b32 s6, 0x2f800000
	s_waitcnt vmcnt(0)
	v_trunc_f32_e32 v1, v1
	v_mul_f32_e64 v3, |v1|, s6
	v_floor_f32_e32 v3, v3
	s_mov_b32 s6, 0xcf800000
	v_fma_f32 v3, v3, s6, |v1|
	v_cvt_u32_f32_e32 v3, v3
	v_ashrrev_i32_e32 v1, 31, v1
	v_xor_b32_e32 v3, v3, v1
	v_sub_u32_e32 v17, v3, v1
.LBB7_2185:
	s_mov_b64 s[6:7], 0
.LBB7_2186:
	s_andn2_b64 vcc, exec, s[6:7]
	s_cbranch_vccnz .LBB7_2188
; %bb.2187:
	global_load_dword v1, v[19:20], off
	s_waitcnt vmcnt(0)
	v_cvt_f32_f16_e32 v1, v1
	v_cvt_i32_f32_e32 v17, v1
.LBB7_2188:
	s_mov_b64 s[6:7], 0
.LBB7_2189:
	s_andn2_b64 vcc, exec, s[6:7]
	s_cbranch_vccnz .LBB7_2200
; %bb.2190:
	s_cmp_lt_i32 s16, 6
	s_cbranch_scc1 .LBB7_2193
; %bb.2191:
	s_cmp_gt_i32 s16, 6
	s_cbranch_scc0 .LBB7_2194
; %bb.2192:
	global_load_dwordx2 v[17:18], v[19:20], off
	s_movk_i32 s6, 0xffe0
	s_waitcnt vmcnt(0)
	v_trunc_f64_e32 v[17:18], v[17:18]
	v_ldexp_f64 v[21:22], v[17:18], s6
	s_mov_b32 s6, 0
	s_mov_b32 s7, 0xc1f00000
	v_floor_f64_e32 v[21:22], v[21:22]
	v_fma_f64 v[17:18], v[21:22], s[6:7], v[17:18]
	s_mov_b64 s[6:7], 0
	v_cvt_u32_f64_e32 v17, v[17:18]
	s_branch .LBB7_2195
.LBB7_2193:
	s_mov_b64 s[6:7], -1
                                        ; implicit-def: $vgpr17
	s_branch .LBB7_2198
.LBB7_2194:
	s_mov_b64 s[6:7], -1
                                        ; implicit-def: $vgpr17
.LBB7_2195:
	s_andn2_b64 vcc, exec, s[6:7]
	s_cbranch_vccnz .LBB7_2197
; %bb.2196:
	global_load_dword v1, v[19:20], off
	s_mov_b32 s6, 0x2f800000
	s_waitcnt vmcnt(0)
	v_trunc_f32_e32 v1, v1
	v_mul_f32_e64 v3, |v1|, s6
	v_floor_f32_e32 v3, v3
	s_mov_b32 s6, 0xcf800000
	v_fma_f32 v3, v3, s6, |v1|
	v_cvt_u32_f32_e32 v3, v3
	v_ashrrev_i32_e32 v1, 31, v1
	v_xor_b32_e32 v3, v3, v1
	v_sub_u32_e32 v17, v3, v1
.LBB7_2197:
	s_mov_b64 s[6:7], 0
.LBB7_2198:
	s_andn2_b64 vcc, exec, s[6:7]
	s_cbranch_vccnz .LBB7_2200
; %bb.2199:
	global_load_ushort v1, v[19:20], off
	s_waitcnt vmcnt(0)
	v_cvt_f32_f16_e32 v1, v1
	v_cvt_i32_f32_e32 v17, v1
.LBB7_2200:
	s_mov_b64 s[6:7], 0
.LBB7_2201:
	s_andn2_b64 vcc, exec, s[6:7]
	s_cbranch_vccnz .LBB7_2221
; %bb.2202:
	s_cmp_lt_i32 s16, 2
	s_cbranch_scc1 .LBB7_2206
; %bb.2203:
	s_cmp_lt_i32 s16, 3
	s_cbranch_scc1 .LBB7_2207
; %bb.2204:
	s_cmp_gt_i32 s16, 3
	s_cbranch_scc0 .LBB7_2208
; %bb.2205:
	global_load_dwordx2 v[17:18], v[19:20], off
	s_mov_b64 s[6:7], 0
	s_branch .LBB7_2209
.LBB7_2206:
	s_mov_b64 s[6:7], -1
                                        ; implicit-def: $vgpr17
	s_branch .LBB7_2215
.LBB7_2207:
	s_mov_b64 s[6:7], -1
                                        ; implicit-def: $vgpr17
	s_branch .LBB7_2212
.LBB7_2208:
	s_mov_b64 s[6:7], -1
                                        ; implicit-def: $vgpr17
.LBB7_2209:
	s_andn2_b64 vcc, exec, s[6:7]
	s_cbranch_vccnz .LBB7_2211
; %bb.2210:
	global_load_dword v17, v[19:20], off
.LBB7_2211:
	s_mov_b64 s[6:7], 0
.LBB7_2212:
	s_andn2_b64 vcc, exec, s[6:7]
	s_cbranch_vccnz .LBB7_2214
; %bb.2213:
	global_load_ushort v17, v[19:20], off
.LBB7_2214:
	s_mov_b64 s[6:7], 0
.LBB7_2215:
	s_andn2_b64 vcc, exec, s[6:7]
	s_cbranch_vccnz .LBB7_2221
; %bb.2216:
	s_cmp_gt_i32 s16, 0
	s_cbranch_scc0 .LBB7_2218
; %bb.2217:
	global_load_ubyte v17, v[19:20], off
	s_mov_b64 s[6:7], 0
	s_branch .LBB7_2219
.LBB7_2218:
	s_mov_b64 s[6:7], -1
                                        ; implicit-def: $vgpr17
.LBB7_2219:
	s_andn2_b64 vcc, exec, s[6:7]
	s_cbranch_vccnz .LBB7_2221
; %bb.2220:
	global_load_ubyte v17, v[19:20], off
.LBB7_2221:
	s_mov_b64 s[18:19], -1
.LBB7_2222:
	s_andn2_b64 vcc, exec, s[18:19]
	s_cbranch_vccnz .LBB7_3036
; %bb.2223:
	v_mov_b32_e32 v1, s1
	s_waitcnt vmcnt(0)
	v_add_co_u32_e32 v18, vcc, s0, v16
	s_cmp_lt_i32 s23, 11
	v_addc_co_u32_e32 v19, vcc, 0, v1, vcc
	s_cbranch_scc1 .LBB7_2230
; %bb.2224:
	s_and_b32 s24, 0xffff, s23
	s_cmp_gt_i32 s24, 25
	s_mov_b64 s[16:17], 0
	s_cbranch_scc0 .LBB7_2231
; %bb.2225:
	s_cmp_gt_i32 s24, 28
	s_cbranch_scc0 .LBB7_2232
; %bb.2226:
	s_cmp_gt_i32 s24, 43
	;; [unrolled: 3-line block ×3, first 2 shown]
	s_cbranch_scc0 .LBB7_2235
; %bb.2228:
	s_cmp_eq_u32 s24, 46
	s_mov_b64 s[20:21], 0
	s_cbranch_scc0 .LBB7_2238
; %bb.2229:
	global_load_dword v1, v[18:19], off
	s_mov_b32 s6, 0x2f800000
	s_mov_b32 s7, 0xcf800000
	s_mov_b64 s[18:19], -1
	s_waitcnt vmcnt(0)
	v_lshlrev_b32_e32 v1, 16, v1
	v_trunc_f32_e32 v1, v1
	v_mul_f32_e64 v3, |v1|, s6
	v_floor_f32_e32 v3, v3
	v_fma_f32 v3, v3, s7, |v1|
	v_cvt_u32_f32_e32 v3, v3
	v_ashrrev_i32_e32 v1, 31, v1
	s_mov_b64 s[6:7], 0
	v_xor_b32_e32 v3, v3, v1
	v_sub_u32_e32 v15, v3, v1
	s_branch .LBB7_2239
.LBB7_2230:
	s_mov_b64 s[6:7], -1
	s_mov_b64 s[18:19], 0
                                        ; implicit-def: $vgpr15
	s_branch .LBB7_2301
.LBB7_2231:
	s_mov_b64 s[20:21], -1
	s_mov_b64 s[18:19], 0
	s_mov_b64 s[6:7], 0
                                        ; implicit-def: $vgpr15
	s_branch .LBB7_2266
.LBB7_2232:
	s_mov_b64 s[20:21], -1
	s_mov_b64 s[18:19], 0
	s_mov_b64 s[6:7], 0
                                        ; implicit-def: $vgpr15
	s_branch .LBB7_2249
.LBB7_2233:
	s_mov_b64 s[20:21], -1
	s_mov_b64 s[18:19], 0
	s_mov_b64 s[6:7], 0
                                        ; implicit-def: $vgpr15
	s_branch .LBB7_2244
.LBB7_2234:
	s_trap 2
	s_or_b64 s[4:5], s[4:5], exec
	s_cbranch_execz .LBB7_2171
	s_branch .LBB7_2172
.LBB7_2235:
	s_mov_b64 s[20:21], -1
	s_mov_b64 s[18:19], 0
	s_mov_b64 s[6:7], 0
                                        ; implicit-def: $vgpr15
	s_branch .LBB7_2239
.LBB7_2236:
	s_andn2_saveexec_b64 s[68:69], s[68:69]
	s_cbranch_execz .LBB7_1095
.LBB7_2237:
	v_add_f32_e32 v2, 0x42800000, v3
	v_and_b32_e32 v2, 0xff, v2
	v_cmp_ne_u32_e32 vcc, 0, v2
	s_andn2_b64 s[66:67], s[66:67], exec
	s_and_b64 s[76:77], vcc, exec
	s_or_b64 s[66:67], s[66:67], s[76:77]
	s_or_b64 exec, exec, s[68:69]
	v_mov_b32_e32 v4, 0
	s_and_saveexec_b64 s[68:69], s[66:67]
	s_cbranch_execnz .LBB7_1096
	s_branch .LBB7_1097
.LBB7_2238:
	s_mov_b64 s[6:7], -1
                                        ; implicit-def: $vgpr15
	s_mov_b64 s[18:19], 0
.LBB7_2239:
	s_and_b64 vcc, exec, s[20:21]
	s_cbranch_vccz .LBB7_2243
; %bb.2240:
	s_cmp_eq_u32 s24, 44
	s_cbranch_scc0 .LBB7_2242
; %bb.2241:
	global_load_ubyte v1, v[18:19], off
	s_mov_b32 s6, 0x2f800000
	s_mov_b32 s7, 0xcf800000
	s_mov_b64 s[18:19], -1
	s_waitcnt vmcnt(0)
	v_lshlrev_b32_e32 v3, 23, v1
	v_trunc_f32_e32 v3, v3
	v_mul_f32_e64 v5, |v3|, s6
	v_floor_f32_e32 v5, v5
	v_fma_f32 v5, v5, s7, |v3|
	v_cvt_u32_f32_e32 v5, v5
	v_ashrrev_i32_e32 v3, 31, v3
	v_cmp_ne_u32_e32 vcc, 0, v1
	s_mov_b64 s[6:7], 0
	v_xor_b32_e32 v5, v5, v3
	v_sub_u32_e32 v3, v5, v3
	v_cndmask_b32_e32 v15, 0, v3, vcc
	s_branch .LBB7_2243
.LBB7_2242:
	s_mov_b64 s[6:7], -1
                                        ; implicit-def: $vgpr15
.LBB7_2243:
	s_mov_b64 s[20:21], 0
.LBB7_2244:
	s_and_b64 vcc, exec, s[20:21]
	s_cbranch_vccz .LBB7_2248
; %bb.2245:
	s_cmp_eq_u32 s24, 29
	s_cbranch_scc0 .LBB7_2247
; %bb.2246:
	global_load_dwordx2 v[15:16], v[18:19], off
	s_mov_b64 s[6:7], 0
	s_mov_b64 s[18:19], -1
	s_branch .LBB7_2248
.LBB7_2247:
	s_mov_b64 s[6:7], -1
                                        ; implicit-def: $vgpr15
.LBB7_2248:
	s_mov_b64 s[20:21], 0
.LBB7_2249:
	s_and_b64 vcc, exec, s[20:21]
	s_cbranch_vccz .LBB7_2265
; %bb.2250:
	s_cmp_lt_i32 s24, 27
	s_cbranch_scc1 .LBB7_2253
; %bb.2251:
	s_cmp_gt_i32 s24, 27
	s_cbranch_scc0 .LBB7_2254
; %bb.2252:
	global_load_dword v15, v[18:19], off
	s_mov_b64 s[18:19], 0
	s_branch .LBB7_2255
.LBB7_2253:
	s_mov_b64 s[18:19], -1
                                        ; implicit-def: $vgpr15
	s_branch .LBB7_2258
.LBB7_2254:
	s_mov_b64 s[18:19], -1
                                        ; implicit-def: $vgpr15
.LBB7_2255:
	s_andn2_b64 vcc, exec, s[18:19]
	s_cbranch_vccnz .LBB7_2257
; %bb.2256:
	global_load_ushort v15, v[18:19], off
.LBB7_2257:
	s_mov_b64 s[18:19], 0
.LBB7_2258:
	s_andn2_b64 vcc, exec, s[18:19]
	s_cbranch_vccnz .LBB7_2264
; %bb.2259:
	global_load_ubyte v1, v[18:19], off
	s_movk_i32 s18, 0x7f
	s_mov_b64 s[20:21], 0
	s_waitcnt vmcnt(0)
	v_cmp_lt_i16_e32 vcc, s18, v1
	s_and_saveexec_b64 s[18:19], vcc
	s_xor_b64 s[18:19], exec, s[18:19]
	s_cbranch_execz .LBB7_2276
; %bb.2260:
	s_movk_i32 s20, 0x80
	v_cmp_ne_u16_e32 vcc, s20, v1
	s_and_b64 s[20:21], vcc, exec
	s_andn2_saveexec_b64 s[18:19], s[18:19]
	s_cbranch_execnz .LBB7_2277
.LBB7_2261:
	s_or_b64 exec, exec, s[18:19]
	v_mov_b32_e32 v15, 0
	s_and_saveexec_b64 s[18:19], s[20:21]
	s_cbranch_execz .LBB7_2263
.LBB7_2262:
	v_lshlrev_b32_e32 v3, 24, v1
	v_and_b32_e32 v1, 0xffff, v1
	v_and_b32_e32 v5, 7, v1
	v_ffbh_u32_e32 v12, v5
	v_min_u32_e32 v12, 32, v12
	v_subrev_u32_e32 v15, 28, v12
	v_bfe_u32 v8, v1, 3, 4
	v_lshlrev_b32_e32 v1, v15, v1
	v_sub_u32_e32 v12, 29, v12
	v_and_b32_e32 v1, 7, v1
	v_cmp_eq_u32_e32 vcc, 0, v8
	v_cndmask_b32_e32 v8, v8, v12, vcc
	v_cndmask_b32_e32 v1, v5, v1, vcc
	v_mov_b32_e32 v5, 0x3b800000
	v_lshlrev_b32_e32 v1, 20, v1
	v_and_b32_e32 v3, 0x80000000, v3
	v_lshl_add_u32 v5, v8, 23, v5
	v_or3_b32 v1, v3, v5, v1
	v_trunc_f32_e32 v1, v1
	s_mov_b32 s20, 0x2f800000
	v_mul_f32_e64 v3, |v1|, s20
	v_floor_f32_e32 v3, v3
	s_mov_b32 s20, 0xcf800000
	v_fma_f32 v3, v3, s20, |v1|
	v_cvt_u32_f32_e32 v3, v3
	v_ashrrev_i32_e32 v1, 31, v1
	v_xor_b32_e32 v3, v3, v1
	v_sub_u32_e32 v15, v3, v1
.LBB7_2263:
	s_or_b64 exec, exec, s[18:19]
.LBB7_2264:
	s_mov_b64 s[18:19], -1
.LBB7_2265:
	s_mov_b64 s[20:21], 0
.LBB7_2266:
	s_and_b64 vcc, exec, s[20:21]
	s_cbranch_vccz .LBB7_2297
; %bb.2267:
	s_cmp_gt_i32 s24, 22
	s_cbranch_scc0 .LBB7_2275
; %bb.2268:
	s_cmp_lt_i32 s24, 24
	s_cbranch_scc1 .LBB7_2278
; %bb.2269:
	s_cmp_gt_i32 s24, 24
	s_cbranch_scc0 .LBB7_2279
; %bb.2270:
	global_load_ubyte v1, v[18:19], off
	s_movk_i32 s16, 0x7f
	s_mov_b64 s[18:19], 0
	s_waitcnt vmcnt(0)
	v_cmp_lt_i16_e32 vcc, s16, v1
	s_and_saveexec_b64 s[16:17], vcc
	s_xor_b64 s[16:17], exec, s[16:17]
	s_cbranch_execz .LBB7_2291
; %bb.2271:
	s_movk_i32 s18, 0x80
	v_cmp_ne_u16_e32 vcc, s18, v1
	s_and_b64 s[18:19], vcc, exec
	s_andn2_saveexec_b64 s[16:17], s[16:17]
	s_cbranch_execnz .LBB7_2292
.LBB7_2272:
	s_or_b64 exec, exec, s[16:17]
	v_mov_b32_e32 v15, 0
	s_and_saveexec_b64 s[16:17], s[18:19]
	s_cbranch_execz .LBB7_2274
.LBB7_2273:
	v_lshlrev_b32_e32 v3, 24, v1
	v_and_b32_e32 v1, 0xffff, v1
	v_and_b32_e32 v5, 3, v1
	v_ffbh_u32_e32 v12, v5
	v_min_u32_e32 v12, 32, v12
	v_subrev_u32_e32 v15, 29, v12
	v_bfe_u32 v8, v1, 2, 5
	v_lshlrev_b32_e32 v1, v15, v1
	v_sub_u32_e32 v12, 30, v12
	v_and_b32_e32 v1, 3, v1
	v_cmp_eq_u32_e32 vcc, 0, v8
	v_cndmask_b32_e32 v8, v8, v12, vcc
	v_cndmask_b32_e32 v1, v5, v1, vcc
	v_mov_b32_e32 v5, 0x37800000
	v_lshlrev_b32_e32 v1, 21, v1
	v_and_b32_e32 v3, 0x80000000, v3
	v_lshl_add_u32 v5, v8, 23, v5
	v_or3_b32 v1, v3, v5, v1
	v_trunc_f32_e32 v1, v1
	s_mov_b32 s18, 0x2f800000
	v_mul_f32_e64 v3, |v1|, s18
	v_floor_f32_e32 v3, v3
	s_mov_b32 s18, 0xcf800000
	v_fma_f32 v3, v3, s18, |v1|
	v_cvt_u32_f32_e32 v3, v3
	v_ashrrev_i32_e32 v1, 31, v1
	v_xor_b32_e32 v3, v3, v1
	v_sub_u32_e32 v15, v3, v1
.LBB7_2274:
	s_or_b64 exec, exec, s[16:17]
	s_mov_b64 s[16:17], 0
	s_branch .LBB7_2280
.LBB7_2275:
	s_mov_b64 s[16:17], -1
                                        ; implicit-def: $vgpr15
	s_branch .LBB7_2286
.LBB7_2276:
	s_andn2_saveexec_b64 s[18:19], s[18:19]
	s_cbranch_execz .LBB7_2261
.LBB7_2277:
	v_cmp_ne_u16_e32 vcc, 0, v1
	s_andn2_b64 s[20:21], s[20:21], exec
	s_and_b64 s[26:27], vcc, exec
	s_or_b64 s[20:21], s[20:21], s[26:27]
	s_or_b64 exec, exec, s[18:19]
	v_mov_b32_e32 v15, 0
	s_and_saveexec_b64 s[18:19], s[20:21]
	s_cbranch_execnz .LBB7_2262
	s_branch .LBB7_2263
.LBB7_2278:
	s_mov_b64 s[16:17], -1
                                        ; implicit-def: $vgpr15
	s_branch .LBB7_2283
.LBB7_2279:
	s_mov_b64 s[16:17], -1
                                        ; implicit-def: $vgpr15
.LBB7_2280:
	s_and_b64 vcc, exec, s[16:17]
	s_cbranch_vccz .LBB7_2282
; %bb.2281:
	global_load_ubyte v1, v[18:19], off
	s_mov_b32 s16, 0x7f800000
	s_brev_b32 s17, 1
	s_mov_b32 s18, 0x2f800000
	s_waitcnt vmcnt(0)
	v_lshlrev_b32_e32 v1, 24, v1
	v_and_b32_e32 v3, 0x7f000000, v1
	v_ffbh_u32_e32 v5, v3
	v_min_u32_e32 v5, 32, v5
	v_sub_u32_e64 v5, v5, 4 clamp
	v_lshlrev_b32_e32 v12, v5, v3
	v_lshlrev_b32_e32 v5, 23, v5
	v_lshrrev_b32_e32 v12, 4, v12
	v_add_u32_e32 v8, 0x1000000, v3
	v_sub_u32_e32 v5, v12, v5
	v_ashrrev_i32_e32 v8, 8, v8
	v_add_u32_e32 v5, 0x3c000000, v5
	v_and_or_b32 v5, v8, s16, v5
	v_cmp_ne_u32_e32 vcc, 0, v3
	v_cndmask_b32_e32 v3, 0, v5, vcc
	v_and_or_b32 v1, v1, s17, v3
	v_trunc_f32_e32 v1, v1
	v_mul_f32_e64 v3, |v1|, s18
	v_floor_f32_e32 v3, v3
	s_mov_b32 s16, 0xcf800000
	v_fma_f32 v3, v3, s16, |v1|
	v_cvt_u32_f32_e32 v3, v3
	v_ashrrev_i32_e32 v1, 31, v1
	v_xor_b32_e32 v3, v3, v1
	v_sub_u32_e32 v15, v3, v1
.LBB7_2282:
	s_mov_b64 s[16:17], 0
.LBB7_2283:
	s_andn2_b64 vcc, exec, s[16:17]
	s_cbranch_vccnz .LBB7_2285
; %bb.2284:
	global_load_ubyte v1, v[18:19], off
	s_movk_i32 s16, 0x7f00
	s_brev_b32 s17, 16
	s_brev_b32 s18, 1
	s_mov_b32 s19, 0x2f800000
	s_waitcnt vmcnt(0)
	v_lshlrev_b16_e32 v3, 8, v1
	v_lshlrev_b32_e32 v1, 25, v1
	v_lshrrev_b32_e32 v5, 4, v1
	v_and_or_b32 v8, v3, s16, 0.5
	v_or_b32_e32 v5, 0x70000000, v5
	v_add_f32_e32 v8, -0.5, v8
	v_mul_f32_e32 v5, 0x7800000, v5
	v_cmp_gt_u32_e32 vcc, s17, v1
	v_bfe_i32 v3, v3, 0, 16
	v_cndmask_b32_e32 v1, v5, v8, vcc
	v_and_or_b32 v1, v3, s18, v1
	v_trunc_f32_e32 v1, v1
	v_mul_f32_e64 v3, |v1|, s19
	v_floor_f32_e32 v3, v3
	s_mov_b32 s16, 0xcf800000
	v_fma_f32 v3, v3, s16, |v1|
	v_cvt_u32_f32_e32 v3, v3
	v_ashrrev_i32_e32 v1, 31, v1
	v_xor_b32_e32 v3, v3, v1
	v_sub_u32_e32 v15, v3, v1
.LBB7_2285:
	s_mov_b64 s[16:17], 0
	s_mov_b64 s[18:19], -1
.LBB7_2286:
	s_andn2_b64 vcc, exec, s[16:17]
	s_mov_b64 s[16:17], 0
	s_cbranch_vccnz .LBB7_2297
; %bb.2287:
	s_cmp_gt_i32 s24, 14
	s_cbranch_scc0 .LBB7_2290
; %bb.2288:
	s_cmp_eq_u32 s24, 15
	s_cbranch_scc0 .LBB7_2293
; %bb.2289:
	global_load_ushort v1, v[18:19], off
	s_mov_b32 s6, 0x2f800000
	s_mov_b32 s7, 0xcf800000
	s_mov_b64 s[18:19], -1
	s_waitcnt vmcnt(0)
	v_lshlrev_b32_e32 v1, 16, v1
	v_trunc_f32_e32 v1, v1
	v_mul_f32_e64 v3, |v1|, s6
	v_floor_f32_e32 v3, v3
	v_fma_f32 v3, v3, s7, |v1|
	v_cvt_u32_f32_e32 v3, v3
	v_ashrrev_i32_e32 v1, 31, v1
	s_mov_b64 s[6:7], 0
	v_xor_b32_e32 v3, v3, v1
	v_sub_u32_e32 v15, v3, v1
	s_branch .LBB7_2294
.LBB7_2290:
	s_mov_b64 s[20:21], -1
                                        ; implicit-def: $vgpr15
	s_branch .LBB7_2295
.LBB7_2291:
	s_andn2_saveexec_b64 s[16:17], s[16:17]
	s_cbranch_execz .LBB7_2272
.LBB7_2292:
	v_cmp_ne_u16_e32 vcc, 0, v1
	s_andn2_b64 s[18:19], s[18:19], exec
	s_and_b64 s[20:21], vcc, exec
	s_or_b64 s[18:19], s[18:19], s[20:21]
	s_or_b64 exec, exec, s[16:17]
	v_mov_b32_e32 v15, 0
	s_and_saveexec_b64 s[16:17], s[18:19]
	s_cbranch_execnz .LBB7_2273
	s_branch .LBB7_2274
.LBB7_2293:
	s_mov_b64 s[6:7], -1
                                        ; implicit-def: $vgpr15
.LBB7_2294:
	s_mov_b64 s[20:21], 0
.LBB7_2295:
	s_and_b64 vcc, exec, s[20:21]
	s_cbranch_vccz .LBB7_2297
; %bb.2296:
	s_cmp_lg_u32 s24, 11
	s_mov_b64 s[16:17], -1
	s_cselect_b64 s[6:7], -1, 0
.LBB7_2297:
	s_and_b64 vcc, exec, s[6:7]
	s_cbranch_vccnz .LBB7_2362
; %bb.2298:
	s_andn2_b64 vcc, exec, s[16:17]
	s_cbranch_vccnz .LBB7_2300
.LBB7_2299:
	global_load_ubyte v1, v[18:19], off
	s_mov_b64 s[18:19], -1
	s_waitcnt vmcnt(0)
	v_cmp_ne_u16_e32 vcc, 0, v1
	v_cndmask_b32_e64 v15, 0, 1, vcc
.LBB7_2300:
	s_mov_b64 s[6:7], 0
.LBB7_2301:
	s_and_b64 vcc, exec, s[6:7]
	s_cbranch_vccz .LBB7_2350
; %bb.2302:
	s_and_b32 s16, 0xffff, s23
	s_cmp_lt_i32 s16, 5
	s_cbranch_scc1 .LBB7_2307
; %bb.2303:
	s_cmp_lt_i32 s16, 8
	s_cbranch_scc1 .LBB7_2308
; %bb.2304:
	s_cmp_lt_i32 s16, 9
	s_cbranch_scc1 .LBB7_2309
; %bb.2305:
	s_cmp_gt_i32 s16, 9
	s_cbranch_scc0 .LBB7_2310
; %bb.2306:
	global_load_dwordx2 v[15:16], v[18:19], off
	s_movk_i32 s6, 0xffe0
	s_waitcnt vmcnt(0)
	v_trunc_f64_e32 v[15:16], v[15:16]
	v_ldexp_f64 v[20:21], v[15:16], s6
	s_mov_b32 s6, 0
	s_mov_b32 s7, 0xc1f00000
	v_floor_f64_e32 v[20:21], v[20:21]
	v_fma_f64 v[15:16], v[20:21], s[6:7], v[15:16]
	s_mov_b64 s[6:7], 0
	v_cvt_u32_f64_e32 v15, v[15:16]
	s_branch .LBB7_2311
.LBB7_2307:
	s_mov_b64 s[6:7], -1
                                        ; implicit-def: $vgpr15
	s_branch .LBB7_2329
.LBB7_2308:
	s_mov_b64 s[6:7], -1
                                        ; implicit-def: $vgpr15
	s_branch .LBB7_2317
.LBB7_2309:
	s_mov_b64 s[6:7], -1
                                        ; implicit-def: $vgpr15
	s_branch .LBB7_2314
.LBB7_2310:
	s_mov_b64 s[6:7], -1
                                        ; implicit-def: $vgpr15
.LBB7_2311:
	s_andn2_b64 vcc, exec, s[6:7]
	s_cbranch_vccnz .LBB7_2313
; %bb.2312:
	global_load_dword v1, v[18:19], off
	s_mov_b32 s6, 0x2f800000
	s_waitcnt vmcnt(0)
	v_trunc_f32_e32 v1, v1
	v_mul_f32_e64 v3, |v1|, s6
	v_floor_f32_e32 v3, v3
	s_mov_b32 s6, 0xcf800000
	v_fma_f32 v3, v3, s6, |v1|
	v_cvt_u32_f32_e32 v3, v3
	v_ashrrev_i32_e32 v1, 31, v1
	v_xor_b32_e32 v3, v3, v1
	v_sub_u32_e32 v15, v3, v1
.LBB7_2313:
	s_mov_b64 s[6:7], 0
.LBB7_2314:
	s_andn2_b64 vcc, exec, s[6:7]
	s_cbranch_vccnz .LBB7_2316
; %bb.2315:
	global_load_dword v1, v[18:19], off
	s_waitcnt vmcnt(0)
	v_cvt_f32_f16_e32 v1, v1
	v_cvt_i32_f32_e32 v15, v1
.LBB7_2316:
	s_mov_b64 s[6:7], 0
.LBB7_2317:
	s_andn2_b64 vcc, exec, s[6:7]
	s_cbranch_vccnz .LBB7_2328
; %bb.2318:
	s_cmp_lt_i32 s16, 6
	s_cbranch_scc1 .LBB7_2321
; %bb.2319:
	s_cmp_gt_i32 s16, 6
	s_cbranch_scc0 .LBB7_2322
; %bb.2320:
	global_load_dwordx2 v[15:16], v[18:19], off
	s_movk_i32 s6, 0xffe0
	s_waitcnt vmcnt(0)
	v_trunc_f64_e32 v[15:16], v[15:16]
	v_ldexp_f64 v[20:21], v[15:16], s6
	s_mov_b32 s6, 0
	s_mov_b32 s7, 0xc1f00000
	v_floor_f64_e32 v[20:21], v[20:21]
	v_fma_f64 v[15:16], v[20:21], s[6:7], v[15:16]
	s_mov_b64 s[6:7], 0
	v_cvt_u32_f64_e32 v15, v[15:16]
	s_branch .LBB7_2323
.LBB7_2321:
	s_mov_b64 s[6:7], -1
                                        ; implicit-def: $vgpr15
	s_branch .LBB7_2326
.LBB7_2322:
	s_mov_b64 s[6:7], -1
                                        ; implicit-def: $vgpr15
.LBB7_2323:
	s_andn2_b64 vcc, exec, s[6:7]
	s_cbranch_vccnz .LBB7_2325
; %bb.2324:
	global_load_dword v1, v[18:19], off
	s_mov_b32 s6, 0x2f800000
	s_waitcnt vmcnt(0)
	v_trunc_f32_e32 v1, v1
	v_mul_f32_e64 v3, |v1|, s6
	v_floor_f32_e32 v3, v3
	s_mov_b32 s6, 0xcf800000
	v_fma_f32 v3, v3, s6, |v1|
	v_cvt_u32_f32_e32 v3, v3
	v_ashrrev_i32_e32 v1, 31, v1
	v_xor_b32_e32 v3, v3, v1
	v_sub_u32_e32 v15, v3, v1
.LBB7_2325:
	s_mov_b64 s[6:7], 0
.LBB7_2326:
	s_andn2_b64 vcc, exec, s[6:7]
	s_cbranch_vccnz .LBB7_2328
; %bb.2327:
	global_load_ushort v1, v[18:19], off
	s_waitcnt vmcnt(0)
	v_cvt_f32_f16_e32 v1, v1
	v_cvt_i32_f32_e32 v15, v1
.LBB7_2328:
	s_mov_b64 s[6:7], 0
.LBB7_2329:
	s_andn2_b64 vcc, exec, s[6:7]
	s_cbranch_vccnz .LBB7_2349
; %bb.2330:
	s_cmp_lt_i32 s16, 2
	s_cbranch_scc1 .LBB7_2334
; %bb.2331:
	s_cmp_lt_i32 s16, 3
	s_cbranch_scc1 .LBB7_2335
; %bb.2332:
	s_cmp_gt_i32 s16, 3
	s_cbranch_scc0 .LBB7_2336
; %bb.2333:
	global_load_dwordx2 v[15:16], v[18:19], off
	s_mov_b64 s[6:7], 0
	s_branch .LBB7_2337
.LBB7_2334:
	s_mov_b64 s[6:7], -1
                                        ; implicit-def: $vgpr15
	s_branch .LBB7_2343
.LBB7_2335:
	s_mov_b64 s[6:7], -1
                                        ; implicit-def: $vgpr15
	s_branch .LBB7_2340
.LBB7_2336:
	s_mov_b64 s[6:7], -1
                                        ; implicit-def: $vgpr15
.LBB7_2337:
	s_andn2_b64 vcc, exec, s[6:7]
	s_cbranch_vccnz .LBB7_2339
; %bb.2338:
	global_load_dword v15, v[18:19], off
.LBB7_2339:
	s_mov_b64 s[6:7], 0
.LBB7_2340:
	s_andn2_b64 vcc, exec, s[6:7]
	s_cbranch_vccnz .LBB7_2342
; %bb.2341:
	global_load_ushort v15, v[18:19], off
.LBB7_2342:
	s_mov_b64 s[6:7], 0
.LBB7_2343:
	s_andn2_b64 vcc, exec, s[6:7]
	s_cbranch_vccnz .LBB7_2349
; %bb.2344:
	s_cmp_gt_i32 s16, 0
	s_cbranch_scc0 .LBB7_2346
; %bb.2345:
	global_load_ubyte v15, v[18:19], off
	s_mov_b64 s[6:7], 0
	s_branch .LBB7_2347
.LBB7_2346:
	s_mov_b64 s[6:7], -1
                                        ; implicit-def: $vgpr15
.LBB7_2347:
	s_andn2_b64 vcc, exec, s[6:7]
	s_cbranch_vccnz .LBB7_2349
; %bb.2348:
	global_load_ubyte v15, v[18:19], off
.LBB7_2349:
	s_mov_b64 s[18:19], -1
.LBB7_2350:
	s_andn2_b64 vcc, exec, s[18:19]
	s_cbranch_vccnz .LBB7_3036
; %bb.2351:
	v_mov_b32_e32 v1, s11
	v_add_co_u32_e32 v18, vcc, s10, v13
	s_cmp_lt_i32 s22, 11
	v_addc_co_u32_e32 v19, vcc, 0, v1, vcc
	s_cbranch_scc1 .LBB7_2358
; %bb.2352:
	s_and_b32 s20, 0xffff, s22
	s_cmp_gt_i32 s20, 25
	s_mov_b64 s[10:11], 0
	s_cbranch_scc0 .LBB7_2359
; %bb.2353:
	s_cmp_gt_i32 s20, 28
	s_cbranch_scc0 .LBB7_2360
; %bb.2354:
	s_cmp_gt_i32 s20, 43
	;; [unrolled: 3-line block ×3, first 2 shown]
	s_cbranch_scc0 .LBB7_2363
; %bb.2356:
	s_cmp_eq_u32 s20, 46
	s_mov_b64 s[18:19], 0
	s_cbranch_scc0 .LBB7_2364
; %bb.2357:
	global_load_dword v1, v[18:19], off
	s_mov_b32 s6, 0x2f800000
	s_mov_b32 s7, 0xcf800000
	s_mov_b64 s[16:17], -1
	s_waitcnt vmcnt(0)
	v_lshlrev_b32_e32 v1, 16, v1
	v_trunc_f32_e32 v1, v1
	v_mul_f32_e64 v3, |v1|, s6
	v_floor_f32_e32 v3, v3
	v_fma_f32 v3, v3, s7, |v1|
	v_cvt_u32_f32_e32 v3, v3
	v_ashrrev_i32_e32 v1, 31, v1
	s_mov_b64 s[6:7], 0
	v_xor_b32_e32 v3, v3, v1
	v_sub_u32_e32 v12, v3, v1
	s_branch .LBB7_2365
.LBB7_2358:
	s_mov_b64 s[6:7], -1
	s_mov_b64 s[16:17], 0
                                        ; implicit-def: $vgpr12
	s_branch .LBB7_2427
.LBB7_2359:
	s_mov_b64 s[18:19], -1
	s_mov_b64 s[16:17], 0
	s_mov_b64 s[6:7], 0
                                        ; implicit-def: $vgpr12
	s_branch .LBB7_2392
.LBB7_2360:
	s_mov_b64 s[18:19], -1
	s_mov_b64 s[16:17], 0
	s_mov_b64 s[6:7], 0
                                        ; implicit-def: $vgpr12
	s_branch .LBB7_2375
.LBB7_2361:
	s_mov_b64 s[18:19], -1
	s_mov_b64 s[16:17], 0
	s_mov_b64 s[6:7], 0
                                        ; implicit-def: $vgpr12
	s_branch .LBB7_2370
.LBB7_2362:
	s_trap 2
	s_or_b64 s[4:5], s[4:5], exec
	s_cbranch_execz .LBB7_2299
	s_branch .LBB7_2300
.LBB7_2363:
	s_mov_b64 s[18:19], -1
	s_mov_b64 s[16:17], 0
	s_mov_b64 s[6:7], 0
                                        ; implicit-def: $vgpr12
	s_branch .LBB7_2365
.LBB7_2364:
	s_mov_b64 s[6:7], -1
                                        ; implicit-def: $vgpr12
	s_mov_b64 s[16:17], 0
.LBB7_2365:
	s_and_b64 vcc, exec, s[18:19]
	s_cbranch_vccz .LBB7_2369
; %bb.2366:
	s_cmp_eq_u32 s20, 44
	s_cbranch_scc0 .LBB7_2368
; %bb.2367:
	global_load_ubyte v1, v[18:19], off
	s_mov_b32 s6, 0x2f800000
	s_mov_b32 s7, 0xcf800000
	s_mov_b64 s[16:17], -1
	s_waitcnt vmcnt(0)
	v_lshlrev_b32_e32 v3, 23, v1
	v_trunc_f32_e32 v3, v3
	v_mul_f32_e64 v5, |v3|, s6
	v_floor_f32_e32 v5, v5
	v_fma_f32 v5, v5, s7, |v3|
	v_cvt_u32_f32_e32 v5, v5
	v_ashrrev_i32_e32 v3, 31, v3
	v_cmp_ne_u32_e32 vcc, 0, v1
	s_mov_b64 s[6:7], 0
	v_xor_b32_e32 v5, v5, v3
	v_sub_u32_e32 v3, v5, v3
	v_cndmask_b32_e32 v12, 0, v3, vcc
	s_branch .LBB7_2369
.LBB7_2368:
	s_mov_b64 s[6:7], -1
                                        ; implicit-def: $vgpr12
.LBB7_2369:
	s_mov_b64 s[18:19], 0
.LBB7_2370:
	s_and_b64 vcc, exec, s[18:19]
	s_cbranch_vccz .LBB7_2374
; %bb.2371:
	s_cmp_eq_u32 s20, 29
	s_cbranch_scc0 .LBB7_2373
; %bb.2372:
	global_load_dwordx2 v[12:13], v[18:19], off
	s_mov_b64 s[6:7], 0
	s_mov_b64 s[16:17], -1
	s_branch .LBB7_2374
.LBB7_2373:
	s_mov_b64 s[6:7], -1
                                        ; implicit-def: $vgpr12
.LBB7_2374:
	s_mov_b64 s[18:19], 0
.LBB7_2375:
	s_and_b64 vcc, exec, s[18:19]
	s_cbranch_vccz .LBB7_2391
; %bb.2376:
	s_cmp_lt_i32 s20, 27
	s_cbranch_scc1 .LBB7_2379
; %bb.2377:
	s_cmp_gt_i32 s20, 27
	s_cbranch_scc0 .LBB7_2380
; %bb.2378:
	global_load_dword v12, v[18:19], off
	s_mov_b64 s[16:17], 0
	s_branch .LBB7_2381
.LBB7_2379:
	s_mov_b64 s[16:17], -1
                                        ; implicit-def: $vgpr12
	s_branch .LBB7_2384
.LBB7_2380:
	s_mov_b64 s[16:17], -1
                                        ; implicit-def: $vgpr12
.LBB7_2381:
	s_andn2_b64 vcc, exec, s[16:17]
	s_cbranch_vccnz .LBB7_2383
; %bb.2382:
	global_load_ushort v12, v[18:19], off
.LBB7_2383:
	s_mov_b64 s[16:17], 0
.LBB7_2384:
	s_andn2_b64 vcc, exec, s[16:17]
	s_cbranch_vccnz .LBB7_2390
; %bb.2385:
	global_load_ubyte v1, v[18:19], off
	s_movk_i32 s16, 0x7f
	s_mov_b64 s[18:19], 0
	s_waitcnt vmcnt(0)
	v_cmp_lt_i16_e32 vcc, s16, v1
	s_and_saveexec_b64 s[16:17], vcc
	s_xor_b64 s[16:17], exec, s[16:17]
	s_cbranch_execz .LBB7_2402
; %bb.2386:
	s_movk_i32 s18, 0x80
	v_cmp_ne_u16_e32 vcc, s18, v1
	s_and_b64 s[18:19], vcc, exec
	s_andn2_saveexec_b64 s[16:17], s[16:17]
	s_cbranch_execnz .LBB7_2403
.LBB7_2387:
	s_or_b64 exec, exec, s[16:17]
	v_mov_b32_e32 v12, 0
	s_and_saveexec_b64 s[16:17], s[18:19]
	s_cbranch_execz .LBB7_2389
.LBB7_2388:
	v_lshlrev_b32_e32 v3, 24, v1
	v_and_b32_e32 v1, 0xffff, v1
	v_and_b32_e32 v5, 7, v1
	v_ffbh_u32_e32 v12, v5
	v_min_u32_e32 v12, 32, v12
	v_subrev_u32_e32 v13, 28, v12
	v_bfe_u32 v8, v1, 3, 4
	v_lshlrev_b32_e32 v1, v13, v1
	v_sub_u32_e32 v12, 29, v12
	v_and_b32_e32 v1, 7, v1
	v_cmp_eq_u32_e32 vcc, 0, v8
	v_cndmask_b32_e32 v8, v8, v12, vcc
	v_cndmask_b32_e32 v1, v5, v1, vcc
	v_mov_b32_e32 v5, 0x3b800000
	v_lshlrev_b32_e32 v1, 20, v1
	v_and_b32_e32 v3, 0x80000000, v3
	v_lshl_add_u32 v5, v8, 23, v5
	v_or3_b32 v1, v3, v5, v1
	v_trunc_f32_e32 v1, v1
	s_mov_b32 s18, 0x2f800000
	v_mul_f32_e64 v3, |v1|, s18
	v_floor_f32_e32 v3, v3
	s_mov_b32 s18, 0xcf800000
	v_fma_f32 v3, v3, s18, |v1|
	v_cvt_u32_f32_e32 v3, v3
	v_ashrrev_i32_e32 v1, 31, v1
	v_xor_b32_e32 v3, v3, v1
	v_sub_u32_e32 v12, v3, v1
.LBB7_2389:
	s_or_b64 exec, exec, s[16:17]
.LBB7_2390:
	s_mov_b64 s[16:17], -1
.LBB7_2391:
	s_mov_b64 s[18:19], 0
.LBB7_2392:
	s_and_b64 vcc, exec, s[18:19]
	s_cbranch_vccz .LBB7_2423
; %bb.2393:
	s_cmp_gt_i32 s20, 22
	s_cbranch_scc0 .LBB7_2401
; %bb.2394:
	s_cmp_lt_i32 s20, 24
	s_cbranch_scc1 .LBB7_2404
; %bb.2395:
	s_cmp_gt_i32 s20, 24
	s_cbranch_scc0 .LBB7_2405
; %bb.2396:
	global_load_ubyte v1, v[18:19], off
	s_movk_i32 s10, 0x7f
	s_mov_b64 s[16:17], 0
	s_waitcnt vmcnt(0)
	v_cmp_lt_i16_e32 vcc, s10, v1
	s_and_saveexec_b64 s[10:11], vcc
	s_xor_b64 s[10:11], exec, s[10:11]
	s_cbranch_execz .LBB7_2417
; %bb.2397:
	s_movk_i32 s16, 0x80
	v_cmp_ne_u16_e32 vcc, s16, v1
	s_and_b64 s[16:17], vcc, exec
	s_andn2_saveexec_b64 s[10:11], s[10:11]
	s_cbranch_execnz .LBB7_2418
.LBB7_2398:
	s_or_b64 exec, exec, s[10:11]
	v_mov_b32_e32 v12, 0
	s_and_saveexec_b64 s[10:11], s[16:17]
	s_cbranch_execz .LBB7_2400
.LBB7_2399:
	v_lshlrev_b32_e32 v3, 24, v1
	v_and_b32_e32 v1, 0xffff, v1
	v_and_b32_e32 v5, 3, v1
	v_ffbh_u32_e32 v12, v5
	v_min_u32_e32 v12, 32, v12
	v_subrev_u32_e32 v13, 29, v12
	v_bfe_u32 v8, v1, 2, 5
	v_lshlrev_b32_e32 v1, v13, v1
	v_sub_u32_e32 v12, 30, v12
	v_and_b32_e32 v1, 3, v1
	v_cmp_eq_u32_e32 vcc, 0, v8
	v_cndmask_b32_e32 v8, v8, v12, vcc
	v_cndmask_b32_e32 v1, v5, v1, vcc
	v_mov_b32_e32 v5, 0x37800000
	v_lshlrev_b32_e32 v1, 21, v1
	v_and_b32_e32 v3, 0x80000000, v3
	v_lshl_add_u32 v5, v8, 23, v5
	v_or3_b32 v1, v3, v5, v1
	v_trunc_f32_e32 v1, v1
	s_mov_b32 s16, 0x2f800000
	v_mul_f32_e64 v3, |v1|, s16
	v_floor_f32_e32 v3, v3
	s_mov_b32 s16, 0xcf800000
	v_fma_f32 v3, v3, s16, |v1|
	v_cvt_u32_f32_e32 v3, v3
	v_ashrrev_i32_e32 v1, 31, v1
	v_xor_b32_e32 v3, v3, v1
	v_sub_u32_e32 v12, v3, v1
.LBB7_2400:
	s_or_b64 exec, exec, s[10:11]
	s_mov_b64 s[10:11], 0
	s_branch .LBB7_2406
.LBB7_2401:
	s_mov_b64 s[10:11], -1
                                        ; implicit-def: $vgpr12
	s_branch .LBB7_2412
.LBB7_2402:
	s_andn2_saveexec_b64 s[16:17], s[16:17]
	s_cbranch_execz .LBB7_2387
.LBB7_2403:
	v_cmp_ne_u16_e32 vcc, 0, v1
	s_andn2_b64 s[18:19], s[18:19], exec
	s_and_b64 s[24:25], vcc, exec
	s_or_b64 s[18:19], s[18:19], s[24:25]
	s_or_b64 exec, exec, s[16:17]
	v_mov_b32_e32 v12, 0
	s_and_saveexec_b64 s[16:17], s[18:19]
	s_cbranch_execnz .LBB7_2388
	s_branch .LBB7_2389
.LBB7_2404:
	s_mov_b64 s[10:11], -1
                                        ; implicit-def: $vgpr12
	s_branch .LBB7_2409
.LBB7_2405:
	s_mov_b64 s[10:11], -1
                                        ; implicit-def: $vgpr12
.LBB7_2406:
	s_and_b64 vcc, exec, s[10:11]
	s_cbranch_vccz .LBB7_2408
; %bb.2407:
	global_load_ubyte v1, v[18:19], off
	s_mov_b32 s10, 0x7f800000
	s_brev_b32 s11, 1
	s_mov_b32 s16, 0x2f800000
	s_waitcnt vmcnt(0)
	v_lshlrev_b32_e32 v1, 24, v1
	v_and_b32_e32 v3, 0x7f000000, v1
	v_ffbh_u32_e32 v5, v3
	v_min_u32_e32 v5, 32, v5
	v_sub_u32_e64 v5, v5, 4 clamp
	v_lshlrev_b32_e32 v12, v5, v3
	v_lshlrev_b32_e32 v5, 23, v5
	v_lshrrev_b32_e32 v12, 4, v12
	v_add_u32_e32 v8, 0x1000000, v3
	v_sub_u32_e32 v5, v12, v5
	v_ashrrev_i32_e32 v8, 8, v8
	v_add_u32_e32 v5, 0x3c000000, v5
	v_and_or_b32 v5, v8, s10, v5
	v_cmp_ne_u32_e32 vcc, 0, v3
	v_cndmask_b32_e32 v3, 0, v5, vcc
	v_and_or_b32 v1, v1, s11, v3
	v_trunc_f32_e32 v1, v1
	v_mul_f32_e64 v3, |v1|, s16
	v_floor_f32_e32 v3, v3
	s_mov_b32 s10, 0xcf800000
	v_fma_f32 v3, v3, s10, |v1|
	v_cvt_u32_f32_e32 v3, v3
	v_ashrrev_i32_e32 v1, 31, v1
	v_xor_b32_e32 v3, v3, v1
	v_sub_u32_e32 v12, v3, v1
.LBB7_2408:
	s_mov_b64 s[10:11], 0
.LBB7_2409:
	s_andn2_b64 vcc, exec, s[10:11]
	s_cbranch_vccnz .LBB7_2411
; %bb.2410:
	global_load_ubyte v1, v[18:19], off
	s_movk_i32 s10, 0x7f00
	s_brev_b32 s11, 16
	s_brev_b32 s16, 1
	s_mov_b32 s17, 0x2f800000
	s_waitcnt vmcnt(0)
	v_lshlrev_b16_e32 v3, 8, v1
	v_lshlrev_b32_e32 v1, 25, v1
	v_lshrrev_b32_e32 v5, 4, v1
	v_and_or_b32 v8, v3, s10, 0.5
	v_or_b32_e32 v5, 0x70000000, v5
	v_add_f32_e32 v8, -0.5, v8
	v_mul_f32_e32 v5, 0x7800000, v5
	v_cmp_gt_u32_e32 vcc, s11, v1
	v_bfe_i32 v3, v3, 0, 16
	v_cndmask_b32_e32 v1, v5, v8, vcc
	v_and_or_b32 v1, v3, s16, v1
	v_trunc_f32_e32 v1, v1
	v_mul_f32_e64 v3, |v1|, s17
	v_floor_f32_e32 v3, v3
	s_mov_b32 s10, 0xcf800000
	v_fma_f32 v3, v3, s10, |v1|
	v_cvt_u32_f32_e32 v3, v3
	v_ashrrev_i32_e32 v1, 31, v1
	v_xor_b32_e32 v3, v3, v1
	v_sub_u32_e32 v12, v3, v1
.LBB7_2411:
	s_mov_b64 s[10:11], 0
	s_mov_b64 s[16:17], -1
.LBB7_2412:
	s_andn2_b64 vcc, exec, s[10:11]
	s_mov_b64 s[10:11], 0
	s_cbranch_vccnz .LBB7_2423
; %bb.2413:
	s_cmp_gt_i32 s20, 14
	s_cbranch_scc0 .LBB7_2416
; %bb.2414:
	s_cmp_eq_u32 s20, 15
	s_cbranch_scc0 .LBB7_2419
; %bb.2415:
	global_load_ushort v1, v[18:19], off
	s_mov_b32 s6, 0x2f800000
	s_mov_b32 s7, 0xcf800000
	s_mov_b64 s[16:17], -1
	s_waitcnt vmcnt(0)
	v_lshlrev_b32_e32 v1, 16, v1
	v_trunc_f32_e32 v1, v1
	v_mul_f32_e64 v3, |v1|, s6
	v_floor_f32_e32 v3, v3
	v_fma_f32 v3, v3, s7, |v1|
	v_cvt_u32_f32_e32 v3, v3
	v_ashrrev_i32_e32 v1, 31, v1
	s_mov_b64 s[6:7], 0
	v_xor_b32_e32 v3, v3, v1
	v_sub_u32_e32 v12, v3, v1
	s_branch .LBB7_2420
.LBB7_2416:
	s_mov_b64 s[18:19], -1
                                        ; implicit-def: $vgpr12
	s_branch .LBB7_2421
.LBB7_2417:
	s_andn2_saveexec_b64 s[10:11], s[10:11]
	s_cbranch_execz .LBB7_2398
.LBB7_2418:
	v_cmp_ne_u16_e32 vcc, 0, v1
	s_andn2_b64 s[16:17], s[16:17], exec
	s_and_b64 s[18:19], vcc, exec
	s_or_b64 s[16:17], s[16:17], s[18:19]
	s_or_b64 exec, exec, s[10:11]
	v_mov_b32_e32 v12, 0
	s_and_saveexec_b64 s[10:11], s[16:17]
	s_cbranch_execnz .LBB7_2399
	s_branch .LBB7_2400
.LBB7_2419:
	s_mov_b64 s[6:7], -1
                                        ; implicit-def: $vgpr12
.LBB7_2420:
	s_mov_b64 s[18:19], 0
.LBB7_2421:
	s_and_b64 vcc, exec, s[18:19]
	s_cbranch_vccz .LBB7_2423
; %bb.2422:
	s_cmp_lg_u32 s20, 11
	s_mov_b64 s[10:11], -1
	s_cselect_b64 s[6:7], -1, 0
.LBB7_2423:
	s_and_b64 vcc, exec, s[6:7]
	s_cbranch_vccnz .LBB7_2488
; %bb.2424:
	s_andn2_b64 vcc, exec, s[10:11]
	s_cbranch_vccnz .LBB7_2426
.LBB7_2425:
	global_load_ubyte v1, v[18:19], off
	s_mov_b64 s[16:17], -1
	s_waitcnt vmcnt(0)
	v_cmp_ne_u16_e32 vcc, 0, v1
	v_cndmask_b32_e64 v12, 0, 1, vcc
.LBB7_2426:
	s_mov_b64 s[6:7], 0
.LBB7_2427:
	s_and_b64 vcc, exec, s[6:7]
	s_cbranch_vccz .LBB7_2476
; %bb.2428:
	s_and_b32 s10, 0xffff, s22
	s_cmp_lt_i32 s10, 5
	s_cbranch_scc1 .LBB7_2433
; %bb.2429:
	s_cmp_lt_i32 s10, 8
	s_cbranch_scc1 .LBB7_2434
; %bb.2430:
	;; [unrolled: 3-line block ×3, first 2 shown]
	s_cmp_gt_i32 s10, 9
	s_cbranch_scc0 .LBB7_2436
; %bb.2432:
	global_load_dwordx2 v[12:13], v[18:19], off
	s_movk_i32 s6, 0xffe0
	s_waitcnt vmcnt(0)
	v_trunc_f64_e32 v[12:13], v[12:13]
	v_ldexp_f64 v[20:21], v[12:13], s6
	s_mov_b32 s6, 0
	s_mov_b32 s7, 0xc1f00000
	v_floor_f64_e32 v[20:21], v[20:21]
	v_fma_f64 v[12:13], v[20:21], s[6:7], v[12:13]
	s_mov_b64 s[6:7], 0
	v_cvt_u32_f64_e32 v12, v[12:13]
	s_branch .LBB7_2437
.LBB7_2433:
	s_mov_b64 s[6:7], -1
                                        ; implicit-def: $vgpr12
	s_branch .LBB7_2455
.LBB7_2434:
	s_mov_b64 s[6:7], -1
                                        ; implicit-def: $vgpr12
	s_branch .LBB7_2443
.LBB7_2435:
	s_mov_b64 s[6:7], -1
                                        ; implicit-def: $vgpr12
	s_branch .LBB7_2440
.LBB7_2436:
	s_mov_b64 s[6:7], -1
                                        ; implicit-def: $vgpr12
.LBB7_2437:
	s_andn2_b64 vcc, exec, s[6:7]
	s_cbranch_vccnz .LBB7_2439
; %bb.2438:
	global_load_dword v1, v[18:19], off
	s_mov_b32 s6, 0x2f800000
	s_waitcnt vmcnt(0)
	v_trunc_f32_e32 v1, v1
	v_mul_f32_e64 v3, |v1|, s6
	v_floor_f32_e32 v3, v3
	s_mov_b32 s6, 0xcf800000
	v_fma_f32 v3, v3, s6, |v1|
	v_cvt_u32_f32_e32 v3, v3
	v_ashrrev_i32_e32 v1, 31, v1
	v_xor_b32_e32 v3, v3, v1
	v_sub_u32_e32 v12, v3, v1
.LBB7_2439:
	s_mov_b64 s[6:7], 0
.LBB7_2440:
	s_andn2_b64 vcc, exec, s[6:7]
	s_cbranch_vccnz .LBB7_2442
; %bb.2441:
	global_load_dword v1, v[18:19], off
	s_waitcnt vmcnt(0)
	v_cvt_f32_f16_e32 v1, v1
	v_cvt_i32_f32_e32 v12, v1
.LBB7_2442:
	s_mov_b64 s[6:7], 0
.LBB7_2443:
	s_andn2_b64 vcc, exec, s[6:7]
	s_cbranch_vccnz .LBB7_2454
; %bb.2444:
	s_cmp_lt_i32 s10, 6
	s_cbranch_scc1 .LBB7_2447
; %bb.2445:
	s_cmp_gt_i32 s10, 6
	s_cbranch_scc0 .LBB7_2448
; %bb.2446:
	global_load_dwordx2 v[12:13], v[18:19], off
	s_movk_i32 s6, 0xffe0
	s_waitcnt vmcnt(0)
	v_trunc_f64_e32 v[12:13], v[12:13]
	v_ldexp_f64 v[20:21], v[12:13], s6
	s_mov_b32 s6, 0
	s_mov_b32 s7, 0xc1f00000
	v_floor_f64_e32 v[20:21], v[20:21]
	v_fma_f64 v[12:13], v[20:21], s[6:7], v[12:13]
	s_mov_b64 s[6:7], 0
	v_cvt_u32_f64_e32 v12, v[12:13]
	s_branch .LBB7_2449
.LBB7_2447:
	s_mov_b64 s[6:7], -1
                                        ; implicit-def: $vgpr12
	s_branch .LBB7_2452
.LBB7_2448:
	s_mov_b64 s[6:7], -1
                                        ; implicit-def: $vgpr12
.LBB7_2449:
	s_andn2_b64 vcc, exec, s[6:7]
	s_cbranch_vccnz .LBB7_2451
; %bb.2450:
	global_load_dword v1, v[18:19], off
	s_mov_b32 s6, 0x2f800000
	s_waitcnt vmcnt(0)
	v_trunc_f32_e32 v1, v1
	v_mul_f32_e64 v3, |v1|, s6
	v_floor_f32_e32 v3, v3
	s_mov_b32 s6, 0xcf800000
	v_fma_f32 v3, v3, s6, |v1|
	v_cvt_u32_f32_e32 v3, v3
	v_ashrrev_i32_e32 v1, 31, v1
	v_xor_b32_e32 v3, v3, v1
	v_sub_u32_e32 v12, v3, v1
.LBB7_2451:
	s_mov_b64 s[6:7], 0
.LBB7_2452:
	s_andn2_b64 vcc, exec, s[6:7]
	s_cbranch_vccnz .LBB7_2454
; %bb.2453:
	global_load_ushort v1, v[18:19], off
	s_waitcnt vmcnt(0)
	v_cvt_f32_f16_e32 v1, v1
	v_cvt_i32_f32_e32 v12, v1
.LBB7_2454:
	s_mov_b64 s[6:7], 0
.LBB7_2455:
	s_andn2_b64 vcc, exec, s[6:7]
	s_cbranch_vccnz .LBB7_2475
; %bb.2456:
	s_cmp_lt_i32 s10, 2
	s_cbranch_scc1 .LBB7_2460
; %bb.2457:
	s_cmp_lt_i32 s10, 3
	s_cbranch_scc1 .LBB7_2461
; %bb.2458:
	s_cmp_gt_i32 s10, 3
	s_cbranch_scc0 .LBB7_2462
; %bb.2459:
	global_load_dwordx2 v[12:13], v[18:19], off
	s_mov_b64 s[6:7], 0
	s_branch .LBB7_2463
.LBB7_2460:
	s_mov_b64 s[6:7], -1
                                        ; implicit-def: $vgpr12
	s_branch .LBB7_2469
.LBB7_2461:
	s_mov_b64 s[6:7], -1
                                        ; implicit-def: $vgpr12
	s_branch .LBB7_2466
.LBB7_2462:
	s_mov_b64 s[6:7], -1
                                        ; implicit-def: $vgpr12
.LBB7_2463:
	s_andn2_b64 vcc, exec, s[6:7]
	s_cbranch_vccnz .LBB7_2465
; %bb.2464:
	global_load_dword v12, v[18:19], off
.LBB7_2465:
	s_mov_b64 s[6:7], 0
.LBB7_2466:
	s_andn2_b64 vcc, exec, s[6:7]
	s_cbranch_vccnz .LBB7_2468
; %bb.2467:
	global_load_ushort v12, v[18:19], off
.LBB7_2468:
	s_mov_b64 s[6:7], 0
.LBB7_2469:
	s_andn2_b64 vcc, exec, s[6:7]
	s_cbranch_vccnz .LBB7_2475
; %bb.2470:
	s_cmp_gt_i32 s10, 0
	s_cbranch_scc0 .LBB7_2472
; %bb.2471:
	global_load_ubyte v12, v[18:19], off
	s_mov_b64 s[6:7], 0
	s_branch .LBB7_2473
.LBB7_2472:
	s_mov_b64 s[6:7], -1
                                        ; implicit-def: $vgpr12
.LBB7_2473:
	s_andn2_b64 vcc, exec, s[6:7]
	s_cbranch_vccnz .LBB7_2475
; %bb.2474:
	global_load_ubyte v12, v[18:19], off
.LBB7_2475:
	s_mov_b64 s[16:17], -1
.LBB7_2476:
	s_andn2_b64 vcc, exec, s[16:17]
	s_cbranch_vccnz .LBB7_3036
; %bb.2477:
	v_mov_b32_e32 v1, s1
	v_add_co_u32_e32 v18, vcc, s0, v9
	s_cmp_lt_i32 s23, 11
	v_addc_co_u32_e32 v19, vcc, 0, v1, vcc
	s_cbranch_scc1 .LBB7_2484
; %bb.2478:
	s_and_b32 s18, 0xffff, s23
	s_cmp_gt_i32 s18, 25
	s_mov_b64 s[6:7], 0
	s_cbranch_scc0 .LBB7_2485
; %bb.2479:
	s_cmp_gt_i32 s18, 28
	s_cbranch_scc0 .LBB7_2486
; %bb.2480:
	s_cmp_gt_i32 s18, 43
	;; [unrolled: 3-line block ×3, first 2 shown]
	s_cbranch_scc0 .LBB7_2489
; %bb.2482:
	s_cmp_eq_u32 s18, 46
	s_mov_b64 s[16:17], 0
	s_cbranch_scc0 .LBB7_2490
; %bb.2483:
	global_load_dword v1, v[18:19], off
	s_mov_b32 s0, 0x2f800000
	s_mov_b32 s1, 0xcf800000
	s_mov_b64 s[10:11], -1
	s_waitcnt vmcnt(0)
	v_lshlrev_b32_e32 v1, 16, v1
	v_trunc_f32_e32 v1, v1
	v_mul_f32_e64 v3, |v1|, s0
	v_floor_f32_e32 v3, v3
	v_fma_f32 v3, v3, s1, |v1|
	v_cvt_u32_f32_e32 v3, v3
	v_ashrrev_i32_e32 v1, 31, v1
	s_mov_b64 s[0:1], 0
	v_xor_b32_e32 v3, v3, v1
	v_sub_u32_e32 v8, v3, v1
	s_branch .LBB7_2491
.LBB7_2484:
	s_mov_b64 s[0:1], -1
	s_mov_b64 s[10:11], 0
                                        ; implicit-def: $vgpr8
	s_branch .LBB7_2553
.LBB7_2485:
	s_mov_b64 s[16:17], -1
	s_mov_b64 s[10:11], 0
	s_mov_b64 s[0:1], 0
                                        ; implicit-def: $vgpr8
	s_branch .LBB7_2518
.LBB7_2486:
	s_mov_b64 s[16:17], -1
	s_mov_b64 s[10:11], 0
	s_mov_b64 s[0:1], 0
                                        ; implicit-def: $vgpr8
	s_branch .LBB7_2501
.LBB7_2487:
	s_mov_b64 s[16:17], -1
	s_mov_b64 s[10:11], 0
	s_mov_b64 s[0:1], 0
                                        ; implicit-def: $vgpr8
	s_branch .LBB7_2496
.LBB7_2488:
	s_trap 2
	s_or_b64 s[4:5], s[4:5], exec
	s_cbranch_execz .LBB7_2425
	s_branch .LBB7_2426
.LBB7_2489:
	s_mov_b64 s[16:17], -1
	s_mov_b64 s[10:11], 0
	s_mov_b64 s[0:1], 0
                                        ; implicit-def: $vgpr8
	s_branch .LBB7_2491
.LBB7_2490:
	s_mov_b64 s[0:1], -1
                                        ; implicit-def: $vgpr8
	s_mov_b64 s[10:11], 0
.LBB7_2491:
	s_and_b64 vcc, exec, s[16:17]
	s_cbranch_vccz .LBB7_2495
; %bb.2492:
	s_cmp_eq_u32 s18, 44
	s_cbranch_scc0 .LBB7_2494
; %bb.2493:
	global_load_ubyte v1, v[18:19], off
	s_mov_b32 s0, 0x2f800000
	s_mov_b32 s1, 0xcf800000
	s_mov_b64 s[10:11], -1
	s_waitcnt vmcnt(0)
	v_lshlrev_b32_e32 v3, 23, v1
	v_trunc_f32_e32 v3, v3
	v_mul_f32_e64 v5, |v3|, s0
	v_floor_f32_e32 v5, v5
	v_fma_f32 v5, v5, s1, |v3|
	v_cvt_u32_f32_e32 v5, v5
	v_ashrrev_i32_e32 v3, 31, v3
	v_cmp_ne_u32_e32 vcc, 0, v1
	s_mov_b64 s[0:1], 0
	v_xor_b32_e32 v5, v5, v3
	v_sub_u32_e32 v3, v5, v3
	v_cndmask_b32_e32 v8, 0, v3, vcc
	s_branch .LBB7_2495
.LBB7_2494:
	s_mov_b64 s[0:1], -1
                                        ; implicit-def: $vgpr8
.LBB7_2495:
	s_mov_b64 s[16:17], 0
.LBB7_2496:
	s_and_b64 vcc, exec, s[16:17]
	s_cbranch_vccz .LBB7_2500
; %bb.2497:
	s_cmp_eq_u32 s18, 29
	s_cbranch_scc0 .LBB7_2499
; %bb.2498:
	global_load_dwordx2 v[8:9], v[18:19], off
	s_mov_b64 s[0:1], 0
	s_mov_b64 s[10:11], -1
	s_branch .LBB7_2500
.LBB7_2499:
	s_mov_b64 s[0:1], -1
                                        ; implicit-def: $vgpr8
.LBB7_2500:
	s_mov_b64 s[16:17], 0
.LBB7_2501:
	s_and_b64 vcc, exec, s[16:17]
	s_cbranch_vccz .LBB7_2517
; %bb.2502:
	s_cmp_lt_i32 s18, 27
	s_cbranch_scc1 .LBB7_2505
; %bb.2503:
	s_cmp_gt_i32 s18, 27
	s_cbranch_scc0 .LBB7_2506
; %bb.2504:
	global_load_dword v8, v[18:19], off
	s_mov_b64 s[10:11], 0
	s_branch .LBB7_2507
.LBB7_2505:
	s_mov_b64 s[10:11], -1
                                        ; implicit-def: $vgpr8
	s_branch .LBB7_2510
.LBB7_2506:
	s_mov_b64 s[10:11], -1
                                        ; implicit-def: $vgpr8
.LBB7_2507:
	s_andn2_b64 vcc, exec, s[10:11]
	s_cbranch_vccnz .LBB7_2509
; %bb.2508:
	global_load_ushort v8, v[18:19], off
.LBB7_2509:
	s_mov_b64 s[10:11], 0
.LBB7_2510:
	s_andn2_b64 vcc, exec, s[10:11]
	s_cbranch_vccnz .LBB7_2516
; %bb.2511:
	global_load_ubyte v1, v[18:19], off
	s_movk_i32 s10, 0x7f
	s_mov_b64 s[16:17], 0
	s_waitcnt vmcnt(0)
	v_cmp_lt_i16_e32 vcc, s10, v1
	s_and_saveexec_b64 s[10:11], vcc
	s_xor_b64 s[10:11], exec, s[10:11]
	s_cbranch_execz .LBB7_2528
; %bb.2512:
	s_movk_i32 s16, 0x80
	v_cmp_ne_u16_e32 vcc, s16, v1
	s_and_b64 s[16:17], vcc, exec
	s_andn2_saveexec_b64 s[10:11], s[10:11]
	s_cbranch_execnz .LBB7_2529
.LBB7_2513:
	s_or_b64 exec, exec, s[10:11]
	v_mov_b32_e32 v8, 0
	s_and_saveexec_b64 s[10:11], s[16:17]
	s_cbranch_execz .LBB7_2515
.LBB7_2514:
	v_lshlrev_b32_e32 v3, 24, v1
	v_and_b32_e32 v1, 0xffff, v1
	v_and_b32_e32 v5, 7, v1
	v_ffbh_u32_e32 v9, v5
	v_min_u32_e32 v9, 32, v9
	v_subrev_u32_e32 v13, 28, v9
	v_bfe_u32 v8, v1, 3, 4
	v_lshlrev_b32_e32 v1, v13, v1
	v_sub_u32_e32 v9, 29, v9
	v_and_b32_e32 v1, 7, v1
	v_cmp_eq_u32_e32 vcc, 0, v8
	v_cndmask_b32_e32 v8, v8, v9, vcc
	v_cndmask_b32_e32 v1, v5, v1, vcc
	v_mov_b32_e32 v5, 0x3b800000
	v_lshlrev_b32_e32 v1, 20, v1
	v_and_b32_e32 v3, 0x80000000, v3
	v_lshl_add_u32 v5, v8, 23, v5
	v_or3_b32 v1, v3, v5, v1
	v_trunc_f32_e32 v1, v1
	s_mov_b32 s16, 0x2f800000
	v_mul_f32_e64 v3, |v1|, s16
	v_floor_f32_e32 v3, v3
	s_mov_b32 s16, 0xcf800000
	v_fma_f32 v3, v3, s16, |v1|
	v_cvt_u32_f32_e32 v3, v3
	v_ashrrev_i32_e32 v1, 31, v1
	v_xor_b32_e32 v3, v3, v1
	v_sub_u32_e32 v8, v3, v1
.LBB7_2515:
	s_or_b64 exec, exec, s[10:11]
.LBB7_2516:
	s_mov_b64 s[10:11], -1
.LBB7_2517:
	s_mov_b64 s[16:17], 0
.LBB7_2518:
	s_and_b64 vcc, exec, s[16:17]
	s_cbranch_vccz .LBB7_2549
; %bb.2519:
	s_cmp_gt_i32 s18, 22
	s_cbranch_scc0 .LBB7_2527
; %bb.2520:
	s_cmp_lt_i32 s18, 24
	s_cbranch_scc1 .LBB7_2530
; %bb.2521:
	s_cmp_gt_i32 s18, 24
	s_cbranch_scc0 .LBB7_2531
; %bb.2522:
	global_load_ubyte v1, v[18:19], off
	s_movk_i32 s6, 0x7f
	s_mov_b64 s[10:11], 0
	s_waitcnt vmcnt(0)
	v_cmp_lt_i16_e32 vcc, s6, v1
	s_and_saveexec_b64 s[6:7], vcc
	s_xor_b64 s[6:7], exec, s[6:7]
	s_cbranch_execz .LBB7_2543
; %bb.2523:
	s_movk_i32 s10, 0x80
	v_cmp_ne_u16_e32 vcc, s10, v1
	s_and_b64 s[10:11], vcc, exec
	s_andn2_saveexec_b64 s[6:7], s[6:7]
	s_cbranch_execnz .LBB7_2544
.LBB7_2524:
	s_or_b64 exec, exec, s[6:7]
	v_mov_b32_e32 v8, 0
	s_and_saveexec_b64 s[6:7], s[10:11]
	s_cbranch_execz .LBB7_2526
.LBB7_2525:
	v_lshlrev_b32_e32 v3, 24, v1
	v_and_b32_e32 v1, 0xffff, v1
	v_and_b32_e32 v5, 3, v1
	v_ffbh_u32_e32 v9, v5
	v_min_u32_e32 v9, 32, v9
	v_subrev_u32_e32 v13, 29, v9
	v_bfe_u32 v8, v1, 2, 5
	v_lshlrev_b32_e32 v1, v13, v1
	v_sub_u32_e32 v9, 30, v9
	v_and_b32_e32 v1, 3, v1
	v_cmp_eq_u32_e32 vcc, 0, v8
	v_cndmask_b32_e32 v8, v8, v9, vcc
	v_cndmask_b32_e32 v1, v5, v1, vcc
	v_mov_b32_e32 v5, 0x37800000
	v_lshlrev_b32_e32 v1, 21, v1
	v_and_b32_e32 v3, 0x80000000, v3
	v_lshl_add_u32 v5, v8, 23, v5
	v_or3_b32 v1, v3, v5, v1
	v_trunc_f32_e32 v1, v1
	s_mov_b32 s10, 0x2f800000
	v_mul_f32_e64 v3, |v1|, s10
	v_floor_f32_e32 v3, v3
	s_mov_b32 s10, 0xcf800000
	v_fma_f32 v3, v3, s10, |v1|
	v_cvt_u32_f32_e32 v3, v3
	v_ashrrev_i32_e32 v1, 31, v1
	v_xor_b32_e32 v3, v3, v1
	v_sub_u32_e32 v8, v3, v1
.LBB7_2526:
	s_or_b64 exec, exec, s[6:7]
	s_mov_b64 s[6:7], 0
	s_branch .LBB7_2532
.LBB7_2527:
	s_mov_b64 s[6:7], -1
                                        ; implicit-def: $vgpr8
	s_branch .LBB7_2538
.LBB7_2528:
	s_andn2_saveexec_b64 s[10:11], s[10:11]
	s_cbranch_execz .LBB7_2513
.LBB7_2529:
	v_cmp_ne_u16_e32 vcc, 0, v1
	s_andn2_b64 s[16:17], s[16:17], exec
	s_and_b64 s[20:21], vcc, exec
	s_or_b64 s[16:17], s[16:17], s[20:21]
	s_or_b64 exec, exec, s[10:11]
	v_mov_b32_e32 v8, 0
	s_and_saveexec_b64 s[10:11], s[16:17]
	s_cbranch_execnz .LBB7_2514
	s_branch .LBB7_2515
.LBB7_2530:
	s_mov_b64 s[6:7], -1
                                        ; implicit-def: $vgpr8
	s_branch .LBB7_2535
.LBB7_2531:
	s_mov_b64 s[6:7], -1
                                        ; implicit-def: $vgpr8
.LBB7_2532:
	s_and_b64 vcc, exec, s[6:7]
	s_cbranch_vccz .LBB7_2534
; %bb.2533:
	global_load_ubyte v1, v[18:19], off
	s_mov_b32 s6, 0x7f800000
	s_brev_b32 s7, 1
	s_mov_b32 s10, 0x2f800000
	s_waitcnt vmcnt(0)
	v_lshlrev_b32_e32 v1, 24, v1
	v_and_b32_e32 v3, 0x7f000000, v1
	v_ffbh_u32_e32 v5, v3
	v_min_u32_e32 v5, 32, v5
	v_sub_u32_e64 v5, v5, 4 clamp
	v_lshlrev_b32_e32 v9, v5, v3
	v_lshlrev_b32_e32 v5, 23, v5
	v_lshrrev_b32_e32 v9, 4, v9
	v_add_u32_e32 v8, 0x1000000, v3
	v_sub_u32_e32 v5, v9, v5
	v_ashrrev_i32_e32 v8, 8, v8
	v_add_u32_e32 v5, 0x3c000000, v5
	v_and_or_b32 v5, v8, s6, v5
	v_cmp_ne_u32_e32 vcc, 0, v3
	v_cndmask_b32_e32 v3, 0, v5, vcc
	v_and_or_b32 v1, v1, s7, v3
	v_trunc_f32_e32 v1, v1
	v_mul_f32_e64 v3, |v1|, s10
	v_floor_f32_e32 v3, v3
	s_mov_b32 s6, 0xcf800000
	v_fma_f32 v3, v3, s6, |v1|
	v_cvt_u32_f32_e32 v3, v3
	v_ashrrev_i32_e32 v1, 31, v1
	v_xor_b32_e32 v3, v3, v1
	v_sub_u32_e32 v8, v3, v1
.LBB7_2534:
	s_mov_b64 s[6:7], 0
.LBB7_2535:
	s_andn2_b64 vcc, exec, s[6:7]
	s_cbranch_vccnz .LBB7_2537
; %bb.2536:
	global_load_ubyte v1, v[18:19], off
	s_movk_i32 s6, 0x7f00
	s_brev_b32 s7, 16
	s_brev_b32 s10, 1
	s_mov_b32 s11, 0x2f800000
	s_waitcnt vmcnt(0)
	v_lshlrev_b16_e32 v3, 8, v1
	v_lshlrev_b32_e32 v1, 25, v1
	v_lshrrev_b32_e32 v5, 4, v1
	v_and_or_b32 v8, v3, s6, 0.5
	v_or_b32_e32 v5, 0x70000000, v5
	v_add_f32_e32 v8, -0.5, v8
	v_mul_f32_e32 v5, 0x7800000, v5
	v_cmp_gt_u32_e32 vcc, s7, v1
	v_bfe_i32 v3, v3, 0, 16
	v_cndmask_b32_e32 v1, v5, v8, vcc
	v_and_or_b32 v1, v3, s10, v1
	v_trunc_f32_e32 v1, v1
	v_mul_f32_e64 v3, |v1|, s11
	v_floor_f32_e32 v3, v3
	s_mov_b32 s6, 0xcf800000
	v_fma_f32 v3, v3, s6, |v1|
	v_cvt_u32_f32_e32 v3, v3
	v_ashrrev_i32_e32 v1, 31, v1
	v_xor_b32_e32 v3, v3, v1
	v_sub_u32_e32 v8, v3, v1
.LBB7_2537:
	s_mov_b64 s[6:7], 0
	s_mov_b64 s[10:11], -1
.LBB7_2538:
	s_andn2_b64 vcc, exec, s[6:7]
	s_mov_b64 s[6:7], 0
	s_cbranch_vccnz .LBB7_2549
; %bb.2539:
	s_cmp_gt_i32 s18, 14
	s_cbranch_scc0 .LBB7_2542
; %bb.2540:
	s_cmp_eq_u32 s18, 15
	s_cbranch_scc0 .LBB7_2545
; %bb.2541:
	global_load_ushort v1, v[18:19], off
	s_mov_b32 s0, 0x2f800000
	s_mov_b32 s1, 0xcf800000
	s_mov_b64 s[10:11], -1
	s_waitcnt vmcnt(0)
	v_lshlrev_b32_e32 v1, 16, v1
	v_trunc_f32_e32 v1, v1
	v_mul_f32_e64 v3, |v1|, s0
	v_floor_f32_e32 v3, v3
	v_fma_f32 v3, v3, s1, |v1|
	v_cvt_u32_f32_e32 v3, v3
	v_ashrrev_i32_e32 v1, 31, v1
	s_mov_b64 s[0:1], 0
	v_xor_b32_e32 v3, v3, v1
	v_sub_u32_e32 v8, v3, v1
	s_branch .LBB7_2546
.LBB7_2542:
	s_mov_b64 s[16:17], -1
                                        ; implicit-def: $vgpr8
	s_branch .LBB7_2547
.LBB7_2543:
	s_andn2_saveexec_b64 s[6:7], s[6:7]
	s_cbranch_execz .LBB7_2524
.LBB7_2544:
	v_cmp_ne_u16_e32 vcc, 0, v1
	s_andn2_b64 s[10:11], s[10:11], exec
	s_and_b64 s[16:17], vcc, exec
	s_or_b64 s[10:11], s[10:11], s[16:17]
	s_or_b64 exec, exec, s[6:7]
	v_mov_b32_e32 v8, 0
	s_and_saveexec_b64 s[6:7], s[10:11]
	s_cbranch_execnz .LBB7_2525
	s_branch .LBB7_2526
.LBB7_2545:
	s_mov_b64 s[0:1], -1
                                        ; implicit-def: $vgpr8
.LBB7_2546:
	s_mov_b64 s[16:17], 0
.LBB7_2547:
	s_and_b64 vcc, exec, s[16:17]
	s_cbranch_vccz .LBB7_2549
; %bb.2548:
	s_cmp_lg_u32 s18, 11
	s_mov_b64 s[6:7], -1
	s_cselect_b64 s[0:1], -1, 0
.LBB7_2549:
	s_and_b64 vcc, exec, s[0:1]
	s_cbranch_vccnz .LBB7_3082
; %bb.2550:
	s_andn2_b64 vcc, exec, s[6:7]
	s_cbranch_vccnz .LBB7_2552
.LBB7_2551:
	global_load_ubyte v1, v[18:19], off
	s_mov_b64 s[10:11], -1
	s_waitcnt vmcnt(0)
	v_cmp_ne_u16_e32 vcc, 0, v1
	v_cndmask_b32_e64 v8, 0, 1, vcc
.LBB7_2552:
	s_mov_b64 s[0:1], 0
.LBB7_2553:
	s_and_b64 vcc, exec, s[0:1]
	s_cbranch_vccz .LBB7_2602
; %bb.2554:
	s_and_b32 s6, 0xffff, s23
	s_cmp_lt_i32 s6, 5
	s_cbranch_scc1 .LBB7_2559
; %bb.2555:
	s_cmp_lt_i32 s6, 8
	s_cbranch_scc1 .LBB7_2560
; %bb.2556:
	s_cmp_lt_i32 s6, 9
	s_cbranch_scc1 .LBB7_2561
; %bb.2557:
	s_cmp_gt_i32 s6, 9
	s_cbranch_scc0 .LBB7_2562
; %bb.2558:
	global_load_dwordx2 v[8:9], v[18:19], off
	s_movk_i32 s0, 0xffe0
	s_waitcnt vmcnt(0)
	v_trunc_f64_e32 v[8:9], v[8:9]
	v_ldexp_f64 v[20:21], v[8:9], s0
	s_mov_b32 s0, 0
	s_mov_b32 s1, 0xc1f00000
	v_floor_f64_e32 v[20:21], v[20:21]
	v_fma_f64 v[8:9], v[20:21], s[0:1], v[8:9]
	s_mov_b64 s[0:1], 0
	v_cvt_u32_f64_e32 v8, v[8:9]
	s_branch .LBB7_2563
.LBB7_2559:
	s_mov_b64 s[0:1], -1
                                        ; implicit-def: $vgpr8
	s_branch .LBB7_2581
.LBB7_2560:
	s_mov_b64 s[0:1], -1
                                        ; implicit-def: $vgpr8
	s_branch .LBB7_2569
.LBB7_2561:
	s_mov_b64 s[0:1], -1
                                        ; implicit-def: $vgpr8
	s_branch .LBB7_2566
.LBB7_2562:
	s_mov_b64 s[0:1], -1
                                        ; implicit-def: $vgpr8
.LBB7_2563:
	s_andn2_b64 vcc, exec, s[0:1]
	s_cbranch_vccnz .LBB7_2565
; %bb.2564:
	global_load_dword v1, v[18:19], off
	s_mov_b32 s0, 0x2f800000
	s_waitcnt vmcnt(0)
	v_trunc_f32_e32 v1, v1
	v_mul_f32_e64 v3, |v1|, s0
	v_floor_f32_e32 v3, v3
	s_mov_b32 s0, 0xcf800000
	v_fma_f32 v3, v3, s0, |v1|
	v_cvt_u32_f32_e32 v3, v3
	v_ashrrev_i32_e32 v1, 31, v1
	v_xor_b32_e32 v3, v3, v1
	v_sub_u32_e32 v8, v3, v1
.LBB7_2565:
	s_mov_b64 s[0:1], 0
.LBB7_2566:
	s_andn2_b64 vcc, exec, s[0:1]
	s_cbranch_vccnz .LBB7_2568
; %bb.2567:
	global_load_dword v1, v[18:19], off
	s_waitcnt vmcnt(0)
	v_cvt_f32_f16_e32 v1, v1
	v_cvt_i32_f32_e32 v8, v1
.LBB7_2568:
	s_mov_b64 s[0:1], 0
.LBB7_2569:
	s_andn2_b64 vcc, exec, s[0:1]
	s_cbranch_vccnz .LBB7_2580
; %bb.2570:
	s_cmp_lt_i32 s6, 6
	s_cbranch_scc1 .LBB7_2573
; %bb.2571:
	s_cmp_gt_i32 s6, 6
	s_cbranch_scc0 .LBB7_2574
; %bb.2572:
	global_load_dwordx2 v[8:9], v[18:19], off
	s_movk_i32 s0, 0xffe0
	s_waitcnt vmcnt(0)
	v_trunc_f64_e32 v[8:9], v[8:9]
	v_ldexp_f64 v[20:21], v[8:9], s0
	s_mov_b32 s0, 0
	s_mov_b32 s1, 0xc1f00000
	v_floor_f64_e32 v[20:21], v[20:21]
	v_fma_f64 v[8:9], v[20:21], s[0:1], v[8:9]
	s_mov_b64 s[0:1], 0
	v_cvt_u32_f64_e32 v8, v[8:9]
	s_branch .LBB7_2575
.LBB7_2573:
	s_mov_b64 s[0:1], -1
                                        ; implicit-def: $vgpr8
	s_branch .LBB7_2578
.LBB7_2574:
	s_mov_b64 s[0:1], -1
                                        ; implicit-def: $vgpr8
.LBB7_2575:
	s_andn2_b64 vcc, exec, s[0:1]
	s_cbranch_vccnz .LBB7_2577
; %bb.2576:
	global_load_dword v1, v[18:19], off
	s_mov_b32 s0, 0x2f800000
	s_waitcnt vmcnt(0)
	v_trunc_f32_e32 v1, v1
	v_mul_f32_e64 v3, |v1|, s0
	v_floor_f32_e32 v3, v3
	s_mov_b32 s0, 0xcf800000
	v_fma_f32 v3, v3, s0, |v1|
	v_cvt_u32_f32_e32 v3, v3
	v_ashrrev_i32_e32 v1, 31, v1
	v_xor_b32_e32 v3, v3, v1
	v_sub_u32_e32 v8, v3, v1
.LBB7_2577:
	s_mov_b64 s[0:1], 0
.LBB7_2578:
	s_andn2_b64 vcc, exec, s[0:1]
	s_cbranch_vccnz .LBB7_2580
; %bb.2579:
	global_load_ushort v1, v[18:19], off
	s_waitcnt vmcnt(0)
	v_cvt_f32_f16_e32 v1, v1
	v_cvt_i32_f32_e32 v8, v1
.LBB7_2580:
	s_mov_b64 s[0:1], 0
.LBB7_2581:
	s_andn2_b64 vcc, exec, s[0:1]
	s_cbranch_vccnz .LBB7_2601
; %bb.2582:
	s_cmp_lt_i32 s6, 2
	s_cbranch_scc1 .LBB7_2586
; %bb.2583:
	s_cmp_lt_i32 s6, 3
	s_cbranch_scc1 .LBB7_2587
; %bb.2584:
	s_cmp_gt_i32 s6, 3
	s_cbranch_scc0 .LBB7_2588
; %bb.2585:
	global_load_dwordx2 v[8:9], v[18:19], off
	s_mov_b64 s[0:1], 0
	s_branch .LBB7_2589
.LBB7_2586:
	s_mov_b64 s[0:1], -1
                                        ; implicit-def: $vgpr8
	s_branch .LBB7_2595
.LBB7_2587:
	s_mov_b64 s[0:1], -1
                                        ; implicit-def: $vgpr8
	s_branch .LBB7_2592
.LBB7_2588:
	s_mov_b64 s[0:1], -1
                                        ; implicit-def: $vgpr8
.LBB7_2589:
	s_andn2_b64 vcc, exec, s[0:1]
	s_cbranch_vccnz .LBB7_2591
; %bb.2590:
	global_load_dword v8, v[18:19], off
.LBB7_2591:
	s_mov_b64 s[0:1], 0
.LBB7_2592:
	s_andn2_b64 vcc, exec, s[0:1]
	s_cbranch_vccnz .LBB7_2594
; %bb.2593:
	global_load_ushort v8, v[18:19], off
.LBB7_2594:
	s_mov_b64 s[0:1], 0
.LBB7_2595:
	s_andn2_b64 vcc, exec, s[0:1]
	s_cbranch_vccnz .LBB7_2601
; %bb.2596:
	s_cmp_gt_i32 s6, 0
	s_cbranch_scc0 .LBB7_2598
; %bb.2597:
	global_load_ubyte v8, v[18:19], off
	s_mov_b64 s[0:1], 0
	s_branch .LBB7_2599
.LBB7_2598:
	s_mov_b64 s[0:1], -1
                                        ; implicit-def: $vgpr8
.LBB7_2599:
	s_andn2_b64 vcc, exec, s[0:1]
	s_cbranch_vccnz .LBB7_2601
; %bb.2600:
	global_load_ubyte v8, v[18:19], off
.LBB7_2601:
	s_mov_b64 s[10:11], -1
.LBB7_2602:
	s_andn2_b64 vcc, exec, s[10:11]
	s_cbranch_vccnz .LBB7_3036
; %bb.2603:
	s_load_dwordx2 s[0:1], s[2:3], 0x1a0
	v_cmp_ne_u16_sdwa s[6:7], v7, v10 src0_sel:BYTE_0 src1_sel:BYTE_0
	v_mov_b32_e32 v1, s9
	v_add_co_u32_e32 v5, vcc, s8, v6
	s_waitcnt lgkmcnt(0)
	s_cmp_eq_u32 s0, 0
	s_cselect_b64 s[2:3], -1, 0
	s_and_b32 s22, s1, 0xff
	s_xor_b64 s[6:7], s[2:3], s[6:7]
	s_cmp_lt_i32 s22, 11
	v_addc_co_u32_e32 v6, vcc, 0, v1, vcc
	s_cbranch_scc1 .LBB7_2681
; %bb.2604:
	s_and_b32 s23, 0xffff, s22
	s_mov_b64 s[18:19], -1
	s_mov_b64 s[10:11], 0
	s_cmp_gt_i32 s23, 25
	s_mov_b64 s[16:17], 0
	s_mov_b64 s[0:1], 0
	s_cbranch_scc0 .LBB7_2637
; %bb.2605:
	s_cmp_gt_i32 s23, 28
	s_cbranch_scc0 .LBB7_2620
; %bb.2606:
	s_cmp_gt_i32 s23, 43
	;; [unrolled: 3-line block ×3, first 2 shown]
	s_cbranch_scc0 .LBB7_2610
; %bb.2608:
	s_mov_b64 s[0:1], -1
	s_mov_b64 s[18:19], 0
	s_cmp_eq_u32 s23, 46
	s_cbranch_scc0 .LBB7_2610
; %bb.2609:
	v_cndmask_b32_e64 v1, 0, 1.0, s[6:7]
	v_bfe_u32 v3, v1, 16, 1
	s_movk_i32 s0, 0x7fff
	v_add3_u32 v1, v1, v3, s0
	v_lshrrev_b32_e32 v1, 16, v1
	global_store_dword v[5:6], v1, off
	s_mov_b64 s[0:1], 0
	s_mov_b64 s[16:17], -1
.LBB7_2610:
	s_and_b64 vcc, exec, s[18:19]
	s_cbranch_vccz .LBB7_2615
; %bb.2611:
	s_cmp_eq_u32 s23, 44
	s_mov_b64 s[0:1], -1
	s_cbranch_scc0 .LBB7_2615
; %bb.2612:
	v_cndmask_b32_e64 v3, 0, 1.0, s[6:7]
	v_lshrrev_b32_e32 v1, 23, v3
	s_movk_i32 s0, 0xff
	v_cmp_ne_u32_e32 vcc, s0, v1
	v_mov_b32_e32 v7, 0xff
	s_and_saveexec_b64 s[16:17], vcc
; %bb.2613:
	s_mov_b32 s0, 0x3fffff
	v_and_b32_e32 v7, 0x400000, v3
	v_and_or_b32 v3, v3, s0, v1
	v_cmp_ne_u32_e32 vcc, 0, v7
	v_cmp_ne_u32_e64 s[0:1], 0, v3
	s_and_b64 s[0:1], vcc, s[0:1]
	v_cndmask_b32_e64 v3, 0, 1, s[0:1]
	v_add_u32_e32 v7, v1, v3
; %bb.2614:
	s_or_b64 exec, exec, s[16:17]
	s_mov_b64 s[0:1], 0
	s_mov_b64 s[16:17], -1
	global_store_byte v[5:6], v7, off
.LBB7_2615:
	s_mov_b64 s[18:19], 0
.LBB7_2616:
	s_and_b64 vcc, exec, s[18:19]
	s_cbranch_vccz .LBB7_2619
; %bb.2617:
	s_cmp_eq_u32 s23, 29
	s_mov_b64 s[0:1], -1
	s_cbranch_scc0 .LBB7_2619
; %bb.2618:
	s_mov_b32 s0, 0
	s_waitcnt vmcnt(0)
	v_cndmask_b32_e64 v9, 0, 1, s[6:7]
	v_mov_b32_e32 v10, s0
	global_store_dwordx2 v[5:6], v[9:10], off
	s_mov_b64 s[0:1], 0
	s_mov_b64 s[16:17], -1
.LBB7_2619:
	s_mov_b64 s[18:19], 0
.LBB7_2620:
	s_and_b64 vcc, exec, s[18:19]
	s_cbranch_vccz .LBB7_2636
; %bb.2621:
	s_cmp_lt_i32 s23, 27
	s_mov_b64 s[16:17], -1
	s_cbranch_scc1 .LBB7_2627
; %bb.2622:
	s_cmp_gt_i32 s23, 27
	s_cbranch_scc0 .LBB7_2624
; %bb.2623:
	v_cndmask_b32_e64 v1, 0, 1, s[6:7]
	s_mov_b64 s[16:17], 0
	global_store_dword v[5:6], v1, off
.LBB7_2624:
	s_andn2_b64 vcc, exec, s[16:17]
	s_cbranch_vccnz .LBB7_2626
; %bb.2625:
	v_cndmask_b32_e64 v1, 0, 1, s[6:7]
	global_store_short v[5:6], v1, off
.LBB7_2626:
	s_mov_b64 s[16:17], 0
.LBB7_2627:
	s_andn2_b64 vcc, exec, s[16:17]
	s_cbranch_vccnz .LBB7_2635
; %bb.2628:
	v_cndmask_b32_e64 v3, 0, 1.0, s[6:7]
	s_mov_b32 s16, 0x43800000
	v_cmp_gt_u32_e32 vcc, s16, v3
	v_mov_b32_e32 v7, 0x80
	s_and_saveexec_b64 s[16:17], vcc
	s_cbranch_execz .LBB7_2634
; %bb.2629:
	s_mov_b32 s18, 0x3bffffff
	v_cmp_lt_u32_e32 vcc, s18, v3
	s_mov_b64 s[18:19], 0
                                        ; implicit-def: $vgpr1
	s_and_saveexec_b64 s[20:21], vcc
	s_xor_b64 s[20:21], exec, s[20:21]
	s_cbranch_execz .LBB7_3083
; %bb.2630:
	v_bfe_u32 v1, v3, 20, 1
	s_mov_b32 s24, 0x487ffff
	v_add3_u32 v1, v3, v1, s24
	s_mov_b64 s[18:19], exec
	v_lshrrev_b32_e32 v1, 20, v1
                                        ; implicit-def: $vgpr3
	s_andn2_saveexec_b64 s[20:21], s[20:21]
	s_cbranch_execnz .LBB7_3084
.LBB7_2631:
	s_or_b64 exec, exec, s[20:21]
	v_mov_b32_e32 v7, 0
	s_and_saveexec_b64 s[20:21], s[18:19]
.LBB7_2632:
	v_mov_b32_e32 v7, v1
.LBB7_2633:
	s_or_b64 exec, exec, s[20:21]
.LBB7_2634:
	s_or_b64 exec, exec, s[16:17]
	global_store_byte v[5:6], v7, off
.LBB7_2635:
	s_mov_b64 s[16:17], -1
.LBB7_2636:
	s_mov_b64 s[18:19], 0
.LBB7_2637:
	s_and_b64 vcc, exec, s[18:19]
	s_cbranch_vccz .LBB7_2677
; %bb.2638:
	s_cmp_gt_i32 s23, 22
	s_mov_b64 s[10:11], -1
	s_cbranch_scc0 .LBB7_2670
; %bb.2639:
	s_cmp_lt_i32 s23, 24
	s_cbranch_scc1 .LBB7_2659
; %bb.2640:
	s_cmp_gt_i32 s23, 24
	s_cbranch_scc0 .LBB7_2648
; %bb.2641:
	v_cndmask_b32_e64 v3, 0, 1.0, s[6:7]
	s_mov_b32 s10, 0x47800000
	v_cmp_gt_u32_e32 vcc, s10, v3
	v_mov_b32_e32 v7, 0x80
	s_and_saveexec_b64 s[10:11], vcc
	s_cbranch_execz .LBB7_2647
; %bb.2642:
	s_mov_b32 s16, 0x37ffffff
	v_cmp_lt_u32_e32 vcc, s16, v3
	s_mov_b64 s[16:17], 0
                                        ; implicit-def: $vgpr1
	s_and_saveexec_b64 s[18:19], vcc
	s_xor_b64 s[18:19], exec, s[18:19]
	s_cbranch_execz .LBB7_3086
; %bb.2643:
	v_bfe_u32 v1, v3, 21, 1
	s_mov_b32 s20, 0x88fffff
	v_add3_u32 v1, v3, v1, s20
	s_mov_b64 s[16:17], exec
	v_lshrrev_b32_e32 v1, 21, v1
                                        ; implicit-def: $vgpr3
	s_andn2_saveexec_b64 s[18:19], s[18:19]
	s_cbranch_execnz .LBB7_3087
.LBB7_2644:
	s_or_b64 exec, exec, s[18:19]
	v_mov_b32_e32 v7, 0
	s_and_saveexec_b64 s[18:19], s[16:17]
.LBB7_2645:
	v_mov_b32_e32 v7, v1
.LBB7_2646:
	s_or_b64 exec, exec, s[18:19]
.LBB7_2647:
	s_or_b64 exec, exec, s[10:11]
	s_mov_b64 s[10:11], 0
	global_store_byte v[5:6], v7, off
.LBB7_2648:
	s_and_b64 vcc, exec, s[10:11]
	s_cbranch_vccz .LBB7_2658
; %bb.2649:
	v_cndmask_b32_e64 v1, 0, 1.0, s[6:7]
	s_mov_b32 s10, 0x43f00000
	v_cmp_gt_u32_e32 vcc, s10, v1
                                        ; implicit-def: $vgpr3
	s_and_saveexec_b64 s[10:11], vcc
	s_xor_b64 s[10:11], exec, s[10:11]
	s_cbranch_execz .LBB7_2655
; %bb.2650:
	s_mov_b32 s16, 0x3c7fffff
	v_cmp_lt_u32_e32 vcc, s16, v1
                                        ; implicit-def: $vgpr3
	s_and_saveexec_b64 s[16:17], vcc
	s_xor_b64 s[16:17], exec, s[16:17]
; %bb.2651:
	v_bfe_u32 v3, v1, 20, 1
	s_mov_b32 s18, 0x407ffff
	v_add3_u32 v1, v1, v3, s18
	v_lshrrev_b32_e32 v3, 20, v1
	v_and_b32_e32 v1, 0xff00000, v1
	s_mov_b32 s18, 0x7f00000
	v_mov_b32_e32 v7, 0x7e
	v_cmp_ne_u32_e32 vcc, s18, v1
	v_cndmask_b32_e32 v3, v7, v3, vcc
                                        ; implicit-def: $vgpr1
; %bb.2652:
	s_andn2_saveexec_b64 s[16:17], s[16:17]
; %bb.2653:
	v_add_f32_e32 v3, 0x46800000, v1
; %bb.2654:
	s_or_b64 exec, exec, s[16:17]
                                        ; implicit-def: $vgpr1
.LBB7_2655:
	s_andn2_saveexec_b64 s[10:11], s[10:11]
; %bb.2656:
	s_mov_b32 s16, 0x7f800000
	v_mov_b32_e32 v3, 0x7e
	v_mov_b32_e32 v7, 0x7f
	v_cmp_lt_u32_e32 vcc, s16, v1
	v_cndmask_b32_e32 v3, v3, v7, vcc
; %bb.2657:
	s_or_b64 exec, exec, s[10:11]
	global_store_byte v[5:6], v3, off
.LBB7_2658:
	s_mov_b64 s[10:11], 0
.LBB7_2659:
	s_andn2_b64 vcc, exec, s[10:11]
	s_cbranch_vccnz .LBB7_2669
; %bb.2660:
	v_cndmask_b32_e64 v1, 0, 1.0, s[6:7]
	s_mov_b32 s10, 0x47800000
	v_cmp_gt_u32_e32 vcc, s10, v1
                                        ; implicit-def: $vgpr3
	s_and_saveexec_b64 s[10:11], vcc
	s_xor_b64 s[10:11], exec, s[10:11]
	s_cbranch_execz .LBB7_2666
; %bb.2661:
	s_mov_b32 s16, 0x387fffff
	v_cmp_lt_u32_e32 vcc, s16, v1
                                        ; implicit-def: $vgpr3
	s_and_saveexec_b64 s[16:17], vcc
	s_xor_b64 s[16:17], exec, s[16:17]
; %bb.2662:
	v_bfe_u32 v3, v1, 21, 1
	s_mov_b32 s18, 0x80fffff
	v_add3_u32 v1, v1, v3, s18
	v_lshrrev_b32_e32 v3, 21, v1
                                        ; implicit-def: $vgpr1
; %bb.2663:
	s_andn2_saveexec_b64 s[16:17], s[16:17]
; %bb.2664:
	v_add_f32_e32 v3, 0x43000000, v1
; %bb.2665:
	s_or_b64 exec, exec, s[16:17]
                                        ; implicit-def: $vgpr1
.LBB7_2666:
	s_andn2_saveexec_b64 s[10:11], s[10:11]
; %bb.2667:
	s_mov_b32 s16, 0x7f800000
	v_mov_b32_e32 v3, 0x7c
	v_mov_b32_e32 v7, 0x7f
	v_cmp_lt_u32_e32 vcc, s16, v1
	v_cndmask_b32_e32 v3, v3, v7, vcc
; %bb.2668:
	s_or_b64 exec, exec, s[10:11]
	global_store_byte v[5:6], v3, off
.LBB7_2669:
	s_mov_b64 s[10:11], 0
	s_mov_b64 s[16:17], -1
.LBB7_2670:
	s_andn2_b64 vcc, exec, s[10:11]
	s_mov_b64 s[10:11], 0
	s_cbranch_vccnz .LBB7_2677
; %bb.2671:
	s_cmp_gt_i32 s23, 14
	s_mov_b64 s[18:19], -1
	s_cbranch_scc0 .LBB7_2675
; %bb.2672:
	s_cmp_eq_u32 s23, 15
	s_mov_b64 s[0:1], -1
	s_cbranch_scc0 .LBB7_2674
; %bb.2673:
	v_cndmask_b32_e64 v1, 0, 1.0, s[6:7]
	v_bfe_u32 v3, v1, 16, 1
	s_movk_i32 s0, 0x7fff
	v_add3_u32 v1, v1, v3, s0
	global_store_short_d16_hi v[5:6], v1, off
	s_mov_b64 s[0:1], 0
	s_mov_b64 s[16:17], -1
.LBB7_2674:
	s_mov_b64 s[18:19], 0
.LBB7_2675:
	s_and_b64 vcc, exec, s[18:19]
	s_cbranch_vccz .LBB7_2677
; %bb.2676:
	s_cmp_lg_u32 s23, 11
	s_mov_b64 s[10:11], -1
	s_cselect_b64 s[0:1], -1, 0
.LBB7_2677:
	s_and_b64 vcc, exec, s[0:1]
	s_cbranch_vccnz .LBB7_3085
; %bb.2678:
	s_andn2_b64 vcc, exec, s[10:11]
	s_cbranch_vccnz .LBB7_2680
.LBB7_2679:
	v_cndmask_b32_e64 v1, 0, 1, s[6:7]
	s_mov_b64 s[16:17], -1
	global_store_byte v[5:6], v1, off
.LBB7_2680:
	s_mov_b64 s[0:1], 0
	s_branch .LBB7_2682
.LBB7_2681:
	s_mov_b64 s[0:1], -1
	s_mov_b64 s[16:17], 0
.LBB7_2682:
	s_and_b64 vcc, exec, s[0:1]
	s_cbranch_vccz .LBB7_2721
; %bb.2683:
	s_and_b32 s10, 0xffff, s22
	s_cmp_lt_i32 s10, 5
	s_mov_b64 s[0:1], -1
	s_cbranch_scc1 .LBB7_2704
; %bb.2684:
	s_cmp_lt_i32 s10, 8
	s_cbranch_scc1 .LBB7_2694
; %bb.2685:
	s_cmp_lt_i32 s10, 9
	s_cbranch_scc1 .LBB7_2691
; %bb.2686:
	s_cmp_gt_i32 s10, 9
	s_cbranch_scc0 .LBB7_2688
; %bb.2687:
	v_cndmask_b32_e64 v1, 0, 1, s[6:7]
	v_cvt_f64_u32_e32 v[18:19], v1
	v_mov_b32_e32 v20, 0
	v_mov_b32_e32 v21, v20
	s_mov_b64 s[0:1], 0
	global_store_dwordx4 v[5:6], v[18:21], off
.LBB7_2688:
	s_andn2_b64 vcc, exec, s[0:1]
	s_cbranch_vccnz .LBB7_2690
; %bb.2689:
	s_waitcnt vmcnt(0)
	v_cndmask_b32_e64 v9, 0, 1.0, s[6:7]
	v_mov_b32_e32 v10, 0
	global_store_dwordx2 v[5:6], v[9:10], off
.LBB7_2690:
	s_mov_b64 s[0:1], 0
.LBB7_2691:
	s_andn2_b64 vcc, exec, s[0:1]
	s_cbranch_vccnz .LBB7_2693
; %bb.2692:
	v_cndmask_b32_e64 v1, 0, 1.0, s[6:7]
	v_cvt_f16_f32_e32 v1, v1
	global_store_dword v[5:6], v1, off
.LBB7_2693:
	s_mov_b64 s[0:1], 0
.LBB7_2694:
	s_andn2_b64 vcc, exec, s[0:1]
	s_cbranch_vccnz .LBB7_2703
; %bb.2695:
	s_cmp_lt_i32 s10, 6
	s_mov_b64 s[0:1], -1
	s_cbranch_scc1 .LBB7_2701
; %bb.2696:
	s_cmp_gt_i32 s10, 6
	s_cbranch_scc0 .LBB7_2698
; %bb.2697:
	v_cndmask_b32_e64 v1, 0, 1, s[6:7]
	s_waitcnt vmcnt(0)
	v_cvt_f64_u32_e32 v[9:10], v1
	s_mov_b64 s[0:1], 0
	global_store_dwordx2 v[5:6], v[9:10], off
.LBB7_2698:
	s_andn2_b64 vcc, exec, s[0:1]
	s_cbranch_vccnz .LBB7_2700
; %bb.2699:
	v_cndmask_b32_e64 v1, 0, 1.0, s[6:7]
	global_store_dword v[5:6], v1, off
.LBB7_2700:
	s_mov_b64 s[0:1], 0
.LBB7_2701:
	s_andn2_b64 vcc, exec, s[0:1]
	s_cbranch_vccnz .LBB7_2703
; %bb.2702:
	v_cndmask_b32_e64 v1, 0, 1.0, s[6:7]
	v_cvt_f16_f32_e32 v1, v1
	global_store_short v[5:6], v1, off
.LBB7_2703:
	s_mov_b64 s[0:1], 0
.LBB7_2704:
	s_andn2_b64 vcc, exec, s[0:1]
	s_cbranch_vccnz .LBB7_2720
; %bb.2705:
	s_cmp_lt_i32 s10, 2
	s_mov_b64 s[0:1], -1
	s_cbranch_scc1 .LBB7_2715
; %bb.2706:
	s_cmp_lt_i32 s10, 3
	s_cbranch_scc1 .LBB7_2712
; %bb.2707:
	s_cmp_gt_i32 s10, 3
	s_cbranch_scc0 .LBB7_2709
; %bb.2708:
	s_mov_b32 s0, 0
	s_waitcnt vmcnt(0)
	v_cndmask_b32_e64 v9, 0, 1, s[6:7]
	v_mov_b32_e32 v10, s0
	global_store_dwordx2 v[5:6], v[9:10], off
	s_mov_b64 s[0:1], 0
.LBB7_2709:
	s_andn2_b64 vcc, exec, s[0:1]
	s_cbranch_vccnz .LBB7_2711
; %bb.2710:
	v_cndmask_b32_e64 v1, 0, 1, s[6:7]
	global_store_dword v[5:6], v1, off
.LBB7_2711:
	s_mov_b64 s[0:1], 0
.LBB7_2712:
	s_andn2_b64 vcc, exec, s[0:1]
	s_cbranch_vccnz .LBB7_2714
; %bb.2713:
	v_cndmask_b32_e64 v1, 0, 1, s[6:7]
	global_store_short v[5:6], v1, off
.LBB7_2714:
	s_mov_b64 s[0:1], 0
.LBB7_2715:
	s_andn2_b64 vcc, exec, s[0:1]
	s_cbranch_vccnz .LBB7_2720
; %bb.2716:
	s_mov_b64 s[0:1], -1
	s_cmp_gt_i32 s10, 0
	v_cndmask_b32_e64 v1, 0, 1, s[6:7]
	s_cbranch_scc0 .LBB7_2718
; %bb.2717:
	global_store_byte v[5:6], v1, off
	s_mov_b64 s[0:1], 0
.LBB7_2718:
	s_andn2_b64 vcc, exec, s[0:1]
	s_cbranch_vccnz .LBB7_2720
; %bb.2719:
	global_store_byte v[5:6], v1, off
.LBB7_2720:
	s_mov_b64 s[16:17], -1
.LBB7_2721:
	s_andn2_b64 vcc, exec, s[16:17]
	s_cbranch_vccnz .LBB7_3036
; %bb.2722:
	v_cmp_ne_u16_sdwa s[0:1], v11, v14 src0_sel:BYTE_0 src1_sel:BYTE_0
	s_xor_b64 s[6:7], s[2:3], s[0:1]
	v_mov_b32_e32 v1, s9
	s_and_b32 s23, 0xffff, s22
	v_add_co_u32_e32 v3, vcc, s8, v4
	s_cmp_lt_i32 s23, 11
	v_addc_co_u32_e32 v4, vcc, 0, v1, vcc
	s_cbranch_scc1 .LBB7_2800
; %bb.2723:
	s_mov_b64 s[18:19], -1
	s_mov_b64 s[10:11], 0
	s_cmp_gt_i32 s23, 25
	s_mov_b64 s[16:17], 0
	s_mov_b64 s[0:1], 0
	s_cbranch_scc0 .LBB7_2756
; %bb.2724:
	s_cmp_gt_i32 s23, 28
	s_cbranch_scc0 .LBB7_2739
; %bb.2725:
	s_cmp_gt_i32 s23, 43
	;; [unrolled: 3-line block ×3, first 2 shown]
	s_cbranch_scc0 .LBB7_2729
; %bb.2727:
	s_mov_b64 s[0:1], -1
	s_mov_b64 s[18:19], 0
	s_cmp_eq_u32 s23, 46
	s_cbranch_scc0 .LBB7_2729
; %bb.2728:
	v_cndmask_b32_e64 v1, 0, 1.0, s[6:7]
	v_bfe_u32 v5, v1, 16, 1
	s_movk_i32 s0, 0x7fff
	v_add3_u32 v1, v1, v5, s0
	v_lshrrev_b32_e32 v1, 16, v1
	global_store_dword v[3:4], v1, off
	s_mov_b64 s[0:1], 0
	s_mov_b64 s[16:17], -1
.LBB7_2729:
	s_and_b64 vcc, exec, s[18:19]
	s_cbranch_vccz .LBB7_2734
; %bb.2730:
	s_cmp_eq_u32 s23, 44
	s_mov_b64 s[0:1], -1
	s_cbranch_scc0 .LBB7_2734
; %bb.2731:
	v_cndmask_b32_e64 v5, 0, 1.0, s[6:7]
	v_lshrrev_b32_e32 v1, 23, v5
	s_movk_i32 s0, 0xff
	v_cmp_ne_u32_e32 vcc, s0, v1
	v_mov_b32_e32 v6, 0xff
	s_and_saveexec_b64 s[16:17], vcc
; %bb.2732:
	s_mov_b32 s0, 0x3fffff
	v_and_b32_e32 v6, 0x400000, v5
	v_and_or_b32 v5, v5, s0, v1
	v_cmp_ne_u32_e32 vcc, 0, v6
	v_cmp_ne_u32_e64 s[0:1], 0, v5
	s_and_b64 s[0:1], vcc, s[0:1]
	v_cndmask_b32_e64 v5, 0, 1, s[0:1]
	v_add_u32_e32 v6, v1, v5
; %bb.2733:
	s_or_b64 exec, exec, s[16:17]
	s_mov_b64 s[0:1], 0
	s_mov_b64 s[16:17], -1
	global_store_byte v[3:4], v6, off
.LBB7_2734:
	s_mov_b64 s[18:19], 0
.LBB7_2735:
	s_and_b64 vcc, exec, s[18:19]
	s_cbranch_vccz .LBB7_2738
; %bb.2736:
	s_cmp_eq_u32 s23, 29
	s_mov_b64 s[0:1], -1
	s_cbranch_scc0 .LBB7_2738
; %bb.2737:
	s_mov_b32 s0, 0
	v_cndmask_b32_e64 v5, 0, 1, s[6:7]
	v_mov_b32_e32 v6, s0
	global_store_dwordx2 v[3:4], v[5:6], off
	s_mov_b64 s[0:1], 0
	s_mov_b64 s[16:17], -1
.LBB7_2738:
	s_mov_b64 s[18:19], 0
.LBB7_2739:
	s_and_b64 vcc, exec, s[18:19]
	s_cbranch_vccz .LBB7_2755
; %bb.2740:
	s_cmp_lt_i32 s23, 27
	s_mov_b64 s[16:17], -1
	s_cbranch_scc1 .LBB7_2746
; %bb.2741:
	s_cmp_gt_i32 s23, 27
	s_cbranch_scc0 .LBB7_2743
; %bb.2742:
	v_cndmask_b32_e64 v1, 0, 1, s[6:7]
	s_mov_b64 s[16:17], 0
	global_store_dword v[3:4], v1, off
.LBB7_2743:
	s_andn2_b64 vcc, exec, s[16:17]
	s_cbranch_vccnz .LBB7_2745
; %bb.2744:
	v_cndmask_b32_e64 v1, 0, 1, s[6:7]
	global_store_short v[3:4], v1, off
.LBB7_2745:
	s_mov_b64 s[16:17], 0
.LBB7_2746:
	s_andn2_b64 vcc, exec, s[16:17]
	s_cbranch_vccnz .LBB7_2754
; %bb.2747:
	v_cndmask_b32_e64 v5, 0, 1.0, s[6:7]
	s_mov_b32 s16, 0x43800000
	v_cmp_gt_u32_e32 vcc, s16, v5
	v_mov_b32_e32 v6, 0x80
	s_and_saveexec_b64 s[16:17], vcc
	s_cbranch_execz .LBB7_2753
; %bb.2748:
	s_mov_b32 s18, 0x3bffffff
	v_cmp_lt_u32_e32 vcc, s18, v5
	s_mov_b64 s[18:19], 0
                                        ; implicit-def: $vgpr1
	s_and_saveexec_b64 s[20:21], vcc
	s_xor_b64 s[20:21], exec, s[20:21]
	s_cbranch_execz .LBB7_3088
; %bb.2749:
	v_bfe_u32 v1, v5, 20, 1
	s_mov_b32 s24, 0x487ffff
	v_add3_u32 v1, v5, v1, s24
	s_mov_b64 s[18:19], exec
	v_lshrrev_b32_e32 v1, 20, v1
                                        ; implicit-def: $vgpr5
	s_andn2_saveexec_b64 s[20:21], s[20:21]
	s_cbranch_execnz .LBB7_3089
.LBB7_2750:
	s_or_b64 exec, exec, s[20:21]
	v_mov_b32_e32 v6, 0
	s_and_saveexec_b64 s[20:21], s[18:19]
.LBB7_2751:
	v_mov_b32_e32 v6, v1
.LBB7_2752:
	s_or_b64 exec, exec, s[20:21]
.LBB7_2753:
	s_or_b64 exec, exec, s[16:17]
	global_store_byte v[3:4], v6, off
.LBB7_2754:
	s_mov_b64 s[16:17], -1
.LBB7_2755:
	s_mov_b64 s[18:19], 0
.LBB7_2756:
	s_and_b64 vcc, exec, s[18:19]
	s_cbranch_vccz .LBB7_2796
; %bb.2757:
	s_cmp_gt_i32 s23, 22
	s_mov_b64 s[10:11], -1
	s_cbranch_scc0 .LBB7_2789
; %bb.2758:
	s_cmp_lt_i32 s23, 24
	s_cbranch_scc1 .LBB7_2778
; %bb.2759:
	s_cmp_gt_i32 s23, 24
	s_cbranch_scc0 .LBB7_2767
; %bb.2760:
	v_cndmask_b32_e64 v5, 0, 1.0, s[6:7]
	s_mov_b32 s10, 0x47800000
	v_cmp_gt_u32_e32 vcc, s10, v5
	v_mov_b32_e32 v6, 0x80
	s_and_saveexec_b64 s[10:11], vcc
	s_cbranch_execz .LBB7_2766
; %bb.2761:
	s_mov_b32 s16, 0x37ffffff
	v_cmp_lt_u32_e32 vcc, s16, v5
	s_mov_b64 s[16:17], 0
                                        ; implicit-def: $vgpr1
	s_and_saveexec_b64 s[18:19], vcc
	s_xor_b64 s[18:19], exec, s[18:19]
	s_cbranch_execz .LBB7_3091
; %bb.2762:
	v_bfe_u32 v1, v5, 21, 1
	s_mov_b32 s20, 0x88fffff
	v_add3_u32 v1, v5, v1, s20
	s_mov_b64 s[16:17], exec
	v_lshrrev_b32_e32 v1, 21, v1
                                        ; implicit-def: $vgpr5
	s_andn2_saveexec_b64 s[18:19], s[18:19]
	s_cbranch_execnz .LBB7_3092
.LBB7_2763:
	s_or_b64 exec, exec, s[18:19]
	v_mov_b32_e32 v6, 0
	s_and_saveexec_b64 s[18:19], s[16:17]
.LBB7_2764:
	v_mov_b32_e32 v6, v1
.LBB7_2765:
	s_or_b64 exec, exec, s[18:19]
.LBB7_2766:
	s_or_b64 exec, exec, s[10:11]
	s_mov_b64 s[10:11], 0
	global_store_byte v[3:4], v6, off
.LBB7_2767:
	s_and_b64 vcc, exec, s[10:11]
	s_cbranch_vccz .LBB7_2777
; %bb.2768:
	v_cndmask_b32_e64 v1, 0, 1.0, s[6:7]
	s_mov_b32 s10, 0x43f00000
	v_cmp_gt_u32_e32 vcc, s10, v1
                                        ; implicit-def: $vgpr5
	s_and_saveexec_b64 s[10:11], vcc
	s_xor_b64 s[10:11], exec, s[10:11]
	s_cbranch_execz .LBB7_2774
; %bb.2769:
	s_mov_b32 s16, 0x3c7fffff
	v_cmp_lt_u32_e32 vcc, s16, v1
                                        ; implicit-def: $vgpr5
	s_and_saveexec_b64 s[16:17], vcc
	s_xor_b64 s[16:17], exec, s[16:17]
; %bb.2770:
	v_bfe_u32 v5, v1, 20, 1
	s_mov_b32 s18, 0x407ffff
	v_add3_u32 v1, v1, v5, s18
	v_lshrrev_b32_e32 v5, 20, v1
	v_and_b32_e32 v1, 0xff00000, v1
	s_mov_b32 s18, 0x7f00000
	v_mov_b32_e32 v6, 0x7e
	v_cmp_ne_u32_e32 vcc, s18, v1
	v_cndmask_b32_e32 v5, v6, v5, vcc
                                        ; implicit-def: $vgpr1
; %bb.2771:
	s_andn2_saveexec_b64 s[16:17], s[16:17]
; %bb.2772:
	v_add_f32_e32 v5, 0x46800000, v1
; %bb.2773:
	s_or_b64 exec, exec, s[16:17]
                                        ; implicit-def: $vgpr1
.LBB7_2774:
	s_andn2_saveexec_b64 s[10:11], s[10:11]
; %bb.2775:
	s_mov_b32 s16, 0x7f800000
	v_mov_b32_e32 v5, 0x7e
	v_mov_b32_e32 v6, 0x7f
	v_cmp_lt_u32_e32 vcc, s16, v1
	v_cndmask_b32_e32 v5, v5, v6, vcc
; %bb.2776:
	s_or_b64 exec, exec, s[10:11]
	global_store_byte v[3:4], v5, off
.LBB7_2777:
	s_mov_b64 s[10:11], 0
.LBB7_2778:
	s_andn2_b64 vcc, exec, s[10:11]
	s_cbranch_vccnz .LBB7_2788
; %bb.2779:
	v_cndmask_b32_e64 v1, 0, 1.0, s[6:7]
	s_mov_b32 s10, 0x47800000
	v_cmp_gt_u32_e32 vcc, s10, v1
                                        ; implicit-def: $vgpr5
	s_and_saveexec_b64 s[10:11], vcc
	s_xor_b64 s[10:11], exec, s[10:11]
	s_cbranch_execz .LBB7_2785
; %bb.2780:
	s_mov_b32 s16, 0x387fffff
	v_cmp_lt_u32_e32 vcc, s16, v1
                                        ; implicit-def: $vgpr5
	s_and_saveexec_b64 s[16:17], vcc
	s_xor_b64 s[16:17], exec, s[16:17]
; %bb.2781:
	v_bfe_u32 v5, v1, 21, 1
	s_mov_b32 s18, 0x80fffff
	v_add3_u32 v1, v1, v5, s18
	v_lshrrev_b32_e32 v5, 21, v1
                                        ; implicit-def: $vgpr1
; %bb.2782:
	s_andn2_saveexec_b64 s[16:17], s[16:17]
; %bb.2783:
	v_add_f32_e32 v5, 0x43000000, v1
; %bb.2784:
	s_or_b64 exec, exec, s[16:17]
                                        ; implicit-def: $vgpr1
.LBB7_2785:
	s_andn2_saveexec_b64 s[10:11], s[10:11]
; %bb.2786:
	s_mov_b32 s16, 0x7f800000
	v_mov_b32_e32 v5, 0x7c
	v_mov_b32_e32 v6, 0x7f
	v_cmp_lt_u32_e32 vcc, s16, v1
	v_cndmask_b32_e32 v5, v5, v6, vcc
; %bb.2787:
	s_or_b64 exec, exec, s[10:11]
	global_store_byte v[3:4], v5, off
.LBB7_2788:
	s_mov_b64 s[10:11], 0
	s_mov_b64 s[16:17], -1
.LBB7_2789:
	s_andn2_b64 vcc, exec, s[10:11]
	s_mov_b64 s[10:11], 0
	s_cbranch_vccnz .LBB7_2796
; %bb.2790:
	s_cmp_gt_i32 s23, 14
	s_mov_b64 s[18:19], -1
	s_cbranch_scc0 .LBB7_2794
; %bb.2791:
	s_cmp_eq_u32 s23, 15
	s_mov_b64 s[0:1], -1
	s_cbranch_scc0 .LBB7_2793
; %bb.2792:
	v_cndmask_b32_e64 v1, 0, 1.0, s[6:7]
	v_bfe_u32 v5, v1, 16, 1
	s_movk_i32 s0, 0x7fff
	v_add3_u32 v1, v1, v5, s0
	global_store_short_d16_hi v[3:4], v1, off
	s_mov_b64 s[0:1], 0
	s_mov_b64 s[16:17], -1
.LBB7_2793:
	s_mov_b64 s[18:19], 0
.LBB7_2794:
	s_and_b64 vcc, exec, s[18:19]
	s_cbranch_vccz .LBB7_2796
; %bb.2795:
	s_cmp_lg_u32 s23, 11
	s_mov_b64 s[10:11], -1
	s_cselect_b64 s[0:1], -1, 0
.LBB7_2796:
	s_and_b64 vcc, exec, s[0:1]
	s_cbranch_vccnz .LBB7_3090
; %bb.2797:
	s_andn2_b64 vcc, exec, s[10:11]
	s_cbranch_vccnz .LBB7_2799
.LBB7_2798:
	v_cndmask_b32_e64 v1, 0, 1, s[6:7]
	s_mov_b64 s[16:17], -1
	global_store_byte v[3:4], v1, off
.LBB7_2799:
	s_mov_b64 s[0:1], 0
	s_branch .LBB7_2801
.LBB7_2800:
	s_mov_b64 s[0:1], -1
	s_mov_b64 s[16:17], 0
.LBB7_2801:
	s_and_b64 vcc, exec, s[0:1]
	s_cbranch_vccz .LBB7_2840
; %bb.2802:
	s_cmp_lt_i32 s23, 5
	s_mov_b64 s[0:1], -1
	s_cbranch_scc1 .LBB7_2823
; %bb.2803:
	s_cmp_lt_i32 s23, 8
	s_cbranch_scc1 .LBB7_2813
; %bb.2804:
	s_cmp_lt_i32 s23, 9
	s_cbranch_scc1 .LBB7_2810
; %bb.2805:
	s_cmp_gt_i32 s23, 9
	s_cbranch_scc0 .LBB7_2807
; %bb.2806:
	v_cndmask_b32_e64 v1, 0, 1, s[6:7]
	v_cvt_f64_u32_e32 v[18:19], v1
	v_mov_b32_e32 v20, 0
	v_mov_b32_e32 v21, v20
	s_mov_b64 s[0:1], 0
	global_store_dwordx4 v[3:4], v[18:21], off
.LBB7_2807:
	s_andn2_b64 vcc, exec, s[0:1]
	s_cbranch_vccnz .LBB7_2809
; %bb.2808:
	v_cndmask_b32_e64 v5, 0, 1.0, s[6:7]
	v_mov_b32_e32 v6, 0
	global_store_dwordx2 v[3:4], v[5:6], off
.LBB7_2809:
	s_mov_b64 s[0:1], 0
.LBB7_2810:
	s_andn2_b64 vcc, exec, s[0:1]
	s_cbranch_vccnz .LBB7_2812
; %bb.2811:
	v_cndmask_b32_e64 v1, 0, 1.0, s[6:7]
	v_cvt_f16_f32_e32 v1, v1
	global_store_dword v[3:4], v1, off
.LBB7_2812:
	s_mov_b64 s[0:1], 0
.LBB7_2813:
	s_andn2_b64 vcc, exec, s[0:1]
	s_cbranch_vccnz .LBB7_2822
; %bb.2814:
	s_cmp_lt_i32 s23, 6
	s_mov_b64 s[0:1], -1
	s_cbranch_scc1 .LBB7_2820
; %bb.2815:
	s_cmp_gt_i32 s23, 6
	s_cbranch_scc0 .LBB7_2817
; %bb.2816:
	v_cndmask_b32_e64 v1, 0, 1, s[6:7]
	v_cvt_f64_u32_e32 v[5:6], v1
	s_mov_b64 s[0:1], 0
	global_store_dwordx2 v[3:4], v[5:6], off
.LBB7_2817:
	s_andn2_b64 vcc, exec, s[0:1]
	s_cbranch_vccnz .LBB7_2819
; %bb.2818:
	v_cndmask_b32_e64 v1, 0, 1.0, s[6:7]
	global_store_dword v[3:4], v1, off
.LBB7_2819:
	s_mov_b64 s[0:1], 0
.LBB7_2820:
	s_andn2_b64 vcc, exec, s[0:1]
	s_cbranch_vccnz .LBB7_2822
; %bb.2821:
	v_cndmask_b32_e64 v1, 0, 1.0, s[6:7]
	v_cvt_f16_f32_e32 v1, v1
	global_store_short v[3:4], v1, off
.LBB7_2822:
	s_mov_b64 s[0:1], 0
.LBB7_2823:
	s_andn2_b64 vcc, exec, s[0:1]
	s_cbranch_vccnz .LBB7_2839
; %bb.2824:
	s_cmp_lt_i32 s23, 2
	s_mov_b64 s[0:1], -1
	s_cbranch_scc1 .LBB7_2834
; %bb.2825:
	s_cmp_lt_i32 s23, 3
	s_cbranch_scc1 .LBB7_2831
; %bb.2826:
	s_cmp_gt_i32 s23, 3
	s_cbranch_scc0 .LBB7_2828
; %bb.2827:
	s_mov_b32 s0, 0
	v_cndmask_b32_e64 v5, 0, 1, s[6:7]
	v_mov_b32_e32 v6, s0
	global_store_dwordx2 v[3:4], v[5:6], off
	s_mov_b64 s[0:1], 0
.LBB7_2828:
	s_andn2_b64 vcc, exec, s[0:1]
	s_cbranch_vccnz .LBB7_2830
; %bb.2829:
	v_cndmask_b32_e64 v1, 0, 1, s[6:7]
	global_store_dword v[3:4], v1, off
.LBB7_2830:
	s_mov_b64 s[0:1], 0
.LBB7_2831:
	s_andn2_b64 vcc, exec, s[0:1]
	s_cbranch_vccnz .LBB7_2833
; %bb.2832:
	v_cndmask_b32_e64 v1, 0, 1, s[6:7]
	global_store_short v[3:4], v1, off
.LBB7_2833:
	s_mov_b64 s[0:1], 0
.LBB7_2834:
	s_andn2_b64 vcc, exec, s[0:1]
	s_cbranch_vccnz .LBB7_2839
; %bb.2835:
	s_mov_b64 s[0:1], -1
	s_cmp_gt_i32 s23, 0
	v_cndmask_b32_e64 v1, 0, 1, s[6:7]
	s_cbranch_scc0 .LBB7_2837
; %bb.2836:
	global_store_byte v[3:4], v1, off
	s_mov_b64 s[0:1], 0
.LBB7_2837:
	s_andn2_b64 vcc, exec, s[0:1]
	s_cbranch_vccnz .LBB7_2839
; %bb.2838:
	global_store_byte v[3:4], v1, off
.LBB7_2839:
	s_mov_b64 s[16:17], -1
.LBB7_2840:
	s_andn2_b64 vcc, exec, s[16:17]
	s_cbranch_vccnz .LBB7_3036
; %bb.2841:
	s_waitcnt vmcnt(0)
	v_cmp_ne_u16_sdwa s[0:1], v17, v15 src0_sel:BYTE_0 src1_sel:BYTE_0
	s_xor_b64 s[6:7], s[2:3], s[0:1]
	v_mov_b32_e32 v3, s9
	v_add_co_u32_e32 v1, vcc, s8, v2
	s_cmp_lt_i32 s23, 11
	v_addc_co_u32_e32 v2, vcc, 0, v3, vcc
	s_cbranch_scc1 .LBB7_2919
; %bb.2842:
	s_mov_b64 s[18:19], -1
	s_mov_b64 s[10:11], 0
	s_cmp_gt_i32 s23, 25
	s_mov_b64 s[16:17], 0
	s_mov_b64 s[0:1], 0
	s_cbranch_scc0 .LBB7_2875
; %bb.2843:
	s_cmp_gt_i32 s23, 28
	s_cbranch_scc0 .LBB7_2858
; %bb.2844:
	s_cmp_gt_i32 s23, 43
	;; [unrolled: 3-line block ×3, first 2 shown]
	s_cbranch_scc0 .LBB7_2848
; %bb.2846:
	s_mov_b64 s[0:1], -1
	s_mov_b64 s[18:19], 0
	s_cmp_eq_u32 s23, 46
	s_cbranch_scc0 .LBB7_2848
; %bb.2847:
	v_cndmask_b32_e64 v3, 0, 1.0, s[6:7]
	v_bfe_u32 v4, v3, 16, 1
	s_movk_i32 s0, 0x7fff
	v_add3_u32 v3, v3, v4, s0
	v_lshrrev_b32_e32 v3, 16, v3
	global_store_dword v[1:2], v3, off
	s_mov_b64 s[0:1], 0
	s_mov_b64 s[16:17], -1
.LBB7_2848:
	s_and_b64 vcc, exec, s[18:19]
	s_cbranch_vccz .LBB7_2853
; %bb.2849:
	s_cmp_eq_u32 s23, 44
	s_mov_b64 s[0:1], -1
	s_cbranch_scc0 .LBB7_2853
; %bb.2850:
	v_cndmask_b32_e64 v4, 0, 1.0, s[6:7]
	v_lshrrev_b32_e32 v3, 23, v4
	s_movk_i32 s0, 0xff
	v_cmp_ne_u32_e32 vcc, s0, v3
	v_mov_b32_e32 v5, 0xff
	s_and_saveexec_b64 s[16:17], vcc
; %bb.2851:
	s_mov_b32 s0, 0x3fffff
	v_and_b32_e32 v5, 0x400000, v4
	v_and_or_b32 v4, v4, s0, v3
	v_cmp_ne_u32_e32 vcc, 0, v5
	v_cmp_ne_u32_e64 s[0:1], 0, v4
	s_and_b64 s[0:1], vcc, s[0:1]
	v_cndmask_b32_e64 v4, 0, 1, s[0:1]
	v_add_u32_e32 v5, v3, v4
; %bb.2852:
	s_or_b64 exec, exec, s[16:17]
	s_mov_b64 s[0:1], 0
	s_mov_b64 s[16:17], -1
	global_store_byte v[1:2], v5, off
.LBB7_2853:
	s_mov_b64 s[18:19], 0
.LBB7_2854:
	s_and_b64 vcc, exec, s[18:19]
	s_cbranch_vccz .LBB7_2857
; %bb.2855:
	s_cmp_eq_u32 s23, 29
	s_mov_b64 s[0:1], -1
	s_cbranch_scc0 .LBB7_2857
; %bb.2856:
	s_mov_b32 s0, 0
	v_cndmask_b32_e64 v3, 0, 1, s[6:7]
	v_mov_b32_e32 v4, s0
	global_store_dwordx2 v[1:2], v[3:4], off
	s_mov_b64 s[0:1], 0
	s_mov_b64 s[16:17], -1
.LBB7_2857:
	s_mov_b64 s[18:19], 0
.LBB7_2858:
	s_and_b64 vcc, exec, s[18:19]
	s_cbranch_vccz .LBB7_2874
; %bb.2859:
	s_cmp_lt_i32 s23, 27
	s_mov_b64 s[16:17], -1
	s_cbranch_scc1 .LBB7_2865
; %bb.2860:
	s_cmp_gt_i32 s23, 27
	s_cbranch_scc0 .LBB7_2862
; %bb.2861:
	v_cndmask_b32_e64 v3, 0, 1, s[6:7]
	s_mov_b64 s[16:17], 0
	global_store_dword v[1:2], v3, off
.LBB7_2862:
	s_andn2_b64 vcc, exec, s[16:17]
	s_cbranch_vccnz .LBB7_2864
; %bb.2863:
	v_cndmask_b32_e64 v3, 0, 1, s[6:7]
	global_store_short v[1:2], v3, off
.LBB7_2864:
	s_mov_b64 s[16:17], 0
.LBB7_2865:
	s_andn2_b64 vcc, exec, s[16:17]
	s_cbranch_vccnz .LBB7_2873
; %bb.2866:
	v_cndmask_b32_e64 v4, 0, 1.0, s[6:7]
	s_mov_b32 s16, 0x43800000
	v_cmp_gt_u32_e32 vcc, s16, v4
	v_mov_b32_e32 v5, 0x80
	s_and_saveexec_b64 s[16:17], vcc
	s_cbranch_execz .LBB7_2872
; %bb.2867:
	s_mov_b32 s18, 0x3bffffff
	v_cmp_lt_u32_e32 vcc, s18, v4
	s_mov_b64 s[18:19], 0
                                        ; implicit-def: $vgpr3
	s_and_saveexec_b64 s[20:21], vcc
	s_xor_b64 s[20:21], exec, s[20:21]
	s_cbranch_execz .LBB7_3093
; %bb.2868:
	v_bfe_u32 v3, v4, 20, 1
	s_mov_b32 s24, 0x487ffff
	v_add3_u32 v3, v4, v3, s24
	s_mov_b64 s[18:19], exec
	v_lshrrev_b32_e32 v3, 20, v3
                                        ; implicit-def: $vgpr4
	s_andn2_saveexec_b64 s[20:21], s[20:21]
	s_cbranch_execnz .LBB7_3094
.LBB7_2869:
	s_or_b64 exec, exec, s[20:21]
	v_mov_b32_e32 v5, 0
	s_and_saveexec_b64 s[20:21], s[18:19]
.LBB7_2870:
	v_mov_b32_e32 v5, v3
.LBB7_2871:
	s_or_b64 exec, exec, s[20:21]
.LBB7_2872:
	s_or_b64 exec, exec, s[16:17]
	global_store_byte v[1:2], v5, off
.LBB7_2873:
	s_mov_b64 s[16:17], -1
.LBB7_2874:
	s_mov_b64 s[18:19], 0
.LBB7_2875:
	s_and_b64 vcc, exec, s[18:19]
	s_cbranch_vccz .LBB7_2915
; %bb.2876:
	s_cmp_gt_i32 s23, 22
	s_mov_b64 s[10:11], -1
	s_cbranch_scc0 .LBB7_2908
; %bb.2877:
	s_cmp_lt_i32 s23, 24
	s_cbranch_scc1 .LBB7_2897
; %bb.2878:
	s_cmp_gt_i32 s23, 24
	s_cbranch_scc0 .LBB7_2886
; %bb.2879:
	v_cndmask_b32_e64 v4, 0, 1.0, s[6:7]
	s_mov_b32 s10, 0x47800000
	v_cmp_gt_u32_e32 vcc, s10, v4
	v_mov_b32_e32 v5, 0x80
	s_and_saveexec_b64 s[10:11], vcc
	s_cbranch_execz .LBB7_2885
; %bb.2880:
	s_mov_b32 s16, 0x37ffffff
	v_cmp_lt_u32_e32 vcc, s16, v4
	s_mov_b64 s[16:17], 0
                                        ; implicit-def: $vgpr3
	s_and_saveexec_b64 s[18:19], vcc
	s_xor_b64 s[18:19], exec, s[18:19]
	s_cbranch_execz .LBB7_3096
; %bb.2881:
	v_bfe_u32 v3, v4, 21, 1
	s_mov_b32 s20, 0x88fffff
	v_add3_u32 v3, v4, v3, s20
	s_mov_b64 s[16:17], exec
	v_lshrrev_b32_e32 v3, 21, v3
                                        ; implicit-def: $vgpr4
	s_andn2_saveexec_b64 s[18:19], s[18:19]
	s_cbranch_execnz .LBB7_3097
.LBB7_2882:
	s_or_b64 exec, exec, s[18:19]
	v_mov_b32_e32 v5, 0
	s_and_saveexec_b64 s[18:19], s[16:17]
.LBB7_2883:
	v_mov_b32_e32 v5, v3
.LBB7_2884:
	s_or_b64 exec, exec, s[18:19]
.LBB7_2885:
	s_or_b64 exec, exec, s[10:11]
	s_mov_b64 s[10:11], 0
	global_store_byte v[1:2], v5, off
.LBB7_2886:
	s_and_b64 vcc, exec, s[10:11]
	s_cbranch_vccz .LBB7_2896
; %bb.2887:
	v_cndmask_b32_e64 v3, 0, 1.0, s[6:7]
	s_mov_b32 s10, 0x43f00000
	v_cmp_gt_u32_e32 vcc, s10, v3
                                        ; implicit-def: $vgpr4
	s_and_saveexec_b64 s[10:11], vcc
	s_xor_b64 s[10:11], exec, s[10:11]
	s_cbranch_execz .LBB7_2893
; %bb.2888:
	s_mov_b32 s16, 0x3c7fffff
	v_cmp_lt_u32_e32 vcc, s16, v3
                                        ; implicit-def: $vgpr4
	s_and_saveexec_b64 s[16:17], vcc
	s_xor_b64 s[16:17], exec, s[16:17]
; %bb.2889:
	v_bfe_u32 v4, v3, 20, 1
	s_mov_b32 s18, 0x407ffff
	v_add3_u32 v3, v3, v4, s18
	v_lshrrev_b32_e32 v4, 20, v3
	v_and_b32_e32 v3, 0xff00000, v3
	s_mov_b32 s18, 0x7f00000
	v_mov_b32_e32 v5, 0x7e
	v_cmp_ne_u32_e32 vcc, s18, v3
	v_cndmask_b32_e32 v4, v5, v4, vcc
                                        ; implicit-def: $vgpr3
; %bb.2890:
	s_andn2_saveexec_b64 s[16:17], s[16:17]
; %bb.2891:
	v_add_f32_e32 v4, 0x46800000, v3
; %bb.2892:
	s_or_b64 exec, exec, s[16:17]
                                        ; implicit-def: $vgpr3
.LBB7_2893:
	s_andn2_saveexec_b64 s[10:11], s[10:11]
; %bb.2894:
	s_mov_b32 s16, 0x7f800000
	v_mov_b32_e32 v4, 0x7e
	v_mov_b32_e32 v5, 0x7f
	v_cmp_lt_u32_e32 vcc, s16, v3
	v_cndmask_b32_e32 v4, v4, v5, vcc
; %bb.2895:
	s_or_b64 exec, exec, s[10:11]
	global_store_byte v[1:2], v4, off
.LBB7_2896:
	s_mov_b64 s[10:11], 0
.LBB7_2897:
	s_andn2_b64 vcc, exec, s[10:11]
	s_cbranch_vccnz .LBB7_2907
; %bb.2898:
	v_cndmask_b32_e64 v3, 0, 1.0, s[6:7]
	s_mov_b32 s10, 0x47800000
	v_cmp_gt_u32_e32 vcc, s10, v3
                                        ; implicit-def: $vgpr4
	s_and_saveexec_b64 s[10:11], vcc
	s_xor_b64 s[10:11], exec, s[10:11]
	s_cbranch_execz .LBB7_2904
; %bb.2899:
	s_mov_b32 s16, 0x387fffff
	v_cmp_lt_u32_e32 vcc, s16, v3
                                        ; implicit-def: $vgpr4
	s_and_saveexec_b64 s[16:17], vcc
	s_xor_b64 s[16:17], exec, s[16:17]
; %bb.2900:
	v_bfe_u32 v4, v3, 21, 1
	s_mov_b32 s18, 0x80fffff
	v_add3_u32 v3, v3, v4, s18
	v_lshrrev_b32_e32 v4, 21, v3
                                        ; implicit-def: $vgpr3
; %bb.2901:
	s_andn2_saveexec_b64 s[16:17], s[16:17]
; %bb.2902:
	v_add_f32_e32 v4, 0x43000000, v3
; %bb.2903:
	s_or_b64 exec, exec, s[16:17]
                                        ; implicit-def: $vgpr3
.LBB7_2904:
	s_andn2_saveexec_b64 s[10:11], s[10:11]
; %bb.2905:
	s_mov_b32 s16, 0x7f800000
	v_mov_b32_e32 v4, 0x7c
	v_mov_b32_e32 v5, 0x7f
	v_cmp_lt_u32_e32 vcc, s16, v3
	v_cndmask_b32_e32 v4, v4, v5, vcc
; %bb.2906:
	s_or_b64 exec, exec, s[10:11]
	global_store_byte v[1:2], v4, off
.LBB7_2907:
	s_mov_b64 s[10:11], 0
	s_mov_b64 s[16:17], -1
.LBB7_2908:
	s_andn2_b64 vcc, exec, s[10:11]
	s_mov_b64 s[10:11], 0
	s_cbranch_vccnz .LBB7_2915
; %bb.2909:
	s_cmp_gt_i32 s23, 14
	s_mov_b64 s[18:19], -1
	s_cbranch_scc0 .LBB7_2913
; %bb.2910:
	s_cmp_eq_u32 s23, 15
	s_mov_b64 s[0:1], -1
	s_cbranch_scc0 .LBB7_2912
; %bb.2911:
	v_cndmask_b32_e64 v3, 0, 1.0, s[6:7]
	v_bfe_u32 v4, v3, 16, 1
	s_movk_i32 s0, 0x7fff
	v_add3_u32 v3, v3, v4, s0
	global_store_short_d16_hi v[1:2], v3, off
	s_mov_b64 s[0:1], 0
	s_mov_b64 s[16:17], -1
.LBB7_2912:
	s_mov_b64 s[18:19], 0
.LBB7_2913:
	s_and_b64 vcc, exec, s[18:19]
	s_cbranch_vccz .LBB7_2915
; %bb.2914:
	s_cmp_lg_u32 s23, 11
	s_mov_b64 s[10:11], -1
	s_cselect_b64 s[0:1], -1, 0
.LBB7_2915:
	s_and_b64 vcc, exec, s[0:1]
	s_cbranch_vccnz .LBB7_3095
; %bb.2916:
	s_andn2_b64 vcc, exec, s[10:11]
	s_cbranch_vccnz .LBB7_2918
.LBB7_2917:
	v_cndmask_b32_e64 v3, 0, 1, s[6:7]
	s_mov_b64 s[16:17], -1
	global_store_byte v[1:2], v3, off
.LBB7_2918:
	s_mov_b64 s[0:1], 0
	s_branch .LBB7_2920
.LBB7_2919:
	s_mov_b64 s[0:1], -1
	s_mov_b64 s[16:17], 0
.LBB7_2920:
	s_and_b64 vcc, exec, s[0:1]
	s_cbranch_vccz .LBB7_2959
; %bb.2921:
	s_cmp_lt_i32 s23, 5
	s_mov_b64 s[0:1], -1
	s_cbranch_scc1 .LBB7_2942
; %bb.2922:
	s_cmp_lt_i32 s23, 8
	s_cbranch_scc1 .LBB7_2932
; %bb.2923:
	s_cmp_lt_i32 s23, 9
	s_cbranch_scc1 .LBB7_2929
; %bb.2924:
	s_cmp_gt_i32 s23, 9
	s_cbranch_scc0 .LBB7_2926
; %bb.2925:
	v_cndmask_b32_e64 v3, 0, 1, s[6:7]
	v_cvt_f64_u32_e32 v[3:4], v3
	v_mov_b32_e32 v5, 0
	v_mov_b32_e32 v6, v5
	s_mov_b64 s[0:1], 0
	global_store_dwordx4 v[1:2], v[3:6], off
.LBB7_2926:
	s_andn2_b64 vcc, exec, s[0:1]
	s_cbranch_vccnz .LBB7_2928
; %bb.2927:
	v_cndmask_b32_e64 v3, 0, 1.0, s[6:7]
	v_mov_b32_e32 v4, 0
	global_store_dwordx2 v[1:2], v[3:4], off
.LBB7_2928:
	s_mov_b64 s[0:1], 0
.LBB7_2929:
	s_andn2_b64 vcc, exec, s[0:1]
	s_cbranch_vccnz .LBB7_2931
; %bb.2930:
	v_cndmask_b32_e64 v3, 0, 1.0, s[6:7]
	v_cvt_f16_f32_e32 v3, v3
	global_store_dword v[1:2], v3, off
.LBB7_2931:
	s_mov_b64 s[0:1], 0
.LBB7_2932:
	s_andn2_b64 vcc, exec, s[0:1]
	s_cbranch_vccnz .LBB7_2941
; %bb.2933:
	s_cmp_lt_i32 s23, 6
	s_mov_b64 s[0:1], -1
	s_cbranch_scc1 .LBB7_2939
; %bb.2934:
	s_cmp_gt_i32 s23, 6
	s_cbranch_scc0 .LBB7_2936
; %bb.2935:
	v_cndmask_b32_e64 v3, 0, 1, s[6:7]
	v_cvt_f64_u32_e32 v[3:4], v3
	s_mov_b64 s[0:1], 0
	global_store_dwordx2 v[1:2], v[3:4], off
.LBB7_2936:
	s_andn2_b64 vcc, exec, s[0:1]
	s_cbranch_vccnz .LBB7_2938
; %bb.2937:
	v_cndmask_b32_e64 v3, 0, 1.0, s[6:7]
	global_store_dword v[1:2], v3, off
.LBB7_2938:
	s_mov_b64 s[0:1], 0
.LBB7_2939:
	s_andn2_b64 vcc, exec, s[0:1]
	s_cbranch_vccnz .LBB7_2941
; %bb.2940:
	v_cndmask_b32_e64 v3, 0, 1.0, s[6:7]
	v_cvt_f16_f32_e32 v3, v3
	global_store_short v[1:2], v3, off
.LBB7_2941:
	s_mov_b64 s[0:1], 0
.LBB7_2942:
	s_andn2_b64 vcc, exec, s[0:1]
	s_cbranch_vccnz .LBB7_2958
; %bb.2943:
	s_cmp_lt_i32 s23, 2
	s_mov_b64 s[0:1], -1
	s_cbranch_scc1 .LBB7_2953
; %bb.2944:
	s_cmp_lt_i32 s23, 3
	s_cbranch_scc1 .LBB7_2950
; %bb.2945:
	s_cmp_gt_i32 s23, 3
	s_cbranch_scc0 .LBB7_2947
; %bb.2946:
	s_mov_b32 s0, 0
	v_cndmask_b32_e64 v3, 0, 1, s[6:7]
	v_mov_b32_e32 v4, s0
	global_store_dwordx2 v[1:2], v[3:4], off
	s_mov_b64 s[0:1], 0
.LBB7_2947:
	s_andn2_b64 vcc, exec, s[0:1]
	s_cbranch_vccnz .LBB7_2949
; %bb.2948:
	v_cndmask_b32_e64 v3, 0, 1, s[6:7]
	global_store_dword v[1:2], v3, off
.LBB7_2949:
	s_mov_b64 s[0:1], 0
.LBB7_2950:
	s_andn2_b64 vcc, exec, s[0:1]
	s_cbranch_vccnz .LBB7_2952
; %bb.2951:
	v_cndmask_b32_e64 v3, 0, 1, s[6:7]
	global_store_short v[1:2], v3, off
.LBB7_2952:
	s_mov_b64 s[0:1], 0
.LBB7_2953:
	s_andn2_b64 vcc, exec, s[0:1]
	s_cbranch_vccnz .LBB7_2958
; %bb.2954:
	s_cmp_gt_i32 s23, 0
	s_mov_b64 s[0:1], -1
	s_cbranch_scc0 .LBB7_2956
; %bb.2955:
	v_cndmask_b32_e64 v3, 0, 1, s[6:7]
	global_store_byte v[1:2], v3, off
	s_mov_b64 s[0:1], 0
.LBB7_2956:
	s_andn2_b64 vcc, exec, s[0:1]
	s_cbranch_vccnz .LBB7_2958
; %bb.2957:
	v_cndmask_b32_e64 v3, 0, 1, s[6:7]
	global_store_byte v[1:2], v3, off
.LBB7_2958:
	s_mov_b64 s[16:17], -1
.LBB7_2959:
	s_andn2_b64 vcc, exec, s[16:17]
	s_cbranch_vccnz .LBB7_3036
; %bb.2960:
	v_cmp_ne_u16_sdwa s[0:1], v12, v8 src0_sel:BYTE_0 src1_sel:BYTE_0
	s_xor_b64 s[10:11], s[2:3], s[0:1]
	v_mov_b32_e32 v1, s9
	v_add_co_u32_e32 v0, vcc, s8, v0
	s_cmp_lt_i32 s23, 11
	v_addc_co_u32_e32 v1, vcc, 0, v1, vcc
	s_cbranch_scc1 .LBB7_3081
; %bb.2961:
	s_mov_b64 s[6:7], -1
	s_mov_b64 s[2:3], 0
	s_cmp_gt_i32 s23, 25
	s_mov_b64 s[0:1], 0
	s_cbranch_scc0 .LBB7_2994
; %bb.2962:
	s_cmp_gt_i32 s23, 28
	s_cbranch_scc0 .LBB7_2978
; %bb.2963:
	s_cmp_gt_i32 s23, 43
	;; [unrolled: 3-line block ×3, first 2 shown]
	s_cbranch_scc0 .LBB7_2968
; %bb.2965:
	s_cmp_eq_u32 s23, 46
	s_mov_b64 s[0:1], -1
	s_cbranch_scc0 .LBB7_2967
; %bb.2966:
	v_cndmask_b32_e64 v2, 0, 1.0, s[10:11]
	v_bfe_u32 v3, v2, 16, 1
	s_movk_i32 s0, 0x7fff
	v_add3_u32 v2, v2, v3, s0
	v_lshrrev_b32_e32 v2, 16, v2
	global_store_dword v[0:1], v2, off
	s_mov_b64 s[0:1], 0
.LBB7_2967:
	s_mov_b64 s[6:7], 0
.LBB7_2968:
	s_and_b64 vcc, exec, s[6:7]
	s_cbranch_vccz .LBB7_2973
; %bb.2969:
	s_cmp_eq_u32 s23, 44
	s_mov_b64 s[0:1], -1
	s_cbranch_scc0 .LBB7_2973
; %bb.2970:
	v_cndmask_b32_e64 v3, 0, 1.0, s[10:11]
	v_lshrrev_b32_e32 v2, 23, v3
	s_movk_i32 s0, 0xff
	v_cmp_ne_u32_e32 vcc, s0, v2
	v_mov_b32_e32 v4, 0xff
	s_and_saveexec_b64 s[6:7], vcc
; %bb.2971:
	s_mov_b32 s0, 0x3fffff
	v_and_b32_e32 v4, 0x400000, v3
	v_and_or_b32 v3, v3, s0, v2
	v_cmp_ne_u32_e32 vcc, 0, v4
	v_cmp_ne_u32_e64 s[0:1], 0, v3
	s_and_b64 s[0:1], vcc, s[0:1]
	v_cndmask_b32_e64 v3, 0, 1, s[0:1]
	v_add_u32_e32 v4, v2, v3
; %bb.2972:
	s_or_b64 exec, exec, s[6:7]
	s_mov_b64 s[0:1], 0
	global_store_byte v[0:1], v4, off
.LBB7_2973:
	s_mov_b64 s[6:7], 0
.LBB7_2974:
	s_and_b64 vcc, exec, s[6:7]
	s_cbranch_vccz .LBB7_2977
; %bb.2975:
	s_cmp_eq_u32 s23, 29
	s_mov_b64 s[0:1], -1
	s_cbranch_scc0 .LBB7_2977
; %bb.2976:
	s_mov_b32 s0, 0
	v_cndmask_b32_e64 v2, 0, 1, s[10:11]
	v_mov_b32_e32 v3, s0
	global_store_dwordx2 v[0:1], v[2:3], off
	s_mov_b64 s[0:1], 0
.LBB7_2977:
	s_mov_b64 s[6:7], 0
.LBB7_2978:
	s_and_b64 vcc, exec, s[6:7]
	s_cbranch_vccz .LBB7_2993
; %bb.2979:
	s_cmp_lt_i32 s23, 27
	s_mov_b64 s[6:7], -1
	s_cbranch_scc1 .LBB7_2985
; %bb.2980:
	s_cmp_gt_i32 s23, 27
	v_cndmask_b32_e64 v2, 0, 1, s[10:11]
	s_cbranch_scc0 .LBB7_2982
; %bb.2981:
	global_store_dword v[0:1], v2, off
	s_mov_b64 s[6:7], 0
.LBB7_2982:
	s_andn2_b64 vcc, exec, s[6:7]
	s_cbranch_vccnz .LBB7_2984
; %bb.2983:
	global_store_short v[0:1], v2, off
.LBB7_2984:
	s_mov_b64 s[6:7], 0
.LBB7_2985:
	s_andn2_b64 vcc, exec, s[6:7]
	s_cbranch_vccnz .LBB7_2993
; %bb.2986:
	v_cndmask_b32_e64 v3, 0, 1.0, s[10:11]
	s_mov_b32 s6, 0x43800000
	v_cmp_gt_u32_e32 vcc, s6, v3
	v_mov_b32_e32 v4, 0x80
	s_and_saveexec_b64 s[6:7], vcc
	s_cbranch_execz .LBB7_2992
; %bb.2987:
	s_mov_b32 s8, 0x3bffffff
	v_cmp_lt_u32_e32 vcc, s8, v3
	s_mov_b64 s[8:9], 0
                                        ; implicit-def: $vgpr2
	s_and_saveexec_b64 s[16:17], vcc
	s_xor_b64 s[16:17], exec, s[16:17]
	s_cbranch_execz .LBB7_3098
; %bb.2988:
	v_bfe_u32 v2, v3, 20, 1
	s_mov_b32 s18, 0x487ffff
	v_add3_u32 v2, v3, v2, s18
	s_mov_b64 s[8:9], exec
	v_lshrrev_b32_e32 v2, 20, v2
                                        ; implicit-def: $vgpr3
	s_andn2_saveexec_b64 s[16:17], s[16:17]
	s_cbranch_execnz .LBB7_3099
.LBB7_2989:
	s_or_b64 exec, exec, s[16:17]
	v_mov_b32_e32 v4, 0
	s_and_saveexec_b64 s[16:17], s[8:9]
.LBB7_2990:
	v_mov_b32_e32 v4, v2
.LBB7_2991:
	s_or_b64 exec, exec, s[16:17]
.LBB7_2992:
	s_or_b64 exec, exec, s[6:7]
	global_store_byte v[0:1], v4, off
.LBB7_2993:
	s_mov_b64 s[6:7], 0
.LBB7_2994:
	s_and_b64 vcc, exec, s[6:7]
	s_cbranch_vccz .LBB7_3034
; %bb.2995:
	s_cmp_gt_i32 s23, 22
	s_mov_b64 s[2:3], -1
	s_cbranch_scc0 .LBB7_3027
; %bb.2996:
	s_cmp_lt_i32 s23, 24
	s_cbranch_scc1 .LBB7_3016
; %bb.2997:
	s_cmp_gt_i32 s23, 24
	s_cbranch_scc0 .LBB7_3005
; %bb.2998:
	v_cndmask_b32_e64 v3, 0, 1.0, s[10:11]
	s_mov_b32 s2, 0x47800000
	v_cmp_gt_u32_e32 vcc, s2, v3
	v_mov_b32_e32 v4, 0x80
	s_and_saveexec_b64 s[2:3], vcc
	s_cbranch_execz .LBB7_3004
; %bb.2999:
	s_mov_b32 s6, 0x37ffffff
	v_cmp_lt_u32_e32 vcc, s6, v3
	s_mov_b64 s[6:7], 0
                                        ; implicit-def: $vgpr2
	s_and_saveexec_b64 s[8:9], vcc
	s_xor_b64 s[8:9], exec, s[8:9]
	s_cbranch_execz .LBB7_3101
; %bb.3000:
	v_bfe_u32 v2, v3, 21, 1
	s_mov_b32 s16, 0x88fffff
	v_add3_u32 v2, v3, v2, s16
	s_mov_b64 s[6:7], exec
	v_lshrrev_b32_e32 v2, 21, v2
                                        ; implicit-def: $vgpr3
	s_andn2_saveexec_b64 s[8:9], s[8:9]
	s_cbranch_execnz .LBB7_3102
.LBB7_3001:
	s_or_b64 exec, exec, s[8:9]
	v_mov_b32_e32 v4, 0
	s_and_saveexec_b64 s[8:9], s[6:7]
.LBB7_3002:
	v_mov_b32_e32 v4, v2
.LBB7_3003:
	s_or_b64 exec, exec, s[8:9]
.LBB7_3004:
	s_or_b64 exec, exec, s[2:3]
	s_mov_b64 s[2:3], 0
	global_store_byte v[0:1], v4, off
.LBB7_3005:
	s_and_b64 vcc, exec, s[2:3]
	s_cbranch_vccz .LBB7_3015
; %bb.3006:
	v_cndmask_b32_e64 v2, 0, 1.0, s[10:11]
	s_mov_b32 s2, 0x43f00000
	v_cmp_gt_u32_e32 vcc, s2, v2
                                        ; implicit-def: $vgpr3
	s_and_saveexec_b64 s[2:3], vcc
	s_xor_b64 s[2:3], exec, s[2:3]
	s_cbranch_execz .LBB7_3012
; %bb.3007:
	s_mov_b32 s6, 0x3c7fffff
	v_cmp_lt_u32_e32 vcc, s6, v2
                                        ; implicit-def: $vgpr3
	s_and_saveexec_b64 s[6:7], vcc
	s_xor_b64 s[6:7], exec, s[6:7]
; %bb.3008:
	v_bfe_u32 v3, v2, 20, 1
	s_mov_b32 s8, 0x407ffff
	v_add3_u32 v2, v2, v3, s8
	v_lshrrev_b32_e32 v3, 20, v2
	v_and_b32_e32 v2, 0xff00000, v2
	s_mov_b32 s8, 0x7f00000
	v_mov_b32_e32 v4, 0x7e
	v_cmp_ne_u32_e32 vcc, s8, v2
	v_cndmask_b32_e32 v3, v4, v3, vcc
                                        ; implicit-def: $vgpr2
; %bb.3009:
	s_andn2_saveexec_b64 s[6:7], s[6:7]
; %bb.3010:
	v_add_f32_e32 v3, 0x46800000, v2
; %bb.3011:
	s_or_b64 exec, exec, s[6:7]
                                        ; implicit-def: $vgpr2
.LBB7_3012:
	s_andn2_saveexec_b64 s[2:3], s[2:3]
; %bb.3013:
	s_mov_b32 s6, 0x7f800000
	v_mov_b32_e32 v3, 0x7e
	v_mov_b32_e32 v4, 0x7f
	v_cmp_lt_u32_e32 vcc, s6, v2
	v_cndmask_b32_e32 v3, v3, v4, vcc
; %bb.3014:
	s_or_b64 exec, exec, s[2:3]
	global_store_byte v[0:1], v3, off
.LBB7_3015:
	s_mov_b64 s[2:3], 0
.LBB7_3016:
	s_andn2_b64 vcc, exec, s[2:3]
	s_cbranch_vccnz .LBB7_3026
; %bb.3017:
	v_cndmask_b32_e64 v2, 0, 1.0, s[10:11]
	s_mov_b32 s2, 0x47800000
	v_cmp_gt_u32_e32 vcc, s2, v2
                                        ; implicit-def: $vgpr3
	s_and_saveexec_b64 s[2:3], vcc
	s_xor_b64 s[2:3], exec, s[2:3]
	s_cbranch_execz .LBB7_3023
; %bb.3018:
	s_mov_b32 s6, 0x387fffff
	v_cmp_lt_u32_e32 vcc, s6, v2
                                        ; implicit-def: $vgpr3
	s_and_saveexec_b64 s[6:7], vcc
	s_xor_b64 s[6:7], exec, s[6:7]
; %bb.3019:
	v_bfe_u32 v3, v2, 21, 1
	s_mov_b32 s8, 0x80fffff
	v_add3_u32 v2, v2, v3, s8
	v_lshrrev_b32_e32 v3, 21, v2
                                        ; implicit-def: $vgpr2
; %bb.3020:
	s_andn2_saveexec_b64 s[6:7], s[6:7]
; %bb.3021:
	v_add_f32_e32 v3, 0x43000000, v2
; %bb.3022:
	s_or_b64 exec, exec, s[6:7]
                                        ; implicit-def: $vgpr2
.LBB7_3023:
	s_andn2_saveexec_b64 s[2:3], s[2:3]
; %bb.3024:
	s_mov_b32 s6, 0x7f800000
	v_mov_b32_e32 v3, 0x7c
	v_mov_b32_e32 v4, 0x7f
	v_cmp_lt_u32_e32 vcc, s6, v2
	v_cndmask_b32_e32 v3, v3, v4, vcc
; %bb.3025:
	s_or_b64 exec, exec, s[2:3]
	global_store_byte v[0:1], v3, off
.LBB7_3026:
	s_mov_b64 s[2:3], 0
.LBB7_3027:
	s_andn2_b64 vcc, exec, s[2:3]
	s_mov_b64 s[2:3], 0
	s_cbranch_vccnz .LBB7_3034
; %bb.3028:
	s_cmp_gt_i32 s23, 14
	s_mov_b64 s[6:7], -1
	s_cbranch_scc0 .LBB7_3032
; %bb.3029:
	s_cmp_eq_u32 s23, 15
	s_mov_b64 s[0:1], -1
	s_cbranch_scc0 .LBB7_3031
; %bb.3030:
	v_cndmask_b32_e64 v2, 0, 1.0, s[10:11]
	v_bfe_u32 v3, v2, 16, 1
	s_movk_i32 s0, 0x7fff
	v_add3_u32 v2, v2, v3, s0
	global_store_short_d16_hi v[0:1], v2, off
	s_mov_b64 s[0:1], 0
.LBB7_3031:
	s_mov_b64 s[6:7], 0
.LBB7_3032:
	s_and_b64 vcc, exec, s[6:7]
	s_cbranch_vccz .LBB7_3034
; %bb.3033:
	s_cmp_lg_u32 s23, 11
	s_mov_b64 s[2:3], -1
	s_cselect_b64 s[0:1], -1, 0
.LBB7_3034:
	s_and_b64 vcc, exec, s[0:1]
	s_cbranch_vccnz .LBB7_3100
.LBB7_3035:
	s_mov_b64 s[0:1], 0
	s_branch .LBB7_3037
.LBB7_3036:
	s_mov_b64 s[0:1], 0
	s_mov_b64 s[2:3], 0
                                        ; implicit-def: $sgpr10_sgpr11
                                        ; implicit-def: $vgpr0_vgpr1
                                        ; implicit-def: $sgpr22
.LBB7_3037:
	s_and_b64 s[6:7], s[2:3], exec
	s_andn2_b64 s[2:3], s[12:13], exec
	s_and_b64 s[4:5], s[4:5], exec
	s_and_b64 s[0:1], s[0:1], exec
	s_or_b64 s[12:13], s[2:3], s[4:5]
.LBB7_3038:
	s_or_b64 exec, exec, s[14:15]
	s_and_saveexec_b64 s[2:3], s[12:13]
	s_cbranch_execz .LBB7_3041
; %bb.3039:
	; divergent unreachable
	s_or_b64 exec, exec, s[2:3]
	s_and_saveexec_b64 s[2:3], s[6:7]
	s_xor_b64 s[2:3], exec, s[2:3]
	s_cbranch_execnz .LBB7_3042
.LBB7_3040:
	s_or_b64 exec, exec, s[2:3]
	s_and_saveexec_b64 s[2:3], s[0:1]
	s_cbranch_execnz .LBB7_3043
	s_branch .LBB7_3080
.LBB7_3041:
	s_or_b64 exec, exec, s[2:3]
	s_and_saveexec_b64 s[2:3], s[6:7]
	s_xor_b64 s[2:3], exec, s[2:3]
	s_cbranch_execz .LBB7_3040
.LBB7_3042:
	s_waitcnt vmcnt(0)
	v_cndmask_b32_e64 v2, 0, 1, s[10:11]
	global_store_byte v[0:1], v2, off
	s_or_b64 exec, exec, s[2:3]
	s_and_saveexec_b64 s[2:3], s[0:1]
	s_cbranch_execz .LBB7_3080
.LBB7_3043:
	s_sext_i32_i16 s2, s22
	s_cmp_lt_i32 s2, 5
	s_mov_b64 s[0:1], -1
	s_cbranch_scc1 .LBB7_3064
; %bb.3044:
	s_cmp_lt_i32 s2, 8
	s_cbranch_scc1 .LBB7_3054
; %bb.3045:
	s_cmp_lt_i32 s2, 9
	s_cbranch_scc1 .LBB7_3051
; %bb.3046:
	s_cmp_gt_i32 s2, 9
	s_cbranch_scc0 .LBB7_3048
; %bb.3047:
	s_waitcnt vmcnt(0)
	v_cndmask_b32_e64 v2, 0, 1, s[10:11]
	v_cvt_f64_u32_e32 v[2:3], v2
	v_mov_b32_e32 v4, 0
	v_mov_b32_e32 v5, v4
	s_mov_b64 s[0:1], 0
	global_store_dwordx4 v[0:1], v[2:5], off
.LBB7_3048:
	s_andn2_b64 vcc, exec, s[0:1]
	s_cbranch_vccnz .LBB7_3050
; %bb.3049:
	s_waitcnt vmcnt(0)
	v_cndmask_b32_e64 v2, 0, 1.0, s[10:11]
	v_mov_b32_e32 v3, 0
	global_store_dwordx2 v[0:1], v[2:3], off
.LBB7_3050:
	s_mov_b64 s[0:1], 0
.LBB7_3051:
	s_andn2_b64 vcc, exec, s[0:1]
	s_cbranch_vccnz .LBB7_3053
; %bb.3052:
	s_waitcnt vmcnt(0)
	v_cndmask_b32_e64 v2, 0, 1.0, s[10:11]
	v_cvt_f16_f32_e32 v2, v2
	global_store_dword v[0:1], v2, off
.LBB7_3053:
	s_mov_b64 s[0:1], 0
.LBB7_3054:
	s_andn2_b64 vcc, exec, s[0:1]
	s_cbranch_vccnz .LBB7_3063
; %bb.3055:
	s_sext_i32_i16 s2, s22
	s_cmp_lt_i32 s2, 6
	s_mov_b64 s[0:1], -1
	s_cbranch_scc1 .LBB7_3061
; %bb.3056:
	s_cmp_gt_i32 s2, 6
	s_cbranch_scc0 .LBB7_3058
; %bb.3057:
	s_waitcnt vmcnt(0)
	v_cndmask_b32_e64 v2, 0, 1, s[10:11]
	v_cvt_f64_u32_e32 v[2:3], v2
	s_mov_b64 s[0:1], 0
	global_store_dwordx2 v[0:1], v[2:3], off
.LBB7_3058:
	s_andn2_b64 vcc, exec, s[0:1]
	s_cbranch_vccnz .LBB7_3060
; %bb.3059:
	s_waitcnt vmcnt(0)
	v_cndmask_b32_e64 v2, 0, 1.0, s[10:11]
	global_store_dword v[0:1], v2, off
.LBB7_3060:
	s_mov_b64 s[0:1], 0
.LBB7_3061:
	s_andn2_b64 vcc, exec, s[0:1]
	s_cbranch_vccnz .LBB7_3063
; %bb.3062:
	s_waitcnt vmcnt(0)
	v_cndmask_b32_e64 v2, 0, 1.0, s[10:11]
	v_cvt_f16_f32_e32 v2, v2
	global_store_short v[0:1], v2, off
.LBB7_3063:
	s_mov_b64 s[0:1], 0
.LBB7_3064:
	s_andn2_b64 vcc, exec, s[0:1]
	s_cbranch_vccnz .LBB7_3080
; %bb.3065:
	s_sext_i32_i16 s2, s22
	s_cmp_lt_i32 s2, 2
	s_mov_b64 s[0:1], -1
	s_cbranch_scc1 .LBB7_3075
; %bb.3066:
	s_cmp_lt_i32 s2, 3
	s_cbranch_scc1 .LBB7_3072
; %bb.3067:
	s_cmp_gt_i32 s2, 3
	s_cbranch_scc0 .LBB7_3069
; %bb.3068:
	s_mov_b32 s0, 0
	s_waitcnt vmcnt(0)
	v_cndmask_b32_e64 v2, 0, 1, s[10:11]
	v_mov_b32_e32 v3, s0
	global_store_dwordx2 v[0:1], v[2:3], off
	s_mov_b64 s[0:1], 0
.LBB7_3069:
	s_andn2_b64 vcc, exec, s[0:1]
	s_cbranch_vccnz .LBB7_3071
; %bb.3070:
	s_waitcnt vmcnt(0)
	v_cndmask_b32_e64 v2, 0, 1, s[10:11]
	global_store_dword v[0:1], v2, off
.LBB7_3071:
	s_mov_b64 s[0:1], 0
.LBB7_3072:
	s_andn2_b64 vcc, exec, s[0:1]
	s_cbranch_vccnz .LBB7_3074
; %bb.3073:
	s_waitcnt vmcnt(0)
	v_cndmask_b32_e64 v2, 0, 1, s[10:11]
	global_store_short v[0:1], v2, off
.LBB7_3074:
	s_mov_b64 s[0:1], 0
.LBB7_3075:
	s_andn2_b64 vcc, exec, s[0:1]
	s_cbranch_vccnz .LBB7_3080
; %bb.3076:
	s_sext_i32_i16 s0, s22
	s_cmp_gt_i32 s0, 0
	s_mov_b64 s[0:1], -1
	s_cbranch_scc0 .LBB7_3078
; %bb.3077:
	s_waitcnt vmcnt(0)
	v_cndmask_b32_e64 v2, 0, 1, s[10:11]
	global_store_byte v[0:1], v2, off
	s_mov_b64 s[0:1], 0
.LBB7_3078:
	s_andn2_b64 vcc, exec, s[0:1]
	s_cbranch_vccnz .LBB7_3080
; %bb.3079:
	s_waitcnt vmcnt(0)
	v_cndmask_b32_e64 v2, 0, 1, s[10:11]
	global_store_byte v[0:1], v2, off
	s_endpgm
.LBB7_3080:
	s_endpgm
.LBB7_3081:
	s_mov_b64 s[2:3], 0
	s_mov_b64 s[0:1], -1
	s_branch .LBB7_3037
.LBB7_3082:
	s_trap 2
	s_or_b64 s[4:5], s[4:5], exec
	s_cbranch_execz .LBB7_2551
	s_branch .LBB7_2552
.LBB7_3083:
	s_andn2_saveexec_b64 s[20:21], s[20:21]
	s_cbranch_execz .LBB7_2631
.LBB7_3084:
	v_add_f32_e32 v1, 0x46000000, v3
	v_and_b32_e32 v1, 0xff, v1
	v_cmp_ne_u32_e32 vcc, 0, v1
	s_andn2_b64 s[18:19], s[18:19], exec
	s_and_b64 s[24:25], vcc, exec
	s_or_b64 s[18:19], s[18:19], s[24:25]
	s_or_b64 exec, exec, s[20:21]
	v_mov_b32_e32 v7, 0
	s_and_saveexec_b64 s[20:21], s[18:19]
	s_cbranch_execnz .LBB7_2632
	s_branch .LBB7_2633
.LBB7_3085:
	s_trap 2
	s_or_b64 s[4:5], s[4:5], exec
	s_cbranch_execz .LBB7_2679
	s_branch .LBB7_2680
.LBB7_3086:
	s_andn2_saveexec_b64 s[18:19], s[18:19]
	s_cbranch_execz .LBB7_2644
.LBB7_3087:
	v_add_f32_e32 v1, 0x42800000, v3
	v_and_b32_e32 v1, 0xff, v1
	v_cmp_ne_u32_e32 vcc, 0, v1
	s_andn2_b64 s[16:17], s[16:17], exec
	s_and_b64 s[20:21], vcc, exec
	s_or_b64 s[16:17], s[16:17], s[20:21]
	s_or_b64 exec, exec, s[18:19]
	v_mov_b32_e32 v7, 0
	s_and_saveexec_b64 s[18:19], s[16:17]
	s_cbranch_execnz .LBB7_2645
	s_branch .LBB7_2646
.LBB7_3088:
	s_andn2_saveexec_b64 s[20:21], s[20:21]
	s_cbranch_execz .LBB7_2750
.LBB7_3089:
	v_add_f32_e32 v1, 0x46000000, v5
	v_and_b32_e32 v1, 0xff, v1
	v_cmp_ne_u32_e32 vcc, 0, v1
	s_andn2_b64 s[18:19], s[18:19], exec
	s_and_b64 s[24:25], vcc, exec
	s_or_b64 s[18:19], s[18:19], s[24:25]
	s_or_b64 exec, exec, s[20:21]
	v_mov_b32_e32 v6, 0
	s_and_saveexec_b64 s[20:21], s[18:19]
	s_cbranch_execnz .LBB7_2751
	s_branch .LBB7_2752
.LBB7_3090:
	s_trap 2
	s_or_b64 s[4:5], s[4:5], exec
	s_cbranch_execz .LBB7_2798
	s_branch .LBB7_2799
.LBB7_3091:
	s_andn2_saveexec_b64 s[18:19], s[18:19]
	s_cbranch_execz .LBB7_2763
.LBB7_3092:
	v_add_f32_e32 v1, 0x42800000, v5
	v_and_b32_e32 v1, 0xff, v1
	v_cmp_ne_u32_e32 vcc, 0, v1
	s_andn2_b64 s[16:17], s[16:17], exec
	s_and_b64 s[20:21], vcc, exec
	s_or_b64 s[16:17], s[16:17], s[20:21]
	s_or_b64 exec, exec, s[18:19]
	v_mov_b32_e32 v6, 0
	s_and_saveexec_b64 s[18:19], s[16:17]
	s_cbranch_execnz .LBB7_2764
	s_branch .LBB7_2765
.LBB7_3093:
	s_andn2_saveexec_b64 s[20:21], s[20:21]
	s_cbranch_execz .LBB7_2869
.LBB7_3094:
	v_add_f32_e32 v3, 0x46000000, v4
	v_and_b32_e32 v3, 0xff, v3
	v_cmp_ne_u32_e32 vcc, 0, v3
	s_andn2_b64 s[18:19], s[18:19], exec
	s_and_b64 s[24:25], vcc, exec
	s_or_b64 s[18:19], s[18:19], s[24:25]
	s_or_b64 exec, exec, s[20:21]
	v_mov_b32_e32 v5, 0
	s_and_saveexec_b64 s[20:21], s[18:19]
	s_cbranch_execnz .LBB7_2870
	s_branch .LBB7_2871
.LBB7_3095:
	s_trap 2
	s_or_b64 s[4:5], s[4:5], exec
	s_cbranch_execz .LBB7_2917
	s_branch .LBB7_2918
.LBB7_3096:
	s_andn2_saveexec_b64 s[18:19], s[18:19]
	s_cbranch_execz .LBB7_2882
.LBB7_3097:
	v_add_f32_e32 v3, 0x42800000, v4
	v_and_b32_e32 v3, 0xff, v3
	v_cmp_ne_u32_e32 vcc, 0, v3
	s_andn2_b64 s[16:17], s[16:17], exec
	s_and_b64 s[20:21], vcc, exec
	s_or_b64 s[16:17], s[16:17], s[20:21]
	s_or_b64 exec, exec, s[18:19]
	v_mov_b32_e32 v5, 0
	s_and_saveexec_b64 s[18:19], s[16:17]
	s_cbranch_execnz .LBB7_2883
	s_branch .LBB7_2884
.LBB7_3098:
	s_andn2_saveexec_b64 s[16:17], s[16:17]
	s_cbranch_execz .LBB7_2989
.LBB7_3099:
	v_add_f32_e32 v2, 0x46000000, v3
	v_and_b32_e32 v2, 0xff, v2
	v_cmp_ne_u32_e32 vcc, 0, v2
	s_andn2_b64 s[8:9], s[8:9], exec
	s_and_b64 s[18:19], vcc, exec
	s_or_b64 s[8:9], s[8:9], s[18:19]
	s_or_b64 exec, exec, s[16:17]
	v_mov_b32_e32 v4, 0
	s_and_saveexec_b64 s[16:17], s[8:9]
	s_cbranch_execnz .LBB7_2990
	s_branch .LBB7_2991
.LBB7_3100:
	s_mov_b64 s[2:3], 0
	s_or_b64 s[4:5], s[4:5], exec
	s_trap 2
	s_branch .LBB7_3035
.LBB7_3101:
	s_andn2_saveexec_b64 s[8:9], s[8:9]
	s_cbranch_execz .LBB7_3001
.LBB7_3102:
	v_add_f32_e32 v2, 0x42800000, v3
	v_and_b32_e32 v2, 0xff, v2
	v_cmp_ne_u32_e32 vcc, 0, v2
	s_andn2_b64 s[6:7], s[6:7], exec
	s_and_b64 s[16:17], vcc, exec
	s_or_b64 s[6:7], s[6:7], s[16:17]
	s_or_b64 exec, exec, s[8:9]
	v_mov_b32_e32 v4, 0
	s_and_saveexec_b64 s[8:9], s[6:7]
	s_cbranch_execnz .LBB7_3002
	s_branch .LBB7_3003
	.section	.rodata,"a",@progbits
	.p2align	6, 0x0
	.amdhsa_kernel _ZN2at6native32elementwise_kernel_manual_unrollILi128ELi4EZNS0_15gpu_kernel_implINS0_13BinaryFunctorIhhbNS0_12_GLOBAL__N_116CompareEqFunctorIhEEEEEEvRNS_18TensorIteratorBaseERKT_EUlibE0_EEviT1_
		.amdhsa_group_segment_fixed_size 0
		.amdhsa_private_segment_fixed_size 0
		.amdhsa_kernarg_size 432
		.amdhsa_user_sgpr_count 6
		.amdhsa_user_sgpr_private_segment_buffer 1
		.amdhsa_user_sgpr_dispatch_ptr 0
		.amdhsa_user_sgpr_queue_ptr 0
		.amdhsa_user_sgpr_kernarg_segment_ptr 1
		.amdhsa_user_sgpr_dispatch_id 0
		.amdhsa_user_sgpr_flat_scratch_init 0
		.amdhsa_user_sgpr_private_segment_size 0
		.amdhsa_uses_dynamic_stack 0
		.amdhsa_system_sgpr_private_segment_wavefront_offset 0
		.amdhsa_system_sgpr_workgroup_id_x 1
		.amdhsa_system_sgpr_workgroup_id_y 0
		.amdhsa_system_sgpr_workgroup_id_z 0
		.amdhsa_system_sgpr_workgroup_info 0
		.amdhsa_system_vgpr_workitem_id 0
		.amdhsa_next_free_vgpr 23
		.amdhsa_next_free_sgpr 80
		.amdhsa_reserve_vcc 1
		.amdhsa_reserve_flat_scratch 0
		.amdhsa_float_round_mode_32 0
		.amdhsa_float_round_mode_16_64 0
		.amdhsa_float_denorm_mode_32 3
		.amdhsa_float_denorm_mode_16_64 3
		.amdhsa_dx10_clamp 1
		.amdhsa_ieee_mode 1
		.amdhsa_fp16_overflow 0
		.amdhsa_exception_fp_ieee_invalid_op 0
		.amdhsa_exception_fp_denorm_src 0
		.amdhsa_exception_fp_ieee_div_zero 0
		.amdhsa_exception_fp_ieee_overflow 0
		.amdhsa_exception_fp_ieee_underflow 0
		.amdhsa_exception_fp_ieee_inexact 0
		.amdhsa_exception_int_div_zero 0
	.end_amdhsa_kernel
	.section	.text._ZN2at6native32elementwise_kernel_manual_unrollILi128ELi4EZNS0_15gpu_kernel_implINS0_13BinaryFunctorIhhbNS0_12_GLOBAL__N_116CompareEqFunctorIhEEEEEEvRNS_18TensorIteratorBaseERKT_EUlibE0_EEviT1_,"axG",@progbits,_ZN2at6native32elementwise_kernel_manual_unrollILi128ELi4EZNS0_15gpu_kernel_implINS0_13BinaryFunctorIhhbNS0_12_GLOBAL__N_116CompareEqFunctorIhEEEEEEvRNS_18TensorIteratorBaseERKT_EUlibE0_EEviT1_,comdat
.Lfunc_end7:
	.size	_ZN2at6native32elementwise_kernel_manual_unrollILi128ELi4EZNS0_15gpu_kernel_implINS0_13BinaryFunctorIhhbNS0_12_GLOBAL__N_116CompareEqFunctorIhEEEEEEvRNS_18TensorIteratorBaseERKT_EUlibE0_EEviT1_, .Lfunc_end7-_ZN2at6native32elementwise_kernel_manual_unrollILi128ELi4EZNS0_15gpu_kernel_implINS0_13BinaryFunctorIhhbNS0_12_GLOBAL__N_116CompareEqFunctorIhEEEEEEvRNS_18TensorIteratorBaseERKT_EUlibE0_EEviT1_
                                        ; -- End function
	.set _ZN2at6native32elementwise_kernel_manual_unrollILi128ELi4EZNS0_15gpu_kernel_implINS0_13BinaryFunctorIhhbNS0_12_GLOBAL__N_116CompareEqFunctorIhEEEEEEvRNS_18TensorIteratorBaseERKT_EUlibE0_EEviT1_.num_vgpr, 23
	.set _ZN2at6native32elementwise_kernel_manual_unrollILi128ELi4EZNS0_15gpu_kernel_implINS0_13BinaryFunctorIhhbNS0_12_GLOBAL__N_116CompareEqFunctorIhEEEEEEvRNS_18TensorIteratorBaseERKT_EUlibE0_EEviT1_.num_agpr, 0
	.set _ZN2at6native32elementwise_kernel_manual_unrollILi128ELi4EZNS0_15gpu_kernel_implINS0_13BinaryFunctorIhhbNS0_12_GLOBAL__N_116CompareEqFunctorIhEEEEEEvRNS_18TensorIteratorBaseERKT_EUlibE0_EEviT1_.numbered_sgpr, 80
	.set _ZN2at6native32elementwise_kernel_manual_unrollILi128ELi4EZNS0_15gpu_kernel_implINS0_13BinaryFunctorIhhbNS0_12_GLOBAL__N_116CompareEqFunctorIhEEEEEEvRNS_18TensorIteratorBaseERKT_EUlibE0_EEviT1_.num_named_barrier, 0
	.set _ZN2at6native32elementwise_kernel_manual_unrollILi128ELi4EZNS0_15gpu_kernel_implINS0_13BinaryFunctorIhhbNS0_12_GLOBAL__N_116CompareEqFunctorIhEEEEEEvRNS_18TensorIteratorBaseERKT_EUlibE0_EEviT1_.private_seg_size, 0
	.set _ZN2at6native32elementwise_kernel_manual_unrollILi128ELi4EZNS0_15gpu_kernel_implINS0_13BinaryFunctorIhhbNS0_12_GLOBAL__N_116CompareEqFunctorIhEEEEEEvRNS_18TensorIteratorBaseERKT_EUlibE0_EEviT1_.uses_vcc, 1
	.set _ZN2at6native32elementwise_kernel_manual_unrollILi128ELi4EZNS0_15gpu_kernel_implINS0_13BinaryFunctorIhhbNS0_12_GLOBAL__N_116CompareEqFunctorIhEEEEEEvRNS_18TensorIteratorBaseERKT_EUlibE0_EEviT1_.uses_flat_scratch, 0
	.set _ZN2at6native32elementwise_kernel_manual_unrollILi128ELi4EZNS0_15gpu_kernel_implINS0_13BinaryFunctorIhhbNS0_12_GLOBAL__N_116CompareEqFunctorIhEEEEEEvRNS_18TensorIteratorBaseERKT_EUlibE0_EEviT1_.has_dyn_sized_stack, 0
	.set _ZN2at6native32elementwise_kernel_manual_unrollILi128ELi4EZNS0_15gpu_kernel_implINS0_13BinaryFunctorIhhbNS0_12_GLOBAL__N_116CompareEqFunctorIhEEEEEEvRNS_18TensorIteratorBaseERKT_EUlibE0_EEviT1_.has_recursion, 0
	.set _ZN2at6native32elementwise_kernel_manual_unrollILi128ELi4EZNS0_15gpu_kernel_implINS0_13BinaryFunctorIhhbNS0_12_GLOBAL__N_116CompareEqFunctorIhEEEEEEvRNS_18TensorIteratorBaseERKT_EUlibE0_EEviT1_.has_indirect_call, 0
	.section	.AMDGPU.csdata,"",@progbits
; Kernel info:
; codeLenInByte = 56528
; TotalNumSgprs: 84
; NumVgprs: 23
; ScratchSize: 0
; MemoryBound: 1
; FloatMode: 240
; IeeeMode: 1
; LDSByteSize: 0 bytes/workgroup (compile time only)
; SGPRBlocks: 10
; VGPRBlocks: 5
; NumSGPRsForWavesPerEU: 84
; NumVGPRsForWavesPerEU: 23
; Occupancy: 9
; WaveLimiterHint : 1
; COMPUTE_PGM_RSRC2:SCRATCH_EN: 0
; COMPUTE_PGM_RSRC2:USER_SGPR: 6
; COMPUTE_PGM_RSRC2:TRAP_HANDLER: 0
; COMPUTE_PGM_RSRC2:TGID_X_EN: 1
; COMPUTE_PGM_RSRC2:TGID_Y_EN: 0
; COMPUTE_PGM_RSRC2:TGID_Z_EN: 0
; COMPUTE_PGM_RSRC2:TIDIG_COMP_CNT: 0
	.section	.text._ZN2at6native29vectorized_elementwise_kernelILi16ENS0_13AUnaryFunctorIhhbNS0_12_GLOBAL__N_116CompareEqFunctorIhEEEESt5arrayIPcLm2EEEEviT0_T1_,"axG",@progbits,_ZN2at6native29vectorized_elementwise_kernelILi16ENS0_13AUnaryFunctorIhhbNS0_12_GLOBAL__N_116CompareEqFunctorIhEEEESt5arrayIPcLm2EEEEviT0_T1_,comdat
	.globl	_ZN2at6native29vectorized_elementwise_kernelILi16ENS0_13AUnaryFunctorIhhbNS0_12_GLOBAL__N_116CompareEqFunctorIhEEEESt5arrayIPcLm2EEEEviT0_T1_ ; -- Begin function _ZN2at6native29vectorized_elementwise_kernelILi16ENS0_13AUnaryFunctorIhhbNS0_12_GLOBAL__N_116CompareEqFunctorIhEEEESt5arrayIPcLm2EEEEviT0_T1_
	.p2align	8
	.type	_ZN2at6native29vectorized_elementwise_kernelILi16ENS0_13AUnaryFunctorIhhbNS0_12_GLOBAL__N_116CompareEqFunctorIhEEEESt5arrayIPcLm2EEEEviT0_T1_,@function
_ZN2at6native29vectorized_elementwise_kernelILi16ENS0_13AUnaryFunctorIhhbNS0_12_GLOBAL__N_116CompareEqFunctorIhEEEESt5arrayIPcLm2EEEEviT0_T1_: ; @_ZN2at6native29vectorized_elementwise_kernelILi16ENS0_13AUnaryFunctorIhhbNS0_12_GLOBAL__N_116CompareEqFunctorIhEEEESt5arrayIPcLm2EEEEviT0_T1_
; %bb.0:
	s_load_dwordx8 s[8:15], s[4:5], 0x0
	s_waitcnt lgkmcnt(0)
	s_lshl_b32 s11, s6, 12
	s_mov_b64 s[0:1], -1
	s_sub_i32 s8, s8, s11
	s_cmpk_gt_i32 s8, 0xfff
	s_cbranch_scc0 .LBB8_2
; %bb.1:
	s_ashr_i32 s30, s11, 31
	s_add_u32 s0, s14, s11
	s_addc_u32 s1, s15, s30
	v_lshlrev_b32_e32 v5, 4, v0
	global_load_dwordx4 v[1:4], v5, s[0:1]
	s_cmp_eq_u32 s9, 0
	s_movk_i32 s0, 0xff
	s_cselect_b64 s[6:7], -1, 0
	s_and_b32 s31, s10, 0xff
	s_waitcnt vmcnt(0)
	v_and_b32_sdwa v7, v1, s0 dst_sel:DWORD dst_unused:UNUSED_PAD src0_sel:WORD_1 src1_sel:DWORD
	v_and_b32_sdwa v9, v2, s0 dst_sel:DWORD dst_unused:UNUSED_PAD src0_sel:WORD_1 src1_sel:DWORD
	;; [unrolled: 1-line block ×4, first 2 shown]
	v_cmp_ne_u16_sdwa s[0:1], v1, s31 src0_sel:BYTE_0 src1_sel:DWORD
	v_cmp_ne_u16_sdwa s[2:3], v1, s31 src0_sel:BYTE_3 src1_sel:DWORD
	s_xor_b64 s[0:1], s[6:7], s[0:1]
	v_lshrrev_b32_e32 v6, 8, v1
	v_cmp_ne_u16_sdwa s[4:5], v2, s31 src0_sel:BYTE_0 src1_sel:DWORD
	v_cndmask_b32_e64 v1, 0, 1, s[0:1]
	s_xor_b64 s[0:1], s[6:7], s[2:3]
	v_lshrrev_b32_e32 v8, 8, v2
	v_cmp_ne_u16_sdwa s[16:17], v2, s31 src0_sel:BYTE_3 src1_sel:DWORD
	v_cmp_ne_u16_sdwa s[20:21], v3, s31 src0_sel:BYTE_3 src1_sel:DWORD
	v_cndmask_b32_e64 v2, 0, 1, s[0:1]
	s_xor_b64 s[0:1], s[6:7], s[4:5]
	v_lshrrev_b32_e32 v10, 8, v3
	v_cmp_ne_u16_sdwa s[18:19], v3, s31 src0_sel:BYTE_0 src1_sel:DWORD
	v_cmp_ne_u16_sdwa s[22:23], v4, s31 src0_sel:BYTE_0 src1_sel:DWORD
	v_cmp_ne_u16_sdwa s[24:25], v4, s31 src0_sel:BYTE_3 src1_sel:DWORD
	v_cndmask_b32_e64 v3, 0, 1, s[0:1]
	v_cmp_ne_u16_e64 s[0:1], s31, v9
	s_xor_b64 s[2:3], s[6:7], s[16:17]
	s_xor_b64 s[4:5], s[6:7], s[20:21]
	v_lshrrev_b32_e32 v12, 8, v4
	v_cmp_ne_u16_sdwa s[26:27], v6, s31 src0_sel:BYTE_0 src1_sel:DWORD
	v_cmp_ne_u16_e32 vcc, s31, v7
	v_cndmask_b32_e64 v4, 0, 1, s[2:3]
	s_xor_b64 s[2:3], s[6:7], s[18:19]
	v_cmp_ne_u16_sdwa s[16:17], v10, s31 src0_sel:BYTE_0 src1_sel:DWORD
	v_cndmask_b32_e64 v7, 0, 1, s[4:5]
	s_xor_b64 s[4:5], s[6:7], s[22:23]
	s_xor_b64 s[20:21], s[6:7], s[24:25]
	;; [unrolled: 1-line block ×3, first 2 shown]
	v_cmp_ne_u16_sdwa s[28:29], v8, s31 src0_sel:BYTE_0 src1_sel:DWORD
	v_cndmask_b32_e64 v6, 0, 1, s[2:3]
	v_cmp_ne_u16_e64 s[2:3], s31, v11
	v_cndmask_b32_e64 v8, 0, 1, s[4:5]
	v_cmp_ne_u16_e64 s[4:5], s31, v13
	v_cndmask_b32_e64 v9, 0, 1, s[20:21]
	s_xor_b64 s[20:21], s[6:7], s[26:27]
	v_cndmask_b32_e64 v13, 0, 1, s[0:1]
	s_xor_b64 s[0:1], s[6:7], s[16:17]
	v_cmp_ne_u16_sdwa s[18:19], v12, s31 src0_sel:BYTE_0 src1_sel:DWORD
	v_cndmask_b32_e64 v10, 0, 1, s[20:21]
	s_xor_b64 s[20:21], s[6:7], vcc
	v_cndmask_b32_e64 v14, 0, 1, s[0:1]
	s_xor_b64 s[0:1], s[6:7], s[2:3]
	v_cndmask_b32_e64 v11, 0, 1, s[20:21]
	s_xor_b64 s[20:21], s[6:7], s[28:29]
	;; [unrolled: 2-line block ×3, first 2 shown]
	v_cndmask_b32_e64 v12, 0, 1, s[20:21]
	v_cndmask_b32_e64 v16, 0, 1, s[0:1]
	s_xor_b64 s[0:1], s[6:7], s[4:5]
	v_lshlrev_b16_e32 v4, 8, v4
	v_cndmask_b32_e64 v17, 0, 1, s[0:1]
	v_lshlrev_b16_e32 v9, 8, v9
	v_lshlrev_b16_e32 v7, 8, v7
	;; [unrolled: 1-line block ×6, first 2 shown]
	v_or_b32_sdwa v13, v13, v4 dst_sel:WORD_1 dst_unused:UNUSED_PAD src0_sel:DWORD src1_sel:DWORD
	v_lshlrev_b16_e32 v4, 8, v10
	s_add_u32 s0, s12, s11
	v_or_b32_sdwa v9, v17, v9 dst_sel:WORD_1 dst_unused:UNUSED_PAD src0_sel:DWORD src1_sel:DWORD
	v_or_b32_sdwa v7, v15, v7 dst_sel:WORD_1 dst_unused:UNUSED_PAD src0_sel:DWORD src1_sel:DWORD
	;; [unrolled: 1-line block ×3, first 2 shown]
	v_or_b32_e32 v2, v8, v16
	v_or_b32_e32 v6, v6, v14
	;; [unrolled: 1-line block ×4, first 2 shown]
	s_addc_u32 s1, s13, s30
	v_or_b32_sdwa v4, v2, v9 dst_sel:DWORD dst_unused:UNUSED_PAD src0_sel:WORD_0 src1_sel:DWORD
	v_or_b32_sdwa v3, v6, v7 dst_sel:DWORD dst_unused:UNUSED_PAD src0_sel:WORD_0 src1_sel:DWORD
	;; [unrolled: 1-line block ×4, first 2 shown]
	global_store_dwordx4 v5, v[1:4], s[0:1]
	s_mov_b64 s[0:1], 0
.LBB8_2:
	s_andn2_b64 vcc, exec, s[0:1]
	s_cbranch_vccnz .LBB8_52
; %bb.3:
	v_cmp_gt_i32_e32 vcc, s8, v0
	v_or_b32_e32 v3, 0x100, v0
	v_mov_b32_e32 v20, 0
	v_or_b32_e32 v4, s11, v0
	v_mov_b32_e32 v19, 0
	v_mov_b32_e32 v18, 0
	;; [unrolled: 1-line block ×15, first 2 shown]
	s_and_saveexec_b64 s[2:3], vcc
	s_cbranch_execz .LBB8_35
; %bb.4:
	global_load_ubyte v11, v4, s[14:15]
	v_cmp_gt_u32_e64 s[0:1], s8, v3
	v_mov_b32_e32 v12, 0
	v_mov_b32_e32 v13, 0
	v_mov_b32_e32 v9, 0
	v_mov_b32_e32 v7, 0
	v_mov_b32_e32 v5, 0
	v_mov_b32_e32 v8, 0
	v_mov_b32_e32 v6, 0
	v_mov_b32_e32 v10, 0
	v_mov_b32_e32 v14, 0
	v_mov_b32_e32 v15, 0
	v_mov_b32_e32 v16, 0
	v_mov_b32_e32 v17, 0
	v_mov_b32_e32 v18, 0
	v_mov_b32_e32 v19, 0
	v_mov_b32_e32 v20, 0
	s_and_saveexec_b64 s[4:5], s[0:1]
	s_cbranch_execz .LBB8_34
; %bb.5:
	v_add_u32_e32 v1, s11, v0
	global_load_ubyte v12, v1, s[14:15] offset:256
	v_or_b32_e32 v2, 0x200, v0
	v_mov_b32_e32 v13, 0
	v_cmp_gt_u32_e64 s[0:1], s8, v2
	v_mov_b32_e32 v9, 0
	v_mov_b32_e32 v7, 0
	;; [unrolled: 1-line block ×13, first 2 shown]
	s_and_saveexec_b64 s[6:7], s[0:1]
	s_cbranch_execz .LBB8_33
; %bb.6:
	v_mov_b32_e32 v2, s15
	v_add_co_u32_e64 v1, s[0:1], s14, v1
	v_addc_co_u32_e64 v2, s[0:1], 0, v2, s[0:1]
	global_load_ubyte v13, v[1:2], off offset:512
	v_or_b32_e32 v5, 0x300, v0
	v_cmp_gt_u32_e64 s[0:1], s8, v5
	v_mov_b32_e32 v9, 0
	v_mov_b32_e32 v7, 0
	;; [unrolled: 1-line block ×13, first 2 shown]
	s_and_saveexec_b64 s[14:15], s[0:1]
	s_cbranch_execz .LBB8_32
; %bb.7:
	global_load_ubyte v9, v[1:2], off offset:768
	v_or_b32_e32 v5, 0x400, v0
	v_cmp_gt_u32_e64 s[0:1], s8, v5
	v_mov_b32_e32 v7, 0
	v_mov_b32_e32 v5, 0
	;; [unrolled: 1-line block ×12, first 2 shown]
	s_and_saveexec_b64 s[16:17], s[0:1]
	s_cbranch_execz .LBB8_31
; %bb.8:
	global_load_ubyte v7, v[1:2], off offset:1024
	v_or_b32_e32 v5, 0x500, v0
	v_cmp_gt_u32_e64 s[0:1], s8, v5
	v_mov_b32_e32 v5, 0
	v_mov_b32_e32 v8, 0
	;; [unrolled: 1-line block ×11, first 2 shown]
	s_and_saveexec_b64 s[18:19], s[0:1]
	s_cbranch_execz .LBB8_30
; %bb.9:
	global_load_ubyte v5, v[1:2], off offset:1280
	v_or_b32_e32 v6, 0x600, v0
	v_cmp_gt_u32_e64 s[0:1], s8, v6
	v_mov_b32_e32 v8, 0
	v_mov_b32_e32 v6, 0
	;; [unrolled: 1-line block ×10, first 2 shown]
	s_and_saveexec_b64 s[20:21], s[0:1]
	s_cbranch_execz .LBB8_29
; %bb.10:
	global_load_ubyte v8, v[1:2], off offset:1536
	v_or_b32_e32 v6, 0x700, v0
	v_cmp_gt_u32_e64 s[0:1], s8, v6
	v_mov_b32_e32 v6, 0
	v_mov_b32_e32 v10, 0
	v_mov_b32_e32 v14, 0
	v_mov_b32_e32 v15, 0
	v_mov_b32_e32 v16, 0
	v_mov_b32_e32 v17, 0
	v_mov_b32_e32 v18, 0
	v_mov_b32_e32 v19, 0
	v_mov_b32_e32 v20, 0
	s_and_saveexec_b64 s[22:23], s[0:1]
	s_cbranch_execz .LBB8_28
; %bb.11:
	global_load_ubyte v6, v[1:2], off offset:1792
	v_or_b32_e32 v10, 0x800, v0
	v_cmp_gt_u32_e64 s[0:1], s8, v10
	v_mov_b32_e32 v10, 0
	v_mov_b32_e32 v14, 0
	;; [unrolled: 1-line block ×8, first 2 shown]
	s_and_saveexec_b64 s[24:25], s[0:1]
	s_cbranch_execz .LBB8_27
; %bb.12:
	global_load_ubyte v10, v[1:2], off offset:2048
	v_or_b32_e32 v14, 0x900, v0
	v_cmp_gt_u32_e64 s[0:1], s8, v14
	v_mov_b32_e32 v14, 0
	v_mov_b32_e32 v15, 0
	;; [unrolled: 1-line block ×7, first 2 shown]
	s_and_saveexec_b64 s[26:27], s[0:1]
	s_cbranch_execz .LBB8_26
; %bb.13:
	global_load_ubyte v14, v[1:2], off offset:2304
	v_or_b32_e32 v15, 0xa00, v0
	v_cmp_gt_u32_e64 s[0:1], s8, v15
	v_mov_b32_e32 v15, 0
	v_mov_b32_e32 v16, 0
	;; [unrolled: 1-line block ×6, first 2 shown]
	s_and_saveexec_b64 s[28:29], s[0:1]
	s_cbranch_execz .LBB8_25
; %bb.14:
	global_load_ubyte v15, v[1:2], off offset:2560
	v_or_b32_e32 v16, 0xb00, v0
	v_cmp_gt_u32_e64 s[0:1], s8, v16
	v_mov_b32_e32 v16, 0
	v_mov_b32_e32 v17, 0
	;; [unrolled: 1-line block ×5, first 2 shown]
	s_and_saveexec_b64 s[30:31], s[0:1]
	s_cbranch_execz .LBB8_24
; %bb.15:
	global_load_ubyte v16, v[1:2], off offset:2816
	v_or_b32_e32 v17, 0xc00, v0
	v_cmp_gt_u32_e64 s[0:1], s8, v17
	v_mov_b32_e32 v17, 0
	v_mov_b32_e32 v18, 0
	;; [unrolled: 1-line block ×4, first 2 shown]
	s_and_saveexec_b64 s[34:35], s[0:1]
	s_cbranch_execz .LBB8_23
; %bb.16:
	global_load_ubyte v17, v[1:2], off offset:3072
	v_or_b32_e32 v18, 0xd00, v0
	v_cmp_gt_u32_e64 s[0:1], s8, v18
	v_mov_b32_e32 v18, 0
	v_mov_b32_e32 v19, 0
	;; [unrolled: 1-line block ×3, first 2 shown]
	s_and_saveexec_b64 s[36:37], s[0:1]
	s_cbranch_execz .LBB8_22
; %bb.17:
	global_load_ubyte v18, v[1:2], off offset:3328
	v_or_b32_e32 v19, 0xe00, v0
	v_cmp_gt_u32_e64 s[0:1], s8, v19
	v_mov_b32_e32 v19, 0
	v_mov_b32_e32 v20, 0
	s_and_saveexec_b64 s[38:39], s[0:1]
	s_cbranch_execz .LBB8_21
; %bb.18:
	global_load_ubyte v19, v[1:2], off offset:3584
	v_or_b32_e32 v20, 0xf00, v0
	v_cmp_gt_u32_e64 s[0:1], s8, v20
	v_mov_b32_e32 v20, 0
	s_and_saveexec_b64 s[40:41], s[0:1]
	s_cbranch_execz .LBB8_20
; %bb.19:
	global_load_ubyte v20, v[1:2], off offset:3840
.LBB8_20:
	s_or_b64 exec, exec, s[40:41]
.LBB8_21:
	s_or_b64 exec, exec, s[38:39]
.LBB8_22:
	s_or_b64 exec, exec, s[36:37]
.LBB8_23:
	s_or_b64 exec, exec, s[34:35]
.LBB8_24:
	s_or_b64 exec, exec, s[30:31]
.LBB8_25:
	s_or_b64 exec, exec, s[28:29]
.LBB8_26:
	s_or_b64 exec, exec, s[26:27]
.LBB8_27:
	s_or_b64 exec, exec, s[24:25]
.LBB8_28:
	s_or_b64 exec, exec, s[22:23]
.LBB8_29:
	s_or_b64 exec, exec, s[20:21]
.LBB8_30:
	s_or_b64 exec, exec, s[18:19]
.LBB8_31:
	s_or_b64 exec, exec, s[16:17]
.LBB8_32:
	s_or_b64 exec, exec, s[14:15]
.LBB8_33:
	s_or_b64 exec, exec, s[6:7]
.LBB8_34:
	s_or_b64 exec, exec, s[4:5]
.LBB8_35:
	s_or_b64 exec, exec, s[2:3]
	s_cmp_eq_u32 s9, 0
	s_cselect_b64 s[2:3], -1, 0
	s_and_b32 s5, s10, 0xff
	s_waitcnt vmcnt(0)
	v_cmp_ne_u16_sdwa s[0:1], v11, s5 src0_sel:BYTE_0 src1_sel:DWORD
	s_xor_b64 s[0:1], s[2:3], s[0:1]
	v_cndmask_b32_e64 v1, 0, 1, s[0:1]
	v_cmp_ne_u16_sdwa s[0:1], v12, s5 src0_sel:BYTE_0 src1_sel:DWORD
	s_xor_b64 s[0:1], s[2:3], s[0:1]
	v_cndmask_b32_e64 v2, 0, 1, s[0:1]
	v_cndmask_b32_e32 v1, 0, v1, vcc
	v_lshlrev_b16_e32 v2, 8, v2
	v_or_b32_e32 v2, v1, v2
	v_and_b32_e32 v2, 0xffff, v2
	v_cmp_gt_i32_e64 s[0:1], s8, v3
	v_cndmask_b32_e64 v1, v1, v2, s[0:1]
	v_cmp_ne_u16_sdwa s[0:1], v13, s5 src0_sel:BYTE_0 src1_sel:DWORD
	s_xor_b64 s[0:1], s[2:3], s[0:1]
	v_or_b32_e32 v2, 0x200, v0
	v_cndmask_b32_e64 v11, 0, 1, s[0:1]
	v_lshl_or_b32 v11, v11, 16, v1
	v_cmp_gt_i32_e64 s[0:1], s8, v2
	v_cndmask_b32_e64 v1, v1, v11, s[0:1]
	v_cmp_ne_u16_sdwa s[0:1], v9, s5 src0_sel:BYTE_0 src1_sel:DWORD
	s_xor_b64 s[0:1], s[2:3], s[0:1]
	s_movk_i32 s4, 0xff
	v_cndmask_b32_e64 v9, 0, 1, s[0:1]
	v_and_b32_sdwa v2, v1, s4 dst_sel:DWORD dst_unused:UNUSED_PAD src0_sel:WORD_1 src1_sel:DWORD
	v_lshlrev_b16_e32 v9, 8, v9
	s_mov_b32 s6, 0xffff
	v_or_b32_e32 v11, 0x300, v0
	v_or_b32_sdwa v2, v2, v9 dst_sel:WORD_1 dst_unused:UNUSED_PAD src0_sel:DWORD src1_sel:DWORD
	v_and_or_b32 v2, v1, s6, v2
	v_cmp_gt_i32_e64 s[0:1], s8, v11
	v_cndmask_b32_e64 v9, v1, v2, s[0:1]
	v_cmp_ne_u16_sdwa s[0:1], v7, s5 src0_sel:BYTE_0 src1_sel:DWORD
	s_xor_b64 s[0:1], s[2:3], s[0:1]
	v_cndmask_b32_e64 v1, 0, 1, s[0:1]
	v_or_b32_e32 v2, 0x400, v0
	v_and_b32_e32 v1, 0xffff, v1
	v_cmp_gt_i32_e64 s[0:1], s8, v2
	v_cndmask_b32_e64 v1, 0, v1, s[0:1]
	v_cmp_ne_u16_sdwa s[0:1], v5, s5 src0_sel:BYTE_0 src1_sel:DWORD
	s_xor_b64 s[0:1], s[2:3], s[0:1]
	v_cndmask_b32_e64 v5, 0, 1, s[0:1]
	v_lshlrev_b16_e32 v5, 8, v5
	v_or_b32_e32 v2, 0x500, v0
	v_or_b32_sdwa v5, v1, v5 dst_sel:DWORD dst_unused:UNUSED_PAD src0_sel:BYTE_0 src1_sel:DWORD
	v_and_b32_e32 v5, 0xffff, v5
	v_cmp_gt_i32_e64 s[0:1], s8, v2
	v_cndmask_b32_e64 v1, v1, v5, s[0:1]
	v_cmp_ne_u16_sdwa s[0:1], v8, s5 src0_sel:BYTE_0 src1_sel:DWORD
	s_movk_i32 s7, 0xff00
	s_xor_b64 s[0:1], s[2:3], s[0:1]
	v_and_b32_sdwa v2, v1, s7 dst_sel:DWORD dst_unused:UNUSED_PAD src0_sel:WORD_1 src1_sel:DWORD
	v_cndmask_b32_e64 v5, 0, 1, s[0:1]
	v_or_b32_sdwa v2, v5, v2 dst_sel:WORD_1 dst_unused:UNUSED_PAD src0_sel:DWORD src1_sel:DWORD
	v_or_b32_e32 v5, 0x600, v0
	v_and_or_b32 v2, v1, s6, v2
	v_cmp_gt_i32_e64 s[0:1], s8, v5
	v_cndmask_b32_e64 v1, v1, v2, s[0:1]
	v_cmp_ne_u16_sdwa s[0:1], v6, s5 src0_sel:BYTE_0 src1_sel:DWORD
	s_xor_b64 s[0:1], s[2:3], s[0:1]
	v_cndmask_b32_e64 v6, 0, 1, s[0:1]
	v_and_b32_sdwa v2, v1, s4 dst_sel:DWORD dst_unused:UNUSED_PAD src0_sel:WORD_1 src1_sel:DWORD
	v_lshlrev_b16_e32 v6, 8, v6
	v_or_b32_e32 v5, 0x700, v0
	v_or_b32_sdwa v2, v2, v6 dst_sel:WORD_1 dst_unused:UNUSED_PAD src0_sel:DWORD src1_sel:DWORD
	v_and_or_b32 v2, v1, s6, v2
	v_cmp_gt_i32_e64 s[0:1], s8, v5
	v_cndmask_b32_e64 v5, v1, v2, s[0:1]
	v_cmp_ne_u16_sdwa s[0:1], v10, s5 src0_sel:BYTE_0 src1_sel:DWORD
	v_or_b32_e32 v1, 0x800, v0
	s_xor_b64 s[0:1], s[2:3], s[0:1]
	v_cndmask_b32_e64 v2, 0, 1, s[0:1]
	v_cmp_gt_i32_e64 s[0:1], s8, v1
	v_cndmask_b32_e64 v1, 0, v2, s[0:1]
	v_cmp_ne_u16_sdwa s[0:1], v14, s5 src0_sel:BYTE_0 src1_sel:DWORD
	s_xor_b64 s[0:1], s[2:3], s[0:1]
	v_cndmask_b32_e64 v6, 0, 1, s[0:1]
	v_lshlrev_b16_e32 v6, 8, v6
	v_or_b32_e32 v2, 0x900, v0
	v_or_b32_e32 v6, v1, v6
	v_and_b32_e32 v6, 0xffff, v6
	v_cmp_gt_i32_e64 s[0:1], s8, v2
	v_cndmask_b32_e64 v1, v1, v6, s[0:1]
	v_cmp_ne_u16_sdwa s[0:1], v15, s5 src0_sel:BYTE_0 src1_sel:DWORD
	s_xor_b64 s[0:1], s[2:3], s[0:1]
	v_cndmask_b32_e64 v6, 0, 1, s[0:1]
	v_or_b32_e32 v2, 0xa00, v0
	v_lshlrev_b32_e32 v6, 16, v6
	s_movk_i32 s0, 0x1ff
	v_and_or_b32 v6, v1, s0, v6
	v_cmp_gt_i32_e64 s[0:1], s8, v2
	v_cndmask_b32_e64 v1, v1, v6, s[0:1]
	v_cmp_ne_u16_sdwa s[0:1], v16, s5 src0_sel:BYTE_0 src1_sel:DWORD
	s_xor_b64 s[0:1], s[2:3], s[0:1]
	v_cndmask_b32_e64 v7, 0, 1, s[0:1]
	v_and_b32_sdwa v2, v1, s4 dst_sel:DWORD dst_unused:UNUSED_PAD src0_sel:WORD_1 src1_sel:DWORD
	v_lshlrev_b16_e32 v7, 8, v7
	v_or_b32_e32 v6, 0xb00, v0
	v_or_b32_sdwa v2, v2, v7 dst_sel:WORD_1 dst_unused:UNUSED_PAD src0_sel:DWORD src1_sel:DWORD
	v_and_or_b32 v2, v1, s6, v2
	v_cmp_gt_i32_e64 s[0:1], s8, v6
	v_cndmask_b32_e64 v2, v1, v2, s[0:1]
	v_cmp_ne_u16_sdwa s[0:1], v17, s5 src0_sel:BYTE_0 src1_sel:DWORD
	v_or_b32_e32 v1, 0xc00, v0
	s_xor_b64 s[0:1], s[2:3], s[0:1]
	v_cndmask_b32_e64 v6, 0, 1, s[0:1]
	v_cmp_gt_i32_e64 s[0:1], s8, v1
	v_cndmask_b32_e64 v1, 0, v6, s[0:1]
	v_cmp_ne_u16_sdwa s[0:1], v18, s5 src0_sel:BYTE_0 src1_sel:DWORD
	s_xor_b64 s[0:1], s[2:3], s[0:1]
	v_cndmask_b32_e64 v7, 0, 1, s[0:1]
	v_lshlrev_b16_e32 v7, 8, v7
	v_or_b32_e32 v6, 0xd00, v0
	v_or_b32_sdwa v7, v1, v7 dst_sel:DWORD dst_unused:UNUSED_PAD src0_sel:BYTE_0 src1_sel:DWORD
	v_and_b32_e32 v7, 0xffff, v7
	v_cmp_gt_i32_e64 s[0:1], s8, v6
	v_cndmask_b32_e64 v1, v1, v7, s[0:1]
	v_cmp_ne_u16_sdwa s[0:1], v19, s5 src0_sel:BYTE_0 src1_sel:DWORD
	s_xor_b64 s[0:1], s[2:3], s[0:1]
	v_and_b32_sdwa v6, v1, s7 dst_sel:DWORD dst_unused:UNUSED_PAD src0_sel:WORD_1 src1_sel:DWORD
	v_cndmask_b32_e64 v7, 0, 1, s[0:1]
	v_or_b32_sdwa v6, v7, v6 dst_sel:WORD_1 dst_unused:UNUSED_PAD src0_sel:DWORD src1_sel:DWORD
	v_or_b32_e32 v7, 0xe00, v0
	v_and_or_b32 v6, v1, s6, v6
	v_cmp_gt_i32_e64 s[0:1], s8, v7
	v_cndmask_b32_e64 v1, v1, v6, s[0:1]
	v_cmp_ne_u16_sdwa s[0:1], v20, s5 src0_sel:BYTE_0 src1_sel:DWORD
	s_xor_b64 s[0:1], s[2:3], s[0:1]
	v_cndmask_b32_e64 v8, 0, 1, s[0:1]
	v_and_b32_sdwa v6, v1, s4 dst_sel:DWORD dst_unused:UNUSED_PAD src0_sel:WORD_1 src1_sel:DWORD
	v_lshlrev_b16_e32 v8, 8, v8
	v_or_b32_e32 v7, 0xf00, v0
	v_or_b32_sdwa v6, v6, v8 dst_sel:WORD_1 dst_unused:UNUSED_PAD src0_sel:DWORD src1_sel:DWORD
	v_and_or_b32 v6, v1, s6, v6
	v_cmp_gt_i32_e64 s[0:1], s8, v7
	v_cndmask_b32_e64 v1, v1, v6, s[0:1]
	s_and_saveexec_b64 s[0:1], vcc
	s_cbranch_execnz .LBB8_53
; %bb.36:
	s_or_b64 exec, exec, s[0:1]
	v_cmp_gt_i32_e32 vcc, s8, v0
	s_and_saveexec_b64 s[0:1], vcc
	s_cbranch_execnz .LBB8_54
.LBB8_37:
	s_or_b64 exec, exec, s[0:1]
	v_cmp_gt_i32_e32 vcc, s8, v0
	s_and_saveexec_b64 s[0:1], vcc
	s_cbranch_execnz .LBB8_55
.LBB8_38:
	s_or_b64 exec, exec, s[0:1]
	v_cmp_gt_i32_e32 vcc, s8, v0
	s_and_saveexec_b64 s[0:1], vcc
	s_cbranch_execnz .LBB8_56
.LBB8_39:
	s_or_b64 exec, exec, s[0:1]
	v_cmp_gt_i32_e32 vcc, s8, v0
	s_and_saveexec_b64 s[0:1], vcc
	s_cbranch_execnz .LBB8_57
.LBB8_40:
	s_or_b64 exec, exec, s[0:1]
	v_cmp_gt_i32_e32 vcc, s8, v0
	s_and_saveexec_b64 s[0:1], vcc
	s_cbranch_execnz .LBB8_58
.LBB8_41:
	s_or_b64 exec, exec, s[0:1]
	v_cmp_gt_i32_e32 vcc, s8, v0
	s_and_saveexec_b64 s[0:1], vcc
	s_cbranch_execnz .LBB8_59
.LBB8_42:
	s_or_b64 exec, exec, s[0:1]
	v_cmp_gt_i32_e32 vcc, s8, v0
	s_and_saveexec_b64 s[0:1], vcc
	s_cbranch_execnz .LBB8_60
.LBB8_43:
	s_or_b64 exec, exec, s[0:1]
	v_cmp_gt_i32_e32 vcc, s8, v0
	s_and_saveexec_b64 s[0:1], vcc
	s_cbranch_execnz .LBB8_61
.LBB8_44:
	s_or_b64 exec, exec, s[0:1]
	v_cmp_gt_i32_e32 vcc, s8, v0
	s_and_saveexec_b64 s[0:1], vcc
	s_cbranch_execnz .LBB8_62
.LBB8_45:
	s_or_b64 exec, exec, s[0:1]
	v_cmp_gt_i32_e32 vcc, s8, v0
	s_and_saveexec_b64 s[0:1], vcc
	s_cbranch_execnz .LBB8_63
.LBB8_46:
	s_or_b64 exec, exec, s[0:1]
	v_cmp_gt_i32_e32 vcc, s8, v0
	s_and_saveexec_b64 s[0:1], vcc
	s_cbranch_execnz .LBB8_64
.LBB8_47:
	s_or_b64 exec, exec, s[0:1]
	v_cmp_gt_i32_e32 vcc, s8, v0
	s_and_saveexec_b64 s[0:1], vcc
	s_cbranch_execnz .LBB8_65
.LBB8_48:
	s_or_b64 exec, exec, s[0:1]
	v_cmp_gt_i32_e32 vcc, s8, v0
	s_and_saveexec_b64 s[0:1], vcc
	s_cbranch_execnz .LBB8_66
.LBB8_49:
	s_or_b64 exec, exec, s[0:1]
	v_cmp_gt_i32_e32 vcc, s8, v0
	s_and_saveexec_b64 s[0:1], vcc
	s_cbranch_execnz .LBB8_67
.LBB8_50:
	s_or_b64 exec, exec, s[0:1]
	v_cmp_gt_i32_e32 vcc, s8, v0
	s_and_saveexec_b64 s[0:1], vcc
	s_cbranch_execz .LBB8_52
.LBB8_51:
	v_lshrrev_b32_e32 v1, 24, v1
	v_add_u32_e32 v0, s11, v0
	global_store_byte v0, v1, s[12:13]
.LBB8_52:
	s_endpgm
.LBB8_53:
	v_mov_b32_e32 v0, v3
	global_store_byte v4, v9, s[12:13]
	s_or_b64 exec, exec, s[0:1]
	v_cmp_gt_i32_e32 vcc, s8, v0
	s_and_saveexec_b64 s[0:1], vcc
	s_cbranch_execz .LBB8_37
.LBB8_54:
	v_lshrrev_b32_e32 v3, 8, v9
	v_add_u32_e32 v4, s11, v0
	v_add_u32_e32 v0, 0x100, v0
	global_store_byte v4, v3, s[12:13]
	s_or_b64 exec, exec, s[0:1]
	v_cmp_gt_i32_e32 vcc, s8, v0
	s_and_saveexec_b64 s[0:1], vcc
	s_cbranch_execz .LBB8_38
.LBB8_55:
	v_add_u32_e32 v3, s11, v0
	v_add_u32_e32 v0, 0x100, v0
	global_store_byte_d16_hi v3, v9, s[12:13]
	s_or_b64 exec, exec, s[0:1]
	v_cmp_gt_i32_e32 vcc, s8, v0
	s_and_saveexec_b64 s[0:1], vcc
	s_cbranch_execz .LBB8_39
.LBB8_56:
	v_lshrrev_b32_e32 v3, 24, v9
	v_add_u32_e32 v4, s11, v0
	v_add_u32_e32 v0, 0x100, v0
	global_store_byte v4, v3, s[12:13]
	s_or_b64 exec, exec, s[0:1]
	v_cmp_gt_i32_e32 vcc, s8, v0
	s_and_saveexec_b64 s[0:1], vcc
	s_cbranch_execz .LBB8_40
.LBB8_57:
	v_add_u32_e32 v3, s11, v0
	v_add_u32_e32 v0, 0x100, v0
	global_store_byte v3, v5, s[12:13]
	s_or_b64 exec, exec, s[0:1]
	v_cmp_gt_i32_e32 vcc, s8, v0
	s_and_saveexec_b64 s[0:1], vcc
	s_cbranch_execz .LBB8_41
.LBB8_58:
	v_lshrrev_b32_e32 v3, 8, v5
	v_add_u32_e32 v4, s11, v0
	v_add_u32_e32 v0, 0x100, v0
	global_store_byte v4, v3, s[12:13]
	s_or_b64 exec, exec, s[0:1]
	v_cmp_gt_i32_e32 vcc, s8, v0
	s_and_saveexec_b64 s[0:1], vcc
	s_cbranch_execz .LBB8_42
.LBB8_59:
	v_add_u32_e32 v3, s11, v0
	v_add_u32_e32 v0, 0x100, v0
	global_store_byte_d16_hi v3, v5, s[12:13]
	s_or_b64 exec, exec, s[0:1]
	v_cmp_gt_i32_e32 vcc, s8, v0
	s_and_saveexec_b64 s[0:1], vcc
	s_cbranch_execz .LBB8_43
.LBB8_60:
	v_lshrrev_b32_e32 v3, 24, v5
	v_add_u32_e32 v4, s11, v0
	v_add_u32_e32 v0, 0x100, v0
	global_store_byte v4, v3, s[12:13]
	s_or_b64 exec, exec, s[0:1]
	v_cmp_gt_i32_e32 vcc, s8, v0
	s_and_saveexec_b64 s[0:1], vcc
	s_cbranch_execz .LBB8_44
.LBB8_61:
	v_add_u32_e32 v3, s11, v0
	v_add_u32_e32 v0, 0x100, v0
	global_store_byte v3, v2, s[12:13]
	s_or_b64 exec, exec, s[0:1]
	v_cmp_gt_i32_e32 vcc, s8, v0
	s_and_saveexec_b64 s[0:1], vcc
	s_cbranch_execz .LBB8_45
.LBB8_62:
	v_lshrrev_b32_e32 v3, 8, v2
	v_add_u32_e32 v4, s11, v0
	v_add_u32_e32 v0, 0x100, v0
	global_store_byte v4, v3, s[12:13]
	s_or_b64 exec, exec, s[0:1]
	v_cmp_gt_i32_e32 vcc, s8, v0
	s_and_saveexec_b64 s[0:1], vcc
	s_cbranch_execz .LBB8_46
.LBB8_63:
	v_add_u32_e32 v3, s11, v0
	v_add_u32_e32 v0, 0x100, v0
	global_store_byte_d16_hi v3, v2, s[12:13]
	s_or_b64 exec, exec, s[0:1]
	v_cmp_gt_i32_e32 vcc, s8, v0
	s_and_saveexec_b64 s[0:1], vcc
	s_cbranch_execz .LBB8_47
.LBB8_64:
	v_lshrrev_b32_e32 v2, 24, v2
	v_add_u32_e32 v3, s11, v0
	v_add_u32_e32 v0, 0x100, v0
	global_store_byte v3, v2, s[12:13]
	s_or_b64 exec, exec, s[0:1]
	v_cmp_gt_i32_e32 vcc, s8, v0
	s_and_saveexec_b64 s[0:1], vcc
	s_cbranch_execz .LBB8_48
.LBB8_65:
	v_add_u32_e32 v2, s11, v0
	v_add_u32_e32 v0, 0x100, v0
	global_store_byte v2, v1, s[12:13]
	s_or_b64 exec, exec, s[0:1]
	v_cmp_gt_i32_e32 vcc, s8, v0
	s_and_saveexec_b64 s[0:1], vcc
	s_cbranch_execz .LBB8_49
.LBB8_66:
	v_lshrrev_b32_e32 v2, 8, v1
	v_add_u32_e32 v3, s11, v0
	v_add_u32_e32 v0, 0x100, v0
	global_store_byte v3, v2, s[12:13]
	s_or_b64 exec, exec, s[0:1]
	v_cmp_gt_i32_e32 vcc, s8, v0
	s_and_saveexec_b64 s[0:1], vcc
	s_cbranch_execz .LBB8_50
.LBB8_67:
	v_add_u32_e32 v2, s11, v0
	v_add_u32_e32 v0, 0x100, v0
	global_store_byte_d16_hi v2, v1, s[12:13]
	s_or_b64 exec, exec, s[0:1]
	v_cmp_gt_i32_e32 vcc, s8, v0
	s_and_saveexec_b64 s[0:1], vcc
	s_cbranch_execnz .LBB8_51
	s_branch .LBB8_52
	.section	.rodata,"a",@progbits
	.p2align	6, 0x0
	.amdhsa_kernel _ZN2at6native29vectorized_elementwise_kernelILi16ENS0_13AUnaryFunctorIhhbNS0_12_GLOBAL__N_116CompareEqFunctorIhEEEESt5arrayIPcLm2EEEEviT0_T1_
		.amdhsa_group_segment_fixed_size 0
		.amdhsa_private_segment_fixed_size 0
		.amdhsa_kernarg_size 32
		.amdhsa_user_sgpr_count 6
		.amdhsa_user_sgpr_private_segment_buffer 1
		.amdhsa_user_sgpr_dispatch_ptr 0
		.amdhsa_user_sgpr_queue_ptr 0
		.amdhsa_user_sgpr_kernarg_segment_ptr 1
		.amdhsa_user_sgpr_dispatch_id 0
		.amdhsa_user_sgpr_flat_scratch_init 0
		.amdhsa_user_sgpr_private_segment_size 0
		.amdhsa_uses_dynamic_stack 0
		.amdhsa_system_sgpr_private_segment_wavefront_offset 0
		.amdhsa_system_sgpr_workgroup_id_x 1
		.amdhsa_system_sgpr_workgroup_id_y 0
		.amdhsa_system_sgpr_workgroup_id_z 0
		.amdhsa_system_sgpr_workgroup_info 0
		.amdhsa_system_vgpr_workitem_id 0
		.amdhsa_next_free_vgpr 21
		.amdhsa_next_free_sgpr 42
		.amdhsa_reserve_vcc 1
		.amdhsa_reserve_flat_scratch 0
		.amdhsa_float_round_mode_32 0
		.amdhsa_float_round_mode_16_64 0
		.amdhsa_float_denorm_mode_32 3
		.amdhsa_float_denorm_mode_16_64 3
		.amdhsa_dx10_clamp 1
		.amdhsa_ieee_mode 1
		.amdhsa_fp16_overflow 0
		.amdhsa_exception_fp_ieee_invalid_op 0
		.amdhsa_exception_fp_denorm_src 0
		.amdhsa_exception_fp_ieee_div_zero 0
		.amdhsa_exception_fp_ieee_overflow 0
		.amdhsa_exception_fp_ieee_underflow 0
		.amdhsa_exception_fp_ieee_inexact 0
		.amdhsa_exception_int_div_zero 0
	.end_amdhsa_kernel
	.section	.text._ZN2at6native29vectorized_elementwise_kernelILi16ENS0_13AUnaryFunctorIhhbNS0_12_GLOBAL__N_116CompareEqFunctorIhEEEESt5arrayIPcLm2EEEEviT0_T1_,"axG",@progbits,_ZN2at6native29vectorized_elementwise_kernelILi16ENS0_13AUnaryFunctorIhhbNS0_12_GLOBAL__N_116CompareEqFunctorIhEEEESt5arrayIPcLm2EEEEviT0_T1_,comdat
.Lfunc_end8:
	.size	_ZN2at6native29vectorized_elementwise_kernelILi16ENS0_13AUnaryFunctorIhhbNS0_12_GLOBAL__N_116CompareEqFunctorIhEEEESt5arrayIPcLm2EEEEviT0_T1_, .Lfunc_end8-_ZN2at6native29vectorized_elementwise_kernelILi16ENS0_13AUnaryFunctorIhhbNS0_12_GLOBAL__N_116CompareEqFunctorIhEEEESt5arrayIPcLm2EEEEviT0_T1_
                                        ; -- End function
	.set _ZN2at6native29vectorized_elementwise_kernelILi16ENS0_13AUnaryFunctorIhhbNS0_12_GLOBAL__N_116CompareEqFunctorIhEEEESt5arrayIPcLm2EEEEviT0_T1_.num_vgpr, 21
	.set _ZN2at6native29vectorized_elementwise_kernelILi16ENS0_13AUnaryFunctorIhhbNS0_12_GLOBAL__N_116CompareEqFunctorIhEEEESt5arrayIPcLm2EEEEviT0_T1_.num_agpr, 0
	.set _ZN2at6native29vectorized_elementwise_kernelILi16ENS0_13AUnaryFunctorIhhbNS0_12_GLOBAL__N_116CompareEqFunctorIhEEEESt5arrayIPcLm2EEEEviT0_T1_.numbered_sgpr, 42
	.set _ZN2at6native29vectorized_elementwise_kernelILi16ENS0_13AUnaryFunctorIhhbNS0_12_GLOBAL__N_116CompareEqFunctorIhEEEESt5arrayIPcLm2EEEEviT0_T1_.num_named_barrier, 0
	.set _ZN2at6native29vectorized_elementwise_kernelILi16ENS0_13AUnaryFunctorIhhbNS0_12_GLOBAL__N_116CompareEqFunctorIhEEEESt5arrayIPcLm2EEEEviT0_T1_.private_seg_size, 0
	.set _ZN2at6native29vectorized_elementwise_kernelILi16ENS0_13AUnaryFunctorIhhbNS0_12_GLOBAL__N_116CompareEqFunctorIhEEEESt5arrayIPcLm2EEEEviT0_T1_.uses_vcc, 1
	.set _ZN2at6native29vectorized_elementwise_kernelILi16ENS0_13AUnaryFunctorIhhbNS0_12_GLOBAL__N_116CompareEqFunctorIhEEEESt5arrayIPcLm2EEEEviT0_T1_.uses_flat_scratch, 0
	.set _ZN2at6native29vectorized_elementwise_kernelILi16ENS0_13AUnaryFunctorIhhbNS0_12_GLOBAL__N_116CompareEqFunctorIhEEEESt5arrayIPcLm2EEEEviT0_T1_.has_dyn_sized_stack, 0
	.set _ZN2at6native29vectorized_elementwise_kernelILi16ENS0_13AUnaryFunctorIhhbNS0_12_GLOBAL__N_116CompareEqFunctorIhEEEESt5arrayIPcLm2EEEEviT0_T1_.has_recursion, 0
	.set _ZN2at6native29vectorized_elementwise_kernelILi16ENS0_13AUnaryFunctorIhhbNS0_12_GLOBAL__N_116CompareEqFunctorIhEEEESt5arrayIPcLm2EEEEviT0_T1_.has_indirect_call, 0
	.section	.AMDGPU.csdata,"",@progbits
; Kernel info:
; codeLenInByte = 3528
; TotalNumSgprs: 46
; NumVgprs: 21
; ScratchSize: 0
; MemoryBound: 0
; FloatMode: 240
; IeeeMode: 1
; LDSByteSize: 0 bytes/workgroup (compile time only)
; SGPRBlocks: 5
; VGPRBlocks: 5
; NumSGPRsForWavesPerEU: 46
; NumVGPRsForWavesPerEU: 21
; Occupancy: 10
; WaveLimiterHint : 0
; COMPUTE_PGM_RSRC2:SCRATCH_EN: 0
; COMPUTE_PGM_RSRC2:USER_SGPR: 6
; COMPUTE_PGM_RSRC2:TRAP_HANDLER: 0
; COMPUTE_PGM_RSRC2:TGID_X_EN: 1
; COMPUTE_PGM_RSRC2:TGID_Y_EN: 0
; COMPUTE_PGM_RSRC2:TGID_Z_EN: 0
; COMPUTE_PGM_RSRC2:TIDIG_COMP_CNT: 0
	.section	.text._ZN2at6native29vectorized_elementwise_kernelILi8ENS0_13AUnaryFunctorIhhbNS0_12_GLOBAL__N_116CompareEqFunctorIhEEEESt5arrayIPcLm2EEEEviT0_T1_,"axG",@progbits,_ZN2at6native29vectorized_elementwise_kernelILi8ENS0_13AUnaryFunctorIhhbNS0_12_GLOBAL__N_116CompareEqFunctorIhEEEESt5arrayIPcLm2EEEEviT0_T1_,comdat
	.globl	_ZN2at6native29vectorized_elementwise_kernelILi8ENS0_13AUnaryFunctorIhhbNS0_12_GLOBAL__N_116CompareEqFunctorIhEEEESt5arrayIPcLm2EEEEviT0_T1_ ; -- Begin function _ZN2at6native29vectorized_elementwise_kernelILi8ENS0_13AUnaryFunctorIhhbNS0_12_GLOBAL__N_116CompareEqFunctorIhEEEESt5arrayIPcLm2EEEEviT0_T1_
	.p2align	8
	.type	_ZN2at6native29vectorized_elementwise_kernelILi8ENS0_13AUnaryFunctorIhhbNS0_12_GLOBAL__N_116CompareEqFunctorIhEEEESt5arrayIPcLm2EEEEviT0_T1_,@function
_ZN2at6native29vectorized_elementwise_kernelILi8ENS0_13AUnaryFunctorIhhbNS0_12_GLOBAL__N_116CompareEqFunctorIhEEEESt5arrayIPcLm2EEEEviT0_T1_: ; @_ZN2at6native29vectorized_elementwise_kernelILi8ENS0_13AUnaryFunctorIhhbNS0_12_GLOBAL__N_116CompareEqFunctorIhEEEESt5arrayIPcLm2EEEEviT0_T1_
; %bb.0:
	s_load_dwordx8 s[8:15], s[4:5], 0x0
	s_waitcnt lgkmcnt(0)
	s_lshl_b32 s11, s6, 12
	s_mov_b64 s[0:1], -1
	s_sub_i32 s8, s8, s11
	s_cmpk_gt_i32 s8, 0xfff
	s_cbranch_scc0 .LBB9_2
; %bb.1:
	s_ashr_i32 s30, s11, 31
	s_add_u32 s0, s14, s11
	s_addc_u32 s1, s15, s30
	v_lshlrev_b32_e32 v5, 3, v0
	global_load_dwordx2 v[1:2], v5, s[0:1]
	global_load_dwordx2 v[3:4], v5, s[0:1] offset:2048
	s_cmp_eq_u32 s9, 0
	s_cselect_b64 s[6:7], -1, 0
	s_and_b32 s31, s10, 0xff
	s_movk_i32 s24, 0xff
	s_waitcnt vmcnt(1)
	v_cmp_ne_u16_sdwa s[0:1], v1, s31 src0_sel:BYTE_0 src1_sel:DWORD
	v_cmp_ne_u16_sdwa s[2:3], v1, s31 src0_sel:BYTE_3 src1_sel:DWORD
	s_xor_b64 s[0:1], s[6:7], s[0:1]
	v_lshrrev_b32_e32 v6, 8, v1
	v_and_b32_sdwa v7, v1, s24 dst_sel:DWORD dst_unused:UNUSED_PAD src0_sel:WORD_1 src1_sel:DWORD
	v_cmp_ne_u16_sdwa s[4:5], v2, s31 src0_sel:BYTE_0 src1_sel:DWORD
	v_lshrrev_b32_e32 v1, 8, v2
	v_and_b32_sdwa v8, v2, s24 dst_sel:DWORD dst_unused:UNUSED_PAD src0_sel:WORD_1 src1_sel:DWORD
	v_cmp_ne_u16_sdwa s[16:17], v2, s31 src0_sel:BYTE_3 src1_sel:DWORD
	s_waitcnt vmcnt(0)
	v_cmp_ne_u16_sdwa s[18:19], v3, s31 src0_sel:BYTE_0 src1_sel:DWORD
	v_lshrrev_b32_e32 v2, 8, v3
	v_and_b32_sdwa v9, v3, s24 dst_sel:DWORD dst_unused:UNUSED_PAD src0_sel:WORD_1 src1_sel:DWORD
	v_cmp_ne_u16_sdwa s[20:21], v3, s31 src0_sel:BYTE_3 src1_sel:DWORD
	v_cmp_ne_u16_sdwa s[22:23], v4, s31 src0_sel:BYTE_0 src1_sel:DWORD
	v_lshrrev_b32_e32 v3, 8, v4
	v_and_b32_sdwa v10, v4, s24 dst_sel:DWORD dst_unused:UNUSED_PAD src0_sel:WORD_1 src1_sel:DWORD
	v_cmp_ne_u16_sdwa s[24:25], v4, s31 src0_sel:BYTE_3 src1_sel:DWORD
	v_cndmask_b32_e64 v4, 0, 1, s[0:1]
	s_xor_b64 s[0:1], s[6:7], s[2:3]
	v_cmp_ne_u16_sdwa s[26:27], v6, s31 src0_sel:BYTE_0 src1_sel:DWORD
	v_cndmask_b32_e64 v6, 0, 1, s[0:1]
	s_xor_b64 s[0:1], s[6:7], s[4:5]
	v_cmp_ne_u16_e32 vcc, s31, v7
	v_cndmask_b32_e64 v7, 0, 1, s[0:1]
	v_cmp_ne_u16_e64 s[0:1], s31, v8
	s_xor_b64 s[2:3], s[6:7], s[16:17]
	v_cmp_ne_u16_sdwa s[28:29], v1, s31 src0_sel:BYTE_0 src1_sel:DWORD
	v_cndmask_b32_e64 v1, 0, 1, s[2:3]
	s_xor_b64 s[2:3], s[6:7], s[18:19]
	v_cmp_ne_u16_sdwa s[16:17], v2, s31 src0_sel:BYTE_0 src1_sel:DWORD
	s_xor_b64 s[4:5], s[6:7], s[20:21]
	s_xor_b64 s[20:21], s[6:7], s[24:25]
	s_xor_b64 s[0:1], s[6:7], s[0:1]
	v_cndmask_b32_e64 v8, 0, 1, s[2:3]
	v_cmp_ne_u16_e64 s[2:3], s31, v9
	v_cndmask_b32_e64 v2, 0, 1, s[4:5]
	s_xor_b64 s[4:5], s[6:7], s[22:23]
	v_cmp_ne_u16_sdwa s[18:19], v3, s31 src0_sel:BYTE_0 src1_sel:DWORD
	v_cndmask_b32_e64 v3, 0, 1, s[20:21]
	s_xor_b64 s[20:21], s[6:7], s[26:27]
	v_cndmask_b32_e64 v13, 0, 1, s[0:1]
	s_xor_b64 s[0:1], s[6:7], s[16:17]
	v_cndmask_b32_e64 v9, 0, 1, s[4:5]
	v_cmp_ne_u16_e64 s[4:5], s31, v10
	v_cndmask_b32_e64 v10, 0, 1, s[20:21]
	s_xor_b64 s[20:21], s[6:7], vcc
	v_cndmask_b32_e64 v14, 0, 1, s[0:1]
	s_xor_b64 s[0:1], s[6:7], s[2:3]
	v_cndmask_b32_e64 v11, 0, 1, s[20:21]
	s_xor_b64 s[20:21], s[6:7], s[28:29]
	;; [unrolled: 2-line block ×3, first 2 shown]
	v_cndmask_b32_e64 v12, 0, 1, s[20:21]
	v_cndmask_b32_e64 v16, 0, 1, s[0:1]
	s_xor_b64 s[0:1], s[6:7], s[4:5]
	v_lshlrev_b16_e32 v2, 8, v2
	v_lshlrev_b16_e32 v1, 8, v1
	v_cndmask_b32_e64 v17, 0, 1, s[0:1]
	v_lshlrev_b16_e32 v3, 8, v3
	v_lshlrev_b16_e32 v6, 8, v6
	;; [unrolled: 1-line block ×3, first 2 shown]
	v_or_b32_sdwa v15, v15, v2 dst_sel:WORD_1 dst_unused:UNUSED_PAD src0_sel:DWORD src1_sel:DWORD
	v_lshlrev_b16_e32 v2, 8, v12
	v_or_b32_sdwa v12, v13, v1 dst_sel:WORD_1 dst_unused:UNUSED_PAD src0_sel:DWORD src1_sel:DWORD
	v_lshlrev_b16_e32 v1, 8, v10
	;; [unrolled: 2-line block ×3, first 2 shown]
	v_or_b32_sdwa v6, v11, v6 dst_sel:WORD_1 dst_unused:UNUSED_PAD src0_sel:DWORD src1_sel:DWORD
	s_add_u32 s0, s12, s11
	v_or_b32_e32 v9, v9, v16
	v_or_b32_e32 v7, v7, v2
	;; [unrolled: 1-line block ×4, first 2 shown]
	s_addc_u32 s1, s13, s30
	v_or_b32_sdwa v2, v9, v3 dst_sel:DWORD dst_unused:UNUSED_PAD src0_sel:WORD_0 src1_sel:DWORD
	v_or_b32_sdwa v4, v7, v12 dst_sel:DWORD dst_unused:UNUSED_PAD src0_sel:WORD_0 src1_sel:DWORD
	;; [unrolled: 1-line block ×4, first 2 shown]
	global_store_dwordx2 v5, v[3:4], s[0:1]
	global_store_dwordx2 v5, v[1:2], s[0:1] offset:2048
	s_mov_b64 s[0:1], 0
.LBB9_2:
	s_andn2_b64 vcc, exec, s[0:1]
	s_cbranch_vccnz .LBB9_52
; %bb.3:
	v_cmp_gt_i32_e32 vcc, s8, v0
	v_or_b32_e32 v3, 0x100, v0
	v_mov_b32_e32 v20, 0
	v_or_b32_e32 v4, s11, v0
	v_mov_b32_e32 v19, 0
	v_mov_b32_e32 v18, 0
	;; [unrolled: 1-line block ×15, first 2 shown]
	s_and_saveexec_b64 s[2:3], vcc
	s_cbranch_execz .LBB9_35
; %bb.4:
	global_load_ubyte v11, v4, s[14:15]
	v_cmp_gt_u32_e64 s[0:1], s8, v3
	v_mov_b32_e32 v12, 0
	v_mov_b32_e32 v13, 0
	;; [unrolled: 1-line block ×15, first 2 shown]
	s_and_saveexec_b64 s[4:5], s[0:1]
	s_cbranch_execz .LBB9_34
; %bb.5:
	v_add_u32_e32 v1, s11, v0
	global_load_ubyte v12, v1, s[14:15] offset:256
	v_or_b32_e32 v2, 0x200, v0
	v_mov_b32_e32 v13, 0
	v_cmp_gt_u32_e64 s[0:1], s8, v2
	v_mov_b32_e32 v9, 0
	v_mov_b32_e32 v7, 0
	;; [unrolled: 1-line block ×13, first 2 shown]
	s_and_saveexec_b64 s[6:7], s[0:1]
	s_cbranch_execz .LBB9_33
; %bb.6:
	v_mov_b32_e32 v2, s15
	v_add_co_u32_e64 v1, s[0:1], s14, v1
	v_addc_co_u32_e64 v2, s[0:1], 0, v2, s[0:1]
	global_load_ubyte v13, v[1:2], off offset:512
	v_or_b32_e32 v5, 0x300, v0
	v_cmp_gt_u32_e64 s[0:1], s8, v5
	v_mov_b32_e32 v9, 0
	v_mov_b32_e32 v7, 0
	;; [unrolled: 1-line block ×13, first 2 shown]
	s_and_saveexec_b64 s[14:15], s[0:1]
	s_cbranch_execz .LBB9_32
; %bb.7:
	global_load_ubyte v9, v[1:2], off offset:768
	v_or_b32_e32 v5, 0x400, v0
	v_cmp_gt_u32_e64 s[0:1], s8, v5
	v_mov_b32_e32 v7, 0
	v_mov_b32_e32 v5, 0
	;; [unrolled: 1-line block ×12, first 2 shown]
	s_and_saveexec_b64 s[16:17], s[0:1]
	s_cbranch_execz .LBB9_31
; %bb.8:
	global_load_ubyte v7, v[1:2], off offset:1024
	v_or_b32_e32 v5, 0x500, v0
	v_cmp_gt_u32_e64 s[0:1], s8, v5
	v_mov_b32_e32 v5, 0
	v_mov_b32_e32 v8, 0
	;; [unrolled: 1-line block ×11, first 2 shown]
	s_and_saveexec_b64 s[18:19], s[0:1]
	s_cbranch_execz .LBB9_30
; %bb.9:
	global_load_ubyte v5, v[1:2], off offset:1280
	v_or_b32_e32 v6, 0x600, v0
	v_cmp_gt_u32_e64 s[0:1], s8, v6
	v_mov_b32_e32 v8, 0
	v_mov_b32_e32 v6, 0
	;; [unrolled: 1-line block ×10, first 2 shown]
	s_and_saveexec_b64 s[20:21], s[0:1]
	s_cbranch_execz .LBB9_29
; %bb.10:
	global_load_ubyte v8, v[1:2], off offset:1536
	v_or_b32_e32 v6, 0x700, v0
	v_cmp_gt_u32_e64 s[0:1], s8, v6
	v_mov_b32_e32 v6, 0
	v_mov_b32_e32 v10, 0
	;; [unrolled: 1-line block ×9, first 2 shown]
	s_and_saveexec_b64 s[22:23], s[0:1]
	s_cbranch_execz .LBB9_28
; %bb.11:
	global_load_ubyte v6, v[1:2], off offset:1792
	v_or_b32_e32 v10, 0x800, v0
	v_cmp_gt_u32_e64 s[0:1], s8, v10
	v_mov_b32_e32 v10, 0
	v_mov_b32_e32 v14, 0
	;; [unrolled: 1-line block ×8, first 2 shown]
	s_and_saveexec_b64 s[24:25], s[0:1]
	s_cbranch_execz .LBB9_27
; %bb.12:
	global_load_ubyte v10, v[1:2], off offset:2048
	v_or_b32_e32 v14, 0x900, v0
	v_cmp_gt_u32_e64 s[0:1], s8, v14
	v_mov_b32_e32 v14, 0
	v_mov_b32_e32 v15, 0
	;; [unrolled: 1-line block ×7, first 2 shown]
	s_and_saveexec_b64 s[26:27], s[0:1]
	s_cbranch_execz .LBB9_26
; %bb.13:
	global_load_ubyte v14, v[1:2], off offset:2304
	v_or_b32_e32 v15, 0xa00, v0
	v_cmp_gt_u32_e64 s[0:1], s8, v15
	v_mov_b32_e32 v15, 0
	v_mov_b32_e32 v16, 0
	;; [unrolled: 1-line block ×6, first 2 shown]
	s_and_saveexec_b64 s[28:29], s[0:1]
	s_cbranch_execz .LBB9_25
; %bb.14:
	global_load_ubyte v15, v[1:2], off offset:2560
	v_or_b32_e32 v16, 0xb00, v0
	v_cmp_gt_u32_e64 s[0:1], s8, v16
	v_mov_b32_e32 v16, 0
	v_mov_b32_e32 v17, 0
	;; [unrolled: 1-line block ×5, first 2 shown]
	s_and_saveexec_b64 s[30:31], s[0:1]
	s_cbranch_execz .LBB9_24
; %bb.15:
	global_load_ubyte v16, v[1:2], off offset:2816
	v_or_b32_e32 v17, 0xc00, v0
	v_cmp_gt_u32_e64 s[0:1], s8, v17
	v_mov_b32_e32 v17, 0
	v_mov_b32_e32 v18, 0
	v_mov_b32_e32 v19, 0
	v_mov_b32_e32 v20, 0
	s_and_saveexec_b64 s[34:35], s[0:1]
	s_cbranch_execz .LBB9_23
; %bb.16:
	global_load_ubyte v17, v[1:2], off offset:3072
	v_or_b32_e32 v18, 0xd00, v0
	v_cmp_gt_u32_e64 s[0:1], s8, v18
	v_mov_b32_e32 v18, 0
	v_mov_b32_e32 v19, 0
	v_mov_b32_e32 v20, 0
	s_and_saveexec_b64 s[36:37], s[0:1]
	s_cbranch_execz .LBB9_22
; %bb.17:
	global_load_ubyte v18, v[1:2], off offset:3328
	v_or_b32_e32 v19, 0xe00, v0
	v_cmp_gt_u32_e64 s[0:1], s8, v19
	v_mov_b32_e32 v19, 0
	v_mov_b32_e32 v20, 0
	s_and_saveexec_b64 s[38:39], s[0:1]
	s_cbranch_execz .LBB9_21
; %bb.18:
	global_load_ubyte v19, v[1:2], off offset:3584
	v_or_b32_e32 v20, 0xf00, v0
	v_cmp_gt_u32_e64 s[0:1], s8, v20
	v_mov_b32_e32 v20, 0
	s_and_saveexec_b64 s[40:41], s[0:1]
	s_cbranch_execz .LBB9_20
; %bb.19:
	global_load_ubyte v20, v[1:2], off offset:3840
.LBB9_20:
	s_or_b64 exec, exec, s[40:41]
.LBB9_21:
	s_or_b64 exec, exec, s[38:39]
.LBB9_22:
	s_or_b64 exec, exec, s[36:37]
.LBB9_23:
	s_or_b64 exec, exec, s[34:35]
.LBB9_24:
	s_or_b64 exec, exec, s[30:31]
.LBB9_25:
	s_or_b64 exec, exec, s[28:29]
.LBB9_26:
	s_or_b64 exec, exec, s[26:27]
.LBB9_27:
	s_or_b64 exec, exec, s[24:25]
.LBB9_28:
	s_or_b64 exec, exec, s[22:23]
.LBB9_29:
	s_or_b64 exec, exec, s[20:21]
.LBB9_30:
	s_or_b64 exec, exec, s[18:19]
.LBB9_31:
	s_or_b64 exec, exec, s[16:17]
.LBB9_32:
	s_or_b64 exec, exec, s[14:15]
.LBB9_33:
	s_or_b64 exec, exec, s[6:7]
.LBB9_34:
	s_or_b64 exec, exec, s[4:5]
.LBB9_35:
	s_or_b64 exec, exec, s[2:3]
	s_cmp_eq_u32 s9, 0
	s_cselect_b64 s[2:3], -1, 0
	s_and_b32 s5, s10, 0xff
	s_waitcnt vmcnt(0)
	v_cmp_ne_u16_sdwa s[0:1], v11, s5 src0_sel:BYTE_0 src1_sel:DWORD
	s_xor_b64 s[0:1], s[2:3], s[0:1]
	v_cndmask_b32_e64 v1, 0, 1, s[0:1]
	v_cmp_ne_u16_sdwa s[0:1], v12, s5 src0_sel:BYTE_0 src1_sel:DWORD
	s_xor_b64 s[0:1], s[2:3], s[0:1]
	v_cndmask_b32_e64 v2, 0, 1, s[0:1]
	v_cndmask_b32_e32 v1, 0, v1, vcc
	v_lshlrev_b16_e32 v2, 8, v2
	v_or_b32_e32 v2, v1, v2
	v_and_b32_e32 v2, 0xffff, v2
	v_cmp_gt_i32_e64 s[0:1], s8, v3
	v_cndmask_b32_e64 v1, v1, v2, s[0:1]
	v_cmp_ne_u16_sdwa s[0:1], v13, s5 src0_sel:BYTE_0 src1_sel:DWORD
	s_xor_b64 s[0:1], s[2:3], s[0:1]
	v_or_b32_e32 v2, 0x200, v0
	v_cndmask_b32_e64 v11, 0, 1, s[0:1]
	v_lshl_or_b32 v11, v11, 16, v1
	v_cmp_gt_i32_e64 s[0:1], s8, v2
	v_cndmask_b32_e64 v1, v1, v11, s[0:1]
	v_cmp_ne_u16_sdwa s[0:1], v9, s5 src0_sel:BYTE_0 src1_sel:DWORD
	s_xor_b64 s[0:1], s[2:3], s[0:1]
	s_movk_i32 s4, 0xff
	v_cndmask_b32_e64 v9, 0, 1, s[0:1]
	v_and_b32_sdwa v2, v1, s4 dst_sel:DWORD dst_unused:UNUSED_PAD src0_sel:WORD_1 src1_sel:DWORD
	v_lshlrev_b16_e32 v9, 8, v9
	s_mov_b32 s6, 0xffff
	v_or_b32_e32 v11, 0x300, v0
	v_or_b32_sdwa v2, v2, v9 dst_sel:WORD_1 dst_unused:UNUSED_PAD src0_sel:DWORD src1_sel:DWORD
	v_and_or_b32 v2, v1, s6, v2
	v_cmp_gt_i32_e64 s[0:1], s8, v11
	v_cndmask_b32_e64 v9, v1, v2, s[0:1]
	v_cmp_ne_u16_sdwa s[0:1], v7, s5 src0_sel:BYTE_0 src1_sel:DWORD
	s_xor_b64 s[0:1], s[2:3], s[0:1]
	v_cndmask_b32_e64 v1, 0, 1, s[0:1]
	v_or_b32_e32 v2, 0x400, v0
	v_and_b32_e32 v1, 0xffff, v1
	v_cmp_gt_i32_e64 s[0:1], s8, v2
	v_cndmask_b32_e64 v1, 0, v1, s[0:1]
	v_cmp_ne_u16_sdwa s[0:1], v5, s5 src0_sel:BYTE_0 src1_sel:DWORD
	s_xor_b64 s[0:1], s[2:3], s[0:1]
	v_cndmask_b32_e64 v5, 0, 1, s[0:1]
	v_lshlrev_b16_e32 v5, 8, v5
	v_or_b32_e32 v2, 0x500, v0
	v_or_b32_sdwa v5, v1, v5 dst_sel:DWORD dst_unused:UNUSED_PAD src0_sel:BYTE_0 src1_sel:DWORD
	v_and_b32_e32 v5, 0xffff, v5
	v_cmp_gt_i32_e64 s[0:1], s8, v2
	v_cndmask_b32_e64 v1, v1, v5, s[0:1]
	v_cmp_ne_u16_sdwa s[0:1], v8, s5 src0_sel:BYTE_0 src1_sel:DWORD
	s_movk_i32 s7, 0xff00
	s_xor_b64 s[0:1], s[2:3], s[0:1]
	v_and_b32_sdwa v2, v1, s7 dst_sel:DWORD dst_unused:UNUSED_PAD src0_sel:WORD_1 src1_sel:DWORD
	v_cndmask_b32_e64 v5, 0, 1, s[0:1]
	v_or_b32_sdwa v2, v5, v2 dst_sel:WORD_1 dst_unused:UNUSED_PAD src0_sel:DWORD src1_sel:DWORD
	v_or_b32_e32 v5, 0x600, v0
	v_and_or_b32 v2, v1, s6, v2
	v_cmp_gt_i32_e64 s[0:1], s8, v5
	v_cndmask_b32_e64 v1, v1, v2, s[0:1]
	v_cmp_ne_u16_sdwa s[0:1], v6, s5 src0_sel:BYTE_0 src1_sel:DWORD
	s_xor_b64 s[0:1], s[2:3], s[0:1]
	v_cndmask_b32_e64 v6, 0, 1, s[0:1]
	v_and_b32_sdwa v2, v1, s4 dst_sel:DWORD dst_unused:UNUSED_PAD src0_sel:WORD_1 src1_sel:DWORD
	v_lshlrev_b16_e32 v6, 8, v6
	v_or_b32_e32 v5, 0x700, v0
	v_or_b32_sdwa v2, v2, v6 dst_sel:WORD_1 dst_unused:UNUSED_PAD src0_sel:DWORD src1_sel:DWORD
	v_and_or_b32 v2, v1, s6, v2
	v_cmp_gt_i32_e64 s[0:1], s8, v5
	v_cndmask_b32_e64 v5, v1, v2, s[0:1]
	v_cmp_ne_u16_sdwa s[0:1], v10, s5 src0_sel:BYTE_0 src1_sel:DWORD
	v_or_b32_e32 v1, 0x800, v0
	s_xor_b64 s[0:1], s[2:3], s[0:1]
	v_cndmask_b32_e64 v2, 0, 1, s[0:1]
	v_cmp_gt_i32_e64 s[0:1], s8, v1
	v_cndmask_b32_e64 v1, 0, v2, s[0:1]
	v_cmp_ne_u16_sdwa s[0:1], v14, s5 src0_sel:BYTE_0 src1_sel:DWORD
	s_xor_b64 s[0:1], s[2:3], s[0:1]
	v_cndmask_b32_e64 v6, 0, 1, s[0:1]
	v_lshlrev_b16_e32 v6, 8, v6
	v_or_b32_e32 v2, 0x900, v0
	v_or_b32_e32 v6, v1, v6
	v_and_b32_e32 v6, 0xffff, v6
	v_cmp_gt_i32_e64 s[0:1], s8, v2
	v_cndmask_b32_e64 v1, v1, v6, s[0:1]
	v_cmp_ne_u16_sdwa s[0:1], v15, s5 src0_sel:BYTE_0 src1_sel:DWORD
	s_xor_b64 s[0:1], s[2:3], s[0:1]
	v_cndmask_b32_e64 v6, 0, 1, s[0:1]
	v_or_b32_e32 v2, 0xa00, v0
	v_lshlrev_b32_e32 v6, 16, v6
	s_movk_i32 s0, 0x1ff
	v_and_or_b32 v6, v1, s0, v6
	v_cmp_gt_i32_e64 s[0:1], s8, v2
	v_cndmask_b32_e64 v1, v1, v6, s[0:1]
	v_cmp_ne_u16_sdwa s[0:1], v16, s5 src0_sel:BYTE_0 src1_sel:DWORD
	s_xor_b64 s[0:1], s[2:3], s[0:1]
	v_cndmask_b32_e64 v7, 0, 1, s[0:1]
	v_and_b32_sdwa v2, v1, s4 dst_sel:DWORD dst_unused:UNUSED_PAD src0_sel:WORD_1 src1_sel:DWORD
	v_lshlrev_b16_e32 v7, 8, v7
	v_or_b32_e32 v6, 0xb00, v0
	v_or_b32_sdwa v2, v2, v7 dst_sel:WORD_1 dst_unused:UNUSED_PAD src0_sel:DWORD src1_sel:DWORD
	v_and_or_b32 v2, v1, s6, v2
	v_cmp_gt_i32_e64 s[0:1], s8, v6
	v_cndmask_b32_e64 v2, v1, v2, s[0:1]
	v_cmp_ne_u16_sdwa s[0:1], v17, s5 src0_sel:BYTE_0 src1_sel:DWORD
	v_or_b32_e32 v1, 0xc00, v0
	s_xor_b64 s[0:1], s[2:3], s[0:1]
	v_cndmask_b32_e64 v6, 0, 1, s[0:1]
	v_cmp_gt_i32_e64 s[0:1], s8, v1
	v_cndmask_b32_e64 v1, 0, v6, s[0:1]
	v_cmp_ne_u16_sdwa s[0:1], v18, s5 src0_sel:BYTE_0 src1_sel:DWORD
	s_xor_b64 s[0:1], s[2:3], s[0:1]
	v_cndmask_b32_e64 v7, 0, 1, s[0:1]
	v_lshlrev_b16_e32 v7, 8, v7
	v_or_b32_e32 v6, 0xd00, v0
	v_or_b32_sdwa v7, v1, v7 dst_sel:DWORD dst_unused:UNUSED_PAD src0_sel:BYTE_0 src1_sel:DWORD
	v_and_b32_e32 v7, 0xffff, v7
	v_cmp_gt_i32_e64 s[0:1], s8, v6
	v_cndmask_b32_e64 v1, v1, v7, s[0:1]
	v_cmp_ne_u16_sdwa s[0:1], v19, s5 src0_sel:BYTE_0 src1_sel:DWORD
	s_xor_b64 s[0:1], s[2:3], s[0:1]
	v_and_b32_sdwa v6, v1, s7 dst_sel:DWORD dst_unused:UNUSED_PAD src0_sel:WORD_1 src1_sel:DWORD
	v_cndmask_b32_e64 v7, 0, 1, s[0:1]
	v_or_b32_sdwa v6, v7, v6 dst_sel:WORD_1 dst_unused:UNUSED_PAD src0_sel:DWORD src1_sel:DWORD
	v_or_b32_e32 v7, 0xe00, v0
	v_and_or_b32 v6, v1, s6, v6
	v_cmp_gt_i32_e64 s[0:1], s8, v7
	v_cndmask_b32_e64 v1, v1, v6, s[0:1]
	v_cmp_ne_u16_sdwa s[0:1], v20, s5 src0_sel:BYTE_0 src1_sel:DWORD
	s_xor_b64 s[0:1], s[2:3], s[0:1]
	v_cndmask_b32_e64 v8, 0, 1, s[0:1]
	v_and_b32_sdwa v6, v1, s4 dst_sel:DWORD dst_unused:UNUSED_PAD src0_sel:WORD_1 src1_sel:DWORD
	v_lshlrev_b16_e32 v8, 8, v8
	v_or_b32_e32 v7, 0xf00, v0
	v_or_b32_sdwa v6, v6, v8 dst_sel:WORD_1 dst_unused:UNUSED_PAD src0_sel:DWORD src1_sel:DWORD
	v_and_or_b32 v6, v1, s6, v6
	v_cmp_gt_i32_e64 s[0:1], s8, v7
	v_cndmask_b32_e64 v1, v1, v6, s[0:1]
	s_and_saveexec_b64 s[0:1], vcc
	s_cbranch_execnz .LBB9_53
; %bb.36:
	s_or_b64 exec, exec, s[0:1]
	v_cmp_gt_i32_e32 vcc, s8, v0
	s_and_saveexec_b64 s[0:1], vcc
	s_cbranch_execnz .LBB9_54
.LBB9_37:
	s_or_b64 exec, exec, s[0:1]
	v_cmp_gt_i32_e32 vcc, s8, v0
	s_and_saveexec_b64 s[0:1], vcc
	s_cbranch_execnz .LBB9_55
.LBB9_38:
	s_or_b64 exec, exec, s[0:1]
	v_cmp_gt_i32_e32 vcc, s8, v0
	s_and_saveexec_b64 s[0:1], vcc
	s_cbranch_execnz .LBB9_56
.LBB9_39:
	s_or_b64 exec, exec, s[0:1]
	v_cmp_gt_i32_e32 vcc, s8, v0
	s_and_saveexec_b64 s[0:1], vcc
	s_cbranch_execnz .LBB9_57
.LBB9_40:
	s_or_b64 exec, exec, s[0:1]
	v_cmp_gt_i32_e32 vcc, s8, v0
	s_and_saveexec_b64 s[0:1], vcc
	s_cbranch_execnz .LBB9_58
.LBB9_41:
	s_or_b64 exec, exec, s[0:1]
	v_cmp_gt_i32_e32 vcc, s8, v0
	s_and_saveexec_b64 s[0:1], vcc
	s_cbranch_execnz .LBB9_59
.LBB9_42:
	s_or_b64 exec, exec, s[0:1]
	v_cmp_gt_i32_e32 vcc, s8, v0
	s_and_saveexec_b64 s[0:1], vcc
	s_cbranch_execnz .LBB9_60
.LBB9_43:
	s_or_b64 exec, exec, s[0:1]
	v_cmp_gt_i32_e32 vcc, s8, v0
	s_and_saveexec_b64 s[0:1], vcc
	s_cbranch_execnz .LBB9_61
.LBB9_44:
	s_or_b64 exec, exec, s[0:1]
	v_cmp_gt_i32_e32 vcc, s8, v0
	s_and_saveexec_b64 s[0:1], vcc
	s_cbranch_execnz .LBB9_62
.LBB9_45:
	s_or_b64 exec, exec, s[0:1]
	v_cmp_gt_i32_e32 vcc, s8, v0
	s_and_saveexec_b64 s[0:1], vcc
	s_cbranch_execnz .LBB9_63
.LBB9_46:
	s_or_b64 exec, exec, s[0:1]
	v_cmp_gt_i32_e32 vcc, s8, v0
	s_and_saveexec_b64 s[0:1], vcc
	s_cbranch_execnz .LBB9_64
.LBB9_47:
	s_or_b64 exec, exec, s[0:1]
	v_cmp_gt_i32_e32 vcc, s8, v0
	s_and_saveexec_b64 s[0:1], vcc
	s_cbranch_execnz .LBB9_65
.LBB9_48:
	s_or_b64 exec, exec, s[0:1]
	v_cmp_gt_i32_e32 vcc, s8, v0
	s_and_saveexec_b64 s[0:1], vcc
	s_cbranch_execnz .LBB9_66
.LBB9_49:
	s_or_b64 exec, exec, s[0:1]
	v_cmp_gt_i32_e32 vcc, s8, v0
	s_and_saveexec_b64 s[0:1], vcc
	s_cbranch_execnz .LBB9_67
.LBB9_50:
	s_or_b64 exec, exec, s[0:1]
	v_cmp_gt_i32_e32 vcc, s8, v0
	s_and_saveexec_b64 s[0:1], vcc
	s_cbranch_execz .LBB9_52
.LBB9_51:
	v_lshrrev_b32_e32 v1, 24, v1
	v_add_u32_e32 v0, s11, v0
	global_store_byte v0, v1, s[12:13]
.LBB9_52:
	s_endpgm
.LBB9_53:
	v_mov_b32_e32 v0, v3
	global_store_byte v4, v9, s[12:13]
	s_or_b64 exec, exec, s[0:1]
	v_cmp_gt_i32_e32 vcc, s8, v0
	s_and_saveexec_b64 s[0:1], vcc
	s_cbranch_execz .LBB9_37
.LBB9_54:
	v_lshrrev_b32_e32 v3, 8, v9
	v_add_u32_e32 v4, s11, v0
	v_add_u32_e32 v0, 0x100, v0
	global_store_byte v4, v3, s[12:13]
	s_or_b64 exec, exec, s[0:1]
	v_cmp_gt_i32_e32 vcc, s8, v0
	s_and_saveexec_b64 s[0:1], vcc
	s_cbranch_execz .LBB9_38
.LBB9_55:
	v_add_u32_e32 v3, s11, v0
	v_add_u32_e32 v0, 0x100, v0
	global_store_byte_d16_hi v3, v9, s[12:13]
	s_or_b64 exec, exec, s[0:1]
	v_cmp_gt_i32_e32 vcc, s8, v0
	s_and_saveexec_b64 s[0:1], vcc
	s_cbranch_execz .LBB9_39
.LBB9_56:
	v_lshrrev_b32_e32 v3, 24, v9
	v_add_u32_e32 v4, s11, v0
	v_add_u32_e32 v0, 0x100, v0
	global_store_byte v4, v3, s[12:13]
	s_or_b64 exec, exec, s[0:1]
	v_cmp_gt_i32_e32 vcc, s8, v0
	s_and_saveexec_b64 s[0:1], vcc
	s_cbranch_execz .LBB9_40
.LBB9_57:
	v_add_u32_e32 v3, s11, v0
	v_add_u32_e32 v0, 0x100, v0
	global_store_byte v3, v5, s[12:13]
	s_or_b64 exec, exec, s[0:1]
	v_cmp_gt_i32_e32 vcc, s8, v0
	s_and_saveexec_b64 s[0:1], vcc
	s_cbranch_execz .LBB9_41
.LBB9_58:
	v_lshrrev_b32_e32 v3, 8, v5
	v_add_u32_e32 v4, s11, v0
	v_add_u32_e32 v0, 0x100, v0
	global_store_byte v4, v3, s[12:13]
	s_or_b64 exec, exec, s[0:1]
	v_cmp_gt_i32_e32 vcc, s8, v0
	s_and_saveexec_b64 s[0:1], vcc
	s_cbranch_execz .LBB9_42
.LBB9_59:
	v_add_u32_e32 v3, s11, v0
	v_add_u32_e32 v0, 0x100, v0
	global_store_byte_d16_hi v3, v5, s[12:13]
	s_or_b64 exec, exec, s[0:1]
	v_cmp_gt_i32_e32 vcc, s8, v0
	s_and_saveexec_b64 s[0:1], vcc
	s_cbranch_execz .LBB9_43
.LBB9_60:
	v_lshrrev_b32_e32 v3, 24, v5
	v_add_u32_e32 v4, s11, v0
	v_add_u32_e32 v0, 0x100, v0
	global_store_byte v4, v3, s[12:13]
	s_or_b64 exec, exec, s[0:1]
	v_cmp_gt_i32_e32 vcc, s8, v0
	s_and_saveexec_b64 s[0:1], vcc
	s_cbranch_execz .LBB9_44
.LBB9_61:
	v_add_u32_e32 v3, s11, v0
	v_add_u32_e32 v0, 0x100, v0
	global_store_byte v3, v2, s[12:13]
	s_or_b64 exec, exec, s[0:1]
	v_cmp_gt_i32_e32 vcc, s8, v0
	s_and_saveexec_b64 s[0:1], vcc
	s_cbranch_execz .LBB9_45
.LBB9_62:
	v_lshrrev_b32_e32 v3, 8, v2
	v_add_u32_e32 v4, s11, v0
	v_add_u32_e32 v0, 0x100, v0
	global_store_byte v4, v3, s[12:13]
	s_or_b64 exec, exec, s[0:1]
	v_cmp_gt_i32_e32 vcc, s8, v0
	s_and_saveexec_b64 s[0:1], vcc
	s_cbranch_execz .LBB9_46
.LBB9_63:
	v_add_u32_e32 v3, s11, v0
	v_add_u32_e32 v0, 0x100, v0
	global_store_byte_d16_hi v3, v2, s[12:13]
	s_or_b64 exec, exec, s[0:1]
	v_cmp_gt_i32_e32 vcc, s8, v0
	s_and_saveexec_b64 s[0:1], vcc
	s_cbranch_execz .LBB9_47
.LBB9_64:
	v_lshrrev_b32_e32 v2, 24, v2
	v_add_u32_e32 v3, s11, v0
	v_add_u32_e32 v0, 0x100, v0
	global_store_byte v3, v2, s[12:13]
	s_or_b64 exec, exec, s[0:1]
	v_cmp_gt_i32_e32 vcc, s8, v0
	s_and_saveexec_b64 s[0:1], vcc
	s_cbranch_execz .LBB9_48
.LBB9_65:
	v_add_u32_e32 v2, s11, v0
	v_add_u32_e32 v0, 0x100, v0
	global_store_byte v2, v1, s[12:13]
	s_or_b64 exec, exec, s[0:1]
	v_cmp_gt_i32_e32 vcc, s8, v0
	s_and_saveexec_b64 s[0:1], vcc
	s_cbranch_execz .LBB9_49
.LBB9_66:
	v_lshrrev_b32_e32 v2, 8, v1
	v_add_u32_e32 v3, s11, v0
	v_add_u32_e32 v0, 0x100, v0
	global_store_byte v3, v2, s[12:13]
	s_or_b64 exec, exec, s[0:1]
	v_cmp_gt_i32_e32 vcc, s8, v0
	s_and_saveexec_b64 s[0:1], vcc
	s_cbranch_execz .LBB9_50
.LBB9_67:
	v_add_u32_e32 v2, s11, v0
	v_add_u32_e32 v0, 0x100, v0
	global_store_byte_d16_hi v2, v1, s[12:13]
	s_or_b64 exec, exec, s[0:1]
	v_cmp_gt_i32_e32 vcc, s8, v0
	s_and_saveexec_b64 s[0:1], vcc
	s_cbranch_execnz .LBB9_51
	s_branch .LBB9_52
	.section	.rodata,"a",@progbits
	.p2align	6, 0x0
	.amdhsa_kernel _ZN2at6native29vectorized_elementwise_kernelILi8ENS0_13AUnaryFunctorIhhbNS0_12_GLOBAL__N_116CompareEqFunctorIhEEEESt5arrayIPcLm2EEEEviT0_T1_
		.amdhsa_group_segment_fixed_size 0
		.amdhsa_private_segment_fixed_size 0
		.amdhsa_kernarg_size 32
		.amdhsa_user_sgpr_count 6
		.amdhsa_user_sgpr_private_segment_buffer 1
		.amdhsa_user_sgpr_dispatch_ptr 0
		.amdhsa_user_sgpr_queue_ptr 0
		.amdhsa_user_sgpr_kernarg_segment_ptr 1
		.amdhsa_user_sgpr_dispatch_id 0
		.amdhsa_user_sgpr_flat_scratch_init 0
		.amdhsa_user_sgpr_private_segment_size 0
		.amdhsa_uses_dynamic_stack 0
		.amdhsa_system_sgpr_private_segment_wavefront_offset 0
		.amdhsa_system_sgpr_workgroup_id_x 1
		.amdhsa_system_sgpr_workgroup_id_y 0
		.amdhsa_system_sgpr_workgroup_id_z 0
		.amdhsa_system_sgpr_workgroup_info 0
		.amdhsa_system_vgpr_workitem_id 0
		.amdhsa_next_free_vgpr 21
		.amdhsa_next_free_sgpr 42
		.amdhsa_reserve_vcc 1
		.amdhsa_reserve_flat_scratch 0
		.amdhsa_float_round_mode_32 0
		.amdhsa_float_round_mode_16_64 0
		.amdhsa_float_denorm_mode_32 3
		.amdhsa_float_denorm_mode_16_64 3
		.amdhsa_dx10_clamp 1
		.amdhsa_ieee_mode 1
		.amdhsa_fp16_overflow 0
		.amdhsa_exception_fp_ieee_invalid_op 0
		.amdhsa_exception_fp_denorm_src 0
		.amdhsa_exception_fp_ieee_div_zero 0
		.amdhsa_exception_fp_ieee_overflow 0
		.amdhsa_exception_fp_ieee_underflow 0
		.amdhsa_exception_fp_ieee_inexact 0
		.amdhsa_exception_int_div_zero 0
	.end_amdhsa_kernel
	.section	.text._ZN2at6native29vectorized_elementwise_kernelILi8ENS0_13AUnaryFunctorIhhbNS0_12_GLOBAL__N_116CompareEqFunctorIhEEEESt5arrayIPcLm2EEEEviT0_T1_,"axG",@progbits,_ZN2at6native29vectorized_elementwise_kernelILi8ENS0_13AUnaryFunctorIhhbNS0_12_GLOBAL__N_116CompareEqFunctorIhEEEESt5arrayIPcLm2EEEEviT0_T1_,comdat
.Lfunc_end9:
	.size	_ZN2at6native29vectorized_elementwise_kernelILi8ENS0_13AUnaryFunctorIhhbNS0_12_GLOBAL__N_116CompareEqFunctorIhEEEESt5arrayIPcLm2EEEEviT0_T1_, .Lfunc_end9-_ZN2at6native29vectorized_elementwise_kernelILi8ENS0_13AUnaryFunctorIhhbNS0_12_GLOBAL__N_116CompareEqFunctorIhEEEESt5arrayIPcLm2EEEEviT0_T1_
                                        ; -- End function
	.set _ZN2at6native29vectorized_elementwise_kernelILi8ENS0_13AUnaryFunctorIhhbNS0_12_GLOBAL__N_116CompareEqFunctorIhEEEESt5arrayIPcLm2EEEEviT0_T1_.num_vgpr, 21
	.set _ZN2at6native29vectorized_elementwise_kernelILi8ENS0_13AUnaryFunctorIhhbNS0_12_GLOBAL__N_116CompareEqFunctorIhEEEESt5arrayIPcLm2EEEEviT0_T1_.num_agpr, 0
	.set _ZN2at6native29vectorized_elementwise_kernelILi8ENS0_13AUnaryFunctorIhhbNS0_12_GLOBAL__N_116CompareEqFunctorIhEEEESt5arrayIPcLm2EEEEviT0_T1_.numbered_sgpr, 42
	.set _ZN2at6native29vectorized_elementwise_kernelILi8ENS0_13AUnaryFunctorIhhbNS0_12_GLOBAL__N_116CompareEqFunctorIhEEEESt5arrayIPcLm2EEEEviT0_T1_.num_named_barrier, 0
	.set _ZN2at6native29vectorized_elementwise_kernelILi8ENS0_13AUnaryFunctorIhhbNS0_12_GLOBAL__N_116CompareEqFunctorIhEEEESt5arrayIPcLm2EEEEviT0_T1_.private_seg_size, 0
	.set _ZN2at6native29vectorized_elementwise_kernelILi8ENS0_13AUnaryFunctorIhhbNS0_12_GLOBAL__N_116CompareEqFunctorIhEEEESt5arrayIPcLm2EEEEviT0_T1_.uses_vcc, 1
	.set _ZN2at6native29vectorized_elementwise_kernelILi8ENS0_13AUnaryFunctorIhhbNS0_12_GLOBAL__N_116CompareEqFunctorIhEEEESt5arrayIPcLm2EEEEviT0_T1_.uses_flat_scratch, 0
	.set _ZN2at6native29vectorized_elementwise_kernelILi8ENS0_13AUnaryFunctorIhhbNS0_12_GLOBAL__N_116CompareEqFunctorIhEEEESt5arrayIPcLm2EEEEviT0_T1_.has_dyn_sized_stack, 0
	.set _ZN2at6native29vectorized_elementwise_kernelILi8ENS0_13AUnaryFunctorIhhbNS0_12_GLOBAL__N_116CompareEqFunctorIhEEEESt5arrayIPcLm2EEEEviT0_T1_.has_recursion, 0
	.set _ZN2at6native29vectorized_elementwise_kernelILi8ENS0_13AUnaryFunctorIhhbNS0_12_GLOBAL__N_116CompareEqFunctorIhEEEESt5arrayIPcLm2EEEEviT0_T1_.has_indirect_call, 0
	.section	.AMDGPU.csdata,"",@progbits
; Kernel info:
; codeLenInByte = 3548
; TotalNumSgprs: 46
; NumVgprs: 21
; ScratchSize: 0
; MemoryBound: 0
; FloatMode: 240
; IeeeMode: 1
; LDSByteSize: 0 bytes/workgroup (compile time only)
; SGPRBlocks: 5
; VGPRBlocks: 5
; NumSGPRsForWavesPerEU: 46
; NumVGPRsForWavesPerEU: 21
; Occupancy: 10
; WaveLimiterHint : 1
; COMPUTE_PGM_RSRC2:SCRATCH_EN: 0
; COMPUTE_PGM_RSRC2:USER_SGPR: 6
; COMPUTE_PGM_RSRC2:TRAP_HANDLER: 0
; COMPUTE_PGM_RSRC2:TGID_X_EN: 1
; COMPUTE_PGM_RSRC2:TGID_Y_EN: 0
; COMPUTE_PGM_RSRC2:TGID_Z_EN: 0
; COMPUTE_PGM_RSRC2:TIDIG_COMP_CNT: 0
	.section	.text._ZN2at6native29vectorized_elementwise_kernelILi4ENS0_13AUnaryFunctorIhhbNS0_12_GLOBAL__N_116CompareEqFunctorIhEEEESt5arrayIPcLm2EEEEviT0_T1_,"axG",@progbits,_ZN2at6native29vectorized_elementwise_kernelILi4ENS0_13AUnaryFunctorIhhbNS0_12_GLOBAL__N_116CompareEqFunctorIhEEEESt5arrayIPcLm2EEEEviT0_T1_,comdat
	.globl	_ZN2at6native29vectorized_elementwise_kernelILi4ENS0_13AUnaryFunctorIhhbNS0_12_GLOBAL__N_116CompareEqFunctorIhEEEESt5arrayIPcLm2EEEEviT0_T1_ ; -- Begin function _ZN2at6native29vectorized_elementwise_kernelILi4ENS0_13AUnaryFunctorIhhbNS0_12_GLOBAL__N_116CompareEqFunctorIhEEEESt5arrayIPcLm2EEEEviT0_T1_
	.p2align	8
	.type	_ZN2at6native29vectorized_elementwise_kernelILi4ENS0_13AUnaryFunctorIhhbNS0_12_GLOBAL__N_116CompareEqFunctorIhEEEESt5arrayIPcLm2EEEEviT0_T1_,@function
_ZN2at6native29vectorized_elementwise_kernelILi4ENS0_13AUnaryFunctorIhhbNS0_12_GLOBAL__N_116CompareEqFunctorIhEEEESt5arrayIPcLm2EEEEviT0_T1_: ; @_ZN2at6native29vectorized_elementwise_kernelILi4ENS0_13AUnaryFunctorIhhbNS0_12_GLOBAL__N_116CompareEqFunctorIhEEEESt5arrayIPcLm2EEEEviT0_T1_
; %bb.0:
	s_load_dwordx8 s[8:15], s[4:5], 0x0
	s_waitcnt lgkmcnt(0)
	s_lshl_b32 s11, s6, 12
	s_mov_b64 s[0:1], -1
	s_sub_i32 s8, s8, s11
	s_cmpk_gt_i32 s8, 0xfff
	s_cbranch_scc0 .LBB10_2
; %bb.1:
	s_ashr_i32 s30, s11, 31
	s_add_u32 s0, s14, s11
	s_addc_u32 s1, s15, s30
	v_lshlrev_b32_e32 v1, 2, v0
	global_load_dword v2, v1, s[0:1]
	global_load_dword v3, v1, s[0:1] offset:1024
	global_load_dword v4, v1, s[0:1] offset:2048
	;; [unrolled: 1-line block ×3, first 2 shown]
	s_cmp_eq_u32 s9, 0
	s_cselect_b64 s[6:7], -1, 0
	s_and_b32 s31, s10, 0xff
	s_movk_i32 s24, 0xff
	s_waitcnt vmcnt(3)
	v_cmp_ne_u16_sdwa s[0:1], v2, s31 src0_sel:BYTE_0 src1_sel:DWORD
	v_cmp_ne_u16_sdwa s[2:3], v2, s31 src0_sel:BYTE_3 src1_sel:DWORD
	s_xor_b64 s[0:1], s[6:7], s[0:1]
	v_lshrrev_b32_e32 v6, 8, v2
	v_and_b32_sdwa v7, v2, s24 dst_sel:DWORD dst_unused:UNUSED_PAD src0_sel:WORD_1 src1_sel:DWORD
	s_waitcnt vmcnt(2)
	v_cmp_ne_u16_sdwa s[4:5], v3, s31 src0_sel:BYTE_0 src1_sel:DWORD
	v_lshrrev_b32_e32 v2, 8, v3
	v_and_b32_sdwa v8, v3, s24 dst_sel:DWORD dst_unused:UNUSED_PAD src0_sel:WORD_1 src1_sel:DWORD
	v_cmp_ne_u16_sdwa s[16:17], v3, s31 src0_sel:BYTE_3 src1_sel:DWORD
	s_waitcnt vmcnt(1)
	v_cmp_ne_u16_sdwa s[18:19], v4, s31 src0_sel:BYTE_0 src1_sel:DWORD
	v_lshrrev_b32_e32 v3, 8, v4
	v_and_b32_sdwa v9, v4, s24 dst_sel:DWORD dst_unused:UNUSED_PAD src0_sel:WORD_1 src1_sel:DWORD
	v_cmp_ne_u16_sdwa s[20:21], v4, s31 src0_sel:BYTE_3 src1_sel:DWORD
	;; [unrolled: 5-line block ×3, first 2 shown]
	v_cndmask_b32_e64 v5, 0, 1, s[0:1]
	s_xor_b64 s[0:1], s[6:7], s[2:3]
	v_cmp_ne_u16_sdwa s[26:27], v6, s31 src0_sel:BYTE_0 src1_sel:DWORD
	v_cndmask_b32_e64 v6, 0, 1, s[0:1]
	s_xor_b64 s[0:1], s[6:7], s[4:5]
	v_cmp_ne_u16_e32 vcc, s31, v7
	v_cndmask_b32_e64 v7, 0, 1, s[0:1]
	v_cmp_ne_u16_e64 s[0:1], s31, v8
	s_xor_b64 s[2:3], s[6:7], s[16:17]
	v_cmp_ne_u16_sdwa s[28:29], v2, s31 src0_sel:BYTE_0 src1_sel:DWORD
	v_cndmask_b32_e64 v2, 0, 1, s[2:3]
	s_xor_b64 s[2:3], s[6:7], s[18:19]
	v_cmp_ne_u16_sdwa s[16:17], v3, s31 src0_sel:BYTE_0 src1_sel:DWORD
	s_xor_b64 s[4:5], s[6:7], s[20:21]
	s_xor_b64 s[20:21], s[6:7], s[24:25]
	;; [unrolled: 1-line block ×3, first 2 shown]
	v_cndmask_b32_e64 v8, 0, 1, s[2:3]
	v_cmp_ne_u16_e64 s[2:3], s31, v9
	v_cndmask_b32_e64 v3, 0, 1, s[4:5]
	s_xor_b64 s[4:5], s[6:7], s[22:23]
	v_cmp_ne_u16_sdwa s[18:19], v4, s31 src0_sel:BYTE_0 src1_sel:DWORD
	v_cndmask_b32_e64 v4, 0, 1, s[20:21]
	s_xor_b64 s[20:21], s[6:7], s[26:27]
	v_cndmask_b32_e64 v13, 0, 1, s[0:1]
	s_xor_b64 s[0:1], s[6:7], s[16:17]
	v_cndmask_b32_e64 v9, 0, 1, s[4:5]
	v_cmp_ne_u16_e64 s[4:5], s31, v10
	v_cndmask_b32_e64 v10, 0, 1, s[20:21]
	s_xor_b64 s[20:21], s[6:7], vcc
	v_cndmask_b32_e64 v14, 0, 1, s[0:1]
	s_xor_b64 s[0:1], s[6:7], s[2:3]
	v_cndmask_b32_e64 v11, 0, 1, s[20:21]
	s_xor_b64 s[20:21], s[6:7], s[28:29]
	v_cndmask_b32_e64 v15, 0, 1, s[0:1]
	s_xor_b64 s[0:1], s[6:7], s[18:19]
	v_cndmask_b32_e64 v12, 0, 1, s[20:21]
	v_cndmask_b32_e64 v16, 0, 1, s[0:1]
	s_xor_b64 s[0:1], s[6:7], s[4:5]
	v_lshlrev_b16_e32 v6, 8, v6
	v_lshlrev_b16_e32 v10, 8, v10
	v_cndmask_b32_e64 v17, 0, 1, s[0:1]
	v_lshlrev_b16_e32 v4, 8, v4
	v_lshlrev_b16_e32 v3, 8, v3
	v_lshlrev_b16_e32 v2, 8, v2
	v_lshlrev_b16_e32 v16, 8, v16
	v_lshlrev_b16_e32 v14, 8, v14
	v_lshlrev_b16_e32 v12, 8, v12
	v_or_b32_sdwa v6, v11, v6 dst_sel:WORD_1 dst_unused:UNUSED_PAD src0_sel:DWORD src1_sel:DWORD
	s_add_u32 s0, s12, s11
	v_or_b32_e32 v5, v5, v10
	v_or_b32_sdwa v4, v17, v4 dst_sel:WORD_1 dst_unused:UNUSED_PAD src0_sel:DWORD src1_sel:DWORD
	v_or_b32_sdwa v3, v15, v3 dst_sel:WORD_1 dst_unused:UNUSED_PAD src0_sel:DWORD src1_sel:DWORD
	;; [unrolled: 1-line block ×3, first 2 shown]
	v_or_b32_e32 v9, v9, v16
	v_or_b32_e32 v8, v8, v14
	;; [unrolled: 1-line block ×3, first 2 shown]
	v_or_b32_sdwa v5, v5, v6 dst_sel:DWORD dst_unused:UNUSED_PAD src0_sel:WORD_0 src1_sel:DWORD
	s_addc_u32 s1, s13, s30
	v_or_b32_sdwa v4, v9, v4 dst_sel:DWORD dst_unused:UNUSED_PAD src0_sel:WORD_0 src1_sel:DWORD
	v_or_b32_sdwa v3, v8, v3 dst_sel:DWORD dst_unused:UNUSED_PAD src0_sel:WORD_0 src1_sel:DWORD
	;; [unrolled: 1-line block ×3, first 2 shown]
	global_store_dword v1, v5, s[0:1]
	global_store_dword v1, v2, s[0:1] offset:1024
	global_store_dword v1, v3, s[0:1] offset:2048
	;; [unrolled: 1-line block ×3, first 2 shown]
	s_mov_b64 s[0:1], 0
.LBB10_2:
	s_andn2_b64 vcc, exec, s[0:1]
	s_cbranch_vccnz .LBB10_52
; %bb.3:
	v_cmp_gt_i32_e32 vcc, s8, v0
	v_or_b32_e32 v3, 0x100, v0
	v_mov_b32_e32 v20, 0
	v_or_b32_e32 v4, s11, v0
	v_mov_b32_e32 v19, 0
	v_mov_b32_e32 v18, 0
	;; [unrolled: 1-line block ×15, first 2 shown]
	s_and_saveexec_b64 s[2:3], vcc
	s_cbranch_execz .LBB10_35
; %bb.4:
	global_load_ubyte v11, v4, s[14:15]
	v_cmp_gt_u32_e64 s[0:1], s8, v3
	v_mov_b32_e32 v12, 0
	v_mov_b32_e32 v13, 0
	;; [unrolled: 1-line block ×15, first 2 shown]
	s_and_saveexec_b64 s[4:5], s[0:1]
	s_cbranch_execz .LBB10_34
; %bb.5:
	v_add_u32_e32 v1, s11, v0
	global_load_ubyte v12, v1, s[14:15] offset:256
	v_or_b32_e32 v2, 0x200, v0
	v_mov_b32_e32 v13, 0
	v_cmp_gt_u32_e64 s[0:1], s8, v2
	v_mov_b32_e32 v9, 0
	v_mov_b32_e32 v7, 0
	;; [unrolled: 1-line block ×13, first 2 shown]
	s_and_saveexec_b64 s[6:7], s[0:1]
	s_cbranch_execz .LBB10_33
; %bb.6:
	v_mov_b32_e32 v2, s15
	v_add_co_u32_e64 v1, s[0:1], s14, v1
	v_addc_co_u32_e64 v2, s[0:1], 0, v2, s[0:1]
	global_load_ubyte v13, v[1:2], off offset:512
	v_or_b32_e32 v5, 0x300, v0
	v_cmp_gt_u32_e64 s[0:1], s8, v5
	v_mov_b32_e32 v9, 0
	v_mov_b32_e32 v7, 0
	;; [unrolled: 1-line block ×13, first 2 shown]
	s_and_saveexec_b64 s[14:15], s[0:1]
	s_cbranch_execz .LBB10_32
; %bb.7:
	global_load_ubyte v9, v[1:2], off offset:768
	v_or_b32_e32 v5, 0x400, v0
	v_cmp_gt_u32_e64 s[0:1], s8, v5
	v_mov_b32_e32 v7, 0
	v_mov_b32_e32 v5, 0
	v_mov_b32_e32 v8, 0
	v_mov_b32_e32 v6, 0
	v_mov_b32_e32 v10, 0
	v_mov_b32_e32 v14, 0
	v_mov_b32_e32 v15, 0
	v_mov_b32_e32 v16, 0
	v_mov_b32_e32 v17, 0
	v_mov_b32_e32 v18, 0
	v_mov_b32_e32 v19, 0
	v_mov_b32_e32 v20, 0
	s_and_saveexec_b64 s[16:17], s[0:1]
	s_cbranch_execz .LBB10_31
; %bb.8:
	global_load_ubyte v7, v[1:2], off offset:1024
	v_or_b32_e32 v5, 0x500, v0
	v_cmp_gt_u32_e64 s[0:1], s8, v5
	v_mov_b32_e32 v5, 0
	v_mov_b32_e32 v8, 0
	;; [unrolled: 1-line block ×11, first 2 shown]
	s_and_saveexec_b64 s[18:19], s[0:1]
	s_cbranch_execz .LBB10_30
; %bb.9:
	global_load_ubyte v5, v[1:2], off offset:1280
	v_or_b32_e32 v6, 0x600, v0
	v_cmp_gt_u32_e64 s[0:1], s8, v6
	v_mov_b32_e32 v8, 0
	v_mov_b32_e32 v6, 0
	;; [unrolled: 1-line block ×10, first 2 shown]
	s_and_saveexec_b64 s[20:21], s[0:1]
	s_cbranch_execz .LBB10_29
; %bb.10:
	global_load_ubyte v8, v[1:2], off offset:1536
	v_or_b32_e32 v6, 0x700, v0
	v_cmp_gt_u32_e64 s[0:1], s8, v6
	v_mov_b32_e32 v6, 0
	v_mov_b32_e32 v10, 0
	;; [unrolled: 1-line block ×9, first 2 shown]
	s_and_saveexec_b64 s[22:23], s[0:1]
	s_cbranch_execz .LBB10_28
; %bb.11:
	global_load_ubyte v6, v[1:2], off offset:1792
	v_or_b32_e32 v10, 0x800, v0
	v_cmp_gt_u32_e64 s[0:1], s8, v10
	v_mov_b32_e32 v10, 0
	v_mov_b32_e32 v14, 0
	;; [unrolled: 1-line block ×8, first 2 shown]
	s_and_saveexec_b64 s[24:25], s[0:1]
	s_cbranch_execz .LBB10_27
; %bb.12:
	global_load_ubyte v10, v[1:2], off offset:2048
	v_or_b32_e32 v14, 0x900, v0
	v_cmp_gt_u32_e64 s[0:1], s8, v14
	v_mov_b32_e32 v14, 0
	v_mov_b32_e32 v15, 0
	;; [unrolled: 1-line block ×7, first 2 shown]
	s_and_saveexec_b64 s[26:27], s[0:1]
	s_cbranch_execz .LBB10_26
; %bb.13:
	global_load_ubyte v14, v[1:2], off offset:2304
	v_or_b32_e32 v15, 0xa00, v0
	v_cmp_gt_u32_e64 s[0:1], s8, v15
	v_mov_b32_e32 v15, 0
	v_mov_b32_e32 v16, 0
	;; [unrolled: 1-line block ×6, first 2 shown]
	s_and_saveexec_b64 s[28:29], s[0:1]
	s_cbranch_execz .LBB10_25
; %bb.14:
	global_load_ubyte v15, v[1:2], off offset:2560
	v_or_b32_e32 v16, 0xb00, v0
	v_cmp_gt_u32_e64 s[0:1], s8, v16
	v_mov_b32_e32 v16, 0
	v_mov_b32_e32 v17, 0
	;; [unrolled: 1-line block ×5, first 2 shown]
	s_and_saveexec_b64 s[30:31], s[0:1]
	s_cbranch_execz .LBB10_24
; %bb.15:
	global_load_ubyte v16, v[1:2], off offset:2816
	v_or_b32_e32 v17, 0xc00, v0
	v_cmp_gt_u32_e64 s[0:1], s8, v17
	v_mov_b32_e32 v17, 0
	v_mov_b32_e32 v18, 0
	;; [unrolled: 1-line block ×4, first 2 shown]
	s_and_saveexec_b64 s[34:35], s[0:1]
	s_cbranch_execz .LBB10_23
; %bb.16:
	global_load_ubyte v17, v[1:2], off offset:3072
	v_or_b32_e32 v18, 0xd00, v0
	v_cmp_gt_u32_e64 s[0:1], s8, v18
	v_mov_b32_e32 v18, 0
	v_mov_b32_e32 v19, 0
	;; [unrolled: 1-line block ×3, first 2 shown]
	s_and_saveexec_b64 s[36:37], s[0:1]
	s_cbranch_execz .LBB10_22
; %bb.17:
	global_load_ubyte v18, v[1:2], off offset:3328
	v_or_b32_e32 v19, 0xe00, v0
	v_cmp_gt_u32_e64 s[0:1], s8, v19
	v_mov_b32_e32 v19, 0
	v_mov_b32_e32 v20, 0
	s_and_saveexec_b64 s[38:39], s[0:1]
	s_cbranch_execz .LBB10_21
; %bb.18:
	global_load_ubyte v19, v[1:2], off offset:3584
	v_or_b32_e32 v20, 0xf00, v0
	v_cmp_gt_u32_e64 s[0:1], s8, v20
	v_mov_b32_e32 v20, 0
	s_and_saveexec_b64 s[40:41], s[0:1]
	s_cbranch_execz .LBB10_20
; %bb.19:
	global_load_ubyte v20, v[1:2], off offset:3840
.LBB10_20:
	s_or_b64 exec, exec, s[40:41]
.LBB10_21:
	s_or_b64 exec, exec, s[38:39]
.LBB10_22:
	s_or_b64 exec, exec, s[36:37]
.LBB10_23:
	s_or_b64 exec, exec, s[34:35]
.LBB10_24:
	s_or_b64 exec, exec, s[30:31]
.LBB10_25:
	s_or_b64 exec, exec, s[28:29]
.LBB10_26:
	s_or_b64 exec, exec, s[26:27]
.LBB10_27:
	s_or_b64 exec, exec, s[24:25]
.LBB10_28:
	s_or_b64 exec, exec, s[22:23]
.LBB10_29:
	s_or_b64 exec, exec, s[20:21]
.LBB10_30:
	s_or_b64 exec, exec, s[18:19]
.LBB10_31:
	s_or_b64 exec, exec, s[16:17]
.LBB10_32:
	s_or_b64 exec, exec, s[14:15]
.LBB10_33:
	s_or_b64 exec, exec, s[6:7]
.LBB10_34:
	s_or_b64 exec, exec, s[4:5]
.LBB10_35:
	s_or_b64 exec, exec, s[2:3]
	s_cmp_eq_u32 s9, 0
	s_cselect_b64 s[2:3], -1, 0
	s_and_b32 s5, s10, 0xff
	s_waitcnt vmcnt(0)
	v_cmp_ne_u16_sdwa s[0:1], v11, s5 src0_sel:BYTE_0 src1_sel:DWORD
	s_xor_b64 s[0:1], s[2:3], s[0:1]
	v_cndmask_b32_e64 v1, 0, 1, s[0:1]
	v_cmp_ne_u16_sdwa s[0:1], v12, s5 src0_sel:BYTE_0 src1_sel:DWORD
	s_xor_b64 s[0:1], s[2:3], s[0:1]
	v_cndmask_b32_e64 v2, 0, 1, s[0:1]
	v_cndmask_b32_e32 v1, 0, v1, vcc
	v_lshlrev_b16_e32 v2, 8, v2
	v_or_b32_e32 v2, v1, v2
	v_and_b32_e32 v2, 0xffff, v2
	v_cmp_gt_i32_e64 s[0:1], s8, v3
	v_cndmask_b32_e64 v1, v1, v2, s[0:1]
	v_cmp_ne_u16_sdwa s[0:1], v13, s5 src0_sel:BYTE_0 src1_sel:DWORD
	s_xor_b64 s[0:1], s[2:3], s[0:1]
	v_or_b32_e32 v2, 0x200, v0
	v_cndmask_b32_e64 v11, 0, 1, s[0:1]
	v_lshl_or_b32 v11, v11, 16, v1
	v_cmp_gt_i32_e64 s[0:1], s8, v2
	v_cndmask_b32_e64 v1, v1, v11, s[0:1]
	v_cmp_ne_u16_sdwa s[0:1], v9, s5 src0_sel:BYTE_0 src1_sel:DWORD
	s_xor_b64 s[0:1], s[2:3], s[0:1]
	s_movk_i32 s4, 0xff
	v_cndmask_b32_e64 v9, 0, 1, s[0:1]
	v_and_b32_sdwa v2, v1, s4 dst_sel:DWORD dst_unused:UNUSED_PAD src0_sel:WORD_1 src1_sel:DWORD
	v_lshlrev_b16_e32 v9, 8, v9
	s_mov_b32 s6, 0xffff
	v_or_b32_e32 v11, 0x300, v0
	v_or_b32_sdwa v2, v2, v9 dst_sel:WORD_1 dst_unused:UNUSED_PAD src0_sel:DWORD src1_sel:DWORD
	v_and_or_b32 v2, v1, s6, v2
	v_cmp_gt_i32_e64 s[0:1], s8, v11
	v_cndmask_b32_e64 v9, v1, v2, s[0:1]
	v_cmp_ne_u16_sdwa s[0:1], v7, s5 src0_sel:BYTE_0 src1_sel:DWORD
	s_xor_b64 s[0:1], s[2:3], s[0:1]
	v_cndmask_b32_e64 v1, 0, 1, s[0:1]
	v_or_b32_e32 v2, 0x400, v0
	v_and_b32_e32 v1, 0xffff, v1
	v_cmp_gt_i32_e64 s[0:1], s8, v2
	v_cndmask_b32_e64 v1, 0, v1, s[0:1]
	v_cmp_ne_u16_sdwa s[0:1], v5, s5 src0_sel:BYTE_0 src1_sel:DWORD
	s_xor_b64 s[0:1], s[2:3], s[0:1]
	v_cndmask_b32_e64 v5, 0, 1, s[0:1]
	v_lshlrev_b16_e32 v5, 8, v5
	v_or_b32_e32 v2, 0x500, v0
	v_or_b32_sdwa v5, v1, v5 dst_sel:DWORD dst_unused:UNUSED_PAD src0_sel:BYTE_0 src1_sel:DWORD
	v_and_b32_e32 v5, 0xffff, v5
	v_cmp_gt_i32_e64 s[0:1], s8, v2
	v_cndmask_b32_e64 v1, v1, v5, s[0:1]
	v_cmp_ne_u16_sdwa s[0:1], v8, s5 src0_sel:BYTE_0 src1_sel:DWORD
	s_movk_i32 s7, 0xff00
	s_xor_b64 s[0:1], s[2:3], s[0:1]
	v_and_b32_sdwa v2, v1, s7 dst_sel:DWORD dst_unused:UNUSED_PAD src0_sel:WORD_1 src1_sel:DWORD
	v_cndmask_b32_e64 v5, 0, 1, s[0:1]
	v_or_b32_sdwa v2, v5, v2 dst_sel:WORD_1 dst_unused:UNUSED_PAD src0_sel:DWORD src1_sel:DWORD
	v_or_b32_e32 v5, 0x600, v0
	v_and_or_b32 v2, v1, s6, v2
	v_cmp_gt_i32_e64 s[0:1], s8, v5
	v_cndmask_b32_e64 v1, v1, v2, s[0:1]
	v_cmp_ne_u16_sdwa s[0:1], v6, s5 src0_sel:BYTE_0 src1_sel:DWORD
	s_xor_b64 s[0:1], s[2:3], s[0:1]
	v_cndmask_b32_e64 v6, 0, 1, s[0:1]
	v_and_b32_sdwa v2, v1, s4 dst_sel:DWORD dst_unused:UNUSED_PAD src0_sel:WORD_1 src1_sel:DWORD
	v_lshlrev_b16_e32 v6, 8, v6
	v_or_b32_e32 v5, 0x700, v0
	v_or_b32_sdwa v2, v2, v6 dst_sel:WORD_1 dst_unused:UNUSED_PAD src0_sel:DWORD src1_sel:DWORD
	v_and_or_b32 v2, v1, s6, v2
	v_cmp_gt_i32_e64 s[0:1], s8, v5
	v_cndmask_b32_e64 v5, v1, v2, s[0:1]
	v_cmp_ne_u16_sdwa s[0:1], v10, s5 src0_sel:BYTE_0 src1_sel:DWORD
	v_or_b32_e32 v1, 0x800, v0
	s_xor_b64 s[0:1], s[2:3], s[0:1]
	v_cndmask_b32_e64 v2, 0, 1, s[0:1]
	v_cmp_gt_i32_e64 s[0:1], s8, v1
	v_cndmask_b32_e64 v1, 0, v2, s[0:1]
	v_cmp_ne_u16_sdwa s[0:1], v14, s5 src0_sel:BYTE_0 src1_sel:DWORD
	s_xor_b64 s[0:1], s[2:3], s[0:1]
	v_cndmask_b32_e64 v6, 0, 1, s[0:1]
	v_lshlrev_b16_e32 v6, 8, v6
	v_or_b32_e32 v2, 0x900, v0
	v_or_b32_e32 v6, v1, v6
	v_and_b32_e32 v6, 0xffff, v6
	v_cmp_gt_i32_e64 s[0:1], s8, v2
	v_cndmask_b32_e64 v1, v1, v6, s[0:1]
	v_cmp_ne_u16_sdwa s[0:1], v15, s5 src0_sel:BYTE_0 src1_sel:DWORD
	s_xor_b64 s[0:1], s[2:3], s[0:1]
	v_cndmask_b32_e64 v6, 0, 1, s[0:1]
	v_or_b32_e32 v2, 0xa00, v0
	v_lshlrev_b32_e32 v6, 16, v6
	s_movk_i32 s0, 0x1ff
	v_and_or_b32 v6, v1, s0, v6
	v_cmp_gt_i32_e64 s[0:1], s8, v2
	v_cndmask_b32_e64 v1, v1, v6, s[0:1]
	v_cmp_ne_u16_sdwa s[0:1], v16, s5 src0_sel:BYTE_0 src1_sel:DWORD
	s_xor_b64 s[0:1], s[2:3], s[0:1]
	v_cndmask_b32_e64 v7, 0, 1, s[0:1]
	v_and_b32_sdwa v2, v1, s4 dst_sel:DWORD dst_unused:UNUSED_PAD src0_sel:WORD_1 src1_sel:DWORD
	v_lshlrev_b16_e32 v7, 8, v7
	v_or_b32_e32 v6, 0xb00, v0
	v_or_b32_sdwa v2, v2, v7 dst_sel:WORD_1 dst_unused:UNUSED_PAD src0_sel:DWORD src1_sel:DWORD
	v_and_or_b32 v2, v1, s6, v2
	v_cmp_gt_i32_e64 s[0:1], s8, v6
	v_cndmask_b32_e64 v2, v1, v2, s[0:1]
	v_cmp_ne_u16_sdwa s[0:1], v17, s5 src0_sel:BYTE_0 src1_sel:DWORD
	v_or_b32_e32 v1, 0xc00, v0
	s_xor_b64 s[0:1], s[2:3], s[0:1]
	v_cndmask_b32_e64 v6, 0, 1, s[0:1]
	v_cmp_gt_i32_e64 s[0:1], s8, v1
	v_cndmask_b32_e64 v1, 0, v6, s[0:1]
	v_cmp_ne_u16_sdwa s[0:1], v18, s5 src0_sel:BYTE_0 src1_sel:DWORD
	s_xor_b64 s[0:1], s[2:3], s[0:1]
	v_cndmask_b32_e64 v7, 0, 1, s[0:1]
	v_lshlrev_b16_e32 v7, 8, v7
	v_or_b32_e32 v6, 0xd00, v0
	v_or_b32_sdwa v7, v1, v7 dst_sel:DWORD dst_unused:UNUSED_PAD src0_sel:BYTE_0 src1_sel:DWORD
	v_and_b32_e32 v7, 0xffff, v7
	v_cmp_gt_i32_e64 s[0:1], s8, v6
	v_cndmask_b32_e64 v1, v1, v7, s[0:1]
	v_cmp_ne_u16_sdwa s[0:1], v19, s5 src0_sel:BYTE_0 src1_sel:DWORD
	s_xor_b64 s[0:1], s[2:3], s[0:1]
	v_and_b32_sdwa v6, v1, s7 dst_sel:DWORD dst_unused:UNUSED_PAD src0_sel:WORD_1 src1_sel:DWORD
	v_cndmask_b32_e64 v7, 0, 1, s[0:1]
	v_or_b32_sdwa v6, v7, v6 dst_sel:WORD_1 dst_unused:UNUSED_PAD src0_sel:DWORD src1_sel:DWORD
	v_or_b32_e32 v7, 0xe00, v0
	v_and_or_b32 v6, v1, s6, v6
	v_cmp_gt_i32_e64 s[0:1], s8, v7
	v_cndmask_b32_e64 v1, v1, v6, s[0:1]
	v_cmp_ne_u16_sdwa s[0:1], v20, s5 src0_sel:BYTE_0 src1_sel:DWORD
	s_xor_b64 s[0:1], s[2:3], s[0:1]
	v_cndmask_b32_e64 v8, 0, 1, s[0:1]
	v_and_b32_sdwa v6, v1, s4 dst_sel:DWORD dst_unused:UNUSED_PAD src0_sel:WORD_1 src1_sel:DWORD
	v_lshlrev_b16_e32 v8, 8, v8
	v_or_b32_e32 v7, 0xf00, v0
	v_or_b32_sdwa v6, v6, v8 dst_sel:WORD_1 dst_unused:UNUSED_PAD src0_sel:DWORD src1_sel:DWORD
	v_and_or_b32 v6, v1, s6, v6
	v_cmp_gt_i32_e64 s[0:1], s8, v7
	v_cndmask_b32_e64 v1, v1, v6, s[0:1]
	s_and_saveexec_b64 s[0:1], vcc
	s_cbranch_execnz .LBB10_53
; %bb.36:
	s_or_b64 exec, exec, s[0:1]
	v_cmp_gt_i32_e32 vcc, s8, v0
	s_and_saveexec_b64 s[0:1], vcc
	s_cbranch_execnz .LBB10_54
.LBB10_37:
	s_or_b64 exec, exec, s[0:1]
	v_cmp_gt_i32_e32 vcc, s8, v0
	s_and_saveexec_b64 s[0:1], vcc
	s_cbranch_execnz .LBB10_55
.LBB10_38:
	s_or_b64 exec, exec, s[0:1]
	v_cmp_gt_i32_e32 vcc, s8, v0
	s_and_saveexec_b64 s[0:1], vcc
	s_cbranch_execnz .LBB10_56
.LBB10_39:
	s_or_b64 exec, exec, s[0:1]
	v_cmp_gt_i32_e32 vcc, s8, v0
	s_and_saveexec_b64 s[0:1], vcc
	s_cbranch_execnz .LBB10_57
.LBB10_40:
	s_or_b64 exec, exec, s[0:1]
	v_cmp_gt_i32_e32 vcc, s8, v0
	s_and_saveexec_b64 s[0:1], vcc
	s_cbranch_execnz .LBB10_58
.LBB10_41:
	s_or_b64 exec, exec, s[0:1]
	v_cmp_gt_i32_e32 vcc, s8, v0
	s_and_saveexec_b64 s[0:1], vcc
	s_cbranch_execnz .LBB10_59
.LBB10_42:
	s_or_b64 exec, exec, s[0:1]
	v_cmp_gt_i32_e32 vcc, s8, v0
	s_and_saveexec_b64 s[0:1], vcc
	s_cbranch_execnz .LBB10_60
.LBB10_43:
	s_or_b64 exec, exec, s[0:1]
	v_cmp_gt_i32_e32 vcc, s8, v0
	s_and_saveexec_b64 s[0:1], vcc
	s_cbranch_execnz .LBB10_61
.LBB10_44:
	s_or_b64 exec, exec, s[0:1]
	v_cmp_gt_i32_e32 vcc, s8, v0
	s_and_saveexec_b64 s[0:1], vcc
	s_cbranch_execnz .LBB10_62
.LBB10_45:
	s_or_b64 exec, exec, s[0:1]
	v_cmp_gt_i32_e32 vcc, s8, v0
	s_and_saveexec_b64 s[0:1], vcc
	s_cbranch_execnz .LBB10_63
.LBB10_46:
	s_or_b64 exec, exec, s[0:1]
	v_cmp_gt_i32_e32 vcc, s8, v0
	s_and_saveexec_b64 s[0:1], vcc
	s_cbranch_execnz .LBB10_64
.LBB10_47:
	s_or_b64 exec, exec, s[0:1]
	v_cmp_gt_i32_e32 vcc, s8, v0
	s_and_saveexec_b64 s[0:1], vcc
	s_cbranch_execnz .LBB10_65
.LBB10_48:
	s_or_b64 exec, exec, s[0:1]
	v_cmp_gt_i32_e32 vcc, s8, v0
	s_and_saveexec_b64 s[0:1], vcc
	s_cbranch_execnz .LBB10_66
.LBB10_49:
	s_or_b64 exec, exec, s[0:1]
	v_cmp_gt_i32_e32 vcc, s8, v0
	s_and_saveexec_b64 s[0:1], vcc
	s_cbranch_execnz .LBB10_67
.LBB10_50:
	s_or_b64 exec, exec, s[0:1]
	v_cmp_gt_i32_e32 vcc, s8, v0
	s_and_saveexec_b64 s[0:1], vcc
	s_cbranch_execz .LBB10_52
.LBB10_51:
	v_lshrrev_b32_e32 v1, 24, v1
	v_add_u32_e32 v0, s11, v0
	global_store_byte v0, v1, s[12:13]
.LBB10_52:
	s_endpgm
.LBB10_53:
	v_mov_b32_e32 v0, v3
	global_store_byte v4, v9, s[12:13]
	s_or_b64 exec, exec, s[0:1]
	v_cmp_gt_i32_e32 vcc, s8, v0
	s_and_saveexec_b64 s[0:1], vcc
	s_cbranch_execz .LBB10_37
.LBB10_54:
	v_lshrrev_b32_e32 v3, 8, v9
	v_add_u32_e32 v4, s11, v0
	v_add_u32_e32 v0, 0x100, v0
	global_store_byte v4, v3, s[12:13]
	s_or_b64 exec, exec, s[0:1]
	v_cmp_gt_i32_e32 vcc, s8, v0
	s_and_saveexec_b64 s[0:1], vcc
	s_cbranch_execz .LBB10_38
.LBB10_55:
	v_add_u32_e32 v3, s11, v0
	v_add_u32_e32 v0, 0x100, v0
	global_store_byte_d16_hi v3, v9, s[12:13]
	s_or_b64 exec, exec, s[0:1]
	v_cmp_gt_i32_e32 vcc, s8, v0
	s_and_saveexec_b64 s[0:1], vcc
	s_cbranch_execz .LBB10_39
.LBB10_56:
	v_lshrrev_b32_e32 v3, 24, v9
	v_add_u32_e32 v4, s11, v0
	v_add_u32_e32 v0, 0x100, v0
	global_store_byte v4, v3, s[12:13]
	s_or_b64 exec, exec, s[0:1]
	v_cmp_gt_i32_e32 vcc, s8, v0
	s_and_saveexec_b64 s[0:1], vcc
	s_cbranch_execz .LBB10_40
.LBB10_57:
	v_add_u32_e32 v3, s11, v0
	v_add_u32_e32 v0, 0x100, v0
	global_store_byte v3, v5, s[12:13]
	s_or_b64 exec, exec, s[0:1]
	v_cmp_gt_i32_e32 vcc, s8, v0
	s_and_saveexec_b64 s[0:1], vcc
	s_cbranch_execz .LBB10_41
.LBB10_58:
	v_lshrrev_b32_e32 v3, 8, v5
	v_add_u32_e32 v4, s11, v0
	v_add_u32_e32 v0, 0x100, v0
	global_store_byte v4, v3, s[12:13]
	s_or_b64 exec, exec, s[0:1]
	v_cmp_gt_i32_e32 vcc, s8, v0
	s_and_saveexec_b64 s[0:1], vcc
	s_cbranch_execz .LBB10_42
.LBB10_59:
	v_add_u32_e32 v3, s11, v0
	v_add_u32_e32 v0, 0x100, v0
	global_store_byte_d16_hi v3, v5, s[12:13]
	s_or_b64 exec, exec, s[0:1]
	v_cmp_gt_i32_e32 vcc, s8, v0
	s_and_saveexec_b64 s[0:1], vcc
	s_cbranch_execz .LBB10_43
.LBB10_60:
	v_lshrrev_b32_e32 v3, 24, v5
	v_add_u32_e32 v4, s11, v0
	v_add_u32_e32 v0, 0x100, v0
	global_store_byte v4, v3, s[12:13]
	s_or_b64 exec, exec, s[0:1]
	v_cmp_gt_i32_e32 vcc, s8, v0
	s_and_saveexec_b64 s[0:1], vcc
	s_cbranch_execz .LBB10_44
.LBB10_61:
	v_add_u32_e32 v3, s11, v0
	v_add_u32_e32 v0, 0x100, v0
	global_store_byte v3, v2, s[12:13]
	s_or_b64 exec, exec, s[0:1]
	v_cmp_gt_i32_e32 vcc, s8, v0
	s_and_saveexec_b64 s[0:1], vcc
	s_cbranch_execz .LBB10_45
.LBB10_62:
	v_lshrrev_b32_e32 v3, 8, v2
	v_add_u32_e32 v4, s11, v0
	v_add_u32_e32 v0, 0x100, v0
	global_store_byte v4, v3, s[12:13]
	s_or_b64 exec, exec, s[0:1]
	v_cmp_gt_i32_e32 vcc, s8, v0
	s_and_saveexec_b64 s[0:1], vcc
	s_cbranch_execz .LBB10_46
.LBB10_63:
	v_add_u32_e32 v3, s11, v0
	v_add_u32_e32 v0, 0x100, v0
	global_store_byte_d16_hi v3, v2, s[12:13]
	s_or_b64 exec, exec, s[0:1]
	v_cmp_gt_i32_e32 vcc, s8, v0
	s_and_saveexec_b64 s[0:1], vcc
	s_cbranch_execz .LBB10_47
.LBB10_64:
	v_lshrrev_b32_e32 v2, 24, v2
	v_add_u32_e32 v3, s11, v0
	v_add_u32_e32 v0, 0x100, v0
	global_store_byte v3, v2, s[12:13]
	s_or_b64 exec, exec, s[0:1]
	v_cmp_gt_i32_e32 vcc, s8, v0
	s_and_saveexec_b64 s[0:1], vcc
	s_cbranch_execz .LBB10_48
.LBB10_65:
	v_add_u32_e32 v2, s11, v0
	v_add_u32_e32 v0, 0x100, v0
	global_store_byte v2, v1, s[12:13]
	s_or_b64 exec, exec, s[0:1]
	v_cmp_gt_i32_e32 vcc, s8, v0
	s_and_saveexec_b64 s[0:1], vcc
	s_cbranch_execz .LBB10_49
.LBB10_66:
	v_lshrrev_b32_e32 v2, 8, v1
	v_add_u32_e32 v3, s11, v0
	v_add_u32_e32 v0, 0x100, v0
	global_store_byte v3, v2, s[12:13]
	s_or_b64 exec, exec, s[0:1]
	v_cmp_gt_i32_e32 vcc, s8, v0
	s_and_saveexec_b64 s[0:1], vcc
	s_cbranch_execz .LBB10_50
.LBB10_67:
	v_add_u32_e32 v2, s11, v0
	v_add_u32_e32 v0, 0x100, v0
	global_store_byte_d16_hi v2, v1, s[12:13]
	s_or_b64 exec, exec, s[0:1]
	v_cmp_gt_i32_e32 vcc, s8, v0
	s_and_saveexec_b64 s[0:1], vcc
	s_cbranch_execnz .LBB10_51
	s_branch .LBB10_52
	.section	.rodata,"a",@progbits
	.p2align	6, 0x0
	.amdhsa_kernel _ZN2at6native29vectorized_elementwise_kernelILi4ENS0_13AUnaryFunctorIhhbNS0_12_GLOBAL__N_116CompareEqFunctorIhEEEESt5arrayIPcLm2EEEEviT0_T1_
		.amdhsa_group_segment_fixed_size 0
		.amdhsa_private_segment_fixed_size 0
		.amdhsa_kernarg_size 32
		.amdhsa_user_sgpr_count 6
		.amdhsa_user_sgpr_private_segment_buffer 1
		.amdhsa_user_sgpr_dispatch_ptr 0
		.amdhsa_user_sgpr_queue_ptr 0
		.amdhsa_user_sgpr_kernarg_segment_ptr 1
		.amdhsa_user_sgpr_dispatch_id 0
		.amdhsa_user_sgpr_flat_scratch_init 0
		.amdhsa_user_sgpr_private_segment_size 0
		.amdhsa_uses_dynamic_stack 0
		.amdhsa_system_sgpr_private_segment_wavefront_offset 0
		.amdhsa_system_sgpr_workgroup_id_x 1
		.amdhsa_system_sgpr_workgroup_id_y 0
		.amdhsa_system_sgpr_workgroup_id_z 0
		.amdhsa_system_sgpr_workgroup_info 0
		.amdhsa_system_vgpr_workitem_id 0
		.amdhsa_next_free_vgpr 21
		.amdhsa_next_free_sgpr 42
		.amdhsa_reserve_vcc 1
		.amdhsa_reserve_flat_scratch 0
		.amdhsa_float_round_mode_32 0
		.amdhsa_float_round_mode_16_64 0
		.amdhsa_float_denorm_mode_32 3
		.amdhsa_float_denorm_mode_16_64 3
		.amdhsa_dx10_clamp 1
		.amdhsa_ieee_mode 1
		.amdhsa_fp16_overflow 0
		.amdhsa_exception_fp_ieee_invalid_op 0
		.amdhsa_exception_fp_denorm_src 0
		.amdhsa_exception_fp_ieee_div_zero 0
		.amdhsa_exception_fp_ieee_overflow 0
		.amdhsa_exception_fp_ieee_underflow 0
		.amdhsa_exception_fp_ieee_inexact 0
		.amdhsa_exception_int_div_zero 0
	.end_amdhsa_kernel
	.section	.text._ZN2at6native29vectorized_elementwise_kernelILi4ENS0_13AUnaryFunctorIhhbNS0_12_GLOBAL__N_116CompareEqFunctorIhEEEESt5arrayIPcLm2EEEEviT0_T1_,"axG",@progbits,_ZN2at6native29vectorized_elementwise_kernelILi4ENS0_13AUnaryFunctorIhhbNS0_12_GLOBAL__N_116CompareEqFunctorIhEEEESt5arrayIPcLm2EEEEviT0_T1_,comdat
.Lfunc_end10:
	.size	_ZN2at6native29vectorized_elementwise_kernelILi4ENS0_13AUnaryFunctorIhhbNS0_12_GLOBAL__N_116CompareEqFunctorIhEEEESt5arrayIPcLm2EEEEviT0_T1_, .Lfunc_end10-_ZN2at6native29vectorized_elementwise_kernelILi4ENS0_13AUnaryFunctorIhhbNS0_12_GLOBAL__N_116CompareEqFunctorIhEEEESt5arrayIPcLm2EEEEviT0_T1_
                                        ; -- End function
	.set _ZN2at6native29vectorized_elementwise_kernelILi4ENS0_13AUnaryFunctorIhhbNS0_12_GLOBAL__N_116CompareEqFunctorIhEEEESt5arrayIPcLm2EEEEviT0_T1_.num_vgpr, 21
	.set _ZN2at6native29vectorized_elementwise_kernelILi4ENS0_13AUnaryFunctorIhhbNS0_12_GLOBAL__N_116CompareEqFunctorIhEEEESt5arrayIPcLm2EEEEviT0_T1_.num_agpr, 0
	.set _ZN2at6native29vectorized_elementwise_kernelILi4ENS0_13AUnaryFunctorIhhbNS0_12_GLOBAL__N_116CompareEqFunctorIhEEEESt5arrayIPcLm2EEEEviT0_T1_.numbered_sgpr, 42
	.set _ZN2at6native29vectorized_elementwise_kernelILi4ENS0_13AUnaryFunctorIhhbNS0_12_GLOBAL__N_116CompareEqFunctorIhEEEESt5arrayIPcLm2EEEEviT0_T1_.num_named_barrier, 0
	.set _ZN2at6native29vectorized_elementwise_kernelILi4ENS0_13AUnaryFunctorIhhbNS0_12_GLOBAL__N_116CompareEqFunctorIhEEEESt5arrayIPcLm2EEEEviT0_T1_.private_seg_size, 0
	.set _ZN2at6native29vectorized_elementwise_kernelILi4ENS0_13AUnaryFunctorIhhbNS0_12_GLOBAL__N_116CompareEqFunctorIhEEEESt5arrayIPcLm2EEEEviT0_T1_.uses_vcc, 1
	.set _ZN2at6native29vectorized_elementwise_kernelILi4ENS0_13AUnaryFunctorIhhbNS0_12_GLOBAL__N_116CompareEqFunctorIhEEEESt5arrayIPcLm2EEEEviT0_T1_.uses_flat_scratch, 0
	.set _ZN2at6native29vectorized_elementwise_kernelILi4ENS0_13AUnaryFunctorIhhbNS0_12_GLOBAL__N_116CompareEqFunctorIhEEEESt5arrayIPcLm2EEEEviT0_T1_.has_dyn_sized_stack, 0
	.set _ZN2at6native29vectorized_elementwise_kernelILi4ENS0_13AUnaryFunctorIhhbNS0_12_GLOBAL__N_116CompareEqFunctorIhEEEESt5arrayIPcLm2EEEEviT0_T1_.has_recursion, 0
	.set _ZN2at6native29vectorized_elementwise_kernelILi4ENS0_13AUnaryFunctorIhhbNS0_12_GLOBAL__N_116CompareEqFunctorIhEEEESt5arrayIPcLm2EEEEviT0_T1_.has_indirect_call, 0
	.section	.AMDGPU.csdata,"",@progbits
; Kernel info:
; codeLenInByte = 3588
; TotalNumSgprs: 46
; NumVgprs: 21
; ScratchSize: 0
; MemoryBound: 0
; FloatMode: 240
; IeeeMode: 1
; LDSByteSize: 0 bytes/workgroup (compile time only)
; SGPRBlocks: 5
; VGPRBlocks: 5
; NumSGPRsForWavesPerEU: 46
; NumVGPRsForWavesPerEU: 21
; Occupancy: 10
; WaveLimiterHint : 1
; COMPUTE_PGM_RSRC2:SCRATCH_EN: 0
; COMPUTE_PGM_RSRC2:USER_SGPR: 6
; COMPUTE_PGM_RSRC2:TRAP_HANDLER: 0
; COMPUTE_PGM_RSRC2:TGID_X_EN: 1
; COMPUTE_PGM_RSRC2:TGID_Y_EN: 0
; COMPUTE_PGM_RSRC2:TGID_Z_EN: 0
; COMPUTE_PGM_RSRC2:TIDIG_COMP_CNT: 0
	.section	.text._ZN2at6native29vectorized_elementwise_kernelILi2ENS0_13AUnaryFunctorIhhbNS0_12_GLOBAL__N_116CompareEqFunctorIhEEEESt5arrayIPcLm2EEEEviT0_T1_,"axG",@progbits,_ZN2at6native29vectorized_elementwise_kernelILi2ENS0_13AUnaryFunctorIhhbNS0_12_GLOBAL__N_116CompareEqFunctorIhEEEESt5arrayIPcLm2EEEEviT0_T1_,comdat
	.globl	_ZN2at6native29vectorized_elementwise_kernelILi2ENS0_13AUnaryFunctorIhhbNS0_12_GLOBAL__N_116CompareEqFunctorIhEEEESt5arrayIPcLm2EEEEviT0_T1_ ; -- Begin function _ZN2at6native29vectorized_elementwise_kernelILi2ENS0_13AUnaryFunctorIhhbNS0_12_GLOBAL__N_116CompareEqFunctorIhEEEESt5arrayIPcLm2EEEEviT0_T1_
	.p2align	8
	.type	_ZN2at6native29vectorized_elementwise_kernelILi2ENS0_13AUnaryFunctorIhhbNS0_12_GLOBAL__N_116CompareEqFunctorIhEEEESt5arrayIPcLm2EEEEviT0_T1_,@function
_ZN2at6native29vectorized_elementwise_kernelILi2ENS0_13AUnaryFunctorIhhbNS0_12_GLOBAL__N_116CompareEqFunctorIhEEEESt5arrayIPcLm2EEEEviT0_T1_: ; @_ZN2at6native29vectorized_elementwise_kernelILi2ENS0_13AUnaryFunctorIhhbNS0_12_GLOBAL__N_116CompareEqFunctorIhEEEESt5arrayIPcLm2EEEEviT0_T1_
; %bb.0:
	s_load_dwordx8 s[8:15], s[4:5], 0x0
	s_waitcnt lgkmcnt(0)
	s_lshl_b32 s11, s6, 12
	s_mov_b64 s[0:1], -1
	s_sub_i32 s8, s8, s11
	s_cmpk_gt_i32 s8, 0xfff
	s_cbranch_scc0 .LBB11_2
; %bb.1:
	s_ashr_i32 s33, s11, 31
	s_add_u32 s0, s14, s11
	s_addc_u32 s1, s15, s33
	v_lshlrev_b32_e32 v1, 1, v0
	global_load_ushort v2, v1, s[0:1]
	global_load_ushort v3, v1, s[0:1] offset:512
	global_load_ushort v4, v1, s[0:1] offset:1024
	;; [unrolled: 1-line block ×7, first 2 shown]
	s_cmp_eq_u32 s9, 0
	s_cselect_b64 s[0:1], -1, 0
	s_and_b32 s42, s10, 0xff
	s_waitcnt vmcnt(7)
	v_cmp_ne_u16_sdwa s[2:3], v2, s42 src0_sel:BYTE_0 src1_sel:DWORD
	v_cmp_ne_u16_sdwa s[4:5], v2, s42 src0_sel:BYTE_1 src1_sel:DWORD
	s_xor_b64 s[2:3], s[0:1], s[2:3]
	s_waitcnt vmcnt(6)
	v_cmp_ne_u16_sdwa s[6:7], v3, s42 src0_sel:BYTE_0 src1_sel:DWORD
	v_cndmask_b32_e64 v2, 0, 1, s[2:3]
	s_xor_b64 s[2:3], s[0:1], s[4:5]
	v_cmp_ne_u16_sdwa s[16:17], v3, s42 src0_sel:BYTE_1 src1_sel:DWORD
	v_cndmask_b32_e64 v3, 0, 1, s[2:3]
	s_xor_b64 s[2:3], s[0:1], s[6:7]
	s_waitcnt vmcnt(5)
	v_cmp_ne_u16_sdwa s[18:19], v4, s42 src0_sel:BYTE_0 src1_sel:DWORD
	v_cmp_ne_u16_sdwa s[20:21], v4, s42 src0_sel:BYTE_1 src1_sel:DWORD
	v_cndmask_b32_e64 v4, 0, 1, s[2:3]
	s_xor_b64 s[2:3], s[0:1], s[16:17]
	s_waitcnt vmcnt(4)
	v_cmp_ne_u16_sdwa s[22:23], v5, s42 src0_sel:BYTE_0 src1_sel:DWORD
	;; [unrolled: 5-line block ×6, first 2 shown]
	v_cmp_ne_u16_sdwa s[42:43], v9, s42 src0_sel:BYTE_1 src1_sel:DWORD
	v_cndmask_b32_e64 v9, 0, 1, s[2:3]
	s_xor_b64 s[2:3], s[0:1], s[26:27]
	v_cndmask_b32_e64 v10, 0, 1, s[2:3]
	s_xor_b64 s[2:3], s[0:1], s[28:29]
	;; [unrolled: 2-line block ×7, first 2 shown]
	s_xor_b64 s[0:1], s[0:1], s[42:43]
	v_cndmask_b32_e64 v17, 0, 1, s[0:1]
	v_lshlrev_b16_e32 v3, 8, v3
	s_add_u32 s0, s12, s11
	v_cndmask_b32_e64 v16, 0, 1, s[2:3]
	v_lshlrev_b16_e32 v17, 8, v17
	v_lshlrev_b16_e32 v15, 8, v15
	;; [unrolled: 1-line block ×7, first 2 shown]
	v_or_b32_e32 v2, v2, v3
	s_addc_u32 s1, s13, s33
	v_or_b32_e32 v16, v16, v17
	v_or_b32_e32 v14, v14, v15
	;; [unrolled: 1-line block ×7, first 2 shown]
	global_store_short v1, v2, s[0:1]
	global_store_short v1, v4, s[0:1] offset:512
	global_store_short v1, v6, s[0:1] offset:1024
	global_store_short v1, v8, s[0:1] offset:1536
	global_store_short v1, v10, s[0:1] offset:2048
	global_store_short v1, v12, s[0:1] offset:2560
	global_store_short v1, v14, s[0:1] offset:3072
	global_store_short v1, v16, s[0:1] offset:3584
	s_mov_b64 s[0:1], 0
.LBB11_2:
	s_andn2_b64 vcc, exec, s[0:1]
	s_cbranch_vccnz .LBB11_52
; %bb.3:
	v_cmp_gt_i32_e32 vcc, s8, v0
	v_or_b32_e32 v3, 0x100, v0
	v_mov_b32_e32 v20, 0
	v_or_b32_e32 v4, s11, v0
	v_mov_b32_e32 v19, 0
	v_mov_b32_e32 v18, 0
	v_mov_b32_e32 v17, 0
	v_mov_b32_e32 v16, 0
	v_mov_b32_e32 v15, 0
	v_mov_b32_e32 v14, 0
	v_mov_b32_e32 v10, 0
	v_mov_b32_e32 v6, 0
	v_mov_b32_e32 v8, 0
	v_mov_b32_e32 v5, 0
	v_mov_b32_e32 v7, 0
	v_mov_b32_e32 v9, 0
	v_mov_b32_e32 v13, 0
	v_mov_b32_e32 v12, 0
	v_mov_b32_e32 v11, 0
	s_and_saveexec_b64 s[2:3], vcc
	s_cbranch_execz .LBB11_35
; %bb.4:
	global_load_ubyte v11, v4, s[14:15]
	v_cmp_gt_u32_e64 s[0:1], s8, v3
	v_mov_b32_e32 v12, 0
	v_mov_b32_e32 v13, 0
	v_mov_b32_e32 v9, 0
	v_mov_b32_e32 v7, 0
	v_mov_b32_e32 v5, 0
	v_mov_b32_e32 v8, 0
	v_mov_b32_e32 v6, 0
	v_mov_b32_e32 v10, 0
	v_mov_b32_e32 v14, 0
	v_mov_b32_e32 v15, 0
	v_mov_b32_e32 v16, 0
	v_mov_b32_e32 v17, 0
	v_mov_b32_e32 v18, 0
	v_mov_b32_e32 v19, 0
	v_mov_b32_e32 v20, 0
	s_and_saveexec_b64 s[4:5], s[0:1]
	s_cbranch_execz .LBB11_34
; %bb.5:
	v_add_u32_e32 v1, s11, v0
	global_load_ubyte v12, v1, s[14:15] offset:256
	v_or_b32_e32 v2, 0x200, v0
	v_mov_b32_e32 v13, 0
	v_cmp_gt_u32_e64 s[0:1], s8, v2
	v_mov_b32_e32 v9, 0
	v_mov_b32_e32 v7, 0
	;; [unrolled: 1-line block ×13, first 2 shown]
	s_and_saveexec_b64 s[6:7], s[0:1]
	s_cbranch_execz .LBB11_33
; %bb.6:
	v_mov_b32_e32 v2, s15
	v_add_co_u32_e64 v1, s[0:1], s14, v1
	v_addc_co_u32_e64 v2, s[0:1], 0, v2, s[0:1]
	global_load_ubyte v13, v[1:2], off offset:512
	v_or_b32_e32 v5, 0x300, v0
	v_cmp_gt_u32_e64 s[0:1], s8, v5
	v_mov_b32_e32 v9, 0
	v_mov_b32_e32 v7, 0
	;; [unrolled: 1-line block ×13, first 2 shown]
	s_and_saveexec_b64 s[14:15], s[0:1]
	s_cbranch_execz .LBB11_32
; %bb.7:
	global_load_ubyte v9, v[1:2], off offset:768
	v_or_b32_e32 v5, 0x400, v0
	v_cmp_gt_u32_e64 s[0:1], s8, v5
	v_mov_b32_e32 v7, 0
	v_mov_b32_e32 v5, 0
	;; [unrolled: 1-line block ×12, first 2 shown]
	s_and_saveexec_b64 s[16:17], s[0:1]
	s_cbranch_execz .LBB11_31
; %bb.8:
	global_load_ubyte v7, v[1:2], off offset:1024
	v_or_b32_e32 v5, 0x500, v0
	v_cmp_gt_u32_e64 s[0:1], s8, v5
	v_mov_b32_e32 v5, 0
	v_mov_b32_e32 v8, 0
	;; [unrolled: 1-line block ×11, first 2 shown]
	s_and_saveexec_b64 s[18:19], s[0:1]
	s_cbranch_execz .LBB11_30
; %bb.9:
	global_load_ubyte v5, v[1:2], off offset:1280
	v_or_b32_e32 v6, 0x600, v0
	v_cmp_gt_u32_e64 s[0:1], s8, v6
	v_mov_b32_e32 v8, 0
	v_mov_b32_e32 v6, 0
	;; [unrolled: 1-line block ×10, first 2 shown]
	s_and_saveexec_b64 s[20:21], s[0:1]
	s_cbranch_execz .LBB11_29
; %bb.10:
	global_load_ubyte v8, v[1:2], off offset:1536
	v_or_b32_e32 v6, 0x700, v0
	v_cmp_gt_u32_e64 s[0:1], s8, v6
	v_mov_b32_e32 v6, 0
	v_mov_b32_e32 v10, 0
	;; [unrolled: 1-line block ×9, first 2 shown]
	s_and_saveexec_b64 s[22:23], s[0:1]
	s_cbranch_execz .LBB11_28
; %bb.11:
	global_load_ubyte v6, v[1:2], off offset:1792
	v_or_b32_e32 v10, 0x800, v0
	v_cmp_gt_u32_e64 s[0:1], s8, v10
	v_mov_b32_e32 v10, 0
	v_mov_b32_e32 v14, 0
	;; [unrolled: 1-line block ×8, first 2 shown]
	s_and_saveexec_b64 s[24:25], s[0:1]
	s_cbranch_execz .LBB11_27
; %bb.12:
	global_load_ubyte v10, v[1:2], off offset:2048
	v_or_b32_e32 v14, 0x900, v0
	v_cmp_gt_u32_e64 s[0:1], s8, v14
	v_mov_b32_e32 v14, 0
	v_mov_b32_e32 v15, 0
	;; [unrolled: 1-line block ×7, first 2 shown]
	s_and_saveexec_b64 s[26:27], s[0:1]
	s_cbranch_execz .LBB11_26
; %bb.13:
	global_load_ubyte v14, v[1:2], off offset:2304
	v_or_b32_e32 v15, 0xa00, v0
	v_cmp_gt_u32_e64 s[0:1], s8, v15
	v_mov_b32_e32 v15, 0
	v_mov_b32_e32 v16, 0
	;; [unrolled: 1-line block ×6, first 2 shown]
	s_and_saveexec_b64 s[28:29], s[0:1]
	s_cbranch_execz .LBB11_25
; %bb.14:
	global_load_ubyte v15, v[1:2], off offset:2560
	v_or_b32_e32 v16, 0xb00, v0
	v_cmp_gt_u32_e64 s[0:1], s8, v16
	v_mov_b32_e32 v16, 0
	v_mov_b32_e32 v17, 0
	;; [unrolled: 1-line block ×5, first 2 shown]
	s_and_saveexec_b64 s[30:31], s[0:1]
	s_cbranch_execz .LBB11_24
; %bb.15:
	global_load_ubyte v16, v[1:2], off offset:2816
	v_or_b32_e32 v17, 0xc00, v0
	v_cmp_gt_u32_e64 s[0:1], s8, v17
	v_mov_b32_e32 v17, 0
	v_mov_b32_e32 v18, 0
	;; [unrolled: 1-line block ×4, first 2 shown]
	s_and_saveexec_b64 s[34:35], s[0:1]
	s_cbranch_execz .LBB11_23
; %bb.16:
	global_load_ubyte v17, v[1:2], off offset:3072
	v_or_b32_e32 v18, 0xd00, v0
	v_cmp_gt_u32_e64 s[0:1], s8, v18
	v_mov_b32_e32 v18, 0
	v_mov_b32_e32 v19, 0
	v_mov_b32_e32 v20, 0
	s_and_saveexec_b64 s[36:37], s[0:1]
	s_cbranch_execz .LBB11_22
; %bb.17:
	global_load_ubyte v18, v[1:2], off offset:3328
	v_or_b32_e32 v19, 0xe00, v0
	v_cmp_gt_u32_e64 s[0:1], s8, v19
	v_mov_b32_e32 v19, 0
	v_mov_b32_e32 v20, 0
	s_and_saveexec_b64 s[38:39], s[0:1]
	s_cbranch_execz .LBB11_21
; %bb.18:
	global_load_ubyte v19, v[1:2], off offset:3584
	v_or_b32_e32 v20, 0xf00, v0
	v_cmp_gt_u32_e64 s[0:1], s8, v20
	v_mov_b32_e32 v20, 0
	s_and_saveexec_b64 s[40:41], s[0:1]
	s_cbranch_execz .LBB11_20
; %bb.19:
	global_load_ubyte v20, v[1:2], off offset:3840
.LBB11_20:
	s_or_b64 exec, exec, s[40:41]
.LBB11_21:
	s_or_b64 exec, exec, s[38:39]
.LBB11_22:
	s_or_b64 exec, exec, s[36:37]
.LBB11_23:
	s_or_b64 exec, exec, s[34:35]
.LBB11_24:
	s_or_b64 exec, exec, s[30:31]
.LBB11_25:
	s_or_b64 exec, exec, s[28:29]
.LBB11_26:
	s_or_b64 exec, exec, s[26:27]
.LBB11_27:
	s_or_b64 exec, exec, s[24:25]
.LBB11_28:
	s_or_b64 exec, exec, s[22:23]
.LBB11_29:
	s_or_b64 exec, exec, s[20:21]
.LBB11_30:
	s_or_b64 exec, exec, s[18:19]
.LBB11_31:
	s_or_b64 exec, exec, s[16:17]
.LBB11_32:
	s_or_b64 exec, exec, s[14:15]
.LBB11_33:
	s_or_b64 exec, exec, s[6:7]
.LBB11_34:
	s_or_b64 exec, exec, s[4:5]
.LBB11_35:
	s_or_b64 exec, exec, s[2:3]
	s_cmp_eq_u32 s9, 0
	s_cselect_b64 s[2:3], -1, 0
	s_and_b32 s5, s10, 0xff
	s_waitcnt vmcnt(0)
	v_cmp_ne_u16_sdwa s[0:1], v11, s5 src0_sel:BYTE_0 src1_sel:DWORD
	s_xor_b64 s[0:1], s[2:3], s[0:1]
	v_cndmask_b32_e64 v1, 0, 1, s[0:1]
	v_cmp_ne_u16_sdwa s[0:1], v12, s5 src0_sel:BYTE_0 src1_sel:DWORD
	s_xor_b64 s[0:1], s[2:3], s[0:1]
	v_cndmask_b32_e64 v2, 0, 1, s[0:1]
	v_cndmask_b32_e32 v1, 0, v1, vcc
	v_lshlrev_b16_e32 v2, 8, v2
	v_or_b32_e32 v2, v1, v2
	v_and_b32_e32 v2, 0xffff, v2
	v_cmp_gt_i32_e64 s[0:1], s8, v3
	v_cndmask_b32_e64 v1, v1, v2, s[0:1]
	v_cmp_ne_u16_sdwa s[0:1], v13, s5 src0_sel:BYTE_0 src1_sel:DWORD
	s_xor_b64 s[0:1], s[2:3], s[0:1]
	v_or_b32_e32 v2, 0x200, v0
	v_cndmask_b32_e64 v11, 0, 1, s[0:1]
	v_lshl_or_b32 v11, v11, 16, v1
	v_cmp_gt_i32_e64 s[0:1], s8, v2
	v_cndmask_b32_e64 v1, v1, v11, s[0:1]
	v_cmp_ne_u16_sdwa s[0:1], v9, s5 src0_sel:BYTE_0 src1_sel:DWORD
	s_xor_b64 s[0:1], s[2:3], s[0:1]
	s_movk_i32 s4, 0xff
	v_cndmask_b32_e64 v9, 0, 1, s[0:1]
	v_and_b32_sdwa v2, v1, s4 dst_sel:DWORD dst_unused:UNUSED_PAD src0_sel:WORD_1 src1_sel:DWORD
	v_lshlrev_b16_e32 v9, 8, v9
	s_mov_b32 s6, 0xffff
	v_or_b32_e32 v11, 0x300, v0
	v_or_b32_sdwa v2, v2, v9 dst_sel:WORD_1 dst_unused:UNUSED_PAD src0_sel:DWORD src1_sel:DWORD
	v_and_or_b32 v2, v1, s6, v2
	v_cmp_gt_i32_e64 s[0:1], s8, v11
	v_cndmask_b32_e64 v9, v1, v2, s[0:1]
	v_cmp_ne_u16_sdwa s[0:1], v7, s5 src0_sel:BYTE_0 src1_sel:DWORD
	s_xor_b64 s[0:1], s[2:3], s[0:1]
	v_cndmask_b32_e64 v1, 0, 1, s[0:1]
	v_or_b32_e32 v2, 0x400, v0
	v_and_b32_e32 v1, 0xffff, v1
	v_cmp_gt_i32_e64 s[0:1], s8, v2
	v_cndmask_b32_e64 v1, 0, v1, s[0:1]
	v_cmp_ne_u16_sdwa s[0:1], v5, s5 src0_sel:BYTE_0 src1_sel:DWORD
	s_xor_b64 s[0:1], s[2:3], s[0:1]
	v_cndmask_b32_e64 v5, 0, 1, s[0:1]
	v_lshlrev_b16_e32 v5, 8, v5
	v_or_b32_e32 v2, 0x500, v0
	v_or_b32_sdwa v5, v1, v5 dst_sel:DWORD dst_unused:UNUSED_PAD src0_sel:BYTE_0 src1_sel:DWORD
	v_and_b32_e32 v5, 0xffff, v5
	v_cmp_gt_i32_e64 s[0:1], s8, v2
	v_cndmask_b32_e64 v1, v1, v5, s[0:1]
	v_cmp_ne_u16_sdwa s[0:1], v8, s5 src0_sel:BYTE_0 src1_sel:DWORD
	s_movk_i32 s7, 0xff00
	s_xor_b64 s[0:1], s[2:3], s[0:1]
	v_and_b32_sdwa v2, v1, s7 dst_sel:DWORD dst_unused:UNUSED_PAD src0_sel:WORD_1 src1_sel:DWORD
	v_cndmask_b32_e64 v5, 0, 1, s[0:1]
	v_or_b32_sdwa v2, v5, v2 dst_sel:WORD_1 dst_unused:UNUSED_PAD src0_sel:DWORD src1_sel:DWORD
	v_or_b32_e32 v5, 0x600, v0
	v_and_or_b32 v2, v1, s6, v2
	v_cmp_gt_i32_e64 s[0:1], s8, v5
	v_cndmask_b32_e64 v1, v1, v2, s[0:1]
	v_cmp_ne_u16_sdwa s[0:1], v6, s5 src0_sel:BYTE_0 src1_sel:DWORD
	s_xor_b64 s[0:1], s[2:3], s[0:1]
	v_cndmask_b32_e64 v6, 0, 1, s[0:1]
	v_and_b32_sdwa v2, v1, s4 dst_sel:DWORD dst_unused:UNUSED_PAD src0_sel:WORD_1 src1_sel:DWORD
	v_lshlrev_b16_e32 v6, 8, v6
	v_or_b32_e32 v5, 0x700, v0
	v_or_b32_sdwa v2, v2, v6 dst_sel:WORD_1 dst_unused:UNUSED_PAD src0_sel:DWORD src1_sel:DWORD
	v_and_or_b32 v2, v1, s6, v2
	v_cmp_gt_i32_e64 s[0:1], s8, v5
	v_cndmask_b32_e64 v5, v1, v2, s[0:1]
	v_cmp_ne_u16_sdwa s[0:1], v10, s5 src0_sel:BYTE_0 src1_sel:DWORD
	v_or_b32_e32 v1, 0x800, v0
	s_xor_b64 s[0:1], s[2:3], s[0:1]
	v_cndmask_b32_e64 v2, 0, 1, s[0:1]
	v_cmp_gt_i32_e64 s[0:1], s8, v1
	v_cndmask_b32_e64 v1, 0, v2, s[0:1]
	v_cmp_ne_u16_sdwa s[0:1], v14, s5 src0_sel:BYTE_0 src1_sel:DWORD
	s_xor_b64 s[0:1], s[2:3], s[0:1]
	v_cndmask_b32_e64 v6, 0, 1, s[0:1]
	v_lshlrev_b16_e32 v6, 8, v6
	v_or_b32_e32 v2, 0x900, v0
	v_or_b32_e32 v6, v1, v6
	v_and_b32_e32 v6, 0xffff, v6
	v_cmp_gt_i32_e64 s[0:1], s8, v2
	v_cndmask_b32_e64 v1, v1, v6, s[0:1]
	v_cmp_ne_u16_sdwa s[0:1], v15, s5 src0_sel:BYTE_0 src1_sel:DWORD
	s_xor_b64 s[0:1], s[2:3], s[0:1]
	v_cndmask_b32_e64 v6, 0, 1, s[0:1]
	v_or_b32_e32 v2, 0xa00, v0
	v_lshlrev_b32_e32 v6, 16, v6
	s_movk_i32 s0, 0x1ff
	v_and_or_b32 v6, v1, s0, v6
	v_cmp_gt_i32_e64 s[0:1], s8, v2
	v_cndmask_b32_e64 v1, v1, v6, s[0:1]
	v_cmp_ne_u16_sdwa s[0:1], v16, s5 src0_sel:BYTE_0 src1_sel:DWORD
	s_xor_b64 s[0:1], s[2:3], s[0:1]
	v_cndmask_b32_e64 v7, 0, 1, s[0:1]
	v_and_b32_sdwa v2, v1, s4 dst_sel:DWORD dst_unused:UNUSED_PAD src0_sel:WORD_1 src1_sel:DWORD
	v_lshlrev_b16_e32 v7, 8, v7
	v_or_b32_e32 v6, 0xb00, v0
	v_or_b32_sdwa v2, v2, v7 dst_sel:WORD_1 dst_unused:UNUSED_PAD src0_sel:DWORD src1_sel:DWORD
	v_and_or_b32 v2, v1, s6, v2
	v_cmp_gt_i32_e64 s[0:1], s8, v6
	v_cndmask_b32_e64 v2, v1, v2, s[0:1]
	v_cmp_ne_u16_sdwa s[0:1], v17, s5 src0_sel:BYTE_0 src1_sel:DWORD
	v_or_b32_e32 v1, 0xc00, v0
	s_xor_b64 s[0:1], s[2:3], s[0:1]
	v_cndmask_b32_e64 v6, 0, 1, s[0:1]
	v_cmp_gt_i32_e64 s[0:1], s8, v1
	v_cndmask_b32_e64 v1, 0, v6, s[0:1]
	v_cmp_ne_u16_sdwa s[0:1], v18, s5 src0_sel:BYTE_0 src1_sel:DWORD
	s_xor_b64 s[0:1], s[2:3], s[0:1]
	v_cndmask_b32_e64 v7, 0, 1, s[0:1]
	v_lshlrev_b16_e32 v7, 8, v7
	v_or_b32_e32 v6, 0xd00, v0
	v_or_b32_sdwa v7, v1, v7 dst_sel:DWORD dst_unused:UNUSED_PAD src0_sel:BYTE_0 src1_sel:DWORD
	v_and_b32_e32 v7, 0xffff, v7
	v_cmp_gt_i32_e64 s[0:1], s8, v6
	v_cndmask_b32_e64 v1, v1, v7, s[0:1]
	v_cmp_ne_u16_sdwa s[0:1], v19, s5 src0_sel:BYTE_0 src1_sel:DWORD
	s_xor_b64 s[0:1], s[2:3], s[0:1]
	v_and_b32_sdwa v6, v1, s7 dst_sel:DWORD dst_unused:UNUSED_PAD src0_sel:WORD_1 src1_sel:DWORD
	v_cndmask_b32_e64 v7, 0, 1, s[0:1]
	v_or_b32_sdwa v6, v7, v6 dst_sel:WORD_1 dst_unused:UNUSED_PAD src0_sel:DWORD src1_sel:DWORD
	v_or_b32_e32 v7, 0xe00, v0
	v_and_or_b32 v6, v1, s6, v6
	v_cmp_gt_i32_e64 s[0:1], s8, v7
	v_cndmask_b32_e64 v1, v1, v6, s[0:1]
	v_cmp_ne_u16_sdwa s[0:1], v20, s5 src0_sel:BYTE_0 src1_sel:DWORD
	s_xor_b64 s[0:1], s[2:3], s[0:1]
	v_cndmask_b32_e64 v8, 0, 1, s[0:1]
	v_and_b32_sdwa v6, v1, s4 dst_sel:DWORD dst_unused:UNUSED_PAD src0_sel:WORD_1 src1_sel:DWORD
	v_lshlrev_b16_e32 v8, 8, v8
	v_or_b32_e32 v7, 0xf00, v0
	v_or_b32_sdwa v6, v6, v8 dst_sel:WORD_1 dst_unused:UNUSED_PAD src0_sel:DWORD src1_sel:DWORD
	v_and_or_b32 v6, v1, s6, v6
	v_cmp_gt_i32_e64 s[0:1], s8, v7
	v_cndmask_b32_e64 v1, v1, v6, s[0:1]
	s_and_saveexec_b64 s[0:1], vcc
	s_cbranch_execnz .LBB11_53
; %bb.36:
	s_or_b64 exec, exec, s[0:1]
	v_cmp_gt_i32_e32 vcc, s8, v0
	s_and_saveexec_b64 s[0:1], vcc
	s_cbranch_execnz .LBB11_54
.LBB11_37:
	s_or_b64 exec, exec, s[0:1]
	v_cmp_gt_i32_e32 vcc, s8, v0
	s_and_saveexec_b64 s[0:1], vcc
	s_cbranch_execnz .LBB11_55
.LBB11_38:
	s_or_b64 exec, exec, s[0:1]
	v_cmp_gt_i32_e32 vcc, s8, v0
	s_and_saveexec_b64 s[0:1], vcc
	s_cbranch_execnz .LBB11_56
.LBB11_39:
	s_or_b64 exec, exec, s[0:1]
	v_cmp_gt_i32_e32 vcc, s8, v0
	s_and_saveexec_b64 s[0:1], vcc
	s_cbranch_execnz .LBB11_57
.LBB11_40:
	s_or_b64 exec, exec, s[0:1]
	v_cmp_gt_i32_e32 vcc, s8, v0
	s_and_saveexec_b64 s[0:1], vcc
	s_cbranch_execnz .LBB11_58
.LBB11_41:
	s_or_b64 exec, exec, s[0:1]
	v_cmp_gt_i32_e32 vcc, s8, v0
	s_and_saveexec_b64 s[0:1], vcc
	s_cbranch_execnz .LBB11_59
.LBB11_42:
	s_or_b64 exec, exec, s[0:1]
	v_cmp_gt_i32_e32 vcc, s8, v0
	s_and_saveexec_b64 s[0:1], vcc
	s_cbranch_execnz .LBB11_60
.LBB11_43:
	s_or_b64 exec, exec, s[0:1]
	v_cmp_gt_i32_e32 vcc, s8, v0
	s_and_saveexec_b64 s[0:1], vcc
	s_cbranch_execnz .LBB11_61
.LBB11_44:
	s_or_b64 exec, exec, s[0:1]
	v_cmp_gt_i32_e32 vcc, s8, v0
	s_and_saveexec_b64 s[0:1], vcc
	s_cbranch_execnz .LBB11_62
.LBB11_45:
	s_or_b64 exec, exec, s[0:1]
	v_cmp_gt_i32_e32 vcc, s8, v0
	s_and_saveexec_b64 s[0:1], vcc
	s_cbranch_execnz .LBB11_63
.LBB11_46:
	s_or_b64 exec, exec, s[0:1]
	v_cmp_gt_i32_e32 vcc, s8, v0
	s_and_saveexec_b64 s[0:1], vcc
	s_cbranch_execnz .LBB11_64
.LBB11_47:
	s_or_b64 exec, exec, s[0:1]
	v_cmp_gt_i32_e32 vcc, s8, v0
	s_and_saveexec_b64 s[0:1], vcc
	s_cbranch_execnz .LBB11_65
.LBB11_48:
	s_or_b64 exec, exec, s[0:1]
	v_cmp_gt_i32_e32 vcc, s8, v0
	s_and_saveexec_b64 s[0:1], vcc
	s_cbranch_execnz .LBB11_66
.LBB11_49:
	s_or_b64 exec, exec, s[0:1]
	v_cmp_gt_i32_e32 vcc, s8, v0
	s_and_saveexec_b64 s[0:1], vcc
	s_cbranch_execnz .LBB11_67
.LBB11_50:
	s_or_b64 exec, exec, s[0:1]
	v_cmp_gt_i32_e32 vcc, s8, v0
	s_and_saveexec_b64 s[0:1], vcc
	s_cbranch_execz .LBB11_52
.LBB11_51:
	v_lshrrev_b32_e32 v1, 24, v1
	v_add_u32_e32 v0, s11, v0
	global_store_byte v0, v1, s[12:13]
.LBB11_52:
	s_endpgm
.LBB11_53:
	v_mov_b32_e32 v0, v3
	global_store_byte v4, v9, s[12:13]
	s_or_b64 exec, exec, s[0:1]
	v_cmp_gt_i32_e32 vcc, s8, v0
	s_and_saveexec_b64 s[0:1], vcc
	s_cbranch_execz .LBB11_37
.LBB11_54:
	v_lshrrev_b32_e32 v3, 8, v9
	v_add_u32_e32 v4, s11, v0
	v_add_u32_e32 v0, 0x100, v0
	global_store_byte v4, v3, s[12:13]
	s_or_b64 exec, exec, s[0:1]
	v_cmp_gt_i32_e32 vcc, s8, v0
	s_and_saveexec_b64 s[0:1], vcc
	s_cbranch_execz .LBB11_38
.LBB11_55:
	v_add_u32_e32 v3, s11, v0
	v_add_u32_e32 v0, 0x100, v0
	global_store_byte_d16_hi v3, v9, s[12:13]
	s_or_b64 exec, exec, s[0:1]
	v_cmp_gt_i32_e32 vcc, s8, v0
	s_and_saveexec_b64 s[0:1], vcc
	s_cbranch_execz .LBB11_39
.LBB11_56:
	v_lshrrev_b32_e32 v3, 24, v9
	v_add_u32_e32 v4, s11, v0
	v_add_u32_e32 v0, 0x100, v0
	global_store_byte v4, v3, s[12:13]
	s_or_b64 exec, exec, s[0:1]
	v_cmp_gt_i32_e32 vcc, s8, v0
	s_and_saveexec_b64 s[0:1], vcc
	s_cbranch_execz .LBB11_40
.LBB11_57:
	v_add_u32_e32 v3, s11, v0
	v_add_u32_e32 v0, 0x100, v0
	global_store_byte v3, v5, s[12:13]
	s_or_b64 exec, exec, s[0:1]
	v_cmp_gt_i32_e32 vcc, s8, v0
	s_and_saveexec_b64 s[0:1], vcc
	s_cbranch_execz .LBB11_41
.LBB11_58:
	v_lshrrev_b32_e32 v3, 8, v5
	v_add_u32_e32 v4, s11, v0
	v_add_u32_e32 v0, 0x100, v0
	global_store_byte v4, v3, s[12:13]
	s_or_b64 exec, exec, s[0:1]
	v_cmp_gt_i32_e32 vcc, s8, v0
	s_and_saveexec_b64 s[0:1], vcc
	s_cbranch_execz .LBB11_42
.LBB11_59:
	v_add_u32_e32 v3, s11, v0
	v_add_u32_e32 v0, 0x100, v0
	global_store_byte_d16_hi v3, v5, s[12:13]
	s_or_b64 exec, exec, s[0:1]
	v_cmp_gt_i32_e32 vcc, s8, v0
	s_and_saveexec_b64 s[0:1], vcc
	s_cbranch_execz .LBB11_43
.LBB11_60:
	v_lshrrev_b32_e32 v3, 24, v5
	v_add_u32_e32 v4, s11, v0
	v_add_u32_e32 v0, 0x100, v0
	global_store_byte v4, v3, s[12:13]
	s_or_b64 exec, exec, s[0:1]
	v_cmp_gt_i32_e32 vcc, s8, v0
	s_and_saveexec_b64 s[0:1], vcc
	s_cbranch_execz .LBB11_44
.LBB11_61:
	v_add_u32_e32 v3, s11, v0
	v_add_u32_e32 v0, 0x100, v0
	global_store_byte v3, v2, s[12:13]
	s_or_b64 exec, exec, s[0:1]
	v_cmp_gt_i32_e32 vcc, s8, v0
	s_and_saveexec_b64 s[0:1], vcc
	s_cbranch_execz .LBB11_45
.LBB11_62:
	v_lshrrev_b32_e32 v3, 8, v2
	v_add_u32_e32 v4, s11, v0
	v_add_u32_e32 v0, 0x100, v0
	global_store_byte v4, v3, s[12:13]
	s_or_b64 exec, exec, s[0:1]
	v_cmp_gt_i32_e32 vcc, s8, v0
	s_and_saveexec_b64 s[0:1], vcc
	s_cbranch_execz .LBB11_46
.LBB11_63:
	v_add_u32_e32 v3, s11, v0
	v_add_u32_e32 v0, 0x100, v0
	global_store_byte_d16_hi v3, v2, s[12:13]
	s_or_b64 exec, exec, s[0:1]
	v_cmp_gt_i32_e32 vcc, s8, v0
	s_and_saveexec_b64 s[0:1], vcc
	s_cbranch_execz .LBB11_47
.LBB11_64:
	v_lshrrev_b32_e32 v2, 24, v2
	v_add_u32_e32 v3, s11, v0
	v_add_u32_e32 v0, 0x100, v0
	global_store_byte v3, v2, s[12:13]
	s_or_b64 exec, exec, s[0:1]
	v_cmp_gt_i32_e32 vcc, s8, v0
	s_and_saveexec_b64 s[0:1], vcc
	s_cbranch_execz .LBB11_48
.LBB11_65:
	v_add_u32_e32 v2, s11, v0
	v_add_u32_e32 v0, 0x100, v0
	global_store_byte v2, v1, s[12:13]
	s_or_b64 exec, exec, s[0:1]
	v_cmp_gt_i32_e32 vcc, s8, v0
	s_and_saveexec_b64 s[0:1], vcc
	s_cbranch_execz .LBB11_49
.LBB11_66:
	v_lshrrev_b32_e32 v2, 8, v1
	v_add_u32_e32 v3, s11, v0
	v_add_u32_e32 v0, 0x100, v0
	global_store_byte v3, v2, s[12:13]
	s_or_b64 exec, exec, s[0:1]
	v_cmp_gt_i32_e32 vcc, s8, v0
	s_and_saveexec_b64 s[0:1], vcc
	s_cbranch_execz .LBB11_50
.LBB11_67:
	v_add_u32_e32 v2, s11, v0
	v_add_u32_e32 v0, 0x100, v0
	global_store_byte_d16_hi v2, v1, s[12:13]
	s_or_b64 exec, exec, s[0:1]
	v_cmp_gt_i32_e32 vcc, s8, v0
	s_and_saveexec_b64 s[0:1], vcc
	s_cbranch_execnz .LBB11_51
	s_branch .LBB11_52
	.section	.rodata,"a",@progbits
	.p2align	6, 0x0
	.amdhsa_kernel _ZN2at6native29vectorized_elementwise_kernelILi2ENS0_13AUnaryFunctorIhhbNS0_12_GLOBAL__N_116CompareEqFunctorIhEEEESt5arrayIPcLm2EEEEviT0_T1_
		.amdhsa_group_segment_fixed_size 0
		.amdhsa_private_segment_fixed_size 0
		.amdhsa_kernarg_size 32
		.amdhsa_user_sgpr_count 6
		.amdhsa_user_sgpr_private_segment_buffer 1
		.amdhsa_user_sgpr_dispatch_ptr 0
		.amdhsa_user_sgpr_queue_ptr 0
		.amdhsa_user_sgpr_kernarg_segment_ptr 1
		.amdhsa_user_sgpr_dispatch_id 0
		.amdhsa_user_sgpr_flat_scratch_init 0
		.amdhsa_user_sgpr_private_segment_size 0
		.amdhsa_uses_dynamic_stack 0
		.amdhsa_system_sgpr_private_segment_wavefront_offset 0
		.amdhsa_system_sgpr_workgroup_id_x 1
		.amdhsa_system_sgpr_workgroup_id_y 0
		.amdhsa_system_sgpr_workgroup_id_z 0
		.amdhsa_system_sgpr_workgroup_info 0
		.amdhsa_system_vgpr_workitem_id 0
		.amdhsa_next_free_vgpr 21
		.amdhsa_next_free_sgpr 44
		.amdhsa_reserve_vcc 1
		.amdhsa_reserve_flat_scratch 0
		.amdhsa_float_round_mode_32 0
		.amdhsa_float_round_mode_16_64 0
		.amdhsa_float_denorm_mode_32 3
		.amdhsa_float_denorm_mode_16_64 3
		.amdhsa_dx10_clamp 1
		.amdhsa_ieee_mode 1
		.amdhsa_fp16_overflow 0
		.amdhsa_exception_fp_ieee_invalid_op 0
		.amdhsa_exception_fp_denorm_src 0
		.amdhsa_exception_fp_ieee_div_zero 0
		.amdhsa_exception_fp_ieee_overflow 0
		.amdhsa_exception_fp_ieee_underflow 0
		.amdhsa_exception_fp_ieee_inexact 0
		.amdhsa_exception_int_div_zero 0
	.end_amdhsa_kernel
	.section	.text._ZN2at6native29vectorized_elementwise_kernelILi2ENS0_13AUnaryFunctorIhhbNS0_12_GLOBAL__N_116CompareEqFunctorIhEEEESt5arrayIPcLm2EEEEviT0_T1_,"axG",@progbits,_ZN2at6native29vectorized_elementwise_kernelILi2ENS0_13AUnaryFunctorIhhbNS0_12_GLOBAL__N_116CompareEqFunctorIhEEEESt5arrayIPcLm2EEEEviT0_T1_,comdat
.Lfunc_end11:
	.size	_ZN2at6native29vectorized_elementwise_kernelILi2ENS0_13AUnaryFunctorIhhbNS0_12_GLOBAL__N_116CompareEqFunctorIhEEEESt5arrayIPcLm2EEEEviT0_T1_, .Lfunc_end11-_ZN2at6native29vectorized_elementwise_kernelILi2ENS0_13AUnaryFunctorIhhbNS0_12_GLOBAL__N_116CompareEqFunctorIhEEEESt5arrayIPcLm2EEEEviT0_T1_
                                        ; -- End function
	.set _ZN2at6native29vectorized_elementwise_kernelILi2ENS0_13AUnaryFunctorIhhbNS0_12_GLOBAL__N_116CompareEqFunctorIhEEEESt5arrayIPcLm2EEEEviT0_T1_.num_vgpr, 21
	.set _ZN2at6native29vectorized_elementwise_kernelILi2ENS0_13AUnaryFunctorIhhbNS0_12_GLOBAL__N_116CompareEqFunctorIhEEEESt5arrayIPcLm2EEEEviT0_T1_.num_agpr, 0
	.set _ZN2at6native29vectorized_elementwise_kernelILi2ENS0_13AUnaryFunctorIhhbNS0_12_GLOBAL__N_116CompareEqFunctorIhEEEESt5arrayIPcLm2EEEEviT0_T1_.numbered_sgpr, 44
	.set _ZN2at6native29vectorized_elementwise_kernelILi2ENS0_13AUnaryFunctorIhhbNS0_12_GLOBAL__N_116CompareEqFunctorIhEEEESt5arrayIPcLm2EEEEviT0_T1_.num_named_barrier, 0
	.set _ZN2at6native29vectorized_elementwise_kernelILi2ENS0_13AUnaryFunctorIhhbNS0_12_GLOBAL__N_116CompareEqFunctorIhEEEESt5arrayIPcLm2EEEEviT0_T1_.private_seg_size, 0
	.set _ZN2at6native29vectorized_elementwise_kernelILi2ENS0_13AUnaryFunctorIhhbNS0_12_GLOBAL__N_116CompareEqFunctorIhEEEESt5arrayIPcLm2EEEEviT0_T1_.uses_vcc, 1
	.set _ZN2at6native29vectorized_elementwise_kernelILi2ENS0_13AUnaryFunctorIhhbNS0_12_GLOBAL__N_116CompareEqFunctorIhEEEESt5arrayIPcLm2EEEEviT0_T1_.uses_flat_scratch, 0
	.set _ZN2at6native29vectorized_elementwise_kernelILi2ENS0_13AUnaryFunctorIhhbNS0_12_GLOBAL__N_116CompareEqFunctorIhEEEESt5arrayIPcLm2EEEEviT0_T1_.has_dyn_sized_stack, 0
	.set _ZN2at6native29vectorized_elementwise_kernelILi2ENS0_13AUnaryFunctorIhhbNS0_12_GLOBAL__N_116CompareEqFunctorIhEEEESt5arrayIPcLm2EEEEviT0_T1_.has_recursion, 0
	.set _ZN2at6native29vectorized_elementwise_kernelILi2ENS0_13AUnaryFunctorIhhbNS0_12_GLOBAL__N_116CompareEqFunctorIhEEEESt5arrayIPcLm2EEEEviT0_T1_.has_indirect_call, 0
	.section	.AMDGPU.csdata,"",@progbits
; Kernel info:
; codeLenInByte = 3572
; TotalNumSgprs: 48
; NumVgprs: 21
; ScratchSize: 0
; MemoryBound: 0
; FloatMode: 240
; IeeeMode: 1
; LDSByteSize: 0 bytes/workgroup (compile time only)
; SGPRBlocks: 5
; VGPRBlocks: 5
; NumSGPRsForWavesPerEU: 48
; NumVGPRsForWavesPerEU: 21
; Occupancy: 10
; WaveLimiterHint : 1
; COMPUTE_PGM_RSRC2:SCRATCH_EN: 0
; COMPUTE_PGM_RSRC2:USER_SGPR: 6
; COMPUTE_PGM_RSRC2:TRAP_HANDLER: 0
; COMPUTE_PGM_RSRC2:TGID_X_EN: 1
; COMPUTE_PGM_RSRC2:TGID_Y_EN: 0
; COMPUTE_PGM_RSRC2:TGID_Z_EN: 0
; COMPUTE_PGM_RSRC2:TIDIG_COMP_CNT: 0
	.section	.text._ZN2at6native27unrolled_elementwise_kernelINS0_13AUnaryFunctorIhhbNS0_12_GLOBAL__N_116CompareEqFunctorIhEEEESt5arrayIPcLm2EELi4E23TrivialOffsetCalculatorILi1EjESB_NS0_6memory15LoadWithoutCastENSC_16StoreWithoutCastEEEviT_T0_T2_T3_T4_T5_,"axG",@progbits,_ZN2at6native27unrolled_elementwise_kernelINS0_13AUnaryFunctorIhhbNS0_12_GLOBAL__N_116CompareEqFunctorIhEEEESt5arrayIPcLm2EELi4E23TrivialOffsetCalculatorILi1EjESB_NS0_6memory15LoadWithoutCastENSC_16StoreWithoutCastEEEviT_T0_T2_T3_T4_T5_,comdat
	.globl	_ZN2at6native27unrolled_elementwise_kernelINS0_13AUnaryFunctorIhhbNS0_12_GLOBAL__N_116CompareEqFunctorIhEEEESt5arrayIPcLm2EELi4E23TrivialOffsetCalculatorILi1EjESB_NS0_6memory15LoadWithoutCastENSC_16StoreWithoutCastEEEviT_T0_T2_T3_T4_T5_ ; -- Begin function _ZN2at6native27unrolled_elementwise_kernelINS0_13AUnaryFunctorIhhbNS0_12_GLOBAL__N_116CompareEqFunctorIhEEEESt5arrayIPcLm2EELi4E23TrivialOffsetCalculatorILi1EjESB_NS0_6memory15LoadWithoutCastENSC_16StoreWithoutCastEEEviT_T0_T2_T3_T4_T5_
	.p2align	8
	.type	_ZN2at6native27unrolled_elementwise_kernelINS0_13AUnaryFunctorIhhbNS0_12_GLOBAL__N_116CompareEqFunctorIhEEEESt5arrayIPcLm2EELi4E23TrivialOffsetCalculatorILi1EjESB_NS0_6memory15LoadWithoutCastENSC_16StoreWithoutCastEEEviT_T0_T2_T3_T4_T5_,@function
_ZN2at6native27unrolled_elementwise_kernelINS0_13AUnaryFunctorIhhbNS0_12_GLOBAL__N_116CompareEqFunctorIhEEEESt5arrayIPcLm2EELi4E23TrivialOffsetCalculatorILi1EjESB_NS0_6memory15LoadWithoutCastENSC_16StoreWithoutCastEEEviT_T0_T2_T3_T4_T5_: ; @_ZN2at6native27unrolled_elementwise_kernelINS0_13AUnaryFunctorIhhbNS0_12_GLOBAL__N_116CompareEqFunctorIhEEEESt5arrayIPcLm2EELi4E23TrivialOffsetCalculatorILi1EjESB_NS0_6memory15LoadWithoutCastENSC_16StoreWithoutCastEEEviT_T0_T2_T3_T4_T5_
; %bb.0:
	s_load_dwordx8 s[8:15], s[4:5], 0x0
	s_waitcnt lgkmcnt(0)
	s_lshl_b32 s11, s6, 10
	v_or_b32_e32 v1, 0x100, v0
	v_mov_b32_e32 v3, 0
	v_or_b32_e32 v2, s11, v0
	s_sub_i32 s8, s8, s11
	v_cmp_gt_i32_e32 vcc, s8, v0
	v_mov_b32_e32 v4, 0
	v_mov_b32_e32 v5, 0
	;; [unrolled: 1-line block ×3, first 2 shown]
	s_and_saveexec_b64 s[2:3], vcc
	s_cbranch_execz .LBB12_8
; %bb.1:
	global_load_ubyte v6, v2, s[14:15]
	v_cmp_gt_u32_e64 s[0:1], s8, v1
	v_mov_b32_e32 v5, 0
	v_mov_b32_e32 v4, 0
	;; [unrolled: 1-line block ×3, first 2 shown]
	s_and_saveexec_b64 s[4:5], s[0:1]
	s_cbranch_execz .LBB12_7
; %bb.2:
	v_add_u32_e32 v3, s11, v1
	global_load_ubyte v5, v3, s[14:15]
	v_or_b32_e32 v7, 0x200, v0
	v_cmp_gt_u32_e64 s[0:1], s8, v7
	v_mov_b32_e32 v4, 0
	v_mov_b32_e32 v3, 0
	s_and_saveexec_b64 s[6:7], s[0:1]
	s_cbranch_execz .LBB12_6
; %bb.3:
	v_add_u32_e32 v3, s11, v7
	global_load_ubyte v4, v3, s[14:15]
	v_or_b32_e32 v7, 0x300, v0
	v_cmp_gt_u32_e64 s[0:1], s8, v7
	v_mov_b32_e32 v3, 0
	s_and_saveexec_b64 s[16:17], s[0:1]
	s_cbranch_execz .LBB12_5
; %bb.4:
	v_add_u32_e32 v3, s11, v7
	global_load_ubyte v3, v3, s[14:15]
.LBB12_5:
	s_or_b64 exec, exec, s[16:17]
.LBB12_6:
	s_or_b64 exec, exec, s[6:7]
.LBB12_7:
	s_or_b64 exec, exec, s[4:5]
.LBB12_8:
	s_or_b64 exec, exec, s[2:3]
	s_and_b32 s5, s10, 0xff
	s_cmp_eq_u32 s9, 0
	s_cselect_b64 s[2:3], -1, 0
	s_waitcnt vmcnt(0)
	v_cmp_ne_u16_sdwa s[0:1], v6, s5 src0_sel:BYTE_0 src1_sel:DWORD
	s_xor_b64 s[0:1], s[2:3], s[0:1]
	v_cndmask_b32_e64 v6, 0, 1, s[0:1]
	v_cmp_ne_u16_sdwa s[0:1], v5, s5 src0_sel:BYTE_0 src1_sel:DWORD
	s_xor_b64 s[0:1], s[2:3], s[0:1]
	v_cndmask_b32_e64 v5, 0, 1, s[0:1]
	v_cndmask_b32_e32 v6, 0, v6, vcc
	v_lshlrev_b16_e32 v5, 8, v5
	v_or_b32_e32 v5, v6, v5
	v_and_b32_e32 v5, 0xffff, v5
	v_cmp_gt_i32_e64 s[0:1], s8, v1
	v_cndmask_b32_e64 v5, v6, v5, s[0:1]
	v_cmp_ne_u16_sdwa s[0:1], v4, s5 src0_sel:BYTE_0 src1_sel:DWORD
	s_xor_b64 s[0:1], s[2:3], s[0:1]
	v_cndmask_b32_e64 v4, 0, 1, s[0:1]
	v_or_b32_e32 v6, 0x200, v0
	v_lshlrev_b32_e32 v4, 16, v4
	v_or_b32_e32 v4, v5, v4
	v_cmp_gt_i32_e64 s[0:1], s8, v6
	v_cndmask_b32_e64 v4, v5, v4, s[0:1]
	v_cmp_ne_u16_sdwa s[0:1], v3, s5 src0_sel:BYTE_0 src1_sel:DWORD
	s_xor_b64 s[0:1], s[2:3], s[0:1]
	s_movk_i32 s4, 0xff
	v_cndmask_b32_e64 v3, 0, 1, s[0:1]
	v_and_b32_sdwa v5, v4, s4 dst_sel:DWORD dst_unused:UNUSED_PAD src0_sel:WORD_1 src1_sel:DWORD
	v_lshlrev_b16_e32 v3, 8, v3
	s_mov_b32 s6, 0xffff
	v_or_b32_e32 v6, 0x300, v0
	v_or_b32_sdwa v3, v5, v3 dst_sel:WORD_1 dst_unused:UNUSED_PAD src0_sel:DWORD src1_sel:DWORD
	v_and_or_b32 v3, v4, s6, v3
	v_cmp_gt_i32_e64 s[0:1], s8, v6
	v_cndmask_b32_e64 v3, v4, v3, s[0:1]
	s_and_saveexec_b64 s[0:1], vcc
	s_cbranch_execnz .LBB12_13
; %bb.9:
	s_or_b64 exec, exec, s[0:1]
	v_cmp_gt_i32_e32 vcc, s8, v0
	s_and_saveexec_b64 s[0:1], vcc
	s_cbranch_execnz .LBB12_14
.LBB12_10:
	s_or_b64 exec, exec, s[0:1]
	v_cmp_gt_i32_e32 vcc, s8, v0
	s_and_saveexec_b64 s[0:1], vcc
	s_cbranch_execnz .LBB12_15
.LBB12_11:
	s_or_b64 exec, exec, s[0:1]
	v_cmp_gt_i32_e32 vcc, s8, v0
	s_and_saveexec_b64 s[0:1], vcc
	s_cbranch_execnz .LBB12_16
.LBB12_12:
	s_endpgm
.LBB12_13:
	v_mov_b32_e32 v0, v1
	global_store_byte v2, v3, s[12:13]
	s_or_b64 exec, exec, s[0:1]
	v_cmp_gt_i32_e32 vcc, s8, v0
	s_and_saveexec_b64 s[0:1], vcc
	s_cbranch_execz .LBB12_10
.LBB12_14:
	v_add_u32_e32 v1, 0x100, v0
	v_add_u32_e32 v0, s11, v0
	v_lshrrev_b32_e32 v2, 8, v3
	global_store_byte v0, v2, s[12:13]
	v_mov_b32_e32 v0, v1
	s_or_b64 exec, exec, s[0:1]
	v_cmp_gt_i32_e32 vcc, s8, v0
	s_and_saveexec_b64 s[0:1], vcc
	s_cbranch_execz .LBB12_11
.LBB12_15:
	v_add_u32_e32 v1, 0x100, v0
	v_add_u32_e32 v0, s11, v0
	global_store_byte_d16_hi v0, v3, s[12:13]
	v_mov_b32_e32 v0, v1
	s_or_b64 exec, exec, s[0:1]
	v_cmp_gt_i32_e32 vcc, s8, v0
	s_and_saveexec_b64 s[0:1], vcc
	s_cbranch_execz .LBB12_12
.LBB12_16:
	v_add_u32_e32 v0, s11, v0
	v_lshrrev_b32_e32 v1, 24, v3
	global_store_byte v0, v1, s[12:13]
	s_endpgm
	.section	.rodata,"a",@progbits
	.p2align	6, 0x0
	.amdhsa_kernel _ZN2at6native27unrolled_elementwise_kernelINS0_13AUnaryFunctorIhhbNS0_12_GLOBAL__N_116CompareEqFunctorIhEEEESt5arrayIPcLm2EELi4E23TrivialOffsetCalculatorILi1EjESB_NS0_6memory15LoadWithoutCastENSC_16StoreWithoutCastEEEviT_T0_T2_T3_T4_T5_
		.amdhsa_group_segment_fixed_size 0
		.amdhsa_private_segment_fixed_size 0
		.amdhsa_kernarg_size 36
		.amdhsa_user_sgpr_count 6
		.amdhsa_user_sgpr_private_segment_buffer 1
		.amdhsa_user_sgpr_dispatch_ptr 0
		.amdhsa_user_sgpr_queue_ptr 0
		.amdhsa_user_sgpr_kernarg_segment_ptr 1
		.amdhsa_user_sgpr_dispatch_id 0
		.amdhsa_user_sgpr_flat_scratch_init 0
		.amdhsa_user_sgpr_private_segment_size 0
		.amdhsa_uses_dynamic_stack 0
		.amdhsa_system_sgpr_private_segment_wavefront_offset 0
		.amdhsa_system_sgpr_workgroup_id_x 1
		.amdhsa_system_sgpr_workgroup_id_y 0
		.amdhsa_system_sgpr_workgroup_id_z 0
		.amdhsa_system_sgpr_workgroup_info 0
		.amdhsa_system_vgpr_workitem_id 0
		.amdhsa_next_free_vgpr 8
		.amdhsa_next_free_sgpr 18
		.amdhsa_reserve_vcc 1
		.amdhsa_reserve_flat_scratch 0
		.amdhsa_float_round_mode_32 0
		.amdhsa_float_round_mode_16_64 0
		.amdhsa_float_denorm_mode_32 3
		.amdhsa_float_denorm_mode_16_64 3
		.amdhsa_dx10_clamp 1
		.amdhsa_ieee_mode 1
		.amdhsa_fp16_overflow 0
		.amdhsa_exception_fp_ieee_invalid_op 0
		.amdhsa_exception_fp_denorm_src 0
		.amdhsa_exception_fp_ieee_div_zero 0
		.amdhsa_exception_fp_ieee_overflow 0
		.amdhsa_exception_fp_ieee_underflow 0
		.amdhsa_exception_fp_ieee_inexact 0
		.amdhsa_exception_int_div_zero 0
	.end_amdhsa_kernel
	.section	.text._ZN2at6native27unrolled_elementwise_kernelINS0_13AUnaryFunctorIhhbNS0_12_GLOBAL__N_116CompareEqFunctorIhEEEESt5arrayIPcLm2EELi4E23TrivialOffsetCalculatorILi1EjESB_NS0_6memory15LoadWithoutCastENSC_16StoreWithoutCastEEEviT_T0_T2_T3_T4_T5_,"axG",@progbits,_ZN2at6native27unrolled_elementwise_kernelINS0_13AUnaryFunctorIhhbNS0_12_GLOBAL__N_116CompareEqFunctorIhEEEESt5arrayIPcLm2EELi4E23TrivialOffsetCalculatorILi1EjESB_NS0_6memory15LoadWithoutCastENSC_16StoreWithoutCastEEEviT_T0_T2_T3_T4_T5_,comdat
.Lfunc_end12:
	.size	_ZN2at6native27unrolled_elementwise_kernelINS0_13AUnaryFunctorIhhbNS0_12_GLOBAL__N_116CompareEqFunctorIhEEEESt5arrayIPcLm2EELi4E23TrivialOffsetCalculatorILi1EjESB_NS0_6memory15LoadWithoutCastENSC_16StoreWithoutCastEEEviT_T0_T2_T3_T4_T5_, .Lfunc_end12-_ZN2at6native27unrolled_elementwise_kernelINS0_13AUnaryFunctorIhhbNS0_12_GLOBAL__N_116CompareEqFunctorIhEEEESt5arrayIPcLm2EELi4E23TrivialOffsetCalculatorILi1EjESB_NS0_6memory15LoadWithoutCastENSC_16StoreWithoutCastEEEviT_T0_T2_T3_T4_T5_
                                        ; -- End function
	.set _ZN2at6native27unrolled_elementwise_kernelINS0_13AUnaryFunctorIhhbNS0_12_GLOBAL__N_116CompareEqFunctorIhEEEESt5arrayIPcLm2EELi4E23TrivialOffsetCalculatorILi1EjESB_NS0_6memory15LoadWithoutCastENSC_16StoreWithoutCastEEEviT_T0_T2_T3_T4_T5_.num_vgpr, 8
	.set _ZN2at6native27unrolled_elementwise_kernelINS0_13AUnaryFunctorIhhbNS0_12_GLOBAL__N_116CompareEqFunctorIhEEEESt5arrayIPcLm2EELi4E23TrivialOffsetCalculatorILi1EjESB_NS0_6memory15LoadWithoutCastENSC_16StoreWithoutCastEEEviT_T0_T2_T3_T4_T5_.num_agpr, 0
	.set _ZN2at6native27unrolled_elementwise_kernelINS0_13AUnaryFunctorIhhbNS0_12_GLOBAL__N_116CompareEqFunctorIhEEEESt5arrayIPcLm2EELi4E23TrivialOffsetCalculatorILi1EjESB_NS0_6memory15LoadWithoutCastENSC_16StoreWithoutCastEEEviT_T0_T2_T3_T4_T5_.numbered_sgpr, 18
	.set _ZN2at6native27unrolled_elementwise_kernelINS0_13AUnaryFunctorIhhbNS0_12_GLOBAL__N_116CompareEqFunctorIhEEEESt5arrayIPcLm2EELi4E23TrivialOffsetCalculatorILi1EjESB_NS0_6memory15LoadWithoutCastENSC_16StoreWithoutCastEEEviT_T0_T2_T3_T4_T5_.num_named_barrier, 0
	.set _ZN2at6native27unrolled_elementwise_kernelINS0_13AUnaryFunctorIhhbNS0_12_GLOBAL__N_116CompareEqFunctorIhEEEESt5arrayIPcLm2EELi4E23TrivialOffsetCalculatorILi1EjESB_NS0_6memory15LoadWithoutCastENSC_16StoreWithoutCastEEEviT_T0_T2_T3_T4_T5_.private_seg_size, 0
	.set _ZN2at6native27unrolled_elementwise_kernelINS0_13AUnaryFunctorIhhbNS0_12_GLOBAL__N_116CompareEqFunctorIhEEEESt5arrayIPcLm2EELi4E23TrivialOffsetCalculatorILi1EjESB_NS0_6memory15LoadWithoutCastENSC_16StoreWithoutCastEEEviT_T0_T2_T3_T4_T5_.uses_vcc, 1
	.set _ZN2at6native27unrolled_elementwise_kernelINS0_13AUnaryFunctorIhhbNS0_12_GLOBAL__N_116CompareEqFunctorIhEEEESt5arrayIPcLm2EELi4E23TrivialOffsetCalculatorILi1EjESB_NS0_6memory15LoadWithoutCastENSC_16StoreWithoutCastEEEviT_T0_T2_T3_T4_T5_.uses_flat_scratch, 0
	.set _ZN2at6native27unrolled_elementwise_kernelINS0_13AUnaryFunctorIhhbNS0_12_GLOBAL__N_116CompareEqFunctorIhEEEESt5arrayIPcLm2EELi4E23TrivialOffsetCalculatorILi1EjESB_NS0_6memory15LoadWithoutCastENSC_16StoreWithoutCastEEEviT_T0_T2_T3_T4_T5_.has_dyn_sized_stack, 0
	.set _ZN2at6native27unrolled_elementwise_kernelINS0_13AUnaryFunctorIhhbNS0_12_GLOBAL__N_116CompareEqFunctorIhEEEESt5arrayIPcLm2EELi4E23TrivialOffsetCalculatorILi1EjESB_NS0_6memory15LoadWithoutCastENSC_16StoreWithoutCastEEEviT_T0_T2_T3_T4_T5_.has_recursion, 0
	.set _ZN2at6native27unrolled_elementwise_kernelINS0_13AUnaryFunctorIhhbNS0_12_GLOBAL__N_116CompareEqFunctorIhEEEESt5arrayIPcLm2EELi4E23TrivialOffsetCalculatorILi1EjESB_NS0_6memory15LoadWithoutCastENSC_16StoreWithoutCastEEEviT_T0_T2_T3_T4_T5_.has_indirect_call, 0
	.section	.AMDGPU.csdata,"",@progbits
; Kernel info:
; codeLenInByte = 632
; TotalNumSgprs: 22
; NumVgprs: 8
; ScratchSize: 0
; MemoryBound: 0
; FloatMode: 240
; IeeeMode: 1
; LDSByteSize: 0 bytes/workgroup (compile time only)
; SGPRBlocks: 2
; VGPRBlocks: 1
; NumSGPRsForWavesPerEU: 22
; NumVGPRsForWavesPerEU: 8
; Occupancy: 10
; WaveLimiterHint : 0
; COMPUTE_PGM_RSRC2:SCRATCH_EN: 0
; COMPUTE_PGM_RSRC2:USER_SGPR: 6
; COMPUTE_PGM_RSRC2:TRAP_HANDLER: 0
; COMPUTE_PGM_RSRC2:TGID_X_EN: 1
; COMPUTE_PGM_RSRC2:TGID_Y_EN: 0
; COMPUTE_PGM_RSRC2:TGID_Z_EN: 0
; COMPUTE_PGM_RSRC2:TIDIG_COMP_CNT: 0
	.section	.text._ZN2at6native32elementwise_kernel_manual_unrollILi128ELi8EZNS0_22gpu_kernel_impl_nocastINS0_13AUnaryFunctorIhhbNS0_12_GLOBAL__N_116CompareEqFunctorIhEEEEEEvRNS_18TensorIteratorBaseERKT_EUlibE_EEviT1_,"axG",@progbits,_ZN2at6native32elementwise_kernel_manual_unrollILi128ELi8EZNS0_22gpu_kernel_impl_nocastINS0_13AUnaryFunctorIhhbNS0_12_GLOBAL__N_116CompareEqFunctorIhEEEEEEvRNS_18TensorIteratorBaseERKT_EUlibE_EEviT1_,comdat
	.globl	_ZN2at6native32elementwise_kernel_manual_unrollILi128ELi8EZNS0_22gpu_kernel_impl_nocastINS0_13AUnaryFunctorIhhbNS0_12_GLOBAL__N_116CompareEqFunctorIhEEEEEEvRNS_18TensorIteratorBaseERKT_EUlibE_EEviT1_ ; -- Begin function _ZN2at6native32elementwise_kernel_manual_unrollILi128ELi8EZNS0_22gpu_kernel_impl_nocastINS0_13AUnaryFunctorIhhbNS0_12_GLOBAL__N_116CompareEqFunctorIhEEEEEEvRNS_18TensorIteratorBaseERKT_EUlibE_EEviT1_
	.p2align	8
	.type	_ZN2at6native32elementwise_kernel_manual_unrollILi128ELi8EZNS0_22gpu_kernel_impl_nocastINS0_13AUnaryFunctorIhhbNS0_12_GLOBAL__N_116CompareEqFunctorIhEEEEEEvRNS_18TensorIteratorBaseERKT_EUlibE_EEviT1_,@function
_ZN2at6native32elementwise_kernel_manual_unrollILi128ELi8EZNS0_22gpu_kernel_impl_nocastINS0_13AUnaryFunctorIhhbNS0_12_GLOBAL__N_116CompareEqFunctorIhEEEEEEvRNS_18TensorIteratorBaseERKT_EUlibE_EEviT1_: ; @_ZN2at6native32elementwise_kernel_manual_unrollILi128ELi8EZNS0_22gpu_kernel_impl_nocastINS0_13AUnaryFunctorIhhbNS0_12_GLOBAL__N_116CompareEqFunctorIhEEEEEEvRNS_18TensorIteratorBaseERKT_EUlibE_EEviT1_
; %bb.0:
	s_load_dword s59, s[4:5], 0x0
	s_load_dword s33, s[4:5], 0x8
	s_add_u32 s34, s4, 8
	s_addc_u32 s35, s5, 0
	v_lshl_or_b32 v19, s6, 10, v0
	v_or_b32_e32 v25, 0x380, v19
	s_waitcnt lgkmcnt(0)
	s_add_i32 s58, s33, -1
	s_cmp_gt_u32 s58, 1
	v_cmp_le_i32_e32 vcc, s59, v25
	s_cselect_b64 s[36:37], -1, 0
	s_and_saveexec_b64 s[0:1], vcc
	s_xor_b64 s[38:39], exec, s[0:1]
	s_cbranch_execz .LBB13_7
; %bb.1:
	s_load_dwordx4 s[20:23], s[34:35], 0x4
	s_load_dwordx2 s[44:45], s[34:35], 0x14
	s_load_dwordx2 s[40:41], s[34:35], 0x158
	s_cmp_lg_u32 s33, 0
	s_cselect_b64 s[50:51], -1, 0
	s_add_u32 s48, s34, 0xc4
	s_load_dwordx4 s[24:27], s[34:35], 0xc4
	s_load_dwordx4 s[16:19], s[34:35], 0x148
	s_addc_u32 s49, s35, 0
	s_min_u32 s60, s58, 15
	s_cmp_gt_u32 s33, 1
	s_cselect_b64 s[46:47], -1, 0
	s_waitcnt lgkmcnt(0)
	s_cmp_eq_u32 s40, 0
	s_cselect_b64 s[42:43], -1, 0
	v_cmp_gt_i32_e32 vcc, s59, v19
	s_and_saveexec_b64 s[52:53], vcc
	s_cbranch_execz .LBB13_14
; %bb.2:
	s_andn2_b64 vcc, exec, s[36:37]
	s_cbranch_vccnz .LBB13_21
; %bb.3:
	s_andn2_b64 vcc, exec, s[50:51]
	s_cbranch_vccnz .LBB13_129
; %bb.4:
	s_add_i32 s61, s60, 1
	s_cmp_eq_u32 s58, 2
	s_cbranch_scc1 .LBB13_131
; %bb.5:
	s_and_b32 s40, s61, 28
	v_mov_b32_e32 v2, 0
	s_mov_b32 s62, 0
	s_mov_b64 s[54:55], s[34:35]
	s_mov_b64 s[56:57], s[48:49]
	v_mov_b32_e32 v0, 0
	v_mov_b32_e32 v1, v19
.LBB13_6:                               ; =>This Inner Loop Header: Depth=1
	s_load_dwordx8 s[8:15], s[54:55], 0x4
	s_load_dwordx4 s[28:31], s[54:55], 0x24
	s_load_dwordx8 s[0:7], s[56:57], 0x0
	s_add_u32 s54, s54, 48
	s_addc_u32 s55, s55, 0
	s_waitcnt lgkmcnt(0)
	v_mul_hi_u32 v3, s9, v1
	s_add_i32 s62, s62, 4
	s_add_u32 s56, s56, 32
	s_addc_u32 s57, s57, 0
	v_add_u32_e32 v3, v1, v3
	v_lshrrev_b32_e32 v3, s10, v3
	v_mul_lo_u32 v4, v3, s8
	v_mul_hi_u32 v5, s12, v3
	s_cmp_lg_u32 s40, s62
	v_sub_u32_e32 v1, v1, v4
	v_add_u32_e32 v4, v3, v5
	v_mul_lo_u32 v5, v1, s0
	v_mul_lo_u32 v6, v1, s1
	v_lshrrev_b32_e32 v1, s13, v4
	v_mul_lo_u32 v4, v1, s11
	v_mul_hi_u32 v7, s15, v1
	v_sub_u32_e32 v3, v3, v4
	v_add_u32_e32 v4, v1, v7
	v_lshrrev_b32_e32 v4, s28, v4
	v_mul_hi_u32 v8, s30, v4
	v_mul_lo_u32 v9, v4, s14
	v_mul_lo_u32 v7, v3, s2
	;; [unrolled: 1-line block ×3, first 2 shown]
	v_sub_u32_e32 v9, v1, v9
	v_add_u32_e32 v1, v4, v8
	v_lshrrev_b32_e32 v1, s31, v1
	v_mul_lo_u32 v8, v1, s29
	v_mul_lo_u32 v10, v9, s4
	;; [unrolled: 1-line block ×3, first 2 shown]
	v_add3_u32 v0, v5, v0, v7
	v_sub_u32_e32 v4, v4, v8
	v_mul_lo_u32 v8, v4, s6
	v_mul_lo_u32 v4, v4, s7
	v_add3_u32 v2, v6, v2, v3
	v_add3_u32 v0, v10, v0, v8
	;; [unrolled: 1-line block ×3, first 2 shown]
	s_cbranch_scc1 .LBB13_6
	s_branch .LBB13_132
.LBB13_7:
	s_andn2_saveexec_b64 s[0:1], s[38:39]
	s_cbranch_execz .LBB13_221
.LBB13_8:
	v_cndmask_b32_e64 v0, 0, 1, s[36:37]
	v_cmp_ne_u32_e64 s[0:1], 1, v0
	s_andn2_b64 vcc, exec, s[36:37]
	s_cbranch_vccnz .LBB13_20
; %bb.9:
	s_cmp_lg_u32 s33, 0
	s_mov_b32 s26, 0
	s_cbranch_scc0 .LBB13_23
; %bb.10:
	s_min_u32 s27, s58, 15
	s_add_i32 s27, s27, 1
	s_cmp_eq_u32 s58, 2
	s_cbranch_scc1 .LBB13_24
; %bb.11:
	s_and_b32 s26, s27, 28
	s_add_u32 s2, s34, 0xc4
	s_addc_u32 s3, s35, 0
	v_mov_b32_e32 v2, 0
	s_mov_b32 s28, 0
	s_mov_b64 s[24:25], s[34:35]
	v_mov_b32_e32 v0, 0
	v_mov_b32_e32 v1, v19
.LBB13_12:                              ; =>This Inner Loop Header: Depth=1
	s_load_dwordx8 s[12:19], s[24:25], 0x4
	s_load_dwordx4 s[20:23], s[24:25], 0x24
	s_load_dwordx8 s[4:11], s[2:3], 0x0
	s_add_u32 s24, s24, 48
	s_addc_u32 s25, s25, 0
	s_waitcnt lgkmcnt(0)
	v_mul_hi_u32 v3, s13, v1
	s_add_i32 s28, s28, 4
	s_add_u32 s2, s2, 32
	s_addc_u32 s3, s3, 0
	v_add_u32_e32 v3, v1, v3
	v_lshrrev_b32_e32 v3, s14, v3
	v_mul_lo_u32 v4, v3, s12
	v_mul_hi_u32 v5, s16, v3
	s_cmp_lg_u32 s26, s28
	v_sub_u32_e32 v1, v1, v4
	v_add_u32_e32 v4, v3, v5
	v_mul_lo_u32 v5, v1, s4
	v_mul_lo_u32 v6, v1, s5
	v_lshrrev_b32_e32 v1, s17, v4
	v_mul_lo_u32 v4, v1, s15
	v_mul_hi_u32 v7, s19, v1
	v_sub_u32_e32 v3, v3, v4
	v_add_u32_e32 v4, v1, v7
	v_lshrrev_b32_e32 v4, s20, v4
	v_mul_hi_u32 v8, s22, v4
	v_mul_lo_u32 v9, v4, s18
	v_mul_lo_u32 v7, v3, s6
	;; [unrolled: 1-line block ×3, first 2 shown]
	v_sub_u32_e32 v9, v1, v9
	v_add_u32_e32 v1, v4, v8
	v_lshrrev_b32_e32 v1, s23, v1
	v_mul_lo_u32 v8, v1, s21
	v_mul_lo_u32 v10, v9, s8
	;; [unrolled: 1-line block ×3, first 2 shown]
	v_add3_u32 v0, v5, v0, v7
	v_sub_u32_e32 v4, v4, v8
	v_mul_lo_u32 v8, v4, s10
	v_mul_lo_u32 v4, v4, s11
	v_add3_u32 v2, v6, v2, v3
	v_add3_u32 v0, v10, v0, v8
	;; [unrolled: 1-line block ×3, first 2 shown]
	s_cbranch_scc1 .LBB13_12
; %bb.13:
	s_and_b32 s6, s27, 3
	s_cmp_eq_u32 s6, 0
	s_cbranch_scc0 .LBB13_25
	s_branch .LBB13_27
.LBB13_14:
	s_or_b64 exec, exec, s[52:53]
	v_cmp_gt_i32_e32 vcc, s59, v19
	s_and_saveexec_b64 s[52:53], vcc
	s_cbranch_execz .LBB13_139
.LBB13_15:
	s_andn2_b64 vcc, exec, s[36:37]
	s_cbranch_vccnz .LBB13_22
; %bb.16:
	s_andn2_b64 vcc, exec, s[50:51]
	s_cbranch_vccnz .LBB13_130
; %bb.17:
	s_add_i32 s61, s60, 1
	s_cmp_eq_u32 s58, 2
	s_cbranch_scc1 .LBB13_147
; %bb.18:
	s_and_b32 s40, s61, 28
	v_mov_b32_e32 v2, 0
	s_mov_b32 s62, 0
	s_mov_b64 s[54:55], s[34:35]
	s_mov_b64 s[56:57], s[48:49]
	v_mov_b32_e32 v0, 0
	v_mov_b32_e32 v1, v19
.LBB13_19:                              ; =>This Inner Loop Header: Depth=1
	s_load_dwordx8 s[8:15], s[54:55], 0x4
	s_load_dwordx4 s[28:31], s[54:55], 0x24
	s_load_dwordx8 s[0:7], s[56:57], 0x0
	s_add_u32 s54, s54, 48
	s_addc_u32 s55, s55, 0
	s_waitcnt lgkmcnt(0)
	v_mul_hi_u32 v3, s9, v1
	s_add_i32 s62, s62, 4
	s_add_u32 s56, s56, 32
	s_addc_u32 s57, s57, 0
	v_add_u32_e32 v3, v1, v3
	v_lshrrev_b32_e32 v3, s10, v3
	v_mul_lo_u32 v4, v3, s8
	v_mul_hi_u32 v5, s12, v3
	s_cmp_eq_u32 s40, s62
	v_sub_u32_e32 v1, v1, v4
	v_add_u32_e32 v4, v3, v5
	v_mul_lo_u32 v5, v1, s0
	v_mul_lo_u32 v6, v1, s1
	v_lshrrev_b32_e32 v1, s13, v4
	v_mul_lo_u32 v4, v1, s11
	v_mul_hi_u32 v7, s15, v1
	v_sub_u32_e32 v3, v3, v4
	v_add_u32_e32 v4, v1, v7
	v_lshrrev_b32_e32 v4, s28, v4
	v_mul_hi_u32 v8, s30, v4
	v_mul_lo_u32 v9, v4, s14
	v_mul_lo_u32 v7, v3, s2
	;; [unrolled: 1-line block ×3, first 2 shown]
	v_sub_u32_e32 v9, v1, v9
	v_add_u32_e32 v1, v4, v8
	v_lshrrev_b32_e32 v1, s31, v1
	v_mul_lo_u32 v8, v1, s29
	v_mul_lo_u32 v10, v9, s4
	;; [unrolled: 1-line block ×3, first 2 shown]
	v_add3_u32 v0, v5, v0, v7
	v_sub_u32_e32 v4, v4, v8
	v_mul_lo_u32 v8, v4, s6
	v_mul_lo_u32 v4, v4, s7
	v_add3_u32 v2, v6, v2, v3
	v_add3_u32 v0, v10, v0, v8
	;; [unrolled: 1-line block ×3, first 2 shown]
	s_cbranch_scc0 .LBB13_19
	s_branch .LBB13_148
.LBB13_20:
                                        ; implicit-def: $vgpr0
                                        ; implicit-def: $vgpr2
	s_branch .LBB13_28
.LBB13_21:
                                        ; implicit-def: $vgpr0
                                        ; implicit-def: $vgpr2
	s_branch .LBB13_136
.LBB13_22:
                                        ; implicit-def: $vgpr0
                                        ; implicit-def: $vgpr2
	s_branch .LBB13_152
.LBB13_23:
	v_mov_b32_e32 v0, 0
	v_mov_b32_e32 v2, 0
	s_branch .LBB13_27
.LBB13_24:
	v_mov_b32_e32 v0, 0
	v_mov_b32_e32 v2, 0
	;; [unrolled: 1-line block ×3, first 2 shown]
	s_and_b32 s6, s27, 3
	s_cmp_eq_u32 s6, 0
	s_cbranch_scc1 .LBB13_27
.LBB13_25:
	s_lshl_b32 s2, s26, 3
	s_add_u32 s2, s34, s2
	s_addc_u32 s3, s35, 0
	s_add_u32 s2, s2, 0xc4
	s_addc_u32 s3, s3, 0
	s_mul_i32 s4, s26, 12
	s_add_u32 s4, s34, s4
	s_addc_u32 s5, s35, 0
.LBB13_26:                              ; =>This Inner Loop Header: Depth=1
	s_load_dwordx2 s[8:9], s[4:5], 0x4
	s_load_dword s7, s[4:5], 0xc
	s_load_dwordx2 s[10:11], s[2:3], 0x0
	s_add_u32 s4, s4, 12
	s_addc_u32 s5, s5, 0
	s_waitcnt lgkmcnt(0)
	v_mul_hi_u32 v4, s9, v1
	s_add_u32 s2, s2, 8
	s_addc_u32 s3, s3, 0
	s_add_i32 s6, s6, -1
	v_add_u32_e32 v4, v1, v4
	v_lshrrev_b32_e32 v4, s7, v4
	v_mul_lo_u32 v5, v4, s8
	s_cmp_lg_u32 s6, 0
	v_sub_u32_e32 v5, v1, v5
	v_mad_u64_u32 v[0:1], s[8:9], v5, s10, v[0:1]
	v_mad_u64_u32 v[2:3], s[8:9], v5, s11, v[2:3]
	v_mov_b32_e32 v1, v4
	s_cbranch_scc1 .LBB13_26
.LBB13_27:
	s_cbranch_execnz .LBB13_30
.LBB13_28:
	s_load_dwordx4 s[4:7], s[34:35], 0x4
	s_load_dwordx2 s[2:3], s[34:35], 0xc4
	s_cmp_lt_u32 s33, 2
	s_waitcnt lgkmcnt(0)
	v_mul_hi_u32 v0, s5, v19
	v_add_u32_e32 v0, v19, v0
	v_lshrrev_b32_e32 v1, s6, v0
	v_mul_lo_u32 v0, v1, s4
	v_sub_u32_e32 v2, v19, v0
	v_mul_lo_u32 v0, v2, s2
	v_mul_lo_u32 v2, v2, s3
	s_cbranch_scc1 .LBB13_30
; %bb.29:
	s_load_dwordx4 s[4:7], s[34:35], 0x10
	s_load_dwordx2 s[2:3], s[34:35], 0xcc
	s_waitcnt lgkmcnt(0)
	v_mul_hi_u32 v3, s5, v1
	v_add_u32_e32 v3, v1, v3
	v_lshrrev_b32_e32 v3, s6, v3
	v_mul_lo_u32 v3, v3, s4
	v_sub_u32_e32 v3, v1, v3
	v_mad_u64_u32 v[0:1], s[4:5], v3, s2, v[0:1]
	v_mad_u64_u32 v[2:3], s[2:3], v3, s3, v[2:3]
.LBB13_30:
	s_and_b64 vcc, exec, s[0:1]
	v_add_u32_e32 v1, 0x80, v19
	s_cbranch_vccnz .LBB13_36
; %bb.31:
	s_cmp_lg_u32 s33, 0
	s_mov_b32 s26, 0
	s_cbranch_scc0 .LBB13_37
; %bb.32:
	s_min_u32 s27, s58, 15
	s_add_i32 s27, s27, 1
	s_cmp_eq_u32 s58, 2
	s_cbranch_scc1 .LBB13_38
; %bb.33:
	s_and_b32 s26, s27, 28
	s_add_u32 s2, s34, 0xc4
	s_addc_u32 s3, s35, 0
	v_mov_b32_e32 v5, 0
	s_mov_b32 s28, 0
	s_mov_b64 s[24:25], s[34:35]
	v_mov_b32_e32 v3, 0
	v_mov_b32_e32 v4, v1
.LBB13_34:                              ; =>This Inner Loop Header: Depth=1
	s_load_dwordx8 s[12:19], s[24:25], 0x4
	s_load_dwordx4 s[20:23], s[24:25], 0x24
	s_load_dwordx8 s[4:11], s[2:3], 0x0
	s_add_u32 s24, s24, 48
	s_addc_u32 s25, s25, 0
	s_waitcnt lgkmcnt(0)
	v_mul_hi_u32 v6, s13, v4
	s_add_i32 s28, s28, 4
	s_add_u32 s2, s2, 32
	s_addc_u32 s3, s3, 0
	v_add_u32_e32 v6, v4, v6
	v_lshrrev_b32_e32 v6, s14, v6
	v_mul_lo_u32 v7, v6, s12
	v_mul_hi_u32 v8, s16, v6
	s_cmp_lg_u32 s26, s28
	v_sub_u32_e32 v4, v4, v7
	v_add_u32_e32 v7, v6, v8
	v_mul_lo_u32 v8, v4, s4
	v_mul_lo_u32 v9, v4, s5
	v_lshrrev_b32_e32 v4, s17, v7
	v_mul_lo_u32 v7, v4, s15
	v_mul_hi_u32 v10, s19, v4
	v_sub_u32_e32 v6, v6, v7
	v_add_u32_e32 v7, v4, v10
	v_lshrrev_b32_e32 v7, s20, v7
	v_mul_hi_u32 v11, s22, v7
	v_mul_lo_u32 v12, v7, s18
	v_mul_lo_u32 v10, v6, s6
	;; [unrolled: 1-line block ×3, first 2 shown]
	v_sub_u32_e32 v12, v4, v12
	v_add_u32_e32 v4, v7, v11
	v_lshrrev_b32_e32 v4, s23, v4
	v_mul_lo_u32 v11, v4, s21
	v_mul_lo_u32 v13, v12, s8
	;; [unrolled: 1-line block ×3, first 2 shown]
	v_add3_u32 v3, v8, v3, v10
	v_sub_u32_e32 v7, v7, v11
	v_mul_lo_u32 v11, v7, s10
	v_mul_lo_u32 v7, v7, s11
	v_add3_u32 v5, v9, v5, v6
	v_add3_u32 v3, v13, v3, v11
	;; [unrolled: 1-line block ×3, first 2 shown]
	s_cbranch_scc1 .LBB13_34
; %bb.35:
	s_and_b32 s6, s27, 3
	s_cmp_eq_u32 s6, 0
	s_cbranch_scc0 .LBB13_39
	s_branch .LBB13_41
.LBB13_36:
                                        ; implicit-def: $vgpr3
                                        ; implicit-def: $vgpr5
	s_branch .LBB13_42
.LBB13_37:
	v_mov_b32_e32 v3, 0
	v_mov_b32_e32 v5, 0
	s_branch .LBB13_41
.LBB13_38:
	v_mov_b32_e32 v3, 0
	v_mov_b32_e32 v5, 0
	;; [unrolled: 1-line block ×3, first 2 shown]
	s_and_b32 s6, s27, 3
	s_cmp_eq_u32 s6, 0
	s_cbranch_scc1 .LBB13_41
.LBB13_39:
	s_lshl_b32 s2, s26, 3
	s_add_u32 s2, s34, s2
	s_addc_u32 s3, s35, 0
	s_add_u32 s2, s2, 0xc4
	s_addc_u32 s3, s3, 0
	s_mul_i32 s4, s26, 12
	s_add_u32 s4, s34, s4
	s_addc_u32 s5, s35, 0
.LBB13_40:                              ; =>This Inner Loop Header: Depth=1
	s_load_dwordx2 s[8:9], s[4:5], 0x4
	s_load_dword s7, s[4:5], 0xc
	s_load_dwordx2 s[10:11], s[2:3], 0x0
	s_add_u32 s4, s4, 12
	s_addc_u32 s5, s5, 0
	s_waitcnt lgkmcnt(0)
	v_mul_hi_u32 v7, s9, v4
	s_add_u32 s2, s2, 8
	s_addc_u32 s3, s3, 0
	s_add_i32 s6, s6, -1
	v_add_u32_e32 v7, v4, v7
	v_lshrrev_b32_e32 v7, s7, v7
	v_mul_lo_u32 v8, v7, s8
	s_cmp_lg_u32 s6, 0
	v_sub_u32_e32 v8, v4, v8
	v_mad_u64_u32 v[3:4], s[8:9], v8, s10, v[3:4]
	v_mad_u64_u32 v[5:6], s[8:9], v8, s11, v[5:6]
	v_mov_b32_e32 v4, v7
	s_cbranch_scc1 .LBB13_40
.LBB13_41:
	s_cbranch_execnz .LBB13_44
.LBB13_42:
	s_load_dwordx4 s[4:7], s[34:35], 0x4
	s_load_dwordx2 s[2:3], s[34:35], 0xc4
	s_cmp_lt_u32 s33, 2
	s_waitcnt lgkmcnt(0)
	v_mul_hi_u32 v3, s5, v1
	v_add_u32_e32 v3, v1, v3
	v_lshrrev_b32_e32 v4, s6, v3
	v_mul_lo_u32 v3, v4, s4
	v_sub_u32_e32 v1, v1, v3
	v_mul_lo_u32 v3, v1, s2
	v_mul_lo_u32 v5, v1, s3
	s_cbranch_scc1 .LBB13_44
; %bb.43:
	s_load_dwordx4 s[4:7], s[34:35], 0x10
	s_load_dwordx2 s[2:3], s[34:35], 0xcc
	s_waitcnt lgkmcnt(0)
	v_mul_hi_u32 v1, s5, v4
	v_add_u32_e32 v1, v4, v1
	v_lshrrev_b32_e32 v1, s6, v1
	v_mul_lo_u32 v1, v1, s4
	v_sub_u32_e32 v1, v4, v1
	v_mad_u64_u32 v[3:4], s[4:5], v1, s2, v[3:4]
	v_mad_u64_u32 v[5:6], s[2:3], v1, s3, v[5:6]
.LBB13_44:
	s_and_b64 vcc, exec, s[0:1]
	v_add_u32_e32 v1, 0x100, v19
	s_cbranch_vccnz .LBB13_50
; %bb.45:
	s_cmp_lg_u32 s33, 0
	s_mov_b32 s26, 0
	s_cbranch_scc0 .LBB13_51
; %bb.46:
	s_min_u32 s27, s58, 15
	s_add_i32 s27, s27, 1
	s_cmp_eq_u32 s58, 2
	s_cbranch_scc1 .LBB13_52
; %bb.47:
	s_and_b32 s26, s27, 28
	s_add_u32 s2, s34, 0xc4
	s_addc_u32 s3, s35, 0
	v_mov_b32_e32 v8, 0
	s_mov_b32 s28, 0
	s_mov_b64 s[24:25], s[34:35]
	v_mov_b32_e32 v6, 0
	v_mov_b32_e32 v4, v1
.LBB13_48:                              ; =>This Inner Loop Header: Depth=1
	s_load_dwordx8 s[12:19], s[24:25], 0x4
	s_load_dwordx4 s[20:23], s[24:25], 0x24
	s_load_dwordx8 s[4:11], s[2:3], 0x0
	s_add_u32 s24, s24, 48
	s_addc_u32 s25, s25, 0
	s_waitcnt lgkmcnt(0)
	v_mul_hi_u32 v7, s13, v4
	s_add_i32 s28, s28, 4
	s_add_u32 s2, s2, 32
	s_addc_u32 s3, s3, 0
	v_add_u32_e32 v7, v4, v7
	v_lshrrev_b32_e32 v7, s14, v7
	v_mul_lo_u32 v9, v7, s12
	v_mul_hi_u32 v10, s16, v7
	s_cmp_lg_u32 s26, s28
	v_sub_u32_e32 v4, v4, v9
	v_add_u32_e32 v9, v7, v10
	v_mul_lo_u32 v10, v4, s4
	v_mul_lo_u32 v11, v4, s5
	v_lshrrev_b32_e32 v4, s17, v9
	v_mul_lo_u32 v9, v4, s15
	v_mul_hi_u32 v12, s19, v4
	v_sub_u32_e32 v7, v7, v9
	v_add_u32_e32 v9, v4, v12
	v_lshrrev_b32_e32 v9, s20, v9
	v_mul_hi_u32 v13, s22, v9
	v_mul_lo_u32 v14, v9, s18
	v_mul_lo_u32 v12, v7, s6
	;; [unrolled: 1-line block ×3, first 2 shown]
	v_sub_u32_e32 v14, v4, v14
	v_add_u32_e32 v4, v9, v13
	v_lshrrev_b32_e32 v4, s23, v4
	v_mul_lo_u32 v13, v4, s21
	v_mul_lo_u32 v15, v14, s8
	;; [unrolled: 1-line block ×3, first 2 shown]
	v_add3_u32 v6, v10, v6, v12
	v_sub_u32_e32 v9, v9, v13
	v_mul_lo_u32 v13, v9, s10
	v_mul_lo_u32 v9, v9, s11
	v_add3_u32 v7, v11, v8, v7
	v_add3_u32 v6, v15, v6, v13
	;; [unrolled: 1-line block ×3, first 2 shown]
	s_cbranch_scc1 .LBB13_48
; %bb.49:
	s_and_b32 s6, s27, 3
	s_cmp_eq_u32 s6, 0
	s_cbranch_scc0 .LBB13_53
	s_branch .LBB13_55
.LBB13_50:
                                        ; implicit-def: $vgpr6
                                        ; implicit-def: $vgpr8
	s_branch .LBB13_56
.LBB13_51:
	v_mov_b32_e32 v6, 0
	v_mov_b32_e32 v8, 0
	s_branch .LBB13_55
.LBB13_52:
	v_mov_b32_e32 v6, 0
	v_mov_b32_e32 v8, 0
	;; [unrolled: 1-line block ×3, first 2 shown]
	s_and_b32 s6, s27, 3
	s_cmp_eq_u32 s6, 0
	s_cbranch_scc1 .LBB13_55
.LBB13_53:
	s_lshl_b32 s2, s26, 3
	s_add_u32 s2, s34, s2
	s_addc_u32 s3, s35, 0
	s_add_u32 s2, s2, 0xc4
	s_addc_u32 s3, s3, 0
	s_mul_i32 s4, s26, 12
	s_add_u32 s4, s34, s4
	s_addc_u32 s5, s35, 0
.LBB13_54:                              ; =>This Inner Loop Header: Depth=1
	s_load_dwordx2 s[8:9], s[4:5], 0x4
	s_load_dword s7, s[4:5], 0xc
	s_load_dwordx2 s[10:11], s[2:3], 0x0
	s_add_u32 s4, s4, 12
	s_addc_u32 s5, s5, 0
	s_waitcnt lgkmcnt(0)
	v_mul_hi_u32 v7, s9, v4
	s_add_u32 s2, s2, 8
	s_addc_u32 s3, s3, 0
	s_add_i32 s6, s6, -1
	v_add_u32_e32 v7, v4, v7
	v_lshrrev_b32_e32 v10, s7, v7
	v_mul_lo_u32 v7, v10, s8
	s_cmp_lg_u32 s6, 0
	v_sub_u32_e32 v4, v4, v7
	v_mad_u64_u32 v[6:7], s[8:9], v4, s10, v[6:7]
	v_mad_u64_u32 v[8:9], s[8:9], v4, s11, v[8:9]
	v_mov_b32_e32 v4, v10
	s_cbranch_scc1 .LBB13_54
.LBB13_55:
	s_cbranch_execnz .LBB13_58
.LBB13_56:
	s_load_dwordx4 s[4:7], s[34:35], 0x4
	s_load_dwordx2 s[2:3], s[34:35], 0xc4
	s_cmp_lt_u32 s33, 2
	s_waitcnt lgkmcnt(0)
	v_mul_hi_u32 v4, s5, v1
	v_add_u32_e32 v4, v1, v4
	v_lshrrev_b32_e32 v4, s6, v4
	v_mul_lo_u32 v6, v4, s4
	v_sub_u32_e32 v1, v1, v6
	v_mul_lo_u32 v6, v1, s2
	v_mul_lo_u32 v8, v1, s3
	s_cbranch_scc1 .LBB13_58
; %bb.57:
	s_load_dwordx4 s[4:7], s[34:35], 0x10
	s_load_dwordx2 s[2:3], s[34:35], 0xcc
	s_waitcnt lgkmcnt(0)
	v_mul_hi_u32 v1, s5, v4
	v_add_u32_e32 v1, v4, v1
	v_lshrrev_b32_e32 v1, s6, v1
	v_mul_lo_u32 v1, v1, s4
	v_sub_u32_e32 v1, v4, v1
	v_mad_u64_u32 v[6:7], s[4:5], v1, s2, v[6:7]
	v_mad_u64_u32 v[8:9], s[2:3], v1, s3, v[8:9]
.LBB13_58:
	s_and_b64 vcc, exec, s[0:1]
	v_add_u32_e32 v1, 0x180, v19
	s_cbranch_vccnz .LBB13_64
; %bb.59:
	s_cmp_lg_u32 s33, 0
	s_mov_b32 s26, 0
	s_cbranch_scc0 .LBB13_65
; %bb.60:
	s_min_u32 s27, s58, 15
	s_add_i32 s27, s27, 1
	s_cmp_eq_u32 s58, 2
	s_cbranch_scc1 .LBB13_66
; %bb.61:
	s_and_b32 s26, s27, 28
	s_add_u32 s2, s34, 0xc4
	s_addc_u32 s3, s35, 0
	v_mov_b32_e32 v11, 0
	s_mov_b32 s28, 0
	s_mov_b64 s[24:25], s[34:35]
	v_mov_b32_e32 v9, 0
	v_mov_b32_e32 v4, v1
.LBB13_62:                              ; =>This Inner Loop Header: Depth=1
	s_load_dwordx8 s[12:19], s[24:25], 0x4
	s_load_dwordx4 s[20:23], s[24:25], 0x24
	s_load_dwordx8 s[4:11], s[2:3], 0x0
	s_add_u32 s24, s24, 48
	s_addc_u32 s25, s25, 0
	s_waitcnt lgkmcnt(0)
	v_mul_hi_u32 v7, s13, v4
	s_add_i32 s28, s28, 4
	s_add_u32 s2, s2, 32
	s_addc_u32 s3, s3, 0
	v_add_u32_e32 v7, v4, v7
	v_lshrrev_b32_e32 v7, s14, v7
	v_mul_lo_u32 v10, v7, s12
	v_mul_hi_u32 v12, s16, v7
	s_cmp_lg_u32 s26, s28
	v_sub_u32_e32 v4, v4, v10
	v_add_u32_e32 v10, v7, v12
	v_mul_lo_u32 v12, v4, s4
	v_mul_lo_u32 v13, v4, s5
	v_lshrrev_b32_e32 v4, s17, v10
	v_mul_lo_u32 v10, v4, s15
	v_mul_hi_u32 v14, s19, v4
	v_sub_u32_e32 v7, v7, v10
	v_add_u32_e32 v10, v4, v14
	v_lshrrev_b32_e32 v10, s20, v10
	v_mul_hi_u32 v15, s22, v10
	v_mul_lo_u32 v16, v10, s18
	v_mul_lo_u32 v14, v7, s6
	;; [unrolled: 1-line block ×3, first 2 shown]
	v_sub_u32_e32 v16, v4, v16
	v_add_u32_e32 v4, v10, v15
	v_lshrrev_b32_e32 v4, s23, v4
	v_mul_lo_u32 v15, v4, s21
	v_mul_lo_u32 v17, v16, s8
	;; [unrolled: 1-line block ×3, first 2 shown]
	v_add3_u32 v9, v12, v9, v14
	v_sub_u32_e32 v10, v10, v15
	v_mul_lo_u32 v15, v10, s10
	v_mul_lo_u32 v10, v10, s11
	v_add3_u32 v7, v13, v11, v7
	v_add3_u32 v9, v17, v9, v15
	;; [unrolled: 1-line block ×3, first 2 shown]
	s_cbranch_scc1 .LBB13_62
; %bb.63:
	s_and_b32 s6, s27, 3
	s_cmp_eq_u32 s6, 0
	s_cbranch_scc0 .LBB13_67
	s_branch .LBB13_69
.LBB13_64:
                                        ; implicit-def: $vgpr9
                                        ; implicit-def: $vgpr11
	s_branch .LBB13_70
.LBB13_65:
	v_mov_b32_e32 v9, 0
	v_mov_b32_e32 v11, 0
	s_branch .LBB13_69
.LBB13_66:
	v_mov_b32_e32 v9, 0
	v_mov_b32_e32 v11, 0
	;; [unrolled: 1-line block ×3, first 2 shown]
	s_and_b32 s6, s27, 3
	s_cmp_eq_u32 s6, 0
	s_cbranch_scc1 .LBB13_69
.LBB13_67:
	s_lshl_b32 s2, s26, 3
	s_add_u32 s2, s34, s2
	s_addc_u32 s3, s35, 0
	s_add_u32 s2, s2, 0xc4
	s_addc_u32 s3, s3, 0
	s_mul_i32 s4, s26, 12
	s_add_u32 s4, s34, s4
	s_addc_u32 s5, s35, 0
.LBB13_68:                              ; =>This Inner Loop Header: Depth=1
	s_load_dwordx2 s[8:9], s[4:5], 0x4
	s_load_dword s7, s[4:5], 0xc
	s_load_dwordx2 s[10:11], s[2:3], 0x0
	s_add_u32 s4, s4, 12
	s_addc_u32 s5, s5, 0
	s_waitcnt lgkmcnt(0)
	v_mul_hi_u32 v7, s9, v4
	s_add_u32 s2, s2, 8
	s_addc_u32 s3, s3, 0
	s_add_i32 s6, s6, -1
	v_add_u32_e32 v7, v4, v7
	v_lshrrev_b32_e32 v7, s7, v7
	v_mul_lo_u32 v10, v7, s8
	s_cmp_lg_u32 s6, 0
	v_sub_u32_e32 v4, v4, v10
	v_mad_u64_u32 v[9:10], s[8:9], v4, s10, v[9:10]
	v_mad_u64_u32 v[11:12], s[8:9], v4, s11, v[11:12]
	v_mov_b32_e32 v4, v7
	s_cbranch_scc1 .LBB13_68
.LBB13_69:
	s_cbranch_execnz .LBB13_72
.LBB13_70:
	s_load_dwordx4 s[4:7], s[34:35], 0x4
	s_load_dwordx2 s[2:3], s[34:35], 0xc4
	s_cmp_lt_u32 s33, 2
	s_waitcnt lgkmcnt(0)
	v_mul_hi_u32 v4, s5, v1
	v_add_u32_e32 v4, v1, v4
	v_lshrrev_b32_e32 v4, s6, v4
	v_mul_lo_u32 v7, v4, s4
	v_sub_u32_e32 v1, v1, v7
	v_mul_lo_u32 v9, v1, s2
	v_mul_lo_u32 v11, v1, s3
	s_cbranch_scc1 .LBB13_72
; %bb.71:
	s_load_dwordx4 s[4:7], s[34:35], 0x10
	s_load_dwordx2 s[2:3], s[34:35], 0xcc
	s_waitcnt lgkmcnt(0)
	v_mul_hi_u32 v1, s5, v4
	v_add_u32_e32 v1, v4, v1
	v_lshrrev_b32_e32 v1, s6, v1
	v_mul_lo_u32 v1, v1, s4
	v_sub_u32_e32 v1, v4, v1
	v_mad_u64_u32 v[9:10], s[4:5], v1, s2, v[9:10]
	v_mad_u64_u32 v[11:12], s[2:3], v1, s3, v[11:12]
.LBB13_72:
	s_and_b64 vcc, exec, s[0:1]
	v_add_u32_e32 v1, 0x200, v19
	s_cbranch_vccnz .LBB13_78
; %bb.73:
	s_cmp_lg_u32 s33, 0
	s_mov_b32 s26, 0
	s_cbranch_scc0 .LBB13_79
; %bb.74:
	s_min_u32 s27, s58, 15
	s_add_i32 s27, s27, 1
	s_cmp_eq_u32 s58, 2
	s_cbranch_scc1 .LBB13_80
; %bb.75:
	s_and_b32 s26, s27, 28
	s_add_u32 s2, s34, 0xc4
	s_addc_u32 s3, s35, 0
	v_mov_b32_e32 v14, 0
	s_mov_b32 s28, 0
	s_mov_b64 s[24:25], s[34:35]
	v_mov_b32_e32 v12, 0
	v_mov_b32_e32 v4, v1
.LBB13_76:                              ; =>This Inner Loop Header: Depth=1
	s_load_dwordx8 s[12:19], s[24:25], 0x4
	s_load_dwordx4 s[20:23], s[24:25], 0x24
	s_load_dwordx8 s[4:11], s[2:3], 0x0
	s_add_u32 s24, s24, 48
	s_addc_u32 s25, s25, 0
	s_waitcnt lgkmcnt(0)
	v_mul_hi_u32 v7, s13, v4
	s_add_i32 s28, s28, 4
	s_add_u32 s2, s2, 32
	s_addc_u32 s3, s3, 0
	v_add_u32_e32 v7, v4, v7
	v_lshrrev_b32_e32 v7, s14, v7
	v_mul_lo_u32 v10, v7, s12
	v_mul_hi_u32 v13, s16, v7
	s_cmp_lg_u32 s26, s28
	v_sub_u32_e32 v4, v4, v10
	v_add_u32_e32 v10, v7, v13
	v_mul_lo_u32 v13, v4, s4
	v_mul_lo_u32 v15, v4, s5
	v_lshrrev_b32_e32 v4, s17, v10
	v_mul_lo_u32 v10, v4, s15
	v_mul_hi_u32 v16, s19, v4
	v_sub_u32_e32 v7, v7, v10
	v_add_u32_e32 v10, v4, v16
	v_lshrrev_b32_e32 v10, s20, v10
	v_mul_hi_u32 v17, s22, v10
	v_mul_lo_u32 v18, v10, s18
	v_mul_lo_u32 v16, v7, s6
	;; [unrolled: 1-line block ×3, first 2 shown]
	v_sub_u32_e32 v18, v4, v18
	v_add_u32_e32 v4, v10, v17
	v_lshrrev_b32_e32 v4, s23, v4
	v_mul_lo_u32 v17, v4, s21
	v_mul_lo_u32 v20, v18, s8
	;; [unrolled: 1-line block ×3, first 2 shown]
	v_add3_u32 v12, v13, v12, v16
	v_sub_u32_e32 v10, v10, v17
	v_mul_lo_u32 v17, v10, s10
	v_mul_lo_u32 v10, v10, s11
	v_add3_u32 v7, v15, v14, v7
	v_add3_u32 v12, v20, v12, v17
	;; [unrolled: 1-line block ×3, first 2 shown]
	s_cbranch_scc1 .LBB13_76
; %bb.77:
	s_and_b32 s6, s27, 3
	s_cmp_eq_u32 s6, 0
	s_cbranch_scc0 .LBB13_81
	s_branch .LBB13_83
.LBB13_78:
                                        ; implicit-def: $vgpr12
                                        ; implicit-def: $vgpr14
	s_branch .LBB13_84
.LBB13_79:
	v_mov_b32_e32 v12, 0
	v_mov_b32_e32 v14, 0
	s_branch .LBB13_83
.LBB13_80:
	v_mov_b32_e32 v12, 0
	v_mov_b32_e32 v14, 0
	v_mov_b32_e32 v4, v1
	s_and_b32 s6, s27, 3
	s_cmp_eq_u32 s6, 0
	s_cbranch_scc1 .LBB13_83
.LBB13_81:
	s_lshl_b32 s2, s26, 3
	s_add_u32 s2, s34, s2
	s_addc_u32 s3, s35, 0
	s_add_u32 s2, s2, 0xc4
	s_addc_u32 s3, s3, 0
	s_mul_i32 s4, s26, 12
	s_add_u32 s4, s34, s4
	s_addc_u32 s5, s35, 0
.LBB13_82:                              ; =>This Inner Loop Header: Depth=1
	s_load_dwordx2 s[8:9], s[4:5], 0x4
	s_load_dword s7, s[4:5], 0xc
	s_load_dwordx2 s[10:11], s[2:3], 0x0
	s_add_u32 s4, s4, 12
	s_addc_u32 s5, s5, 0
	s_waitcnt lgkmcnt(0)
	v_mul_hi_u32 v7, s9, v4
	s_add_u32 s2, s2, 8
	s_addc_u32 s3, s3, 0
	s_add_i32 s6, s6, -1
	v_add_u32_e32 v7, v4, v7
	v_lshrrev_b32_e32 v7, s7, v7
	v_mul_lo_u32 v10, v7, s8
	s_cmp_lg_u32 s6, 0
	v_sub_u32_e32 v4, v4, v10
	v_mad_u64_u32 v[12:13], s[8:9], v4, s10, v[12:13]
	v_mad_u64_u32 v[14:15], s[8:9], v4, s11, v[14:15]
	v_mov_b32_e32 v4, v7
	s_cbranch_scc1 .LBB13_82
.LBB13_83:
	s_cbranch_execnz .LBB13_86
.LBB13_84:
	s_load_dwordx4 s[4:7], s[34:35], 0x4
	s_load_dwordx2 s[2:3], s[34:35], 0xc4
	s_cmp_lt_u32 s33, 2
	s_waitcnt lgkmcnt(0)
	v_mul_hi_u32 v4, s5, v1
	v_add_u32_e32 v4, v1, v4
	v_lshrrev_b32_e32 v4, s6, v4
	v_mul_lo_u32 v7, v4, s4
	v_sub_u32_e32 v1, v1, v7
	v_mul_lo_u32 v12, v1, s2
	v_mul_lo_u32 v14, v1, s3
	s_cbranch_scc1 .LBB13_86
; %bb.85:
	s_load_dwordx4 s[4:7], s[34:35], 0x10
	s_load_dwordx2 s[2:3], s[34:35], 0xcc
	s_waitcnt lgkmcnt(0)
	v_mul_hi_u32 v1, s5, v4
	v_add_u32_e32 v1, v4, v1
	v_lshrrev_b32_e32 v1, s6, v1
	v_mul_lo_u32 v1, v1, s4
	v_sub_u32_e32 v1, v4, v1
	v_mad_u64_u32 v[12:13], s[4:5], v1, s2, v[12:13]
	v_mad_u64_u32 v[14:15], s[2:3], v1, s3, v[14:15]
.LBB13_86:
	s_and_b64 vcc, exec, s[0:1]
	v_add_u32_e32 v1, 0x280, v19
	s_cbranch_vccnz .LBB13_92
; %bb.87:
	s_cmp_lg_u32 s33, 0
	s_mov_b32 s26, 0
	s_cbranch_scc0 .LBB13_93
; %bb.88:
	s_min_u32 s27, s58, 15
	s_add_i32 s27, s27, 1
	s_cmp_eq_u32 s58, 2
	s_cbranch_scc1 .LBB13_94
; %bb.89:
	s_and_b32 s26, s27, 28
	s_add_u32 s2, s34, 0xc4
	s_addc_u32 s3, s35, 0
	v_mov_b32_e32 v17, 0
	s_mov_b32 s28, 0
	s_mov_b64 s[24:25], s[34:35]
	v_mov_b32_e32 v15, 0
	v_mov_b32_e32 v4, v1
.LBB13_90:                              ; =>This Inner Loop Header: Depth=1
	s_load_dwordx8 s[12:19], s[24:25], 0x4
	s_load_dwordx4 s[20:23], s[24:25], 0x24
	s_load_dwordx8 s[4:11], s[2:3], 0x0
	s_add_u32 s24, s24, 48
	s_addc_u32 s25, s25, 0
	s_waitcnt lgkmcnt(0)
	v_mul_hi_u32 v7, s13, v4
	s_add_i32 s28, s28, 4
	s_add_u32 s2, s2, 32
	s_addc_u32 s3, s3, 0
	v_add_u32_e32 v7, v4, v7
	v_lshrrev_b32_e32 v7, s14, v7
	v_mul_lo_u32 v10, v7, s12
	v_mul_hi_u32 v13, s16, v7
	s_cmp_lg_u32 s26, s28
	v_sub_u32_e32 v4, v4, v10
	v_add_u32_e32 v10, v7, v13
	v_mul_lo_u32 v13, v4, s4
	v_mul_lo_u32 v16, v4, s5
	v_lshrrev_b32_e32 v4, s17, v10
	v_mul_lo_u32 v10, v4, s15
	v_mul_hi_u32 v18, s19, v4
	v_sub_u32_e32 v7, v7, v10
	v_add_u32_e32 v10, v4, v18
	v_lshrrev_b32_e32 v10, s20, v10
	v_mul_hi_u32 v20, s22, v10
	v_mul_lo_u32 v21, v10, s18
	v_mul_lo_u32 v18, v7, s6
	v_mul_lo_u32 v7, v7, s7
	v_sub_u32_e32 v21, v4, v21
	v_add_u32_e32 v4, v10, v20
	v_lshrrev_b32_e32 v4, s23, v4
	v_mul_lo_u32 v20, v4, s21
	v_mul_lo_u32 v22, v21, s8
	;; [unrolled: 1-line block ×3, first 2 shown]
	v_add3_u32 v13, v13, v15, v18
	v_sub_u32_e32 v10, v10, v20
	v_mul_lo_u32 v20, v10, s10
	v_mul_lo_u32 v10, v10, s11
	v_add3_u32 v7, v16, v17, v7
	v_add3_u32 v15, v22, v13, v20
	;; [unrolled: 1-line block ×3, first 2 shown]
	s_cbranch_scc1 .LBB13_90
; %bb.91:
	s_and_b32 s6, s27, 3
	s_cmp_eq_u32 s6, 0
	s_cbranch_scc0 .LBB13_95
	s_branch .LBB13_97
.LBB13_92:
                                        ; implicit-def: $vgpr15
                                        ; implicit-def: $vgpr17
	s_branch .LBB13_98
.LBB13_93:
	v_mov_b32_e32 v15, 0
	v_mov_b32_e32 v17, 0
	s_branch .LBB13_97
.LBB13_94:
	v_mov_b32_e32 v15, 0
	v_mov_b32_e32 v17, 0
	;; [unrolled: 1-line block ×3, first 2 shown]
	s_and_b32 s6, s27, 3
	s_cmp_eq_u32 s6, 0
	s_cbranch_scc1 .LBB13_97
.LBB13_95:
	s_lshl_b32 s2, s26, 3
	s_add_u32 s2, s34, s2
	s_addc_u32 s3, s35, 0
	s_add_u32 s2, s2, 0xc4
	s_addc_u32 s3, s3, 0
	s_mul_i32 s4, s26, 12
	s_add_u32 s4, s34, s4
	s_addc_u32 s5, s35, 0
.LBB13_96:                              ; =>This Inner Loop Header: Depth=1
	s_load_dwordx2 s[8:9], s[4:5], 0x4
	s_load_dword s7, s[4:5], 0xc
	s_load_dwordx2 s[10:11], s[2:3], 0x0
	s_add_u32 s4, s4, 12
	s_addc_u32 s5, s5, 0
	s_waitcnt lgkmcnt(0)
	v_mul_hi_u32 v7, s9, v4
	s_add_u32 s2, s2, 8
	s_addc_u32 s3, s3, 0
	s_add_i32 s6, s6, -1
	v_add_u32_e32 v7, v4, v7
	v_lshrrev_b32_e32 v7, s7, v7
	v_mul_lo_u32 v10, v7, s8
	s_cmp_lg_u32 s6, 0
	v_sub_u32_e32 v4, v4, v10
	v_mad_u64_u32 v[15:16], s[8:9], v4, s10, v[15:16]
	v_mad_u64_u32 v[17:18], s[8:9], v4, s11, v[17:18]
	v_mov_b32_e32 v4, v7
	s_cbranch_scc1 .LBB13_96
.LBB13_97:
	s_cbranch_execnz .LBB13_100
.LBB13_98:
	s_load_dwordx4 s[4:7], s[34:35], 0x4
	s_load_dwordx2 s[2:3], s[34:35], 0xc4
	s_cmp_lt_u32 s33, 2
	s_waitcnt lgkmcnt(0)
	v_mul_hi_u32 v4, s5, v1
	v_add_u32_e32 v4, v1, v4
	v_lshrrev_b32_e32 v4, s6, v4
	v_mul_lo_u32 v7, v4, s4
	v_sub_u32_e32 v1, v1, v7
	v_mul_lo_u32 v15, v1, s2
	v_mul_lo_u32 v17, v1, s3
	s_cbranch_scc1 .LBB13_100
; %bb.99:
	s_load_dwordx4 s[4:7], s[34:35], 0x10
	s_load_dwordx2 s[2:3], s[34:35], 0xcc
	s_waitcnt lgkmcnt(0)
	v_mul_hi_u32 v1, s5, v4
	v_add_u32_e32 v1, v4, v1
	v_lshrrev_b32_e32 v1, s6, v1
	v_mul_lo_u32 v1, v1, s4
	v_sub_u32_e32 v1, v4, v1
	v_mad_u64_u32 v[15:16], s[4:5], v1, s2, v[15:16]
	v_mad_u64_u32 v[17:18], s[2:3], v1, s3, v[17:18]
.LBB13_100:
	s_and_b64 vcc, exec, s[0:1]
	v_add_u32_e32 v1, 0x300, v19
	s_cbranch_vccnz .LBB13_106
; %bb.101:
	s_cmp_lg_u32 s33, 0
	s_mov_b32 s26, 0
	s_cbranch_scc0 .LBB13_107
; %bb.102:
	s_min_u32 s27, s58, 15
	s_add_i32 s27, s27, 1
	s_cmp_eq_u32 s58, 2
	s_cbranch_scc1 .LBB13_108
; %bb.103:
	s_and_b32 s26, s27, 28
	s_add_u32 s2, s34, 0xc4
	s_addc_u32 s3, s35, 0
	v_mov_b32_e32 v20, 0
	s_mov_b32 s28, 0
	s_mov_b64 s[24:25], s[34:35]
	v_mov_b32_e32 v18, 0
	v_mov_b32_e32 v4, v1
.LBB13_104:                             ; =>This Inner Loop Header: Depth=1
	s_load_dwordx8 s[12:19], s[24:25], 0x4
	s_load_dwordx4 s[20:23], s[24:25], 0x24
	s_load_dwordx8 s[4:11], s[2:3], 0x0
	s_add_u32 s24, s24, 48
	s_addc_u32 s25, s25, 0
	s_waitcnt lgkmcnt(0)
	v_mul_hi_u32 v7, s13, v4
	s_add_i32 s28, s28, 4
	s_add_u32 s2, s2, 32
	s_addc_u32 s3, s3, 0
	v_add_u32_e32 v7, v4, v7
	v_lshrrev_b32_e32 v7, s14, v7
	v_mul_lo_u32 v10, v7, s12
	v_mul_hi_u32 v13, s16, v7
	s_cmp_lg_u32 s26, s28
	v_sub_u32_e32 v4, v4, v10
	v_add_u32_e32 v10, v7, v13
	v_mul_lo_u32 v13, v4, s4
	v_mul_lo_u32 v16, v4, s5
	v_lshrrev_b32_e32 v4, s17, v10
	v_mul_lo_u32 v10, v4, s15
	v_mul_hi_u32 v19, s19, v4
	v_sub_u32_e32 v7, v7, v10
	v_add_u32_e32 v10, v4, v19
	v_lshrrev_b32_e32 v10, s20, v10
	v_mul_hi_u32 v21, s22, v10
	v_mul_lo_u32 v22, v10, s18
	v_mul_lo_u32 v19, v7, s6
	;; [unrolled: 1-line block ×3, first 2 shown]
	v_sub_u32_e32 v22, v4, v22
	v_add_u32_e32 v4, v10, v21
	v_lshrrev_b32_e32 v4, s23, v4
	v_mul_lo_u32 v21, v4, s21
	v_mul_lo_u32 v23, v22, s8
	;; [unrolled: 1-line block ×3, first 2 shown]
	v_add3_u32 v13, v13, v18, v19
	v_sub_u32_e32 v10, v10, v21
	v_mul_lo_u32 v21, v10, s10
	v_mul_lo_u32 v10, v10, s11
	v_add3_u32 v7, v16, v20, v7
	v_add3_u32 v18, v23, v13, v21
	;; [unrolled: 1-line block ×3, first 2 shown]
	s_cbranch_scc1 .LBB13_104
; %bb.105:
	s_and_b32 s6, s27, 3
	s_cmp_eq_u32 s6, 0
	s_cbranch_scc0 .LBB13_109
	s_branch .LBB13_111
.LBB13_106:
                                        ; implicit-def: $vgpr18
                                        ; implicit-def: $vgpr20
	s_branch .LBB13_112
.LBB13_107:
	v_mov_b32_e32 v18, 0
	v_mov_b32_e32 v20, 0
	s_branch .LBB13_111
.LBB13_108:
	v_mov_b32_e32 v18, 0
	v_mov_b32_e32 v20, 0
	;; [unrolled: 1-line block ×3, first 2 shown]
	s_and_b32 s6, s27, 3
	s_cmp_eq_u32 s6, 0
	s_cbranch_scc1 .LBB13_111
.LBB13_109:
	s_lshl_b32 s2, s26, 3
	s_add_u32 s2, s34, s2
	s_addc_u32 s3, s35, 0
	s_add_u32 s2, s2, 0xc4
	s_addc_u32 s3, s3, 0
	s_mul_i32 s4, s26, 12
	s_add_u32 s4, s34, s4
	s_addc_u32 s5, s35, 0
.LBB13_110:                             ; =>This Inner Loop Header: Depth=1
	s_load_dwordx2 s[8:9], s[4:5], 0x4
	s_load_dword s7, s[4:5], 0xc
	s_load_dwordx2 s[10:11], s[2:3], 0x0
	s_add_u32 s4, s4, 12
	s_addc_u32 s5, s5, 0
	s_waitcnt lgkmcnt(0)
	v_mul_hi_u32 v7, s9, v4
	s_add_u32 s2, s2, 8
	s_addc_u32 s3, s3, 0
	s_add_i32 s6, s6, -1
	v_add_u32_e32 v7, v4, v7
	v_lshrrev_b32_e32 v7, s7, v7
	v_mul_lo_u32 v10, v7, s8
	s_cmp_lg_u32 s6, 0
	v_sub_u32_e32 v4, v4, v10
	v_mad_u64_u32 v[18:19], s[8:9], v4, s10, v[18:19]
	v_mad_u64_u32 v[20:21], s[8:9], v4, s11, v[20:21]
	v_mov_b32_e32 v4, v7
	s_cbranch_scc1 .LBB13_110
.LBB13_111:
	s_cbranch_execnz .LBB13_114
.LBB13_112:
	s_load_dwordx4 s[4:7], s[34:35], 0x4
	s_load_dwordx2 s[2:3], s[34:35], 0xc4
	s_cmp_lt_u32 s33, 2
	s_waitcnt lgkmcnt(0)
	v_mul_hi_u32 v4, s5, v1
	v_add_u32_e32 v4, v1, v4
	v_lshrrev_b32_e32 v4, s6, v4
	v_mul_lo_u32 v7, v4, s4
	v_sub_u32_e32 v1, v1, v7
	v_mul_lo_u32 v18, v1, s2
	v_mul_lo_u32 v20, v1, s3
	s_cbranch_scc1 .LBB13_114
; %bb.113:
	s_load_dwordx4 s[4:7], s[34:35], 0x10
	s_load_dwordx2 s[2:3], s[34:35], 0xcc
	s_waitcnt lgkmcnt(0)
	v_mul_hi_u32 v1, s5, v4
	v_add_u32_e32 v1, v4, v1
	v_lshrrev_b32_e32 v1, s6, v1
	v_mul_lo_u32 v1, v1, s4
	v_sub_u32_e32 v1, v4, v1
	v_mad_u64_u32 v[18:19], s[4:5], v1, s2, v[18:19]
	v_mad_u64_u32 v[20:21], s[2:3], v1, s3, v[20:21]
.LBB13_114:
	s_and_b64 vcc, exec, s[0:1]
	s_cbranch_vccnz .LBB13_120
; %bb.115:
	s_cmp_lg_u32 s33, 0
	s_mov_b32 s24, 0
	s_cbranch_scc0 .LBB13_121
; %bb.116:
	s_min_u32 s25, s58, 15
	s_add_i32 s25, s25, 1
	s_cmp_eq_u32 s58, 2
	s_cbranch_scc1 .LBB13_122
; %bb.117:
	s_and_b32 s24, s25, 28
	s_add_u32 s20, s34, 0xc4
	s_addc_u32 s21, s35, 0
	v_mov_b32_e32 v23, 0
	s_mov_b32 s26, 0
	s_mov_b64 s[22:23], s[34:35]
	v_mov_b32_e32 v21, 0
	v_mov_b32_e32 v1, v25
.LBB13_118:                             ; =>This Inner Loop Header: Depth=1
	s_load_dwordx8 s[8:15], s[22:23], 0x4
	s_load_dwordx4 s[16:19], s[22:23], 0x24
	s_load_dwordx8 s[0:7], s[20:21], 0x0
	s_add_u32 s22, s22, 48
	s_addc_u32 s23, s23, 0
	s_waitcnt lgkmcnt(0)
	v_mul_hi_u32 v4, s9, v1
	s_add_i32 s26, s26, 4
	s_add_u32 s20, s20, 32
	s_addc_u32 s21, s21, 0
	v_add_u32_e32 v4, v1, v4
	v_lshrrev_b32_e32 v4, s10, v4
	v_mul_lo_u32 v7, v4, s8
	v_mul_hi_u32 v10, s12, v4
	s_cmp_lg_u32 s24, s26
	v_sub_u32_e32 v1, v1, v7
	v_add_u32_e32 v7, v4, v10
	v_mul_lo_u32 v10, v1, s0
	v_mul_lo_u32 v13, v1, s1
	v_lshrrev_b32_e32 v1, s13, v7
	v_mul_lo_u32 v7, v1, s11
	v_mul_hi_u32 v16, s15, v1
	v_sub_u32_e32 v4, v4, v7
	v_add_u32_e32 v7, v1, v16
	v_lshrrev_b32_e32 v7, s16, v7
	v_mul_hi_u32 v19, s18, v7
	v_mul_lo_u32 v22, v7, s14
	v_mul_lo_u32 v16, v4, s2
	;; [unrolled: 1-line block ×3, first 2 shown]
	v_sub_u32_e32 v22, v1, v22
	v_add_u32_e32 v1, v7, v19
	v_lshrrev_b32_e32 v1, s19, v1
	v_mul_lo_u32 v19, v1, s17
	v_mul_lo_u32 v24, v22, s4
	;; [unrolled: 1-line block ×3, first 2 shown]
	v_add3_u32 v10, v10, v21, v16
	v_sub_u32_e32 v7, v7, v19
	v_mul_lo_u32 v19, v7, s6
	v_mul_lo_u32 v7, v7, s7
	v_add3_u32 v4, v13, v23, v4
	v_add3_u32 v21, v24, v10, v19
	v_add3_u32 v23, v22, v4, v7
	s_cbranch_scc1 .LBB13_118
; %bb.119:
	s_and_b32 s4, s25, 3
	s_cmp_eq_u32 s4, 0
	s_cbranch_scc0 .LBB13_123
	s_branch .LBB13_125
.LBB13_120:
                                        ; implicit-def: $vgpr21
                                        ; implicit-def: $vgpr23
	s_branch .LBB13_126
.LBB13_121:
	v_mov_b32_e32 v21, 0
	v_mov_b32_e32 v23, 0
	s_branch .LBB13_125
.LBB13_122:
	v_mov_b32_e32 v21, 0
	v_mov_b32_e32 v23, 0
	v_mov_b32_e32 v1, v25
	s_and_b32 s4, s25, 3
	s_cmp_eq_u32 s4, 0
	s_cbranch_scc1 .LBB13_125
.LBB13_123:
	s_lshl_b32 s0, s24, 3
	s_add_u32 s0, s34, s0
	s_addc_u32 s1, s35, 0
	s_add_u32 s0, s0, 0xc4
	s_addc_u32 s1, s1, 0
	s_mul_i32 s2, s24, 12
	s_add_u32 s2, s34, s2
	s_addc_u32 s3, s35, 0
.LBB13_124:                             ; =>This Inner Loop Header: Depth=1
	s_load_dwordx2 s[6:7], s[2:3], 0x4
	s_load_dword s5, s[2:3], 0xc
	s_load_dwordx2 s[8:9], s[0:1], 0x0
	s_add_u32 s2, s2, 12
	s_addc_u32 s3, s3, 0
	s_waitcnt lgkmcnt(0)
	v_mul_hi_u32 v4, s7, v1
	s_add_u32 s0, s0, 8
	s_addc_u32 s1, s1, 0
	s_add_i32 s4, s4, -1
	v_add_u32_e32 v4, v1, v4
	v_lshrrev_b32_e32 v4, s5, v4
	v_mul_lo_u32 v7, v4, s6
	s_cmp_lg_u32 s4, 0
	v_sub_u32_e32 v1, v1, v7
	v_mad_u64_u32 v[21:22], s[6:7], v1, s8, v[21:22]
	v_mad_u64_u32 v[23:24], s[6:7], v1, s9, v[23:24]
	v_mov_b32_e32 v1, v4
	s_cbranch_scc1 .LBB13_124
.LBB13_125:
	s_cbranch_execnz .LBB13_128
.LBB13_126:
	s_load_dwordx4 s[0:3], s[34:35], 0x4
	s_load_dwordx2 s[4:5], s[34:35], 0xc4
	s_cmp_lt_u32 s33, 2
	s_waitcnt lgkmcnt(0)
	v_mul_hi_u32 v1, s1, v25
	v_add_u32_e32 v1, v25, v1
	v_lshrrev_b32_e32 v1, s2, v1
	v_mul_lo_u32 v4, v1, s0
	v_sub_u32_e32 v4, v25, v4
	v_mul_lo_u32 v21, v4, s4
	v_mul_lo_u32 v23, v4, s5
	s_cbranch_scc1 .LBB13_128
; %bb.127:
	s_load_dwordx4 s[0:3], s[34:35], 0x10
	s_load_dwordx2 s[4:5], s[34:35], 0xcc
	s_waitcnt lgkmcnt(0)
	v_mul_hi_u32 v4, s1, v1
	v_add_u32_e32 v4, v1, v4
	v_lshrrev_b32_e32 v4, s2, v4
	v_mul_lo_u32 v4, v4, s0
	v_sub_u32_e32 v1, v1, v4
	v_mad_u64_u32 v[21:22], s[0:1], v1, s4, v[21:22]
	v_mad_u64_u32 v[23:24], s[0:1], v1, s5, v[23:24]
.LBB13_128:
	s_load_dwordx4 s[16:19], s[34:35], 0x148
	s_load_dwordx2 s[0:1], s[34:35], 0x158
	s_waitcnt lgkmcnt(0)
	global_load_ubyte v1, v2, s[18:19]
	global_load_ubyte v4, v5, s[18:19]
	global_load_ubyte v7, v8, s[18:19]
	global_load_ubyte v10, v11, s[18:19]
	global_load_ubyte v13, v14, s[18:19]
	global_load_ubyte v16, v17, s[18:19]
	global_load_ubyte v19, v20, s[18:19]
	global_load_ubyte v22, v23, s[18:19]
	s_and_b32 s12, s1, 0xff
	s_cmp_eq_u32 s0, 0
	s_cselect_b64 s[14:15], -1, 0
	s_waitcnt vmcnt(7)
	v_cmp_ne_u16_e32 vcc, s12, v1
	s_waitcnt vmcnt(6)
	v_cmp_ne_u16_e64 s[0:1], s12, v4
	s_waitcnt vmcnt(5)
	v_cmp_ne_u16_e64 s[2:3], s12, v7
	s_xor_b64 s[0:1], s[14:15], s[0:1]
	s_waitcnt vmcnt(4)
	v_cmp_ne_u16_e64 s[4:5], s12, v10
	v_cndmask_b32_e64 v2, 0, 1, s[0:1]
	s_xor_b64 s[0:1], s[14:15], s[2:3]
	s_waitcnt vmcnt(3)
	v_cmp_ne_u16_e64 s[6:7], s12, v13
	v_cndmask_b32_e64 v4, 0, 1, s[0:1]
	;; [unrolled: 4-line block ×4, first 2 shown]
	s_xor_b64 s[0:1], s[14:15], s[8:9]
	s_waitcnt vmcnt(0)
	v_cmp_ne_u16_e64 s[12:13], s12, v22
	s_xor_b64 s[18:19], s[14:15], vcc
	v_cndmask_b32_e64 v8, 0, 1, s[0:1]
	s_xor_b64 s[0:1], s[14:15], s[10:11]
	v_cndmask_b32_e64 v1, 0, 1, s[18:19]
	v_cndmask_b32_e64 v10, 0, 1, s[0:1]
	s_xor_b64 s[0:1], s[14:15], s[12:13]
	v_cndmask_b32_e64 v11, 0, 1, s[0:1]
	global_store_byte v0, v1, s[16:17]
	global_store_byte v3, v2, s[16:17]
	;; [unrolled: 1-line block ×8, first 2 shown]
	s_endpgm
.LBB13_129:
	v_mov_b32_e32 v0, 0
	v_mov_b32_e32 v2, 0
	s_branch .LBB13_135
.LBB13_130:
	v_mov_b32_e32 v0, 0
	v_mov_b32_e32 v2, 0
	s_branch .LBB13_151
.LBB13_131:
	s_mov_b32 s40, 0
	v_mov_b32_e32 v0, 0
	v_mov_b32_e32 v2, 0
	;; [unrolled: 1-line block ×3, first 2 shown]
.LBB13_132:
	s_and_b32 s4, s61, 3
	s_cmp_eq_u32 s4, 0
	s_cbranch_scc1 .LBB13_135
; %bb.133:
	s_lshl_b32 s0, s40, 3
	s_add_u32 s0, s34, s0
	s_addc_u32 s1, s35, 0
	s_add_u32 s0, s0, 0xc4
	s_addc_u32 s1, s1, 0
	s_mul_i32 s2, s40, 12
	s_add_u32 s2, s34, s2
	s_addc_u32 s3, s35, 0
.LBB13_134:                             ; =>This Inner Loop Header: Depth=1
	s_load_dwordx2 s[6:7], s[2:3], 0x4
	s_load_dword s5, s[2:3], 0xc
	s_load_dwordx2 s[8:9], s[0:1], 0x0
	s_add_u32 s2, s2, 12
	s_addc_u32 s3, s3, 0
	s_waitcnt lgkmcnt(0)
	v_mul_hi_u32 v3, s7, v1
	s_add_u32 s0, s0, 8
	s_addc_u32 s1, s1, 0
	s_add_i32 s4, s4, -1
	v_add_u32_e32 v3, v1, v3
	v_lshrrev_b32_e32 v4, s5, v3
	v_mul_lo_u32 v3, v4, s6
	s_cmp_lg_u32 s4, 0
	v_sub_u32_e32 v3, v1, v3
	v_mad_u64_u32 v[0:1], s[6:7], v3, s8, v[0:1]
	v_mad_u64_u32 v[2:3], s[6:7], v3, s9, v[2:3]
	v_mov_b32_e32 v1, v4
	s_cbranch_scc1 .LBB13_134
.LBB13_135:
	s_cbranch_execnz .LBB13_138
.LBB13_136:
	v_mul_hi_u32 v0, s21, v19
	s_andn2_b64 vcc, exec, s[46:47]
	v_add_u32_e32 v0, v19, v0
	v_lshrrev_b32_e32 v1, s22, v0
	v_mul_lo_u32 v0, v1, s20
	v_sub_u32_e32 v2, v19, v0
	v_mul_lo_u32 v0, v2, s24
	v_mul_lo_u32 v2, v2, s25
	s_cbranch_vccnz .LBB13_138
; %bb.137:
	v_mul_hi_u32 v3, s44, v1
	v_add_u32_e32 v3, v1, v3
	v_lshrrev_b32_e32 v3, s45, v3
	v_mul_lo_u32 v3, v3, s23
	v_sub_u32_e32 v3, v1, v3
	v_mad_u64_u32 v[0:1], s[0:1], v3, s26, v[0:1]
	v_mad_u64_u32 v[2:3], s[0:1], v3, s27, v[2:3]
.LBB13_138:
	global_load_ubyte v1, v2, s[18:19]
	s_and_b32 s0, s41, 0xff
	v_add_u32_e32 v19, 0x80, v19
	s_waitcnt vmcnt(0)
	v_cmp_ne_u16_e32 vcc, s0, v1
	s_xor_b64 s[0:1], s[42:43], vcc
	v_cndmask_b32_e64 v1, 0, 1, s[0:1]
	global_store_byte v0, v1, s[16:17]
	s_or_b64 exec, exec, s[52:53]
	v_cmp_gt_i32_e32 vcc, s59, v19
	s_and_saveexec_b64 s[52:53], vcc
	s_cbranch_execnz .LBB13_15
.LBB13_139:
	s_or_b64 exec, exec, s[52:53]
	v_cmp_gt_i32_e32 vcc, s59, v19
	s_and_saveexec_b64 s[52:53], vcc
	s_cbranch_execz .LBB13_155
.LBB13_140:
	s_andn2_b64 vcc, exec, s[36:37]
	s_cbranch_vccnz .LBB13_145
; %bb.141:
	s_andn2_b64 vcc, exec, s[50:51]
	s_cbranch_vccnz .LBB13_146
; %bb.142:
	s_add_i32 s61, s60, 1
	s_cmp_eq_u32 s58, 2
	s_cbranch_scc1 .LBB13_163
; %bb.143:
	s_and_b32 s40, s61, 28
	v_mov_b32_e32 v2, 0
	s_mov_b32 s62, 0
	s_mov_b64 s[54:55], s[34:35]
	s_mov_b64 s[56:57], s[48:49]
	v_mov_b32_e32 v0, 0
	v_mov_b32_e32 v1, v19
.LBB13_144:                             ; =>This Inner Loop Header: Depth=1
	s_load_dwordx8 s[8:15], s[54:55], 0x4
	s_load_dwordx4 s[28:31], s[54:55], 0x24
	s_load_dwordx8 s[0:7], s[56:57], 0x0
	s_add_u32 s54, s54, 48
	s_addc_u32 s55, s55, 0
	s_waitcnt lgkmcnt(0)
	v_mul_hi_u32 v3, s9, v1
	s_add_i32 s62, s62, 4
	s_add_u32 s56, s56, 32
	s_addc_u32 s57, s57, 0
	v_add_u32_e32 v3, v1, v3
	v_lshrrev_b32_e32 v3, s10, v3
	v_mul_lo_u32 v4, v3, s8
	v_mul_hi_u32 v5, s12, v3
	s_cmp_eq_u32 s40, s62
	v_sub_u32_e32 v1, v1, v4
	v_add_u32_e32 v4, v3, v5
	v_mul_lo_u32 v5, v1, s0
	v_mul_lo_u32 v6, v1, s1
	v_lshrrev_b32_e32 v1, s13, v4
	v_mul_lo_u32 v4, v1, s11
	v_mul_hi_u32 v7, s15, v1
	v_sub_u32_e32 v3, v3, v4
	v_add_u32_e32 v4, v1, v7
	v_lshrrev_b32_e32 v4, s28, v4
	v_mul_hi_u32 v8, s30, v4
	v_mul_lo_u32 v9, v4, s14
	v_mul_lo_u32 v7, v3, s2
	;; [unrolled: 1-line block ×3, first 2 shown]
	v_sub_u32_e32 v9, v1, v9
	v_add_u32_e32 v1, v4, v8
	v_lshrrev_b32_e32 v1, s31, v1
	v_mul_lo_u32 v8, v1, s29
	v_mul_lo_u32 v10, v9, s4
	;; [unrolled: 1-line block ×3, first 2 shown]
	v_add3_u32 v0, v5, v0, v7
	v_sub_u32_e32 v4, v4, v8
	v_mul_lo_u32 v8, v4, s6
	v_mul_lo_u32 v4, v4, s7
	v_add3_u32 v2, v6, v2, v3
	v_add3_u32 v0, v10, v0, v8
	;; [unrolled: 1-line block ×3, first 2 shown]
	s_cbranch_scc0 .LBB13_144
	s_branch .LBB13_164
.LBB13_145:
                                        ; implicit-def: $vgpr0
                                        ; implicit-def: $vgpr2
	s_branch .LBB13_168
.LBB13_146:
	v_mov_b32_e32 v0, 0
	v_mov_b32_e32 v2, 0
	s_branch .LBB13_167
.LBB13_147:
	s_mov_b32 s40, 0
	v_mov_b32_e32 v0, 0
	v_mov_b32_e32 v2, 0
	;; [unrolled: 1-line block ×3, first 2 shown]
.LBB13_148:
	s_and_b32 s4, s61, 3
	s_cmp_eq_u32 s4, 0
	s_cbranch_scc1 .LBB13_151
; %bb.149:
	s_lshl_b32 s0, s40, 3
	s_add_u32 s0, s34, s0
	s_addc_u32 s1, s35, 0
	s_add_u32 s0, s0, 0xc4
	s_addc_u32 s1, s1, 0
	s_mul_i32 s2, s40, 12
	s_add_u32 s2, s34, s2
	s_addc_u32 s3, s35, 0
.LBB13_150:                             ; =>This Inner Loop Header: Depth=1
	s_load_dwordx2 s[6:7], s[2:3], 0x4
	s_load_dword s5, s[2:3], 0xc
	s_load_dwordx2 s[8:9], s[0:1], 0x0
	s_add_u32 s2, s2, 12
	s_addc_u32 s3, s3, 0
	s_waitcnt lgkmcnt(0)
	v_mul_hi_u32 v3, s7, v1
	s_add_u32 s0, s0, 8
	s_addc_u32 s1, s1, 0
	s_add_i32 s4, s4, -1
	v_add_u32_e32 v3, v1, v3
	v_lshrrev_b32_e32 v4, s5, v3
	v_mul_lo_u32 v3, v4, s6
	s_cmp_lg_u32 s4, 0
	v_sub_u32_e32 v3, v1, v3
	v_mad_u64_u32 v[0:1], s[6:7], v3, s8, v[0:1]
	v_mad_u64_u32 v[2:3], s[6:7], v3, s9, v[2:3]
	v_mov_b32_e32 v1, v4
	s_cbranch_scc1 .LBB13_150
.LBB13_151:
	s_cbranch_execnz .LBB13_154
.LBB13_152:
	v_mul_hi_u32 v0, s21, v19
	s_andn2_b64 vcc, exec, s[46:47]
	v_add_u32_e32 v0, v19, v0
	v_lshrrev_b32_e32 v1, s22, v0
	v_mul_lo_u32 v0, v1, s20
	v_sub_u32_e32 v2, v19, v0
	v_mul_lo_u32 v0, v2, s24
	v_mul_lo_u32 v2, v2, s25
	s_cbranch_vccnz .LBB13_154
; %bb.153:
	v_mul_hi_u32 v3, s44, v1
	v_add_u32_e32 v3, v1, v3
	v_lshrrev_b32_e32 v3, s45, v3
	v_mul_lo_u32 v3, v3, s23
	v_sub_u32_e32 v3, v1, v3
	v_mad_u64_u32 v[0:1], s[0:1], v3, s26, v[0:1]
	v_mad_u64_u32 v[2:3], s[0:1], v3, s27, v[2:3]
.LBB13_154:
	global_load_ubyte v1, v2, s[18:19]
	s_and_b32 s0, s41, 0xff
	v_add_u32_e32 v19, 0x80, v19
	s_waitcnt vmcnt(0)
	v_cmp_ne_u16_e32 vcc, s0, v1
	s_xor_b64 s[0:1], s[42:43], vcc
	v_cndmask_b32_e64 v1, 0, 1, s[0:1]
	global_store_byte v0, v1, s[16:17]
	s_or_b64 exec, exec, s[52:53]
	v_cmp_gt_i32_e32 vcc, s59, v19
	s_and_saveexec_b64 s[52:53], vcc
	s_cbranch_execnz .LBB13_140
.LBB13_155:
	s_or_b64 exec, exec, s[52:53]
	v_cmp_gt_i32_e32 vcc, s59, v19
	s_and_saveexec_b64 s[52:53], vcc
	s_cbranch_execz .LBB13_171
.LBB13_156:
	s_andn2_b64 vcc, exec, s[36:37]
	s_cbranch_vccnz .LBB13_161
; %bb.157:
	s_andn2_b64 vcc, exec, s[50:51]
	s_cbranch_vccnz .LBB13_162
; %bb.158:
	s_add_i32 s61, s60, 1
	s_cmp_eq_u32 s58, 2
	s_cbranch_scc1 .LBB13_179
; %bb.159:
	s_and_b32 s40, s61, 28
	v_mov_b32_e32 v2, 0
	s_mov_b32 s62, 0
	s_mov_b64 s[54:55], s[34:35]
	s_mov_b64 s[56:57], s[48:49]
	v_mov_b32_e32 v0, 0
	v_mov_b32_e32 v1, v19
.LBB13_160:                             ; =>This Inner Loop Header: Depth=1
	s_load_dwordx8 s[8:15], s[54:55], 0x4
	s_load_dwordx4 s[28:31], s[54:55], 0x24
	s_load_dwordx8 s[0:7], s[56:57], 0x0
	s_add_u32 s54, s54, 48
	s_addc_u32 s55, s55, 0
	s_waitcnt lgkmcnt(0)
	v_mul_hi_u32 v3, s9, v1
	s_add_i32 s62, s62, 4
	s_add_u32 s56, s56, 32
	s_addc_u32 s57, s57, 0
	v_add_u32_e32 v3, v1, v3
	v_lshrrev_b32_e32 v3, s10, v3
	v_mul_lo_u32 v4, v3, s8
	v_mul_hi_u32 v5, s12, v3
	s_cmp_eq_u32 s40, s62
	v_sub_u32_e32 v1, v1, v4
	v_add_u32_e32 v4, v3, v5
	v_mul_lo_u32 v5, v1, s0
	v_mul_lo_u32 v6, v1, s1
	v_lshrrev_b32_e32 v1, s13, v4
	v_mul_lo_u32 v4, v1, s11
	v_mul_hi_u32 v7, s15, v1
	v_sub_u32_e32 v3, v3, v4
	v_add_u32_e32 v4, v1, v7
	v_lshrrev_b32_e32 v4, s28, v4
	v_mul_hi_u32 v8, s30, v4
	v_mul_lo_u32 v9, v4, s14
	v_mul_lo_u32 v7, v3, s2
	;; [unrolled: 1-line block ×3, first 2 shown]
	v_sub_u32_e32 v9, v1, v9
	v_add_u32_e32 v1, v4, v8
	v_lshrrev_b32_e32 v1, s31, v1
	v_mul_lo_u32 v8, v1, s29
	v_mul_lo_u32 v10, v9, s4
	;; [unrolled: 1-line block ×3, first 2 shown]
	v_add3_u32 v0, v5, v0, v7
	v_sub_u32_e32 v4, v4, v8
	v_mul_lo_u32 v8, v4, s6
	v_mul_lo_u32 v4, v4, s7
	v_add3_u32 v2, v6, v2, v3
	v_add3_u32 v0, v10, v0, v8
	;; [unrolled: 1-line block ×3, first 2 shown]
	s_cbranch_scc0 .LBB13_160
	s_branch .LBB13_180
.LBB13_161:
                                        ; implicit-def: $vgpr0
                                        ; implicit-def: $vgpr2
	s_branch .LBB13_184
.LBB13_162:
	v_mov_b32_e32 v0, 0
	v_mov_b32_e32 v2, 0
	s_branch .LBB13_183
.LBB13_163:
	s_mov_b32 s40, 0
	v_mov_b32_e32 v0, 0
	v_mov_b32_e32 v2, 0
	;; [unrolled: 1-line block ×3, first 2 shown]
.LBB13_164:
	s_and_b32 s4, s61, 3
	s_cmp_eq_u32 s4, 0
	s_cbranch_scc1 .LBB13_167
; %bb.165:
	s_lshl_b32 s0, s40, 3
	s_add_u32 s0, s34, s0
	s_addc_u32 s1, s35, 0
	s_add_u32 s0, s0, 0xc4
	s_addc_u32 s1, s1, 0
	s_mul_i32 s2, s40, 12
	s_add_u32 s2, s34, s2
	s_addc_u32 s3, s35, 0
.LBB13_166:                             ; =>This Inner Loop Header: Depth=1
	s_load_dwordx2 s[6:7], s[2:3], 0x4
	s_load_dword s5, s[2:3], 0xc
	s_load_dwordx2 s[8:9], s[0:1], 0x0
	s_add_u32 s2, s2, 12
	s_addc_u32 s3, s3, 0
	s_waitcnt lgkmcnt(0)
	v_mul_hi_u32 v3, s7, v1
	s_add_u32 s0, s0, 8
	s_addc_u32 s1, s1, 0
	s_add_i32 s4, s4, -1
	v_add_u32_e32 v3, v1, v3
	v_lshrrev_b32_e32 v4, s5, v3
	v_mul_lo_u32 v3, v4, s6
	s_cmp_lg_u32 s4, 0
	v_sub_u32_e32 v3, v1, v3
	v_mad_u64_u32 v[0:1], s[6:7], v3, s8, v[0:1]
	v_mad_u64_u32 v[2:3], s[6:7], v3, s9, v[2:3]
	v_mov_b32_e32 v1, v4
	s_cbranch_scc1 .LBB13_166
.LBB13_167:
	s_cbranch_execnz .LBB13_170
.LBB13_168:
	v_mul_hi_u32 v0, s21, v19
	s_andn2_b64 vcc, exec, s[46:47]
	v_add_u32_e32 v0, v19, v0
	v_lshrrev_b32_e32 v1, s22, v0
	v_mul_lo_u32 v0, v1, s20
	v_sub_u32_e32 v2, v19, v0
	v_mul_lo_u32 v0, v2, s24
	v_mul_lo_u32 v2, v2, s25
	s_cbranch_vccnz .LBB13_170
; %bb.169:
	v_mul_hi_u32 v3, s44, v1
	v_add_u32_e32 v3, v1, v3
	v_lshrrev_b32_e32 v3, s45, v3
	v_mul_lo_u32 v3, v3, s23
	v_sub_u32_e32 v3, v1, v3
	v_mad_u64_u32 v[0:1], s[0:1], v3, s26, v[0:1]
	v_mad_u64_u32 v[2:3], s[0:1], v3, s27, v[2:3]
.LBB13_170:
	global_load_ubyte v1, v2, s[18:19]
	s_and_b32 s0, s41, 0xff
	v_add_u32_e32 v19, 0x80, v19
	s_waitcnt vmcnt(0)
	v_cmp_ne_u16_e32 vcc, s0, v1
	s_xor_b64 s[0:1], s[42:43], vcc
	v_cndmask_b32_e64 v1, 0, 1, s[0:1]
	global_store_byte v0, v1, s[16:17]
	s_or_b64 exec, exec, s[52:53]
	v_cmp_gt_i32_e32 vcc, s59, v19
	s_and_saveexec_b64 s[52:53], vcc
	s_cbranch_execnz .LBB13_156
.LBB13_171:
	s_or_b64 exec, exec, s[52:53]
	v_cmp_gt_i32_e32 vcc, s59, v19
	s_and_saveexec_b64 s[52:53], vcc
	s_cbranch_execz .LBB13_187
.LBB13_172:
	s_andn2_b64 vcc, exec, s[36:37]
	s_cbranch_vccnz .LBB13_177
; %bb.173:
	s_andn2_b64 vcc, exec, s[50:51]
	s_cbranch_vccnz .LBB13_178
; %bb.174:
	s_add_i32 s61, s60, 1
	s_cmp_eq_u32 s58, 2
	s_cbranch_scc1 .LBB13_195
; %bb.175:
	s_and_b32 s40, s61, 28
	v_mov_b32_e32 v2, 0
	s_mov_b32 s62, 0
	s_mov_b64 s[54:55], s[34:35]
	s_mov_b64 s[56:57], s[48:49]
	v_mov_b32_e32 v0, 0
	v_mov_b32_e32 v1, v19
.LBB13_176:                             ; =>This Inner Loop Header: Depth=1
	s_load_dwordx8 s[8:15], s[54:55], 0x4
	s_load_dwordx4 s[28:31], s[54:55], 0x24
	s_load_dwordx8 s[0:7], s[56:57], 0x0
	s_add_u32 s54, s54, 48
	s_addc_u32 s55, s55, 0
	s_waitcnt lgkmcnt(0)
	v_mul_hi_u32 v3, s9, v1
	s_add_i32 s62, s62, 4
	s_add_u32 s56, s56, 32
	s_addc_u32 s57, s57, 0
	v_add_u32_e32 v3, v1, v3
	v_lshrrev_b32_e32 v3, s10, v3
	v_mul_lo_u32 v4, v3, s8
	v_mul_hi_u32 v5, s12, v3
	s_cmp_eq_u32 s40, s62
	v_sub_u32_e32 v1, v1, v4
	v_add_u32_e32 v4, v3, v5
	v_mul_lo_u32 v5, v1, s0
	v_mul_lo_u32 v6, v1, s1
	v_lshrrev_b32_e32 v1, s13, v4
	v_mul_lo_u32 v4, v1, s11
	v_mul_hi_u32 v7, s15, v1
	v_sub_u32_e32 v3, v3, v4
	v_add_u32_e32 v4, v1, v7
	v_lshrrev_b32_e32 v4, s28, v4
	v_mul_hi_u32 v8, s30, v4
	v_mul_lo_u32 v9, v4, s14
	v_mul_lo_u32 v7, v3, s2
	v_mul_lo_u32 v3, v3, s3
	v_sub_u32_e32 v9, v1, v9
	v_add_u32_e32 v1, v4, v8
	v_lshrrev_b32_e32 v1, s31, v1
	v_mul_lo_u32 v8, v1, s29
	v_mul_lo_u32 v10, v9, s4
	;; [unrolled: 1-line block ×3, first 2 shown]
	v_add3_u32 v0, v5, v0, v7
	v_sub_u32_e32 v4, v4, v8
	v_mul_lo_u32 v8, v4, s6
	v_mul_lo_u32 v4, v4, s7
	v_add3_u32 v2, v6, v2, v3
	v_add3_u32 v0, v10, v0, v8
	;; [unrolled: 1-line block ×3, first 2 shown]
	s_cbranch_scc0 .LBB13_176
	s_branch .LBB13_196
.LBB13_177:
                                        ; implicit-def: $vgpr0
                                        ; implicit-def: $vgpr2
	s_branch .LBB13_200
.LBB13_178:
	v_mov_b32_e32 v0, 0
	v_mov_b32_e32 v2, 0
	s_branch .LBB13_199
.LBB13_179:
	s_mov_b32 s40, 0
	v_mov_b32_e32 v0, 0
	v_mov_b32_e32 v2, 0
	;; [unrolled: 1-line block ×3, first 2 shown]
.LBB13_180:
	s_and_b32 s4, s61, 3
	s_cmp_eq_u32 s4, 0
	s_cbranch_scc1 .LBB13_183
; %bb.181:
	s_lshl_b32 s0, s40, 3
	s_add_u32 s0, s34, s0
	s_addc_u32 s1, s35, 0
	s_add_u32 s0, s0, 0xc4
	s_addc_u32 s1, s1, 0
	s_mul_i32 s2, s40, 12
	s_add_u32 s2, s34, s2
	s_addc_u32 s3, s35, 0
.LBB13_182:                             ; =>This Inner Loop Header: Depth=1
	s_load_dwordx2 s[6:7], s[2:3], 0x4
	s_load_dword s5, s[2:3], 0xc
	s_load_dwordx2 s[8:9], s[0:1], 0x0
	s_add_u32 s2, s2, 12
	s_addc_u32 s3, s3, 0
	s_waitcnt lgkmcnt(0)
	v_mul_hi_u32 v3, s7, v1
	s_add_u32 s0, s0, 8
	s_addc_u32 s1, s1, 0
	s_add_i32 s4, s4, -1
	v_add_u32_e32 v3, v1, v3
	v_lshrrev_b32_e32 v4, s5, v3
	v_mul_lo_u32 v3, v4, s6
	s_cmp_lg_u32 s4, 0
	v_sub_u32_e32 v3, v1, v3
	v_mad_u64_u32 v[0:1], s[6:7], v3, s8, v[0:1]
	v_mad_u64_u32 v[2:3], s[6:7], v3, s9, v[2:3]
	v_mov_b32_e32 v1, v4
	s_cbranch_scc1 .LBB13_182
.LBB13_183:
	s_cbranch_execnz .LBB13_186
.LBB13_184:
	v_mul_hi_u32 v0, s21, v19
	s_andn2_b64 vcc, exec, s[46:47]
	v_add_u32_e32 v0, v19, v0
	v_lshrrev_b32_e32 v1, s22, v0
	v_mul_lo_u32 v0, v1, s20
	v_sub_u32_e32 v2, v19, v0
	v_mul_lo_u32 v0, v2, s24
	v_mul_lo_u32 v2, v2, s25
	s_cbranch_vccnz .LBB13_186
; %bb.185:
	v_mul_hi_u32 v3, s44, v1
	v_add_u32_e32 v3, v1, v3
	v_lshrrev_b32_e32 v3, s45, v3
	v_mul_lo_u32 v3, v3, s23
	v_sub_u32_e32 v3, v1, v3
	v_mad_u64_u32 v[0:1], s[0:1], v3, s26, v[0:1]
	v_mad_u64_u32 v[2:3], s[0:1], v3, s27, v[2:3]
.LBB13_186:
	global_load_ubyte v1, v2, s[18:19]
	s_and_b32 s0, s41, 0xff
	v_add_u32_e32 v19, 0x80, v19
	s_waitcnt vmcnt(0)
	v_cmp_ne_u16_e32 vcc, s0, v1
	s_xor_b64 s[0:1], s[42:43], vcc
	v_cndmask_b32_e64 v1, 0, 1, s[0:1]
	global_store_byte v0, v1, s[16:17]
	s_or_b64 exec, exec, s[52:53]
	v_cmp_gt_i32_e32 vcc, s59, v19
	s_and_saveexec_b64 s[52:53], vcc
	s_cbranch_execnz .LBB13_172
.LBB13_187:
	s_or_b64 exec, exec, s[52:53]
	v_cmp_gt_i32_e32 vcc, s59, v19
	s_and_saveexec_b64 s[52:53], vcc
	s_cbranch_execz .LBB13_203
.LBB13_188:
	s_andn2_b64 vcc, exec, s[36:37]
	s_cbranch_vccnz .LBB13_193
; %bb.189:
	s_andn2_b64 vcc, exec, s[50:51]
	s_cbranch_vccnz .LBB13_194
; %bb.190:
	s_add_i32 s61, s60, 1
	s_cmp_eq_u32 s58, 2
	s_cbranch_scc1 .LBB13_211
; %bb.191:
	s_and_b32 s40, s61, 28
	v_mov_b32_e32 v2, 0
	s_mov_b32 s62, 0
	s_mov_b64 s[54:55], s[34:35]
	s_mov_b64 s[56:57], s[48:49]
	v_mov_b32_e32 v0, 0
	v_mov_b32_e32 v1, v19
.LBB13_192:                             ; =>This Inner Loop Header: Depth=1
	s_load_dwordx8 s[8:15], s[54:55], 0x4
	s_load_dwordx4 s[28:31], s[54:55], 0x24
	s_load_dwordx8 s[0:7], s[56:57], 0x0
	s_add_u32 s54, s54, 48
	s_addc_u32 s55, s55, 0
	s_waitcnt lgkmcnt(0)
	v_mul_hi_u32 v3, s9, v1
	s_add_i32 s62, s62, 4
	s_add_u32 s56, s56, 32
	s_addc_u32 s57, s57, 0
	v_add_u32_e32 v3, v1, v3
	v_lshrrev_b32_e32 v3, s10, v3
	v_mul_lo_u32 v4, v3, s8
	v_mul_hi_u32 v5, s12, v3
	s_cmp_eq_u32 s40, s62
	v_sub_u32_e32 v1, v1, v4
	v_add_u32_e32 v4, v3, v5
	v_mul_lo_u32 v5, v1, s0
	v_mul_lo_u32 v6, v1, s1
	v_lshrrev_b32_e32 v1, s13, v4
	v_mul_lo_u32 v4, v1, s11
	v_mul_hi_u32 v7, s15, v1
	v_sub_u32_e32 v3, v3, v4
	v_add_u32_e32 v4, v1, v7
	v_lshrrev_b32_e32 v4, s28, v4
	v_mul_hi_u32 v8, s30, v4
	v_mul_lo_u32 v9, v4, s14
	v_mul_lo_u32 v7, v3, s2
	;; [unrolled: 1-line block ×3, first 2 shown]
	v_sub_u32_e32 v9, v1, v9
	v_add_u32_e32 v1, v4, v8
	v_lshrrev_b32_e32 v1, s31, v1
	v_mul_lo_u32 v8, v1, s29
	v_mul_lo_u32 v10, v9, s4
	;; [unrolled: 1-line block ×3, first 2 shown]
	v_add3_u32 v0, v5, v0, v7
	v_sub_u32_e32 v4, v4, v8
	v_mul_lo_u32 v8, v4, s6
	v_mul_lo_u32 v4, v4, s7
	v_add3_u32 v2, v6, v2, v3
	v_add3_u32 v0, v10, v0, v8
	;; [unrolled: 1-line block ×3, first 2 shown]
	s_cbranch_scc0 .LBB13_192
	s_branch .LBB13_212
.LBB13_193:
                                        ; implicit-def: $vgpr0
                                        ; implicit-def: $vgpr2
	s_branch .LBB13_216
.LBB13_194:
	v_mov_b32_e32 v0, 0
	v_mov_b32_e32 v2, 0
	s_branch .LBB13_215
.LBB13_195:
	s_mov_b32 s40, 0
	v_mov_b32_e32 v0, 0
	v_mov_b32_e32 v2, 0
	;; [unrolled: 1-line block ×3, first 2 shown]
.LBB13_196:
	s_and_b32 s4, s61, 3
	s_cmp_eq_u32 s4, 0
	s_cbranch_scc1 .LBB13_199
; %bb.197:
	s_lshl_b32 s0, s40, 3
	s_add_u32 s0, s34, s0
	s_addc_u32 s1, s35, 0
	s_add_u32 s0, s0, 0xc4
	s_addc_u32 s1, s1, 0
	s_mul_i32 s2, s40, 12
	s_add_u32 s2, s34, s2
	s_addc_u32 s3, s35, 0
.LBB13_198:                             ; =>This Inner Loop Header: Depth=1
	s_load_dwordx2 s[6:7], s[2:3], 0x4
	s_load_dword s5, s[2:3], 0xc
	s_load_dwordx2 s[8:9], s[0:1], 0x0
	s_add_u32 s2, s2, 12
	s_addc_u32 s3, s3, 0
	s_waitcnt lgkmcnt(0)
	v_mul_hi_u32 v3, s7, v1
	s_add_u32 s0, s0, 8
	s_addc_u32 s1, s1, 0
	s_add_i32 s4, s4, -1
	v_add_u32_e32 v3, v1, v3
	v_lshrrev_b32_e32 v4, s5, v3
	v_mul_lo_u32 v3, v4, s6
	s_cmp_lg_u32 s4, 0
	v_sub_u32_e32 v3, v1, v3
	v_mad_u64_u32 v[0:1], s[6:7], v3, s8, v[0:1]
	v_mad_u64_u32 v[2:3], s[6:7], v3, s9, v[2:3]
	v_mov_b32_e32 v1, v4
	s_cbranch_scc1 .LBB13_198
.LBB13_199:
	s_cbranch_execnz .LBB13_202
.LBB13_200:
	v_mul_hi_u32 v0, s21, v19
	s_andn2_b64 vcc, exec, s[46:47]
	v_add_u32_e32 v0, v19, v0
	v_lshrrev_b32_e32 v1, s22, v0
	v_mul_lo_u32 v0, v1, s20
	v_sub_u32_e32 v2, v19, v0
	v_mul_lo_u32 v0, v2, s24
	v_mul_lo_u32 v2, v2, s25
	s_cbranch_vccnz .LBB13_202
; %bb.201:
	v_mul_hi_u32 v3, s44, v1
	v_add_u32_e32 v3, v1, v3
	v_lshrrev_b32_e32 v3, s45, v3
	v_mul_lo_u32 v3, v3, s23
	v_sub_u32_e32 v3, v1, v3
	v_mad_u64_u32 v[0:1], s[0:1], v3, s26, v[0:1]
	v_mad_u64_u32 v[2:3], s[0:1], v3, s27, v[2:3]
.LBB13_202:
	global_load_ubyte v1, v2, s[18:19]
	s_and_b32 s0, s41, 0xff
	v_add_u32_e32 v19, 0x80, v19
	s_waitcnt vmcnt(0)
	v_cmp_ne_u16_e32 vcc, s0, v1
	s_xor_b64 s[0:1], s[42:43], vcc
	v_cndmask_b32_e64 v1, 0, 1, s[0:1]
	global_store_byte v0, v1, s[16:17]
	s_or_b64 exec, exec, s[52:53]
	v_cmp_gt_i32_e32 vcc, s59, v19
	s_and_saveexec_b64 s[52:53], vcc
	s_cbranch_execnz .LBB13_188
.LBB13_203:
	s_or_b64 exec, exec, s[52:53]
	v_cmp_gt_i32_e32 vcc, s59, v19
	s_and_saveexec_b64 s[52:53], vcc
	s_cbranch_execz .LBB13_219
.LBB13_204:
	s_andn2_b64 vcc, exec, s[36:37]
	s_cbranch_vccnz .LBB13_209
; %bb.205:
	s_andn2_b64 vcc, exec, s[50:51]
	s_cbranch_vccnz .LBB13_210
; %bb.206:
	s_add_i32 s61, s60, 1
	s_cmp_eq_u32 s58, 2
	s_cbranch_scc1 .LBB13_222
; %bb.207:
	s_and_b32 s40, s61, 28
	v_mov_b32_e32 v2, 0
	s_mov_b32 s62, 0
	s_mov_b64 s[54:55], s[34:35]
	s_mov_b64 s[56:57], s[48:49]
	v_mov_b32_e32 v0, 0
	v_mov_b32_e32 v1, v19
.LBB13_208:                             ; =>This Inner Loop Header: Depth=1
	s_load_dwordx8 s[8:15], s[54:55], 0x4
	s_load_dwordx4 s[28:31], s[54:55], 0x24
	s_load_dwordx8 s[0:7], s[56:57], 0x0
	s_add_u32 s54, s54, 48
	s_addc_u32 s55, s55, 0
	s_waitcnt lgkmcnt(0)
	v_mul_hi_u32 v3, s9, v1
	s_add_i32 s62, s62, 4
	s_add_u32 s56, s56, 32
	s_addc_u32 s57, s57, 0
	v_add_u32_e32 v3, v1, v3
	v_lshrrev_b32_e32 v3, s10, v3
	v_mul_lo_u32 v4, v3, s8
	v_mul_hi_u32 v5, s12, v3
	s_cmp_eq_u32 s40, s62
	v_sub_u32_e32 v1, v1, v4
	v_add_u32_e32 v4, v3, v5
	v_mul_lo_u32 v5, v1, s0
	v_mul_lo_u32 v6, v1, s1
	v_lshrrev_b32_e32 v1, s13, v4
	v_mul_lo_u32 v4, v1, s11
	v_mul_hi_u32 v7, s15, v1
	v_sub_u32_e32 v3, v3, v4
	v_add_u32_e32 v4, v1, v7
	v_lshrrev_b32_e32 v4, s28, v4
	v_mul_hi_u32 v8, s30, v4
	v_mul_lo_u32 v9, v4, s14
	v_mul_lo_u32 v7, v3, s2
	;; [unrolled: 1-line block ×3, first 2 shown]
	v_sub_u32_e32 v9, v1, v9
	v_add_u32_e32 v1, v4, v8
	v_lshrrev_b32_e32 v1, s31, v1
	v_mul_lo_u32 v8, v1, s29
	v_mul_lo_u32 v10, v9, s4
	;; [unrolled: 1-line block ×3, first 2 shown]
	v_add3_u32 v0, v5, v0, v7
	v_sub_u32_e32 v4, v4, v8
	v_mul_lo_u32 v8, v4, s6
	v_mul_lo_u32 v4, v4, s7
	v_add3_u32 v2, v6, v2, v3
	v_add3_u32 v0, v10, v0, v8
	v_add3_u32 v2, v9, v2, v4
	s_cbranch_scc0 .LBB13_208
	s_branch .LBB13_223
.LBB13_209:
                                        ; implicit-def: $vgpr0
                                        ; implicit-def: $vgpr2
	s_branch .LBB13_227
.LBB13_210:
	v_mov_b32_e32 v0, 0
	v_mov_b32_e32 v2, 0
	s_branch .LBB13_226
.LBB13_211:
	s_mov_b32 s40, 0
	v_mov_b32_e32 v0, 0
	v_mov_b32_e32 v2, 0
	;; [unrolled: 1-line block ×3, first 2 shown]
.LBB13_212:
	s_and_b32 s4, s61, 3
	s_cmp_eq_u32 s4, 0
	s_cbranch_scc1 .LBB13_215
; %bb.213:
	s_lshl_b32 s0, s40, 3
	s_add_u32 s0, s34, s0
	s_addc_u32 s1, s35, 0
	s_add_u32 s0, s0, 0xc4
	s_addc_u32 s1, s1, 0
	s_mul_i32 s2, s40, 12
	s_add_u32 s2, s34, s2
	s_addc_u32 s3, s35, 0
.LBB13_214:                             ; =>This Inner Loop Header: Depth=1
	s_load_dwordx2 s[6:7], s[2:3], 0x4
	s_load_dword s5, s[2:3], 0xc
	s_load_dwordx2 s[8:9], s[0:1], 0x0
	s_add_u32 s2, s2, 12
	s_addc_u32 s3, s3, 0
	s_waitcnt lgkmcnt(0)
	v_mul_hi_u32 v3, s7, v1
	s_add_u32 s0, s0, 8
	s_addc_u32 s1, s1, 0
	s_add_i32 s4, s4, -1
	v_add_u32_e32 v3, v1, v3
	v_lshrrev_b32_e32 v4, s5, v3
	v_mul_lo_u32 v3, v4, s6
	s_cmp_lg_u32 s4, 0
	v_sub_u32_e32 v3, v1, v3
	v_mad_u64_u32 v[0:1], s[6:7], v3, s8, v[0:1]
	v_mad_u64_u32 v[2:3], s[6:7], v3, s9, v[2:3]
	v_mov_b32_e32 v1, v4
	s_cbranch_scc1 .LBB13_214
.LBB13_215:
	s_cbranch_execnz .LBB13_218
.LBB13_216:
	v_mul_hi_u32 v0, s21, v19
	s_andn2_b64 vcc, exec, s[46:47]
	v_add_u32_e32 v0, v19, v0
	v_lshrrev_b32_e32 v1, s22, v0
	v_mul_lo_u32 v0, v1, s20
	v_sub_u32_e32 v2, v19, v0
	v_mul_lo_u32 v0, v2, s24
	v_mul_lo_u32 v2, v2, s25
	s_cbranch_vccnz .LBB13_218
; %bb.217:
	v_mul_hi_u32 v3, s44, v1
	v_add_u32_e32 v3, v1, v3
	v_lshrrev_b32_e32 v3, s45, v3
	v_mul_lo_u32 v3, v3, s23
	v_sub_u32_e32 v3, v1, v3
	v_mad_u64_u32 v[0:1], s[0:1], v3, s26, v[0:1]
	v_mad_u64_u32 v[2:3], s[0:1], v3, s27, v[2:3]
.LBB13_218:
	global_load_ubyte v1, v2, s[18:19]
	s_and_b32 s0, s41, 0xff
	v_add_u32_e32 v19, 0x80, v19
	s_waitcnt vmcnt(0)
	v_cmp_ne_u16_e32 vcc, s0, v1
	s_xor_b64 s[0:1], s[42:43], vcc
	v_cndmask_b32_e64 v1, 0, 1, s[0:1]
	global_store_byte v0, v1, s[16:17]
	s_or_b64 exec, exec, s[52:53]
	v_cmp_gt_i32_e32 vcc, s59, v19
	s_and_saveexec_b64 s[52:53], vcc
	s_cbranch_execnz .LBB13_204
.LBB13_219:
	s_or_b64 exec, exec, s[52:53]
	v_cmp_gt_i32_e32 vcc, s59, v19
	s_and_saveexec_b64 s[52:53], vcc
	s_cbranch_execnz .LBB13_230
.LBB13_220:
	s_or_b64 exec, exec, s[52:53]
                                        ; implicit-def: $vgpr25
                                        ; implicit-def: $vgpr19
	s_andn2_saveexec_b64 s[0:1], s[38:39]
	s_cbranch_execnz .LBB13_8
.LBB13_221:
	s_endpgm
.LBB13_222:
	s_mov_b32 s40, 0
	v_mov_b32_e32 v0, 0
	v_mov_b32_e32 v2, 0
	;; [unrolled: 1-line block ×3, first 2 shown]
.LBB13_223:
	s_and_b32 s4, s61, 3
	s_cmp_eq_u32 s4, 0
	s_cbranch_scc1 .LBB13_226
; %bb.224:
	s_lshl_b32 s0, s40, 3
	s_add_u32 s0, s34, s0
	s_addc_u32 s1, s35, 0
	s_add_u32 s0, s0, 0xc4
	s_addc_u32 s1, s1, 0
	s_mul_i32 s2, s40, 12
	s_add_u32 s2, s34, s2
	s_addc_u32 s3, s35, 0
.LBB13_225:                             ; =>This Inner Loop Header: Depth=1
	s_load_dwordx2 s[6:7], s[2:3], 0x4
	s_load_dword s5, s[2:3], 0xc
	s_load_dwordx2 s[8:9], s[0:1], 0x0
	s_add_u32 s2, s2, 12
	s_addc_u32 s3, s3, 0
	s_waitcnt lgkmcnt(0)
	v_mul_hi_u32 v3, s7, v1
	s_add_u32 s0, s0, 8
	s_addc_u32 s1, s1, 0
	s_add_i32 s4, s4, -1
	v_add_u32_e32 v3, v1, v3
	v_lshrrev_b32_e32 v4, s5, v3
	v_mul_lo_u32 v3, v4, s6
	s_cmp_lg_u32 s4, 0
	v_sub_u32_e32 v3, v1, v3
	v_mad_u64_u32 v[0:1], s[6:7], v3, s8, v[0:1]
	v_mad_u64_u32 v[2:3], s[6:7], v3, s9, v[2:3]
	v_mov_b32_e32 v1, v4
	s_cbranch_scc1 .LBB13_225
.LBB13_226:
	s_cbranch_execnz .LBB13_229
.LBB13_227:
	v_mul_hi_u32 v0, s21, v19
	s_andn2_b64 vcc, exec, s[46:47]
	v_add_u32_e32 v0, v19, v0
	v_lshrrev_b32_e32 v1, s22, v0
	v_mul_lo_u32 v0, v1, s20
	v_sub_u32_e32 v2, v19, v0
	v_mul_lo_u32 v0, v2, s24
	v_mul_lo_u32 v2, v2, s25
	s_cbranch_vccnz .LBB13_229
; %bb.228:
	v_mul_hi_u32 v3, s44, v1
	v_add_u32_e32 v3, v1, v3
	v_lshrrev_b32_e32 v3, s45, v3
	v_mul_lo_u32 v3, v3, s23
	v_sub_u32_e32 v3, v1, v3
	v_mad_u64_u32 v[0:1], s[0:1], v3, s26, v[0:1]
	v_mad_u64_u32 v[2:3], s[0:1], v3, s27, v[2:3]
.LBB13_229:
	global_load_ubyte v1, v2, s[18:19]
	s_and_b32 s0, s41, 0xff
	v_add_u32_e32 v19, 0x80, v19
	s_waitcnt vmcnt(0)
	v_cmp_ne_u16_e32 vcc, s0, v1
	s_xor_b64 s[0:1], s[42:43], vcc
	v_cndmask_b32_e64 v1, 0, 1, s[0:1]
	global_store_byte v0, v1, s[16:17]
	s_or_b64 exec, exec, s[52:53]
	v_cmp_gt_i32_e32 vcc, s59, v19
	s_and_saveexec_b64 s[52:53], vcc
	s_cbranch_execz .LBB13_220
.LBB13_230:
	s_andn2_b64 vcc, exec, s[36:37]
	s_cbranch_vccnz .LBB13_235
; %bb.231:
	s_andn2_b64 vcc, exec, s[50:51]
	s_cbranch_vccnz .LBB13_236
; %bb.232:
	s_add_i32 s60, s60, 1
	s_cmp_eq_u32 s58, 2
	s_cbranch_scc1 .LBB13_237
; %bb.233:
	s_and_b32 s40, s60, 28
	v_mov_b32_e32 v2, 0
	s_mov_b32 s54, 0
	s_mov_b64 s[50:51], s[34:35]
	v_mov_b32_e32 v0, 0
	v_mov_b32_e32 v1, v19
.LBB13_234:                             ; =>This Inner Loop Header: Depth=1
	s_load_dwordx8 s[8:15], s[50:51], 0x4
	s_load_dwordx4 s[28:31], s[50:51], 0x24
	s_load_dwordx8 s[0:7], s[48:49], 0x0
	s_add_u32 s50, s50, 48
	s_addc_u32 s51, s51, 0
	s_waitcnt lgkmcnt(0)
	v_mul_hi_u32 v3, s9, v1
	s_add_i32 s54, s54, 4
	s_add_u32 s48, s48, 32
	s_addc_u32 s49, s49, 0
	v_add_u32_e32 v3, v1, v3
	v_lshrrev_b32_e32 v3, s10, v3
	v_mul_lo_u32 v4, v3, s8
	v_mul_hi_u32 v5, s12, v3
	s_cmp_eq_u32 s40, s54
	v_sub_u32_e32 v1, v1, v4
	v_add_u32_e32 v4, v3, v5
	v_mul_lo_u32 v5, v1, s0
	v_mul_lo_u32 v6, v1, s1
	v_lshrrev_b32_e32 v1, s13, v4
	v_mul_lo_u32 v4, v1, s11
	v_mul_hi_u32 v7, s15, v1
	v_sub_u32_e32 v3, v3, v4
	v_add_u32_e32 v4, v1, v7
	v_lshrrev_b32_e32 v4, s28, v4
	v_mul_hi_u32 v8, s30, v4
	v_mul_lo_u32 v9, v4, s14
	v_mul_lo_u32 v7, v3, s2
	;; [unrolled: 1-line block ×3, first 2 shown]
	v_sub_u32_e32 v9, v1, v9
	v_add_u32_e32 v1, v4, v8
	v_lshrrev_b32_e32 v1, s31, v1
	v_mul_lo_u32 v8, v1, s29
	v_mul_lo_u32 v10, v9, s4
	;; [unrolled: 1-line block ×3, first 2 shown]
	v_add3_u32 v0, v5, v0, v7
	v_sub_u32_e32 v4, v4, v8
	v_mul_lo_u32 v8, v4, s6
	v_mul_lo_u32 v4, v4, s7
	v_add3_u32 v2, v6, v2, v3
	v_add3_u32 v0, v10, v0, v8
	;; [unrolled: 1-line block ×3, first 2 shown]
	s_cbranch_scc0 .LBB13_234
	s_branch .LBB13_238
.LBB13_235:
                                        ; implicit-def: $vgpr0
                                        ; implicit-def: $vgpr2
	s_branch .LBB13_242
.LBB13_236:
	v_mov_b32_e32 v0, 0
	v_mov_b32_e32 v2, 0
	s_branch .LBB13_241
.LBB13_237:
	s_mov_b32 s40, 0
	v_mov_b32_e32 v0, 0
	v_mov_b32_e32 v2, 0
	;; [unrolled: 1-line block ×3, first 2 shown]
.LBB13_238:
	s_and_b32 s4, s60, 3
	s_cmp_eq_u32 s4, 0
	s_cbranch_scc1 .LBB13_241
; %bb.239:
	s_lshl_b32 s0, s40, 3
	s_add_u32 s0, s34, s0
	s_addc_u32 s1, s35, 0
	s_add_u32 s0, s0, 0xc4
	s_addc_u32 s1, s1, 0
	s_mul_i32 s2, s40, 12
	s_add_u32 s2, s34, s2
	s_addc_u32 s3, s35, 0
.LBB13_240:                             ; =>This Inner Loop Header: Depth=1
	s_load_dwordx2 s[6:7], s[2:3], 0x4
	s_load_dword s5, s[2:3], 0xc
	s_load_dwordx2 s[8:9], s[0:1], 0x0
	s_add_u32 s2, s2, 12
	s_addc_u32 s3, s3, 0
	s_waitcnt lgkmcnt(0)
	v_mul_hi_u32 v3, s7, v1
	s_add_u32 s0, s0, 8
	s_addc_u32 s1, s1, 0
	s_add_i32 s4, s4, -1
	v_add_u32_e32 v3, v1, v3
	v_lshrrev_b32_e32 v4, s5, v3
	v_mul_lo_u32 v3, v4, s6
	s_cmp_lg_u32 s4, 0
	v_sub_u32_e32 v3, v1, v3
	v_mad_u64_u32 v[0:1], s[6:7], v3, s8, v[0:1]
	v_mad_u64_u32 v[2:3], s[6:7], v3, s9, v[2:3]
	v_mov_b32_e32 v1, v4
	s_cbranch_scc1 .LBB13_240
.LBB13_241:
	s_cbranch_execnz .LBB13_244
.LBB13_242:
	v_mul_hi_u32 v0, s21, v19
	s_andn2_b64 vcc, exec, s[46:47]
	v_add_u32_e32 v0, v19, v0
	v_lshrrev_b32_e32 v1, s22, v0
	v_mul_lo_u32 v0, v1, s20
	v_sub_u32_e32 v2, v19, v0
	v_mul_lo_u32 v0, v2, s24
	v_mul_lo_u32 v2, v2, s25
	s_cbranch_vccnz .LBB13_244
; %bb.243:
	v_mul_hi_u32 v3, s44, v1
	v_add_u32_e32 v3, v1, v3
	v_lshrrev_b32_e32 v3, s45, v3
	v_mul_lo_u32 v3, v3, s23
	v_sub_u32_e32 v3, v1, v3
	v_mad_u64_u32 v[0:1], s[0:1], v3, s26, v[0:1]
	v_mad_u64_u32 v[2:3], s[0:1], v3, s27, v[2:3]
.LBB13_244:
	global_load_ubyte v1, v2, s[18:19]
	s_and_b32 s0, s41, 0xff
	s_waitcnt vmcnt(0)
	v_cmp_ne_u16_e32 vcc, s0, v1
	s_xor_b64 s[0:1], s[42:43], vcc
	v_cndmask_b32_e64 v1, 0, 1, s[0:1]
	global_store_byte v0, v1, s[16:17]
	s_or_b64 exec, exec, s[52:53]
                                        ; implicit-def: $vgpr25
                                        ; implicit-def: $vgpr19
	s_andn2_saveexec_b64 s[0:1], s[38:39]
	s_cbranch_execz .LBB13_221
	s_branch .LBB13_8
	.section	.rodata,"a",@progbits
	.p2align	6, 0x0
	.amdhsa_kernel _ZN2at6native32elementwise_kernel_manual_unrollILi128ELi8EZNS0_22gpu_kernel_impl_nocastINS0_13AUnaryFunctorIhhbNS0_12_GLOBAL__N_116CompareEqFunctorIhEEEEEEvRNS_18TensorIteratorBaseERKT_EUlibE_EEviT1_
		.amdhsa_group_segment_fixed_size 0
		.amdhsa_private_segment_fixed_size 0
		.amdhsa_kernarg_size 360
		.amdhsa_user_sgpr_count 6
		.amdhsa_user_sgpr_private_segment_buffer 1
		.amdhsa_user_sgpr_dispatch_ptr 0
		.amdhsa_user_sgpr_queue_ptr 0
		.amdhsa_user_sgpr_kernarg_segment_ptr 1
		.amdhsa_user_sgpr_dispatch_id 0
		.amdhsa_user_sgpr_flat_scratch_init 0
		.amdhsa_user_sgpr_private_segment_size 0
		.amdhsa_uses_dynamic_stack 0
		.amdhsa_system_sgpr_private_segment_wavefront_offset 0
		.amdhsa_system_sgpr_workgroup_id_x 1
		.amdhsa_system_sgpr_workgroup_id_y 0
		.amdhsa_system_sgpr_workgroup_id_z 0
		.amdhsa_system_sgpr_workgroup_info 0
		.amdhsa_system_vgpr_workitem_id 0
		.amdhsa_next_free_vgpr 26
		.amdhsa_next_free_sgpr 63
		.amdhsa_reserve_vcc 1
		.amdhsa_reserve_flat_scratch 0
		.amdhsa_float_round_mode_32 0
		.amdhsa_float_round_mode_16_64 0
		.amdhsa_float_denorm_mode_32 3
		.amdhsa_float_denorm_mode_16_64 3
		.amdhsa_dx10_clamp 1
		.amdhsa_ieee_mode 1
		.amdhsa_fp16_overflow 0
		.amdhsa_exception_fp_ieee_invalid_op 0
		.amdhsa_exception_fp_denorm_src 0
		.amdhsa_exception_fp_ieee_div_zero 0
		.amdhsa_exception_fp_ieee_overflow 0
		.amdhsa_exception_fp_ieee_underflow 0
		.amdhsa_exception_fp_ieee_inexact 0
		.amdhsa_exception_int_div_zero 0
	.end_amdhsa_kernel
	.section	.text._ZN2at6native32elementwise_kernel_manual_unrollILi128ELi8EZNS0_22gpu_kernel_impl_nocastINS0_13AUnaryFunctorIhhbNS0_12_GLOBAL__N_116CompareEqFunctorIhEEEEEEvRNS_18TensorIteratorBaseERKT_EUlibE_EEviT1_,"axG",@progbits,_ZN2at6native32elementwise_kernel_manual_unrollILi128ELi8EZNS0_22gpu_kernel_impl_nocastINS0_13AUnaryFunctorIhhbNS0_12_GLOBAL__N_116CompareEqFunctorIhEEEEEEvRNS_18TensorIteratorBaseERKT_EUlibE_EEviT1_,comdat
.Lfunc_end13:
	.size	_ZN2at6native32elementwise_kernel_manual_unrollILi128ELi8EZNS0_22gpu_kernel_impl_nocastINS0_13AUnaryFunctorIhhbNS0_12_GLOBAL__N_116CompareEqFunctorIhEEEEEEvRNS_18TensorIteratorBaseERKT_EUlibE_EEviT1_, .Lfunc_end13-_ZN2at6native32elementwise_kernel_manual_unrollILi128ELi8EZNS0_22gpu_kernel_impl_nocastINS0_13AUnaryFunctorIhhbNS0_12_GLOBAL__N_116CompareEqFunctorIhEEEEEEvRNS_18TensorIteratorBaseERKT_EUlibE_EEviT1_
                                        ; -- End function
	.set _ZN2at6native32elementwise_kernel_manual_unrollILi128ELi8EZNS0_22gpu_kernel_impl_nocastINS0_13AUnaryFunctorIhhbNS0_12_GLOBAL__N_116CompareEqFunctorIhEEEEEEvRNS_18TensorIteratorBaseERKT_EUlibE_EEviT1_.num_vgpr, 26
	.set _ZN2at6native32elementwise_kernel_manual_unrollILi128ELi8EZNS0_22gpu_kernel_impl_nocastINS0_13AUnaryFunctorIhhbNS0_12_GLOBAL__N_116CompareEqFunctorIhEEEEEEvRNS_18TensorIteratorBaseERKT_EUlibE_EEviT1_.num_agpr, 0
	.set _ZN2at6native32elementwise_kernel_manual_unrollILi128ELi8EZNS0_22gpu_kernel_impl_nocastINS0_13AUnaryFunctorIhhbNS0_12_GLOBAL__N_116CompareEqFunctorIhEEEEEEvRNS_18TensorIteratorBaseERKT_EUlibE_EEviT1_.numbered_sgpr, 63
	.set _ZN2at6native32elementwise_kernel_manual_unrollILi128ELi8EZNS0_22gpu_kernel_impl_nocastINS0_13AUnaryFunctorIhhbNS0_12_GLOBAL__N_116CompareEqFunctorIhEEEEEEvRNS_18TensorIteratorBaseERKT_EUlibE_EEviT1_.num_named_barrier, 0
	.set _ZN2at6native32elementwise_kernel_manual_unrollILi128ELi8EZNS0_22gpu_kernel_impl_nocastINS0_13AUnaryFunctorIhhbNS0_12_GLOBAL__N_116CompareEqFunctorIhEEEEEEvRNS_18TensorIteratorBaseERKT_EUlibE_EEviT1_.private_seg_size, 0
	.set _ZN2at6native32elementwise_kernel_manual_unrollILi128ELi8EZNS0_22gpu_kernel_impl_nocastINS0_13AUnaryFunctorIhhbNS0_12_GLOBAL__N_116CompareEqFunctorIhEEEEEEvRNS_18TensorIteratorBaseERKT_EUlibE_EEviT1_.uses_vcc, 1
	.set _ZN2at6native32elementwise_kernel_manual_unrollILi128ELi8EZNS0_22gpu_kernel_impl_nocastINS0_13AUnaryFunctorIhhbNS0_12_GLOBAL__N_116CompareEqFunctorIhEEEEEEvRNS_18TensorIteratorBaseERKT_EUlibE_EEviT1_.uses_flat_scratch, 0
	.set _ZN2at6native32elementwise_kernel_manual_unrollILi128ELi8EZNS0_22gpu_kernel_impl_nocastINS0_13AUnaryFunctorIhhbNS0_12_GLOBAL__N_116CompareEqFunctorIhEEEEEEvRNS_18TensorIteratorBaseERKT_EUlibE_EEviT1_.has_dyn_sized_stack, 0
	.set _ZN2at6native32elementwise_kernel_manual_unrollILi128ELi8EZNS0_22gpu_kernel_impl_nocastINS0_13AUnaryFunctorIhhbNS0_12_GLOBAL__N_116CompareEqFunctorIhEEEEEEvRNS_18TensorIteratorBaseERKT_EUlibE_EEviT1_.has_recursion, 0
	.set _ZN2at6native32elementwise_kernel_manual_unrollILi128ELi8EZNS0_22gpu_kernel_impl_nocastINS0_13AUnaryFunctorIhhbNS0_12_GLOBAL__N_116CompareEqFunctorIhEEEEEEvRNS_18TensorIteratorBaseERKT_EUlibE_EEviT1_.has_indirect_call, 0
	.section	.AMDGPU.csdata,"",@progbits
; Kernel info:
; codeLenInByte = 11496
; TotalNumSgprs: 67
; NumVgprs: 26
; ScratchSize: 0
; MemoryBound: 0
; FloatMode: 240
; IeeeMode: 1
; LDSByteSize: 0 bytes/workgroup (compile time only)
; SGPRBlocks: 8
; VGPRBlocks: 6
; NumSGPRsForWavesPerEU: 67
; NumVGPRsForWavesPerEU: 26
; Occupancy: 9
; WaveLimiterHint : 1
; COMPUTE_PGM_RSRC2:SCRATCH_EN: 0
; COMPUTE_PGM_RSRC2:USER_SGPR: 6
; COMPUTE_PGM_RSRC2:TRAP_HANDLER: 0
; COMPUTE_PGM_RSRC2:TGID_X_EN: 1
; COMPUTE_PGM_RSRC2:TGID_Y_EN: 0
; COMPUTE_PGM_RSRC2:TGID_Z_EN: 0
; COMPUTE_PGM_RSRC2:TIDIG_COMP_CNT: 0
	.section	.text._ZN2at6native32elementwise_kernel_manual_unrollILi128ELi4EZNS0_15gpu_kernel_implINS0_13AUnaryFunctorIhhbNS0_12_GLOBAL__N_116CompareEqFunctorIhEEEEEEvRNS_18TensorIteratorBaseERKT_EUlibE_EEviT1_,"axG",@progbits,_ZN2at6native32elementwise_kernel_manual_unrollILi128ELi4EZNS0_15gpu_kernel_implINS0_13AUnaryFunctorIhhbNS0_12_GLOBAL__N_116CompareEqFunctorIhEEEEEEvRNS_18TensorIteratorBaseERKT_EUlibE_EEviT1_,comdat
	.globl	_ZN2at6native32elementwise_kernel_manual_unrollILi128ELi4EZNS0_15gpu_kernel_implINS0_13AUnaryFunctorIhhbNS0_12_GLOBAL__N_116CompareEqFunctorIhEEEEEEvRNS_18TensorIteratorBaseERKT_EUlibE_EEviT1_ ; -- Begin function _ZN2at6native32elementwise_kernel_manual_unrollILi128ELi4EZNS0_15gpu_kernel_implINS0_13AUnaryFunctorIhhbNS0_12_GLOBAL__N_116CompareEqFunctorIhEEEEEEvRNS_18TensorIteratorBaseERKT_EUlibE_EEviT1_
	.p2align	8
	.type	_ZN2at6native32elementwise_kernel_manual_unrollILi128ELi4EZNS0_15gpu_kernel_implINS0_13AUnaryFunctorIhhbNS0_12_GLOBAL__N_116CompareEqFunctorIhEEEEEEvRNS_18TensorIteratorBaseERKT_EUlibE_EEviT1_,@function
_ZN2at6native32elementwise_kernel_manual_unrollILi128ELi4EZNS0_15gpu_kernel_implINS0_13AUnaryFunctorIhhbNS0_12_GLOBAL__N_116CompareEqFunctorIhEEEEEEvRNS_18TensorIteratorBaseERKT_EUlibE_EEviT1_: ; @_ZN2at6native32elementwise_kernel_manual_unrollILi128ELi4EZNS0_15gpu_kernel_implINS0_13AUnaryFunctorIhhbNS0_12_GLOBAL__N_116CompareEqFunctorIhEEEEEEvRNS_18TensorIteratorBaseERKT_EUlibE_EEviT1_
; %bb.0:
	s_load_dwordx2 s[2:3], s[4:5], 0x24
	s_load_dword s33, s[4:5], 0x0
	s_load_dwordx8 s[8:15], s[4:5], 0x8
	v_lshl_or_b32 v7, s6, 9, v0
	v_or_b32_e32 v0, 0x180, v7
	s_waitcnt lgkmcnt(0)
	s_bfe_u32 s15, s3, 0x80008
	v_cmp_le_i32_e32 vcc, s33, v0
	s_mov_b64 s[4:5], 0
	s_mov_b64 s[16:17], 0
	s_and_saveexec_b64 s[0:1], vcc
	s_xor_b64 s[6:7], exec, s[0:1]
	s_cbranch_execz .LBB14_1011
; %bb.1:
	s_cmp_eq_u32 s14, 0
	s_cselect_b64 s[16:17], -1, 0
	v_cmp_gt_i32_e32 vcc, s33, v7
	s_mov_b64 s[24:25], -1
	s_mov_b64 s[26:27], 0
	s_mov_b64 s[20:21], 0
	s_mov_b64 s[18:19], 0
	s_and_saveexec_b64 s[22:23], vcc
	s_cbranch_execz .LBB14_248
; %bb.2:
	v_mul_lo_u32 v0, v7, s13
	v_mov_b32_e32 v1, s11
	s_and_b32 s24, 0xffff, s15
	s_cmp_lt_i32 s24, 11
	v_ashrrev_i32_e32 v2, 31, v0
	v_add_co_u32_e32 v0, vcc, s10, v0
	v_addc_co_u32_e32 v1, vcc, v1, v2, vcc
	s_cbranch_scc1 .LBB14_9
; %bb.3:
	s_cmp_gt_i32 s24, 25
	s_cbranch_scc0 .LBB14_18
; %bb.4:
	s_cmp_gt_i32 s24, 28
	s_cbranch_scc0 .LBB14_22
	;; [unrolled: 3-line block ×4, first 2 shown]
; %bb.7:
	s_cmp_eq_u32 s24, 46
	s_cbranch_scc0 .LBB14_28
; %bb.8:
	global_load_dword v2, v[0:1], off
	s_mov_b32 s0, 0x2f800000
	s_mov_b32 s1, 0xcf800000
	s_waitcnt vmcnt(0)
	v_lshlrev_b32_e32 v2, 16, v2
	v_trunc_f32_e32 v2, v2
	v_mul_f32_e64 v3, |v2|, s0
	v_floor_f32_e32 v3, v3
	v_fma_f32 v3, v3, s1, |v2|
	v_cvt_u32_f32_e32 v3, v3
	v_ashrrev_i32_e32 v2, 31, v2
	s_mov_b64 s[0:1], -1
	v_xor_b32_e32 v3, v3, v2
	v_sub_u32_e32 v2, v3, v2
	s_branch .LBB14_30
.LBB14_9:
                                        ; implicit-def: $vgpr2
	s_mov_b64 s[0:1], 0
	s_cbranch_execnz .LBB14_199
.LBB14_10:
	s_andn2_b64 vcc, exec, s[0:1]
	s_cbranch_vccnz .LBB14_246
.LBB14_11:
	v_mul_lo_u32 v0, v7, s12
	s_and_b32 s0, s2, 0xff
	s_waitcnt vmcnt(0)
	v_cmp_ne_u16_sdwa s[0:1], s0, v2 src0_sel:DWORD src1_sel:BYTE_0
	s_xor_b64 s[18:19], s[16:17], s[0:1]
	v_ashrrev_i32_e32 v1, 31, v0
	v_mov_b32_e32 v2, s9
	s_and_b32 s34, s3, 0xff
	v_add_co_u32_e32 v0, vcc, s8, v0
	s_cmp_lt_i32 s34, 11
	v_addc_co_u32_e32 v1, vcc, v2, v1, vcc
	s_cbranch_scc1 .LBB14_19
; %bb.12:
	s_and_b32 s35, 0xffff, s34
	s_cmp_gt_i32 s35, 25
	s_cbranch_scc0 .LBB14_23
; %bb.13:
	s_cmp_gt_i32 s35, 28
	s_cbranch_scc0 .LBB14_25
; %bb.14:
	;; [unrolled: 3-line block ×4, first 2 shown]
	s_mov_b64 s[28:29], 0
	s_mov_b64 s[0:1], -1
	s_cmp_eq_u32 s35, 46
	s_mov_b64 s[24:25], 0
	s_cbranch_scc0 .LBB14_34
; %bb.17:
	v_cndmask_b32_e64 v2, 0, 1.0, s[18:19]
	v_bfe_u32 v3, v2, 16, 1
	s_movk_i32 s0, 0x7fff
	v_add3_u32 v2, v2, v3, s0
	v_lshrrev_b32_e32 v2, 16, v2
	global_store_dword v[0:1], v2, off
	s_mov_b64 s[24:25], -1
	s_mov_b64 s[0:1], 0
	s_branch .LBB14_34
.LBB14_18:
	s_mov_b64 s[0:1], 0
                                        ; implicit-def: $vgpr2
	s_cbranch_execnz .LBB14_166
	s_branch .LBB14_198
.LBB14_19:
	s_mov_b64 s[0:1], 0
	s_mov_b64 s[24:25], 0
	s_cbranch_execnz .LBB14_103
.LBB14_20:
	s_andn2_b64 vcc, exec, s[24:25]
	s_cbranch_vccnz .LBB14_141
.LBB14_21:
	v_add_u32_e32 v7, 0x80, v7
	s_mov_b64 s[24:25], -1
	s_branch .LBB14_247
.LBB14_22:
	s_mov_b64 s[18:19], -1
	s_mov_b64 s[0:1], 0
                                        ; implicit-def: $vgpr2
	s_branch .LBB14_149
.LBB14_23:
	s_mov_b64 s[28:29], -1
	s_mov_b64 s[0:1], 0
	s_mov_b64 s[24:25], 0
	s_branch .LBB14_61
.LBB14_24:
	s_mov_b64 s[18:19], -1
	s_mov_b64 s[0:1], 0
                                        ; implicit-def: $vgpr2
	s_branch .LBB14_144
.LBB14_25:
	s_mov_b64 s[28:29], -1
	s_mov_b64 s[0:1], 0
	s_mov_b64 s[24:25], 0
	s_branch .LBB14_44
.LBB14_26:
	s_mov_b64 s[18:19], -1
	s_branch .LBB14_29
.LBB14_27:
	s_mov_b64 s[28:29], -1
	s_mov_b64 s[0:1], 0
	s_mov_b64 s[24:25], 0
	s_branch .LBB14_40
.LBB14_28:
	s_mov_b64 s[20:21], -1
.LBB14_29:
	s_mov_b64 s[0:1], 0
                                        ; implicit-def: $vgpr2
.LBB14_30:
	s_and_b64 vcc, exec, s[18:19]
	s_cbranch_vccz .LBB14_143
; %bb.31:
	s_cmp_eq_u32 s24, 44
	s_cbranch_scc0 .LBB14_142
; %bb.32:
	global_load_ubyte v2, v[0:1], off
	s_mov_b32 s0, 0x2f800000
	s_mov_b32 s1, 0xcf800000
	s_mov_b64 s[20:21], 0
	s_waitcnt vmcnt(0)
	v_lshlrev_b32_e32 v3, 23, v2
	v_trunc_f32_e32 v3, v3
	v_mul_f32_e64 v4, |v3|, s0
	v_floor_f32_e32 v4, v4
	v_fma_f32 v4, v4, s1, |v3|
	v_cvt_u32_f32_e32 v4, v4
	v_ashrrev_i32_e32 v3, 31, v3
	v_cmp_ne_u32_e32 vcc, 0, v2
	s_mov_b64 s[0:1], -1
	v_xor_b32_e32 v4, v4, v3
	v_sub_u32_e32 v3, v4, v3
	v_cndmask_b32_e32 v2, 0, v3, vcc
	s_branch .LBB14_143
.LBB14_33:
	s_mov_b64 s[28:29], -1
	s_mov_b64 s[0:1], 0
	s_mov_b64 s[24:25], 0
.LBB14_34:
	s_and_b64 vcc, exec, s[28:29]
	s_cbranch_vccz .LBB14_39
; %bb.35:
	s_cmp_eq_u32 s35, 44
	s_mov_b64 s[0:1], -1
	s_cbranch_scc0 .LBB14_39
; %bb.36:
	v_cndmask_b32_e64 v3, 0, 1.0, s[18:19]
	v_lshrrev_b32_e32 v2, 23, v3
	s_movk_i32 s0, 0xff
	v_cmp_ne_u32_e32 vcc, s0, v2
	v_mov_b32_e32 v4, 0xff
	s_and_saveexec_b64 s[24:25], vcc
; %bb.37:
	s_mov_b32 s0, 0x3fffff
	v_and_b32_e32 v4, 0x400000, v3
	v_and_or_b32 v3, v3, s0, v2
	v_cmp_ne_u32_e32 vcc, 0, v4
	v_cmp_ne_u32_e64 s[0:1], 0, v3
	s_and_b64 s[0:1], vcc, s[0:1]
	v_cndmask_b32_e64 v3, 0, 1, s[0:1]
	v_add_u32_e32 v4, v2, v3
; %bb.38:
	s_or_b64 exec, exec, s[24:25]
	s_mov_b64 s[24:25], -1
	s_mov_b64 s[0:1], 0
	global_store_byte v[0:1], v4, off
.LBB14_39:
	s_mov_b64 s[28:29], 0
.LBB14_40:
	s_and_b64 vcc, exec, s[28:29]
	s_cbranch_vccz .LBB14_43
; %bb.41:
	s_cmp_eq_u32 s35, 29
	s_mov_b64 s[0:1], -1
	s_cbranch_scc0 .LBB14_43
; %bb.42:
	s_mov_b32 s0, 0
	v_cndmask_b32_e64 v2, 0, 1, s[18:19]
	v_mov_b32_e32 v3, s0
	global_store_dwordx2 v[0:1], v[2:3], off
	s_mov_b64 s[24:25], -1
	s_mov_b64 s[0:1], 0
.LBB14_43:
	s_mov_b64 s[28:29], 0
.LBB14_44:
	s_and_b64 vcc, exec, s[28:29]
	s_cbranch_vccz .LBB14_60
; %bb.45:
	s_cmp_lt_i32 s35, 27
	s_mov_b64 s[24:25], -1
	s_cbranch_scc1 .LBB14_51
; %bb.46:
	s_cmp_gt_i32 s35, 27
	s_cbranch_scc0 .LBB14_48
; %bb.47:
	v_cndmask_b32_e64 v2, 0, 1, s[18:19]
	s_mov_b64 s[24:25], 0
	global_store_dword v[0:1], v2, off
.LBB14_48:
	s_andn2_b64 vcc, exec, s[24:25]
	s_cbranch_vccnz .LBB14_50
; %bb.49:
	v_cndmask_b32_e64 v2, 0, 1, s[18:19]
	global_store_short v[0:1], v2, off
.LBB14_50:
	s_mov_b64 s[24:25], 0
.LBB14_51:
	s_andn2_b64 vcc, exec, s[24:25]
	s_cbranch_vccnz .LBB14_59
; %bb.52:
	v_cndmask_b32_e64 v3, 0, 1.0, s[18:19]
	s_mov_b32 s24, 0x43800000
	v_cmp_gt_u32_e32 vcc, s24, v3
	v_mov_b32_e32 v4, 0x80
	s_and_saveexec_b64 s[24:25], vcc
	s_cbranch_execz .LBB14_58
; %bb.53:
	s_mov_b32 s28, 0x3bffffff
	v_cmp_lt_u32_e32 vcc, s28, v3
	s_mov_b64 s[28:29], 0
                                        ; implicit-def: $vgpr2
	s_and_saveexec_b64 s[30:31], vcc
	s_xor_b64 s[30:31], exec, s[30:31]
	s_cbranch_execz .LBB14_275
; %bb.54:
	v_bfe_u32 v2, v3, 20, 1
	s_mov_b32 s36, 0x487ffff
	v_add3_u32 v2, v3, v2, s36
	s_mov_b64 s[28:29], exec
	v_lshrrev_b32_e32 v2, 20, v2
                                        ; implicit-def: $vgpr3
	s_andn2_saveexec_b64 s[30:31], s[30:31]
	s_cbranch_execnz .LBB14_276
.LBB14_55:
	s_or_b64 exec, exec, s[30:31]
	v_mov_b32_e32 v4, 0
	s_and_saveexec_b64 s[30:31], s[28:29]
.LBB14_56:
	v_mov_b32_e32 v4, v2
.LBB14_57:
	s_or_b64 exec, exec, s[30:31]
.LBB14_58:
	s_or_b64 exec, exec, s[24:25]
	global_store_byte v[0:1], v4, off
.LBB14_59:
	s_mov_b64 s[24:25], -1
.LBB14_60:
	s_mov_b64 s[28:29], 0
.LBB14_61:
	s_and_b64 vcc, exec, s[28:29]
	s_cbranch_vccz .LBB14_102
; %bb.62:
	s_cmp_gt_i32 s35, 22
	s_mov_b64 s[28:29], -1
	s_cbranch_scc0 .LBB14_94
; %bb.63:
	s_cmp_lt_i32 s35, 24
	s_mov_b64 s[24:25], -1
	s_cbranch_scc1 .LBB14_83
; %bb.64:
	s_cmp_gt_i32 s35, 24
	s_cbranch_scc0 .LBB14_72
; %bb.65:
	v_cndmask_b32_e64 v3, 0, 1.0, s[18:19]
	s_mov_b32 s24, 0x47800000
	v_cmp_gt_u32_e32 vcc, s24, v3
	v_mov_b32_e32 v4, 0x80
	s_and_saveexec_b64 s[24:25], vcc
	s_cbranch_execz .LBB14_71
; %bb.66:
	s_mov_b32 s28, 0x37ffffff
	v_cmp_lt_u32_e32 vcc, s28, v3
	s_mov_b64 s[28:29], 0
                                        ; implicit-def: $vgpr2
	s_and_saveexec_b64 s[30:31], vcc
	s_xor_b64 s[30:31], exec, s[30:31]
	s_cbranch_execz .LBB14_279
; %bb.67:
	v_bfe_u32 v2, v3, 21, 1
	s_mov_b32 s36, 0x88fffff
	v_add3_u32 v2, v3, v2, s36
	s_mov_b64 s[28:29], exec
	v_lshrrev_b32_e32 v2, 21, v2
                                        ; implicit-def: $vgpr3
	s_andn2_saveexec_b64 s[30:31], s[30:31]
	s_cbranch_execnz .LBB14_280
.LBB14_68:
	s_or_b64 exec, exec, s[30:31]
	v_mov_b32_e32 v4, 0
	s_and_saveexec_b64 s[30:31], s[28:29]
.LBB14_69:
	v_mov_b32_e32 v4, v2
.LBB14_70:
	s_or_b64 exec, exec, s[30:31]
.LBB14_71:
	s_or_b64 exec, exec, s[24:25]
	s_mov_b64 s[24:25], 0
	global_store_byte v[0:1], v4, off
.LBB14_72:
	s_and_b64 vcc, exec, s[24:25]
	s_cbranch_vccz .LBB14_82
; %bb.73:
	v_cndmask_b32_e64 v2, 0, 1.0, s[18:19]
	s_mov_b32 s24, 0x43f00000
	v_cmp_gt_u32_e32 vcc, s24, v2
                                        ; implicit-def: $vgpr3
	s_and_saveexec_b64 s[24:25], vcc
	s_xor_b64 s[24:25], exec, s[24:25]
	s_cbranch_execz .LBB14_79
; %bb.74:
	s_mov_b32 s28, 0x3c7fffff
	v_cmp_lt_u32_e32 vcc, s28, v2
                                        ; implicit-def: $vgpr3
	s_and_saveexec_b64 s[28:29], vcc
	s_xor_b64 s[28:29], exec, s[28:29]
; %bb.75:
	v_bfe_u32 v3, v2, 20, 1
	s_mov_b32 s30, 0x407ffff
	v_add3_u32 v2, v2, v3, s30
	v_lshrrev_b32_e32 v3, 20, v2
	v_and_b32_e32 v2, 0xff00000, v2
	s_mov_b32 s30, 0x7f00000
	v_mov_b32_e32 v4, 0x7e
	v_cmp_ne_u32_e32 vcc, s30, v2
	v_cndmask_b32_e32 v3, v4, v3, vcc
                                        ; implicit-def: $vgpr2
; %bb.76:
	s_andn2_saveexec_b64 s[28:29], s[28:29]
; %bb.77:
	v_add_f32_e32 v3, 0x46800000, v2
; %bb.78:
	s_or_b64 exec, exec, s[28:29]
                                        ; implicit-def: $vgpr2
.LBB14_79:
	s_andn2_saveexec_b64 s[24:25], s[24:25]
; %bb.80:
	s_mov_b32 s28, 0x7f800000
	v_mov_b32_e32 v3, 0x7e
	v_mov_b32_e32 v4, 0x7f
	v_cmp_lt_u32_e32 vcc, s28, v2
	v_cndmask_b32_e32 v3, v3, v4, vcc
; %bb.81:
	s_or_b64 exec, exec, s[24:25]
	global_store_byte v[0:1], v3, off
.LBB14_82:
	s_mov_b64 s[24:25], 0
.LBB14_83:
	s_andn2_b64 vcc, exec, s[24:25]
	s_cbranch_vccnz .LBB14_93
; %bb.84:
	v_cndmask_b32_e64 v2, 0, 1.0, s[18:19]
	s_mov_b32 s24, 0x47800000
	v_cmp_gt_u32_e32 vcc, s24, v2
                                        ; implicit-def: $vgpr3
	s_and_saveexec_b64 s[24:25], vcc
	s_xor_b64 s[24:25], exec, s[24:25]
	s_cbranch_execz .LBB14_90
; %bb.85:
	s_mov_b32 s28, 0x387fffff
	v_cmp_lt_u32_e32 vcc, s28, v2
                                        ; implicit-def: $vgpr3
	s_and_saveexec_b64 s[28:29], vcc
	s_xor_b64 s[28:29], exec, s[28:29]
; %bb.86:
	v_bfe_u32 v3, v2, 21, 1
	s_mov_b32 s30, 0x80fffff
	v_add3_u32 v2, v2, v3, s30
	v_lshrrev_b32_e32 v3, 21, v2
                                        ; implicit-def: $vgpr2
; %bb.87:
	s_andn2_saveexec_b64 s[28:29], s[28:29]
; %bb.88:
	v_add_f32_e32 v3, 0x43000000, v2
; %bb.89:
	s_or_b64 exec, exec, s[28:29]
                                        ; implicit-def: $vgpr2
.LBB14_90:
	s_andn2_saveexec_b64 s[24:25], s[24:25]
; %bb.91:
	s_mov_b32 s28, 0x7f800000
	v_mov_b32_e32 v3, 0x7c
	v_mov_b32_e32 v4, 0x7f
	v_cmp_lt_u32_e32 vcc, s28, v2
	v_cndmask_b32_e32 v3, v3, v4, vcc
; %bb.92:
	s_or_b64 exec, exec, s[24:25]
	global_store_byte v[0:1], v3, off
.LBB14_93:
	s_mov_b64 s[28:29], 0
	s_mov_b64 s[24:25], -1
.LBB14_94:
	s_andn2_b64 vcc, exec, s[28:29]
	s_cbranch_vccnz .LBB14_102
; %bb.95:
	s_cmp_gt_i32 s35, 14
	s_mov_b64 s[28:29], -1
	s_cbranch_scc0 .LBB14_99
; %bb.96:
	s_cmp_eq_u32 s35, 15
	s_mov_b64 s[0:1], -1
	s_cbranch_scc0 .LBB14_98
; %bb.97:
	v_cndmask_b32_e64 v2, 0, 1.0, s[18:19]
	v_bfe_u32 v3, v2, 16, 1
	s_movk_i32 s0, 0x7fff
	v_add3_u32 v2, v2, v3, s0
	global_store_short_d16_hi v[0:1], v2, off
	s_mov_b64 s[24:25], -1
	s_mov_b64 s[0:1], 0
.LBB14_98:
	s_mov_b64 s[28:29], 0
.LBB14_99:
	s_and_b64 vcc, exec, s[28:29]
	s_cbranch_vccz .LBB14_102
; %bb.100:
	s_cmp_eq_u32 s35, 11
	s_mov_b64 s[0:1], -1
	s_cbranch_scc0 .LBB14_102
; %bb.101:
	v_cndmask_b32_e64 v2, 0, 1, s[18:19]
	s_mov_b64 s[24:25], -1
	s_mov_b64 s[0:1], 0
	global_store_byte v[0:1], v2, off
.LBB14_102:
	s_branch .LBB14_20
.LBB14_103:
	s_and_b32 s28, 0xffff, s34
	s_cmp_lt_i32 s28, 5
	s_mov_b64 s[24:25], -1
	s_cbranch_scc1 .LBB14_124
; %bb.104:
	s_cmp_lt_i32 s28, 8
	s_cbranch_scc1 .LBB14_114
; %bb.105:
	s_cmp_lt_i32 s28, 9
	s_cbranch_scc1 .LBB14_111
; %bb.106:
	s_cmp_gt_i32 s28, 9
	s_cbranch_scc0 .LBB14_108
; %bb.107:
	v_cndmask_b32_e64 v2, 0, 1, s[18:19]
	v_cvt_f64_u32_e32 v[2:3], v2
	v_mov_b32_e32 v4, 0
	v_mov_b32_e32 v5, v4
	s_mov_b64 s[24:25], 0
	global_store_dwordx4 v[0:1], v[2:5], off
.LBB14_108:
	s_andn2_b64 vcc, exec, s[24:25]
	s_cbranch_vccnz .LBB14_110
; %bb.109:
	v_cndmask_b32_e64 v2, 0, 1.0, s[18:19]
	v_mov_b32_e32 v3, 0
	global_store_dwordx2 v[0:1], v[2:3], off
.LBB14_110:
	s_mov_b64 s[24:25], 0
.LBB14_111:
	s_andn2_b64 vcc, exec, s[24:25]
	s_cbranch_vccnz .LBB14_113
; %bb.112:
	v_cndmask_b32_e64 v2, 0, 1.0, s[18:19]
	v_cvt_f16_f32_e32 v2, v2
	global_store_dword v[0:1], v2, off
.LBB14_113:
	s_mov_b64 s[24:25], 0
.LBB14_114:
	s_andn2_b64 vcc, exec, s[24:25]
	s_cbranch_vccnz .LBB14_123
; %bb.115:
	s_cmp_lt_i32 s28, 6
	s_mov_b64 s[24:25], -1
	s_cbranch_scc1 .LBB14_121
; %bb.116:
	s_cmp_gt_i32 s28, 6
	s_cbranch_scc0 .LBB14_118
; %bb.117:
	v_cndmask_b32_e64 v2, 0, 1, s[18:19]
	v_cvt_f64_u32_e32 v[2:3], v2
	s_mov_b64 s[24:25], 0
	global_store_dwordx2 v[0:1], v[2:3], off
.LBB14_118:
	s_andn2_b64 vcc, exec, s[24:25]
	s_cbranch_vccnz .LBB14_120
; %bb.119:
	v_cndmask_b32_e64 v2, 0, 1.0, s[18:19]
	global_store_dword v[0:1], v2, off
.LBB14_120:
	s_mov_b64 s[24:25], 0
.LBB14_121:
	s_andn2_b64 vcc, exec, s[24:25]
	s_cbranch_vccnz .LBB14_123
; %bb.122:
	v_cndmask_b32_e64 v2, 0, 1.0, s[18:19]
	v_cvt_f16_f32_e32 v2, v2
	global_store_short v[0:1], v2, off
.LBB14_123:
	s_mov_b64 s[24:25], 0
.LBB14_124:
	s_andn2_b64 vcc, exec, s[24:25]
	s_cbranch_vccnz .LBB14_140
; %bb.125:
	s_cmp_lt_i32 s28, 2
	s_mov_b64 s[24:25], -1
	s_cbranch_scc1 .LBB14_135
; %bb.126:
	s_cmp_lt_i32 s28, 3
	s_cbranch_scc1 .LBB14_132
; %bb.127:
	s_cmp_gt_i32 s28, 3
	s_cbranch_scc0 .LBB14_129
; %bb.128:
	s_mov_b32 s24, 0
	v_cndmask_b32_e64 v2, 0, 1, s[18:19]
	v_mov_b32_e32 v3, s24
	global_store_dwordx2 v[0:1], v[2:3], off
	s_mov_b64 s[24:25], 0
.LBB14_129:
	s_andn2_b64 vcc, exec, s[24:25]
	s_cbranch_vccnz .LBB14_131
; %bb.130:
	v_cndmask_b32_e64 v2, 0, 1, s[18:19]
	global_store_dword v[0:1], v2, off
.LBB14_131:
	s_mov_b64 s[24:25], 0
.LBB14_132:
	s_andn2_b64 vcc, exec, s[24:25]
	s_cbranch_vccnz .LBB14_134
; %bb.133:
	v_cndmask_b32_e64 v2, 0, 1, s[18:19]
	global_store_short v[0:1], v2, off
.LBB14_134:
	s_mov_b64 s[24:25], 0
.LBB14_135:
	s_andn2_b64 vcc, exec, s[24:25]
	s_cbranch_vccnz .LBB14_140
; %bb.136:
	s_mov_b64 s[24:25], -1
	s_cmp_gt_i32 s28, 0
	v_cndmask_b32_e64 v2, 0, 1, s[18:19]
	s_cbranch_scc0 .LBB14_138
; %bb.137:
	global_store_byte v[0:1], v2, off
	s_mov_b64 s[24:25], 0
.LBB14_138:
	s_andn2_b64 vcc, exec, s[24:25]
	s_cbranch_vccnz .LBB14_140
; %bb.139:
	global_store_byte v[0:1], v2, off
.LBB14_140:
	s_branch .LBB14_21
.LBB14_141:
	s_mov_b64 s[24:25], 0
                                        ; implicit-def: $vgpr7
	s_branch .LBB14_247
.LBB14_142:
	s_mov_b64 s[20:21], -1
                                        ; implicit-def: $vgpr2
.LBB14_143:
	s_mov_b64 s[18:19], 0
.LBB14_144:
	s_and_b64 vcc, exec, s[18:19]
	s_cbranch_vccz .LBB14_148
; %bb.145:
	s_cmp_eq_u32 s24, 29
	s_cbranch_scc0 .LBB14_147
; %bb.146:
	global_load_dwordx2 v[2:3], v[0:1], off
	s_mov_b64 s[0:1], -1
	s_mov_b64 s[20:21], 0
	s_branch .LBB14_148
.LBB14_147:
	s_mov_b64 s[20:21], -1
                                        ; implicit-def: $vgpr2
.LBB14_148:
	s_mov_b64 s[18:19], 0
.LBB14_149:
	s_and_b64 vcc, exec, s[18:19]
	s_cbranch_vccz .LBB14_165
; %bb.150:
	s_cmp_lt_i32 s24, 27
	s_cbranch_scc1 .LBB14_153
; %bb.151:
	s_cmp_gt_i32 s24, 27
	s_cbranch_scc0 .LBB14_154
; %bb.152:
	global_load_dword v2, v[0:1], off
	s_mov_b64 s[0:1], 0
	s_branch .LBB14_155
.LBB14_153:
	s_mov_b64 s[0:1], -1
                                        ; implicit-def: $vgpr2
	s_branch .LBB14_158
.LBB14_154:
	s_mov_b64 s[0:1], -1
                                        ; implicit-def: $vgpr2
.LBB14_155:
	s_andn2_b64 vcc, exec, s[0:1]
	s_cbranch_vccnz .LBB14_157
; %bb.156:
	global_load_ushort v2, v[0:1], off
.LBB14_157:
	s_mov_b64 s[0:1], 0
.LBB14_158:
	s_andn2_b64 vcc, exec, s[0:1]
	s_cbranch_vccnz .LBB14_164
; %bb.159:
	global_load_ubyte v3, v[0:1], off
	s_movk_i32 s0, 0x7f
	s_mov_b64 s[18:19], 0
	s_waitcnt vmcnt(0)
	v_cmp_lt_i16_e32 vcc, s0, v3
	s_and_saveexec_b64 s[0:1], vcc
	s_xor_b64 s[0:1], exec, s[0:1]
	s_cbranch_execz .LBB14_175
; %bb.160:
	s_movk_i32 s18, 0x80
	v_cmp_ne_u16_e32 vcc, s18, v3
	s_and_b64 s[18:19], vcc, exec
	s_andn2_saveexec_b64 s[0:1], s[0:1]
	s_cbranch_execnz .LBB14_176
.LBB14_161:
	s_or_b64 exec, exec, s[0:1]
	v_mov_b32_e32 v2, 0
	s_and_saveexec_b64 s[0:1], s[18:19]
	s_cbranch_execz .LBB14_163
.LBB14_162:
	v_lshlrev_b32_e32 v2, 24, v3
	v_and_b32_e32 v3, 0xffff, v3
	v_and_b32_e32 v4, 7, v3
	v_ffbh_u32_e32 v6, v4
	v_min_u32_e32 v6, 32, v6
	v_subrev_u32_e32 v8, 28, v6
	v_bfe_u32 v5, v3, 3, 4
	v_lshlrev_b32_e32 v3, v8, v3
	v_sub_u32_e32 v6, 29, v6
	v_and_b32_e32 v3, 7, v3
	v_cmp_eq_u32_e32 vcc, 0, v5
	v_cndmask_b32_e32 v5, v5, v6, vcc
	v_cndmask_b32_e32 v3, v4, v3, vcc
	v_mov_b32_e32 v4, 0x3b800000
	v_lshlrev_b32_e32 v3, 20, v3
	v_and_b32_e32 v2, 0x80000000, v2
	v_lshl_add_u32 v4, v5, 23, v4
	v_or3_b32 v2, v2, v4, v3
	v_trunc_f32_e32 v2, v2
	s_mov_b32 s18, 0x2f800000
	v_mul_f32_e64 v3, |v2|, s18
	v_floor_f32_e32 v3, v3
	s_mov_b32 s18, 0xcf800000
	v_fma_f32 v3, v3, s18, |v2|
	v_cvt_u32_f32_e32 v3, v3
	v_ashrrev_i32_e32 v2, 31, v2
	v_xor_b32_e32 v3, v3, v2
	v_sub_u32_e32 v2, v3, v2
.LBB14_163:
	s_or_b64 exec, exec, s[0:1]
.LBB14_164:
	s_mov_b64 s[0:1], -1
.LBB14_165:
	s_branch .LBB14_198
.LBB14_166:
	s_cmp_gt_i32 s24, 22
	s_cbranch_scc0 .LBB14_174
; %bb.167:
	s_cmp_lt_i32 s24, 24
	s_cbranch_scc1 .LBB14_177
; %bb.168:
	s_cmp_gt_i32 s24, 24
	s_cbranch_scc0 .LBB14_178
; %bb.169:
	global_load_ubyte v3, v[0:1], off
	s_movk_i32 s0, 0x7f
	s_mov_b64 s[18:19], 0
	s_waitcnt vmcnt(0)
	v_cmp_lt_i16_e32 vcc, s0, v3
	s_and_saveexec_b64 s[0:1], vcc
	s_xor_b64 s[0:1], exec, s[0:1]
	s_cbranch_execz .LBB14_190
; %bb.170:
	s_movk_i32 s18, 0x80
	v_cmp_ne_u16_e32 vcc, s18, v3
	s_and_b64 s[18:19], vcc, exec
	s_andn2_saveexec_b64 s[0:1], s[0:1]
	s_cbranch_execnz .LBB14_191
.LBB14_171:
	s_or_b64 exec, exec, s[0:1]
	v_mov_b32_e32 v2, 0
	s_and_saveexec_b64 s[0:1], s[18:19]
	s_cbranch_execz .LBB14_173
.LBB14_172:
	v_lshlrev_b32_e32 v2, 24, v3
	v_and_b32_e32 v3, 0xffff, v3
	v_and_b32_e32 v4, 3, v3
	v_ffbh_u32_e32 v6, v4
	v_min_u32_e32 v6, 32, v6
	v_subrev_u32_e32 v8, 29, v6
	v_bfe_u32 v5, v3, 2, 5
	v_lshlrev_b32_e32 v3, v8, v3
	v_sub_u32_e32 v6, 30, v6
	v_and_b32_e32 v3, 3, v3
	v_cmp_eq_u32_e32 vcc, 0, v5
	v_cndmask_b32_e32 v5, v5, v6, vcc
	v_cndmask_b32_e32 v3, v4, v3, vcc
	v_mov_b32_e32 v4, 0x37800000
	v_lshlrev_b32_e32 v3, 21, v3
	v_and_b32_e32 v2, 0x80000000, v2
	v_lshl_add_u32 v4, v5, 23, v4
	v_or3_b32 v2, v2, v4, v3
	v_trunc_f32_e32 v2, v2
	s_mov_b32 s18, 0x2f800000
	v_mul_f32_e64 v3, |v2|, s18
	v_floor_f32_e32 v3, v3
	s_mov_b32 s18, 0xcf800000
	v_fma_f32 v3, v3, s18, |v2|
	v_cvt_u32_f32_e32 v3, v3
	v_ashrrev_i32_e32 v2, 31, v2
	v_xor_b32_e32 v3, v3, v2
	v_sub_u32_e32 v2, v3, v2
.LBB14_173:
	s_or_b64 exec, exec, s[0:1]
	s_mov_b64 s[0:1], 0
	s_branch .LBB14_179
.LBB14_174:
	s_mov_b64 s[18:19], -1
                                        ; implicit-def: $vgpr2
	s_branch .LBB14_185
.LBB14_175:
	s_andn2_saveexec_b64 s[0:1], s[0:1]
	s_cbranch_execz .LBB14_161
.LBB14_176:
	v_cmp_ne_u16_e32 vcc, 0, v3
	s_andn2_b64 s[18:19], s[18:19], exec
	s_and_b64 s[28:29], vcc, exec
	s_or_b64 s[18:19], s[18:19], s[28:29]
	s_or_b64 exec, exec, s[0:1]
	v_mov_b32_e32 v2, 0
	s_and_saveexec_b64 s[0:1], s[18:19]
	s_cbranch_execnz .LBB14_162
	s_branch .LBB14_163
.LBB14_177:
	s_mov_b64 s[0:1], -1
                                        ; implicit-def: $vgpr2
	s_branch .LBB14_182
.LBB14_178:
	s_mov_b64 s[0:1], -1
                                        ; implicit-def: $vgpr2
.LBB14_179:
	s_and_b64 vcc, exec, s[0:1]
	s_cbranch_vccz .LBB14_181
; %bb.180:
	global_load_ubyte v2, v[0:1], off
	s_mov_b32 s0, 0x7f800000
	s_brev_b32 s1, 1
	s_mov_b32 s18, 0x2f800000
	s_waitcnt vmcnt(0)
	v_lshlrev_b32_e32 v2, 24, v2
	v_and_b32_e32 v3, 0x7f000000, v2
	v_ffbh_u32_e32 v4, v3
	v_min_u32_e32 v4, 32, v4
	v_sub_u32_e64 v4, v4, 4 clamp
	v_lshlrev_b32_e32 v6, v4, v3
	v_lshlrev_b32_e32 v4, 23, v4
	v_lshrrev_b32_e32 v6, 4, v6
	v_add_u32_e32 v5, 0x1000000, v3
	v_sub_u32_e32 v4, v6, v4
	v_ashrrev_i32_e32 v5, 8, v5
	v_add_u32_e32 v4, 0x3c000000, v4
	v_and_or_b32 v4, v5, s0, v4
	v_cmp_ne_u32_e32 vcc, 0, v3
	v_cndmask_b32_e32 v3, 0, v4, vcc
	v_and_or_b32 v2, v2, s1, v3
	v_trunc_f32_e32 v2, v2
	v_mul_f32_e64 v3, |v2|, s18
	v_floor_f32_e32 v3, v3
	s_mov_b32 s0, 0xcf800000
	v_fma_f32 v3, v3, s0, |v2|
	v_cvt_u32_f32_e32 v3, v3
	v_ashrrev_i32_e32 v2, 31, v2
	v_xor_b32_e32 v3, v3, v2
	v_sub_u32_e32 v2, v3, v2
.LBB14_181:
	s_mov_b64 s[0:1], 0
.LBB14_182:
	s_andn2_b64 vcc, exec, s[0:1]
	s_cbranch_vccnz .LBB14_184
; %bb.183:
	global_load_ubyte v2, v[0:1], off
	s_movk_i32 s0, 0x7f00
	s_brev_b32 s1, 16
	s_brev_b32 s18, 1
	s_mov_b32 s19, 0x2f800000
	s_waitcnt vmcnt(0)
	v_lshlrev_b16_e32 v3, 8, v2
	v_lshlrev_b32_e32 v2, 25, v2
	v_lshrrev_b32_e32 v4, 4, v2
	v_and_or_b32 v5, v3, s0, 0.5
	v_or_b32_e32 v4, 0x70000000, v4
	v_add_f32_e32 v5, -0.5, v5
	v_mul_f32_e32 v4, 0x7800000, v4
	v_cmp_gt_u32_e32 vcc, s1, v2
	v_bfe_i32 v3, v3, 0, 16
	v_cndmask_b32_e32 v2, v4, v5, vcc
	v_and_or_b32 v2, v3, s18, v2
	v_trunc_f32_e32 v2, v2
	v_mul_f32_e64 v3, |v2|, s19
	v_floor_f32_e32 v3, v3
	s_mov_b32 s0, 0xcf800000
	v_fma_f32 v3, v3, s0, |v2|
	v_cvt_u32_f32_e32 v3, v3
	v_ashrrev_i32_e32 v2, 31, v2
	v_xor_b32_e32 v3, v3, v2
	v_sub_u32_e32 v2, v3, v2
.LBB14_184:
	s_mov_b64 s[18:19], 0
	s_mov_b64 s[0:1], -1
.LBB14_185:
	s_andn2_b64 vcc, exec, s[18:19]
	s_cbranch_vccnz .LBB14_198
; %bb.186:
	s_cmp_gt_i32 s24, 14
	s_cbranch_scc0 .LBB14_189
; %bb.187:
	s_cmp_eq_u32 s24, 15
	s_cbranch_scc0 .LBB14_192
; %bb.188:
	global_load_ushort v2, v[0:1], off
	s_mov_b32 s0, 0x2f800000
	s_mov_b32 s1, 0xcf800000
	s_mov_b64 s[20:21], 0
	s_waitcnt vmcnt(0)
	v_lshlrev_b32_e32 v2, 16, v2
	v_trunc_f32_e32 v2, v2
	v_mul_f32_e64 v3, |v2|, s0
	v_floor_f32_e32 v3, v3
	v_fma_f32 v3, v3, s1, |v2|
	v_cvt_u32_f32_e32 v3, v3
	v_ashrrev_i32_e32 v2, 31, v2
	s_mov_b64 s[0:1], -1
	v_xor_b32_e32 v3, v3, v2
	v_sub_u32_e32 v2, v3, v2
	s_branch .LBB14_193
.LBB14_189:
	s_mov_b64 s[18:19], -1
                                        ; implicit-def: $vgpr2
	s_branch .LBB14_194
.LBB14_190:
	s_andn2_saveexec_b64 s[0:1], s[0:1]
	s_cbranch_execz .LBB14_171
.LBB14_191:
	v_cmp_ne_u16_e32 vcc, 0, v3
	s_andn2_b64 s[18:19], s[18:19], exec
	s_and_b64 s[28:29], vcc, exec
	s_or_b64 s[18:19], s[18:19], s[28:29]
	s_or_b64 exec, exec, s[0:1]
	v_mov_b32_e32 v2, 0
	s_and_saveexec_b64 s[0:1], s[18:19]
	s_cbranch_execnz .LBB14_172
	s_branch .LBB14_173
.LBB14_192:
	s_mov_b64 s[20:21], -1
                                        ; implicit-def: $vgpr2
.LBB14_193:
	s_mov_b64 s[18:19], 0
.LBB14_194:
	s_and_b64 vcc, exec, s[18:19]
	s_cbranch_vccz .LBB14_198
; %bb.195:
	s_cmp_eq_u32 s24, 11
	s_cbranch_scc0 .LBB14_197
; %bb.196:
	global_load_ubyte v2, v[0:1], off
	s_mov_b64 s[0:1], -1
	s_mov_b64 s[20:21], 0
	s_waitcnt vmcnt(0)
	v_cmp_ne_u16_e32 vcc, 0, v2
	v_cndmask_b32_e64 v2, 0, 1, vcc
	s_branch .LBB14_198
.LBB14_197:
	s_mov_b64 s[20:21], -1
                                        ; implicit-def: $vgpr2
.LBB14_198:
	s_branch .LBB14_10
.LBB14_199:
	s_cmp_lt_i32 s24, 5
	s_cbranch_scc1 .LBB14_204
; %bb.200:
	s_cmp_lt_i32 s24, 8
	s_cbranch_scc1 .LBB14_205
; %bb.201:
	;; [unrolled: 3-line block ×3, first 2 shown]
	s_cmp_gt_i32 s24, 9
	s_cbranch_scc0 .LBB14_207
; %bb.203:
	global_load_dwordx2 v[2:3], v[0:1], off
	s_movk_i32 s0, 0xffe0
	s_waitcnt vmcnt(0)
	v_trunc_f64_e32 v[2:3], v[2:3]
	v_ldexp_f64 v[4:5], v[2:3], s0
	s_mov_b32 s0, 0
	s_mov_b32 s1, 0xc1f00000
	v_floor_f64_e32 v[4:5], v[4:5]
	v_fma_f64 v[2:3], v[4:5], s[0:1], v[2:3]
	s_mov_b64 s[0:1], 0
	v_cvt_u32_f64_e32 v2, v[2:3]
	s_branch .LBB14_208
.LBB14_204:
                                        ; implicit-def: $vgpr2
	s_branch .LBB14_226
.LBB14_205:
	s_mov_b64 s[0:1], -1
                                        ; implicit-def: $vgpr2
	s_branch .LBB14_214
.LBB14_206:
	s_mov_b64 s[0:1], -1
                                        ; implicit-def: $vgpr2
	s_branch .LBB14_211
.LBB14_207:
	s_mov_b64 s[0:1], -1
                                        ; implicit-def: $vgpr2
.LBB14_208:
	s_andn2_b64 vcc, exec, s[0:1]
	s_cbranch_vccnz .LBB14_210
; %bb.209:
	global_load_dword v2, v[0:1], off
	s_mov_b32 s0, 0x2f800000
	s_waitcnt vmcnt(0)
	v_trunc_f32_e32 v2, v2
	v_mul_f32_e64 v3, |v2|, s0
	v_floor_f32_e32 v3, v3
	s_mov_b32 s0, 0xcf800000
	v_fma_f32 v3, v3, s0, |v2|
	v_cvt_u32_f32_e32 v3, v3
	v_ashrrev_i32_e32 v2, 31, v2
	v_xor_b32_e32 v3, v3, v2
	v_sub_u32_e32 v2, v3, v2
.LBB14_210:
	s_mov_b64 s[0:1], 0
.LBB14_211:
	s_andn2_b64 vcc, exec, s[0:1]
	s_cbranch_vccnz .LBB14_213
; %bb.212:
	global_load_dword v2, v[0:1], off
	s_waitcnt vmcnt(0)
	v_cvt_f32_f16_e32 v2, v2
	v_cvt_i32_f32_e32 v2, v2
.LBB14_213:
	s_mov_b64 s[0:1], 0
.LBB14_214:
	s_andn2_b64 vcc, exec, s[0:1]
	s_cbranch_vccnz .LBB14_225
; %bb.215:
	s_cmp_lt_i32 s24, 6
	s_cbranch_scc1 .LBB14_218
; %bb.216:
	s_cmp_gt_i32 s24, 6
	s_cbranch_scc0 .LBB14_219
; %bb.217:
	global_load_dwordx2 v[2:3], v[0:1], off
	s_movk_i32 s0, 0xffe0
	s_waitcnt vmcnt(0)
	v_trunc_f64_e32 v[2:3], v[2:3]
	v_ldexp_f64 v[4:5], v[2:3], s0
	s_mov_b32 s0, 0
	s_mov_b32 s1, 0xc1f00000
	v_floor_f64_e32 v[4:5], v[4:5]
	v_fma_f64 v[2:3], v[4:5], s[0:1], v[2:3]
	s_mov_b64 s[0:1], 0
	v_cvt_u32_f64_e32 v2, v[2:3]
	s_branch .LBB14_220
.LBB14_218:
	s_mov_b64 s[0:1], -1
                                        ; implicit-def: $vgpr2
	s_branch .LBB14_223
.LBB14_219:
	s_mov_b64 s[0:1], -1
                                        ; implicit-def: $vgpr2
.LBB14_220:
	s_andn2_b64 vcc, exec, s[0:1]
	s_cbranch_vccnz .LBB14_222
; %bb.221:
	global_load_dword v2, v[0:1], off
	s_mov_b32 s0, 0x2f800000
	s_waitcnt vmcnt(0)
	v_trunc_f32_e32 v2, v2
	v_mul_f32_e64 v3, |v2|, s0
	v_floor_f32_e32 v3, v3
	s_mov_b32 s0, 0xcf800000
	v_fma_f32 v3, v3, s0, |v2|
	v_cvt_u32_f32_e32 v3, v3
	v_ashrrev_i32_e32 v2, 31, v2
	v_xor_b32_e32 v3, v3, v2
	v_sub_u32_e32 v2, v3, v2
.LBB14_222:
	s_mov_b64 s[0:1], 0
.LBB14_223:
	s_andn2_b64 vcc, exec, s[0:1]
	s_cbranch_vccnz .LBB14_225
; %bb.224:
	global_load_ushort v2, v[0:1], off
	s_waitcnt vmcnt(0)
	v_cvt_f32_f16_e32 v2, v2
	v_cvt_i32_f32_e32 v2, v2
.LBB14_225:
	s_cbranch_execnz .LBB14_245
.LBB14_226:
	s_cmp_lt_i32 s24, 2
	s_cbranch_scc1 .LBB14_230
; %bb.227:
	s_cmp_lt_i32 s24, 3
	s_cbranch_scc1 .LBB14_231
; %bb.228:
	s_cmp_gt_i32 s24, 3
	s_cbranch_scc0 .LBB14_232
; %bb.229:
	global_load_dwordx2 v[2:3], v[0:1], off
	s_mov_b64 s[0:1], 0
	s_branch .LBB14_233
.LBB14_230:
	s_mov_b64 s[0:1], -1
                                        ; implicit-def: $vgpr2
	s_branch .LBB14_239
.LBB14_231:
	s_mov_b64 s[0:1], -1
                                        ; implicit-def: $vgpr2
	s_branch .LBB14_236
.LBB14_232:
	s_mov_b64 s[0:1], -1
                                        ; implicit-def: $vgpr2
.LBB14_233:
	s_andn2_b64 vcc, exec, s[0:1]
	s_cbranch_vccnz .LBB14_235
; %bb.234:
	global_load_dword v2, v[0:1], off
.LBB14_235:
	s_mov_b64 s[0:1], 0
.LBB14_236:
	s_andn2_b64 vcc, exec, s[0:1]
	s_cbranch_vccnz .LBB14_238
; %bb.237:
	global_load_ushort v2, v[0:1], off
.LBB14_238:
	s_mov_b64 s[0:1], 0
.LBB14_239:
	s_andn2_b64 vcc, exec, s[0:1]
	s_cbranch_vccnz .LBB14_245
; %bb.240:
	s_cmp_gt_i32 s24, 0
	s_cbranch_scc0 .LBB14_242
; %bb.241:
	global_load_ubyte v2, v[0:1], off
	s_mov_b64 s[0:1], 0
	s_branch .LBB14_243
.LBB14_242:
	s_mov_b64 s[0:1], -1
                                        ; implicit-def: $vgpr2
.LBB14_243:
	s_andn2_b64 vcc, exec, s[0:1]
	s_cbranch_vccnz .LBB14_245
; %bb.244:
	global_load_ubyte v2, v[0:1], off
.LBB14_245:
	s_branch .LBB14_11
.LBB14_246:
	s_mov_b64 s[0:1], 0
                                        ; implicit-def: $vgpr7
	s_mov_b64 s[24:25], 0
.LBB14_247:
	s_and_b64 s[18:19], s[0:1], exec
	s_and_b64 s[20:21], s[20:21], exec
	s_orn2_b64 s[24:25], s[24:25], exec
.LBB14_248:
	s_or_b64 exec, exec, s[22:23]
	s_mov_b64 s[28:29], 0
	s_mov_b64 s[0:1], 0
                                        ; implicit-def: $vgpr0_vgpr1
                                        ; implicit-def: $vgpr2
	s_and_saveexec_b64 s[22:23], s[24:25]
	s_cbranch_execz .LBB14_257
; %bb.249:
	v_cmp_gt_i32_e32 vcc, s33, v7
	s_mov_b64 s[0:1], -1
	s_mov_b64 s[24:25], s[20:21]
	s_mov_b64 s[26:27], s[18:19]
	s_and_saveexec_b64 s[28:29], vcc
	s_cbranch_execz .LBB14_505
; %bb.250:
	v_mul_lo_u32 v0, v7, s13
	v_mov_b32_e32 v1, s11
	s_and_b32 s30, 0xffff, s15
	s_cmp_lt_i32 s30, 11
	s_waitcnt vmcnt(0)
	v_ashrrev_i32_e32 v2, 31, v0
	v_add_co_u32_e32 v0, vcc, s10, v0
	v_addc_co_u32_e32 v1, vcc, v1, v2, vcc
	s_cbranch_scc1 .LBB14_260
; %bb.251:
	s_cmp_gt_i32 s30, 25
	s_cbranch_scc0 .LBB14_269
; %bb.252:
	s_cmp_gt_i32 s30, 28
	s_cbranch_scc0 .LBB14_271
; %bb.253:
	s_cmp_gt_i32 s30, 43
	s_cbranch_scc0 .LBB14_273
; %bb.254:
	s_cmp_gt_i32 s30, 45
	s_cbranch_scc0 .LBB14_277
; %bb.255:
	s_cmp_eq_u32 s30, 46
	s_mov_b64 s[26:27], 0
	s_cbranch_scc0 .LBB14_281
; %bb.256:
	global_load_dword v2, v[0:1], off
	s_mov_b32 s0, 0x2f800000
	s_mov_b32 s1, 0xcf800000
	s_mov_b64 s[24:25], 0
	s_waitcnt vmcnt(0)
	v_lshlrev_b32_e32 v2, 16, v2
	v_trunc_f32_e32 v2, v2
	v_mul_f32_e64 v3, |v2|, s0
	v_floor_f32_e32 v3, v3
	v_fma_f32 v3, v3, s1, |v2|
	v_cvt_u32_f32_e32 v3, v3
	v_ashrrev_i32_e32 v2, 31, v2
	s_mov_b64 s[0:1], -1
	v_xor_b32_e32 v3, v3, v2
	v_sub_u32_e32 v2, v3, v2
	s_branch .LBB14_282
.LBB14_257:
	s_or_b64 exec, exec, s[22:23]
	s_mov_b64 s[22:23], 0
	s_and_saveexec_b64 s[24:25], s[20:21]
	s_cbranch_execnz .LBB14_843
.LBB14_258:
	s_or_b64 exec, exec, s[24:25]
	s_and_saveexec_b64 s[20:21], s[26:27]
	s_xor_b64 s[20:21], exec, s[20:21]
	s_cbranch_execz .LBB14_844
.LBB14_259:
	global_load_ubyte v2, v[0:1], off
	s_or_b64 s[0:1], s[0:1], exec
	s_waitcnt vmcnt(0)
	v_cmp_ne_u16_e32 vcc, 0, v2
	v_cndmask_b32_e64 v2, 0, 1, vcc
	s_or_b64 exec, exec, s[20:21]
	s_and_saveexec_b64 s[20:21], s[28:29]
	s_cbranch_execz .LBB14_890
	s_branch .LBB14_845
.LBB14_260:
	s_mov_b64 s[0:1], 0
                                        ; implicit-def: $vgpr2
	s_mov_b64 s[24:25], s[20:21]
	s_cbranch_execnz .LBB14_455
.LBB14_261:
	s_andn2_b64 vcc, exec, s[0:1]
	s_cbranch_vccnz .LBB14_503
.LBB14_262:
	v_mul_lo_u32 v0, v7, s12
	s_and_b32 s0, s2, 0xff
	s_waitcnt vmcnt(0)
	v_cmp_ne_u16_sdwa s[0:1], s0, v2 src0_sel:DWORD src1_sel:BYTE_0
	s_xor_b64 s[26:27], s[16:17], s[0:1]
	v_ashrrev_i32_e32 v1, 31, v0
	v_mov_b32_e32 v2, s9
	s_and_b32 s38, s3, 0xff
	v_add_co_u32_e32 v0, vcc, s8, v0
	s_cmp_lt_i32 s38, 11
	v_addc_co_u32_e32 v1, vcc, v2, v1, vcc
	s_cbranch_scc1 .LBB14_270
; %bb.263:
	s_and_b32 s39, 0xffff, s38
	s_cmp_gt_i32 s39, 25
	s_cbranch_scc0 .LBB14_272
; %bb.264:
	s_cmp_gt_i32 s39, 28
	s_cbranch_scc0 .LBB14_274
; %bb.265:
	;; [unrolled: 3-line block ×4, first 2 shown]
	s_mov_b64 s[34:35], 0
	s_mov_b64 s[0:1], -1
	s_cmp_eq_u32 s39, 46
	s_mov_b64 s[30:31], 0
	s_cbranch_scc0 .LBB14_286
; %bb.268:
	v_cndmask_b32_e64 v2, 0, 1.0, s[26:27]
	v_bfe_u32 v3, v2, 16, 1
	s_movk_i32 s0, 0x7fff
	v_add3_u32 v2, v2, v3, s0
	v_lshrrev_b32_e32 v2, 16, v2
	global_store_dword v[0:1], v2, off
	s_mov_b64 s[30:31], -1
	s_mov_b64 s[0:1], 0
	s_branch .LBB14_286
.LBB14_269:
	s_mov_b64 s[26:27], -1
	s_mov_b64 s[0:1], 0
	s_mov_b64 s[24:25], s[20:21]
                                        ; implicit-def: $vgpr2
	s_branch .LBB14_421
.LBB14_270:
	s_mov_b64 s[34:35], -1
	s_mov_b64 s[30:31], 0
	s_mov_b64 s[0:1], s[18:19]
	s_branch .LBB14_355
.LBB14_271:
	s_mov_b64 s[26:27], -1
	s_mov_b64 s[0:1], 0
	s_mov_b64 s[24:25], s[20:21]
                                        ; implicit-def: $vgpr2
	s_branch .LBB14_404
.LBB14_272:
	s_mov_b64 s[34:35], -1
	s_mov_b64 s[30:31], 0
	s_mov_b64 s[0:1], s[18:19]
	s_branch .LBB14_313
.LBB14_273:
	s_mov_b64 s[26:27], -1
	s_mov_b64 s[0:1], 0
	s_mov_b64 s[24:25], s[20:21]
                                        ; implicit-def: $vgpr2
	s_branch .LBB14_399
.LBB14_274:
	s_mov_b64 s[34:35], -1
	s_mov_b64 s[30:31], 0
	s_mov_b64 s[0:1], s[18:19]
	s_branch .LBB14_296
.LBB14_275:
	s_andn2_saveexec_b64 s[30:31], s[30:31]
	s_cbranch_execz .LBB14_55
.LBB14_276:
	v_add_f32_e32 v2, 0x46000000, v3
	v_and_b32_e32 v2, 0xff, v2
	v_cmp_ne_u32_e32 vcc, 0, v2
	s_andn2_b64 s[28:29], s[28:29], exec
	s_and_b64 s[36:37], vcc, exec
	s_or_b64 s[28:29], s[28:29], s[36:37]
	s_or_b64 exec, exec, s[30:31]
	v_mov_b32_e32 v4, 0
	s_and_saveexec_b64 s[30:31], s[28:29]
	s_cbranch_execnz .LBB14_56
	s_branch .LBB14_57
.LBB14_277:
	s_mov_b64 s[26:27], -1
	s_mov_b64 s[0:1], 0
	s_mov_b64 s[24:25], s[20:21]
                                        ; implicit-def: $vgpr2
	s_branch .LBB14_282
.LBB14_278:
	s_mov_b64 s[34:35], -1
	s_mov_b64 s[30:31], 0
	s_mov_b64 s[0:1], s[18:19]
	s_branch .LBB14_292
.LBB14_279:
	s_andn2_saveexec_b64 s[30:31], s[30:31]
	s_cbranch_execz .LBB14_68
.LBB14_280:
	v_add_f32_e32 v2, 0x42800000, v3
	v_and_b32_e32 v2, 0xff, v2
	v_cmp_ne_u32_e32 vcc, 0, v2
	s_andn2_b64 s[28:29], s[28:29], exec
	s_and_b64 s[36:37], vcc, exec
	s_or_b64 s[28:29], s[28:29], s[36:37]
	s_or_b64 exec, exec, s[30:31]
	v_mov_b32_e32 v4, 0
	s_and_saveexec_b64 s[30:31], s[28:29]
	s_cbranch_execnz .LBB14_69
	s_branch .LBB14_70
.LBB14_281:
	s_mov_b64 s[24:25], -1
                                        ; implicit-def: $vgpr2
	s_mov_b64 s[0:1], 0
.LBB14_282:
	s_and_b64 vcc, exec, s[26:27]
	s_cbranch_vccz .LBB14_398
; %bb.283:
	s_cmp_eq_u32 s30, 44
	s_cbranch_scc0 .LBB14_397
; %bb.284:
	global_load_ubyte v2, v[0:1], off
	s_mov_b32 s0, 0x2f800000
	s_mov_b32 s1, 0xcf800000
	s_mov_b64 s[24:25], 0
	s_waitcnt vmcnt(0)
	v_lshlrev_b32_e32 v3, 23, v2
	v_trunc_f32_e32 v3, v3
	v_mul_f32_e64 v4, |v3|, s0
	v_floor_f32_e32 v4, v4
	v_fma_f32 v4, v4, s1, |v3|
	v_cvt_u32_f32_e32 v4, v4
	v_ashrrev_i32_e32 v3, 31, v3
	v_cmp_ne_u32_e32 vcc, 0, v2
	s_mov_b64 s[0:1], -1
	v_xor_b32_e32 v4, v4, v3
	v_sub_u32_e32 v3, v4, v3
	v_cndmask_b32_e32 v2, 0, v3, vcc
	s_branch .LBB14_398
.LBB14_285:
	s_mov_b64 s[34:35], -1
	s_mov_b64 s[30:31], 0
	s_mov_b64 s[0:1], s[18:19]
.LBB14_286:
	s_and_b64 vcc, exec, s[34:35]
	s_cbranch_vccz .LBB14_291
; %bb.287:
	s_cmp_eq_u32 s39, 44
	s_mov_b64 s[0:1], -1
	s_cbranch_scc0 .LBB14_291
; %bb.288:
	v_cndmask_b32_e64 v3, 0, 1.0, s[26:27]
	v_lshrrev_b32_e32 v2, 23, v3
	s_movk_i32 s0, 0xff
	v_cmp_ne_u32_e32 vcc, s0, v2
	v_mov_b32_e32 v4, 0xff
	s_and_saveexec_b64 s[30:31], vcc
; %bb.289:
	s_mov_b32 s0, 0x3fffff
	v_and_b32_e32 v4, 0x400000, v3
	v_and_or_b32 v3, v3, s0, v2
	v_cmp_ne_u32_e32 vcc, 0, v4
	v_cmp_ne_u32_e64 s[0:1], 0, v3
	s_and_b64 s[0:1], vcc, s[0:1]
	v_cndmask_b32_e64 v3, 0, 1, s[0:1]
	v_add_u32_e32 v4, v2, v3
; %bb.290:
	s_or_b64 exec, exec, s[30:31]
	s_mov_b64 s[30:31], -1
	s_mov_b64 s[0:1], 0
	global_store_byte v[0:1], v4, off
.LBB14_291:
	s_mov_b64 s[34:35], 0
.LBB14_292:
	s_and_b64 vcc, exec, s[34:35]
	s_cbranch_vccz .LBB14_295
; %bb.293:
	s_cmp_eq_u32 s39, 29
	s_mov_b64 s[0:1], -1
	s_cbranch_scc0 .LBB14_295
; %bb.294:
	s_mov_b32 s0, 0
	v_cndmask_b32_e64 v2, 0, 1, s[26:27]
	v_mov_b32_e32 v3, s0
	global_store_dwordx2 v[0:1], v[2:3], off
	s_mov_b64 s[30:31], -1
	s_mov_b64 s[0:1], 0
.LBB14_295:
	s_mov_b64 s[34:35], 0
.LBB14_296:
	s_and_b64 vcc, exec, s[34:35]
	s_cbranch_vccz .LBB14_312
; %bb.297:
	s_cmp_lt_i32 s39, 27
	s_mov_b64 s[30:31], -1
	s_cbranch_scc1 .LBB14_303
; %bb.298:
	s_cmp_gt_i32 s39, 27
	s_cbranch_scc0 .LBB14_300
; %bb.299:
	v_cndmask_b32_e64 v2, 0, 1, s[26:27]
	s_mov_b64 s[30:31], 0
	global_store_dword v[0:1], v2, off
.LBB14_300:
	s_andn2_b64 vcc, exec, s[30:31]
	s_cbranch_vccnz .LBB14_302
; %bb.301:
	v_cndmask_b32_e64 v2, 0, 1, s[26:27]
	global_store_short v[0:1], v2, off
.LBB14_302:
	s_mov_b64 s[30:31], 0
.LBB14_303:
	s_andn2_b64 vcc, exec, s[30:31]
	s_cbranch_vccnz .LBB14_311
; %bb.304:
	v_cndmask_b32_e64 v3, 0, 1.0, s[26:27]
	s_mov_b32 s30, 0x43800000
	v_cmp_gt_u32_e32 vcc, s30, v3
	v_mov_b32_e32 v4, 0x80
	s_and_saveexec_b64 s[30:31], vcc
	s_cbranch_execz .LBB14_310
; %bb.305:
	s_mov_b32 s34, 0x3bffffff
	v_cmp_lt_u32_e32 vcc, s34, v3
	s_mov_b64 s[34:35], 0
                                        ; implicit-def: $vgpr2
	s_and_saveexec_b64 s[36:37], vcc
	s_xor_b64 s[36:37], exec, s[36:37]
	s_cbranch_execz .LBB14_518
; %bb.306:
	v_bfe_u32 v2, v3, 20, 1
	s_mov_b32 s40, 0x487ffff
	v_add3_u32 v2, v3, v2, s40
	s_mov_b64 s[34:35], exec
	v_lshrrev_b32_e32 v2, 20, v2
                                        ; implicit-def: $vgpr3
	s_andn2_saveexec_b64 s[36:37], s[36:37]
	s_cbranch_execnz .LBB14_519
.LBB14_307:
	s_or_b64 exec, exec, s[36:37]
	v_mov_b32_e32 v4, 0
	s_and_saveexec_b64 s[36:37], s[34:35]
.LBB14_308:
	v_mov_b32_e32 v4, v2
.LBB14_309:
	s_or_b64 exec, exec, s[36:37]
.LBB14_310:
	s_or_b64 exec, exec, s[30:31]
	global_store_byte v[0:1], v4, off
.LBB14_311:
	s_mov_b64 s[30:31], -1
.LBB14_312:
	s_mov_b64 s[34:35], 0
.LBB14_313:
	s_and_b64 vcc, exec, s[34:35]
	s_cbranch_vccz .LBB14_354
; %bb.314:
	s_cmp_gt_i32 s39, 22
	s_mov_b64 s[34:35], -1
	s_cbranch_scc0 .LBB14_346
; %bb.315:
	s_cmp_lt_i32 s39, 24
	s_mov_b64 s[30:31], -1
	s_cbranch_scc1 .LBB14_335
; %bb.316:
	s_cmp_gt_i32 s39, 24
	s_cbranch_scc0 .LBB14_324
; %bb.317:
	v_cndmask_b32_e64 v3, 0, 1.0, s[26:27]
	s_mov_b32 s30, 0x47800000
	v_cmp_gt_u32_e32 vcc, s30, v3
	v_mov_b32_e32 v4, 0x80
	s_and_saveexec_b64 s[30:31], vcc
	s_cbranch_execz .LBB14_323
; %bb.318:
	s_mov_b32 s34, 0x37ffffff
	v_cmp_lt_u32_e32 vcc, s34, v3
	s_mov_b64 s[34:35], 0
                                        ; implicit-def: $vgpr2
	s_and_saveexec_b64 s[36:37], vcc
	s_xor_b64 s[36:37], exec, s[36:37]
	s_cbranch_execz .LBB14_521
; %bb.319:
	v_bfe_u32 v2, v3, 21, 1
	s_mov_b32 s40, 0x88fffff
	v_add3_u32 v2, v3, v2, s40
	s_mov_b64 s[34:35], exec
	v_lshrrev_b32_e32 v2, 21, v2
                                        ; implicit-def: $vgpr3
	s_andn2_saveexec_b64 s[36:37], s[36:37]
	s_cbranch_execnz .LBB14_522
.LBB14_320:
	s_or_b64 exec, exec, s[36:37]
	v_mov_b32_e32 v4, 0
	s_and_saveexec_b64 s[36:37], s[34:35]
.LBB14_321:
	v_mov_b32_e32 v4, v2
.LBB14_322:
	s_or_b64 exec, exec, s[36:37]
.LBB14_323:
	s_or_b64 exec, exec, s[30:31]
	s_mov_b64 s[30:31], 0
	global_store_byte v[0:1], v4, off
.LBB14_324:
	s_and_b64 vcc, exec, s[30:31]
	s_cbranch_vccz .LBB14_334
; %bb.325:
	v_cndmask_b32_e64 v2, 0, 1.0, s[26:27]
	s_mov_b32 s30, 0x43f00000
	v_cmp_gt_u32_e32 vcc, s30, v2
                                        ; implicit-def: $vgpr3
	s_and_saveexec_b64 s[30:31], vcc
	s_xor_b64 s[30:31], exec, s[30:31]
	s_cbranch_execz .LBB14_331
; %bb.326:
	s_mov_b32 s34, 0x3c7fffff
	v_cmp_lt_u32_e32 vcc, s34, v2
                                        ; implicit-def: $vgpr3
	s_and_saveexec_b64 s[34:35], vcc
	s_xor_b64 s[34:35], exec, s[34:35]
; %bb.327:
	v_bfe_u32 v3, v2, 20, 1
	s_mov_b32 s36, 0x407ffff
	v_add3_u32 v2, v2, v3, s36
	v_lshrrev_b32_e32 v3, 20, v2
	v_and_b32_e32 v2, 0xff00000, v2
	s_mov_b32 s36, 0x7f00000
	v_mov_b32_e32 v4, 0x7e
	v_cmp_ne_u32_e32 vcc, s36, v2
	v_cndmask_b32_e32 v3, v4, v3, vcc
                                        ; implicit-def: $vgpr2
; %bb.328:
	s_andn2_saveexec_b64 s[34:35], s[34:35]
; %bb.329:
	v_add_f32_e32 v3, 0x46800000, v2
; %bb.330:
	s_or_b64 exec, exec, s[34:35]
                                        ; implicit-def: $vgpr2
.LBB14_331:
	s_andn2_saveexec_b64 s[30:31], s[30:31]
; %bb.332:
	s_mov_b32 s34, 0x7f800000
	v_mov_b32_e32 v3, 0x7e
	v_mov_b32_e32 v4, 0x7f
	v_cmp_lt_u32_e32 vcc, s34, v2
	v_cndmask_b32_e32 v3, v3, v4, vcc
; %bb.333:
	s_or_b64 exec, exec, s[30:31]
	global_store_byte v[0:1], v3, off
.LBB14_334:
	s_mov_b64 s[30:31], 0
.LBB14_335:
	s_andn2_b64 vcc, exec, s[30:31]
	s_cbranch_vccnz .LBB14_345
; %bb.336:
	v_cndmask_b32_e64 v2, 0, 1.0, s[26:27]
	s_mov_b32 s30, 0x47800000
	v_cmp_gt_u32_e32 vcc, s30, v2
                                        ; implicit-def: $vgpr3
	s_and_saveexec_b64 s[30:31], vcc
	s_xor_b64 s[30:31], exec, s[30:31]
	s_cbranch_execz .LBB14_342
; %bb.337:
	s_mov_b32 s34, 0x387fffff
	v_cmp_lt_u32_e32 vcc, s34, v2
                                        ; implicit-def: $vgpr3
	s_and_saveexec_b64 s[34:35], vcc
	s_xor_b64 s[34:35], exec, s[34:35]
; %bb.338:
	v_bfe_u32 v3, v2, 21, 1
	s_mov_b32 s36, 0x80fffff
	v_add3_u32 v2, v2, v3, s36
	v_lshrrev_b32_e32 v3, 21, v2
                                        ; implicit-def: $vgpr2
; %bb.339:
	s_andn2_saveexec_b64 s[34:35], s[34:35]
; %bb.340:
	v_add_f32_e32 v3, 0x43000000, v2
; %bb.341:
	s_or_b64 exec, exec, s[34:35]
                                        ; implicit-def: $vgpr2
.LBB14_342:
	s_andn2_saveexec_b64 s[30:31], s[30:31]
; %bb.343:
	s_mov_b32 s34, 0x7f800000
	v_mov_b32_e32 v3, 0x7c
	v_mov_b32_e32 v4, 0x7f
	v_cmp_lt_u32_e32 vcc, s34, v2
	v_cndmask_b32_e32 v3, v3, v4, vcc
; %bb.344:
	s_or_b64 exec, exec, s[30:31]
	global_store_byte v[0:1], v3, off
.LBB14_345:
	s_mov_b64 s[34:35], 0
	s_mov_b64 s[30:31], -1
.LBB14_346:
	s_andn2_b64 vcc, exec, s[34:35]
	s_cbranch_vccnz .LBB14_354
; %bb.347:
	s_cmp_gt_i32 s39, 14
	s_mov_b64 s[34:35], -1
	s_cbranch_scc0 .LBB14_351
; %bb.348:
	s_cmp_eq_u32 s39, 15
	s_mov_b64 s[0:1], -1
	s_cbranch_scc0 .LBB14_350
; %bb.349:
	v_cndmask_b32_e64 v2, 0, 1.0, s[26:27]
	v_bfe_u32 v3, v2, 16, 1
	s_movk_i32 s0, 0x7fff
	v_add3_u32 v2, v2, v3, s0
	global_store_short_d16_hi v[0:1], v2, off
	s_mov_b64 s[30:31], -1
	s_mov_b64 s[0:1], 0
.LBB14_350:
	s_mov_b64 s[34:35], 0
.LBB14_351:
	s_and_b64 vcc, exec, s[34:35]
	s_cbranch_vccz .LBB14_354
; %bb.352:
	s_cmp_eq_u32 s39, 11
	s_mov_b64 s[0:1], -1
	s_cbranch_scc0 .LBB14_354
; %bb.353:
	v_cndmask_b32_e64 v2, 0, 1, s[26:27]
	s_mov_b64 s[30:31], -1
	s_mov_b64 s[0:1], 0
	global_store_byte v[0:1], v2, off
.LBB14_354:
	s_mov_b64 s[34:35], 0
.LBB14_355:
	s_and_b64 vcc, exec, s[34:35]
	s_cbranch_vccz .LBB14_394
; %bb.356:
	s_and_b32 s34, 0xffff, s38
	s_cmp_lt_i32 s34, 5
	s_mov_b64 s[30:31], -1
	s_cbranch_scc1 .LBB14_377
; %bb.357:
	s_cmp_lt_i32 s34, 8
	s_cbranch_scc1 .LBB14_367
; %bb.358:
	s_cmp_lt_i32 s34, 9
	s_cbranch_scc1 .LBB14_364
; %bb.359:
	s_cmp_gt_i32 s34, 9
	s_cbranch_scc0 .LBB14_361
; %bb.360:
	v_cndmask_b32_e64 v2, 0, 1, s[26:27]
	v_cvt_f64_u32_e32 v[2:3], v2
	v_mov_b32_e32 v4, 0
	v_mov_b32_e32 v5, v4
	s_mov_b64 s[30:31], 0
	global_store_dwordx4 v[0:1], v[2:5], off
.LBB14_361:
	s_andn2_b64 vcc, exec, s[30:31]
	s_cbranch_vccnz .LBB14_363
; %bb.362:
	v_cndmask_b32_e64 v2, 0, 1.0, s[26:27]
	v_mov_b32_e32 v3, 0
	global_store_dwordx2 v[0:1], v[2:3], off
.LBB14_363:
	s_mov_b64 s[30:31], 0
.LBB14_364:
	s_andn2_b64 vcc, exec, s[30:31]
	s_cbranch_vccnz .LBB14_366
; %bb.365:
	v_cndmask_b32_e64 v2, 0, 1.0, s[26:27]
	v_cvt_f16_f32_e32 v2, v2
	global_store_dword v[0:1], v2, off
.LBB14_366:
	s_mov_b64 s[30:31], 0
.LBB14_367:
	s_andn2_b64 vcc, exec, s[30:31]
	s_cbranch_vccnz .LBB14_376
; %bb.368:
	s_cmp_lt_i32 s34, 6
	s_mov_b64 s[30:31], -1
	s_cbranch_scc1 .LBB14_374
; %bb.369:
	s_cmp_gt_i32 s34, 6
	s_cbranch_scc0 .LBB14_371
; %bb.370:
	v_cndmask_b32_e64 v2, 0, 1, s[26:27]
	v_cvt_f64_u32_e32 v[2:3], v2
	s_mov_b64 s[30:31], 0
	global_store_dwordx2 v[0:1], v[2:3], off
.LBB14_371:
	s_andn2_b64 vcc, exec, s[30:31]
	s_cbranch_vccnz .LBB14_373
; %bb.372:
	v_cndmask_b32_e64 v2, 0, 1.0, s[26:27]
	global_store_dword v[0:1], v2, off
.LBB14_373:
	s_mov_b64 s[30:31], 0
.LBB14_374:
	s_andn2_b64 vcc, exec, s[30:31]
	s_cbranch_vccnz .LBB14_376
; %bb.375:
	v_cndmask_b32_e64 v2, 0, 1.0, s[26:27]
	v_cvt_f16_f32_e32 v2, v2
	global_store_short v[0:1], v2, off
.LBB14_376:
	s_mov_b64 s[30:31], 0
.LBB14_377:
	s_andn2_b64 vcc, exec, s[30:31]
	s_cbranch_vccnz .LBB14_393
; %bb.378:
	s_cmp_lt_i32 s34, 2
	s_mov_b64 s[30:31], -1
	s_cbranch_scc1 .LBB14_388
; %bb.379:
	s_cmp_lt_i32 s34, 3
	s_cbranch_scc1 .LBB14_385
; %bb.380:
	s_cmp_gt_i32 s34, 3
	s_cbranch_scc0 .LBB14_382
; %bb.381:
	s_mov_b32 s30, 0
	v_cndmask_b32_e64 v2, 0, 1, s[26:27]
	v_mov_b32_e32 v3, s30
	s_mov_b64 s[30:31], 0
	global_store_dwordx2 v[0:1], v[2:3], off
.LBB14_382:
	s_andn2_b64 vcc, exec, s[30:31]
	s_cbranch_vccnz .LBB14_384
; %bb.383:
	v_cndmask_b32_e64 v2, 0, 1, s[26:27]
	global_store_dword v[0:1], v2, off
.LBB14_384:
	s_mov_b64 s[30:31], 0
.LBB14_385:
	s_andn2_b64 vcc, exec, s[30:31]
	s_cbranch_vccnz .LBB14_387
; %bb.386:
	v_cndmask_b32_e64 v2, 0, 1, s[26:27]
	global_store_short v[0:1], v2, off
.LBB14_387:
	s_mov_b64 s[30:31], 0
.LBB14_388:
	s_andn2_b64 vcc, exec, s[30:31]
	s_cbranch_vccnz .LBB14_393
; %bb.389:
	s_mov_b64 s[30:31], -1
	s_cmp_gt_i32 s34, 0
	v_cndmask_b32_e64 v2, 0, 1, s[26:27]
	s_cbranch_scc0 .LBB14_391
; %bb.390:
	s_mov_b64 s[30:31], 0
	global_store_byte v[0:1], v2, off
.LBB14_391:
	s_andn2_b64 vcc, exec, s[30:31]
	s_cbranch_vccnz .LBB14_393
; %bb.392:
	global_store_byte v[0:1], v2, off
.LBB14_393:
	s_mov_b64 s[30:31], -1
.LBB14_394:
	s_andn2_b64 vcc, exec, s[30:31]
	s_cbranch_vccnz .LBB14_396
; %bb.395:
	v_add_u32_e32 v7, 0x80, v7
	s_mov_b64 s[30:31], -1
	s_branch .LBB14_504
.LBB14_396:
	s_mov_b64 s[30:31], 0
                                        ; implicit-def: $vgpr7
	s_branch .LBB14_504
.LBB14_397:
	s_mov_b64 s[24:25], -1
                                        ; implicit-def: $vgpr2
.LBB14_398:
	s_mov_b64 s[26:27], 0
.LBB14_399:
	s_and_b64 vcc, exec, s[26:27]
	s_cbranch_vccz .LBB14_403
; %bb.400:
	s_cmp_eq_u32 s30, 29
	s_cbranch_scc0 .LBB14_402
; %bb.401:
	global_load_dwordx2 v[2:3], v[0:1], off
	s_mov_b64 s[0:1], -1
	s_mov_b64 s[24:25], 0
	s_branch .LBB14_403
.LBB14_402:
	s_mov_b64 s[24:25], -1
                                        ; implicit-def: $vgpr2
.LBB14_403:
	s_mov_b64 s[26:27], 0
.LBB14_404:
	s_and_b64 vcc, exec, s[26:27]
	s_cbranch_vccz .LBB14_420
; %bb.405:
	s_cmp_lt_i32 s30, 27
	s_cbranch_scc1 .LBB14_408
; %bb.406:
	s_cmp_gt_i32 s30, 27
	s_cbranch_scc0 .LBB14_409
; %bb.407:
	global_load_dword v2, v[0:1], off
	s_mov_b64 s[0:1], 0
	s_branch .LBB14_410
.LBB14_408:
	s_mov_b64 s[0:1], -1
                                        ; implicit-def: $vgpr2
	s_branch .LBB14_413
.LBB14_409:
	s_mov_b64 s[0:1], -1
                                        ; implicit-def: $vgpr2
.LBB14_410:
	s_andn2_b64 vcc, exec, s[0:1]
	s_cbranch_vccnz .LBB14_412
; %bb.411:
	global_load_ushort v2, v[0:1], off
.LBB14_412:
	s_mov_b64 s[0:1], 0
.LBB14_413:
	s_andn2_b64 vcc, exec, s[0:1]
	s_cbranch_vccnz .LBB14_419
; %bb.414:
	global_load_ubyte v3, v[0:1], off
	s_movk_i32 s0, 0x7f
	s_mov_b64 s[26:27], 0
	s_waitcnt vmcnt(0)
	v_cmp_lt_i16_e32 vcc, s0, v3
	s_and_saveexec_b64 s[0:1], vcc
	s_xor_b64 s[0:1], exec, s[0:1]
	s_cbranch_execz .LBB14_431
; %bb.415:
	s_movk_i32 s26, 0x80
	v_cmp_ne_u16_e32 vcc, s26, v3
	s_and_b64 s[26:27], vcc, exec
	s_andn2_saveexec_b64 s[0:1], s[0:1]
	s_cbranch_execnz .LBB14_432
.LBB14_416:
	s_or_b64 exec, exec, s[0:1]
	v_mov_b32_e32 v2, 0
	s_and_saveexec_b64 s[0:1], s[26:27]
	s_cbranch_execz .LBB14_418
.LBB14_417:
	v_lshlrev_b32_e32 v2, 24, v3
	v_and_b32_e32 v3, 0xffff, v3
	v_and_b32_e32 v4, 7, v3
	v_ffbh_u32_e32 v6, v4
	v_min_u32_e32 v6, 32, v6
	v_subrev_u32_e32 v8, 28, v6
	v_bfe_u32 v5, v3, 3, 4
	v_lshlrev_b32_e32 v3, v8, v3
	v_sub_u32_e32 v6, 29, v6
	v_and_b32_e32 v3, 7, v3
	v_cmp_eq_u32_e32 vcc, 0, v5
	v_cndmask_b32_e32 v5, v5, v6, vcc
	v_cndmask_b32_e32 v3, v4, v3, vcc
	v_mov_b32_e32 v4, 0x3b800000
	v_lshlrev_b32_e32 v3, 20, v3
	v_and_b32_e32 v2, 0x80000000, v2
	v_lshl_add_u32 v4, v5, 23, v4
	v_or3_b32 v2, v2, v4, v3
	v_trunc_f32_e32 v2, v2
	s_mov_b32 s26, 0x2f800000
	v_mul_f32_e64 v3, |v2|, s26
	v_floor_f32_e32 v3, v3
	s_mov_b32 s26, 0xcf800000
	v_fma_f32 v3, v3, s26, |v2|
	v_cvt_u32_f32_e32 v3, v3
	v_ashrrev_i32_e32 v2, 31, v2
	v_xor_b32_e32 v3, v3, v2
	v_sub_u32_e32 v2, v3, v2
.LBB14_418:
	s_or_b64 exec, exec, s[0:1]
.LBB14_419:
	s_mov_b64 s[0:1], -1
.LBB14_420:
	s_mov_b64 s[26:27], 0
.LBB14_421:
	s_and_b64 vcc, exec, s[26:27]
	s_cbranch_vccz .LBB14_454
; %bb.422:
	s_cmp_gt_i32 s30, 22
	s_cbranch_scc0 .LBB14_430
; %bb.423:
	s_cmp_lt_i32 s30, 24
	s_cbranch_scc1 .LBB14_433
; %bb.424:
	s_cmp_gt_i32 s30, 24
	s_cbranch_scc0 .LBB14_434
; %bb.425:
	global_load_ubyte v3, v[0:1], off
	s_movk_i32 s0, 0x7f
	s_mov_b64 s[26:27], 0
	s_waitcnt vmcnt(0)
	v_cmp_lt_i16_e32 vcc, s0, v3
	s_and_saveexec_b64 s[0:1], vcc
	s_xor_b64 s[0:1], exec, s[0:1]
	s_cbranch_execz .LBB14_446
; %bb.426:
	s_movk_i32 s26, 0x80
	v_cmp_ne_u16_e32 vcc, s26, v3
	s_and_b64 s[26:27], vcc, exec
	s_andn2_saveexec_b64 s[0:1], s[0:1]
	s_cbranch_execnz .LBB14_447
.LBB14_427:
	s_or_b64 exec, exec, s[0:1]
	v_mov_b32_e32 v2, 0
	s_and_saveexec_b64 s[0:1], s[26:27]
	s_cbranch_execz .LBB14_429
.LBB14_428:
	v_lshlrev_b32_e32 v2, 24, v3
	v_and_b32_e32 v3, 0xffff, v3
	v_and_b32_e32 v4, 3, v3
	v_ffbh_u32_e32 v6, v4
	v_min_u32_e32 v6, 32, v6
	v_subrev_u32_e32 v8, 29, v6
	v_bfe_u32 v5, v3, 2, 5
	v_lshlrev_b32_e32 v3, v8, v3
	v_sub_u32_e32 v6, 30, v6
	v_and_b32_e32 v3, 3, v3
	v_cmp_eq_u32_e32 vcc, 0, v5
	v_cndmask_b32_e32 v5, v5, v6, vcc
	v_cndmask_b32_e32 v3, v4, v3, vcc
	v_mov_b32_e32 v4, 0x37800000
	v_lshlrev_b32_e32 v3, 21, v3
	v_and_b32_e32 v2, 0x80000000, v2
	v_lshl_add_u32 v4, v5, 23, v4
	v_or3_b32 v2, v2, v4, v3
	v_trunc_f32_e32 v2, v2
	s_mov_b32 s26, 0x2f800000
	v_mul_f32_e64 v3, |v2|, s26
	v_floor_f32_e32 v3, v3
	s_mov_b32 s26, 0xcf800000
	v_fma_f32 v3, v3, s26, |v2|
	v_cvt_u32_f32_e32 v3, v3
	v_ashrrev_i32_e32 v2, 31, v2
	v_xor_b32_e32 v3, v3, v2
	v_sub_u32_e32 v2, v3, v2
.LBB14_429:
	s_or_b64 exec, exec, s[0:1]
	s_mov_b64 s[0:1], 0
	s_branch .LBB14_435
.LBB14_430:
	s_mov_b64 s[26:27], -1
                                        ; implicit-def: $vgpr2
	s_branch .LBB14_441
.LBB14_431:
	s_andn2_saveexec_b64 s[0:1], s[0:1]
	s_cbranch_execz .LBB14_416
.LBB14_432:
	v_cmp_ne_u16_e32 vcc, 0, v3
	s_andn2_b64 s[26:27], s[26:27], exec
	s_and_b64 s[34:35], vcc, exec
	s_or_b64 s[26:27], s[26:27], s[34:35]
	s_or_b64 exec, exec, s[0:1]
	v_mov_b32_e32 v2, 0
	s_and_saveexec_b64 s[0:1], s[26:27]
	s_cbranch_execnz .LBB14_417
	s_branch .LBB14_418
.LBB14_433:
	s_mov_b64 s[0:1], -1
                                        ; implicit-def: $vgpr2
	s_branch .LBB14_438
.LBB14_434:
	s_mov_b64 s[0:1], -1
                                        ; implicit-def: $vgpr2
.LBB14_435:
	s_and_b64 vcc, exec, s[0:1]
	s_cbranch_vccz .LBB14_437
; %bb.436:
	global_load_ubyte v2, v[0:1], off
	s_mov_b32 s0, 0x7f800000
	s_brev_b32 s1, 1
	s_mov_b32 s26, 0x2f800000
	s_waitcnt vmcnt(0)
	v_lshlrev_b32_e32 v2, 24, v2
	v_and_b32_e32 v3, 0x7f000000, v2
	v_ffbh_u32_e32 v4, v3
	v_min_u32_e32 v4, 32, v4
	v_sub_u32_e64 v4, v4, 4 clamp
	v_lshlrev_b32_e32 v6, v4, v3
	v_lshlrev_b32_e32 v4, 23, v4
	v_lshrrev_b32_e32 v6, 4, v6
	v_add_u32_e32 v5, 0x1000000, v3
	v_sub_u32_e32 v4, v6, v4
	v_ashrrev_i32_e32 v5, 8, v5
	v_add_u32_e32 v4, 0x3c000000, v4
	v_and_or_b32 v4, v5, s0, v4
	v_cmp_ne_u32_e32 vcc, 0, v3
	v_cndmask_b32_e32 v3, 0, v4, vcc
	v_and_or_b32 v2, v2, s1, v3
	v_trunc_f32_e32 v2, v2
	v_mul_f32_e64 v3, |v2|, s26
	v_floor_f32_e32 v3, v3
	s_mov_b32 s0, 0xcf800000
	v_fma_f32 v3, v3, s0, |v2|
	v_cvt_u32_f32_e32 v3, v3
	v_ashrrev_i32_e32 v2, 31, v2
	v_xor_b32_e32 v3, v3, v2
	v_sub_u32_e32 v2, v3, v2
.LBB14_437:
	s_mov_b64 s[0:1], 0
.LBB14_438:
	s_andn2_b64 vcc, exec, s[0:1]
	s_cbranch_vccnz .LBB14_440
; %bb.439:
	global_load_ubyte v2, v[0:1], off
	s_movk_i32 s0, 0x7f00
	s_brev_b32 s1, 16
	s_brev_b32 s26, 1
	s_mov_b32 s27, 0x2f800000
	s_waitcnt vmcnt(0)
	v_lshlrev_b16_e32 v3, 8, v2
	v_lshlrev_b32_e32 v2, 25, v2
	v_lshrrev_b32_e32 v4, 4, v2
	v_and_or_b32 v5, v3, s0, 0.5
	v_or_b32_e32 v4, 0x70000000, v4
	v_add_f32_e32 v5, -0.5, v5
	v_mul_f32_e32 v4, 0x7800000, v4
	v_cmp_gt_u32_e32 vcc, s1, v2
	v_bfe_i32 v3, v3, 0, 16
	v_cndmask_b32_e32 v2, v4, v5, vcc
	v_and_or_b32 v2, v3, s26, v2
	v_trunc_f32_e32 v2, v2
	v_mul_f32_e64 v3, |v2|, s27
	v_floor_f32_e32 v3, v3
	s_mov_b32 s0, 0xcf800000
	v_fma_f32 v3, v3, s0, |v2|
	v_cvt_u32_f32_e32 v3, v3
	v_ashrrev_i32_e32 v2, 31, v2
	v_xor_b32_e32 v3, v3, v2
	v_sub_u32_e32 v2, v3, v2
.LBB14_440:
	s_mov_b64 s[26:27], 0
	s_mov_b64 s[0:1], -1
.LBB14_441:
	s_andn2_b64 vcc, exec, s[26:27]
	s_cbranch_vccnz .LBB14_454
; %bb.442:
	s_cmp_gt_i32 s30, 14
	s_cbranch_scc0 .LBB14_445
; %bb.443:
	s_cmp_eq_u32 s30, 15
	s_cbranch_scc0 .LBB14_448
; %bb.444:
	global_load_ushort v2, v[0:1], off
	s_mov_b32 s0, 0x2f800000
	s_mov_b32 s1, 0xcf800000
	s_mov_b64 s[24:25], 0
	s_waitcnt vmcnt(0)
	v_lshlrev_b32_e32 v2, 16, v2
	v_trunc_f32_e32 v2, v2
	v_mul_f32_e64 v3, |v2|, s0
	v_floor_f32_e32 v3, v3
	v_fma_f32 v3, v3, s1, |v2|
	v_cvt_u32_f32_e32 v3, v3
	v_ashrrev_i32_e32 v2, 31, v2
	s_mov_b64 s[0:1], -1
	v_xor_b32_e32 v3, v3, v2
	v_sub_u32_e32 v2, v3, v2
	s_branch .LBB14_449
.LBB14_445:
	s_mov_b64 s[26:27], -1
                                        ; implicit-def: $vgpr2
	s_branch .LBB14_450
.LBB14_446:
	s_andn2_saveexec_b64 s[0:1], s[0:1]
	s_cbranch_execz .LBB14_427
.LBB14_447:
	v_cmp_ne_u16_e32 vcc, 0, v3
	s_andn2_b64 s[26:27], s[26:27], exec
	s_and_b64 s[34:35], vcc, exec
	s_or_b64 s[26:27], s[26:27], s[34:35]
	s_or_b64 exec, exec, s[0:1]
	v_mov_b32_e32 v2, 0
	s_and_saveexec_b64 s[0:1], s[26:27]
	s_cbranch_execnz .LBB14_428
	s_branch .LBB14_429
.LBB14_448:
	s_mov_b64 s[24:25], -1
                                        ; implicit-def: $vgpr2
.LBB14_449:
	s_mov_b64 s[26:27], 0
.LBB14_450:
	s_and_b64 vcc, exec, s[26:27]
	s_cbranch_vccz .LBB14_454
; %bb.451:
	s_cmp_eq_u32 s30, 11
	s_cbranch_scc0 .LBB14_453
; %bb.452:
	global_load_ubyte v2, v[0:1], off
	s_mov_b64 s[0:1], -1
	s_mov_b64 s[24:25], 0
	s_waitcnt vmcnt(0)
	v_cmp_ne_u16_e32 vcc, 0, v2
	v_cndmask_b32_e64 v2, 0, 1, vcc
	s_branch .LBB14_454
.LBB14_453:
	s_mov_b64 s[24:25], -1
                                        ; implicit-def: $vgpr2
.LBB14_454:
	s_branch .LBB14_261
.LBB14_455:
	s_cmp_lt_i32 s30, 5
	s_cbranch_scc1 .LBB14_460
; %bb.456:
	s_cmp_lt_i32 s30, 8
	s_cbranch_scc1 .LBB14_461
; %bb.457:
	;; [unrolled: 3-line block ×3, first 2 shown]
	s_cmp_gt_i32 s30, 9
	s_cbranch_scc0 .LBB14_463
; %bb.459:
	global_load_dwordx2 v[2:3], v[0:1], off
	s_movk_i32 s0, 0xffe0
	s_waitcnt vmcnt(0)
	v_trunc_f64_e32 v[2:3], v[2:3]
	v_ldexp_f64 v[4:5], v[2:3], s0
	s_mov_b32 s0, 0
	s_mov_b32 s1, 0xc1f00000
	v_floor_f64_e32 v[4:5], v[4:5]
	v_fma_f64 v[2:3], v[4:5], s[0:1], v[2:3]
	s_mov_b64 s[0:1], 0
	v_cvt_u32_f64_e32 v2, v[2:3]
	s_branch .LBB14_464
.LBB14_460:
	s_mov_b64 s[0:1], -1
                                        ; implicit-def: $vgpr2
	s_branch .LBB14_482
.LBB14_461:
	s_mov_b64 s[0:1], -1
                                        ; implicit-def: $vgpr2
	s_branch .LBB14_470
.LBB14_462:
	s_mov_b64 s[0:1], -1
                                        ; implicit-def: $vgpr2
	s_branch .LBB14_467
.LBB14_463:
	s_mov_b64 s[0:1], -1
                                        ; implicit-def: $vgpr2
.LBB14_464:
	s_andn2_b64 vcc, exec, s[0:1]
	s_cbranch_vccnz .LBB14_466
; %bb.465:
	global_load_dword v2, v[0:1], off
	s_mov_b32 s0, 0x2f800000
	s_waitcnt vmcnt(0)
	v_trunc_f32_e32 v2, v2
	v_mul_f32_e64 v3, |v2|, s0
	v_floor_f32_e32 v3, v3
	s_mov_b32 s0, 0xcf800000
	v_fma_f32 v3, v3, s0, |v2|
	v_cvt_u32_f32_e32 v3, v3
	v_ashrrev_i32_e32 v2, 31, v2
	v_xor_b32_e32 v3, v3, v2
	v_sub_u32_e32 v2, v3, v2
.LBB14_466:
	s_mov_b64 s[0:1], 0
.LBB14_467:
	s_andn2_b64 vcc, exec, s[0:1]
	s_cbranch_vccnz .LBB14_469
; %bb.468:
	global_load_dword v2, v[0:1], off
	s_waitcnt vmcnt(0)
	v_cvt_f32_f16_e32 v2, v2
	v_cvt_i32_f32_e32 v2, v2
.LBB14_469:
	s_mov_b64 s[0:1], 0
.LBB14_470:
	s_andn2_b64 vcc, exec, s[0:1]
	s_cbranch_vccnz .LBB14_481
; %bb.471:
	s_cmp_lt_i32 s30, 6
	s_cbranch_scc1 .LBB14_474
; %bb.472:
	s_cmp_gt_i32 s30, 6
	s_cbranch_scc0 .LBB14_475
; %bb.473:
	global_load_dwordx2 v[2:3], v[0:1], off
	s_movk_i32 s0, 0xffe0
	s_waitcnt vmcnt(0)
	v_trunc_f64_e32 v[2:3], v[2:3]
	v_ldexp_f64 v[4:5], v[2:3], s0
	s_mov_b32 s0, 0
	s_mov_b32 s1, 0xc1f00000
	v_floor_f64_e32 v[4:5], v[4:5]
	v_fma_f64 v[2:3], v[4:5], s[0:1], v[2:3]
	s_mov_b64 s[0:1], 0
	v_cvt_u32_f64_e32 v2, v[2:3]
	s_branch .LBB14_476
.LBB14_474:
	s_mov_b64 s[0:1], -1
                                        ; implicit-def: $vgpr2
	s_branch .LBB14_479
.LBB14_475:
	s_mov_b64 s[0:1], -1
                                        ; implicit-def: $vgpr2
.LBB14_476:
	s_andn2_b64 vcc, exec, s[0:1]
	s_cbranch_vccnz .LBB14_478
; %bb.477:
	global_load_dword v2, v[0:1], off
	s_mov_b32 s0, 0x2f800000
	s_waitcnt vmcnt(0)
	v_trunc_f32_e32 v2, v2
	v_mul_f32_e64 v3, |v2|, s0
	v_floor_f32_e32 v3, v3
	s_mov_b32 s0, 0xcf800000
	v_fma_f32 v3, v3, s0, |v2|
	v_cvt_u32_f32_e32 v3, v3
	v_ashrrev_i32_e32 v2, 31, v2
	v_xor_b32_e32 v3, v3, v2
	v_sub_u32_e32 v2, v3, v2
.LBB14_478:
	s_mov_b64 s[0:1], 0
.LBB14_479:
	s_andn2_b64 vcc, exec, s[0:1]
	s_cbranch_vccnz .LBB14_481
; %bb.480:
	global_load_ushort v2, v[0:1], off
	s_waitcnt vmcnt(0)
	v_cvt_f32_f16_e32 v2, v2
	v_cvt_i32_f32_e32 v2, v2
.LBB14_481:
	s_mov_b64 s[0:1], 0
.LBB14_482:
	s_andn2_b64 vcc, exec, s[0:1]
	s_cbranch_vccnz .LBB14_502
; %bb.483:
	s_cmp_lt_i32 s30, 2
	s_cbranch_scc1 .LBB14_487
; %bb.484:
	s_cmp_lt_i32 s30, 3
	s_cbranch_scc1 .LBB14_488
; %bb.485:
	s_cmp_gt_i32 s30, 3
	s_cbranch_scc0 .LBB14_489
; %bb.486:
	global_load_dwordx2 v[2:3], v[0:1], off
	s_mov_b64 s[0:1], 0
	s_branch .LBB14_490
.LBB14_487:
	s_mov_b64 s[0:1], -1
                                        ; implicit-def: $vgpr2
	s_branch .LBB14_496
.LBB14_488:
	s_mov_b64 s[0:1], -1
                                        ; implicit-def: $vgpr2
	s_branch .LBB14_493
.LBB14_489:
	s_mov_b64 s[0:1], -1
                                        ; implicit-def: $vgpr2
.LBB14_490:
	s_andn2_b64 vcc, exec, s[0:1]
	s_cbranch_vccnz .LBB14_492
; %bb.491:
	global_load_dword v2, v[0:1], off
.LBB14_492:
	s_mov_b64 s[0:1], 0
.LBB14_493:
	s_andn2_b64 vcc, exec, s[0:1]
	s_cbranch_vccnz .LBB14_495
; %bb.494:
	global_load_ushort v2, v[0:1], off
.LBB14_495:
	s_mov_b64 s[0:1], 0
.LBB14_496:
	s_andn2_b64 vcc, exec, s[0:1]
	s_cbranch_vccnz .LBB14_502
; %bb.497:
	s_cmp_gt_i32 s30, 0
	s_cbranch_scc0 .LBB14_499
; %bb.498:
	global_load_ubyte v2, v[0:1], off
	s_mov_b64 s[0:1], 0
	s_branch .LBB14_500
.LBB14_499:
	s_mov_b64 s[0:1], -1
                                        ; implicit-def: $vgpr2
.LBB14_500:
	s_andn2_b64 vcc, exec, s[0:1]
	s_cbranch_vccnz .LBB14_502
; %bb.501:
	global_load_ubyte v2, v[0:1], off
.LBB14_502:
	s_branch .LBB14_262
.LBB14_503:
	s_mov_b64 s[30:31], 0
                                        ; implicit-def: $vgpr7
	s_mov_b64 s[0:1], s[18:19]
.LBB14_504:
	s_andn2_b64 s[26:27], s[18:19], exec
	s_and_b64 s[0:1], s[0:1], exec
	s_or_b64 s[26:27], s[26:27], s[0:1]
	s_andn2_b64 s[0:1], s[20:21], exec
	s_and_b64 s[24:25], s[24:25], exec
	s_or_b64 s[24:25], s[0:1], s[24:25]
	s_orn2_b64 s[0:1], s[30:31], exec
.LBB14_505:
	s_or_b64 exec, exec, s[28:29]
	s_mov_b64 s[30:31], 0
	s_mov_b64 s[34:35], 0
	;; [unrolled: 1-line block ×3, first 2 shown]
                                        ; implicit-def: $vgpr0_vgpr1
                                        ; implicit-def: $vgpr2
	s_and_saveexec_b64 s[28:29], s[0:1]
	s_cbranch_execz .LBB14_842
; %bb.506:
	v_cmp_gt_i32_e32 vcc, s33, v7
	s_mov_b64 s[40:41], -1
	s_mov_b64 s[0:1], s[24:25]
	s_mov_b64 s[36:37], s[26:27]
	s_and_saveexec_b64 s[30:31], vcc
	s_cbranch_execz .LBB14_760
; %bb.507:
	v_mul_lo_u32 v0, v7, s13
	v_mov_b32_e32 v1, s11
	s_and_b32 s38, 0xffff, s15
	s_cmp_lt_i32 s38, 11
	s_waitcnt vmcnt(0)
	v_ashrrev_i32_e32 v2, 31, v0
	v_add_co_u32_e32 v0, vcc, s10, v0
	v_addc_co_u32_e32 v1, vcc, v1, v2, vcc
	s_cbranch_scc1 .LBB14_514
; %bb.508:
	s_cmp_gt_i32 s38, 25
	s_cbranch_scc0 .LBB14_515
; %bb.509:
	s_cmp_gt_i32 s38, 28
	s_cbranch_scc0 .LBB14_516
	;; [unrolled: 3-line block ×4, first 2 shown]
; %bb.512:
	s_cmp_eq_u32 s38, 46
	s_mov_b64 s[36:37], 0
	s_cbranch_scc0 .LBB14_523
; %bb.513:
	global_load_dword v2, v[0:1], off
	s_mov_b32 s0, 0x2f800000
	s_mov_b32 s1, 0xcf800000
	s_waitcnt vmcnt(0)
	v_lshlrev_b32_e32 v2, 16, v2
	v_trunc_f32_e32 v2, v2
	v_mul_f32_e64 v3, |v2|, s0
	v_floor_f32_e32 v3, v3
	v_fma_f32 v3, v3, s1, |v2|
	v_cvt_u32_f32_e32 v3, v3
	v_ashrrev_i32_e32 v2, 31, v2
	s_mov_b64 s[0:1], -1
	v_xor_b32_e32 v3, v3, v2
	v_sub_u32_e32 v2, v3, v2
	s_branch .LBB14_524
.LBB14_514:
	s_mov_b64 s[36:37], -1
	s_mov_b64 s[0:1], 0
                                        ; implicit-def: $vgpr2
	s_mov_b64 s[34:35], s[24:25]
	s_branch .LBB14_585
.LBB14_515:
	s_mov_b64 s[36:37], -1
	s_mov_b64 s[0:1], 0
	s_mov_b64 s[34:35], s[24:25]
                                        ; implicit-def: $vgpr2
	s_branch .LBB14_551
.LBB14_516:
	s_mov_b64 s[36:37], -1
	s_mov_b64 s[0:1], 0
	s_mov_b64 s[34:35], s[24:25]
                                        ; implicit-def: $vgpr2
	s_branch .LBB14_534
.LBB14_517:
	s_mov_b64 s[36:37], -1
	s_mov_b64 s[0:1], 0
	s_mov_b64 s[34:35], s[24:25]
                                        ; implicit-def: $vgpr2
	s_branch .LBB14_529
.LBB14_518:
	s_andn2_saveexec_b64 s[36:37], s[36:37]
	s_cbranch_execz .LBB14_307
.LBB14_519:
	v_add_f32_e32 v2, 0x46000000, v3
	v_and_b32_e32 v2, 0xff, v2
	v_cmp_ne_u32_e32 vcc, 0, v2
	s_andn2_b64 s[34:35], s[34:35], exec
	s_and_b64 s[40:41], vcc, exec
	s_or_b64 s[34:35], s[34:35], s[40:41]
	s_or_b64 exec, exec, s[36:37]
	v_mov_b32_e32 v4, 0
	s_and_saveexec_b64 s[36:37], s[34:35]
	s_cbranch_execnz .LBB14_308
	s_branch .LBB14_309
.LBB14_520:
	s_mov_b64 s[36:37], -1
	s_mov_b64 s[0:1], 0
	s_mov_b64 s[34:35], s[24:25]
                                        ; implicit-def: $vgpr2
	s_branch .LBB14_524
.LBB14_521:
	s_andn2_saveexec_b64 s[36:37], s[36:37]
	s_cbranch_execz .LBB14_320
.LBB14_522:
	v_add_f32_e32 v2, 0x42800000, v3
	v_and_b32_e32 v2, 0xff, v2
	v_cmp_ne_u32_e32 vcc, 0, v2
	s_andn2_b64 s[34:35], s[34:35], exec
	s_and_b64 s[40:41], vcc, exec
	s_or_b64 s[34:35], s[34:35], s[40:41]
	s_or_b64 exec, exec, s[36:37]
	v_mov_b32_e32 v4, 0
	s_and_saveexec_b64 s[36:37], s[34:35]
	s_cbranch_execnz .LBB14_321
	s_branch .LBB14_322
.LBB14_523:
	s_mov_b64 s[34:35], -1
                                        ; implicit-def: $vgpr2
	s_mov_b64 s[0:1], 0
.LBB14_524:
	s_and_b64 vcc, exec, s[36:37]
	s_cbranch_vccz .LBB14_528
; %bb.525:
	s_cmp_eq_u32 s38, 44
	s_cbranch_scc0 .LBB14_527
; %bb.526:
	global_load_ubyte v2, v[0:1], off
	s_mov_b32 s0, 0x2f800000
	s_mov_b32 s1, 0xcf800000
	s_mov_b64 s[34:35], 0
	s_waitcnt vmcnt(0)
	v_lshlrev_b32_e32 v3, 23, v2
	v_trunc_f32_e32 v3, v3
	v_mul_f32_e64 v4, |v3|, s0
	v_floor_f32_e32 v4, v4
	v_fma_f32 v4, v4, s1, |v3|
	v_cvt_u32_f32_e32 v4, v4
	v_ashrrev_i32_e32 v3, 31, v3
	v_cmp_ne_u32_e32 vcc, 0, v2
	s_mov_b64 s[0:1], -1
	v_xor_b32_e32 v4, v4, v3
	v_sub_u32_e32 v3, v4, v3
	v_cndmask_b32_e32 v2, 0, v3, vcc
	s_branch .LBB14_528
.LBB14_527:
	s_mov_b64 s[34:35], -1
                                        ; implicit-def: $vgpr2
.LBB14_528:
	s_mov_b64 s[36:37], 0
.LBB14_529:
	s_and_b64 vcc, exec, s[36:37]
	s_cbranch_vccz .LBB14_533
; %bb.530:
	s_cmp_eq_u32 s38, 29
	s_cbranch_scc0 .LBB14_532
; %bb.531:
	global_load_dwordx2 v[2:3], v[0:1], off
	s_mov_b64 s[0:1], -1
	s_mov_b64 s[34:35], 0
	s_branch .LBB14_533
.LBB14_532:
	s_mov_b64 s[34:35], -1
                                        ; implicit-def: $vgpr2
.LBB14_533:
	s_mov_b64 s[36:37], 0
.LBB14_534:
	s_and_b64 vcc, exec, s[36:37]
	s_cbranch_vccz .LBB14_550
; %bb.535:
	s_cmp_lt_i32 s38, 27
	s_cbranch_scc1 .LBB14_538
; %bb.536:
	s_cmp_gt_i32 s38, 27
	s_cbranch_scc0 .LBB14_539
; %bb.537:
	global_load_dword v2, v[0:1], off
	s_mov_b64 s[0:1], 0
	s_branch .LBB14_540
.LBB14_538:
	s_mov_b64 s[0:1], -1
                                        ; implicit-def: $vgpr2
	s_branch .LBB14_543
.LBB14_539:
	s_mov_b64 s[0:1], -1
                                        ; implicit-def: $vgpr2
.LBB14_540:
	s_andn2_b64 vcc, exec, s[0:1]
	s_cbranch_vccnz .LBB14_542
; %bb.541:
	global_load_ushort v2, v[0:1], off
.LBB14_542:
	s_mov_b64 s[0:1], 0
.LBB14_543:
	s_andn2_b64 vcc, exec, s[0:1]
	s_cbranch_vccnz .LBB14_549
; %bb.544:
	global_load_ubyte v3, v[0:1], off
	s_movk_i32 s0, 0x7f
	s_mov_b64 s[36:37], 0
	s_waitcnt vmcnt(0)
	v_cmp_lt_i16_e32 vcc, s0, v3
	s_and_saveexec_b64 s[0:1], vcc
	s_xor_b64 s[0:1], exec, s[0:1]
	s_cbranch_execz .LBB14_561
; %bb.545:
	s_movk_i32 s36, 0x80
	v_cmp_ne_u16_e32 vcc, s36, v3
	s_and_b64 s[36:37], vcc, exec
	s_andn2_saveexec_b64 s[0:1], s[0:1]
	s_cbranch_execnz .LBB14_562
.LBB14_546:
	s_or_b64 exec, exec, s[0:1]
	v_mov_b32_e32 v2, 0
	s_and_saveexec_b64 s[0:1], s[36:37]
	s_cbranch_execz .LBB14_548
.LBB14_547:
	v_lshlrev_b32_e32 v2, 24, v3
	v_and_b32_e32 v3, 0xffff, v3
	v_and_b32_e32 v4, 7, v3
	v_ffbh_u32_e32 v6, v4
	v_min_u32_e32 v6, 32, v6
	v_subrev_u32_e32 v8, 28, v6
	v_bfe_u32 v5, v3, 3, 4
	v_lshlrev_b32_e32 v3, v8, v3
	v_sub_u32_e32 v6, 29, v6
	v_and_b32_e32 v3, 7, v3
	v_cmp_eq_u32_e32 vcc, 0, v5
	v_cndmask_b32_e32 v5, v5, v6, vcc
	v_cndmask_b32_e32 v3, v4, v3, vcc
	v_mov_b32_e32 v4, 0x3b800000
	v_lshlrev_b32_e32 v3, 20, v3
	v_and_b32_e32 v2, 0x80000000, v2
	v_lshl_add_u32 v4, v5, 23, v4
	v_or3_b32 v2, v2, v4, v3
	v_trunc_f32_e32 v2, v2
	s_mov_b32 s36, 0x2f800000
	v_mul_f32_e64 v3, |v2|, s36
	v_floor_f32_e32 v3, v3
	s_mov_b32 s36, 0xcf800000
	v_fma_f32 v3, v3, s36, |v2|
	v_cvt_u32_f32_e32 v3, v3
	v_ashrrev_i32_e32 v2, 31, v2
	v_xor_b32_e32 v3, v3, v2
	v_sub_u32_e32 v2, v3, v2
.LBB14_548:
	s_or_b64 exec, exec, s[0:1]
.LBB14_549:
	s_mov_b64 s[0:1], -1
.LBB14_550:
	s_mov_b64 s[36:37], 0
.LBB14_551:
	s_and_b64 vcc, exec, s[36:37]
	s_cbranch_vccz .LBB14_584
; %bb.552:
	s_cmp_gt_i32 s38, 22
	s_cbranch_scc0 .LBB14_560
; %bb.553:
	s_cmp_lt_i32 s38, 24
	s_cbranch_scc1 .LBB14_563
; %bb.554:
	s_cmp_gt_i32 s38, 24
	s_cbranch_scc0 .LBB14_564
; %bb.555:
	global_load_ubyte v3, v[0:1], off
	s_movk_i32 s0, 0x7f
	s_mov_b64 s[36:37], 0
	s_waitcnt vmcnt(0)
	v_cmp_lt_i16_e32 vcc, s0, v3
	s_and_saveexec_b64 s[0:1], vcc
	s_xor_b64 s[0:1], exec, s[0:1]
	s_cbranch_execz .LBB14_576
; %bb.556:
	s_movk_i32 s36, 0x80
	v_cmp_ne_u16_e32 vcc, s36, v3
	s_and_b64 s[36:37], vcc, exec
	s_andn2_saveexec_b64 s[0:1], s[0:1]
	s_cbranch_execnz .LBB14_577
.LBB14_557:
	s_or_b64 exec, exec, s[0:1]
	v_mov_b32_e32 v2, 0
	s_and_saveexec_b64 s[0:1], s[36:37]
	s_cbranch_execz .LBB14_559
.LBB14_558:
	v_lshlrev_b32_e32 v2, 24, v3
	v_and_b32_e32 v3, 0xffff, v3
	v_and_b32_e32 v4, 3, v3
	v_ffbh_u32_e32 v6, v4
	v_min_u32_e32 v6, 32, v6
	v_subrev_u32_e32 v8, 29, v6
	v_bfe_u32 v5, v3, 2, 5
	v_lshlrev_b32_e32 v3, v8, v3
	v_sub_u32_e32 v6, 30, v6
	v_and_b32_e32 v3, 3, v3
	v_cmp_eq_u32_e32 vcc, 0, v5
	v_cndmask_b32_e32 v5, v5, v6, vcc
	v_cndmask_b32_e32 v3, v4, v3, vcc
	v_mov_b32_e32 v4, 0x37800000
	v_lshlrev_b32_e32 v3, 21, v3
	v_and_b32_e32 v2, 0x80000000, v2
	v_lshl_add_u32 v4, v5, 23, v4
	v_or3_b32 v2, v2, v4, v3
	v_trunc_f32_e32 v2, v2
	s_mov_b32 s36, 0x2f800000
	v_mul_f32_e64 v3, |v2|, s36
	v_floor_f32_e32 v3, v3
	s_mov_b32 s36, 0xcf800000
	v_fma_f32 v3, v3, s36, |v2|
	v_cvt_u32_f32_e32 v3, v3
	v_ashrrev_i32_e32 v2, 31, v2
	v_xor_b32_e32 v3, v3, v2
	v_sub_u32_e32 v2, v3, v2
.LBB14_559:
	s_or_b64 exec, exec, s[0:1]
	s_mov_b64 s[0:1], 0
	s_branch .LBB14_565
.LBB14_560:
	s_mov_b64 s[36:37], -1
                                        ; implicit-def: $vgpr2
	s_branch .LBB14_571
.LBB14_561:
	s_andn2_saveexec_b64 s[0:1], s[0:1]
	s_cbranch_execz .LBB14_546
.LBB14_562:
	v_cmp_ne_u16_e32 vcc, 0, v3
	s_andn2_b64 s[36:37], s[36:37], exec
	s_and_b64 s[40:41], vcc, exec
	s_or_b64 s[36:37], s[36:37], s[40:41]
	s_or_b64 exec, exec, s[0:1]
	v_mov_b32_e32 v2, 0
	s_and_saveexec_b64 s[0:1], s[36:37]
	s_cbranch_execnz .LBB14_547
	s_branch .LBB14_548
.LBB14_563:
	s_mov_b64 s[0:1], -1
                                        ; implicit-def: $vgpr2
	s_branch .LBB14_568
.LBB14_564:
	s_mov_b64 s[0:1], -1
                                        ; implicit-def: $vgpr2
.LBB14_565:
	s_and_b64 vcc, exec, s[0:1]
	s_cbranch_vccz .LBB14_567
; %bb.566:
	global_load_ubyte v2, v[0:1], off
	s_mov_b32 s0, 0x7f800000
	s_brev_b32 s1, 1
	s_mov_b32 s36, 0x2f800000
	s_waitcnt vmcnt(0)
	v_lshlrev_b32_e32 v2, 24, v2
	v_and_b32_e32 v3, 0x7f000000, v2
	v_ffbh_u32_e32 v4, v3
	v_min_u32_e32 v4, 32, v4
	v_sub_u32_e64 v4, v4, 4 clamp
	v_lshlrev_b32_e32 v6, v4, v3
	v_lshlrev_b32_e32 v4, 23, v4
	v_lshrrev_b32_e32 v6, 4, v6
	v_add_u32_e32 v5, 0x1000000, v3
	v_sub_u32_e32 v4, v6, v4
	v_ashrrev_i32_e32 v5, 8, v5
	v_add_u32_e32 v4, 0x3c000000, v4
	v_and_or_b32 v4, v5, s0, v4
	v_cmp_ne_u32_e32 vcc, 0, v3
	v_cndmask_b32_e32 v3, 0, v4, vcc
	v_and_or_b32 v2, v2, s1, v3
	v_trunc_f32_e32 v2, v2
	v_mul_f32_e64 v3, |v2|, s36
	v_floor_f32_e32 v3, v3
	s_mov_b32 s0, 0xcf800000
	v_fma_f32 v3, v3, s0, |v2|
	v_cvt_u32_f32_e32 v3, v3
	v_ashrrev_i32_e32 v2, 31, v2
	v_xor_b32_e32 v3, v3, v2
	v_sub_u32_e32 v2, v3, v2
.LBB14_567:
	s_mov_b64 s[0:1], 0
.LBB14_568:
	s_andn2_b64 vcc, exec, s[0:1]
	s_cbranch_vccnz .LBB14_570
; %bb.569:
	global_load_ubyte v2, v[0:1], off
	s_movk_i32 s0, 0x7f00
	s_brev_b32 s1, 16
	s_brev_b32 s36, 1
	s_mov_b32 s37, 0x2f800000
	s_waitcnt vmcnt(0)
	v_lshlrev_b16_e32 v3, 8, v2
	v_lshlrev_b32_e32 v2, 25, v2
	v_lshrrev_b32_e32 v4, 4, v2
	v_and_or_b32 v5, v3, s0, 0.5
	v_or_b32_e32 v4, 0x70000000, v4
	v_add_f32_e32 v5, -0.5, v5
	v_mul_f32_e32 v4, 0x7800000, v4
	v_cmp_gt_u32_e32 vcc, s1, v2
	v_bfe_i32 v3, v3, 0, 16
	v_cndmask_b32_e32 v2, v4, v5, vcc
	v_and_or_b32 v2, v3, s36, v2
	v_trunc_f32_e32 v2, v2
	v_mul_f32_e64 v3, |v2|, s37
	v_floor_f32_e32 v3, v3
	s_mov_b32 s0, 0xcf800000
	v_fma_f32 v3, v3, s0, |v2|
	v_cvt_u32_f32_e32 v3, v3
	v_ashrrev_i32_e32 v2, 31, v2
	v_xor_b32_e32 v3, v3, v2
	v_sub_u32_e32 v2, v3, v2
.LBB14_570:
	s_mov_b64 s[36:37], 0
	s_mov_b64 s[0:1], -1
.LBB14_571:
	s_andn2_b64 vcc, exec, s[36:37]
	s_cbranch_vccnz .LBB14_584
; %bb.572:
	s_cmp_gt_i32 s38, 14
	s_cbranch_scc0 .LBB14_575
; %bb.573:
	s_cmp_eq_u32 s38, 15
	s_cbranch_scc0 .LBB14_578
; %bb.574:
	global_load_ushort v2, v[0:1], off
	s_mov_b32 s0, 0x2f800000
	s_mov_b32 s1, 0xcf800000
	s_mov_b64 s[34:35], 0
	s_waitcnt vmcnt(0)
	v_lshlrev_b32_e32 v2, 16, v2
	v_trunc_f32_e32 v2, v2
	v_mul_f32_e64 v3, |v2|, s0
	v_floor_f32_e32 v3, v3
	v_fma_f32 v3, v3, s1, |v2|
	v_cvt_u32_f32_e32 v3, v3
	v_ashrrev_i32_e32 v2, 31, v2
	s_mov_b64 s[0:1], -1
	v_xor_b32_e32 v3, v3, v2
	v_sub_u32_e32 v2, v3, v2
	s_branch .LBB14_579
.LBB14_575:
	s_mov_b64 s[36:37], -1
                                        ; implicit-def: $vgpr2
	s_branch .LBB14_580
.LBB14_576:
	s_andn2_saveexec_b64 s[0:1], s[0:1]
	s_cbranch_execz .LBB14_557
.LBB14_577:
	v_cmp_ne_u16_e32 vcc, 0, v3
	s_andn2_b64 s[36:37], s[36:37], exec
	s_and_b64 s[40:41], vcc, exec
	s_or_b64 s[36:37], s[36:37], s[40:41]
	s_or_b64 exec, exec, s[0:1]
	v_mov_b32_e32 v2, 0
	s_and_saveexec_b64 s[0:1], s[36:37]
	s_cbranch_execnz .LBB14_558
	s_branch .LBB14_559
.LBB14_578:
	s_mov_b64 s[34:35], -1
                                        ; implicit-def: $vgpr2
.LBB14_579:
	s_mov_b64 s[36:37], 0
.LBB14_580:
	s_and_b64 vcc, exec, s[36:37]
	s_cbranch_vccz .LBB14_584
; %bb.581:
	s_cmp_eq_u32 s38, 11
	s_cbranch_scc0 .LBB14_583
; %bb.582:
	global_load_ubyte v2, v[0:1], off
	s_mov_b64 s[0:1], -1
	s_mov_b64 s[34:35], 0
	s_waitcnt vmcnt(0)
	v_cmp_ne_u16_e32 vcc, 0, v2
	v_cndmask_b32_e64 v2, 0, 1, vcc
	s_branch .LBB14_584
.LBB14_583:
	s_mov_b64 s[34:35], -1
                                        ; implicit-def: $vgpr2
.LBB14_584:
	s_mov_b64 s[36:37], 0
.LBB14_585:
	s_and_b64 vcc, exec, s[36:37]
	s_cbranch_vccz .LBB14_634
; %bb.586:
	s_cmp_lt_i32 s38, 5
	s_cbranch_scc1 .LBB14_591
; %bb.587:
	s_cmp_lt_i32 s38, 8
	s_cbranch_scc1 .LBB14_592
; %bb.588:
	s_cmp_lt_i32 s38, 9
	s_cbranch_scc1 .LBB14_593
; %bb.589:
	s_cmp_gt_i32 s38, 9
	s_cbranch_scc0 .LBB14_594
; %bb.590:
	global_load_dwordx2 v[2:3], v[0:1], off
	s_movk_i32 s0, 0xffe0
	s_waitcnt vmcnt(0)
	v_trunc_f64_e32 v[2:3], v[2:3]
	v_ldexp_f64 v[4:5], v[2:3], s0
	s_mov_b32 s0, 0
	s_mov_b32 s1, 0xc1f00000
	v_floor_f64_e32 v[4:5], v[4:5]
	v_fma_f64 v[2:3], v[4:5], s[0:1], v[2:3]
	s_mov_b64 s[0:1], 0
	v_cvt_u32_f64_e32 v2, v[2:3]
	s_branch .LBB14_595
.LBB14_591:
	s_mov_b64 s[0:1], -1
                                        ; implicit-def: $vgpr2
	s_branch .LBB14_613
.LBB14_592:
	s_mov_b64 s[0:1], -1
                                        ; implicit-def: $vgpr2
	s_branch .LBB14_601
.LBB14_593:
	s_mov_b64 s[0:1], -1
                                        ; implicit-def: $vgpr2
	s_branch .LBB14_598
.LBB14_594:
	s_mov_b64 s[0:1], -1
                                        ; implicit-def: $vgpr2
.LBB14_595:
	s_andn2_b64 vcc, exec, s[0:1]
	s_cbranch_vccnz .LBB14_597
; %bb.596:
	global_load_dword v2, v[0:1], off
	s_mov_b32 s0, 0x2f800000
	s_waitcnt vmcnt(0)
	v_trunc_f32_e32 v2, v2
	v_mul_f32_e64 v3, |v2|, s0
	v_floor_f32_e32 v3, v3
	s_mov_b32 s0, 0xcf800000
	v_fma_f32 v3, v3, s0, |v2|
	v_cvt_u32_f32_e32 v3, v3
	v_ashrrev_i32_e32 v2, 31, v2
	v_xor_b32_e32 v3, v3, v2
	v_sub_u32_e32 v2, v3, v2
.LBB14_597:
	s_mov_b64 s[0:1], 0
.LBB14_598:
	s_andn2_b64 vcc, exec, s[0:1]
	s_cbranch_vccnz .LBB14_600
; %bb.599:
	global_load_dword v2, v[0:1], off
	s_waitcnt vmcnt(0)
	v_cvt_f32_f16_e32 v2, v2
	v_cvt_i32_f32_e32 v2, v2
.LBB14_600:
	s_mov_b64 s[0:1], 0
.LBB14_601:
	s_andn2_b64 vcc, exec, s[0:1]
	s_cbranch_vccnz .LBB14_612
; %bb.602:
	s_cmp_lt_i32 s38, 6
	s_cbranch_scc1 .LBB14_605
; %bb.603:
	s_cmp_gt_i32 s38, 6
	s_cbranch_scc0 .LBB14_606
; %bb.604:
	global_load_dwordx2 v[2:3], v[0:1], off
	s_movk_i32 s0, 0xffe0
	s_waitcnt vmcnt(0)
	v_trunc_f64_e32 v[2:3], v[2:3]
	v_ldexp_f64 v[4:5], v[2:3], s0
	s_mov_b32 s0, 0
	s_mov_b32 s1, 0xc1f00000
	v_floor_f64_e32 v[4:5], v[4:5]
	v_fma_f64 v[2:3], v[4:5], s[0:1], v[2:3]
	s_mov_b64 s[0:1], 0
	v_cvt_u32_f64_e32 v2, v[2:3]
	s_branch .LBB14_607
.LBB14_605:
	s_mov_b64 s[0:1], -1
                                        ; implicit-def: $vgpr2
	s_branch .LBB14_610
.LBB14_606:
	s_mov_b64 s[0:1], -1
                                        ; implicit-def: $vgpr2
.LBB14_607:
	s_andn2_b64 vcc, exec, s[0:1]
	s_cbranch_vccnz .LBB14_609
; %bb.608:
	global_load_dword v2, v[0:1], off
	s_mov_b32 s0, 0x2f800000
	s_waitcnt vmcnt(0)
	v_trunc_f32_e32 v2, v2
	v_mul_f32_e64 v3, |v2|, s0
	v_floor_f32_e32 v3, v3
	s_mov_b32 s0, 0xcf800000
	v_fma_f32 v3, v3, s0, |v2|
	v_cvt_u32_f32_e32 v3, v3
	v_ashrrev_i32_e32 v2, 31, v2
	v_xor_b32_e32 v3, v3, v2
	v_sub_u32_e32 v2, v3, v2
.LBB14_609:
	s_mov_b64 s[0:1], 0
.LBB14_610:
	s_andn2_b64 vcc, exec, s[0:1]
	s_cbranch_vccnz .LBB14_612
; %bb.611:
	global_load_ushort v2, v[0:1], off
	s_waitcnt vmcnt(0)
	v_cvt_f32_f16_e32 v2, v2
	v_cvt_i32_f32_e32 v2, v2
.LBB14_612:
	s_mov_b64 s[0:1], 0
.LBB14_613:
	s_andn2_b64 vcc, exec, s[0:1]
	s_cbranch_vccnz .LBB14_633
; %bb.614:
	s_cmp_lt_i32 s38, 2
	s_cbranch_scc1 .LBB14_618
; %bb.615:
	s_cmp_lt_i32 s38, 3
	s_cbranch_scc1 .LBB14_619
; %bb.616:
	s_cmp_gt_i32 s38, 3
	s_cbranch_scc0 .LBB14_620
; %bb.617:
	global_load_dwordx2 v[2:3], v[0:1], off
	s_mov_b64 s[0:1], 0
	s_branch .LBB14_621
.LBB14_618:
	s_mov_b64 s[0:1], -1
                                        ; implicit-def: $vgpr2
	s_branch .LBB14_627
.LBB14_619:
	s_mov_b64 s[0:1], -1
                                        ; implicit-def: $vgpr2
	s_branch .LBB14_624
.LBB14_620:
	s_mov_b64 s[0:1], -1
                                        ; implicit-def: $vgpr2
.LBB14_621:
	s_andn2_b64 vcc, exec, s[0:1]
	s_cbranch_vccnz .LBB14_623
; %bb.622:
	global_load_dword v2, v[0:1], off
.LBB14_623:
	s_mov_b64 s[0:1], 0
.LBB14_624:
	s_andn2_b64 vcc, exec, s[0:1]
	s_cbranch_vccnz .LBB14_626
; %bb.625:
	global_load_ushort v2, v[0:1], off
.LBB14_626:
	s_mov_b64 s[0:1], 0
.LBB14_627:
	s_andn2_b64 vcc, exec, s[0:1]
	s_cbranch_vccnz .LBB14_633
; %bb.628:
	s_cmp_gt_i32 s38, 0
	s_cbranch_scc0 .LBB14_630
; %bb.629:
	global_load_ubyte v2, v[0:1], off
	s_mov_b64 s[0:1], 0
	s_branch .LBB14_631
.LBB14_630:
	s_mov_b64 s[0:1], -1
                                        ; implicit-def: $vgpr2
.LBB14_631:
	s_andn2_b64 vcc, exec, s[0:1]
	s_cbranch_vccnz .LBB14_633
; %bb.632:
	global_load_ubyte v2, v[0:1], off
.LBB14_633:
	s_mov_b64 s[0:1], -1
.LBB14_634:
	s_andn2_b64 vcc, exec, s[0:1]
	s_cbranch_vccnz .LBB14_642
; %bb.635:
	v_mul_lo_u32 v0, v7, s12
	s_and_b32 s0, s2, 0xff
	s_waitcnt vmcnt(0)
	v_cmp_ne_u16_sdwa s[0:1], s0, v2 src0_sel:DWORD src1_sel:BYTE_0
	s_xor_b64 s[36:37], s[16:17], s[0:1]
	v_ashrrev_i32_e32 v1, 31, v0
	v_mov_b32_e32 v2, s9
	s_and_b32 s44, s3, 0xff
	v_add_co_u32_e32 v0, vcc, s8, v0
	s_cmp_lt_i32 s44, 11
	v_addc_co_u32_e32 v1, vcc, v2, v1, vcc
	s_cbranch_scc1 .LBB14_643
; %bb.636:
	s_and_b32 s45, 0xffff, s44
	s_cmp_gt_i32 s45, 25
	s_cbranch_scc0 .LBB14_644
; %bb.637:
	s_cmp_gt_i32 s45, 28
	s_cbranch_scc0 .LBB14_645
; %bb.638:
	;; [unrolled: 3-line block ×4, first 2 shown]
	s_mov_b64 s[40:41], 0
	s_mov_b64 s[0:1], -1
	s_cmp_eq_u32 s45, 46
	s_mov_b64 s[38:39], 0
	s_cbranch_scc0 .LBB14_648
; %bb.641:
	v_cndmask_b32_e64 v2, 0, 1.0, s[36:37]
	v_bfe_u32 v3, v2, 16, 1
	s_movk_i32 s0, 0x7fff
	v_add3_u32 v2, v2, v3, s0
	v_lshrrev_b32_e32 v2, 16, v2
	global_store_dword v[0:1], v2, off
	s_mov_b64 s[38:39], -1
	s_mov_b64 s[0:1], 0
	s_branch .LBB14_648
.LBB14_642:
	s_mov_b64 s[38:39], 0
                                        ; implicit-def: $vgpr7
	s_mov_b64 s[0:1], s[26:27]
	s_branch .LBB14_759
.LBB14_643:
	s_mov_b64 s[40:41], -1
	s_mov_b64 s[38:39], 0
	s_mov_b64 s[0:1], s[26:27]
	s_branch .LBB14_717
.LBB14_644:
	s_mov_b64 s[40:41], -1
	s_mov_b64 s[38:39], 0
	s_mov_b64 s[0:1], s[26:27]
	s_branch .LBB14_675
.LBB14_645:
	s_mov_b64 s[40:41], -1
	s_mov_b64 s[38:39], 0
	s_mov_b64 s[0:1], s[26:27]
	s_branch .LBB14_658
.LBB14_646:
	s_mov_b64 s[40:41], -1
	s_mov_b64 s[38:39], 0
	s_mov_b64 s[0:1], s[26:27]
	s_branch .LBB14_654
.LBB14_647:
	s_mov_b64 s[40:41], -1
	s_mov_b64 s[38:39], 0
	s_mov_b64 s[0:1], s[26:27]
.LBB14_648:
	s_and_b64 vcc, exec, s[40:41]
	s_cbranch_vccz .LBB14_653
; %bb.649:
	s_cmp_eq_u32 s45, 44
	s_mov_b64 s[0:1], -1
	s_cbranch_scc0 .LBB14_653
; %bb.650:
	v_cndmask_b32_e64 v3, 0, 1.0, s[36:37]
	v_lshrrev_b32_e32 v2, 23, v3
	s_movk_i32 s0, 0xff
	v_cmp_ne_u32_e32 vcc, s0, v2
	v_mov_b32_e32 v4, 0xff
	s_and_saveexec_b64 s[38:39], vcc
; %bb.651:
	s_mov_b32 s0, 0x3fffff
	v_and_b32_e32 v4, 0x400000, v3
	v_and_or_b32 v3, v3, s0, v2
	v_cmp_ne_u32_e32 vcc, 0, v4
	v_cmp_ne_u32_e64 s[0:1], 0, v3
	s_and_b64 s[0:1], vcc, s[0:1]
	v_cndmask_b32_e64 v3, 0, 1, s[0:1]
	v_add_u32_e32 v4, v2, v3
; %bb.652:
	s_or_b64 exec, exec, s[38:39]
	s_mov_b64 s[38:39], -1
	s_mov_b64 s[0:1], 0
	global_store_byte v[0:1], v4, off
.LBB14_653:
	s_mov_b64 s[40:41], 0
.LBB14_654:
	s_and_b64 vcc, exec, s[40:41]
	s_cbranch_vccz .LBB14_657
; %bb.655:
	s_cmp_eq_u32 s45, 29
	s_mov_b64 s[0:1], -1
	s_cbranch_scc0 .LBB14_657
; %bb.656:
	s_mov_b32 s0, 0
	v_cndmask_b32_e64 v2, 0, 1, s[36:37]
	v_mov_b32_e32 v3, s0
	global_store_dwordx2 v[0:1], v[2:3], off
	s_mov_b64 s[38:39], -1
	s_mov_b64 s[0:1], 0
.LBB14_657:
	s_mov_b64 s[40:41], 0
.LBB14_658:
	s_and_b64 vcc, exec, s[40:41]
	s_cbranch_vccz .LBB14_674
; %bb.659:
	s_cmp_lt_i32 s45, 27
	s_mov_b64 s[38:39], -1
	s_cbranch_scc1 .LBB14_665
; %bb.660:
	s_cmp_gt_i32 s45, 27
	s_cbranch_scc0 .LBB14_662
; %bb.661:
	v_cndmask_b32_e64 v2, 0, 1, s[36:37]
	s_mov_b64 s[38:39], 0
	global_store_dword v[0:1], v2, off
.LBB14_662:
	s_andn2_b64 vcc, exec, s[38:39]
	s_cbranch_vccnz .LBB14_664
; %bb.663:
	v_cndmask_b32_e64 v2, 0, 1, s[36:37]
	global_store_short v[0:1], v2, off
.LBB14_664:
	s_mov_b64 s[38:39], 0
.LBB14_665:
	s_andn2_b64 vcc, exec, s[38:39]
	s_cbranch_vccnz .LBB14_673
; %bb.666:
	v_cndmask_b32_e64 v3, 0, 1.0, s[36:37]
	s_mov_b32 s38, 0x43800000
	v_cmp_gt_u32_e32 vcc, s38, v3
	v_mov_b32_e32 v4, 0x80
	s_and_saveexec_b64 s[38:39], vcc
	s_cbranch_execz .LBB14_672
; %bb.667:
	s_mov_b32 s40, 0x3bffffff
	v_cmp_lt_u32_e32 vcc, s40, v3
	s_mov_b64 s[40:41], 0
                                        ; implicit-def: $vgpr2
	s_and_saveexec_b64 s[42:43], vcc
	s_xor_b64 s[42:43], exec, s[42:43]
	s_cbranch_execz .LBB14_773
; %bb.668:
	v_bfe_u32 v2, v3, 20, 1
	s_mov_b32 s46, 0x487ffff
	v_add3_u32 v2, v3, v2, s46
	s_mov_b64 s[40:41], exec
	v_lshrrev_b32_e32 v2, 20, v2
                                        ; implicit-def: $vgpr3
	s_andn2_saveexec_b64 s[42:43], s[42:43]
	s_cbranch_execnz .LBB14_774
.LBB14_669:
	s_or_b64 exec, exec, s[42:43]
	v_mov_b32_e32 v4, 0
	s_and_saveexec_b64 s[42:43], s[40:41]
.LBB14_670:
	v_mov_b32_e32 v4, v2
.LBB14_671:
	s_or_b64 exec, exec, s[42:43]
.LBB14_672:
	s_or_b64 exec, exec, s[38:39]
	global_store_byte v[0:1], v4, off
.LBB14_673:
	s_mov_b64 s[38:39], -1
.LBB14_674:
	s_mov_b64 s[40:41], 0
.LBB14_675:
	s_and_b64 vcc, exec, s[40:41]
	s_cbranch_vccz .LBB14_716
; %bb.676:
	s_cmp_gt_i32 s45, 22
	s_mov_b64 s[40:41], -1
	s_cbranch_scc0 .LBB14_708
; %bb.677:
	s_cmp_lt_i32 s45, 24
	s_mov_b64 s[38:39], -1
	s_cbranch_scc1 .LBB14_697
; %bb.678:
	s_cmp_gt_i32 s45, 24
	s_cbranch_scc0 .LBB14_686
; %bb.679:
	v_cndmask_b32_e64 v3, 0, 1.0, s[36:37]
	s_mov_b32 s38, 0x47800000
	v_cmp_gt_u32_e32 vcc, s38, v3
	v_mov_b32_e32 v4, 0x80
	s_and_saveexec_b64 s[38:39], vcc
	s_cbranch_execz .LBB14_685
; %bb.680:
	s_mov_b32 s40, 0x37ffffff
	v_cmp_lt_u32_e32 vcc, s40, v3
	s_mov_b64 s[40:41], 0
                                        ; implicit-def: $vgpr2
	s_and_saveexec_b64 s[42:43], vcc
	s_xor_b64 s[42:43], exec, s[42:43]
	s_cbranch_execz .LBB14_776
; %bb.681:
	v_bfe_u32 v2, v3, 21, 1
	s_mov_b32 s46, 0x88fffff
	v_add3_u32 v2, v3, v2, s46
	s_mov_b64 s[40:41], exec
	v_lshrrev_b32_e32 v2, 21, v2
                                        ; implicit-def: $vgpr3
	s_andn2_saveexec_b64 s[42:43], s[42:43]
	s_cbranch_execnz .LBB14_777
.LBB14_682:
	s_or_b64 exec, exec, s[42:43]
	v_mov_b32_e32 v4, 0
	s_and_saveexec_b64 s[42:43], s[40:41]
.LBB14_683:
	v_mov_b32_e32 v4, v2
.LBB14_684:
	s_or_b64 exec, exec, s[42:43]
.LBB14_685:
	s_or_b64 exec, exec, s[38:39]
	s_mov_b64 s[38:39], 0
	global_store_byte v[0:1], v4, off
.LBB14_686:
	s_and_b64 vcc, exec, s[38:39]
	s_cbranch_vccz .LBB14_696
; %bb.687:
	v_cndmask_b32_e64 v2, 0, 1.0, s[36:37]
	s_mov_b32 s38, 0x43f00000
	v_cmp_gt_u32_e32 vcc, s38, v2
                                        ; implicit-def: $vgpr3
	s_and_saveexec_b64 s[38:39], vcc
	s_xor_b64 s[38:39], exec, s[38:39]
	s_cbranch_execz .LBB14_693
; %bb.688:
	s_mov_b32 s40, 0x3c7fffff
	v_cmp_lt_u32_e32 vcc, s40, v2
                                        ; implicit-def: $vgpr3
	s_and_saveexec_b64 s[40:41], vcc
	s_xor_b64 s[40:41], exec, s[40:41]
; %bb.689:
	v_bfe_u32 v3, v2, 20, 1
	s_mov_b32 s42, 0x407ffff
	v_add3_u32 v2, v2, v3, s42
	v_lshrrev_b32_e32 v3, 20, v2
	v_and_b32_e32 v2, 0xff00000, v2
	s_mov_b32 s42, 0x7f00000
	v_mov_b32_e32 v4, 0x7e
	v_cmp_ne_u32_e32 vcc, s42, v2
	v_cndmask_b32_e32 v3, v4, v3, vcc
                                        ; implicit-def: $vgpr2
; %bb.690:
	s_andn2_saveexec_b64 s[40:41], s[40:41]
; %bb.691:
	v_add_f32_e32 v3, 0x46800000, v2
; %bb.692:
	s_or_b64 exec, exec, s[40:41]
                                        ; implicit-def: $vgpr2
.LBB14_693:
	s_andn2_saveexec_b64 s[38:39], s[38:39]
; %bb.694:
	s_mov_b32 s40, 0x7f800000
	v_mov_b32_e32 v3, 0x7e
	v_mov_b32_e32 v4, 0x7f
	v_cmp_lt_u32_e32 vcc, s40, v2
	v_cndmask_b32_e32 v3, v3, v4, vcc
; %bb.695:
	s_or_b64 exec, exec, s[38:39]
	global_store_byte v[0:1], v3, off
.LBB14_696:
	s_mov_b64 s[38:39], 0
.LBB14_697:
	s_andn2_b64 vcc, exec, s[38:39]
	s_cbranch_vccnz .LBB14_707
; %bb.698:
	v_cndmask_b32_e64 v2, 0, 1.0, s[36:37]
	s_mov_b32 s38, 0x47800000
	v_cmp_gt_u32_e32 vcc, s38, v2
                                        ; implicit-def: $vgpr3
	s_and_saveexec_b64 s[38:39], vcc
	s_xor_b64 s[38:39], exec, s[38:39]
	s_cbranch_execz .LBB14_704
; %bb.699:
	s_mov_b32 s40, 0x387fffff
	v_cmp_lt_u32_e32 vcc, s40, v2
                                        ; implicit-def: $vgpr3
	s_and_saveexec_b64 s[40:41], vcc
	s_xor_b64 s[40:41], exec, s[40:41]
; %bb.700:
	v_bfe_u32 v3, v2, 21, 1
	s_mov_b32 s42, 0x80fffff
	v_add3_u32 v2, v2, v3, s42
	v_lshrrev_b32_e32 v3, 21, v2
                                        ; implicit-def: $vgpr2
; %bb.701:
	s_andn2_saveexec_b64 s[40:41], s[40:41]
; %bb.702:
	v_add_f32_e32 v3, 0x43000000, v2
; %bb.703:
	s_or_b64 exec, exec, s[40:41]
                                        ; implicit-def: $vgpr2
.LBB14_704:
	s_andn2_saveexec_b64 s[38:39], s[38:39]
; %bb.705:
	s_mov_b32 s40, 0x7f800000
	v_mov_b32_e32 v3, 0x7c
	v_mov_b32_e32 v4, 0x7f
	v_cmp_lt_u32_e32 vcc, s40, v2
	v_cndmask_b32_e32 v3, v3, v4, vcc
; %bb.706:
	s_or_b64 exec, exec, s[38:39]
	global_store_byte v[0:1], v3, off
.LBB14_707:
	s_mov_b64 s[40:41], 0
	s_mov_b64 s[38:39], -1
.LBB14_708:
	s_andn2_b64 vcc, exec, s[40:41]
	s_cbranch_vccnz .LBB14_716
; %bb.709:
	s_cmp_gt_i32 s45, 14
	s_mov_b64 s[40:41], -1
	s_cbranch_scc0 .LBB14_713
; %bb.710:
	s_cmp_eq_u32 s45, 15
	s_mov_b64 s[0:1], -1
	s_cbranch_scc0 .LBB14_712
; %bb.711:
	v_cndmask_b32_e64 v2, 0, 1.0, s[36:37]
	v_bfe_u32 v3, v2, 16, 1
	s_movk_i32 s0, 0x7fff
	v_add3_u32 v2, v2, v3, s0
	global_store_short_d16_hi v[0:1], v2, off
	s_mov_b64 s[38:39], -1
	s_mov_b64 s[0:1], 0
.LBB14_712:
	s_mov_b64 s[40:41], 0
.LBB14_713:
	s_and_b64 vcc, exec, s[40:41]
	s_cbranch_vccz .LBB14_716
; %bb.714:
	s_cmp_eq_u32 s45, 11
	s_mov_b64 s[0:1], -1
	s_cbranch_scc0 .LBB14_716
; %bb.715:
	v_cndmask_b32_e64 v2, 0, 1, s[36:37]
	s_mov_b64 s[38:39], -1
	s_mov_b64 s[0:1], 0
	global_store_byte v[0:1], v2, off
.LBB14_716:
	s_mov_b64 s[40:41], 0
.LBB14_717:
	s_and_b64 vcc, exec, s[40:41]
	s_cbranch_vccz .LBB14_756
; %bb.718:
	s_and_b32 s40, 0xffff, s44
	s_cmp_lt_i32 s40, 5
	s_mov_b64 s[38:39], -1
	s_cbranch_scc1 .LBB14_739
; %bb.719:
	s_cmp_lt_i32 s40, 8
	s_cbranch_scc1 .LBB14_729
; %bb.720:
	s_cmp_lt_i32 s40, 9
	s_cbranch_scc1 .LBB14_726
; %bb.721:
	s_cmp_gt_i32 s40, 9
	s_cbranch_scc0 .LBB14_723
; %bb.722:
	v_cndmask_b32_e64 v2, 0, 1, s[36:37]
	v_cvt_f64_u32_e32 v[2:3], v2
	v_mov_b32_e32 v4, 0
	v_mov_b32_e32 v5, v4
	s_mov_b64 s[38:39], 0
	global_store_dwordx4 v[0:1], v[2:5], off
.LBB14_723:
	s_andn2_b64 vcc, exec, s[38:39]
	s_cbranch_vccnz .LBB14_725
; %bb.724:
	v_cndmask_b32_e64 v2, 0, 1.0, s[36:37]
	v_mov_b32_e32 v3, 0
	global_store_dwordx2 v[0:1], v[2:3], off
.LBB14_725:
	s_mov_b64 s[38:39], 0
.LBB14_726:
	s_andn2_b64 vcc, exec, s[38:39]
	s_cbranch_vccnz .LBB14_728
; %bb.727:
	v_cndmask_b32_e64 v2, 0, 1.0, s[36:37]
	v_cvt_f16_f32_e32 v2, v2
	global_store_dword v[0:1], v2, off
.LBB14_728:
	s_mov_b64 s[38:39], 0
.LBB14_729:
	s_andn2_b64 vcc, exec, s[38:39]
	s_cbranch_vccnz .LBB14_738
; %bb.730:
	s_cmp_lt_i32 s40, 6
	s_mov_b64 s[38:39], -1
	s_cbranch_scc1 .LBB14_736
; %bb.731:
	s_cmp_gt_i32 s40, 6
	s_cbranch_scc0 .LBB14_733
; %bb.732:
	v_cndmask_b32_e64 v2, 0, 1, s[36:37]
	v_cvt_f64_u32_e32 v[2:3], v2
	s_mov_b64 s[38:39], 0
	global_store_dwordx2 v[0:1], v[2:3], off
.LBB14_733:
	s_andn2_b64 vcc, exec, s[38:39]
	s_cbranch_vccnz .LBB14_735
; %bb.734:
	v_cndmask_b32_e64 v2, 0, 1.0, s[36:37]
	global_store_dword v[0:1], v2, off
.LBB14_735:
	s_mov_b64 s[38:39], 0
.LBB14_736:
	s_andn2_b64 vcc, exec, s[38:39]
	s_cbranch_vccnz .LBB14_738
; %bb.737:
	v_cndmask_b32_e64 v2, 0, 1.0, s[36:37]
	v_cvt_f16_f32_e32 v2, v2
	global_store_short v[0:1], v2, off
.LBB14_738:
	s_mov_b64 s[38:39], 0
.LBB14_739:
	s_andn2_b64 vcc, exec, s[38:39]
	s_cbranch_vccnz .LBB14_755
; %bb.740:
	s_cmp_lt_i32 s40, 2
	s_mov_b64 s[38:39], -1
	s_cbranch_scc1 .LBB14_750
; %bb.741:
	s_cmp_lt_i32 s40, 3
	s_cbranch_scc1 .LBB14_747
; %bb.742:
	s_cmp_gt_i32 s40, 3
	s_cbranch_scc0 .LBB14_744
; %bb.743:
	s_mov_b32 s38, 0
	v_cndmask_b32_e64 v2, 0, 1, s[36:37]
	v_mov_b32_e32 v3, s38
	s_mov_b64 s[38:39], 0
	global_store_dwordx2 v[0:1], v[2:3], off
.LBB14_744:
	s_andn2_b64 vcc, exec, s[38:39]
	s_cbranch_vccnz .LBB14_746
; %bb.745:
	v_cndmask_b32_e64 v2, 0, 1, s[36:37]
	global_store_dword v[0:1], v2, off
.LBB14_746:
	s_mov_b64 s[38:39], 0
.LBB14_747:
	s_andn2_b64 vcc, exec, s[38:39]
	s_cbranch_vccnz .LBB14_749
; %bb.748:
	v_cndmask_b32_e64 v2, 0, 1, s[36:37]
	global_store_short v[0:1], v2, off
.LBB14_749:
	s_mov_b64 s[38:39], 0
.LBB14_750:
	s_andn2_b64 vcc, exec, s[38:39]
	s_cbranch_vccnz .LBB14_755
; %bb.751:
	s_mov_b64 s[38:39], -1
	s_cmp_gt_i32 s40, 0
	v_cndmask_b32_e64 v2, 0, 1, s[36:37]
	s_cbranch_scc0 .LBB14_753
; %bb.752:
	s_mov_b64 s[38:39], 0
	global_store_byte v[0:1], v2, off
.LBB14_753:
	s_andn2_b64 vcc, exec, s[38:39]
	s_cbranch_vccnz .LBB14_755
; %bb.754:
	global_store_byte v[0:1], v2, off
.LBB14_755:
	s_mov_b64 s[38:39], -1
.LBB14_756:
	s_andn2_b64 vcc, exec, s[38:39]
	s_cbranch_vccnz .LBB14_758
; %bb.757:
	v_add_u32_e32 v7, 0x80, v7
	s_mov_b64 s[38:39], -1
	s_branch .LBB14_759
.LBB14_758:
	s_mov_b64 s[38:39], 0
                                        ; implicit-def: $vgpr7
.LBB14_759:
	s_andn2_b64 s[36:37], s[26:27], exec
	s_and_b64 s[0:1], s[0:1], exec
	s_or_b64 s[36:37], s[36:37], s[0:1]
	s_andn2_b64 s[0:1], s[24:25], exec
	s_and_b64 s[34:35], s[34:35], exec
	s_or_b64 s[0:1], s[0:1], s[34:35]
	s_orn2_b64 s[40:41], s[38:39], exec
.LBB14_760:
	s_or_b64 exec, exec, s[30:31]
	s_mov_b64 s[38:39], 0
	s_mov_b64 s[34:35], 0
	;; [unrolled: 1-line block ×3, first 2 shown]
                                        ; implicit-def: $vgpr0_vgpr1
                                        ; implicit-def: $vgpr2
	s_and_saveexec_b64 s[30:31], s[40:41]
	s_cbranch_execz .LBB14_841
; %bb.761:
	v_cmp_gt_i32_e32 vcc, s33, v7
	s_mov_b64 s[40:41], 0
	s_mov_b64 s[44:45], s[0:1]
	;; [unrolled: 1-line block ×3, first 2 shown]
                                        ; implicit-def: $vgpr0_vgpr1
                                        ; implicit-def: $vgpr2
	s_and_saveexec_b64 s[34:35], vcc
	s_cbranch_execz .LBB14_840
; %bb.762:
	v_mul_lo_u32 v0, v7, s13
	v_mov_b32_e32 v1, s11
	s_and_b32 s33, 0xffff, s15
	s_cmp_lt_i32 s33, 11
	s_waitcnt vmcnt(0)
	v_ashrrev_i32_e32 v2, 31, v0
	v_add_co_u32_e32 v0, vcc, s10, v0
	v_addc_co_u32_e32 v1, vcc, v1, v2, vcc
	s_cbranch_scc1 .LBB14_769
; %bb.763:
	s_cmp_gt_i32 s33, 25
	s_cbranch_scc0 .LBB14_770
; %bb.764:
	s_cmp_gt_i32 s33, 28
	s_cbranch_scc0 .LBB14_771
	;; [unrolled: 3-line block ×4, first 2 shown]
; %bb.767:
	s_cmp_eq_u32 s33, 46
	s_mov_b64 s[44:45], 0
	s_cbranch_scc0 .LBB14_778
; %bb.768:
	global_load_dword v2, v[0:1], off
	s_mov_b32 s38, 0x2f800000
	s_mov_b32 s39, 0xcf800000
	s_mov_b64 s[42:43], -1
	s_waitcnt vmcnt(0)
	v_lshlrev_b32_e32 v2, 16, v2
	v_trunc_f32_e32 v2, v2
	v_mul_f32_e64 v3, |v2|, s38
	v_floor_f32_e32 v3, v3
	v_fma_f32 v3, v3, s39, |v2|
	v_cvt_u32_f32_e32 v3, v3
	v_ashrrev_i32_e32 v2, 31, v2
	s_mov_b64 s[38:39], 0
	v_xor_b32_e32 v3, v3, v2
	v_sub_u32_e32 v2, v3, v2
	s_branch .LBB14_780
.LBB14_769:
	s_mov_b64 s[44:45], -1
                                        ; implicit-def: $vgpr2
	s_mov_b64 s[38:39], s[0:1]
	s_branch .LBB14_839
.LBB14_770:
	s_mov_b64 s[44:45], -1
	s_mov_b64 s[38:39], s[0:1]
                                        ; implicit-def: $vgpr2
	s_branch .LBB14_807
.LBB14_771:
	s_mov_b64 s[44:45], -1
	s_mov_b64 s[38:39], s[0:1]
                                        ; implicit-def: $vgpr2
	s_branch .LBB14_790
.LBB14_772:
	s_mov_b64 s[44:45], -1
	s_mov_b64 s[38:39], s[0:1]
                                        ; implicit-def: $vgpr2
	s_branch .LBB14_785
.LBB14_773:
	s_andn2_saveexec_b64 s[42:43], s[42:43]
	s_cbranch_execz .LBB14_669
.LBB14_774:
	v_add_f32_e32 v2, 0x46000000, v3
	v_and_b32_e32 v2, 0xff, v2
	v_cmp_ne_u32_e32 vcc, 0, v2
	s_andn2_b64 s[40:41], s[40:41], exec
	s_and_b64 s[46:47], vcc, exec
	s_or_b64 s[40:41], s[40:41], s[46:47]
	s_or_b64 exec, exec, s[42:43]
	v_mov_b32_e32 v4, 0
	s_and_saveexec_b64 s[42:43], s[40:41]
	s_cbranch_execnz .LBB14_670
	s_branch .LBB14_671
.LBB14_775:
	s_mov_b64 s[44:45], -1
	s_mov_b64 s[38:39], s[0:1]
	s_branch .LBB14_779
.LBB14_776:
	s_andn2_saveexec_b64 s[42:43], s[42:43]
	s_cbranch_execz .LBB14_682
.LBB14_777:
	v_add_f32_e32 v2, 0x42800000, v3
	v_and_b32_e32 v2, 0xff, v2
	v_cmp_ne_u32_e32 vcc, 0, v2
	s_andn2_b64 s[40:41], s[40:41], exec
	s_and_b64 s[46:47], vcc, exec
	s_or_b64 s[40:41], s[40:41], s[46:47]
	s_or_b64 exec, exec, s[42:43]
	v_mov_b32_e32 v4, 0
	s_and_saveexec_b64 s[42:43], s[40:41]
	s_cbranch_execnz .LBB14_683
	s_branch .LBB14_684
.LBB14_778:
	s_mov_b64 s[38:39], -1
.LBB14_779:
                                        ; implicit-def: $vgpr2
.LBB14_780:
	s_and_b64 vcc, exec, s[44:45]
	s_cbranch_vccz .LBB14_784
; %bb.781:
	s_cmp_eq_u32 s33, 44
	s_cbranch_scc0 .LBB14_783
; %bb.782:
	global_load_ubyte v2, v[0:1], off
	s_mov_b32 s38, 0x2f800000
	s_mov_b32 s39, 0xcf800000
	s_mov_b64 s[42:43], -1
	s_waitcnt vmcnt(0)
	v_lshlrev_b32_e32 v3, 23, v2
	v_trunc_f32_e32 v3, v3
	v_mul_f32_e64 v4, |v3|, s38
	v_floor_f32_e32 v4, v4
	v_fma_f32 v4, v4, s39, |v3|
	v_cvt_u32_f32_e32 v4, v4
	v_ashrrev_i32_e32 v3, 31, v3
	v_cmp_ne_u32_e32 vcc, 0, v2
	s_mov_b64 s[38:39], 0
	v_xor_b32_e32 v4, v4, v3
	v_sub_u32_e32 v3, v4, v3
	v_cndmask_b32_e32 v2, 0, v3, vcc
	s_branch .LBB14_784
.LBB14_783:
	s_mov_b64 s[38:39], -1
                                        ; implicit-def: $vgpr2
.LBB14_784:
	s_mov_b64 s[44:45], 0
.LBB14_785:
	s_and_b64 vcc, exec, s[44:45]
	s_cbranch_vccz .LBB14_789
; %bb.786:
	s_cmp_eq_u32 s33, 29
	s_cbranch_scc0 .LBB14_788
; %bb.787:
	global_load_dwordx2 v[2:3], v[0:1], off
	s_mov_b64 s[38:39], 0
	s_mov_b64 s[42:43], -1
	s_branch .LBB14_789
.LBB14_788:
	s_mov_b64 s[38:39], -1
                                        ; implicit-def: $vgpr2
.LBB14_789:
	s_mov_b64 s[44:45], 0
.LBB14_790:
	s_and_b64 vcc, exec, s[44:45]
	s_cbranch_vccz .LBB14_806
; %bb.791:
	s_cmp_lt_i32 s33, 27
	s_cbranch_scc1 .LBB14_794
; %bb.792:
	s_cmp_gt_i32 s33, 27
	s_cbranch_scc0 .LBB14_795
; %bb.793:
	global_load_dword v2, v[0:1], off
	s_mov_b64 s[42:43], 0
	s_branch .LBB14_796
.LBB14_794:
	s_mov_b64 s[42:43], -1
                                        ; implicit-def: $vgpr2
	s_branch .LBB14_799
.LBB14_795:
	s_mov_b64 s[42:43], -1
                                        ; implicit-def: $vgpr2
.LBB14_796:
	s_andn2_b64 vcc, exec, s[42:43]
	s_cbranch_vccnz .LBB14_798
; %bb.797:
	global_load_ushort v2, v[0:1], off
.LBB14_798:
	s_mov_b64 s[42:43], 0
.LBB14_799:
	s_andn2_b64 vcc, exec, s[42:43]
	s_cbranch_vccnz .LBB14_805
; %bb.800:
	global_load_ubyte v3, v[0:1], off
	s_movk_i32 s42, 0x7f
	s_mov_b64 s[44:45], 0
	s_waitcnt vmcnt(0)
	v_cmp_lt_i16_e32 vcc, s42, v3
	s_and_saveexec_b64 s[42:43], vcc
	s_xor_b64 s[42:43], exec, s[42:43]
	s_cbranch_execz .LBB14_817
; %bb.801:
	s_movk_i32 s44, 0x80
	v_cmp_ne_u16_e32 vcc, s44, v3
	s_and_b64 s[44:45], vcc, exec
	s_andn2_saveexec_b64 s[42:43], s[42:43]
	s_cbranch_execnz .LBB14_818
.LBB14_802:
	s_or_b64 exec, exec, s[42:43]
	v_mov_b32_e32 v2, 0
	s_and_saveexec_b64 s[42:43], s[44:45]
	s_cbranch_execz .LBB14_804
.LBB14_803:
	v_lshlrev_b32_e32 v2, 24, v3
	v_and_b32_e32 v3, 0xffff, v3
	v_and_b32_e32 v4, 7, v3
	v_ffbh_u32_e32 v6, v4
	v_min_u32_e32 v6, 32, v6
	v_subrev_u32_e32 v8, 28, v6
	v_bfe_u32 v5, v3, 3, 4
	v_lshlrev_b32_e32 v3, v8, v3
	v_sub_u32_e32 v6, 29, v6
	v_and_b32_e32 v3, 7, v3
	v_cmp_eq_u32_e32 vcc, 0, v5
	v_cndmask_b32_e32 v5, v5, v6, vcc
	v_cndmask_b32_e32 v3, v4, v3, vcc
	v_mov_b32_e32 v4, 0x3b800000
	v_lshlrev_b32_e32 v3, 20, v3
	v_and_b32_e32 v2, 0x80000000, v2
	v_lshl_add_u32 v4, v5, 23, v4
	v_or3_b32 v2, v2, v4, v3
	v_trunc_f32_e32 v2, v2
	s_mov_b32 s44, 0x2f800000
	v_mul_f32_e64 v3, |v2|, s44
	v_floor_f32_e32 v3, v3
	s_mov_b32 s44, 0xcf800000
	v_fma_f32 v3, v3, s44, |v2|
	v_cvt_u32_f32_e32 v3, v3
	v_ashrrev_i32_e32 v2, 31, v2
	v_xor_b32_e32 v3, v3, v2
	v_sub_u32_e32 v2, v3, v2
.LBB14_804:
	s_or_b64 exec, exec, s[42:43]
.LBB14_805:
	s_mov_b64 s[42:43], -1
.LBB14_806:
	s_mov_b64 s[44:45], 0
.LBB14_807:
	s_and_b64 vcc, exec, s[44:45]
	s_cbranch_vccz .LBB14_838
; %bb.808:
	s_cmp_gt_i32 s33, 22
	s_cbranch_scc0 .LBB14_816
; %bb.809:
	s_cmp_lt_i32 s33, 24
	s_cbranch_scc1 .LBB14_819
; %bb.810:
	s_cmp_gt_i32 s33, 24
	s_cbranch_scc0 .LBB14_820
; %bb.811:
	global_load_ubyte v3, v[0:1], off
	s_movk_i32 s40, 0x7f
	s_mov_b64 s[42:43], 0
	s_waitcnt vmcnt(0)
	v_cmp_lt_i16_e32 vcc, s40, v3
	s_and_saveexec_b64 s[40:41], vcc
	s_xor_b64 s[40:41], exec, s[40:41]
	s_cbranch_execz .LBB14_832
; %bb.812:
	s_movk_i32 s42, 0x80
	v_cmp_ne_u16_e32 vcc, s42, v3
	s_and_b64 s[42:43], vcc, exec
	s_andn2_saveexec_b64 s[40:41], s[40:41]
	s_cbranch_execnz .LBB14_833
.LBB14_813:
	s_or_b64 exec, exec, s[40:41]
	v_mov_b32_e32 v2, 0
	s_and_saveexec_b64 s[40:41], s[42:43]
	s_cbranch_execz .LBB14_815
.LBB14_814:
	v_lshlrev_b32_e32 v2, 24, v3
	v_and_b32_e32 v3, 0xffff, v3
	v_and_b32_e32 v4, 3, v3
	v_ffbh_u32_e32 v6, v4
	v_min_u32_e32 v6, 32, v6
	v_subrev_u32_e32 v8, 29, v6
	v_bfe_u32 v5, v3, 2, 5
	v_lshlrev_b32_e32 v3, v8, v3
	v_sub_u32_e32 v6, 30, v6
	v_and_b32_e32 v3, 3, v3
	v_cmp_eq_u32_e32 vcc, 0, v5
	v_cndmask_b32_e32 v5, v5, v6, vcc
	v_cndmask_b32_e32 v3, v4, v3, vcc
	v_mov_b32_e32 v4, 0x37800000
	v_lshlrev_b32_e32 v3, 21, v3
	v_and_b32_e32 v2, 0x80000000, v2
	v_lshl_add_u32 v4, v5, 23, v4
	v_or3_b32 v2, v2, v4, v3
	v_trunc_f32_e32 v2, v2
	s_mov_b32 s42, 0x2f800000
	v_mul_f32_e64 v3, |v2|, s42
	v_floor_f32_e32 v3, v3
	s_mov_b32 s42, 0xcf800000
	v_fma_f32 v3, v3, s42, |v2|
	v_cvt_u32_f32_e32 v3, v3
	v_ashrrev_i32_e32 v2, 31, v2
	v_xor_b32_e32 v3, v3, v2
	v_sub_u32_e32 v2, v3, v2
.LBB14_815:
	s_or_b64 exec, exec, s[40:41]
	s_mov_b64 s[40:41], 0
	s_branch .LBB14_821
.LBB14_816:
	s_mov_b64 s[40:41], -1
                                        ; implicit-def: $vgpr2
	s_branch .LBB14_827
.LBB14_817:
	s_andn2_saveexec_b64 s[42:43], s[42:43]
	s_cbranch_execz .LBB14_802
.LBB14_818:
	v_cmp_ne_u16_e32 vcc, 0, v3
	s_andn2_b64 s[44:45], s[44:45], exec
	s_and_b64 s[46:47], vcc, exec
	s_or_b64 s[44:45], s[44:45], s[46:47]
	s_or_b64 exec, exec, s[42:43]
	v_mov_b32_e32 v2, 0
	s_and_saveexec_b64 s[42:43], s[44:45]
	s_cbranch_execnz .LBB14_803
	s_branch .LBB14_804
.LBB14_819:
	s_mov_b64 s[40:41], -1
                                        ; implicit-def: $vgpr2
	s_branch .LBB14_824
.LBB14_820:
	s_mov_b64 s[40:41], -1
                                        ; implicit-def: $vgpr2
.LBB14_821:
	s_and_b64 vcc, exec, s[40:41]
	s_cbranch_vccz .LBB14_823
; %bb.822:
	global_load_ubyte v2, v[0:1], off
	s_mov_b32 s40, 0x7f800000
	s_brev_b32 s41, 1
	s_mov_b32 s42, 0x2f800000
	s_waitcnt vmcnt(0)
	v_lshlrev_b32_e32 v2, 24, v2
	v_and_b32_e32 v3, 0x7f000000, v2
	v_ffbh_u32_e32 v4, v3
	v_min_u32_e32 v4, 32, v4
	v_sub_u32_e64 v4, v4, 4 clamp
	v_lshlrev_b32_e32 v6, v4, v3
	v_lshlrev_b32_e32 v4, 23, v4
	v_lshrrev_b32_e32 v6, 4, v6
	v_add_u32_e32 v5, 0x1000000, v3
	v_sub_u32_e32 v4, v6, v4
	v_ashrrev_i32_e32 v5, 8, v5
	v_add_u32_e32 v4, 0x3c000000, v4
	v_and_or_b32 v4, v5, s40, v4
	v_cmp_ne_u32_e32 vcc, 0, v3
	v_cndmask_b32_e32 v3, 0, v4, vcc
	v_and_or_b32 v2, v2, s41, v3
	v_trunc_f32_e32 v2, v2
	v_mul_f32_e64 v3, |v2|, s42
	v_floor_f32_e32 v3, v3
	s_mov_b32 s40, 0xcf800000
	v_fma_f32 v3, v3, s40, |v2|
	v_cvt_u32_f32_e32 v3, v3
	v_ashrrev_i32_e32 v2, 31, v2
	v_xor_b32_e32 v3, v3, v2
	v_sub_u32_e32 v2, v3, v2
.LBB14_823:
	s_mov_b64 s[40:41], 0
.LBB14_824:
	s_andn2_b64 vcc, exec, s[40:41]
	s_cbranch_vccnz .LBB14_826
; %bb.825:
	global_load_ubyte v2, v[0:1], off
	s_movk_i32 s40, 0x7f00
	s_brev_b32 s41, 16
	s_brev_b32 s42, 1
	s_mov_b32 s43, 0x2f800000
	s_waitcnt vmcnt(0)
	v_lshlrev_b16_e32 v3, 8, v2
	v_lshlrev_b32_e32 v2, 25, v2
	v_lshrrev_b32_e32 v4, 4, v2
	v_and_or_b32 v5, v3, s40, 0.5
	v_or_b32_e32 v4, 0x70000000, v4
	v_add_f32_e32 v5, -0.5, v5
	v_mul_f32_e32 v4, 0x7800000, v4
	v_cmp_gt_u32_e32 vcc, s41, v2
	v_bfe_i32 v3, v3, 0, 16
	v_cndmask_b32_e32 v2, v4, v5, vcc
	v_and_or_b32 v2, v3, s42, v2
	v_trunc_f32_e32 v2, v2
	v_mul_f32_e64 v3, |v2|, s43
	v_floor_f32_e32 v3, v3
	s_mov_b32 s40, 0xcf800000
	v_fma_f32 v3, v3, s40, |v2|
	v_cvt_u32_f32_e32 v3, v3
	v_ashrrev_i32_e32 v2, 31, v2
	v_xor_b32_e32 v3, v3, v2
	v_sub_u32_e32 v2, v3, v2
.LBB14_826:
	s_mov_b64 s[40:41], 0
	s_mov_b64 s[42:43], -1
.LBB14_827:
	s_andn2_b64 vcc, exec, s[40:41]
	s_mov_b64 s[40:41], 0
	s_cbranch_vccnz .LBB14_838
; %bb.828:
	s_cmp_gt_i32 s33, 14
	s_cbranch_scc0 .LBB14_831
; %bb.829:
	s_cmp_eq_u32 s33, 15
	s_cbranch_scc0 .LBB14_834
; %bb.830:
	global_load_ushort v2, v[0:1], off
	s_mov_b32 s38, 0x2f800000
	s_mov_b32 s39, 0xcf800000
	s_mov_b64 s[42:43], -1
	s_waitcnt vmcnt(0)
	v_lshlrev_b32_e32 v2, 16, v2
	v_trunc_f32_e32 v2, v2
	v_mul_f32_e64 v3, |v2|, s38
	v_floor_f32_e32 v3, v3
	v_fma_f32 v3, v3, s39, |v2|
	v_cvt_u32_f32_e32 v3, v3
	v_ashrrev_i32_e32 v2, 31, v2
	s_mov_b64 s[38:39], 0
	v_xor_b32_e32 v3, v3, v2
	v_sub_u32_e32 v2, v3, v2
	s_branch .LBB14_835
.LBB14_831:
	s_mov_b64 s[44:45], -1
                                        ; implicit-def: $vgpr2
	s_branch .LBB14_836
.LBB14_832:
	s_andn2_saveexec_b64 s[40:41], s[40:41]
	s_cbranch_execz .LBB14_813
.LBB14_833:
	v_cmp_ne_u16_e32 vcc, 0, v3
	s_andn2_b64 s[42:43], s[42:43], exec
	s_and_b64 s[44:45], vcc, exec
	s_or_b64 s[42:43], s[42:43], s[44:45]
	s_or_b64 exec, exec, s[40:41]
	v_mov_b32_e32 v2, 0
	s_and_saveexec_b64 s[40:41], s[42:43]
	s_cbranch_execnz .LBB14_814
	s_branch .LBB14_815
.LBB14_834:
	s_mov_b64 s[38:39], -1
                                        ; implicit-def: $vgpr2
.LBB14_835:
	s_mov_b64 s[44:45], 0
.LBB14_836:
	s_and_b64 vcc, exec, s[44:45]
	s_cbranch_vccz .LBB14_838
; %bb.837:
	s_cmp_lg_u32 s33, 11
	s_cselect_b64 s[44:45], -1, 0
	s_andn2_b64 s[38:39], s[38:39], exec
	s_and_b64 s[44:45], s[44:45], exec
	s_mov_b64 s[40:41], -1
	s_or_b64 s[38:39], s[38:39], s[44:45]
.LBB14_838:
	s_mov_b64 s[44:45], 0
.LBB14_839:
	s_and_b64 s[46:47], s[44:45], exec
	s_andn2_b64 s[44:45], s[0:1], exec
	s_and_b64 s[38:39], s[38:39], exec
	s_and_b64 s[42:43], s[42:43], exec
	;; [unrolled: 1-line block ×3, first 2 shown]
	s_or_b64 s[44:45], s[44:45], s[38:39]
.LBB14_840:
	s_or_b64 exec, exec, s[34:35]
	s_and_b64 s[38:39], s[40:41], exec
	s_andn2_b64 s[0:1], s[0:1], exec
	s_and_b64 s[40:41], s[44:45], exec
	s_and_b64 s[42:43], s[42:43], exec
	;; [unrolled: 1-line block ×3, first 2 shown]
	s_or_b64 s[0:1], s[0:1], s[40:41]
.LBB14_841:
	s_or_b64 exec, exec, s[30:31]
	s_andn2_b64 s[26:27], s[26:27], exec
	s_and_b64 s[30:31], s[36:37], exec
	s_andn2_b64 s[24:25], s[24:25], exec
	s_and_b64 s[0:1], s[0:1], exec
	s_or_b64 s[26:27], s[26:27], s[30:31]
	s_and_b64 s[36:37], s[42:43], exec
	s_and_b64 s[34:35], s[34:35], exec
	;; [unrolled: 1-line block ×3, first 2 shown]
	s_or_b64 s[24:25], s[24:25], s[0:1]
.LBB14_842:
	s_or_b64 exec, exec, s[28:29]
	s_andn2_b64 s[0:1], s[18:19], exec
	s_and_b64 s[18:19], s[26:27], exec
	s_andn2_b64 s[20:21], s[20:21], exec
	s_and_b64 s[24:25], s[24:25], exec
	s_or_b64 s[18:19], s[0:1], s[18:19]
	s_and_b64 s[0:1], s[36:37], exec
	s_and_b64 s[28:29], s[34:35], exec
	;; [unrolled: 1-line block ×3, first 2 shown]
	s_or_b64 s[20:21], s[20:21], s[24:25]
	s_or_b64 exec, exec, s[22:23]
	s_mov_b64 s[22:23], 0
	s_and_saveexec_b64 s[24:25], s[20:21]
	s_cbranch_execz .LBB14_258
.LBB14_843:
	s_mov_b64 s[22:23], exec
	s_andn2_b64 s[26:27], s[26:27], exec
	s_trap 2
	s_or_b64 exec, exec, s[24:25]
	s_and_saveexec_b64 s[20:21], s[26:27]
	s_xor_b64 s[20:21], exec, s[20:21]
	s_cbranch_execnz .LBB14_259
.LBB14_844:
	s_or_b64 exec, exec, s[20:21]
	s_and_saveexec_b64 s[20:21], s[28:29]
	s_cbranch_execz .LBB14_890
.LBB14_845:
	s_sext_i32_i16 s24, s15
	s_cmp_lt_i32 s24, 5
	s_cbranch_scc1 .LBB14_850
; %bb.846:
	s_cmp_lt_i32 s24, 8
	s_cbranch_scc1 .LBB14_851
; %bb.847:
	;; [unrolled: 3-line block ×3, first 2 shown]
	s_cmp_gt_i32 s24, 9
	s_cbranch_scc0 .LBB14_853
; %bb.849:
	global_load_dwordx2 v[2:3], v[0:1], off
	s_movk_i32 s24, 0xffe0
	s_waitcnt vmcnt(0)
	v_trunc_f64_e32 v[2:3], v[2:3]
	v_ldexp_f64 v[4:5], v[2:3], s24
	s_mov_b32 s24, 0
	s_mov_b32 s25, 0xc1f00000
	v_floor_f64_e32 v[4:5], v[4:5]
	v_fma_f64 v[2:3], v[4:5], s[24:25], v[2:3]
	s_mov_b64 s[24:25], 0
	v_cvt_u32_f64_e32 v2, v[2:3]
	s_branch .LBB14_854
.LBB14_850:
                                        ; implicit-def: $vgpr2
	s_branch .LBB14_871
.LBB14_851:
                                        ; implicit-def: $vgpr2
	s_branch .LBB14_860
.LBB14_852:
	s_mov_b64 s[24:25], -1
                                        ; implicit-def: $vgpr2
	s_branch .LBB14_857
.LBB14_853:
	s_mov_b64 s[24:25], -1
                                        ; implicit-def: $vgpr2
.LBB14_854:
	s_andn2_b64 vcc, exec, s[24:25]
	s_cbranch_vccnz .LBB14_856
; %bb.855:
	global_load_dword v2, v[0:1], off
	s_mov_b32 s24, 0x2f800000
	s_waitcnt vmcnt(0)
	v_trunc_f32_e32 v2, v2
	v_mul_f32_e64 v3, |v2|, s24
	v_floor_f32_e32 v3, v3
	s_mov_b32 s24, 0xcf800000
	v_fma_f32 v3, v3, s24, |v2|
	v_cvt_u32_f32_e32 v3, v3
	v_ashrrev_i32_e32 v2, 31, v2
	v_xor_b32_e32 v3, v3, v2
	v_sub_u32_e32 v2, v3, v2
.LBB14_856:
	s_mov_b64 s[24:25], 0
.LBB14_857:
	s_andn2_b64 vcc, exec, s[24:25]
	s_cbranch_vccnz .LBB14_859
; %bb.858:
	global_load_dword v2, v[0:1], off
	s_waitcnt vmcnt(0)
	v_cvt_f32_f16_e32 v2, v2
	v_cvt_i32_f32_e32 v2, v2
.LBB14_859:
	s_cbranch_execnz .LBB14_870
.LBB14_860:
	s_sext_i32_i16 s24, s15
	s_cmp_lt_i32 s24, 6
	s_cbranch_scc1 .LBB14_863
; %bb.861:
	s_cmp_gt_i32 s24, 6
	s_cbranch_scc0 .LBB14_864
; %bb.862:
	global_load_dwordx2 v[2:3], v[0:1], off
	s_movk_i32 s24, 0xffe0
	s_waitcnt vmcnt(0)
	v_trunc_f64_e32 v[2:3], v[2:3]
	v_ldexp_f64 v[4:5], v[2:3], s24
	s_mov_b32 s24, 0
	s_mov_b32 s25, 0xc1f00000
	v_floor_f64_e32 v[4:5], v[4:5]
	v_fma_f64 v[2:3], v[4:5], s[24:25], v[2:3]
	s_mov_b64 s[24:25], 0
	v_cvt_u32_f64_e32 v2, v[2:3]
	s_branch .LBB14_865
.LBB14_863:
	s_mov_b64 s[24:25], -1
                                        ; implicit-def: $vgpr2
	s_branch .LBB14_868
.LBB14_864:
	s_mov_b64 s[24:25], -1
                                        ; implicit-def: $vgpr2
.LBB14_865:
	s_andn2_b64 vcc, exec, s[24:25]
	s_cbranch_vccnz .LBB14_867
; %bb.866:
	global_load_dword v2, v[0:1], off
	s_mov_b32 s24, 0x2f800000
	s_waitcnt vmcnt(0)
	v_trunc_f32_e32 v2, v2
	v_mul_f32_e64 v3, |v2|, s24
	v_floor_f32_e32 v3, v3
	s_mov_b32 s24, 0xcf800000
	v_fma_f32 v3, v3, s24, |v2|
	v_cvt_u32_f32_e32 v3, v3
	v_ashrrev_i32_e32 v2, 31, v2
	v_xor_b32_e32 v3, v3, v2
	v_sub_u32_e32 v2, v3, v2
.LBB14_867:
	s_mov_b64 s[24:25], 0
.LBB14_868:
	s_andn2_b64 vcc, exec, s[24:25]
	s_cbranch_vccnz .LBB14_870
; %bb.869:
	global_load_ushort v2, v[0:1], off
	s_waitcnt vmcnt(0)
	v_cvt_f32_f16_e32 v2, v2
	v_cvt_i32_f32_e32 v2, v2
.LBB14_870:
	s_cbranch_execnz .LBB14_889
.LBB14_871:
	s_sext_i32_i16 s24, s15
	s_cmp_lt_i32 s24, 2
	s_cbranch_scc1 .LBB14_875
; %bb.872:
	s_cmp_lt_i32 s24, 3
	s_cbranch_scc1 .LBB14_876
; %bb.873:
	s_cmp_gt_i32 s24, 3
	s_cbranch_scc0 .LBB14_877
; %bb.874:
	global_load_dwordx2 v[2:3], v[0:1], off
	s_mov_b64 s[24:25], 0
	s_branch .LBB14_878
.LBB14_875:
                                        ; implicit-def: $vgpr2
	s_branch .LBB14_884
.LBB14_876:
	s_mov_b64 s[24:25], -1
                                        ; implicit-def: $vgpr2
	s_branch .LBB14_881
.LBB14_877:
	s_mov_b64 s[24:25], -1
                                        ; implicit-def: $vgpr2
.LBB14_878:
	s_andn2_b64 vcc, exec, s[24:25]
	s_cbranch_vccnz .LBB14_880
; %bb.879:
	global_load_dword v2, v[0:1], off
.LBB14_880:
	s_mov_b64 s[24:25], 0
.LBB14_881:
	s_andn2_b64 vcc, exec, s[24:25]
	s_cbranch_vccnz .LBB14_883
; %bb.882:
	global_load_ushort v2, v[0:1], off
.LBB14_883:
	s_cbranch_execnz .LBB14_889
.LBB14_884:
	s_sext_i32_i16 s24, s15
	s_cmp_gt_i32 s24, 0
	s_cbranch_scc0 .LBB14_886
; %bb.885:
	global_load_ubyte v2, v[0:1], off
	s_mov_b64 s[24:25], 0
	s_branch .LBB14_887
.LBB14_886:
	s_mov_b64 s[24:25], -1
                                        ; implicit-def: $vgpr2
.LBB14_887:
	s_andn2_b64 vcc, exec, s[24:25]
	s_cbranch_vccnz .LBB14_889
; %bb.888:
	global_load_ubyte v2, v[0:1], off
.LBB14_889:
	s_or_b64 s[0:1], s[0:1], exec
.LBB14_890:
	s_or_b64 exec, exec, s[20:21]
	s_mov_b64 s[28:29], 0
	s_mov_b64 s[26:27], 0
                                        ; implicit-def: $sgpr20_sgpr21
                                        ; implicit-def: $sgpr33
                                        ; implicit-def: $vgpr0_vgpr1
	s_and_saveexec_b64 s[24:25], s[0:1]
	s_cbranch_execz .LBB14_965
; %bb.891:
	v_mul_lo_u32 v0, v7, s12
	s_and_b32 s0, s2, 0xff
	s_waitcnt vmcnt(0)
	v_cmp_ne_u16_sdwa s[0:1], s0, v2 src0_sel:DWORD src1_sel:BYTE_0
	s_xor_b64 s[20:21], s[16:17], s[0:1]
	v_ashrrev_i32_e32 v1, 31, v0
	v_mov_b32_e32 v2, s9
	s_and_b32 s33, s3, 0xff
	v_add_co_u32_e32 v0, vcc, s8, v0
	s_cmp_lt_i32 s33, 11
	v_addc_co_u32_e32 v1, vcc, v2, v1, vcc
	s_cbranch_scc1 .LBB14_968
; %bb.892:
	s_and_b32 s34, 0xffff, s33
	s_mov_b64 s[26:27], -1
	s_cmp_gt_i32 s34, 25
	s_mov_b64 s[0:1], s[18:19]
	s_cbranch_scc0 .LBB14_925
; %bb.893:
	s_mov_b64 s[16:17], -1
	s_cmp_gt_i32 s34, 28
	s_mov_b64 s[0:1], s[18:19]
	s_cbranch_scc0 .LBB14_909
; %bb.894:
	s_cmp_gt_i32 s34, 43
	s_mov_b64 s[0:1], s[18:19]
	s_cbranch_scc0 .LBB14_905
; %bb.895:
	;; [unrolled: 4-line block ×3, first 2 shown]
	s_cmp_eq_u32 s34, 46
	s_mov_b64 s[0:1], -1
	s_cbranch_scc0 .LBB14_898
; %bb.897:
	v_cndmask_b32_e64 v2, 0, 1.0, s[20:21]
	v_bfe_u32 v3, v2, 16, 1
	s_movk_i32 s0, 0x7fff
	v_add3_u32 v2, v2, v3, s0
	v_lshrrev_b32_e32 v2, 16, v2
	global_store_dword v[0:1], v2, off
	s_mov_b64 s[0:1], 0
.LBB14_898:
	s_mov_b64 s[16:17], 0
.LBB14_899:
	s_and_b64 vcc, exec, s[16:17]
	s_cbranch_vccz .LBB14_904
; %bb.900:
	s_cmp_eq_u32 s34, 44
	s_mov_b64 s[0:1], -1
	s_cbranch_scc0 .LBB14_904
; %bb.901:
	v_cndmask_b32_e64 v3, 0, 1.0, s[20:21]
	v_lshrrev_b32_e32 v2, 23, v3
	s_movk_i32 s0, 0xff
	v_cmp_ne_u32_e32 vcc, s0, v2
	v_mov_b32_e32 v4, 0xff
	s_and_saveexec_b64 s[16:17], vcc
; %bb.902:
	s_mov_b32 s0, 0x3fffff
	v_and_b32_e32 v4, 0x400000, v3
	v_and_or_b32 v3, v3, s0, v2
	v_cmp_ne_u32_e32 vcc, 0, v4
	v_cmp_ne_u32_e64 s[0:1], 0, v3
	s_and_b64 s[0:1], vcc, s[0:1]
	v_cndmask_b32_e64 v3, 0, 1, s[0:1]
	v_add_u32_e32 v4, v2, v3
; %bb.903:
	s_or_b64 exec, exec, s[16:17]
	s_mov_b64 s[0:1], 0
	global_store_byte v[0:1], v4, off
.LBB14_904:
	s_mov_b64 s[16:17], 0
.LBB14_905:
	s_and_b64 vcc, exec, s[16:17]
	s_cbranch_vccz .LBB14_908
; %bb.906:
	s_cmp_eq_u32 s34, 29
	s_mov_b64 s[0:1], -1
	s_cbranch_scc0 .LBB14_908
; %bb.907:
	s_mov_b32 s0, 0
	v_cndmask_b32_e64 v2, 0, 1, s[20:21]
	v_mov_b32_e32 v3, s0
	global_store_dwordx2 v[0:1], v[2:3], off
	s_mov_b64 s[0:1], 0
.LBB14_908:
	s_mov_b64 s[16:17], 0
.LBB14_909:
	s_and_b64 vcc, exec, s[16:17]
	s_cbranch_vccz .LBB14_924
; %bb.910:
	s_cmp_lt_i32 s34, 27
	s_mov_b64 s[16:17], -1
	s_cbranch_scc1 .LBB14_916
; %bb.911:
	s_cmp_gt_i32 s34, 27
	v_cndmask_b32_e64 v2, 0, 1, s[20:21]
	s_cbranch_scc0 .LBB14_913
; %bb.912:
	s_mov_b64 s[16:17], 0
	global_store_dword v[0:1], v2, off
.LBB14_913:
	s_andn2_b64 vcc, exec, s[16:17]
	s_cbranch_vccnz .LBB14_915
; %bb.914:
	global_store_short v[0:1], v2, off
.LBB14_915:
	s_mov_b64 s[16:17], 0
.LBB14_916:
	s_andn2_b64 vcc, exec, s[16:17]
	s_cbranch_vccnz .LBB14_924
; %bb.917:
	v_cndmask_b32_e64 v3, 0, 1.0, s[20:21]
	s_mov_b32 s16, 0x43800000
	v_cmp_gt_u32_e32 vcc, s16, v3
	v_mov_b32_e32 v4, 0x80
	s_and_saveexec_b64 s[16:17], vcc
	s_cbranch_execz .LBB14_923
; %bb.918:
	s_mov_b32 s26, 0x3bffffff
	v_cmp_lt_u32_e32 vcc, s26, v3
	s_mov_b64 s[26:27], 0
                                        ; implicit-def: $vgpr2
	s_and_saveexec_b64 s[28:29], vcc
	s_xor_b64 s[28:29], exec, s[28:29]
	s_cbranch_execz .LBB14_1025
; %bb.919:
	v_bfe_u32 v2, v3, 20, 1
	s_mov_b32 s30, 0x487ffff
	v_add3_u32 v2, v3, v2, s30
	s_mov_b64 s[26:27], exec
	v_lshrrev_b32_e32 v2, 20, v2
                                        ; implicit-def: $vgpr3
	s_andn2_saveexec_b64 s[28:29], s[28:29]
	s_cbranch_execnz .LBB14_1026
.LBB14_920:
	s_or_b64 exec, exec, s[28:29]
	v_mov_b32_e32 v4, 0
	s_and_saveexec_b64 s[28:29], s[26:27]
.LBB14_921:
	v_mov_b32_e32 v4, v2
.LBB14_922:
	s_or_b64 exec, exec, s[28:29]
.LBB14_923:
	s_or_b64 exec, exec, s[16:17]
	global_store_byte v[0:1], v4, off
.LBB14_924:
	s_mov_b64 s[26:27], 0
.LBB14_925:
	s_mov_b64 s[16:17], 0
	s_and_b64 vcc, exec, s[26:27]
	s_cbranch_vccz .LBB14_969
; %bb.926:
	s_cmp_gt_i32 s34, 22
	s_mov_b64 s[26:27], -1
	s_cbranch_scc0 .LBB14_958
; %bb.927:
	s_cmp_lt_i32 s34, 24
	s_cbranch_scc1 .LBB14_947
; %bb.928:
	s_cmp_gt_i32 s34, 24
	s_cbranch_scc0 .LBB14_936
; %bb.929:
	v_cndmask_b32_e64 v3, 0, 1.0, s[20:21]
	s_mov_b32 s26, 0x47800000
	v_cmp_gt_u32_e32 vcc, s26, v3
	v_mov_b32_e32 v4, 0x80
	s_and_saveexec_b64 s[26:27], vcc
	s_cbranch_execz .LBB14_935
; %bb.930:
	s_mov_b32 s28, 0x37ffffff
	v_cmp_lt_u32_e32 vcc, s28, v3
	s_mov_b64 s[28:29], 0
                                        ; implicit-def: $vgpr2
	s_and_saveexec_b64 s[30:31], vcc
	s_xor_b64 s[30:31], exec, s[30:31]
	s_cbranch_execz .LBB14_1145
; %bb.931:
	v_bfe_u32 v2, v3, 21, 1
	s_mov_b32 s35, 0x88fffff
	v_add3_u32 v2, v3, v2, s35
	s_mov_b64 s[28:29], exec
	v_lshrrev_b32_e32 v2, 21, v2
                                        ; implicit-def: $vgpr3
	s_andn2_saveexec_b64 s[30:31], s[30:31]
	s_cbranch_execnz .LBB14_1146
.LBB14_932:
	s_or_b64 exec, exec, s[30:31]
	v_mov_b32_e32 v4, 0
	s_and_saveexec_b64 s[30:31], s[28:29]
.LBB14_933:
	v_mov_b32_e32 v4, v2
.LBB14_934:
	s_or_b64 exec, exec, s[30:31]
.LBB14_935:
	s_or_b64 exec, exec, s[26:27]
	s_mov_b64 s[26:27], 0
	global_store_byte v[0:1], v4, off
.LBB14_936:
	s_and_b64 vcc, exec, s[26:27]
	s_cbranch_vccz .LBB14_946
; %bb.937:
	v_cndmask_b32_e64 v2, 0, 1.0, s[20:21]
	s_mov_b32 s26, 0x43f00000
	v_cmp_gt_u32_e32 vcc, s26, v2
                                        ; implicit-def: $vgpr3
	s_and_saveexec_b64 s[26:27], vcc
	s_xor_b64 s[26:27], exec, s[26:27]
	s_cbranch_execz .LBB14_943
; %bb.938:
	s_mov_b32 s28, 0x3c7fffff
	v_cmp_lt_u32_e32 vcc, s28, v2
                                        ; implicit-def: $vgpr3
	s_and_saveexec_b64 s[28:29], vcc
	s_xor_b64 s[28:29], exec, s[28:29]
; %bb.939:
	v_bfe_u32 v3, v2, 20, 1
	s_mov_b32 s30, 0x407ffff
	v_add3_u32 v2, v2, v3, s30
	v_lshrrev_b32_e32 v3, 20, v2
	v_and_b32_e32 v2, 0xff00000, v2
	s_mov_b32 s30, 0x7f00000
	v_mov_b32_e32 v4, 0x7e
	v_cmp_ne_u32_e32 vcc, s30, v2
	v_cndmask_b32_e32 v3, v4, v3, vcc
                                        ; implicit-def: $vgpr2
; %bb.940:
	s_andn2_saveexec_b64 s[28:29], s[28:29]
; %bb.941:
	v_add_f32_e32 v3, 0x46800000, v2
; %bb.942:
	s_or_b64 exec, exec, s[28:29]
                                        ; implicit-def: $vgpr2
.LBB14_943:
	s_andn2_saveexec_b64 s[26:27], s[26:27]
; %bb.944:
	s_mov_b32 s28, 0x7f800000
	v_mov_b32_e32 v3, 0x7e
	v_mov_b32_e32 v4, 0x7f
	v_cmp_lt_u32_e32 vcc, s28, v2
	v_cndmask_b32_e32 v3, v3, v4, vcc
; %bb.945:
	s_or_b64 exec, exec, s[26:27]
	global_store_byte v[0:1], v3, off
.LBB14_946:
	s_mov_b64 s[26:27], 0
.LBB14_947:
	s_andn2_b64 vcc, exec, s[26:27]
	s_cbranch_vccnz .LBB14_957
; %bb.948:
	v_cndmask_b32_e64 v2, 0, 1.0, s[20:21]
	s_mov_b32 s26, 0x47800000
	v_cmp_gt_u32_e32 vcc, s26, v2
                                        ; implicit-def: $vgpr3
	s_and_saveexec_b64 s[26:27], vcc
	s_xor_b64 s[26:27], exec, s[26:27]
	s_cbranch_execz .LBB14_954
; %bb.949:
	s_mov_b32 s28, 0x387fffff
	v_cmp_lt_u32_e32 vcc, s28, v2
                                        ; implicit-def: $vgpr3
	s_and_saveexec_b64 s[28:29], vcc
	s_xor_b64 s[28:29], exec, s[28:29]
; %bb.950:
	v_bfe_u32 v3, v2, 21, 1
	s_mov_b32 s30, 0x80fffff
	v_add3_u32 v2, v2, v3, s30
	v_lshrrev_b32_e32 v3, 21, v2
                                        ; implicit-def: $vgpr2
; %bb.951:
	s_andn2_saveexec_b64 s[28:29], s[28:29]
; %bb.952:
	v_add_f32_e32 v3, 0x43000000, v2
; %bb.953:
	s_or_b64 exec, exec, s[28:29]
                                        ; implicit-def: $vgpr2
.LBB14_954:
	s_andn2_saveexec_b64 s[26:27], s[26:27]
; %bb.955:
	s_mov_b32 s28, 0x7f800000
	v_mov_b32_e32 v3, 0x7c
	v_mov_b32_e32 v4, 0x7f
	v_cmp_lt_u32_e32 vcc, s28, v2
	v_cndmask_b32_e32 v3, v3, v4, vcc
; %bb.956:
	s_or_b64 exec, exec, s[26:27]
	global_store_byte v[0:1], v3, off
.LBB14_957:
	s_mov_b64 s[26:27], 0
.LBB14_958:
	s_andn2_b64 vcc, exec, s[26:27]
	s_mov_b64 s[28:29], 0
	s_cbranch_vccnz .LBB14_970
; %bb.959:
	s_cmp_gt_i32 s34, 14
	s_mov_b64 s[26:27], -1
	s_cbranch_scc0 .LBB14_963
; %bb.960:
	s_cmp_eq_u32 s34, 15
	s_mov_b64 s[0:1], -1
	s_cbranch_scc0 .LBB14_962
; %bb.961:
	v_cndmask_b32_e64 v2, 0, 1.0, s[20:21]
	v_bfe_u32 v3, v2, 16, 1
	s_movk_i32 s0, 0x7fff
	v_add3_u32 v2, v2, v3, s0
	global_store_short_d16_hi v[0:1], v2, off
	s_mov_b64 s[0:1], 0
.LBB14_962:
	s_mov_b64 s[26:27], 0
.LBB14_963:
	s_and_b64 vcc, exec, s[26:27]
	s_cbranch_vccz .LBB14_970
; %bb.964:
	s_cmp_lg_u32 s34, 11
	s_cselect_b64 s[26:27], -1, 0
	s_andn2_b64 s[0:1], s[0:1], exec
	s_and_b64 s[26:27], s[26:27], exec
	s_mov_b64 s[28:29], -1
	s_or_b64 s[0:1], s[0:1], s[26:27]
	s_branch .LBB14_970
.LBB14_965:
	s_or_b64 exec, exec, s[24:25]
	s_and_saveexec_b64 s[0:1], s[18:19]
	s_cbranch_execnz .LBB14_971
.LBB14_966:
	s_or_b64 exec, exec, s[0:1]
	s_and_saveexec_b64 s[0:1], s[28:29]
	s_xor_b64 s[0:1], exec, s[0:1]
	s_cbranch_execz .LBB14_972
.LBB14_967:
	s_waitcnt vmcnt(0)
	v_cndmask_b32_e64 v2, 0, 1, s[20:21]
	global_store_byte v[0:1], v2, off
	s_or_b64 exec, exec, s[0:1]
	s_and_saveexec_b64 s[0:1], s[26:27]
	s_xor_b64 s[0:1], exec, s[0:1]
	s_cbranch_execz .LBB14_1010
	s_branch .LBB14_973
.LBB14_968:
	s_mov_b64 s[16:17], -1
	s_mov_b64 s[0:1], s[18:19]
	s_branch .LBB14_970
.LBB14_969:
	s_mov_b64 s[28:29], 0
.LBB14_970:
	s_and_b64 s[26:27], s[16:17], exec
	s_andn2_b64 s[16:17], s[18:19], exec
	s_and_b64 s[0:1], s[0:1], exec
	s_and_b64 s[28:29], s[28:29], exec
	s_or_b64 s[18:19], s[16:17], s[0:1]
	s_or_b64 exec, exec, s[24:25]
	s_and_saveexec_b64 s[0:1], s[18:19]
	s_cbranch_execz .LBB14_966
.LBB14_971:
	s_or_b64 s[22:23], s[22:23], exec
	s_andn2_b64 s[28:29], s[28:29], exec
	s_trap 2
	s_or_b64 exec, exec, s[0:1]
	s_and_saveexec_b64 s[0:1], s[28:29]
	s_xor_b64 s[0:1], exec, s[0:1]
	s_cbranch_execnz .LBB14_967
.LBB14_972:
	s_or_b64 exec, exec, s[0:1]
	s_and_saveexec_b64 s[0:1], s[26:27]
	s_xor_b64 s[0:1], exec, s[0:1]
	s_cbranch_execz .LBB14_1010
.LBB14_973:
	s_sext_i32_i16 s18, s33
	s_cmp_lt_i32 s18, 5
	s_mov_b64 s[16:17], -1
	s_cbranch_scc1 .LBB14_994
; %bb.974:
	s_cmp_lt_i32 s18, 8
	s_cbranch_scc1 .LBB14_984
; %bb.975:
	s_cmp_lt_i32 s18, 9
	s_cbranch_scc1 .LBB14_981
; %bb.976:
	s_cmp_gt_i32 s18, 9
	s_cbranch_scc0 .LBB14_978
; %bb.977:
	s_waitcnt vmcnt(0)
	v_cndmask_b32_e64 v2, 0, 1, s[20:21]
	v_cvt_f64_u32_e32 v[2:3], v2
	v_mov_b32_e32 v4, 0
	v_mov_b32_e32 v5, v4
	s_mov_b64 s[16:17], 0
	global_store_dwordx4 v[0:1], v[2:5], off
.LBB14_978:
	s_andn2_b64 vcc, exec, s[16:17]
	s_cbranch_vccnz .LBB14_980
; %bb.979:
	s_waitcnt vmcnt(0)
	v_cndmask_b32_e64 v2, 0, 1.0, s[20:21]
	v_mov_b32_e32 v3, 0
	global_store_dwordx2 v[0:1], v[2:3], off
.LBB14_980:
	s_mov_b64 s[16:17], 0
.LBB14_981:
	s_andn2_b64 vcc, exec, s[16:17]
	s_cbranch_vccnz .LBB14_983
; %bb.982:
	s_waitcnt vmcnt(0)
	v_cndmask_b32_e64 v2, 0, 1.0, s[20:21]
	v_cvt_f16_f32_e32 v2, v2
	global_store_dword v[0:1], v2, off
.LBB14_983:
	s_mov_b64 s[16:17], 0
.LBB14_984:
	s_andn2_b64 vcc, exec, s[16:17]
	s_cbranch_vccnz .LBB14_993
; %bb.985:
	s_sext_i32_i16 s18, s33
	s_cmp_lt_i32 s18, 6
	s_mov_b64 s[16:17], -1
	s_cbranch_scc1 .LBB14_991
; %bb.986:
	s_cmp_gt_i32 s18, 6
	s_cbranch_scc0 .LBB14_988
; %bb.987:
	s_waitcnt vmcnt(0)
	v_cndmask_b32_e64 v2, 0, 1, s[20:21]
	v_cvt_f64_u32_e32 v[2:3], v2
	s_mov_b64 s[16:17], 0
	global_store_dwordx2 v[0:1], v[2:3], off
.LBB14_988:
	s_andn2_b64 vcc, exec, s[16:17]
	s_cbranch_vccnz .LBB14_990
; %bb.989:
	s_waitcnt vmcnt(0)
	v_cndmask_b32_e64 v2, 0, 1.0, s[20:21]
	global_store_dword v[0:1], v2, off
.LBB14_990:
	s_mov_b64 s[16:17], 0
.LBB14_991:
	s_andn2_b64 vcc, exec, s[16:17]
	s_cbranch_vccnz .LBB14_993
; %bb.992:
	s_waitcnt vmcnt(0)
	v_cndmask_b32_e64 v2, 0, 1.0, s[20:21]
	v_cvt_f16_f32_e32 v2, v2
	global_store_short v[0:1], v2, off
.LBB14_993:
	s_mov_b64 s[16:17], 0
.LBB14_994:
	s_andn2_b64 vcc, exec, s[16:17]
	s_cbranch_vccnz .LBB14_1010
; %bb.995:
	s_sext_i32_i16 s18, s33
	s_cmp_lt_i32 s18, 2
	s_mov_b64 s[16:17], -1
	s_cbranch_scc1 .LBB14_1005
; %bb.996:
	s_cmp_lt_i32 s18, 3
	s_cbranch_scc1 .LBB14_1002
; %bb.997:
	s_cmp_gt_i32 s18, 3
	s_cbranch_scc0 .LBB14_999
; %bb.998:
	s_mov_b32 s16, 0
	s_waitcnt vmcnt(0)
	v_cndmask_b32_e64 v2, 0, 1, s[20:21]
	v_mov_b32_e32 v3, s16
	s_mov_b64 s[16:17], 0
	global_store_dwordx2 v[0:1], v[2:3], off
.LBB14_999:
	s_andn2_b64 vcc, exec, s[16:17]
	s_cbranch_vccnz .LBB14_1001
; %bb.1000:
	s_waitcnt vmcnt(0)
	v_cndmask_b32_e64 v2, 0, 1, s[20:21]
	global_store_dword v[0:1], v2, off
.LBB14_1001:
	s_mov_b64 s[16:17], 0
.LBB14_1002:
	s_andn2_b64 vcc, exec, s[16:17]
	s_cbranch_vccnz .LBB14_1004
; %bb.1003:
	s_waitcnt vmcnt(0)
	v_cndmask_b32_e64 v2, 0, 1, s[20:21]
	global_store_short v[0:1], v2, off
.LBB14_1004:
	s_mov_b64 s[16:17], 0
.LBB14_1005:
	s_andn2_b64 vcc, exec, s[16:17]
	s_cbranch_vccnz .LBB14_1010
; %bb.1006:
	s_sext_i32_i16 s18, s33
	s_mov_b64 s[16:17], -1
	s_cmp_gt_i32 s18, 0
	s_waitcnt vmcnt(0)
	v_cndmask_b32_e64 v2, 0, 1, s[20:21]
	s_cbranch_scc0 .LBB14_1008
; %bb.1007:
	s_mov_b64 s[16:17], 0
	global_store_byte v[0:1], v2, off
.LBB14_1008:
	s_andn2_b64 vcc, exec, s[16:17]
	s_cbranch_vccnz .LBB14_1010
; %bb.1009:
	global_store_byte v[0:1], v2, off
.LBB14_1010:
	s_or_b64 exec, exec, s[0:1]
	s_and_b64 s[16:17], s[22:23], exec
                                        ; implicit-def: $vgpr7
.LBB14_1011:
	s_or_saveexec_b64 s[6:7], s[6:7]
	s_mov_b64 s[0:1], 0
                                        ; implicit-def: $sgpr20_sgpr21
                                        ; implicit-def: $sgpr24
                                        ; implicit-def: $vgpr0_vgpr1
	s_xor_b64 exec, exec, s[6:7]
	s_cbranch_execz .LBB14_1942
; %bb.1012:
	v_mul_lo_u32 v4, s13, v7
	v_mov_b32_e32 v0, s11
	s_and_b32 s15, 0xffff, s15
	s_cmp_lt_i32 s15, 11
	v_ashrrev_i32_e32 v1, 31, v4
	s_waitcnt vmcnt(0)
	v_add_co_u32_e32 v2, vcc, s10, v4
	v_addc_co_u32_e32 v3, vcc, v0, v1, vcc
	s_cbranch_scc1 .LBB14_1019
; %bb.1013:
	s_cmp_gt_i32 s15, 25
	s_cbranch_scc0 .LBB14_1021
; %bb.1014:
	s_cmp_gt_i32 s15, 28
	s_cbranch_scc0 .LBB14_1022
	;; [unrolled: 3-line block ×4, first 2 shown]
; %bb.1017:
	s_cmp_eq_u32 s15, 46
	s_mov_b64 s[18:19], 0
	s_cbranch_scc0 .LBB14_1027
; %bb.1018:
	global_load_dword v0, v[2:3], off
	s_mov_b32 s0, 0x2f800000
	s_mov_b32 s1, 0xcf800000
	s_mov_b64 s[20:21], -1
	s_waitcnt vmcnt(0)
	v_lshlrev_b32_e32 v0, 16, v0
	v_trunc_f32_e32 v0, v0
	v_mul_f32_e64 v1, |v0|, s0
	v_floor_f32_e32 v1, v1
	v_fma_f32 v1, v1, s1, |v0|
	v_cvt_u32_f32_e32 v1, v1
	v_ashrrev_i32_e32 v0, 31, v0
	s_mov_b64 s[0:1], 0
	v_xor_b32_e32 v1, v1, v0
	v_sub_u32_e32 v0, v1, v0
	s_branch .LBB14_1028
.LBB14_1019:
	s_mov_b64 s[20:21], 0
                                        ; implicit-def: $vgpr0
	s_mov_b64 s[18:19], s[16:17]
	s_cbranch_execnz .LBB14_1086
.LBB14_1020:
	s_andn2_b64 vcc, exec, s[20:21]
	s_cbranch_vccz .LBB14_1131
	s_branch .LBB14_1940
.LBB14_1021:
	s_mov_b64 s[20:21], 0
                                        ; implicit-def: $vgpr0
	s_cbranch_execnz .LBB14_1053
	s_branch .LBB14_1082
.LBB14_1022:
	s_mov_b64 s[20:21], 0
                                        ; implicit-def: $vgpr0
	s_cbranch_execz .LBB14_1052
	s_branch .LBB14_1037
.LBB14_1023:
	s_mov_b64 s[20:21], 0
                                        ; implicit-def: $vgpr0
	s_cbranch_execnz .LBB14_1033
	s_branch .LBB14_1036
.LBB14_1024:
	s_mov_b64 s[18:19], -1
	s_mov_b64 s[20:21], 0
                                        ; implicit-def: $vgpr0
	s_branch .LBB14_1028
.LBB14_1025:
	s_andn2_saveexec_b64 s[28:29], s[28:29]
	s_cbranch_execz .LBB14_920
.LBB14_1026:
	v_add_f32_e32 v2, 0x46000000, v3
	v_and_b32_e32 v2, 0xff, v2
	v_cmp_ne_u32_e32 vcc, 0, v2
	s_andn2_b64 s[26:27], s[26:27], exec
	s_and_b64 s[30:31], vcc, exec
	s_or_b64 s[26:27], s[26:27], s[30:31]
	s_or_b64 exec, exec, s[28:29]
	v_mov_b32_e32 v4, 0
	s_and_saveexec_b64 s[28:29], s[26:27]
	s_cbranch_execnz .LBB14_921
	s_branch .LBB14_922
.LBB14_1027:
	s_mov_b64 s[0:1], -1
                                        ; implicit-def: $vgpr0
	s_mov_b64 s[20:21], 0
.LBB14_1028:
	s_and_b64 vcc, exec, s[18:19]
	s_cbranch_vccz .LBB14_1031
; %bb.1029:
	s_cmp_eq_u32 s15, 44
	s_cbranch_scc0 .LBB14_1032
; %bb.1030:
	global_load_ubyte v0, v[2:3], off
	s_mov_b32 s0, 0x2f800000
	s_mov_b32 s1, 0xcf800000
	s_mov_b64 s[20:21], -1
	s_waitcnt vmcnt(0)
	v_lshlrev_b32_e32 v1, 23, v0
	v_trunc_f32_e32 v1, v1
	v_mul_f32_e64 v5, |v1|, s0
	v_floor_f32_e32 v5, v5
	v_fma_f32 v5, v5, s1, |v1|
	v_cvt_u32_f32_e32 v5, v5
	v_ashrrev_i32_e32 v1, 31, v1
	v_cmp_ne_u32_e32 vcc, 0, v0
	s_mov_b64 s[0:1], 0
	v_xor_b32_e32 v5, v5, v1
	v_sub_u32_e32 v1, v5, v1
	v_cndmask_b32_e32 v0, 0, v1, vcc
.LBB14_1031:
	s_branch .LBB14_1036
.LBB14_1032:
	s_mov_b64 s[0:1], -1
                                        ; implicit-def: $vgpr0
	s_branch .LBB14_1036
.LBB14_1033:
	s_cmp_eq_u32 s15, 29
	s_cbranch_scc0 .LBB14_1035
; %bb.1034:
	global_load_dwordx2 v[0:1], v[2:3], off
	s_mov_b64 s[0:1], 0
	s_mov_b64 s[20:21], -1
	s_branch .LBB14_1036
.LBB14_1035:
	s_mov_b64 s[0:1], -1
                                        ; implicit-def: $vgpr0
.LBB14_1036:
	s_branch .LBB14_1052
.LBB14_1037:
	s_cmp_lt_i32 s15, 27
	s_cbranch_scc1 .LBB14_1040
; %bb.1038:
	s_cmp_gt_i32 s15, 27
	s_cbranch_scc0 .LBB14_1041
; %bb.1039:
	global_load_dword v0, v[2:3], off
	s_mov_b64 s[18:19], 0
	s_branch .LBB14_1042
.LBB14_1040:
	s_mov_b64 s[18:19], -1
                                        ; implicit-def: $vgpr0
	s_branch .LBB14_1045
.LBB14_1041:
	s_mov_b64 s[18:19], -1
                                        ; implicit-def: $vgpr0
.LBB14_1042:
	s_andn2_b64 vcc, exec, s[18:19]
	s_cbranch_vccnz .LBB14_1044
; %bb.1043:
	global_load_ushort v0, v[2:3], off
.LBB14_1044:
	s_mov_b64 s[18:19], 0
.LBB14_1045:
	s_andn2_b64 vcc, exec, s[18:19]
	s_cbranch_vccnz .LBB14_1051
; %bb.1046:
	global_load_ubyte v1, v[2:3], off
	s_movk_i32 s18, 0x7f
	s_mov_b64 s[20:21], 0
	s_waitcnt vmcnt(0)
	v_cmp_lt_i16_e32 vcc, s18, v1
	s_and_saveexec_b64 s[18:19], vcc
	s_xor_b64 s[18:19], exec, s[18:19]
	s_cbranch_execz .LBB14_1062
; %bb.1047:
	s_movk_i32 s20, 0x80
	v_cmp_ne_u16_e32 vcc, s20, v1
	s_and_b64 s[20:21], vcc, exec
	s_andn2_saveexec_b64 s[18:19], s[18:19]
	s_cbranch_execnz .LBB14_1063
.LBB14_1048:
	s_or_b64 exec, exec, s[18:19]
	v_mov_b32_e32 v0, 0
	s_and_saveexec_b64 s[18:19], s[20:21]
	s_cbranch_execz .LBB14_1050
.LBB14_1049:
	v_lshlrev_b32_e32 v0, 24, v1
	v_and_b32_e32 v1, 0xffff, v1
	v_and_b32_e32 v5, 7, v1
	v_ffbh_u32_e32 v8, v5
	v_min_u32_e32 v8, 32, v8
	v_subrev_u32_e32 v9, 28, v8
	v_bfe_u32 v6, v1, 3, 4
	v_lshlrev_b32_e32 v1, v9, v1
	v_sub_u32_e32 v8, 29, v8
	v_and_b32_e32 v1, 7, v1
	v_cmp_eq_u32_e32 vcc, 0, v6
	v_cndmask_b32_e32 v6, v6, v8, vcc
	v_cndmask_b32_e32 v1, v5, v1, vcc
	v_mov_b32_e32 v5, 0x3b800000
	v_lshlrev_b32_e32 v1, 20, v1
	v_and_b32_e32 v0, 0x80000000, v0
	v_lshl_add_u32 v5, v6, 23, v5
	v_or3_b32 v0, v0, v5, v1
	v_trunc_f32_e32 v0, v0
	s_mov_b32 s20, 0x2f800000
	v_mul_f32_e64 v1, |v0|, s20
	v_floor_f32_e32 v1, v1
	s_mov_b32 s20, 0xcf800000
	v_fma_f32 v1, v1, s20, |v0|
	v_cvt_u32_f32_e32 v1, v1
	v_ashrrev_i32_e32 v0, 31, v0
	v_xor_b32_e32 v1, v1, v0
	v_sub_u32_e32 v0, v1, v0
.LBB14_1050:
	s_or_b64 exec, exec, s[18:19]
.LBB14_1051:
	s_mov_b64 s[20:21], -1
.LBB14_1052:
	s_branch .LBB14_1082
.LBB14_1053:
	s_cmp_gt_i32 s15, 22
	s_cbranch_scc0 .LBB14_1061
; %bb.1054:
	s_cmp_lt_i32 s15, 24
	s_cbranch_scc1 .LBB14_1064
; %bb.1055:
	s_cmp_gt_i32 s15, 24
	s_cbranch_scc0 .LBB14_1065
; %bb.1056:
	global_load_ubyte v1, v[2:3], off
	s_movk_i32 s4, 0x7f
	s_mov_b64 s[18:19], 0
	s_waitcnt vmcnt(0)
	v_cmp_lt_i16_e32 vcc, s4, v1
	s_and_saveexec_b64 s[4:5], vcc
	s_xor_b64 s[4:5], exec, s[4:5]
	s_cbranch_execz .LBB14_1076
; %bb.1057:
	s_movk_i32 s18, 0x80
	v_cmp_ne_u16_e32 vcc, s18, v1
	s_and_b64 s[18:19], vcc, exec
	s_andn2_saveexec_b64 s[4:5], s[4:5]
	s_cbranch_execnz .LBB14_1077
.LBB14_1058:
	s_or_b64 exec, exec, s[4:5]
	v_mov_b32_e32 v0, 0
	s_and_saveexec_b64 s[4:5], s[18:19]
	s_cbranch_execz .LBB14_1060
.LBB14_1059:
	v_lshlrev_b32_e32 v0, 24, v1
	v_and_b32_e32 v1, 0xffff, v1
	v_and_b32_e32 v5, 3, v1
	v_ffbh_u32_e32 v8, v5
	v_min_u32_e32 v8, 32, v8
	v_subrev_u32_e32 v9, 29, v8
	v_bfe_u32 v6, v1, 2, 5
	v_lshlrev_b32_e32 v1, v9, v1
	v_sub_u32_e32 v8, 30, v8
	v_and_b32_e32 v1, 3, v1
	v_cmp_eq_u32_e32 vcc, 0, v6
	v_cndmask_b32_e32 v6, v6, v8, vcc
	v_cndmask_b32_e32 v1, v5, v1, vcc
	v_mov_b32_e32 v5, 0x37800000
	v_lshlrev_b32_e32 v1, 21, v1
	v_and_b32_e32 v0, 0x80000000, v0
	v_lshl_add_u32 v5, v6, 23, v5
	v_or3_b32 v0, v0, v5, v1
	v_trunc_f32_e32 v0, v0
	s_mov_b32 s18, 0x2f800000
	v_mul_f32_e64 v1, |v0|, s18
	v_floor_f32_e32 v1, v1
	s_mov_b32 s18, 0xcf800000
	v_fma_f32 v1, v1, s18, |v0|
	v_cvt_u32_f32_e32 v1, v1
	v_ashrrev_i32_e32 v0, 31, v0
	v_xor_b32_e32 v1, v1, v0
	v_sub_u32_e32 v0, v1, v0
.LBB14_1060:
	s_or_b64 exec, exec, s[4:5]
	s_mov_b64 s[4:5], 0
	s_branch .LBB14_1066
.LBB14_1061:
                                        ; implicit-def: $vgpr0
	s_mov_b64 s[4:5], 0
	s_branch .LBB14_1072
.LBB14_1062:
	s_andn2_saveexec_b64 s[18:19], s[18:19]
	s_cbranch_execz .LBB14_1048
.LBB14_1063:
	v_cmp_ne_u16_e32 vcc, 0, v1
	s_andn2_b64 s[20:21], s[20:21], exec
	s_and_b64 s[22:23], vcc, exec
	s_or_b64 s[20:21], s[20:21], s[22:23]
	s_or_b64 exec, exec, s[18:19]
	v_mov_b32_e32 v0, 0
	s_and_saveexec_b64 s[18:19], s[20:21]
	s_cbranch_execnz .LBB14_1049
	s_branch .LBB14_1050
.LBB14_1064:
	s_mov_b64 s[4:5], -1
                                        ; implicit-def: $vgpr0
	s_branch .LBB14_1069
.LBB14_1065:
	s_mov_b64 s[4:5], -1
                                        ; implicit-def: $vgpr0
.LBB14_1066:
	s_and_b64 vcc, exec, s[4:5]
	s_cbranch_vccz .LBB14_1068
; %bb.1067:
	global_load_ubyte v0, v[2:3], off
	s_mov_b32 s4, 0x7f800000
	s_brev_b32 s5, 1
	s_mov_b32 s18, 0x2f800000
	s_waitcnt vmcnt(0)
	v_lshlrev_b32_e32 v0, 24, v0
	v_and_b32_e32 v1, 0x7f000000, v0
	v_ffbh_u32_e32 v5, v1
	v_min_u32_e32 v5, 32, v5
	v_sub_u32_e64 v5, v5, 4 clamp
	v_lshlrev_b32_e32 v8, v5, v1
	v_lshlrev_b32_e32 v5, 23, v5
	v_lshrrev_b32_e32 v8, 4, v8
	v_add_u32_e32 v6, 0x1000000, v1
	v_sub_u32_e32 v5, v8, v5
	v_ashrrev_i32_e32 v6, 8, v6
	v_add_u32_e32 v5, 0x3c000000, v5
	v_and_or_b32 v5, v6, s4, v5
	v_cmp_ne_u32_e32 vcc, 0, v1
	v_cndmask_b32_e32 v1, 0, v5, vcc
	v_and_or_b32 v0, v0, s5, v1
	v_trunc_f32_e32 v0, v0
	v_mul_f32_e64 v1, |v0|, s18
	v_floor_f32_e32 v1, v1
	s_mov_b32 s4, 0xcf800000
	v_fma_f32 v1, v1, s4, |v0|
	v_cvt_u32_f32_e32 v1, v1
	v_ashrrev_i32_e32 v0, 31, v0
	v_xor_b32_e32 v1, v1, v0
	v_sub_u32_e32 v0, v1, v0
.LBB14_1068:
	s_mov_b64 s[4:5], 0
.LBB14_1069:
	s_andn2_b64 vcc, exec, s[4:5]
	s_cbranch_vccnz .LBB14_1071
; %bb.1070:
	global_load_ubyte v0, v[2:3], off
	s_movk_i32 s4, 0x7f00
	s_brev_b32 s5, 16
	s_brev_b32 s18, 1
	s_mov_b32 s19, 0x2f800000
	s_waitcnt vmcnt(0)
	v_lshlrev_b16_e32 v1, 8, v0
	v_lshlrev_b32_e32 v0, 25, v0
	v_lshrrev_b32_e32 v5, 4, v0
	v_and_or_b32 v6, v1, s4, 0.5
	v_or_b32_e32 v5, 0x70000000, v5
	v_add_f32_e32 v6, -0.5, v6
	v_mul_f32_e32 v5, 0x7800000, v5
	v_cmp_gt_u32_e32 vcc, s5, v0
	v_bfe_i32 v1, v1, 0, 16
	v_cndmask_b32_e32 v0, v5, v6, vcc
	v_and_or_b32 v0, v1, s18, v0
	v_trunc_f32_e32 v0, v0
	v_mul_f32_e64 v1, |v0|, s19
	v_floor_f32_e32 v1, v1
	s_mov_b32 s4, 0xcf800000
	v_fma_f32 v1, v1, s4, |v0|
	v_cvt_u32_f32_e32 v1, v1
	v_ashrrev_i32_e32 v0, 31, v0
	v_xor_b32_e32 v1, v1, v0
	v_sub_u32_e32 v0, v1, v0
.LBB14_1071:
	s_mov_b64 s[20:21], -1
	s_mov_b64 s[4:5], 0
	s_cbranch_execnz .LBB14_1082
.LBB14_1072:
	s_cmp_gt_i32 s15, 14
	s_cbranch_scc0 .LBB14_1075
; %bb.1073:
	s_cmp_eq_u32 s15, 15
	s_cbranch_scc0 .LBB14_1078
; %bb.1074:
	global_load_ushort v0, v[2:3], off
	s_mov_b32 s0, 0x2f800000
	s_mov_b32 s1, 0xcf800000
	s_mov_b64 s[20:21], -1
	s_waitcnt vmcnt(0)
	v_lshlrev_b32_e32 v0, 16, v0
	v_trunc_f32_e32 v0, v0
	v_mul_f32_e64 v1, |v0|, s0
	v_floor_f32_e32 v1, v1
	v_fma_f32 v1, v1, s1, |v0|
	v_cvt_u32_f32_e32 v1, v1
	v_ashrrev_i32_e32 v0, 31, v0
	s_mov_b64 s[0:1], 0
	v_xor_b32_e32 v1, v1, v0
	v_sub_u32_e32 v0, v1, v0
	s_branch .LBB14_1079
.LBB14_1075:
	s_mov_b64 s[18:19], -1
                                        ; implicit-def: $vgpr0
	s_branch .LBB14_1080
.LBB14_1076:
	s_andn2_saveexec_b64 s[4:5], s[4:5]
	s_cbranch_execz .LBB14_1058
.LBB14_1077:
	v_cmp_ne_u16_e32 vcc, 0, v1
	s_andn2_b64 s[18:19], s[18:19], exec
	s_and_b64 s[20:21], vcc, exec
	s_or_b64 s[18:19], s[18:19], s[20:21]
	s_or_b64 exec, exec, s[4:5]
	v_mov_b32_e32 v0, 0
	s_and_saveexec_b64 s[4:5], s[18:19]
	s_cbranch_execnz .LBB14_1059
	s_branch .LBB14_1060
.LBB14_1078:
	s_mov_b64 s[0:1], -1
                                        ; implicit-def: $vgpr0
.LBB14_1079:
	s_mov_b64 s[18:19], 0
.LBB14_1080:
	s_and_b64 vcc, exec, s[18:19]
	s_cbranch_vccz .LBB14_1082
; %bb.1081:
	s_cmp_lg_u32 s15, 11
	s_mov_b64 s[4:5], -1
	s_cselect_b64 s[0:1], -1, 0
.LBB14_1082:
	s_and_b64 vcc, exec, s[0:1]
	s_mov_b64 s[18:19], s[16:17]
	s_cbranch_vccnz .LBB14_1143
; %bb.1083:
	s_andn2_b64 vcc, exec, s[4:5]
	s_cbranch_vccnz .LBB14_1085
.LBB14_1084:
	global_load_ubyte v0, v[2:3], off
	s_mov_b64 s[20:21], -1
	s_waitcnt vmcnt(0)
	v_cmp_ne_u16_e32 vcc, 0, v0
	v_cndmask_b32_e64 v0, 0, 1, vcc
.LBB14_1085:
	s_branch .LBB14_1020
.LBB14_1086:
	s_cmp_lt_i32 s15, 5
	s_cbranch_scc1 .LBB14_1091
; %bb.1087:
	s_cmp_lt_i32 s15, 8
	s_cbranch_scc1 .LBB14_1092
; %bb.1088:
	;; [unrolled: 3-line block ×3, first 2 shown]
	s_cmp_gt_i32 s15, 9
	s_cbranch_scc0 .LBB14_1094
; %bb.1090:
	global_load_dwordx2 v[0:1], v[2:3], off
	s_movk_i32 s0, 0xffe0
	s_waitcnt vmcnt(0)
	v_trunc_f64_e32 v[0:1], v[0:1]
	v_ldexp_f64 v[5:6], v[0:1], s0
	s_mov_b32 s0, 0
	s_mov_b32 s1, 0xc1f00000
	v_floor_f64_e32 v[5:6], v[5:6]
	v_fma_f64 v[0:1], v[5:6], s[0:1], v[0:1]
	s_mov_b64 s[0:1], 0
	v_cvt_u32_f64_e32 v0, v[0:1]
	s_branch .LBB14_1095
.LBB14_1091:
                                        ; implicit-def: $vgpr0
	s_branch .LBB14_1112
.LBB14_1092:
                                        ; implicit-def: $vgpr0
	s_branch .LBB14_1101
.LBB14_1093:
	s_mov_b64 s[0:1], -1
                                        ; implicit-def: $vgpr0
	s_branch .LBB14_1098
.LBB14_1094:
	s_mov_b64 s[0:1], -1
                                        ; implicit-def: $vgpr0
.LBB14_1095:
	s_andn2_b64 vcc, exec, s[0:1]
	s_cbranch_vccnz .LBB14_1097
; %bb.1096:
	global_load_dword v0, v[2:3], off
	s_mov_b32 s0, 0x2f800000
	s_waitcnt vmcnt(0)
	v_trunc_f32_e32 v0, v0
	v_mul_f32_e64 v1, |v0|, s0
	v_floor_f32_e32 v1, v1
	s_mov_b32 s0, 0xcf800000
	v_fma_f32 v1, v1, s0, |v0|
	v_cvt_u32_f32_e32 v1, v1
	v_ashrrev_i32_e32 v0, 31, v0
	v_xor_b32_e32 v1, v1, v0
	v_sub_u32_e32 v0, v1, v0
.LBB14_1097:
	s_mov_b64 s[0:1], 0
.LBB14_1098:
	s_andn2_b64 vcc, exec, s[0:1]
	s_cbranch_vccnz .LBB14_1100
; %bb.1099:
	global_load_dword v0, v[2:3], off
	s_waitcnt vmcnt(0)
	v_cvt_f32_f16_e32 v0, v0
	v_cvt_i32_f32_e32 v0, v0
.LBB14_1100:
	s_cbranch_execnz .LBB14_1111
.LBB14_1101:
	s_cmp_lt_i32 s15, 6
	s_cbranch_scc1 .LBB14_1104
; %bb.1102:
	s_cmp_gt_i32 s15, 6
	s_cbranch_scc0 .LBB14_1105
; %bb.1103:
	global_load_dwordx2 v[0:1], v[2:3], off
	s_movk_i32 s0, 0xffe0
	s_waitcnt vmcnt(0)
	v_trunc_f64_e32 v[0:1], v[0:1]
	v_ldexp_f64 v[5:6], v[0:1], s0
	s_mov_b32 s0, 0
	s_mov_b32 s1, 0xc1f00000
	v_floor_f64_e32 v[5:6], v[5:6]
	v_fma_f64 v[0:1], v[5:6], s[0:1], v[0:1]
	s_mov_b64 s[0:1], 0
	v_cvt_u32_f64_e32 v0, v[0:1]
	s_branch .LBB14_1106
.LBB14_1104:
	s_mov_b64 s[0:1], -1
                                        ; implicit-def: $vgpr0
	s_branch .LBB14_1109
.LBB14_1105:
	s_mov_b64 s[0:1], -1
                                        ; implicit-def: $vgpr0
.LBB14_1106:
	s_andn2_b64 vcc, exec, s[0:1]
	s_cbranch_vccnz .LBB14_1108
; %bb.1107:
	global_load_dword v0, v[2:3], off
	s_mov_b32 s0, 0x2f800000
	s_waitcnt vmcnt(0)
	v_trunc_f32_e32 v0, v0
	v_mul_f32_e64 v1, |v0|, s0
	v_floor_f32_e32 v1, v1
	s_mov_b32 s0, 0xcf800000
	v_fma_f32 v1, v1, s0, |v0|
	v_cvt_u32_f32_e32 v1, v1
	v_ashrrev_i32_e32 v0, 31, v0
	v_xor_b32_e32 v1, v1, v0
	v_sub_u32_e32 v0, v1, v0
.LBB14_1108:
	s_mov_b64 s[0:1], 0
.LBB14_1109:
	s_andn2_b64 vcc, exec, s[0:1]
	s_cbranch_vccnz .LBB14_1111
; %bb.1110:
	global_load_ushort v0, v[2:3], off
	s_waitcnt vmcnt(0)
	v_cvt_f32_f16_e32 v0, v0
	v_cvt_i32_f32_e32 v0, v0
.LBB14_1111:
	s_cbranch_execnz .LBB14_1130
.LBB14_1112:
	s_cmp_lt_i32 s15, 2
	s_cbranch_scc1 .LBB14_1116
; %bb.1113:
	s_cmp_lt_i32 s15, 3
	s_cbranch_scc1 .LBB14_1117
; %bb.1114:
	s_cmp_gt_i32 s15, 3
	s_cbranch_scc0 .LBB14_1118
; %bb.1115:
	global_load_dwordx2 v[0:1], v[2:3], off
	s_mov_b64 s[0:1], 0
	s_branch .LBB14_1119
.LBB14_1116:
                                        ; implicit-def: $vgpr0
	s_branch .LBB14_1125
.LBB14_1117:
	s_mov_b64 s[0:1], -1
                                        ; implicit-def: $vgpr0
	s_branch .LBB14_1122
.LBB14_1118:
	s_mov_b64 s[0:1], -1
                                        ; implicit-def: $vgpr0
.LBB14_1119:
	s_andn2_b64 vcc, exec, s[0:1]
	s_cbranch_vccnz .LBB14_1121
; %bb.1120:
	global_load_dword v0, v[2:3], off
.LBB14_1121:
	s_mov_b64 s[0:1], 0
.LBB14_1122:
	s_andn2_b64 vcc, exec, s[0:1]
	s_cbranch_vccnz .LBB14_1124
; %bb.1123:
	global_load_ushort v0, v[2:3], off
.LBB14_1124:
	s_cbranch_execnz .LBB14_1130
.LBB14_1125:
	s_cmp_gt_i32 s15, 0
	s_cbranch_scc0 .LBB14_1127
; %bb.1126:
	global_load_ubyte v0, v[2:3], off
	s_mov_b64 s[0:1], 0
	s_branch .LBB14_1128
.LBB14_1127:
	s_mov_b64 s[0:1], -1
                                        ; implicit-def: $vgpr0
.LBB14_1128:
	s_andn2_b64 vcc, exec, s[0:1]
	s_cbranch_vccnz .LBB14_1130
; %bb.1129:
	global_load_ubyte v0, v[2:3], off
.LBB14_1130:
.LBB14_1131:
	s_lshl_b32 s13, s13, 7
	v_add_u32_e32 v5, s13, v4
	s_waitcnt vmcnt(0)
	v_ashrrev_i32_e32 v1, 31, v5
	v_mov_b32_e32 v2, s11
	v_add_co_u32_e32 v3, vcc, s10, v5
	s_cmp_lt_i32 s15, 11
	v_addc_co_u32_e32 v4, vcc, v2, v1, vcc
	s_cbranch_scc1 .LBB14_1138
; %bb.1132:
	s_cmp_gt_i32 s15, 25
	s_mov_b64 s[4:5], 0
	s_cbranch_scc0 .LBB14_1140
; %bb.1133:
	s_cmp_gt_i32 s15, 28
	s_cbranch_scc0 .LBB14_1141
; %bb.1134:
	s_cmp_gt_i32 s15, 43
	;; [unrolled: 3-line block ×3, first 2 shown]
	s_cbranch_scc0 .LBB14_1144
; %bb.1136:
	s_cmp_eq_u32 s15, 46
	s_mov_b64 s[22:23], 0
	s_cbranch_scc0 .LBB14_1147
; %bb.1137:
	global_load_dword v1, v[3:4], off
	s_mov_b32 s0, 0x2f800000
	s_mov_b32 s1, 0xcf800000
	s_mov_b64 s[20:21], -1
	s_waitcnt vmcnt(0)
	v_lshlrev_b32_e32 v1, 16, v1
	v_trunc_f32_e32 v1, v1
	v_mul_f32_e64 v2, |v1|, s0
	v_floor_f32_e32 v2, v2
	v_fma_f32 v2, v2, s1, |v1|
	v_cvt_u32_f32_e32 v2, v2
	v_ashrrev_i32_e32 v1, 31, v1
	s_mov_b64 s[0:1], 0
	v_xor_b32_e32 v2, v2, v1
	v_sub_u32_e32 v1, v2, v1
	s_branch .LBB14_1148
.LBB14_1138:
	s_mov_b64 s[20:21], 0
                                        ; implicit-def: $vgpr1
	s_cbranch_execnz .LBB14_1209
.LBB14_1139:
	s_andn2_b64 vcc, exec, s[20:21]
	s_cbranch_vccnz .LBB14_1940
	s_branch .LBB14_1256
.LBB14_1140:
	s_mov_b64 s[20:21], 0
	s_mov_b64 s[0:1], 0
                                        ; implicit-def: $vgpr1
	s_cbranch_execnz .LBB14_1175
	s_branch .LBB14_1205
.LBB14_1141:
	s_mov_b64 s[22:23], -1
	s_mov_b64 s[20:21], 0
	s_mov_b64 s[0:1], 0
                                        ; implicit-def: $vgpr1
	s_branch .LBB14_1158
.LBB14_1142:
	s_mov_b64 s[22:23], -1
	s_mov_b64 s[20:21], 0
	s_mov_b64 s[0:1], 0
                                        ; implicit-def: $vgpr1
	s_branch .LBB14_1153
.LBB14_1143:
	s_or_b64 s[18:19], s[16:17], exec
	s_trap 2
	s_cbranch_execz .LBB14_1084
	s_branch .LBB14_1085
.LBB14_1144:
	s_mov_b64 s[22:23], -1
	s_mov_b64 s[20:21], 0
	s_mov_b64 s[0:1], 0
                                        ; implicit-def: $vgpr1
	s_branch .LBB14_1148
.LBB14_1145:
	s_andn2_saveexec_b64 s[30:31], s[30:31]
	s_cbranch_execz .LBB14_932
.LBB14_1146:
	v_add_f32_e32 v2, 0x42800000, v3
	v_and_b32_e32 v2, 0xff, v2
	v_cmp_ne_u32_e32 vcc, 0, v2
	s_andn2_b64 s[28:29], s[28:29], exec
	s_and_b64 s[36:37], vcc, exec
	s_or_b64 s[28:29], s[28:29], s[36:37]
	s_or_b64 exec, exec, s[30:31]
	v_mov_b32_e32 v4, 0
	s_and_saveexec_b64 s[30:31], s[28:29]
	s_cbranch_execnz .LBB14_933
	s_branch .LBB14_934
.LBB14_1147:
	s_mov_b64 s[0:1], -1
                                        ; implicit-def: $vgpr1
	s_mov_b64 s[20:21], 0
.LBB14_1148:
	s_and_b64 vcc, exec, s[22:23]
	s_cbranch_vccz .LBB14_1152
; %bb.1149:
	s_cmp_eq_u32 s15, 44
	s_cbranch_scc0 .LBB14_1151
; %bb.1150:
	global_load_ubyte v1, v[3:4], off
	s_mov_b32 s0, 0x2f800000
	s_mov_b32 s1, 0xcf800000
	s_mov_b64 s[20:21], -1
	s_waitcnt vmcnt(0)
	v_lshlrev_b32_e32 v2, 23, v1
	v_trunc_f32_e32 v2, v2
	v_mul_f32_e64 v6, |v2|, s0
	v_floor_f32_e32 v6, v6
	v_fma_f32 v6, v6, s1, |v2|
	v_cvt_u32_f32_e32 v6, v6
	v_ashrrev_i32_e32 v2, 31, v2
	v_cmp_ne_u32_e32 vcc, 0, v1
	s_mov_b64 s[0:1], 0
	v_xor_b32_e32 v6, v6, v2
	v_sub_u32_e32 v2, v6, v2
	v_cndmask_b32_e32 v1, 0, v2, vcc
	s_branch .LBB14_1152
.LBB14_1151:
	s_mov_b64 s[0:1], -1
                                        ; implicit-def: $vgpr1
.LBB14_1152:
	s_mov_b64 s[22:23], 0
.LBB14_1153:
	s_and_b64 vcc, exec, s[22:23]
	s_cbranch_vccz .LBB14_1157
; %bb.1154:
	s_cmp_eq_u32 s15, 29
	s_cbranch_scc0 .LBB14_1156
; %bb.1155:
	global_load_dwordx2 v[1:2], v[3:4], off
	s_mov_b64 s[0:1], 0
	s_mov_b64 s[20:21], -1
	s_branch .LBB14_1157
.LBB14_1156:
	s_mov_b64 s[0:1], -1
                                        ; implicit-def: $vgpr1
.LBB14_1157:
	s_mov_b64 s[22:23], 0
.LBB14_1158:
	s_and_b64 vcc, exec, s[22:23]
	s_cbranch_vccz .LBB14_1174
; %bb.1159:
	s_cmp_lt_i32 s15, 27
	s_cbranch_scc1 .LBB14_1162
; %bb.1160:
	s_cmp_gt_i32 s15, 27
	s_cbranch_scc0 .LBB14_1163
; %bb.1161:
	global_load_dword v1, v[3:4], off
	s_mov_b64 s[20:21], 0
	s_branch .LBB14_1164
.LBB14_1162:
	s_mov_b64 s[20:21], -1
                                        ; implicit-def: $vgpr1
	s_branch .LBB14_1167
.LBB14_1163:
	s_mov_b64 s[20:21], -1
                                        ; implicit-def: $vgpr1
.LBB14_1164:
	s_andn2_b64 vcc, exec, s[20:21]
	s_cbranch_vccnz .LBB14_1166
; %bb.1165:
	global_load_ushort v1, v[3:4], off
.LBB14_1166:
	s_mov_b64 s[20:21], 0
.LBB14_1167:
	s_andn2_b64 vcc, exec, s[20:21]
	s_cbranch_vccnz .LBB14_1173
; %bb.1168:
	global_load_ubyte v2, v[3:4], off
	s_movk_i32 s20, 0x7f
	s_mov_b64 s[22:23], 0
	s_waitcnt vmcnt(0)
	v_cmp_lt_i16_e32 vcc, s20, v2
	s_and_saveexec_b64 s[20:21], vcc
	s_xor_b64 s[20:21], exec, s[20:21]
	s_cbranch_execz .LBB14_1184
; %bb.1169:
	s_movk_i32 s22, 0x80
	v_cmp_ne_u16_e32 vcc, s22, v2
	s_and_b64 s[22:23], vcc, exec
	s_andn2_saveexec_b64 s[20:21], s[20:21]
	s_cbranch_execnz .LBB14_1185
.LBB14_1170:
	s_or_b64 exec, exec, s[20:21]
	v_mov_b32_e32 v1, 0
	s_and_saveexec_b64 s[20:21], s[22:23]
	s_cbranch_execz .LBB14_1172
.LBB14_1171:
	v_lshlrev_b32_e32 v1, 24, v2
	v_and_b32_e32 v2, 0xffff, v2
	v_and_b32_e32 v6, 7, v2
	v_ffbh_u32_e32 v9, v6
	v_min_u32_e32 v9, 32, v9
	v_subrev_u32_e32 v10, 28, v9
	v_bfe_u32 v8, v2, 3, 4
	v_lshlrev_b32_e32 v2, v10, v2
	v_sub_u32_e32 v9, 29, v9
	v_and_b32_e32 v2, 7, v2
	v_cmp_eq_u32_e32 vcc, 0, v8
	v_cndmask_b32_e32 v8, v8, v9, vcc
	v_cndmask_b32_e32 v2, v6, v2, vcc
	v_mov_b32_e32 v6, 0x3b800000
	v_lshlrev_b32_e32 v2, 20, v2
	v_and_b32_e32 v1, 0x80000000, v1
	v_lshl_add_u32 v6, v8, 23, v6
	v_or3_b32 v1, v1, v6, v2
	v_trunc_f32_e32 v1, v1
	s_mov_b32 s22, 0x2f800000
	v_mul_f32_e64 v2, |v1|, s22
	v_floor_f32_e32 v2, v2
	s_mov_b32 s22, 0xcf800000
	v_fma_f32 v2, v2, s22, |v1|
	v_cvt_u32_f32_e32 v2, v2
	v_ashrrev_i32_e32 v1, 31, v1
	v_xor_b32_e32 v2, v2, v1
	v_sub_u32_e32 v1, v2, v1
.LBB14_1172:
	s_or_b64 exec, exec, s[20:21]
.LBB14_1173:
	s_mov_b64 s[20:21], -1
.LBB14_1174:
	s_branch .LBB14_1205
.LBB14_1175:
	s_cmp_gt_i32 s15, 22
	s_cbranch_scc0 .LBB14_1183
; %bb.1176:
	s_cmp_lt_i32 s15, 24
	s_cbranch_scc1 .LBB14_1186
; %bb.1177:
	s_cmp_gt_i32 s15, 24
	s_cbranch_scc0 .LBB14_1187
; %bb.1178:
	global_load_ubyte v2, v[3:4], off
	s_movk_i32 s4, 0x7f
	s_mov_b64 s[20:21], 0
	s_waitcnt vmcnt(0)
	v_cmp_lt_i16_e32 vcc, s4, v2
	s_and_saveexec_b64 s[4:5], vcc
	s_xor_b64 s[4:5], exec, s[4:5]
	s_cbranch_execz .LBB14_1199
; %bb.1179:
	s_movk_i32 s20, 0x80
	v_cmp_ne_u16_e32 vcc, s20, v2
	s_and_b64 s[20:21], vcc, exec
	s_andn2_saveexec_b64 s[4:5], s[4:5]
	s_cbranch_execnz .LBB14_1200
.LBB14_1180:
	s_or_b64 exec, exec, s[4:5]
	v_mov_b32_e32 v1, 0
	s_and_saveexec_b64 s[4:5], s[20:21]
	s_cbranch_execz .LBB14_1182
.LBB14_1181:
	v_lshlrev_b32_e32 v1, 24, v2
	v_and_b32_e32 v2, 0xffff, v2
	v_and_b32_e32 v6, 3, v2
	v_ffbh_u32_e32 v9, v6
	v_min_u32_e32 v9, 32, v9
	v_subrev_u32_e32 v10, 29, v9
	v_bfe_u32 v8, v2, 2, 5
	v_lshlrev_b32_e32 v2, v10, v2
	v_sub_u32_e32 v9, 30, v9
	v_and_b32_e32 v2, 3, v2
	v_cmp_eq_u32_e32 vcc, 0, v8
	v_cndmask_b32_e32 v8, v8, v9, vcc
	v_cndmask_b32_e32 v2, v6, v2, vcc
	v_mov_b32_e32 v6, 0x37800000
	v_lshlrev_b32_e32 v2, 21, v2
	v_and_b32_e32 v1, 0x80000000, v1
	v_lshl_add_u32 v6, v8, 23, v6
	v_or3_b32 v1, v1, v6, v2
	v_trunc_f32_e32 v1, v1
	s_mov_b32 s20, 0x2f800000
	v_mul_f32_e64 v2, |v1|, s20
	v_floor_f32_e32 v2, v2
	s_mov_b32 s20, 0xcf800000
	v_fma_f32 v2, v2, s20, |v1|
	v_cvt_u32_f32_e32 v2, v2
	v_ashrrev_i32_e32 v1, 31, v1
	v_xor_b32_e32 v2, v2, v1
	v_sub_u32_e32 v1, v2, v1
.LBB14_1182:
	s_or_b64 exec, exec, s[4:5]
	s_mov_b64 s[4:5], 0
	s_branch .LBB14_1188
.LBB14_1183:
	s_mov_b64 s[4:5], -1
                                        ; implicit-def: $vgpr1
	s_branch .LBB14_1194
.LBB14_1184:
	s_andn2_saveexec_b64 s[20:21], s[20:21]
	s_cbranch_execz .LBB14_1170
.LBB14_1185:
	v_cmp_ne_u16_e32 vcc, 0, v2
	s_andn2_b64 s[22:23], s[22:23], exec
	s_and_b64 s[24:25], vcc, exec
	s_or_b64 s[22:23], s[22:23], s[24:25]
	s_or_b64 exec, exec, s[20:21]
	v_mov_b32_e32 v1, 0
	s_and_saveexec_b64 s[20:21], s[22:23]
	s_cbranch_execnz .LBB14_1171
	s_branch .LBB14_1172
.LBB14_1186:
	s_mov_b64 s[4:5], -1
                                        ; implicit-def: $vgpr1
	s_branch .LBB14_1191
.LBB14_1187:
	s_mov_b64 s[4:5], -1
                                        ; implicit-def: $vgpr1
.LBB14_1188:
	s_and_b64 vcc, exec, s[4:5]
	s_cbranch_vccz .LBB14_1190
; %bb.1189:
	global_load_ubyte v1, v[3:4], off
	s_mov_b32 s4, 0x7f800000
	s_brev_b32 s5, 1
	s_mov_b32 s20, 0x2f800000
	s_waitcnt vmcnt(0)
	v_lshlrev_b32_e32 v1, 24, v1
	v_and_b32_e32 v2, 0x7f000000, v1
	v_ffbh_u32_e32 v6, v2
	v_min_u32_e32 v6, 32, v6
	v_sub_u32_e64 v6, v6, 4 clamp
	v_lshlrev_b32_e32 v9, v6, v2
	v_lshlrev_b32_e32 v6, 23, v6
	v_lshrrev_b32_e32 v9, 4, v9
	v_add_u32_e32 v8, 0x1000000, v2
	v_sub_u32_e32 v6, v9, v6
	v_ashrrev_i32_e32 v8, 8, v8
	v_add_u32_e32 v6, 0x3c000000, v6
	v_and_or_b32 v6, v8, s4, v6
	v_cmp_ne_u32_e32 vcc, 0, v2
	v_cndmask_b32_e32 v2, 0, v6, vcc
	v_and_or_b32 v1, v1, s5, v2
	v_trunc_f32_e32 v1, v1
	v_mul_f32_e64 v2, |v1|, s20
	v_floor_f32_e32 v2, v2
	s_mov_b32 s4, 0xcf800000
	v_fma_f32 v2, v2, s4, |v1|
	v_cvt_u32_f32_e32 v2, v2
	v_ashrrev_i32_e32 v1, 31, v1
	v_xor_b32_e32 v2, v2, v1
	v_sub_u32_e32 v1, v2, v1
.LBB14_1190:
	s_mov_b64 s[4:5], 0
.LBB14_1191:
	s_andn2_b64 vcc, exec, s[4:5]
	s_cbranch_vccnz .LBB14_1193
; %bb.1192:
	global_load_ubyte v1, v[3:4], off
	s_movk_i32 s4, 0x7f00
	s_brev_b32 s5, 16
	s_brev_b32 s20, 1
	s_mov_b32 s21, 0x2f800000
	s_waitcnt vmcnt(0)
	v_lshlrev_b16_e32 v2, 8, v1
	v_lshlrev_b32_e32 v1, 25, v1
	v_lshrrev_b32_e32 v6, 4, v1
	v_and_or_b32 v8, v2, s4, 0.5
	v_or_b32_e32 v6, 0x70000000, v6
	v_add_f32_e32 v8, -0.5, v8
	v_mul_f32_e32 v6, 0x7800000, v6
	v_cmp_gt_u32_e32 vcc, s5, v1
	v_bfe_i32 v2, v2, 0, 16
	v_cndmask_b32_e32 v1, v6, v8, vcc
	v_and_or_b32 v1, v2, s20, v1
	v_trunc_f32_e32 v1, v1
	v_mul_f32_e64 v2, |v1|, s21
	v_floor_f32_e32 v2, v2
	s_mov_b32 s4, 0xcf800000
	v_fma_f32 v2, v2, s4, |v1|
	v_cvt_u32_f32_e32 v2, v2
	v_ashrrev_i32_e32 v1, 31, v1
	v_xor_b32_e32 v2, v2, v1
	v_sub_u32_e32 v1, v2, v1
.LBB14_1193:
	s_mov_b64 s[4:5], 0
	s_mov_b64 s[20:21], -1
.LBB14_1194:
	s_andn2_b64 vcc, exec, s[4:5]
	s_mov_b64 s[4:5], 0
	s_cbranch_vccnz .LBB14_1205
; %bb.1195:
	s_cmp_gt_i32 s15, 14
	s_cbranch_scc0 .LBB14_1198
; %bb.1196:
	s_cmp_eq_u32 s15, 15
	s_cbranch_scc0 .LBB14_1201
; %bb.1197:
	global_load_ushort v1, v[3:4], off
	s_mov_b32 s0, 0x2f800000
	s_mov_b32 s1, 0xcf800000
	s_mov_b64 s[20:21], -1
	s_waitcnt vmcnt(0)
	v_lshlrev_b32_e32 v1, 16, v1
	v_trunc_f32_e32 v1, v1
	v_mul_f32_e64 v2, |v1|, s0
	v_floor_f32_e32 v2, v2
	v_fma_f32 v2, v2, s1, |v1|
	v_cvt_u32_f32_e32 v2, v2
	v_ashrrev_i32_e32 v1, 31, v1
	s_mov_b64 s[0:1], 0
	v_xor_b32_e32 v2, v2, v1
	v_sub_u32_e32 v1, v2, v1
	s_branch .LBB14_1202
.LBB14_1198:
	s_mov_b64 s[22:23], -1
                                        ; implicit-def: $vgpr1
	s_branch .LBB14_1203
.LBB14_1199:
	s_andn2_saveexec_b64 s[4:5], s[4:5]
	s_cbranch_execz .LBB14_1180
.LBB14_1200:
	v_cmp_ne_u16_e32 vcc, 0, v2
	s_andn2_b64 s[20:21], s[20:21], exec
	s_and_b64 s[22:23], vcc, exec
	s_or_b64 s[20:21], s[20:21], s[22:23]
	s_or_b64 exec, exec, s[4:5]
	v_mov_b32_e32 v1, 0
	s_and_saveexec_b64 s[4:5], s[20:21]
	s_cbranch_execnz .LBB14_1181
	s_branch .LBB14_1182
.LBB14_1201:
	s_mov_b64 s[0:1], -1
                                        ; implicit-def: $vgpr1
.LBB14_1202:
	s_mov_b64 s[22:23], 0
.LBB14_1203:
	s_and_b64 vcc, exec, s[22:23]
	s_cbranch_vccz .LBB14_1205
; %bb.1204:
	s_cmp_lg_u32 s15, 11
	s_mov_b64 s[4:5], -1
	s_cselect_b64 s[0:1], -1, 0
.LBB14_1205:
	s_and_b64 vcc, exec, s[0:1]
	s_cbranch_vccnz .LBB14_1268
; %bb.1206:
	s_andn2_b64 vcc, exec, s[4:5]
	s_cbranch_vccnz .LBB14_1208
.LBB14_1207:
	global_load_ubyte v1, v[3:4], off
	s_mov_b64 s[20:21], -1
	s_waitcnt vmcnt(0)
	v_cmp_ne_u16_e32 vcc, 0, v1
	v_cndmask_b32_e64 v1, 0, 1, vcc
.LBB14_1208:
	s_branch .LBB14_1139
.LBB14_1209:
	s_cmp_lt_i32 s15, 5
	s_cbranch_scc1 .LBB14_1214
; %bb.1210:
	s_cmp_lt_i32 s15, 8
	s_cbranch_scc1 .LBB14_1215
; %bb.1211:
	;; [unrolled: 3-line block ×3, first 2 shown]
	s_cmp_gt_i32 s15, 9
	s_cbranch_scc0 .LBB14_1217
; %bb.1213:
	global_load_dwordx2 v[1:2], v[3:4], off
	s_movk_i32 s0, 0xffe0
	s_waitcnt vmcnt(0)
	v_trunc_f64_e32 v[1:2], v[1:2]
	v_ldexp_f64 v[8:9], v[1:2], s0
	s_mov_b32 s0, 0
	s_mov_b32 s1, 0xc1f00000
	v_floor_f64_e32 v[8:9], v[8:9]
	v_fma_f64 v[1:2], v[8:9], s[0:1], v[1:2]
	s_mov_b64 s[0:1], 0
	v_cvt_u32_f64_e32 v1, v[1:2]
	s_branch .LBB14_1218
.LBB14_1214:
                                        ; implicit-def: $vgpr1
	s_branch .LBB14_1236
.LBB14_1215:
	s_mov_b64 s[0:1], -1
                                        ; implicit-def: $vgpr1
	s_branch .LBB14_1224
.LBB14_1216:
	s_mov_b64 s[0:1], -1
                                        ; implicit-def: $vgpr1
	s_branch .LBB14_1221
.LBB14_1217:
	s_mov_b64 s[0:1], -1
                                        ; implicit-def: $vgpr1
.LBB14_1218:
	s_andn2_b64 vcc, exec, s[0:1]
	s_cbranch_vccnz .LBB14_1220
; %bb.1219:
	global_load_dword v1, v[3:4], off
	s_mov_b32 s0, 0x2f800000
	s_waitcnt vmcnt(0)
	v_trunc_f32_e32 v1, v1
	v_mul_f32_e64 v2, |v1|, s0
	v_floor_f32_e32 v2, v2
	s_mov_b32 s0, 0xcf800000
	v_fma_f32 v2, v2, s0, |v1|
	v_cvt_u32_f32_e32 v2, v2
	v_ashrrev_i32_e32 v1, 31, v1
	v_xor_b32_e32 v2, v2, v1
	v_sub_u32_e32 v1, v2, v1
.LBB14_1220:
	s_mov_b64 s[0:1], 0
.LBB14_1221:
	s_andn2_b64 vcc, exec, s[0:1]
	s_cbranch_vccnz .LBB14_1223
; %bb.1222:
	global_load_dword v1, v[3:4], off
	s_waitcnt vmcnt(0)
	v_cvt_f32_f16_e32 v1, v1
	v_cvt_i32_f32_e32 v1, v1
.LBB14_1223:
	s_mov_b64 s[0:1], 0
.LBB14_1224:
	s_andn2_b64 vcc, exec, s[0:1]
	s_cbranch_vccnz .LBB14_1235
; %bb.1225:
	s_cmp_lt_i32 s15, 6
	s_cbranch_scc1 .LBB14_1228
; %bb.1226:
	s_cmp_gt_i32 s15, 6
	s_cbranch_scc0 .LBB14_1229
; %bb.1227:
	global_load_dwordx2 v[1:2], v[3:4], off
	s_movk_i32 s0, 0xffe0
	s_waitcnt vmcnt(0)
	v_trunc_f64_e32 v[1:2], v[1:2]
	v_ldexp_f64 v[8:9], v[1:2], s0
	s_mov_b32 s0, 0
	s_mov_b32 s1, 0xc1f00000
	v_floor_f64_e32 v[8:9], v[8:9]
	v_fma_f64 v[1:2], v[8:9], s[0:1], v[1:2]
	s_mov_b64 s[0:1], 0
	v_cvt_u32_f64_e32 v1, v[1:2]
	s_branch .LBB14_1230
.LBB14_1228:
	s_mov_b64 s[0:1], -1
                                        ; implicit-def: $vgpr1
	s_branch .LBB14_1233
.LBB14_1229:
	s_mov_b64 s[0:1], -1
                                        ; implicit-def: $vgpr1
.LBB14_1230:
	s_andn2_b64 vcc, exec, s[0:1]
	s_cbranch_vccnz .LBB14_1232
; %bb.1231:
	global_load_dword v1, v[3:4], off
	s_mov_b32 s0, 0x2f800000
	s_waitcnt vmcnt(0)
	v_trunc_f32_e32 v1, v1
	v_mul_f32_e64 v2, |v1|, s0
	v_floor_f32_e32 v2, v2
	s_mov_b32 s0, 0xcf800000
	v_fma_f32 v2, v2, s0, |v1|
	v_cvt_u32_f32_e32 v2, v2
	v_ashrrev_i32_e32 v1, 31, v1
	v_xor_b32_e32 v2, v2, v1
	v_sub_u32_e32 v1, v2, v1
.LBB14_1232:
	s_mov_b64 s[0:1], 0
.LBB14_1233:
	s_andn2_b64 vcc, exec, s[0:1]
	s_cbranch_vccnz .LBB14_1235
; %bb.1234:
	global_load_ushort v1, v[3:4], off
	s_waitcnt vmcnt(0)
	v_cvt_f32_f16_e32 v1, v1
	v_cvt_i32_f32_e32 v1, v1
.LBB14_1235:
	s_cbranch_execnz .LBB14_1255
.LBB14_1236:
	s_cmp_lt_i32 s15, 2
	s_cbranch_scc1 .LBB14_1240
; %bb.1237:
	s_cmp_lt_i32 s15, 3
	s_cbranch_scc1 .LBB14_1241
; %bb.1238:
	s_cmp_gt_i32 s15, 3
	s_cbranch_scc0 .LBB14_1242
; %bb.1239:
	global_load_dwordx2 v[1:2], v[3:4], off
	s_mov_b64 s[0:1], 0
	s_branch .LBB14_1243
.LBB14_1240:
	s_mov_b64 s[0:1], -1
                                        ; implicit-def: $vgpr1
	s_branch .LBB14_1249
.LBB14_1241:
	s_mov_b64 s[0:1], -1
                                        ; implicit-def: $vgpr1
	s_branch .LBB14_1246
.LBB14_1242:
	s_mov_b64 s[0:1], -1
                                        ; implicit-def: $vgpr1
.LBB14_1243:
	s_andn2_b64 vcc, exec, s[0:1]
	s_cbranch_vccnz .LBB14_1245
; %bb.1244:
	global_load_dword v1, v[3:4], off
.LBB14_1245:
	s_mov_b64 s[0:1], 0
.LBB14_1246:
	s_andn2_b64 vcc, exec, s[0:1]
	s_cbranch_vccnz .LBB14_1248
; %bb.1247:
	global_load_ushort v1, v[3:4], off
.LBB14_1248:
	s_mov_b64 s[0:1], 0
.LBB14_1249:
	s_andn2_b64 vcc, exec, s[0:1]
	s_cbranch_vccnz .LBB14_1255
; %bb.1250:
	s_cmp_gt_i32 s15, 0
	s_cbranch_scc0 .LBB14_1252
; %bb.1251:
	global_load_ubyte v1, v[3:4], off
	s_mov_b64 s[0:1], 0
	s_branch .LBB14_1253
.LBB14_1252:
	s_mov_b64 s[0:1], -1
                                        ; implicit-def: $vgpr1
.LBB14_1253:
	s_andn2_b64 vcc, exec, s[0:1]
	s_cbranch_vccnz .LBB14_1255
; %bb.1254:
	global_load_ubyte v1, v[3:4], off
.LBB14_1255:
.LBB14_1256:
	v_add_u32_e32 v6, s13, v5
	s_waitcnt vmcnt(0)
	v_ashrrev_i32_e32 v2, 31, v6
	v_mov_b32_e32 v3, s11
	v_add_co_u32_e32 v4, vcc, s10, v6
	s_cmp_lt_i32 s15, 11
	v_addc_co_u32_e32 v5, vcc, v3, v2, vcc
	s_cbranch_scc1 .LBB14_1263
; %bb.1257:
	s_cmp_gt_i32 s15, 25
	s_mov_b64 s[4:5], 0
	s_cbranch_scc0 .LBB14_1265
; %bb.1258:
	s_cmp_gt_i32 s15, 28
	s_cbranch_scc0 .LBB14_1266
; %bb.1259:
	s_cmp_gt_i32 s15, 43
	;; [unrolled: 3-line block ×3, first 2 shown]
	s_cbranch_scc0 .LBB14_1269
; %bb.1261:
	s_cmp_eq_u32 s15, 46
	s_mov_b64 s[22:23], 0
	s_cbranch_scc0 .LBB14_1270
; %bb.1262:
	global_load_dword v2, v[4:5], off
	s_mov_b32 s0, 0x2f800000
	s_mov_b32 s1, 0xcf800000
	s_mov_b64 s[20:21], -1
	s_waitcnt vmcnt(0)
	v_lshlrev_b32_e32 v2, 16, v2
	v_trunc_f32_e32 v2, v2
	v_mul_f32_e64 v3, |v2|, s0
	v_floor_f32_e32 v3, v3
	v_fma_f32 v3, v3, s1, |v2|
	v_cvt_u32_f32_e32 v3, v3
	v_ashrrev_i32_e32 v2, 31, v2
	s_mov_b64 s[0:1], 0
	v_xor_b32_e32 v3, v3, v2
	v_sub_u32_e32 v2, v3, v2
	s_branch .LBB14_1271
.LBB14_1263:
	s_mov_b64 s[20:21], 0
                                        ; implicit-def: $vgpr2
	s_cbranch_execnz .LBB14_1333
.LBB14_1264:
	s_andn2_b64 vcc, exec, s[20:21]
	s_cbranch_vccnz .LBB14_1940
	s_branch .LBB14_1381
.LBB14_1265:
	s_mov_b64 s[22:23], -1
	s_mov_b64 s[20:21], 0
	s_mov_b64 s[0:1], 0
                                        ; implicit-def: $vgpr2
	s_branch .LBB14_1298
.LBB14_1266:
	s_mov_b64 s[22:23], -1
	s_mov_b64 s[20:21], 0
	s_mov_b64 s[0:1], 0
                                        ; implicit-def: $vgpr2
	s_branch .LBB14_1281
.LBB14_1267:
	s_mov_b64 s[22:23], -1
	s_mov_b64 s[20:21], 0
	s_mov_b64 s[0:1], 0
                                        ; implicit-def: $vgpr2
	s_branch .LBB14_1276
.LBB14_1268:
	s_trap 2
	s_or_b64 s[18:19], s[18:19], exec
	s_cbranch_execz .LBB14_1207
	s_branch .LBB14_1208
.LBB14_1269:
	s_mov_b64 s[22:23], -1
	s_mov_b64 s[20:21], 0
	s_mov_b64 s[0:1], 0
                                        ; implicit-def: $vgpr2
	s_branch .LBB14_1271
.LBB14_1270:
	s_mov_b64 s[0:1], -1
                                        ; implicit-def: $vgpr2
	s_mov_b64 s[20:21], 0
.LBB14_1271:
	s_and_b64 vcc, exec, s[22:23]
	s_cbranch_vccz .LBB14_1275
; %bb.1272:
	s_cmp_eq_u32 s15, 44
	s_cbranch_scc0 .LBB14_1274
; %bb.1273:
	global_load_ubyte v2, v[4:5], off
	s_mov_b32 s0, 0x2f800000
	s_mov_b32 s1, 0xcf800000
	s_mov_b64 s[20:21], -1
	s_waitcnt vmcnt(0)
	v_lshlrev_b32_e32 v3, 23, v2
	v_trunc_f32_e32 v3, v3
	v_mul_f32_e64 v8, |v3|, s0
	v_floor_f32_e32 v8, v8
	v_fma_f32 v8, v8, s1, |v3|
	v_cvt_u32_f32_e32 v8, v8
	v_ashrrev_i32_e32 v3, 31, v3
	v_cmp_ne_u32_e32 vcc, 0, v2
	s_mov_b64 s[0:1], 0
	v_xor_b32_e32 v8, v8, v3
	v_sub_u32_e32 v3, v8, v3
	v_cndmask_b32_e32 v2, 0, v3, vcc
	s_branch .LBB14_1275
.LBB14_1274:
	s_mov_b64 s[0:1], -1
                                        ; implicit-def: $vgpr2
.LBB14_1275:
	s_mov_b64 s[22:23], 0
.LBB14_1276:
	s_and_b64 vcc, exec, s[22:23]
	s_cbranch_vccz .LBB14_1280
; %bb.1277:
	s_cmp_eq_u32 s15, 29
	s_cbranch_scc0 .LBB14_1279
; %bb.1278:
	global_load_dwordx2 v[2:3], v[4:5], off
	s_mov_b64 s[0:1], 0
	s_mov_b64 s[20:21], -1
	s_branch .LBB14_1280
.LBB14_1279:
	s_mov_b64 s[0:1], -1
                                        ; implicit-def: $vgpr2
.LBB14_1280:
	s_mov_b64 s[22:23], 0
.LBB14_1281:
	s_and_b64 vcc, exec, s[22:23]
	s_cbranch_vccz .LBB14_1297
; %bb.1282:
	s_cmp_lt_i32 s15, 27
	s_cbranch_scc1 .LBB14_1285
; %bb.1283:
	s_cmp_gt_i32 s15, 27
	s_cbranch_scc0 .LBB14_1286
; %bb.1284:
	global_load_dword v2, v[4:5], off
	s_mov_b64 s[20:21], 0
	s_branch .LBB14_1287
.LBB14_1285:
	s_mov_b64 s[20:21], -1
                                        ; implicit-def: $vgpr2
	s_branch .LBB14_1290
.LBB14_1286:
	s_mov_b64 s[20:21], -1
                                        ; implicit-def: $vgpr2
.LBB14_1287:
	s_andn2_b64 vcc, exec, s[20:21]
	s_cbranch_vccnz .LBB14_1289
; %bb.1288:
	global_load_ushort v2, v[4:5], off
.LBB14_1289:
	s_mov_b64 s[20:21], 0
.LBB14_1290:
	s_andn2_b64 vcc, exec, s[20:21]
	s_cbranch_vccnz .LBB14_1296
; %bb.1291:
	global_load_ubyte v3, v[4:5], off
	s_movk_i32 s20, 0x7f
	s_mov_b64 s[22:23], 0
	s_waitcnt vmcnt(0)
	v_cmp_lt_i16_e32 vcc, s20, v3
	s_and_saveexec_b64 s[20:21], vcc
	s_xor_b64 s[20:21], exec, s[20:21]
	s_cbranch_execz .LBB14_1308
; %bb.1292:
	s_movk_i32 s22, 0x80
	v_cmp_ne_u16_e32 vcc, s22, v3
	s_and_b64 s[22:23], vcc, exec
	s_andn2_saveexec_b64 s[20:21], s[20:21]
	s_cbranch_execnz .LBB14_1309
.LBB14_1293:
	s_or_b64 exec, exec, s[20:21]
	v_mov_b32_e32 v2, 0
	s_and_saveexec_b64 s[20:21], s[22:23]
	s_cbranch_execz .LBB14_1295
.LBB14_1294:
	v_lshlrev_b32_e32 v2, 24, v3
	v_and_b32_e32 v3, 0xffff, v3
	v_and_b32_e32 v8, 7, v3
	v_ffbh_u32_e32 v10, v8
	v_min_u32_e32 v10, 32, v10
	v_subrev_u32_e32 v11, 28, v10
	v_bfe_u32 v9, v3, 3, 4
	v_lshlrev_b32_e32 v3, v11, v3
	v_sub_u32_e32 v10, 29, v10
	v_and_b32_e32 v3, 7, v3
	v_cmp_eq_u32_e32 vcc, 0, v9
	v_cndmask_b32_e32 v9, v9, v10, vcc
	v_cndmask_b32_e32 v3, v8, v3, vcc
	v_mov_b32_e32 v8, 0x3b800000
	v_lshlrev_b32_e32 v3, 20, v3
	v_and_b32_e32 v2, 0x80000000, v2
	v_lshl_add_u32 v8, v9, 23, v8
	v_or3_b32 v2, v2, v8, v3
	v_trunc_f32_e32 v2, v2
	s_mov_b32 s22, 0x2f800000
	v_mul_f32_e64 v3, |v2|, s22
	v_floor_f32_e32 v3, v3
	s_mov_b32 s22, 0xcf800000
	v_fma_f32 v3, v3, s22, |v2|
	v_cvt_u32_f32_e32 v3, v3
	v_ashrrev_i32_e32 v2, 31, v2
	v_xor_b32_e32 v3, v3, v2
	v_sub_u32_e32 v2, v3, v2
.LBB14_1295:
	s_or_b64 exec, exec, s[20:21]
.LBB14_1296:
	s_mov_b64 s[20:21], -1
.LBB14_1297:
	s_mov_b64 s[22:23], 0
.LBB14_1298:
	s_and_b64 vcc, exec, s[22:23]
	s_cbranch_vccz .LBB14_1329
; %bb.1299:
	s_cmp_gt_i32 s15, 22
	s_cbranch_scc0 .LBB14_1307
; %bb.1300:
	s_cmp_lt_i32 s15, 24
	s_cbranch_scc1 .LBB14_1310
; %bb.1301:
	s_cmp_gt_i32 s15, 24
	s_cbranch_scc0 .LBB14_1311
; %bb.1302:
	global_load_ubyte v3, v[4:5], off
	s_movk_i32 s4, 0x7f
	s_mov_b64 s[20:21], 0
	s_waitcnt vmcnt(0)
	v_cmp_lt_i16_e32 vcc, s4, v3
	s_and_saveexec_b64 s[4:5], vcc
	s_xor_b64 s[4:5], exec, s[4:5]
	s_cbranch_execz .LBB14_1323
; %bb.1303:
	s_movk_i32 s20, 0x80
	v_cmp_ne_u16_e32 vcc, s20, v3
	s_and_b64 s[20:21], vcc, exec
	s_andn2_saveexec_b64 s[4:5], s[4:5]
	s_cbranch_execnz .LBB14_1324
.LBB14_1304:
	s_or_b64 exec, exec, s[4:5]
	v_mov_b32_e32 v2, 0
	s_and_saveexec_b64 s[4:5], s[20:21]
	s_cbranch_execz .LBB14_1306
.LBB14_1305:
	v_lshlrev_b32_e32 v2, 24, v3
	v_and_b32_e32 v3, 0xffff, v3
	v_and_b32_e32 v8, 3, v3
	v_ffbh_u32_e32 v10, v8
	v_min_u32_e32 v10, 32, v10
	v_subrev_u32_e32 v11, 29, v10
	v_bfe_u32 v9, v3, 2, 5
	v_lshlrev_b32_e32 v3, v11, v3
	v_sub_u32_e32 v10, 30, v10
	v_and_b32_e32 v3, 3, v3
	v_cmp_eq_u32_e32 vcc, 0, v9
	v_cndmask_b32_e32 v9, v9, v10, vcc
	v_cndmask_b32_e32 v3, v8, v3, vcc
	v_mov_b32_e32 v8, 0x37800000
	v_lshlrev_b32_e32 v3, 21, v3
	v_and_b32_e32 v2, 0x80000000, v2
	v_lshl_add_u32 v8, v9, 23, v8
	v_or3_b32 v2, v2, v8, v3
	v_trunc_f32_e32 v2, v2
	s_mov_b32 s20, 0x2f800000
	v_mul_f32_e64 v3, |v2|, s20
	v_floor_f32_e32 v3, v3
	s_mov_b32 s20, 0xcf800000
	v_fma_f32 v3, v3, s20, |v2|
	v_cvt_u32_f32_e32 v3, v3
	v_ashrrev_i32_e32 v2, 31, v2
	v_xor_b32_e32 v3, v3, v2
	v_sub_u32_e32 v2, v3, v2
.LBB14_1306:
	s_or_b64 exec, exec, s[4:5]
	s_mov_b64 s[4:5], 0
	s_branch .LBB14_1312
.LBB14_1307:
	s_mov_b64 s[4:5], -1
                                        ; implicit-def: $vgpr2
	s_branch .LBB14_1318
.LBB14_1308:
	s_andn2_saveexec_b64 s[20:21], s[20:21]
	s_cbranch_execz .LBB14_1293
.LBB14_1309:
	v_cmp_ne_u16_e32 vcc, 0, v3
	s_andn2_b64 s[22:23], s[22:23], exec
	s_and_b64 s[24:25], vcc, exec
	s_or_b64 s[22:23], s[22:23], s[24:25]
	s_or_b64 exec, exec, s[20:21]
	v_mov_b32_e32 v2, 0
	s_and_saveexec_b64 s[20:21], s[22:23]
	s_cbranch_execnz .LBB14_1294
	s_branch .LBB14_1295
.LBB14_1310:
	s_mov_b64 s[4:5], -1
                                        ; implicit-def: $vgpr2
	s_branch .LBB14_1315
.LBB14_1311:
	s_mov_b64 s[4:5], -1
                                        ; implicit-def: $vgpr2
.LBB14_1312:
	s_and_b64 vcc, exec, s[4:5]
	s_cbranch_vccz .LBB14_1314
; %bb.1313:
	global_load_ubyte v2, v[4:5], off
	s_mov_b32 s4, 0x7f800000
	s_brev_b32 s5, 1
	s_mov_b32 s20, 0x2f800000
	s_waitcnt vmcnt(0)
	v_lshlrev_b32_e32 v2, 24, v2
	v_and_b32_e32 v3, 0x7f000000, v2
	v_ffbh_u32_e32 v8, v3
	v_min_u32_e32 v8, 32, v8
	v_sub_u32_e64 v8, v8, 4 clamp
	v_lshlrev_b32_e32 v10, v8, v3
	v_lshlrev_b32_e32 v8, 23, v8
	v_lshrrev_b32_e32 v10, 4, v10
	v_add_u32_e32 v9, 0x1000000, v3
	v_sub_u32_e32 v8, v10, v8
	v_ashrrev_i32_e32 v9, 8, v9
	v_add_u32_e32 v8, 0x3c000000, v8
	v_and_or_b32 v8, v9, s4, v8
	v_cmp_ne_u32_e32 vcc, 0, v3
	v_cndmask_b32_e32 v3, 0, v8, vcc
	v_and_or_b32 v2, v2, s5, v3
	v_trunc_f32_e32 v2, v2
	v_mul_f32_e64 v3, |v2|, s20
	v_floor_f32_e32 v3, v3
	s_mov_b32 s4, 0xcf800000
	v_fma_f32 v3, v3, s4, |v2|
	v_cvt_u32_f32_e32 v3, v3
	v_ashrrev_i32_e32 v2, 31, v2
	v_xor_b32_e32 v3, v3, v2
	v_sub_u32_e32 v2, v3, v2
.LBB14_1314:
	s_mov_b64 s[4:5], 0
.LBB14_1315:
	s_andn2_b64 vcc, exec, s[4:5]
	s_cbranch_vccnz .LBB14_1317
; %bb.1316:
	global_load_ubyte v2, v[4:5], off
	s_movk_i32 s4, 0x7f00
	s_brev_b32 s5, 16
	s_brev_b32 s20, 1
	s_mov_b32 s21, 0x2f800000
	s_waitcnt vmcnt(0)
	v_lshlrev_b16_e32 v3, 8, v2
	v_lshlrev_b32_e32 v2, 25, v2
	v_lshrrev_b32_e32 v8, 4, v2
	v_and_or_b32 v9, v3, s4, 0.5
	v_or_b32_e32 v8, 0x70000000, v8
	v_add_f32_e32 v9, -0.5, v9
	v_mul_f32_e32 v8, 0x7800000, v8
	v_cmp_gt_u32_e32 vcc, s5, v2
	v_bfe_i32 v3, v3, 0, 16
	v_cndmask_b32_e32 v2, v8, v9, vcc
	v_and_or_b32 v2, v3, s20, v2
	v_trunc_f32_e32 v2, v2
	v_mul_f32_e64 v3, |v2|, s21
	v_floor_f32_e32 v3, v3
	s_mov_b32 s4, 0xcf800000
	v_fma_f32 v3, v3, s4, |v2|
	v_cvt_u32_f32_e32 v3, v3
	v_ashrrev_i32_e32 v2, 31, v2
	v_xor_b32_e32 v3, v3, v2
	v_sub_u32_e32 v2, v3, v2
.LBB14_1317:
	s_mov_b64 s[4:5], 0
	s_mov_b64 s[20:21], -1
.LBB14_1318:
	s_andn2_b64 vcc, exec, s[4:5]
	s_mov_b64 s[4:5], 0
	s_cbranch_vccnz .LBB14_1329
; %bb.1319:
	s_cmp_gt_i32 s15, 14
	s_cbranch_scc0 .LBB14_1322
; %bb.1320:
	s_cmp_eq_u32 s15, 15
	s_cbranch_scc0 .LBB14_1325
; %bb.1321:
	global_load_ushort v2, v[4:5], off
	s_mov_b32 s0, 0x2f800000
	s_mov_b32 s1, 0xcf800000
	s_mov_b64 s[20:21], -1
	s_waitcnt vmcnt(0)
	v_lshlrev_b32_e32 v2, 16, v2
	v_trunc_f32_e32 v2, v2
	v_mul_f32_e64 v3, |v2|, s0
	v_floor_f32_e32 v3, v3
	v_fma_f32 v3, v3, s1, |v2|
	v_cvt_u32_f32_e32 v3, v3
	v_ashrrev_i32_e32 v2, 31, v2
	s_mov_b64 s[0:1], 0
	v_xor_b32_e32 v3, v3, v2
	v_sub_u32_e32 v2, v3, v2
	s_branch .LBB14_1326
.LBB14_1322:
	s_mov_b64 s[22:23], -1
                                        ; implicit-def: $vgpr2
	s_branch .LBB14_1327
.LBB14_1323:
	s_andn2_saveexec_b64 s[4:5], s[4:5]
	s_cbranch_execz .LBB14_1304
.LBB14_1324:
	v_cmp_ne_u16_e32 vcc, 0, v3
	s_andn2_b64 s[20:21], s[20:21], exec
	s_and_b64 s[22:23], vcc, exec
	s_or_b64 s[20:21], s[20:21], s[22:23]
	s_or_b64 exec, exec, s[4:5]
	v_mov_b32_e32 v2, 0
	s_and_saveexec_b64 s[4:5], s[20:21]
	s_cbranch_execnz .LBB14_1305
	s_branch .LBB14_1306
.LBB14_1325:
	s_mov_b64 s[0:1], -1
                                        ; implicit-def: $vgpr2
.LBB14_1326:
	s_mov_b64 s[22:23], 0
.LBB14_1327:
	s_and_b64 vcc, exec, s[22:23]
	s_cbranch_vccz .LBB14_1329
; %bb.1328:
	s_cmp_lg_u32 s15, 11
	s_mov_b64 s[4:5], -1
	s_cselect_b64 s[0:1], -1, 0
.LBB14_1329:
	s_and_b64 vcc, exec, s[0:1]
	s_cbranch_vccnz .LBB14_1392
; %bb.1330:
	s_andn2_b64 vcc, exec, s[4:5]
	s_cbranch_vccnz .LBB14_1332
.LBB14_1331:
	global_load_ubyte v2, v[4:5], off
	s_mov_b64 s[20:21], -1
	s_waitcnt vmcnt(0)
	v_cmp_ne_u16_e32 vcc, 0, v2
	v_cndmask_b32_e64 v2, 0, 1, vcc
.LBB14_1332:
	s_branch .LBB14_1264
.LBB14_1333:
	s_cmp_lt_i32 s15, 5
	s_cbranch_scc1 .LBB14_1338
; %bb.1334:
	s_cmp_lt_i32 s15, 8
	s_cbranch_scc1 .LBB14_1339
; %bb.1335:
	;; [unrolled: 3-line block ×3, first 2 shown]
	s_cmp_gt_i32 s15, 9
	s_cbranch_scc0 .LBB14_1341
; %bb.1337:
	global_load_dwordx2 v[2:3], v[4:5], off
	s_movk_i32 s0, 0xffe0
	s_waitcnt vmcnt(0)
	v_trunc_f64_e32 v[2:3], v[2:3]
	v_ldexp_f64 v[8:9], v[2:3], s0
	s_mov_b32 s0, 0
	s_mov_b32 s1, 0xc1f00000
	v_floor_f64_e32 v[8:9], v[8:9]
	v_fma_f64 v[2:3], v[8:9], s[0:1], v[2:3]
	s_mov_b64 s[0:1], 0
	v_cvt_u32_f64_e32 v2, v[2:3]
	s_branch .LBB14_1342
.LBB14_1338:
	s_mov_b64 s[0:1], -1
                                        ; implicit-def: $vgpr2
	s_branch .LBB14_1360
.LBB14_1339:
	s_mov_b64 s[0:1], -1
                                        ; implicit-def: $vgpr2
	s_branch .LBB14_1348
.LBB14_1340:
	s_mov_b64 s[0:1], -1
                                        ; implicit-def: $vgpr2
	s_branch .LBB14_1345
.LBB14_1341:
	s_mov_b64 s[0:1], -1
                                        ; implicit-def: $vgpr2
.LBB14_1342:
	s_andn2_b64 vcc, exec, s[0:1]
	s_cbranch_vccnz .LBB14_1344
; %bb.1343:
	global_load_dword v2, v[4:5], off
	s_mov_b32 s0, 0x2f800000
	s_waitcnt vmcnt(0)
	v_trunc_f32_e32 v2, v2
	v_mul_f32_e64 v3, |v2|, s0
	v_floor_f32_e32 v3, v3
	s_mov_b32 s0, 0xcf800000
	v_fma_f32 v3, v3, s0, |v2|
	v_cvt_u32_f32_e32 v3, v3
	v_ashrrev_i32_e32 v2, 31, v2
	v_xor_b32_e32 v3, v3, v2
	v_sub_u32_e32 v2, v3, v2
.LBB14_1344:
	s_mov_b64 s[0:1], 0
.LBB14_1345:
	s_andn2_b64 vcc, exec, s[0:1]
	s_cbranch_vccnz .LBB14_1347
; %bb.1346:
	global_load_dword v2, v[4:5], off
	s_waitcnt vmcnt(0)
	v_cvt_f32_f16_e32 v2, v2
	v_cvt_i32_f32_e32 v2, v2
.LBB14_1347:
	s_mov_b64 s[0:1], 0
.LBB14_1348:
	s_andn2_b64 vcc, exec, s[0:1]
	s_cbranch_vccnz .LBB14_1359
; %bb.1349:
	s_cmp_lt_i32 s15, 6
	s_cbranch_scc1 .LBB14_1352
; %bb.1350:
	s_cmp_gt_i32 s15, 6
	s_cbranch_scc0 .LBB14_1353
; %bb.1351:
	global_load_dwordx2 v[2:3], v[4:5], off
	s_movk_i32 s0, 0xffe0
	s_waitcnt vmcnt(0)
	v_trunc_f64_e32 v[2:3], v[2:3]
	v_ldexp_f64 v[8:9], v[2:3], s0
	s_mov_b32 s0, 0
	s_mov_b32 s1, 0xc1f00000
	v_floor_f64_e32 v[8:9], v[8:9]
	v_fma_f64 v[2:3], v[8:9], s[0:1], v[2:3]
	s_mov_b64 s[0:1], 0
	v_cvt_u32_f64_e32 v2, v[2:3]
	s_branch .LBB14_1354
.LBB14_1352:
	s_mov_b64 s[0:1], -1
                                        ; implicit-def: $vgpr2
	s_branch .LBB14_1357
.LBB14_1353:
	s_mov_b64 s[0:1], -1
                                        ; implicit-def: $vgpr2
.LBB14_1354:
	s_andn2_b64 vcc, exec, s[0:1]
	s_cbranch_vccnz .LBB14_1356
; %bb.1355:
	global_load_dword v2, v[4:5], off
	s_mov_b32 s0, 0x2f800000
	s_waitcnt vmcnt(0)
	v_trunc_f32_e32 v2, v2
	v_mul_f32_e64 v3, |v2|, s0
	v_floor_f32_e32 v3, v3
	s_mov_b32 s0, 0xcf800000
	v_fma_f32 v3, v3, s0, |v2|
	v_cvt_u32_f32_e32 v3, v3
	v_ashrrev_i32_e32 v2, 31, v2
	v_xor_b32_e32 v3, v3, v2
	v_sub_u32_e32 v2, v3, v2
.LBB14_1356:
	s_mov_b64 s[0:1], 0
.LBB14_1357:
	s_andn2_b64 vcc, exec, s[0:1]
	s_cbranch_vccnz .LBB14_1359
; %bb.1358:
	global_load_ushort v2, v[4:5], off
	s_waitcnt vmcnt(0)
	v_cvt_f32_f16_e32 v2, v2
	v_cvt_i32_f32_e32 v2, v2
.LBB14_1359:
	s_mov_b64 s[0:1], 0
.LBB14_1360:
	s_andn2_b64 vcc, exec, s[0:1]
	s_cbranch_vccnz .LBB14_1380
; %bb.1361:
	s_cmp_lt_i32 s15, 2
	s_cbranch_scc1 .LBB14_1365
; %bb.1362:
	s_cmp_lt_i32 s15, 3
	s_cbranch_scc1 .LBB14_1366
; %bb.1363:
	s_cmp_gt_i32 s15, 3
	s_cbranch_scc0 .LBB14_1367
; %bb.1364:
	global_load_dwordx2 v[2:3], v[4:5], off
	s_mov_b64 s[0:1], 0
	s_branch .LBB14_1368
.LBB14_1365:
	s_mov_b64 s[0:1], -1
                                        ; implicit-def: $vgpr2
	s_branch .LBB14_1374
.LBB14_1366:
	s_mov_b64 s[0:1], -1
                                        ; implicit-def: $vgpr2
	s_branch .LBB14_1371
.LBB14_1367:
	s_mov_b64 s[0:1], -1
                                        ; implicit-def: $vgpr2
.LBB14_1368:
	s_andn2_b64 vcc, exec, s[0:1]
	s_cbranch_vccnz .LBB14_1370
; %bb.1369:
	global_load_dword v2, v[4:5], off
.LBB14_1370:
	s_mov_b64 s[0:1], 0
.LBB14_1371:
	s_andn2_b64 vcc, exec, s[0:1]
	s_cbranch_vccnz .LBB14_1373
; %bb.1372:
	global_load_ushort v2, v[4:5], off
.LBB14_1373:
	s_mov_b64 s[0:1], 0
.LBB14_1374:
	s_andn2_b64 vcc, exec, s[0:1]
	s_cbranch_vccnz .LBB14_1380
; %bb.1375:
	s_cmp_gt_i32 s15, 0
	s_cbranch_scc0 .LBB14_1377
; %bb.1376:
	global_load_ubyte v2, v[4:5], off
	s_mov_b64 s[0:1], 0
	s_branch .LBB14_1378
.LBB14_1377:
	s_mov_b64 s[0:1], -1
                                        ; implicit-def: $vgpr2
.LBB14_1378:
	s_andn2_b64 vcc, exec, s[0:1]
	s_cbranch_vccnz .LBB14_1380
; %bb.1379:
	global_load_ubyte v2, v[4:5], off
.LBB14_1380:
.LBB14_1381:
	s_waitcnt vmcnt(0)
	v_add_u32_e32 v3, s13, v6
	v_ashrrev_i32_e32 v4, 31, v3
	v_mov_b32_e32 v6, s11
	v_add_co_u32_e32 v5, vcc, s10, v3
	s_cmp_lt_i32 s15, 11
	v_addc_co_u32_e32 v6, vcc, v6, v4, vcc
	s_cbranch_scc1 .LBB14_1388
; %bb.1382:
	s_cmp_gt_i32 s15, 25
	s_mov_b64 s[4:5], 0
	s_cbranch_scc0 .LBB14_1389
; %bb.1383:
	s_cmp_gt_i32 s15, 28
	s_cbranch_scc0 .LBB14_1390
; %bb.1384:
	s_cmp_gt_i32 s15, 43
	;; [unrolled: 3-line block ×3, first 2 shown]
	s_cbranch_scc0 .LBB14_1393
; %bb.1386:
	s_cmp_eq_u32 s15, 46
	s_mov_b64 s[20:21], 0
	s_cbranch_scc0 .LBB14_1394
; %bb.1387:
	global_load_dword v3, v[5:6], off
	s_mov_b32 s0, 0x2f800000
	s_mov_b32 s1, 0xcf800000
	s_mov_b64 s[10:11], -1
	s_waitcnt vmcnt(0)
	v_lshlrev_b32_e32 v3, 16, v3
	v_trunc_f32_e32 v3, v3
	v_mul_f32_e64 v4, |v3|, s0
	v_floor_f32_e32 v4, v4
	v_fma_f32 v4, v4, s1, |v3|
	v_cvt_u32_f32_e32 v4, v4
	v_ashrrev_i32_e32 v3, 31, v3
	s_mov_b64 s[0:1], 0
	v_xor_b32_e32 v4, v4, v3
	v_sub_u32_e32 v3, v4, v3
	s_branch .LBB14_1395
.LBB14_1388:
	s_mov_b64 s[0:1], -1
	s_mov_b64 s[10:11], 0
                                        ; implicit-def: $vgpr3
	s_branch .LBB14_1457
.LBB14_1389:
	s_mov_b64 s[20:21], -1
	s_mov_b64 s[10:11], 0
	s_mov_b64 s[0:1], 0
                                        ; implicit-def: $vgpr3
	s_branch .LBB14_1422
.LBB14_1390:
	s_mov_b64 s[20:21], -1
	s_mov_b64 s[10:11], 0
	s_mov_b64 s[0:1], 0
                                        ; implicit-def: $vgpr3
	s_branch .LBB14_1405
.LBB14_1391:
	s_mov_b64 s[20:21], -1
	s_mov_b64 s[10:11], 0
	s_mov_b64 s[0:1], 0
                                        ; implicit-def: $vgpr3
	s_branch .LBB14_1400
.LBB14_1392:
	s_trap 2
	s_or_b64 s[18:19], s[18:19], exec
	s_cbranch_execz .LBB14_1331
	s_branch .LBB14_1332
.LBB14_1393:
	s_mov_b64 s[20:21], -1
	s_mov_b64 s[10:11], 0
	s_mov_b64 s[0:1], 0
                                        ; implicit-def: $vgpr3
	s_branch .LBB14_1395
.LBB14_1394:
	s_mov_b64 s[0:1], -1
                                        ; implicit-def: $vgpr3
	s_mov_b64 s[10:11], 0
.LBB14_1395:
	s_and_b64 vcc, exec, s[20:21]
	s_cbranch_vccz .LBB14_1399
; %bb.1396:
	s_cmp_eq_u32 s15, 44
	s_cbranch_scc0 .LBB14_1398
; %bb.1397:
	global_load_ubyte v3, v[5:6], off
	s_mov_b32 s0, 0x2f800000
	s_mov_b32 s1, 0xcf800000
	s_mov_b64 s[10:11], -1
	s_waitcnt vmcnt(0)
	v_lshlrev_b32_e32 v4, 23, v3
	v_trunc_f32_e32 v4, v4
	v_mul_f32_e64 v8, |v4|, s0
	v_floor_f32_e32 v8, v8
	v_fma_f32 v8, v8, s1, |v4|
	v_cvt_u32_f32_e32 v8, v8
	v_ashrrev_i32_e32 v4, 31, v4
	v_cmp_ne_u32_e32 vcc, 0, v3
	s_mov_b64 s[0:1], 0
	v_xor_b32_e32 v8, v8, v4
	v_sub_u32_e32 v4, v8, v4
	v_cndmask_b32_e32 v3, 0, v4, vcc
	s_branch .LBB14_1399
.LBB14_1398:
	s_mov_b64 s[0:1], -1
                                        ; implicit-def: $vgpr3
.LBB14_1399:
	s_mov_b64 s[20:21], 0
.LBB14_1400:
	s_and_b64 vcc, exec, s[20:21]
	s_cbranch_vccz .LBB14_1404
; %bb.1401:
	s_cmp_eq_u32 s15, 29
	s_cbranch_scc0 .LBB14_1403
; %bb.1402:
	global_load_dwordx2 v[3:4], v[5:6], off
	s_mov_b64 s[0:1], 0
	s_mov_b64 s[10:11], -1
	s_branch .LBB14_1404
.LBB14_1403:
	s_mov_b64 s[0:1], -1
                                        ; implicit-def: $vgpr3
.LBB14_1404:
	s_mov_b64 s[20:21], 0
.LBB14_1405:
	s_and_b64 vcc, exec, s[20:21]
	s_cbranch_vccz .LBB14_1421
; %bb.1406:
	s_cmp_lt_i32 s15, 27
	s_cbranch_scc1 .LBB14_1409
; %bb.1407:
	s_cmp_gt_i32 s15, 27
	s_cbranch_scc0 .LBB14_1410
; %bb.1408:
	global_load_dword v3, v[5:6], off
	s_mov_b64 s[10:11], 0
	s_branch .LBB14_1411
.LBB14_1409:
	s_mov_b64 s[10:11], -1
                                        ; implicit-def: $vgpr3
	s_branch .LBB14_1414
.LBB14_1410:
	s_mov_b64 s[10:11], -1
                                        ; implicit-def: $vgpr3
.LBB14_1411:
	s_andn2_b64 vcc, exec, s[10:11]
	s_cbranch_vccnz .LBB14_1413
; %bb.1412:
	global_load_ushort v3, v[5:6], off
.LBB14_1413:
	s_mov_b64 s[10:11], 0
.LBB14_1414:
	s_andn2_b64 vcc, exec, s[10:11]
	s_cbranch_vccnz .LBB14_1420
; %bb.1415:
	global_load_ubyte v4, v[5:6], off
	s_movk_i32 s10, 0x7f
	s_mov_b64 s[20:21], 0
	s_waitcnt vmcnt(0)
	v_cmp_lt_i16_e32 vcc, s10, v4
	s_and_saveexec_b64 s[10:11], vcc
	s_xor_b64 s[10:11], exec, s[10:11]
	s_cbranch_execz .LBB14_1432
; %bb.1416:
	s_movk_i32 s13, 0x80
	v_cmp_ne_u16_e32 vcc, s13, v4
	s_and_b64 s[20:21], vcc, exec
	s_andn2_saveexec_b64 s[10:11], s[10:11]
	s_cbranch_execnz .LBB14_1433
.LBB14_1417:
	s_or_b64 exec, exec, s[10:11]
	v_mov_b32_e32 v3, 0
	s_and_saveexec_b64 s[10:11], s[20:21]
	s_cbranch_execz .LBB14_1419
.LBB14_1418:
	v_lshlrev_b32_e32 v3, 24, v4
	v_and_b32_e32 v4, 0xffff, v4
	v_and_b32_e32 v8, 7, v4
	v_ffbh_u32_e32 v10, v8
	v_min_u32_e32 v10, 32, v10
	v_subrev_u32_e32 v11, 28, v10
	v_bfe_u32 v9, v4, 3, 4
	v_lshlrev_b32_e32 v4, v11, v4
	v_sub_u32_e32 v10, 29, v10
	v_and_b32_e32 v4, 7, v4
	v_cmp_eq_u32_e32 vcc, 0, v9
	v_cndmask_b32_e32 v9, v9, v10, vcc
	v_cndmask_b32_e32 v4, v8, v4, vcc
	v_mov_b32_e32 v8, 0x3b800000
	v_lshlrev_b32_e32 v4, 20, v4
	v_and_b32_e32 v3, 0x80000000, v3
	v_lshl_add_u32 v8, v9, 23, v8
	v_or3_b32 v3, v3, v8, v4
	v_trunc_f32_e32 v3, v3
	s_mov_b32 s13, 0x2f800000
	v_mul_f32_e64 v4, |v3|, s13
	v_floor_f32_e32 v4, v4
	s_mov_b32 s13, 0xcf800000
	v_fma_f32 v4, v4, s13, |v3|
	v_cvt_u32_f32_e32 v4, v4
	v_ashrrev_i32_e32 v3, 31, v3
	v_xor_b32_e32 v4, v4, v3
	v_sub_u32_e32 v3, v4, v3
.LBB14_1419:
	s_or_b64 exec, exec, s[10:11]
.LBB14_1420:
	s_mov_b64 s[10:11], -1
.LBB14_1421:
	s_mov_b64 s[20:21], 0
.LBB14_1422:
	s_and_b64 vcc, exec, s[20:21]
	s_cbranch_vccz .LBB14_1453
; %bb.1423:
	s_cmp_gt_i32 s15, 22
	s_cbranch_scc0 .LBB14_1431
; %bb.1424:
	s_cmp_lt_i32 s15, 24
	s_cbranch_scc1 .LBB14_1434
; %bb.1425:
	s_cmp_gt_i32 s15, 24
	s_cbranch_scc0 .LBB14_1435
; %bb.1426:
	global_load_ubyte v4, v[5:6], off
	s_movk_i32 s4, 0x7f
	s_mov_b64 s[10:11], 0
	s_waitcnt vmcnt(0)
	v_cmp_lt_i16_e32 vcc, s4, v4
	s_and_saveexec_b64 s[4:5], vcc
	s_xor_b64 s[4:5], exec, s[4:5]
	s_cbranch_execz .LBB14_1447
; %bb.1427:
	s_movk_i32 s10, 0x80
	v_cmp_ne_u16_e32 vcc, s10, v4
	s_and_b64 s[10:11], vcc, exec
	s_andn2_saveexec_b64 s[4:5], s[4:5]
	s_cbranch_execnz .LBB14_1448
.LBB14_1428:
	s_or_b64 exec, exec, s[4:5]
	v_mov_b32_e32 v3, 0
	s_and_saveexec_b64 s[4:5], s[10:11]
	s_cbranch_execz .LBB14_1430
.LBB14_1429:
	v_lshlrev_b32_e32 v3, 24, v4
	v_and_b32_e32 v4, 0xffff, v4
	v_and_b32_e32 v8, 3, v4
	v_ffbh_u32_e32 v10, v8
	v_min_u32_e32 v10, 32, v10
	v_subrev_u32_e32 v11, 29, v10
	v_bfe_u32 v9, v4, 2, 5
	v_lshlrev_b32_e32 v4, v11, v4
	v_sub_u32_e32 v10, 30, v10
	v_and_b32_e32 v4, 3, v4
	v_cmp_eq_u32_e32 vcc, 0, v9
	v_cndmask_b32_e32 v9, v9, v10, vcc
	v_cndmask_b32_e32 v4, v8, v4, vcc
	v_mov_b32_e32 v8, 0x37800000
	v_lshlrev_b32_e32 v4, 21, v4
	v_and_b32_e32 v3, 0x80000000, v3
	v_lshl_add_u32 v8, v9, 23, v8
	v_or3_b32 v3, v3, v8, v4
	v_trunc_f32_e32 v3, v3
	s_mov_b32 s10, 0x2f800000
	v_mul_f32_e64 v4, |v3|, s10
	v_floor_f32_e32 v4, v4
	s_mov_b32 s10, 0xcf800000
	v_fma_f32 v4, v4, s10, |v3|
	v_cvt_u32_f32_e32 v4, v4
	v_ashrrev_i32_e32 v3, 31, v3
	v_xor_b32_e32 v4, v4, v3
	v_sub_u32_e32 v3, v4, v3
.LBB14_1430:
	s_or_b64 exec, exec, s[4:5]
	s_mov_b64 s[4:5], 0
	s_branch .LBB14_1436
.LBB14_1431:
	s_mov_b64 s[4:5], -1
                                        ; implicit-def: $vgpr3
	s_branch .LBB14_1442
.LBB14_1432:
	s_andn2_saveexec_b64 s[10:11], s[10:11]
	s_cbranch_execz .LBB14_1417
.LBB14_1433:
	v_cmp_ne_u16_e32 vcc, 0, v4
	s_andn2_b64 s[20:21], s[20:21], exec
	s_and_b64 s[22:23], vcc, exec
	s_or_b64 s[20:21], s[20:21], s[22:23]
	s_or_b64 exec, exec, s[10:11]
	v_mov_b32_e32 v3, 0
	s_and_saveexec_b64 s[10:11], s[20:21]
	s_cbranch_execnz .LBB14_1418
	s_branch .LBB14_1419
.LBB14_1434:
	s_mov_b64 s[4:5], -1
                                        ; implicit-def: $vgpr3
	s_branch .LBB14_1439
.LBB14_1435:
	s_mov_b64 s[4:5], -1
                                        ; implicit-def: $vgpr3
.LBB14_1436:
	s_and_b64 vcc, exec, s[4:5]
	s_cbranch_vccz .LBB14_1438
; %bb.1437:
	global_load_ubyte v3, v[5:6], off
	s_mov_b32 s4, 0x7f800000
	s_brev_b32 s5, 1
	s_mov_b32 s10, 0x2f800000
	s_waitcnt vmcnt(0)
	v_lshlrev_b32_e32 v3, 24, v3
	v_and_b32_e32 v4, 0x7f000000, v3
	v_ffbh_u32_e32 v8, v4
	v_min_u32_e32 v8, 32, v8
	v_sub_u32_e64 v8, v8, 4 clamp
	v_lshlrev_b32_e32 v10, v8, v4
	v_lshlrev_b32_e32 v8, 23, v8
	v_lshrrev_b32_e32 v10, 4, v10
	v_add_u32_e32 v9, 0x1000000, v4
	v_sub_u32_e32 v8, v10, v8
	v_ashrrev_i32_e32 v9, 8, v9
	v_add_u32_e32 v8, 0x3c000000, v8
	v_and_or_b32 v8, v9, s4, v8
	v_cmp_ne_u32_e32 vcc, 0, v4
	v_cndmask_b32_e32 v4, 0, v8, vcc
	v_and_or_b32 v3, v3, s5, v4
	v_trunc_f32_e32 v3, v3
	v_mul_f32_e64 v4, |v3|, s10
	v_floor_f32_e32 v4, v4
	s_mov_b32 s4, 0xcf800000
	v_fma_f32 v4, v4, s4, |v3|
	v_cvt_u32_f32_e32 v4, v4
	v_ashrrev_i32_e32 v3, 31, v3
	v_xor_b32_e32 v4, v4, v3
	v_sub_u32_e32 v3, v4, v3
.LBB14_1438:
	s_mov_b64 s[4:5], 0
.LBB14_1439:
	s_andn2_b64 vcc, exec, s[4:5]
	s_cbranch_vccnz .LBB14_1441
; %bb.1440:
	global_load_ubyte v3, v[5:6], off
	s_movk_i32 s4, 0x7f00
	s_brev_b32 s5, 16
	s_brev_b32 s10, 1
	s_mov_b32 s11, 0x2f800000
	s_waitcnt vmcnt(0)
	v_lshlrev_b16_e32 v4, 8, v3
	v_lshlrev_b32_e32 v3, 25, v3
	v_lshrrev_b32_e32 v8, 4, v3
	v_and_or_b32 v9, v4, s4, 0.5
	v_or_b32_e32 v8, 0x70000000, v8
	v_add_f32_e32 v9, -0.5, v9
	v_mul_f32_e32 v8, 0x7800000, v8
	v_cmp_gt_u32_e32 vcc, s5, v3
	v_bfe_i32 v4, v4, 0, 16
	v_cndmask_b32_e32 v3, v8, v9, vcc
	v_and_or_b32 v3, v4, s10, v3
	v_trunc_f32_e32 v3, v3
	v_mul_f32_e64 v4, |v3|, s11
	v_floor_f32_e32 v4, v4
	s_mov_b32 s4, 0xcf800000
	v_fma_f32 v4, v4, s4, |v3|
	v_cvt_u32_f32_e32 v4, v4
	v_ashrrev_i32_e32 v3, 31, v3
	v_xor_b32_e32 v4, v4, v3
	v_sub_u32_e32 v3, v4, v3
.LBB14_1441:
	s_mov_b64 s[4:5], 0
	s_mov_b64 s[10:11], -1
.LBB14_1442:
	s_andn2_b64 vcc, exec, s[4:5]
	s_mov_b64 s[4:5], 0
	s_cbranch_vccnz .LBB14_1453
; %bb.1443:
	s_cmp_gt_i32 s15, 14
	s_cbranch_scc0 .LBB14_1446
; %bb.1444:
	s_cmp_eq_u32 s15, 15
	s_cbranch_scc0 .LBB14_1449
; %bb.1445:
	global_load_ushort v3, v[5:6], off
	s_mov_b32 s0, 0x2f800000
	s_mov_b32 s1, 0xcf800000
	s_mov_b64 s[10:11], -1
	s_waitcnt vmcnt(0)
	v_lshlrev_b32_e32 v3, 16, v3
	v_trunc_f32_e32 v3, v3
	v_mul_f32_e64 v4, |v3|, s0
	v_floor_f32_e32 v4, v4
	v_fma_f32 v4, v4, s1, |v3|
	v_cvt_u32_f32_e32 v4, v4
	v_ashrrev_i32_e32 v3, 31, v3
	s_mov_b64 s[0:1], 0
	v_xor_b32_e32 v4, v4, v3
	v_sub_u32_e32 v3, v4, v3
	s_branch .LBB14_1450
.LBB14_1446:
	s_mov_b64 s[20:21], -1
                                        ; implicit-def: $vgpr3
	s_branch .LBB14_1451
.LBB14_1447:
	s_andn2_saveexec_b64 s[4:5], s[4:5]
	s_cbranch_execz .LBB14_1428
.LBB14_1448:
	v_cmp_ne_u16_e32 vcc, 0, v4
	s_andn2_b64 s[10:11], s[10:11], exec
	s_and_b64 s[20:21], vcc, exec
	s_or_b64 s[10:11], s[10:11], s[20:21]
	s_or_b64 exec, exec, s[4:5]
	v_mov_b32_e32 v3, 0
	s_and_saveexec_b64 s[4:5], s[10:11]
	s_cbranch_execnz .LBB14_1429
	s_branch .LBB14_1430
.LBB14_1449:
	s_mov_b64 s[0:1], -1
                                        ; implicit-def: $vgpr3
.LBB14_1450:
	s_mov_b64 s[20:21], 0
.LBB14_1451:
	s_and_b64 vcc, exec, s[20:21]
	s_cbranch_vccz .LBB14_1453
; %bb.1452:
	s_cmp_lg_u32 s15, 11
	s_mov_b64 s[4:5], -1
	s_cselect_b64 s[0:1], -1, 0
.LBB14_1453:
	s_and_b64 vcc, exec, s[0:1]
	s_cbranch_vccnz .LBB14_1986
; %bb.1454:
	s_andn2_b64 vcc, exec, s[4:5]
	s_cbranch_vccnz .LBB14_1456
.LBB14_1455:
	global_load_ubyte v3, v[5:6], off
	s_mov_b64 s[10:11], -1
	s_waitcnt vmcnt(0)
	v_cmp_ne_u16_e32 vcc, 0, v3
	v_cndmask_b32_e64 v3, 0, 1, vcc
.LBB14_1456:
	s_mov_b64 s[0:1], 0
.LBB14_1457:
	s_and_b64 vcc, exec, s[0:1]
	s_cbranch_vccz .LBB14_1506
; %bb.1458:
	s_cmp_lt_i32 s15, 5
	s_cbranch_scc1 .LBB14_1463
; %bb.1459:
	s_cmp_lt_i32 s15, 8
	s_cbranch_scc1 .LBB14_1464
	;; [unrolled: 3-line block ×3, first 2 shown]
; %bb.1461:
	s_cmp_gt_i32 s15, 9
	s_cbranch_scc0 .LBB14_1466
; %bb.1462:
	global_load_dwordx2 v[3:4], v[5:6], off
	s_movk_i32 s0, 0xffe0
	s_waitcnt vmcnt(0)
	v_trunc_f64_e32 v[3:4], v[3:4]
	v_ldexp_f64 v[8:9], v[3:4], s0
	s_mov_b32 s0, 0
	s_mov_b32 s1, 0xc1f00000
	v_floor_f64_e32 v[8:9], v[8:9]
	v_fma_f64 v[3:4], v[8:9], s[0:1], v[3:4]
	s_mov_b64 s[0:1], 0
	v_cvt_u32_f64_e32 v3, v[3:4]
	s_branch .LBB14_1467
.LBB14_1463:
	s_mov_b64 s[0:1], -1
                                        ; implicit-def: $vgpr3
	s_branch .LBB14_1485
.LBB14_1464:
	s_mov_b64 s[0:1], -1
                                        ; implicit-def: $vgpr3
	s_branch .LBB14_1473
.LBB14_1465:
	s_mov_b64 s[0:1], -1
                                        ; implicit-def: $vgpr3
	s_branch .LBB14_1470
.LBB14_1466:
	s_mov_b64 s[0:1], -1
                                        ; implicit-def: $vgpr3
.LBB14_1467:
	s_andn2_b64 vcc, exec, s[0:1]
	s_cbranch_vccnz .LBB14_1469
; %bb.1468:
	global_load_dword v3, v[5:6], off
	s_mov_b32 s0, 0x2f800000
	s_waitcnt vmcnt(0)
	v_trunc_f32_e32 v3, v3
	v_mul_f32_e64 v4, |v3|, s0
	v_floor_f32_e32 v4, v4
	s_mov_b32 s0, 0xcf800000
	v_fma_f32 v4, v4, s0, |v3|
	v_cvt_u32_f32_e32 v4, v4
	v_ashrrev_i32_e32 v3, 31, v3
	v_xor_b32_e32 v4, v4, v3
	v_sub_u32_e32 v3, v4, v3
.LBB14_1469:
	s_mov_b64 s[0:1], 0
.LBB14_1470:
	s_andn2_b64 vcc, exec, s[0:1]
	s_cbranch_vccnz .LBB14_1472
; %bb.1471:
	global_load_dword v3, v[5:6], off
	s_waitcnt vmcnt(0)
	v_cvt_f32_f16_e32 v3, v3
	v_cvt_i32_f32_e32 v3, v3
.LBB14_1472:
	s_mov_b64 s[0:1], 0
.LBB14_1473:
	s_andn2_b64 vcc, exec, s[0:1]
	s_cbranch_vccnz .LBB14_1484
; %bb.1474:
	s_cmp_lt_i32 s15, 6
	s_cbranch_scc1 .LBB14_1477
; %bb.1475:
	s_cmp_gt_i32 s15, 6
	s_cbranch_scc0 .LBB14_1478
; %bb.1476:
	global_load_dwordx2 v[3:4], v[5:6], off
	s_movk_i32 s0, 0xffe0
	s_waitcnt vmcnt(0)
	v_trunc_f64_e32 v[3:4], v[3:4]
	v_ldexp_f64 v[8:9], v[3:4], s0
	s_mov_b32 s0, 0
	s_mov_b32 s1, 0xc1f00000
	v_floor_f64_e32 v[8:9], v[8:9]
	v_fma_f64 v[3:4], v[8:9], s[0:1], v[3:4]
	s_mov_b64 s[0:1], 0
	v_cvt_u32_f64_e32 v3, v[3:4]
	s_branch .LBB14_1479
.LBB14_1477:
	s_mov_b64 s[0:1], -1
                                        ; implicit-def: $vgpr3
	s_branch .LBB14_1482
.LBB14_1478:
	s_mov_b64 s[0:1], -1
                                        ; implicit-def: $vgpr3
.LBB14_1479:
	s_andn2_b64 vcc, exec, s[0:1]
	s_cbranch_vccnz .LBB14_1481
; %bb.1480:
	global_load_dword v3, v[5:6], off
	s_mov_b32 s0, 0x2f800000
	s_waitcnt vmcnt(0)
	v_trunc_f32_e32 v3, v3
	v_mul_f32_e64 v4, |v3|, s0
	v_floor_f32_e32 v4, v4
	s_mov_b32 s0, 0xcf800000
	v_fma_f32 v4, v4, s0, |v3|
	v_cvt_u32_f32_e32 v4, v4
	v_ashrrev_i32_e32 v3, 31, v3
	v_xor_b32_e32 v4, v4, v3
	v_sub_u32_e32 v3, v4, v3
.LBB14_1481:
	s_mov_b64 s[0:1], 0
.LBB14_1482:
	s_andn2_b64 vcc, exec, s[0:1]
	s_cbranch_vccnz .LBB14_1484
; %bb.1483:
	global_load_ushort v3, v[5:6], off
	s_waitcnt vmcnt(0)
	v_cvt_f32_f16_e32 v3, v3
	v_cvt_i32_f32_e32 v3, v3
.LBB14_1484:
	s_mov_b64 s[0:1], 0
.LBB14_1485:
	s_andn2_b64 vcc, exec, s[0:1]
	s_cbranch_vccnz .LBB14_1505
; %bb.1486:
	s_cmp_lt_i32 s15, 2
	s_cbranch_scc1 .LBB14_1490
; %bb.1487:
	s_cmp_lt_i32 s15, 3
	s_cbranch_scc1 .LBB14_1491
; %bb.1488:
	s_cmp_gt_i32 s15, 3
	s_cbranch_scc0 .LBB14_1492
; %bb.1489:
	global_load_dwordx2 v[3:4], v[5:6], off
	s_mov_b64 s[0:1], 0
	s_branch .LBB14_1493
.LBB14_1490:
	s_mov_b64 s[0:1], -1
                                        ; implicit-def: $vgpr3
	s_branch .LBB14_1499
.LBB14_1491:
	s_mov_b64 s[0:1], -1
                                        ; implicit-def: $vgpr3
	s_branch .LBB14_1496
.LBB14_1492:
	s_mov_b64 s[0:1], -1
                                        ; implicit-def: $vgpr3
.LBB14_1493:
	s_andn2_b64 vcc, exec, s[0:1]
	s_cbranch_vccnz .LBB14_1495
; %bb.1494:
	global_load_dword v3, v[5:6], off
.LBB14_1495:
	s_mov_b64 s[0:1], 0
.LBB14_1496:
	s_andn2_b64 vcc, exec, s[0:1]
	s_cbranch_vccnz .LBB14_1498
; %bb.1497:
	global_load_ushort v3, v[5:6], off
.LBB14_1498:
	s_mov_b64 s[0:1], 0
.LBB14_1499:
	s_andn2_b64 vcc, exec, s[0:1]
	s_cbranch_vccnz .LBB14_1505
; %bb.1500:
	s_cmp_gt_i32 s15, 0
	s_cbranch_scc0 .LBB14_1502
; %bb.1501:
	global_load_ubyte v3, v[5:6], off
	s_mov_b64 s[0:1], 0
	s_branch .LBB14_1503
.LBB14_1502:
	s_mov_b64 s[0:1], -1
                                        ; implicit-def: $vgpr3
.LBB14_1503:
	s_andn2_b64 vcc, exec, s[0:1]
	s_cbranch_vccnz .LBB14_1505
; %bb.1504:
	global_load_ubyte v3, v[5:6], off
.LBB14_1505:
	s_mov_b64 s[10:11], -1
.LBB14_1506:
	s_andn2_b64 vcc, exec, s[10:11]
	s_cbranch_vccnz .LBB14_1940
; %bb.1507:
	v_mul_lo_u32 v6, s12, v7
	s_cmp_eq_u32 s14, 0
	s_cselect_b64 s[4:5], -1, 0
	s_and_b32 s25, s2, 0xff
	v_cmp_ne_u16_sdwa s[0:1], s25, v0 src0_sel:DWORD src1_sel:BYTE_0
	s_xor_b64 s[10:11], s[4:5], s[0:1]
	v_ashrrev_i32_e32 v0, 31, v6
	v_mov_b32_e32 v5, s9
	s_and_b32 s24, s3, 0xff
	s_waitcnt vmcnt(0)
	v_add_co_u32_e32 v4, vcc, s8, v6
	s_cmp_lt_i32 s24, 11
	v_addc_co_u32_e32 v5, vcc, v5, v0, vcc
	s_cbranch_scc1 .LBB14_1585
; %bb.1508:
	s_and_b32 s13, 0xffff, s24
	s_mov_b64 s[20:21], -1
	s_mov_b64 s[2:3], 0
	s_cmp_gt_i32 s13, 25
	s_mov_b64 s[14:15], 0
	s_mov_b64 s[0:1], 0
	s_cbranch_scc0 .LBB14_1541
; %bb.1509:
	s_cmp_gt_i32 s13, 28
	s_cbranch_scc0 .LBB14_1524
; %bb.1510:
	s_cmp_gt_i32 s13, 43
	;; [unrolled: 3-line block ×3, first 2 shown]
	s_cbranch_scc0 .LBB14_1514
; %bb.1512:
	s_mov_b64 s[0:1], -1
	s_mov_b64 s[20:21], 0
	s_cmp_eq_u32 s13, 46
	s_cbranch_scc0 .LBB14_1514
; %bb.1513:
	v_cndmask_b32_e64 v0, 0, 1.0, s[10:11]
	v_bfe_u32 v7, v0, 16, 1
	s_movk_i32 s0, 0x7fff
	v_add3_u32 v0, v0, v7, s0
	v_lshrrev_b32_e32 v0, 16, v0
	global_store_dword v[4:5], v0, off
	s_mov_b64 s[0:1], 0
	s_mov_b64 s[14:15], -1
.LBB14_1514:
	s_and_b64 vcc, exec, s[20:21]
	s_cbranch_vccz .LBB14_1519
; %bb.1515:
	s_cmp_eq_u32 s13, 44
	s_mov_b64 s[0:1], -1
	s_cbranch_scc0 .LBB14_1519
; %bb.1516:
	v_cndmask_b32_e64 v7, 0, 1.0, s[10:11]
	v_lshrrev_b32_e32 v0, 23, v7
	s_movk_i32 s0, 0xff
	v_cmp_ne_u32_e32 vcc, s0, v0
	v_mov_b32_e32 v8, 0xff
	s_and_saveexec_b64 s[14:15], vcc
; %bb.1517:
	s_mov_b32 s0, 0x3fffff
	v_and_b32_e32 v8, 0x400000, v7
	v_and_or_b32 v7, v7, s0, v0
	v_cmp_ne_u32_e32 vcc, 0, v8
	v_cmp_ne_u32_e64 s[0:1], 0, v7
	s_and_b64 s[0:1], vcc, s[0:1]
	v_cndmask_b32_e64 v7, 0, 1, s[0:1]
	v_add_u32_e32 v8, v0, v7
; %bb.1518:
	s_or_b64 exec, exec, s[14:15]
	s_mov_b64 s[0:1], 0
	s_mov_b64 s[14:15], -1
	global_store_byte v[4:5], v8, off
.LBB14_1519:
	s_mov_b64 s[20:21], 0
.LBB14_1520:
	s_and_b64 vcc, exec, s[20:21]
	s_cbranch_vccz .LBB14_1523
; %bb.1521:
	s_cmp_eq_u32 s13, 29
	s_mov_b64 s[0:1], -1
	s_cbranch_scc0 .LBB14_1523
; %bb.1522:
	s_mov_b32 s0, 0
	v_cndmask_b32_e64 v7, 0, 1, s[10:11]
	v_mov_b32_e32 v8, s0
	global_store_dwordx2 v[4:5], v[7:8], off
	s_mov_b64 s[0:1], 0
	s_mov_b64 s[14:15], -1
.LBB14_1523:
	s_mov_b64 s[20:21], 0
.LBB14_1524:
	s_and_b64 vcc, exec, s[20:21]
	s_cbranch_vccz .LBB14_1540
; %bb.1525:
	s_cmp_lt_i32 s13, 27
	s_mov_b64 s[14:15], -1
	s_cbranch_scc1 .LBB14_1531
; %bb.1526:
	s_cmp_gt_i32 s13, 27
	s_cbranch_scc0 .LBB14_1528
; %bb.1527:
	v_cndmask_b32_e64 v0, 0, 1, s[10:11]
	s_mov_b64 s[14:15], 0
	global_store_dword v[4:5], v0, off
.LBB14_1528:
	s_andn2_b64 vcc, exec, s[14:15]
	s_cbranch_vccnz .LBB14_1530
; %bb.1529:
	v_cndmask_b32_e64 v0, 0, 1, s[10:11]
	global_store_short v[4:5], v0, off
.LBB14_1530:
	s_mov_b64 s[14:15], 0
.LBB14_1531:
	s_andn2_b64 vcc, exec, s[14:15]
	s_cbranch_vccnz .LBB14_1539
; %bb.1532:
	v_cndmask_b32_e64 v7, 0, 1.0, s[10:11]
	s_mov_b32 s14, 0x43800000
	v_cmp_gt_u32_e32 vcc, s14, v7
	v_mov_b32_e32 v8, 0x80
	s_and_saveexec_b64 s[14:15], vcc
	s_cbranch_execz .LBB14_1538
; %bb.1533:
	s_mov_b32 s20, 0x3bffffff
	v_cmp_lt_u32_e32 vcc, s20, v7
	s_mov_b64 s[20:21], 0
                                        ; implicit-def: $vgpr0
	s_and_saveexec_b64 s[22:23], vcc
	s_xor_b64 s[22:23], exec, s[22:23]
	s_cbranch_execz .LBB14_1987
; %bb.1534:
	v_bfe_u32 v0, v7, 20, 1
	s_mov_b32 s26, 0x487ffff
	v_add3_u32 v0, v7, v0, s26
	s_mov_b64 s[20:21], exec
	v_lshrrev_b32_e32 v0, 20, v0
                                        ; implicit-def: $vgpr7
	s_andn2_saveexec_b64 s[22:23], s[22:23]
	s_cbranch_execnz .LBB14_1988
.LBB14_1535:
	s_or_b64 exec, exec, s[22:23]
	v_mov_b32_e32 v8, 0
	s_and_saveexec_b64 s[22:23], s[20:21]
.LBB14_1536:
	v_mov_b32_e32 v8, v0
.LBB14_1537:
	s_or_b64 exec, exec, s[22:23]
.LBB14_1538:
	s_or_b64 exec, exec, s[14:15]
	global_store_byte v[4:5], v8, off
.LBB14_1539:
	s_mov_b64 s[14:15], -1
.LBB14_1540:
	s_mov_b64 s[20:21], 0
.LBB14_1541:
	s_and_b64 vcc, exec, s[20:21]
	s_cbranch_vccz .LBB14_1581
; %bb.1542:
	s_cmp_gt_i32 s13, 22
	s_mov_b64 s[2:3], -1
	s_cbranch_scc0 .LBB14_1574
; %bb.1543:
	s_cmp_lt_i32 s13, 24
	s_cbranch_scc1 .LBB14_1563
; %bb.1544:
	s_cmp_gt_i32 s13, 24
	s_cbranch_scc0 .LBB14_1552
; %bb.1545:
	v_cndmask_b32_e64 v7, 0, 1.0, s[10:11]
	s_mov_b32 s2, 0x47800000
	v_cmp_gt_u32_e32 vcc, s2, v7
	v_mov_b32_e32 v8, 0x80
	s_and_saveexec_b64 s[2:3], vcc
	s_cbranch_execz .LBB14_1551
; %bb.1546:
	s_mov_b32 s14, 0x37ffffff
	v_cmp_lt_u32_e32 vcc, s14, v7
	s_mov_b64 s[14:15], 0
                                        ; implicit-def: $vgpr0
	s_and_saveexec_b64 s[20:21], vcc
	s_xor_b64 s[20:21], exec, s[20:21]
	s_cbranch_execz .LBB14_1990
; %bb.1547:
	v_bfe_u32 v0, v7, 21, 1
	s_mov_b32 s22, 0x88fffff
	v_add3_u32 v0, v7, v0, s22
	s_mov_b64 s[14:15], exec
	v_lshrrev_b32_e32 v0, 21, v0
                                        ; implicit-def: $vgpr7
	s_andn2_saveexec_b64 s[20:21], s[20:21]
	s_cbranch_execnz .LBB14_1991
.LBB14_1548:
	s_or_b64 exec, exec, s[20:21]
	v_mov_b32_e32 v8, 0
	s_and_saveexec_b64 s[20:21], s[14:15]
.LBB14_1549:
	v_mov_b32_e32 v8, v0
.LBB14_1550:
	s_or_b64 exec, exec, s[20:21]
.LBB14_1551:
	s_or_b64 exec, exec, s[2:3]
	s_mov_b64 s[2:3], 0
	global_store_byte v[4:5], v8, off
.LBB14_1552:
	s_and_b64 vcc, exec, s[2:3]
	s_cbranch_vccz .LBB14_1562
; %bb.1553:
	v_cndmask_b32_e64 v0, 0, 1.0, s[10:11]
	s_mov_b32 s2, 0x43f00000
	v_cmp_gt_u32_e32 vcc, s2, v0
                                        ; implicit-def: $vgpr7
	s_and_saveexec_b64 s[2:3], vcc
	s_xor_b64 s[2:3], exec, s[2:3]
	s_cbranch_execz .LBB14_1559
; %bb.1554:
	s_mov_b32 s14, 0x3c7fffff
	v_cmp_lt_u32_e32 vcc, s14, v0
                                        ; implicit-def: $vgpr7
	s_and_saveexec_b64 s[14:15], vcc
	s_xor_b64 s[14:15], exec, s[14:15]
; %bb.1555:
	v_bfe_u32 v7, v0, 20, 1
	s_mov_b32 s20, 0x407ffff
	v_add3_u32 v0, v0, v7, s20
	v_lshrrev_b32_e32 v7, 20, v0
	v_and_b32_e32 v0, 0xff00000, v0
	s_mov_b32 s20, 0x7f00000
	v_mov_b32_e32 v8, 0x7e
	v_cmp_ne_u32_e32 vcc, s20, v0
	v_cndmask_b32_e32 v7, v8, v7, vcc
                                        ; implicit-def: $vgpr0
; %bb.1556:
	s_andn2_saveexec_b64 s[14:15], s[14:15]
; %bb.1557:
	v_add_f32_e32 v7, 0x46800000, v0
; %bb.1558:
	s_or_b64 exec, exec, s[14:15]
                                        ; implicit-def: $vgpr0
.LBB14_1559:
	s_andn2_saveexec_b64 s[2:3], s[2:3]
; %bb.1560:
	s_mov_b32 s14, 0x7f800000
	v_mov_b32_e32 v7, 0x7e
	v_mov_b32_e32 v8, 0x7f
	v_cmp_lt_u32_e32 vcc, s14, v0
	v_cndmask_b32_e32 v7, v7, v8, vcc
; %bb.1561:
	s_or_b64 exec, exec, s[2:3]
	global_store_byte v[4:5], v7, off
.LBB14_1562:
	s_mov_b64 s[2:3], 0
.LBB14_1563:
	s_andn2_b64 vcc, exec, s[2:3]
	s_cbranch_vccnz .LBB14_1573
; %bb.1564:
	v_cndmask_b32_e64 v0, 0, 1.0, s[10:11]
	s_mov_b32 s2, 0x47800000
	v_cmp_gt_u32_e32 vcc, s2, v0
                                        ; implicit-def: $vgpr7
	s_and_saveexec_b64 s[2:3], vcc
	s_xor_b64 s[2:3], exec, s[2:3]
	s_cbranch_execz .LBB14_1570
; %bb.1565:
	s_mov_b32 s14, 0x387fffff
	v_cmp_lt_u32_e32 vcc, s14, v0
                                        ; implicit-def: $vgpr7
	s_and_saveexec_b64 s[14:15], vcc
	s_xor_b64 s[14:15], exec, s[14:15]
; %bb.1566:
	v_bfe_u32 v7, v0, 21, 1
	s_mov_b32 s20, 0x80fffff
	v_add3_u32 v0, v0, v7, s20
	v_lshrrev_b32_e32 v7, 21, v0
                                        ; implicit-def: $vgpr0
; %bb.1567:
	s_andn2_saveexec_b64 s[14:15], s[14:15]
; %bb.1568:
	v_add_f32_e32 v7, 0x43000000, v0
; %bb.1569:
	s_or_b64 exec, exec, s[14:15]
                                        ; implicit-def: $vgpr0
.LBB14_1570:
	s_andn2_saveexec_b64 s[2:3], s[2:3]
; %bb.1571:
	s_mov_b32 s14, 0x7f800000
	v_mov_b32_e32 v7, 0x7c
	v_mov_b32_e32 v8, 0x7f
	v_cmp_lt_u32_e32 vcc, s14, v0
	v_cndmask_b32_e32 v7, v7, v8, vcc
; %bb.1572:
	s_or_b64 exec, exec, s[2:3]
	global_store_byte v[4:5], v7, off
.LBB14_1573:
	s_mov_b64 s[2:3], 0
	s_mov_b64 s[14:15], -1
.LBB14_1574:
	s_andn2_b64 vcc, exec, s[2:3]
	s_mov_b64 s[2:3], 0
	s_cbranch_vccnz .LBB14_1581
; %bb.1575:
	s_cmp_gt_i32 s13, 14
	s_mov_b64 s[20:21], -1
	s_cbranch_scc0 .LBB14_1579
; %bb.1576:
	s_cmp_eq_u32 s13, 15
	s_mov_b64 s[0:1], -1
	s_cbranch_scc0 .LBB14_1578
; %bb.1577:
	v_cndmask_b32_e64 v0, 0, 1.0, s[10:11]
	v_bfe_u32 v7, v0, 16, 1
	s_movk_i32 s0, 0x7fff
	v_add3_u32 v0, v0, v7, s0
	global_store_short_d16_hi v[4:5], v0, off
	s_mov_b64 s[0:1], 0
	s_mov_b64 s[14:15], -1
.LBB14_1578:
	s_mov_b64 s[20:21], 0
.LBB14_1579:
	s_and_b64 vcc, exec, s[20:21]
	s_cbranch_vccz .LBB14_1581
; %bb.1580:
	s_cmp_lg_u32 s13, 11
	s_mov_b64 s[2:3], -1
	s_cselect_b64 s[0:1], -1, 0
.LBB14_1581:
	s_and_b64 vcc, exec, s[0:1]
	s_cbranch_vccnz .LBB14_1989
; %bb.1582:
	s_andn2_b64 vcc, exec, s[2:3]
	s_cbranch_vccnz .LBB14_1584
.LBB14_1583:
	v_cndmask_b32_e64 v0, 0, 1, s[10:11]
	s_mov_b64 s[14:15], -1
	global_store_byte v[4:5], v0, off
.LBB14_1584:
	s_mov_b64 s[0:1], 0
	s_branch .LBB14_1586
.LBB14_1585:
	s_mov_b64 s[0:1], -1
	s_mov_b64 s[14:15], 0
.LBB14_1586:
	s_and_b64 vcc, exec, s[0:1]
	s_cbranch_vccz .LBB14_1625
; %bb.1587:
	s_and_b32 s2, 0xffff, s24
	s_cmp_lt_i32 s2, 5
	s_mov_b64 s[0:1], -1
	s_cbranch_scc1 .LBB14_1608
; %bb.1588:
	s_cmp_lt_i32 s2, 8
	s_cbranch_scc1 .LBB14_1598
; %bb.1589:
	s_cmp_lt_i32 s2, 9
	s_cbranch_scc1 .LBB14_1595
; %bb.1590:
	s_cmp_gt_i32 s2, 9
	s_cbranch_scc0 .LBB14_1592
; %bb.1591:
	v_cndmask_b32_e64 v0, 0, 1, s[10:11]
	v_cvt_f64_u32_e32 v[7:8], v0
	v_mov_b32_e32 v9, 0
	v_mov_b32_e32 v10, v9
	s_mov_b64 s[0:1], 0
	global_store_dwordx4 v[4:5], v[7:10], off
.LBB14_1592:
	s_andn2_b64 vcc, exec, s[0:1]
	s_cbranch_vccnz .LBB14_1594
; %bb.1593:
	v_cndmask_b32_e64 v7, 0, 1.0, s[10:11]
	v_mov_b32_e32 v8, 0
	global_store_dwordx2 v[4:5], v[7:8], off
.LBB14_1594:
	s_mov_b64 s[0:1], 0
.LBB14_1595:
	s_andn2_b64 vcc, exec, s[0:1]
	s_cbranch_vccnz .LBB14_1597
; %bb.1596:
	v_cndmask_b32_e64 v0, 0, 1.0, s[10:11]
	v_cvt_f16_f32_e32 v0, v0
	global_store_dword v[4:5], v0, off
.LBB14_1597:
	s_mov_b64 s[0:1], 0
.LBB14_1598:
	s_andn2_b64 vcc, exec, s[0:1]
	s_cbranch_vccnz .LBB14_1607
; %bb.1599:
	s_cmp_lt_i32 s2, 6
	s_mov_b64 s[0:1], -1
	s_cbranch_scc1 .LBB14_1605
; %bb.1600:
	s_cmp_gt_i32 s2, 6
	s_cbranch_scc0 .LBB14_1602
; %bb.1601:
	v_cndmask_b32_e64 v0, 0, 1, s[10:11]
	v_cvt_f64_u32_e32 v[7:8], v0
	s_mov_b64 s[0:1], 0
	global_store_dwordx2 v[4:5], v[7:8], off
.LBB14_1602:
	s_andn2_b64 vcc, exec, s[0:1]
	s_cbranch_vccnz .LBB14_1604
; %bb.1603:
	v_cndmask_b32_e64 v0, 0, 1.0, s[10:11]
	global_store_dword v[4:5], v0, off
.LBB14_1604:
	s_mov_b64 s[0:1], 0
.LBB14_1605:
	s_andn2_b64 vcc, exec, s[0:1]
	s_cbranch_vccnz .LBB14_1607
; %bb.1606:
	v_cndmask_b32_e64 v0, 0, 1.0, s[10:11]
	v_cvt_f16_f32_e32 v0, v0
	global_store_short v[4:5], v0, off
.LBB14_1607:
	s_mov_b64 s[0:1], 0
.LBB14_1608:
	s_andn2_b64 vcc, exec, s[0:1]
	s_cbranch_vccnz .LBB14_1624
; %bb.1609:
	s_cmp_lt_i32 s2, 2
	s_mov_b64 s[0:1], -1
	s_cbranch_scc1 .LBB14_1619
; %bb.1610:
	s_cmp_lt_i32 s2, 3
	s_cbranch_scc1 .LBB14_1616
; %bb.1611:
	s_cmp_gt_i32 s2, 3
	s_cbranch_scc0 .LBB14_1613
; %bb.1612:
	s_mov_b32 s0, 0
	v_cndmask_b32_e64 v7, 0, 1, s[10:11]
	v_mov_b32_e32 v8, s0
	global_store_dwordx2 v[4:5], v[7:8], off
	s_mov_b64 s[0:1], 0
.LBB14_1613:
	s_andn2_b64 vcc, exec, s[0:1]
	s_cbranch_vccnz .LBB14_1615
; %bb.1614:
	v_cndmask_b32_e64 v0, 0, 1, s[10:11]
	global_store_dword v[4:5], v0, off
.LBB14_1615:
	s_mov_b64 s[0:1], 0
.LBB14_1616:
	s_andn2_b64 vcc, exec, s[0:1]
	s_cbranch_vccnz .LBB14_1618
; %bb.1617:
	v_cndmask_b32_e64 v0, 0, 1, s[10:11]
	global_store_short v[4:5], v0, off
.LBB14_1618:
	s_mov_b64 s[0:1], 0
.LBB14_1619:
	s_andn2_b64 vcc, exec, s[0:1]
	s_cbranch_vccnz .LBB14_1624
; %bb.1620:
	s_mov_b64 s[0:1], -1
	s_cmp_gt_i32 s2, 0
	v_cndmask_b32_e64 v0, 0, 1, s[10:11]
	s_cbranch_scc0 .LBB14_1622
; %bb.1621:
	global_store_byte v[4:5], v0, off
	s_mov_b64 s[0:1], 0
.LBB14_1622:
	s_andn2_b64 vcc, exec, s[0:1]
	s_cbranch_vccnz .LBB14_1624
; %bb.1623:
	global_store_byte v[4:5], v0, off
.LBB14_1624:
	s_mov_b64 s[14:15], -1
.LBB14_1625:
	s_andn2_b64 vcc, exec, s[14:15]
	s_cbranch_vccnz .LBB14_1940
; %bb.1626:
	s_lshl_b32 s22, s12, 7
	v_cmp_ne_u16_sdwa s[0:1], s25, v1 src0_sel:DWORD src1_sel:BYTE_0
	v_add_u32_e32 v4, s22, v6
	s_xor_b64 s[2:3], s[4:5], s[0:1]
	v_ashrrev_i32_e32 v1, 31, v4
	v_mov_b32_e32 v5, s9
	v_add_co_u32_e32 v0, vcc, s8, v4
	s_cmp_lt_i32 s24, 11
	v_addc_co_u32_e32 v1, vcc, v5, v1, vcc
	s_cbranch_scc1 .LBB14_1704
; %bb.1627:
	s_and_b32 s23, 0xffff, s24
	s_mov_b64 s[14:15], -1
	s_mov_b64 s[10:11], 0
	s_cmp_gt_i32 s23, 25
	s_mov_b64 s[12:13], 0
	s_mov_b64 s[0:1], 0
	s_cbranch_scc0 .LBB14_1660
; %bb.1628:
	s_cmp_gt_i32 s23, 28
	s_cbranch_scc0 .LBB14_1643
; %bb.1629:
	s_cmp_gt_i32 s23, 43
	;; [unrolled: 3-line block ×3, first 2 shown]
	s_cbranch_scc0 .LBB14_1633
; %bb.1631:
	s_mov_b64 s[0:1], -1
	s_mov_b64 s[14:15], 0
	s_cmp_eq_u32 s23, 46
	s_cbranch_scc0 .LBB14_1633
; %bb.1632:
	v_cndmask_b32_e64 v5, 0, 1.0, s[2:3]
	v_bfe_u32 v6, v5, 16, 1
	s_movk_i32 s0, 0x7fff
	v_add3_u32 v5, v5, v6, s0
	v_lshrrev_b32_e32 v5, 16, v5
	global_store_dword v[0:1], v5, off
	s_mov_b64 s[0:1], 0
	s_mov_b64 s[12:13], -1
.LBB14_1633:
	s_and_b64 vcc, exec, s[14:15]
	s_cbranch_vccz .LBB14_1638
; %bb.1634:
	s_cmp_eq_u32 s23, 44
	s_mov_b64 s[0:1], -1
	s_cbranch_scc0 .LBB14_1638
; %bb.1635:
	v_cndmask_b32_e64 v6, 0, 1.0, s[2:3]
	v_lshrrev_b32_e32 v5, 23, v6
	s_movk_i32 s0, 0xff
	v_cmp_ne_u32_e32 vcc, s0, v5
	v_mov_b32_e32 v7, 0xff
	s_and_saveexec_b64 s[12:13], vcc
; %bb.1636:
	s_mov_b32 s0, 0x3fffff
	v_and_b32_e32 v7, 0x400000, v6
	v_and_or_b32 v6, v6, s0, v5
	v_cmp_ne_u32_e32 vcc, 0, v7
	v_cmp_ne_u32_e64 s[0:1], 0, v6
	s_and_b64 s[0:1], vcc, s[0:1]
	v_cndmask_b32_e64 v6, 0, 1, s[0:1]
	v_add_u32_e32 v7, v5, v6
; %bb.1637:
	s_or_b64 exec, exec, s[12:13]
	s_mov_b64 s[0:1], 0
	s_mov_b64 s[12:13], -1
	global_store_byte v[0:1], v7, off
.LBB14_1638:
	s_mov_b64 s[14:15], 0
.LBB14_1639:
	s_and_b64 vcc, exec, s[14:15]
	s_cbranch_vccz .LBB14_1642
; %bb.1640:
	s_cmp_eq_u32 s23, 29
	s_mov_b64 s[0:1], -1
	s_cbranch_scc0 .LBB14_1642
; %bb.1641:
	s_mov_b32 s0, 0
	v_cndmask_b32_e64 v5, 0, 1, s[2:3]
	v_mov_b32_e32 v6, s0
	global_store_dwordx2 v[0:1], v[5:6], off
	s_mov_b64 s[0:1], 0
	s_mov_b64 s[12:13], -1
.LBB14_1642:
	s_mov_b64 s[14:15], 0
.LBB14_1643:
	s_and_b64 vcc, exec, s[14:15]
	s_cbranch_vccz .LBB14_1659
; %bb.1644:
	s_cmp_lt_i32 s23, 27
	s_mov_b64 s[12:13], -1
	s_cbranch_scc1 .LBB14_1650
; %bb.1645:
	s_cmp_gt_i32 s23, 27
	s_cbranch_scc0 .LBB14_1647
; %bb.1646:
	v_cndmask_b32_e64 v5, 0, 1, s[2:3]
	s_mov_b64 s[12:13], 0
	global_store_dword v[0:1], v5, off
.LBB14_1647:
	s_andn2_b64 vcc, exec, s[12:13]
	s_cbranch_vccnz .LBB14_1649
; %bb.1648:
	v_cndmask_b32_e64 v5, 0, 1, s[2:3]
	global_store_short v[0:1], v5, off
.LBB14_1649:
	s_mov_b64 s[12:13], 0
.LBB14_1650:
	s_andn2_b64 vcc, exec, s[12:13]
	s_cbranch_vccnz .LBB14_1658
; %bb.1651:
	v_cndmask_b32_e64 v6, 0, 1.0, s[2:3]
	s_mov_b32 s12, 0x43800000
	v_cmp_gt_u32_e32 vcc, s12, v6
	v_mov_b32_e32 v7, 0x80
	s_and_saveexec_b64 s[12:13], vcc
	s_cbranch_execz .LBB14_1657
; %bb.1652:
	s_mov_b32 s14, 0x3bffffff
	v_cmp_lt_u32_e32 vcc, s14, v6
	s_mov_b64 s[14:15], 0
                                        ; implicit-def: $vgpr5
	s_and_saveexec_b64 s[20:21], vcc
	s_xor_b64 s[20:21], exec, s[20:21]
	s_cbranch_execz .LBB14_1992
; %bb.1653:
	v_bfe_u32 v5, v6, 20, 1
	s_mov_b32 s26, 0x487ffff
	v_add3_u32 v5, v6, v5, s26
	s_mov_b64 s[14:15], exec
	v_lshrrev_b32_e32 v5, 20, v5
                                        ; implicit-def: $vgpr6
	s_andn2_saveexec_b64 s[20:21], s[20:21]
	s_cbranch_execnz .LBB14_1993
.LBB14_1654:
	s_or_b64 exec, exec, s[20:21]
	v_mov_b32_e32 v7, 0
	s_and_saveexec_b64 s[20:21], s[14:15]
.LBB14_1655:
	v_mov_b32_e32 v7, v5
.LBB14_1656:
	s_or_b64 exec, exec, s[20:21]
.LBB14_1657:
	s_or_b64 exec, exec, s[12:13]
	global_store_byte v[0:1], v7, off
.LBB14_1658:
	s_mov_b64 s[12:13], -1
.LBB14_1659:
	s_mov_b64 s[14:15], 0
.LBB14_1660:
	s_and_b64 vcc, exec, s[14:15]
	s_cbranch_vccz .LBB14_1700
; %bb.1661:
	s_cmp_gt_i32 s23, 22
	s_mov_b64 s[10:11], -1
	s_cbranch_scc0 .LBB14_1693
; %bb.1662:
	s_cmp_lt_i32 s23, 24
	s_cbranch_scc1 .LBB14_1682
; %bb.1663:
	s_cmp_gt_i32 s23, 24
	s_cbranch_scc0 .LBB14_1671
; %bb.1664:
	v_cndmask_b32_e64 v6, 0, 1.0, s[2:3]
	s_mov_b32 s10, 0x47800000
	v_cmp_gt_u32_e32 vcc, s10, v6
	v_mov_b32_e32 v7, 0x80
	s_and_saveexec_b64 s[10:11], vcc
	s_cbranch_execz .LBB14_1670
; %bb.1665:
	s_mov_b32 s12, 0x37ffffff
	v_cmp_lt_u32_e32 vcc, s12, v6
	s_mov_b64 s[12:13], 0
                                        ; implicit-def: $vgpr5
	s_and_saveexec_b64 s[14:15], vcc
	s_xor_b64 s[14:15], exec, s[14:15]
	s_cbranch_execz .LBB14_1995
; %bb.1666:
	v_bfe_u32 v5, v6, 21, 1
	s_mov_b32 s20, 0x88fffff
	v_add3_u32 v5, v6, v5, s20
	s_mov_b64 s[12:13], exec
	v_lshrrev_b32_e32 v5, 21, v5
                                        ; implicit-def: $vgpr6
	s_andn2_saveexec_b64 s[14:15], s[14:15]
	s_cbranch_execnz .LBB14_1996
.LBB14_1667:
	s_or_b64 exec, exec, s[14:15]
	v_mov_b32_e32 v7, 0
	s_and_saveexec_b64 s[14:15], s[12:13]
.LBB14_1668:
	v_mov_b32_e32 v7, v5
.LBB14_1669:
	s_or_b64 exec, exec, s[14:15]
.LBB14_1670:
	s_or_b64 exec, exec, s[10:11]
	s_mov_b64 s[10:11], 0
	global_store_byte v[0:1], v7, off
.LBB14_1671:
	s_and_b64 vcc, exec, s[10:11]
	s_cbranch_vccz .LBB14_1681
; %bb.1672:
	v_cndmask_b32_e64 v5, 0, 1.0, s[2:3]
	s_mov_b32 s10, 0x43f00000
	v_cmp_gt_u32_e32 vcc, s10, v5
                                        ; implicit-def: $vgpr6
	s_and_saveexec_b64 s[10:11], vcc
	s_xor_b64 s[10:11], exec, s[10:11]
	s_cbranch_execz .LBB14_1678
; %bb.1673:
	s_mov_b32 s12, 0x3c7fffff
	v_cmp_lt_u32_e32 vcc, s12, v5
                                        ; implicit-def: $vgpr6
	s_and_saveexec_b64 s[12:13], vcc
	s_xor_b64 s[12:13], exec, s[12:13]
; %bb.1674:
	v_bfe_u32 v6, v5, 20, 1
	s_mov_b32 s14, 0x407ffff
	v_add3_u32 v5, v5, v6, s14
	v_lshrrev_b32_e32 v6, 20, v5
	v_and_b32_e32 v5, 0xff00000, v5
	s_mov_b32 s14, 0x7f00000
	v_mov_b32_e32 v7, 0x7e
	v_cmp_ne_u32_e32 vcc, s14, v5
	v_cndmask_b32_e32 v6, v7, v6, vcc
                                        ; implicit-def: $vgpr5
; %bb.1675:
	s_andn2_saveexec_b64 s[12:13], s[12:13]
; %bb.1676:
	v_add_f32_e32 v6, 0x46800000, v5
; %bb.1677:
	s_or_b64 exec, exec, s[12:13]
                                        ; implicit-def: $vgpr5
.LBB14_1678:
	s_andn2_saveexec_b64 s[10:11], s[10:11]
; %bb.1679:
	s_mov_b32 s12, 0x7f800000
	v_mov_b32_e32 v6, 0x7e
	v_mov_b32_e32 v7, 0x7f
	v_cmp_lt_u32_e32 vcc, s12, v5
	v_cndmask_b32_e32 v6, v6, v7, vcc
; %bb.1680:
	s_or_b64 exec, exec, s[10:11]
	global_store_byte v[0:1], v6, off
.LBB14_1681:
	s_mov_b64 s[10:11], 0
.LBB14_1682:
	s_andn2_b64 vcc, exec, s[10:11]
	s_cbranch_vccnz .LBB14_1692
; %bb.1683:
	v_cndmask_b32_e64 v5, 0, 1.0, s[2:3]
	s_mov_b32 s10, 0x47800000
	v_cmp_gt_u32_e32 vcc, s10, v5
                                        ; implicit-def: $vgpr6
	s_and_saveexec_b64 s[10:11], vcc
	s_xor_b64 s[10:11], exec, s[10:11]
	s_cbranch_execz .LBB14_1689
; %bb.1684:
	s_mov_b32 s12, 0x387fffff
	v_cmp_lt_u32_e32 vcc, s12, v5
                                        ; implicit-def: $vgpr6
	s_and_saveexec_b64 s[12:13], vcc
	s_xor_b64 s[12:13], exec, s[12:13]
; %bb.1685:
	v_bfe_u32 v6, v5, 21, 1
	s_mov_b32 s14, 0x80fffff
	v_add3_u32 v5, v5, v6, s14
	v_lshrrev_b32_e32 v6, 21, v5
                                        ; implicit-def: $vgpr5
; %bb.1686:
	s_andn2_saveexec_b64 s[12:13], s[12:13]
; %bb.1687:
	v_add_f32_e32 v6, 0x43000000, v5
; %bb.1688:
	s_or_b64 exec, exec, s[12:13]
                                        ; implicit-def: $vgpr5
.LBB14_1689:
	s_andn2_saveexec_b64 s[10:11], s[10:11]
; %bb.1690:
	s_mov_b32 s12, 0x7f800000
	v_mov_b32_e32 v6, 0x7c
	v_mov_b32_e32 v7, 0x7f
	v_cmp_lt_u32_e32 vcc, s12, v5
	v_cndmask_b32_e32 v6, v6, v7, vcc
; %bb.1691:
	s_or_b64 exec, exec, s[10:11]
	global_store_byte v[0:1], v6, off
.LBB14_1692:
	s_mov_b64 s[10:11], 0
	s_mov_b64 s[12:13], -1
.LBB14_1693:
	s_andn2_b64 vcc, exec, s[10:11]
	s_mov_b64 s[10:11], 0
	s_cbranch_vccnz .LBB14_1700
; %bb.1694:
	s_cmp_gt_i32 s23, 14
	s_mov_b64 s[14:15], -1
	s_cbranch_scc0 .LBB14_1698
; %bb.1695:
	s_cmp_eq_u32 s23, 15
	s_mov_b64 s[0:1], -1
	s_cbranch_scc0 .LBB14_1697
; %bb.1696:
	v_cndmask_b32_e64 v5, 0, 1.0, s[2:3]
	v_bfe_u32 v6, v5, 16, 1
	s_movk_i32 s0, 0x7fff
	v_add3_u32 v5, v5, v6, s0
	global_store_short_d16_hi v[0:1], v5, off
	s_mov_b64 s[0:1], 0
	s_mov_b64 s[12:13], -1
.LBB14_1697:
	s_mov_b64 s[14:15], 0
.LBB14_1698:
	s_and_b64 vcc, exec, s[14:15]
	s_cbranch_vccz .LBB14_1700
; %bb.1699:
	s_cmp_lg_u32 s23, 11
	s_mov_b64 s[10:11], -1
	s_cselect_b64 s[0:1], -1, 0
.LBB14_1700:
	s_and_b64 vcc, exec, s[0:1]
	s_cbranch_vccnz .LBB14_1994
; %bb.1701:
	s_andn2_b64 vcc, exec, s[10:11]
	s_cbranch_vccnz .LBB14_1703
.LBB14_1702:
	v_cndmask_b32_e64 v5, 0, 1, s[2:3]
	s_mov_b64 s[12:13], -1
	global_store_byte v[0:1], v5, off
.LBB14_1703:
	s_mov_b64 s[0:1], 0
	s_branch .LBB14_1705
.LBB14_1704:
	s_mov_b64 s[0:1], -1
	s_mov_b64 s[12:13], 0
.LBB14_1705:
	s_and_b64 vcc, exec, s[0:1]
	s_cbranch_vccz .LBB14_1744
; %bb.1706:
	s_and_b32 s10, 0xffff, s24
	s_cmp_lt_i32 s10, 5
	s_mov_b64 s[0:1], -1
	s_cbranch_scc1 .LBB14_1727
; %bb.1707:
	s_cmp_lt_i32 s10, 8
	s_cbranch_scc1 .LBB14_1717
; %bb.1708:
	s_cmp_lt_i32 s10, 9
	s_cbranch_scc1 .LBB14_1714
; %bb.1709:
	s_cmp_gt_i32 s10, 9
	s_cbranch_scc0 .LBB14_1711
; %bb.1710:
	v_cndmask_b32_e64 v5, 0, 1, s[2:3]
	v_cvt_f64_u32_e32 v[5:6], v5
	v_mov_b32_e32 v7, 0
	v_mov_b32_e32 v8, v7
	s_mov_b64 s[0:1], 0
	global_store_dwordx4 v[0:1], v[5:8], off
.LBB14_1711:
	s_andn2_b64 vcc, exec, s[0:1]
	s_cbranch_vccnz .LBB14_1713
; %bb.1712:
	v_cndmask_b32_e64 v5, 0, 1.0, s[2:3]
	v_mov_b32_e32 v6, 0
	global_store_dwordx2 v[0:1], v[5:6], off
.LBB14_1713:
	s_mov_b64 s[0:1], 0
.LBB14_1714:
	s_andn2_b64 vcc, exec, s[0:1]
	s_cbranch_vccnz .LBB14_1716
; %bb.1715:
	v_cndmask_b32_e64 v5, 0, 1.0, s[2:3]
	v_cvt_f16_f32_e32 v5, v5
	global_store_dword v[0:1], v5, off
.LBB14_1716:
	s_mov_b64 s[0:1], 0
.LBB14_1717:
	s_andn2_b64 vcc, exec, s[0:1]
	s_cbranch_vccnz .LBB14_1726
; %bb.1718:
	s_cmp_lt_i32 s10, 6
	s_mov_b64 s[0:1], -1
	s_cbranch_scc1 .LBB14_1724
; %bb.1719:
	s_cmp_gt_i32 s10, 6
	s_cbranch_scc0 .LBB14_1721
; %bb.1720:
	v_cndmask_b32_e64 v5, 0, 1, s[2:3]
	v_cvt_f64_u32_e32 v[5:6], v5
	s_mov_b64 s[0:1], 0
	global_store_dwordx2 v[0:1], v[5:6], off
.LBB14_1721:
	s_andn2_b64 vcc, exec, s[0:1]
	s_cbranch_vccnz .LBB14_1723
; %bb.1722:
	v_cndmask_b32_e64 v5, 0, 1.0, s[2:3]
	global_store_dword v[0:1], v5, off
.LBB14_1723:
	s_mov_b64 s[0:1], 0
.LBB14_1724:
	s_andn2_b64 vcc, exec, s[0:1]
	s_cbranch_vccnz .LBB14_1726
; %bb.1725:
	v_cndmask_b32_e64 v5, 0, 1.0, s[2:3]
	v_cvt_f16_f32_e32 v5, v5
	global_store_short v[0:1], v5, off
.LBB14_1726:
	s_mov_b64 s[0:1], 0
.LBB14_1727:
	s_andn2_b64 vcc, exec, s[0:1]
	s_cbranch_vccnz .LBB14_1743
; %bb.1728:
	s_cmp_lt_i32 s10, 2
	s_mov_b64 s[0:1], -1
	s_cbranch_scc1 .LBB14_1738
; %bb.1729:
	s_cmp_lt_i32 s10, 3
	s_cbranch_scc1 .LBB14_1735
; %bb.1730:
	s_cmp_gt_i32 s10, 3
	s_cbranch_scc0 .LBB14_1732
; %bb.1731:
	s_mov_b32 s0, 0
	v_cndmask_b32_e64 v5, 0, 1, s[2:3]
	v_mov_b32_e32 v6, s0
	global_store_dwordx2 v[0:1], v[5:6], off
	s_mov_b64 s[0:1], 0
.LBB14_1732:
	s_andn2_b64 vcc, exec, s[0:1]
	s_cbranch_vccnz .LBB14_1734
; %bb.1733:
	v_cndmask_b32_e64 v5, 0, 1, s[2:3]
	global_store_dword v[0:1], v5, off
.LBB14_1734:
	s_mov_b64 s[0:1], 0
.LBB14_1735:
	s_andn2_b64 vcc, exec, s[0:1]
	s_cbranch_vccnz .LBB14_1737
; %bb.1736:
	v_cndmask_b32_e64 v5, 0, 1, s[2:3]
	global_store_short v[0:1], v5, off
.LBB14_1737:
	s_mov_b64 s[0:1], 0
.LBB14_1738:
	s_andn2_b64 vcc, exec, s[0:1]
	s_cbranch_vccnz .LBB14_1743
; %bb.1739:
	s_mov_b64 s[0:1], -1
	s_cmp_gt_i32 s10, 0
	v_cndmask_b32_e64 v5, 0, 1, s[2:3]
	s_cbranch_scc0 .LBB14_1741
; %bb.1740:
	global_store_byte v[0:1], v5, off
	s_mov_b64 s[0:1], 0
.LBB14_1741:
	s_andn2_b64 vcc, exec, s[0:1]
	s_cbranch_vccnz .LBB14_1743
; %bb.1742:
	global_store_byte v[0:1], v5, off
.LBB14_1743:
	s_mov_b64 s[12:13], -1
.LBB14_1744:
	s_andn2_b64 vcc, exec, s[12:13]
	s_cbranch_vccnz .LBB14_1940
; %bb.1745:
	v_cmp_ne_u16_sdwa s[0:1], s25, v2 src0_sel:DWORD src1_sel:BYTE_0
	v_add_u32_e32 v2, s22, v4
	s_xor_b64 s[2:3], s[4:5], s[0:1]
	v_ashrrev_i32_e32 v1, 31, v2
	v_mov_b32_e32 v4, s9
	v_add_co_u32_e32 v0, vcc, s8, v2
	s_cmp_lt_i32 s24, 11
	v_addc_co_u32_e32 v1, vcc, v4, v1, vcc
	s_cbranch_scc1 .LBB14_1823
; %bb.1746:
	s_and_b32 s23, 0xffff, s24
	s_mov_b64 s[14:15], -1
	s_mov_b64 s[10:11], 0
	s_cmp_gt_i32 s23, 25
	s_mov_b64 s[12:13], 0
	s_mov_b64 s[0:1], 0
	s_cbranch_scc0 .LBB14_1779
; %bb.1747:
	s_cmp_gt_i32 s23, 28
	s_cbranch_scc0 .LBB14_1762
; %bb.1748:
	s_cmp_gt_i32 s23, 43
	;; [unrolled: 3-line block ×3, first 2 shown]
	s_cbranch_scc0 .LBB14_1752
; %bb.1750:
	s_mov_b64 s[0:1], -1
	s_mov_b64 s[14:15], 0
	s_cmp_eq_u32 s23, 46
	s_cbranch_scc0 .LBB14_1752
; %bb.1751:
	v_cndmask_b32_e64 v4, 0, 1.0, s[2:3]
	v_bfe_u32 v5, v4, 16, 1
	s_movk_i32 s0, 0x7fff
	v_add3_u32 v4, v4, v5, s0
	v_lshrrev_b32_e32 v4, 16, v4
	global_store_dword v[0:1], v4, off
	s_mov_b64 s[0:1], 0
	s_mov_b64 s[12:13], -1
.LBB14_1752:
	s_and_b64 vcc, exec, s[14:15]
	s_cbranch_vccz .LBB14_1757
; %bb.1753:
	s_cmp_eq_u32 s23, 44
	s_mov_b64 s[0:1], -1
	s_cbranch_scc0 .LBB14_1757
; %bb.1754:
	v_cndmask_b32_e64 v5, 0, 1.0, s[2:3]
	v_lshrrev_b32_e32 v4, 23, v5
	s_movk_i32 s0, 0xff
	v_cmp_ne_u32_e32 vcc, s0, v4
	v_mov_b32_e32 v6, 0xff
	s_and_saveexec_b64 s[12:13], vcc
; %bb.1755:
	s_mov_b32 s0, 0x3fffff
	v_and_b32_e32 v6, 0x400000, v5
	v_and_or_b32 v5, v5, s0, v4
	v_cmp_ne_u32_e32 vcc, 0, v6
	v_cmp_ne_u32_e64 s[0:1], 0, v5
	s_and_b64 s[0:1], vcc, s[0:1]
	v_cndmask_b32_e64 v5, 0, 1, s[0:1]
	v_add_u32_e32 v6, v4, v5
; %bb.1756:
	s_or_b64 exec, exec, s[12:13]
	s_mov_b64 s[0:1], 0
	s_mov_b64 s[12:13], -1
	global_store_byte v[0:1], v6, off
.LBB14_1757:
	s_mov_b64 s[14:15], 0
.LBB14_1758:
	s_and_b64 vcc, exec, s[14:15]
	s_cbranch_vccz .LBB14_1761
; %bb.1759:
	s_cmp_eq_u32 s23, 29
	s_mov_b64 s[0:1], -1
	s_cbranch_scc0 .LBB14_1761
; %bb.1760:
	s_mov_b32 s0, 0
	v_cndmask_b32_e64 v4, 0, 1, s[2:3]
	v_mov_b32_e32 v5, s0
	global_store_dwordx2 v[0:1], v[4:5], off
	s_mov_b64 s[0:1], 0
	s_mov_b64 s[12:13], -1
.LBB14_1761:
	s_mov_b64 s[14:15], 0
.LBB14_1762:
	s_and_b64 vcc, exec, s[14:15]
	s_cbranch_vccz .LBB14_1778
; %bb.1763:
	s_cmp_lt_i32 s23, 27
	s_mov_b64 s[12:13], -1
	s_cbranch_scc1 .LBB14_1769
; %bb.1764:
	s_cmp_gt_i32 s23, 27
	s_cbranch_scc0 .LBB14_1766
; %bb.1765:
	v_cndmask_b32_e64 v4, 0, 1, s[2:3]
	s_mov_b64 s[12:13], 0
	global_store_dword v[0:1], v4, off
.LBB14_1766:
	s_andn2_b64 vcc, exec, s[12:13]
	s_cbranch_vccnz .LBB14_1768
; %bb.1767:
	v_cndmask_b32_e64 v4, 0, 1, s[2:3]
	global_store_short v[0:1], v4, off
.LBB14_1768:
	s_mov_b64 s[12:13], 0
.LBB14_1769:
	s_andn2_b64 vcc, exec, s[12:13]
	s_cbranch_vccnz .LBB14_1777
; %bb.1770:
	v_cndmask_b32_e64 v5, 0, 1.0, s[2:3]
	s_mov_b32 s12, 0x43800000
	v_cmp_gt_u32_e32 vcc, s12, v5
	v_mov_b32_e32 v6, 0x80
	s_and_saveexec_b64 s[12:13], vcc
	s_cbranch_execz .LBB14_1776
; %bb.1771:
	s_mov_b32 s14, 0x3bffffff
	v_cmp_lt_u32_e32 vcc, s14, v5
	s_mov_b64 s[14:15], 0
                                        ; implicit-def: $vgpr4
	s_and_saveexec_b64 s[20:21], vcc
	s_xor_b64 s[20:21], exec, s[20:21]
	s_cbranch_execz .LBB14_1997
; %bb.1772:
	v_bfe_u32 v4, v5, 20, 1
	s_mov_b32 s26, 0x487ffff
	v_add3_u32 v4, v5, v4, s26
	s_mov_b64 s[14:15], exec
	v_lshrrev_b32_e32 v4, 20, v4
                                        ; implicit-def: $vgpr5
	s_andn2_saveexec_b64 s[20:21], s[20:21]
	s_cbranch_execnz .LBB14_1998
.LBB14_1773:
	s_or_b64 exec, exec, s[20:21]
	v_mov_b32_e32 v6, 0
	s_and_saveexec_b64 s[20:21], s[14:15]
.LBB14_1774:
	v_mov_b32_e32 v6, v4
.LBB14_1775:
	s_or_b64 exec, exec, s[20:21]
.LBB14_1776:
	s_or_b64 exec, exec, s[12:13]
	global_store_byte v[0:1], v6, off
.LBB14_1777:
	s_mov_b64 s[12:13], -1
.LBB14_1778:
	s_mov_b64 s[14:15], 0
.LBB14_1779:
	s_and_b64 vcc, exec, s[14:15]
	s_cbranch_vccz .LBB14_1819
; %bb.1780:
	s_cmp_gt_i32 s23, 22
	s_mov_b64 s[10:11], -1
	s_cbranch_scc0 .LBB14_1812
; %bb.1781:
	s_cmp_lt_i32 s23, 24
	s_cbranch_scc1 .LBB14_1801
; %bb.1782:
	s_cmp_gt_i32 s23, 24
	s_cbranch_scc0 .LBB14_1790
; %bb.1783:
	v_cndmask_b32_e64 v5, 0, 1.0, s[2:3]
	s_mov_b32 s10, 0x47800000
	v_cmp_gt_u32_e32 vcc, s10, v5
	v_mov_b32_e32 v6, 0x80
	s_and_saveexec_b64 s[10:11], vcc
	s_cbranch_execz .LBB14_1789
; %bb.1784:
	s_mov_b32 s12, 0x37ffffff
	v_cmp_lt_u32_e32 vcc, s12, v5
	s_mov_b64 s[12:13], 0
                                        ; implicit-def: $vgpr4
	s_and_saveexec_b64 s[14:15], vcc
	s_xor_b64 s[14:15], exec, s[14:15]
	s_cbranch_execz .LBB14_2000
; %bb.1785:
	v_bfe_u32 v4, v5, 21, 1
	s_mov_b32 s20, 0x88fffff
	v_add3_u32 v4, v5, v4, s20
	s_mov_b64 s[12:13], exec
	v_lshrrev_b32_e32 v4, 21, v4
                                        ; implicit-def: $vgpr5
	s_andn2_saveexec_b64 s[14:15], s[14:15]
	s_cbranch_execnz .LBB14_2001
.LBB14_1786:
	s_or_b64 exec, exec, s[14:15]
	v_mov_b32_e32 v6, 0
	s_and_saveexec_b64 s[14:15], s[12:13]
.LBB14_1787:
	v_mov_b32_e32 v6, v4
.LBB14_1788:
	s_or_b64 exec, exec, s[14:15]
.LBB14_1789:
	s_or_b64 exec, exec, s[10:11]
	s_mov_b64 s[10:11], 0
	global_store_byte v[0:1], v6, off
.LBB14_1790:
	s_and_b64 vcc, exec, s[10:11]
	s_cbranch_vccz .LBB14_1800
; %bb.1791:
	v_cndmask_b32_e64 v4, 0, 1.0, s[2:3]
	s_mov_b32 s10, 0x43f00000
	v_cmp_gt_u32_e32 vcc, s10, v4
                                        ; implicit-def: $vgpr5
	s_and_saveexec_b64 s[10:11], vcc
	s_xor_b64 s[10:11], exec, s[10:11]
	s_cbranch_execz .LBB14_1797
; %bb.1792:
	s_mov_b32 s12, 0x3c7fffff
	v_cmp_lt_u32_e32 vcc, s12, v4
                                        ; implicit-def: $vgpr5
	s_and_saveexec_b64 s[12:13], vcc
	s_xor_b64 s[12:13], exec, s[12:13]
; %bb.1793:
	v_bfe_u32 v5, v4, 20, 1
	s_mov_b32 s14, 0x407ffff
	v_add3_u32 v4, v4, v5, s14
	v_lshrrev_b32_e32 v5, 20, v4
	v_and_b32_e32 v4, 0xff00000, v4
	s_mov_b32 s14, 0x7f00000
	v_mov_b32_e32 v6, 0x7e
	v_cmp_ne_u32_e32 vcc, s14, v4
	v_cndmask_b32_e32 v5, v6, v5, vcc
                                        ; implicit-def: $vgpr4
; %bb.1794:
	s_andn2_saveexec_b64 s[12:13], s[12:13]
; %bb.1795:
	v_add_f32_e32 v5, 0x46800000, v4
; %bb.1796:
	s_or_b64 exec, exec, s[12:13]
                                        ; implicit-def: $vgpr4
.LBB14_1797:
	s_andn2_saveexec_b64 s[10:11], s[10:11]
; %bb.1798:
	s_mov_b32 s12, 0x7f800000
	v_mov_b32_e32 v5, 0x7e
	v_mov_b32_e32 v6, 0x7f
	v_cmp_lt_u32_e32 vcc, s12, v4
	v_cndmask_b32_e32 v5, v5, v6, vcc
; %bb.1799:
	s_or_b64 exec, exec, s[10:11]
	global_store_byte v[0:1], v5, off
.LBB14_1800:
	s_mov_b64 s[10:11], 0
.LBB14_1801:
	s_andn2_b64 vcc, exec, s[10:11]
	s_cbranch_vccnz .LBB14_1811
; %bb.1802:
	v_cndmask_b32_e64 v4, 0, 1.0, s[2:3]
	s_mov_b32 s10, 0x47800000
	v_cmp_gt_u32_e32 vcc, s10, v4
                                        ; implicit-def: $vgpr5
	s_and_saveexec_b64 s[10:11], vcc
	s_xor_b64 s[10:11], exec, s[10:11]
	s_cbranch_execz .LBB14_1808
; %bb.1803:
	s_mov_b32 s12, 0x387fffff
	v_cmp_lt_u32_e32 vcc, s12, v4
                                        ; implicit-def: $vgpr5
	s_and_saveexec_b64 s[12:13], vcc
	s_xor_b64 s[12:13], exec, s[12:13]
; %bb.1804:
	v_bfe_u32 v5, v4, 21, 1
	s_mov_b32 s14, 0x80fffff
	v_add3_u32 v4, v4, v5, s14
	v_lshrrev_b32_e32 v5, 21, v4
                                        ; implicit-def: $vgpr4
; %bb.1805:
	s_andn2_saveexec_b64 s[12:13], s[12:13]
; %bb.1806:
	v_add_f32_e32 v5, 0x43000000, v4
; %bb.1807:
	s_or_b64 exec, exec, s[12:13]
                                        ; implicit-def: $vgpr4
.LBB14_1808:
	s_andn2_saveexec_b64 s[10:11], s[10:11]
; %bb.1809:
	s_mov_b32 s12, 0x7f800000
	v_mov_b32_e32 v5, 0x7c
	v_mov_b32_e32 v6, 0x7f
	v_cmp_lt_u32_e32 vcc, s12, v4
	v_cndmask_b32_e32 v5, v5, v6, vcc
; %bb.1810:
	s_or_b64 exec, exec, s[10:11]
	global_store_byte v[0:1], v5, off
.LBB14_1811:
	s_mov_b64 s[10:11], 0
	s_mov_b64 s[12:13], -1
.LBB14_1812:
	s_andn2_b64 vcc, exec, s[10:11]
	s_mov_b64 s[10:11], 0
	s_cbranch_vccnz .LBB14_1819
; %bb.1813:
	s_cmp_gt_i32 s23, 14
	s_mov_b64 s[14:15], -1
	s_cbranch_scc0 .LBB14_1817
; %bb.1814:
	s_cmp_eq_u32 s23, 15
	s_mov_b64 s[0:1], -1
	s_cbranch_scc0 .LBB14_1816
; %bb.1815:
	v_cndmask_b32_e64 v4, 0, 1.0, s[2:3]
	v_bfe_u32 v5, v4, 16, 1
	s_movk_i32 s0, 0x7fff
	v_add3_u32 v4, v4, v5, s0
	global_store_short_d16_hi v[0:1], v4, off
	s_mov_b64 s[0:1], 0
	s_mov_b64 s[12:13], -1
.LBB14_1816:
	s_mov_b64 s[14:15], 0
.LBB14_1817:
	s_and_b64 vcc, exec, s[14:15]
	s_cbranch_vccz .LBB14_1819
; %bb.1818:
	s_cmp_lg_u32 s23, 11
	s_mov_b64 s[10:11], -1
	s_cselect_b64 s[0:1], -1, 0
.LBB14_1819:
	s_and_b64 vcc, exec, s[0:1]
	s_cbranch_vccnz .LBB14_1999
; %bb.1820:
	s_andn2_b64 vcc, exec, s[10:11]
	s_cbranch_vccnz .LBB14_1822
.LBB14_1821:
	v_cndmask_b32_e64 v4, 0, 1, s[2:3]
	s_mov_b64 s[12:13], -1
	global_store_byte v[0:1], v4, off
.LBB14_1822:
	s_mov_b64 s[0:1], 0
	s_branch .LBB14_1824
.LBB14_1823:
	s_mov_b64 s[0:1], -1
	s_mov_b64 s[12:13], 0
.LBB14_1824:
	s_and_b64 vcc, exec, s[0:1]
	s_cbranch_vccz .LBB14_1863
; %bb.1825:
	s_and_b32 s10, 0xffff, s24
	s_cmp_lt_i32 s10, 5
	s_mov_b64 s[0:1], -1
	s_cbranch_scc1 .LBB14_1846
; %bb.1826:
	s_cmp_lt_i32 s10, 8
	s_cbranch_scc1 .LBB14_1836
; %bb.1827:
	s_cmp_lt_i32 s10, 9
	s_cbranch_scc1 .LBB14_1833
; %bb.1828:
	s_cmp_gt_i32 s10, 9
	s_cbranch_scc0 .LBB14_1830
; %bb.1829:
	v_cndmask_b32_e64 v4, 0, 1, s[2:3]
	v_cvt_f64_u32_e32 v[4:5], v4
	v_mov_b32_e32 v6, 0
	v_mov_b32_e32 v7, v6
	s_mov_b64 s[0:1], 0
	global_store_dwordx4 v[0:1], v[4:7], off
.LBB14_1830:
	s_andn2_b64 vcc, exec, s[0:1]
	s_cbranch_vccnz .LBB14_1832
; %bb.1831:
	v_cndmask_b32_e64 v4, 0, 1.0, s[2:3]
	v_mov_b32_e32 v5, 0
	global_store_dwordx2 v[0:1], v[4:5], off
.LBB14_1832:
	s_mov_b64 s[0:1], 0
.LBB14_1833:
	s_andn2_b64 vcc, exec, s[0:1]
	s_cbranch_vccnz .LBB14_1835
; %bb.1834:
	v_cndmask_b32_e64 v4, 0, 1.0, s[2:3]
	v_cvt_f16_f32_e32 v4, v4
	global_store_dword v[0:1], v4, off
.LBB14_1835:
	s_mov_b64 s[0:1], 0
.LBB14_1836:
	s_andn2_b64 vcc, exec, s[0:1]
	s_cbranch_vccnz .LBB14_1845
; %bb.1837:
	s_cmp_lt_i32 s10, 6
	s_mov_b64 s[0:1], -1
	s_cbranch_scc1 .LBB14_1843
; %bb.1838:
	s_cmp_gt_i32 s10, 6
	s_cbranch_scc0 .LBB14_1840
; %bb.1839:
	v_cndmask_b32_e64 v4, 0, 1, s[2:3]
	v_cvt_f64_u32_e32 v[4:5], v4
	s_mov_b64 s[0:1], 0
	global_store_dwordx2 v[0:1], v[4:5], off
.LBB14_1840:
	s_andn2_b64 vcc, exec, s[0:1]
	s_cbranch_vccnz .LBB14_1842
; %bb.1841:
	v_cndmask_b32_e64 v4, 0, 1.0, s[2:3]
	global_store_dword v[0:1], v4, off
.LBB14_1842:
	s_mov_b64 s[0:1], 0
.LBB14_1843:
	s_andn2_b64 vcc, exec, s[0:1]
	s_cbranch_vccnz .LBB14_1845
; %bb.1844:
	v_cndmask_b32_e64 v4, 0, 1.0, s[2:3]
	v_cvt_f16_f32_e32 v4, v4
	global_store_short v[0:1], v4, off
.LBB14_1845:
	s_mov_b64 s[0:1], 0
.LBB14_1846:
	s_andn2_b64 vcc, exec, s[0:1]
	s_cbranch_vccnz .LBB14_1862
; %bb.1847:
	s_cmp_lt_i32 s10, 2
	s_mov_b64 s[0:1], -1
	s_cbranch_scc1 .LBB14_1857
; %bb.1848:
	s_cmp_lt_i32 s10, 3
	s_cbranch_scc1 .LBB14_1854
; %bb.1849:
	s_cmp_gt_i32 s10, 3
	s_cbranch_scc0 .LBB14_1851
; %bb.1850:
	s_mov_b32 s0, 0
	v_cndmask_b32_e64 v4, 0, 1, s[2:3]
	v_mov_b32_e32 v5, s0
	global_store_dwordx2 v[0:1], v[4:5], off
	s_mov_b64 s[0:1], 0
.LBB14_1851:
	s_andn2_b64 vcc, exec, s[0:1]
	s_cbranch_vccnz .LBB14_1853
; %bb.1852:
	v_cndmask_b32_e64 v4, 0, 1, s[2:3]
	global_store_dword v[0:1], v4, off
.LBB14_1853:
	s_mov_b64 s[0:1], 0
.LBB14_1854:
	s_andn2_b64 vcc, exec, s[0:1]
	s_cbranch_vccnz .LBB14_1856
; %bb.1855:
	v_cndmask_b32_e64 v4, 0, 1, s[2:3]
	global_store_short v[0:1], v4, off
.LBB14_1856:
	s_mov_b64 s[0:1], 0
.LBB14_1857:
	s_andn2_b64 vcc, exec, s[0:1]
	s_cbranch_vccnz .LBB14_1862
; %bb.1858:
	s_mov_b64 s[0:1], -1
	s_cmp_gt_i32 s10, 0
	v_cndmask_b32_e64 v4, 0, 1, s[2:3]
	s_cbranch_scc0 .LBB14_1860
; %bb.1859:
	global_store_byte v[0:1], v4, off
	s_mov_b64 s[0:1], 0
.LBB14_1860:
	s_andn2_b64 vcc, exec, s[0:1]
	s_cbranch_vccnz .LBB14_1862
; %bb.1861:
	global_store_byte v[0:1], v4, off
.LBB14_1862:
	s_mov_b64 s[12:13], -1
.LBB14_1863:
	s_andn2_b64 vcc, exec, s[12:13]
	s_cbranch_vccnz .LBB14_1940
; %bb.1864:
	v_cmp_ne_u16_sdwa s[0:1], s25, v3 src0_sel:DWORD src1_sel:BYTE_0
	v_add_u32_e32 v0, s22, v2
	s_xor_b64 s[20:21], s[4:5], s[0:1]
	v_ashrrev_i32_e32 v1, 31, v0
	v_mov_b32_e32 v2, s9
	v_add_co_u32_e32 v0, vcc, s8, v0
	s_cmp_lt_i32 s24, 11
	v_addc_co_u32_e32 v1, vcc, v2, v1, vcc
	s_cbranch_scc1 .LBB14_1985
; %bb.1865:
	s_and_b32 s12, 0xffff, s24
	s_mov_b64 s[4:5], -1
	s_mov_b64 s[2:3], 0
	s_cmp_gt_i32 s12, 25
	s_mov_b64 s[0:1], 0
	s_cbranch_scc0 .LBB14_1898
; %bb.1866:
	s_cmp_gt_i32 s12, 28
	s_cbranch_scc0 .LBB14_1882
; %bb.1867:
	s_cmp_gt_i32 s12, 43
	;; [unrolled: 3-line block ×3, first 2 shown]
	s_cbranch_scc0 .LBB14_1872
; %bb.1869:
	s_cmp_eq_u32 s12, 46
	s_mov_b64 s[0:1], -1
	s_cbranch_scc0 .LBB14_1871
; %bb.1870:
	v_cndmask_b32_e64 v2, 0, 1.0, s[20:21]
	v_bfe_u32 v3, v2, 16, 1
	s_movk_i32 s0, 0x7fff
	v_add3_u32 v2, v2, v3, s0
	v_lshrrev_b32_e32 v2, 16, v2
	global_store_dword v[0:1], v2, off
	s_mov_b64 s[0:1], 0
.LBB14_1871:
	s_mov_b64 s[4:5], 0
.LBB14_1872:
	s_and_b64 vcc, exec, s[4:5]
	s_cbranch_vccz .LBB14_1877
; %bb.1873:
	s_cmp_eq_u32 s12, 44
	s_mov_b64 s[0:1], -1
	s_cbranch_scc0 .LBB14_1877
; %bb.1874:
	v_cndmask_b32_e64 v3, 0, 1.0, s[20:21]
	v_lshrrev_b32_e32 v2, 23, v3
	s_movk_i32 s0, 0xff
	v_cmp_ne_u32_e32 vcc, s0, v2
	v_mov_b32_e32 v4, 0xff
	s_and_saveexec_b64 s[4:5], vcc
; %bb.1875:
	s_mov_b32 s0, 0x3fffff
	v_and_b32_e32 v4, 0x400000, v3
	v_and_or_b32 v3, v3, s0, v2
	v_cmp_ne_u32_e32 vcc, 0, v4
	v_cmp_ne_u32_e64 s[0:1], 0, v3
	s_and_b64 s[0:1], vcc, s[0:1]
	v_cndmask_b32_e64 v3, 0, 1, s[0:1]
	v_add_u32_e32 v4, v2, v3
; %bb.1876:
	s_or_b64 exec, exec, s[4:5]
	s_mov_b64 s[0:1], 0
	global_store_byte v[0:1], v4, off
.LBB14_1877:
	s_mov_b64 s[4:5], 0
.LBB14_1878:
	s_and_b64 vcc, exec, s[4:5]
	s_cbranch_vccz .LBB14_1881
; %bb.1879:
	s_cmp_eq_u32 s12, 29
	s_mov_b64 s[0:1], -1
	s_cbranch_scc0 .LBB14_1881
; %bb.1880:
	s_mov_b32 s0, 0
	v_cndmask_b32_e64 v2, 0, 1, s[20:21]
	v_mov_b32_e32 v3, s0
	global_store_dwordx2 v[0:1], v[2:3], off
	s_mov_b64 s[0:1], 0
.LBB14_1881:
	s_mov_b64 s[4:5], 0
.LBB14_1882:
	s_and_b64 vcc, exec, s[4:5]
	s_cbranch_vccz .LBB14_1897
; %bb.1883:
	s_cmp_lt_i32 s12, 27
	s_mov_b64 s[4:5], -1
	s_cbranch_scc1 .LBB14_1889
; %bb.1884:
	s_cmp_gt_i32 s12, 27
	v_cndmask_b32_e64 v2, 0, 1, s[20:21]
	s_cbranch_scc0 .LBB14_1886
; %bb.1885:
	global_store_dword v[0:1], v2, off
	s_mov_b64 s[4:5], 0
.LBB14_1886:
	s_andn2_b64 vcc, exec, s[4:5]
	s_cbranch_vccnz .LBB14_1888
; %bb.1887:
	global_store_short v[0:1], v2, off
.LBB14_1888:
	s_mov_b64 s[4:5], 0
.LBB14_1889:
	s_andn2_b64 vcc, exec, s[4:5]
	s_cbranch_vccnz .LBB14_1897
; %bb.1890:
	v_cndmask_b32_e64 v3, 0, 1.0, s[20:21]
	s_mov_b32 s4, 0x43800000
	v_cmp_gt_u32_e32 vcc, s4, v3
	v_mov_b32_e32 v4, 0x80
	s_and_saveexec_b64 s[4:5], vcc
	s_cbranch_execz .LBB14_1896
; %bb.1891:
	s_mov_b32 s8, 0x3bffffff
	v_cmp_lt_u32_e32 vcc, s8, v3
	s_mov_b64 s[8:9], 0
                                        ; implicit-def: $vgpr2
	s_and_saveexec_b64 s[10:11], vcc
	s_xor_b64 s[10:11], exec, s[10:11]
	s_cbranch_execz .LBB14_2002
; %bb.1892:
	v_bfe_u32 v2, v3, 20, 1
	s_mov_b32 s13, 0x487ffff
	v_add3_u32 v2, v3, v2, s13
	s_mov_b64 s[8:9], exec
	v_lshrrev_b32_e32 v2, 20, v2
                                        ; implicit-def: $vgpr3
	s_andn2_saveexec_b64 s[10:11], s[10:11]
	s_cbranch_execnz .LBB14_2003
.LBB14_1893:
	s_or_b64 exec, exec, s[10:11]
	v_mov_b32_e32 v4, 0
	s_and_saveexec_b64 s[10:11], s[8:9]
.LBB14_1894:
	v_mov_b32_e32 v4, v2
.LBB14_1895:
	s_or_b64 exec, exec, s[10:11]
.LBB14_1896:
	s_or_b64 exec, exec, s[4:5]
	global_store_byte v[0:1], v4, off
.LBB14_1897:
	s_mov_b64 s[4:5], 0
.LBB14_1898:
	s_and_b64 vcc, exec, s[4:5]
	s_cbranch_vccz .LBB14_1938
; %bb.1899:
	s_cmp_gt_i32 s12, 22
	s_mov_b64 s[2:3], -1
	s_cbranch_scc0 .LBB14_1931
; %bb.1900:
	s_cmp_lt_i32 s12, 24
	s_cbranch_scc1 .LBB14_1920
; %bb.1901:
	s_cmp_gt_i32 s12, 24
	s_cbranch_scc0 .LBB14_1909
; %bb.1902:
	v_cndmask_b32_e64 v3, 0, 1.0, s[20:21]
	s_mov_b32 s2, 0x47800000
	v_cmp_gt_u32_e32 vcc, s2, v3
	v_mov_b32_e32 v4, 0x80
	s_and_saveexec_b64 s[2:3], vcc
	s_cbranch_execz .LBB14_1908
; %bb.1903:
	s_mov_b32 s4, 0x37ffffff
	v_cmp_lt_u32_e32 vcc, s4, v3
	s_mov_b64 s[4:5], 0
                                        ; implicit-def: $vgpr2
	s_and_saveexec_b64 s[8:9], vcc
	s_xor_b64 s[8:9], exec, s[8:9]
	s_cbranch_execz .LBB14_2005
; %bb.1904:
	v_bfe_u32 v2, v3, 21, 1
	s_mov_b32 s10, 0x88fffff
	v_add3_u32 v2, v3, v2, s10
	s_mov_b64 s[4:5], exec
	v_lshrrev_b32_e32 v2, 21, v2
                                        ; implicit-def: $vgpr3
	s_andn2_saveexec_b64 s[8:9], s[8:9]
	s_cbranch_execnz .LBB14_2006
.LBB14_1905:
	s_or_b64 exec, exec, s[8:9]
	v_mov_b32_e32 v4, 0
	s_and_saveexec_b64 s[8:9], s[4:5]
.LBB14_1906:
	v_mov_b32_e32 v4, v2
.LBB14_1907:
	s_or_b64 exec, exec, s[8:9]
.LBB14_1908:
	s_or_b64 exec, exec, s[2:3]
	s_mov_b64 s[2:3], 0
	global_store_byte v[0:1], v4, off
.LBB14_1909:
	s_and_b64 vcc, exec, s[2:3]
	s_cbranch_vccz .LBB14_1919
; %bb.1910:
	v_cndmask_b32_e64 v2, 0, 1.0, s[20:21]
	s_mov_b32 s2, 0x43f00000
	v_cmp_gt_u32_e32 vcc, s2, v2
                                        ; implicit-def: $vgpr3
	s_and_saveexec_b64 s[2:3], vcc
	s_xor_b64 s[2:3], exec, s[2:3]
	s_cbranch_execz .LBB14_1916
; %bb.1911:
	s_mov_b32 s4, 0x3c7fffff
	v_cmp_lt_u32_e32 vcc, s4, v2
                                        ; implicit-def: $vgpr3
	s_and_saveexec_b64 s[4:5], vcc
	s_xor_b64 s[4:5], exec, s[4:5]
; %bb.1912:
	v_bfe_u32 v3, v2, 20, 1
	s_mov_b32 s8, 0x407ffff
	v_add3_u32 v2, v2, v3, s8
	v_lshrrev_b32_e32 v3, 20, v2
	v_and_b32_e32 v2, 0xff00000, v2
	s_mov_b32 s8, 0x7f00000
	v_mov_b32_e32 v4, 0x7e
	v_cmp_ne_u32_e32 vcc, s8, v2
	v_cndmask_b32_e32 v3, v4, v3, vcc
                                        ; implicit-def: $vgpr2
; %bb.1913:
	s_andn2_saveexec_b64 s[4:5], s[4:5]
; %bb.1914:
	v_add_f32_e32 v3, 0x46800000, v2
; %bb.1915:
	s_or_b64 exec, exec, s[4:5]
                                        ; implicit-def: $vgpr2
.LBB14_1916:
	s_andn2_saveexec_b64 s[2:3], s[2:3]
; %bb.1917:
	s_mov_b32 s4, 0x7f800000
	v_mov_b32_e32 v3, 0x7e
	v_mov_b32_e32 v4, 0x7f
	v_cmp_lt_u32_e32 vcc, s4, v2
	v_cndmask_b32_e32 v3, v3, v4, vcc
; %bb.1918:
	s_or_b64 exec, exec, s[2:3]
	global_store_byte v[0:1], v3, off
.LBB14_1919:
	s_mov_b64 s[2:3], 0
.LBB14_1920:
	s_andn2_b64 vcc, exec, s[2:3]
	s_cbranch_vccnz .LBB14_1930
; %bb.1921:
	v_cndmask_b32_e64 v2, 0, 1.0, s[20:21]
	s_mov_b32 s2, 0x47800000
	v_cmp_gt_u32_e32 vcc, s2, v2
                                        ; implicit-def: $vgpr3
	s_and_saveexec_b64 s[2:3], vcc
	s_xor_b64 s[2:3], exec, s[2:3]
	s_cbranch_execz .LBB14_1927
; %bb.1922:
	s_mov_b32 s4, 0x387fffff
	v_cmp_lt_u32_e32 vcc, s4, v2
                                        ; implicit-def: $vgpr3
	s_and_saveexec_b64 s[4:5], vcc
	s_xor_b64 s[4:5], exec, s[4:5]
; %bb.1923:
	v_bfe_u32 v3, v2, 21, 1
	s_mov_b32 s8, 0x80fffff
	v_add3_u32 v2, v2, v3, s8
	v_lshrrev_b32_e32 v3, 21, v2
                                        ; implicit-def: $vgpr2
; %bb.1924:
	s_andn2_saveexec_b64 s[4:5], s[4:5]
; %bb.1925:
	v_add_f32_e32 v3, 0x43000000, v2
; %bb.1926:
	s_or_b64 exec, exec, s[4:5]
                                        ; implicit-def: $vgpr2
.LBB14_1927:
	s_andn2_saveexec_b64 s[2:3], s[2:3]
; %bb.1928:
	s_mov_b32 s4, 0x7f800000
	v_mov_b32_e32 v3, 0x7c
	v_mov_b32_e32 v4, 0x7f
	v_cmp_lt_u32_e32 vcc, s4, v2
	v_cndmask_b32_e32 v3, v3, v4, vcc
; %bb.1929:
	s_or_b64 exec, exec, s[2:3]
	global_store_byte v[0:1], v3, off
.LBB14_1930:
	s_mov_b64 s[2:3], 0
.LBB14_1931:
	s_andn2_b64 vcc, exec, s[2:3]
	s_mov_b64 s[2:3], 0
	s_cbranch_vccnz .LBB14_1938
; %bb.1932:
	s_cmp_gt_i32 s12, 14
	s_mov_b64 s[4:5], -1
	s_cbranch_scc0 .LBB14_1936
; %bb.1933:
	s_cmp_eq_u32 s12, 15
	s_mov_b64 s[0:1], -1
	s_cbranch_scc0 .LBB14_1935
; %bb.1934:
	v_cndmask_b32_e64 v2, 0, 1.0, s[20:21]
	v_bfe_u32 v3, v2, 16, 1
	s_movk_i32 s0, 0x7fff
	v_add3_u32 v2, v2, v3, s0
	global_store_short_d16_hi v[0:1], v2, off
	s_mov_b64 s[0:1], 0
.LBB14_1935:
	s_mov_b64 s[4:5], 0
.LBB14_1936:
	s_and_b64 vcc, exec, s[4:5]
	s_cbranch_vccz .LBB14_1938
; %bb.1937:
	s_cmp_lg_u32 s12, 11
	s_mov_b64 s[2:3], -1
	s_cselect_b64 s[0:1], -1, 0
.LBB14_1938:
	s_and_b64 vcc, exec, s[0:1]
	s_cbranch_vccnz .LBB14_2004
.LBB14_1939:
	s_mov_b64 s[0:1], 0
	s_branch .LBB14_1941
.LBB14_1940:
	s_mov_b64 s[0:1], 0
	s_mov_b64 s[2:3], 0
                                        ; implicit-def: $sgpr20_sgpr21
                                        ; implicit-def: $sgpr24
                                        ; implicit-def: $vgpr0_vgpr1
.LBB14_1941:
	s_and_b64 s[4:5], s[2:3], exec
	s_andn2_b64 s[2:3], s[16:17], exec
	s_and_b64 s[8:9], s[18:19], exec
	s_and_b64 s[0:1], s[0:1], exec
	s_or_b64 s[16:17], s[2:3], s[8:9]
.LBB14_1942:
	s_or_b64 exec, exec, s[6:7]
	s_and_saveexec_b64 s[2:3], s[16:17]
	s_cbranch_execz .LBB14_1945
; %bb.1943:
	; divergent unreachable
	s_or_b64 exec, exec, s[2:3]
	s_and_saveexec_b64 s[2:3], s[4:5]
	s_xor_b64 s[2:3], exec, s[2:3]
	s_cbranch_execnz .LBB14_1946
.LBB14_1944:
	s_or_b64 exec, exec, s[2:3]
	s_and_saveexec_b64 s[2:3], s[0:1]
	s_cbranch_execnz .LBB14_1947
	s_branch .LBB14_1984
.LBB14_1945:
	s_or_b64 exec, exec, s[2:3]
	s_and_saveexec_b64 s[2:3], s[4:5]
	s_xor_b64 s[2:3], exec, s[2:3]
	s_cbranch_execz .LBB14_1944
.LBB14_1946:
	s_waitcnt vmcnt(0)
	v_cndmask_b32_e64 v2, 0, 1, s[20:21]
	global_store_byte v[0:1], v2, off
	s_or_b64 exec, exec, s[2:3]
	s_and_saveexec_b64 s[2:3], s[0:1]
	s_cbranch_execz .LBB14_1984
.LBB14_1947:
	s_sext_i32_i16 s2, s24
	s_cmp_lt_i32 s2, 5
	s_mov_b64 s[0:1], -1
	s_cbranch_scc1 .LBB14_1968
; %bb.1948:
	s_cmp_lt_i32 s2, 8
	s_cbranch_scc1 .LBB14_1958
; %bb.1949:
	s_cmp_lt_i32 s2, 9
	s_cbranch_scc1 .LBB14_1955
; %bb.1950:
	s_cmp_gt_i32 s2, 9
	s_cbranch_scc0 .LBB14_1952
; %bb.1951:
	s_waitcnt vmcnt(0)
	v_cndmask_b32_e64 v2, 0, 1, s[20:21]
	v_cvt_f64_u32_e32 v[2:3], v2
	v_mov_b32_e32 v4, 0
	v_mov_b32_e32 v5, v4
	s_mov_b64 s[0:1], 0
	global_store_dwordx4 v[0:1], v[2:5], off
.LBB14_1952:
	s_andn2_b64 vcc, exec, s[0:1]
	s_cbranch_vccnz .LBB14_1954
; %bb.1953:
	s_waitcnt vmcnt(0)
	v_cndmask_b32_e64 v2, 0, 1.0, s[20:21]
	v_mov_b32_e32 v3, 0
	global_store_dwordx2 v[0:1], v[2:3], off
.LBB14_1954:
	s_mov_b64 s[0:1], 0
.LBB14_1955:
	s_andn2_b64 vcc, exec, s[0:1]
	s_cbranch_vccnz .LBB14_1957
; %bb.1956:
	s_waitcnt vmcnt(0)
	v_cndmask_b32_e64 v2, 0, 1.0, s[20:21]
	v_cvt_f16_f32_e32 v2, v2
	global_store_dword v[0:1], v2, off
.LBB14_1957:
	s_mov_b64 s[0:1], 0
.LBB14_1958:
	s_andn2_b64 vcc, exec, s[0:1]
	s_cbranch_vccnz .LBB14_1967
; %bb.1959:
	s_sext_i32_i16 s2, s24
	s_cmp_lt_i32 s2, 6
	s_mov_b64 s[0:1], -1
	s_cbranch_scc1 .LBB14_1965
; %bb.1960:
	s_cmp_gt_i32 s2, 6
	s_cbranch_scc0 .LBB14_1962
; %bb.1961:
	s_waitcnt vmcnt(0)
	v_cndmask_b32_e64 v2, 0, 1, s[20:21]
	v_cvt_f64_u32_e32 v[2:3], v2
	s_mov_b64 s[0:1], 0
	global_store_dwordx2 v[0:1], v[2:3], off
.LBB14_1962:
	s_andn2_b64 vcc, exec, s[0:1]
	s_cbranch_vccnz .LBB14_1964
; %bb.1963:
	s_waitcnt vmcnt(0)
	v_cndmask_b32_e64 v2, 0, 1.0, s[20:21]
	global_store_dword v[0:1], v2, off
.LBB14_1964:
	s_mov_b64 s[0:1], 0
.LBB14_1965:
	s_andn2_b64 vcc, exec, s[0:1]
	s_cbranch_vccnz .LBB14_1967
; %bb.1966:
	s_waitcnt vmcnt(0)
	v_cndmask_b32_e64 v2, 0, 1.0, s[20:21]
	v_cvt_f16_f32_e32 v2, v2
	global_store_short v[0:1], v2, off
.LBB14_1967:
	s_mov_b64 s[0:1], 0
.LBB14_1968:
	s_andn2_b64 vcc, exec, s[0:1]
	s_cbranch_vccnz .LBB14_1984
; %bb.1969:
	s_sext_i32_i16 s2, s24
	s_cmp_lt_i32 s2, 2
	s_mov_b64 s[0:1], -1
	s_cbranch_scc1 .LBB14_1979
; %bb.1970:
	s_cmp_lt_i32 s2, 3
	s_cbranch_scc1 .LBB14_1976
; %bb.1971:
	s_cmp_gt_i32 s2, 3
	s_cbranch_scc0 .LBB14_1973
; %bb.1972:
	s_mov_b32 s0, 0
	s_waitcnt vmcnt(0)
	v_cndmask_b32_e64 v2, 0, 1, s[20:21]
	v_mov_b32_e32 v3, s0
	global_store_dwordx2 v[0:1], v[2:3], off
	s_mov_b64 s[0:1], 0
.LBB14_1973:
	s_andn2_b64 vcc, exec, s[0:1]
	s_cbranch_vccnz .LBB14_1975
; %bb.1974:
	s_waitcnt vmcnt(0)
	v_cndmask_b32_e64 v2, 0, 1, s[20:21]
	global_store_dword v[0:1], v2, off
.LBB14_1975:
	s_mov_b64 s[0:1], 0
.LBB14_1976:
	s_andn2_b64 vcc, exec, s[0:1]
	s_cbranch_vccnz .LBB14_1978
; %bb.1977:
	s_waitcnt vmcnt(0)
	v_cndmask_b32_e64 v2, 0, 1, s[20:21]
	global_store_short v[0:1], v2, off
.LBB14_1978:
	s_mov_b64 s[0:1], 0
.LBB14_1979:
	s_andn2_b64 vcc, exec, s[0:1]
	s_cbranch_vccnz .LBB14_1984
; %bb.1980:
	s_sext_i32_i16 s2, s24
	s_mov_b64 s[0:1], -1
	s_cmp_gt_i32 s2, 0
	s_waitcnt vmcnt(0)
	v_cndmask_b32_e64 v2, 0, 1, s[20:21]
	s_cbranch_scc0 .LBB14_1982
; %bb.1981:
	global_store_byte v[0:1], v2, off
	s_mov_b64 s[0:1], 0
.LBB14_1982:
	s_andn2_b64 vcc, exec, s[0:1]
	s_cbranch_vccnz .LBB14_1984
; %bb.1983:
	global_store_byte v[0:1], v2, off
	s_endpgm
.LBB14_1984:
	s_endpgm
.LBB14_1985:
	s_mov_b64 s[2:3], 0
	s_mov_b64 s[0:1], -1
	s_branch .LBB14_1941
.LBB14_1986:
	s_trap 2
	s_or_b64 s[18:19], s[18:19], exec
	s_cbranch_execz .LBB14_1455
	s_branch .LBB14_1456
.LBB14_1987:
	s_andn2_saveexec_b64 s[22:23], s[22:23]
	s_cbranch_execz .LBB14_1535
.LBB14_1988:
	v_add_f32_e32 v0, 0x46000000, v7
	v_and_b32_e32 v0, 0xff, v0
	v_cmp_ne_u32_e32 vcc, 0, v0
	s_andn2_b64 s[20:21], s[20:21], exec
	s_and_b64 s[26:27], vcc, exec
	s_or_b64 s[20:21], s[20:21], s[26:27]
	s_or_b64 exec, exec, s[22:23]
	v_mov_b32_e32 v8, 0
	s_and_saveexec_b64 s[22:23], s[20:21]
	s_cbranch_execnz .LBB14_1536
	s_branch .LBB14_1537
.LBB14_1989:
	s_trap 2
	s_or_b64 s[18:19], s[18:19], exec
	s_cbranch_execz .LBB14_1583
	s_branch .LBB14_1584
.LBB14_1990:
	s_andn2_saveexec_b64 s[20:21], s[20:21]
	s_cbranch_execz .LBB14_1548
.LBB14_1991:
	v_add_f32_e32 v0, 0x42800000, v7
	v_and_b32_e32 v0, 0xff, v0
	v_cmp_ne_u32_e32 vcc, 0, v0
	s_andn2_b64 s[14:15], s[14:15], exec
	s_and_b64 s[22:23], vcc, exec
	s_or_b64 s[14:15], s[14:15], s[22:23]
	s_or_b64 exec, exec, s[20:21]
	v_mov_b32_e32 v8, 0
	s_and_saveexec_b64 s[20:21], s[14:15]
	s_cbranch_execnz .LBB14_1549
	s_branch .LBB14_1550
.LBB14_1992:
	s_andn2_saveexec_b64 s[20:21], s[20:21]
	s_cbranch_execz .LBB14_1654
.LBB14_1993:
	v_add_f32_e32 v5, 0x46000000, v6
	v_and_b32_e32 v5, 0xff, v5
	v_cmp_ne_u32_e32 vcc, 0, v5
	s_andn2_b64 s[14:15], s[14:15], exec
	s_and_b64 s[26:27], vcc, exec
	s_or_b64 s[14:15], s[14:15], s[26:27]
	s_or_b64 exec, exec, s[20:21]
	v_mov_b32_e32 v7, 0
	s_and_saveexec_b64 s[20:21], s[14:15]
	s_cbranch_execnz .LBB14_1655
	s_branch .LBB14_1656
.LBB14_1994:
	s_trap 2
	s_or_b64 s[18:19], s[18:19], exec
	s_cbranch_execz .LBB14_1702
	s_branch .LBB14_1703
.LBB14_1995:
	s_andn2_saveexec_b64 s[14:15], s[14:15]
	s_cbranch_execz .LBB14_1667
.LBB14_1996:
	v_add_f32_e32 v5, 0x42800000, v6
	v_and_b32_e32 v5, 0xff, v5
	v_cmp_ne_u32_e32 vcc, 0, v5
	s_andn2_b64 s[12:13], s[12:13], exec
	s_and_b64 s[20:21], vcc, exec
	s_or_b64 s[12:13], s[12:13], s[20:21]
	s_or_b64 exec, exec, s[14:15]
	v_mov_b32_e32 v7, 0
	s_and_saveexec_b64 s[14:15], s[12:13]
	s_cbranch_execnz .LBB14_1668
	s_branch .LBB14_1669
.LBB14_1997:
	s_andn2_saveexec_b64 s[20:21], s[20:21]
	s_cbranch_execz .LBB14_1773
.LBB14_1998:
	v_add_f32_e32 v4, 0x46000000, v5
	v_and_b32_e32 v4, 0xff, v4
	v_cmp_ne_u32_e32 vcc, 0, v4
	s_andn2_b64 s[14:15], s[14:15], exec
	s_and_b64 s[26:27], vcc, exec
	s_or_b64 s[14:15], s[14:15], s[26:27]
	s_or_b64 exec, exec, s[20:21]
	v_mov_b32_e32 v6, 0
	s_and_saveexec_b64 s[20:21], s[14:15]
	s_cbranch_execnz .LBB14_1774
	s_branch .LBB14_1775
.LBB14_1999:
	s_trap 2
	s_or_b64 s[18:19], s[18:19], exec
	s_cbranch_execz .LBB14_1821
	s_branch .LBB14_1822
.LBB14_2000:
	s_andn2_saveexec_b64 s[14:15], s[14:15]
	s_cbranch_execz .LBB14_1786
.LBB14_2001:
	v_add_f32_e32 v4, 0x42800000, v5
	v_and_b32_e32 v4, 0xff, v4
	v_cmp_ne_u32_e32 vcc, 0, v4
	s_andn2_b64 s[12:13], s[12:13], exec
	s_and_b64 s[20:21], vcc, exec
	s_or_b64 s[12:13], s[12:13], s[20:21]
	s_or_b64 exec, exec, s[14:15]
	v_mov_b32_e32 v6, 0
	s_and_saveexec_b64 s[14:15], s[12:13]
	s_cbranch_execnz .LBB14_1787
	s_branch .LBB14_1788
.LBB14_2002:
	s_andn2_saveexec_b64 s[10:11], s[10:11]
	s_cbranch_execz .LBB14_1893
.LBB14_2003:
	v_add_f32_e32 v2, 0x46000000, v3
	v_and_b32_e32 v2, 0xff, v2
	v_cmp_ne_u32_e32 vcc, 0, v2
	s_andn2_b64 s[8:9], s[8:9], exec
	s_and_b64 s[14:15], vcc, exec
	s_or_b64 s[8:9], s[8:9], s[14:15]
	s_or_b64 exec, exec, s[10:11]
	v_mov_b32_e32 v4, 0
	s_and_saveexec_b64 s[10:11], s[8:9]
	s_cbranch_execnz .LBB14_1894
	s_branch .LBB14_1895
.LBB14_2004:
	s_mov_b64 s[2:3], 0
	s_or_b64 s[18:19], s[18:19], exec
	s_trap 2
	s_branch .LBB14_1939
.LBB14_2005:
	s_andn2_saveexec_b64 s[8:9], s[8:9]
	s_cbranch_execz .LBB14_1905
.LBB14_2006:
	v_add_f32_e32 v2, 0x42800000, v3
	v_and_b32_e32 v2, 0xff, v2
	v_cmp_ne_u32_e32 vcc, 0, v2
	s_andn2_b64 s[4:5], s[4:5], exec
	s_and_b64 s[10:11], vcc, exec
	s_or_b64 s[4:5], s[4:5], s[10:11]
	s_or_b64 exec, exec, s[8:9]
	v_mov_b32_e32 v4, 0
	s_and_saveexec_b64 s[8:9], s[4:5]
	s_cbranch_execnz .LBB14_1906
	s_branch .LBB14_1907
	.section	.rodata,"a",@progbits
	.p2align	6, 0x0
	.amdhsa_kernel _ZN2at6native32elementwise_kernel_manual_unrollILi128ELi4EZNS0_15gpu_kernel_implINS0_13AUnaryFunctorIhhbNS0_12_GLOBAL__N_116CompareEqFunctorIhEEEEEEvRNS_18TensorIteratorBaseERKT_EUlibE_EEviT1_
		.amdhsa_group_segment_fixed_size 0
		.amdhsa_private_segment_fixed_size 0
		.amdhsa_kernarg_size 48
		.amdhsa_user_sgpr_count 6
		.amdhsa_user_sgpr_private_segment_buffer 1
		.amdhsa_user_sgpr_dispatch_ptr 0
		.amdhsa_user_sgpr_queue_ptr 0
		.amdhsa_user_sgpr_kernarg_segment_ptr 1
		.amdhsa_user_sgpr_dispatch_id 0
		.amdhsa_user_sgpr_flat_scratch_init 0
		.amdhsa_user_sgpr_private_segment_size 0
		.amdhsa_uses_dynamic_stack 0
		.amdhsa_system_sgpr_private_segment_wavefront_offset 0
		.amdhsa_system_sgpr_workgroup_id_x 1
		.amdhsa_system_sgpr_workgroup_id_y 0
		.amdhsa_system_sgpr_workgroup_id_z 0
		.amdhsa_system_sgpr_workgroup_info 0
		.amdhsa_system_vgpr_workitem_id 0
		.amdhsa_next_free_vgpr 12
		.amdhsa_next_free_sgpr 48
		.amdhsa_reserve_vcc 1
		.amdhsa_reserve_flat_scratch 0
		.amdhsa_float_round_mode_32 0
		.amdhsa_float_round_mode_16_64 0
		.amdhsa_float_denorm_mode_32 3
		.amdhsa_float_denorm_mode_16_64 3
		.amdhsa_dx10_clamp 1
		.amdhsa_ieee_mode 1
		.amdhsa_fp16_overflow 0
		.amdhsa_exception_fp_ieee_invalid_op 0
		.amdhsa_exception_fp_denorm_src 0
		.amdhsa_exception_fp_ieee_div_zero 0
		.amdhsa_exception_fp_ieee_overflow 0
		.amdhsa_exception_fp_ieee_underflow 0
		.amdhsa_exception_fp_ieee_inexact 0
		.amdhsa_exception_int_div_zero 0
	.end_amdhsa_kernel
	.section	.text._ZN2at6native32elementwise_kernel_manual_unrollILi128ELi4EZNS0_15gpu_kernel_implINS0_13AUnaryFunctorIhhbNS0_12_GLOBAL__N_116CompareEqFunctorIhEEEEEEvRNS_18TensorIteratorBaseERKT_EUlibE_EEviT1_,"axG",@progbits,_ZN2at6native32elementwise_kernel_manual_unrollILi128ELi4EZNS0_15gpu_kernel_implINS0_13AUnaryFunctorIhhbNS0_12_GLOBAL__N_116CompareEqFunctorIhEEEEEEvRNS_18TensorIteratorBaseERKT_EUlibE_EEviT1_,comdat
.Lfunc_end14:
	.size	_ZN2at6native32elementwise_kernel_manual_unrollILi128ELi4EZNS0_15gpu_kernel_implINS0_13AUnaryFunctorIhhbNS0_12_GLOBAL__N_116CompareEqFunctorIhEEEEEEvRNS_18TensorIteratorBaseERKT_EUlibE_EEviT1_, .Lfunc_end14-_ZN2at6native32elementwise_kernel_manual_unrollILi128ELi4EZNS0_15gpu_kernel_implINS0_13AUnaryFunctorIhhbNS0_12_GLOBAL__N_116CompareEqFunctorIhEEEEEEvRNS_18TensorIteratorBaseERKT_EUlibE_EEviT1_
                                        ; -- End function
	.set _ZN2at6native32elementwise_kernel_manual_unrollILi128ELi4EZNS0_15gpu_kernel_implINS0_13AUnaryFunctorIhhbNS0_12_GLOBAL__N_116CompareEqFunctorIhEEEEEEvRNS_18TensorIteratorBaseERKT_EUlibE_EEviT1_.num_vgpr, 12
	.set _ZN2at6native32elementwise_kernel_manual_unrollILi128ELi4EZNS0_15gpu_kernel_implINS0_13AUnaryFunctorIhhbNS0_12_GLOBAL__N_116CompareEqFunctorIhEEEEEEvRNS_18TensorIteratorBaseERKT_EUlibE_EEviT1_.num_agpr, 0
	.set _ZN2at6native32elementwise_kernel_manual_unrollILi128ELi4EZNS0_15gpu_kernel_implINS0_13AUnaryFunctorIhhbNS0_12_GLOBAL__N_116CompareEqFunctorIhEEEEEEvRNS_18TensorIteratorBaseERKT_EUlibE_EEviT1_.numbered_sgpr, 48
	.set _ZN2at6native32elementwise_kernel_manual_unrollILi128ELi4EZNS0_15gpu_kernel_implINS0_13AUnaryFunctorIhhbNS0_12_GLOBAL__N_116CompareEqFunctorIhEEEEEEvRNS_18TensorIteratorBaseERKT_EUlibE_EEviT1_.num_named_barrier, 0
	.set _ZN2at6native32elementwise_kernel_manual_unrollILi128ELi4EZNS0_15gpu_kernel_implINS0_13AUnaryFunctorIhhbNS0_12_GLOBAL__N_116CompareEqFunctorIhEEEEEEvRNS_18TensorIteratorBaseERKT_EUlibE_EEviT1_.private_seg_size, 0
	.set _ZN2at6native32elementwise_kernel_manual_unrollILi128ELi4EZNS0_15gpu_kernel_implINS0_13AUnaryFunctorIhhbNS0_12_GLOBAL__N_116CompareEqFunctorIhEEEEEEvRNS_18TensorIteratorBaseERKT_EUlibE_EEviT1_.uses_vcc, 1
	.set _ZN2at6native32elementwise_kernel_manual_unrollILi128ELi4EZNS0_15gpu_kernel_implINS0_13AUnaryFunctorIhhbNS0_12_GLOBAL__N_116CompareEqFunctorIhEEEEEEvRNS_18TensorIteratorBaseERKT_EUlibE_EEviT1_.uses_flat_scratch, 0
	.set _ZN2at6native32elementwise_kernel_manual_unrollILi128ELi4EZNS0_15gpu_kernel_implINS0_13AUnaryFunctorIhhbNS0_12_GLOBAL__N_116CompareEqFunctorIhEEEEEEvRNS_18TensorIteratorBaseERKT_EUlibE_EEviT1_.has_dyn_sized_stack, 0
	.set _ZN2at6native32elementwise_kernel_manual_unrollILi128ELi4EZNS0_15gpu_kernel_implINS0_13AUnaryFunctorIhhbNS0_12_GLOBAL__N_116CompareEqFunctorIhEEEEEEvRNS_18TensorIteratorBaseERKT_EUlibE_EEviT1_.has_recursion, 0
	.set _ZN2at6native32elementwise_kernel_manual_unrollILi128ELi4EZNS0_15gpu_kernel_implINS0_13AUnaryFunctorIhhbNS0_12_GLOBAL__N_116CompareEqFunctorIhEEEEEEvRNS_18TensorIteratorBaseERKT_EUlibE_EEviT1_.has_indirect_call, 0
	.section	.AMDGPU.csdata,"",@progbits
; Kernel info:
; codeLenInByte = 33720
; TotalNumSgprs: 52
; NumVgprs: 12
; ScratchSize: 0
; MemoryBound: 1
; FloatMode: 240
; IeeeMode: 1
; LDSByteSize: 0 bytes/workgroup (compile time only)
; SGPRBlocks: 6
; VGPRBlocks: 2
; NumSGPRsForWavesPerEU: 52
; NumVGPRsForWavesPerEU: 12
; Occupancy: 10
; WaveLimiterHint : 0
; COMPUTE_PGM_RSRC2:SCRATCH_EN: 0
; COMPUTE_PGM_RSRC2:USER_SGPR: 6
; COMPUTE_PGM_RSRC2:TRAP_HANDLER: 0
; COMPUTE_PGM_RSRC2:TGID_X_EN: 1
; COMPUTE_PGM_RSRC2:TGID_Y_EN: 0
; COMPUTE_PGM_RSRC2:TGID_Z_EN: 0
; COMPUTE_PGM_RSRC2:TIDIG_COMP_CNT: 0
	.section	.text._ZN2at6native32elementwise_kernel_manual_unrollILi128ELi4EZNS0_15gpu_kernel_implINS0_13AUnaryFunctorIhhbNS0_12_GLOBAL__N_116CompareEqFunctorIhEEEEEEvRNS_18TensorIteratorBaseERKT_EUlibE0_EEviT1_,"axG",@progbits,_ZN2at6native32elementwise_kernel_manual_unrollILi128ELi4EZNS0_15gpu_kernel_implINS0_13AUnaryFunctorIhhbNS0_12_GLOBAL__N_116CompareEqFunctorIhEEEEEEvRNS_18TensorIteratorBaseERKT_EUlibE0_EEviT1_,comdat
	.globl	_ZN2at6native32elementwise_kernel_manual_unrollILi128ELi4EZNS0_15gpu_kernel_implINS0_13AUnaryFunctorIhhbNS0_12_GLOBAL__N_116CompareEqFunctorIhEEEEEEvRNS_18TensorIteratorBaseERKT_EUlibE0_EEviT1_ ; -- Begin function _ZN2at6native32elementwise_kernel_manual_unrollILi128ELi4EZNS0_15gpu_kernel_implINS0_13AUnaryFunctorIhhbNS0_12_GLOBAL__N_116CompareEqFunctorIhEEEEEEvRNS_18TensorIteratorBaseERKT_EUlibE0_EEviT1_
	.p2align	8
	.type	_ZN2at6native32elementwise_kernel_manual_unrollILi128ELi4EZNS0_15gpu_kernel_implINS0_13AUnaryFunctorIhhbNS0_12_GLOBAL__N_116CompareEqFunctorIhEEEEEEvRNS_18TensorIteratorBaseERKT_EUlibE0_EEviT1_,@function
_ZN2at6native32elementwise_kernel_manual_unrollILi128ELi4EZNS0_15gpu_kernel_implINS0_13AUnaryFunctorIhhbNS0_12_GLOBAL__N_116CompareEqFunctorIhEEEEEEvRNS_18TensorIteratorBaseERKT_EUlibE0_EEviT1_: ; @_ZN2at6native32elementwise_kernel_manual_unrollILi128ELi4EZNS0_15gpu_kernel_implINS0_13AUnaryFunctorIhhbNS0_12_GLOBAL__N_116CompareEqFunctorIhEEEEEEvRNS_18TensorIteratorBaseERKT_EUlibE0_EEviT1_
; %bb.0:
	s_load_dword s74, s[4:5], 0x0
	s_load_dword s33, s[4:5], 0x8
	s_add_u32 s34, s4, 8
	s_addc_u32 s35, s5, 0
	v_lshl_or_b32 v11, s6, 9, v0
	v_or_b32_e32 v13, 0x180, v11
	s_waitcnt lgkmcnt(0)
	s_add_i32 s76, s33, -1
	s_cmp_gt_u32 s76, 1
	v_cmp_le_i32_e32 vcc, s74, v13
	s_cselect_b64 s[40:41], -1, 0
	s_mov_b64 s[6:7], 0
	s_mov_b64 s[28:29], 0
	s_and_saveexec_b64 s[0:1], vcc
	s_xor_b64 s[42:43], exec, s[0:1]
	s_cbranch_execz .LBB15_1070
; %bb.1:
	s_load_dwordx4 s[28:31], s[34:35], 0x4
	s_load_dwordx2 s[48:49], s[34:35], 0x14
	s_load_dwordx2 s[44:45], s[34:35], 0x158
	s_load_dword s77, s[34:35], 0x160
	s_cmp_lg_u32 s33, 0
	s_cselect_b64 s[54:55], -1, 0
	s_add_u32 s52, s34, 0xc4
	s_addc_u32 s53, s35, 0
	s_min_u32 s79, s76, 15
	s_load_dwordx4 s[36:39], s[34:35], 0xc4
	s_load_dwordx4 s[24:27], s[34:35], 0x148
	s_cmp_gt_u32 s33, 1
	s_cselect_b64 s[50:51], -1, 0
	s_waitcnt lgkmcnt(0)
	s_bfe_u32 s78, s77, 0x80008
	s_cmp_eq_u32 s44, 0
	s_cselect_b64 s[46:47], -1, 0
	v_cmp_gt_i32_e32 vcc, s74, v11
	s_mov_b64 s[2:3], -1
	s_mov_b64 s[64:65], 0
	s_mov_b64 s[58:59], 0
	;; [unrolled: 1-line block ×3, first 2 shown]
	s_and_saveexec_b64 s[60:61], vcc
	s_cbranch_execz .LBB15_262
; %bb.2:
	s_andn2_b64 vcc, exec, s[40:41]
	s_cbranch_vccnz .LBB15_7
; %bb.3:
	s_andn2_b64 vcc, exec, s[54:55]
	s_cbranch_vccnz .LBB15_8
; %bb.4:
	s_add_i32 s62, s79, 1
	s_cmp_eq_u32 s76, 2
	s_cbranch_scc1 .LBB15_9
; %bb.5:
	s_and_b32 s44, s62, 28
	v_mov_b32_e32 v2, 0
	s_mov_b32 s63, 0
	s_mov_b64 s[56:57], s[34:35]
	s_mov_b64 s[58:59], s[52:53]
	v_mov_b32_e32 v0, 0
	v_mov_b32_e32 v1, v11
.LBB15_6:                               ; =>This Inner Loop Header: Depth=1
	s_load_dwordx8 s[16:23], s[56:57], 0x4
	s_load_dwordx4 s[0:3], s[56:57], 0x24
	s_load_dwordx8 s[8:15], s[58:59], 0x0
	s_add_u32 s56, s56, 48
	s_addc_u32 s57, s57, 0
	s_waitcnt lgkmcnt(0)
	v_mul_hi_u32 v3, s17, v1
	s_add_i32 s63, s63, 4
	s_add_u32 s58, s58, 32
	s_addc_u32 s59, s59, 0
	v_add_u32_e32 v3, v1, v3
	v_lshrrev_b32_e32 v3, s18, v3
	v_mul_lo_u32 v4, v3, s16
	v_mul_hi_u32 v5, s20, v3
	s_cmp_lg_u32 s44, s63
	v_sub_u32_e32 v1, v1, v4
	v_add_u32_e32 v4, v3, v5
	v_mul_lo_u32 v5, v1, s8
	v_mul_lo_u32 v6, v1, s9
	v_lshrrev_b32_e32 v1, s21, v4
	v_mul_lo_u32 v4, v1, s19
	v_mul_hi_u32 v7, s23, v1
	v_sub_u32_e32 v3, v3, v4
	v_add_u32_e32 v4, v1, v7
	v_lshrrev_b32_e32 v4, s0, v4
	v_mul_hi_u32 v8, s2, v4
	v_mul_lo_u32 v9, v4, s22
	v_mul_lo_u32 v7, v3, s10
	;; [unrolled: 1-line block ×3, first 2 shown]
	v_sub_u32_e32 v9, v1, v9
	v_add_u32_e32 v1, v4, v8
	v_lshrrev_b32_e32 v1, s3, v1
	v_mul_lo_u32 v8, v1, s1
	v_mul_lo_u32 v10, v9, s12
	;; [unrolled: 1-line block ×3, first 2 shown]
	v_add3_u32 v0, v5, v0, v7
	v_sub_u32_e32 v4, v4, v8
	v_mul_lo_u32 v8, v4, s14
	v_mul_lo_u32 v4, v4, s15
	v_add3_u32 v2, v6, v2, v3
	v_add3_u32 v0, v10, v0, v8
	;; [unrolled: 1-line block ×3, first 2 shown]
	s_cbranch_scc1 .LBB15_6
	s_branch .LBB15_10
.LBB15_7:
                                        ; implicit-def: $vgpr0
                                        ; implicit-def: $vgpr2
	s_branch .LBB15_14
.LBB15_8:
	v_mov_b32_e32 v0, 0
	v_mov_b32_e32 v2, 0
	s_branch .LBB15_13
.LBB15_9:
	s_mov_b32 s44, 0
	v_mov_b32_e32 v0, 0
	v_mov_b32_e32 v2, 0
	;; [unrolled: 1-line block ×3, first 2 shown]
.LBB15_10:
	s_and_b32 s8, s62, 3
	s_cmp_eq_u32 s8, 0
	s_cbranch_scc1 .LBB15_13
; %bb.11:
	s_lshl_b32 s0, s44, 3
	s_add_u32 s0, s34, s0
	s_addc_u32 s1, s35, 0
	s_add_u32 s0, s0, 0xc4
	s_addc_u32 s1, s1, 0
	s_mul_i32 s2, s44, 12
	s_add_u32 s2, s34, s2
	s_addc_u32 s3, s35, 0
.LBB15_12:                              ; =>This Inner Loop Header: Depth=1
	s_load_dwordx2 s[10:11], s[2:3], 0x4
	s_load_dword s9, s[2:3], 0xc
	s_load_dwordx2 s[12:13], s[0:1], 0x0
	s_add_u32 s2, s2, 12
	s_addc_u32 s3, s3, 0
	s_waitcnt lgkmcnt(0)
	v_mul_hi_u32 v3, s11, v1
	s_add_u32 s0, s0, 8
	s_addc_u32 s1, s1, 0
	s_add_i32 s8, s8, -1
	v_add_u32_e32 v3, v1, v3
	v_lshrrev_b32_e32 v4, s9, v3
	v_mul_lo_u32 v3, v4, s10
	s_cmp_lg_u32 s8, 0
	v_sub_u32_e32 v3, v1, v3
	v_mad_u64_u32 v[0:1], s[10:11], v3, s12, v[0:1]
	v_mad_u64_u32 v[2:3], s[10:11], v3, s13, v[2:3]
	v_mov_b32_e32 v1, v4
	s_cbranch_scc1 .LBB15_12
.LBB15_13:
	s_cbranch_execnz .LBB15_16
.LBB15_14:
	v_mul_hi_u32 v0, s29, v11
	s_andn2_b64 vcc, exec, s[50:51]
	v_add_u32_e32 v0, v11, v0
	v_lshrrev_b32_e32 v1, s30, v0
	v_mul_lo_u32 v0, v1, s28
	v_sub_u32_e32 v2, v11, v0
	v_mul_lo_u32 v0, v2, s36
	v_mul_lo_u32 v2, v2, s37
	s_cbranch_vccnz .LBB15_16
; %bb.15:
	v_mul_hi_u32 v3, s48, v1
	v_add_u32_e32 v3, v1, v3
	v_lshrrev_b32_e32 v3, s49, v3
	v_mul_lo_u32 v3, v3, s31
	v_sub_u32_e32 v3, v1, v3
	v_mad_u64_u32 v[0:1], s[0:1], v3, s38, v[0:1]
	v_mad_u64_u32 v[2:3], s[0:1], v3, s39, v[2:3]
.LBB15_16:
	v_mov_b32_e32 v3, s27
	s_and_b32 s10, 0xffff, s78
	v_add_co_u32_e32 v1, vcc, s26, v2
	s_cmp_lt_i32 s10, 11
	v_addc_co_u32_e32 v2, vcc, 0, v3, vcc
	s_cbranch_scc1 .LBB15_23
; %bb.17:
	s_cmp_gt_i32 s10, 25
	s_cbranch_scc0 .LBB15_32
; %bb.18:
	s_cmp_gt_i32 s10, 28
	s_cbranch_scc0 .LBB15_35
; %bb.19:
	s_cmp_gt_i32 s10, 43
	s_cbranch_scc0 .LBB15_37
; %bb.20:
	s_cmp_gt_i32 s10, 45
	s_cbranch_scc0 .LBB15_39
; %bb.21:
	s_cmp_eq_u32 s10, 46
	s_mov_b64 s[8:9], 0
	s_cbranch_scc0 .LBB15_41
; %bb.22:
	global_load_dword v3, v[1:2], off
	s_mov_b32 s0, 0x2f800000
	s_mov_b32 s1, 0xcf800000
	s_mov_b64 s[2:3], 0
	s_waitcnt vmcnt(0)
	v_lshlrev_b32_e32 v3, 16, v3
	v_trunc_f32_e32 v3, v3
	v_mul_f32_e64 v4, |v3|, s0
	v_floor_f32_e32 v4, v4
	v_fma_f32 v4, v4, s1, |v3|
	v_cvt_u32_f32_e32 v4, v4
	v_ashrrev_i32_e32 v3, 31, v3
	s_mov_b64 s[0:1], -1
	v_xor_b32_e32 v4, v4, v3
	v_sub_u32_e32 v3, v4, v3
	s_branch .LBB15_43
.LBB15_23:
	s_mov_b64 s[2:3], 0
                                        ; implicit-def: $vgpr3
	s_mov_b64 s[0:1], 0
	s_cbranch_execnz .LBB15_212
.LBB15_24:
	s_andn2_b64 vcc, exec, s[0:1]
	s_cbranch_vccnz .LBB15_259
.LBB15_25:
	s_and_b32 s0, s45, 0xff
	s_waitcnt vmcnt(0)
	v_cmp_ne_u16_sdwa s[0:1], s0, v3 src0_sel:DWORD src1_sel:BYTE_0
	s_xor_b64 s[8:9], s[46:47], s[0:1]
	v_mov_b32_e32 v1, s25
	s_and_b32 s16, s77, 0xff
	v_add_co_u32_e32 v0, vcc, s24, v0
	s_cmp_lt_i32 s16, 11
	v_addc_co_u32_e32 v1, vcc, 0, v1, vcc
	s_cbranch_scc1 .LBB15_33
; %bb.26:
	s_and_b32 s17, 0xffff, s16
	s_cmp_gt_i32 s17, 25
	s_cbranch_scc0 .LBB15_36
; %bb.27:
	s_cmp_gt_i32 s17, 28
	s_cbranch_scc0 .LBB15_38
; %bb.28:
	;; [unrolled: 3-line block ×4, first 2 shown]
	s_mov_b64 s[12:13], 0
	s_mov_b64 s[0:1], -1
	s_cmp_eq_u32 s17, 46
	s_mov_b64 s[10:11], 0
	s_cbranch_scc0 .LBB15_47
; %bb.31:
	v_cndmask_b32_e64 v2, 0, 1.0, s[8:9]
	v_bfe_u32 v3, v2, 16, 1
	s_movk_i32 s0, 0x7fff
	v_add3_u32 v2, v2, v3, s0
	v_lshrrev_b32_e32 v2, 16, v2
	global_store_dword v[0:1], v2, off
	s_mov_b64 s[10:11], -1
	s_mov_b64 s[0:1], 0
	s_branch .LBB15_47
.LBB15_32:
	s_mov_b64 s[2:3], 0
	s_mov_b64 s[0:1], 0
                                        ; implicit-def: $vgpr3
	s_cbranch_execnz .LBB15_179
	s_branch .LBB15_211
.LBB15_33:
	s_mov_b64 s[0:1], 0
	s_mov_b64 s[10:11], 0
	s_cbranch_execnz .LBB15_116
.LBB15_34:
	s_andn2_b64 vcc, exec, s[10:11]
	s_cbranch_vccnz .LBB15_260
	s_branch .LBB15_154
.LBB15_35:
	s_mov_b64 s[8:9], -1
	s_mov_b64 s[2:3], 0
	s_mov_b64 s[0:1], 0
                                        ; implicit-def: $vgpr3
	s_branch .LBB15_162
.LBB15_36:
	s_mov_b64 s[12:13], -1
	s_mov_b64 s[0:1], 0
	s_mov_b64 s[10:11], 0
	s_branch .LBB15_74
.LBB15_37:
	s_mov_b64 s[8:9], -1
	s_mov_b64 s[2:3], 0
	s_mov_b64 s[0:1], 0
                                        ; implicit-def: $vgpr3
	s_branch .LBB15_157
.LBB15_38:
	s_mov_b64 s[12:13], -1
	s_mov_b64 s[0:1], 0
	s_mov_b64 s[10:11], 0
	s_branch .LBB15_57
.LBB15_39:
	s_mov_b64 s[8:9], -1
	s_mov_b64 s[2:3], 0
	s_branch .LBB15_42
.LBB15_40:
	s_mov_b64 s[12:13], -1
	s_mov_b64 s[0:1], 0
	s_mov_b64 s[10:11], 0
	s_branch .LBB15_53
.LBB15_41:
	s_mov_b64 s[2:3], -1
.LBB15_42:
	s_mov_b64 s[0:1], 0
                                        ; implicit-def: $vgpr3
.LBB15_43:
	s_and_b64 vcc, exec, s[8:9]
	s_cbranch_vccz .LBB15_156
; %bb.44:
	s_cmp_eq_u32 s10, 44
	s_cbranch_scc0 .LBB15_155
; %bb.45:
	global_load_ubyte v3, v[1:2], off
	s_mov_b32 s0, 0x2f800000
	s_mov_b32 s1, 0xcf800000
	s_mov_b64 s[2:3], 0
	s_waitcnt vmcnt(0)
	v_lshlrev_b32_e32 v4, 23, v3
	v_trunc_f32_e32 v4, v4
	v_mul_f32_e64 v5, |v4|, s0
	v_floor_f32_e32 v5, v5
	v_fma_f32 v5, v5, s1, |v4|
	v_cvt_u32_f32_e32 v5, v5
	v_ashrrev_i32_e32 v4, 31, v4
	v_cmp_ne_u32_e32 vcc, 0, v3
	s_mov_b64 s[0:1], -1
	v_xor_b32_e32 v5, v5, v4
	v_sub_u32_e32 v4, v5, v4
	v_cndmask_b32_e32 v3, 0, v4, vcc
	s_branch .LBB15_156
.LBB15_46:
	s_mov_b64 s[12:13], -1
	s_mov_b64 s[0:1], 0
	s_mov_b64 s[10:11], 0
.LBB15_47:
	s_and_b64 vcc, exec, s[12:13]
	s_cbranch_vccz .LBB15_52
; %bb.48:
	s_cmp_eq_u32 s17, 44
	s_mov_b64 s[0:1], -1
	s_cbranch_scc0 .LBB15_52
; %bb.49:
	v_cndmask_b32_e64 v3, 0, 1.0, s[8:9]
	v_lshrrev_b32_e32 v2, 23, v3
	s_movk_i32 s0, 0xff
	v_cmp_ne_u32_e32 vcc, s0, v2
	v_mov_b32_e32 v4, 0xff
	s_and_saveexec_b64 s[10:11], vcc
; %bb.50:
	s_mov_b32 s0, 0x3fffff
	v_and_b32_e32 v4, 0x400000, v3
	v_and_or_b32 v3, v3, s0, v2
	v_cmp_ne_u32_e32 vcc, 0, v4
	v_cmp_ne_u32_e64 s[0:1], 0, v3
	s_and_b64 s[0:1], vcc, s[0:1]
	v_cndmask_b32_e64 v3, 0, 1, s[0:1]
	v_add_u32_e32 v4, v2, v3
; %bb.51:
	s_or_b64 exec, exec, s[10:11]
	s_mov_b64 s[10:11], -1
	s_mov_b64 s[0:1], 0
	global_store_byte v[0:1], v4, off
.LBB15_52:
	s_mov_b64 s[12:13], 0
.LBB15_53:
	s_and_b64 vcc, exec, s[12:13]
	s_cbranch_vccz .LBB15_56
; %bb.54:
	s_cmp_eq_u32 s17, 29
	s_mov_b64 s[0:1], -1
	s_cbranch_scc0 .LBB15_56
; %bb.55:
	s_mov_b32 s0, 0
	v_cndmask_b32_e64 v2, 0, 1, s[8:9]
	v_mov_b32_e32 v3, s0
	global_store_dwordx2 v[0:1], v[2:3], off
	s_mov_b64 s[10:11], -1
	s_mov_b64 s[0:1], 0
.LBB15_56:
	s_mov_b64 s[12:13], 0
.LBB15_57:
	s_and_b64 vcc, exec, s[12:13]
	s_cbranch_vccz .LBB15_73
; %bb.58:
	s_cmp_lt_i32 s17, 27
	s_mov_b64 s[10:11], -1
	s_cbranch_scc1 .LBB15_64
; %bb.59:
	s_cmp_gt_i32 s17, 27
	s_cbranch_scc0 .LBB15_61
; %bb.60:
	v_cndmask_b32_e64 v2, 0, 1, s[8:9]
	s_mov_b64 s[10:11], 0
	global_store_dword v[0:1], v2, off
.LBB15_61:
	s_andn2_b64 vcc, exec, s[10:11]
	s_cbranch_vccnz .LBB15_63
; %bb.62:
	v_cndmask_b32_e64 v2, 0, 1, s[8:9]
	global_store_short v[0:1], v2, off
.LBB15_63:
	s_mov_b64 s[10:11], 0
.LBB15_64:
	s_andn2_b64 vcc, exec, s[10:11]
	s_cbranch_vccnz .LBB15_72
; %bb.65:
	v_cndmask_b32_e64 v3, 0, 1.0, s[8:9]
	s_mov_b32 s10, 0x43800000
	v_cmp_gt_u32_e32 vcc, s10, v3
	v_mov_b32_e32 v4, 0x80
	s_and_saveexec_b64 s[10:11], vcc
	s_cbranch_execz .LBB15_71
; %bb.66:
	s_mov_b32 s12, 0x3bffffff
	v_cmp_lt_u32_e32 vcc, s12, v3
	s_mov_b64 s[12:13], 0
                                        ; implicit-def: $vgpr2
	s_and_saveexec_b64 s[14:15], vcc
	s_xor_b64 s[14:15], exec, s[14:15]
	s_cbranch_execz .LBB15_303
; %bb.67:
	v_bfe_u32 v2, v3, 20, 1
	s_mov_b32 s18, 0x487ffff
	v_add3_u32 v2, v3, v2, s18
	s_mov_b64 s[12:13], exec
	v_lshrrev_b32_e32 v2, 20, v2
                                        ; implicit-def: $vgpr3
	s_andn2_saveexec_b64 s[14:15], s[14:15]
	s_cbranch_execnz .LBB15_304
.LBB15_68:
	s_or_b64 exec, exec, s[14:15]
	v_mov_b32_e32 v4, 0
	s_and_saveexec_b64 s[14:15], s[12:13]
.LBB15_69:
	v_mov_b32_e32 v4, v2
.LBB15_70:
	s_or_b64 exec, exec, s[14:15]
.LBB15_71:
	s_or_b64 exec, exec, s[10:11]
	global_store_byte v[0:1], v4, off
.LBB15_72:
	s_mov_b64 s[10:11], -1
.LBB15_73:
	s_mov_b64 s[12:13], 0
.LBB15_74:
	s_and_b64 vcc, exec, s[12:13]
	s_cbranch_vccz .LBB15_115
; %bb.75:
	s_cmp_gt_i32 s17, 22
	s_mov_b64 s[12:13], -1
	s_cbranch_scc0 .LBB15_107
; %bb.76:
	s_cmp_lt_i32 s17, 24
	s_mov_b64 s[10:11], -1
	s_cbranch_scc1 .LBB15_96
; %bb.77:
	s_cmp_gt_i32 s17, 24
	s_cbranch_scc0 .LBB15_85
; %bb.78:
	v_cndmask_b32_e64 v3, 0, 1.0, s[8:9]
	s_mov_b32 s10, 0x47800000
	v_cmp_gt_u32_e32 vcc, s10, v3
	v_mov_b32_e32 v4, 0x80
	s_and_saveexec_b64 s[10:11], vcc
	s_cbranch_execz .LBB15_84
; %bb.79:
	s_mov_b32 s12, 0x37ffffff
	v_cmp_lt_u32_e32 vcc, s12, v3
	s_mov_b64 s[12:13], 0
                                        ; implicit-def: $vgpr2
	s_and_saveexec_b64 s[14:15], vcc
	s_xor_b64 s[14:15], exec, s[14:15]
	s_cbranch_execz .LBB15_307
; %bb.80:
	v_bfe_u32 v2, v3, 21, 1
	s_mov_b32 s18, 0x88fffff
	v_add3_u32 v2, v3, v2, s18
	s_mov_b64 s[12:13], exec
	v_lshrrev_b32_e32 v2, 21, v2
                                        ; implicit-def: $vgpr3
	s_andn2_saveexec_b64 s[14:15], s[14:15]
	s_cbranch_execnz .LBB15_308
.LBB15_81:
	s_or_b64 exec, exec, s[14:15]
	v_mov_b32_e32 v4, 0
	s_and_saveexec_b64 s[14:15], s[12:13]
.LBB15_82:
	v_mov_b32_e32 v4, v2
.LBB15_83:
	s_or_b64 exec, exec, s[14:15]
.LBB15_84:
	s_or_b64 exec, exec, s[10:11]
	s_mov_b64 s[10:11], 0
	global_store_byte v[0:1], v4, off
.LBB15_85:
	s_and_b64 vcc, exec, s[10:11]
	s_cbranch_vccz .LBB15_95
; %bb.86:
	v_cndmask_b32_e64 v2, 0, 1.0, s[8:9]
	s_mov_b32 s10, 0x43f00000
	v_cmp_gt_u32_e32 vcc, s10, v2
                                        ; implicit-def: $vgpr3
	s_and_saveexec_b64 s[10:11], vcc
	s_xor_b64 s[10:11], exec, s[10:11]
	s_cbranch_execz .LBB15_92
; %bb.87:
	s_mov_b32 s12, 0x3c7fffff
	v_cmp_lt_u32_e32 vcc, s12, v2
                                        ; implicit-def: $vgpr3
	s_and_saveexec_b64 s[12:13], vcc
	s_xor_b64 s[12:13], exec, s[12:13]
; %bb.88:
	v_bfe_u32 v3, v2, 20, 1
	s_mov_b32 s14, 0x407ffff
	v_add3_u32 v2, v2, v3, s14
	v_lshrrev_b32_e32 v3, 20, v2
	v_and_b32_e32 v2, 0xff00000, v2
	s_mov_b32 s14, 0x7f00000
	v_mov_b32_e32 v4, 0x7e
	v_cmp_ne_u32_e32 vcc, s14, v2
	v_cndmask_b32_e32 v3, v4, v3, vcc
                                        ; implicit-def: $vgpr2
; %bb.89:
	s_andn2_saveexec_b64 s[12:13], s[12:13]
; %bb.90:
	v_add_f32_e32 v3, 0x46800000, v2
; %bb.91:
	s_or_b64 exec, exec, s[12:13]
                                        ; implicit-def: $vgpr2
.LBB15_92:
	s_andn2_saveexec_b64 s[10:11], s[10:11]
; %bb.93:
	s_mov_b32 s12, 0x7f800000
	v_mov_b32_e32 v3, 0x7e
	v_mov_b32_e32 v4, 0x7f
	v_cmp_lt_u32_e32 vcc, s12, v2
	v_cndmask_b32_e32 v3, v3, v4, vcc
; %bb.94:
	s_or_b64 exec, exec, s[10:11]
	global_store_byte v[0:1], v3, off
.LBB15_95:
	s_mov_b64 s[10:11], 0
.LBB15_96:
	s_andn2_b64 vcc, exec, s[10:11]
	s_cbranch_vccnz .LBB15_106
; %bb.97:
	v_cndmask_b32_e64 v2, 0, 1.0, s[8:9]
	s_mov_b32 s10, 0x47800000
	v_cmp_gt_u32_e32 vcc, s10, v2
                                        ; implicit-def: $vgpr3
	s_and_saveexec_b64 s[10:11], vcc
	s_xor_b64 s[10:11], exec, s[10:11]
	s_cbranch_execz .LBB15_103
; %bb.98:
	s_mov_b32 s12, 0x387fffff
	v_cmp_lt_u32_e32 vcc, s12, v2
                                        ; implicit-def: $vgpr3
	s_and_saveexec_b64 s[12:13], vcc
	s_xor_b64 s[12:13], exec, s[12:13]
; %bb.99:
	v_bfe_u32 v3, v2, 21, 1
	s_mov_b32 s14, 0x80fffff
	v_add3_u32 v2, v2, v3, s14
	v_lshrrev_b32_e32 v3, 21, v2
                                        ; implicit-def: $vgpr2
; %bb.100:
	s_andn2_saveexec_b64 s[12:13], s[12:13]
; %bb.101:
	v_add_f32_e32 v3, 0x43000000, v2
; %bb.102:
	s_or_b64 exec, exec, s[12:13]
                                        ; implicit-def: $vgpr2
.LBB15_103:
	s_andn2_saveexec_b64 s[10:11], s[10:11]
; %bb.104:
	s_mov_b32 s12, 0x7f800000
	v_mov_b32_e32 v3, 0x7c
	v_mov_b32_e32 v4, 0x7f
	v_cmp_lt_u32_e32 vcc, s12, v2
	v_cndmask_b32_e32 v3, v3, v4, vcc
; %bb.105:
	s_or_b64 exec, exec, s[10:11]
	global_store_byte v[0:1], v3, off
.LBB15_106:
	s_mov_b64 s[12:13], 0
	s_mov_b64 s[10:11], -1
.LBB15_107:
	s_andn2_b64 vcc, exec, s[12:13]
	s_cbranch_vccnz .LBB15_115
; %bb.108:
	s_cmp_gt_i32 s17, 14
	s_mov_b64 s[12:13], -1
	s_cbranch_scc0 .LBB15_112
; %bb.109:
	s_cmp_eq_u32 s17, 15
	s_mov_b64 s[0:1], -1
	s_cbranch_scc0 .LBB15_111
; %bb.110:
	v_cndmask_b32_e64 v2, 0, 1.0, s[8:9]
	v_bfe_u32 v3, v2, 16, 1
	s_movk_i32 s0, 0x7fff
	v_add3_u32 v2, v2, v3, s0
	global_store_short_d16_hi v[0:1], v2, off
	s_mov_b64 s[10:11], -1
	s_mov_b64 s[0:1], 0
.LBB15_111:
	s_mov_b64 s[12:13], 0
.LBB15_112:
	s_and_b64 vcc, exec, s[12:13]
	s_cbranch_vccz .LBB15_115
; %bb.113:
	s_cmp_eq_u32 s17, 11
	s_mov_b64 s[0:1], -1
	s_cbranch_scc0 .LBB15_115
; %bb.114:
	v_cndmask_b32_e64 v2, 0, 1, s[8:9]
	s_mov_b64 s[10:11], -1
	s_mov_b64 s[0:1], 0
	global_store_byte v[0:1], v2, off
.LBB15_115:
	s_branch .LBB15_34
.LBB15_116:
	s_and_b32 s12, 0xffff, s16
	s_cmp_lt_i32 s12, 5
	s_mov_b64 s[10:11], -1
	s_cbranch_scc1 .LBB15_137
; %bb.117:
	s_cmp_lt_i32 s12, 8
	s_cbranch_scc1 .LBB15_127
; %bb.118:
	s_cmp_lt_i32 s12, 9
	s_cbranch_scc1 .LBB15_124
; %bb.119:
	s_cmp_gt_i32 s12, 9
	s_cbranch_scc0 .LBB15_121
; %bb.120:
	v_cndmask_b32_e64 v2, 0, 1, s[8:9]
	v_cvt_f64_u32_e32 v[2:3], v2
	v_mov_b32_e32 v4, 0
	v_mov_b32_e32 v5, v4
	s_mov_b64 s[10:11], 0
	global_store_dwordx4 v[0:1], v[2:5], off
.LBB15_121:
	s_andn2_b64 vcc, exec, s[10:11]
	s_cbranch_vccnz .LBB15_123
; %bb.122:
	v_cndmask_b32_e64 v2, 0, 1.0, s[8:9]
	v_mov_b32_e32 v3, 0
	global_store_dwordx2 v[0:1], v[2:3], off
.LBB15_123:
	s_mov_b64 s[10:11], 0
.LBB15_124:
	s_andn2_b64 vcc, exec, s[10:11]
	s_cbranch_vccnz .LBB15_126
; %bb.125:
	v_cndmask_b32_e64 v2, 0, 1.0, s[8:9]
	v_cvt_f16_f32_e32 v2, v2
	global_store_dword v[0:1], v2, off
.LBB15_126:
	s_mov_b64 s[10:11], 0
.LBB15_127:
	s_andn2_b64 vcc, exec, s[10:11]
	s_cbranch_vccnz .LBB15_136
; %bb.128:
	s_cmp_lt_i32 s12, 6
	s_mov_b64 s[10:11], -1
	s_cbranch_scc1 .LBB15_134
; %bb.129:
	s_cmp_gt_i32 s12, 6
	s_cbranch_scc0 .LBB15_131
; %bb.130:
	v_cndmask_b32_e64 v2, 0, 1, s[8:9]
	v_cvt_f64_u32_e32 v[2:3], v2
	s_mov_b64 s[10:11], 0
	global_store_dwordx2 v[0:1], v[2:3], off
.LBB15_131:
	s_andn2_b64 vcc, exec, s[10:11]
	s_cbranch_vccnz .LBB15_133
; %bb.132:
	v_cndmask_b32_e64 v2, 0, 1.0, s[8:9]
	global_store_dword v[0:1], v2, off
.LBB15_133:
	s_mov_b64 s[10:11], 0
.LBB15_134:
	s_andn2_b64 vcc, exec, s[10:11]
	s_cbranch_vccnz .LBB15_136
; %bb.135:
	v_cndmask_b32_e64 v2, 0, 1.0, s[8:9]
	v_cvt_f16_f32_e32 v2, v2
	global_store_short v[0:1], v2, off
.LBB15_136:
	s_mov_b64 s[10:11], 0
.LBB15_137:
	s_andn2_b64 vcc, exec, s[10:11]
	s_cbranch_vccnz .LBB15_153
; %bb.138:
	s_cmp_lt_i32 s12, 2
	s_mov_b64 s[10:11], -1
	s_cbranch_scc1 .LBB15_148
; %bb.139:
	s_cmp_lt_i32 s12, 3
	s_cbranch_scc1 .LBB15_145
; %bb.140:
	s_cmp_gt_i32 s12, 3
	s_cbranch_scc0 .LBB15_142
; %bb.141:
	s_mov_b32 s10, 0
	v_cndmask_b32_e64 v2, 0, 1, s[8:9]
	v_mov_b32_e32 v3, s10
	global_store_dwordx2 v[0:1], v[2:3], off
	s_mov_b64 s[10:11], 0
.LBB15_142:
	s_andn2_b64 vcc, exec, s[10:11]
	s_cbranch_vccnz .LBB15_144
; %bb.143:
	v_cndmask_b32_e64 v2, 0, 1, s[8:9]
	global_store_dword v[0:1], v2, off
.LBB15_144:
	s_mov_b64 s[10:11], 0
.LBB15_145:
	s_andn2_b64 vcc, exec, s[10:11]
	s_cbranch_vccnz .LBB15_147
; %bb.146:
	v_cndmask_b32_e64 v2, 0, 1, s[8:9]
	global_store_short v[0:1], v2, off
.LBB15_147:
	s_mov_b64 s[10:11], 0
.LBB15_148:
	s_andn2_b64 vcc, exec, s[10:11]
	s_cbranch_vccnz .LBB15_153
; %bb.149:
	s_cmp_gt_i32 s12, 0
	s_mov_b64 s[10:11], -1
	s_cbranch_scc0 .LBB15_151
; %bb.150:
	v_cndmask_b32_e64 v2, 0, 1, s[8:9]
	global_store_byte v[0:1], v2, off
	s_mov_b64 s[10:11], 0
.LBB15_151:
	s_andn2_b64 vcc, exec, s[10:11]
	s_cbranch_vccnz .LBB15_153
; %bb.152:
	v_cndmask_b32_e64 v2, 0, 1, s[8:9]
	global_store_byte v[0:1], v2, off
.LBB15_153:
.LBB15_154:
	v_add_u32_e32 v11, 0x80, v11
	s_mov_b64 s[8:9], -1
	s_branch .LBB15_261
.LBB15_155:
	s_mov_b64 s[2:3], -1
                                        ; implicit-def: $vgpr3
.LBB15_156:
	s_mov_b64 s[8:9], 0
.LBB15_157:
	s_and_b64 vcc, exec, s[8:9]
	s_cbranch_vccz .LBB15_161
; %bb.158:
	s_cmp_eq_u32 s10, 29
	s_cbranch_scc0 .LBB15_160
; %bb.159:
	global_load_dwordx2 v[3:4], v[1:2], off
	s_mov_b64 s[0:1], -1
	s_mov_b64 s[2:3], 0
	s_branch .LBB15_161
.LBB15_160:
	s_mov_b64 s[2:3], -1
                                        ; implicit-def: $vgpr3
.LBB15_161:
	s_mov_b64 s[8:9], 0
.LBB15_162:
	s_and_b64 vcc, exec, s[8:9]
	s_cbranch_vccz .LBB15_178
; %bb.163:
	s_cmp_lt_i32 s10, 27
	s_cbranch_scc1 .LBB15_166
; %bb.164:
	s_cmp_gt_i32 s10, 27
	s_cbranch_scc0 .LBB15_167
; %bb.165:
	global_load_dword v3, v[1:2], off
	s_mov_b64 s[0:1], 0
	s_branch .LBB15_168
.LBB15_166:
	s_mov_b64 s[0:1], -1
                                        ; implicit-def: $vgpr3
	s_branch .LBB15_171
.LBB15_167:
	s_mov_b64 s[0:1], -1
                                        ; implicit-def: $vgpr3
.LBB15_168:
	s_andn2_b64 vcc, exec, s[0:1]
	s_cbranch_vccnz .LBB15_170
; %bb.169:
	global_load_ushort v3, v[1:2], off
.LBB15_170:
	s_mov_b64 s[0:1], 0
.LBB15_171:
	s_andn2_b64 vcc, exec, s[0:1]
	s_cbranch_vccnz .LBB15_177
; %bb.172:
	global_load_ubyte v4, v[1:2], off
	s_movk_i32 s0, 0x7f
	s_mov_b64 s[8:9], 0
	s_waitcnt vmcnt(0)
	v_cmp_lt_i16_e32 vcc, s0, v4
	s_and_saveexec_b64 s[0:1], vcc
	s_xor_b64 s[0:1], exec, s[0:1]
	s_cbranch_execz .LBB15_188
; %bb.173:
	s_movk_i32 s8, 0x80
	v_cmp_ne_u16_e32 vcc, s8, v4
	s_and_b64 s[8:9], vcc, exec
	s_andn2_saveexec_b64 s[0:1], s[0:1]
	s_cbranch_execnz .LBB15_189
.LBB15_174:
	s_or_b64 exec, exec, s[0:1]
	v_mov_b32_e32 v3, 0
	s_and_saveexec_b64 s[0:1], s[8:9]
	s_cbranch_execz .LBB15_176
.LBB15_175:
	v_lshlrev_b32_e32 v3, 24, v4
	v_and_b32_e32 v4, 0xffff, v4
	v_and_b32_e32 v5, 7, v4
	v_ffbh_u32_e32 v7, v5
	v_min_u32_e32 v7, 32, v7
	v_subrev_u32_e32 v8, 28, v7
	v_bfe_u32 v6, v4, 3, 4
	v_lshlrev_b32_e32 v4, v8, v4
	v_sub_u32_e32 v7, 29, v7
	v_and_b32_e32 v4, 7, v4
	v_cmp_eq_u32_e32 vcc, 0, v6
	v_cndmask_b32_e32 v6, v6, v7, vcc
	v_cndmask_b32_e32 v4, v5, v4, vcc
	v_mov_b32_e32 v5, 0x3b800000
	v_lshlrev_b32_e32 v4, 20, v4
	v_and_b32_e32 v3, 0x80000000, v3
	v_lshl_add_u32 v5, v6, 23, v5
	v_or3_b32 v3, v3, v5, v4
	v_trunc_f32_e32 v3, v3
	s_mov_b32 s8, 0x2f800000
	v_mul_f32_e64 v4, |v3|, s8
	v_floor_f32_e32 v4, v4
	s_mov_b32 s8, 0xcf800000
	v_fma_f32 v4, v4, s8, |v3|
	v_cvt_u32_f32_e32 v4, v4
	v_ashrrev_i32_e32 v3, 31, v3
	v_xor_b32_e32 v4, v4, v3
	v_sub_u32_e32 v3, v4, v3
.LBB15_176:
	s_or_b64 exec, exec, s[0:1]
.LBB15_177:
	s_mov_b64 s[0:1], -1
.LBB15_178:
	s_branch .LBB15_211
.LBB15_179:
	s_cmp_gt_i32 s10, 22
	s_cbranch_scc0 .LBB15_187
; %bb.180:
	s_cmp_lt_i32 s10, 24
	s_cbranch_scc1 .LBB15_190
; %bb.181:
	s_cmp_gt_i32 s10, 24
	s_cbranch_scc0 .LBB15_191
; %bb.182:
	global_load_ubyte v4, v[1:2], off
	s_movk_i32 s0, 0x7f
	s_mov_b64 s[8:9], 0
	s_waitcnt vmcnt(0)
	v_cmp_lt_i16_e32 vcc, s0, v4
	s_and_saveexec_b64 s[0:1], vcc
	s_xor_b64 s[0:1], exec, s[0:1]
	s_cbranch_execz .LBB15_203
; %bb.183:
	s_movk_i32 s8, 0x80
	v_cmp_ne_u16_e32 vcc, s8, v4
	s_and_b64 s[8:9], vcc, exec
	s_andn2_saveexec_b64 s[0:1], s[0:1]
	s_cbranch_execnz .LBB15_204
.LBB15_184:
	s_or_b64 exec, exec, s[0:1]
	v_mov_b32_e32 v3, 0
	s_and_saveexec_b64 s[0:1], s[8:9]
	s_cbranch_execz .LBB15_186
.LBB15_185:
	v_lshlrev_b32_e32 v3, 24, v4
	v_and_b32_e32 v4, 0xffff, v4
	v_and_b32_e32 v5, 3, v4
	v_ffbh_u32_e32 v7, v5
	v_min_u32_e32 v7, 32, v7
	v_subrev_u32_e32 v8, 29, v7
	v_bfe_u32 v6, v4, 2, 5
	v_lshlrev_b32_e32 v4, v8, v4
	v_sub_u32_e32 v7, 30, v7
	v_and_b32_e32 v4, 3, v4
	v_cmp_eq_u32_e32 vcc, 0, v6
	v_cndmask_b32_e32 v6, v6, v7, vcc
	v_cndmask_b32_e32 v4, v5, v4, vcc
	v_mov_b32_e32 v5, 0x37800000
	v_lshlrev_b32_e32 v4, 21, v4
	v_and_b32_e32 v3, 0x80000000, v3
	v_lshl_add_u32 v5, v6, 23, v5
	v_or3_b32 v3, v3, v5, v4
	v_trunc_f32_e32 v3, v3
	s_mov_b32 s8, 0x2f800000
	v_mul_f32_e64 v4, |v3|, s8
	v_floor_f32_e32 v4, v4
	s_mov_b32 s8, 0xcf800000
	v_fma_f32 v4, v4, s8, |v3|
	v_cvt_u32_f32_e32 v4, v4
	v_ashrrev_i32_e32 v3, 31, v3
	v_xor_b32_e32 v4, v4, v3
	v_sub_u32_e32 v3, v4, v3
.LBB15_186:
	s_or_b64 exec, exec, s[0:1]
	s_mov_b64 s[0:1], 0
	s_branch .LBB15_192
.LBB15_187:
	s_mov_b64 s[8:9], -1
                                        ; implicit-def: $vgpr3
	s_branch .LBB15_198
.LBB15_188:
	s_andn2_saveexec_b64 s[0:1], s[0:1]
	s_cbranch_execz .LBB15_174
.LBB15_189:
	v_cmp_ne_u16_e32 vcc, 0, v4
	s_andn2_b64 s[8:9], s[8:9], exec
	s_and_b64 s[12:13], vcc, exec
	s_or_b64 s[8:9], s[8:9], s[12:13]
	s_or_b64 exec, exec, s[0:1]
	v_mov_b32_e32 v3, 0
	s_and_saveexec_b64 s[0:1], s[8:9]
	s_cbranch_execnz .LBB15_175
	s_branch .LBB15_176
.LBB15_190:
	s_mov_b64 s[0:1], -1
                                        ; implicit-def: $vgpr3
	s_branch .LBB15_195
.LBB15_191:
	s_mov_b64 s[0:1], -1
                                        ; implicit-def: $vgpr3
.LBB15_192:
	s_and_b64 vcc, exec, s[0:1]
	s_cbranch_vccz .LBB15_194
; %bb.193:
	global_load_ubyte v3, v[1:2], off
	s_mov_b32 s0, 0x7f800000
	s_brev_b32 s1, 1
	s_mov_b32 s8, 0x2f800000
	s_waitcnt vmcnt(0)
	v_lshlrev_b32_e32 v3, 24, v3
	v_and_b32_e32 v4, 0x7f000000, v3
	v_ffbh_u32_e32 v5, v4
	v_min_u32_e32 v5, 32, v5
	v_sub_u32_e64 v5, v5, 4 clamp
	v_lshlrev_b32_e32 v7, v5, v4
	v_lshlrev_b32_e32 v5, 23, v5
	v_lshrrev_b32_e32 v7, 4, v7
	v_add_u32_e32 v6, 0x1000000, v4
	v_sub_u32_e32 v5, v7, v5
	v_ashrrev_i32_e32 v6, 8, v6
	v_add_u32_e32 v5, 0x3c000000, v5
	v_and_or_b32 v5, v6, s0, v5
	v_cmp_ne_u32_e32 vcc, 0, v4
	v_cndmask_b32_e32 v4, 0, v5, vcc
	v_and_or_b32 v3, v3, s1, v4
	v_trunc_f32_e32 v3, v3
	v_mul_f32_e64 v4, |v3|, s8
	v_floor_f32_e32 v4, v4
	s_mov_b32 s0, 0xcf800000
	v_fma_f32 v4, v4, s0, |v3|
	v_cvt_u32_f32_e32 v4, v4
	v_ashrrev_i32_e32 v3, 31, v3
	v_xor_b32_e32 v4, v4, v3
	v_sub_u32_e32 v3, v4, v3
.LBB15_194:
	s_mov_b64 s[0:1], 0
.LBB15_195:
	s_andn2_b64 vcc, exec, s[0:1]
	s_cbranch_vccnz .LBB15_197
; %bb.196:
	global_load_ubyte v3, v[1:2], off
	s_movk_i32 s0, 0x7f00
	s_brev_b32 s1, 16
	s_brev_b32 s8, 1
	s_mov_b32 s9, 0x2f800000
	s_waitcnt vmcnt(0)
	v_lshlrev_b16_e32 v4, 8, v3
	v_lshlrev_b32_e32 v3, 25, v3
	v_lshrrev_b32_e32 v5, 4, v3
	v_and_or_b32 v6, v4, s0, 0.5
	v_or_b32_e32 v5, 0x70000000, v5
	v_add_f32_e32 v6, -0.5, v6
	v_mul_f32_e32 v5, 0x7800000, v5
	v_cmp_gt_u32_e32 vcc, s1, v3
	v_bfe_i32 v4, v4, 0, 16
	v_cndmask_b32_e32 v3, v5, v6, vcc
	v_and_or_b32 v3, v4, s8, v3
	v_trunc_f32_e32 v3, v3
	v_mul_f32_e64 v4, |v3|, s9
	v_floor_f32_e32 v4, v4
	s_mov_b32 s0, 0xcf800000
	v_fma_f32 v4, v4, s0, |v3|
	v_cvt_u32_f32_e32 v4, v4
	v_ashrrev_i32_e32 v3, 31, v3
	v_xor_b32_e32 v4, v4, v3
	v_sub_u32_e32 v3, v4, v3
.LBB15_197:
	s_mov_b64 s[8:9], 0
	s_mov_b64 s[0:1], -1
.LBB15_198:
	s_andn2_b64 vcc, exec, s[8:9]
	s_cbranch_vccnz .LBB15_211
; %bb.199:
	s_cmp_gt_i32 s10, 14
	s_cbranch_scc0 .LBB15_202
; %bb.200:
	s_cmp_eq_u32 s10, 15
	s_cbranch_scc0 .LBB15_205
; %bb.201:
	global_load_ushort v3, v[1:2], off
	s_mov_b32 s0, 0x2f800000
	s_mov_b32 s1, 0xcf800000
	s_mov_b64 s[2:3], 0
	s_waitcnt vmcnt(0)
	v_lshlrev_b32_e32 v3, 16, v3
	v_trunc_f32_e32 v3, v3
	v_mul_f32_e64 v4, |v3|, s0
	v_floor_f32_e32 v4, v4
	v_fma_f32 v4, v4, s1, |v3|
	v_cvt_u32_f32_e32 v4, v4
	v_ashrrev_i32_e32 v3, 31, v3
	s_mov_b64 s[0:1], -1
	v_xor_b32_e32 v4, v4, v3
	v_sub_u32_e32 v3, v4, v3
	s_branch .LBB15_206
.LBB15_202:
	s_mov_b64 s[8:9], -1
                                        ; implicit-def: $vgpr3
	s_branch .LBB15_207
.LBB15_203:
	s_andn2_saveexec_b64 s[0:1], s[0:1]
	s_cbranch_execz .LBB15_184
.LBB15_204:
	v_cmp_ne_u16_e32 vcc, 0, v4
	s_andn2_b64 s[8:9], s[8:9], exec
	s_and_b64 s[12:13], vcc, exec
	s_or_b64 s[8:9], s[8:9], s[12:13]
	s_or_b64 exec, exec, s[0:1]
	v_mov_b32_e32 v3, 0
	s_and_saveexec_b64 s[0:1], s[8:9]
	s_cbranch_execnz .LBB15_185
	s_branch .LBB15_186
.LBB15_205:
	s_mov_b64 s[2:3], -1
                                        ; implicit-def: $vgpr3
.LBB15_206:
	s_mov_b64 s[8:9], 0
.LBB15_207:
	s_and_b64 vcc, exec, s[8:9]
	s_cbranch_vccz .LBB15_211
; %bb.208:
	s_cmp_eq_u32 s10, 11
	s_cbranch_scc0 .LBB15_210
; %bb.209:
	global_load_ubyte v3, v[1:2], off
	s_mov_b64 s[0:1], -1
	s_mov_b64 s[2:3], 0
	s_waitcnt vmcnt(0)
	v_cmp_ne_u16_e32 vcc, 0, v3
	v_cndmask_b32_e64 v3, 0, 1, vcc
	s_branch .LBB15_211
.LBB15_210:
	s_mov_b64 s[2:3], -1
                                        ; implicit-def: $vgpr3
.LBB15_211:
	s_branch .LBB15_24
.LBB15_212:
	s_cmp_lt_i32 s10, 5
	s_cbranch_scc1 .LBB15_217
; %bb.213:
	s_cmp_lt_i32 s10, 8
	s_cbranch_scc1 .LBB15_218
; %bb.214:
	;; [unrolled: 3-line block ×3, first 2 shown]
	s_cmp_gt_i32 s10, 9
	s_cbranch_scc0 .LBB15_220
; %bb.216:
	global_load_dwordx2 v[3:4], v[1:2], off
	s_movk_i32 s0, 0xffe0
	s_waitcnt vmcnt(0)
	v_trunc_f64_e32 v[3:4], v[3:4]
	v_ldexp_f64 v[5:6], v[3:4], s0
	s_mov_b32 s0, 0
	s_mov_b32 s1, 0xc1f00000
	v_floor_f64_e32 v[5:6], v[5:6]
	v_fma_f64 v[3:4], v[5:6], s[0:1], v[3:4]
	s_mov_b64 s[0:1], 0
	v_cvt_u32_f64_e32 v3, v[3:4]
	s_branch .LBB15_221
.LBB15_217:
                                        ; implicit-def: $vgpr3
	s_branch .LBB15_239
.LBB15_218:
	s_mov_b64 s[0:1], -1
                                        ; implicit-def: $vgpr3
	s_branch .LBB15_227
.LBB15_219:
	s_mov_b64 s[0:1], -1
                                        ; implicit-def: $vgpr3
	s_branch .LBB15_224
.LBB15_220:
	s_mov_b64 s[0:1], -1
                                        ; implicit-def: $vgpr3
.LBB15_221:
	s_andn2_b64 vcc, exec, s[0:1]
	s_cbranch_vccnz .LBB15_223
; %bb.222:
	global_load_dword v3, v[1:2], off
	s_mov_b32 s0, 0x2f800000
	s_waitcnt vmcnt(0)
	v_trunc_f32_e32 v3, v3
	v_mul_f32_e64 v4, |v3|, s0
	v_floor_f32_e32 v4, v4
	s_mov_b32 s0, 0xcf800000
	v_fma_f32 v4, v4, s0, |v3|
	v_cvt_u32_f32_e32 v4, v4
	v_ashrrev_i32_e32 v3, 31, v3
	v_xor_b32_e32 v4, v4, v3
	v_sub_u32_e32 v3, v4, v3
.LBB15_223:
	s_mov_b64 s[0:1], 0
.LBB15_224:
	s_andn2_b64 vcc, exec, s[0:1]
	s_cbranch_vccnz .LBB15_226
; %bb.225:
	global_load_dword v3, v[1:2], off
	s_waitcnt vmcnt(0)
	v_cvt_f32_f16_e32 v3, v3
	v_cvt_i32_f32_e32 v3, v3
.LBB15_226:
	s_mov_b64 s[0:1], 0
.LBB15_227:
	s_andn2_b64 vcc, exec, s[0:1]
	s_cbranch_vccnz .LBB15_238
; %bb.228:
	s_cmp_lt_i32 s10, 6
	s_cbranch_scc1 .LBB15_231
; %bb.229:
	s_cmp_gt_i32 s10, 6
	s_cbranch_scc0 .LBB15_232
; %bb.230:
	global_load_dwordx2 v[3:4], v[1:2], off
	s_movk_i32 s0, 0xffe0
	s_waitcnt vmcnt(0)
	v_trunc_f64_e32 v[3:4], v[3:4]
	v_ldexp_f64 v[5:6], v[3:4], s0
	s_mov_b32 s0, 0
	s_mov_b32 s1, 0xc1f00000
	v_floor_f64_e32 v[5:6], v[5:6]
	v_fma_f64 v[3:4], v[5:6], s[0:1], v[3:4]
	s_mov_b64 s[0:1], 0
	v_cvt_u32_f64_e32 v3, v[3:4]
	s_branch .LBB15_233
.LBB15_231:
	s_mov_b64 s[0:1], -1
                                        ; implicit-def: $vgpr3
	s_branch .LBB15_236
.LBB15_232:
	s_mov_b64 s[0:1], -1
                                        ; implicit-def: $vgpr3
.LBB15_233:
	s_andn2_b64 vcc, exec, s[0:1]
	s_cbranch_vccnz .LBB15_235
; %bb.234:
	global_load_dword v3, v[1:2], off
	s_mov_b32 s0, 0x2f800000
	s_waitcnt vmcnt(0)
	v_trunc_f32_e32 v3, v3
	v_mul_f32_e64 v4, |v3|, s0
	v_floor_f32_e32 v4, v4
	s_mov_b32 s0, 0xcf800000
	v_fma_f32 v4, v4, s0, |v3|
	v_cvt_u32_f32_e32 v4, v4
	v_ashrrev_i32_e32 v3, 31, v3
	v_xor_b32_e32 v4, v4, v3
	v_sub_u32_e32 v3, v4, v3
.LBB15_235:
	s_mov_b64 s[0:1], 0
.LBB15_236:
	s_andn2_b64 vcc, exec, s[0:1]
	s_cbranch_vccnz .LBB15_238
; %bb.237:
	global_load_ushort v3, v[1:2], off
	s_waitcnt vmcnt(0)
	v_cvt_f32_f16_e32 v3, v3
	v_cvt_i32_f32_e32 v3, v3
.LBB15_238:
	s_cbranch_execnz .LBB15_258
.LBB15_239:
	s_cmp_lt_i32 s10, 2
	s_cbranch_scc1 .LBB15_243
; %bb.240:
	s_cmp_lt_i32 s10, 3
	s_cbranch_scc1 .LBB15_244
; %bb.241:
	s_cmp_gt_i32 s10, 3
	s_cbranch_scc0 .LBB15_245
; %bb.242:
	global_load_dwordx2 v[3:4], v[1:2], off
	s_mov_b64 s[0:1], 0
	s_branch .LBB15_246
.LBB15_243:
	s_mov_b64 s[0:1], -1
                                        ; implicit-def: $vgpr3
	s_branch .LBB15_252
.LBB15_244:
	s_mov_b64 s[0:1], -1
                                        ; implicit-def: $vgpr3
	s_branch .LBB15_249
.LBB15_245:
	s_mov_b64 s[0:1], -1
                                        ; implicit-def: $vgpr3
.LBB15_246:
	s_andn2_b64 vcc, exec, s[0:1]
	s_cbranch_vccnz .LBB15_248
; %bb.247:
	global_load_dword v3, v[1:2], off
.LBB15_248:
	s_mov_b64 s[0:1], 0
.LBB15_249:
	s_andn2_b64 vcc, exec, s[0:1]
	s_cbranch_vccnz .LBB15_251
; %bb.250:
	global_load_ushort v3, v[1:2], off
.LBB15_251:
	s_mov_b64 s[0:1], 0
.LBB15_252:
	s_andn2_b64 vcc, exec, s[0:1]
	s_cbranch_vccnz .LBB15_258
; %bb.253:
	s_cmp_gt_i32 s10, 0
	s_cbranch_scc0 .LBB15_255
; %bb.254:
	global_load_ubyte v3, v[1:2], off
	s_mov_b64 s[0:1], 0
	s_branch .LBB15_256
.LBB15_255:
	s_mov_b64 s[0:1], -1
                                        ; implicit-def: $vgpr3
.LBB15_256:
	s_andn2_b64 vcc, exec, s[0:1]
	s_cbranch_vccnz .LBB15_258
; %bb.257:
	global_load_ubyte v3, v[1:2], off
.LBB15_258:
	s_branch .LBB15_25
.LBB15_259:
	s_mov_b64 s[0:1], 0
.LBB15_260:
	s_mov_b64 s[8:9], 0
                                        ; implicit-def: $vgpr11
.LBB15_261:
	s_and_b64 s[56:57], s[0:1], exec
	s_and_b64 s[58:59], s[2:3], exec
	s_orn2_b64 s[2:3], s[8:9], exec
.LBB15_262:
	s_or_b64 exec, exec, s[60:61]
	s_mov_b64 s[10:11], 0
	s_mov_b64 s[0:1], 0
                                        ; implicit-def: $vgpr1_vgpr2
                                        ; implicit-def: $vgpr0
                                        ; implicit-def: $vgpr3
	s_and_saveexec_b64 s[60:61], s[2:3]
	s_cbranch_execz .LBB15_269
; %bb.263:
	v_cmp_gt_i32_e32 vcc, s74, v11
	s_mov_b64 s[0:1], -1
	s_mov_b64 s[62:63], s[58:59]
	s_mov_b64 s[64:65], s[56:57]
	s_and_saveexec_b64 s[66:67], vcc
	s_cbranch_execz .LBB15_534
; %bb.264:
	s_andn2_b64 vcc, exec, s[40:41]
	s_cbranch_vccnz .LBB15_272
; %bb.265:
	s_andn2_b64 vcc, exec, s[54:55]
	s_cbranch_vccnz .LBB15_273
; %bb.266:
	s_add_i32 s68, s79, 1
	s_cmp_eq_u32 s76, 2
	s_cbranch_scc1 .LBB15_274
; %bb.267:
	s_and_b32 s44, s68, 28
	v_mov_b32_e32 v2, 0
	s_mov_b32 s69, 0
	s_mov_b64 s[62:63], s[34:35]
	s_mov_b64 s[64:65], s[52:53]
	v_mov_b32_e32 v0, 0
	v_mov_b32_e32 v1, v11
.LBB15_268:                             ; =>This Inner Loop Header: Depth=1
	s_load_dwordx8 s[16:23], s[62:63], 0x4
	s_load_dwordx4 s[0:3], s[62:63], 0x24
	s_load_dwordx8 s[8:15], s[64:65], 0x0
	s_add_u32 s62, s62, 48
	s_addc_u32 s63, s63, 0
	s_waitcnt vmcnt(0) lgkmcnt(0)
	v_mul_hi_u32 v3, s17, v1
	s_add_i32 s69, s69, 4
	s_add_u32 s64, s64, 32
	s_addc_u32 s65, s65, 0
	v_add_u32_e32 v3, v1, v3
	v_lshrrev_b32_e32 v3, s18, v3
	v_mul_lo_u32 v4, v3, s16
	v_mul_hi_u32 v5, s20, v3
	s_cmp_eq_u32 s44, s69
	v_sub_u32_e32 v1, v1, v4
	v_add_u32_e32 v4, v3, v5
	v_mul_lo_u32 v5, v1, s8
	v_mul_lo_u32 v6, v1, s9
	v_lshrrev_b32_e32 v1, s21, v4
	v_mul_lo_u32 v4, v1, s19
	v_mul_hi_u32 v7, s23, v1
	v_sub_u32_e32 v3, v3, v4
	v_add_u32_e32 v4, v1, v7
	v_lshrrev_b32_e32 v4, s0, v4
	v_mul_hi_u32 v8, s2, v4
	v_mul_lo_u32 v9, v4, s22
	v_mul_lo_u32 v7, v3, s10
	;; [unrolled: 1-line block ×3, first 2 shown]
	v_sub_u32_e32 v9, v1, v9
	v_add_u32_e32 v1, v4, v8
	v_lshrrev_b32_e32 v1, s3, v1
	v_mul_lo_u32 v8, v1, s1
	v_mul_lo_u32 v10, v9, s12
	;; [unrolled: 1-line block ×3, first 2 shown]
	v_add3_u32 v0, v5, v0, v7
	v_sub_u32_e32 v4, v4, v8
	v_mul_lo_u32 v8, v4, s14
	v_mul_lo_u32 v4, v4, s15
	v_add3_u32 v2, v6, v2, v3
	v_add3_u32 v0, v10, v0, v8
	;; [unrolled: 1-line block ×3, first 2 shown]
	s_cbranch_scc0 .LBB15_268
	s_branch .LBB15_275
.LBB15_269:
	s_or_b64 exec, exec, s[60:61]
	s_mov_b64 s[2:3], 0
	s_and_saveexec_b64 s[8:9], s[58:59]
	s_cbranch_execnz .LBB15_902
.LBB15_270:
	s_or_b64 exec, exec, s[8:9]
	s_and_saveexec_b64 s[8:9], s[64:65]
	s_xor_b64 s[8:9], exec, s[8:9]
	s_cbranch_execz .LBB15_903
.LBB15_271:
	global_load_ubyte v3, v[1:2], off
	s_or_b64 s[0:1], s[0:1], exec
	s_waitcnt vmcnt(0)
	v_cmp_ne_u16_e32 vcc, 0, v3
	v_cndmask_b32_e64 v3, 0, 1, vcc
	s_or_b64 exec, exec, s[8:9]
	s_and_saveexec_b64 s[8:9], s[10:11]
	s_cbranch_execz .LBB15_949
	s_branch .LBB15_904
.LBB15_272:
                                        ; implicit-def: $vgpr0
                                        ; implicit-def: $vgpr2
	s_andn2_b64 vcc, exec, s[0:1]
	s_cbranch_vccz .LBB15_279
	s_branch .LBB15_281
.LBB15_273:
	v_mov_b32_e32 v0, 0
	v_mov_b32_e32 v2, 0
	s_branch .LBB15_278
.LBB15_274:
	s_mov_b32 s44, 0
	v_mov_b32_e32 v0, 0
	v_mov_b32_e32 v2, 0
	v_mov_b32_e32 v1, v11
.LBB15_275:
	s_and_b32 s8, s68, 3
	s_cmp_eq_u32 s8, 0
	s_cbranch_scc1 .LBB15_278
; %bb.276:
	s_lshl_b32 s0, s44, 3
	s_add_u32 s0, s34, s0
	s_addc_u32 s1, s35, 0
	s_add_u32 s0, s0, 0xc4
	s_addc_u32 s1, s1, 0
	s_mul_i32 s2, s44, 12
	s_add_u32 s2, s34, s2
	s_addc_u32 s3, s35, 0
.LBB15_277:                             ; =>This Inner Loop Header: Depth=1
	s_load_dwordx2 s[10:11], s[2:3], 0x4
	s_load_dword s9, s[2:3], 0xc
	s_load_dwordx2 s[12:13], s[0:1], 0x0
	s_add_u32 s2, s2, 12
	s_addc_u32 s3, s3, 0
	s_waitcnt vmcnt(0) lgkmcnt(0)
	v_mul_hi_u32 v3, s11, v1
	s_add_u32 s0, s0, 8
	s_addc_u32 s1, s1, 0
	s_add_i32 s8, s8, -1
	v_add_u32_e32 v3, v1, v3
	v_lshrrev_b32_e32 v4, s9, v3
	v_mul_lo_u32 v3, v4, s10
	s_cmp_lg_u32 s8, 0
	v_sub_u32_e32 v3, v1, v3
	v_mad_u64_u32 v[0:1], s[10:11], v3, s12, v[0:1]
	v_mad_u64_u32 v[2:3], s[10:11], v3, s13, v[2:3]
	v_mov_b32_e32 v1, v4
	s_cbranch_scc1 .LBB15_277
.LBB15_278:
	s_cbranch_execnz .LBB15_281
.LBB15_279:
	v_mul_hi_u32 v0, s29, v11
	s_andn2_b64 vcc, exec, s[50:51]
	v_add_u32_e32 v0, v11, v0
	v_lshrrev_b32_e32 v1, s30, v0
	v_mul_lo_u32 v0, v1, s28
	v_sub_u32_e32 v2, v11, v0
	v_mul_lo_u32 v0, v2, s36
	v_mul_lo_u32 v2, v2, s37
	s_cbranch_vccnz .LBB15_281
; %bb.280:
	s_waitcnt vmcnt(0)
	v_mul_hi_u32 v3, s48, v1
	v_add_u32_e32 v3, v1, v3
	v_lshrrev_b32_e32 v3, s49, v3
	v_mul_lo_u32 v3, v3, s31
	v_sub_u32_e32 v3, v1, v3
	v_mad_u64_u32 v[0:1], s[0:1], v3, s38, v[0:1]
	v_mad_u64_u32 v[2:3], s[0:1], v3, s39, v[2:3]
.LBB15_281:
	s_waitcnt vmcnt(0)
	v_mov_b32_e32 v3, s27
	s_and_b32 s10, 0xffff, s78
	v_add_co_u32_e32 v1, vcc, s26, v2
	s_cmp_lt_i32 s10, 11
	v_addc_co_u32_e32 v2, vcc, 0, v3, vcc
	s_cbranch_scc1 .LBB15_288
; %bb.282:
	s_cmp_gt_i32 s10, 25
	s_cbranch_scc0 .LBB15_297
; %bb.283:
	s_cmp_gt_i32 s10, 28
	s_cbranch_scc0 .LBB15_299
	;; [unrolled: 3-line block ×4, first 2 shown]
; %bb.286:
	s_cmp_eq_u32 s10, 46
	s_mov_b64 s[8:9], 0
	s_cbranch_scc0 .LBB15_309
; %bb.287:
	global_load_dword v3, v[1:2], off
	s_mov_b32 s0, 0x2f800000
	s_mov_b32 s1, 0xcf800000
	s_mov_b64 s[2:3], 0
	s_waitcnt vmcnt(0)
	v_lshlrev_b32_e32 v3, 16, v3
	v_trunc_f32_e32 v3, v3
	v_mul_f32_e64 v4, |v3|, s0
	v_floor_f32_e32 v4, v4
	v_fma_f32 v4, v4, s1, |v3|
	v_cvt_u32_f32_e32 v4, v4
	v_ashrrev_i32_e32 v3, 31, v3
	s_mov_b64 s[0:1], -1
	v_xor_b32_e32 v4, v4, v3
	v_sub_u32_e32 v3, v4, v3
	s_branch .LBB15_310
.LBB15_288:
	s_mov_b64 s[0:1], 0
                                        ; implicit-def: $vgpr3
	s_mov_b64 s[2:3], s[58:59]
	s_cbranch_execnz .LBB15_483
.LBB15_289:
	s_andn2_b64 vcc, exec, s[0:1]
	s_cbranch_vccnz .LBB15_531
.LBB15_290:
	s_and_b32 s0, s45, 0xff
	s_waitcnt vmcnt(0)
	v_cmp_ne_u16_sdwa s[0:1], s0, v3 src0_sel:DWORD src1_sel:BYTE_0
	s_xor_b64 s[8:9], s[46:47], s[0:1]
	v_mov_b32_e32 v1, s25
	s_and_b32 s16, s77, 0xff
	v_add_co_u32_e32 v0, vcc, s24, v0
	s_cmp_lt_i32 s16, 11
	v_addc_co_u32_e32 v1, vcc, 0, v1, vcc
	s_cbranch_scc1 .LBB15_298
; %bb.291:
	s_and_b32 s17, 0xffff, s16
	s_cmp_gt_i32 s17, 25
	s_cbranch_scc0 .LBB15_300
; %bb.292:
	s_cmp_gt_i32 s17, 28
	s_cbranch_scc0 .LBB15_302
; %bb.293:
	;; [unrolled: 3-line block ×4, first 2 shown]
	s_mov_b64 s[12:13], 0
	s_mov_b64 s[0:1], -1
	s_cmp_eq_u32 s17, 46
	s_mov_b64 s[10:11], 0
	s_cbranch_scc0 .LBB15_314
; %bb.296:
	v_cndmask_b32_e64 v2, 0, 1.0, s[8:9]
	v_bfe_u32 v3, v2, 16, 1
	s_movk_i32 s0, 0x7fff
	v_add3_u32 v2, v2, v3, s0
	v_lshrrev_b32_e32 v2, 16, v2
	global_store_dword v[0:1], v2, off
	s_mov_b64 s[10:11], -1
	s_mov_b64 s[0:1], 0
	s_branch .LBB15_314
.LBB15_297:
	s_mov_b64 s[8:9], -1
	s_mov_b64 s[0:1], 0
	s_mov_b64 s[2:3], s[58:59]
                                        ; implicit-def: $vgpr3
	s_branch .LBB15_449
.LBB15_298:
	s_mov_b64 s[12:13], -1
	s_mov_b64 s[10:11], 0
	s_mov_b64 s[0:1], s[56:57]
	s_branch .LBB15_383
.LBB15_299:
	s_mov_b64 s[8:9], -1
	s_mov_b64 s[0:1], 0
	s_mov_b64 s[2:3], s[58:59]
                                        ; implicit-def: $vgpr3
	s_branch .LBB15_432
.LBB15_300:
	s_mov_b64 s[12:13], -1
	s_mov_b64 s[10:11], 0
	s_mov_b64 s[0:1], s[56:57]
	s_branch .LBB15_341
.LBB15_301:
	s_mov_b64 s[8:9], -1
	s_mov_b64 s[0:1], 0
	s_mov_b64 s[2:3], s[58:59]
                                        ; implicit-def: $vgpr3
	s_branch .LBB15_427
.LBB15_302:
	s_mov_b64 s[12:13], -1
	s_mov_b64 s[10:11], 0
	s_mov_b64 s[0:1], s[56:57]
	s_branch .LBB15_324
.LBB15_303:
	s_andn2_saveexec_b64 s[14:15], s[14:15]
	s_cbranch_execz .LBB15_68
.LBB15_304:
	v_add_f32_e32 v2, 0x46000000, v3
	v_and_b32_e32 v2, 0xff, v2
	v_cmp_ne_u32_e32 vcc, 0, v2
	s_andn2_b64 s[12:13], s[12:13], exec
	s_and_b64 s[18:19], vcc, exec
	s_or_b64 s[12:13], s[12:13], s[18:19]
	s_or_b64 exec, exec, s[14:15]
	v_mov_b32_e32 v4, 0
	s_and_saveexec_b64 s[14:15], s[12:13]
	s_cbranch_execnz .LBB15_69
	s_branch .LBB15_70
.LBB15_305:
	s_mov_b64 s[8:9], -1
	s_mov_b64 s[0:1], 0
	s_mov_b64 s[2:3], s[58:59]
                                        ; implicit-def: $vgpr3
	s_branch .LBB15_310
.LBB15_306:
	s_mov_b64 s[12:13], -1
	s_mov_b64 s[10:11], 0
	s_mov_b64 s[0:1], s[56:57]
	s_branch .LBB15_320
.LBB15_307:
	s_andn2_saveexec_b64 s[14:15], s[14:15]
	s_cbranch_execz .LBB15_81
.LBB15_308:
	v_add_f32_e32 v2, 0x42800000, v3
	v_and_b32_e32 v2, 0xff, v2
	v_cmp_ne_u32_e32 vcc, 0, v2
	s_andn2_b64 s[12:13], s[12:13], exec
	s_and_b64 s[18:19], vcc, exec
	s_or_b64 s[12:13], s[12:13], s[18:19]
	s_or_b64 exec, exec, s[14:15]
	v_mov_b32_e32 v4, 0
	s_and_saveexec_b64 s[14:15], s[12:13]
	s_cbranch_execnz .LBB15_82
	s_branch .LBB15_83
.LBB15_309:
	s_mov_b64 s[2:3], -1
                                        ; implicit-def: $vgpr3
	s_mov_b64 s[0:1], 0
.LBB15_310:
	s_and_b64 vcc, exec, s[8:9]
	s_cbranch_vccz .LBB15_426
; %bb.311:
	s_cmp_eq_u32 s10, 44
	s_cbranch_scc0 .LBB15_425
; %bb.312:
	global_load_ubyte v3, v[1:2], off
	s_mov_b32 s0, 0x2f800000
	s_mov_b32 s1, 0xcf800000
	s_mov_b64 s[2:3], 0
	s_waitcnt vmcnt(0)
	v_lshlrev_b32_e32 v4, 23, v3
	v_trunc_f32_e32 v4, v4
	v_mul_f32_e64 v5, |v4|, s0
	v_floor_f32_e32 v5, v5
	v_fma_f32 v5, v5, s1, |v4|
	v_cvt_u32_f32_e32 v5, v5
	v_ashrrev_i32_e32 v4, 31, v4
	v_cmp_ne_u32_e32 vcc, 0, v3
	s_mov_b64 s[0:1], -1
	v_xor_b32_e32 v5, v5, v4
	v_sub_u32_e32 v4, v5, v4
	v_cndmask_b32_e32 v3, 0, v4, vcc
	s_branch .LBB15_426
.LBB15_313:
	s_mov_b64 s[12:13], -1
	s_mov_b64 s[10:11], 0
	s_mov_b64 s[0:1], s[56:57]
.LBB15_314:
	s_and_b64 vcc, exec, s[12:13]
	s_cbranch_vccz .LBB15_319
; %bb.315:
	s_cmp_eq_u32 s17, 44
	s_mov_b64 s[0:1], -1
	s_cbranch_scc0 .LBB15_319
; %bb.316:
	v_cndmask_b32_e64 v3, 0, 1.0, s[8:9]
	v_lshrrev_b32_e32 v2, 23, v3
	s_movk_i32 s0, 0xff
	v_cmp_ne_u32_e32 vcc, s0, v2
	v_mov_b32_e32 v4, 0xff
	s_and_saveexec_b64 s[10:11], vcc
; %bb.317:
	s_mov_b32 s0, 0x3fffff
	v_and_b32_e32 v4, 0x400000, v3
	v_and_or_b32 v3, v3, s0, v2
	v_cmp_ne_u32_e32 vcc, 0, v4
	v_cmp_ne_u32_e64 s[0:1], 0, v3
	s_and_b64 s[0:1], vcc, s[0:1]
	v_cndmask_b32_e64 v3, 0, 1, s[0:1]
	v_add_u32_e32 v4, v2, v3
; %bb.318:
	s_or_b64 exec, exec, s[10:11]
	s_mov_b64 s[10:11], -1
	s_mov_b64 s[0:1], 0
	global_store_byte v[0:1], v4, off
.LBB15_319:
	s_mov_b64 s[12:13], 0
.LBB15_320:
	s_and_b64 vcc, exec, s[12:13]
	s_cbranch_vccz .LBB15_323
; %bb.321:
	s_cmp_eq_u32 s17, 29
	s_mov_b64 s[0:1], -1
	s_cbranch_scc0 .LBB15_323
; %bb.322:
	s_mov_b32 s0, 0
	v_cndmask_b32_e64 v2, 0, 1, s[8:9]
	v_mov_b32_e32 v3, s0
	global_store_dwordx2 v[0:1], v[2:3], off
	s_mov_b64 s[10:11], -1
	s_mov_b64 s[0:1], 0
.LBB15_323:
	s_mov_b64 s[12:13], 0
.LBB15_324:
	s_and_b64 vcc, exec, s[12:13]
	s_cbranch_vccz .LBB15_340
; %bb.325:
	s_cmp_lt_i32 s17, 27
	s_mov_b64 s[10:11], -1
	s_cbranch_scc1 .LBB15_331
; %bb.326:
	s_cmp_gt_i32 s17, 27
	s_cbranch_scc0 .LBB15_328
; %bb.327:
	v_cndmask_b32_e64 v2, 0, 1, s[8:9]
	s_mov_b64 s[10:11], 0
	global_store_dword v[0:1], v2, off
.LBB15_328:
	s_andn2_b64 vcc, exec, s[10:11]
	s_cbranch_vccnz .LBB15_330
; %bb.329:
	v_cndmask_b32_e64 v2, 0, 1, s[8:9]
	global_store_short v[0:1], v2, off
.LBB15_330:
	s_mov_b64 s[10:11], 0
.LBB15_331:
	s_andn2_b64 vcc, exec, s[10:11]
	s_cbranch_vccnz .LBB15_339
; %bb.332:
	v_cndmask_b32_e64 v3, 0, 1.0, s[8:9]
	s_mov_b32 s10, 0x43800000
	v_cmp_gt_u32_e32 vcc, s10, v3
	v_mov_b32_e32 v4, 0x80
	s_and_saveexec_b64 s[10:11], vcc
	s_cbranch_execz .LBB15_338
; %bb.333:
	s_mov_b32 s12, 0x3bffffff
	v_cmp_lt_u32_e32 vcc, s12, v3
	s_mov_b64 s[12:13], 0
                                        ; implicit-def: $vgpr2
	s_and_saveexec_b64 s[14:15], vcc
	s_xor_b64 s[14:15], exec, s[14:15]
	s_cbranch_execz .LBB15_562
; %bb.334:
	v_bfe_u32 v2, v3, 20, 1
	s_mov_b32 s18, 0x487ffff
	v_add3_u32 v2, v3, v2, s18
	s_mov_b64 s[12:13], exec
	v_lshrrev_b32_e32 v2, 20, v2
                                        ; implicit-def: $vgpr3
	s_andn2_saveexec_b64 s[14:15], s[14:15]
	s_cbranch_execnz .LBB15_563
.LBB15_335:
	s_or_b64 exec, exec, s[14:15]
	v_mov_b32_e32 v4, 0
	s_and_saveexec_b64 s[14:15], s[12:13]
.LBB15_336:
	v_mov_b32_e32 v4, v2
.LBB15_337:
	s_or_b64 exec, exec, s[14:15]
.LBB15_338:
	s_or_b64 exec, exec, s[10:11]
	global_store_byte v[0:1], v4, off
.LBB15_339:
	s_mov_b64 s[10:11], -1
.LBB15_340:
	s_mov_b64 s[12:13], 0
.LBB15_341:
	s_and_b64 vcc, exec, s[12:13]
	s_cbranch_vccz .LBB15_382
; %bb.342:
	s_cmp_gt_i32 s17, 22
	s_mov_b64 s[12:13], -1
	s_cbranch_scc0 .LBB15_374
; %bb.343:
	s_cmp_lt_i32 s17, 24
	s_mov_b64 s[10:11], -1
	s_cbranch_scc1 .LBB15_363
; %bb.344:
	s_cmp_gt_i32 s17, 24
	s_cbranch_scc0 .LBB15_352
; %bb.345:
	v_cndmask_b32_e64 v3, 0, 1.0, s[8:9]
	s_mov_b32 s10, 0x47800000
	v_cmp_gt_u32_e32 vcc, s10, v3
	v_mov_b32_e32 v4, 0x80
	s_and_saveexec_b64 s[10:11], vcc
	s_cbranch_execz .LBB15_351
; %bb.346:
	s_mov_b32 s12, 0x37ffffff
	v_cmp_lt_u32_e32 vcc, s12, v3
	s_mov_b64 s[12:13], 0
                                        ; implicit-def: $vgpr2
	s_and_saveexec_b64 s[14:15], vcc
	s_xor_b64 s[14:15], exec, s[14:15]
	s_cbranch_execz .LBB15_565
; %bb.347:
	v_bfe_u32 v2, v3, 21, 1
	s_mov_b32 s18, 0x88fffff
	v_add3_u32 v2, v3, v2, s18
	s_mov_b64 s[12:13], exec
	v_lshrrev_b32_e32 v2, 21, v2
                                        ; implicit-def: $vgpr3
	s_andn2_saveexec_b64 s[14:15], s[14:15]
	s_cbranch_execnz .LBB15_566
.LBB15_348:
	s_or_b64 exec, exec, s[14:15]
	v_mov_b32_e32 v4, 0
	s_and_saveexec_b64 s[14:15], s[12:13]
.LBB15_349:
	v_mov_b32_e32 v4, v2
.LBB15_350:
	s_or_b64 exec, exec, s[14:15]
.LBB15_351:
	s_or_b64 exec, exec, s[10:11]
	s_mov_b64 s[10:11], 0
	global_store_byte v[0:1], v4, off
.LBB15_352:
	s_and_b64 vcc, exec, s[10:11]
	s_cbranch_vccz .LBB15_362
; %bb.353:
	v_cndmask_b32_e64 v2, 0, 1.0, s[8:9]
	s_mov_b32 s10, 0x43f00000
	v_cmp_gt_u32_e32 vcc, s10, v2
                                        ; implicit-def: $vgpr3
	s_and_saveexec_b64 s[10:11], vcc
	s_xor_b64 s[10:11], exec, s[10:11]
	s_cbranch_execz .LBB15_359
; %bb.354:
	s_mov_b32 s12, 0x3c7fffff
	v_cmp_lt_u32_e32 vcc, s12, v2
                                        ; implicit-def: $vgpr3
	s_and_saveexec_b64 s[12:13], vcc
	s_xor_b64 s[12:13], exec, s[12:13]
; %bb.355:
	v_bfe_u32 v3, v2, 20, 1
	s_mov_b32 s14, 0x407ffff
	v_add3_u32 v2, v2, v3, s14
	v_lshrrev_b32_e32 v3, 20, v2
	v_and_b32_e32 v2, 0xff00000, v2
	s_mov_b32 s14, 0x7f00000
	v_mov_b32_e32 v4, 0x7e
	v_cmp_ne_u32_e32 vcc, s14, v2
	v_cndmask_b32_e32 v3, v4, v3, vcc
                                        ; implicit-def: $vgpr2
; %bb.356:
	s_andn2_saveexec_b64 s[12:13], s[12:13]
; %bb.357:
	v_add_f32_e32 v3, 0x46800000, v2
; %bb.358:
	s_or_b64 exec, exec, s[12:13]
                                        ; implicit-def: $vgpr2
.LBB15_359:
	s_andn2_saveexec_b64 s[10:11], s[10:11]
; %bb.360:
	s_mov_b32 s12, 0x7f800000
	v_mov_b32_e32 v3, 0x7e
	v_mov_b32_e32 v4, 0x7f
	v_cmp_lt_u32_e32 vcc, s12, v2
	v_cndmask_b32_e32 v3, v3, v4, vcc
; %bb.361:
	s_or_b64 exec, exec, s[10:11]
	global_store_byte v[0:1], v3, off
.LBB15_362:
	s_mov_b64 s[10:11], 0
.LBB15_363:
	s_andn2_b64 vcc, exec, s[10:11]
	s_cbranch_vccnz .LBB15_373
; %bb.364:
	v_cndmask_b32_e64 v2, 0, 1.0, s[8:9]
	s_mov_b32 s10, 0x47800000
	v_cmp_gt_u32_e32 vcc, s10, v2
                                        ; implicit-def: $vgpr3
	s_and_saveexec_b64 s[10:11], vcc
	s_xor_b64 s[10:11], exec, s[10:11]
	s_cbranch_execz .LBB15_370
; %bb.365:
	s_mov_b32 s12, 0x387fffff
	v_cmp_lt_u32_e32 vcc, s12, v2
                                        ; implicit-def: $vgpr3
	s_and_saveexec_b64 s[12:13], vcc
	s_xor_b64 s[12:13], exec, s[12:13]
; %bb.366:
	v_bfe_u32 v3, v2, 21, 1
	s_mov_b32 s14, 0x80fffff
	v_add3_u32 v2, v2, v3, s14
	v_lshrrev_b32_e32 v3, 21, v2
                                        ; implicit-def: $vgpr2
; %bb.367:
	s_andn2_saveexec_b64 s[12:13], s[12:13]
; %bb.368:
	v_add_f32_e32 v3, 0x43000000, v2
; %bb.369:
	s_or_b64 exec, exec, s[12:13]
                                        ; implicit-def: $vgpr2
.LBB15_370:
	s_andn2_saveexec_b64 s[10:11], s[10:11]
; %bb.371:
	s_mov_b32 s12, 0x7f800000
	v_mov_b32_e32 v3, 0x7c
	v_mov_b32_e32 v4, 0x7f
	v_cmp_lt_u32_e32 vcc, s12, v2
	v_cndmask_b32_e32 v3, v3, v4, vcc
; %bb.372:
	s_or_b64 exec, exec, s[10:11]
	global_store_byte v[0:1], v3, off
.LBB15_373:
	s_mov_b64 s[12:13], 0
	s_mov_b64 s[10:11], -1
.LBB15_374:
	s_andn2_b64 vcc, exec, s[12:13]
	s_cbranch_vccnz .LBB15_382
; %bb.375:
	s_cmp_gt_i32 s17, 14
	s_mov_b64 s[12:13], -1
	s_cbranch_scc0 .LBB15_379
; %bb.376:
	s_cmp_eq_u32 s17, 15
	s_mov_b64 s[0:1], -1
	s_cbranch_scc0 .LBB15_378
; %bb.377:
	v_cndmask_b32_e64 v2, 0, 1.0, s[8:9]
	v_bfe_u32 v3, v2, 16, 1
	s_movk_i32 s0, 0x7fff
	v_add3_u32 v2, v2, v3, s0
	global_store_short_d16_hi v[0:1], v2, off
	s_mov_b64 s[10:11], -1
	s_mov_b64 s[0:1], 0
.LBB15_378:
	s_mov_b64 s[12:13], 0
.LBB15_379:
	s_and_b64 vcc, exec, s[12:13]
	s_cbranch_vccz .LBB15_382
; %bb.380:
	s_cmp_eq_u32 s17, 11
	s_mov_b64 s[0:1], -1
	s_cbranch_scc0 .LBB15_382
; %bb.381:
	v_cndmask_b32_e64 v2, 0, 1, s[8:9]
	s_mov_b64 s[10:11], -1
	s_mov_b64 s[0:1], 0
	global_store_byte v[0:1], v2, off
.LBB15_382:
	s_mov_b64 s[12:13], 0
.LBB15_383:
	s_and_b64 vcc, exec, s[12:13]
	s_cbranch_vccz .LBB15_422
; %bb.384:
	s_and_b32 s12, 0xffff, s16
	s_cmp_lt_i32 s12, 5
	s_mov_b64 s[10:11], -1
	s_cbranch_scc1 .LBB15_405
; %bb.385:
	s_cmp_lt_i32 s12, 8
	s_cbranch_scc1 .LBB15_395
; %bb.386:
	s_cmp_lt_i32 s12, 9
	s_cbranch_scc1 .LBB15_392
; %bb.387:
	s_cmp_gt_i32 s12, 9
	s_cbranch_scc0 .LBB15_389
; %bb.388:
	v_cndmask_b32_e64 v2, 0, 1, s[8:9]
	v_cvt_f64_u32_e32 v[2:3], v2
	v_mov_b32_e32 v4, 0
	v_mov_b32_e32 v5, v4
	s_mov_b64 s[10:11], 0
	global_store_dwordx4 v[0:1], v[2:5], off
.LBB15_389:
	s_andn2_b64 vcc, exec, s[10:11]
	s_cbranch_vccnz .LBB15_391
; %bb.390:
	v_cndmask_b32_e64 v2, 0, 1.0, s[8:9]
	v_mov_b32_e32 v3, 0
	global_store_dwordx2 v[0:1], v[2:3], off
.LBB15_391:
	s_mov_b64 s[10:11], 0
.LBB15_392:
	s_andn2_b64 vcc, exec, s[10:11]
	s_cbranch_vccnz .LBB15_394
; %bb.393:
	v_cndmask_b32_e64 v2, 0, 1.0, s[8:9]
	v_cvt_f16_f32_e32 v2, v2
	global_store_dword v[0:1], v2, off
.LBB15_394:
	s_mov_b64 s[10:11], 0
.LBB15_395:
	s_andn2_b64 vcc, exec, s[10:11]
	s_cbranch_vccnz .LBB15_404
; %bb.396:
	s_cmp_lt_i32 s12, 6
	s_mov_b64 s[10:11], -1
	s_cbranch_scc1 .LBB15_402
; %bb.397:
	s_cmp_gt_i32 s12, 6
	s_cbranch_scc0 .LBB15_399
; %bb.398:
	v_cndmask_b32_e64 v2, 0, 1, s[8:9]
	v_cvt_f64_u32_e32 v[2:3], v2
	s_mov_b64 s[10:11], 0
	global_store_dwordx2 v[0:1], v[2:3], off
.LBB15_399:
	s_andn2_b64 vcc, exec, s[10:11]
	s_cbranch_vccnz .LBB15_401
; %bb.400:
	v_cndmask_b32_e64 v2, 0, 1.0, s[8:9]
	global_store_dword v[0:1], v2, off
.LBB15_401:
	s_mov_b64 s[10:11], 0
.LBB15_402:
	s_andn2_b64 vcc, exec, s[10:11]
	s_cbranch_vccnz .LBB15_404
; %bb.403:
	v_cndmask_b32_e64 v2, 0, 1.0, s[8:9]
	v_cvt_f16_f32_e32 v2, v2
	global_store_short v[0:1], v2, off
.LBB15_404:
	s_mov_b64 s[10:11], 0
.LBB15_405:
	s_andn2_b64 vcc, exec, s[10:11]
	s_cbranch_vccnz .LBB15_421
; %bb.406:
	s_cmp_lt_i32 s12, 2
	s_mov_b64 s[10:11], -1
	s_cbranch_scc1 .LBB15_416
; %bb.407:
	s_cmp_lt_i32 s12, 3
	s_cbranch_scc1 .LBB15_413
; %bb.408:
	s_cmp_gt_i32 s12, 3
	s_cbranch_scc0 .LBB15_410
; %bb.409:
	s_mov_b32 s10, 0
	v_cndmask_b32_e64 v2, 0, 1, s[8:9]
	v_mov_b32_e32 v3, s10
	s_mov_b64 s[10:11], 0
	global_store_dwordx2 v[0:1], v[2:3], off
.LBB15_410:
	s_andn2_b64 vcc, exec, s[10:11]
	s_cbranch_vccnz .LBB15_412
; %bb.411:
	v_cndmask_b32_e64 v2, 0, 1, s[8:9]
	global_store_dword v[0:1], v2, off
.LBB15_412:
	s_mov_b64 s[10:11], 0
.LBB15_413:
	s_andn2_b64 vcc, exec, s[10:11]
	s_cbranch_vccnz .LBB15_415
; %bb.414:
	v_cndmask_b32_e64 v2, 0, 1, s[8:9]
	global_store_short v[0:1], v2, off
.LBB15_415:
	s_mov_b64 s[10:11], 0
.LBB15_416:
	s_andn2_b64 vcc, exec, s[10:11]
	s_cbranch_vccnz .LBB15_421
; %bb.417:
	s_mov_b64 s[10:11], -1
	s_cmp_gt_i32 s12, 0
	v_cndmask_b32_e64 v2, 0, 1, s[8:9]
	s_cbranch_scc0 .LBB15_419
; %bb.418:
	s_mov_b64 s[10:11], 0
	global_store_byte v[0:1], v2, off
.LBB15_419:
	s_andn2_b64 vcc, exec, s[10:11]
	s_cbranch_vccnz .LBB15_421
; %bb.420:
	global_store_byte v[0:1], v2, off
.LBB15_421:
	s_mov_b64 s[10:11], -1
.LBB15_422:
	s_andn2_b64 vcc, exec, s[10:11]
	s_cbranch_vccnz .LBB15_424
; %bb.423:
	v_add_u32_e32 v11, 0x80, v11
	s_mov_b64 s[8:9], -1
	s_branch .LBB15_533
.LBB15_424:
	s_mov_b64 s[8:9], 0
	s_branch .LBB15_532
.LBB15_425:
	s_mov_b64 s[2:3], -1
                                        ; implicit-def: $vgpr3
.LBB15_426:
	s_mov_b64 s[8:9], 0
.LBB15_427:
	s_and_b64 vcc, exec, s[8:9]
	s_cbranch_vccz .LBB15_431
; %bb.428:
	s_cmp_eq_u32 s10, 29
	s_cbranch_scc0 .LBB15_430
; %bb.429:
	global_load_dwordx2 v[3:4], v[1:2], off
	s_mov_b64 s[0:1], -1
	s_mov_b64 s[2:3], 0
	s_branch .LBB15_431
.LBB15_430:
	s_mov_b64 s[2:3], -1
                                        ; implicit-def: $vgpr3
.LBB15_431:
	s_mov_b64 s[8:9], 0
.LBB15_432:
	s_and_b64 vcc, exec, s[8:9]
	s_cbranch_vccz .LBB15_448
; %bb.433:
	s_cmp_lt_i32 s10, 27
	s_cbranch_scc1 .LBB15_436
; %bb.434:
	s_cmp_gt_i32 s10, 27
	s_cbranch_scc0 .LBB15_437
; %bb.435:
	global_load_dword v3, v[1:2], off
	s_mov_b64 s[0:1], 0
	s_branch .LBB15_438
.LBB15_436:
	s_mov_b64 s[0:1], -1
                                        ; implicit-def: $vgpr3
	s_branch .LBB15_441
.LBB15_437:
	s_mov_b64 s[0:1], -1
                                        ; implicit-def: $vgpr3
.LBB15_438:
	s_andn2_b64 vcc, exec, s[0:1]
	s_cbranch_vccnz .LBB15_440
; %bb.439:
	global_load_ushort v3, v[1:2], off
.LBB15_440:
	s_mov_b64 s[0:1], 0
.LBB15_441:
	s_andn2_b64 vcc, exec, s[0:1]
	s_cbranch_vccnz .LBB15_447
; %bb.442:
	global_load_ubyte v4, v[1:2], off
	s_movk_i32 s0, 0x7f
	s_mov_b64 s[8:9], 0
	s_waitcnt vmcnt(0)
	v_cmp_lt_i16_e32 vcc, s0, v4
	s_and_saveexec_b64 s[0:1], vcc
	s_xor_b64 s[0:1], exec, s[0:1]
	s_cbranch_execz .LBB15_459
; %bb.443:
	s_movk_i32 s8, 0x80
	v_cmp_ne_u16_e32 vcc, s8, v4
	s_and_b64 s[8:9], vcc, exec
	s_andn2_saveexec_b64 s[0:1], s[0:1]
	s_cbranch_execnz .LBB15_460
.LBB15_444:
	s_or_b64 exec, exec, s[0:1]
	v_mov_b32_e32 v3, 0
	s_and_saveexec_b64 s[0:1], s[8:9]
	s_cbranch_execz .LBB15_446
.LBB15_445:
	v_lshlrev_b32_e32 v3, 24, v4
	v_and_b32_e32 v4, 0xffff, v4
	v_and_b32_e32 v5, 7, v4
	v_ffbh_u32_e32 v7, v5
	v_min_u32_e32 v7, 32, v7
	v_subrev_u32_e32 v8, 28, v7
	v_bfe_u32 v6, v4, 3, 4
	v_lshlrev_b32_e32 v4, v8, v4
	v_sub_u32_e32 v7, 29, v7
	v_and_b32_e32 v4, 7, v4
	v_cmp_eq_u32_e32 vcc, 0, v6
	v_cndmask_b32_e32 v6, v6, v7, vcc
	v_cndmask_b32_e32 v4, v5, v4, vcc
	v_mov_b32_e32 v5, 0x3b800000
	v_lshlrev_b32_e32 v4, 20, v4
	v_and_b32_e32 v3, 0x80000000, v3
	v_lshl_add_u32 v5, v6, 23, v5
	v_or3_b32 v3, v3, v5, v4
	v_trunc_f32_e32 v3, v3
	s_mov_b32 s8, 0x2f800000
	v_mul_f32_e64 v4, |v3|, s8
	v_floor_f32_e32 v4, v4
	s_mov_b32 s8, 0xcf800000
	v_fma_f32 v4, v4, s8, |v3|
	v_cvt_u32_f32_e32 v4, v4
	v_ashrrev_i32_e32 v3, 31, v3
	v_xor_b32_e32 v4, v4, v3
	v_sub_u32_e32 v3, v4, v3
.LBB15_446:
	s_or_b64 exec, exec, s[0:1]
.LBB15_447:
	s_mov_b64 s[0:1], -1
.LBB15_448:
	s_mov_b64 s[8:9], 0
.LBB15_449:
	s_and_b64 vcc, exec, s[8:9]
	s_cbranch_vccz .LBB15_482
; %bb.450:
	s_cmp_gt_i32 s10, 22
	s_cbranch_scc0 .LBB15_458
; %bb.451:
	s_cmp_lt_i32 s10, 24
	s_cbranch_scc1 .LBB15_461
; %bb.452:
	s_cmp_gt_i32 s10, 24
	s_cbranch_scc0 .LBB15_462
; %bb.453:
	global_load_ubyte v4, v[1:2], off
	s_movk_i32 s0, 0x7f
	s_mov_b64 s[8:9], 0
	s_waitcnt vmcnt(0)
	v_cmp_lt_i16_e32 vcc, s0, v4
	s_and_saveexec_b64 s[0:1], vcc
	s_xor_b64 s[0:1], exec, s[0:1]
	s_cbranch_execz .LBB15_474
; %bb.454:
	s_movk_i32 s8, 0x80
	v_cmp_ne_u16_e32 vcc, s8, v4
	s_and_b64 s[8:9], vcc, exec
	s_andn2_saveexec_b64 s[0:1], s[0:1]
	s_cbranch_execnz .LBB15_475
.LBB15_455:
	s_or_b64 exec, exec, s[0:1]
	v_mov_b32_e32 v3, 0
	s_and_saveexec_b64 s[0:1], s[8:9]
	s_cbranch_execz .LBB15_457
.LBB15_456:
	v_lshlrev_b32_e32 v3, 24, v4
	v_and_b32_e32 v4, 0xffff, v4
	v_and_b32_e32 v5, 3, v4
	v_ffbh_u32_e32 v7, v5
	v_min_u32_e32 v7, 32, v7
	v_subrev_u32_e32 v8, 29, v7
	v_bfe_u32 v6, v4, 2, 5
	v_lshlrev_b32_e32 v4, v8, v4
	v_sub_u32_e32 v7, 30, v7
	v_and_b32_e32 v4, 3, v4
	v_cmp_eq_u32_e32 vcc, 0, v6
	v_cndmask_b32_e32 v6, v6, v7, vcc
	v_cndmask_b32_e32 v4, v5, v4, vcc
	v_mov_b32_e32 v5, 0x37800000
	v_lshlrev_b32_e32 v4, 21, v4
	v_and_b32_e32 v3, 0x80000000, v3
	v_lshl_add_u32 v5, v6, 23, v5
	v_or3_b32 v3, v3, v5, v4
	v_trunc_f32_e32 v3, v3
	s_mov_b32 s8, 0x2f800000
	v_mul_f32_e64 v4, |v3|, s8
	v_floor_f32_e32 v4, v4
	s_mov_b32 s8, 0xcf800000
	v_fma_f32 v4, v4, s8, |v3|
	v_cvt_u32_f32_e32 v4, v4
	v_ashrrev_i32_e32 v3, 31, v3
	v_xor_b32_e32 v4, v4, v3
	v_sub_u32_e32 v3, v4, v3
.LBB15_457:
	s_or_b64 exec, exec, s[0:1]
	s_mov_b64 s[0:1], 0
	s_branch .LBB15_463
.LBB15_458:
	s_mov_b64 s[8:9], -1
                                        ; implicit-def: $vgpr3
	s_branch .LBB15_469
.LBB15_459:
	s_andn2_saveexec_b64 s[0:1], s[0:1]
	s_cbranch_execz .LBB15_444
.LBB15_460:
	v_cmp_ne_u16_e32 vcc, 0, v4
	s_andn2_b64 s[8:9], s[8:9], exec
	s_and_b64 s[12:13], vcc, exec
	s_or_b64 s[8:9], s[8:9], s[12:13]
	s_or_b64 exec, exec, s[0:1]
	v_mov_b32_e32 v3, 0
	s_and_saveexec_b64 s[0:1], s[8:9]
	s_cbranch_execnz .LBB15_445
	s_branch .LBB15_446
.LBB15_461:
	s_mov_b64 s[0:1], -1
                                        ; implicit-def: $vgpr3
	s_branch .LBB15_466
.LBB15_462:
	s_mov_b64 s[0:1], -1
                                        ; implicit-def: $vgpr3
.LBB15_463:
	s_and_b64 vcc, exec, s[0:1]
	s_cbranch_vccz .LBB15_465
; %bb.464:
	global_load_ubyte v3, v[1:2], off
	s_mov_b32 s0, 0x7f800000
	s_brev_b32 s1, 1
	s_mov_b32 s8, 0x2f800000
	s_waitcnt vmcnt(0)
	v_lshlrev_b32_e32 v3, 24, v3
	v_and_b32_e32 v4, 0x7f000000, v3
	v_ffbh_u32_e32 v5, v4
	v_min_u32_e32 v5, 32, v5
	v_sub_u32_e64 v5, v5, 4 clamp
	v_lshlrev_b32_e32 v7, v5, v4
	v_lshlrev_b32_e32 v5, 23, v5
	v_lshrrev_b32_e32 v7, 4, v7
	v_add_u32_e32 v6, 0x1000000, v4
	v_sub_u32_e32 v5, v7, v5
	v_ashrrev_i32_e32 v6, 8, v6
	v_add_u32_e32 v5, 0x3c000000, v5
	v_and_or_b32 v5, v6, s0, v5
	v_cmp_ne_u32_e32 vcc, 0, v4
	v_cndmask_b32_e32 v4, 0, v5, vcc
	v_and_or_b32 v3, v3, s1, v4
	v_trunc_f32_e32 v3, v3
	v_mul_f32_e64 v4, |v3|, s8
	v_floor_f32_e32 v4, v4
	s_mov_b32 s0, 0xcf800000
	v_fma_f32 v4, v4, s0, |v3|
	v_cvt_u32_f32_e32 v4, v4
	v_ashrrev_i32_e32 v3, 31, v3
	v_xor_b32_e32 v4, v4, v3
	v_sub_u32_e32 v3, v4, v3
.LBB15_465:
	s_mov_b64 s[0:1], 0
.LBB15_466:
	s_andn2_b64 vcc, exec, s[0:1]
	s_cbranch_vccnz .LBB15_468
; %bb.467:
	global_load_ubyte v3, v[1:2], off
	s_movk_i32 s0, 0x7f00
	s_brev_b32 s1, 16
	s_brev_b32 s8, 1
	s_mov_b32 s9, 0x2f800000
	s_waitcnt vmcnt(0)
	v_lshlrev_b16_e32 v4, 8, v3
	v_lshlrev_b32_e32 v3, 25, v3
	v_lshrrev_b32_e32 v5, 4, v3
	v_and_or_b32 v6, v4, s0, 0.5
	v_or_b32_e32 v5, 0x70000000, v5
	v_add_f32_e32 v6, -0.5, v6
	v_mul_f32_e32 v5, 0x7800000, v5
	v_cmp_gt_u32_e32 vcc, s1, v3
	v_bfe_i32 v4, v4, 0, 16
	v_cndmask_b32_e32 v3, v5, v6, vcc
	v_and_or_b32 v3, v4, s8, v3
	v_trunc_f32_e32 v3, v3
	v_mul_f32_e64 v4, |v3|, s9
	v_floor_f32_e32 v4, v4
	s_mov_b32 s0, 0xcf800000
	v_fma_f32 v4, v4, s0, |v3|
	v_cvt_u32_f32_e32 v4, v4
	v_ashrrev_i32_e32 v3, 31, v3
	v_xor_b32_e32 v4, v4, v3
	v_sub_u32_e32 v3, v4, v3
.LBB15_468:
	s_mov_b64 s[8:9], 0
	s_mov_b64 s[0:1], -1
.LBB15_469:
	s_andn2_b64 vcc, exec, s[8:9]
	s_cbranch_vccnz .LBB15_482
; %bb.470:
	s_cmp_gt_i32 s10, 14
	s_cbranch_scc0 .LBB15_473
; %bb.471:
	s_cmp_eq_u32 s10, 15
	s_cbranch_scc0 .LBB15_476
; %bb.472:
	global_load_ushort v3, v[1:2], off
	s_mov_b32 s0, 0x2f800000
	s_mov_b32 s1, 0xcf800000
	s_mov_b64 s[2:3], 0
	s_waitcnt vmcnt(0)
	v_lshlrev_b32_e32 v3, 16, v3
	v_trunc_f32_e32 v3, v3
	v_mul_f32_e64 v4, |v3|, s0
	v_floor_f32_e32 v4, v4
	v_fma_f32 v4, v4, s1, |v3|
	v_cvt_u32_f32_e32 v4, v4
	v_ashrrev_i32_e32 v3, 31, v3
	s_mov_b64 s[0:1], -1
	v_xor_b32_e32 v4, v4, v3
	v_sub_u32_e32 v3, v4, v3
	s_branch .LBB15_477
.LBB15_473:
	s_mov_b64 s[8:9], -1
                                        ; implicit-def: $vgpr3
	s_branch .LBB15_478
.LBB15_474:
	s_andn2_saveexec_b64 s[0:1], s[0:1]
	s_cbranch_execz .LBB15_455
.LBB15_475:
	v_cmp_ne_u16_e32 vcc, 0, v4
	s_andn2_b64 s[8:9], s[8:9], exec
	s_and_b64 s[12:13], vcc, exec
	s_or_b64 s[8:9], s[8:9], s[12:13]
	s_or_b64 exec, exec, s[0:1]
	v_mov_b32_e32 v3, 0
	s_and_saveexec_b64 s[0:1], s[8:9]
	s_cbranch_execnz .LBB15_456
	s_branch .LBB15_457
.LBB15_476:
	s_mov_b64 s[2:3], -1
                                        ; implicit-def: $vgpr3
.LBB15_477:
	s_mov_b64 s[8:9], 0
.LBB15_478:
	s_and_b64 vcc, exec, s[8:9]
	s_cbranch_vccz .LBB15_482
; %bb.479:
	s_cmp_eq_u32 s10, 11
	s_cbranch_scc0 .LBB15_481
; %bb.480:
	global_load_ubyte v3, v[1:2], off
	s_mov_b64 s[0:1], -1
	s_mov_b64 s[2:3], 0
	s_waitcnt vmcnt(0)
	v_cmp_ne_u16_e32 vcc, 0, v3
	v_cndmask_b32_e64 v3, 0, 1, vcc
	s_branch .LBB15_482
.LBB15_481:
	s_mov_b64 s[2:3], -1
                                        ; implicit-def: $vgpr3
.LBB15_482:
	s_branch .LBB15_289
.LBB15_483:
	s_cmp_lt_i32 s10, 5
	s_cbranch_scc1 .LBB15_488
; %bb.484:
	s_cmp_lt_i32 s10, 8
	s_cbranch_scc1 .LBB15_489
; %bb.485:
	;; [unrolled: 3-line block ×3, first 2 shown]
	s_cmp_gt_i32 s10, 9
	s_cbranch_scc0 .LBB15_491
; %bb.487:
	global_load_dwordx2 v[3:4], v[1:2], off
	s_movk_i32 s0, 0xffe0
	s_waitcnt vmcnt(0)
	v_trunc_f64_e32 v[3:4], v[3:4]
	v_ldexp_f64 v[5:6], v[3:4], s0
	s_mov_b32 s0, 0
	s_mov_b32 s1, 0xc1f00000
	v_floor_f64_e32 v[5:6], v[5:6]
	v_fma_f64 v[3:4], v[5:6], s[0:1], v[3:4]
	s_mov_b64 s[0:1], 0
	v_cvt_u32_f64_e32 v3, v[3:4]
	s_branch .LBB15_492
.LBB15_488:
	s_mov_b64 s[0:1], -1
                                        ; implicit-def: $vgpr3
	s_branch .LBB15_510
.LBB15_489:
	s_mov_b64 s[0:1], -1
                                        ; implicit-def: $vgpr3
	s_branch .LBB15_498
.LBB15_490:
	s_mov_b64 s[0:1], -1
                                        ; implicit-def: $vgpr3
	s_branch .LBB15_495
.LBB15_491:
	s_mov_b64 s[0:1], -1
                                        ; implicit-def: $vgpr3
.LBB15_492:
	s_andn2_b64 vcc, exec, s[0:1]
	s_cbranch_vccnz .LBB15_494
; %bb.493:
	global_load_dword v3, v[1:2], off
	s_mov_b32 s0, 0x2f800000
	s_waitcnt vmcnt(0)
	v_trunc_f32_e32 v3, v3
	v_mul_f32_e64 v4, |v3|, s0
	v_floor_f32_e32 v4, v4
	s_mov_b32 s0, 0xcf800000
	v_fma_f32 v4, v4, s0, |v3|
	v_cvt_u32_f32_e32 v4, v4
	v_ashrrev_i32_e32 v3, 31, v3
	v_xor_b32_e32 v4, v4, v3
	v_sub_u32_e32 v3, v4, v3
.LBB15_494:
	s_mov_b64 s[0:1], 0
.LBB15_495:
	s_andn2_b64 vcc, exec, s[0:1]
	s_cbranch_vccnz .LBB15_497
; %bb.496:
	global_load_dword v3, v[1:2], off
	s_waitcnt vmcnt(0)
	v_cvt_f32_f16_e32 v3, v3
	v_cvt_i32_f32_e32 v3, v3
.LBB15_497:
	s_mov_b64 s[0:1], 0
.LBB15_498:
	s_andn2_b64 vcc, exec, s[0:1]
	s_cbranch_vccnz .LBB15_509
; %bb.499:
	s_cmp_lt_i32 s10, 6
	s_cbranch_scc1 .LBB15_502
; %bb.500:
	s_cmp_gt_i32 s10, 6
	s_cbranch_scc0 .LBB15_503
; %bb.501:
	global_load_dwordx2 v[3:4], v[1:2], off
	s_movk_i32 s0, 0xffe0
	s_waitcnt vmcnt(0)
	v_trunc_f64_e32 v[3:4], v[3:4]
	v_ldexp_f64 v[5:6], v[3:4], s0
	s_mov_b32 s0, 0
	s_mov_b32 s1, 0xc1f00000
	v_floor_f64_e32 v[5:6], v[5:6]
	v_fma_f64 v[3:4], v[5:6], s[0:1], v[3:4]
	s_mov_b64 s[0:1], 0
	v_cvt_u32_f64_e32 v3, v[3:4]
	s_branch .LBB15_504
.LBB15_502:
	s_mov_b64 s[0:1], -1
                                        ; implicit-def: $vgpr3
	s_branch .LBB15_507
.LBB15_503:
	s_mov_b64 s[0:1], -1
                                        ; implicit-def: $vgpr3
.LBB15_504:
	s_andn2_b64 vcc, exec, s[0:1]
	s_cbranch_vccnz .LBB15_506
; %bb.505:
	global_load_dword v3, v[1:2], off
	s_mov_b32 s0, 0x2f800000
	s_waitcnt vmcnt(0)
	v_trunc_f32_e32 v3, v3
	v_mul_f32_e64 v4, |v3|, s0
	v_floor_f32_e32 v4, v4
	s_mov_b32 s0, 0xcf800000
	v_fma_f32 v4, v4, s0, |v3|
	v_cvt_u32_f32_e32 v4, v4
	v_ashrrev_i32_e32 v3, 31, v3
	v_xor_b32_e32 v4, v4, v3
	v_sub_u32_e32 v3, v4, v3
.LBB15_506:
	s_mov_b64 s[0:1], 0
.LBB15_507:
	s_andn2_b64 vcc, exec, s[0:1]
	s_cbranch_vccnz .LBB15_509
; %bb.508:
	global_load_ushort v3, v[1:2], off
	s_waitcnt vmcnt(0)
	v_cvt_f32_f16_e32 v3, v3
	v_cvt_i32_f32_e32 v3, v3
.LBB15_509:
	s_mov_b64 s[0:1], 0
.LBB15_510:
	s_andn2_b64 vcc, exec, s[0:1]
	s_cbranch_vccnz .LBB15_530
; %bb.511:
	s_cmp_lt_i32 s10, 2
	s_cbranch_scc1 .LBB15_515
; %bb.512:
	s_cmp_lt_i32 s10, 3
	s_cbranch_scc1 .LBB15_516
; %bb.513:
	s_cmp_gt_i32 s10, 3
	s_cbranch_scc0 .LBB15_517
; %bb.514:
	global_load_dwordx2 v[3:4], v[1:2], off
	s_mov_b64 s[0:1], 0
	s_branch .LBB15_518
.LBB15_515:
	s_mov_b64 s[0:1], -1
                                        ; implicit-def: $vgpr3
	s_branch .LBB15_524
.LBB15_516:
	s_mov_b64 s[0:1], -1
                                        ; implicit-def: $vgpr3
	s_branch .LBB15_521
.LBB15_517:
	s_mov_b64 s[0:1], -1
                                        ; implicit-def: $vgpr3
.LBB15_518:
	s_andn2_b64 vcc, exec, s[0:1]
	s_cbranch_vccnz .LBB15_520
; %bb.519:
	global_load_dword v3, v[1:2], off
.LBB15_520:
	s_mov_b64 s[0:1], 0
.LBB15_521:
	s_andn2_b64 vcc, exec, s[0:1]
	s_cbranch_vccnz .LBB15_523
; %bb.522:
	global_load_ushort v3, v[1:2], off
.LBB15_523:
	s_mov_b64 s[0:1], 0
.LBB15_524:
	s_andn2_b64 vcc, exec, s[0:1]
	s_cbranch_vccnz .LBB15_530
; %bb.525:
	s_cmp_gt_i32 s10, 0
	s_cbranch_scc0 .LBB15_527
; %bb.526:
	global_load_ubyte v3, v[1:2], off
	s_mov_b64 s[0:1], 0
	s_branch .LBB15_528
.LBB15_527:
	s_mov_b64 s[0:1], -1
                                        ; implicit-def: $vgpr3
.LBB15_528:
	s_andn2_b64 vcc, exec, s[0:1]
	s_cbranch_vccnz .LBB15_530
; %bb.529:
	global_load_ubyte v3, v[1:2], off
.LBB15_530:
	s_branch .LBB15_290
.LBB15_531:
	s_mov_b64 s[8:9], 0
	s_mov_b64 s[0:1], s[56:57]
.LBB15_532:
                                        ; implicit-def: $vgpr11
.LBB15_533:
	s_andn2_b64 s[10:11], s[56:57], exec
	s_and_b64 s[0:1], s[0:1], exec
	s_or_b64 s[64:65], s[10:11], s[0:1]
	s_andn2_b64 s[0:1], s[58:59], exec
	s_and_b64 s[2:3], s[2:3], exec
	s_or_b64 s[62:63], s[0:1], s[2:3]
	s_orn2_b64 s[0:1], s[8:9], exec
.LBB15_534:
	s_or_b64 exec, exec, s[66:67]
	s_mov_b64 s[2:3], 0
	s_mov_b64 s[8:9], 0
	;; [unrolled: 1-line block ×3, first 2 shown]
                                        ; implicit-def: $vgpr1_vgpr2
                                        ; implicit-def: $vgpr0
                                        ; implicit-def: $vgpr3
	s_and_saveexec_b64 s[66:67], s[0:1]
	s_cbranch_execz .LBB15_901
; %bb.535:
	v_cmp_gt_i32_e32 vcc, s74, v11
	s_mov_b64 s[2:3], -1
	s_mov_b64 s[70:71], s[62:63]
	s_mov_b64 s[72:73], s[64:65]
	s_and_saveexec_b64 s[68:69], vcc
	s_cbranch_execz .LBB15_805
; %bb.536:
	s_andn2_b64 vcc, exec, s[40:41]
	s_cbranch_vccnz .LBB15_541
; %bb.537:
	s_andn2_b64 vcc, exec, s[54:55]
	s_cbranch_vccnz .LBB15_542
; %bb.538:
	s_add_i32 s75, s79, 1
	s_cmp_eq_u32 s76, 2
	s_cbranch_scc1 .LBB15_543
; %bb.539:
	s_and_b32 s44, s75, 28
	v_mov_b32_e32 v2, 0
	s_mov_b32 s80, 0
	s_mov_b64 s[70:71], s[34:35]
	s_mov_b64 s[72:73], s[52:53]
	v_mov_b32_e32 v0, 0
	v_mov_b32_e32 v1, v11
.LBB15_540:                             ; =>This Inner Loop Header: Depth=1
	s_load_dwordx8 s[16:23], s[70:71], 0x4
	s_load_dwordx4 s[0:3], s[70:71], 0x24
	s_load_dwordx8 s[8:15], s[72:73], 0x0
	s_add_u32 s70, s70, 48
	s_addc_u32 s71, s71, 0
	s_waitcnt vmcnt(0) lgkmcnt(0)
	v_mul_hi_u32 v3, s17, v1
	s_add_i32 s80, s80, 4
	s_add_u32 s72, s72, 32
	s_addc_u32 s73, s73, 0
	v_add_u32_e32 v3, v1, v3
	v_lshrrev_b32_e32 v3, s18, v3
	v_mul_lo_u32 v4, v3, s16
	v_mul_hi_u32 v5, s20, v3
	s_cmp_eq_u32 s44, s80
	v_sub_u32_e32 v1, v1, v4
	v_add_u32_e32 v4, v3, v5
	v_mul_lo_u32 v5, v1, s8
	v_mul_lo_u32 v6, v1, s9
	v_lshrrev_b32_e32 v1, s21, v4
	v_mul_lo_u32 v4, v1, s19
	v_mul_hi_u32 v7, s23, v1
	v_sub_u32_e32 v3, v3, v4
	v_add_u32_e32 v4, v1, v7
	v_lshrrev_b32_e32 v4, s0, v4
	v_mul_hi_u32 v8, s2, v4
	v_mul_lo_u32 v9, v4, s22
	v_mul_lo_u32 v7, v3, s10
	;; [unrolled: 1-line block ×3, first 2 shown]
	v_sub_u32_e32 v9, v1, v9
	v_add_u32_e32 v1, v4, v8
	v_lshrrev_b32_e32 v1, s3, v1
	v_mul_lo_u32 v8, v1, s1
	v_mul_lo_u32 v10, v9, s12
	;; [unrolled: 1-line block ×3, first 2 shown]
	v_add3_u32 v0, v5, v0, v7
	v_sub_u32_e32 v4, v4, v8
	v_mul_lo_u32 v8, v4, s14
	v_mul_lo_u32 v4, v4, s15
	v_add3_u32 v2, v6, v2, v3
	v_add3_u32 v0, v10, v0, v8
	;; [unrolled: 1-line block ×3, first 2 shown]
	s_cbranch_scc0 .LBB15_540
	s_branch .LBB15_544
.LBB15_541:
	s_mov_b64 s[0:1], -1
                                        ; implicit-def: $vgpr0
                                        ; implicit-def: $vgpr2
	s_branch .LBB15_548
.LBB15_542:
	v_mov_b32_e32 v0, 0
	v_mov_b32_e32 v2, 0
	s_branch .LBB15_547
.LBB15_543:
	s_mov_b32 s44, 0
	v_mov_b32_e32 v0, 0
	v_mov_b32_e32 v2, 0
	;; [unrolled: 1-line block ×3, first 2 shown]
.LBB15_544:
	s_and_b32 s8, s75, 3
	s_cmp_eq_u32 s8, 0
	s_cbranch_scc1 .LBB15_547
; %bb.545:
	s_lshl_b32 s0, s44, 3
	s_add_u32 s0, s34, s0
	s_addc_u32 s1, s35, 0
	s_add_u32 s0, s0, 0xc4
	s_addc_u32 s1, s1, 0
	s_mul_i32 s2, s44, 12
	s_add_u32 s2, s34, s2
	s_addc_u32 s3, s35, 0
.LBB15_546:                             ; =>This Inner Loop Header: Depth=1
	s_load_dwordx2 s[10:11], s[2:3], 0x4
	s_load_dword s9, s[2:3], 0xc
	s_load_dwordx2 s[12:13], s[0:1], 0x0
	s_add_u32 s2, s2, 12
	s_addc_u32 s3, s3, 0
	s_waitcnt vmcnt(0) lgkmcnt(0)
	v_mul_hi_u32 v3, s11, v1
	s_add_u32 s0, s0, 8
	s_addc_u32 s1, s1, 0
	s_add_i32 s8, s8, -1
	v_add_u32_e32 v3, v1, v3
	v_lshrrev_b32_e32 v4, s9, v3
	v_mul_lo_u32 v3, v4, s10
	s_cmp_lg_u32 s8, 0
	v_sub_u32_e32 v3, v1, v3
	v_mad_u64_u32 v[0:1], s[10:11], v3, s12, v[0:1]
	v_mad_u64_u32 v[2:3], s[10:11], v3, s13, v[2:3]
	v_mov_b32_e32 v1, v4
	s_cbranch_scc1 .LBB15_546
.LBB15_547:
	s_mov_b64 s[0:1], 0
.LBB15_548:
	s_andn2_b64 vcc, exec, s[0:1]
	s_cbranch_vccnz .LBB15_551
; %bb.549:
	v_mul_hi_u32 v0, s29, v11
	s_andn2_b64 vcc, exec, s[50:51]
	v_add_u32_e32 v0, v11, v0
	v_lshrrev_b32_e32 v1, s30, v0
	v_mul_lo_u32 v0, v1, s28
	v_sub_u32_e32 v2, v11, v0
	v_mul_lo_u32 v0, v2, s36
	v_mul_lo_u32 v2, v2, s37
	s_cbranch_vccnz .LBB15_551
; %bb.550:
	s_waitcnt vmcnt(0)
	v_mul_hi_u32 v3, s48, v1
	v_add_u32_e32 v3, v1, v3
	v_lshrrev_b32_e32 v3, s49, v3
	v_mul_lo_u32 v3, v3, s31
	v_sub_u32_e32 v3, v1, v3
	v_mad_u64_u32 v[0:1], s[0:1], v3, s38, v[0:1]
	v_mad_u64_u32 v[2:3], s[0:1], v3, s39, v[2:3]
.LBB15_551:
	s_waitcnt vmcnt(0)
	v_mov_b32_e32 v3, s27
	s_and_b32 s10, 0xffff, s78
	v_add_co_u32_e32 v1, vcc, s26, v2
	s_cmp_lt_i32 s10, 11
	v_addc_co_u32_e32 v2, vcc, 0, v3, vcc
	s_cbranch_scc1 .LBB15_558
; %bb.552:
	s_cmp_gt_i32 s10, 25
	s_cbranch_scc0 .LBB15_559
; %bb.553:
	s_cmp_gt_i32 s10, 28
	s_cbranch_scc0 .LBB15_560
	;; [unrolled: 3-line block ×4, first 2 shown]
; %bb.556:
	s_cmp_eq_u32 s10, 46
	s_mov_b64 s[8:9], 0
	s_cbranch_scc0 .LBB15_567
; %bb.557:
	global_load_dword v3, v[1:2], off
	s_mov_b32 s0, 0x2f800000
	s_mov_b32 s1, 0xcf800000
	s_mov_b64 s[2:3], 0
	s_waitcnt vmcnt(0)
	v_lshlrev_b32_e32 v3, 16, v3
	v_trunc_f32_e32 v3, v3
	v_mul_f32_e64 v4, |v3|, s0
	v_floor_f32_e32 v4, v4
	v_fma_f32 v4, v4, s1, |v3|
	v_cvt_u32_f32_e32 v4, v4
	v_ashrrev_i32_e32 v3, 31, v3
	s_mov_b64 s[0:1], -1
	v_xor_b32_e32 v4, v4, v3
	v_sub_u32_e32 v3, v4, v3
	s_branch .LBB15_568
.LBB15_558:
	s_mov_b64 s[8:9], -1
	s_mov_b64 s[0:1], 0
                                        ; implicit-def: $vgpr3
	s_mov_b64 s[2:3], s[62:63]
	s_branch .LBB15_629
.LBB15_559:
	s_mov_b64 s[8:9], -1
	s_mov_b64 s[0:1], 0
	s_mov_b64 s[2:3], s[62:63]
                                        ; implicit-def: $vgpr3
	s_branch .LBB15_595
.LBB15_560:
	s_mov_b64 s[8:9], -1
	s_mov_b64 s[0:1], 0
	s_mov_b64 s[2:3], s[62:63]
                                        ; implicit-def: $vgpr3
	s_branch .LBB15_578
.LBB15_561:
	s_mov_b64 s[8:9], -1
	s_mov_b64 s[0:1], 0
	s_mov_b64 s[2:3], s[62:63]
                                        ; implicit-def: $vgpr3
	s_branch .LBB15_573
.LBB15_562:
	s_andn2_saveexec_b64 s[14:15], s[14:15]
	s_cbranch_execz .LBB15_335
.LBB15_563:
	v_add_f32_e32 v2, 0x46000000, v3
	v_and_b32_e32 v2, 0xff, v2
	v_cmp_ne_u32_e32 vcc, 0, v2
	s_andn2_b64 s[12:13], s[12:13], exec
	s_and_b64 s[18:19], vcc, exec
	s_or_b64 s[12:13], s[12:13], s[18:19]
	s_or_b64 exec, exec, s[14:15]
	v_mov_b32_e32 v4, 0
	s_and_saveexec_b64 s[14:15], s[12:13]
	s_cbranch_execnz .LBB15_336
	s_branch .LBB15_337
.LBB15_564:
	s_mov_b64 s[8:9], -1
	s_mov_b64 s[0:1], 0
	s_mov_b64 s[2:3], s[62:63]
                                        ; implicit-def: $vgpr3
	s_branch .LBB15_568
.LBB15_565:
	s_andn2_saveexec_b64 s[14:15], s[14:15]
	s_cbranch_execz .LBB15_348
.LBB15_566:
	v_add_f32_e32 v2, 0x42800000, v3
	v_and_b32_e32 v2, 0xff, v2
	v_cmp_ne_u32_e32 vcc, 0, v2
	s_andn2_b64 s[12:13], s[12:13], exec
	s_and_b64 s[18:19], vcc, exec
	s_or_b64 s[12:13], s[12:13], s[18:19]
	s_or_b64 exec, exec, s[14:15]
	v_mov_b32_e32 v4, 0
	s_and_saveexec_b64 s[14:15], s[12:13]
	s_cbranch_execnz .LBB15_349
	s_branch .LBB15_350
.LBB15_567:
	s_mov_b64 s[2:3], -1
                                        ; implicit-def: $vgpr3
	s_mov_b64 s[0:1], 0
.LBB15_568:
	s_and_b64 vcc, exec, s[8:9]
	s_cbranch_vccz .LBB15_572
; %bb.569:
	s_cmp_eq_u32 s10, 44
	s_cbranch_scc0 .LBB15_571
; %bb.570:
	global_load_ubyte v3, v[1:2], off
	s_mov_b32 s0, 0x2f800000
	s_mov_b32 s1, 0xcf800000
	s_mov_b64 s[2:3], 0
	s_waitcnt vmcnt(0)
	v_lshlrev_b32_e32 v4, 23, v3
	v_trunc_f32_e32 v4, v4
	v_mul_f32_e64 v5, |v4|, s0
	v_floor_f32_e32 v5, v5
	v_fma_f32 v5, v5, s1, |v4|
	v_cvt_u32_f32_e32 v5, v5
	v_ashrrev_i32_e32 v4, 31, v4
	v_cmp_ne_u32_e32 vcc, 0, v3
	s_mov_b64 s[0:1], -1
	v_xor_b32_e32 v5, v5, v4
	v_sub_u32_e32 v4, v5, v4
	v_cndmask_b32_e32 v3, 0, v4, vcc
	s_branch .LBB15_572
.LBB15_571:
	s_mov_b64 s[2:3], -1
                                        ; implicit-def: $vgpr3
.LBB15_572:
	s_mov_b64 s[8:9], 0
.LBB15_573:
	s_and_b64 vcc, exec, s[8:9]
	s_cbranch_vccz .LBB15_577
; %bb.574:
	s_cmp_eq_u32 s10, 29
	s_cbranch_scc0 .LBB15_576
; %bb.575:
	global_load_dwordx2 v[3:4], v[1:2], off
	s_mov_b64 s[0:1], -1
	s_mov_b64 s[2:3], 0
	s_branch .LBB15_577
.LBB15_576:
	s_mov_b64 s[2:3], -1
                                        ; implicit-def: $vgpr3
.LBB15_577:
	s_mov_b64 s[8:9], 0
.LBB15_578:
	s_and_b64 vcc, exec, s[8:9]
	s_cbranch_vccz .LBB15_594
; %bb.579:
	s_cmp_lt_i32 s10, 27
	s_cbranch_scc1 .LBB15_582
; %bb.580:
	s_cmp_gt_i32 s10, 27
	s_cbranch_scc0 .LBB15_583
; %bb.581:
	global_load_dword v3, v[1:2], off
	s_mov_b64 s[0:1], 0
	s_branch .LBB15_584
.LBB15_582:
	s_mov_b64 s[0:1], -1
                                        ; implicit-def: $vgpr3
	s_branch .LBB15_587
.LBB15_583:
	s_mov_b64 s[0:1], -1
                                        ; implicit-def: $vgpr3
.LBB15_584:
	s_andn2_b64 vcc, exec, s[0:1]
	s_cbranch_vccnz .LBB15_586
; %bb.585:
	global_load_ushort v3, v[1:2], off
.LBB15_586:
	s_mov_b64 s[0:1], 0
.LBB15_587:
	s_andn2_b64 vcc, exec, s[0:1]
	s_cbranch_vccnz .LBB15_593
; %bb.588:
	global_load_ubyte v4, v[1:2], off
	s_movk_i32 s0, 0x7f
	s_mov_b64 s[8:9], 0
	s_waitcnt vmcnt(0)
	v_cmp_lt_i16_e32 vcc, s0, v4
	s_and_saveexec_b64 s[0:1], vcc
	s_xor_b64 s[0:1], exec, s[0:1]
	s_cbranch_execz .LBB15_605
; %bb.589:
	s_movk_i32 s8, 0x80
	v_cmp_ne_u16_e32 vcc, s8, v4
	s_and_b64 s[8:9], vcc, exec
	s_andn2_saveexec_b64 s[0:1], s[0:1]
	s_cbranch_execnz .LBB15_606
.LBB15_590:
	s_or_b64 exec, exec, s[0:1]
	v_mov_b32_e32 v3, 0
	s_and_saveexec_b64 s[0:1], s[8:9]
	s_cbranch_execz .LBB15_592
.LBB15_591:
	v_lshlrev_b32_e32 v3, 24, v4
	v_and_b32_e32 v4, 0xffff, v4
	v_and_b32_e32 v5, 7, v4
	v_ffbh_u32_e32 v7, v5
	v_min_u32_e32 v7, 32, v7
	v_subrev_u32_e32 v8, 28, v7
	v_bfe_u32 v6, v4, 3, 4
	v_lshlrev_b32_e32 v4, v8, v4
	v_sub_u32_e32 v7, 29, v7
	v_and_b32_e32 v4, 7, v4
	v_cmp_eq_u32_e32 vcc, 0, v6
	v_cndmask_b32_e32 v6, v6, v7, vcc
	v_cndmask_b32_e32 v4, v5, v4, vcc
	v_mov_b32_e32 v5, 0x3b800000
	v_lshlrev_b32_e32 v4, 20, v4
	v_and_b32_e32 v3, 0x80000000, v3
	v_lshl_add_u32 v5, v6, 23, v5
	v_or3_b32 v3, v3, v5, v4
	v_trunc_f32_e32 v3, v3
	s_mov_b32 s8, 0x2f800000
	v_mul_f32_e64 v4, |v3|, s8
	v_floor_f32_e32 v4, v4
	s_mov_b32 s8, 0xcf800000
	v_fma_f32 v4, v4, s8, |v3|
	v_cvt_u32_f32_e32 v4, v4
	v_ashrrev_i32_e32 v3, 31, v3
	v_xor_b32_e32 v4, v4, v3
	v_sub_u32_e32 v3, v4, v3
.LBB15_592:
	s_or_b64 exec, exec, s[0:1]
.LBB15_593:
	s_mov_b64 s[0:1], -1
.LBB15_594:
	s_mov_b64 s[8:9], 0
.LBB15_595:
	s_and_b64 vcc, exec, s[8:9]
	s_cbranch_vccz .LBB15_628
; %bb.596:
	s_cmp_gt_i32 s10, 22
	s_cbranch_scc0 .LBB15_604
; %bb.597:
	s_cmp_lt_i32 s10, 24
	s_cbranch_scc1 .LBB15_607
; %bb.598:
	s_cmp_gt_i32 s10, 24
	s_cbranch_scc0 .LBB15_608
; %bb.599:
	global_load_ubyte v4, v[1:2], off
	s_movk_i32 s0, 0x7f
	s_mov_b64 s[8:9], 0
	s_waitcnt vmcnt(0)
	v_cmp_lt_i16_e32 vcc, s0, v4
	s_and_saveexec_b64 s[0:1], vcc
	s_xor_b64 s[0:1], exec, s[0:1]
	s_cbranch_execz .LBB15_620
; %bb.600:
	s_movk_i32 s8, 0x80
	v_cmp_ne_u16_e32 vcc, s8, v4
	s_and_b64 s[8:9], vcc, exec
	s_andn2_saveexec_b64 s[0:1], s[0:1]
	s_cbranch_execnz .LBB15_621
.LBB15_601:
	s_or_b64 exec, exec, s[0:1]
	v_mov_b32_e32 v3, 0
	s_and_saveexec_b64 s[0:1], s[8:9]
	s_cbranch_execz .LBB15_603
.LBB15_602:
	v_lshlrev_b32_e32 v3, 24, v4
	v_and_b32_e32 v4, 0xffff, v4
	v_and_b32_e32 v5, 3, v4
	v_ffbh_u32_e32 v7, v5
	v_min_u32_e32 v7, 32, v7
	v_subrev_u32_e32 v8, 29, v7
	v_bfe_u32 v6, v4, 2, 5
	v_lshlrev_b32_e32 v4, v8, v4
	v_sub_u32_e32 v7, 30, v7
	v_and_b32_e32 v4, 3, v4
	v_cmp_eq_u32_e32 vcc, 0, v6
	v_cndmask_b32_e32 v6, v6, v7, vcc
	v_cndmask_b32_e32 v4, v5, v4, vcc
	v_mov_b32_e32 v5, 0x37800000
	v_lshlrev_b32_e32 v4, 21, v4
	v_and_b32_e32 v3, 0x80000000, v3
	v_lshl_add_u32 v5, v6, 23, v5
	v_or3_b32 v3, v3, v5, v4
	v_trunc_f32_e32 v3, v3
	s_mov_b32 s8, 0x2f800000
	v_mul_f32_e64 v4, |v3|, s8
	v_floor_f32_e32 v4, v4
	s_mov_b32 s8, 0xcf800000
	v_fma_f32 v4, v4, s8, |v3|
	v_cvt_u32_f32_e32 v4, v4
	v_ashrrev_i32_e32 v3, 31, v3
	v_xor_b32_e32 v4, v4, v3
	v_sub_u32_e32 v3, v4, v3
.LBB15_603:
	s_or_b64 exec, exec, s[0:1]
	s_mov_b64 s[0:1], 0
	s_branch .LBB15_609
.LBB15_604:
	s_mov_b64 s[8:9], -1
                                        ; implicit-def: $vgpr3
	s_branch .LBB15_615
.LBB15_605:
	s_andn2_saveexec_b64 s[0:1], s[0:1]
	s_cbranch_execz .LBB15_590
.LBB15_606:
	v_cmp_ne_u16_e32 vcc, 0, v4
	s_andn2_b64 s[8:9], s[8:9], exec
	s_and_b64 s[12:13], vcc, exec
	s_or_b64 s[8:9], s[8:9], s[12:13]
	s_or_b64 exec, exec, s[0:1]
	v_mov_b32_e32 v3, 0
	s_and_saveexec_b64 s[0:1], s[8:9]
	s_cbranch_execnz .LBB15_591
	s_branch .LBB15_592
.LBB15_607:
	s_mov_b64 s[0:1], -1
                                        ; implicit-def: $vgpr3
	s_branch .LBB15_612
.LBB15_608:
	s_mov_b64 s[0:1], -1
                                        ; implicit-def: $vgpr3
.LBB15_609:
	s_and_b64 vcc, exec, s[0:1]
	s_cbranch_vccz .LBB15_611
; %bb.610:
	global_load_ubyte v3, v[1:2], off
	s_mov_b32 s0, 0x7f800000
	s_brev_b32 s1, 1
	s_mov_b32 s8, 0x2f800000
	s_waitcnt vmcnt(0)
	v_lshlrev_b32_e32 v3, 24, v3
	v_and_b32_e32 v4, 0x7f000000, v3
	v_ffbh_u32_e32 v5, v4
	v_min_u32_e32 v5, 32, v5
	v_sub_u32_e64 v5, v5, 4 clamp
	v_lshlrev_b32_e32 v7, v5, v4
	v_lshlrev_b32_e32 v5, 23, v5
	v_lshrrev_b32_e32 v7, 4, v7
	v_add_u32_e32 v6, 0x1000000, v4
	v_sub_u32_e32 v5, v7, v5
	v_ashrrev_i32_e32 v6, 8, v6
	v_add_u32_e32 v5, 0x3c000000, v5
	v_and_or_b32 v5, v6, s0, v5
	v_cmp_ne_u32_e32 vcc, 0, v4
	v_cndmask_b32_e32 v4, 0, v5, vcc
	v_and_or_b32 v3, v3, s1, v4
	v_trunc_f32_e32 v3, v3
	v_mul_f32_e64 v4, |v3|, s8
	v_floor_f32_e32 v4, v4
	s_mov_b32 s0, 0xcf800000
	v_fma_f32 v4, v4, s0, |v3|
	v_cvt_u32_f32_e32 v4, v4
	v_ashrrev_i32_e32 v3, 31, v3
	v_xor_b32_e32 v4, v4, v3
	v_sub_u32_e32 v3, v4, v3
.LBB15_611:
	s_mov_b64 s[0:1], 0
.LBB15_612:
	s_andn2_b64 vcc, exec, s[0:1]
	s_cbranch_vccnz .LBB15_614
; %bb.613:
	global_load_ubyte v3, v[1:2], off
	s_movk_i32 s0, 0x7f00
	s_brev_b32 s1, 16
	s_brev_b32 s8, 1
	s_mov_b32 s9, 0x2f800000
	s_waitcnt vmcnt(0)
	v_lshlrev_b16_e32 v4, 8, v3
	v_lshlrev_b32_e32 v3, 25, v3
	v_lshrrev_b32_e32 v5, 4, v3
	v_and_or_b32 v6, v4, s0, 0.5
	v_or_b32_e32 v5, 0x70000000, v5
	v_add_f32_e32 v6, -0.5, v6
	v_mul_f32_e32 v5, 0x7800000, v5
	v_cmp_gt_u32_e32 vcc, s1, v3
	v_bfe_i32 v4, v4, 0, 16
	v_cndmask_b32_e32 v3, v5, v6, vcc
	v_and_or_b32 v3, v4, s8, v3
	v_trunc_f32_e32 v3, v3
	v_mul_f32_e64 v4, |v3|, s9
	v_floor_f32_e32 v4, v4
	s_mov_b32 s0, 0xcf800000
	v_fma_f32 v4, v4, s0, |v3|
	v_cvt_u32_f32_e32 v4, v4
	v_ashrrev_i32_e32 v3, 31, v3
	v_xor_b32_e32 v4, v4, v3
	v_sub_u32_e32 v3, v4, v3
.LBB15_614:
	s_mov_b64 s[8:9], 0
	s_mov_b64 s[0:1], -1
.LBB15_615:
	s_andn2_b64 vcc, exec, s[8:9]
	s_cbranch_vccnz .LBB15_628
; %bb.616:
	s_cmp_gt_i32 s10, 14
	s_cbranch_scc0 .LBB15_619
; %bb.617:
	s_cmp_eq_u32 s10, 15
	s_cbranch_scc0 .LBB15_622
; %bb.618:
	global_load_ushort v3, v[1:2], off
	s_mov_b32 s0, 0x2f800000
	s_mov_b32 s1, 0xcf800000
	s_mov_b64 s[2:3], 0
	s_waitcnt vmcnt(0)
	v_lshlrev_b32_e32 v3, 16, v3
	v_trunc_f32_e32 v3, v3
	v_mul_f32_e64 v4, |v3|, s0
	v_floor_f32_e32 v4, v4
	v_fma_f32 v4, v4, s1, |v3|
	v_cvt_u32_f32_e32 v4, v4
	v_ashrrev_i32_e32 v3, 31, v3
	s_mov_b64 s[0:1], -1
	v_xor_b32_e32 v4, v4, v3
	v_sub_u32_e32 v3, v4, v3
	s_branch .LBB15_623
.LBB15_619:
	s_mov_b64 s[8:9], -1
                                        ; implicit-def: $vgpr3
	s_branch .LBB15_624
.LBB15_620:
	s_andn2_saveexec_b64 s[0:1], s[0:1]
	s_cbranch_execz .LBB15_601
.LBB15_621:
	v_cmp_ne_u16_e32 vcc, 0, v4
	s_andn2_b64 s[8:9], s[8:9], exec
	s_and_b64 s[12:13], vcc, exec
	s_or_b64 s[8:9], s[8:9], s[12:13]
	s_or_b64 exec, exec, s[0:1]
	v_mov_b32_e32 v3, 0
	s_and_saveexec_b64 s[0:1], s[8:9]
	s_cbranch_execnz .LBB15_602
	s_branch .LBB15_603
.LBB15_622:
	s_mov_b64 s[2:3], -1
                                        ; implicit-def: $vgpr3
.LBB15_623:
	s_mov_b64 s[8:9], 0
.LBB15_624:
	s_and_b64 vcc, exec, s[8:9]
	s_cbranch_vccz .LBB15_628
; %bb.625:
	s_cmp_eq_u32 s10, 11
	s_cbranch_scc0 .LBB15_627
; %bb.626:
	global_load_ubyte v3, v[1:2], off
	s_mov_b64 s[0:1], -1
	s_mov_b64 s[2:3], 0
	s_waitcnt vmcnt(0)
	v_cmp_ne_u16_e32 vcc, 0, v3
	v_cndmask_b32_e64 v3, 0, 1, vcc
	s_branch .LBB15_628
.LBB15_627:
	s_mov_b64 s[2:3], -1
                                        ; implicit-def: $vgpr3
.LBB15_628:
	s_mov_b64 s[8:9], 0
.LBB15_629:
	s_and_b64 vcc, exec, s[8:9]
	s_cbranch_vccz .LBB15_678
; %bb.630:
	s_cmp_lt_i32 s10, 5
	s_cbranch_scc1 .LBB15_635
; %bb.631:
	s_cmp_lt_i32 s10, 8
	s_cbranch_scc1 .LBB15_636
	;; [unrolled: 3-line block ×3, first 2 shown]
; %bb.633:
	s_cmp_gt_i32 s10, 9
	s_cbranch_scc0 .LBB15_638
; %bb.634:
	global_load_dwordx2 v[3:4], v[1:2], off
	s_movk_i32 s0, 0xffe0
	s_waitcnt vmcnt(0)
	v_trunc_f64_e32 v[3:4], v[3:4]
	v_ldexp_f64 v[5:6], v[3:4], s0
	s_mov_b32 s0, 0
	s_mov_b32 s1, 0xc1f00000
	v_floor_f64_e32 v[5:6], v[5:6]
	v_fma_f64 v[3:4], v[5:6], s[0:1], v[3:4]
	s_mov_b64 s[0:1], 0
	v_cvt_u32_f64_e32 v3, v[3:4]
	s_branch .LBB15_639
.LBB15_635:
	s_mov_b64 s[0:1], -1
                                        ; implicit-def: $vgpr3
	s_branch .LBB15_657
.LBB15_636:
	s_mov_b64 s[0:1], -1
                                        ; implicit-def: $vgpr3
	s_branch .LBB15_645
.LBB15_637:
	s_mov_b64 s[0:1], -1
                                        ; implicit-def: $vgpr3
	s_branch .LBB15_642
.LBB15_638:
	s_mov_b64 s[0:1], -1
                                        ; implicit-def: $vgpr3
.LBB15_639:
	s_andn2_b64 vcc, exec, s[0:1]
	s_cbranch_vccnz .LBB15_641
; %bb.640:
	global_load_dword v3, v[1:2], off
	s_mov_b32 s0, 0x2f800000
	s_waitcnt vmcnt(0)
	v_trunc_f32_e32 v3, v3
	v_mul_f32_e64 v4, |v3|, s0
	v_floor_f32_e32 v4, v4
	s_mov_b32 s0, 0xcf800000
	v_fma_f32 v4, v4, s0, |v3|
	v_cvt_u32_f32_e32 v4, v4
	v_ashrrev_i32_e32 v3, 31, v3
	v_xor_b32_e32 v4, v4, v3
	v_sub_u32_e32 v3, v4, v3
.LBB15_641:
	s_mov_b64 s[0:1], 0
.LBB15_642:
	s_andn2_b64 vcc, exec, s[0:1]
	s_cbranch_vccnz .LBB15_644
; %bb.643:
	global_load_dword v3, v[1:2], off
	s_waitcnt vmcnt(0)
	v_cvt_f32_f16_e32 v3, v3
	v_cvt_i32_f32_e32 v3, v3
.LBB15_644:
	s_mov_b64 s[0:1], 0
.LBB15_645:
	s_andn2_b64 vcc, exec, s[0:1]
	s_cbranch_vccnz .LBB15_656
; %bb.646:
	s_cmp_lt_i32 s10, 6
	s_cbranch_scc1 .LBB15_649
; %bb.647:
	s_cmp_gt_i32 s10, 6
	s_cbranch_scc0 .LBB15_650
; %bb.648:
	global_load_dwordx2 v[3:4], v[1:2], off
	s_movk_i32 s0, 0xffe0
	s_waitcnt vmcnt(0)
	v_trunc_f64_e32 v[3:4], v[3:4]
	v_ldexp_f64 v[5:6], v[3:4], s0
	s_mov_b32 s0, 0
	s_mov_b32 s1, 0xc1f00000
	v_floor_f64_e32 v[5:6], v[5:6]
	v_fma_f64 v[3:4], v[5:6], s[0:1], v[3:4]
	s_mov_b64 s[0:1], 0
	v_cvt_u32_f64_e32 v3, v[3:4]
	s_branch .LBB15_651
.LBB15_649:
	s_mov_b64 s[0:1], -1
                                        ; implicit-def: $vgpr3
	s_branch .LBB15_654
.LBB15_650:
	s_mov_b64 s[0:1], -1
                                        ; implicit-def: $vgpr3
.LBB15_651:
	s_andn2_b64 vcc, exec, s[0:1]
	s_cbranch_vccnz .LBB15_653
; %bb.652:
	global_load_dword v3, v[1:2], off
	s_mov_b32 s0, 0x2f800000
	s_waitcnt vmcnt(0)
	v_trunc_f32_e32 v3, v3
	v_mul_f32_e64 v4, |v3|, s0
	v_floor_f32_e32 v4, v4
	s_mov_b32 s0, 0xcf800000
	v_fma_f32 v4, v4, s0, |v3|
	v_cvt_u32_f32_e32 v4, v4
	v_ashrrev_i32_e32 v3, 31, v3
	v_xor_b32_e32 v4, v4, v3
	v_sub_u32_e32 v3, v4, v3
.LBB15_653:
	s_mov_b64 s[0:1], 0
.LBB15_654:
	s_andn2_b64 vcc, exec, s[0:1]
	s_cbranch_vccnz .LBB15_656
; %bb.655:
	global_load_ushort v3, v[1:2], off
	s_waitcnt vmcnt(0)
	v_cvt_f32_f16_e32 v3, v3
	v_cvt_i32_f32_e32 v3, v3
.LBB15_656:
	s_mov_b64 s[0:1], 0
.LBB15_657:
	s_andn2_b64 vcc, exec, s[0:1]
	s_cbranch_vccnz .LBB15_677
; %bb.658:
	s_cmp_lt_i32 s10, 2
	s_cbranch_scc1 .LBB15_662
; %bb.659:
	s_cmp_lt_i32 s10, 3
	s_cbranch_scc1 .LBB15_663
; %bb.660:
	s_cmp_gt_i32 s10, 3
	s_cbranch_scc0 .LBB15_664
; %bb.661:
	global_load_dwordx2 v[3:4], v[1:2], off
	s_mov_b64 s[0:1], 0
	s_branch .LBB15_665
.LBB15_662:
	s_mov_b64 s[0:1], -1
                                        ; implicit-def: $vgpr3
	s_branch .LBB15_671
.LBB15_663:
	s_mov_b64 s[0:1], -1
                                        ; implicit-def: $vgpr3
	s_branch .LBB15_668
.LBB15_664:
	s_mov_b64 s[0:1], -1
                                        ; implicit-def: $vgpr3
.LBB15_665:
	s_andn2_b64 vcc, exec, s[0:1]
	s_cbranch_vccnz .LBB15_667
; %bb.666:
	global_load_dword v3, v[1:2], off
.LBB15_667:
	s_mov_b64 s[0:1], 0
.LBB15_668:
	s_andn2_b64 vcc, exec, s[0:1]
	s_cbranch_vccnz .LBB15_670
; %bb.669:
	global_load_ushort v3, v[1:2], off
.LBB15_670:
	s_mov_b64 s[0:1], 0
.LBB15_671:
	s_andn2_b64 vcc, exec, s[0:1]
	s_cbranch_vccnz .LBB15_677
; %bb.672:
	s_cmp_gt_i32 s10, 0
	s_cbranch_scc0 .LBB15_674
; %bb.673:
	global_load_ubyte v3, v[1:2], off
	s_mov_b64 s[0:1], 0
	s_branch .LBB15_675
.LBB15_674:
	s_mov_b64 s[0:1], -1
                                        ; implicit-def: $vgpr3
.LBB15_675:
	s_andn2_b64 vcc, exec, s[0:1]
	s_cbranch_vccnz .LBB15_677
; %bb.676:
	global_load_ubyte v3, v[1:2], off
.LBB15_677:
	s_mov_b64 s[0:1], -1
.LBB15_678:
	s_andn2_b64 vcc, exec, s[0:1]
	s_cbranch_vccnz .LBB15_686
; %bb.679:
	s_and_b32 s0, s45, 0xff
	s_waitcnt vmcnt(0)
	v_cmp_ne_u16_sdwa s[0:1], s0, v3 src0_sel:DWORD src1_sel:BYTE_0
	s_xor_b64 s[8:9], s[46:47], s[0:1]
	v_mov_b32_e32 v1, s25
	s_and_b32 s16, s77, 0xff
	v_add_co_u32_e32 v0, vcc, s24, v0
	s_cmp_lt_i32 s16, 11
	v_addc_co_u32_e32 v1, vcc, 0, v1, vcc
	s_cbranch_scc1 .LBB15_687
; %bb.680:
	s_and_b32 s17, 0xffff, s16
	s_cmp_gt_i32 s17, 25
	s_cbranch_scc0 .LBB15_688
; %bb.681:
	s_cmp_gt_i32 s17, 28
	s_cbranch_scc0 .LBB15_689
; %bb.682:
	;; [unrolled: 3-line block ×4, first 2 shown]
	s_mov_b64 s[12:13], 0
	s_mov_b64 s[0:1], -1
	s_cmp_eq_u32 s17, 46
	s_mov_b64 s[10:11], 0
	s_cbranch_scc0 .LBB15_692
; %bb.685:
	v_cndmask_b32_e64 v2, 0, 1.0, s[8:9]
	v_bfe_u32 v3, v2, 16, 1
	s_movk_i32 s0, 0x7fff
	v_add3_u32 v2, v2, v3, s0
	v_lshrrev_b32_e32 v2, 16, v2
	global_store_dword v[0:1], v2, off
	s_mov_b64 s[10:11], -1
	s_mov_b64 s[0:1], 0
	s_branch .LBB15_692
.LBB15_686:
	s_mov_b64 s[8:9], 0
	s_mov_b64 s[0:1], s[64:65]
	s_branch .LBB15_803
.LBB15_687:
	s_mov_b64 s[12:13], -1
	s_mov_b64 s[10:11], 0
	s_mov_b64 s[0:1], s[64:65]
	s_branch .LBB15_761
.LBB15_688:
	s_mov_b64 s[12:13], -1
	s_mov_b64 s[10:11], 0
	s_mov_b64 s[0:1], s[64:65]
	s_branch .LBB15_719
.LBB15_689:
	s_mov_b64 s[12:13], -1
	s_mov_b64 s[10:11], 0
	s_mov_b64 s[0:1], s[64:65]
	s_branch .LBB15_702
.LBB15_690:
	s_mov_b64 s[12:13], -1
	s_mov_b64 s[10:11], 0
	s_mov_b64 s[0:1], s[64:65]
	s_branch .LBB15_698
.LBB15_691:
	s_mov_b64 s[12:13], -1
	s_mov_b64 s[10:11], 0
	s_mov_b64 s[0:1], s[64:65]
.LBB15_692:
	s_and_b64 vcc, exec, s[12:13]
	s_cbranch_vccz .LBB15_697
; %bb.693:
	s_cmp_eq_u32 s17, 44
	s_mov_b64 s[0:1], -1
	s_cbranch_scc0 .LBB15_697
; %bb.694:
	v_cndmask_b32_e64 v3, 0, 1.0, s[8:9]
	v_lshrrev_b32_e32 v2, 23, v3
	s_movk_i32 s0, 0xff
	v_cmp_ne_u32_e32 vcc, s0, v2
	v_mov_b32_e32 v4, 0xff
	s_and_saveexec_b64 s[10:11], vcc
; %bb.695:
	s_mov_b32 s0, 0x3fffff
	v_and_b32_e32 v4, 0x400000, v3
	v_and_or_b32 v3, v3, s0, v2
	v_cmp_ne_u32_e32 vcc, 0, v4
	v_cmp_ne_u32_e64 s[0:1], 0, v3
	s_and_b64 s[0:1], vcc, s[0:1]
	v_cndmask_b32_e64 v3, 0, 1, s[0:1]
	v_add_u32_e32 v4, v2, v3
; %bb.696:
	s_or_b64 exec, exec, s[10:11]
	s_mov_b64 s[10:11], -1
	s_mov_b64 s[0:1], 0
	global_store_byte v[0:1], v4, off
.LBB15_697:
	s_mov_b64 s[12:13], 0
.LBB15_698:
	s_and_b64 vcc, exec, s[12:13]
	s_cbranch_vccz .LBB15_701
; %bb.699:
	s_cmp_eq_u32 s17, 29
	s_mov_b64 s[0:1], -1
	s_cbranch_scc0 .LBB15_701
; %bb.700:
	s_mov_b32 s0, 0
	v_cndmask_b32_e64 v2, 0, 1, s[8:9]
	v_mov_b32_e32 v3, s0
	global_store_dwordx2 v[0:1], v[2:3], off
	s_mov_b64 s[10:11], -1
	s_mov_b64 s[0:1], 0
.LBB15_701:
	s_mov_b64 s[12:13], 0
.LBB15_702:
	s_and_b64 vcc, exec, s[12:13]
	s_cbranch_vccz .LBB15_718
; %bb.703:
	s_cmp_lt_i32 s17, 27
	s_mov_b64 s[10:11], -1
	s_cbranch_scc1 .LBB15_709
; %bb.704:
	s_cmp_gt_i32 s17, 27
	s_cbranch_scc0 .LBB15_706
; %bb.705:
	v_cndmask_b32_e64 v2, 0, 1, s[8:9]
	s_mov_b64 s[10:11], 0
	global_store_dword v[0:1], v2, off
.LBB15_706:
	s_andn2_b64 vcc, exec, s[10:11]
	s_cbranch_vccnz .LBB15_708
; %bb.707:
	v_cndmask_b32_e64 v2, 0, 1, s[8:9]
	global_store_short v[0:1], v2, off
.LBB15_708:
	s_mov_b64 s[10:11], 0
.LBB15_709:
	s_andn2_b64 vcc, exec, s[10:11]
	s_cbranch_vccnz .LBB15_717
; %bb.710:
	v_cndmask_b32_e64 v3, 0, 1.0, s[8:9]
	s_mov_b32 s10, 0x43800000
	v_cmp_gt_u32_e32 vcc, s10, v3
	v_mov_b32_e32 v4, 0x80
	s_and_saveexec_b64 s[10:11], vcc
	s_cbranch_execz .LBB15_716
; %bb.711:
	s_mov_b32 s12, 0x3bffffff
	v_cmp_lt_u32_e32 vcc, s12, v3
	s_mov_b64 s[12:13], 0
                                        ; implicit-def: $vgpr2
	s_and_saveexec_b64 s[14:15], vcc
	s_xor_b64 s[14:15], exec, s[14:15]
	s_cbranch_execz .LBB15_833
; %bb.712:
	v_bfe_u32 v2, v3, 20, 1
	s_mov_b32 s18, 0x487ffff
	v_add3_u32 v2, v3, v2, s18
	s_mov_b64 s[12:13], exec
	v_lshrrev_b32_e32 v2, 20, v2
                                        ; implicit-def: $vgpr3
	s_andn2_saveexec_b64 s[14:15], s[14:15]
	s_cbranch_execnz .LBB15_834
.LBB15_713:
	s_or_b64 exec, exec, s[14:15]
	v_mov_b32_e32 v4, 0
	s_and_saveexec_b64 s[14:15], s[12:13]
.LBB15_714:
	v_mov_b32_e32 v4, v2
.LBB15_715:
	s_or_b64 exec, exec, s[14:15]
.LBB15_716:
	s_or_b64 exec, exec, s[10:11]
	global_store_byte v[0:1], v4, off
.LBB15_717:
	s_mov_b64 s[10:11], -1
.LBB15_718:
	s_mov_b64 s[12:13], 0
.LBB15_719:
	s_and_b64 vcc, exec, s[12:13]
	s_cbranch_vccz .LBB15_760
; %bb.720:
	s_cmp_gt_i32 s17, 22
	s_mov_b64 s[12:13], -1
	s_cbranch_scc0 .LBB15_752
; %bb.721:
	s_cmp_lt_i32 s17, 24
	s_mov_b64 s[10:11], -1
	s_cbranch_scc1 .LBB15_741
; %bb.722:
	s_cmp_gt_i32 s17, 24
	s_cbranch_scc0 .LBB15_730
; %bb.723:
	v_cndmask_b32_e64 v3, 0, 1.0, s[8:9]
	s_mov_b32 s10, 0x47800000
	v_cmp_gt_u32_e32 vcc, s10, v3
	v_mov_b32_e32 v4, 0x80
	s_and_saveexec_b64 s[10:11], vcc
	s_cbranch_execz .LBB15_729
; %bb.724:
	s_mov_b32 s12, 0x37ffffff
	v_cmp_lt_u32_e32 vcc, s12, v3
	s_mov_b64 s[12:13], 0
                                        ; implicit-def: $vgpr2
	s_and_saveexec_b64 s[14:15], vcc
	s_xor_b64 s[14:15], exec, s[14:15]
	s_cbranch_execz .LBB15_836
; %bb.725:
	v_bfe_u32 v2, v3, 21, 1
	s_mov_b32 s18, 0x88fffff
	v_add3_u32 v2, v3, v2, s18
	s_mov_b64 s[12:13], exec
	v_lshrrev_b32_e32 v2, 21, v2
                                        ; implicit-def: $vgpr3
	s_andn2_saveexec_b64 s[14:15], s[14:15]
	s_cbranch_execnz .LBB15_837
.LBB15_726:
	s_or_b64 exec, exec, s[14:15]
	v_mov_b32_e32 v4, 0
	s_and_saveexec_b64 s[14:15], s[12:13]
.LBB15_727:
	v_mov_b32_e32 v4, v2
.LBB15_728:
	s_or_b64 exec, exec, s[14:15]
.LBB15_729:
	s_or_b64 exec, exec, s[10:11]
	s_mov_b64 s[10:11], 0
	global_store_byte v[0:1], v4, off
.LBB15_730:
	s_and_b64 vcc, exec, s[10:11]
	s_cbranch_vccz .LBB15_740
; %bb.731:
	v_cndmask_b32_e64 v2, 0, 1.0, s[8:9]
	s_mov_b32 s10, 0x43f00000
	v_cmp_gt_u32_e32 vcc, s10, v2
                                        ; implicit-def: $vgpr3
	s_and_saveexec_b64 s[10:11], vcc
	s_xor_b64 s[10:11], exec, s[10:11]
	s_cbranch_execz .LBB15_737
; %bb.732:
	s_mov_b32 s12, 0x3c7fffff
	v_cmp_lt_u32_e32 vcc, s12, v2
                                        ; implicit-def: $vgpr3
	s_and_saveexec_b64 s[12:13], vcc
	s_xor_b64 s[12:13], exec, s[12:13]
; %bb.733:
	v_bfe_u32 v3, v2, 20, 1
	s_mov_b32 s14, 0x407ffff
	v_add3_u32 v2, v2, v3, s14
	v_lshrrev_b32_e32 v3, 20, v2
	v_and_b32_e32 v2, 0xff00000, v2
	s_mov_b32 s14, 0x7f00000
	v_mov_b32_e32 v4, 0x7e
	v_cmp_ne_u32_e32 vcc, s14, v2
	v_cndmask_b32_e32 v3, v4, v3, vcc
                                        ; implicit-def: $vgpr2
; %bb.734:
	s_andn2_saveexec_b64 s[12:13], s[12:13]
; %bb.735:
	v_add_f32_e32 v3, 0x46800000, v2
; %bb.736:
	s_or_b64 exec, exec, s[12:13]
                                        ; implicit-def: $vgpr2
.LBB15_737:
	s_andn2_saveexec_b64 s[10:11], s[10:11]
; %bb.738:
	s_mov_b32 s12, 0x7f800000
	v_mov_b32_e32 v3, 0x7e
	v_mov_b32_e32 v4, 0x7f
	v_cmp_lt_u32_e32 vcc, s12, v2
	v_cndmask_b32_e32 v3, v3, v4, vcc
; %bb.739:
	s_or_b64 exec, exec, s[10:11]
	global_store_byte v[0:1], v3, off
.LBB15_740:
	s_mov_b64 s[10:11], 0
.LBB15_741:
	s_andn2_b64 vcc, exec, s[10:11]
	s_cbranch_vccnz .LBB15_751
; %bb.742:
	v_cndmask_b32_e64 v2, 0, 1.0, s[8:9]
	s_mov_b32 s10, 0x47800000
	v_cmp_gt_u32_e32 vcc, s10, v2
                                        ; implicit-def: $vgpr3
	s_and_saveexec_b64 s[10:11], vcc
	s_xor_b64 s[10:11], exec, s[10:11]
	s_cbranch_execz .LBB15_748
; %bb.743:
	s_mov_b32 s12, 0x387fffff
	v_cmp_lt_u32_e32 vcc, s12, v2
                                        ; implicit-def: $vgpr3
	s_and_saveexec_b64 s[12:13], vcc
	s_xor_b64 s[12:13], exec, s[12:13]
; %bb.744:
	v_bfe_u32 v3, v2, 21, 1
	s_mov_b32 s14, 0x80fffff
	v_add3_u32 v2, v2, v3, s14
	v_lshrrev_b32_e32 v3, 21, v2
                                        ; implicit-def: $vgpr2
; %bb.745:
	s_andn2_saveexec_b64 s[12:13], s[12:13]
; %bb.746:
	v_add_f32_e32 v3, 0x43000000, v2
; %bb.747:
	s_or_b64 exec, exec, s[12:13]
                                        ; implicit-def: $vgpr2
.LBB15_748:
	s_andn2_saveexec_b64 s[10:11], s[10:11]
; %bb.749:
	s_mov_b32 s12, 0x7f800000
	v_mov_b32_e32 v3, 0x7c
	v_mov_b32_e32 v4, 0x7f
	v_cmp_lt_u32_e32 vcc, s12, v2
	v_cndmask_b32_e32 v3, v3, v4, vcc
; %bb.750:
	s_or_b64 exec, exec, s[10:11]
	global_store_byte v[0:1], v3, off
.LBB15_751:
	s_mov_b64 s[12:13], 0
	s_mov_b64 s[10:11], -1
.LBB15_752:
	s_andn2_b64 vcc, exec, s[12:13]
	s_cbranch_vccnz .LBB15_760
; %bb.753:
	s_cmp_gt_i32 s17, 14
	s_mov_b64 s[12:13], -1
	s_cbranch_scc0 .LBB15_757
; %bb.754:
	s_cmp_eq_u32 s17, 15
	s_mov_b64 s[0:1], -1
	s_cbranch_scc0 .LBB15_756
; %bb.755:
	v_cndmask_b32_e64 v2, 0, 1.0, s[8:9]
	v_bfe_u32 v3, v2, 16, 1
	s_movk_i32 s0, 0x7fff
	v_add3_u32 v2, v2, v3, s0
	global_store_short_d16_hi v[0:1], v2, off
	s_mov_b64 s[10:11], -1
	s_mov_b64 s[0:1], 0
.LBB15_756:
	s_mov_b64 s[12:13], 0
.LBB15_757:
	s_and_b64 vcc, exec, s[12:13]
	s_cbranch_vccz .LBB15_760
; %bb.758:
	s_cmp_eq_u32 s17, 11
	s_mov_b64 s[0:1], -1
	s_cbranch_scc0 .LBB15_760
; %bb.759:
	v_cndmask_b32_e64 v2, 0, 1, s[8:9]
	s_mov_b64 s[10:11], -1
	s_mov_b64 s[0:1], 0
	global_store_byte v[0:1], v2, off
.LBB15_760:
	s_mov_b64 s[12:13], 0
.LBB15_761:
	s_and_b64 vcc, exec, s[12:13]
	s_cbranch_vccz .LBB15_800
; %bb.762:
	s_and_b32 s12, 0xffff, s16
	s_cmp_lt_i32 s12, 5
	s_mov_b64 s[10:11], -1
	s_cbranch_scc1 .LBB15_783
; %bb.763:
	s_cmp_lt_i32 s12, 8
	s_cbranch_scc1 .LBB15_773
; %bb.764:
	s_cmp_lt_i32 s12, 9
	s_cbranch_scc1 .LBB15_770
; %bb.765:
	s_cmp_gt_i32 s12, 9
	s_cbranch_scc0 .LBB15_767
; %bb.766:
	v_cndmask_b32_e64 v2, 0, 1, s[8:9]
	v_cvt_f64_u32_e32 v[2:3], v2
	v_mov_b32_e32 v4, 0
	v_mov_b32_e32 v5, v4
	s_mov_b64 s[10:11], 0
	global_store_dwordx4 v[0:1], v[2:5], off
.LBB15_767:
	s_andn2_b64 vcc, exec, s[10:11]
	s_cbranch_vccnz .LBB15_769
; %bb.768:
	v_cndmask_b32_e64 v2, 0, 1.0, s[8:9]
	v_mov_b32_e32 v3, 0
	global_store_dwordx2 v[0:1], v[2:3], off
.LBB15_769:
	s_mov_b64 s[10:11], 0
.LBB15_770:
	s_andn2_b64 vcc, exec, s[10:11]
	s_cbranch_vccnz .LBB15_772
; %bb.771:
	v_cndmask_b32_e64 v2, 0, 1.0, s[8:9]
	v_cvt_f16_f32_e32 v2, v2
	global_store_dword v[0:1], v2, off
.LBB15_772:
	s_mov_b64 s[10:11], 0
.LBB15_773:
	s_andn2_b64 vcc, exec, s[10:11]
	s_cbranch_vccnz .LBB15_782
; %bb.774:
	s_cmp_lt_i32 s12, 6
	s_mov_b64 s[10:11], -1
	s_cbranch_scc1 .LBB15_780
; %bb.775:
	s_cmp_gt_i32 s12, 6
	s_cbranch_scc0 .LBB15_777
; %bb.776:
	v_cndmask_b32_e64 v2, 0, 1, s[8:9]
	v_cvt_f64_u32_e32 v[2:3], v2
	s_mov_b64 s[10:11], 0
	global_store_dwordx2 v[0:1], v[2:3], off
.LBB15_777:
	s_andn2_b64 vcc, exec, s[10:11]
	s_cbranch_vccnz .LBB15_779
; %bb.778:
	v_cndmask_b32_e64 v2, 0, 1.0, s[8:9]
	global_store_dword v[0:1], v2, off
.LBB15_779:
	s_mov_b64 s[10:11], 0
.LBB15_780:
	s_andn2_b64 vcc, exec, s[10:11]
	s_cbranch_vccnz .LBB15_782
; %bb.781:
	v_cndmask_b32_e64 v2, 0, 1.0, s[8:9]
	v_cvt_f16_f32_e32 v2, v2
	global_store_short v[0:1], v2, off
.LBB15_782:
	s_mov_b64 s[10:11], 0
.LBB15_783:
	s_andn2_b64 vcc, exec, s[10:11]
	s_cbranch_vccnz .LBB15_799
; %bb.784:
	s_cmp_lt_i32 s12, 2
	s_mov_b64 s[10:11], -1
	s_cbranch_scc1 .LBB15_794
; %bb.785:
	s_cmp_lt_i32 s12, 3
	s_cbranch_scc1 .LBB15_791
; %bb.786:
	s_cmp_gt_i32 s12, 3
	s_cbranch_scc0 .LBB15_788
; %bb.787:
	s_mov_b32 s10, 0
	v_cndmask_b32_e64 v2, 0, 1, s[8:9]
	v_mov_b32_e32 v3, s10
	s_mov_b64 s[10:11], 0
	global_store_dwordx2 v[0:1], v[2:3], off
.LBB15_788:
	s_andn2_b64 vcc, exec, s[10:11]
	s_cbranch_vccnz .LBB15_790
; %bb.789:
	v_cndmask_b32_e64 v2, 0, 1, s[8:9]
	global_store_dword v[0:1], v2, off
.LBB15_790:
	s_mov_b64 s[10:11], 0
.LBB15_791:
	s_andn2_b64 vcc, exec, s[10:11]
	s_cbranch_vccnz .LBB15_793
; %bb.792:
	v_cndmask_b32_e64 v2, 0, 1, s[8:9]
	global_store_short v[0:1], v2, off
.LBB15_793:
	s_mov_b64 s[10:11], 0
.LBB15_794:
	s_andn2_b64 vcc, exec, s[10:11]
	s_cbranch_vccnz .LBB15_799
; %bb.795:
	s_mov_b64 s[10:11], -1
	s_cmp_gt_i32 s12, 0
	v_cndmask_b32_e64 v2, 0, 1, s[8:9]
	s_cbranch_scc0 .LBB15_797
; %bb.796:
	s_mov_b64 s[10:11], 0
	global_store_byte v[0:1], v2, off
.LBB15_797:
	s_andn2_b64 vcc, exec, s[10:11]
	s_cbranch_vccnz .LBB15_799
; %bb.798:
	global_store_byte v[0:1], v2, off
.LBB15_799:
	s_mov_b64 s[10:11], -1
.LBB15_800:
	s_andn2_b64 vcc, exec, s[10:11]
	s_cbranch_vccnz .LBB15_802
; %bb.801:
	v_add_u32_e32 v11, 0x80, v11
	s_mov_b64 s[8:9], -1
	s_branch .LBB15_804
.LBB15_802:
	s_mov_b64 s[8:9], 0
.LBB15_803:
                                        ; implicit-def: $vgpr11
.LBB15_804:
	s_andn2_b64 s[10:11], s[64:65], exec
	s_and_b64 s[0:1], s[0:1], exec
	s_or_b64 s[72:73], s[10:11], s[0:1]
	s_andn2_b64 s[0:1], s[62:63], exec
	s_and_b64 s[2:3], s[2:3], exec
	s_or_b64 s[70:71], s[0:1], s[2:3]
	s_orn2_b64 s[2:3], s[8:9], exec
.LBB15_805:
	s_or_b64 exec, exec, s[68:69]
	s_mov_b64 s[0:1], 0
	s_mov_b64 s[8:9], 0
	;; [unrolled: 1-line block ×3, first 2 shown]
                                        ; implicit-def: $vgpr1_vgpr2
                                        ; implicit-def: $vgpr0
                                        ; implicit-def: $vgpr3
	s_and_saveexec_b64 s[68:69], s[2:3]
	s_cbranch_execz .LBB15_900
; %bb.806:
	v_cmp_gt_i32_e32 vcc, s74, v11
	s_mov_b64 s[2:3], 0
	s_mov_b64 s[12:13], s[70:71]
                                        ; implicit-def: $vgpr1_vgpr2
                                        ; implicit-def: $vgpr0
                                        ; implicit-def: $vgpr3
	s_and_saveexec_b64 s[74:75], vcc
	s_cbranch_execz .LBB15_899
; %bb.807:
	s_andn2_b64 vcc, exec, s[40:41]
	s_cbranch_vccnz .LBB15_812
; %bb.808:
	s_andn2_b64 vcc, exec, s[54:55]
	s_cbranch_vccnz .LBB15_813
; %bb.809:
	s_add_i32 s79, s79, 1
	s_cmp_eq_u32 s76, 2
	s_cbranch_scc1 .LBB15_814
; %bb.810:
	s_and_b32 s44, s79, 28
	v_mov_b32_e32 v2, 0
	s_mov_b32 s80, 0
	s_mov_b64 s[54:55], s[34:35]
	v_mov_b32_e32 v0, 0
	v_mov_b32_e32 v1, v11
.LBB15_811:                             ; =>This Inner Loop Header: Depth=1
	s_load_dwordx8 s[16:23], s[54:55], 0x4
	s_load_dwordx4 s[0:3], s[54:55], 0x24
	s_load_dwordx8 s[8:15], s[52:53], 0x0
	s_add_u32 s54, s54, 48
	s_addc_u32 s55, s55, 0
	s_waitcnt vmcnt(0) lgkmcnt(0)
	v_mul_hi_u32 v3, s17, v1
	s_add_i32 s80, s80, 4
	s_add_u32 s52, s52, 32
	s_addc_u32 s53, s53, 0
	v_add_u32_e32 v3, v1, v3
	v_lshrrev_b32_e32 v3, s18, v3
	v_mul_lo_u32 v4, v3, s16
	v_mul_hi_u32 v5, s20, v3
	s_cmp_eq_u32 s44, s80
	v_sub_u32_e32 v1, v1, v4
	v_add_u32_e32 v4, v3, v5
	v_mul_lo_u32 v5, v1, s8
	v_mul_lo_u32 v6, v1, s9
	v_lshrrev_b32_e32 v1, s21, v4
	v_mul_lo_u32 v4, v1, s19
	v_mul_hi_u32 v7, s23, v1
	v_sub_u32_e32 v3, v3, v4
	v_add_u32_e32 v4, v1, v7
	v_lshrrev_b32_e32 v4, s0, v4
	v_mul_hi_u32 v8, s2, v4
	v_mul_lo_u32 v9, v4, s22
	v_mul_lo_u32 v7, v3, s10
	;; [unrolled: 1-line block ×3, first 2 shown]
	v_sub_u32_e32 v9, v1, v9
	v_add_u32_e32 v1, v4, v8
	v_lshrrev_b32_e32 v1, s3, v1
	v_mul_lo_u32 v8, v1, s1
	v_mul_lo_u32 v10, v9, s12
	;; [unrolled: 1-line block ×3, first 2 shown]
	v_add3_u32 v0, v5, v0, v7
	v_sub_u32_e32 v4, v4, v8
	v_mul_lo_u32 v8, v4, s14
	v_mul_lo_u32 v4, v4, s15
	v_add3_u32 v2, v6, v2, v3
	v_add3_u32 v0, v10, v0, v8
	;; [unrolled: 1-line block ×3, first 2 shown]
	s_cbranch_scc0 .LBB15_811
	s_branch .LBB15_815
.LBB15_812:
	s_mov_b64 s[0:1], -1
                                        ; implicit-def: $vgpr0
                                        ; implicit-def: $vgpr2
	s_branch .LBB15_819
.LBB15_813:
	v_mov_b32_e32 v0, 0
	v_mov_b32_e32 v2, 0
	s_branch .LBB15_818
.LBB15_814:
	s_mov_b32 s44, 0
	v_mov_b32_e32 v0, 0
	v_mov_b32_e32 v2, 0
	;; [unrolled: 1-line block ×3, first 2 shown]
.LBB15_815:
	s_and_b32 s8, s79, 3
	s_cmp_eq_u32 s8, 0
	s_cbranch_scc1 .LBB15_818
; %bb.816:
	s_lshl_b32 s0, s44, 3
	s_add_u32 s0, s34, s0
	s_addc_u32 s1, s35, 0
	s_add_u32 s0, s0, 0xc4
	s_addc_u32 s1, s1, 0
	s_mul_i32 s2, s44, 12
	s_add_u32 s2, s34, s2
	s_addc_u32 s3, s35, 0
.LBB15_817:                             ; =>This Inner Loop Header: Depth=1
	s_load_dwordx2 s[10:11], s[2:3], 0x4
	s_load_dword s9, s[2:3], 0xc
	s_load_dwordx2 s[12:13], s[0:1], 0x0
	s_add_u32 s2, s2, 12
	s_addc_u32 s3, s3, 0
	s_waitcnt vmcnt(0) lgkmcnt(0)
	v_mul_hi_u32 v3, s11, v1
	s_add_u32 s0, s0, 8
	s_addc_u32 s1, s1, 0
	s_add_i32 s8, s8, -1
	v_add_u32_e32 v3, v1, v3
	v_lshrrev_b32_e32 v4, s9, v3
	v_mul_lo_u32 v3, v4, s10
	s_cmp_lg_u32 s8, 0
	v_sub_u32_e32 v3, v1, v3
	v_mad_u64_u32 v[0:1], s[10:11], v3, s12, v[0:1]
	v_mad_u64_u32 v[2:3], s[10:11], v3, s13, v[2:3]
	v_mov_b32_e32 v1, v4
	s_cbranch_scc1 .LBB15_817
.LBB15_818:
	s_mov_b64 s[0:1], 0
.LBB15_819:
	s_andn2_b64 vcc, exec, s[0:1]
	s_cbranch_vccnz .LBB15_822
; %bb.820:
	v_mul_hi_u32 v0, s29, v11
	s_andn2_b64 vcc, exec, s[50:51]
	v_add_u32_e32 v0, v11, v0
	v_lshrrev_b32_e32 v1, s30, v0
	v_mul_lo_u32 v0, v1, s28
	v_sub_u32_e32 v2, v11, v0
	v_mul_lo_u32 v0, v2, s36
	v_mul_lo_u32 v2, v2, s37
	s_cbranch_vccnz .LBB15_822
; %bb.821:
	s_waitcnt vmcnt(0)
	v_mul_hi_u32 v3, s48, v1
	v_add_u32_e32 v3, v1, v3
	v_lshrrev_b32_e32 v3, s49, v3
	v_mul_lo_u32 v3, v3, s31
	v_sub_u32_e32 v3, v1, v3
	v_mad_u64_u32 v[0:1], s[0:1], v3, s38, v[0:1]
	v_mad_u64_u32 v[2:3], s[0:1], v3, s39, v[2:3]
.LBB15_822:
	s_waitcnt vmcnt(0)
	v_mov_b32_e32 v3, s27
	s_and_b32 s12, 0xffff, s78
	v_add_co_u32_e32 v1, vcc, s26, v2
	s_cmp_lt_i32 s12, 11
	v_addc_co_u32_e32 v2, vcc, 0, v3, vcc
	s_cbranch_scc1 .LBB15_829
; %bb.823:
	s_cmp_gt_i32 s12, 25
	s_mov_b64 s[2:3], 0
	s_cbranch_scc0 .LBB15_830
; %bb.824:
	s_cmp_gt_i32 s12, 28
	s_cbranch_scc0 .LBB15_831
; %bb.825:
	s_cmp_gt_i32 s12, 43
	;; [unrolled: 3-line block ×3, first 2 shown]
	s_cbranch_scc0 .LBB15_835
; %bb.827:
	s_cmp_eq_u32 s12, 46
	s_mov_b64 s[10:11], 0
	s_cbranch_scc0 .LBB15_838
; %bb.828:
	global_load_dword v3, v[1:2], off
	s_mov_b32 s0, 0x2f800000
	s_mov_b32 s1, 0xcf800000
	s_mov_b64 s[8:9], -1
	s_waitcnt vmcnt(0)
	v_lshlrev_b32_e32 v3, 16, v3
	v_trunc_f32_e32 v3, v3
	v_mul_f32_e64 v4, |v3|, s0
	v_floor_f32_e32 v4, v4
	v_fma_f32 v4, v4, s1, |v3|
	v_cvt_u32_f32_e32 v4, v4
	v_ashrrev_i32_e32 v3, 31, v3
	s_mov_b64 s[0:1], 0
	v_xor_b32_e32 v4, v4, v3
	v_sub_u32_e32 v3, v4, v3
	s_branch .LBB15_839
.LBB15_829:
	s_mov_b64 s[12:13], -1
	s_mov_b64 s[8:9], 0
	s_mov_b64 s[2:3], 0
	;; [unrolled: 1-line block ×3, first 2 shown]
                                        ; implicit-def: $vgpr3
	s_branch .LBB15_898
.LBB15_830:
	s_mov_b64 s[10:11], -1
	s_mov_b64 s[8:9], 0
	s_mov_b64 s[0:1], s[70:71]
                                        ; implicit-def: $vgpr3
	s_branch .LBB15_866
.LBB15_831:
	s_mov_b64 s[10:11], -1
	s_mov_b64 s[8:9], 0
	s_mov_b64 s[0:1], s[70:71]
                                        ; implicit-def: $vgpr3
	s_branch .LBB15_849
.LBB15_832:
	s_mov_b64 s[10:11], -1
	s_mov_b64 s[8:9], 0
	s_mov_b64 s[0:1], s[70:71]
                                        ; implicit-def: $vgpr3
	s_branch .LBB15_844
.LBB15_833:
	s_andn2_saveexec_b64 s[14:15], s[14:15]
	s_cbranch_execz .LBB15_713
.LBB15_834:
	v_add_f32_e32 v2, 0x46000000, v3
	v_and_b32_e32 v2, 0xff, v2
	v_cmp_ne_u32_e32 vcc, 0, v2
	s_andn2_b64 s[12:13], s[12:13], exec
	s_and_b64 s[18:19], vcc, exec
	s_or_b64 s[12:13], s[12:13], s[18:19]
	s_or_b64 exec, exec, s[14:15]
	v_mov_b32_e32 v4, 0
	s_and_saveexec_b64 s[14:15], s[12:13]
	s_cbranch_execnz .LBB15_714
	s_branch .LBB15_715
.LBB15_835:
	s_mov_b64 s[10:11], -1
	s_mov_b64 s[8:9], 0
	s_mov_b64 s[0:1], s[70:71]
                                        ; implicit-def: $vgpr3
	s_branch .LBB15_839
.LBB15_836:
	s_andn2_saveexec_b64 s[14:15], s[14:15]
	s_cbranch_execz .LBB15_726
.LBB15_837:
	v_add_f32_e32 v2, 0x42800000, v3
	v_and_b32_e32 v2, 0xff, v2
	v_cmp_ne_u32_e32 vcc, 0, v2
	s_andn2_b64 s[12:13], s[12:13], exec
	s_and_b64 s[18:19], vcc, exec
	s_or_b64 s[12:13], s[12:13], s[18:19]
	s_or_b64 exec, exec, s[14:15]
	v_mov_b32_e32 v4, 0
	s_and_saveexec_b64 s[14:15], s[12:13]
	s_cbranch_execnz .LBB15_727
	s_branch .LBB15_728
.LBB15_838:
	s_mov_b64 s[0:1], -1
                                        ; implicit-def: $vgpr3
	s_mov_b64 s[8:9], 0
.LBB15_839:
	s_and_b64 vcc, exec, s[10:11]
	s_cbranch_vccz .LBB15_843
; %bb.840:
	s_cmp_eq_u32 s12, 44
	s_cbranch_scc0 .LBB15_842
; %bb.841:
	global_load_ubyte v3, v[1:2], off
	s_mov_b32 s0, 0x2f800000
	s_mov_b32 s1, 0xcf800000
	s_mov_b64 s[8:9], -1
	s_waitcnt vmcnt(0)
	v_lshlrev_b32_e32 v4, 23, v3
	v_trunc_f32_e32 v4, v4
	v_mul_f32_e64 v5, |v4|, s0
	v_floor_f32_e32 v5, v5
	v_fma_f32 v5, v5, s1, |v4|
	v_cvt_u32_f32_e32 v5, v5
	v_ashrrev_i32_e32 v4, 31, v4
	v_cmp_ne_u32_e32 vcc, 0, v3
	s_mov_b64 s[0:1], 0
	v_xor_b32_e32 v5, v5, v4
	v_sub_u32_e32 v4, v5, v4
	v_cndmask_b32_e32 v3, 0, v4, vcc
	s_branch .LBB15_843
.LBB15_842:
	s_mov_b64 s[0:1], -1
                                        ; implicit-def: $vgpr3
.LBB15_843:
	s_mov_b64 s[10:11], 0
.LBB15_844:
	s_and_b64 vcc, exec, s[10:11]
	s_cbranch_vccz .LBB15_848
; %bb.845:
	s_cmp_eq_u32 s12, 29
	s_cbranch_scc0 .LBB15_847
; %bb.846:
	global_load_dwordx2 v[3:4], v[1:2], off
	s_mov_b64 s[0:1], 0
	s_mov_b64 s[8:9], -1
	s_branch .LBB15_848
.LBB15_847:
	s_mov_b64 s[0:1], -1
                                        ; implicit-def: $vgpr3
.LBB15_848:
	s_mov_b64 s[10:11], 0
.LBB15_849:
	s_and_b64 vcc, exec, s[10:11]
	s_cbranch_vccz .LBB15_865
; %bb.850:
	s_cmp_lt_i32 s12, 27
	s_cbranch_scc1 .LBB15_853
; %bb.851:
	s_cmp_gt_i32 s12, 27
	s_cbranch_scc0 .LBB15_854
; %bb.852:
	global_load_dword v3, v[1:2], off
	s_mov_b64 s[8:9], 0
	s_branch .LBB15_855
.LBB15_853:
	s_mov_b64 s[8:9], -1
                                        ; implicit-def: $vgpr3
	s_branch .LBB15_858
.LBB15_854:
	s_mov_b64 s[8:9], -1
                                        ; implicit-def: $vgpr3
.LBB15_855:
	s_andn2_b64 vcc, exec, s[8:9]
	s_cbranch_vccnz .LBB15_857
; %bb.856:
	global_load_ushort v3, v[1:2], off
.LBB15_857:
	s_mov_b64 s[8:9], 0
.LBB15_858:
	s_andn2_b64 vcc, exec, s[8:9]
	s_cbranch_vccnz .LBB15_864
; %bb.859:
	global_load_ubyte v4, v[1:2], off
	s_movk_i32 s8, 0x7f
	s_mov_b64 s[10:11], 0
	s_waitcnt vmcnt(0)
	v_cmp_lt_i16_e32 vcc, s8, v4
	s_and_saveexec_b64 s[8:9], vcc
	s_xor_b64 s[8:9], exec, s[8:9]
	s_cbranch_execz .LBB15_876
; %bb.860:
	s_movk_i32 s10, 0x80
	v_cmp_ne_u16_e32 vcc, s10, v4
	s_and_b64 s[10:11], vcc, exec
	s_andn2_saveexec_b64 s[8:9], s[8:9]
	s_cbranch_execnz .LBB15_877
.LBB15_861:
	s_or_b64 exec, exec, s[8:9]
	v_mov_b32_e32 v3, 0
	s_and_saveexec_b64 s[8:9], s[10:11]
	s_cbranch_execz .LBB15_863
.LBB15_862:
	v_lshlrev_b32_e32 v3, 24, v4
	v_and_b32_e32 v4, 0xffff, v4
	v_and_b32_e32 v5, 7, v4
	v_ffbh_u32_e32 v7, v5
	v_min_u32_e32 v7, 32, v7
	v_subrev_u32_e32 v8, 28, v7
	v_bfe_u32 v6, v4, 3, 4
	v_lshlrev_b32_e32 v4, v8, v4
	v_sub_u32_e32 v7, 29, v7
	v_and_b32_e32 v4, 7, v4
	v_cmp_eq_u32_e32 vcc, 0, v6
	v_cndmask_b32_e32 v6, v6, v7, vcc
	v_cndmask_b32_e32 v4, v5, v4, vcc
	v_mov_b32_e32 v5, 0x3b800000
	v_lshlrev_b32_e32 v4, 20, v4
	v_and_b32_e32 v3, 0x80000000, v3
	v_lshl_add_u32 v5, v6, 23, v5
	v_or3_b32 v3, v3, v5, v4
	v_trunc_f32_e32 v3, v3
	s_mov_b32 s10, 0x2f800000
	v_mul_f32_e64 v4, |v3|, s10
	v_floor_f32_e32 v4, v4
	s_mov_b32 s10, 0xcf800000
	v_fma_f32 v4, v4, s10, |v3|
	v_cvt_u32_f32_e32 v4, v4
	v_ashrrev_i32_e32 v3, 31, v3
	v_xor_b32_e32 v4, v4, v3
	v_sub_u32_e32 v3, v4, v3
.LBB15_863:
	s_or_b64 exec, exec, s[8:9]
.LBB15_864:
	s_mov_b64 s[8:9], -1
.LBB15_865:
	s_mov_b64 s[10:11], 0
.LBB15_866:
	s_and_b64 vcc, exec, s[10:11]
	s_cbranch_vccz .LBB15_897
; %bb.867:
	s_cmp_gt_i32 s12, 22
	s_cbranch_scc0 .LBB15_875
; %bb.868:
	s_cmp_lt_i32 s12, 24
	s_cbranch_scc1 .LBB15_878
; %bb.869:
	s_cmp_gt_i32 s12, 24
	s_cbranch_scc0 .LBB15_879
; %bb.870:
	global_load_ubyte v4, v[1:2], off
	s_movk_i32 s2, 0x7f
	s_mov_b64 s[8:9], 0
	s_waitcnt vmcnt(0)
	v_cmp_lt_i16_e32 vcc, s2, v4
	s_and_saveexec_b64 s[2:3], vcc
	s_xor_b64 s[2:3], exec, s[2:3]
	s_cbranch_execz .LBB15_891
; %bb.871:
	s_movk_i32 s8, 0x80
	v_cmp_ne_u16_e32 vcc, s8, v4
	s_and_b64 s[8:9], vcc, exec
	s_andn2_saveexec_b64 s[2:3], s[2:3]
	s_cbranch_execnz .LBB15_892
.LBB15_872:
	s_or_b64 exec, exec, s[2:3]
	v_mov_b32_e32 v3, 0
	s_and_saveexec_b64 s[2:3], s[8:9]
	s_cbranch_execz .LBB15_874
.LBB15_873:
	v_lshlrev_b32_e32 v3, 24, v4
	v_and_b32_e32 v4, 0xffff, v4
	v_and_b32_e32 v5, 3, v4
	v_ffbh_u32_e32 v7, v5
	v_min_u32_e32 v7, 32, v7
	v_subrev_u32_e32 v8, 29, v7
	v_bfe_u32 v6, v4, 2, 5
	v_lshlrev_b32_e32 v4, v8, v4
	v_sub_u32_e32 v7, 30, v7
	v_and_b32_e32 v4, 3, v4
	v_cmp_eq_u32_e32 vcc, 0, v6
	v_cndmask_b32_e32 v6, v6, v7, vcc
	v_cndmask_b32_e32 v4, v5, v4, vcc
	v_mov_b32_e32 v5, 0x37800000
	v_lshlrev_b32_e32 v4, 21, v4
	v_and_b32_e32 v3, 0x80000000, v3
	v_lshl_add_u32 v5, v6, 23, v5
	v_or3_b32 v3, v3, v5, v4
	v_trunc_f32_e32 v3, v3
	s_mov_b32 s8, 0x2f800000
	v_mul_f32_e64 v4, |v3|, s8
	v_floor_f32_e32 v4, v4
	s_mov_b32 s8, 0xcf800000
	v_fma_f32 v4, v4, s8, |v3|
	v_cvt_u32_f32_e32 v4, v4
	v_ashrrev_i32_e32 v3, 31, v3
	v_xor_b32_e32 v4, v4, v3
	v_sub_u32_e32 v3, v4, v3
.LBB15_874:
	s_or_b64 exec, exec, s[2:3]
	s_mov_b64 s[2:3], 0
	s_branch .LBB15_880
.LBB15_875:
	s_mov_b64 s[2:3], -1
                                        ; implicit-def: $vgpr3
	s_branch .LBB15_886
.LBB15_876:
	s_andn2_saveexec_b64 s[8:9], s[8:9]
	s_cbranch_execz .LBB15_861
.LBB15_877:
	v_cmp_ne_u16_e32 vcc, 0, v4
	s_andn2_b64 s[10:11], s[10:11], exec
	s_and_b64 s[14:15], vcc, exec
	s_or_b64 s[10:11], s[10:11], s[14:15]
	s_or_b64 exec, exec, s[8:9]
	v_mov_b32_e32 v3, 0
	s_and_saveexec_b64 s[8:9], s[10:11]
	s_cbranch_execnz .LBB15_862
	s_branch .LBB15_863
.LBB15_878:
	s_mov_b64 s[2:3], -1
                                        ; implicit-def: $vgpr3
	s_branch .LBB15_883
.LBB15_879:
	s_mov_b64 s[2:3], -1
                                        ; implicit-def: $vgpr3
.LBB15_880:
	s_and_b64 vcc, exec, s[2:3]
	s_cbranch_vccz .LBB15_882
; %bb.881:
	global_load_ubyte v3, v[1:2], off
	s_mov_b32 s2, 0x7f800000
	s_brev_b32 s3, 1
	s_mov_b32 s8, 0x2f800000
	s_waitcnt vmcnt(0)
	v_lshlrev_b32_e32 v3, 24, v3
	v_and_b32_e32 v4, 0x7f000000, v3
	v_ffbh_u32_e32 v5, v4
	v_min_u32_e32 v5, 32, v5
	v_sub_u32_e64 v5, v5, 4 clamp
	v_lshlrev_b32_e32 v7, v5, v4
	v_lshlrev_b32_e32 v5, 23, v5
	v_lshrrev_b32_e32 v7, 4, v7
	v_add_u32_e32 v6, 0x1000000, v4
	v_sub_u32_e32 v5, v7, v5
	v_ashrrev_i32_e32 v6, 8, v6
	v_add_u32_e32 v5, 0x3c000000, v5
	v_and_or_b32 v5, v6, s2, v5
	v_cmp_ne_u32_e32 vcc, 0, v4
	v_cndmask_b32_e32 v4, 0, v5, vcc
	v_and_or_b32 v3, v3, s3, v4
	v_trunc_f32_e32 v3, v3
	v_mul_f32_e64 v4, |v3|, s8
	v_floor_f32_e32 v4, v4
	s_mov_b32 s2, 0xcf800000
	v_fma_f32 v4, v4, s2, |v3|
	v_cvt_u32_f32_e32 v4, v4
	v_ashrrev_i32_e32 v3, 31, v3
	v_xor_b32_e32 v4, v4, v3
	v_sub_u32_e32 v3, v4, v3
.LBB15_882:
	s_mov_b64 s[2:3], 0
.LBB15_883:
	s_andn2_b64 vcc, exec, s[2:3]
	s_cbranch_vccnz .LBB15_885
; %bb.884:
	global_load_ubyte v3, v[1:2], off
	s_movk_i32 s2, 0x7f00
	s_brev_b32 s3, 16
	s_brev_b32 s8, 1
	s_mov_b32 s9, 0x2f800000
	s_waitcnt vmcnt(0)
	v_lshlrev_b16_e32 v4, 8, v3
	v_lshlrev_b32_e32 v3, 25, v3
	v_lshrrev_b32_e32 v5, 4, v3
	v_and_or_b32 v6, v4, s2, 0.5
	v_or_b32_e32 v5, 0x70000000, v5
	v_add_f32_e32 v6, -0.5, v6
	v_mul_f32_e32 v5, 0x7800000, v5
	v_cmp_gt_u32_e32 vcc, s3, v3
	v_bfe_i32 v4, v4, 0, 16
	v_cndmask_b32_e32 v3, v5, v6, vcc
	v_and_or_b32 v3, v4, s8, v3
	v_trunc_f32_e32 v3, v3
	v_mul_f32_e64 v4, |v3|, s9
	v_floor_f32_e32 v4, v4
	s_mov_b32 s2, 0xcf800000
	v_fma_f32 v4, v4, s2, |v3|
	v_cvt_u32_f32_e32 v4, v4
	v_ashrrev_i32_e32 v3, 31, v3
	v_xor_b32_e32 v4, v4, v3
	v_sub_u32_e32 v3, v4, v3
.LBB15_885:
	s_mov_b64 s[2:3], 0
	s_mov_b64 s[8:9], -1
.LBB15_886:
	s_andn2_b64 vcc, exec, s[2:3]
	s_mov_b64 s[2:3], 0
	s_cbranch_vccnz .LBB15_897
; %bb.887:
	s_cmp_gt_i32 s12, 14
	s_cbranch_scc0 .LBB15_890
; %bb.888:
	s_cmp_eq_u32 s12, 15
	s_cbranch_scc0 .LBB15_893
; %bb.889:
	global_load_ushort v3, v[1:2], off
	s_mov_b32 s0, 0x2f800000
	s_mov_b32 s1, 0xcf800000
	s_mov_b64 s[8:9], -1
	s_waitcnt vmcnt(0)
	v_lshlrev_b32_e32 v3, 16, v3
	v_trunc_f32_e32 v3, v3
	v_mul_f32_e64 v4, |v3|, s0
	v_floor_f32_e32 v4, v4
	v_fma_f32 v4, v4, s1, |v3|
	v_cvt_u32_f32_e32 v4, v4
	v_ashrrev_i32_e32 v3, 31, v3
	s_mov_b64 s[0:1], 0
	v_xor_b32_e32 v4, v4, v3
	v_sub_u32_e32 v3, v4, v3
	s_branch .LBB15_894
.LBB15_890:
	s_mov_b64 s[10:11], -1
                                        ; implicit-def: $vgpr3
	s_branch .LBB15_895
.LBB15_891:
	s_andn2_saveexec_b64 s[2:3], s[2:3]
	s_cbranch_execz .LBB15_872
.LBB15_892:
	v_cmp_ne_u16_e32 vcc, 0, v4
	s_andn2_b64 s[8:9], s[8:9], exec
	s_and_b64 s[10:11], vcc, exec
	s_or_b64 s[8:9], s[8:9], s[10:11]
	s_or_b64 exec, exec, s[2:3]
	v_mov_b32_e32 v3, 0
	s_and_saveexec_b64 s[2:3], s[8:9]
	s_cbranch_execnz .LBB15_873
	s_branch .LBB15_874
.LBB15_893:
	s_mov_b64 s[0:1], -1
                                        ; implicit-def: $vgpr3
.LBB15_894:
	s_mov_b64 s[10:11], 0
.LBB15_895:
	s_and_b64 vcc, exec, s[10:11]
	s_cbranch_vccz .LBB15_897
; %bb.896:
	s_cmp_lg_u32 s12, 11
	s_cselect_b64 s[10:11], -1, 0
	s_andn2_b64 s[0:1], s[0:1], exec
	s_and_b64 s[10:11], s[10:11], exec
	s_mov_b64 s[2:3], -1
	s_or_b64 s[0:1], s[0:1], s[10:11]
.LBB15_897:
	s_mov_b64 s[12:13], 0
.LBB15_898:
	s_and_b64 s[10:11], s[8:9], exec
	s_and_b64 s[8:9], s[12:13], exec
	s_andn2_b64 s[12:13], s[70:71], exec
	s_and_b64 s[0:1], s[0:1], exec
	s_and_b64 s[2:3], s[2:3], exec
	s_or_b64 s[12:13], s[12:13], s[0:1]
.LBB15_899:
	s_or_b64 exec, exec, s[74:75]
	s_and_b64 s[0:1], s[2:3], exec
	s_andn2_b64 s[2:3], s[70:71], exec
	s_and_b64 s[12:13], s[12:13], exec
	s_and_b64 s[10:11], s[10:11], exec
	s_and_b64 s[8:9], s[8:9], exec
	s_or_b64 s[70:71], s[2:3], s[12:13]
.LBB15_900:
	s_or_b64 exec, exec, s[68:69]
	s_andn2_b64 s[2:3], s[64:65], exec
	s_and_b64 s[12:13], s[72:73], exec
	s_or_b64 s[64:65], s[2:3], s[12:13]
	s_and_b64 s[2:3], s[0:1], exec
	s_andn2_b64 s[0:1], s[62:63], exec
	s_and_b64 s[12:13], s[70:71], exec
	s_and_b64 s[10:11], s[10:11], exec
	;; [unrolled: 1-line block ×3, first 2 shown]
	s_or_b64 s[62:63], s[0:1], s[12:13]
.LBB15_901:
	s_or_b64 exec, exec, s[66:67]
	s_andn2_b64 s[0:1], s[56:57], exec
	s_and_b64 s[12:13], s[64:65], exec
	s_or_b64 s[56:57], s[0:1], s[12:13]
	s_and_b64 s[0:1], s[10:11], exec
	s_and_b64 s[10:11], s[8:9], exec
	;; [unrolled: 1-line block ×3, first 2 shown]
	s_andn2_b64 s[2:3], s[58:59], exec
	s_and_b64 s[8:9], s[62:63], exec
	s_or_b64 s[58:59], s[2:3], s[8:9]
	s_or_b64 exec, exec, s[60:61]
	s_mov_b64 s[2:3], 0
	s_and_saveexec_b64 s[8:9], s[58:59]
	s_cbranch_execz .LBB15_270
.LBB15_902:
	s_mov_b64 s[2:3], exec
	s_andn2_b64 s[64:65], s[64:65], exec
	s_trap 2
	s_or_b64 exec, exec, s[8:9]
	s_and_saveexec_b64 s[8:9], s[64:65]
	s_xor_b64 s[8:9], exec, s[8:9]
	s_cbranch_execnz .LBB15_271
.LBB15_903:
	s_or_b64 exec, exec, s[8:9]
	s_and_saveexec_b64 s[8:9], s[10:11]
	s_cbranch_execz .LBB15_949
.LBB15_904:
	s_sext_i32_i16 s10, s78
	s_cmp_lt_i32 s10, 5
	s_cbranch_scc1 .LBB15_909
; %bb.905:
	s_cmp_lt_i32 s10, 8
	s_cbranch_scc1 .LBB15_910
; %bb.906:
	;; [unrolled: 3-line block ×3, first 2 shown]
	s_cmp_gt_i32 s10, 9
	s_cbranch_scc0 .LBB15_912
; %bb.908:
	global_load_dwordx2 v[3:4], v[1:2], off
	s_movk_i32 s10, 0xffe0
	s_waitcnt vmcnt(0)
	v_trunc_f64_e32 v[3:4], v[3:4]
	v_ldexp_f64 v[5:6], v[3:4], s10
	s_mov_b32 s10, 0
	s_mov_b32 s11, 0xc1f00000
	v_floor_f64_e32 v[5:6], v[5:6]
	v_fma_f64 v[3:4], v[5:6], s[10:11], v[3:4]
	s_mov_b64 s[10:11], 0
	v_cvt_u32_f64_e32 v3, v[3:4]
	s_branch .LBB15_913
.LBB15_909:
                                        ; implicit-def: $vgpr3
	s_branch .LBB15_930
.LBB15_910:
                                        ; implicit-def: $vgpr3
	s_branch .LBB15_919
.LBB15_911:
	s_mov_b64 s[10:11], -1
                                        ; implicit-def: $vgpr3
	s_branch .LBB15_916
.LBB15_912:
	s_mov_b64 s[10:11], -1
                                        ; implicit-def: $vgpr3
.LBB15_913:
	s_andn2_b64 vcc, exec, s[10:11]
	s_cbranch_vccnz .LBB15_915
; %bb.914:
	global_load_dword v3, v[1:2], off
	s_mov_b32 s10, 0x2f800000
	s_waitcnt vmcnt(0)
	v_trunc_f32_e32 v3, v3
	v_mul_f32_e64 v4, |v3|, s10
	v_floor_f32_e32 v4, v4
	s_mov_b32 s10, 0xcf800000
	v_fma_f32 v4, v4, s10, |v3|
	v_cvt_u32_f32_e32 v4, v4
	v_ashrrev_i32_e32 v3, 31, v3
	v_xor_b32_e32 v4, v4, v3
	v_sub_u32_e32 v3, v4, v3
.LBB15_915:
	s_mov_b64 s[10:11], 0
.LBB15_916:
	s_andn2_b64 vcc, exec, s[10:11]
	s_cbranch_vccnz .LBB15_918
; %bb.917:
	global_load_dword v3, v[1:2], off
	s_waitcnt vmcnt(0)
	v_cvt_f32_f16_e32 v3, v3
	v_cvt_i32_f32_e32 v3, v3
.LBB15_918:
	s_cbranch_execnz .LBB15_929
.LBB15_919:
	s_sext_i32_i16 s10, s78
	s_cmp_lt_i32 s10, 6
	s_cbranch_scc1 .LBB15_922
; %bb.920:
	s_cmp_gt_i32 s10, 6
	s_cbranch_scc0 .LBB15_923
; %bb.921:
	global_load_dwordx2 v[3:4], v[1:2], off
	s_movk_i32 s10, 0xffe0
	s_waitcnt vmcnt(0)
	v_trunc_f64_e32 v[3:4], v[3:4]
	v_ldexp_f64 v[5:6], v[3:4], s10
	s_mov_b32 s10, 0
	s_mov_b32 s11, 0xc1f00000
	v_floor_f64_e32 v[5:6], v[5:6]
	v_fma_f64 v[3:4], v[5:6], s[10:11], v[3:4]
	s_mov_b64 s[10:11], 0
	v_cvt_u32_f64_e32 v3, v[3:4]
	s_branch .LBB15_924
.LBB15_922:
	s_mov_b64 s[10:11], -1
                                        ; implicit-def: $vgpr3
	s_branch .LBB15_927
.LBB15_923:
	s_mov_b64 s[10:11], -1
                                        ; implicit-def: $vgpr3
.LBB15_924:
	s_andn2_b64 vcc, exec, s[10:11]
	s_cbranch_vccnz .LBB15_926
; %bb.925:
	global_load_dword v3, v[1:2], off
	s_mov_b32 s10, 0x2f800000
	s_waitcnt vmcnt(0)
	v_trunc_f32_e32 v3, v3
	v_mul_f32_e64 v4, |v3|, s10
	v_floor_f32_e32 v4, v4
	s_mov_b32 s10, 0xcf800000
	v_fma_f32 v4, v4, s10, |v3|
	v_cvt_u32_f32_e32 v4, v4
	v_ashrrev_i32_e32 v3, 31, v3
	v_xor_b32_e32 v4, v4, v3
	v_sub_u32_e32 v3, v4, v3
.LBB15_926:
	s_mov_b64 s[10:11], 0
.LBB15_927:
	s_andn2_b64 vcc, exec, s[10:11]
	s_cbranch_vccnz .LBB15_929
; %bb.928:
	global_load_ushort v3, v[1:2], off
	s_waitcnt vmcnt(0)
	v_cvt_f32_f16_e32 v3, v3
	v_cvt_i32_f32_e32 v3, v3
.LBB15_929:
	s_cbranch_execnz .LBB15_948
.LBB15_930:
	s_sext_i32_i16 s10, s78
	s_cmp_lt_i32 s10, 2
	s_cbranch_scc1 .LBB15_934
; %bb.931:
	s_cmp_lt_i32 s10, 3
	s_cbranch_scc1 .LBB15_935
; %bb.932:
	s_cmp_gt_i32 s10, 3
	s_cbranch_scc0 .LBB15_936
; %bb.933:
	global_load_dwordx2 v[3:4], v[1:2], off
	s_mov_b64 s[10:11], 0
	s_branch .LBB15_937
.LBB15_934:
                                        ; implicit-def: $vgpr3
	s_branch .LBB15_943
.LBB15_935:
	s_mov_b64 s[10:11], -1
                                        ; implicit-def: $vgpr3
	s_branch .LBB15_940
.LBB15_936:
	s_mov_b64 s[10:11], -1
                                        ; implicit-def: $vgpr3
.LBB15_937:
	s_andn2_b64 vcc, exec, s[10:11]
	s_cbranch_vccnz .LBB15_939
; %bb.938:
	global_load_dword v3, v[1:2], off
.LBB15_939:
	s_mov_b64 s[10:11], 0
.LBB15_940:
	s_andn2_b64 vcc, exec, s[10:11]
	s_cbranch_vccnz .LBB15_942
; %bb.941:
	global_load_ushort v3, v[1:2], off
.LBB15_942:
	s_cbranch_execnz .LBB15_948
.LBB15_943:
	s_sext_i32_i16 s10, s78
	s_cmp_gt_i32 s10, 0
	s_cbranch_scc0 .LBB15_945
; %bb.944:
	global_load_ubyte v3, v[1:2], off
	s_mov_b64 s[10:11], 0
	s_branch .LBB15_946
.LBB15_945:
	s_mov_b64 s[10:11], -1
                                        ; implicit-def: $vgpr3
.LBB15_946:
	s_andn2_b64 vcc, exec, s[10:11]
	s_cbranch_vccnz .LBB15_948
; %bb.947:
	global_load_ubyte v3, v[1:2], off
.LBB15_948:
	s_or_b64 s[0:1], s[0:1], exec
.LBB15_949:
	s_or_b64 exec, exec, s[8:9]
	s_mov_b64 s[14:15], 0
	s_mov_b64 s[12:13], 0
                                        ; implicit-def: $sgpr8_sgpr9
                                        ; implicit-def: $sgpr20
                                        ; implicit-def: $vgpr1_vgpr2
	s_and_saveexec_b64 s[10:11], s[0:1]
	s_cbranch_execz .LBB15_1024
; %bb.950:
	s_and_b32 s0, s45, 0xff
	s_waitcnt vmcnt(0)
	v_cmp_ne_u16_sdwa s[0:1], s0, v3 src0_sel:DWORD src1_sel:BYTE_0
	s_xor_b64 s[8:9], s[46:47], s[0:1]
	v_mov_b32_e32 v2, s25
	s_and_b32 s20, s77, 0xff
	v_add_co_u32_e32 v1, vcc, s24, v0
	s_cmp_lt_i32 s20, 11
	v_addc_co_u32_e32 v2, vcc, 0, v2, vcc
	s_cbranch_scc1 .LBB15_1027
; %bb.951:
	s_and_b32 s21, 0xffff, s20
	s_mov_b64 s[14:15], -1
	s_cmp_gt_i32 s21, 25
	s_mov_b64 s[0:1], s[56:57]
	s_cbranch_scc0 .LBB15_984
; %bb.952:
	s_mov_b64 s[12:13], -1
	s_cmp_gt_i32 s21, 28
	s_mov_b64 s[0:1], s[56:57]
	s_cbranch_scc0 .LBB15_968
; %bb.953:
	s_cmp_gt_i32 s21, 43
	s_mov_b64 s[0:1], s[56:57]
	s_cbranch_scc0 .LBB15_964
; %bb.954:
	;; [unrolled: 4-line block ×3, first 2 shown]
	s_cmp_eq_u32 s21, 46
	s_mov_b64 s[0:1], -1
	s_cbranch_scc0 .LBB15_957
; %bb.956:
	v_cndmask_b32_e64 v0, 0, 1.0, s[8:9]
	v_bfe_u32 v3, v0, 16, 1
	s_movk_i32 s0, 0x7fff
	v_add3_u32 v0, v0, v3, s0
	v_lshrrev_b32_e32 v0, 16, v0
	global_store_dword v[1:2], v0, off
	s_mov_b64 s[0:1], 0
.LBB15_957:
	s_mov_b64 s[12:13], 0
.LBB15_958:
	s_and_b64 vcc, exec, s[12:13]
	s_cbranch_vccz .LBB15_963
; %bb.959:
	s_cmp_eq_u32 s21, 44
	s_mov_b64 s[0:1], -1
	s_cbranch_scc0 .LBB15_963
; %bb.960:
	v_cndmask_b32_e64 v3, 0, 1.0, s[8:9]
	v_lshrrev_b32_e32 v0, 23, v3
	s_movk_i32 s0, 0xff
	v_cmp_ne_u32_e32 vcc, s0, v0
	v_mov_b32_e32 v4, 0xff
	s_and_saveexec_b64 s[12:13], vcc
; %bb.961:
	s_mov_b32 s0, 0x3fffff
	v_and_b32_e32 v4, 0x400000, v3
	v_and_or_b32 v3, v3, s0, v0
	v_cmp_ne_u32_e32 vcc, 0, v4
	v_cmp_ne_u32_e64 s[0:1], 0, v3
	s_and_b64 s[0:1], vcc, s[0:1]
	v_cndmask_b32_e64 v3, 0, 1, s[0:1]
	v_add_u32_e32 v4, v0, v3
; %bb.962:
	s_or_b64 exec, exec, s[12:13]
	s_mov_b64 s[0:1], 0
	global_store_byte v[1:2], v4, off
.LBB15_963:
	s_mov_b64 s[12:13], 0
.LBB15_964:
	s_and_b64 vcc, exec, s[12:13]
	s_cbranch_vccz .LBB15_967
; %bb.965:
	s_cmp_eq_u32 s21, 29
	s_mov_b64 s[0:1], -1
	s_cbranch_scc0 .LBB15_967
; %bb.966:
	s_mov_b32 s0, 0
	v_cndmask_b32_e64 v3, 0, 1, s[8:9]
	v_mov_b32_e32 v4, s0
	global_store_dwordx2 v[1:2], v[3:4], off
	s_mov_b64 s[0:1], 0
.LBB15_967:
	s_mov_b64 s[12:13], 0
.LBB15_968:
	s_and_b64 vcc, exec, s[12:13]
	s_cbranch_vccz .LBB15_983
; %bb.969:
	s_cmp_lt_i32 s21, 27
	s_mov_b64 s[12:13], -1
	s_cbranch_scc1 .LBB15_975
; %bb.970:
	s_cmp_gt_i32 s21, 27
	s_cbranch_scc0 .LBB15_972
; %bb.971:
	v_cndmask_b32_e64 v0, 0, 1, s[8:9]
	s_mov_b64 s[12:13], 0
	global_store_dword v[1:2], v0, off
.LBB15_972:
	s_andn2_b64 vcc, exec, s[12:13]
	s_cbranch_vccnz .LBB15_974
; %bb.973:
	v_cndmask_b32_e64 v0, 0, 1, s[8:9]
	global_store_short v[1:2], v0, off
.LBB15_974:
	s_mov_b64 s[12:13], 0
.LBB15_975:
	s_andn2_b64 vcc, exec, s[12:13]
	s_cbranch_vccnz .LBB15_983
; %bb.976:
	v_cndmask_b32_e64 v3, 0, 1.0, s[8:9]
	s_mov_b32 s12, 0x43800000
	v_cmp_gt_u32_e32 vcc, s12, v3
	v_mov_b32_e32 v4, 0x80
	s_and_saveexec_b64 s[12:13], vcc
	s_cbranch_execz .LBB15_982
; %bb.977:
	s_mov_b32 s14, 0x3bffffff
	v_cmp_lt_u32_e32 vcc, s14, v3
	s_mov_b64 s[14:15], 0
                                        ; implicit-def: $vgpr0
	s_and_saveexec_b64 s[16:17], vcc
	s_xor_b64 s[16:17], exec, s[16:17]
	s_cbranch_execz .LBB15_1140
; %bb.978:
	v_bfe_u32 v0, v3, 20, 1
	s_mov_b32 s18, 0x487ffff
	v_add3_u32 v0, v3, v0, s18
	s_mov_b64 s[14:15], exec
	v_lshrrev_b32_e32 v0, 20, v0
                                        ; implicit-def: $vgpr3
	s_andn2_saveexec_b64 s[16:17], s[16:17]
	s_cbranch_execnz .LBB15_1141
.LBB15_979:
	s_or_b64 exec, exec, s[16:17]
	v_mov_b32_e32 v4, 0
	s_and_saveexec_b64 s[16:17], s[14:15]
.LBB15_980:
	v_mov_b32_e32 v4, v0
.LBB15_981:
	s_or_b64 exec, exec, s[16:17]
.LBB15_982:
	s_or_b64 exec, exec, s[12:13]
	global_store_byte v[1:2], v4, off
.LBB15_983:
	s_mov_b64 s[14:15], 0
.LBB15_984:
	s_mov_b64 s[12:13], 0
	s_and_b64 vcc, exec, s[14:15]
	s_cbranch_vccz .LBB15_1028
; %bb.985:
	s_cmp_gt_i32 s21, 22
	s_mov_b64 s[14:15], -1
	s_cbranch_scc0 .LBB15_1017
; %bb.986:
	s_cmp_lt_i32 s21, 24
	s_cbranch_scc1 .LBB15_1006
; %bb.987:
	s_cmp_gt_i32 s21, 24
	s_cbranch_scc0 .LBB15_995
; %bb.988:
	v_cndmask_b32_e64 v3, 0, 1.0, s[8:9]
	s_mov_b32 s14, 0x47800000
	v_cmp_gt_u32_e32 vcc, s14, v3
	v_mov_b32_e32 v4, 0x80
	s_and_saveexec_b64 s[14:15], vcc
	s_cbranch_execz .LBB15_994
; %bb.989:
	s_mov_b32 s16, 0x37ffffff
	v_cmp_lt_u32_e32 vcc, s16, v3
	s_mov_b64 s[16:17], 0
                                        ; implicit-def: $vgpr0
	s_and_saveexec_b64 s[18:19], vcc
	s_xor_b64 s[18:19], exec, s[18:19]
	s_cbranch_execz .LBB15_1260
; %bb.990:
	v_bfe_u32 v0, v3, 21, 1
	s_mov_b32 s22, 0x88fffff
	v_add3_u32 v0, v3, v0, s22
	s_mov_b64 s[16:17], exec
	v_lshrrev_b32_e32 v0, 21, v0
                                        ; implicit-def: $vgpr3
	s_andn2_saveexec_b64 s[18:19], s[18:19]
	s_cbranch_execnz .LBB15_1261
.LBB15_991:
	s_or_b64 exec, exec, s[18:19]
	v_mov_b32_e32 v4, 0
	s_and_saveexec_b64 s[18:19], s[16:17]
.LBB15_992:
	v_mov_b32_e32 v4, v0
.LBB15_993:
	s_or_b64 exec, exec, s[18:19]
.LBB15_994:
	s_or_b64 exec, exec, s[14:15]
	s_mov_b64 s[14:15], 0
	global_store_byte v[1:2], v4, off
.LBB15_995:
	s_and_b64 vcc, exec, s[14:15]
	s_cbranch_vccz .LBB15_1005
; %bb.996:
	v_cndmask_b32_e64 v0, 0, 1.0, s[8:9]
	s_mov_b32 s14, 0x43f00000
	v_cmp_gt_u32_e32 vcc, s14, v0
                                        ; implicit-def: $vgpr3
	s_and_saveexec_b64 s[14:15], vcc
	s_xor_b64 s[14:15], exec, s[14:15]
	s_cbranch_execz .LBB15_1002
; %bb.997:
	s_mov_b32 s16, 0x3c7fffff
	v_cmp_lt_u32_e32 vcc, s16, v0
                                        ; implicit-def: $vgpr3
	s_and_saveexec_b64 s[16:17], vcc
	s_xor_b64 s[16:17], exec, s[16:17]
; %bb.998:
	v_bfe_u32 v3, v0, 20, 1
	s_mov_b32 s18, 0x407ffff
	v_add3_u32 v0, v0, v3, s18
	v_lshrrev_b32_e32 v3, 20, v0
	v_and_b32_e32 v0, 0xff00000, v0
	s_mov_b32 s18, 0x7f00000
	v_mov_b32_e32 v4, 0x7e
	v_cmp_ne_u32_e32 vcc, s18, v0
	v_cndmask_b32_e32 v3, v4, v3, vcc
                                        ; implicit-def: $vgpr0
; %bb.999:
	s_andn2_saveexec_b64 s[16:17], s[16:17]
; %bb.1000:
	v_add_f32_e32 v3, 0x46800000, v0
; %bb.1001:
	s_or_b64 exec, exec, s[16:17]
                                        ; implicit-def: $vgpr0
.LBB15_1002:
	s_andn2_saveexec_b64 s[14:15], s[14:15]
; %bb.1003:
	s_mov_b32 s16, 0x7f800000
	v_mov_b32_e32 v3, 0x7e
	v_mov_b32_e32 v4, 0x7f
	v_cmp_lt_u32_e32 vcc, s16, v0
	v_cndmask_b32_e32 v3, v3, v4, vcc
; %bb.1004:
	s_or_b64 exec, exec, s[14:15]
	global_store_byte v[1:2], v3, off
.LBB15_1005:
	s_mov_b64 s[14:15], 0
.LBB15_1006:
	s_andn2_b64 vcc, exec, s[14:15]
	s_cbranch_vccnz .LBB15_1016
; %bb.1007:
	v_cndmask_b32_e64 v0, 0, 1.0, s[8:9]
	s_mov_b32 s14, 0x47800000
	v_cmp_gt_u32_e32 vcc, s14, v0
                                        ; implicit-def: $vgpr3
	s_and_saveexec_b64 s[14:15], vcc
	s_xor_b64 s[14:15], exec, s[14:15]
	s_cbranch_execz .LBB15_1013
; %bb.1008:
	s_mov_b32 s16, 0x387fffff
	v_cmp_lt_u32_e32 vcc, s16, v0
                                        ; implicit-def: $vgpr3
	s_and_saveexec_b64 s[16:17], vcc
	s_xor_b64 s[16:17], exec, s[16:17]
; %bb.1009:
	v_bfe_u32 v3, v0, 21, 1
	s_mov_b32 s18, 0x80fffff
	v_add3_u32 v0, v0, v3, s18
	v_lshrrev_b32_e32 v3, 21, v0
                                        ; implicit-def: $vgpr0
; %bb.1010:
	s_andn2_saveexec_b64 s[16:17], s[16:17]
; %bb.1011:
	v_add_f32_e32 v3, 0x43000000, v0
; %bb.1012:
	s_or_b64 exec, exec, s[16:17]
                                        ; implicit-def: $vgpr0
.LBB15_1013:
	s_andn2_saveexec_b64 s[14:15], s[14:15]
; %bb.1014:
	s_mov_b32 s16, 0x7f800000
	v_mov_b32_e32 v3, 0x7c
	v_mov_b32_e32 v4, 0x7f
	v_cmp_lt_u32_e32 vcc, s16, v0
	v_cndmask_b32_e32 v3, v3, v4, vcc
; %bb.1015:
	s_or_b64 exec, exec, s[14:15]
	global_store_byte v[1:2], v3, off
.LBB15_1016:
	s_mov_b64 s[14:15], 0
.LBB15_1017:
	s_andn2_b64 vcc, exec, s[14:15]
	s_mov_b64 s[14:15], 0
	s_cbranch_vccnz .LBB15_1029
; %bb.1018:
	s_cmp_gt_i32 s21, 14
	s_mov_b64 s[16:17], -1
	s_cbranch_scc0 .LBB15_1022
; %bb.1019:
	s_cmp_eq_u32 s21, 15
	s_mov_b64 s[0:1], -1
	s_cbranch_scc0 .LBB15_1021
; %bb.1020:
	v_cndmask_b32_e64 v0, 0, 1.0, s[8:9]
	v_bfe_u32 v3, v0, 16, 1
	s_movk_i32 s0, 0x7fff
	v_add3_u32 v0, v0, v3, s0
	global_store_short_d16_hi v[1:2], v0, off
	s_mov_b64 s[0:1], 0
.LBB15_1021:
	s_mov_b64 s[16:17], 0
.LBB15_1022:
	s_and_b64 vcc, exec, s[16:17]
	s_cbranch_vccz .LBB15_1029
; %bb.1023:
	s_cmp_lg_u32 s21, 11
	s_cselect_b64 s[16:17], -1, 0
	s_andn2_b64 s[0:1], s[0:1], exec
	s_and_b64 s[16:17], s[16:17], exec
	s_mov_b64 s[14:15], -1
	s_or_b64 s[0:1], s[0:1], s[16:17]
	s_branch .LBB15_1029
.LBB15_1024:
	s_or_b64 exec, exec, s[10:11]
	s_and_saveexec_b64 s[0:1], s[56:57]
	s_cbranch_execnz .LBB15_1030
.LBB15_1025:
	s_or_b64 exec, exec, s[0:1]
	s_and_saveexec_b64 s[0:1], s[14:15]
	s_xor_b64 s[0:1], exec, s[0:1]
	s_cbranch_execz .LBB15_1031
.LBB15_1026:
	v_cndmask_b32_e64 v0, 0, 1, s[8:9]
	global_store_byte v[1:2], v0, off
	s_or_b64 exec, exec, s[0:1]
	s_and_saveexec_b64 s[0:1], s[12:13]
	s_xor_b64 s[0:1], exec, s[0:1]
	s_cbranch_execz .LBB15_1069
	s_branch .LBB15_1032
.LBB15_1027:
	s_mov_b64 s[12:13], -1
	s_mov_b64 s[0:1], s[56:57]
	s_branch .LBB15_1029
.LBB15_1028:
	s_mov_b64 s[14:15], 0
.LBB15_1029:
	s_andn2_b64 s[16:17], s[56:57], exec
	s_and_b64 s[0:1], s[0:1], exec
	s_and_b64 s[12:13], s[12:13], exec
	;; [unrolled: 1-line block ×3, first 2 shown]
	s_or_b64 s[56:57], s[16:17], s[0:1]
	s_or_b64 exec, exec, s[10:11]
	s_and_saveexec_b64 s[0:1], s[56:57]
	s_cbranch_execz .LBB15_1025
.LBB15_1030:
	s_or_b64 s[2:3], s[2:3], exec
	s_andn2_b64 s[14:15], s[14:15], exec
	s_trap 2
	s_or_b64 exec, exec, s[0:1]
	s_and_saveexec_b64 s[0:1], s[14:15]
	s_xor_b64 s[0:1], exec, s[0:1]
	s_cbranch_execnz .LBB15_1026
.LBB15_1031:
	s_or_b64 exec, exec, s[0:1]
	s_and_saveexec_b64 s[0:1], s[12:13]
	s_xor_b64 s[0:1], exec, s[0:1]
	s_cbranch_execz .LBB15_1069
.LBB15_1032:
	s_sext_i32_i16 s12, s20
	s_cmp_lt_i32 s12, 5
	s_mov_b64 s[10:11], -1
	s_cbranch_scc1 .LBB15_1053
; %bb.1033:
	s_cmp_lt_i32 s12, 8
	s_cbranch_scc1 .LBB15_1043
; %bb.1034:
	s_cmp_lt_i32 s12, 9
	s_cbranch_scc1 .LBB15_1040
; %bb.1035:
	s_cmp_gt_i32 s12, 9
	s_cbranch_scc0 .LBB15_1037
; %bb.1036:
	v_cndmask_b32_e64 v0, 0, 1, s[8:9]
	s_waitcnt vmcnt(0)
	v_cvt_f64_u32_e32 v[3:4], v0
	v_mov_b32_e32 v5, 0
	v_mov_b32_e32 v6, v5
	s_mov_b64 s[10:11], 0
	global_store_dwordx4 v[1:2], v[3:6], off
.LBB15_1037:
	s_andn2_b64 vcc, exec, s[10:11]
	s_cbranch_vccnz .LBB15_1039
; %bb.1038:
	s_waitcnt vmcnt(0)
	v_cndmask_b32_e64 v3, 0, 1.0, s[8:9]
	v_mov_b32_e32 v4, 0
	global_store_dwordx2 v[1:2], v[3:4], off
.LBB15_1039:
	s_mov_b64 s[10:11], 0
.LBB15_1040:
	s_andn2_b64 vcc, exec, s[10:11]
	s_cbranch_vccnz .LBB15_1042
; %bb.1041:
	v_cndmask_b32_e64 v0, 0, 1.0, s[8:9]
	v_cvt_f16_f32_e32 v0, v0
	global_store_dword v[1:2], v0, off
.LBB15_1042:
	s_mov_b64 s[10:11], 0
.LBB15_1043:
	s_andn2_b64 vcc, exec, s[10:11]
	s_cbranch_vccnz .LBB15_1052
; %bb.1044:
	s_sext_i32_i16 s12, s20
	s_cmp_lt_i32 s12, 6
	s_mov_b64 s[10:11], -1
	s_cbranch_scc1 .LBB15_1050
; %bb.1045:
	s_cmp_gt_i32 s12, 6
	s_cbranch_scc0 .LBB15_1047
; %bb.1046:
	v_cndmask_b32_e64 v0, 0, 1, s[8:9]
	s_waitcnt vmcnt(0)
	v_cvt_f64_u32_e32 v[3:4], v0
	s_mov_b64 s[10:11], 0
	global_store_dwordx2 v[1:2], v[3:4], off
.LBB15_1047:
	s_andn2_b64 vcc, exec, s[10:11]
	s_cbranch_vccnz .LBB15_1049
; %bb.1048:
	v_cndmask_b32_e64 v0, 0, 1.0, s[8:9]
	global_store_dword v[1:2], v0, off
.LBB15_1049:
	s_mov_b64 s[10:11], 0
.LBB15_1050:
	s_andn2_b64 vcc, exec, s[10:11]
	s_cbranch_vccnz .LBB15_1052
; %bb.1051:
	v_cndmask_b32_e64 v0, 0, 1.0, s[8:9]
	v_cvt_f16_f32_e32 v0, v0
	global_store_short v[1:2], v0, off
.LBB15_1052:
	s_mov_b64 s[10:11], 0
.LBB15_1053:
	s_andn2_b64 vcc, exec, s[10:11]
	s_cbranch_vccnz .LBB15_1069
; %bb.1054:
	s_sext_i32_i16 s12, s20
	s_cmp_lt_i32 s12, 2
	s_mov_b64 s[10:11], -1
	s_cbranch_scc1 .LBB15_1064
; %bb.1055:
	s_cmp_lt_i32 s12, 3
	s_cbranch_scc1 .LBB15_1061
; %bb.1056:
	s_cmp_gt_i32 s12, 3
	s_cbranch_scc0 .LBB15_1058
; %bb.1057:
	s_mov_b32 s10, 0
	s_waitcnt vmcnt(0)
	v_cndmask_b32_e64 v3, 0, 1, s[8:9]
	v_mov_b32_e32 v4, s10
	s_mov_b64 s[10:11], 0
	global_store_dwordx2 v[1:2], v[3:4], off
.LBB15_1058:
	s_andn2_b64 vcc, exec, s[10:11]
	s_cbranch_vccnz .LBB15_1060
; %bb.1059:
	v_cndmask_b32_e64 v0, 0, 1, s[8:9]
	global_store_dword v[1:2], v0, off
.LBB15_1060:
	s_mov_b64 s[10:11], 0
.LBB15_1061:
	s_andn2_b64 vcc, exec, s[10:11]
	s_cbranch_vccnz .LBB15_1063
; %bb.1062:
	v_cndmask_b32_e64 v0, 0, 1, s[8:9]
	global_store_short v[1:2], v0, off
.LBB15_1063:
	s_mov_b64 s[10:11], 0
.LBB15_1064:
	s_andn2_b64 vcc, exec, s[10:11]
	s_cbranch_vccnz .LBB15_1069
; %bb.1065:
	s_sext_i32_i16 s10, s20
	s_cmp_gt_i32 s10, 0
	s_mov_b64 s[10:11], -1
	s_cbranch_scc0 .LBB15_1067
; %bb.1066:
	v_cndmask_b32_e64 v0, 0, 1, s[8:9]
	s_mov_b64 s[10:11], 0
	global_store_byte v[1:2], v0, off
.LBB15_1067:
	s_andn2_b64 vcc, exec, s[10:11]
	s_cbranch_vccnz .LBB15_1069
; %bb.1068:
	v_cndmask_b32_e64 v0, 0, 1, s[8:9]
	global_store_byte v[1:2], v0, off
.LBB15_1069:
	s_or_b64 exec, exec, s[0:1]
	s_and_b64 s[28:29], s[2:3], exec
                                        ; implicit-def: $vgpr13
                                        ; implicit-def: $vgpr11
.LBB15_1070:
	s_or_saveexec_b64 s[30:31], s[42:43]
	s_mov_b64 s[0:1], 0
                                        ; implicit-def: $sgpr10_sgpr11
                                        ; implicit-def: $vgpr0_vgpr1
                                        ; implicit-def: $sgpr18
	s_xor_b64 exec, exec, s[30:31]
	s_cbranch_execz .LBB15_2057
; %bb.1071:
	v_cndmask_b32_e64 v0, 0, 1, s[40:41]
	v_cmp_ne_u32_e64 s[0:1], 1, v0
	s_andn2_b64 vcc, exec, s[40:41]
	s_cbranch_vccnz .LBB15_1077
; %bb.1072:
	s_cmp_lg_u32 s33, 0
	s_mov_b32 s36, 0
	s_cbranch_scc0 .LBB15_1078
; %bb.1073:
	s_min_u32 s37, s76, 15
	s_add_i32 s37, s37, 1
	s_cmp_eq_u32 s76, 2
	s_cbranch_scc1 .LBB15_1079
; %bb.1074:
	s_and_b32 s36, s37, 28
	s_add_u32 s2, s34, 0xc4
	s_addc_u32 s3, s35, 0
	v_mov_b32_e32 v8, 0
	s_mov_b32 s38, 0
	s_mov_b64 s[6:7], s[34:35]
	v_mov_b32_e32 v6, 0
	v_mov_b32_e32 v0, v11
.LBB15_1075:                            ; =>This Inner Loop Header: Depth=1
	s_load_dwordx8 s[16:23], s[6:7], 0x4
	s_load_dwordx4 s[24:27], s[6:7], 0x24
	s_load_dwordx8 s[8:15], s[2:3], 0x0
	s_add_u32 s6, s6, 48
	s_addc_u32 s7, s7, 0
	s_waitcnt lgkmcnt(0)
	v_mul_hi_u32 v1, s17, v0
	s_add_i32 s38, s38, 4
	s_add_u32 s2, s2, 32
	s_addc_u32 s3, s3, 0
	v_add_u32_e32 v1, v0, v1
	v_lshrrev_b32_e32 v1, s18, v1
	v_mul_lo_u32 v2, v1, s16
	s_waitcnt vmcnt(0)
	v_mul_hi_u32 v3, s20, v1
	s_cmp_lg_u32 s36, s38
	v_sub_u32_e32 v0, v0, v2
	v_add_u32_e32 v2, v1, v3
	v_mul_lo_u32 v3, v0, s8
	v_mul_lo_u32 v4, v0, s9
	v_lshrrev_b32_e32 v0, s21, v2
	v_mul_lo_u32 v2, v0, s19
	v_mul_hi_u32 v5, s23, v0
	v_sub_u32_e32 v1, v1, v2
	v_add_u32_e32 v2, v0, v5
	v_lshrrev_b32_e32 v2, s24, v2
	v_mul_hi_u32 v7, s26, v2
	v_mul_lo_u32 v9, v2, s22
	v_mul_lo_u32 v5, v1, s10
	;; [unrolled: 1-line block ×3, first 2 shown]
	v_sub_u32_e32 v9, v0, v9
	v_add_u32_e32 v0, v2, v7
	v_lshrrev_b32_e32 v0, s27, v0
	v_mul_lo_u32 v7, v0, s25
	v_mul_lo_u32 v10, v9, s12
	;; [unrolled: 1-line block ×3, first 2 shown]
	v_add3_u32 v3, v3, v6, v5
	v_sub_u32_e32 v2, v2, v7
	v_mul_lo_u32 v7, v2, s14
	v_mul_lo_u32 v2, v2, s15
	v_add3_u32 v1, v4, v8, v1
	v_add3_u32 v6, v10, v3, v7
	;; [unrolled: 1-line block ×3, first 2 shown]
	s_cbranch_scc1 .LBB15_1075
; %bb.1076:
	s_and_b32 s8, s37, 3
	s_cmp_eq_u32 s8, 0
	s_cbranch_scc0 .LBB15_1080
	s_branch .LBB15_1082
.LBB15_1077:
                                        ; implicit-def: $vgpr6
                                        ; implicit-def: $vgpr8
	s_branch .LBB15_1083
.LBB15_1078:
	v_mov_b32_e32 v6, 0
	v_mov_b32_e32 v8, 0
	s_branch .LBB15_1082
.LBB15_1079:
	v_mov_b32_e32 v6, 0
	v_mov_b32_e32 v8, 0
	;; [unrolled: 1-line block ×3, first 2 shown]
	s_and_b32 s8, s37, 3
	s_cmp_eq_u32 s8, 0
	s_cbranch_scc1 .LBB15_1082
.LBB15_1080:
	s_lshl_b32 s2, s36, 3
	s_add_u32 s2, s34, s2
	s_addc_u32 s3, s35, 0
	s_add_u32 s2, s2, 0xc4
	s_addc_u32 s3, s3, 0
	s_mul_i32 s6, s36, 12
	s_add_u32 s6, s34, s6
	s_addc_u32 s7, s35, 0
.LBB15_1081:                            ; =>This Inner Loop Header: Depth=1
	s_load_dwordx2 s[10:11], s[6:7], 0x4
	s_load_dword s9, s[6:7], 0xc
	s_load_dwordx2 s[12:13], s[2:3], 0x0
	s_add_u32 s6, s6, 12
	s_addc_u32 s7, s7, 0
	s_waitcnt lgkmcnt(0)
	v_mul_hi_u32 v1, s11, v0
	s_add_u32 s2, s2, 8
	s_addc_u32 s3, s3, 0
	s_add_i32 s8, s8, -1
	v_add_u32_e32 v1, v0, v1
	v_lshrrev_b32_e32 v1, s9, v1
	v_mul_lo_u32 v2, v1, s10
	s_cmp_lg_u32 s8, 0
	v_sub_u32_e32 v0, v0, v2
	v_mad_u64_u32 v[6:7], s[10:11], v0, s12, v[6:7]
	v_mad_u64_u32 v[8:9], s[10:11], v0, s13, v[8:9]
	v_mov_b32_e32 v0, v1
	s_cbranch_scc1 .LBB15_1081
.LBB15_1082:
	s_cbranch_execnz .LBB15_1085
.LBB15_1083:
	s_load_dwordx4 s[8:11], s[34:35], 0x4
	s_load_dwordx2 s[2:3], s[34:35], 0xc4
	s_cmp_lt_u32 s33, 2
	s_waitcnt lgkmcnt(0)
	v_mul_hi_u32 v0, s9, v11
	v_add_u32_e32 v0, v11, v0
	v_lshrrev_b32_e32 v0, s10, v0
	v_mul_lo_u32 v1, v0, s8
	v_sub_u32_e32 v1, v11, v1
	v_mul_lo_u32 v6, v1, s2
	v_mul_lo_u32 v8, v1, s3
	s_cbranch_scc1 .LBB15_1085
; %bb.1084:
	s_load_dwordx4 s[8:11], s[34:35], 0x10
	s_load_dwordx2 s[2:3], s[34:35], 0xcc
	s_waitcnt lgkmcnt(0)
	v_mul_hi_u32 v1, s9, v0
	v_add_u32_e32 v1, v0, v1
	v_lshrrev_b32_e32 v1, s10, v1
	v_mul_lo_u32 v1, v1, s8
	v_sub_u32_e32 v0, v0, v1
	v_mad_u64_u32 v[6:7], s[6:7], v0, s2, v[6:7]
	v_mad_u64_u32 v[8:9], s[2:3], v0, s3, v[8:9]
.LBB15_1085:
	s_and_b64 vcc, exec, s[0:1]
	v_add_u32_e32 v0, 0x80, v11
	s_cbranch_vccnz .LBB15_1091
; %bb.1086:
	s_cmp_lg_u32 s33, 0
	s_mov_b32 s36, 0
	s_cbranch_scc0 .LBB15_1092
; %bb.1087:
	s_min_u32 s37, s76, 15
	s_add_i32 s37, s37, 1
	s_cmp_eq_u32 s76, 2
	s_cbranch_scc1 .LBB15_1093
; %bb.1088:
	s_and_b32 s36, s37, 28
	s_add_u32 s2, s34, 0xc4
	s_addc_u32 s3, s35, 0
	v_mov_b32_e32 v9, 0
	s_mov_b32 s38, 0
	s_mov_b64 s[6:7], s[34:35]
	s_waitcnt vmcnt(0)
	v_mov_b32_e32 v4, 0
	v_mov_b32_e32 v1, v0
.LBB15_1089:                            ; =>This Inner Loop Header: Depth=1
	s_load_dwordx8 s[16:23], s[6:7], 0x4
	s_load_dwordx4 s[24:27], s[6:7], 0x24
	s_load_dwordx8 s[8:15], s[2:3], 0x0
	s_add_u32 s6, s6, 48
	s_addc_u32 s7, s7, 0
	s_waitcnt lgkmcnt(0)
	v_mul_hi_u32 v2, s17, v1
	s_add_i32 s38, s38, 4
	s_add_u32 s2, s2, 32
	s_addc_u32 s3, s3, 0
	v_add_u32_e32 v2, v1, v2
	v_lshrrev_b32_e32 v2, s18, v2
	v_mul_lo_u32 v3, v2, s16
	v_mul_hi_u32 v5, s20, v2
	s_cmp_lg_u32 s36, s38
	v_sub_u32_e32 v1, v1, v3
	v_add_u32_e32 v3, v2, v5
	v_mul_lo_u32 v5, v1, s8
	v_mul_lo_u32 v7, v1, s9
	v_lshrrev_b32_e32 v1, s21, v3
	v_mul_lo_u32 v3, v1, s19
	v_mul_hi_u32 v10, s23, v1
	v_sub_u32_e32 v2, v2, v3
	v_add_u32_e32 v3, v1, v10
	v_lshrrev_b32_e32 v3, s24, v3
	v_mul_hi_u32 v12, s26, v3
	v_mul_lo_u32 v14, v3, s22
	v_mul_lo_u32 v10, v2, s10
	;; [unrolled: 1-line block ×3, first 2 shown]
	v_sub_u32_e32 v14, v1, v14
	v_add_u32_e32 v1, v3, v12
	v_lshrrev_b32_e32 v1, s27, v1
	v_mul_lo_u32 v12, v1, s25
	v_mul_lo_u32 v15, v14, s12
	;; [unrolled: 1-line block ×3, first 2 shown]
	v_add3_u32 v4, v5, v4, v10
	v_sub_u32_e32 v3, v3, v12
	v_mul_lo_u32 v12, v3, s14
	v_mul_lo_u32 v3, v3, s15
	v_add3_u32 v2, v7, v9, v2
	v_add3_u32 v4, v15, v4, v12
	;; [unrolled: 1-line block ×3, first 2 shown]
	s_cbranch_scc1 .LBB15_1089
; %bb.1090:
	s_and_b32 s8, s37, 3
	s_cmp_eq_u32 s8, 0
	s_cbranch_scc0 .LBB15_1094
	s_branch .LBB15_1096
.LBB15_1091:
                                        ; implicit-def: $vgpr4
                                        ; implicit-def: $vgpr9
	s_branch .LBB15_1097
.LBB15_1092:
	s_waitcnt vmcnt(0)
	v_mov_b32_e32 v4, 0
	v_mov_b32_e32 v9, 0
	s_branch .LBB15_1096
.LBB15_1093:
	s_waitcnt vmcnt(0)
	v_mov_b32_e32 v4, 0
	v_mov_b32_e32 v9, 0
	;; [unrolled: 1-line block ×3, first 2 shown]
	s_and_b32 s8, s37, 3
	s_cmp_eq_u32 s8, 0
	s_cbranch_scc1 .LBB15_1096
.LBB15_1094:
	s_lshl_b32 s2, s36, 3
	s_add_u32 s2, s34, s2
	s_addc_u32 s3, s35, 0
	s_add_u32 s2, s2, 0xc4
	s_addc_u32 s3, s3, 0
	s_mul_i32 s6, s36, 12
	s_add_u32 s6, s34, s6
	s_addc_u32 s7, s35, 0
.LBB15_1095:                            ; =>This Inner Loop Header: Depth=1
	s_load_dwordx2 s[10:11], s[6:7], 0x4
	s_load_dword s9, s[6:7], 0xc
	s_load_dwordx2 s[12:13], s[2:3], 0x0
	s_add_u32 s6, s6, 12
	s_addc_u32 s7, s7, 0
	s_waitcnt lgkmcnt(0)
	v_mul_hi_u32 v2, s11, v1
	s_add_u32 s2, s2, 8
	s_addc_u32 s3, s3, 0
	s_add_i32 s8, s8, -1
	v_add_u32_e32 v2, v1, v2
	v_lshrrev_b32_e32 v2, s9, v2
	v_mul_lo_u32 v3, v2, s10
	s_cmp_lg_u32 s8, 0
	v_sub_u32_e32 v1, v1, v3
	v_mad_u64_u32 v[4:5], s[10:11], v1, s12, v[4:5]
	v_mad_u64_u32 v[9:10], s[10:11], v1, s13, v[9:10]
	v_mov_b32_e32 v1, v2
	s_cbranch_scc1 .LBB15_1095
.LBB15_1096:
	s_cbranch_execnz .LBB15_1099
.LBB15_1097:
	s_load_dwordx4 s[8:11], s[34:35], 0x4
	s_load_dwordx2 s[2:3], s[34:35], 0xc4
	s_cmp_lt_u32 s33, 2
	s_waitcnt lgkmcnt(0)
	v_mul_hi_u32 v1, s9, v0
	v_add_u32_e32 v1, v0, v1
	v_lshrrev_b32_e32 v1, s10, v1
	v_mul_lo_u32 v2, v1, s8
	v_sub_u32_e32 v0, v0, v2
	s_waitcnt vmcnt(0)
	v_mul_lo_u32 v4, v0, s2
	v_mul_lo_u32 v9, v0, s3
	s_cbranch_scc1 .LBB15_1099
; %bb.1098:
	s_load_dwordx4 s[8:11], s[34:35], 0x10
	s_load_dwordx2 s[2:3], s[34:35], 0xcc
	s_waitcnt lgkmcnt(0)
	v_mul_hi_u32 v0, s9, v1
	v_add_u32_e32 v0, v1, v0
	v_lshrrev_b32_e32 v0, s10, v0
	v_mul_lo_u32 v0, v0, s8
	v_sub_u32_e32 v0, v1, v0
	v_mad_u64_u32 v[4:5], s[6:7], v0, s2, v[4:5]
	v_mad_u64_u32 v[9:10], s[2:3], v0, s3, v[9:10]
.LBB15_1099:
	s_and_b64 vcc, exec, s[0:1]
	v_add_u32_e32 v0, 0x100, v11
	s_cbranch_vccnz .LBB15_1105
; %bb.1100:
	s_cmp_lg_u32 s33, 0
	s_mov_b32 s36, 0
	s_cbranch_scc0 .LBB15_1106
; %bb.1101:
	s_min_u32 s37, s76, 15
	s_add_i32 s37, s37, 1
	s_cmp_eq_u32 s76, 2
	s_cbranch_scc1 .LBB15_1107
; %bb.1102:
	s_and_b32 s36, s37, 28
	s_add_u32 s2, s34, 0xc4
	s_addc_u32 s3, s35, 0
	v_mov_b32_e32 v10, 0
	s_mov_b32 s38, 0
	s_mov_b64 s[6:7], s[34:35]
	v_mov_b32_e32 v2, 0
	v_mov_b32_e32 v1, v0
.LBB15_1103:                            ; =>This Inner Loop Header: Depth=1
	s_load_dwordx8 s[16:23], s[6:7], 0x4
	s_load_dwordx4 s[24:27], s[6:7], 0x24
	s_load_dwordx8 s[8:15], s[2:3], 0x0
	s_add_u32 s6, s6, 48
	s_addc_u32 s7, s7, 0
	s_waitcnt vmcnt(0) lgkmcnt(0)
	v_mul_hi_u32 v3, s17, v1
	s_add_i32 s38, s38, 4
	s_add_u32 s2, s2, 32
	s_addc_u32 s3, s3, 0
	v_add_u32_e32 v3, v1, v3
	v_lshrrev_b32_e32 v3, s18, v3
	v_mul_lo_u32 v5, v3, s16
	v_mul_hi_u32 v7, s20, v3
	s_cmp_lg_u32 s36, s38
	v_sub_u32_e32 v1, v1, v5
	v_add_u32_e32 v5, v3, v7
	v_mul_lo_u32 v7, v1, s8
	v_mul_lo_u32 v11, v1, s9
	v_lshrrev_b32_e32 v1, s21, v5
	v_mul_lo_u32 v5, v1, s19
	v_mul_hi_u32 v12, s23, v1
	v_sub_u32_e32 v3, v3, v5
	v_add_u32_e32 v5, v1, v12
	v_lshrrev_b32_e32 v5, s24, v5
	v_mul_hi_u32 v14, s26, v5
	v_mul_lo_u32 v15, v5, s22
	v_mul_lo_u32 v12, v3, s10
	;; [unrolled: 1-line block ×3, first 2 shown]
	v_sub_u32_e32 v15, v1, v15
	v_add_u32_e32 v1, v5, v14
	v_lshrrev_b32_e32 v1, s27, v1
	v_mul_lo_u32 v14, v1, s25
	v_mul_lo_u32 v16, v15, s12
	;; [unrolled: 1-line block ×3, first 2 shown]
	v_add3_u32 v2, v7, v2, v12
	v_sub_u32_e32 v5, v5, v14
	v_mul_lo_u32 v14, v5, s14
	v_mul_lo_u32 v5, v5, s15
	v_add3_u32 v3, v11, v10, v3
	v_add3_u32 v2, v16, v2, v14
	;; [unrolled: 1-line block ×3, first 2 shown]
	s_cbranch_scc1 .LBB15_1103
; %bb.1104:
	s_and_b32 s8, s37, 3
	s_cmp_eq_u32 s8, 0
	s_cbranch_scc0 .LBB15_1108
	s_branch .LBB15_1110
.LBB15_1105:
                                        ; implicit-def: $vgpr2
                                        ; implicit-def: $vgpr10
	s_branch .LBB15_1111
.LBB15_1106:
	v_mov_b32_e32 v2, 0
	v_mov_b32_e32 v10, 0
	s_branch .LBB15_1110
.LBB15_1107:
	v_mov_b32_e32 v2, 0
	v_mov_b32_e32 v10, 0
	;; [unrolled: 1-line block ×3, first 2 shown]
	s_and_b32 s8, s37, 3
	s_cmp_eq_u32 s8, 0
	s_cbranch_scc1 .LBB15_1110
.LBB15_1108:
	s_lshl_b32 s2, s36, 3
	s_add_u32 s2, s34, s2
	s_addc_u32 s3, s35, 0
	s_add_u32 s2, s2, 0xc4
	s_addc_u32 s3, s3, 0
	s_mul_i32 s6, s36, 12
	s_add_u32 s6, s34, s6
	s_addc_u32 s7, s35, 0
.LBB15_1109:                            ; =>This Inner Loop Header: Depth=1
	s_load_dwordx2 s[10:11], s[6:7], 0x4
	s_load_dword s9, s[6:7], 0xc
	s_load_dwordx2 s[12:13], s[2:3], 0x0
	s_add_u32 s6, s6, 12
	s_addc_u32 s7, s7, 0
	s_waitcnt vmcnt(0) lgkmcnt(0)
	v_mul_hi_u32 v3, s11, v1
	s_add_u32 s2, s2, 8
	s_addc_u32 s3, s3, 0
	s_add_i32 s8, s8, -1
	v_add_u32_e32 v3, v1, v3
	v_lshrrev_b32_e32 v5, s9, v3
	v_mul_lo_u32 v3, v5, s10
	s_cmp_lg_u32 s8, 0
	v_sub_u32_e32 v1, v1, v3
	v_mad_u64_u32 v[2:3], s[10:11], v1, s12, v[2:3]
	v_mad_u64_u32 v[10:11], s[10:11], v1, s13, v[10:11]
	v_mov_b32_e32 v1, v5
	s_cbranch_scc1 .LBB15_1109
.LBB15_1110:
	s_cbranch_execnz .LBB15_1113
.LBB15_1111:
	s_load_dwordx4 s[8:11], s[34:35], 0x4
	s_load_dwordx2 s[2:3], s[34:35], 0xc4
	s_cmp_lt_u32 s33, 2
	s_waitcnt lgkmcnt(0)
	v_mul_hi_u32 v1, s9, v0
	v_add_u32_e32 v1, v0, v1
	v_lshrrev_b32_e32 v1, s10, v1
	v_mul_lo_u32 v2, v1, s8
	v_sub_u32_e32 v0, v0, v2
	v_mul_lo_u32 v2, v0, s2
	v_mul_lo_u32 v10, v0, s3
	s_cbranch_scc1 .LBB15_1113
; %bb.1112:
	s_load_dwordx4 s[8:11], s[34:35], 0x10
	s_load_dwordx2 s[2:3], s[34:35], 0xcc
	s_waitcnt lgkmcnt(0)
	v_mul_hi_u32 v0, s9, v1
	v_add_u32_e32 v0, v1, v0
	v_lshrrev_b32_e32 v0, s10, v0
	v_mul_lo_u32 v0, v0, s8
	v_sub_u32_e32 v0, v1, v0
	s_waitcnt vmcnt(0)
	v_mad_u64_u32 v[2:3], s[6:7], v0, s2, v[2:3]
	v_mad_u64_u32 v[10:11], s[2:3], v0, s3, v[10:11]
.LBB15_1113:
	s_and_b64 vcc, exec, s[0:1]
	s_cbranch_vccnz .LBB15_1119
; %bb.1114:
	s_cmp_lg_u32 s33, 0
	s_mov_b32 s26, 0
	s_cbranch_scc0 .LBB15_1120
; %bb.1115:
	s_min_u32 s27, s76, 15
	s_add_i32 s27, s27, 1
	s_cmp_eq_u32 s76, 2
	s_cbranch_scc1 .LBB15_1121
; %bb.1116:
	s_and_b32 s26, s27, 28
	s_add_u32 s6, s34, 0xc4
	s_addc_u32 s7, s35, 0
	v_mov_b32_e32 v11, 0
	s_mov_b32 s36, 0
	s_mov_b64 s[24:25], s[34:35]
	v_mov_b32_e32 v0, 0
	v_mov_b32_e32 v1, v13
.LBB15_1117:                            ; =>This Inner Loop Header: Depth=1
	s_load_dwordx8 s[16:23], s[24:25], 0x4
	s_load_dwordx4 s[0:3], s[24:25], 0x24
	s_load_dwordx8 s[8:15], s[6:7], 0x0
	s_add_u32 s24, s24, 48
	s_addc_u32 s25, s25, 0
	s_waitcnt vmcnt(0) lgkmcnt(0)
	v_mul_hi_u32 v3, s17, v1
	s_add_i32 s36, s36, 4
	s_add_u32 s6, s6, 32
	s_addc_u32 s7, s7, 0
	v_add_u32_e32 v3, v1, v3
	v_lshrrev_b32_e32 v3, s18, v3
	v_mul_lo_u32 v5, v3, s16
	v_mul_hi_u32 v7, s20, v3
	s_cmp_lg_u32 s26, s36
	v_sub_u32_e32 v1, v1, v5
	v_add_u32_e32 v5, v3, v7
	v_mul_lo_u32 v7, v1, s8
	v_mul_lo_u32 v12, v1, s9
	v_lshrrev_b32_e32 v1, s21, v5
	v_mul_lo_u32 v5, v1, s19
	v_mul_hi_u32 v14, s23, v1
	v_sub_u32_e32 v3, v3, v5
	v_add_u32_e32 v5, v1, v14
	v_lshrrev_b32_e32 v5, s0, v5
	v_mul_hi_u32 v15, s2, v5
	v_mul_lo_u32 v16, v5, s22
	v_mul_lo_u32 v14, v3, s10
	;; [unrolled: 1-line block ×3, first 2 shown]
	v_sub_u32_e32 v16, v1, v16
	v_add_u32_e32 v1, v5, v15
	v_lshrrev_b32_e32 v1, s3, v1
	v_mul_lo_u32 v15, v1, s1
	v_mul_lo_u32 v17, v16, s12
	;; [unrolled: 1-line block ×3, first 2 shown]
	v_add3_u32 v0, v7, v0, v14
	v_sub_u32_e32 v5, v5, v15
	v_mul_lo_u32 v15, v5, s14
	v_mul_lo_u32 v5, v5, s15
	v_add3_u32 v3, v12, v11, v3
	v_add3_u32 v0, v17, v0, v15
	;; [unrolled: 1-line block ×3, first 2 shown]
	s_cbranch_scc1 .LBB15_1117
; %bb.1118:
	s_and_b32 s6, s27, 3
	s_cmp_eq_u32 s6, 0
	s_cbranch_scc0 .LBB15_1122
	s_branch .LBB15_1124
.LBB15_1119:
                                        ; implicit-def: $vgpr0
                                        ; implicit-def: $vgpr11
	s_branch .LBB15_1125
.LBB15_1120:
	v_mov_b32_e32 v0, 0
	v_mov_b32_e32 v11, 0
	s_branch .LBB15_1124
.LBB15_1121:
	v_mov_b32_e32 v0, 0
	v_mov_b32_e32 v11, 0
	;; [unrolled: 1-line block ×3, first 2 shown]
	s_and_b32 s6, s27, 3
	s_cmp_eq_u32 s6, 0
	s_cbranch_scc1 .LBB15_1124
.LBB15_1122:
	s_lshl_b32 s0, s26, 3
	s_add_u32 s0, s34, s0
	s_addc_u32 s1, s35, 0
	s_add_u32 s0, s0, 0xc4
	s_addc_u32 s1, s1, 0
	s_mul_i32 s2, s26, 12
	s_add_u32 s2, s34, s2
	s_addc_u32 s3, s35, 0
.LBB15_1123:                            ; =>This Inner Loop Header: Depth=1
	s_load_dwordx2 s[8:9], s[2:3], 0x4
	s_load_dword s7, s[2:3], 0xc
	s_load_dwordx2 s[10:11], s[0:1], 0x0
	s_add_u32 s2, s2, 12
	s_addc_u32 s3, s3, 0
	s_waitcnt vmcnt(0) lgkmcnt(0)
	v_mul_hi_u32 v3, s9, v1
	s_add_u32 s0, s0, 8
	s_addc_u32 s1, s1, 0
	s_add_i32 s6, s6, -1
	v_add_u32_e32 v3, v1, v3
	v_lshrrev_b32_e32 v3, s7, v3
	v_mul_lo_u32 v5, v3, s8
	s_cmp_lg_u32 s6, 0
	v_sub_u32_e32 v5, v1, v5
	v_mad_u64_u32 v[0:1], s[8:9], v5, s10, v[0:1]
	v_mad_u64_u32 v[11:12], s[8:9], v5, s11, v[11:12]
	v_mov_b32_e32 v1, v3
	s_cbranch_scc1 .LBB15_1123
.LBB15_1124:
	s_cbranch_execnz .LBB15_1127
.LBB15_1125:
	s_load_dwordx4 s[0:3], s[34:35], 0x4
	s_load_dwordx2 s[6:7], s[34:35], 0xc4
	s_cmp_lt_u32 s33, 2
	s_waitcnt lgkmcnt(0)
	v_mul_hi_u32 v0, s1, v13
	v_add_u32_e32 v0, v13, v0
	v_lshrrev_b32_e32 v1, s2, v0
	v_mul_lo_u32 v0, v1, s0
	s_waitcnt vmcnt(0)
	v_sub_u32_e32 v3, v13, v0
	v_mul_lo_u32 v0, v3, s6
	v_mul_lo_u32 v11, v3, s7
	s_cbranch_scc1 .LBB15_1127
; %bb.1126:
	s_load_dwordx4 s[0:3], s[34:35], 0x10
	s_load_dwordx2 s[6:7], s[34:35], 0xcc
	s_waitcnt lgkmcnt(0)
	v_mul_hi_u32 v3, s1, v1
	v_add_u32_e32 v3, v1, v3
	v_lshrrev_b32_e32 v3, s2, v3
	v_mul_lo_u32 v3, v3, s0
	v_sub_u32_e32 v3, v1, v3
	v_mad_u64_u32 v[0:1], s[0:1], v3, s6, v[0:1]
	v_mad_u64_u32 v[11:12], s[0:1], v3, s7, v[11:12]
.LBB15_1127:
	s_load_dwordx4 s[8:11], s[34:35], 0x148
	s_load_dword s12, s[4:5], 0x168
	s_waitcnt lgkmcnt(0)
	v_mov_b32_e32 v1, s11
	s_bfe_u32 s13, s12, 0x80008
	v_add_co_u32_e32 v12, vcc, s10, v8
	s_cmp_lt_i32 s13, 11
	v_addc_co_u32_e32 v13, vcc, 0, v1, vcc
	s_cbranch_scc1 .LBB15_1134
; %bb.1128:
	s_and_b32 s14, 0xffff, s13
	s_cmp_gt_i32 s14, 25
	s_mov_b64 s[4:5], 0
	s_cbranch_scc0 .LBB15_1136
; %bb.1129:
	s_cmp_gt_i32 s14, 28
	s_cbranch_scc0 .LBB15_1137
; %bb.1130:
	s_cmp_gt_i32 s14, 43
	;; [unrolled: 3-line block ×3, first 2 shown]
	s_cbranch_scc0 .LBB15_1139
; %bb.1132:
	s_cmp_eq_u32 s14, 46
	s_mov_b64 s[2:3], 0
	s_cbranch_scc0 .LBB15_1142
; %bb.1133:
	global_load_dword v1, v[12:13], off
	s_mov_b32 s0, 0x2f800000
	s_mov_b32 s1, 0xcf800000
	s_mov_b64 s[6:7], -1
	s_waitcnt vmcnt(0)
	v_lshlrev_b32_e32 v1, 16, v1
	v_trunc_f32_e32 v1, v1
	v_mul_f32_e64 v3, |v1|, s0
	v_floor_f32_e32 v3, v3
	v_fma_f32 v3, v3, s1, |v1|
	v_cvt_u32_f32_e32 v3, v3
	v_ashrrev_i32_e32 v1, 31, v1
	s_mov_b64 s[0:1], 0
	v_xor_b32_e32 v3, v3, v1
	v_sub_u32_e32 v7, v3, v1
	s_branch .LBB15_1143
.LBB15_1134:
	s_mov_b64 s[6:7], 0
                                        ; implicit-def: $vgpr7
	s_mov_b64 s[2:3], s[28:29]
	s_cbranch_execnz .LBB15_1201
.LBB15_1135:
	s_andn2_b64 vcc, exec, s[6:7]
	s_cbranch_vccz .LBB15_1246
	s_branch .LBB15_2055
.LBB15_1136:
	s_mov_b64 s[6:7], 0
	s_mov_b64 s[0:1], 0
                                        ; implicit-def: $vgpr7
	s_cbranch_execnz .LBB15_1168
	s_branch .LBB15_1197
.LBB15_1137:
	s_mov_b64 s[6:7], 0
	s_mov_b64 s[0:1], 0
                                        ; implicit-def: $vgpr7
	s_cbranch_execz .LBB15_1167
	s_branch .LBB15_1152
.LBB15_1138:
	s_mov_b64 s[6:7], 0
	s_mov_b64 s[0:1], 0
                                        ; implicit-def: $vgpr7
	s_cbranch_execnz .LBB15_1148
	s_branch .LBB15_1151
.LBB15_1139:
	s_mov_b64 s[2:3], -1
	s_mov_b64 s[6:7], 0
	s_mov_b64 s[0:1], 0
                                        ; implicit-def: $vgpr7
	s_branch .LBB15_1143
.LBB15_1140:
	s_andn2_saveexec_b64 s[16:17], s[16:17]
	s_cbranch_execz .LBB15_979
.LBB15_1141:
	v_add_f32_e32 v0, 0x46000000, v3
	v_and_b32_e32 v0, 0xff, v0
	v_cmp_ne_u32_e32 vcc, 0, v0
	s_andn2_b64 s[14:15], s[14:15], exec
	s_and_b64 s[18:19], vcc, exec
	s_or_b64 s[14:15], s[14:15], s[18:19]
	s_or_b64 exec, exec, s[16:17]
	v_mov_b32_e32 v4, 0
	s_and_saveexec_b64 s[16:17], s[14:15]
	s_cbranch_execnz .LBB15_980
	s_branch .LBB15_981
.LBB15_1142:
	s_mov_b64 s[0:1], -1
                                        ; implicit-def: $vgpr7
	s_mov_b64 s[6:7], 0
.LBB15_1143:
	s_and_b64 vcc, exec, s[2:3]
	s_cbranch_vccz .LBB15_1146
; %bb.1144:
	s_cmp_eq_u32 s14, 44
	s_cbranch_scc0 .LBB15_1147
; %bb.1145:
	global_load_ubyte v1, v[12:13], off
	s_mov_b32 s0, 0x2f800000
	s_mov_b32 s1, 0xcf800000
	s_mov_b64 s[6:7], -1
	s_waitcnt vmcnt(0)
	v_lshlrev_b32_e32 v3, 23, v1
	v_trunc_f32_e32 v3, v3
	v_mul_f32_e64 v5, |v3|, s0
	v_floor_f32_e32 v5, v5
	v_fma_f32 v5, v5, s1, |v3|
	v_cvt_u32_f32_e32 v5, v5
	v_ashrrev_i32_e32 v3, 31, v3
	v_cmp_ne_u32_e32 vcc, 0, v1
	s_mov_b64 s[0:1], 0
	v_xor_b32_e32 v5, v5, v3
	v_sub_u32_e32 v3, v5, v3
	v_cndmask_b32_e32 v7, 0, v3, vcc
.LBB15_1146:
	s_branch .LBB15_1151
.LBB15_1147:
	s_mov_b64 s[0:1], -1
                                        ; implicit-def: $vgpr7
	s_branch .LBB15_1151
.LBB15_1148:
	s_cmp_eq_u32 s14, 29
	s_cbranch_scc0 .LBB15_1150
; %bb.1149:
	global_load_dwordx2 v[7:8], v[12:13], off
	s_mov_b64 s[0:1], 0
	s_mov_b64 s[6:7], -1
	s_branch .LBB15_1151
.LBB15_1150:
	s_mov_b64 s[0:1], -1
                                        ; implicit-def: $vgpr7
.LBB15_1151:
	s_branch .LBB15_1167
.LBB15_1152:
	s_cmp_lt_i32 s14, 27
	s_cbranch_scc1 .LBB15_1155
; %bb.1153:
	s_cmp_gt_i32 s14, 27
	s_cbranch_scc0 .LBB15_1156
; %bb.1154:
	global_load_dword v7, v[12:13], off
	s_mov_b64 s[2:3], 0
	s_branch .LBB15_1157
.LBB15_1155:
	s_mov_b64 s[2:3], -1
                                        ; implicit-def: $vgpr7
	s_branch .LBB15_1160
.LBB15_1156:
	s_mov_b64 s[2:3], -1
                                        ; implicit-def: $vgpr7
.LBB15_1157:
	s_andn2_b64 vcc, exec, s[2:3]
	s_cbranch_vccnz .LBB15_1159
; %bb.1158:
	global_load_ushort v7, v[12:13], off
.LBB15_1159:
	s_mov_b64 s[2:3], 0
.LBB15_1160:
	s_andn2_b64 vcc, exec, s[2:3]
	s_cbranch_vccnz .LBB15_1166
; %bb.1161:
	global_load_ubyte v1, v[12:13], off
	s_movk_i32 s2, 0x7f
	s_mov_b64 s[6:7], 0
	s_waitcnt vmcnt(0)
	v_cmp_lt_i16_e32 vcc, s2, v1
	s_and_saveexec_b64 s[2:3], vcc
	s_xor_b64 s[2:3], exec, s[2:3]
	s_cbranch_execz .LBB15_1177
; %bb.1162:
	s_movk_i32 s6, 0x80
	v_cmp_ne_u16_e32 vcc, s6, v1
	s_and_b64 s[6:7], vcc, exec
	s_andn2_saveexec_b64 s[2:3], s[2:3]
	s_cbranch_execnz .LBB15_1178
.LBB15_1163:
	s_or_b64 exec, exec, s[2:3]
	v_mov_b32_e32 v7, 0
	s_and_saveexec_b64 s[2:3], s[6:7]
	s_cbranch_execz .LBB15_1165
.LBB15_1164:
	v_lshlrev_b32_e32 v3, 24, v1
	v_and_b32_e32 v1, 0xffff, v1
	v_and_b32_e32 v5, 7, v1
	v_ffbh_u32_e32 v8, v5
	v_min_u32_e32 v8, 32, v8
	v_subrev_u32_e32 v14, 28, v8
	v_bfe_u32 v7, v1, 3, 4
	v_lshlrev_b32_e32 v1, v14, v1
	v_sub_u32_e32 v8, 29, v8
	v_and_b32_e32 v1, 7, v1
	v_cmp_eq_u32_e32 vcc, 0, v7
	v_cndmask_b32_e32 v7, v7, v8, vcc
	v_cndmask_b32_e32 v1, v5, v1, vcc
	v_mov_b32_e32 v5, 0x3b800000
	v_lshlrev_b32_e32 v1, 20, v1
	v_and_b32_e32 v3, 0x80000000, v3
	v_lshl_add_u32 v5, v7, 23, v5
	v_or3_b32 v1, v3, v5, v1
	v_trunc_f32_e32 v1, v1
	s_mov_b32 s6, 0x2f800000
	v_mul_f32_e64 v3, |v1|, s6
	v_floor_f32_e32 v3, v3
	s_mov_b32 s6, 0xcf800000
	v_fma_f32 v3, v3, s6, |v1|
	v_cvt_u32_f32_e32 v3, v3
	v_ashrrev_i32_e32 v1, 31, v1
	v_xor_b32_e32 v3, v3, v1
	v_sub_u32_e32 v7, v3, v1
.LBB15_1165:
	s_or_b64 exec, exec, s[2:3]
.LBB15_1166:
	s_mov_b64 s[6:7], -1
.LBB15_1167:
	s_branch .LBB15_1197
.LBB15_1168:
	s_cmp_gt_i32 s14, 22
	s_cbranch_scc0 .LBB15_1176
; %bb.1169:
	s_cmp_lt_i32 s14, 24
	s_cbranch_scc1 .LBB15_1179
; %bb.1170:
	s_cmp_gt_i32 s14, 24
	s_cbranch_scc0 .LBB15_1180
; %bb.1171:
	global_load_ubyte v1, v[12:13], off
	s_movk_i32 s2, 0x7f
	s_waitcnt vmcnt(0)
	v_cmp_lt_i16_e32 vcc, s2, v1
	s_and_saveexec_b64 s[2:3], vcc
	s_xor_b64 s[2:3], exec, s[2:3]
	s_cbranch_execz .LBB15_1191
; %bb.1172:
	s_movk_i32 s4, 0x80
	v_cmp_ne_u16_e32 vcc, s4, v1
	s_and_b64 s[4:5], vcc, exec
	s_andn2_saveexec_b64 s[2:3], s[2:3]
	s_cbranch_execnz .LBB15_1192
.LBB15_1173:
	s_or_b64 exec, exec, s[2:3]
	v_mov_b32_e32 v7, 0
	s_and_saveexec_b64 s[2:3], s[4:5]
	s_cbranch_execz .LBB15_1175
.LBB15_1174:
	v_lshlrev_b32_e32 v3, 24, v1
	v_and_b32_e32 v1, 0xffff, v1
	v_and_b32_e32 v5, 3, v1
	v_ffbh_u32_e32 v8, v5
	v_min_u32_e32 v8, 32, v8
	v_subrev_u32_e32 v14, 29, v8
	v_bfe_u32 v7, v1, 2, 5
	v_lshlrev_b32_e32 v1, v14, v1
	v_sub_u32_e32 v8, 30, v8
	v_and_b32_e32 v1, 3, v1
	v_cmp_eq_u32_e32 vcc, 0, v7
	v_cndmask_b32_e32 v7, v7, v8, vcc
	v_cndmask_b32_e32 v1, v5, v1, vcc
	v_mov_b32_e32 v5, 0x37800000
	v_lshlrev_b32_e32 v1, 21, v1
	v_and_b32_e32 v3, 0x80000000, v3
	v_lshl_add_u32 v5, v7, 23, v5
	v_or3_b32 v1, v3, v5, v1
	v_trunc_f32_e32 v1, v1
	s_mov_b32 s4, 0x2f800000
	v_mul_f32_e64 v3, |v1|, s4
	v_floor_f32_e32 v3, v3
	s_mov_b32 s4, 0xcf800000
	v_fma_f32 v3, v3, s4, |v1|
	v_cvt_u32_f32_e32 v3, v3
	v_ashrrev_i32_e32 v1, 31, v1
	v_xor_b32_e32 v3, v3, v1
	v_sub_u32_e32 v7, v3, v1
.LBB15_1175:
	s_or_b64 exec, exec, s[2:3]
	s_mov_b64 s[2:3], 0
	s_branch .LBB15_1181
.LBB15_1176:
                                        ; implicit-def: $vgpr7
	s_mov_b64 s[4:5], 0
	s_branch .LBB15_1187
.LBB15_1177:
	s_andn2_saveexec_b64 s[2:3], s[2:3]
	s_cbranch_execz .LBB15_1163
.LBB15_1178:
	v_cmp_ne_u16_e32 vcc, 0, v1
	s_andn2_b64 s[6:7], s[6:7], exec
	s_and_b64 s[16:17], vcc, exec
	s_or_b64 s[6:7], s[6:7], s[16:17]
	s_or_b64 exec, exec, s[2:3]
	v_mov_b32_e32 v7, 0
	s_and_saveexec_b64 s[2:3], s[6:7]
	s_cbranch_execnz .LBB15_1164
	s_branch .LBB15_1165
.LBB15_1179:
	s_mov_b64 s[2:3], -1
                                        ; implicit-def: $vgpr7
	s_branch .LBB15_1184
.LBB15_1180:
	s_mov_b64 s[2:3], -1
                                        ; implicit-def: $vgpr7
.LBB15_1181:
	s_and_b64 vcc, exec, s[2:3]
	s_cbranch_vccz .LBB15_1183
; %bb.1182:
	global_load_ubyte v1, v[12:13], off
	s_mov_b32 s2, 0x7f800000
	s_brev_b32 s3, 1
	s_mov_b32 s4, 0x2f800000
	s_waitcnt vmcnt(0)
	v_lshlrev_b32_e32 v1, 24, v1
	v_and_b32_e32 v3, 0x7f000000, v1
	v_ffbh_u32_e32 v5, v3
	v_min_u32_e32 v5, 32, v5
	v_sub_u32_e64 v5, v5, 4 clamp
	v_lshlrev_b32_e32 v8, v5, v3
	v_lshlrev_b32_e32 v5, 23, v5
	v_lshrrev_b32_e32 v8, 4, v8
	v_add_u32_e32 v7, 0x1000000, v3
	v_sub_u32_e32 v5, v8, v5
	v_ashrrev_i32_e32 v7, 8, v7
	v_add_u32_e32 v5, 0x3c000000, v5
	v_and_or_b32 v5, v7, s2, v5
	v_cmp_ne_u32_e32 vcc, 0, v3
	v_cndmask_b32_e32 v3, 0, v5, vcc
	v_and_or_b32 v1, v1, s3, v3
	v_trunc_f32_e32 v1, v1
	v_mul_f32_e64 v3, |v1|, s4
	v_floor_f32_e32 v3, v3
	s_mov_b32 s2, 0xcf800000
	v_fma_f32 v3, v3, s2, |v1|
	v_cvt_u32_f32_e32 v3, v3
	v_ashrrev_i32_e32 v1, 31, v1
	v_xor_b32_e32 v3, v3, v1
	v_sub_u32_e32 v7, v3, v1
.LBB15_1183:
	s_mov_b64 s[2:3], 0
.LBB15_1184:
	s_andn2_b64 vcc, exec, s[2:3]
	s_cbranch_vccnz .LBB15_1186
; %bb.1185:
	global_load_ubyte v1, v[12:13], off
	s_movk_i32 s2, 0x7f00
	s_brev_b32 s3, 16
	s_brev_b32 s4, 1
	s_mov_b32 s5, 0x2f800000
	s_waitcnt vmcnt(0)
	v_lshlrev_b16_e32 v3, 8, v1
	v_lshlrev_b32_e32 v1, 25, v1
	v_lshrrev_b32_e32 v5, 4, v1
	v_and_or_b32 v7, v3, s2, 0.5
	v_or_b32_e32 v5, 0x70000000, v5
	v_add_f32_e32 v7, -0.5, v7
	v_mul_f32_e32 v5, 0x7800000, v5
	v_cmp_gt_u32_e32 vcc, s3, v1
	v_bfe_i32 v3, v3, 0, 16
	v_cndmask_b32_e32 v1, v5, v7, vcc
	v_and_or_b32 v1, v3, s4, v1
	v_trunc_f32_e32 v1, v1
	v_mul_f32_e64 v3, |v1|, s5
	v_floor_f32_e32 v3, v3
	s_mov_b32 s2, 0xcf800000
	v_fma_f32 v3, v3, s2, |v1|
	v_cvt_u32_f32_e32 v3, v3
	v_ashrrev_i32_e32 v1, 31, v1
	v_xor_b32_e32 v3, v3, v1
	v_sub_u32_e32 v7, v3, v1
.LBB15_1186:
	s_mov_b64 s[6:7], -1
	s_mov_b64 s[4:5], 0
	s_cbranch_execnz .LBB15_1197
.LBB15_1187:
	s_cmp_gt_i32 s14, 14
	s_cbranch_scc0 .LBB15_1190
; %bb.1188:
	s_cmp_eq_u32 s14, 15
	s_cbranch_scc0 .LBB15_1193
; %bb.1189:
	global_load_ushort v1, v[12:13], off
	s_mov_b32 s0, 0x2f800000
	s_mov_b32 s1, 0xcf800000
	s_mov_b64 s[6:7], -1
	s_waitcnt vmcnt(0)
	v_lshlrev_b32_e32 v1, 16, v1
	v_trunc_f32_e32 v1, v1
	v_mul_f32_e64 v3, |v1|, s0
	v_floor_f32_e32 v3, v3
	v_fma_f32 v3, v3, s1, |v1|
	v_cvt_u32_f32_e32 v3, v3
	v_ashrrev_i32_e32 v1, 31, v1
	s_mov_b64 s[0:1], 0
	v_xor_b32_e32 v3, v3, v1
	v_sub_u32_e32 v7, v3, v1
	s_branch .LBB15_1194
.LBB15_1190:
	s_mov_b64 s[2:3], -1
                                        ; implicit-def: $vgpr7
	s_branch .LBB15_1195
.LBB15_1191:
	s_andn2_saveexec_b64 s[2:3], s[2:3]
	s_cbranch_execz .LBB15_1173
.LBB15_1192:
	v_cmp_ne_u16_e32 vcc, 0, v1
	s_andn2_b64 s[4:5], s[4:5], exec
	s_and_b64 s[6:7], vcc, exec
	s_or_b64 s[4:5], s[4:5], s[6:7]
	s_or_b64 exec, exec, s[2:3]
	v_mov_b32_e32 v7, 0
	s_and_saveexec_b64 s[2:3], s[4:5]
	s_cbranch_execnz .LBB15_1174
	s_branch .LBB15_1175
.LBB15_1193:
	s_mov_b64 s[0:1], -1
                                        ; implicit-def: $vgpr7
.LBB15_1194:
	s_mov_b64 s[2:3], 0
.LBB15_1195:
	s_and_b64 vcc, exec, s[2:3]
	s_cbranch_vccz .LBB15_1197
; %bb.1196:
	s_cmp_lg_u32 s14, 11
	s_mov_b64 s[4:5], -1
	s_cselect_b64 s[0:1], -1, 0
.LBB15_1197:
	s_and_b64 vcc, exec, s[0:1]
	s_mov_b64 s[2:3], s[28:29]
	s_cbranch_vccnz .LBB15_1258
; %bb.1198:
	s_andn2_b64 vcc, exec, s[4:5]
	s_cbranch_vccnz .LBB15_1200
.LBB15_1199:
	global_load_ubyte v1, v[12:13], off
	s_mov_b64 s[6:7], -1
	s_waitcnt vmcnt(0)
	v_cmp_ne_u16_e32 vcc, 0, v1
	v_cndmask_b32_e64 v7, 0, 1, vcc
.LBB15_1200:
	s_branch .LBB15_1135
.LBB15_1201:
	s_and_b32 s4, 0xffff, s13
	s_cmp_lt_i32 s4, 5
	s_cbranch_scc1 .LBB15_1206
; %bb.1202:
	s_cmp_lt_i32 s4, 8
	s_cbranch_scc1 .LBB15_1207
; %bb.1203:
	;; [unrolled: 3-line block ×3, first 2 shown]
	s_cmp_gt_i32 s4, 9
	s_cbranch_scc0 .LBB15_1209
; %bb.1205:
	global_load_dwordx2 v[7:8], v[12:13], off
	s_movk_i32 s0, 0xffe0
	s_waitcnt vmcnt(0)
	v_trunc_f64_e32 v[7:8], v[7:8]
	v_ldexp_f64 v[14:15], v[7:8], s0
	s_mov_b32 s0, 0
	s_mov_b32 s1, 0xc1f00000
	v_floor_f64_e32 v[14:15], v[14:15]
	v_fma_f64 v[7:8], v[14:15], s[0:1], v[7:8]
	s_mov_b64 s[0:1], 0
	v_cvt_u32_f64_e32 v7, v[7:8]
	s_branch .LBB15_1210
.LBB15_1206:
                                        ; implicit-def: $vgpr7
	s_branch .LBB15_1227
.LBB15_1207:
                                        ; implicit-def: $vgpr7
	s_branch .LBB15_1216
.LBB15_1208:
	s_mov_b64 s[0:1], -1
                                        ; implicit-def: $vgpr7
	s_branch .LBB15_1213
.LBB15_1209:
	s_mov_b64 s[0:1], -1
                                        ; implicit-def: $vgpr7
.LBB15_1210:
	s_andn2_b64 vcc, exec, s[0:1]
	s_cbranch_vccnz .LBB15_1212
; %bb.1211:
	global_load_dword v1, v[12:13], off
	s_mov_b32 s0, 0x2f800000
	s_waitcnt vmcnt(0)
	v_trunc_f32_e32 v1, v1
	v_mul_f32_e64 v3, |v1|, s0
	v_floor_f32_e32 v3, v3
	s_mov_b32 s0, 0xcf800000
	v_fma_f32 v3, v3, s0, |v1|
	v_cvt_u32_f32_e32 v3, v3
	v_ashrrev_i32_e32 v1, 31, v1
	v_xor_b32_e32 v3, v3, v1
	v_sub_u32_e32 v7, v3, v1
.LBB15_1212:
	s_mov_b64 s[0:1], 0
.LBB15_1213:
	s_andn2_b64 vcc, exec, s[0:1]
	s_cbranch_vccnz .LBB15_1215
; %bb.1214:
	global_load_dword v1, v[12:13], off
	s_waitcnt vmcnt(0)
	v_cvt_f32_f16_e32 v1, v1
	v_cvt_i32_f32_e32 v7, v1
.LBB15_1215:
	s_cbranch_execnz .LBB15_1226
.LBB15_1216:
	s_cmp_lt_i32 s4, 6
	s_cbranch_scc1 .LBB15_1219
; %bb.1217:
	s_cmp_gt_i32 s4, 6
	s_cbranch_scc0 .LBB15_1220
; %bb.1218:
	global_load_dwordx2 v[7:8], v[12:13], off
	s_movk_i32 s0, 0xffe0
	s_waitcnt vmcnt(0)
	v_trunc_f64_e32 v[7:8], v[7:8]
	v_ldexp_f64 v[14:15], v[7:8], s0
	s_mov_b32 s0, 0
	s_mov_b32 s1, 0xc1f00000
	v_floor_f64_e32 v[14:15], v[14:15]
	v_fma_f64 v[7:8], v[14:15], s[0:1], v[7:8]
	s_mov_b64 s[0:1], 0
	v_cvt_u32_f64_e32 v7, v[7:8]
	s_branch .LBB15_1221
.LBB15_1219:
	s_mov_b64 s[0:1], -1
                                        ; implicit-def: $vgpr7
	s_branch .LBB15_1224
.LBB15_1220:
	s_mov_b64 s[0:1], -1
                                        ; implicit-def: $vgpr7
.LBB15_1221:
	s_andn2_b64 vcc, exec, s[0:1]
	s_cbranch_vccnz .LBB15_1223
; %bb.1222:
	global_load_dword v1, v[12:13], off
	s_mov_b32 s0, 0x2f800000
	s_waitcnt vmcnt(0)
	v_trunc_f32_e32 v1, v1
	v_mul_f32_e64 v3, |v1|, s0
	v_floor_f32_e32 v3, v3
	s_mov_b32 s0, 0xcf800000
	v_fma_f32 v3, v3, s0, |v1|
	v_cvt_u32_f32_e32 v3, v3
	v_ashrrev_i32_e32 v1, 31, v1
	v_xor_b32_e32 v3, v3, v1
	v_sub_u32_e32 v7, v3, v1
.LBB15_1223:
	s_mov_b64 s[0:1], 0
.LBB15_1224:
	s_andn2_b64 vcc, exec, s[0:1]
	s_cbranch_vccnz .LBB15_1226
; %bb.1225:
	global_load_ushort v1, v[12:13], off
	s_waitcnt vmcnt(0)
	v_cvt_f32_f16_e32 v1, v1
	v_cvt_i32_f32_e32 v7, v1
.LBB15_1226:
	s_cbranch_execnz .LBB15_1245
.LBB15_1227:
	s_cmp_lt_i32 s4, 2
	s_cbranch_scc1 .LBB15_1231
; %bb.1228:
	s_cmp_lt_i32 s4, 3
	s_cbranch_scc1 .LBB15_1232
; %bb.1229:
	s_cmp_gt_i32 s4, 3
	s_cbranch_scc0 .LBB15_1233
; %bb.1230:
	global_load_dwordx2 v[7:8], v[12:13], off
	s_mov_b64 s[0:1], 0
	s_branch .LBB15_1234
.LBB15_1231:
                                        ; implicit-def: $vgpr7
	s_branch .LBB15_1240
.LBB15_1232:
	s_mov_b64 s[0:1], -1
                                        ; implicit-def: $vgpr7
	s_branch .LBB15_1237
.LBB15_1233:
	s_mov_b64 s[0:1], -1
                                        ; implicit-def: $vgpr7
.LBB15_1234:
	s_andn2_b64 vcc, exec, s[0:1]
	s_cbranch_vccnz .LBB15_1236
; %bb.1235:
	global_load_dword v7, v[12:13], off
.LBB15_1236:
	s_mov_b64 s[0:1], 0
.LBB15_1237:
	s_andn2_b64 vcc, exec, s[0:1]
	s_cbranch_vccnz .LBB15_1239
; %bb.1238:
	global_load_ushort v7, v[12:13], off
.LBB15_1239:
	s_cbranch_execnz .LBB15_1245
.LBB15_1240:
	s_cmp_gt_i32 s4, 0
	s_cbranch_scc0 .LBB15_1242
; %bb.1241:
	global_load_ubyte v7, v[12:13], off
	s_mov_b64 s[0:1], 0
	s_branch .LBB15_1243
.LBB15_1242:
	s_mov_b64 s[0:1], -1
                                        ; implicit-def: $vgpr7
.LBB15_1243:
	s_andn2_b64 vcc, exec, s[0:1]
	s_cbranch_vccnz .LBB15_1245
; %bb.1244:
	global_load_ubyte v7, v[12:13], off
.LBB15_1245:
.LBB15_1246:
	s_lshr_b32 s0, s12, 8
	v_mov_b32_e32 v1, s11
	s_and_b32 s14, s0, 0xff
	v_add_co_u32_e32 v12, vcc, s10, v9
	s_cmp_lt_i32 s14, 11
	v_addc_co_u32_e32 v13, vcc, 0, v1, vcc
	s_cbranch_scc1 .LBB15_1253
; %bb.1247:
	s_and_b32 s15, 0xffff, s14
	s_cmp_gt_i32 s15, 25
	s_mov_b64 s[4:5], 0
	s_cbranch_scc0 .LBB15_1255
; %bb.1248:
	s_cmp_gt_i32 s15, 28
	s_cbranch_scc0 .LBB15_1256
; %bb.1249:
	s_cmp_gt_i32 s15, 43
	;; [unrolled: 3-line block ×3, first 2 shown]
	s_cbranch_scc0 .LBB15_1259
; %bb.1251:
	s_cmp_eq_u32 s15, 46
	s_mov_b64 s[12:13], 0
	s_cbranch_scc0 .LBB15_1262
; %bb.1252:
	global_load_dword v1, v[12:13], off
	s_mov_b32 s0, 0x2f800000
	s_mov_b32 s1, 0xcf800000
	s_mov_b64 s[6:7], -1
	s_waitcnt vmcnt(0)
	v_lshlrev_b32_e32 v1, 16, v1
	v_trunc_f32_e32 v1, v1
	v_mul_f32_e64 v3, |v1|, s0
	v_floor_f32_e32 v3, v3
	v_fma_f32 v3, v3, s1, |v1|
	v_cvt_u32_f32_e32 v3, v3
	v_ashrrev_i32_e32 v1, 31, v1
	s_mov_b64 s[0:1], 0
	v_xor_b32_e32 v3, v3, v1
	v_sub_u32_e32 v8, v3, v1
	s_branch .LBB15_1263
.LBB15_1253:
	s_mov_b64 s[6:7], 0
                                        ; implicit-def: $vgpr8
	s_cbranch_execnz .LBB15_1324
.LBB15_1254:
	s_andn2_b64 vcc, exec, s[6:7]
	s_cbranch_vccnz .LBB15_2055
	s_branch .LBB15_1371
.LBB15_1255:
	s_mov_b64 s[6:7], 0
	s_mov_b64 s[0:1], 0
                                        ; implicit-def: $vgpr8
	s_cbranch_execnz .LBB15_1290
	s_branch .LBB15_1320
.LBB15_1256:
	s_mov_b64 s[12:13], -1
	s_mov_b64 s[6:7], 0
	s_mov_b64 s[0:1], 0
                                        ; implicit-def: $vgpr8
	s_branch .LBB15_1273
.LBB15_1257:
	s_mov_b64 s[12:13], -1
	s_mov_b64 s[6:7], 0
	s_mov_b64 s[0:1], 0
                                        ; implicit-def: $vgpr8
	s_branch .LBB15_1268
.LBB15_1258:
	s_or_b64 s[2:3], s[28:29], exec
	s_trap 2
	s_cbranch_execz .LBB15_1199
	s_branch .LBB15_1200
.LBB15_1259:
	s_mov_b64 s[12:13], -1
	s_mov_b64 s[6:7], 0
	s_mov_b64 s[0:1], 0
                                        ; implicit-def: $vgpr8
	s_branch .LBB15_1263
.LBB15_1260:
	s_andn2_saveexec_b64 s[18:19], s[18:19]
	s_cbranch_execz .LBB15_991
.LBB15_1261:
	v_add_f32_e32 v0, 0x42800000, v3
	v_and_b32_e32 v0, 0xff, v0
	v_cmp_ne_u32_e32 vcc, 0, v0
	s_andn2_b64 s[16:17], s[16:17], exec
	s_and_b64 s[22:23], vcc, exec
	s_or_b64 s[16:17], s[16:17], s[22:23]
	s_or_b64 exec, exec, s[18:19]
	v_mov_b32_e32 v4, 0
	s_and_saveexec_b64 s[18:19], s[16:17]
	s_cbranch_execnz .LBB15_992
	s_branch .LBB15_993
.LBB15_1262:
	s_mov_b64 s[0:1], -1
                                        ; implicit-def: $vgpr8
	s_mov_b64 s[6:7], 0
.LBB15_1263:
	s_and_b64 vcc, exec, s[12:13]
	s_cbranch_vccz .LBB15_1267
; %bb.1264:
	s_cmp_eq_u32 s15, 44
	s_cbranch_scc0 .LBB15_1266
; %bb.1265:
	global_load_ubyte v1, v[12:13], off
	s_mov_b32 s0, 0x2f800000
	s_mov_b32 s1, 0xcf800000
	s_mov_b64 s[6:7], -1
	s_waitcnt vmcnt(0)
	v_lshlrev_b32_e32 v3, 23, v1
	v_trunc_f32_e32 v3, v3
	v_mul_f32_e64 v5, |v3|, s0
	v_floor_f32_e32 v5, v5
	v_fma_f32 v5, v5, s1, |v3|
	v_cvt_u32_f32_e32 v5, v5
	v_ashrrev_i32_e32 v3, 31, v3
	v_cmp_ne_u32_e32 vcc, 0, v1
	s_mov_b64 s[0:1], 0
	v_xor_b32_e32 v5, v5, v3
	v_sub_u32_e32 v3, v5, v3
	v_cndmask_b32_e32 v8, 0, v3, vcc
	s_branch .LBB15_1267
.LBB15_1266:
	s_mov_b64 s[0:1], -1
                                        ; implicit-def: $vgpr8
.LBB15_1267:
	s_mov_b64 s[12:13], 0
.LBB15_1268:
	s_and_b64 vcc, exec, s[12:13]
	s_cbranch_vccz .LBB15_1272
; %bb.1269:
	s_cmp_eq_u32 s15, 29
	s_cbranch_scc0 .LBB15_1271
; %bb.1270:
	global_load_dwordx2 v[8:9], v[12:13], off
	s_mov_b64 s[0:1], 0
	s_mov_b64 s[6:7], -1
	s_branch .LBB15_1272
.LBB15_1271:
	s_mov_b64 s[0:1], -1
                                        ; implicit-def: $vgpr8
.LBB15_1272:
	s_mov_b64 s[12:13], 0
.LBB15_1273:
	s_and_b64 vcc, exec, s[12:13]
	s_cbranch_vccz .LBB15_1289
; %bb.1274:
	s_cmp_lt_i32 s15, 27
	s_cbranch_scc1 .LBB15_1277
; %bb.1275:
	s_cmp_gt_i32 s15, 27
	s_cbranch_scc0 .LBB15_1278
; %bb.1276:
	global_load_dword v8, v[12:13], off
	s_mov_b64 s[6:7], 0
	s_branch .LBB15_1279
.LBB15_1277:
	s_mov_b64 s[6:7], -1
                                        ; implicit-def: $vgpr8
	s_branch .LBB15_1282
.LBB15_1278:
	s_mov_b64 s[6:7], -1
                                        ; implicit-def: $vgpr8
.LBB15_1279:
	s_andn2_b64 vcc, exec, s[6:7]
	s_cbranch_vccnz .LBB15_1281
; %bb.1280:
	global_load_ushort v8, v[12:13], off
.LBB15_1281:
	s_mov_b64 s[6:7], 0
.LBB15_1282:
	s_andn2_b64 vcc, exec, s[6:7]
	s_cbranch_vccnz .LBB15_1288
; %bb.1283:
	global_load_ubyte v1, v[12:13], off
	s_movk_i32 s6, 0x7f
	s_mov_b64 s[12:13], 0
	s_waitcnt vmcnt(0)
	v_cmp_lt_i16_e32 vcc, s6, v1
	s_and_saveexec_b64 s[6:7], vcc
	s_xor_b64 s[6:7], exec, s[6:7]
	s_cbranch_execz .LBB15_1299
; %bb.1284:
	s_movk_i32 s12, 0x80
	v_cmp_ne_u16_e32 vcc, s12, v1
	s_and_b64 s[12:13], vcc, exec
	s_andn2_saveexec_b64 s[6:7], s[6:7]
	s_cbranch_execnz .LBB15_1300
.LBB15_1285:
	s_or_b64 exec, exec, s[6:7]
	v_mov_b32_e32 v8, 0
	s_and_saveexec_b64 s[6:7], s[12:13]
	s_cbranch_execz .LBB15_1287
.LBB15_1286:
	v_lshlrev_b32_e32 v3, 24, v1
	v_and_b32_e32 v1, 0xffff, v1
	v_and_b32_e32 v5, 7, v1
	v_ffbh_u32_e32 v9, v5
	v_min_u32_e32 v9, 32, v9
	v_subrev_u32_e32 v14, 28, v9
	v_bfe_u32 v8, v1, 3, 4
	v_lshlrev_b32_e32 v1, v14, v1
	v_sub_u32_e32 v9, 29, v9
	v_and_b32_e32 v1, 7, v1
	v_cmp_eq_u32_e32 vcc, 0, v8
	v_cndmask_b32_e32 v8, v8, v9, vcc
	v_cndmask_b32_e32 v1, v5, v1, vcc
	v_mov_b32_e32 v5, 0x3b800000
	v_lshlrev_b32_e32 v1, 20, v1
	v_and_b32_e32 v3, 0x80000000, v3
	v_lshl_add_u32 v5, v8, 23, v5
	v_or3_b32 v1, v3, v5, v1
	v_trunc_f32_e32 v1, v1
	s_mov_b32 s12, 0x2f800000
	v_mul_f32_e64 v3, |v1|, s12
	v_floor_f32_e32 v3, v3
	s_mov_b32 s12, 0xcf800000
	v_fma_f32 v3, v3, s12, |v1|
	v_cvt_u32_f32_e32 v3, v3
	v_ashrrev_i32_e32 v1, 31, v1
	v_xor_b32_e32 v3, v3, v1
	v_sub_u32_e32 v8, v3, v1
.LBB15_1287:
	s_or_b64 exec, exec, s[6:7]
.LBB15_1288:
	s_mov_b64 s[6:7], -1
.LBB15_1289:
	s_branch .LBB15_1320
.LBB15_1290:
	s_cmp_gt_i32 s15, 22
	s_cbranch_scc0 .LBB15_1298
; %bb.1291:
	s_cmp_lt_i32 s15, 24
	s_cbranch_scc1 .LBB15_1301
; %bb.1292:
	s_cmp_gt_i32 s15, 24
	s_cbranch_scc0 .LBB15_1302
; %bb.1293:
	global_load_ubyte v1, v[12:13], off
	s_movk_i32 s4, 0x7f
	s_mov_b64 s[6:7], 0
	s_waitcnt vmcnt(0)
	v_cmp_lt_i16_e32 vcc, s4, v1
	s_and_saveexec_b64 s[4:5], vcc
	s_xor_b64 s[4:5], exec, s[4:5]
	s_cbranch_execz .LBB15_1314
; %bb.1294:
	s_movk_i32 s6, 0x80
	v_cmp_ne_u16_e32 vcc, s6, v1
	s_and_b64 s[6:7], vcc, exec
	s_andn2_saveexec_b64 s[4:5], s[4:5]
	s_cbranch_execnz .LBB15_1315
.LBB15_1295:
	s_or_b64 exec, exec, s[4:5]
	v_mov_b32_e32 v8, 0
	s_and_saveexec_b64 s[4:5], s[6:7]
	s_cbranch_execz .LBB15_1297
.LBB15_1296:
	v_lshlrev_b32_e32 v3, 24, v1
	v_and_b32_e32 v1, 0xffff, v1
	v_and_b32_e32 v5, 3, v1
	v_ffbh_u32_e32 v9, v5
	v_min_u32_e32 v9, 32, v9
	v_subrev_u32_e32 v14, 29, v9
	v_bfe_u32 v8, v1, 2, 5
	v_lshlrev_b32_e32 v1, v14, v1
	v_sub_u32_e32 v9, 30, v9
	v_and_b32_e32 v1, 3, v1
	v_cmp_eq_u32_e32 vcc, 0, v8
	v_cndmask_b32_e32 v8, v8, v9, vcc
	v_cndmask_b32_e32 v1, v5, v1, vcc
	v_mov_b32_e32 v5, 0x37800000
	v_lshlrev_b32_e32 v1, 21, v1
	v_and_b32_e32 v3, 0x80000000, v3
	v_lshl_add_u32 v5, v8, 23, v5
	v_or3_b32 v1, v3, v5, v1
	v_trunc_f32_e32 v1, v1
	s_mov_b32 s6, 0x2f800000
	v_mul_f32_e64 v3, |v1|, s6
	v_floor_f32_e32 v3, v3
	s_mov_b32 s6, 0xcf800000
	v_fma_f32 v3, v3, s6, |v1|
	v_cvt_u32_f32_e32 v3, v3
	v_ashrrev_i32_e32 v1, 31, v1
	v_xor_b32_e32 v3, v3, v1
	v_sub_u32_e32 v8, v3, v1
.LBB15_1297:
	s_or_b64 exec, exec, s[4:5]
	s_mov_b64 s[4:5], 0
	s_branch .LBB15_1303
.LBB15_1298:
	s_mov_b64 s[4:5], -1
                                        ; implicit-def: $vgpr8
	s_branch .LBB15_1309
.LBB15_1299:
	s_andn2_saveexec_b64 s[6:7], s[6:7]
	s_cbranch_execz .LBB15_1285
.LBB15_1300:
	v_cmp_ne_u16_e32 vcc, 0, v1
	s_andn2_b64 s[12:13], s[12:13], exec
	s_and_b64 s[16:17], vcc, exec
	s_or_b64 s[12:13], s[12:13], s[16:17]
	s_or_b64 exec, exec, s[6:7]
	v_mov_b32_e32 v8, 0
	s_and_saveexec_b64 s[6:7], s[12:13]
	s_cbranch_execnz .LBB15_1286
	s_branch .LBB15_1287
.LBB15_1301:
	s_mov_b64 s[4:5], -1
                                        ; implicit-def: $vgpr8
	s_branch .LBB15_1306
.LBB15_1302:
	s_mov_b64 s[4:5], -1
                                        ; implicit-def: $vgpr8
.LBB15_1303:
	s_and_b64 vcc, exec, s[4:5]
	s_cbranch_vccz .LBB15_1305
; %bb.1304:
	global_load_ubyte v1, v[12:13], off
	s_mov_b32 s4, 0x7f800000
	s_brev_b32 s5, 1
	s_mov_b32 s6, 0x2f800000
	s_waitcnt vmcnt(0)
	v_lshlrev_b32_e32 v1, 24, v1
	v_and_b32_e32 v3, 0x7f000000, v1
	v_ffbh_u32_e32 v5, v3
	v_min_u32_e32 v5, 32, v5
	v_sub_u32_e64 v5, v5, 4 clamp
	v_lshlrev_b32_e32 v9, v5, v3
	v_lshlrev_b32_e32 v5, 23, v5
	v_lshrrev_b32_e32 v9, 4, v9
	v_add_u32_e32 v8, 0x1000000, v3
	v_sub_u32_e32 v5, v9, v5
	v_ashrrev_i32_e32 v8, 8, v8
	v_add_u32_e32 v5, 0x3c000000, v5
	v_and_or_b32 v5, v8, s4, v5
	v_cmp_ne_u32_e32 vcc, 0, v3
	v_cndmask_b32_e32 v3, 0, v5, vcc
	v_and_or_b32 v1, v1, s5, v3
	v_trunc_f32_e32 v1, v1
	v_mul_f32_e64 v3, |v1|, s6
	v_floor_f32_e32 v3, v3
	s_mov_b32 s4, 0xcf800000
	v_fma_f32 v3, v3, s4, |v1|
	v_cvt_u32_f32_e32 v3, v3
	v_ashrrev_i32_e32 v1, 31, v1
	v_xor_b32_e32 v3, v3, v1
	v_sub_u32_e32 v8, v3, v1
.LBB15_1305:
	s_mov_b64 s[4:5], 0
.LBB15_1306:
	s_andn2_b64 vcc, exec, s[4:5]
	s_cbranch_vccnz .LBB15_1308
; %bb.1307:
	global_load_ubyte v1, v[12:13], off
	s_movk_i32 s4, 0x7f00
	s_brev_b32 s5, 16
	s_brev_b32 s6, 1
	s_mov_b32 s7, 0x2f800000
	s_waitcnt vmcnt(0)
	v_lshlrev_b16_e32 v3, 8, v1
	v_lshlrev_b32_e32 v1, 25, v1
	v_lshrrev_b32_e32 v5, 4, v1
	v_and_or_b32 v8, v3, s4, 0.5
	v_or_b32_e32 v5, 0x70000000, v5
	v_add_f32_e32 v8, -0.5, v8
	v_mul_f32_e32 v5, 0x7800000, v5
	v_cmp_gt_u32_e32 vcc, s5, v1
	v_bfe_i32 v3, v3, 0, 16
	v_cndmask_b32_e32 v1, v5, v8, vcc
	v_and_or_b32 v1, v3, s6, v1
	v_trunc_f32_e32 v1, v1
	v_mul_f32_e64 v3, |v1|, s7
	v_floor_f32_e32 v3, v3
	s_mov_b32 s4, 0xcf800000
	v_fma_f32 v3, v3, s4, |v1|
	v_cvt_u32_f32_e32 v3, v3
	v_ashrrev_i32_e32 v1, 31, v1
	v_xor_b32_e32 v3, v3, v1
	v_sub_u32_e32 v8, v3, v1
.LBB15_1308:
	s_mov_b64 s[4:5], 0
	s_mov_b64 s[6:7], -1
.LBB15_1309:
	s_andn2_b64 vcc, exec, s[4:5]
	s_mov_b64 s[4:5], 0
	s_cbranch_vccnz .LBB15_1320
; %bb.1310:
	s_cmp_gt_i32 s15, 14
	s_cbranch_scc0 .LBB15_1313
; %bb.1311:
	s_cmp_eq_u32 s15, 15
	s_cbranch_scc0 .LBB15_1316
; %bb.1312:
	global_load_ushort v1, v[12:13], off
	s_mov_b32 s0, 0x2f800000
	s_mov_b32 s1, 0xcf800000
	s_mov_b64 s[6:7], -1
	s_waitcnt vmcnt(0)
	v_lshlrev_b32_e32 v1, 16, v1
	v_trunc_f32_e32 v1, v1
	v_mul_f32_e64 v3, |v1|, s0
	v_floor_f32_e32 v3, v3
	v_fma_f32 v3, v3, s1, |v1|
	v_cvt_u32_f32_e32 v3, v3
	v_ashrrev_i32_e32 v1, 31, v1
	s_mov_b64 s[0:1], 0
	v_xor_b32_e32 v3, v3, v1
	v_sub_u32_e32 v8, v3, v1
	s_branch .LBB15_1317
.LBB15_1313:
	s_mov_b64 s[12:13], -1
                                        ; implicit-def: $vgpr8
	s_branch .LBB15_1318
.LBB15_1314:
	s_andn2_saveexec_b64 s[4:5], s[4:5]
	s_cbranch_execz .LBB15_1295
.LBB15_1315:
	v_cmp_ne_u16_e32 vcc, 0, v1
	s_andn2_b64 s[6:7], s[6:7], exec
	s_and_b64 s[12:13], vcc, exec
	s_or_b64 s[6:7], s[6:7], s[12:13]
	s_or_b64 exec, exec, s[4:5]
	v_mov_b32_e32 v8, 0
	s_and_saveexec_b64 s[4:5], s[6:7]
	s_cbranch_execnz .LBB15_1296
	s_branch .LBB15_1297
.LBB15_1316:
	s_mov_b64 s[0:1], -1
                                        ; implicit-def: $vgpr8
.LBB15_1317:
	s_mov_b64 s[12:13], 0
.LBB15_1318:
	s_and_b64 vcc, exec, s[12:13]
	s_cbranch_vccz .LBB15_1320
; %bb.1319:
	s_cmp_lg_u32 s15, 11
	s_mov_b64 s[4:5], -1
	s_cselect_b64 s[0:1], -1, 0
.LBB15_1320:
	s_and_b64 vcc, exec, s[0:1]
	s_cbranch_vccnz .LBB15_1383
; %bb.1321:
	s_andn2_b64 vcc, exec, s[4:5]
	s_cbranch_vccnz .LBB15_1323
.LBB15_1322:
	global_load_ubyte v1, v[12:13], off
	s_mov_b64 s[6:7], -1
	s_waitcnt vmcnt(0)
	v_cmp_ne_u16_e32 vcc, 0, v1
	v_cndmask_b32_e64 v8, 0, 1, vcc
.LBB15_1323:
	s_branch .LBB15_1254
.LBB15_1324:
	s_and_b32 s4, 0xffff, s14
	s_cmp_lt_i32 s4, 5
	s_cbranch_scc1 .LBB15_1329
; %bb.1325:
	s_cmp_lt_i32 s4, 8
	s_cbranch_scc1 .LBB15_1330
; %bb.1326:
	s_cmp_lt_i32 s4, 9
	s_cbranch_scc1 .LBB15_1331
; %bb.1327:
	s_cmp_gt_i32 s4, 9
	s_cbranch_scc0 .LBB15_1332
; %bb.1328:
	global_load_dwordx2 v[8:9], v[12:13], off
	s_movk_i32 s0, 0xffe0
	s_waitcnt vmcnt(0)
	v_trunc_f64_e32 v[8:9], v[8:9]
	v_ldexp_f64 v[14:15], v[8:9], s0
	s_mov_b32 s0, 0
	s_mov_b32 s1, 0xc1f00000
	v_floor_f64_e32 v[14:15], v[14:15]
	v_fma_f64 v[8:9], v[14:15], s[0:1], v[8:9]
	s_mov_b64 s[0:1], 0
	v_cvt_u32_f64_e32 v8, v[8:9]
	s_branch .LBB15_1333
.LBB15_1329:
                                        ; implicit-def: $vgpr8
	s_branch .LBB15_1351
.LBB15_1330:
	s_mov_b64 s[0:1], -1
                                        ; implicit-def: $vgpr8
	s_branch .LBB15_1339
.LBB15_1331:
	s_mov_b64 s[0:1], -1
                                        ; implicit-def: $vgpr8
	s_branch .LBB15_1336
.LBB15_1332:
	s_mov_b64 s[0:1], -1
                                        ; implicit-def: $vgpr8
.LBB15_1333:
	s_andn2_b64 vcc, exec, s[0:1]
	s_cbranch_vccnz .LBB15_1335
; %bb.1334:
	global_load_dword v1, v[12:13], off
	s_mov_b32 s0, 0x2f800000
	s_waitcnt vmcnt(0)
	v_trunc_f32_e32 v1, v1
	v_mul_f32_e64 v3, |v1|, s0
	v_floor_f32_e32 v3, v3
	s_mov_b32 s0, 0xcf800000
	v_fma_f32 v3, v3, s0, |v1|
	v_cvt_u32_f32_e32 v3, v3
	v_ashrrev_i32_e32 v1, 31, v1
	v_xor_b32_e32 v3, v3, v1
	v_sub_u32_e32 v8, v3, v1
.LBB15_1335:
	s_mov_b64 s[0:1], 0
.LBB15_1336:
	s_andn2_b64 vcc, exec, s[0:1]
	s_cbranch_vccnz .LBB15_1338
; %bb.1337:
	global_load_dword v1, v[12:13], off
	s_waitcnt vmcnt(0)
	v_cvt_f32_f16_e32 v1, v1
	v_cvt_i32_f32_e32 v8, v1
.LBB15_1338:
	s_mov_b64 s[0:1], 0
.LBB15_1339:
	s_andn2_b64 vcc, exec, s[0:1]
	s_cbranch_vccnz .LBB15_1350
; %bb.1340:
	s_cmp_lt_i32 s4, 6
	s_cbranch_scc1 .LBB15_1343
; %bb.1341:
	s_cmp_gt_i32 s4, 6
	s_cbranch_scc0 .LBB15_1344
; %bb.1342:
	global_load_dwordx2 v[8:9], v[12:13], off
	s_movk_i32 s0, 0xffe0
	s_waitcnt vmcnt(0)
	v_trunc_f64_e32 v[8:9], v[8:9]
	v_ldexp_f64 v[14:15], v[8:9], s0
	s_mov_b32 s0, 0
	s_mov_b32 s1, 0xc1f00000
	v_floor_f64_e32 v[14:15], v[14:15]
	v_fma_f64 v[8:9], v[14:15], s[0:1], v[8:9]
	s_mov_b64 s[0:1], 0
	v_cvt_u32_f64_e32 v8, v[8:9]
	s_branch .LBB15_1345
.LBB15_1343:
	s_mov_b64 s[0:1], -1
                                        ; implicit-def: $vgpr8
	s_branch .LBB15_1348
.LBB15_1344:
	s_mov_b64 s[0:1], -1
                                        ; implicit-def: $vgpr8
.LBB15_1345:
	s_andn2_b64 vcc, exec, s[0:1]
	s_cbranch_vccnz .LBB15_1347
; %bb.1346:
	global_load_dword v1, v[12:13], off
	s_mov_b32 s0, 0x2f800000
	s_waitcnt vmcnt(0)
	v_trunc_f32_e32 v1, v1
	v_mul_f32_e64 v3, |v1|, s0
	v_floor_f32_e32 v3, v3
	s_mov_b32 s0, 0xcf800000
	v_fma_f32 v3, v3, s0, |v1|
	v_cvt_u32_f32_e32 v3, v3
	v_ashrrev_i32_e32 v1, 31, v1
	v_xor_b32_e32 v3, v3, v1
	v_sub_u32_e32 v8, v3, v1
.LBB15_1347:
	s_mov_b64 s[0:1], 0
.LBB15_1348:
	s_andn2_b64 vcc, exec, s[0:1]
	s_cbranch_vccnz .LBB15_1350
; %bb.1349:
	global_load_ushort v1, v[12:13], off
	s_waitcnt vmcnt(0)
	v_cvt_f32_f16_e32 v1, v1
	v_cvt_i32_f32_e32 v8, v1
.LBB15_1350:
	s_cbranch_execnz .LBB15_1370
.LBB15_1351:
	s_cmp_lt_i32 s4, 2
	s_cbranch_scc1 .LBB15_1355
; %bb.1352:
	s_cmp_lt_i32 s4, 3
	s_cbranch_scc1 .LBB15_1356
; %bb.1353:
	s_cmp_gt_i32 s4, 3
	s_cbranch_scc0 .LBB15_1357
; %bb.1354:
	global_load_dwordx2 v[8:9], v[12:13], off
	s_mov_b64 s[0:1], 0
	s_branch .LBB15_1358
.LBB15_1355:
	s_mov_b64 s[0:1], -1
                                        ; implicit-def: $vgpr8
	s_branch .LBB15_1364
.LBB15_1356:
	s_mov_b64 s[0:1], -1
                                        ; implicit-def: $vgpr8
	s_branch .LBB15_1361
.LBB15_1357:
	s_mov_b64 s[0:1], -1
                                        ; implicit-def: $vgpr8
.LBB15_1358:
	s_andn2_b64 vcc, exec, s[0:1]
	s_cbranch_vccnz .LBB15_1360
; %bb.1359:
	global_load_dword v8, v[12:13], off
.LBB15_1360:
	s_mov_b64 s[0:1], 0
.LBB15_1361:
	s_andn2_b64 vcc, exec, s[0:1]
	s_cbranch_vccnz .LBB15_1363
; %bb.1362:
	global_load_ushort v8, v[12:13], off
.LBB15_1363:
	s_mov_b64 s[0:1], 0
.LBB15_1364:
	s_andn2_b64 vcc, exec, s[0:1]
	s_cbranch_vccnz .LBB15_1370
; %bb.1365:
	s_cmp_gt_i32 s4, 0
	s_cbranch_scc0 .LBB15_1367
; %bb.1366:
	global_load_ubyte v8, v[12:13], off
	s_mov_b64 s[0:1], 0
	s_branch .LBB15_1368
.LBB15_1367:
	s_mov_b64 s[0:1], -1
                                        ; implicit-def: $vgpr8
.LBB15_1368:
	s_andn2_b64 vcc, exec, s[0:1]
	s_cbranch_vccnz .LBB15_1370
; %bb.1369:
	global_load_ubyte v8, v[12:13], off
.LBB15_1370:
.LBB15_1371:
	v_mov_b32_e32 v1, s11
	v_add_co_u32_e32 v12, vcc, s10, v10
	s_cmp_lt_i32 s14, 11
	v_addc_co_u32_e32 v13, vcc, 0, v1, vcc
	s_cbranch_scc1 .LBB15_1378
; %bb.1372:
	s_and_b32 s15, 0xffff, s14
	s_cmp_gt_i32 s15, 25
	s_mov_b64 s[4:5], 0
	s_cbranch_scc0 .LBB15_1380
; %bb.1373:
	s_cmp_gt_i32 s15, 28
	s_cbranch_scc0 .LBB15_1381
; %bb.1374:
	s_cmp_gt_i32 s15, 43
	;; [unrolled: 3-line block ×3, first 2 shown]
	s_cbranch_scc0 .LBB15_1384
; %bb.1376:
	s_cmp_eq_u32 s15, 46
	s_mov_b64 s[12:13], 0
	s_cbranch_scc0 .LBB15_1385
; %bb.1377:
	global_load_dword v1, v[12:13], off
	s_mov_b32 s0, 0x2f800000
	s_mov_b32 s1, 0xcf800000
	s_mov_b64 s[6:7], -1
	s_waitcnt vmcnt(0)
	v_lshlrev_b32_e32 v1, 16, v1
	v_trunc_f32_e32 v1, v1
	v_mul_f32_e64 v3, |v1|, s0
	v_floor_f32_e32 v3, v3
	v_fma_f32 v3, v3, s1, |v1|
	v_cvt_u32_f32_e32 v3, v3
	v_ashrrev_i32_e32 v1, 31, v1
	s_mov_b64 s[0:1], 0
	v_xor_b32_e32 v3, v3, v1
	v_sub_u32_e32 v9, v3, v1
	s_branch .LBB15_1386
.LBB15_1378:
	s_mov_b64 s[6:7], 0
                                        ; implicit-def: $vgpr9
	s_cbranch_execnz .LBB15_1448
.LBB15_1379:
	s_andn2_b64 vcc, exec, s[6:7]
	s_cbranch_vccnz .LBB15_2055
	s_branch .LBB15_1496
.LBB15_1380:
	s_mov_b64 s[12:13], -1
	s_mov_b64 s[6:7], 0
	s_mov_b64 s[0:1], 0
                                        ; implicit-def: $vgpr9
	s_branch .LBB15_1413
.LBB15_1381:
	s_mov_b64 s[12:13], -1
	s_mov_b64 s[6:7], 0
	s_mov_b64 s[0:1], 0
                                        ; implicit-def: $vgpr9
	s_branch .LBB15_1396
.LBB15_1382:
	s_mov_b64 s[12:13], -1
	s_mov_b64 s[6:7], 0
	s_mov_b64 s[0:1], 0
                                        ; implicit-def: $vgpr9
	s_branch .LBB15_1391
.LBB15_1383:
	s_trap 2
	s_or_b64 s[2:3], s[2:3], exec
	s_cbranch_execz .LBB15_1322
	s_branch .LBB15_1323
.LBB15_1384:
	s_mov_b64 s[12:13], -1
	s_mov_b64 s[6:7], 0
	s_mov_b64 s[0:1], 0
                                        ; implicit-def: $vgpr9
	s_branch .LBB15_1386
.LBB15_1385:
	s_mov_b64 s[0:1], -1
                                        ; implicit-def: $vgpr9
	s_mov_b64 s[6:7], 0
.LBB15_1386:
	s_and_b64 vcc, exec, s[12:13]
	s_cbranch_vccz .LBB15_1390
; %bb.1387:
	s_cmp_eq_u32 s15, 44
	s_cbranch_scc0 .LBB15_1389
; %bb.1388:
	global_load_ubyte v1, v[12:13], off
	s_mov_b32 s0, 0x2f800000
	s_mov_b32 s1, 0xcf800000
	s_mov_b64 s[6:7], -1
	s_waitcnt vmcnt(0)
	v_lshlrev_b32_e32 v3, 23, v1
	v_trunc_f32_e32 v3, v3
	v_mul_f32_e64 v5, |v3|, s0
	v_floor_f32_e32 v5, v5
	v_fma_f32 v5, v5, s1, |v3|
	v_cvt_u32_f32_e32 v5, v5
	v_ashrrev_i32_e32 v3, 31, v3
	v_cmp_ne_u32_e32 vcc, 0, v1
	s_mov_b64 s[0:1], 0
	v_xor_b32_e32 v5, v5, v3
	v_sub_u32_e32 v3, v5, v3
	v_cndmask_b32_e32 v9, 0, v3, vcc
	s_branch .LBB15_1390
.LBB15_1389:
	s_mov_b64 s[0:1], -1
                                        ; implicit-def: $vgpr9
.LBB15_1390:
	s_mov_b64 s[12:13], 0
.LBB15_1391:
	s_and_b64 vcc, exec, s[12:13]
	s_cbranch_vccz .LBB15_1395
; %bb.1392:
	s_cmp_eq_u32 s15, 29
	s_cbranch_scc0 .LBB15_1394
; %bb.1393:
	global_load_dwordx2 v[9:10], v[12:13], off
	s_mov_b64 s[0:1], 0
	s_mov_b64 s[6:7], -1
	s_branch .LBB15_1395
.LBB15_1394:
	s_mov_b64 s[0:1], -1
                                        ; implicit-def: $vgpr9
.LBB15_1395:
	s_mov_b64 s[12:13], 0
.LBB15_1396:
	s_and_b64 vcc, exec, s[12:13]
	s_cbranch_vccz .LBB15_1412
; %bb.1397:
	s_cmp_lt_i32 s15, 27
	s_cbranch_scc1 .LBB15_1400
; %bb.1398:
	s_cmp_gt_i32 s15, 27
	s_cbranch_scc0 .LBB15_1401
; %bb.1399:
	global_load_dword v9, v[12:13], off
	s_mov_b64 s[6:7], 0
	s_branch .LBB15_1402
.LBB15_1400:
	s_mov_b64 s[6:7], -1
                                        ; implicit-def: $vgpr9
	s_branch .LBB15_1405
.LBB15_1401:
	s_mov_b64 s[6:7], -1
                                        ; implicit-def: $vgpr9
.LBB15_1402:
	s_andn2_b64 vcc, exec, s[6:7]
	s_cbranch_vccnz .LBB15_1404
; %bb.1403:
	global_load_ushort v9, v[12:13], off
.LBB15_1404:
	s_mov_b64 s[6:7], 0
.LBB15_1405:
	s_andn2_b64 vcc, exec, s[6:7]
	s_cbranch_vccnz .LBB15_1411
; %bb.1406:
	global_load_ubyte v1, v[12:13], off
	s_movk_i32 s6, 0x7f
	s_mov_b64 s[12:13], 0
	s_waitcnt vmcnt(0)
	v_cmp_lt_i16_e32 vcc, s6, v1
	s_and_saveexec_b64 s[6:7], vcc
	s_xor_b64 s[6:7], exec, s[6:7]
	s_cbranch_execz .LBB15_1423
; %bb.1407:
	s_movk_i32 s12, 0x80
	v_cmp_ne_u16_e32 vcc, s12, v1
	s_and_b64 s[12:13], vcc, exec
	s_andn2_saveexec_b64 s[6:7], s[6:7]
	s_cbranch_execnz .LBB15_1424
.LBB15_1408:
	s_or_b64 exec, exec, s[6:7]
	v_mov_b32_e32 v9, 0
	s_and_saveexec_b64 s[6:7], s[12:13]
	s_cbranch_execz .LBB15_1410
.LBB15_1409:
	v_lshlrev_b32_e32 v3, 24, v1
	v_and_b32_e32 v1, 0xffff, v1
	v_and_b32_e32 v5, 7, v1
	v_ffbh_u32_e32 v10, v5
	v_min_u32_e32 v10, 32, v10
	v_subrev_u32_e32 v14, 28, v10
	v_bfe_u32 v9, v1, 3, 4
	v_lshlrev_b32_e32 v1, v14, v1
	v_sub_u32_e32 v10, 29, v10
	v_and_b32_e32 v1, 7, v1
	v_cmp_eq_u32_e32 vcc, 0, v9
	v_cndmask_b32_e32 v9, v9, v10, vcc
	v_cndmask_b32_e32 v1, v5, v1, vcc
	v_mov_b32_e32 v5, 0x3b800000
	v_lshlrev_b32_e32 v1, 20, v1
	v_and_b32_e32 v3, 0x80000000, v3
	v_lshl_add_u32 v5, v9, 23, v5
	v_or3_b32 v1, v3, v5, v1
	v_trunc_f32_e32 v1, v1
	s_mov_b32 s12, 0x2f800000
	v_mul_f32_e64 v3, |v1|, s12
	v_floor_f32_e32 v3, v3
	s_mov_b32 s12, 0xcf800000
	v_fma_f32 v3, v3, s12, |v1|
	v_cvt_u32_f32_e32 v3, v3
	v_ashrrev_i32_e32 v1, 31, v1
	v_xor_b32_e32 v3, v3, v1
	v_sub_u32_e32 v9, v3, v1
.LBB15_1410:
	s_or_b64 exec, exec, s[6:7]
.LBB15_1411:
	s_mov_b64 s[6:7], -1
.LBB15_1412:
	s_mov_b64 s[12:13], 0
.LBB15_1413:
	s_and_b64 vcc, exec, s[12:13]
	s_cbranch_vccz .LBB15_1444
; %bb.1414:
	s_cmp_gt_i32 s15, 22
	s_cbranch_scc0 .LBB15_1422
; %bb.1415:
	s_cmp_lt_i32 s15, 24
	s_cbranch_scc1 .LBB15_1425
; %bb.1416:
	s_cmp_gt_i32 s15, 24
	s_cbranch_scc0 .LBB15_1426
; %bb.1417:
	global_load_ubyte v1, v[12:13], off
	s_movk_i32 s4, 0x7f
	s_mov_b64 s[6:7], 0
	s_waitcnt vmcnt(0)
	v_cmp_lt_i16_e32 vcc, s4, v1
	s_and_saveexec_b64 s[4:5], vcc
	s_xor_b64 s[4:5], exec, s[4:5]
	s_cbranch_execz .LBB15_1438
; %bb.1418:
	s_movk_i32 s6, 0x80
	v_cmp_ne_u16_e32 vcc, s6, v1
	s_and_b64 s[6:7], vcc, exec
	s_andn2_saveexec_b64 s[4:5], s[4:5]
	s_cbranch_execnz .LBB15_1439
.LBB15_1419:
	s_or_b64 exec, exec, s[4:5]
	v_mov_b32_e32 v9, 0
	s_and_saveexec_b64 s[4:5], s[6:7]
	s_cbranch_execz .LBB15_1421
.LBB15_1420:
	v_lshlrev_b32_e32 v3, 24, v1
	v_and_b32_e32 v1, 0xffff, v1
	v_and_b32_e32 v5, 3, v1
	v_ffbh_u32_e32 v10, v5
	v_min_u32_e32 v10, 32, v10
	v_subrev_u32_e32 v14, 29, v10
	v_bfe_u32 v9, v1, 2, 5
	v_lshlrev_b32_e32 v1, v14, v1
	v_sub_u32_e32 v10, 30, v10
	v_and_b32_e32 v1, 3, v1
	v_cmp_eq_u32_e32 vcc, 0, v9
	v_cndmask_b32_e32 v9, v9, v10, vcc
	v_cndmask_b32_e32 v1, v5, v1, vcc
	v_mov_b32_e32 v5, 0x37800000
	v_lshlrev_b32_e32 v1, 21, v1
	v_and_b32_e32 v3, 0x80000000, v3
	v_lshl_add_u32 v5, v9, 23, v5
	v_or3_b32 v1, v3, v5, v1
	v_trunc_f32_e32 v1, v1
	s_mov_b32 s6, 0x2f800000
	v_mul_f32_e64 v3, |v1|, s6
	v_floor_f32_e32 v3, v3
	s_mov_b32 s6, 0xcf800000
	v_fma_f32 v3, v3, s6, |v1|
	v_cvt_u32_f32_e32 v3, v3
	v_ashrrev_i32_e32 v1, 31, v1
	v_xor_b32_e32 v3, v3, v1
	v_sub_u32_e32 v9, v3, v1
.LBB15_1421:
	s_or_b64 exec, exec, s[4:5]
	s_mov_b64 s[4:5], 0
	s_branch .LBB15_1427
.LBB15_1422:
	s_mov_b64 s[4:5], -1
                                        ; implicit-def: $vgpr9
	s_branch .LBB15_1433
.LBB15_1423:
	s_andn2_saveexec_b64 s[6:7], s[6:7]
	s_cbranch_execz .LBB15_1408
.LBB15_1424:
	v_cmp_ne_u16_e32 vcc, 0, v1
	s_andn2_b64 s[12:13], s[12:13], exec
	s_and_b64 s[16:17], vcc, exec
	s_or_b64 s[12:13], s[12:13], s[16:17]
	s_or_b64 exec, exec, s[6:7]
	v_mov_b32_e32 v9, 0
	s_and_saveexec_b64 s[6:7], s[12:13]
	s_cbranch_execnz .LBB15_1409
	s_branch .LBB15_1410
.LBB15_1425:
	s_mov_b64 s[4:5], -1
                                        ; implicit-def: $vgpr9
	s_branch .LBB15_1430
.LBB15_1426:
	s_mov_b64 s[4:5], -1
                                        ; implicit-def: $vgpr9
.LBB15_1427:
	s_and_b64 vcc, exec, s[4:5]
	s_cbranch_vccz .LBB15_1429
; %bb.1428:
	global_load_ubyte v1, v[12:13], off
	s_mov_b32 s4, 0x7f800000
	s_brev_b32 s5, 1
	s_mov_b32 s6, 0x2f800000
	s_waitcnt vmcnt(0)
	v_lshlrev_b32_e32 v1, 24, v1
	v_and_b32_e32 v3, 0x7f000000, v1
	v_ffbh_u32_e32 v5, v3
	v_min_u32_e32 v5, 32, v5
	v_sub_u32_e64 v5, v5, 4 clamp
	v_lshlrev_b32_e32 v10, v5, v3
	v_lshlrev_b32_e32 v5, 23, v5
	v_lshrrev_b32_e32 v10, 4, v10
	v_add_u32_e32 v9, 0x1000000, v3
	v_sub_u32_e32 v5, v10, v5
	v_ashrrev_i32_e32 v9, 8, v9
	v_add_u32_e32 v5, 0x3c000000, v5
	v_and_or_b32 v5, v9, s4, v5
	v_cmp_ne_u32_e32 vcc, 0, v3
	v_cndmask_b32_e32 v3, 0, v5, vcc
	v_and_or_b32 v1, v1, s5, v3
	v_trunc_f32_e32 v1, v1
	v_mul_f32_e64 v3, |v1|, s6
	v_floor_f32_e32 v3, v3
	s_mov_b32 s4, 0xcf800000
	v_fma_f32 v3, v3, s4, |v1|
	v_cvt_u32_f32_e32 v3, v3
	v_ashrrev_i32_e32 v1, 31, v1
	v_xor_b32_e32 v3, v3, v1
	v_sub_u32_e32 v9, v3, v1
.LBB15_1429:
	s_mov_b64 s[4:5], 0
.LBB15_1430:
	s_andn2_b64 vcc, exec, s[4:5]
	s_cbranch_vccnz .LBB15_1432
; %bb.1431:
	global_load_ubyte v1, v[12:13], off
	s_movk_i32 s4, 0x7f00
	s_brev_b32 s5, 16
	s_brev_b32 s6, 1
	s_mov_b32 s7, 0x2f800000
	s_waitcnt vmcnt(0)
	v_lshlrev_b16_e32 v3, 8, v1
	v_lshlrev_b32_e32 v1, 25, v1
	v_lshrrev_b32_e32 v5, 4, v1
	v_and_or_b32 v9, v3, s4, 0.5
	v_or_b32_e32 v5, 0x70000000, v5
	v_add_f32_e32 v9, -0.5, v9
	v_mul_f32_e32 v5, 0x7800000, v5
	v_cmp_gt_u32_e32 vcc, s5, v1
	v_bfe_i32 v3, v3, 0, 16
	v_cndmask_b32_e32 v1, v5, v9, vcc
	v_and_or_b32 v1, v3, s6, v1
	v_trunc_f32_e32 v1, v1
	v_mul_f32_e64 v3, |v1|, s7
	v_floor_f32_e32 v3, v3
	s_mov_b32 s4, 0xcf800000
	v_fma_f32 v3, v3, s4, |v1|
	v_cvt_u32_f32_e32 v3, v3
	v_ashrrev_i32_e32 v1, 31, v1
	v_xor_b32_e32 v3, v3, v1
	v_sub_u32_e32 v9, v3, v1
.LBB15_1432:
	s_mov_b64 s[4:5], 0
	s_mov_b64 s[6:7], -1
.LBB15_1433:
	s_andn2_b64 vcc, exec, s[4:5]
	s_mov_b64 s[4:5], 0
	s_cbranch_vccnz .LBB15_1444
; %bb.1434:
	s_cmp_gt_i32 s15, 14
	s_cbranch_scc0 .LBB15_1437
; %bb.1435:
	s_cmp_eq_u32 s15, 15
	s_cbranch_scc0 .LBB15_1440
; %bb.1436:
	global_load_ushort v1, v[12:13], off
	s_mov_b32 s0, 0x2f800000
	s_mov_b32 s1, 0xcf800000
	s_mov_b64 s[6:7], -1
	s_waitcnt vmcnt(0)
	v_lshlrev_b32_e32 v1, 16, v1
	v_trunc_f32_e32 v1, v1
	v_mul_f32_e64 v3, |v1|, s0
	v_floor_f32_e32 v3, v3
	v_fma_f32 v3, v3, s1, |v1|
	v_cvt_u32_f32_e32 v3, v3
	v_ashrrev_i32_e32 v1, 31, v1
	s_mov_b64 s[0:1], 0
	v_xor_b32_e32 v3, v3, v1
	v_sub_u32_e32 v9, v3, v1
	s_branch .LBB15_1441
.LBB15_1437:
	s_mov_b64 s[12:13], -1
                                        ; implicit-def: $vgpr9
	s_branch .LBB15_1442
.LBB15_1438:
	s_andn2_saveexec_b64 s[4:5], s[4:5]
	s_cbranch_execz .LBB15_1419
.LBB15_1439:
	v_cmp_ne_u16_e32 vcc, 0, v1
	s_andn2_b64 s[6:7], s[6:7], exec
	s_and_b64 s[12:13], vcc, exec
	s_or_b64 s[6:7], s[6:7], s[12:13]
	s_or_b64 exec, exec, s[4:5]
	v_mov_b32_e32 v9, 0
	s_and_saveexec_b64 s[4:5], s[6:7]
	s_cbranch_execnz .LBB15_1420
	s_branch .LBB15_1421
.LBB15_1440:
	s_mov_b64 s[0:1], -1
                                        ; implicit-def: $vgpr9
.LBB15_1441:
	s_mov_b64 s[12:13], 0
.LBB15_1442:
	s_and_b64 vcc, exec, s[12:13]
	s_cbranch_vccz .LBB15_1444
; %bb.1443:
	s_cmp_lg_u32 s15, 11
	s_mov_b64 s[4:5], -1
	s_cselect_b64 s[0:1], -1, 0
.LBB15_1444:
	s_and_b64 vcc, exec, s[0:1]
	s_cbranch_vccnz .LBB15_1507
; %bb.1445:
	s_andn2_b64 vcc, exec, s[4:5]
	s_cbranch_vccnz .LBB15_1447
.LBB15_1446:
	global_load_ubyte v1, v[12:13], off
	s_mov_b64 s[6:7], -1
	s_waitcnt vmcnt(0)
	v_cmp_ne_u16_e32 vcc, 0, v1
	v_cndmask_b32_e64 v9, 0, 1, vcc
.LBB15_1447:
	s_branch .LBB15_1379
.LBB15_1448:
	s_and_b32 s4, 0xffff, s14
	s_cmp_lt_i32 s4, 5
	s_cbranch_scc1 .LBB15_1453
; %bb.1449:
	s_cmp_lt_i32 s4, 8
	s_cbranch_scc1 .LBB15_1454
; %bb.1450:
	;; [unrolled: 3-line block ×3, first 2 shown]
	s_cmp_gt_i32 s4, 9
	s_cbranch_scc0 .LBB15_1456
; %bb.1452:
	global_load_dwordx2 v[9:10], v[12:13], off
	s_movk_i32 s0, 0xffe0
	s_waitcnt vmcnt(0)
	v_trunc_f64_e32 v[9:10], v[9:10]
	v_ldexp_f64 v[14:15], v[9:10], s0
	s_mov_b32 s0, 0
	s_mov_b32 s1, 0xc1f00000
	v_floor_f64_e32 v[14:15], v[14:15]
	v_fma_f64 v[9:10], v[14:15], s[0:1], v[9:10]
	s_mov_b64 s[0:1], 0
	v_cvt_u32_f64_e32 v9, v[9:10]
	s_branch .LBB15_1457
.LBB15_1453:
	s_mov_b64 s[0:1], -1
                                        ; implicit-def: $vgpr9
	s_branch .LBB15_1475
.LBB15_1454:
	s_mov_b64 s[0:1], -1
                                        ; implicit-def: $vgpr9
	s_branch .LBB15_1463
.LBB15_1455:
	s_mov_b64 s[0:1], -1
                                        ; implicit-def: $vgpr9
	s_branch .LBB15_1460
.LBB15_1456:
	s_mov_b64 s[0:1], -1
                                        ; implicit-def: $vgpr9
.LBB15_1457:
	s_andn2_b64 vcc, exec, s[0:1]
	s_cbranch_vccnz .LBB15_1459
; %bb.1458:
	global_load_dword v1, v[12:13], off
	s_mov_b32 s0, 0x2f800000
	s_waitcnt vmcnt(0)
	v_trunc_f32_e32 v1, v1
	v_mul_f32_e64 v3, |v1|, s0
	v_floor_f32_e32 v3, v3
	s_mov_b32 s0, 0xcf800000
	v_fma_f32 v3, v3, s0, |v1|
	v_cvt_u32_f32_e32 v3, v3
	v_ashrrev_i32_e32 v1, 31, v1
	v_xor_b32_e32 v3, v3, v1
	v_sub_u32_e32 v9, v3, v1
.LBB15_1459:
	s_mov_b64 s[0:1], 0
.LBB15_1460:
	s_andn2_b64 vcc, exec, s[0:1]
	s_cbranch_vccnz .LBB15_1462
; %bb.1461:
	global_load_dword v1, v[12:13], off
	s_waitcnt vmcnt(0)
	v_cvt_f32_f16_e32 v1, v1
	v_cvt_i32_f32_e32 v9, v1
.LBB15_1462:
	s_mov_b64 s[0:1], 0
.LBB15_1463:
	s_andn2_b64 vcc, exec, s[0:1]
	s_cbranch_vccnz .LBB15_1474
; %bb.1464:
	s_cmp_lt_i32 s4, 6
	s_cbranch_scc1 .LBB15_1467
; %bb.1465:
	s_cmp_gt_i32 s4, 6
	s_cbranch_scc0 .LBB15_1468
; %bb.1466:
	global_load_dwordx2 v[9:10], v[12:13], off
	s_movk_i32 s0, 0xffe0
	s_waitcnt vmcnt(0)
	v_trunc_f64_e32 v[9:10], v[9:10]
	v_ldexp_f64 v[14:15], v[9:10], s0
	s_mov_b32 s0, 0
	s_mov_b32 s1, 0xc1f00000
	v_floor_f64_e32 v[14:15], v[14:15]
	v_fma_f64 v[9:10], v[14:15], s[0:1], v[9:10]
	s_mov_b64 s[0:1], 0
	v_cvt_u32_f64_e32 v9, v[9:10]
	s_branch .LBB15_1469
.LBB15_1467:
	s_mov_b64 s[0:1], -1
                                        ; implicit-def: $vgpr9
	s_branch .LBB15_1472
.LBB15_1468:
	s_mov_b64 s[0:1], -1
                                        ; implicit-def: $vgpr9
.LBB15_1469:
	s_andn2_b64 vcc, exec, s[0:1]
	s_cbranch_vccnz .LBB15_1471
; %bb.1470:
	global_load_dword v1, v[12:13], off
	s_mov_b32 s0, 0x2f800000
	s_waitcnt vmcnt(0)
	v_trunc_f32_e32 v1, v1
	v_mul_f32_e64 v3, |v1|, s0
	v_floor_f32_e32 v3, v3
	s_mov_b32 s0, 0xcf800000
	v_fma_f32 v3, v3, s0, |v1|
	v_cvt_u32_f32_e32 v3, v3
	v_ashrrev_i32_e32 v1, 31, v1
	v_xor_b32_e32 v3, v3, v1
	v_sub_u32_e32 v9, v3, v1
.LBB15_1471:
	s_mov_b64 s[0:1], 0
.LBB15_1472:
	s_andn2_b64 vcc, exec, s[0:1]
	s_cbranch_vccnz .LBB15_1474
; %bb.1473:
	global_load_ushort v1, v[12:13], off
	s_waitcnt vmcnt(0)
	v_cvt_f32_f16_e32 v1, v1
	v_cvt_i32_f32_e32 v9, v1
.LBB15_1474:
	s_mov_b64 s[0:1], 0
.LBB15_1475:
	s_andn2_b64 vcc, exec, s[0:1]
	s_cbranch_vccnz .LBB15_1495
; %bb.1476:
	s_cmp_lt_i32 s4, 2
	s_cbranch_scc1 .LBB15_1480
; %bb.1477:
	s_cmp_lt_i32 s4, 3
	s_cbranch_scc1 .LBB15_1481
; %bb.1478:
	s_cmp_gt_i32 s4, 3
	s_cbranch_scc0 .LBB15_1482
; %bb.1479:
	global_load_dwordx2 v[9:10], v[12:13], off
	s_mov_b64 s[0:1], 0
	s_branch .LBB15_1483
.LBB15_1480:
	s_mov_b64 s[0:1], -1
                                        ; implicit-def: $vgpr9
	s_branch .LBB15_1489
.LBB15_1481:
	s_mov_b64 s[0:1], -1
                                        ; implicit-def: $vgpr9
	s_branch .LBB15_1486
.LBB15_1482:
	s_mov_b64 s[0:1], -1
                                        ; implicit-def: $vgpr9
.LBB15_1483:
	s_andn2_b64 vcc, exec, s[0:1]
	s_cbranch_vccnz .LBB15_1485
; %bb.1484:
	global_load_dword v9, v[12:13], off
.LBB15_1485:
	s_mov_b64 s[0:1], 0
.LBB15_1486:
	s_andn2_b64 vcc, exec, s[0:1]
	s_cbranch_vccnz .LBB15_1488
; %bb.1487:
	global_load_ushort v9, v[12:13], off
.LBB15_1488:
	s_mov_b64 s[0:1], 0
.LBB15_1489:
	s_andn2_b64 vcc, exec, s[0:1]
	s_cbranch_vccnz .LBB15_1495
; %bb.1490:
	s_cmp_gt_i32 s4, 0
	s_cbranch_scc0 .LBB15_1492
; %bb.1491:
	global_load_ubyte v9, v[12:13], off
	s_mov_b64 s[0:1], 0
	s_branch .LBB15_1493
.LBB15_1492:
	s_mov_b64 s[0:1], -1
                                        ; implicit-def: $vgpr9
.LBB15_1493:
	s_andn2_b64 vcc, exec, s[0:1]
	s_cbranch_vccnz .LBB15_1495
; %bb.1494:
	global_load_ubyte v9, v[12:13], off
.LBB15_1495:
.LBB15_1496:
	v_mov_b32_e32 v1, s11
	v_add_co_u32_e32 v12, vcc, s10, v11
	s_cmp_lt_i32 s14, 11
	v_addc_co_u32_e32 v13, vcc, 0, v1, vcc
	s_cbranch_scc1 .LBB15_1503
; %bb.1497:
	s_and_b32 s12, 0xffff, s14
	s_cmp_gt_i32 s12, 25
	s_mov_b64 s[4:5], 0
	s_cbranch_scc0 .LBB15_1504
; %bb.1498:
	s_cmp_gt_i32 s12, 28
	s_cbranch_scc0 .LBB15_1505
; %bb.1499:
	s_cmp_gt_i32 s12, 43
	s_cbranch_scc0 .LBB15_1506
; %bb.1500:
	s_cmp_gt_i32 s12, 45
	s_cbranch_scc0 .LBB15_1508
; %bb.1501:
	s_cmp_eq_u32 s12, 46
	s_mov_b64 s[10:11], 0
	s_cbranch_scc0 .LBB15_1509
; %bb.1502:
	global_load_dword v1, v[12:13], off
	s_mov_b32 s0, 0x2f800000
	s_mov_b32 s1, 0xcf800000
	s_mov_b64 s[6:7], -1
	s_waitcnt vmcnt(0)
	v_lshlrev_b32_e32 v1, 16, v1
	v_trunc_f32_e32 v1, v1
	v_mul_f32_e64 v3, |v1|, s0
	v_floor_f32_e32 v3, v3
	v_fma_f32 v3, v3, s1, |v1|
	v_cvt_u32_f32_e32 v3, v3
	v_ashrrev_i32_e32 v1, 31, v1
	s_mov_b64 s[0:1], 0
	v_xor_b32_e32 v3, v3, v1
	v_sub_u32_e32 v10, v3, v1
	s_branch .LBB15_1510
.LBB15_1503:
	s_mov_b64 s[0:1], -1
	s_mov_b64 s[6:7], 0
                                        ; implicit-def: $vgpr10
	s_branch .LBB15_1572
.LBB15_1504:
	s_mov_b64 s[10:11], -1
	s_mov_b64 s[6:7], 0
	s_mov_b64 s[0:1], 0
                                        ; implicit-def: $vgpr10
	s_branch .LBB15_1537
.LBB15_1505:
	s_mov_b64 s[10:11], -1
	s_mov_b64 s[6:7], 0
	s_mov_b64 s[0:1], 0
                                        ; implicit-def: $vgpr10
	s_branch .LBB15_1520
.LBB15_1506:
	s_mov_b64 s[10:11], -1
	s_mov_b64 s[6:7], 0
	s_mov_b64 s[0:1], 0
                                        ; implicit-def: $vgpr10
	s_branch .LBB15_1515
.LBB15_1507:
	s_trap 2
	s_or_b64 s[2:3], s[2:3], exec
	s_cbranch_execz .LBB15_1446
	s_branch .LBB15_1447
.LBB15_1508:
	s_mov_b64 s[10:11], -1
	s_mov_b64 s[6:7], 0
	s_mov_b64 s[0:1], 0
                                        ; implicit-def: $vgpr10
	s_branch .LBB15_1510
.LBB15_1509:
	s_mov_b64 s[0:1], -1
                                        ; implicit-def: $vgpr10
	s_mov_b64 s[6:7], 0
.LBB15_1510:
	s_and_b64 vcc, exec, s[10:11]
	s_cbranch_vccz .LBB15_1514
; %bb.1511:
	s_cmp_eq_u32 s12, 44
	s_cbranch_scc0 .LBB15_1513
; %bb.1512:
	global_load_ubyte v1, v[12:13], off
	s_mov_b32 s0, 0x2f800000
	s_mov_b32 s1, 0xcf800000
	s_mov_b64 s[6:7], -1
	s_waitcnt vmcnt(0)
	v_lshlrev_b32_e32 v3, 23, v1
	v_trunc_f32_e32 v3, v3
	v_mul_f32_e64 v5, |v3|, s0
	v_floor_f32_e32 v5, v5
	v_fma_f32 v5, v5, s1, |v3|
	v_cvt_u32_f32_e32 v5, v5
	v_ashrrev_i32_e32 v3, 31, v3
	v_cmp_ne_u32_e32 vcc, 0, v1
	s_mov_b64 s[0:1], 0
	v_xor_b32_e32 v5, v5, v3
	v_sub_u32_e32 v3, v5, v3
	v_cndmask_b32_e32 v10, 0, v3, vcc
	s_branch .LBB15_1514
.LBB15_1513:
	s_mov_b64 s[0:1], -1
                                        ; implicit-def: $vgpr10
.LBB15_1514:
	s_mov_b64 s[10:11], 0
.LBB15_1515:
	s_and_b64 vcc, exec, s[10:11]
	s_cbranch_vccz .LBB15_1519
; %bb.1516:
	s_cmp_eq_u32 s12, 29
	s_cbranch_scc0 .LBB15_1518
; %bb.1517:
	global_load_dwordx2 v[10:11], v[12:13], off
	s_mov_b64 s[0:1], 0
	s_mov_b64 s[6:7], -1
	s_branch .LBB15_1519
.LBB15_1518:
	s_mov_b64 s[0:1], -1
                                        ; implicit-def: $vgpr10
.LBB15_1519:
	s_mov_b64 s[10:11], 0
.LBB15_1520:
	s_and_b64 vcc, exec, s[10:11]
	s_cbranch_vccz .LBB15_1536
; %bb.1521:
	s_cmp_lt_i32 s12, 27
	s_cbranch_scc1 .LBB15_1524
; %bb.1522:
	s_cmp_gt_i32 s12, 27
	s_cbranch_scc0 .LBB15_1525
; %bb.1523:
	global_load_dword v10, v[12:13], off
	s_mov_b64 s[6:7], 0
	s_branch .LBB15_1526
.LBB15_1524:
	s_mov_b64 s[6:7], -1
                                        ; implicit-def: $vgpr10
	s_branch .LBB15_1529
.LBB15_1525:
	s_mov_b64 s[6:7], -1
                                        ; implicit-def: $vgpr10
.LBB15_1526:
	s_andn2_b64 vcc, exec, s[6:7]
	s_cbranch_vccnz .LBB15_1528
; %bb.1527:
	global_load_ushort v10, v[12:13], off
.LBB15_1528:
	s_mov_b64 s[6:7], 0
.LBB15_1529:
	s_andn2_b64 vcc, exec, s[6:7]
	s_cbranch_vccnz .LBB15_1535
; %bb.1530:
	global_load_ubyte v1, v[12:13], off
	s_movk_i32 s6, 0x7f
	s_mov_b64 s[10:11], 0
	s_waitcnt vmcnt(0)
	v_cmp_lt_i16_e32 vcc, s6, v1
	s_and_saveexec_b64 s[6:7], vcc
	s_xor_b64 s[6:7], exec, s[6:7]
	s_cbranch_execz .LBB15_1547
; %bb.1531:
	s_movk_i32 s10, 0x80
	v_cmp_ne_u16_e32 vcc, s10, v1
	s_and_b64 s[10:11], vcc, exec
	s_andn2_saveexec_b64 s[6:7], s[6:7]
	s_cbranch_execnz .LBB15_1548
.LBB15_1532:
	s_or_b64 exec, exec, s[6:7]
	v_mov_b32_e32 v10, 0
	s_and_saveexec_b64 s[6:7], s[10:11]
	s_cbranch_execz .LBB15_1534
.LBB15_1533:
	v_lshlrev_b32_e32 v3, 24, v1
	v_and_b32_e32 v1, 0xffff, v1
	v_and_b32_e32 v5, 7, v1
	v_ffbh_u32_e32 v11, v5
	v_min_u32_e32 v11, 32, v11
	v_subrev_u32_e32 v14, 28, v11
	v_bfe_u32 v10, v1, 3, 4
	v_lshlrev_b32_e32 v1, v14, v1
	v_sub_u32_e32 v11, 29, v11
	v_and_b32_e32 v1, 7, v1
	v_cmp_eq_u32_e32 vcc, 0, v10
	v_cndmask_b32_e32 v10, v10, v11, vcc
	v_cndmask_b32_e32 v1, v5, v1, vcc
	v_mov_b32_e32 v5, 0x3b800000
	v_lshlrev_b32_e32 v1, 20, v1
	v_and_b32_e32 v3, 0x80000000, v3
	v_lshl_add_u32 v5, v10, 23, v5
	v_or3_b32 v1, v3, v5, v1
	v_trunc_f32_e32 v1, v1
	s_mov_b32 s10, 0x2f800000
	v_mul_f32_e64 v3, |v1|, s10
	v_floor_f32_e32 v3, v3
	s_mov_b32 s10, 0xcf800000
	v_fma_f32 v3, v3, s10, |v1|
	v_cvt_u32_f32_e32 v3, v3
	v_ashrrev_i32_e32 v1, 31, v1
	v_xor_b32_e32 v3, v3, v1
	v_sub_u32_e32 v10, v3, v1
.LBB15_1534:
	s_or_b64 exec, exec, s[6:7]
.LBB15_1535:
	s_mov_b64 s[6:7], -1
.LBB15_1536:
	s_mov_b64 s[10:11], 0
.LBB15_1537:
	s_and_b64 vcc, exec, s[10:11]
	s_cbranch_vccz .LBB15_1568
; %bb.1538:
	s_cmp_gt_i32 s12, 22
	s_cbranch_scc0 .LBB15_1546
; %bb.1539:
	s_cmp_lt_i32 s12, 24
	s_cbranch_scc1 .LBB15_1549
; %bb.1540:
	s_cmp_gt_i32 s12, 24
	s_cbranch_scc0 .LBB15_1550
; %bb.1541:
	global_load_ubyte v1, v[12:13], off
	s_movk_i32 s4, 0x7f
	s_mov_b64 s[6:7], 0
	s_waitcnt vmcnt(0)
	v_cmp_lt_i16_e32 vcc, s4, v1
	s_and_saveexec_b64 s[4:5], vcc
	s_xor_b64 s[4:5], exec, s[4:5]
	s_cbranch_execz .LBB15_1562
; %bb.1542:
	s_movk_i32 s6, 0x80
	v_cmp_ne_u16_e32 vcc, s6, v1
	s_and_b64 s[6:7], vcc, exec
	s_andn2_saveexec_b64 s[4:5], s[4:5]
	s_cbranch_execnz .LBB15_1563
.LBB15_1543:
	s_or_b64 exec, exec, s[4:5]
	v_mov_b32_e32 v10, 0
	s_and_saveexec_b64 s[4:5], s[6:7]
	s_cbranch_execz .LBB15_1545
.LBB15_1544:
	v_lshlrev_b32_e32 v3, 24, v1
	v_and_b32_e32 v1, 0xffff, v1
	v_and_b32_e32 v5, 3, v1
	v_ffbh_u32_e32 v11, v5
	v_min_u32_e32 v11, 32, v11
	v_subrev_u32_e32 v14, 29, v11
	v_bfe_u32 v10, v1, 2, 5
	v_lshlrev_b32_e32 v1, v14, v1
	v_sub_u32_e32 v11, 30, v11
	v_and_b32_e32 v1, 3, v1
	v_cmp_eq_u32_e32 vcc, 0, v10
	v_cndmask_b32_e32 v10, v10, v11, vcc
	v_cndmask_b32_e32 v1, v5, v1, vcc
	v_mov_b32_e32 v5, 0x37800000
	v_lshlrev_b32_e32 v1, 21, v1
	v_and_b32_e32 v3, 0x80000000, v3
	v_lshl_add_u32 v5, v10, 23, v5
	v_or3_b32 v1, v3, v5, v1
	v_trunc_f32_e32 v1, v1
	s_mov_b32 s6, 0x2f800000
	v_mul_f32_e64 v3, |v1|, s6
	v_floor_f32_e32 v3, v3
	s_mov_b32 s6, 0xcf800000
	v_fma_f32 v3, v3, s6, |v1|
	v_cvt_u32_f32_e32 v3, v3
	v_ashrrev_i32_e32 v1, 31, v1
	v_xor_b32_e32 v3, v3, v1
	v_sub_u32_e32 v10, v3, v1
.LBB15_1545:
	s_or_b64 exec, exec, s[4:5]
	s_mov_b64 s[4:5], 0
	s_branch .LBB15_1551
.LBB15_1546:
	s_mov_b64 s[4:5], -1
                                        ; implicit-def: $vgpr10
	s_branch .LBB15_1557
.LBB15_1547:
	s_andn2_saveexec_b64 s[6:7], s[6:7]
	s_cbranch_execz .LBB15_1532
.LBB15_1548:
	v_cmp_ne_u16_e32 vcc, 0, v1
	s_andn2_b64 s[10:11], s[10:11], exec
	s_and_b64 s[16:17], vcc, exec
	s_or_b64 s[10:11], s[10:11], s[16:17]
	s_or_b64 exec, exec, s[6:7]
	v_mov_b32_e32 v10, 0
	s_and_saveexec_b64 s[6:7], s[10:11]
	s_cbranch_execnz .LBB15_1533
	s_branch .LBB15_1534
.LBB15_1549:
	s_mov_b64 s[4:5], -1
                                        ; implicit-def: $vgpr10
	s_branch .LBB15_1554
.LBB15_1550:
	s_mov_b64 s[4:5], -1
                                        ; implicit-def: $vgpr10
.LBB15_1551:
	s_and_b64 vcc, exec, s[4:5]
	s_cbranch_vccz .LBB15_1553
; %bb.1552:
	global_load_ubyte v1, v[12:13], off
	s_mov_b32 s4, 0x7f800000
	s_brev_b32 s5, 1
	s_mov_b32 s6, 0x2f800000
	s_waitcnt vmcnt(0)
	v_lshlrev_b32_e32 v1, 24, v1
	v_and_b32_e32 v3, 0x7f000000, v1
	v_ffbh_u32_e32 v5, v3
	v_min_u32_e32 v5, 32, v5
	v_sub_u32_e64 v5, v5, 4 clamp
	v_lshlrev_b32_e32 v11, v5, v3
	v_lshlrev_b32_e32 v5, 23, v5
	v_lshrrev_b32_e32 v11, 4, v11
	v_add_u32_e32 v10, 0x1000000, v3
	v_sub_u32_e32 v5, v11, v5
	v_ashrrev_i32_e32 v10, 8, v10
	v_add_u32_e32 v5, 0x3c000000, v5
	v_and_or_b32 v5, v10, s4, v5
	v_cmp_ne_u32_e32 vcc, 0, v3
	v_cndmask_b32_e32 v3, 0, v5, vcc
	v_and_or_b32 v1, v1, s5, v3
	v_trunc_f32_e32 v1, v1
	v_mul_f32_e64 v3, |v1|, s6
	v_floor_f32_e32 v3, v3
	s_mov_b32 s4, 0xcf800000
	v_fma_f32 v3, v3, s4, |v1|
	v_cvt_u32_f32_e32 v3, v3
	v_ashrrev_i32_e32 v1, 31, v1
	v_xor_b32_e32 v3, v3, v1
	v_sub_u32_e32 v10, v3, v1
.LBB15_1553:
	s_mov_b64 s[4:5], 0
.LBB15_1554:
	s_andn2_b64 vcc, exec, s[4:5]
	s_cbranch_vccnz .LBB15_1556
; %bb.1555:
	global_load_ubyte v1, v[12:13], off
	s_movk_i32 s4, 0x7f00
	s_brev_b32 s5, 16
	s_brev_b32 s6, 1
	s_mov_b32 s7, 0x2f800000
	s_waitcnt vmcnt(0)
	v_lshlrev_b16_e32 v3, 8, v1
	v_lshlrev_b32_e32 v1, 25, v1
	v_lshrrev_b32_e32 v5, 4, v1
	v_and_or_b32 v10, v3, s4, 0.5
	v_or_b32_e32 v5, 0x70000000, v5
	v_add_f32_e32 v10, -0.5, v10
	v_mul_f32_e32 v5, 0x7800000, v5
	v_cmp_gt_u32_e32 vcc, s5, v1
	v_bfe_i32 v3, v3, 0, 16
	v_cndmask_b32_e32 v1, v5, v10, vcc
	v_and_or_b32 v1, v3, s6, v1
	v_trunc_f32_e32 v1, v1
	v_mul_f32_e64 v3, |v1|, s7
	v_floor_f32_e32 v3, v3
	s_mov_b32 s4, 0xcf800000
	v_fma_f32 v3, v3, s4, |v1|
	v_cvt_u32_f32_e32 v3, v3
	v_ashrrev_i32_e32 v1, 31, v1
	v_xor_b32_e32 v3, v3, v1
	v_sub_u32_e32 v10, v3, v1
.LBB15_1556:
	s_mov_b64 s[4:5], 0
	s_mov_b64 s[6:7], -1
.LBB15_1557:
	s_andn2_b64 vcc, exec, s[4:5]
	s_mov_b64 s[4:5], 0
	s_cbranch_vccnz .LBB15_1568
; %bb.1558:
	s_cmp_gt_i32 s12, 14
	s_cbranch_scc0 .LBB15_1561
; %bb.1559:
	s_cmp_eq_u32 s12, 15
	s_cbranch_scc0 .LBB15_1564
; %bb.1560:
	global_load_ushort v1, v[12:13], off
	s_mov_b32 s0, 0x2f800000
	s_mov_b32 s1, 0xcf800000
	s_mov_b64 s[6:7], -1
	s_waitcnt vmcnt(0)
	v_lshlrev_b32_e32 v1, 16, v1
	v_trunc_f32_e32 v1, v1
	v_mul_f32_e64 v3, |v1|, s0
	v_floor_f32_e32 v3, v3
	v_fma_f32 v3, v3, s1, |v1|
	v_cvt_u32_f32_e32 v3, v3
	v_ashrrev_i32_e32 v1, 31, v1
	s_mov_b64 s[0:1], 0
	v_xor_b32_e32 v3, v3, v1
	v_sub_u32_e32 v10, v3, v1
	s_branch .LBB15_1565
.LBB15_1561:
	s_mov_b64 s[10:11], -1
                                        ; implicit-def: $vgpr10
	s_branch .LBB15_1566
.LBB15_1562:
	s_andn2_saveexec_b64 s[4:5], s[4:5]
	s_cbranch_execz .LBB15_1543
.LBB15_1563:
	v_cmp_ne_u16_e32 vcc, 0, v1
	s_andn2_b64 s[6:7], s[6:7], exec
	s_and_b64 s[10:11], vcc, exec
	s_or_b64 s[6:7], s[6:7], s[10:11]
	s_or_b64 exec, exec, s[4:5]
	v_mov_b32_e32 v10, 0
	s_and_saveexec_b64 s[4:5], s[6:7]
	s_cbranch_execnz .LBB15_1544
	s_branch .LBB15_1545
.LBB15_1564:
	s_mov_b64 s[0:1], -1
                                        ; implicit-def: $vgpr10
.LBB15_1565:
	s_mov_b64 s[10:11], 0
.LBB15_1566:
	s_and_b64 vcc, exec, s[10:11]
	s_cbranch_vccz .LBB15_1568
; %bb.1567:
	s_cmp_lg_u32 s12, 11
	s_mov_b64 s[4:5], -1
	s_cselect_b64 s[0:1], -1, 0
.LBB15_1568:
	s_and_b64 vcc, exec, s[0:1]
	s_cbranch_vccnz .LBB15_2101
; %bb.1569:
	s_andn2_b64 vcc, exec, s[4:5]
	s_cbranch_vccnz .LBB15_1571
.LBB15_1570:
	global_load_ubyte v1, v[12:13], off
	s_mov_b64 s[6:7], -1
	s_waitcnt vmcnt(0)
	v_cmp_ne_u16_e32 vcc, 0, v1
	v_cndmask_b32_e64 v10, 0, 1, vcc
.LBB15_1571:
	s_mov_b64 s[0:1], 0
.LBB15_1572:
	s_and_b64 vcc, exec, s[0:1]
	s_cbranch_vccz .LBB15_1621
; %bb.1573:
	s_and_b32 s4, 0xffff, s14
	s_cmp_lt_i32 s4, 5
	s_cbranch_scc1 .LBB15_1578
; %bb.1574:
	s_cmp_lt_i32 s4, 8
	s_cbranch_scc1 .LBB15_1579
; %bb.1575:
	;; [unrolled: 3-line block ×3, first 2 shown]
	s_cmp_gt_i32 s4, 9
	s_cbranch_scc0 .LBB15_1581
; %bb.1577:
	global_load_dwordx2 v[10:11], v[12:13], off
	s_movk_i32 s0, 0xffe0
	s_waitcnt vmcnt(0)
	v_trunc_f64_e32 v[10:11], v[10:11]
	v_ldexp_f64 v[14:15], v[10:11], s0
	s_mov_b32 s0, 0
	s_mov_b32 s1, 0xc1f00000
	v_floor_f64_e32 v[14:15], v[14:15]
	v_fma_f64 v[10:11], v[14:15], s[0:1], v[10:11]
	s_mov_b64 s[0:1], 0
	v_cvt_u32_f64_e32 v10, v[10:11]
	s_branch .LBB15_1582
.LBB15_1578:
	s_mov_b64 s[0:1], -1
                                        ; implicit-def: $vgpr10
	s_branch .LBB15_1600
.LBB15_1579:
	s_mov_b64 s[0:1], -1
                                        ; implicit-def: $vgpr10
	s_branch .LBB15_1588
.LBB15_1580:
	s_mov_b64 s[0:1], -1
                                        ; implicit-def: $vgpr10
	s_branch .LBB15_1585
.LBB15_1581:
	s_mov_b64 s[0:1], -1
                                        ; implicit-def: $vgpr10
.LBB15_1582:
	s_andn2_b64 vcc, exec, s[0:1]
	s_cbranch_vccnz .LBB15_1584
; %bb.1583:
	global_load_dword v1, v[12:13], off
	s_mov_b32 s0, 0x2f800000
	s_waitcnt vmcnt(0)
	v_trunc_f32_e32 v1, v1
	v_mul_f32_e64 v3, |v1|, s0
	v_floor_f32_e32 v3, v3
	s_mov_b32 s0, 0xcf800000
	v_fma_f32 v3, v3, s0, |v1|
	v_cvt_u32_f32_e32 v3, v3
	v_ashrrev_i32_e32 v1, 31, v1
	v_xor_b32_e32 v3, v3, v1
	v_sub_u32_e32 v10, v3, v1
.LBB15_1584:
	s_mov_b64 s[0:1], 0
.LBB15_1585:
	s_andn2_b64 vcc, exec, s[0:1]
	s_cbranch_vccnz .LBB15_1587
; %bb.1586:
	global_load_dword v1, v[12:13], off
	s_waitcnt vmcnt(0)
	v_cvt_f32_f16_e32 v1, v1
	v_cvt_i32_f32_e32 v10, v1
.LBB15_1587:
	s_mov_b64 s[0:1], 0
.LBB15_1588:
	s_andn2_b64 vcc, exec, s[0:1]
	s_cbranch_vccnz .LBB15_1599
; %bb.1589:
	s_cmp_lt_i32 s4, 6
	s_cbranch_scc1 .LBB15_1592
; %bb.1590:
	s_cmp_gt_i32 s4, 6
	s_cbranch_scc0 .LBB15_1593
; %bb.1591:
	global_load_dwordx2 v[10:11], v[12:13], off
	s_movk_i32 s0, 0xffe0
	s_waitcnt vmcnt(0)
	v_trunc_f64_e32 v[10:11], v[10:11]
	v_ldexp_f64 v[14:15], v[10:11], s0
	s_mov_b32 s0, 0
	s_mov_b32 s1, 0xc1f00000
	v_floor_f64_e32 v[14:15], v[14:15]
	v_fma_f64 v[10:11], v[14:15], s[0:1], v[10:11]
	s_mov_b64 s[0:1], 0
	v_cvt_u32_f64_e32 v10, v[10:11]
	s_branch .LBB15_1594
.LBB15_1592:
	s_mov_b64 s[0:1], -1
                                        ; implicit-def: $vgpr10
	s_branch .LBB15_1597
.LBB15_1593:
	s_mov_b64 s[0:1], -1
                                        ; implicit-def: $vgpr10
.LBB15_1594:
	s_andn2_b64 vcc, exec, s[0:1]
	s_cbranch_vccnz .LBB15_1596
; %bb.1595:
	global_load_dword v1, v[12:13], off
	s_mov_b32 s0, 0x2f800000
	s_waitcnt vmcnt(0)
	v_trunc_f32_e32 v1, v1
	v_mul_f32_e64 v3, |v1|, s0
	v_floor_f32_e32 v3, v3
	s_mov_b32 s0, 0xcf800000
	v_fma_f32 v3, v3, s0, |v1|
	v_cvt_u32_f32_e32 v3, v3
	v_ashrrev_i32_e32 v1, 31, v1
	v_xor_b32_e32 v3, v3, v1
	v_sub_u32_e32 v10, v3, v1
.LBB15_1596:
	s_mov_b64 s[0:1], 0
.LBB15_1597:
	s_andn2_b64 vcc, exec, s[0:1]
	s_cbranch_vccnz .LBB15_1599
; %bb.1598:
	global_load_ushort v1, v[12:13], off
	s_waitcnt vmcnt(0)
	v_cvt_f32_f16_e32 v1, v1
	v_cvt_i32_f32_e32 v10, v1
.LBB15_1599:
	s_mov_b64 s[0:1], 0
.LBB15_1600:
	s_andn2_b64 vcc, exec, s[0:1]
	s_cbranch_vccnz .LBB15_1620
; %bb.1601:
	s_cmp_lt_i32 s4, 2
	s_cbranch_scc1 .LBB15_1605
; %bb.1602:
	s_cmp_lt_i32 s4, 3
	s_cbranch_scc1 .LBB15_1606
; %bb.1603:
	s_cmp_gt_i32 s4, 3
	s_cbranch_scc0 .LBB15_1607
; %bb.1604:
	global_load_dwordx2 v[10:11], v[12:13], off
	s_mov_b64 s[0:1], 0
	s_branch .LBB15_1608
.LBB15_1605:
	s_mov_b64 s[0:1], -1
                                        ; implicit-def: $vgpr10
	s_branch .LBB15_1614
.LBB15_1606:
	s_mov_b64 s[0:1], -1
                                        ; implicit-def: $vgpr10
	s_branch .LBB15_1611
.LBB15_1607:
	s_mov_b64 s[0:1], -1
                                        ; implicit-def: $vgpr10
.LBB15_1608:
	s_andn2_b64 vcc, exec, s[0:1]
	s_cbranch_vccnz .LBB15_1610
; %bb.1609:
	global_load_dword v10, v[12:13], off
.LBB15_1610:
	s_mov_b64 s[0:1], 0
.LBB15_1611:
	s_andn2_b64 vcc, exec, s[0:1]
	s_cbranch_vccnz .LBB15_1613
; %bb.1612:
	global_load_ushort v10, v[12:13], off
.LBB15_1613:
	s_mov_b64 s[0:1], 0
.LBB15_1614:
	s_andn2_b64 vcc, exec, s[0:1]
	s_cbranch_vccnz .LBB15_1620
; %bb.1615:
	s_cmp_gt_i32 s4, 0
	s_cbranch_scc0 .LBB15_1617
; %bb.1616:
	global_load_ubyte v10, v[12:13], off
	s_mov_b64 s[0:1], 0
	s_branch .LBB15_1618
.LBB15_1617:
	s_mov_b64 s[0:1], -1
                                        ; implicit-def: $vgpr10
.LBB15_1618:
	s_andn2_b64 vcc, exec, s[0:1]
	s_cbranch_vccnz .LBB15_1620
; %bb.1619:
	global_load_ubyte v10, v[12:13], off
.LBB15_1620:
	s_mov_b64 s[6:7], -1
.LBB15_1621:
	s_andn2_b64 vcc, exec, s[6:7]
	s_cbranch_vccnz .LBB15_2055
; %bb.1622:
	s_load_dwordx2 s[0:1], s[34:35], 0x158
	s_load_dword s6, s[34:35], 0x160
	v_mov_b32_e32 v1, s9
	v_add_co_u32_e32 v5, vcc, s8, v6
	s_waitcnt lgkmcnt(0)
	s_cmp_eq_u32 s0, 0
	s_cselect_b64 s[4:5], -1, 0
	s_and_b32 s19, s1, 0xff
	s_waitcnt vmcnt(0)
	v_cmp_ne_u16_sdwa s[0:1], s19, v7 src0_sel:DWORD src1_sel:BYTE_0
	s_and_b32 s18, s6, 0xff
	s_xor_b64 s[6:7], s[4:5], s[0:1]
	s_cmp_lt_i32 s18, 11
	v_addc_co_u32_e32 v6, vcc, 0, v1, vcc
	s_cbranch_scc1 .LBB15_1700
; %bb.1623:
	s_and_b32 s20, 0xffff, s18
	s_mov_b64 s[14:15], -1
	s_mov_b64 s[10:11], 0
	s_cmp_gt_i32 s20, 25
	s_mov_b64 s[12:13], 0
	s_mov_b64 s[0:1], 0
	s_cbranch_scc0 .LBB15_1656
; %bb.1624:
	s_cmp_gt_i32 s20, 28
	s_cbranch_scc0 .LBB15_1639
; %bb.1625:
	s_cmp_gt_i32 s20, 43
	s_cbranch_scc0 .LBB15_1635
; %bb.1626:
	s_cmp_gt_i32 s20, 45
	s_cbranch_scc0 .LBB15_1629
; %bb.1627:
	s_mov_b64 s[0:1], -1
	s_mov_b64 s[14:15], 0
	s_cmp_eq_u32 s20, 46
	s_cbranch_scc0 .LBB15_1629
; %bb.1628:
	v_cndmask_b32_e64 v1, 0, 1.0, s[6:7]
	v_bfe_u32 v3, v1, 16, 1
	s_movk_i32 s0, 0x7fff
	v_add3_u32 v1, v1, v3, s0
	v_lshrrev_b32_e32 v1, 16, v1
	global_store_dword v[5:6], v1, off
	s_mov_b64 s[0:1], 0
	s_mov_b64 s[12:13], -1
.LBB15_1629:
	s_and_b64 vcc, exec, s[14:15]
	s_cbranch_vccz .LBB15_1634
; %bb.1630:
	s_cmp_eq_u32 s20, 44
	s_mov_b64 s[0:1], -1
	s_cbranch_scc0 .LBB15_1634
; %bb.1631:
	v_cndmask_b32_e64 v3, 0, 1.0, s[6:7]
	v_lshrrev_b32_e32 v1, 23, v3
	s_movk_i32 s0, 0xff
	v_cmp_ne_u32_e32 vcc, s0, v1
	v_mov_b32_e32 v7, 0xff
	s_and_saveexec_b64 s[12:13], vcc
; %bb.1632:
	s_mov_b32 s0, 0x3fffff
	v_and_b32_e32 v7, 0x400000, v3
	v_and_or_b32 v3, v3, s0, v1
	v_cmp_ne_u32_e32 vcc, 0, v7
	v_cmp_ne_u32_e64 s[0:1], 0, v3
	s_and_b64 s[0:1], vcc, s[0:1]
	v_cndmask_b32_e64 v3, 0, 1, s[0:1]
	v_add_u32_e32 v7, v1, v3
; %bb.1633:
	s_or_b64 exec, exec, s[12:13]
	s_mov_b64 s[0:1], 0
	s_mov_b64 s[12:13], -1
	global_store_byte v[5:6], v7, off
.LBB15_1634:
	s_mov_b64 s[14:15], 0
.LBB15_1635:
	s_and_b64 vcc, exec, s[14:15]
	s_cbranch_vccz .LBB15_1638
; %bb.1636:
	s_cmp_eq_u32 s20, 29
	s_mov_b64 s[0:1], -1
	s_cbranch_scc0 .LBB15_1638
; %bb.1637:
	s_mov_b32 s0, 0
	v_cndmask_b32_e64 v11, 0, 1, s[6:7]
	v_mov_b32_e32 v12, s0
	global_store_dwordx2 v[5:6], v[11:12], off
	s_mov_b64 s[0:1], 0
	s_mov_b64 s[12:13], -1
.LBB15_1638:
	s_mov_b64 s[14:15], 0
.LBB15_1639:
	s_and_b64 vcc, exec, s[14:15]
	s_cbranch_vccz .LBB15_1655
; %bb.1640:
	s_cmp_lt_i32 s20, 27
	s_mov_b64 s[12:13], -1
	s_cbranch_scc1 .LBB15_1646
; %bb.1641:
	s_cmp_gt_i32 s20, 27
	s_cbranch_scc0 .LBB15_1643
; %bb.1642:
	v_cndmask_b32_e64 v1, 0, 1, s[6:7]
	s_mov_b64 s[12:13], 0
	global_store_dword v[5:6], v1, off
.LBB15_1643:
	s_andn2_b64 vcc, exec, s[12:13]
	s_cbranch_vccnz .LBB15_1645
; %bb.1644:
	v_cndmask_b32_e64 v1, 0, 1, s[6:7]
	global_store_short v[5:6], v1, off
.LBB15_1645:
	s_mov_b64 s[12:13], 0
.LBB15_1646:
	s_andn2_b64 vcc, exec, s[12:13]
	s_cbranch_vccnz .LBB15_1654
; %bb.1647:
	v_cndmask_b32_e64 v3, 0, 1.0, s[6:7]
	s_mov_b32 s12, 0x43800000
	v_cmp_gt_u32_e32 vcc, s12, v3
	v_mov_b32_e32 v7, 0x80
	s_and_saveexec_b64 s[12:13], vcc
	s_cbranch_execz .LBB15_1653
; %bb.1648:
	s_mov_b32 s14, 0x3bffffff
	v_cmp_lt_u32_e32 vcc, s14, v3
	s_mov_b64 s[14:15], 0
                                        ; implicit-def: $vgpr1
	s_and_saveexec_b64 s[16:17], vcc
	s_xor_b64 s[16:17], exec, s[16:17]
	s_cbranch_execz .LBB15_2102
; %bb.1649:
	v_bfe_u32 v1, v3, 20, 1
	s_mov_b32 s21, 0x487ffff
	v_add3_u32 v1, v3, v1, s21
	s_mov_b64 s[14:15], exec
	v_lshrrev_b32_e32 v1, 20, v1
                                        ; implicit-def: $vgpr3
	s_andn2_saveexec_b64 s[16:17], s[16:17]
	s_cbranch_execnz .LBB15_2103
.LBB15_1650:
	s_or_b64 exec, exec, s[16:17]
	v_mov_b32_e32 v7, 0
	s_and_saveexec_b64 s[16:17], s[14:15]
.LBB15_1651:
	v_mov_b32_e32 v7, v1
.LBB15_1652:
	s_or_b64 exec, exec, s[16:17]
.LBB15_1653:
	s_or_b64 exec, exec, s[12:13]
	global_store_byte v[5:6], v7, off
.LBB15_1654:
	s_mov_b64 s[12:13], -1
.LBB15_1655:
	s_mov_b64 s[14:15], 0
.LBB15_1656:
	s_and_b64 vcc, exec, s[14:15]
	s_cbranch_vccz .LBB15_1696
; %bb.1657:
	s_cmp_gt_i32 s20, 22
	s_mov_b64 s[10:11], -1
	s_cbranch_scc0 .LBB15_1689
; %bb.1658:
	s_cmp_lt_i32 s20, 24
	s_cbranch_scc1 .LBB15_1678
; %bb.1659:
	s_cmp_gt_i32 s20, 24
	s_cbranch_scc0 .LBB15_1667
; %bb.1660:
	v_cndmask_b32_e64 v3, 0, 1.0, s[6:7]
	s_mov_b32 s10, 0x47800000
	v_cmp_gt_u32_e32 vcc, s10, v3
	v_mov_b32_e32 v7, 0x80
	s_and_saveexec_b64 s[10:11], vcc
	s_cbranch_execz .LBB15_1666
; %bb.1661:
	s_mov_b32 s12, 0x37ffffff
	v_cmp_lt_u32_e32 vcc, s12, v3
	s_mov_b64 s[12:13], 0
                                        ; implicit-def: $vgpr1
	s_and_saveexec_b64 s[14:15], vcc
	s_xor_b64 s[14:15], exec, s[14:15]
	s_cbranch_execz .LBB15_2105
; %bb.1662:
	v_bfe_u32 v1, v3, 21, 1
	s_mov_b32 s16, 0x88fffff
	v_add3_u32 v1, v3, v1, s16
	s_mov_b64 s[12:13], exec
	v_lshrrev_b32_e32 v1, 21, v1
                                        ; implicit-def: $vgpr3
	s_andn2_saveexec_b64 s[14:15], s[14:15]
	s_cbranch_execnz .LBB15_2106
.LBB15_1663:
	s_or_b64 exec, exec, s[14:15]
	v_mov_b32_e32 v7, 0
	s_and_saveexec_b64 s[14:15], s[12:13]
.LBB15_1664:
	v_mov_b32_e32 v7, v1
.LBB15_1665:
	s_or_b64 exec, exec, s[14:15]
.LBB15_1666:
	s_or_b64 exec, exec, s[10:11]
	s_mov_b64 s[10:11], 0
	global_store_byte v[5:6], v7, off
.LBB15_1667:
	s_and_b64 vcc, exec, s[10:11]
	s_cbranch_vccz .LBB15_1677
; %bb.1668:
	v_cndmask_b32_e64 v1, 0, 1.0, s[6:7]
	s_mov_b32 s10, 0x43f00000
	v_cmp_gt_u32_e32 vcc, s10, v1
                                        ; implicit-def: $vgpr3
	s_and_saveexec_b64 s[10:11], vcc
	s_xor_b64 s[10:11], exec, s[10:11]
	s_cbranch_execz .LBB15_1674
; %bb.1669:
	s_mov_b32 s12, 0x3c7fffff
	v_cmp_lt_u32_e32 vcc, s12, v1
                                        ; implicit-def: $vgpr3
	s_and_saveexec_b64 s[12:13], vcc
	s_xor_b64 s[12:13], exec, s[12:13]
; %bb.1670:
	v_bfe_u32 v3, v1, 20, 1
	s_mov_b32 s14, 0x407ffff
	v_add3_u32 v1, v1, v3, s14
	v_lshrrev_b32_e32 v3, 20, v1
	v_and_b32_e32 v1, 0xff00000, v1
	s_mov_b32 s14, 0x7f00000
	v_mov_b32_e32 v7, 0x7e
	v_cmp_ne_u32_e32 vcc, s14, v1
	v_cndmask_b32_e32 v3, v7, v3, vcc
                                        ; implicit-def: $vgpr1
; %bb.1671:
	s_andn2_saveexec_b64 s[12:13], s[12:13]
; %bb.1672:
	v_add_f32_e32 v3, 0x46800000, v1
; %bb.1673:
	s_or_b64 exec, exec, s[12:13]
                                        ; implicit-def: $vgpr1
.LBB15_1674:
	s_andn2_saveexec_b64 s[10:11], s[10:11]
; %bb.1675:
	s_mov_b32 s12, 0x7f800000
	v_mov_b32_e32 v3, 0x7e
	v_mov_b32_e32 v7, 0x7f
	v_cmp_lt_u32_e32 vcc, s12, v1
	v_cndmask_b32_e32 v3, v3, v7, vcc
; %bb.1676:
	s_or_b64 exec, exec, s[10:11]
	global_store_byte v[5:6], v3, off
.LBB15_1677:
	s_mov_b64 s[10:11], 0
.LBB15_1678:
	s_andn2_b64 vcc, exec, s[10:11]
	s_cbranch_vccnz .LBB15_1688
; %bb.1679:
	v_cndmask_b32_e64 v1, 0, 1.0, s[6:7]
	s_mov_b32 s10, 0x47800000
	v_cmp_gt_u32_e32 vcc, s10, v1
                                        ; implicit-def: $vgpr3
	s_and_saveexec_b64 s[10:11], vcc
	s_xor_b64 s[10:11], exec, s[10:11]
	s_cbranch_execz .LBB15_1685
; %bb.1680:
	s_mov_b32 s12, 0x387fffff
	v_cmp_lt_u32_e32 vcc, s12, v1
                                        ; implicit-def: $vgpr3
	s_and_saveexec_b64 s[12:13], vcc
	s_xor_b64 s[12:13], exec, s[12:13]
; %bb.1681:
	v_bfe_u32 v3, v1, 21, 1
	s_mov_b32 s14, 0x80fffff
	v_add3_u32 v1, v1, v3, s14
	v_lshrrev_b32_e32 v3, 21, v1
                                        ; implicit-def: $vgpr1
; %bb.1682:
	s_andn2_saveexec_b64 s[12:13], s[12:13]
; %bb.1683:
	v_add_f32_e32 v3, 0x43000000, v1
; %bb.1684:
	s_or_b64 exec, exec, s[12:13]
                                        ; implicit-def: $vgpr1
.LBB15_1685:
	s_andn2_saveexec_b64 s[10:11], s[10:11]
; %bb.1686:
	s_mov_b32 s12, 0x7f800000
	v_mov_b32_e32 v3, 0x7c
	v_mov_b32_e32 v7, 0x7f
	v_cmp_lt_u32_e32 vcc, s12, v1
	v_cndmask_b32_e32 v3, v3, v7, vcc
; %bb.1687:
	s_or_b64 exec, exec, s[10:11]
	global_store_byte v[5:6], v3, off
.LBB15_1688:
	s_mov_b64 s[10:11], 0
	s_mov_b64 s[12:13], -1
.LBB15_1689:
	s_andn2_b64 vcc, exec, s[10:11]
	s_mov_b64 s[10:11], 0
	s_cbranch_vccnz .LBB15_1696
; %bb.1690:
	s_cmp_gt_i32 s20, 14
	s_mov_b64 s[14:15], -1
	s_cbranch_scc0 .LBB15_1694
; %bb.1691:
	s_cmp_eq_u32 s20, 15
	s_mov_b64 s[0:1], -1
	s_cbranch_scc0 .LBB15_1693
; %bb.1692:
	v_cndmask_b32_e64 v1, 0, 1.0, s[6:7]
	v_bfe_u32 v3, v1, 16, 1
	s_movk_i32 s0, 0x7fff
	v_add3_u32 v1, v1, v3, s0
	global_store_short_d16_hi v[5:6], v1, off
	s_mov_b64 s[0:1], 0
	s_mov_b64 s[12:13], -1
.LBB15_1693:
	s_mov_b64 s[14:15], 0
.LBB15_1694:
	s_and_b64 vcc, exec, s[14:15]
	s_cbranch_vccz .LBB15_1696
; %bb.1695:
	s_cmp_lg_u32 s20, 11
	s_mov_b64 s[10:11], -1
	s_cselect_b64 s[0:1], -1, 0
.LBB15_1696:
	s_and_b64 vcc, exec, s[0:1]
	s_cbranch_vccnz .LBB15_2104
; %bb.1697:
	s_andn2_b64 vcc, exec, s[10:11]
	s_cbranch_vccnz .LBB15_1699
.LBB15_1698:
	v_cndmask_b32_e64 v1, 0, 1, s[6:7]
	s_mov_b64 s[12:13], -1
	global_store_byte v[5:6], v1, off
.LBB15_1699:
	s_mov_b64 s[0:1], 0
	s_branch .LBB15_1701
.LBB15_1700:
	s_mov_b64 s[0:1], -1
	s_mov_b64 s[12:13], 0
.LBB15_1701:
	s_and_b64 vcc, exec, s[0:1]
	s_cbranch_vccz .LBB15_1740
; %bb.1702:
	s_and_b32 s10, 0xffff, s18
	s_cmp_lt_i32 s10, 5
	s_mov_b64 s[0:1], -1
	s_cbranch_scc1 .LBB15_1723
; %bb.1703:
	s_cmp_lt_i32 s10, 8
	s_cbranch_scc1 .LBB15_1713
; %bb.1704:
	s_cmp_lt_i32 s10, 9
	s_cbranch_scc1 .LBB15_1710
; %bb.1705:
	s_cmp_gt_i32 s10, 9
	s_cbranch_scc0 .LBB15_1707
; %bb.1706:
	v_cndmask_b32_e64 v1, 0, 1, s[6:7]
	v_cvt_f64_u32_e32 v[11:12], v1
	v_mov_b32_e32 v13, 0
	v_mov_b32_e32 v14, v13
	s_mov_b64 s[0:1], 0
	global_store_dwordx4 v[5:6], v[11:14], off
.LBB15_1707:
	s_andn2_b64 vcc, exec, s[0:1]
	s_cbranch_vccnz .LBB15_1709
; %bb.1708:
	v_cndmask_b32_e64 v11, 0, 1.0, s[6:7]
	v_mov_b32_e32 v12, 0
	global_store_dwordx2 v[5:6], v[11:12], off
.LBB15_1709:
	s_mov_b64 s[0:1], 0
.LBB15_1710:
	s_andn2_b64 vcc, exec, s[0:1]
	s_cbranch_vccnz .LBB15_1712
; %bb.1711:
	v_cndmask_b32_e64 v1, 0, 1.0, s[6:7]
	v_cvt_f16_f32_e32 v1, v1
	global_store_dword v[5:6], v1, off
.LBB15_1712:
	s_mov_b64 s[0:1], 0
.LBB15_1713:
	s_andn2_b64 vcc, exec, s[0:1]
	s_cbranch_vccnz .LBB15_1722
; %bb.1714:
	s_cmp_lt_i32 s10, 6
	s_mov_b64 s[0:1], -1
	s_cbranch_scc1 .LBB15_1720
; %bb.1715:
	s_cmp_gt_i32 s10, 6
	s_cbranch_scc0 .LBB15_1717
; %bb.1716:
	v_cndmask_b32_e64 v1, 0, 1, s[6:7]
	v_cvt_f64_u32_e32 v[11:12], v1
	s_mov_b64 s[0:1], 0
	global_store_dwordx2 v[5:6], v[11:12], off
.LBB15_1717:
	s_andn2_b64 vcc, exec, s[0:1]
	s_cbranch_vccnz .LBB15_1719
; %bb.1718:
	v_cndmask_b32_e64 v1, 0, 1.0, s[6:7]
	global_store_dword v[5:6], v1, off
.LBB15_1719:
	s_mov_b64 s[0:1], 0
.LBB15_1720:
	s_andn2_b64 vcc, exec, s[0:1]
	s_cbranch_vccnz .LBB15_1722
; %bb.1721:
	v_cndmask_b32_e64 v1, 0, 1.0, s[6:7]
	v_cvt_f16_f32_e32 v1, v1
	global_store_short v[5:6], v1, off
.LBB15_1722:
	s_mov_b64 s[0:1], 0
.LBB15_1723:
	s_andn2_b64 vcc, exec, s[0:1]
	s_cbranch_vccnz .LBB15_1739
; %bb.1724:
	s_cmp_lt_i32 s10, 2
	s_mov_b64 s[0:1], -1
	s_cbranch_scc1 .LBB15_1734
; %bb.1725:
	s_cmp_lt_i32 s10, 3
	s_cbranch_scc1 .LBB15_1731
; %bb.1726:
	s_cmp_gt_i32 s10, 3
	s_cbranch_scc0 .LBB15_1728
; %bb.1727:
	s_mov_b32 s0, 0
	v_cndmask_b32_e64 v11, 0, 1, s[6:7]
	v_mov_b32_e32 v12, s0
	global_store_dwordx2 v[5:6], v[11:12], off
	s_mov_b64 s[0:1], 0
.LBB15_1728:
	s_andn2_b64 vcc, exec, s[0:1]
	s_cbranch_vccnz .LBB15_1730
; %bb.1729:
	v_cndmask_b32_e64 v1, 0, 1, s[6:7]
	global_store_dword v[5:6], v1, off
.LBB15_1730:
	s_mov_b64 s[0:1], 0
.LBB15_1731:
	s_andn2_b64 vcc, exec, s[0:1]
	s_cbranch_vccnz .LBB15_1733
; %bb.1732:
	v_cndmask_b32_e64 v1, 0, 1, s[6:7]
	global_store_short v[5:6], v1, off
.LBB15_1733:
	s_mov_b64 s[0:1], 0
.LBB15_1734:
	s_andn2_b64 vcc, exec, s[0:1]
	s_cbranch_vccnz .LBB15_1739
; %bb.1735:
	s_mov_b64 s[0:1], -1
	s_cmp_gt_i32 s10, 0
	v_cndmask_b32_e64 v1, 0, 1, s[6:7]
	s_cbranch_scc0 .LBB15_1737
; %bb.1736:
	global_store_byte v[5:6], v1, off
	s_mov_b64 s[0:1], 0
.LBB15_1737:
	s_andn2_b64 vcc, exec, s[0:1]
	s_cbranch_vccnz .LBB15_1739
; %bb.1738:
	global_store_byte v[5:6], v1, off
.LBB15_1739:
	s_mov_b64 s[12:13], -1
.LBB15_1740:
	s_andn2_b64 vcc, exec, s[12:13]
	s_cbranch_vccnz .LBB15_2055
; %bb.1741:
	v_cmp_ne_u16_sdwa s[0:1], s19, v8 src0_sel:DWORD src1_sel:BYTE_0
	s_xor_b64 s[6:7], s[4:5], s[0:1]
	v_mov_b32_e32 v1, s9
	s_and_b32 s20, 0xffff, s18
	v_add_co_u32_e32 v3, vcc, s8, v4
	s_cmp_lt_i32 s20, 11
	v_addc_co_u32_e32 v4, vcc, 0, v1, vcc
	s_cbranch_scc1 .LBB15_1819
; %bb.1742:
	s_mov_b64 s[14:15], -1
	s_mov_b64 s[10:11], 0
	s_cmp_gt_i32 s20, 25
	s_mov_b64 s[12:13], 0
	s_mov_b64 s[0:1], 0
	s_cbranch_scc0 .LBB15_1775
; %bb.1743:
	s_cmp_gt_i32 s20, 28
	s_cbranch_scc0 .LBB15_1758
; %bb.1744:
	s_cmp_gt_i32 s20, 43
	;; [unrolled: 3-line block ×3, first 2 shown]
	s_cbranch_scc0 .LBB15_1748
; %bb.1746:
	s_mov_b64 s[0:1], -1
	s_mov_b64 s[14:15], 0
	s_cmp_eq_u32 s20, 46
	s_cbranch_scc0 .LBB15_1748
; %bb.1747:
	v_cndmask_b32_e64 v1, 0, 1.0, s[6:7]
	v_bfe_u32 v5, v1, 16, 1
	s_movk_i32 s0, 0x7fff
	v_add3_u32 v1, v1, v5, s0
	v_lshrrev_b32_e32 v1, 16, v1
	global_store_dword v[3:4], v1, off
	s_mov_b64 s[0:1], 0
	s_mov_b64 s[12:13], -1
.LBB15_1748:
	s_and_b64 vcc, exec, s[14:15]
	s_cbranch_vccz .LBB15_1753
; %bb.1749:
	s_cmp_eq_u32 s20, 44
	s_mov_b64 s[0:1], -1
	s_cbranch_scc0 .LBB15_1753
; %bb.1750:
	v_cndmask_b32_e64 v5, 0, 1.0, s[6:7]
	v_lshrrev_b32_e32 v1, 23, v5
	s_movk_i32 s0, 0xff
	v_cmp_ne_u32_e32 vcc, s0, v1
	v_mov_b32_e32 v6, 0xff
	s_and_saveexec_b64 s[12:13], vcc
; %bb.1751:
	s_mov_b32 s0, 0x3fffff
	v_and_b32_e32 v6, 0x400000, v5
	v_and_or_b32 v5, v5, s0, v1
	v_cmp_ne_u32_e32 vcc, 0, v6
	v_cmp_ne_u32_e64 s[0:1], 0, v5
	s_and_b64 s[0:1], vcc, s[0:1]
	v_cndmask_b32_e64 v5, 0, 1, s[0:1]
	v_add_u32_e32 v6, v1, v5
; %bb.1752:
	s_or_b64 exec, exec, s[12:13]
	s_mov_b64 s[0:1], 0
	s_mov_b64 s[12:13], -1
	global_store_byte v[3:4], v6, off
.LBB15_1753:
	s_mov_b64 s[14:15], 0
.LBB15_1754:
	s_and_b64 vcc, exec, s[14:15]
	s_cbranch_vccz .LBB15_1757
; %bb.1755:
	s_cmp_eq_u32 s20, 29
	s_mov_b64 s[0:1], -1
	s_cbranch_scc0 .LBB15_1757
; %bb.1756:
	s_mov_b32 s0, 0
	v_cndmask_b32_e64 v5, 0, 1, s[6:7]
	v_mov_b32_e32 v6, s0
	global_store_dwordx2 v[3:4], v[5:6], off
	s_mov_b64 s[0:1], 0
	s_mov_b64 s[12:13], -1
.LBB15_1757:
	s_mov_b64 s[14:15], 0
.LBB15_1758:
	s_and_b64 vcc, exec, s[14:15]
	s_cbranch_vccz .LBB15_1774
; %bb.1759:
	s_cmp_lt_i32 s20, 27
	s_mov_b64 s[12:13], -1
	s_cbranch_scc1 .LBB15_1765
; %bb.1760:
	s_cmp_gt_i32 s20, 27
	s_cbranch_scc0 .LBB15_1762
; %bb.1761:
	v_cndmask_b32_e64 v1, 0, 1, s[6:7]
	s_mov_b64 s[12:13], 0
	global_store_dword v[3:4], v1, off
.LBB15_1762:
	s_andn2_b64 vcc, exec, s[12:13]
	s_cbranch_vccnz .LBB15_1764
; %bb.1763:
	v_cndmask_b32_e64 v1, 0, 1, s[6:7]
	global_store_short v[3:4], v1, off
.LBB15_1764:
	s_mov_b64 s[12:13], 0
.LBB15_1765:
	s_andn2_b64 vcc, exec, s[12:13]
	s_cbranch_vccnz .LBB15_1773
; %bb.1766:
	v_cndmask_b32_e64 v5, 0, 1.0, s[6:7]
	s_mov_b32 s12, 0x43800000
	v_cmp_gt_u32_e32 vcc, s12, v5
	v_mov_b32_e32 v6, 0x80
	s_and_saveexec_b64 s[12:13], vcc
	s_cbranch_execz .LBB15_1772
; %bb.1767:
	s_mov_b32 s14, 0x3bffffff
	v_cmp_lt_u32_e32 vcc, s14, v5
	s_mov_b64 s[14:15], 0
                                        ; implicit-def: $vgpr1
	s_and_saveexec_b64 s[16:17], vcc
	s_xor_b64 s[16:17], exec, s[16:17]
	s_cbranch_execz .LBB15_2107
; %bb.1768:
	v_bfe_u32 v1, v5, 20, 1
	s_mov_b32 s21, 0x487ffff
	v_add3_u32 v1, v5, v1, s21
	s_mov_b64 s[14:15], exec
	v_lshrrev_b32_e32 v1, 20, v1
                                        ; implicit-def: $vgpr5
	s_andn2_saveexec_b64 s[16:17], s[16:17]
	s_cbranch_execnz .LBB15_2108
.LBB15_1769:
	s_or_b64 exec, exec, s[16:17]
	v_mov_b32_e32 v6, 0
	s_and_saveexec_b64 s[16:17], s[14:15]
.LBB15_1770:
	v_mov_b32_e32 v6, v1
.LBB15_1771:
	s_or_b64 exec, exec, s[16:17]
.LBB15_1772:
	s_or_b64 exec, exec, s[12:13]
	global_store_byte v[3:4], v6, off
.LBB15_1773:
	s_mov_b64 s[12:13], -1
.LBB15_1774:
	s_mov_b64 s[14:15], 0
.LBB15_1775:
	s_and_b64 vcc, exec, s[14:15]
	s_cbranch_vccz .LBB15_1815
; %bb.1776:
	s_cmp_gt_i32 s20, 22
	s_mov_b64 s[10:11], -1
	s_cbranch_scc0 .LBB15_1808
; %bb.1777:
	s_cmp_lt_i32 s20, 24
	s_cbranch_scc1 .LBB15_1797
; %bb.1778:
	s_cmp_gt_i32 s20, 24
	s_cbranch_scc0 .LBB15_1786
; %bb.1779:
	v_cndmask_b32_e64 v5, 0, 1.0, s[6:7]
	s_mov_b32 s10, 0x47800000
	v_cmp_gt_u32_e32 vcc, s10, v5
	v_mov_b32_e32 v6, 0x80
	s_and_saveexec_b64 s[10:11], vcc
	s_cbranch_execz .LBB15_1785
; %bb.1780:
	s_mov_b32 s12, 0x37ffffff
	v_cmp_lt_u32_e32 vcc, s12, v5
	s_mov_b64 s[12:13], 0
                                        ; implicit-def: $vgpr1
	s_and_saveexec_b64 s[14:15], vcc
	s_xor_b64 s[14:15], exec, s[14:15]
	s_cbranch_execz .LBB15_2110
; %bb.1781:
	v_bfe_u32 v1, v5, 21, 1
	s_mov_b32 s16, 0x88fffff
	v_add3_u32 v1, v5, v1, s16
	s_mov_b64 s[12:13], exec
	v_lshrrev_b32_e32 v1, 21, v1
                                        ; implicit-def: $vgpr5
	s_andn2_saveexec_b64 s[14:15], s[14:15]
	s_cbranch_execnz .LBB15_2111
.LBB15_1782:
	s_or_b64 exec, exec, s[14:15]
	v_mov_b32_e32 v6, 0
	s_and_saveexec_b64 s[14:15], s[12:13]
.LBB15_1783:
	v_mov_b32_e32 v6, v1
.LBB15_1784:
	s_or_b64 exec, exec, s[14:15]
.LBB15_1785:
	s_or_b64 exec, exec, s[10:11]
	s_mov_b64 s[10:11], 0
	global_store_byte v[3:4], v6, off
.LBB15_1786:
	s_and_b64 vcc, exec, s[10:11]
	s_cbranch_vccz .LBB15_1796
; %bb.1787:
	v_cndmask_b32_e64 v1, 0, 1.0, s[6:7]
	s_mov_b32 s10, 0x43f00000
	v_cmp_gt_u32_e32 vcc, s10, v1
                                        ; implicit-def: $vgpr5
	s_and_saveexec_b64 s[10:11], vcc
	s_xor_b64 s[10:11], exec, s[10:11]
	s_cbranch_execz .LBB15_1793
; %bb.1788:
	s_mov_b32 s12, 0x3c7fffff
	v_cmp_lt_u32_e32 vcc, s12, v1
                                        ; implicit-def: $vgpr5
	s_and_saveexec_b64 s[12:13], vcc
	s_xor_b64 s[12:13], exec, s[12:13]
; %bb.1789:
	v_bfe_u32 v5, v1, 20, 1
	s_mov_b32 s14, 0x407ffff
	v_add3_u32 v1, v1, v5, s14
	v_lshrrev_b32_e32 v5, 20, v1
	v_and_b32_e32 v1, 0xff00000, v1
	s_mov_b32 s14, 0x7f00000
	v_mov_b32_e32 v6, 0x7e
	v_cmp_ne_u32_e32 vcc, s14, v1
	v_cndmask_b32_e32 v5, v6, v5, vcc
                                        ; implicit-def: $vgpr1
; %bb.1790:
	s_andn2_saveexec_b64 s[12:13], s[12:13]
; %bb.1791:
	v_add_f32_e32 v5, 0x46800000, v1
; %bb.1792:
	s_or_b64 exec, exec, s[12:13]
                                        ; implicit-def: $vgpr1
.LBB15_1793:
	s_andn2_saveexec_b64 s[10:11], s[10:11]
; %bb.1794:
	s_mov_b32 s12, 0x7f800000
	v_mov_b32_e32 v5, 0x7e
	v_mov_b32_e32 v6, 0x7f
	v_cmp_lt_u32_e32 vcc, s12, v1
	v_cndmask_b32_e32 v5, v5, v6, vcc
; %bb.1795:
	s_or_b64 exec, exec, s[10:11]
	global_store_byte v[3:4], v5, off
.LBB15_1796:
	s_mov_b64 s[10:11], 0
.LBB15_1797:
	s_andn2_b64 vcc, exec, s[10:11]
	s_cbranch_vccnz .LBB15_1807
; %bb.1798:
	v_cndmask_b32_e64 v1, 0, 1.0, s[6:7]
	s_mov_b32 s10, 0x47800000
	v_cmp_gt_u32_e32 vcc, s10, v1
                                        ; implicit-def: $vgpr5
	s_and_saveexec_b64 s[10:11], vcc
	s_xor_b64 s[10:11], exec, s[10:11]
	s_cbranch_execz .LBB15_1804
; %bb.1799:
	s_mov_b32 s12, 0x387fffff
	v_cmp_lt_u32_e32 vcc, s12, v1
                                        ; implicit-def: $vgpr5
	s_and_saveexec_b64 s[12:13], vcc
	s_xor_b64 s[12:13], exec, s[12:13]
; %bb.1800:
	v_bfe_u32 v5, v1, 21, 1
	s_mov_b32 s14, 0x80fffff
	v_add3_u32 v1, v1, v5, s14
	v_lshrrev_b32_e32 v5, 21, v1
                                        ; implicit-def: $vgpr1
; %bb.1801:
	s_andn2_saveexec_b64 s[12:13], s[12:13]
; %bb.1802:
	v_add_f32_e32 v5, 0x43000000, v1
; %bb.1803:
	s_or_b64 exec, exec, s[12:13]
                                        ; implicit-def: $vgpr1
.LBB15_1804:
	s_andn2_saveexec_b64 s[10:11], s[10:11]
; %bb.1805:
	s_mov_b32 s12, 0x7f800000
	v_mov_b32_e32 v5, 0x7c
	v_mov_b32_e32 v6, 0x7f
	v_cmp_lt_u32_e32 vcc, s12, v1
	v_cndmask_b32_e32 v5, v5, v6, vcc
; %bb.1806:
	s_or_b64 exec, exec, s[10:11]
	global_store_byte v[3:4], v5, off
.LBB15_1807:
	s_mov_b64 s[10:11], 0
	s_mov_b64 s[12:13], -1
.LBB15_1808:
	s_andn2_b64 vcc, exec, s[10:11]
	s_mov_b64 s[10:11], 0
	s_cbranch_vccnz .LBB15_1815
; %bb.1809:
	s_cmp_gt_i32 s20, 14
	s_mov_b64 s[14:15], -1
	s_cbranch_scc0 .LBB15_1813
; %bb.1810:
	s_cmp_eq_u32 s20, 15
	s_mov_b64 s[0:1], -1
	s_cbranch_scc0 .LBB15_1812
; %bb.1811:
	v_cndmask_b32_e64 v1, 0, 1.0, s[6:7]
	v_bfe_u32 v5, v1, 16, 1
	s_movk_i32 s0, 0x7fff
	v_add3_u32 v1, v1, v5, s0
	global_store_short_d16_hi v[3:4], v1, off
	s_mov_b64 s[0:1], 0
	s_mov_b64 s[12:13], -1
.LBB15_1812:
	s_mov_b64 s[14:15], 0
.LBB15_1813:
	s_and_b64 vcc, exec, s[14:15]
	s_cbranch_vccz .LBB15_1815
; %bb.1814:
	s_cmp_lg_u32 s20, 11
	s_mov_b64 s[10:11], -1
	s_cselect_b64 s[0:1], -1, 0
.LBB15_1815:
	s_and_b64 vcc, exec, s[0:1]
	s_cbranch_vccnz .LBB15_2109
; %bb.1816:
	s_andn2_b64 vcc, exec, s[10:11]
	s_cbranch_vccnz .LBB15_1818
.LBB15_1817:
	v_cndmask_b32_e64 v1, 0, 1, s[6:7]
	s_mov_b64 s[12:13], -1
	global_store_byte v[3:4], v1, off
.LBB15_1818:
	s_mov_b64 s[0:1], 0
	s_branch .LBB15_1820
.LBB15_1819:
	s_mov_b64 s[0:1], -1
	s_mov_b64 s[12:13], 0
.LBB15_1820:
	s_and_b64 vcc, exec, s[0:1]
	s_cbranch_vccz .LBB15_1859
; %bb.1821:
	s_cmp_lt_i32 s20, 5
	s_mov_b64 s[0:1], -1
	s_cbranch_scc1 .LBB15_1842
; %bb.1822:
	s_cmp_lt_i32 s20, 8
	s_cbranch_scc1 .LBB15_1832
; %bb.1823:
	s_cmp_lt_i32 s20, 9
	s_cbranch_scc1 .LBB15_1829
; %bb.1824:
	s_cmp_gt_i32 s20, 9
	s_cbranch_scc0 .LBB15_1826
; %bb.1825:
	v_cndmask_b32_e64 v1, 0, 1, s[6:7]
	v_cvt_f64_u32_e32 v[5:6], v1
	v_mov_b32_e32 v7, 0
	v_mov_b32_e32 v8, v7
	s_mov_b64 s[0:1], 0
	global_store_dwordx4 v[3:4], v[5:8], off
.LBB15_1826:
	s_andn2_b64 vcc, exec, s[0:1]
	s_cbranch_vccnz .LBB15_1828
; %bb.1827:
	v_cndmask_b32_e64 v5, 0, 1.0, s[6:7]
	v_mov_b32_e32 v6, 0
	global_store_dwordx2 v[3:4], v[5:6], off
.LBB15_1828:
	s_mov_b64 s[0:1], 0
.LBB15_1829:
	s_andn2_b64 vcc, exec, s[0:1]
	s_cbranch_vccnz .LBB15_1831
; %bb.1830:
	v_cndmask_b32_e64 v1, 0, 1.0, s[6:7]
	v_cvt_f16_f32_e32 v1, v1
	global_store_dword v[3:4], v1, off
.LBB15_1831:
	s_mov_b64 s[0:1], 0
.LBB15_1832:
	s_andn2_b64 vcc, exec, s[0:1]
	s_cbranch_vccnz .LBB15_1841
; %bb.1833:
	s_cmp_lt_i32 s20, 6
	s_mov_b64 s[0:1], -1
	s_cbranch_scc1 .LBB15_1839
; %bb.1834:
	s_cmp_gt_i32 s20, 6
	s_cbranch_scc0 .LBB15_1836
; %bb.1835:
	v_cndmask_b32_e64 v1, 0, 1, s[6:7]
	v_cvt_f64_u32_e32 v[5:6], v1
	s_mov_b64 s[0:1], 0
	global_store_dwordx2 v[3:4], v[5:6], off
.LBB15_1836:
	s_andn2_b64 vcc, exec, s[0:1]
	s_cbranch_vccnz .LBB15_1838
; %bb.1837:
	v_cndmask_b32_e64 v1, 0, 1.0, s[6:7]
	global_store_dword v[3:4], v1, off
.LBB15_1838:
	s_mov_b64 s[0:1], 0
.LBB15_1839:
	s_andn2_b64 vcc, exec, s[0:1]
	s_cbranch_vccnz .LBB15_1841
; %bb.1840:
	v_cndmask_b32_e64 v1, 0, 1.0, s[6:7]
	v_cvt_f16_f32_e32 v1, v1
	global_store_short v[3:4], v1, off
.LBB15_1841:
	s_mov_b64 s[0:1], 0
.LBB15_1842:
	s_andn2_b64 vcc, exec, s[0:1]
	s_cbranch_vccnz .LBB15_1858
; %bb.1843:
	s_cmp_lt_i32 s20, 2
	s_mov_b64 s[0:1], -1
	s_cbranch_scc1 .LBB15_1853
; %bb.1844:
	s_cmp_lt_i32 s20, 3
	s_cbranch_scc1 .LBB15_1850
; %bb.1845:
	s_cmp_gt_i32 s20, 3
	s_cbranch_scc0 .LBB15_1847
; %bb.1846:
	s_mov_b32 s0, 0
	v_cndmask_b32_e64 v5, 0, 1, s[6:7]
	v_mov_b32_e32 v6, s0
	global_store_dwordx2 v[3:4], v[5:6], off
	s_mov_b64 s[0:1], 0
.LBB15_1847:
	s_andn2_b64 vcc, exec, s[0:1]
	s_cbranch_vccnz .LBB15_1849
; %bb.1848:
	v_cndmask_b32_e64 v1, 0, 1, s[6:7]
	global_store_dword v[3:4], v1, off
.LBB15_1849:
	s_mov_b64 s[0:1], 0
.LBB15_1850:
	s_andn2_b64 vcc, exec, s[0:1]
	s_cbranch_vccnz .LBB15_1852
; %bb.1851:
	v_cndmask_b32_e64 v1, 0, 1, s[6:7]
	global_store_short v[3:4], v1, off
.LBB15_1852:
	s_mov_b64 s[0:1], 0
.LBB15_1853:
	s_andn2_b64 vcc, exec, s[0:1]
	s_cbranch_vccnz .LBB15_1858
; %bb.1854:
	s_mov_b64 s[0:1], -1
	s_cmp_gt_i32 s20, 0
	v_cndmask_b32_e64 v1, 0, 1, s[6:7]
	s_cbranch_scc0 .LBB15_1856
; %bb.1855:
	global_store_byte v[3:4], v1, off
	s_mov_b64 s[0:1], 0
.LBB15_1856:
	s_andn2_b64 vcc, exec, s[0:1]
	s_cbranch_vccnz .LBB15_1858
; %bb.1857:
	global_store_byte v[3:4], v1, off
.LBB15_1858:
	s_mov_b64 s[12:13], -1
.LBB15_1859:
	s_andn2_b64 vcc, exec, s[12:13]
	s_cbranch_vccnz .LBB15_2055
; %bb.1860:
	v_cmp_ne_u16_sdwa s[0:1], s19, v9 src0_sel:DWORD src1_sel:BYTE_0
	s_xor_b64 s[6:7], s[4:5], s[0:1]
	v_mov_b32_e32 v3, s9
	v_add_co_u32_e32 v1, vcc, s8, v2
	s_cmp_lt_i32 s20, 11
	v_addc_co_u32_e32 v2, vcc, 0, v3, vcc
	s_cbranch_scc1 .LBB15_1938
; %bb.1861:
	s_mov_b64 s[14:15], -1
	s_mov_b64 s[10:11], 0
	s_cmp_gt_i32 s20, 25
	s_mov_b64 s[12:13], 0
	s_mov_b64 s[0:1], 0
	s_cbranch_scc0 .LBB15_1894
; %bb.1862:
	s_cmp_gt_i32 s20, 28
	s_cbranch_scc0 .LBB15_1877
; %bb.1863:
	s_cmp_gt_i32 s20, 43
	;; [unrolled: 3-line block ×3, first 2 shown]
	s_cbranch_scc0 .LBB15_1867
; %bb.1865:
	s_mov_b64 s[0:1], -1
	s_mov_b64 s[14:15], 0
	s_cmp_eq_u32 s20, 46
	s_cbranch_scc0 .LBB15_1867
; %bb.1866:
	v_cndmask_b32_e64 v3, 0, 1.0, s[6:7]
	v_bfe_u32 v4, v3, 16, 1
	s_movk_i32 s0, 0x7fff
	v_add3_u32 v3, v3, v4, s0
	v_lshrrev_b32_e32 v3, 16, v3
	global_store_dword v[1:2], v3, off
	s_mov_b64 s[0:1], 0
	s_mov_b64 s[12:13], -1
.LBB15_1867:
	s_and_b64 vcc, exec, s[14:15]
	s_cbranch_vccz .LBB15_1872
; %bb.1868:
	s_cmp_eq_u32 s20, 44
	s_mov_b64 s[0:1], -1
	s_cbranch_scc0 .LBB15_1872
; %bb.1869:
	v_cndmask_b32_e64 v4, 0, 1.0, s[6:7]
	v_lshrrev_b32_e32 v3, 23, v4
	s_movk_i32 s0, 0xff
	v_cmp_ne_u32_e32 vcc, s0, v3
	v_mov_b32_e32 v5, 0xff
	s_and_saveexec_b64 s[12:13], vcc
; %bb.1870:
	s_mov_b32 s0, 0x3fffff
	v_and_b32_e32 v5, 0x400000, v4
	v_and_or_b32 v4, v4, s0, v3
	v_cmp_ne_u32_e32 vcc, 0, v5
	v_cmp_ne_u32_e64 s[0:1], 0, v4
	s_and_b64 s[0:1], vcc, s[0:1]
	v_cndmask_b32_e64 v4, 0, 1, s[0:1]
	v_add_u32_e32 v5, v3, v4
; %bb.1871:
	s_or_b64 exec, exec, s[12:13]
	s_mov_b64 s[0:1], 0
	s_mov_b64 s[12:13], -1
	global_store_byte v[1:2], v5, off
.LBB15_1872:
	s_mov_b64 s[14:15], 0
.LBB15_1873:
	s_and_b64 vcc, exec, s[14:15]
	s_cbranch_vccz .LBB15_1876
; %bb.1874:
	s_cmp_eq_u32 s20, 29
	s_mov_b64 s[0:1], -1
	s_cbranch_scc0 .LBB15_1876
; %bb.1875:
	s_mov_b32 s0, 0
	v_cndmask_b32_e64 v3, 0, 1, s[6:7]
	v_mov_b32_e32 v4, s0
	global_store_dwordx2 v[1:2], v[3:4], off
	s_mov_b64 s[0:1], 0
	s_mov_b64 s[12:13], -1
.LBB15_1876:
	s_mov_b64 s[14:15], 0
.LBB15_1877:
	s_and_b64 vcc, exec, s[14:15]
	s_cbranch_vccz .LBB15_1893
; %bb.1878:
	s_cmp_lt_i32 s20, 27
	s_mov_b64 s[12:13], -1
	s_cbranch_scc1 .LBB15_1884
; %bb.1879:
	s_cmp_gt_i32 s20, 27
	s_cbranch_scc0 .LBB15_1881
; %bb.1880:
	v_cndmask_b32_e64 v3, 0, 1, s[6:7]
	s_mov_b64 s[12:13], 0
	global_store_dword v[1:2], v3, off
.LBB15_1881:
	s_andn2_b64 vcc, exec, s[12:13]
	s_cbranch_vccnz .LBB15_1883
; %bb.1882:
	v_cndmask_b32_e64 v3, 0, 1, s[6:7]
	global_store_short v[1:2], v3, off
.LBB15_1883:
	s_mov_b64 s[12:13], 0
.LBB15_1884:
	s_andn2_b64 vcc, exec, s[12:13]
	s_cbranch_vccnz .LBB15_1892
; %bb.1885:
	v_cndmask_b32_e64 v4, 0, 1.0, s[6:7]
	s_mov_b32 s12, 0x43800000
	v_cmp_gt_u32_e32 vcc, s12, v4
	v_mov_b32_e32 v5, 0x80
	s_and_saveexec_b64 s[12:13], vcc
	s_cbranch_execz .LBB15_1891
; %bb.1886:
	s_mov_b32 s14, 0x3bffffff
	v_cmp_lt_u32_e32 vcc, s14, v4
	s_mov_b64 s[14:15], 0
                                        ; implicit-def: $vgpr3
	s_and_saveexec_b64 s[16:17], vcc
	s_xor_b64 s[16:17], exec, s[16:17]
	s_cbranch_execz .LBB15_2112
; %bb.1887:
	v_bfe_u32 v3, v4, 20, 1
	s_mov_b32 s21, 0x487ffff
	v_add3_u32 v3, v4, v3, s21
	s_mov_b64 s[14:15], exec
	v_lshrrev_b32_e32 v3, 20, v3
                                        ; implicit-def: $vgpr4
	s_andn2_saveexec_b64 s[16:17], s[16:17]
	s_cbranch_execnz .LBB15_2113
.LBB15_1888:
	s_or_b64 exec, exec, s[16:17]
	v_mov_b32_e32 v5, 0
	s_and_saveexec_b64 s[16:17], s[14:15]
.LBB15_1889:
	v_mov_b32_e32 v5, v3
.LBB15_1890:
	s_or_b64 exec, exec, s[16:17]
.LBB15_1891:
	s_or_b64 exec, exec, s[12:13]
	global_store_byte v[1:2], v5, off
.LBB15_1892:
	s_mov_b64 s[12:13], -1
.LBB15_1893:
	s_mov_b64 s[14:15], 0
.LBB15_1894:
	s_and_b64 vcc, exec, s[14:15]
	s_cbranch_vccz .LBB15_1934
; %bb.1895:
	s_cmp_gt_i32 s20, 22
	s_mov_b64 s[10:11], -1
	s_cbranch_scc0 .LBB15_1927
; %bb.1896:
	s_cmp_lt_i32 s20, 24
	s_cbranch_scc1 .LBB15_1916
; %bb.1897:
	s_cmp_gt_i32 s20, 24
	s_cbranch_scc0 .LBB15_1905
; %bb.1898:
	v_cndmask_b32_e64 v4, 0, 1.0, s[6:7]
	s_mov_b32 s10, 0x47800000
	v_cmp_gt_u32_e32 vcc, s10, v4
	v_mov_b32_e32 v5, 0x80
	s_and_saveexec_b64 s[10:11], vcc
	s_cbranch_execz .LBB15_1904
; %bb.1899:
	s_mov_b32 s12, 0x37ffffff
	v_cmp_lt_u32_e32 vcc, s12, v4
	s_mov_b64 s[12:13], 0
                                        ; implicit-def: $vgpr3
	s_and_saveexec_b64 s[14:15], vcc
	s_xor_b64 s[14:15], exec, s[14:15]
	s_cbranch_execz .LBB15_2115
; %bb.1900:
	v_bfe_u32 v3, v4, 21, 1
	s_mov_b32 s16, 0x88fffff
	v_add3_u32 v3, v4, v3, s16
	s_mov_b64 s[12:13], exec
	v_lshrrev_b32_e32 v3, 21, v3
                                        ; implicit-def: $vgpr4
	s_andn2_saveexec_b64 s[14:15], s[14:15]
	s_cbranch_execnz .LBB15_2116
.LBB15_1901:
	s_or_b64 exec, exec, s[14:15]
	v_mov_b32_e32 v5, 0
	s_and_saveexec_b64 s[14:15], s[12:13]
.LBB15_1902:
	v_mov_b32_e32 v5, v3
.LBB15_1903:
	s_or_b64 exec, exec, s[14:15]
.LBB15_1904:
	s_or_b64 exec, exec, s[10:11]
	s_mov_b64 s[10:11], 0
	global_store_byte v[1:2], v5, off
.LBB15_1905:
	s_and_b64 vcc, exec, s[10:11]
	s_cbranch_vccz .LBB15_1915
; %bb.1906:
	v_cndmask_b32_e64 v3, 0, 1.0, s[6:7]
	s_mov_b32 s10, 0x43f00000
	v_cmp_gt_u32_e32 vcc, s10, v3
                                        ; implicit-def: $vgpr4
	s_and_saveexec_b64 s[10:11], vcc
	s_xor_b64 s[10:11], exec, s[10:11]
	s_cbranch_execz .LBB15_1912
; %bb.1907:
	s_mov_b32 s12, 0x3c7fffff
	v_cmp_lt_u32_e32 vcc, s12, v3
                                        ; implicit-def: $vgpr4
	s_and_saveexec_b64 s[12:13], vcc
	s_xor_b64 s[12:13], exec, s[12:13]
; %bb.1908:
	v_bfe_u32 v4, v3, 20, 1
	s_mov_b32 s14, 0x407ffff
	v_add3_u32 v3, v3, v4, s14
	v_lshrrev_b32_e32 v4, 20, v3
	v_and_b32_e32 v3, 0xff00000, v3
	s_mov_b32 s14, 0x7f00000
	v_mov_b32_e32 v5, 0x7e
	v_cmp_ne_u32_e32 vcc, s14, v3
	v_cndmask_b32_e32 v4, v5, v4, vcc
                                        ; implicit-def: $vgpr3
; %bb.1909:
	s_andn2_saveexec_b64 s[12:13], s[12:13]
; %bb.1910:
	v_add_f32_e32 v4, 0x46800000, v3
; %bb.1911:
	s_or_b64 exec, exec, s[12:13]
                                        ; implicit-def: $vgpr3
.LBB15_1912:
	s_andn2_saveexec_b64 s[10:11], s[10:11]
; %bb.1913:
	s_mov_b32 s12, 0x7f800000
	v_mov_b32_e32 v4, 0x7e
	v_mov_b32_e32 v5, 0x7f
	v_cmp_lt_u32_e32 vcc, s12, v3
	v_cndmask_b32_e32 v4, v4, v5, vcc
; %bb.1914:
	s_or_b64 exec, exec, s[10:11]
	global_store_byte v[1:2], v4, off
.LBB15_1915:
	s_mov_b64 s[10:11], 0
.LBB15_1916:
	s_andn2_b64 vcc, exec, s[10:11]
	s_cbranch_vccnz .LBB15_1926
; %bb.1917:
	v_cndmask_b32_e64 v3, 0, 1.0, s[6:7]
	s_mov_b32 s10, 0x47800000
	v_cmp_gt_u32_e32 vcc, s10, v3
                                        ; implicit-def: $vgpr4
	s_and_saveexec_b64 s[10:11], vcc
	s_xor_b64 s[10:11], exec, s[10:11]
	s_cbranch_execz .LBB15_1923
; %bb.1918:
	s_mov_b32 s12, 0x387fffff
	v_cmp_lt_u32_e32 vcc, s12, v3
                                        ; implicit-def: $vgpr4
	s_and_saveexec_b64 s[12:13], vcc
	s_xor_b64 s[12:13], exec, s[12:13]
; %bb.1919:
	v_bfe_u32 v4, v3, 21, 1
	s_mov_b32 s14, 0x80fffff
	v_add3_u32 v3, v3, v4, s14
	v_lshrrev_b32_e32 v4, 21, v3
                                        ; implicit-def: $vgpr3
; %bb.1920:
	s_andn2_saveexec_b64 s[12:13], s[12:13]
; %bb.1921:
	v_add_f32_e32 v4, 0x43000000, v3
; %bb.1922:
	s_or_b64 exec, exec, s[12:13]
                                        ; implicit-def: $vgpr3
.LBB15_1923:
	s_andn2_saveexec_b64 s[10:11], s[10:11]
; %bb.1924:
	s_mov_b32 s12, 0x7f800000
	v_mov_b32_e32 v4, 0x7c
	v_mov_b32_e32 v5, 0x7f
	v_cmp_lt_u32_e32 vcc, s12, v3
	v_cndmask_b32_e32 v4, v4, v5, vcc
; %bb.1925:
	s_or_b64 exec, exec, s[10:11]
	global_store_byte v[1:2], v4, off
.LBB15_1926:
	s_mov_b64 s[10:11], 0
	s_mov_b64 s[12:13], -1
.LBB15_1927:
	s_andn2_b64 vcc, exec, s[10:11]
	s_mov_b64 s[10:11], 0
	s_cbranch_vccnz .LBB15_1934
; %bb.1928:
	s_cmp_gt_i32 s20, 14
	s_mov_b64 s[14:15], -1
	s_cbranch_scc0 .LBB15_1932
; %bb.1929:
	s_cmp_eq_u32 s20, 15
	s_mov_b64 s[0:1], -1
	s_cbranch_scc0 .LBB15_1931
; %bb.1930:
	v_cndmask_b32_e64 v3, 0, 1.0, s[6:7]
	v_bfe_u32 v4, v3, 16, 1
	s_movk_i32 s0, 0x7fff
	v_add3_u32 v3, v3, v4, s0
	global_store_short_d16_hi v[1:2], v3, off
	s_mov_b64 s[0:1], 0
	s_mov_b64 s[12:13], -1
.LBB15_1931:
	s_mov_b64 s[14:15], 0
.LBB15_1932:
	s_and_b64 vcc, exec, s[14:15]
	s_cbranch_vccz .LBB15_1934
; %bb.1933:
	s_cmp_lg_u32 s20, 11
	s_mov_b64 s[10:11], -1
	s_cselect_b64 s[0:1], -1, 0
.LBB15_1934:
	s_and_b64 vcc, exec, s[0:1]
	s_cbranch_vccnz .LBB15_2114
; %bb.1935:
	s_andn2_b64 vcc, exec, s[10:11]
	s_cbranch_vccnz .LBB15_1937
.LBB15_1936:
	v_cndmask_b32_e64 v3, 0, 1, s[6:7]
	s_mov_b64 s[12:13], -1
	global_store_byte v[1:2], v3, off
.LBB15_1937:
	s_mov_b64 s[0:1], 0
	s_branch .LBB15_1939
.LBB15_1938:
	s_mov_b64 s[0:1], -1
	s_mov_b64 s[12:13], 0
.LBB15_1939:
	s_and_b64 vcc, exec, s[0:1]
	s_cbranch_vccz .LBB15_1978
; %bb.1940:
	s_cmp_lt_i32 s20, 5
	s_mov_b64 s[0:1], -1
	s_cbranch_scc1 .LBB15_1961
; %bb.1941:
	s_cmp_lt_i32 s20, 8
	s_cbranch_scc1 .LBB15_1951
; %bb.1942:
	s_cmp_lt_i32 s20, 9
	s_cbranch_scc1 .LBB15_1948
; %bb.1943:
	s_cmp_gt_i32 s20, 9
	s_cbranch_scc0 .LBB15_1945
; %bb.1944:
	v_cndmask_b32_e64 v3, 0, 1, s[6:7]
	v_cvt_f64_u32_e32 v[3:4], v3
	v_mov_b32_e32 v5, 0
	v_mov_b32_e32 v6, v5
	s_mov_b64 s[0:1], 0
	global_store_dwordx4 v[1:2], v[3:6], off
.LBB15_1945:
	s_andn2_b64 vcc, exec, s[0:1]
	s_cbranch_vccnz .LBB15_1947
; %bb.1946:
	v_cndmask_b32_e64 v3, 0, 1.0, s[6:7]
	v_mov_b32_e32 v4, 0
	global_store_dwordx2 v[1:2], v[3:4], off
.LBB15_1947:
	s_mov_b64 s[0:1], 0
.LBB15_1948:
	s_andn2_b64 vcc, exec, s[0:1]
	s_cbranch_vccnz .LBB15_1950
; %bb.1949:
	v_cndmask_b32_e64 v3, 0, 1.0, s[6:7]
	v_cvt_f16_f32_e32 v3, v3
	global_store_dword v[1:2], v3, off
.LBB15_1950:
	s_mov_b64 s[0:1], 0
.LBB15_1951:
	s_andn2_b64 vcc, exec, s[0:1]
	s_cbranch_vccnz .LBB15_1960
; %bb.1952:
	s_cmp_lt_i32 s20, 6
	s_mov_b64 s[0:1], -1
	s_cbranch_scc1 .LBB15_1958
; %bb.1953:
	s_cmp_gt_i32 s20, 6
	s_cbranch_scc0 .LBB15_1955
; %bb.1954:
	v_cndmask_b32_e64 v3, 0, 1, s[6:7]
	v_cvt_f64_u32_e32 v[3:4], v3
	s_mov_b64 s[0:1], 0
	global_store_dwordx2 v[1:2], v[3:4], off
.LBB15_1955:
	s_andn2_b64 vcc, exec, s[0:1]
	s_cbranch_vccnz .LBB15_1957
; %bb.1956:
	v_cndmask_b32_e64 v3, 0, 1.0, s[6:7]
	global_store_dword v[1:2], v3, off
.LBB15_1957:
	s_mov_b64 s[0:1], 0
.LBB15_1958:
	s_andn2_b64 vcc, exec, s[0:1]
	s_cbranch_vccnz .LBB15_1960
; %bb.1959:
	v_cndmask_b32_e64 v3, 0, 1.0, s[6:7]
	v_cvt_f16_f32_e32 v3, v3
	global_store_short v[1:2], v3, off
.LBB15_1960:
	s_mov_b64 s[0:1], 0
.LBB15_1961:
	s_andn2_b64 vcc, exec, s[0:1]
	s_cbranch_vccnz .LBB15_1977
; %bb.1962:
	s_cmp_lt_i32 s20, 2
	s_mov_b64 s[0:1], -1
	s_cbranch_scc1 .LBB15_1972
; %bb.1963:
	s_cmp_lt_i32 s20, 3
	s_cbranch_scc1 .LBB15_1969
; %bb.1964:
	s_cmp_gt_i32 s20, 3
	s_cbranch_scc0 .LBB15_1966
; %bb.1965:
	s_mov_b32 s0, 0
	v_cndmask_b32_e64 v3, 0, 1, s[6:7]
	v_mov_b32_e32 v4, s0
	global_store_dwordx2 v[1:2], v[3:4], off
	s_mov_b64 s[0:1], 0
.LBB15_1966:
	s_andn2_b64 vcc, exec, s[0:1]
	s_cbranch_vccnz .LBB15_1968
; %bb.1967:
	v_cndmask_b32_e64 v3, 0, 1, s[6:7]
	global_store_dword v[1:2], v3, off
.LBB15_1968:
	s_mov_b64 s[0:1], 0
.LBB15_1969:
	s_andn2_b64 vcc, exec, s[0:1]
	s_cbranch_vccnz .LBB15_1971
; %bb.1970:
	v_cndmask_b32_e64 v3, 0, 1, s[6:7]
	global_store_short v[1:2], v3, off
.LBB15_1971:
	s_mov_b64 s[0:1], 0
.LBB15_1972:
	s_andn2_b64 vcc, exec, s[0:1]
	s_cbranch_vccnz .LBB15_1977
; %bb.1973:
	s_cmp_gt_i32 s20, 0
	s_mov_b64 s[0:1], -1
	s_cbranch_scc0 .LBB15_1975
; %bb.1974:
	v_cndmask_b32_e64 v3, 0, 1, s[6:7]
	global_store_byte v[1:2], v3, off
	s_mov_b64 s[0:1], 0
.LBB15_1975:
	s_andn2_b64 vcc, exec, s[0:1]
	s_cbranch_vccnz .LBB15_1977
; %bb.1976:
	v_cndmask_b32_e64 v3, 0, 1, s[6:7]
	global_store_byte v[1:2], v3, off
.LBB15_1977:
	s_mov_b64 s[12:13], -1
.LBB15_1978:
	s_andn2_b64 vcc, exec, s[12:13]
	s_cbranch_vccnz .LBB15_2055
; %bb.1979:
	v_cmp_ne_u16_sdwa s[0:1], s19, v10 src0_sel:DWORD src1_sel:BYTE_0
	s_xor_b64 s[10:11], s[4:5], s[0:1]
	v_mov_b32_e32 v1, s9
	v_add_co_u32_e32 v0, vcc, s8, v0
	s_cmp_lt_i32 s20, 11
	v_addc_co_u32_e32 v1, vcc, 0, v1, vcc
	s_cbranch_scc1 .LBB15_2100
; %bb.1980:
	s_mov_b64 s[6:7], -1
	s_mov_b64 s[4:5], 0
	s_cmp_gt_i32 s20, 25
	s_mov_b64 s[0:1], 0
	s_cbranch_scc0 .LBB15_2013
; %bb.1981:
	s_cmp_gt_i32 s20, 28
	s_cbranch_scc0 .LBB15_1997
; %bb.1982:
	s_cmp_gt_i32 s20, 43
	;; [unrolled: 3-line block ×3, first 2 shown]
	s_cbranch_scc0 .LBB15_1987
; %bb.1984:
	s_cmp_eq_u32 s20, 46
	s_mov_b64 s[0:1], -1
	s_cbranch_scc0 .LBB15_1986
; %bb.1985:
	v_cndmask_b32_e64 v2, 0, 1.0, s[10:11]
	v_bfe_u32 v3, v2, 16, 1
	s_movk_i32 s0, 0x7fff
	v_add3_u32 v2, v2, v3, s0
	v_lshrrev_b32_e32 v2, 16, v2
	global_store_dword v[0:1], v2, off
	s_mov_b64 s[0:1], 0
.LBB15_1986:
	s_mov_b64 s[6:7], 0
.LBB15_1987:
	s_and_b64 vcc, exec, s[6:7]
	s_cbranch_vccz .LBB15_1992
; %bb.1988:
	s_cmp_eq_u32 s20, 44
	s_mov_b64 s[0:1], -1
	s_cbranch_scc0 .LBB15_1992
; %bb.1989:
	v_cndmask_b32_e64 v3, 0, 1.0, s[10:11]
	v_lshrrev_b32_e32 v2, 23, v3
	s_movk_i32 s0, 0xff
	v_cmp_ne_u32_e32 vcc, s0, v2
	v_mov_b32_e32 v4, 0xff
	s_and_saveexec_b64 s[6:7], vcc
; %bb.1990:
	s_mov_b32 s0, 0x3fffff
	v_and_b32_e32 v4, 0x400000, v3
	v_and_or_b32 v3, v3, s0, v2
	v_cmp_ne_u32_e32 vcc, 0, v4
	v_cmp_ne_u32_e64 s[0:1], 0, v3
	s_and_b64 s[0:1], vcc, s[0:1]
	v_cndmask_b32_e64 v3, 0, 1, s[0:1]
	v_add_u32_e32 v4, v2, v3
; %bb.1991:
	s_or_b64 exec, exec, s[6:7]
	s_mov_b64 s[0:1], 0
	global_store_byte v[0:1], v4, off
.LBB15_1992:
	s_mov_b64 s[6:7], 0
.LBB15_1993:
	s_and_b64 vcc, exec, s[6:7]
	s_cbranch_vccz .LBB15_1996
; %bb.1994:
	s_cmp_eq_u32 s20, 29
	s_mov_b64 s[0:1], -1
	s_cbranch_scc0 .LBB15_1996
; %bb.1995:
	s_mov_b32 s0, 0
	v_cndmask_b32_e64 v2, 0, 1, s[10:11]
	v_mov_b32_e32 v3, s0
	global_store_dwordx2 v[0:1], v[2:3], off
	s_mov_b64 s[0:1], 0
.LBB15_1996:
	s_mov_b64 s[6:7], 0
.LBB15_1997:
	s_and_b64 vcc, exec, s[6:7]
	s_cbranch_vccz .LBB15_2012
; %bb.1998:
	s_cmp_lt_i32 s20, 27
	s_mov_b64 s[6:7], -1
	s_cbranch_scc1 .LBB15_2004
; %bb.1999:
	s_cmp_gt_i32 s20, 27
	s_cbranch_scc0 .LBB15_2001
; %bb.2000:
	v_cndmask_b32_e64 v2, 0, 1, s[10:11]
	global_store_dword v[0:1], v2, off
	s_mov_b64 s[6:7], 0
.LBB15_2001:
	s_andn2_b64 vcc, exec, s[6:7]
	s_cbranch_vccnz .LBB15_2003
; %bb.2002:
	v_cndmask_b32_e64 v2, 0, 1, s[10:11]
	global_store_short v[0:1], v2, off
.LBB15_2003:
	s_mov_b64 s[6:7], 0
.LBB15_2004:
	s_andn2_b64 vcc, exec, s[6:7]
	s_cbranch_vccnz .LBB15_2012
; %bb.2005:
	v_cndmask_b32_e64 v3, 0, 1.0, s[10:11]
	s_mov_b32 s6, 0x43800000
	v_cmp_gt_u32_e32 vcc, s6, v3
	v_mov_b32_e32 v4, 0x80
	s_and_saveexec_b64 s[6:7], vcc
	s_cbranch_execz .LBB15_2011
; %bb.2006:
	s_mov_b32 s8, 0x3bffffff
	v_cmp_lt_u32_e32 vcc, s8, v3
	s_mov_b64 s[8:9], 0
                                        ; implicit-def: $vgpr2
	s_and_saveexec_b64 s[12:13], vcc
	s_xor_b64 s[12:13], exec, s[12:13]
	s_cbranch_execz .LBB15_2117
; %bb.2007:
	v_bfe_u32 v2, v3, 20, 1
	s_mov_b32 s14, 0x487ffff
	v_add3_u32 v2, v3, v2, s14
	s_mov_b64 s[8:9], exec
	v_lshrrev_b32_e32 v2, 20, v2
                                        ; implicit-def: $vgpr3
	s_andn2_saveexec_b64 s[12:13], s[12:13]
	s_cbranch_execnz .LBB15_2118
.LBB15_2008:
	s_or_b64 exec, exec, s[12:13]
	v_mov_b32_e32 v4, 0
	s_and_saveexec_b64 s[12:13], s[8:9]
.LBB15_2009:
	v_mov_b32_e32 v4, v2
.LBB15_2010:
	s_or_b64 exec, exec, s[12:13]
.LBB15_2011:
	s_or_b64 exec, exec, s[6:7]
	global_store_byte v[0:1], v4, off
.LBB15_2012:
	s_mov_b64 s[6:7], 0
.LBB15_2013:
	s_and_b64 vcc, exec, s[6:7]
	s_cbranch_vccz .LBB15_2053
; %bb.2014:
	s_cmp_gt_i32 s20, 22
	s_mov_b64 s[4:5], -1
	s_cbranch_scc0 .LBB15_2046
; %bb.2015:
	s_cmp_lt_i32 s20, 24
	s_cbranch_scc1 .LBB15_2035
; %bb.2016:
	s_cmp_gt_i32 s20, 24
	s_cbranch_scc0 .LBB15_2024
; %bb.2017:
	v_cndmask_b32_e64 v3, 0, 1.0, s[10:11]
	s_mov_b32 s4, 0x47800000
	v_cmp_gt_u32_e32 vcc, s4, v3
	v_mov_b32_e32 v4, 0x80
	s_and_saveexec_b64 s[4:5], vcc
	s_cbranch_execz .LBB15_2023
; %bb.2018:
	s_mov_b32 s6, 0x37ffffff
	v_cmp_lt_u32_e32 vcc, s6, v3
	s_mov_b64 s[6:7], 0
                                        ; implicit-def: $vgpr2
	s_and_saveexec_b64 s[8:9], vcc
	s_xor_b64 s[8:9], exec, s[8:9]
	s_cbranch_execz .LBB15_2120
; %bb.2019:
	v_bfe_u32 v2, v3, 21, 1
	s_mov_b32 s12, 0x88fffff
	v_add3_u32 v2, v3, v2, s12
	s_mov_b64 s[6:7], exec
	v_lshrrev_b32_e32 v2, 21, v2
                                        ; implicit-def: $vgpr3
	s_andn2_saveexec_b64 s[8:9], s[8:9]
	s_cbranch_execnz .LBB15_2121
.LBB15_2020:
	s_or_b64 exec, exec, s[8:9]
	v_mov_b32_e32 v4, 0
	s_and_saveexec_b64 s[8:9], s[6:7]
.LBB15_2021:
	v_mov_b32_e32 v4, v2
.LBB15_2022:
	s_or_b64 exec, exec, s[8:9]
.LBB15_2023:
	s_or_b64 exec, exec, s[4:5]
	s_mov_b64 s[4:5], 0
	global_store_byte v[0:1], v4, off
.LBB15_2024:
	s_and_b64 vcc, exec, s[4:5]
	s_cbranch_vccz .LBB15_2034
; %bb.2025:
	v_cndmask_b32_e64 v2, 0, 1.0, s[10:11]
	s_mov_b32 s4, 0x43f00000
	v_cmp_gt_u32_e32 vcc, s4, v2
                                        ; implicit-def: $vgpr3
	s_and_saveexec_b64 s[4:5], vcc
	s_xor_b64 s[4:5], exec, s[4:5]
	s_cbranch_execz .LBB15_2031
; %bb.2026:
	s_mov_b32 s6, 0x3c7fffff
	v_cmp_lt_u32_e32 vcc, s6, v2
                                        ; implicit-def: $vgpr3
	s_and_saveexec_b64 s[6:7], vcc
	s_xor_b64 s[6:7], exec, s[6:7]
; %bb.2027:
	v_bfe_u32 v3, v2, 20, 1
	s_mov_b32 s8, 0x407ffff
	v_add3_u32 v2, v2, v3, s8
	v_lshrrev_b32_e32 v3, 20, v2
	v_and_b32_e32 v2, 0xff00000, v2
	s_mov_b32 s8, 0x7f00000
	v_mov_b32_e32 v4, 0x7e
	v_cmp_ne_u32_e32 vcc, s8, v2
	v_cndmask_b32_e32 v3, v4, v3, vcc
                                        ; implicit-def: $vgpr2
; %bb.2028:
	s_andn2_saveexec_b64 s[6:7], s[6:7]
; %bb.2029:
	v_add_f32_e32 v3, 0x46800000, v2
; %bb.2030:
	s_or_b64 exec, exec, s[6:7]
                                        ; implicit-def: $vgpr2
.LBB15_2031:
	s_andn2_saveexec_b64 s[4:5], s[4:5]
; %bb.2032:
	s_mov_b32 s6, 0x7f800000
	v_mov_b32_e32 v3, 0x7e
	v_mov_b32_e32 v4, 0x7f
	v_cmp_lt_u32_e32 vcc, s6, v2
	v_cndmask_b32_e32 v3, v3, v4, vcc
; %bb.2033:
	s_or_b64 exec, exec, s[4:5]
	global_store_byte v[0:1], v3, off
.LBB15_2034:
	s_mov_b64 s[4:5], 0
.LBB15_2035:
	s_andn2_b64 vcc, exec, s[4:5]
	s_cbranch_vccnz .LBB15_2045
; %bb.2036:
	v_cndmask_b32_e64 v2, 0, 1.0, s[10:11]
	s_mov_b32 s4, 0x47800000
	v_cmp_gt_u32_e32 vcc, s4, v2
                                        ; implicit-def: $vgpr3
	s_and_saveexec_b64 s[4:5], vcc
	s_xor_b64 s[4:5], exec, s[4:5]
	s_cbranch_execz .LBB15_2042
; %bb.2037:
	s_mov_b32 s6, 0x387fffff
	v_cmp_lt_u32_e32 vcc, s6, v2
                                        ; implicit-def: $vgpr3
	s_and_saveexec_b64 s[6:7], vcc
	s_xor_b64 s[6:7], exec, s[6:7]
; %bb.2038:
	v_bfe_u32 v3, v2, 21, 1
	s_mov_b32 s8, 0x80fffff
	v_add3_u32 v2, v2, v3, s8
	v_lshrrev_b32_e32 v3, 21, v2
                                        ; implicit-def: $vgpr2
; %bb.2039:
	s_andn2_saveexec_b64 s[6:7], s[6:7]
; %bb.2040:
	v_add_f32_e32 v3, 0x43000000, v2
; %bb.2041:
	s_or_b64 exec, exec, s[6:7]
                                        ; implicit-def: $vgpr2
.LBB15_2042:
	s_andn2_saveexec_b64 s[4:5], s[4:5]
; %bb.2043:
	s_mov_b32 s6, 0x7f800000
	v_mov_b32_e32 v3, 0x7c
	v_mov_b32_e32 v4, 0x7f
	v_cmp_lt_u32_e32 vcc, s6, v2
	v_cndmask_b32_e32 v3, v3, v4, vcc
; %bb.2044:
	s_or_b64 exec, exec, s[4:5]
	global_store_byte v[0:1], v3, off
.LBB15_2045:
	s_mov_b64 s[4:5], 0
.LBB15_2046:
	s_andn2_b64 vcc, exec, s[4:5]
	s_mov_b64 s[4:5], 0
	s_cbranch_vccnz .LBB15_2053
; %bb.2047:
	s_cmp_gt_i32 s20, 14
	s_mov_b64 s[6:7], -1
	s_cbranch_scc0 .LBB15_2051
; %bb.2048:
	s_cmp_eq_u32 s20, 15
	s_mov_b64 s[0:1], -1
	s_cbranch_scc0 .LBB15_2050
; %bb.2049:
	v_cndmask_b32_e64 v2, 0, 1.0, s[10:11]
	v_bfe_u32 v3, v2, 16, 1
	s_movk_i32 s0, 0x7fff
	v_add3_u32 v2, v2, v3, s0
	global_store_short_d16_hi v[0:1], v2, off
	s_mov_b64 s[0:1], 0
.LBB15_2050:
	s_mov_b64 s[6:7], 0
.LBB15_2051:
	s_and_b64 vcc, exec, s[6:7]
	s_cbranch_vccz .LBB15_2053
; %bb.2052:
	s_cmp_lg_u32 s20, 11
	s_mov_b64 s[4:5], -1
	s_cselect_b64 s[0:1], -1, 0
.LBB15_2053:
	s_and_b64 vcc, exec, s[0:1]
	s_cbranch_vccnz .LBB15_2119
.LBB15_2054:
	s_mov_b64 s[0:1], 0
	s_branch .LBB15_2056
.LBB15_2055:
	s_mov_b64 s[0:1], 0
	s_mov_b64 s[4:5], 0
                                        ; implicit-def: $sgpr10_sgpr11
                                        ; implicit-def: $vgpr0_vgpr1
                                        ; implicit-def: $sgpr18
.LBB15_2056:
	s_and_b64 s[6:7], s[4:5], exec
	s_andn2_b64 s[4:5], s[28:29], exec
	s_and_b64 s[2:3], s[2:3], exec
	s_and_b64 s[0:1], s[0:1], exec
	s_or_b64 s[28:29], s[4:5], s[2:3]
.LBB15_2057:
	s_or_b64 exec, exec, s[30:31]
	s_and_saveexec_b64 s[2:3], s[28:29]
	s_cbranch_execz .LBB15_2060
; %bb.2058:
	; divergent unreachable
	s_or_b64 exec, exec, s[2:3]
	s_and_saveexec_b64 s[2:3], s[6:7]
	s_xor_b64 s[2:3], exec, s[2:3]
	s_cbranch_execnz .LBB15_2061
.LBB15_2059:
	s_or_b64 exec, exec, s[2:3]
	s_and_saveexec_b64 s[2:3], s[0:1]
	s_cbranch_execnz .LBB15_2062
	s_branch .LBB15_2099
.LBB15_2060:
	s_or_b64 exec, exec, s[2:3]
	s_and_saveexec_b64 s[2:3], s[6:7]
	s_xor_b64 s[2:3], exec, s[2:3]
	s_cbranch_execz .LBB15_2059
.LBB15_2061:
	v_cndmask_b32_e64 v2, 0, 1, s[10:11]
	global_store_byte v[0:1], v2, off
	s_or_b64 exec, exec, s[2:3]
	s_and_saveexec_b64 s[2:3], s[0:1]
	s_cbranch_execz .LBB15_2099
.LBB15_2062:
	s_sext_i32_i16 s2, s18
	s_cmp_lt_i32 s2, 5
	s_mov_b64 s[0:1], -1
	s_cbranch_scc1 .LBB15_2083
; %bb.2063:
	s_cmp_lt_i32 s2, 8
	s_cbranch_scc1 .LBB15_2073
; %bb.2064:
	s_cmp_lt_i32 s2, 9
	s_cbranch_scc1 .LBB15_2070
; %bb.2065:
	s_cmp_gt_i32 s2, 9
	s_cbranch_scc0 .LBB15_2067
; %bb.2066:
	v_cndmask_b32_e64 v2, 0, 1, s[10:11]
	s_waitcnt vmcnt(0)
	v_cvt_f64_u32_e32 v[2:3], v2
	v_mov_b32_e32 v4, 0
	v_mov_b32_e32 v5, v4
	s_mov_b64 s[0:1], 0
	global_store_dwordx4 v[0:1], v[2:5], off
.LBB15_2067:
	s_andn2_b64 vcc, exec, s[0:1]
	s_cbranch_vccnz .LBB15_2069
; %bb.2068:
	v_cndmask_b32_e64 v2, 0, 1.0, s[10:11]
	s_waitcnt vmcnt(0)
	v_mov_b32_e32 v3, 0
	global_store_dwordx2 v[0:1], v[2:3], off
.LBB15_2069:
	s_mov_b64 s[0:1], 0
.LBB15_2070:
	s_andn2_b64 vcc, exec, s[0:1]
	s_cbranch_vccnz .LBB15_2072
; %bb.2071:
	v_cndmask_b32_e64 v2, 0, 1.0, s[10:11]
	v_cvt_f16_f32_e32 v2, v2
	global_store_dword v[0:1], v2, off
.LBB15_2072:
	s_mov_b64 s[0:1], 0
.LBB15_2073:
	s_andn2_b64 vcc, exec, s[0:1]
	s_cbranch_vccnz .LBB15_2082
; %bb.2074:
	s_sext_i32_i16 s2, s18
	s_cmp_lt_i32 s2, 6
	s_mov_b64 s[0:1], -1
	s_cbranch_scc1 .LBB15_2080
; %bb.2075:
	s_cmp_gt_i32 s2, 6
	s_cbranch_scc0 .LBB15_2077
; %bb.2076:
	v_cndmask_b32_e64 v2, 0, 1, s[10:11]
	s_waitcnt vmcnt(0)
	v_cvt_f64_u32_e32 v[2:3], v2
	s_mov_b64 s[0:1], 0
	global_store_dwordx2 v[0:1], v[2:3], off
.LBB15_2077:
	s_andn2_b64 vcc, exec, s[0:1]
	s_cbranch_vccnz .LBB15_2079
; %bb.2078:
	v_cndmask_b32_e64 v2, 0, 1.0, s[10:11]
	global_store_dword v[0:1], v2, off
.LBB15_2079:
	s_mov_b64 s[0:1], 0
.LBB15_2080:
	s_andn2_b64 vcc, exec, s[0:1]
	s_cbranch_vccnz .LBB15_2082
; %bb.2081:
	v_cndmask_b32_e64 v2, 0, 1.0, s[10:11]
	v_cvt_f16_f32_e32 v2, v2
	global_store_short v[0:1], v2, off
.LBB15_2082:
	s_mov_b64 s[0:1], 0
.LBB15_2083:
	s_andn2_b64 vcc, exec, s[0:1]
	s_cbranch_vccnz .LBB15_2099
; %bb.2084:
	s_sext_i32_i16 s2, s18
	s_cmp_lt_i32 s2, 2
	s_mov_b64 s[0:1], -1
	s_cbranch_scc1 .LBB15_2094
; %bb.2085:
	s_cmp_lt_i32 s2, 3
	s_cbranch_scc1 .LBB15_2091
; %bb.2086:
	s_cmp_gt_i32 s2, 3
	s_cbranch_scc0 .LBB15_2088
; %bb.2087:
	s_mov_b32 s0, 0
	v_cndmask_b32_e64 v2, 0, 1, s[10:11]
	s_waitcnt vmcnt(0)
	v_mov_b32_e32 v3, s0
	global_store_dwordx2 v[0:1], v[2:3], off
	s_mov_b64 s[0:1], 0
.LBB15_2088:
	s_andn2_b64 vcc, exec, s[0:1]
	s_cbranch_vccnz .LBB15_2090
; %bb.2089:
	v_cndmask_b32_e64 v2, 0, 1, s[10:11]
	global_store_dword v[0:1], v2, off
.LBB15_2090:
	s_mov_b64 s[0:1], 0
.LBB15_2091:
	s_andn2_b64 vcc, exec, s[0:1]
	s_cbranch_vccnz .LBB15_2093
; %bb.2092:
	v_cndmask_b32_e64 v2, 0, 1, s[10:11]
	global_store_short v[0:1], v2, off
.LBB15_2093:
	s_mov_b64 s[0:1], 0
.LBB15_2094:
	s_andn2_b64 vcc, exec, s[0:1]
	s_cbranch_vccnz .LBB15_2099
; %bb.2095:
	s_sext_i32_i16 s0, s18
	s_cmp_gt_i32 s0, 0
	s_mov_b64 s[0:1], -1
	s_cbranch_scc0 .LBB15_2097
; %bb.2096:
	v_cndmask_b32_e64 v2, 0, 1, s[10:11]
	global_store_byte v[0:1], v2, off
	s_mov_b64 s[0:1], 0
.LBB15_2097:
	s_andn2_b64 vcc, exec, s[0:1]
	s_cbranch_vccnz .LBB15_2099
; %bb.2098:
	v_cndmask_b32_e64 v2, 0, 1, s[10:11]
	global_store_byte v[0:1], v2, off
	s_endpgm
.LBB15_2099:
	s_endpgm
.LBB15_2100:
	s_mov_b64 s[4:5], 0
	s_mov_b64 s[0:1], -1
	s_branch .LBB15_2056
.LBB15_2101:
	s_trap 2
	s_or_b64 s[2:3], s[2:3], exec
	s_cbranch_execz .LBB15_1570
	s_branch .LBB15_1571
.LBB15_2102:
	s_andn2_saveexec_b64 s[16:17], s[16:17]
	s_cbranch_execz .LBB15_1650
.LBB15_2103:
	v_add_f32_e32 v1, 0x46000000, v3
	v_and_b32_e32 v1, 0xff, v1
	v_cmp_ne_u32_e32 vcc, 0, v1
	s_andn2_b64 s[14:15], s[14:15], exec
	s_and_b64 s[22:23], vcc, exec
	s_or_b64 s[14:15], s[14:15], s[22:23]
	s_or_b64 exec, exec, s[16:17]
	v_mov_b32_e32 v7, 0
	s_and_saveexec_b64 s[16:17], s[14:15]
	s_cbranch_execnz .LBB15_1651
	s_branch .LBB15_1652
.LBB15_2104:
	s_trap 2
	s_or_b64 s[2:3], s[2:3], exec
	s_cbranch_execz .LBB15_1698
	s_branch .LBB15_1699
.LBB15_2105:
	s_andn2_saveexec_b64 s[14:15], s[14:15]
	s_cbranch_execz .LBB15_1663
.LBB15_2106:
	v_add_f32_e32 v1, 0x42800000, v3
	v_and_b32_e32 v1, 0xff, v1
	v_cmp_ne_u32_e32 vcc, 0, v1
	s_andn2_b64 s[12:13], s[12:13], exec
	s_and_b64 s[16:17], vcc, exec
	s_or_b64 s[12:13], s[12:13], s[16:17]
	s_or_b64 exec, exec, s[14:15]
	v_mov_b32_e32 v7, 0
	s_and_saveexec_b64 s[14:15], s[12:13]
	s_cbranch_execnz .LBB15_1664
	s_branch .LBB15_1665
.LBB15_2107:
	s_andn2_saveexec_b64 s[16:17], s[16:17]
	s_cbranch_execz .LBB15_1769
.LBB15_2108:
	v_add_f32_e32 v1, 0x46000000, v5
	v_and_b32_e32 v1, 0xff, v1
	v_cmp_ne_u32_e32 vcc, 0, v1
	s_andn2_b64 s[14:15], s[14:15], exec
	s_and_b64 s[22:23], vcc, exec
	s_or_b64 s[14:15], s[14:15], s[22:23]
	s_or_b64 exec, exec, s[16:17]
	v_mov_b32_e32 v6, 0
	s_and_saveexec_b64 s[16:17], s[14:15]
	s_cbranch_execnz .LBB15_1770
	s_branch .LBB15_1771
.LBB15_2109:
	s_trap 2
	s_or_b64 s[2:3], s[2:3], exec
	s_cbranch_execz .LBB15_1817
	s_branch .LBB15_1818
.LBB15_2110:
	s_andn2_saveexec_b64 s[14:15], s[14:15]
	s_cbranch_execz .LBB15_1782
.LBB15_2111:
	v_add_f32_e32 v1, 0x42800000, v5
	v_and_b32_e32 v1, 0xff, v1
	v_cmp_ne_u32_e32 vcc, 0, v1
	s_andn2_b64 s[12:13], s[12:13], exec
	s_and_b64 s[16:17], vcc, exec
	s_or_b64 s[12:13], s[12:13], s[16:17]
	s_or_b64 exec, exec, s[14:15]
	v_mov_b32_e32 v6, 0
	s_and_saveexec_b64 s[14:15], s[12:13]
	s_cbranch_execnz .LBB15_1783
	s_branch .LBB15_1784
.LBB15_2112:
	s_andn2_saveexec_b64 s[16:17], s[16:17]
	s_cbranch_execz .LBB15_1888
.LBB15_2113:
	v_add_f32_e32 v3, 0x46000000, v4
	v_and_b32_e32 v3, 0xff, v3
	v_cmp_ne_u32_e32 vcc, 0, v3
	s_andn2_b64 s[14:15], s[14:15], exec
	s_and_b64 s[22:23], vcc, exec
	s_or_b64 s[14:15], s[14:15], s[22:23]
	s_or_b64 exec, exec, s[16:17]
	v_mov_b32_e32 v5, 0
	s_and_saveexec_b64 s[16:17], s[14:15]
	s_cbranch_execnz .LBB15_1889
	s_branch .LBB15_1890
.LBB15_2114:
	s_trap 2
	s_or_b64 s[2:3], s[2:3], exec
	s_cbranch_execz .LBB15_1936
	s_branch .LBB15_1937
.LBB15_2115:
	s_andn2_saveexec_b64 s[14:15], s[14:15]
	s_cbranch_execz .LBB15_1901
.LBB15_2116:
	v_add_f32_e32 v3, 0x42800000, v4
	v_and_b32_e32 v3, 0xff, v3
	v_cmp_ne_u32_e32 vcc, 0, v3
	s_andn2_b64 s[12:13], s[12:13], exec
	s_and_b64 s[16:17], vcc, exec
	s_or_b64 s[12:13], s[12:13], s[16:17]
	s_or_b64 exec, exec, s[14:15]
	v_mov_b32_e32 v5, 0
	s_and_saveexec_b64 s[14:15], s[12:13]
	s_cbranch_execnz .LBB15_1902
	s_branch .LBB15_1903
.LBB15_2117:
	s_andn2_saveexec_b64 s[12:13], s[12:13]
	s_cbranch_execz .LBB15_2008
.LBB15_2118:
	v_add_f32_e32 v2, 0x46000000, v3
	v_and_b32_e32 v2, 0xff, v2
	v_cmp_ne_u32_e32 vcc, 0, v2
	s_andn2_b64 s[8:9], s[8:9], exec
	s_and_b64 s[14:15], vcc, exec
	s_or_b64 s[8:9], s[8:9], s[14:15]
	s_or_b64 exec, exec, s[12:13]
	v_mov_b32_e32 v4, 0
	s_and_saveexec_b64 s[12:13], s[8:9]
	s_cbranch_execnz .LBB15_2009
	s_branch .LBB15_2010
.LBB15_2119:
	s_mov_b64 s[4:5], 0
	s_or_b64 s[2:3], s[2:3], exec
	s_trap 2
	s_branch .LBB15_2054
.LBB15_2120:
	s_andn2_saveexec_b64 s[8:9], s[8:9]
	s_cbranch_execz .LBB15_2020
.LBB15_2121:
	v_add_f32_e32 v2, 0x42800000, v3
	v_and_b32_e32 v2, 0xff, v2
	v_cmp_ne_u32_e32 vcc, 0, v2
	s_andn2_b64 s[6:7], s[6:7], exec
	s_and_b64 s[12:13], vcc, exec
	s_or_b64 s[6:7], s[6:7], s[12:13]
	s_or_b64 exec, exec, s[8:9]
	v_mov_b32_e32 v4, 0
	s_and_saveexec_b64 s[8:9], s[6:7]
	s_cbranch_execnz .LBB15_2021
	s_branch .LBB15_2022
	.section	.rodata,"a",@progbits
	.p2align	6, 0x0
	.amdhsa_kernel _ZN2at6native32elementwise_kernel_manual_unrollILi128ELi4EZNS0_15gpu_kernel_implINS0_13AUnaryFunctorIhhbNS0_12_GLOBAL__N_116CompareEqFunctorIhEEEEEEvRNS_18TensorIteratorBaseERKT_EUlibE0_EEviT1_
		.amdhsa_group_segment_fixed_size 0
		.amdhsa_private_segment_fixed_size 0
		.amdhsa_kernarg_size 368
		.amdhsa_user_sgpr_count 6
		.amdhsa_user_sgpr_private_segment_buffer 1
		.amdhsa_user_sgpr_dispatch_ptr 0
		.amdhsa_user_sgpr_queue_ptr 0
		.amdhsa_user_sgpr_kernarg_segment_ptr 1
		.amdhsa_user_sgpr_dispatch_id 0
		.amdhsa_user_sgpr_flat_scratch_init 0
		.amdhsa_user_sgpr_private_segment_size 0
		.amdhsa_uses_dynamic_stack 0
		.amdhsa_system_sgpr_private_segment_wavefront_offset 0
		.amdhsa_system_sgpr_workgroup_id_x 1
		.amdhsa_system_sgpr_workgroup_id_y 0
		.amdhsa_system_sgpr_workgroup_id_z 0
		.amdhsa_system_sgpr_workgroup_info 0
		.amdhsa_system_vgpr_workitem_id 0
		.amdhsa_next_free_vgpr 18
		.amdhsa_next_free_sgpr 81
		.amdhsa_reserve_vcc 1
		.amdhsa_reserve_flat_scratch 0
		.amdhsa_float_round_mode_32 0
		.amdhsa_float_round_mode_16_64 0
		.amdhsa_float_denorm_mode_32 3
		.amdhsa_float_denorm_mode_16_64 3
		.amdhsa_dx10_clamp 1
		.amdhsa_ieee_mode 1
		.amdhsa_fp16_overflow 0
		.amdhsa_exception_fp_ieee_invalid_op 0
		.amdhsa_exception_fp_denorm_src 0
		.amdhsa_exception_fp_ieee_div_zero 0
		.amdhsa_exception_fp_ieee_overflow 0
		.amdhsa_exception_fp_ieee_underflow 0
		.amdhsa_exception_fp_ieee_inexact 0
		.amdhsa_exception_int_div_zero 0
	.end_amdhsa_kernel
	.section	.text._ZN2at6native32elementwise_kernel_manual_unrollILi128ELi4EZNS0_15gpu_kernel_implINS0_13AUnaryFunctorIhhbNS0_12_GLOBAL__N_116CompareEqFunctorIhEEEEEEvRNS_18TensorIteratorBaseERKT_EUlibE0_EEviT1_,"axG",@progbits,_ZN2at6native32elementwise_kernel_manual_unrollILi128ELi4EZNS0_15gpu_kernel_implINS0_13AUnaryFunctorIhhbNS0_12_GLOBAL__N_116CompareEqFunctorIhEEEEEEvRNS_18TensorIteratorBaseERKT_EUlibE0_EEviT1_,comdat
.Lfunc_end15:
	.size	_ZN2at6native32elementwise_kernel_manual_unrollILi128ELi4EZNS0_15gpu_kernel_implINS0_13AUnaryFunctorIhhbNS0_12_GLOBAL__N_116CompareEqFunctorIhEEEEEEvRNS_18TensorIteratorBaseERKT_EUlibE0_EEviT1_, .Lfunc_end15-_ZN2at6native32elementwise_kernel_manual_unrollILi128ELi4EZNS0_15gpu_kernel_implINS0_13AUnaryFunctorIhhbNS0_12_GLOBAL__N_116CompareEqFunctorIhEEEEEEvRNS_18TensorIteratorBaseERKT_EUlibE0_EEviT1_
                                        ; -- End function
	.set _ZN2at6native32elementwise_kernel_manual_unrollILi128ELi4EZNS0_15gpu_kernel_implINS0_13AUnaryFunctorIhhbNS0_12_GLOBAL__N_116CompareEqFunctorIhEEEEEEvRNS_18TensorIteratorBaseERKT_EUlibE0_EEviT1_.num_vgpr, 18
	.set _ZN2at6native32elementwise_kernel_manual_unrollILi128ELi4EZNS0_15gpu_kernel_implINS0_13AUnaryFunctorIhhbNS0_12_GLOBAL__N_116CompareEqFunctorIhEEEEEEvRNS_18TensorIteratorBaseERKT_EUlibE0_EEviT1_.num_agpr, 0
	.set _ZN2at6native32elementwise_kernel_manual_unrollILi128ELi4EZNS0_15gpu_kernel_implINS0_13AUnaryFunctorIhhbNS0_12_GLOBAL__N_116CompareEqFunctorIhEEEEEEvRNS_18TensorIteratorBaseERKT_EUlibE0_EEviT1_.numbered_sgpr, 81
	.set _ZN2at6native32elementwise_kernel_manual_unrollILi128ELi4EZNS0_15gpu_kernel_implINS0_13AUnaryFunctorIhhbNS0_12_GLOBAL__N_116CompareEqFunctorIhEEEEEEvRNS_18TensorIteratorBaseERKT_EUlibE0_EEviT1_.num_named_barrier, 0
	.set _ZN2at6native32elementwise_kernel_manual_unrollILi128ELi4EZNS0_15gpu_kernel_implINS0_13AUnaryFunctorIhhbNS0_12_GLOBAL__N_116CompareEqFunctorIhEEEEEEvRNS_18TensorIteratorBaseERKT_EUlibE0_EEviT1_.private_seg_size, 0
	.set _ZN2at6native32elementwise_kernel_manual_unrollILi128ELi4EZNS0_15gpu_kernel_implINS0_13AUnaryFunctorIhhbNS0_12_GLOBAL__N_116CompareEqFunctorIhEEEEEEvRNS_18TensorIteratorBaseERKT_EUlibE0_EEviT1_.uses_vcc, 1
	.set _ZN2at6native32elementwise_kernel_manual_unrollILi128ELi4EZNS0_15gpu_kernel_implINS0_13AUnaryFunctorIhhbNS0_12_GLOBAL__N_116CompareEqFunctorIhEEEEEEvRNS_18TensorIteratorBaseERKT_EUlibE0_EEviT1_.uses_flat_scratch, 0
	.set _ZN2at6native32elementwise_kernel_manual_unrollILi128ELi4EZNS0_15gpu_kernel_implINS0_13AUnaryFunctorIhhbNS0_12_GLOBAL__N_116CompareEqFunctorIhEEEEEEvRNS_18TensorIteratorBaseERKT_EUlibE0_EEviT1_.has_dyn_sized_stack, 0
	.set _ZN2at6native32elementwise_kernel_manual_unrollILi128ELi4EZNS0_15gpu_kernel_implINS0_13AUnaryFunctorIhhbNS0_12_GLOBAL__N_116CompareEqFunctorIhEEEEEEvRNS_18TensorIteratorBaseERKT_EUlibE0_EEviT1_.has_recursion, 0
	.set _ZN2at6native32elementwise_kernel_manual_unrollILi128ELi4EZNS0_15gpu_kernel_implINS0_13AUnaryFunctorIhhbNS0_12_GLOBAL__N_116CompareEqFunctorIhEEEEEEvRNS_18TensorIteratorBaseERKT_EUlibE0_EEviT1_.has_indirect_call, 0
	.section	.AMDGPU.csdata,"",@progbits
; Kernel info:
; codeLenInByte = 38988
; TotalNumSgprs: 85
; NumVgprs: 18
; ScratchSize: 0
; MemoryBound: 1
; FloatMode: 240
; IeeeMode: 1
; LDSByteSize: 0 bytes/workgroup (compile time only)
; SGPRBlocks: 10
; VGPRBlocks: 4
; NumSGPRsForWavesPerEU: 85
; NumVGPRsForWavesPerEU: 18
; Occupancy: 9
; WaveLimiterHint : 1
; COMPUTE_PGM_RSRC2:SCRATCH_EN: 0
; COMPUTE_PGM_RSRC2:USER_SGPR: 6
; COMPUTE_PGM_RSRC2:TRAP_HANDLER: 0
; COMPUTE_PGM_RSRC2:TGID_X_EN: 1
; COMPUTE_PGM_RSRC2:TGID_Y_EN: 0
; COMPUTE_PGM_RSRC2:TGID_Z_EN: 0
; COMPUTE_PGM_RSRC2:TIDIG_COMP_CNT: 0
	.section	.text._ZN2at6native29vectorized_elementwise_kernelILi16ENS0_13BinaryFunctorIaabNS0_12_GLOBAL__N_116CompareEqFunctorIaEEEESt5arrayIPcLm3EEEEviT0_T1_,"axG",@progbits,_ZN2at6native29vectorized_elementwise_kernelILi16ENS0_13BinaryFunctorIaabNS0_12_GLOBAL__N_116CompareEqFunctorIaEEEESt5arrayIPcLm3EEEEviT0_T1_,comdat
	.globl	_ZN2at6native29vectorized_elementwise_kernelILi16ENS0_13BinaryFunctorIaabNS0_12_GLOBAL__N_116CompareEqFunctorIaEEEESt5arrayIPcLm3EEEEviT0_T1_ ; -- Begin function _ZN2at6native29vectorized_elementwise_kernelILi16ENS0_13BinaryFunctorIaabNS0_12_GLOBAL__N_116CompareEqFunctorIaEEEESt5arrayIPcLm3EEEEviT0_T1_
	.p2align	8
	.type	_ZN2at6native29vectorized_elementwise_kernelILi16ENS0_13BinaryFunctorIaabNS0_12_GLOBAL__N_116CompareEqFunctorIaEEEESt5arrayIPcLm3EEEEviT0_T1_,@function
_ZN2at6native29vectorized_elementwise_kernelILi16ENS0_13BinaryFunctorIaabNS0_12_GLOBAL__N_116CompareEqFunctorIaEEEESt5arrayIPcLm3EEEEviT0_T1_: ; @_ZN2at6native29vectorized_elementwise_kernelILi16ENS0_13BinaryFunctorIaabNS0_12_GLOBAL__N_116CompareEqFunctorIaEEEESt5arrayIPcLm3EEEEviT0_T1_
; %bb.0:
	s_load_dwordx2 s[12:13], s[4:5], 0x0
	s_load_dwordx4 s[8:11], s[4:5], 0x8
	s_load_dwordx2 s[14:15], s[4:5], 0x18
	s_lshl_b32 s33, s6, 12
	s_mov_b64 s[0:1], -1
	s_waitcnt lgkmcnt(0)
	s_sub_i32 s12, s12, s33
	s_cmpk_gt_i32 s12, 0xfff
	s_cbranch_scc0 .LBB16_2
; %bb.1:
	s_ashr_i32 s2, s33, 31
	s_add_u32 s0, s10, s33
	s_addc_u32 s1, s11, s2
	v_lshlrev_b32_e32 v9, 4, v0
	global_load_dwordx4 v[1:4], v9, s[0:1]
	s_add_u32 s0, s14, s33
	s_addc_u32 s1, s15, s2
	global_load_dwordx4 v[5:8], v9, s[0:1]
	s_movk_i32 s0, 0xff
	s_cmp_eq_u32 s13, 0
	s_cselect_b64 s[16:17], -1, 0
	s_add_u32 s6, s8, s33
	s_addc_u32 s7, s9, s2
	s_waitcnt vmcnt(1)
	v_and_b32_sdwa v10, v1, s0 dst_sel:DWORD dst_unused:UNUSED_PAD src0_sel:WORD_1 src1_sel:DWORD
	v_and_b32_sdwa v11, v2, s0 dst_sel:DWORD dst_unused:UNUSED_PAD src0_sel:WORD_1 src1_sel:DWORD
	;; [unrolled: 1-line block ×4, first 2 shown]
	s_waitcnt vmcnt(0)
	v_and_b32_sdwa v14, v5, s0 dst_sel:DWORD dst_unused:UNUSED_PAD src0_sel:WORD_1 src1_sel:DWORD
	v_and_b32_sdwa v15, v6, s0 dst_sel:DWORD dst_unused:UNUSED_PAD src0_sel:WORD_1 src1_sel:DWORD
	v_and_b32_sdwa v16, v7, s0 dst_sel:DWORD dst_unused:UNUSED_PAD src0_sel:WORD_1 src1_sel:DWORD
	v_and_b32_sdwa v17, v8, s0 dst_sel:DWORD dst_unused:UNUSED_PAD src0_sel:WORD_1 src1_sel:DWORD
	v_cmp_ne_u16_sdwa s[0:1], v1, v5 src0_sel:BYTE_1 src1_sel:BYTE_1
	v_cmp_ne_u16_sdwa s[2:3], v1, v5 src0_sel:BYTE_0 src1_sel:BYTE_0
	v_cmp_ne_u16_sdwa s[18:19], v2, v6 src0_sel:BYTE_1 src1_sel:BYTE_1
	s_xor_b64 s[0:1], s[16:17], s[0:1]
	v_cmp_ne_u16_sdwa s[4:5], v1, v5 src0_sel:BYTE_3 src1_sel:BYTE_3
	v_cmp_ne_u16_sdwa s[20:21], v2, v6 src0_sel:BYTE_0 src1_sel:BYTE_0
	v_cmp_ne_u16_sdwa s[24:25], v3, v7 src0_sel:BYTE_1 src1_sel:BYTE_1
	v_cndmask_b32_e64 v1, 0, 1, s[0:1]
	s_xor_b64 s[0:1], s[16:17], s[2:3]
	s_xor_b64 s[2:3], s[16:17], s[18:19]
	v_cmp_ne_u16_sdwa s[22:23], v2, v6 src0_sel:BYTE_3 src1_sel:BYTE_3
	v_cmp_ne_u16_sdwa s[26:27], v3, v7 src0_sel:BYTE_0 src1_sel:BYTE_0
	v_cmp_ne_u16_sdwa s[30:31], v4, v8 src0_sel:BYTE_1 src1_sel:BYTE_1
	v_cmp_ne_u16_sdwa s[34:35], v4, v8 src0_sel:BYTE_0 src1_sel:BYTE_0
	v_cmp_ne_u16_sdwa s[36:37], v4, v8 src0_sel:BYTE_3 src1_sel:BYTE_3
	v_cndmask_b32_e64 v2, 0, 1, s[0:1]
	s_xor_b64 s[0:1], s[16:17], s[4:5]
	v_cndmask_b32_e64 v4, 0, 1, s[2:3]
	s_xor_b64 s[2:3], s[16:17], s[20:21]
	s_xor_b64 s[4:5], s[16:17], s[24:25]
	v_cmp_ne_u16_sdwa s[28:29], v3, v7 src0_sel:BYTE_3 src1_sel:BYTE_3
	v_cndmask_b32_e64 v3, 0, 1, s[0:1]
	v_cmp_ne_u16_e64 s[0:1], v11, v15
	v_cndmask_b32_e64 v5, 0, 1, s[2:3]
	s_xor_b64 s[2:3], s[16:17], s[22:23]
	v_cndmask_b32_e64 v7, 0, 1, s[4:5]
	s_xor_b64 s[4:5], s[16:17], s[26:27]
	s_xor_b64 s[18:19], s[16:17], s[30:31]
	v_cndmask_b32_e64 v6, 0, 1, s[2:3]
	v_cmp_ne_u16_e64 s[2:3], v12, v16
	v_cndmask_b32_e64 v8, 0, 1, s[4:5]
	s_xor_b64 s[4:5], s[16:17], s[28:29]
	v_cndmask_b32_e64 v11, 0, 1, s[18:19]
	s_xor_b64 s[18:19], s[16:17], s[34:35]
	s_xor_b64 s[0:1], s[16:17], s[0:1]
	v_cmp_ne_u16_e32 vcc, v10, v14
	v_cndmask_b32_e64 v10, 0, 1, s[4:5]
	v_cmp_ne_u16_e64 s[4:5], v13, v17
	v_cndmask_b32_e64 v12, 0, 1, s[18:19]
	s_xor_b64 s[18:19], s[16:17], s[36:37]
	v_cndmask_b32_e64 v15, 0, 1, s[0:1]
	s_xor_b64 s[0:1], s[16:17], s[2:3]
	v_cndmask_b32_e64 v13, 0, 1, s[18:19]
	s_xor_b64 s[18:19], s[16:17], vcc
	v_cndmask_b32_e64 v16, 0, 1, s[0:1]
	s_xor_b64 s[0:1], s[16:17], s[4:5]
	v_lshlrev_b16_e32 v1, 8, v1
	v_lshlrev_b16_e32 v3, 8, v3
	v_cndmask_b32_e64 v14, 0, 1, s[18:19]
	v_lshlrev_b16_e32 v4, 8, v4
	v_lshlrev_b16_e32 v6, 8, v6
	;; [unrolled: 1-line block ×6, first 2 shown]
	v_cndmask_b32_e64 v17, 0, 1, s[0:1]
	v_or_b32_e32 v1, v2, v1
	v_or_b32_sdwa v2, v14, v3 dst_sel:WORD_1 dst_unused:UNUSED_PAD src0_sel:DWORD src1_sel:DWORD
	v_or_b32_e32 v3, v5, v4
	v_or_b32_sdwa v4, v15, v6 dst_sel:WORD_1 dst_unused:UNUSED_PAD src0_sel:DWORD src1_sel:DWORD
	;; [unrolled: 2-line block ×4, first 2 shown]
	v_or_b32_sdwa v1, v1, v2 dst_sel:DWORD dst_unused:UNUSED_PAD src0_sel:WORD_0 src1_sel:DWORD
	v_or_b32_sdwa v2, v3, v4 dst_sel:DWORD dst_unused:UNUSED_PAD src0_sel:WORD_0 src1_sel:DWORD
	;; [unrolled: 1-line block ×4, first 2 shown]
	global_store_dwordx4 v9, v[1:4], s[6:7]
	s_mov_b64 s[0:1], 0
.LBB16_2:
	s_andn2_b64 vcc, exec, s[0:1]
	s_cbranch_vccnz .LBB16_54
; %bb.3:
	v_cmp_gt_i32_e32 vcc, s12, v0
	v_cmp_le_i32_e64 s[0:1], s12, v0
                                        ; implicit-def: $vgpr5
	s_and_saveexec_b64 s[2:3], s[0:1]
	s_xor_b64 s[0:1], exec, s[2:3]
; %bb.4:
	v_or_b32_e32 v5, 0x100, v0
; %bb.5:
	s_or_saveexec_b64 s[2:3], s[0:1]
	v_mov_b32_e32 v36, 0
	s_mov_b64 s[4:5], 0
	v_or_b32_e32 v6, s33, v0
	v_mov_b32_e32 v35, 0
	v_mov_b32_e32 v34, 0
	;; [unrolled: 1-line block ×29, first 2 shown]
	s_xor_b64 exec, exec, s[2:3]
	s_cbranch_execz .LBB16_37
; %bb.6:
	global_load_ubyte v7, v6, s[10:11]
	global_load_ubyte v8, v6, s[14:15]
	v_or_b32_e32 v5, 0x100, v0
	v_cmp_gt_u32_e64 s[0:1], s12, v5
	s_mov_b64 s[6:7], 0
	v_mov_b32_e32 v9, 0
	v_mov_b32_e32 v10, 0
	;; [unrolled: 1-line block ×28, first 2 shown]
	s_and_saveexec_b64 s[4:5], s[0:1]
	s_cbranch_execz .LBB16_36
; %bb.7:
	v_add_u32_e32 v3, s33, v0
	global_load_ubyte v10, v3, s[10:11] offset:256
	global_load_ubyte v9, v3, s[14:15] offset:256
	v_or_b32_e32 v1, 0x200, v0
	v_mov_b32_e32 v11, 0
	v_cmp_gt_u32_e64 s[0:1], s12, v1
	s_mov_b64 s[16:17], 0
	v_mov_b32_e32 v13, 0
	v_mov_b32_e32 v12, 0
	;; [unrolled: 1-line block ×25, first 2 shown]
	s_and_saveexec_b64 s[6:7], s[0:1]
	s_cbranch_execz .LBB16_35
; %bb.8:
	v_mov_b32_e32 v2, s11
	v_add_co_u32_e64 v1, s[0:1], s10, v3
	v_addc_co_u32_e64 v2, s[0:1], 0, v2, s[0:1]
	v_mov_b32_e32 v4, s15
	v_add_co_u32_e64 v3, s[0:1], s14, v3
	v_addc_co_u32_e64 v4, s[0:1], 0, v4, s[0:1]
	global_load_ubyte v13, v[1:2], off offset:512
	global_load_ubyte v11, v[3:4], off offset:512
	v_or_b32_e32 v12, 0x300, v0
	v_cmp_gt_u32_e64 s[0:1], s12, v12
	s_mov_b64 s[14:15], 0
	v_mov_b32_e32 v12, 0
	v_mov_b32_e32 v15, 0
	;; [unrolled: 1-line block ×24, first 2 shown]
	s_and_saveexec_b64 s[10:11], s[0:1]
	s_cbranch_execz .LBB16_34
; %bb.9:
	global_load_ubyte v15, v[1:2], off offset:768
	global_load_ubyte v12, v[3:4], off offset:768
	v_or_b32_e32 v14, 0x400, v0
	v_cmp_gt_u32_e64 s[0:1], s12, v14
	v_mov_b32_e32 v16, 0
	v_mov_b32_e32 v17, 0
	v_mov_b32_e32 v18, 0
	v_mov_b32_e32 v21, 0
	v_mov_b32_e32 v14, 0
	v_mov_b32_e32 v19, 0
	v_mov_b32_e32 v20, 0
	v_mov_b32_e32 v22, 0
	v_mov_b32_e32 v23, 0
	v_mov_b32_e32 v24, 0
	v_mov_b32_e32 v25, 0
	v_mov_b32_e32 v26, 0
	v_mov_b32_e32 v27, 0
	v_mov_b32_e32 v28, 0
	v_mov_b32_e32 v29, 0
	v_mov_b32_e32 v30, 0
	v_mov_b32_e32 v31, 0
	v_mov_b32_e32 v32, 0
	v_mov_b32_e32 v33, 0
	v_mov_b32_e32 v34, 0
	v_mov_b32_e32 v35, 0
	v_mov_b32_e32 v36, 0
	s_and_saveexec_b64 s[14:15], s[0:1]
	s_cbranch_execz .LBB16_33
; %bb.10:
	global_load_ubyte v17, v[1:2], off offset:1024
	global_load_ubyte v16, v[3:4], off offset:1024
	v_or_b32_e32 v14, 0x500, v0
	v_cmp_gt_u32_e64 s[0:1], s12, v14
	s_mov_b64 s[18:19], 0
	v_mov_b32_e32 v18, 0
	v_mov_b32_e32 v21, 0
	;; [unrolled: 1-line block ×20, first 2 shown]
	s_and_saveexec_b64 s[16:17], s[0:1]
	s_cbranch_execz .LBB16_32
; %bb.11:
	global_load_ubyte v21, v[1:2], off offset:1280
	global_load_ubyte v18, v[3:4], off offset:1280
	v_or_b32_e32 v14, 0x600, v0
	v_cmp_gt_u32_e64 s[0:1], s12, v14
	s_mov_b64 s[20:21], 0
	v_mov_b32_e32 v14, 0
	v_mov_b32_e32 v19, 0
	;; [unrolled: 1-line block ×18, first 2 shown]
	s_and_saveexec_b64 s[18:19], s[0:1]
	s_cbranch_execz .LBB16_31
; %bb.12:
	global_load_ubyte v19, v[1:2], off offset:1536
	global_load_ubyte v14, v[3:4], off offset:1536
	v_or_b32_e32 v20, 0x700, v0
	v_cmp_gt_u32_e64 s[0:1], s12, v20
	s_mov_b64 s[22:23], 0
	v_mov_b32_e32 v20, 0
	v_mov_b32_e32 v22, 0
	;; [unrolled: 1-line block ×16, first 2 shown]
	s_and_saveexec_b64 s[20:21], s[0:1]
	s_cbranch_execz .LBB16_30
; %bb.13:
	global_load_ubyte v22, v[1:2], off offset:1792
	global_load_ubyte v20, v[3:4], off offset:1792
	v_or_b32_e32 v23, 0x800, v0
	v_cmp_gt_u32_e64 s[0:1], s12, v23
	s_mov_b64 s[24:25], 0
	v_mov_b32_e32 v23, 0
	v_mov_b32_e32 v24, 0
	;; [unrolled: 1-line block ×14, first 2 shown]
	s_and_saveexec_b64 s[22:23], s[0:1]
	s_cbranch_execz .LBB16_29
; %bb.14:
	global_load_ubyte v24, v[1:2], off offset:2048
	global_load_ubyte v23, v[3:4], off offset:2048
	v_or_b32_e32 v25, 0x900, v0
	v_cmp_gt_u32_e64 s[0:1], s12, v25
	s_mov_b64 s[26:27], 0
	v_mov_b32_e32 v25, 0
	v_mov_b32_e32 v26, 0
	;; [unrolled: 1-line block ×12, first 2 shown]
	s_and_saveexec_b64 s[24:25], s[0:1]
	s_cbranch_execz .LBB16_28
; %bb.15:
	global_load_ubyte v26, v[1:2], off offset:2304
	global_load_ubyte v25, v[3:4], off offset:2304
	v_or_b32_e32 v27, 0xa00, v0
	v_cmp_gt_u32_e64 s[0:1], s12, v27
	s_mov_b64 s[28:29], 0
	v_mov_b32_e32 v27, 0
	v_mov_b32_e32 v28, 0
	;; [unrolled: 1-line block ×10, first 2 shown]
	s_and_saveexec_b64 s[26:27], s[0:1]
	s_cbranch_execz .LBB16_27
; %bb.16:
	global_load_ubyte v28, v[1:2], off offset:2560
	global_load_ubyte v27, v[3:4], off offset:2560
	v_or_b32_e32 v29, 0xb00, v0
	v_cmp_gt_u32_e64 s[0:1], s12, v29
	s_mov_b64 s[30:31], 0
	v_mov_b32_e32 v29, 0
	v_mov_b32_e32 v30, 0
	;; [unrolled: 1-line block ×8, first 2 shown]
	s_and_saveexec_b64 s[28:29], s[0:1]
	s_cbranch_execz .LBB16_26
; %bb.17:
	global_load_ubyte v30, v[1:2], off offset:2816
	global_load_ubyte v29, v[3:4], off offset:2816
	v_or_b32_e32 v31, 0xc00, v0
	v_cmp_gt_u32_e64 s[0:1], s12, v31
	s_mov_b64 s[34:35], 0
	v_mov_b32_e32 v31, 0
	v_mov_b32_e32 v32, 0
	v_mov_b32_e32 v33, 0
	v_mov_b32_e32 v34, 0
	v_mov_b32_e32 v35, 0
	v_mov_b32_e32 v36, 0
	s_and_saveexec_b64 s[30:31], s[0:1]
	s_cbranch_execz .LBB16_25
; %bb.18:
	global_load_ubyte v32, v[1:2], off offset:3072
	global_load_ubyte v31, v[3:4], off offset:3072
	v_or_b32_e32 v33, 0xd00, v0
	v_cmp_gt_u32_e64 s[0:1], s12, v33
	s_mov_b64 s[36:37], 0
	v_mov_b32_e32 v33, 0
	v_mov_b32_e32 v34, 0
	v_mov_b32_e32 v35, 0
	v_mov_b32_e32 v36, 0
	s_and_saveexec_b64 s[34:35], s[0:1]
	s_cbranch_execz .LBB16_24
; %bb.19:
	global_load_ubyte v34, v[1:2], off offset:3328
	global_load_ubyte v33, v[3:4], off offset:3328
	v_or_b32_e32 v35, 0xe00, v0
	v_cmp_gt_u32_e64 s[0:1], s12, v35
	s_mov_b64 s[38:39], 0
	v_mov_b32_e32 v35, 0
	v_mov_b32_e32 v36, 0
	s_and_saveexec_b64 s[36:37], s[0:1]
	s_cbranch_execz .LBB16_23
; %bb.20:
	global_load_ubyte v36, v[1:2], off offset:3584
	global_load_ubyte v35, v[3:4], off offset:3584
	v_or_b32_e32 v37, 0xf00, v0
	v_cmp_gt_u32_e64 s[0:1], s12, v37
	s_mov_b64 s[40:41], 0
	s_and_saveexec_b64 s[38:39], s[0:1]
	s_cbranch_execz .LBB16_22
; %bb.21:
	global_load_ubyte v37, v[1:2], off offset:3840
	global_load_ubyte v38, v[3:4], off offset:3840
	s_waitcnt vmcnt(0)
	v_cmp_ne_u16_e64 s[0:1], v37, v38
	s_and_b64 s[40:41], s[0:1], exec
.LBB16_22:
	s_or_b64 exec, exec, s[38:39]
	s_and_b64 s[38:39], s[40:41], exec
.LBB16_23:
	s_or_b64 exec, exec, s[36:37]
	s_and_b64 s[36:37], s[38:39], exec
.LBB16_24:
	s_or_b64 exec, exec, s[34:35]
	s_and_b64 s[34:35], s[36:37], exec
.LBB16_25:
	s_or_b64 exec, exec, s[30:31]
	s_and_b64 s[30:31], s[34:35], exec
.LBB16_26:
	s_or_b64 exec, exec, s[28:29]
	s_and_b64 s[28:29], s[30:31], exec
.LBB16_27:
	s_or_b64 exec, exec, s[26:27]
	s_and_b64 s[26:27], s[28:29], exec
.LBB16_28:
	s_or_b64 exec, exec, s[24:25]
	s_and_b64 s[24:25], s[26:27], exec
.LBB16_29:
	s_or_b64 exec, exec, s[22:23]
	s_and_b64 s[22:23], s[24:25], exec
.LBB16_30:
	s_or_b64 exec, exec, s[20:21]
	s_and_b64 s[20:21], s[22:23], exec
.LBB16_31:
	s_or_b64 exec, exec, s[18:19]
	s_and_b64 s[18:19], s[20:21], exec
.LBB16_32:
	s_or_b64 exec, exec, s[16:17]
	s_and_b64 s[16:17], s[18:19], exec
.LBB16_33:
	s_or_b64 exec, exec, s[14:15]
	s_and_b64 s[14:15], s[16:17], exec
.LBB16_34:
	s_or_b64 exec, exec, s[10:11]
	s_and_b64 s[16:17], s[14:15], exec
.LBB16_35:
	s_or_b64 exec, exec, s[6:7]
	s_and_b64 s[6:7], s[16:17], exec
.LBB16_36:
	s_or_b64 exec, exec, s[4:5]
	s_and_b64 s[4:5], s[6:7], exec
.LBB16_37:
	s_or_b64 exec, exec, s[2:3]
	s_cmp_eq_u32 s13, 0
	s_cselect_b64 s[2:3], -1, 0
	s_waitcnt vmcnt(0)
	v_cmp_ne_u16_sdwa s[0:1], v7, v8 src0_sel:BYTE_0 src1_sel:BYTE_0
	s_xor_b64 s[0:1], s[2:3], s[0:1]
	v_cndmask_b32_e64 v1, 0, 1, s[0:1]
	v_cmp_ne_u16_sdwa s[0:1], v10, v9 src0_sel:BYTE_0 src1_sel:BYTE_0
	s_xor_b64 s[0:1], s[2:3], s[0:1]
	v_cndmask_b32_e64 v2, 0, 1, s[0:1]
	v_cndmask_b32_e32 v1, 0, v1, vcc
	v_lshlrev_b16_e32 v2, 8, v2
	v_or_b32_e32 v2, v1, v2
	v_and_b32_e32 v2, 0xffff, v2
	v_cmp_gt_i32_e64 s[0:1], s12, v5
	v_cndmask_b32_e64 v1, v1, v2, s[0:1]
	v_cmp_ne_u16_sdwa s[0:1], v13, v11 src0_sel:BYTE_0 src1_sel:BYTE_0
	s_xor_b64 s[0:1], s[2:3], s[0:1]
	v_or_b32_e32 v2, 0x200, v0
	v_cndmask_b32_e64 v3, 0, 1, s[0:1]
	v_lshl_or_b32 v3, v3, 16, v1
	v_cmp_gt_i32_e64 s[0:1], s12, v2
	v_cndmask_b32_e64 v1, v1, v3, s[0:1]
	v_cmp_ne_u16_sdwa s[0:1], v15, v12 src0_sel:BYTE_0 src1_sel:BYTE_0
	s_xor_b64 s[0:1], s[2:3], s[0:1]
	s_movk_i32 s6, 0xff
	v_cndmask_b32_e64 v4, 0, 1, s[0:1]
	v_and_b32_sdwa v2, v1, s6 dst_sel:DWORD dst_unused:UNUSED_PAD src0_sel:WORD_1 src1_sel:DWORD
	v_lshlrev_b16_e32 v4, 8, v4
	s_mov_b32 s7, 0xffff
	v_or_b32_e32 v3, 0x300, v0
	v_or_b32_sdwa v2, v2, v4 dst_sel:WORD_1 dst_unused:UNUSED_PAD src0_sel:DWORD src1_sel:DWORD
	v_and_or_b32 v2, v1, s7, v2
	v_cmp_gt_i32_e64 s[0:1], s12, v3
	v_cndmask_b32_e64 v4, v1, v2, s[0:1]
	v_cmp_ne_u16_sdwa s[0:1], v17, v16 src0_sel:BYTE_0 src1_sel:BYTE_0
	s_xor_b64 s[0:1], s[2:3], s[0:1]
	v_cndmask_b32_e64 v1, 0, 1, s[0:1]
	v_or_b32_e32 v2, 0x400, v0
	v_and_b32_e32 v1, 0xffff, v1
	v_cmp_gt_i32_e64 s[0:1], s12, v2
	v_cndmask_b32_e64 v1, 0, v1, s[0:1]
	v_cmp_ne_u16_sdwa s[0:1], v21, v18 src0_sel:BYTE_0 src1_sel:BYTE_0
	s_xor_b64 s[0:1], s[2:3], s[0:1]
	v_cndmask_b32_e64 v3, 0, 1, s[0:1]
	v_lshlrev_b16_e32 v3, 8, v3
	v_or_b32_e32 v2, 0x500, v0
	v_or_b32_sdwa v3, v1, v3 dst_sel:DWORD dst_unused:UNUSED_PAD src0_sel:BYTE_0 src1_sel:DWORD
	v_and_b32_e32 v3, 0xffff, v3
	v_cmp_gt_i32_e64 s[0:1], s12, v2
	v_cndmask_b32_e64 v1, v1, v3, s[0:1]
	v_cmp_ne_u16_sdwa s[0:1], v19, v14 src0_sel:BYTE_0 src1_sel:BYTE_0
	s_movk_i32 s10, 0xff00
	s_xor_b64 s[0:1], s[2:3], s[0:1]
	v_and_b32_sdwa v2, v1, s10 dst_sel:DWORD dst_unused:UNUSED_PAD src0_sel:WORD_1 src1_sel:DWORD
	v_cndmask_b32_e64 v3, 0, 1, s[0:1]
	v_or_b32_sdwa v2, v3, v2 dst_sel:WORD_1 dst_unused:UNUSED_PAD src0_sel:DWORD src1_sel:DWORD
	v_or_b32_e32 v3, 0x600, v0
	v_and_or_b32 v2, v1, s7, v2
	v_cmp_gt_i32_e64 s[0:1], s12, v3
	v_cndmask_b32_e64 v1, v1, v2, s[0:1]
	v_cmp_ne_u16_sdwa s[0:1], v22, v20 src0_sel:BYTE_0 src1_sel:BYTE_0
	s_xor_b64 s[0:1], s[2:3], s[0:1]
	v_cndmask_b32_e64 v7, 0, 1, s[0:1]
	v_and_b32_sdwa v2, v1, s6 dst_sel:DWORD dst_unused:UNUSED_PAD src0_sel:WORD_1 src1_sel:DWORD
	v_lshlrev_b16_e32 v7, 8, v7
	v_or_b32_e32 v3, 0x700, v0
	v_or_b32_sdwa v2, v2, v7 dst_sel:WORD_1 dst_unused:UNUSED_PAD src0_sel:DWORD src1_sel:DWORD
	v_and_or_b32 v2, v1, s7, v2
	v_cmp_gt_i32_e64 s[0:1], s12, v3
	v_cndmask_b32_e64 v3, v1, v2, s[0:1]
	v_cmp_ne_u16_sdwa s[0:1], v24, v23 src0_sel:BYTE_0 src1_sel:BYTE_0
	v_or_b32_e32 v1, 0x800, v0
	s_xor_b64 s[0:1], s[2:3], s[0:1]
	v_cndmask_b32_e64 v2, 0, 1, s[0:1]
	v_cmp_gt_i32_e64 s[0:1], s12, v1
	v_cndmask_b32_e64 v1, 0, v2, s[0:1]
	v_cmp_ne_u16_sdwa s[0:1], v26, v25 src0_sel:BYTE_0 src1_sel:BYTE_0
	s_xor_b64 s[0:1], s[2:3], s[0:1]
	v_cndmask_b32_e64 v7, 0, 1, s[0:1]
	v_lshlrev_b16_e32 v7, 8, v7
	v_or_b32_e32 v2, 0x900, v0
	v_or_b32_e32 v7, v1, v7
	v_and_b32_e32 v7, 0xffff, v7
	v_cmp_gt_i32_e64 s[0:1], s12, v2
	v_cndmask_b32_e64 v1, v1, v7, s[0:1]
	v_cmp_ne_u16_sdwa s[0:1], v28, v27 src0_sel:BYTE_0 src1_sel:BYTE_0
	s_xor_b64 s[0:1], s[2:3], s[0:1]
	v_cndmask_b32_e64 v7, 0, 1, s[0:1]
	v_or_b32_e32 v2, 0xa00, v0
	v_lshlrev_b32_e32 v7, 16, v7
	s_movk_i32 s0, 0x1ff
	v_and_or_b32 v7, v1, s0, v7
	v_cmp_gt_i32_e64 s[0:1], s12, v2
	v_cndmask_b32_e64 v1, v1, v7, s[0:1]
	v_cmp_ne_u16_sdwa s[0:1], v30, v29 src0_sel:BYTE_0 src1_sel:BYTE_0
	s_xor_b64 s[0:1], s[2:3], s[0:1]
	v_cndmask_b32_e64 v8, 0, 1, s[0:1]
	v_and_b32_sdwa v2, v1, s6 dst_sel:DWORD dst_unused:UNUSED_PAD src0_sel:WORD_1 src1_sel:DWORD
	v_lshlrev_b16_e32 v8, 8, v8
	v_or_b32_e32 v7, 0xb00, v0
	v_or_b32_sdwa v2, v2, v8 dst_sel:WORD_1 dst_unused:UNUSED_PAD src0_sel:DWORD src1_sel:DWORD
	v_and_or_b32 v2, v1, s7, v2
	v_cmp_gt_i32_e64 s[0:1], s12, v7
	v_cndmask_b32_e64 v2, v1, v2, s[0:1]
	v_cmp_ne_u16_sdwa s[0:1], v32, v31 src0_sel:BYTE_0 src1_sel:BYTE_0
	v_or_b32_e32 v1, 0xc00, v0
	s_xor_b64 s[0:1], s[2:3], s[0:1]
	v_cndmask_b32_e64 v7, 0, 1, s[0:1]
	v_cmp_gt_i32_e64 s[0:1], s12, v1
	v_cndmask_b32_e64 v1, 0, v7, s[0:1]
	v_cmp_ne_u16_sdwa s[0:1], v34, v33 src0_sel:BYTE_0 src1_sel:BYTE_0
	s_xor_b64 s[0:1], s[2:3], s[0:1]
	v_cndmask_b32_e64 v8, 0, 1, s[0:1]
	v_lshlrev_b16_e32 v8, 8, v8
	v_or_b32_e32 v7, 0xd00, v0
	v_or_b32_sdwa v8, v1, v8 dst_sel:DWORD dst_unused:UNUSED_PAD src0_sel:BYTE_0 src1_sel:DWORD
	v_and_b32_e32 v8, 0xffff, v8
	v_cmp_gt_i32_e64 s[0:1], s12, v7
	v_cndmask_b32_e64 v1, v1, v8, s[0:1]
	v_cmp_ne_u16_sdwa s[0:1], v36, v35 src0_sel:BYTE_0 src1_sel:BYTE_0
	s_xor_b64 s[0:1], s[2:3], s[0:1]
	v_and_b32_sdwa v7, v1, s10 dst_sel:DWORD dst_unused:UNUSED_PAD src0_sel:WORD_1 src1_sel:DWORD
	v_cndmask_b32_e64 v8, 0, 1, s[0:1]
	v_or_b32_sdwa v7, v8, v7 dst_sel:WORD_1 dst_unused:UNUSED_PAD src0_sel:DWORD src1_sel:DWORD
	v_or_b32_e32 v8, 0xe00, v0
	v_and_or_b32 v7, v1, s7, v7
	v_cmp_gt_i32_e64 s[0:1], s12, v8
	v_cndmask_b32_e64 v1, v1, v7, s[0:1]
	s_xor_b64 s[0:1], s[2:3], s[4:5]
	v_cndmask_b32_e64 v9, 0, 1, s[0:1]
	v_and_b32_sdwa v7, v1, s6 dst_sel:DWORD dst_unused:UNUSED_PAD src0_sel:WORD_1 src1_sel:DWORD
	v_lshlrev_b16_e32 v9, 8, v9
	v_or_b32_e32 v8, 0xf00, v0
	v_or_b32_sdwa v7, v7, v9 dst_sel:WORD_1 dst_unused:UNUSED_PAD src0_sel:DWORD src1_sel:DWORD
	v_and_or_b32 v7, v1, s7, v7
	v_cmp_gt_i32_e64 s[0:1], s12, v8
	v_cndmask_b32_e64 v1, v1, v7, s[0:1]
	s_and_saveexec_b64 s[0:1], vcc
	s_cbranch_execnz .LBB16_55
; %bb.38:
	s_or_b64 exec, exec, s[0:1]
	v_cmp_gt_i32_e32 vcc, s12, v0
	s_and_saveexec_b64 s[0:1], vcc
	s_cbranch_execnz .LBB16_56
.LBB16_39:
	s_or_b64 exec, exec, s[0:1]
	v_cmp_gt_i32_e32 vcc, s12, v0
	s_and_saveexec_b64 s[0:1], vcc
	s_cbranch_execnz .LBB16_57
.LBB16_40:
	s_or_b64 exec, exec, s[0:1]
	v_cmp_gt_i32_e32 vcc, s12, v0
	s_and_saveexec_b64 s[0:1], vcc
	s_cbranch_execnz .LBB16_58
.LBB16_41:
	s_or_b64 exec, exec, s[0:1]
	v_cmp_gt_i32_e32 vcc, s12, v0
	s_and_saveexec_b64 s[0:1], vcc
	s_cbranch_execnz .LBB16_59
.LBB16_42:
	s_or_b64 exec, exec, s[0:1]
	v_cmp_gt_i32_e32 vcc, s12, v0
	s_and_saveexec_b64 s[0:1], vcc
	s_cbranch_execnz .LBB16_60
.LBB16_43:
	s_or_b64 exec, exec, s[0:1]
	v_cmp_gt_i32_e32 vcc, s12, v0
	s_and_saveexec_b64 s[0:1], vcc
	s_cbranch_execnz .LBB16_61
.LBB16_44:
	s_or_b64 exec, exec, s[0:1]
	v_cmp_gt_i32_e32 vcc, s12, v0
	s_and_saveexec_b64 s[0:1], vcc
	s_cbranch_execnz .LBB16_62
.LBB16_45:
	s_or_b64 exec, exec, s[0:1]
	v_cmp_gt_i32_e32 vcc, s12, v0
	s_and_saveexec_b64 s[0:1], vcc
	s_cbranch_execnz .LBB16_63
.LBB16_46:
	s_or_b64 exec, exec, s[0:1]
	v_cmp_gt_i32_e32 vcc, s12, v0
	s_and_saveexec_b64 s[0:1], vcc
	s_cbranch_execnz .LBB16_64
.LBB16_47:
	s_or_b64 exec, exec, s[0:1]
	v_cmp_gt_i32_e32 vcc, s12, v0
	s_and_saveexec_b64 s[0:1], vcc
	s_cbranch_execnz .LBB16_65
.LBB16_48:
	s_or_b64 exec, exec, s[0:1]
	v_cmp_gt_i32_e32 vcc, s12, v0
	s_and_saveexec_b64 s[0:1], vcc
	s_cbranch_execnz .LBB16_66
.LBB16_49:
	s_or_b64 exec, exec, s[0:1]
	v_cmp_gt_i32_e32 vcc, s12, v0
	s_and_saveexec_b64 s[0:1], vcc
	s_cbranch_execnz .LBB16_67
.LBB16_50:
	s_or_b64 exec, exec, s[0:1]
	v_cmp_gt_i32_e32 vcc, s12, v0
	s_and_saveexec_b64 s[0:1], vcc
	s_cbranch_execnz .LBB16_68
.LBB16_51:
	s_or_b64 exec, exec, s[0:1]
	v_cmp_gt_i32_e32 vcc, s12, v0
	s_and_saveexec_b64 s[0:1], vcc
	s_cbranch_execnz .LBB16_69
.LBB16_52:
	s_or_b64 exec, exec, s[0:1]
	v_cmp_gt_i32_e32 vcc, s12, v0
	s_and_saveexec_b64 s[0:1], vcc
	s_cbranch_execz .LBB16_54
.LBB16_53:
	v_lshrrev_b32_e32 v1, 24, v1
	v_add_u32_e32 v0, s33, v0
	global_store_byte v0, v1, s[8:9]
.LBB16_54:
	s_endpgm
.LBB16_55:
	v_mov_b32_e32 v0, v5
	global_store_byte v6, v4, s[8:9]
	s_or_b64 exec, exec, s[0:1]
	v_cmp_gt_i32_e32 vcc, s12, v0
	s_and_saveexec_b64 s[0:1], vcc
	s_cbranch_execz .LBB16_39
.LBB16_56:
	v_lshrrev_b32_e32 v5, 8, v4
	v_add_u32_e32 v6, s33, v0
	v_add_u32_e32 v0, 0x100, v0
	global_store_byte v6, v5, s[8:9]
	s_or_b64 exec, exec, s[0:1]
	v_cmp_gt_i32_e32 vcc, s12, v0
	s_and_saveexec_b64 s[0:1], vcc
	s_cbranch_execz .LBB16_40
.LBB16_57:
	v_add_u32_e32 v5, s33, v0
	v_add_u32_e32 v0, 0x100, v0
	global_store_byte_d16_hi v5, v4, s[8:9]
	s_or_b64 exec, exec, s[0:1]
	v_cmp_gt_i32_e32 vcc, s12, v0
	s_and_saveexec_b64 s[0:1], vcc
	s_cbranch_execz .LBB16_41
.LBB16_58:
	v_lshrrev_b32_e32 v4, 24, v4
	v_add_u32_e32 v5, s33, v0
	v_add_u32_e32 v0, 0x100, v0
	global_store_byte v5, v4, s[8:9]
	s_or_b64 exec, exec, s[0:1]
	v_cmp_gt_i32_e32 vcc, s12, v0
	s_and_saveexec_b64 s[0:1], vcc
	s_cbranch_execz .LBB16_42
.LBB16_59:
	v_add_u32_e32 v4, s33, v0
	v_add_u32_e32 v0, 0x100, v0
	global_store_byte v4, v3, s[8:9]
	s_or_b64 exec, exec, s[0:1]
	v_cmp_gt_i32_e32 vcc, s12, v0
	s_and_saveexec_b64 s[0:1], vcc
	s_cbranch_execz .LBB16_43
.LBB16_60:
	v_lshrrev_b32_e32 v4, 8, v3
	v_add_u32_e32 v5, s33, v0
	v_add_u32_e32 v0, 0x100, v0
	global_store_byte v5, v4, s[8:9]
	s_or_b64 exec, exec, s[0:1]
	v_cmp_gt_i32_e32 vcc, s12, v0
	s_and_saveexec_b64 s[0:1], vcc
	s_cbranch_execz .LBB16_44
.LBB16_61:
	v_add_u32_e32 v4, s33, v0
	v_add_u32_e32 v0, 0x100, v0
	global_store_byte_d16_hi v4, v3, s[8:9]
	s_or_b64 exec, exec, s[0:1]
	v_cmp_gt_i32_e32 vcc, s12, v0
	s_and_saveexec_b64 s[0:1], vcc
	s_cbranch_execz .LBB16_45
.LBB16_62:
	v_lshrrev_b32_e32 v3, 24, v3
	v_add_u32_e32 v4, s33, v0
	v_add_u32_e32 v0, 0x100, v0
	global_store_byte v4, v3, s[8:9]
	s_or_b64 exec, exec, s[0:1]
	v_cmp_gt_i32_e32 vcc, s12, v0
	s_and_saveexec_b64 s[0:1], vcc
	s_cbranch_execz .LBB16_46
.LBB16_63:
	v_add_u32_e32 v3, s33, v0
	v_add_u32_e32 v0, 0x100, v0
	global_store_byte v3, v2, s[8:9]
	s_or_b64 exec, exec, s[0:1]
	v_cmp_gt_i32_e32 vcc, s12, v0
	s_and_saveexec_b64 s[0:1], vcc
	s_cbranch_execz .LBB16_47
.LBB16_64:
	v_lshrrev_b32_e32 v3, 8, v2
	v_add_u32_e32 v4, s33, v0
	v_add_u32_e32 v0, 0x100, v0
	global_store_byte v4, v3, s[8:9]
	s_or_b64 exec, exec, s[0:1]
	v_cmp_gt_i32_e32 vcc, s12, v0
	s_and_saveexec_b64 s[0:1], vcc
	s_cbranch_execz .LBB16_48
.LBB16_65:
	v_add_u32_e32 v3, s33, v0
	v_add_u32_e32 v0, 0x100, v0
	global_store_byte_d16_hi v3, v2, s[8:9]
	s_or_b64 exec, exec, s[0:1]
	v_cmp_gt_i32_e32 vcc, s12, v0
	s_and_saveexec_b64 s[0:1], vcc
	s_cbranch_execz .LBB16_49
.LBB16_66:
	v_lshrrev_b32_e32 v2, 24, v2
	v_add_u32_e32 v3, s33, v0
	v_add_u32_e32 v0, 0x100, v0
	global_store_byte v3, v2, s[8:9]
	s_or_b64 exec, exec, s[0:1]
	v_cmp_gt_i32_e32 vcc, s12, v0
	s_and_saveexec_b64 s[0:1], vcc
	s_cbranch_execz .LBB16_50
.LBB16_67:
	v_add_u32_e32 v2, s33, v0
	v_add_u32_e32 v0, 0x100, v0
	global_store_byte v2, v1, s[8:9]
	s_or_b64 exec, exec, s[0:1]
	v_cmp_gt_i32_e32 vcc, s12, v0
	s_and_saveexec_b64 s[0:1], vcc
	s_cbranch_execz .LBB16_51
.LBB16_68:
	v_lshrrev_b32_e32 v2, 8, v1
	v_add_u32_e32 v3, s33, v0
	v_add_u32_e32 v0, 0x100, v0
	global_store_byte v3, v2, s[8:9]
	s_or_b64 exec, exec, s[0:1]
	v_cmp_gt_i32_e32 vcc, s12, v0
	s_and_saveexec_b64 s[0:1], vcc
	s_cbranch_execz .LBB16_52
.LBB16_69:
	v_add_u32_e32 v2, s33, v0
	v_add_u32_e32 v0, 0x100, v0
	global_store_byte_d16_hi v2, v1, s[8:9]
	s_or_b64 exec, exec, s[0:1]
	v_cmp_gt_i32_e32 vcc, s12, v0
	s_and_saveexec_b64 s[0:1], vcc
	s_cbranch_execnz .LBB16_53
	s_branch .LBB16_54
	.section	.rodata,"a",@progbits
	.p2align	6, 0x0
	.amdhsa_kernel _ZN2at6native29vectorized_elementwise_kernelILi16ENS0_13BinaryFunctorIaabNS0_12_GLOBAL__N_116CompareEqFunctorIaEEEESt5arrayIPcLm3EEEEviT0_T1_
		.amdhsa_group_segment_fixed_size 0
		.amdhsa_private_segment_fixed_size 0
		.amdhsa_kernarg_size 32
		.amdhsa_user_sgpr_count 6
		.amdhsa_user_sgpr_private_segment_buffer 1
		.amdhsa_user_sgpr_dispatch_ptr 0
		.amdhsa_user_sgpr_queue_ptr 0
		.amdhsa_user_sgpr_kernarg_segment_ptr 1
		.amdhsa_user_sgpr_dispatch_id 0
		.amdhsa_user_sgpr_flat_scratch_init 0
		.amdhsa_user_sgpr_private_segment_size 0
		.amdhsa_uses_dynamic_stack 0
		.amdhsa_system_sgpr_private_segment_wavefront_offset 0
		.amdhsa_system_sgpr_workgroup_id_x 1
		.amdhsa_system_sgpr_workgroup_id_y 0
		.amdhsa_system_sgpr_workgroup_id_z 0
		.amdhsa_system_sgpr_workgroup_info 0
		.amdhsa_system_vgpr_workitem_id 0
		.amdhsa_next_free_vgpr 39
		.amdhsa_next_free_sgpr 42
		.amdhsa_reserve_vcc 1
		.amdhsa_reserve_flat_scratch 0
		.amdhsa_float_round_mode_32 0
		.amdhsa_float_round_mode_16_64 0
		.amdhsa_float_denorm_mode_32 3
		.amdhsa_float_denorm_mode_16_64 3
		.amdhsa_dx10_clamp 1
		.amdhsa_ieee_mode 1
		.amdhsa_fp16_overflow 0
		.amdhsa_exception_fp_ieee_invalid_op 0
		.amdhsa_exception_fp_denorm_src 0
		.amdhsa_exception_fp_ieee_div_zero 0
		.amdhsa_exception_fp_ieee_overflow 0
		.amdhsa_exception_fp_ieee_underflow 0
		.amdhsa_exception_fp_ieee_inexact 0
		.amdhsa_exception_int_div_zero 0
	.end_amdhsa_kernel
	.section	.text._ZN2at6native29vectorized_elementwise_kernelILi16ENS0_13BinaryFunctorIaabNS0_12_GLOBAL__N_116CompareEqFunctorIaEEEESt5arrayIPcLm3EEEEviT0_T1_,"axG",@progbits,_ZN2at6native29vectorized_elementwise_kernelILi16ENS0_13BinaryFunctorIaabNS0_12_GLOBAL__N_116CompareEqFunctorIaEEEESt5arrayIPcLm3EEEEviT0_T1_,comdat
.Lfunc_end16:
	.size	_ZN2at6native29vectorized_elementwise_kernelILi16ENS0_13BinaryFunctorIaabNS0_12_GLOBAL__N_116CompareEqFunctorIaEEEESt5arrayIPcLm3EEEEviT0_T1_, .Lfunc_end16-_ZN2at6native29vectorized_elementwise_kernelILi16ENS0_13BinaryFunctorIaabNS0_12_GLOBAL__N_116CompareEqFunctorIaEEEESt5arrayIPcLm3EEEEviT0_T1_
                                        ; -- End function
	.set _ZN2at6native29vectorized_elementwise_kernelILi16ENS0_13BinaryFunctorIaabNS0_12_GLOBAL__N_116CompareEqFunctorIaEEEESt5arrayIPcLm3EEEEviT0_T1_.num_vgpr, 39
	.set _ZN2at6native29vectorized_elementwise_kernelILi16ENS0_13BinaryFunctorIaabNS0_12_GLOBAL__N_116CompareEqFunctorIaEEEESt5arrayIPcLm3EEEEviT0_T1_.num_agpr, 0
	.set _ZN2at6native29vectorized_elementwise_kernelILi16ENS0_13BinaryFunctorIaabNS0_12_GLOBAL__N_116CompareEqFunctorIaEEEESt5arrayIPcLm3EEEEviT0_T1_.numbered_sgpr, 42
	.set _ZN2at6native29vectorized_elementwise_kernelILi16ENS0_13BinaryFunctorIaabNS0_12_GLOBAL__N_116CompareEqFunctorIaEEEESt5arrayIPcLm3EEEEviT0_T1_.num_named_barrier, 0
	.set _ZN2at6native29vectorized_elementwise_kernelILi16ENS0_13BinaryFunctorIaabNS0_12_GLOBAL__N_116CompareEqFunctorIaEEEESt5arrayIPcLm3EEEEviT0_T1_.private_seg_size, 0
	.set _ZN2at6native29vectorized_elementwise_kernelILi16ENS0_13BinaryFunctorIaabNS0_12_GLOBAL__N_116CompareEqFunctorIaEEEESt5arrayIPcLm3EEEEviT0_T1_.uses_vcc, 1
	.set _ZN2at6native29vectorized_elementwise_kernelILi16ENS0_13BinaryFunctorIaabNS0_12_GLOBAL__N_116CompareEqFunctorIaEEEESt5arrayIPcLm3EEEEviT0_T1_.uses_flat_scratch, 0
	.set _ZN2at6native29vectorized_elementwise_kernelILi16ENS0_13BinaryFunctorIaabNS0_12_GLOBAL__N_116CompareEqFunctorIaEEEESt5arrayIPcLm3EEEEviT0_T1_.has_dyn_sized_stack, 0
	.set _ZN2at6native29vectorized_elementwise_kernelILi16ENS0_13BinaryFunctorIaabNS0_12_GLOBAL__N_116CompareEqFunctorIaEEEESt5arrayIPcLm3EEEEviT0_T1_.has_recursion, 0
	.set _ZN2at6native29vectorized_elementwise_kernelILi16ENS0_13BinaryFunctorIaabNS0_12_GLOBAL__N_116CompareEqFunctorIaEEEESt5arrayIPcLm3EEEEviT0_T1_.has_indirect_call, 0
	.section	.AMDGPU.csdata,"",@progbits
; Kernel info:
; codeLenInByte = 4284
; TotalNumSgprs: 46
; NumVgprs: 39
; ScratchSize: 0
; MemoryBound: 0
; FloatMode: 240
; IeeeMode: 1
; LDSByteSize: 0 bytes/workgroup (compile time only)
; SGPRBlocks: 5
; VGPRBlocks: 9
; NumSGPRsForWavesPerEU: 46
; NumVGPRsForWavesPerEU: 39
; Occupancy: 6
; WaveLimiterHint : 0
; COMPUTE_PGM_RSRC2:SCRATCH_EN: 0
; COMPUTE_PGM_RSRC2:USER_SGPR: 6
; COMPUTE_PGM_RSRC2:TRAP_HANDLER: 0
; COMPUTE_PGM_RSRC2:TGID_X_EN: 1
; COMPUTE_PGM_RSRC2:TGID_Y_EN: 0
; COMPUTE_PGM_RSRC2:TGID_Z_EN: 0
; COMPUTE_PGM_RSRC2:TIDIG_COMP_CNT: 0
	.section	.text._ZN2at6native29vectorized_elementwise_kernelILi8ENS0_13BinaryFunctorIaabNS0_12_GLOBAL__N_116CompareEqFunctorIaEEEESt5arrayIPcLm3EEEEviT0_T1_,"axG",@progbits,_ZN2at6native29vectorized_elementwise_kernelILi8ENS0_13BinaryFunctorIaabNS0_12_GLOBAL__N_116CompareEqFunctorIaEEEESt5arrayIPcLm3EEEEviT0_T1_,comdat
	.globl	_ZN2at6native29vectorized_elementwise_kernelILi8ENS0_13BinaryFunctorIaabNS0_12_GLOBAL__N_116CompareEqFunctorIaEEEESt5arrayIPcLm3EEEEviT0_T1_ ; -- Begin function _ZN2at6native29vectorized_elementwise_kernelILi8ENS0_13BinaryFunctorIaabNS0_12_GLOBAL__N_116CompareEqFunctorIaEEEESt5arrayIPcLm3EEEEviT0_T1_
	.p2align	8
	.type	_ZN2at6native29vectorized_elementwise_kernelILi8ENS0_13BinaryFunctorIaabNS0_12_GLOBAL__N_116CompareEqFunctorIaEEEESt5arrayIPcLm3EEEEviT0_T1_,@function
_ZN2at6native29vectorized_elementwise_kernelILi8ENS0_13BinaryFunctorIaabNS0_12_GLOBAL__N_116CompareEqFunctorIaEEEESt5arrayIPcLm3EEEEviT0_T1_: ; @_ZN2at6native29vectorized_elementwise_kernelILi8ENS0_13BinaryFunctorIaabNS0_12_GLOBAL__N_116CompareEqFunctorIaEEEESt5arrayIPcLm3EEEEviT0_T1_
; %bb.0:
	s_load_dwordx2 s[14:15], s[4:5], 0x0
	s_load_dwordx4 s[16:19], s[4:5], 0x8
	s_load_dwordx2 s[20:21], s[4:5], 0x18
	s_lshl_b32 s33, s6, 12
	s_mov_b64 s[0:1], -1
	s_waitcnt lgkmcnt(0)
	s_sub_i32 s14, s14, s33
	s_cmpk_gt_i32 s14, 0xfff
	s_cbranch_scc0 .LBB17_2
; %bb.1:
	s_ashr_i32 s34, s33, 31
	s_add_u32 s0, s18, s33
	s_addc_u32 s1, s19, s34
	v_lshlrev_b32_e32 v9, 3, v0
	global_load_dwordx2 v[1:2], v9, s[0:1]
	global_load_dwordx2 v[3:4], v9, s[0:1] offset:2048
	s_add_u32 s0, s20, s33
	s_addc_u32 s1, s21, s34
	global_load_dwordx2 v[5:6], v9, s[0:1]
	global_load_dwordx2 v[7:8], v9, s[0:1] offset:2048
	s_movk_i32 s0, 0xff
	s_cmp_eq_u32 s15, 0
	s_cselect_b64 s[22:23], -1, 0
	s_mov_b32 s12, 0xffffff
	s_waitcnt vmcnt(3)
	v_and_b32_sdwa v11, v1, s0 dst_sel:DWORD dst_unused:UNUSED_PAD src0_sel:WORD_1 src1_sel:DWORD
	v_and_b32_sdwa v13, v2, s0 dst_sel:DWORD dst_unused:UNUSED_PAD src0_sel:WORD_1 src1_sel:DWORD
	s_waitcnt vmcnt(2)
	v_and_b32_sdwa v15, v3, s0 dst_sel:DWORD dst_unused:UNUSED_PAD src0_sel:WORD_1 src1_sel:DWORD
	v_and_b32_sdwa v17, v4, s0 dst_sel:DWORD dst_unused:UNUSED_PAD src0_sel:WORD_1 src1_sel:DWORD
	s_waitcnt vmcnt(1)
	v_and_b32_sdwa v19, v5, s0 dst_sel:DWORD dst_unused:UNUSED_PAD src0_sel:WORD_1 src1_sel:DWORD
	v_and_b32_sdwa v21, v6, s0 dst_sel:DWORD dst_unused:UNUSED_PAD src0_sel:WORD_1 src1_sel:DWORD
	s_waitcnt vmcnt(0)
	v_and_b32_sdwa v23, v7, s0 dst_sel:DWORD dst_unused:UNUSED_PAD src0_sel:WORD_1 src1_sel:DWORD
	v_and_b32_sdwa v25, v8, s0 dst_sel:DWORD dst_unused:UNUSED_PAD src0_sel:WORD_1 src1_sel:DWORD
	v_cmp_ne_u16_sdwa s[0:1], v1, v5 src0_sel:BYTE_0 src1_sel:BYTE_0
	v_lshrrev_b32_e32 v10, 8, v1
	v_xor_b32_e32 v1, v5, v1
	s_xor_b64 s[0:1], s[22:23], s[0:1]
	v_lshrrev_b32_e32 v12, 8, v2
	v_lshrrev_b32_e32 v18, 8, v5
	;; [unrolled: 1-line block ×3, first 2 shown]
	v_cmp_ne_u16_sdwa s[2:3], v2, v6 src0_sel:BYTE_0 src1_sel:BYTE_0
	v_cndmask_b32_e64 v5, 0, 1, s[0:1]
	v_cmp_lt_u32_e64 s[0:1], s12, v1
	s_xor_b64 s[2:3], s[22:23], s[2:3]
	v_cmp_ne_u16_sdwa s[26:27], v12, v20 src0_sel:BYTE_0 src1_sel:BYTE_0
	s_xor_b64 s[0:1], s[22:23], s[0:1]
	v_lshrrev_b32_e32 v14, 8, v3
	v_lshrrev_b32_e32 v16, 8, v4
	;; [unrolled: 1-line block ×3, first 2 shown]
	v_xor_b32_e32 v2, v6, v2
	v_cmp_ne_u16_sdwa s[6:7], v3, v7 src0_sel:BYTE_0 src1_sel:BYTE_0
	v_xor_b32_e32 v3, v7, v3
	v_cmp_ne_u16_sdwa s[10:11], v4, v8 src0_sel:BYTE_0 src1_sel:BYTE_0
	v_xor_b32_e32 v4, v8, v4
	v_cndmask_b32_e64 v6, 0, 1, s[2:3]
	v_cmp_ne_u16_e64 s[2:3], v13, v21
	v_cndmask_b32_e64 v8, 0, 1, s[0:1]
	s_xor_b64 s[0:1], s[22:23], s[26:27]
	v_lshrrev_b32_e32 v22, 8, v7
	v_cmp_lt_u32_e64 s[4:5], s12, v2
	v_cmp_lt_u32_e64 s[8:9], s12, v3
	;; [unrolled: 1-line block ×3, first 2 shown]
	v_cndmask_b32_e64 v4, 0, 1, s[0:1]
	s_xor_b64 s[0:1], s[22:23], s[2:3]
	v_cmp_ne_u16_sdwa s[24:25], v10, v18 src0_sel:BYTE_0 src1_sel:BYTE_0
	s_xor_b64 s[6:7], s[22:23], s[6:7]
	v_cmp_ne_u16_sdwa s[28:29], v14, v22 src0_sel:BYTE_0 src1_sel:BYTE_0
	v_cndmask_b32_e64 v10, 0, 1, s[0:1]
	s_xor_b64 s[0:1], s[22:23], s[4:5]
	v_cmp_ne_u16_e32 vcc, v11, v19
	v_cndmask_b32_e64 v1, 0, 1, s[6:7]
	v_cmp_ne_u16_e64 s[6:7], v15, v23
	v_cndmask_b32_e64 v11, 0, 1, s[0:1]
	s_xor_b64 s[0:1], s[22:23], s[28:29]
	v_cndmask_b32_e64 v12, 0, 1, s[0:1]
	s_xor_b64 s[0:1], s[22:23], s[6:7]
	s_xor_b64 s[10:11], s[22:23], s[10:11]
	v_cmp_ne_u16_sdwa s[30:31], v16, v24 src0_sel:BYTE_0 src1_sel:BYTE_0
	v_cndmask_b32_e64 v13, 0, 1, s[0:1]
	s_xor_b64 s[0:1], s[22:23], s[8:9]
	v_cndmask_b32_e64 v2, 0, 1, s[10:11]
	v_cmp_ne_u16_e64 s[10:11], v17, v25
	s_xor_b64 s[24:25], s[22:23], s[24:25]
	v_cndmask_b32_e64 v14, 0, 1, s[0:1]
	s_xor_b64 s[0:1], s[22:23], s[30:31]
	v_cndmask_b32_e64 v3, 0, 1, s[24:25]
	v_cndmask_b32_e64 v15, 0, 1, s[0:1]
	s_xor_b64 s[0:1], s[22:23], s[10:11]
	s_xor_b64 s[24:25], s[22:23], vcc
	v_cndmask_b32_e64 v16, 0, 1, s[0:1]
	s_xor_b64 s[0:1], s[22:23], s[12:13]
	v_lshlrev_b16_e32 v4, 8, v4
	v_lshlrev_b16_e32 v3, 8, v3
	v_cndmask_b32_e64 v7, 0, 1, s[24:25]
	v_cndmask_b32_e64 v17, 0, 1, s[0:1]
	v_or_b32_e32 v4, v6, v4
	v_lshlrev_b16_e32 v6, 8, v11
	v_or_b32_e32 v3, v5, v3
	v_lshlrev_b16_e32 v5, 8, v8
	v_lshlrev_b16_e32 v15, 8, v15
	;; [unrolled: 1-line block ×5, first 2 shown]
	v_or_b32_sdwa v6, v10, v6 dst_sel:WORD_1 dst_unused:UNUSED_PAD src0_sel:DWORD src1_sel:DWORD
	v_or_b32_sdwa v5, v7, v5 dst_sel:WORD_1 dst_unused:UNUSED_PAD src0_sel:DWORD src1_sel:DWORD
	s_add_u32 s0, s16, s33
	v_or_b32_e32 v2, v2, v15
	v_or_b32_sdwa v15, v16, v17 dst_sel:WORD_1 dst_unused:UNUSED_PAD src0_sel:DWORD src1_sel:DWORD
	v_or_b32_e32 v1, v1, v12
	v_or_b32_sdwa v12, v13, v14 dst_sel:WORD_1 dst_unused:UNUSED_PAD src0_sel:DWORD src1_sel:DWORD
	v_or_b32_sdwa v4, v4, v6 dst_sel:DWORD dst_unused:UNUSED_PAD src0_sel:WORD_0 src1_sel:DWORD
	v_or_b32_sdwa v3, v3, v5 dst_sel:DWORD dst_unused:UNUSED_PAD src0_sel:WORD_0 src1_sel:DWORD
	s_addc_u32 s1, s17, s34
	v_or_b32_sdwa v2, v2, v15 dst_sel:DWORD dst_unused:UNUSED_PAD src0_sel:WORD_0 src1_sel:DWORD
	v_or_b32_sdwa v1, v1, v12 dst_sel:DWORD dst_unused:UNUSED_PAD src0_sel:WORD_0 src1_sel:DWORD
	global_store_dwordx2 v9, v[3:4], s[0:1]
	global_store_dwordx2 v9, v[1:2], s[0:1] offset:2048
	s_mov_b64 s[0:1], 0
.LBB17_2:
	s_andn2_b64 vcc, exec, s[0:1]
	s_cbranch_vccnz .LBB17_54
; %bb.3:
	v_cmp_gt_i32_e32 vcc, s14, v0
	v_cmp_le_i32_e64 s[0:1], s14, v0
                                        ; implicit-def: $vgpr5
	s_and_saveexec_b64 s[2:3], s[0:1]
	s_xor_b64 s[0:1], exec, s[2:3]
; %bb.4:
	v_or_b32_e32 v5, 0x100, v0
; %bb.5:
	s_or_saveexec_b64 s[2:3], s[0:1]
	v_mov_b32_e32 v36, 0
	s_mov_b64 s[4:5], 0
	v_or_b32_e32 v6, s33, v0
	v_mov_b32_e32 v35, 0
	v_mov_b32_e32 v34, 0
	;; [unrolled: 1-line block ×29, first 2 shown]
	s_xor_b64 exec, exec, s[2:3]
	s_cbranch_execz .LBB17_37
; %bb.6:
	global_load_ubyte v7, v6, s[18:19]
	global_load_ubyte v8, v6, s[20:21]
	v_or_b32_e32 v5, 0x100, v0
	v_cmp_gt_u32_e64 s[0:1], s14, v5
	s_mov_b64 s[6:7], 0
	v_mov_b32_e32 v9, 0
	v_mov_b32_e32 v10, 0
	;; [unrolled: 1-line block ×28, first 2 shown]
	s_and_saveexec_b64 s[4:5], s[0:1]
	s_cbranch_execz .LBB17_36
; %bb.7:
	v_add_u32_e32 v3, s33, v0
	global_load_ubyte v10, v3, s[18:19] offset:256
	global_load_ubyte v9, v3, s[20:21] offset:256
	v_or_b32_e32 v1, 0x200, v0
	v_mov_b32_e32 v11, 0
	v_cmp_gt_u32_e64 s[0:1], s14, v1
	s_mov_b64 s[8:9], 0
	v_mov_b32_e32 v13, 0
	v_mov_b32_e32 v12, 0
	v_mov_b32_e32 v15, 0
	v_mov_b32_e32 v16, 0
	v_mov_b32_e32 v17, 0
	v_mov_b32_e32 v18, 0
	v_mov_b32_e32 v21, 0
	v_mov_b32_e32 v14, 0
	v_mov_b32_e32 v19, 0
	v_mov_b32_e32 v20, 0
	v_mov_b32_e32 v22, 0
	v_mov_b32_e32 v23, 0
	v_mov_b32_e32 v24, 0
	v_mov_b32_e32 v25, 0
	v_mov_b32_e32 v26, 0
	v_mov_b32_e32 v27, 0
	v_mov_b32_e32 v28, 0
	v_mov_b32_e32 v29, 0
	v_mov_b32_e32 v30, 0
	v_mov_b32_e32 v31, 0
	v_mov_b32_e32 v32, 0
	v_mov_b32_e32 v33, 0
	v_mov_b32_e32 v34, 0
	v_mov_b32_e32 v35, 0
	v_mov_b32_e32 v36, 0
	s_and_saveexec_b64 s[6:7], s[0:1]
	s_cbranch_execz .LBB17_35
; %bb.8:
	v_mov_b32_e32 v2, s19
	v_add_co_u32_e64 v1, s[0:1], s18, v3
	v_addc_co_u32_e64 v2, s[0:1], 0, v2, s[0:1]
	v_mov_b32_e32 v4, s21
	v_add_co_u32_e64 v3, s[0:1], s20, v3
	v_addc_co_u32_e64 v4, s[0:1], 0, v4, s[0:1]
	global_load_ubyte v13, v[1:2], off offset:512
	global_load_ubyte v11, v[3:4], off offset:512
	v_or_b32_e32 v12, 0x300, v0
	v_cmp_gt_u32_e64 s[0:1], s14, v12
	s_mov_b64 s[10:11], 0
	v_mov_b32_e32 v12, 0
	v_mov_b32_e32 v15, 0
	;; [unrolled: 1-line block ×24, first 2 shown]
	s_and_saveexec_b64 s[8:9], s[0:1]
	s_cbranch_execz .LBB17_34
; %bb.9:
	global_load_ubyte v15, v[1:2], off offset:768
	global_load_ubyte v12, v[3:4], off offset:768
	v_or_b32_e32 v14, 0x400, v0
	v_cmp_gt_u32_e64 s[0:1], s14, v14
	s_mov_b64 s[12:13], 0
	v_mov_b32_e32 v16, 0
	v_mov_b32_e32 v17, 0
	;; [unrolled: 1-line block ×22, first 2 shown]
	s_and_saveexec_b64 s[10:11], s[0:1]
	s_cbranch_execz .LBB17_33
; %bb.10:
	global_load_ubyte v17, v[1:2], off offset:1024
	global_load_ubyte v16, v[3:4], off offset:1024
	v_or_b32_e32 v14, 0x500, v0
	v_cmp_gt_u32_e64 s[0:1], s14, v14
	s_mov_b64 s[18:19], 0
	v_mov_b32_e32 v18, 0
	v_mov_b32_e32 v21, 0
	;; [unrolled: 1-line block ×20, first 2 shown]
	s_and_saveexec_b64 s[12:13], s[0:1]
	s_cbranch_execz .LBB17_32
; %bb.11:
	global_load_ubyte v21, v[1:2], off offset:1280
	global_load_ubyte v18, v[3:4], off offset:1280
	v_or_b32_e32 v14, 0x600, v0
	v_cmp_gt_u32_e64 s[0:1], s14, v14
	s_mov_b64 s[20:21], 0
	v_mov_b32_e32 v14, 0
	v_mov_b32_e32 v19, 0
	;; [unrolled: 1-line block ×18, first 2 shown]
	s_and_saveexec_b64 s[18:19], s[0:1]
	s_cbranch_execz .LBB17_31
; %bb.12:
	global_load_ubyte v19, v[1:2], off offset:1536
	global_load_ubyte v14, v[3:4], off offset:1536
	v_or_b32_e32 v20, 0x700, v0
	v_cmp_gt_u32_e64 s[0:1], s14, v20
	s_mov_b64 s[22:23], 0
	v_mov_b32_e32 v20, 0
	v_mov_b32_e32 v22, 0
	;; [unrolled: 1-line block ×16, first 2 shown]
	s_and_saveexec_b64 s[20:21], s[0:1]
	s_cbranch_execz .LBB17_30
; %bb.13:
	global_load_ubyte v22, v[1:2], off offset:1792
	global_load_ubyte v20, v[3:4], off offset:1792
	v_or_b32_e32 v23, 0x800, v0
	v_cmp_gt_u32_e64 s[0:1], s14, v23
	s_mov_b64 s[24:25], 0
	v_mov_b32_e32 v23, 0
	v_mov_b32_e32 v24, 0
	;; [unrolled: 1-line block ×14, first 2 shown]
	s_and_saveexec_b64 s[22:23], s[0:1]
	s_cbranch_execz .LBB17_29
; %bb.14:
	global_load_ubyte v24, v[1:2], off offset:2048
	global_load_ubyte v23, v[3:4], off offset:2048
	v_or_b32_e32 v25, 0x900, v0
	v_cmp_gt_u32_e64 s[0:1], s14, v25
	s_mov_b64 s[26:27], 0
	v_mov_b32_e32 v25, 0
	v_mov_b32_e32 v26, 0
	;; [unrolled: 1-line block ×12, first 2 shown]
	s_and_saveexec_b64 s[24:25], s[0:1]
	s_cbranch_execz .LBB17_28
; %bb.15:
	global_load_ubyte v26, v[1:2], off offset:2304
	global_load_ubyte v25, v[3:4], off offset:2304
	v_or_b32_e32 v27, 0xa00, v0
	v_cmp_gt_u32_e64 s[0:1], s14, v27
	s_mov_b64 s[28:29], 0
	v_mov_b32_e32 v27, 0
	v_mov_b32_e32 v28, 0
	;; [unrolled: 1-line block ×10, first 2 shown]
	s_and_saveexec_b64 s[26:27], s[0:1]
	s_cbranch_execz .LBB17_27
; %bb.16:
	global_load_ubyte v28, v[1:2], off offset:2560
	global_load_ubyte v27, v[3:4], off offset:2560
	v_or_b32_e32 v29, 0xb00, v0
	v_cmp_gt_u32_e64 s[0:1], s14, v29
	s_mov_b64 s[30:31], 0
	v_mov_b32_e32 v29, 0
	v_mov_b32_e32 v30, 0
	v_mov_b32_e32 v31, 0
	v_mov_b32_e32 v32, 0
	v_mov_b32_e32 v33, 0
	v_mov_b32_e32 v34, 0
	v_mov_b32_e32 v35, 0
	v_mov_b32_e32 v36, 0
	s_and_saveexec_b64 s[28:29], s[0:1]
	s_cbranch_execz .LBB17_26
; %bb.17:
	global_load_ubyte v30, v[1:2], off offset:2816
	global_load_ubyte v29, v[3:4], off offset:2816
	v_or_b32_e32 v31, 0xc00, v0
	v_cmp_gt_u32_e64 s[0:1], s14, v31
	s_mov_b64 s[34:35], 0
	v_mov_b32_e32 v31, 0
	v_mov_b32_e32 v32, 0
	;; [unrolled: 1-line block ×6, first 2 shown]
	s_and_saveexec_b64 s[30:31], s[0:1]
	s_cbranch_execz .LBB17_25
; %bb.18:
	global_load_ubyte v32, v[1:2], off offset:3072
	global_load_ubyte v31, v[3:4], off offset:3072
	v_or_b32_e32 v33, 0xd00, v0
	v_cmp_gt_u32_e64 s[0:1], s14, v33
	s_mov_b64 s[36:37], 0
	v_mov_b32_e32 v33, 0
	v_mov_b32_e32 v34, 0
	;; [unrolled: 1-line block ×4, first 2 shown]
	s_and_saveexec_b64 s[34:35], s[0:1]
	s_cbranch_execz .LBB17_24
; %bb.19:
	global_load_ubyte v34, v[1:2], off offset:3328
	global_load_ubyte v33, v[3:4], off offset:3328
	v_or_b32_e32 v35, 0xe00, v0
	v_cmp_gt_u32_e64 s[0:1], s14, v35
	s_mov_b64 s[38:39], 0
	v_mov_b32_e32 v35, 0
	v_mov_b32_e32 v36, 0
	s_and_saveexec_b64 s[36:37], s[0:1]
	s_cbranch_execz .LBB17_23
; %bb.20:
	global_load_ubyte v36, v[1:2], off offset:3584
	global_load_ubyte v35, v[3:4], off offset:3584
	v_or_b32_e32 v37, 0xf00, v0
	v_cmp_gt_u32_e64 s[0:1], s14, v37
	s_mov_b64 s[40:41], 0
	s_and_saveexec_b64 s[38:39], s[0:1]
	s_cbranch_execz .LBB17_22
; %bb.21:
	global_load_ubyte v37, v[1:2], off offset:3840
	global_load_ubyte v38, v[3:4], off offset:3840
	s_waitcnt vmcnt(0)
	v_cmp_ne_u16_e64 s[0:1], v37, v38
	s_and_b64 s[40:41], s[0:1], exec
.LBB17_22:
	s_or_b64 exec, exec, s[38:39]
	s_and_b64 s[38:39], s[40:41], exec
.LBB17_23:
	s_or_b64 exec, exec, s[36:37]
	s_and_b64 s[36:37], s[38:39], exec
.LBB17_24:
	s_or_b64 exec, exec, s[34:35]
	s_and_b64 s[34:35], s[36:37], exec
.LBB17_25:
	s_or_b64 exec, exec, s[30:31]
	s_and_b64 s[30:31], s[34:35], exec
.LBB17_26:
	s_or_b64 exec, exec, s[28:29]
	s_and_b64 s[28:29], s[30:31], exec
.LBB17_27:
	s_or_b64 exec, exec, s[26:27]
	s_and_b64 s[26:27], s[28:29], exec
.LBB17_28:
	s_or_b64 exec, exec, s[24:25]
	s_and_b64 s[24:25], s[26:27], exec
.LBB17_29:
	s_or_b64 exec, exec, s[22:23]
	s_and_b64 s[22:23], s[24:25], exec
.LBB17_30:
	s_or_b64 exec, exec, s[20:21]
	s_and_b64 s[20:21], s[22:23], exec
.LBB17_31:
	s_or_b64 exec, exec, s[18:19]
	s_and_b64 s[18:19], s[20:21], exec
.LBB17_32:
	s_or_b64 exec, exec, s[12:13]
	s_and_b64 s[12:13], s[18:19], exec
.LBB17_33:
	s_or_b64 exec, exec, s[10:11]
	s_and_b64 s[10:11], s[12:13], exec
.LBB17_34:
	s_or_b64 exec, exec, s[8:9]
	s_and_b64 s[8:9], s[10:11], exec
.LBB17_35:
	s_or_b64 exec, exec, s[6:7]
	s_and_b64 s[6:7], s[8:9], exec
.LBB17_36:
	s_or_b64 exec, exec, s[4:5]
	s_and_b64 s[4:5], s[6:7], exec
.LBB17_37:
	s_or_b64 exec, exec, s[2:3]
	s_cmp_eq_u32 s15, 0
	s_cselect_b64 s[2:3], -1, 0
	s_waitcnt vmcnt(0)
	v_cmp_ne_u16_sdwa s[0:1], v7, v8 src0_sel:BYTE_0 src1_sel:BYTE_0
	s_xor_b64 s[0:1], s[2:3], s[0:1]
	v_cndmask_b32_e64 v1, 0, 1, s[0:1]
	v_cmp_ne_u16_sdwa s[0:1], v10, v9 src0_sel:BYTE_0 src1_sel:BYTE_0
	s_xor_b64 s[0:1], s[2:3], s[0:1]
	v_cndmask_b32_e64 v2, 0, 1, s[0:1]
	v_cndmask_b32_e32 v1, 0, v1, vcc
	v_lshlrev_b16_e32 v2, 8, v2
	v_or_b32_e32 v2, v1, v2
	v_and_b32_e32 v2, 0xffff, v2
	v_cmp_gt_i32_e64 s[0:1], s14, v5
	v_cndmask_b32_e64 v1, v1, v2, s[0:1]
	v_cmp_ne_u16_sdwa s[0:1], v13, v11 src0_sel:BYTE_0 src1_sel:BYTE_0
	s_xor_b64 s[0:1], s[2:3], s[0:1]
	v_or_b32_e32 v2, 0x200, v0
	v_cndmask_b32_e64 v3, 0, 1, s[0:1]
	v_lshl_or_b32 v3, v3, 16, v1
	v_cmp_gt_i32_e64 s[0:1], s14, v2
	v_cndmask_b32_e64 v1, v1, v3, s[0:1]
	v_cmp_ne_u16_sdwa s[0:1], v15, v12 src0_sel:BYTE_0 src1_sel:BYTE_0
	s_xor_b64 s[0:1], s[2:3], s[0:1]
	s_movk_i32 s6, 0xff
	v_cndmask_b32_e64 v4, 0, 1, s[0:1]
	v_and_b32_sdwa v2, v1, s6 dst_sel:DWORD dst_unused:UNUSED_PAD src0_sel:WORD_1 src1_sel:DWORD
	v_lshlrev_b16_e32 v4, 8, v4
	s_mov_b32 s7, 0xffff
	v_or_b32_e32 v3, 0x300, v0
	v_or_b32_sdwa v2, v2, v4 dst_sel:WORD_1 dst_unused:UNUSED_PAD src0_sel:DWORD src1_sel:DWORD
	v_and_or_b32 v2, v1, s7, v2
	v_cmp_gt_i32_e64 s[0:1], s14, v3
	v_cndmask_b32_e64 v4, v1, v2, s[0:1]
	v_cmp_ne_u16_sdwa s[0:1], v17, v16 src0_sel:BYTE_0 src1_sel:BYTE_0
	s_xor_b64 s[0:1], s[2:3], s[0:1]
	v_cndmask_b32_e64 v1, 0, 1, s[0:1]
	v_or_b32_e32 v2, 0x400, v0
	v_and_b32_e32 v1, 0xffff, v1
	v_cmp_gt_i32_e64 s[0:1], s14, v2
	v_cndmask_b32_e64 v1, 0, v1, s[0:1]
	v_cmp_ne_u16_sdwa s[0:1], v21, v18 src0_sel:BYTE_0 src1_sel:BYTE_0
	s_xor_b64 s[0:1], s[2:3], s[0:1]
	v_cndmask_b32_e64 v3, 0, 1, s[0:1]
	v_lshlrev_b16_e32 v3, 8, v3
	v_or_b32_e32 v2, 0x500, v0
	v_or_b32_sdwa v3, v1, v3 dst_sel:DWORD dst_unused:UNUSED_PAD src0_sel:BYTE_0 src1_sel:DWORD
	v_and_b32_e32 v3, 0xffff, v3
	v_cmp_gt_i32_e64 s[0:1], s14, v2
	v_cndmask_b32_e64 v1, v1, v3, s[0:1]
	v_cmp_ne_u16_sdwa s[0:1], v19, v14 src0_sel:BYTE_0 src1_sel:BYTE_0
	s_movk_i32 s8, 0xff00
	s_xor_b64 s[0:1], s[2:3], s[0:1]
	v_and_b32_sdwa v2, v1, s8 dst_sel:DWORD dst_unused:UNUSED_PAD src0_sel:WORD_1 src1_sel:DWORD
	v_cndmask_b32_e64 v3, 0, 1, s[0:1]
	v_or_b32_sdwa v2, v3, v2 dst_sel:WORD_1 dst_unused:UNUSED_PAD src0_sel:DWORD src1_sel:DWORD
	v_or_b32_e32 v3, 0x600, v0
	v_and_or_b32 v2, v1, s7, v2
	v_cmp_gt_i32_e64 s[0:1], s14, v3
	v_cndmask_b32_e64 v1, v1, v2, s[0:1]
	v_cmp_ne_u16_sdwa s[0:1], v22, v20 src0_sel:BYTE_0 src1_sel:BYTE_0
	s_xor_b64 s[0:1], s[2:3], s[0:1]
	v_cndmask_b32_e64 v7, 0, 1, s[0:1]
	v_and_b32_sdwa v2, v1, s6 dst_sel:DWORD dst_unused:UNUSED_PAD src0_sel:WORD_1 src1_sel:DWORD
	v_lshlrev_b16_e32 v7, 8, v7
	v_or_b32_e32 v3, 0x700, v0
	v_or_b32_sdwa v2, v2, v7 dst_sel:WORD_1 dst_unused:UNUSED_PAD src0_sel:DWORD src1_sel:DWORD
	v_and_or_b32 v2, v1, s7, v2
	v_cmp_gt_i32_e64 s[0:1], s14, v3
	v_cndmask_b32_e64 v3, v1, v2, s[0:1]
	v_cmp_ne_u16_sdwa s[0:1], v24, v23 src0_sel:BYTE_0 src1_sel:BYTE_0
	v_or_b32_e32 v1, 0x800, v0
	s_xor_b64 s[0:1], s[2:3], s[0:1]
	v_cndmask_b32_e64 v2, 0, 1, s[0:1]
	v_cmp_gt_i32_e64 s[0:1], s14, v1
	v_cndmask_b32_e64 v1, 0, v2, s[0:1]
	v_cmp_ne_u16_sdwa s[0:1], v26, v25 src0_sel:BYTE_0 src1_sel:BYTE_0
	s_xor_b64 s[0:1], s[2:3], s[0:1]
	v_cndmask_b32_e64 v7, 0, 1, s[0:1]
	v_lshlrev_b16_e32 v7, 8, v7
	v_or_b32_e32 v2, 0x900, v0
	v_or_b32_e32 v7, v1, v7
	v_and_b32_e32 v7, 0xffff, v7
	v_cmp_gt_i32_e64 s[0:1], s14, v2
	v_cndmask_b32_e64 v1, v1, v7, s[0:1]
	v_cmp_ne_u16_sdwa s[0:1], v28, v27 src0_sel:BYTE_0 src1_sel:BYTE_0
	s_xor_b64 s[0:1], s[2:3], s[0:1]
	v_cndmask_b32_e64 v7, 0, 1, s[0:1]
	v_or_b32_e32 v2, 0xa00, v0
	v_lshlrev_b32_e32 v7, 16, v7
	s_movk_i32 s0, 0x1ff
	v_and_or_b32 v7, v1, s0, v7
	v_cmp_gt_i32_e64 s[0:1], s14, v2
	v_cndmask_b32_e64 v1, v1, v7, s[0:1]
	v_cmp_ne_u16_sdwa s[0:1], v30, v29 src0_sel:BYTE_0 src1_sel:BYTE_0
	s_xor_b64 s[0:1], s[2:3], s[0:1]
	v_cndmask_b32_e64 v8, 0, 1, s[0:1]
	v_and_b32_sdwa v2, v1, s6 dst_sel:DWORD dst_unused:UNUSED_PAD src0_sel:WORD_1 src1_sel:DWORD
	v_lshlrev_b16_e32 v8, 8, v8
	v_or_b32_e32 v7, 0xb00, v0
	v_or_b32_sdwa v2, v2, v8 dst_sel:WORD_1 dst_unused:UNUSED_PAD src0_sel:DWORD src1_sel:DWORD
	v_and_or_b32 v2, v1, s7, v2
	v_cmp_gt_i32_e64 s[0:1], s14, v7
	v_cndmask_b32_e64 v2, v1, v2, s[0:1]
	v_cmp_ne_u16_sdwa s[0:1], v32, v31 src0_sel:BYTE_0 src1_sel:BYTE_0
	v_or_b32_e32 v1, 0xc00, v0
	s_xor_b64 s[0:1], s[2:3], s[0:1]
	v_cndmask_b32_e64 v7, 0, 1, s[0:1]
	v_cmp_gt_i32_e64 s[0:1], s14, v1
	v_cndmask_b32_e64 v1, 0, v7, s[0:1]
	v_cmp_ne_u16_sdwa s[0:1], v34, v33 src0_sel:BYTE_0 src1_sel:BYTE_0
	s_xor_b64 s[0:1], s[2:3], s[0:1]
	v_cndmask_b32_e64 v8, 0, 1, s[0:1]
	v_lshlrev_b16_e32 v8, 8, v8
	v_or_b32_e32 v7, 0xd00, v0
	v_or_b32_sdwa v8, v1, v8 dst_sel:DWORD dst_unused:UNUSED_PAD src0_sel:BYTE_0 src1_sel:DWORD
	v_and_b32_e32 v8, 0xffff, v8
	v_cmp_gt_i32_e64 s[0:1], s14, v7
	v_cndmask_b32_e64 v1, v1, v8, s[0:1]
	v_cmp_ne_u16_sdwa s[0:1], v36, v35 src0_sel:BYTE_0 src1_sel:BYTE_0
	s_xor_b64 s[0:1], s[2:3], s[0:1]
	v_and_b32_sdwa v7, v1, s8 dst_sel:DWORD dst_unused:UNUSED_PAD src0_sel:WORD_1 src1_sel:DWORD
	v_cndmask_b32_e64 v8, 0, 1, s[0:1]
	v_or_b32_sdwa v7, v8, v7 dst_sel:WORD_1 dst_unused:UNUSED_PAD src0_sel:DWORD src1_sel:DWORD
	v_or_b32_e32 v8, 0xe00, v0
	v_and_or_b32 v7, v1, s7, v7
	v_cmp_gt_i32_e64 s[0:1], s14, v8
	v_cndmask_b32_e64 v1, v1, v7, s[0:1]
	s_xor_b64 s[0:1], s[2:3], s[4:5]
	v_cndmask_b32_e64 v9, 0, 1, s[0:1]
	v_and_b32_sdwa v7, v1, s6 dst_sel:DWORD dst_unused:UNUSED_PAD src0_sel:WORD_1 src1_sel:DWORD
	v_lshlrev_b16_e32 v9, 8, v9
	v_or_b32_e32 v8, 0xf00, v0
	v_or_b32_sdwa v7, v7, v9 dst_sel:WORD_1 dst_unused:UNUSED_PAD src0_sel:DWORD src1_sel:DWORD
	v_and_or_b32 v7, v1, s7, v7
	v_cmp_gt_i32_e64 s[0:1], s14, v8
	v_cndmask_b32_e64 v1, v1, v7, s[0:1]
	s_and_saveexec_b64 s[0:1], vcc
	s_cbranch_execnz .LBB17_55
; %bb.38:
	s_or_b64 exec, exec, s[0:1]
	v_cmp_gt_i32_e32 vcc, s14, v0
	s_and_saveexec_b64 s[0:1], vcc
	s_cbranch_execnz .LBB17_56
.LBB17_39:
	s_or_b64 exec, exec, s[0:1]
	v_cmp_gt_i32_e32 vcc, s14, v0
	s_and_saveexec_b64 s[0:1], vcc
	s_cbranch_execnz .LBB17_57
.LBB17_40:
	s_or_b64 exec, exec, s[0:1]
	v_cmp_gt_i32_e32 vcc, s14, v0
	s_and_saveexec_b64 s[0:1], vcc
	s_cbranch_execnz .LBB17_58
.LBB17_41:
	s_or_b64 exec, exec, s[0:1]
	v_cmp_gt_i32_e32 vcc, s14, v0
	s_and_saveexec_b64 s[0:1], vcc
	s_cbranch_execnz .LBB17_59
.LBB17_42:
	s_or_b64 exec, exec, s[0:1]
	v_cmp_gt_i32_e32 vcc, s14, v0
	s_and_saveexec_b64 s[0:1], vcc
	s_cbranch_execnz .LBB17_60
.LBB17_43:
	s_or_b64 exec, exec, s[0:1]
	v_cmp_gt_i32_e32 vcc, s14, v0
	s_and_saveexec_b64 s[0:1], vcc
	s_cbranch_execnz .LBB17_61
.LBB17_44:
	s_or_b64 exec, exec, s[0:1]
	v_cmp_gt_i32_e32 vcc, s14, v0
	s_and_saveexec_b64 s[0:1], vcc
	s_cbranch_execnz .LBB17_62
.LBB17_45:
	s_or_b64 exec, exec, s[0:1]
	v_cmp_gt_i32_e32 vcc, s14, v0
	s_and_saveexec_b64 s[0:1], vcc
	s_cbranch_execnz .LBB17_63
.LBB17_46:
	s_or_b64 exec, exec, s[0:1]
	v_cmp_gt_i32_e32 vcc, s14, v0
	s_and_saveexec_b64 s[0:1], vcc
	s_cbranch_execnz .LBB17_64
.LBB17_47:
	s_or_b64 exec, exec, s[0:1]
	v_cmp_gt_i32_e32 vcc, s14, v0
	s_and_saveexec_b64 s[0:1], vcc
	s_cbranch_execnz .LBB17_65
.LBB17_48:
	s_or_b64 exec, exec, s[0:1]
	v_cmp_gt_i32_e32 vcc, s14, v0
	s_and_saveexec_b64 s[0:1], vcc
	s_cbranch_execnz .LBB17_66
.LBB17_49:
	s_or_b64 exec, exec, s[0:1]
	v_cmp_gt_i32_e32 vcc, s14, v0
	s_and_saveexec_b64 s[0:1], vcc
	s_cbranch_execnz .LBB17_67
.LBB17_50:
	s_or_b64 exec, exec, s[0:1]
	v_cmp_gt_i32_e32 vcc, s14, v0
	s_and_saveexec_b64 s[0:1], vcc
	s_cbranch_execnz .LBB17_68
.LBB17_51:
	s_or_b64 exec, exec, s[0:1]
	v_cmp_gt_i32_e32 vcc, s14, v0
	s_and_saveexec_b64 s[0:1], vcc
	s_cbranch_execnz .LBB17_69
.LBB17_52:
	s_or_b64 exec, exec, s[0:1]
	v_cmp_gt_i32_e32 vcc, s14, v0
	s_and_saveexec_b64 s[0:1], vcc
	s_cbranch_execz .LBB17_54
.LBB17_53:
	v_lshrrev_b32_e32 v1, 24, v1
	v_add_u32_e32 v0, s33, v0
	global_store_byte v0, v1, s[16:17]
.LBB17_54:
	s_endpgm
.LBB17_55:
	v_mov_b32_e32 v0, v5
	global_store_byte v6, v4, s[16:17]
	s_or_b64 exec, exec, s[0:1]
	v_cmp_gt_i32_e32 vcc, s14, v0
	s_and_saveexec_b64 s[0:1], vcc
	s_cbranch_execz .LBB17_39
.LBB17_56:
	v_lshrrev_b32_e32 v5, 8, v4
	v_add_u32_e32 v6, s33, v0
	v_add_u32_e32 v0, 0x100, v0
	global_store_byte v6, v5, s[16:17]
	s_or_b64 exec, exec, s[0:1]
	v_cmp_gt_i32_e32 vcc, s14, v0
	s_and_saveexec_b64 s[0:1], vcc
	s_cbranch_execz .LBB17_40
.LBB17_57:
	v_add_u32_e32 v5, s33, v0
	v_add_u32_e32 v0, 0x100, v0
	global_store_byte_d16_hi v5, v4, s[16:17]
	s_or_b64 exec, exec, s[0:1]
	v_cmp_gt_i32_e32 vcc, s14, v0
	s_and_saveexec_b64 s[0:1], vcc
	s_cbranch_execz .LBB17_41
.LBB17_58:
	v_lshrrev_b32_e32 v4, 24, v4
	v_add_u32_e32 v5, s33, v0
	v_add_u32_e32 v0, 0x100, v0
	global_store_byte v5, v4, s[16:17]
	s_or_b64 exec, exec, s[0:1]
	v_cmp_gt_i32_e32 vcc, s14, v0
	s_and_saveexec_b64 s[0:1], vcc
	s_cbranch_execz .LBB17_42
.LBB17_59:
	v_add_u32_e32 v4, s33, v0
	v_add_u32_e32 v0, 0x100, v0
	global_store_byte v4, v3, s[16:17]
	s_or_b64 exec, exec, s[0:1]
	v_cmp_gt_i32_e32 vcc, s14, v0
	s_and_saveexec_b64 s[0:1], vcc
	s_cbranch_execz .LBB17_43
.LBB17_60:
	v_lshrrev_b32_e32 v4, 8, v3
	v_add_u32_e32 v5, s33, v0
	v_add_u32_e32 v0, 0x100, v0
	global_store_byte v5, v4, s[16:17]
	s_or_b64 exec, exec, s[0:1]
	v_cmp_gt_i32_e32 vcc, s14, v0
	s_and_saveexec_b64 s[0:1], vcc
	s_cbranch_execz .LBB17_44
.LBB17_61:
	v_add_u32_e32 v4, s33, v0
	v_add_u32_e32 v0, 0x100, v0
	global_store_byte_d16_hi v4, v3, s[16:17]
	s_or_b64 exec, exec, s[0:1]
	v_cmp_gt_i32_e32 vcc, s14, v0
	s_and_saveexec_b64 s[0:1], vcc
	s_cbranch_execz .LBB17_45
.LBB17_62:
	v_lshrrev_b32_e32 v3, 24, v3
	v_add_u32_e32 v4, s33, v0
	v_add_u32_e32 v0, 0x100, v0
	global_store_byte v4, v3, s[16:17]
	s_or_b64 exec, exec, s[0:1]
	v_cmp_gt_i32_e32 vcc, s14, v0
	s_and_saveexec_b64 s[0:1], vcc
	s_cbranch_execz .LBB17_46
.LBB17_63:
	v_add_u32_e32 v3, s33, v0
	v_add_u32_e32 v0, 0x100, v0
	global_store_byte v3, v2, s[16:17]
	s_or_b64 exec, exec, s[0:1]
	v_cmp_gt_i32_e32 vcc, s14, v0
	s_and_saveexec_b64 s[0:1], vcc
	s_cbranch_execz .LBB17_47
.LBB17_64:
	v_lshrrev_b32_e32 v3, 8, v2
	v_add_u32_e32 v4, s33, v0
	v_add_u32_e32 v0, 0x100, v0
	global_store_byte v4, v3, s[16:17]
	s_or_b64 exec, exec, s[0:1]
	v_cmp_gt_i32_e32 vcc, s14, v0
	s_and_saveexec_b64 s[0:1], vcc
	s_cbranch_execz .LBB17_48
.LBB17_65:
	v_add_u32_e32 v3, s33, v0
	v_add_u32_e32 v0, 0x100, v0
	global_store_byte_d16_hi v3, v2, s[16:17]
	s_or_b64 exec, exec, s[0:1]
	v_cmp_gt_i32_e32 vcc, s14, v0
	s_and_saveexec_b64 s[0:1], vcc
	s_cbranch_execz .LBB17_49
.LBB17_66:
	v_lshrrev_b32_e32 v2, 24, v2
	v_add_u32_e32 v3, s33, v0
	v_add_u32_e32 v0, 0x100, v0
	global_store_byte v3, v2, s[16:17]
	s_or_b64 exec, exec, s[0:1]
	v_cmp_gt_i32_e32 vcc, s14, v0
	s_and_saveexec_b64 s[0:1], vcc
	s_cbranch_execz .LBB17_50
.LBB17_67:
	v_add_u32_e32 v2, s33, v0
	v_add_u32_e32 v0, 0x100, v0
	global_store_byte v2, v1, s[16:17]
	s_or_b64 exec, exec, s[0:1]
	v_cmp_gt_i32_e32 vcc, s14, v0
	s_and_saveexec_b64 s[0:1], vcc
	s_cbranch_execz .LBB17_51
.LBB17_68:
	v_lshrrev_b32_e32 v2, 8, v1
	v_add_u32_e32 v3, s33, v0
	v_add_u32_e32 v0, 0x100, v0
	global_store_byte v3, v2, s[16:17]
	s_or_b64 exec, exec, s[0:1]
	v_cmp_gt_i32_e32 vcc, s14, v0
	s_and_saveexec_b64 s[0:1], vcc
	s_cbranch_execz .LBB17_52
.LBB17_69:
	v_add_u32_e32 v2, s33, v0
	v_add_u32_e32 v0, 0x100, v0
	global_store_byte_d16_hi v2, v1, s[16:17]
	s_or_b64 exec, exec, s[0:1]
	v_cmp_gt_i32_e32 vcc, s14, v0
	s_and_saveexec_b64 s[0:1], vcc
	s_cbranch_execnz .LBB17_53
	s_branch .LBB17_54
	.section	.rodata,"a",@progbits
	.p2align	6, 0x0
	.amdhsa_kernel _ZN2at6native29vectorized_elementwise_kernelILi8ENS0_13BinaryFunctorIaabNS0_12_GLOBAL__N_116CompareEqFunctorIaEEEESt5arrayIPcLm3EEEEviT0_T1_
		.amdhsa_group_segment_fixed_size 0
		.amdhsa_private_segment_fixed_size 0
		.amdhsa_kernarg_size 32
		.amdhsa_user_sgpr_count 6
		.amdhsa_user_sgpr_private_segment_buffer 1
		.amdhsa_user_sgpr_dispatch_ptr 0
		.amdhsa_user_sgpr_queue_ptr 0
		.amdhsa_user_sgpr_kernarg_segment_ptr 1
		.amdhsa_user_sgpr_dispatch_id 0
		.amdhsa_user_sgpr_flat_scratch_init 0
		.amdhsa_user_sgpr_private_segment_size 0
		.amdhsa_uses_dynamic_stack 0
		.amdhsa_system_sgpr_private_segment_wavefront_offset 0
		.amdhsa_system_sgpr_workgroup_id_x 1
		.amdhsa_system_sgpr_workgroup_id_y 0
		.amdhsa_system_sgpr_workgroup_id_z 0
		.amdhsa_system_sgpr_workgroup_info 0
		.amdhsa_system_vgpr_workitem_id 0
		.amdhsa_next_free_vgpr 39
		.amdhsa_next_free_sgpr 42
		.amdhsa_reserve_vcc 1
		.amdhsa_reserve_flat_scratch 0
		.amdhsa_float_round_mode_32 0
		.amdhsa_float_round_mode_16_64 0
		.amdhsa_float_denorm_mode_32 3
		.amdhsa_float_denorm_mode_16_64 3
		.amdhsa_dx10_clamp 1
		.amdhsa_ieee_mode 1
		.amdhsa_fp16_overflow 0
		.amdhsa_exception_fp_ieee_invalid_op 0
		.amdhsa_exception_fp_denorm_src 0
		.amdhsa_exception_fp_ieee_div_zero 0
		.amdhsa_exception_fp_ieee_overflow 0
		.amdhsa_exception_fp_ieee_underflow 0
		.amdhsa_exception_fp_ieee_inexact 0
		.amdhsa_exception_int_div_zero 0
	.end_amdhsa_kernel
	.section	.text._ZN2at6native29vectorized_elementwise_kernelILi8ENS0_13BinaryFunctorIaabNS0_12_GLOBAL__N_116CompareEqFunctorIaEEEESt5arrayIPcLm3EEEEviT0_T1_,"axG",@progbits,_ZN2at6native29vectorized_elementwise_kernelILi8ENS0_13BinaryFunctorIaabNS0_12_GLOBAL__N_116CompareEqFunctorIaEEEESt5arrayIPcLm3EEEEviT0_T1_,comdat
.Lfunc_end17:
	.size	_ZN2at6native29vectorized_elementwise_kernelILi8ENS0_13BinaryFunctorIaabNS0_12_GLOBAL__N_116CompareEqFunctorIaEEEESt5arrayIPcLm3EEEEviT0_T1_, .Lfunc_end17-_ZN2at6native29vectorized_elementwise_kernelILi8ENS0_13BinaryFunctorIaabNS0_12_GLOBAL__N_116CompareEqFunctorIaEEEESt5arrayIPcLm3EEEEviT0_T1_
                                        ; -- End function
	.set _ZN2at6native29vectorized_elementwise_kernelILi8ENS0_13BinaryFunctorIaabNS0_12_GLOBAL__N_116CompareEqFunctorIaEEEESt5arrayIPcLm3EEEEviT0_T1_.num_vgpr, 39
	.set _ZN2at6native29vectorized_elementwise_kernelILi8ENS0_13BinaryFunctorIaabNS0_12_GLOBAL__N_116CompareEqFunctorIaEEEESt5arrayIPcLm3EEEEviT0_T1_.num_agpr, 0
	.set _ZN2at6native29vectorized_elementwise_kernelILi8ENS0_13BinaryFunctorIaabNS0_12_GLOBAL__N_116CompareEqFunctorIaEEEESt5arrayIPcLm3EEEEviT0_T1_.numbered_sgpr, 42
	.set _ZN2at6native29vectorized_elementwise_kernelILi8ENS0_13BinaryFunctorIaabNS0_12_GLOBAL__N_116CompareEqFunctorIaEEEESt5arrayIPcLm3EEEEviT0_T1_.num_named_barrier, 0
	.set _ZN2at6native29vectorized_elementwise_kernelILi8ENS0_13BinaryFunctorIaabNS0_12_GLOBAL__N_116CompareEqFunctorIaEEEESt5arrayIPcLm3EEEEviT0_T1_.private_seg_size, 0
	.set _ZN2at6native29vectorized_elementwise_kernelILi8ENS0_13BinaryFunctorIaabNS0_12_GLOBAL__N_116CompareEqFunctorIaEEEESt5arrayIPcLm3EEEEviT0_T1_.uses_vcc, 1
	.set _ZN2at6native29vectorized_elementwise_kernelILi8ENS0_13BinaryFunctorIaabNS0_12_GLOBAL__N_116CompareEqFunctorIaEEEESt5arrayIPcLm3EEEEviT0_T1_.uses_flat_scratch, 0
	.set _ZN2at6native29vectorized_elementwise_kernelILi8ENS0_13BinaryFunctorIaabNS0_12_GLOBAL__N_116CompareEqFunctorIaEEEESt5arrayIPcLm3EEEEviT0_T1_.has_dyn_sized_stack, 0
	.set _ZN2at6native29vectorized_elementwise_kernelILi8ENS0_13BinaryFunctorIaabNS0_12_GLOBAL__N_116CompareEqFunctorIaEEEESt5arrayIPcLm3EEEEviT0_T1_.has_recursion, 0
	.set _ZN2at6native29vectorized_elementwise_kernelILi8ENS0_13BinaryFunctorIaabNS0_12_GLOBAL__N_116CompareEqFunctorIaEEEESt5arrayIPcLm3EEEEviT0_T1_.has_indirect_call, 0
	.section	.AMDGPU.csdata,"",@progbits
; Kernel info:
; codeLenInByte = 4376
; TotalNumSgprs: 46
; NumVgprs: 39
; ScratchSize: 0
; MemoryBound: 0
; FloatMode: 240
; IeeeMode: 1
; LDSByteSize: 0 bytes/workgroup (compile time only)
; SGPRBlocks: 5
; VGPRBlocks: 9
; NumSGPRsForWavesPerEU: 46
; NumVGPRsForWavesPerEU: 39
; Occupancy: 6
; WaveLimiterHint : 1
; COMPUTE_PGM_RSRC2:SCRATCH_EN: 0
; COMPUTE_PGM_RSRC2:USER_SGPR: 6
; COMPUTE_PGM_RSRC2:TRAP_HANDLER: 0
; COMPUTE_PGM_RSRC2:TGID_X_EN: 1
; COMPUTE_PGM_RSRC2:TGID_Y_EN: 0
; COMPUTE_PGM_RSRC2:TGID_Z_EN: 0
; COMPUTE_PGM_RSRC2:TIDIG_COMP_CNT: 0
	.section	.text._ZN2at6native29vectorized_elementwise_kernelILi4ENS0_13BinaryFunctorIaabNS0_12_GLOBAL__N_116CompareEqFunctorIaEEEESt5arrayIPcLm3EEEEviT0_T1_,"axG",@progbits,_ZN2at6native29vectorized_elementwise_kernelILi4ENS0_13BinaryFunctorIaabNS0_12_GLOBAL__N_116CompareEqFunctorIaEEEESt5arrayIPcLm3EEEEviT0_T1_,comdat
	.globl	_ZN2at6native29vectorized_elementwise_kernelILi4ENS0_13BinaryFunctorIaabNS0_12_GLOBAL__N_116CompareEqFunctorIaEEEESt5arrayIPcLm3EEEEviT0_T1_ ; -- Begin function _ZN2at6native29vectorized_elementwise_kernelILi4ENS0_13BinaryFunctorIaabNS0_12_GLOBAL__N_116CompareEqFunctorIaEEEESt5arrayIPcLm3EEEEviT0_T1_
	.p2align	8
	.type	_ZN2at6native29vectorized_elementwise_kernelILi4ENS0_13BinaryFunctorIaabNS0_12_GLOBAL__N_116CompareEqFunctorIaEEEESt5arrayIPcLm3EEEEviT0_T1_,@function
_ZN2at6native29vectorized_elementwise_kernelILi4ENS0_13BinaryFunctorIaabNS0_12_GLOBAL__N_116CompareEqFunctorIaEEEESt5arrayIPcLm3EEEEviT0_T1_: ; @_ZN2at6native29vectorized_elementwise_kernelILi4ENS0_13BinaryFunctorIaabNS0_12_GLOBAL__N_116CompareEqFunctorIaEEEESt5arrayIPcLm3EEEEviT0_T1_
; %bb.0:
	s_load_dwordx2 s[14:15], s[4:5], 0x0
	s_load_dwordx4 s[16:19], s[4:5], 0x8
	s_load_dwordx2 s[20:21], s[4:5], 0x18
	s_lshl_b32 s33, s6, 12
	s_mov_b64 s[0:1], -1
	s_waitcnt lgkmcnt(0)
	s_sub_i32 s14, s14, s33
	s_cmpk_gt_i32 s14, 0xfff
	s_cbranch_scc0 .LBB18_2
; %bb.1:
	s_ashr_i32 s34, s33, 31
	s_add_u32 s0, s18, s33
	s_addc_u32 s1, s19, s34
	v_lshlrev_b32_e32 v1, 2, v0
	global_load_dword v2, v1, s[0:1]
	global_load_dword v3, v1, s[0:1] offset:1024
	global_load_dword v4, v1, s[0:1] offset:2048
	;; [unrolled: 1-line block ×3, first 2 shown]
	s_add_u32 s0, s20, s33
	s_addc_u32 s1, s21, s34
	global_load_dword v6, v1, s[0:1]
	global_load_dword v7, v1, s[0:1] offset:1024
	global_load_dword v8, v1, s[0:1] offset:2048
	;; [unrolled: 1-line block ×3, first 2 shown]
	s_movk_i32 s0, 0xff
	s_cmp_eq_u32 s15, 0
	s_cselect_b64 s[22:23], -1, 0
	s_mov_b32 s12, 0xffffff
	s_waitcnt vmcnt(7)
	v_and_b32_sdwa v11, v2, s0 dst_sel:DWORD dst_unused:UNUSED_PAD src0_sel:WORD_1 src1_sel:DWORD
	s_waitcnt vmcnt(6)
	v_and_b32_sdwa v13, v3, s0 dst_sel:DWORD dst_unused:UNUSED_PAD src0_sel:WORD_1 src1_sel:DWORD
	s_waitcnt vmcnt(5)
	v_and_b32_sdwa v15, v4, s0 dst_sel:DWORD dst_unused:UNUSED_PAD src0_sel:WORD_1 src1_sel:DWORD
	s_waitcnt vmcnt(4)
	v_and_b32_sdwa v17, v5, s0 dst_sel:DWORD dst_unused:UNUSED_PAD src0_sel:WORD_1 src1_sel:DWORD
	s_waitcnt vmcnt(3)
	v_and_b32_sdwa v19, v6, s0 dst_sel:DWORD dst_unused:UNUSED_PAD src0_sel:WORD_1 src1_sel:DWORD
	s_waitcnt vmcnt(2)
	v_and_b32_sdwa v21, v7, s0 dst_sel:DWORD dst_unused:UNUSED_PAD src0_sel:WORD_1 src1_sel:DWORD
	s_waitcnt vmcnt(1)
	v_and_b32_sdwa v23, v8, s0 dst_sel:DWORD dst_unused:UNUSED_PAD src0_sel:WORD_1 src1_sel:DWORD
	s_waitcnt vmcnt(0)
	v_and_b32_sdwa v25, v9, s0 dst_sel:DWORD dst_unused:UNUSED_PAD src0_sel:WORD_1 src1_sel:DWORD
	v_cmp_ne_u16_sdwa s[0:1], v2, v6 src0_sel:BYTE_0 src1_sel:BYTE_0
	v_lshrrev_b32_e32 v10, 8, v2
	v_xor_b32_e32 v2, v6, v2
	s_xor_b64 s[0:1], s[22:23], s[0:1]
	v_lshrrev_b32_e32 v12, 8, v3
	v_lshrrev_b32_e32 v18, 8, v6
	;; [unrolled: 1-line block ×3, first 2 shown]
	v_cmp_ne_u16_sdwa s[2:3], v3, v7 src0_sel:BYTE_0 src1_sel:BYTE_0
	v_cndmask_b32_e64 v6, 0, 1, s[0:1]
	v_cmp_lt_u32_e64 s[0:1], s12, v2
	s_xor_b64 s[2:3], s[22:23], s[2:3]
	v_cmp_ne_u16_sdwa s[26:27], v12, v20 src0_sel:BYTE_0 src1_sel:BYTE_0
	s_xor_b64 s[0:1], s[22:23], s[0:1]
	v_lshrrev_b32_e32 v14, 8, v4
	v_lshrrev_b32_e32 v22, 8, v8
	v_xor_b32_e32 v3, v7, v3
	v_cmp_ne_u16_sdwa s[6:7], v4, v8 src0_sel:BYTE_0 src1_sel:BYTE_0
	v_xor_b32_e32 v4, v8, v4
	v_cndmask_b32_e64 v2, 0, 1, s[2:3]
	v_cmp_ne_u16_e64 s[2:3], v13, v21
	v_cndmask_b32_e64 v8, 0, 1, s[0:1]
	s_xor_b64 s[0:1], s[22:23], s[26:27]
	v_lshrrev_b32_e32 v16, 8, v5
	v_lshrrev_b32_e32 v24, 8, v9
	v_cmp_ne_u16_sdwa s[10:11], v5, v9 src0_sel:BYTE_0 src1_sel:BYTE_0
	v_xor_b32_e32 v5, v9, v5
	v_cmp_lt_u32_e64 s[4:5], s12, v3
	v_cndmask_b32_e64 v9, 0, 1, s[0:1]
	s_xor_b64 s[0:1], s[22:23], s[2:3]
	v_cmp_ne_u16_sdwa s[24:25], v10, v18 src0_sel:BYTE_0 src1_sel:BYTE_0
	s_xor_b64 s[6:7], s[22:23], s[6:7]
	v_cmp_ne_u16_sdwa s[28:29], v14, v22 src0_sel:BYTE_0 src1_sel:BYTE_0
	v_cndmask_b32_e64 v10, 0, 1, s[0:1]
	s_xor_b64 s[0:1], s[22:23], s[4:5]
	v_cmp_ne_u16_e32 vcc, v11, v19
	v_cndmask_b32_e64 v3, 0, 1, s[6:7]
	v_cmp_ne_u16_e64 s[6:7], v15, v23
	v_cndmask_b32_e64 v11, 0, 1, s[0:1]
	s_xor_b64 s[0:1], s[22:23], s[28:29]
	v_cmp_lt_u32_e64 s[8:9], s12, v4
	v_cndmask_b32_e64 v12, 0, 1, s[0:1]
	s_xor_b64 s[0:1], s[22:23], s[6:7]
	s_xor_b64 s[10:11], s[22:23], s[10:11]
	v_cmp_ne_u16_sdwa s[30:31], v16, v24 src0_sel:BYTE_0 src1_sel:BYTE_0
	v_cndmask_b32_e64 v13, 0, 1, s[0:1]
	s_xor_b64 s[0:1], s[22:23], s[8:9]
	v_cndmask_b32_e64 v4, 0, 1, s[10:11]
	v_cmp_ne_u16_e64 s[10:11], v17, v25
	s_xor_b64 s[24:25], s[22:23], s[24:25]
	v_cndmask_b32_e64 v14, 0, 1, s[0:1]
	s_xor_b64 s[0:1], s[22:23], s[30:31]
	v_cmp_lt_u32_e64 s[12:13], s12, v5
	v_cndmask_b32_e64 v5, 0, 1, s[24:25]
	v_cndmask_b32_e64 v15, 0, 1, s[0:1]
	s_xor_b64 s[0:1], s[22:23], s[10:11]
	s_xor_b64 s[24:25], s[22:23], vcc
	v_cndmask_b32_e64 v16, 0, 1, s[0:1]
	s_xor_b64 s[0:1], s[22:23], s[12:13]
	v_lshlrev_b16_e32 v5, 8, v5
	v_cndmask_b32_e64 v7, 0, 1, s[24:25]
	v_cndmask_b32_e64 v17, 0, 1, s[0:1]
	v_lshlrev_b16_e32 v12, 8, v12
	v_lshlrev_b16_e32 v9, 8, v9
	v_or_b32_e32 v5, v6, v5
	v_lshlrev_b16_e32 v6, 8, v8
	v_lshlrev_b16_e32 v15, 8, v15
	;; [unrolled: 1-line block ×3, first 2 shown]
	v_or_b32_e32 v3, v3, v12
	v_lshlrev_b16_e32 v12, 8, v14
	v_or_b32_e32 v2, v2, v9
	v_lshlrev_b16_e32 v9, 8, v11
	v_or_b32_sdwa v6, v7, v6 dst_sel:WORD_1 dst_unused:UNUSED_PAD src0_sel:DWORD src1_sel:DWORD
	s_add_u32 s0, s16, s33
	v_or_b32_e32 v4, v4, v15
	v_or_b32_sdwa v15, v16, v17 dst_sel:WORD_1 dst_unused:UNUSED_PAD src0_sel:DWORD src1_sel:DWORD
	v_or_b32_sdwa v12, v13, v12 dst_sel:WORD_1 dst_unused:UNUSED_PAD src0_sel:DWORD src1_sel:DWORD
	;; [unrolled: 1-line block ×3, first 2 shown]
	v_or_b32_sdwa v5, v5, v6 dst_sel:DWORD dst_unused:UNUSED_PAD src0_sel:WORD_0 src1_sel:DWORD
	s_addc_u32 s1, s17, s34
	v_or_b32_sdwa v4, v4, v15 dst_sel:DWORD dst_unused:UNUSED_PAD src0_sel:WORD_0 src1_sel:DWORD
	v_or_b32_sdwa v3, v3, v12 dst_sel:DWORD dst_unused:UNUSED_PAD src0_sel:WORD_0 src1_sel:DWORD
	;; [unrolled: 1-line block ×3, first 2 shown]
	global_store_dword v1, v5, s[0:1]
	global_store_dword v1, v2, s[0:1] offset:1024
	global_store_dword v1, v3, s[0:1] offset:2048
	;; [unrolled: 1-line block ×3, first 2 shown]
	s_mov_b64 s[0:1], 0
.LBB18_2:
	s_andn2_b64 vcc, exec, s[0:1]
	s_cbranch_vccnz .LBB18_54
; %bb.3:
	v_cmp_gt_i32_e32 vcc, s14, v0
	v_cmp_le_i32_e64 s[0:1], s14, v0
                                        ; implicit-def: $vgpr5
	s_and_saveexec_b64 s[2:3], s[0:1]
	s_xor_b64 s[0:1], exec, s[2:3]
; %bb.4:
	v_or_b32_e32 v5, 0x100, v0
; %bb.5:
	s_or_saveexec_b64 s[2:3], s[0:1]
	v_mov_b32_e32 v36, 0
	s_mov_b64 s[4:5], 0
	v_or_b32_e32 v6, s33, v0
	v_mov_b32_e32 v35, 0
	v_mov_b32_e32 v34, 0
	;; [unrolled: 1-line block ×29, first 2 shown]
	s_xor_b64 exec, exec, s[2:3]
	s_cbranch_execz .LBB18_37
; %bb.6:
	global_load_ubyte v7, v6, s[18:19]
	global_load_ubyte v8, v6, s[20:21]
	v_or_b32_e32 v5, 0x100, v0
	v_cmp_gt_u32_e64 s[0:1], s14, v5
	s_mov_b64 s[6:7], 0
	v_mov_b32_e32 v9, 0
	v_mov_b32_e32 v10, 0
	;; [unrolled: 1-line block ×28, first 2 shown]
	s_and_saveexec_b64 s[4:5], s[0:1]
	s_cbranch_execz .LBB18_36
; %bb.7:
	v_add_u32_e32 v3, s33, v0
	global_load_ubyte v10, v3, s[18:19] offset:256
	global_load_ubyte v9, v3, s[20:21] offset:256
	v_or_b32_e32 v1, 0x200, v0
	v_mov_b32_e32 v11, 0
	v_cmp_gt_u32_e64 s[0:1], s14, v1
	s_mov_b64 s[8:9], 0
	v_mov_b32_e32 v13, 0
	v_mov_b32_e32 v12, 0
	;; [unrolled: 1-line block ×25, first 2 shown]
	s_and_saveexec_b64 s[6:7], s[0:1]
	s_cbranch_execz .LBB18_35
; %bb.8:
	v_mov_b32_e32 v2, s19
	v_add_co_u32_e64 v1, s[0:1], s18, v3
	v_addc_co_u32_e64 v2, s[0:1], 0, v2, s[0:1]
	v_mov_b32_e32 v4, s21
	v_add_co_u32_e64 v3, s[0:1], s20, v3
	v_addc_co_u32_e64 v4, s[0:1], 0, v4, s[0:1]
	global_load_ubyte v13, v[1:2], off offset:512
	global_load_ubyte v11, v[3:4], off offset:512
	v_or_b32_e32 v12, 0x300, v0
	v_cmp_gt_u32_e64 s[0:1], s14, v12
	s_mov_b64 s[10:11], 0
	v_mov_b32_e32 v12, 0
	v_mov_b32_e32 v15, 0
	;; [unrolled: 1-line block ×24, first 2 shown]
	s_and_saveexec_b64 s[8:9], s[0:1]
	s_cbranch_execz .LBB18_34
; %bb.9:
	global_load_ubyte v15, v[1:2], off offset:768
	global_load_ubyte v12, v[3:4], off offset:768
	v_or_b32_e32 v14, 0x400, v0
	v_cmp_gt_u32_e64 s[0:1], s14, v14
	s_mov_b64 s[12:13], 0
	v_mov_b32_e32 v16, 0
	v_mov_b32_e32 v17, 0
	v_mov_b32_e32 v18, 0
	v_mov_b32_e32 v21, 0
	v_mov_b32_e32 v14, 0
	v_mov_b32_e32 v19, 0
	v_mov_b32_e32 v20, 0
	v_mov_b32_e32 v22, 0
	v_mov_b32_e32 v23, 0
	v_mov_b32_e32 v24, 0
	v_mov_b32_e32 v25, 0
	v_mov_b32_e32 v26, 0
	v_mov_b32_e32 v27, 0
	v_mov_b32_e32 v28, 0
	v_mov_b32_e32 v29, 0
	v_mov_b32_e32 v30, 0
	v_mov_b32_e32 v31, 0
	v_mov_b32_e32 v32, 0
	v_mov_b32_e32 v33, 0
	v_mov_b32_e32 v34, 0
	v_mov_b32_e32 v35, 0
	v_mov_b32_e32 v36, 0
	s_and_saveexec_b64 s[10:11], s[0:1]
	s_cbranch_execz .LBB18_33
; %bb.10:
	global_load_ubyte v17, v[1:2], off offset:1024
	global_load_ubyte v16, v[3:4], off offset:1024
	v_or_b32_e32 v14, 0x500, v0
	v_cmp_gt_u32_e64 s[0:1], s14, v14
	s_mov_b64 s[18:19], 0
	v_mov_b32_e32 v18, 0
	v_mov_b32_e32 v21, 0
	;; [unrolled: 1-line block ×20, first 2 shown]
	s_and_saveexec_b64 s[12:13], s[0:1]
	s_cbranch_execz .LBB18_32
; %bb.11:
	global_load_ubyte v21, v[1:2], off offset:1280
	global_load_ubyte v18, v[3:4], off offset:1280
	v_or_b32_e32 v14, 0x600, v0
	v_cmp_gt_u32_e64 s[0:1], s14, v14
	s_mov_b64 s[20:21], 0
	v_mov_b32_e32 v14, 0
	v_mov_b32_e32 v19, 0
	;; [unrolled: 1-line block ×18, first 2 shown]
	s_and_saveexec_b64 s[18:19], s[0:1]
	s_cbranch_execz .LBB18_31
; %bb.12:
	global_load_ubyte v19, v[1:2], off offset:1536
	global_load_ubyte v14, v[3:4], off offset:1536
	v_or_b32_e32 v20, 0x700, v0
	v_cmp_gt_u32_e64 s[0:1], s14, v20
	s_mov_b64 s[22:23], 0
	v_mov_b32_e32 v20, 0
	v_mov_b32_e32 v22, 0
	;; [unrolled: 1-line block ×16, first 2 shown]
	s_and_saveexec_b64 s[20:21], s[0:1]
	s_cbranch_execz .LBB18_30
; %bb.13:
	global_load_ubyte v22, v[1:2], off offset:1792
	global_load_ubyte v20, v[3:4], off offset:1792
	v_or_b32_e32 v23, 0x800, v0
	v_cmp_gt_u32_e64 s[0:1], s14, v23
	s_mov_b64 s[24:25], 0
	v_mov_b32_e32 v23, 0
	v_mov_b32_e32 v24, 0
	;; [unrolled: 1-line block ×14, first 2 shown]
	s_and_saveexec_b64 s[22:23], s[0:1]
	s_cbranch_execz .LBB18_29
; %bb.14:
	global_load_ubyte v24, v[1:2], off offset:2048
	global_load_ubyte v23, v[3:4], off offset:2048
	v_or_b32_e32 v25, 0x900, v0
	v_cmp_gt_u32_e64 s[0:1], s14, v25
	s_mov_b64 s[26:27], 0
	v_mov_b32_e32 v25, 0
	v_mov_b32_e32 v26, 0
	;; [unrolled: 1-line block ×12, first 2 shown]
	s_and_saveexec_b64 s[24:25], s[0:1]
	s_cbranch_execz .LBB18_28
; %bb.15:
	global_load_ubyte v26, v[1:2], off offset:2304
	global_load_ubyte v25, v[3:4], off offset:2304
	v_or_b32_e32 v27, 0xa00, v0
	v_cmp_gt_u32_e64 s[0:1], s14, v27
	s_mov_b64 s[28:29], 0
	v_mov_b32_e32 v27, 0
	v_mov_b32_e32 v28, 0
	;; [unrolled: 1-line block ×10, first 2 shown]
	s_and_saveexec_b64 s[26:27], s[0:1]
	s_cbranch_execz .LBB18_27
; %bb.16:
	global_load_ubyte v28, v[1:2], off offset:2560
	global_load_ubyte v27, v[3:4], off offset:2560
	v_or_b32_e32 v29, 0xb00, v0
	v_cmp_gt_u32_e64 s[0:1], s14, v29
	s_mov_b64 s[30:31], 0
	v_mov_b32_e32 v29, 0
	v_mov_b32_e32 v30, 0
	;; [unrolled: 1-line block ×8, first 2 shown]
	s_and_saveexec_b64 s[28:29], s[0:1]
	s_cbranch_execz .LBB18_26
; %bb.17:
	global_load_ubyte v30, v[1:2], off offset:2816
	global_load_ubyte v29, v[3:4], off offset:2816
	v_or_b32_e32 v31, 0xc00, v0
	v_cmp_gt_u32_e64 s[0:1], s14, v31
	s_mov_b64 s[34:35], 0
	v_mov_b32_e32 v31, 0
	v_mov_b32_e32 v32, 0
	;; [unrolled: 1-line block ×6, first 2 shown]
	s_and_saveexec_b64 s[30:31], s[0:1]
	s_cbranch_execz .LBB18_25
; %bb.18:
	global_load_ubyte v32, v[1:2], off offset:3072
	global_load_ubyte v31, v[3:4], off offset:3072
	v_or_b32_e32 v33, 0xd00, v0
	v_cmp_gt_u32_e64 s[0:1], s14, v33
	s_mov_b64 s[36:37], 0
	v_mov_b32_e32 v33, 0
	v_mov_b32_e32 v34, 0
	;; [unrolled: 1-line block ×4, first 2 shown]
	s_and_saveexec_b64 s[34:35], s[0:1]
	s_cbranch_execz .LBB18_24
; %bb.19:
	global_load_ubyte v34, v[1:2], off offset:3328
	global_load_ubyte v33, v[3:4], off offset:3328
	v_or_b32_e32 v35, 0xe00, v0
	v_cmp_gt_u32_e64 s[0:1], s14, v35
	s_mov_b64 s[38:39], 0
	v_mov_b32_e32 v35, 0
	v_mov_b32_e32 v36, 0
	s_and_saveexec_b64 s[36:37], s[0:1]
	s_cbranch_execz .LBB18_23
; %bb.20:
	global_load_ubyte v36, v[1:2], off offset:3584
	global_load_ubyte v35, v[3:4], off offset:3584
	v_or_b32_e32 v37, 0xf00, v0
	v_cmp_gt_u32_e64 s[0:1], s14, v37
	s_mov_b64 s[40:41], 0
	s_and_saveexec_b64 s[38:39], s[0:1]
	s_cbranch_execz .LBB18_22
; %bb.21:
	global_load_ubyte v37, v[1:2], off offset:3840
	global_load_ubyte v38, v[3:4], off offset:3840
	s_waitcnt vmcnt(0)
	v_cmp_ne_u16_e64 s[0:1], v37, v38
	s_and_b64 s[40:41], s[0:1], exec
.LBB18_22:
	s_or_b64 exec, exec, s[38:39]
	s_and_b64 s[38:39], s[40:41], exec
.LBB18_23:
	s_or_b64 exec, exec, s[36:37]
	s_and_b64 s[36:37], s[38:39], exec
.LBB18_24:
	s_or_b64 exec, exec, s[34:35]
	s_and_b64 s[34:35], s[36:37], exec
.LBB18_25:
	s_or_b64 exec, exec, s[30:31]
	s_and_b64 s[30:31], s[34:35], exec
.LBB18_26:
	s_or_b64 exec, exec, s[28:29]
	s_and_b64 s[28:29], s[30:31], exec
.LBB18_27:
	s_or_b64 exec, exec, s[26:27]
	s_and_b64 s[26:27], s[28:29], exec
.LBB18_28:
	s_or_b64 exec, exec, s[24:25]
	s_and_b64 s[24:25], s[26:27], exec
.LBB18_29:
	s_or_b64 exec, exec, s[22:23]
	s_and_b64 s[22:23], s[24:25], exec
.LBB18_30:
	s_or_b64 exec, exec, s[20:21]
	s_and_b64 s[20:21], s[22:23], exec
.LBB18_31:
	s_or_b64 exec, exec, s[18:19]
	s_and_b64 s[18:19], s[20:21], exec
.LBB18_32:
	s_or_b64 exec, exec, s[12:13]
	s_and_b64 s[12:13], s[18:19], exec
.LBB18_33:
	s_or_b64 exec, exec, s[10:11]
	s_and_b64 s[10:11], s[12:13], exec
.LBB18_34:
	s_or_b64 exec, exec, s[8:9]
	s_and_b64 s[8:9], s[10:11], exec
.LBB18_35:
	s_or_b64 exec, exec, s[6:7]
	s_and_b64 s[6:7], s[8:9], exec
.LBB18_36:
	s_or_b64 exec, exec, s[4:5]
	s_and_b64 s[4:5], s[6:7], exec
.LBB18_37:
	s_or_b64 exec, exec, s[2:3]
	s_cmp_eq_u32 s15, 0
	s_cselect_b64 s[2:3], -1, 0
	s_waitcnt vmcnt(0)
	v_cmp_ne_u16_sdwa s[0:1], v7, v8 src0_sel:BYTE_0 src1_sel:BYTE_0
	s_xor_b64 s[0:1], s[2:3], s[0:1]
	v_cndmask_b32_e64 v1, 0, 1, s[0:1]
	v_cmp_ne_u16_sdwa s[0:1], v10, v9 src0_sel:BYTE_0 src1_sel:BYTE_0
	s_xor_b64 s[0:1], s[2:3], s[0:1]
	v_cndmask_b32_e64 v2, 0, 1, s[0:1]
	v_cndmask_b32_e32 v1, 0, v1, vcc
	v_lshlrev_b16_e32 v2, 8, v2
	v_or_b32_e32 v2, v1, v2
	v_and_b32_e32 v2, 0xffff, v2
	v_cmp_gt_i32_e64 s[0:1], s14, v5
	v_cndmask_b32_e64 v1, v1, v2, s[0:1]
	v_cmp_ne_u16_sdwa s[0:1], v13, v11 src0_sel:BYTE_0 src1_sel:BYTE_0
	s_xor_b64 s[0:1], s[2:3], s[0:1]
	v_or_b32_e32 v2, 0x200, v0
	v_cndmask_b32_e64 v3, 0, 1, s[0:1]
	v_lshl_or_b32 v3, v3, 16, v1
	v_cmp_gt_i32_e64 s[0:1], s14, v2
	v_cndmask_b32_e64 v1, v1, v3, s[0:1]
	v_cmp_ne_u16_sdwa s[0:1], v15, v12 src0_sel:BYTE_0 src1_sel:BYTE_0
	s_xor_b64 s[0:1], s[2:3], s[0:1]
	s_movk_i32 s6, 0xff
	v_cndmask_b32_e64 v4, 0, 1, s[0:1]
	v_and_b32_sdwa v2, v1, s6 dst_sel:DWORD dst_unused:UNUSED_PAD src0_sel:WORD_1 src1_sel:DWORD
	v_lshlrev_b16_e32 v4, 8, v4
	s_mov_b32 s7, 0xffff
	v_or_b32_e32 v3, 0x300, v0
	v_or_b32_sdwa v2, v2, v4 dst_sel:WORD_1 dst_unused:UNUSED_PAD src0_sel:DWORD src1_sel:DWORD
	v_and_or_b32 v2, v1, s7, v2
	v_cmp_gt_i32_e64 s[0:1], s14, v3
	v_cndmask_b32_e64 v4, v1, v2, s[0:1]
	v_cmp_ne_u16_sdwa s[0:1], v17, v16 src0_sel:BYTE_0 src1_sel:BYTE_0
	s_xor_b64 s[0:1], s[2:3], s[0:1]
	v_cndmask_b32_e64 v1, 0, 1, s[0:1]
	v_or_b32_e32 v2, 0x400, v0
	v_and_b32_e32 v1, 0xffff, v1
	v_cmp_gt_i32_e64 s[0:1], s14, v2
	v_cndmask_b32_e64 v1, 0, v1, s[0:1]
	v_cmp_ne_u16_sdwa s[0:1], v21, v18 src0_sel:BYTE_0 src1_sel:BYTE_0
	s_xor_b64 s[0:1], s[2:3], s[0:1]
	v_cndmask_b32_e64 v3, 0, 1, s[0:1]
	v_lshlrev_b16_e32 v3, 8, v3
	v_or_b32_e32 v2, 0x500, v0
	v_or_b32_sdwa v3, v1, v3 dst_sel:DWORD dst_unused:UNUSED_PAD src0_sel:BYTE_0 src1_sel:DWORD
	v_and_b32_e32 v3, 0xffff, v3
	v_cmp_gt_i32_e64 s[0:1], s14, v2
	v_cndmask_b32_e64 v1, v1, v3, s[0:1]
	v_cmp_ne_u16_sdwa s[0:1], v19, v14 src0_sel:BYTE_0 src1_sel:BYTE_0
	s_movk_i32 s8, 0xff00
	s_xor_b64 s[0:1], s[2:3], s[0:1]
	v_and_b32_sdwa v2, v1, s8 dst_sel:DWORD dst_unused:UNUSED_PAD src0_sel:WORD_1 src1_sel:DWORD
	v_cndmask_b32_e64 v3, 0, 1, s[0:1]
	v_or_b32_sdwa v2, v3, v2 dst_sel:WORD_1 dst_unused:UNUSED_PAD src0_sel:DWORD src1_sel:DWORD
	v_or_b32_e32 v3, 0x600, v0
	v_and_or_b32 v2, v1, s7, v2
	v_cmp_gt_i32_e64 s[0:1], s14, v3
	v_cndmask_b32_e64 v1, v1, v2, s[0:1]
	v_cmp_ne_u16_sdwa s[0:1], v22, v20 src0_sel:BYTE_0 src1_sel:BYTE_0
	s_xor_b64 s[0:1], s[2:3], s[0:1]
	v_cndmask_b32_e64 v7, 0, 1, s[0:1]
	v_and_b32_sdwa v2, v1, s6 dst_sel:DWORD dst_unused:UNUSED_PAD src0_sel:WORD_1 src1_sel:DWORD
	v_lshlrev_b16_e32 v7, 8, v7
	v_or_b32_e32 v3, 0x700, v0
	v_or_b32_sdwa v2, v2, v7 dst_sel:WORD_1 dst_unused:UNUSED_PAD src0_sel:DWORD src1_sel:DWORD
	v_and_or_b32 v2, v1, s7, v2
	v_cmp_gt_i32_e64 s[0:1], s14, v3
	v_cndmask_b32_e64 v3, v1, v2, s[0:1]
	v_cmp_ne_u16_sdwa s[0:1], v24, v23 src0_sel:BYTE_0 src1_sel:BYTE_0
	v_or_b32_e32 v1, 0x800, v0
	s_xor_b64 s[0:1], s[2:3], s[0:1]
	v_cndmask_b32_e64 v2, 0, 1, s[0:1]
	v_cmp_gt_i32_e64 s[0:1], s14, v1
	v_cndmask_b32_e64 v1, 0, v2, s[0:1]
	v_cmp_ne_u16_sdwa s[0:1], v26, v25 src0_sel:BYTE_0 src1_sel:BYTE_0
	s_xor_b64 s[0:1], s[2:3], s[0:1]
	v_cndmask_b32_e64 v7, 0, 1, s[0:1]
	v_lshlrev_b16_e32 v7, 8, v7
	v_or_b32_e32 v2, 0x900, v0
	v_or_b32_e32 v7, v1, v7
	v_and_b32_e32 v7, 0xffff, v7
	v_cmp_gt_i32_e64 s[0:1], s14, v2
	v_cndmask_b32_e64 v1, v1, v7, s[0:1]
	v_cmp_ne_u16_sdwa s[0:1], v28, v27 src0_sel:BYTE_0 src1_sel:BYTE_0
	s_xor_b64 s[0:1], s[2:3], s[0:1]
	v_cndmask_b32_e64 v7, 0, 1, s[0:1]
	v_or_b32_e32 v2, 0xa00, v0
	v_lshlrev_b32_e32 v7, 16, v7
	s_movk_i32 s0, 0x1ff
	v_and_or_b32 v7, v1, s0, v7
	v_cmp_gt_i32_e64 s[0:1], s14, v2
	v_cndmask_b32_e64 v1, v1, v7, s[0:1]
	v_cmp_ne_u16_sdwa s[0:1], v30, v29 src0_sel:BYTE_0 src1_sel:BYTE_0
	s_xor_b64 s[0:1], s[2:3], s[0:1]
	v_cndmask_b32_e64 v8, 0, 1, s[0:1]
	v_and_b32_sdwa v2, v1, s6 dst_sel:DWORD dst_unused:UNUSED_PAD src0_sel:WORD_1 src1_sel:DWORD
	v_lshlrev_b16_e32 v8, 8, v8
	v_or_b32_e32 v7, 0xb00, v0
	v_or_b32_sdwa v2, v2, v8 dst_sel:WORD_1 dst_unused:UNUSED_PAD src0_sel:DWORD src1_sel:DWORD
	v_and_or_b32 v2, v1, s7, v2
	v_cmp_gt_i32_e64 s[0:1], s14, v7
	v_cndmask_b32_e64 v2, v1, v2, s[0:1]
	v_cmp_ne_u16_sdwa s[0:1], v32, v31 src0_sel:BYTE_0 src1_sel:BYTE_0
	v_or_b32_e32 v1, 0xc00, v0
	s_xor_b64 s[0:1], s[2:3], s[0:1]
	v_cndmask_b32_e64 v7, 0, 1, s[0:1]
	v_cmp_gt_i32_e64 s[0:1], s14, v1
	v_cndmask_b32_e64 v1, 0, v7, s[0:1]
	v_cmp_ne_u16_sdwa s[0:1], v34, v33 src0_sel:BYTE_0 src1_sel:BYTE_0
	s_xor_b64 s[0:1], s[2:3], s[0:1]
	v_cndmask_b32_e64 v8, 0, 1, s[0:1]
	v_lshlrev_b16_e32 v8, 8, v8
	v_or_b32_e32 v7, 0xd00, v0
	v_or_b32_sdwa v8, v1, v8 dst_sel:DWORD dst_unused:UNUSED_PAD src0_sel:BYTE_0 src1_sel:DWORD
	v_and_b32_e32 v8, 0xffff, v8
	v_cmp_gt_i32_e64 s[0:1], s14, v7
	v_cndmask_b32_e64 v1, v1, v8, s[0:1]
	v_cmp_ne_u16_sdwa s[0:1], v36, v35 src0_sel:BYTE_0 src1_sel:BYTE_0
	s_xor_b64 s[0:1], s[2:3], s[0:1]
	v_and_b32_sdwa v7, v1, s8 dst_sel:DWORD dst_unused:UNUSED_PAD src0_sel:WORD_1 src1_sel:DWORD
	v_cndmask_b32_e64 v8, 0, 1, s[0:1]
	v_or_b32_sdwa v7, v8, v7 dst_sel:WORD_1 dst_unused:UNUSED_PAD src0_sel:DWORD src1_sel:DWORD
	v_or_b32_e32 v8, 0xe00, v0
	v_and_or_b32 v7, v1, s7, v7
	v_cmp_gt_i32_e64 s[0:1], s14, v8
	v_cndmask_b32_e64 v1, v1, v7, s[0:1]
	s_xor_b64 s[0:1], s[2:3], s[4:5]
	v_cndmask_b32_e64 v9, 0, 1, s[0:1]
	v_and_b32_sdwa v7, v1, s6 dst_sel:DWORD dst_unused:UNUSED_PAD src0_sel:WORD_1 src1_sel:DWORD
	v_lshlrev_b16_e32 v9, 8, v9
	v_or_b32_e32 v8, 0xf00, v0
	v_or_b32_sdwa v7, v7, v9 dst_sel:WORD_1 dst_unused:UNUSED_PAD src0_sel:DWORD src1_sel:DWORD
	v_and_or_b32 v7, v1, s7, v7
	v_cmp_gt_i32_e64 s[0:1], s14, v8
	v_cndmask_b32_e64 v1, v1, v7, s[0:1]
	s_and_saveexec_b64 s[0:1], vcc
	s_cbranch_execnz .LBB18_55
; %bb.38:
	s_or_b64 exec, exec, s[0:1]
	v_cmp_gt_i32_e32 vcc, s14, v0
	s_and_saveexec_b64 s[0:1], vcc
	s_cbranch_execnz .LBB18_56
.LBB18_39:
	s_or_b64 exec, exec, s[0:1]
	v_cmp_gt_i32_e32 vcc, s14, v0
	s_and_saveexec_b64 s[0:1], vcc
	s_cbranch_execnz .LBB18_57
.LBB18_40:
	s_or_b64 exec, exec, s[0:1]
	v_cmp_gt_i32_e32 vcc, s14, v0
	s_and_saveexec_b64 s[0:1], vcc
	s_cbranch_execnz .LBB18_58
.LBB18_41:
	s_or_b64 exec, exec, s[0:1]
	v_cmp_gt_i32_e32 vcc, s14, v0
	s_and_saveexec_b64 s[0:1], vcc
	s_cbranch_execnz .LBB18_59
.LBB18_42:
	s_or_b64 exec, exec, s[0:1]
	v_cmp_gt_i32_e32 vcc, s14, v0
	s_and_saveexec_b64 s[0:1], vcc
	s_cbranch_execnz .LBB18_60
.LBB18_43:
	s_or_b64 exec, exec, s[0:1]
	v_cmp_gt_i32_e32 vcc, s14, v0
	s_and_saveexec_b64 s[0:1], vcc
	s_cbranch_execnz .LBB18_61
.LBB18_44:
	s_or_b64 exec, exec, s[0:1]
	v_cmp_gt_i32_e32 vcc, s14, v0
	s_and_saveexec_b64 s[0:1], vcc
	s_cbranch_execnz .LBB18_62
.LBB18_45:
	s_or_b64 exec, exec, s[0:1]
	v_cmp_gt_i32_e32 vcc, s14, v0
	s_and_saveexec_b64 s[0:1], vcc
	s_cbranch_execnz .LBB18_63
.LBB18_46:
	s_or_b64 exec, exec, s[0:1]
	v_cmp_gt_i32_e32 vcc, s14, v0
	s_and_saveexec_b64 s[0:1], vcc
	s_cbranch_execnz .LBB18_64
.LBB18_47:
	s_or_b64 exec, exec, s[0:1]
	v_cmp_gt_i32_e32 vcc, s14, v0
	s_and_saveexec_b64 s[0:1], vcc
	s_cbranch_execnz .LBB18_65
.LBB18_48:
	s_or_b64 exec, exec, s[0:1]
	v_cmp_gt_i32_e32 vcc, s14, v0
	s_and_saveexec_b64 s[0:1], vcc
	s_cbranch_execnz .LBB18_66
.LBB18_49:
	s_or_b64 exec, exec, s[0:1]
	v_cmp_gt_i32_e32 vcc, s14, v0
	s_and_saveexec_b64 s[0:1], vcc
	s_cbranch_execnz .LBB18_67
.LBB18_50:
	s_or_b64 exec, exec, s[0:1]
	v_cmp_gt_i32_e32 vcc, s14, v0
	s_and_saveexec_b64 s[0:1], vcc
	s_cbranch_execnz .LBB18_68
.LBB18_51:
	s_or_b64 exec, exec, s[0:1]
	v_cmp_gt_i32_e32 vcc, s14, v0
	s_and_saveexec_b64 s[0:1], vcc
	s_cbranch_execnz .LBB18_69
.LBB18_52:
	s_or_b64 exec, exec, s[0:1]
	v_cmp_gt_i32_e32 vcc, s14, v0
	s_and_saveexec_b64 s[0:1], vcc
	s_cbranch_execz .LBB18_54
.LBB18_53:
	v_lshrrev_b32_e32 v1, 24, v1
	v_add_u32_e32 v0, s33, v0
	global_store_byte v0, v1, s[16:17]
.LBB18_54:
	s_endpgm
.LBB18_55:
	v_mov_b32_e32 v0, v5
	global_store_byte v6, v4, s[16:17]
	s_or_b64 exec, exec, s[0:1]
	v_cmp_gt_i32_e32 vcc, s14, v0
	s_and_saveexec_b64 s[0:1], vcc
	s_cbranch_execz .LBB18_39
.LBB18_56:
	v_lshrrev_b32_e32 v5, 8, v4
	v_add_u32_e32 v6, s33, v0
	v_add_u32_e32 v0, 0x100, v0
	global_store_byte v6, v5, s[16:17]
	s_or_b64 exec, exec, s[0:1]
	v_cmp_gt_i32_e32 vcc, s14, v0
	s_and_saveexec_b64 s[0:1], vcc
	s_cbranch_execz .LBB18_40
.LBB18_57:
	v_add_u32_e32 v5, s33, v0
	v_add_u32_e32 v0, 0x100, v0
	global_store_byte_d16_hi v5, v4, s[16:17]
	s_or_b64 exec, exec, s[0:1]
	v_cmp_gt_i32_e32 vcc, s14, v0
	s_and_saveexec_b64 s[0:1], vcc
	s_cbranch_execz .LBB18_41
.LBB18_58:
	v_lshrrev_b32_e32 v4, 24, v4
	v_add_u32_e32 v5, s33, v0
	v_add_u32_e32 v0, 0x100, v0
	global_store_byte v5, v4, s[16:17]
	s_or_b64 exec, exec, s[0:1]
	v_cmp_gt_i32_e32 vcc, s14, v0
	s_and_saveexec_b64 s[0:1], vcc
	s_cbranch_execz .LBB18_42
.LBB18_59:
	v_add_u32_e32 v4, s33, v0
	v_add_u32_e32 v0, 0x100, v0
	global_store_byte v4, v3, s[16:17]
	s_or_b64 exec, exec, s[0:1]
	v_cmp_gt_i32_e32 vcc, s14, v0
	s_and_saveexec_b64 s[0:1], vcc
	s_cbranch_execz .LBB18_43
.LBB18_60:
	v_lshrrev_b32_e32 v4, 8, v3
	v_add_u32_e32 v5, s33, v0
	v_add_u32_e32 v0, 0x100, v0
	global_store_byte v5, v4, s[16:17]
	s_or_b64 exec, exec, s[0:1]
	v_cmp_gt_i32_e32 vcc, s14, v0
	s_and_saveexec_b64 s[0:1], vcc
	s_cbranch_execz .LBB18_44
.LBB18_61:
	v_add_u32_e32 v4, s33, v0
	v_add_u32_e32 v0, 0x100, v0
	global_store_byte_d16_hi v4, v3, s[16:17]
	s_or_b64 exec, exec, s[0:1]
	v_cmp_gt_i32_e32 vcc, s14, v0
	s_and_saveexec_b64 s[0:1], vcc
	s_cbranch_execz .LBB18_45
.LBB18_62:
	v_lshrrev_b32_e32 v3, 24, v3
	v_add_u32_e32 v4, s33, v0
	v_add_u32_e32 v0, 0x100, v0
	global_store_byte v4, v3, s[16:17]
	s_or_b64 exec, exec, s[0:1]
	v_cmp_gt_i32_e32 vcc, s14, v0
	s_and_saveexec_b64 s[0:1], vcc
	s_cbranch_execz .LBB18_46
.LBB18_63:
	v_add_u32_e32 v3, s33, v0
	v_add_u32_e32 v0, 0x100, v0
	global_store_byte v3, v2, s[16:17]
	s_or_b64 exec, exec, s[0:1]
	v_cmp_gt_i32_e32 vcc, s14, v0
	s_and_saveexec_b64 s[0:1], vcc
	s_cbranch_execz .LBB18_47
.LBB18_64:
	v_lshrrev_b32_e32 v3, 8, v2
	v_add_u32_e32 v4, s33, v0
	v_add_u32_e32 v0, 0x100, v0
	global_store_byte v4, v3, s[16:17]
	s_or_b64 exec, exec, s[0:1]
	v_cmp_gt_i32_e32 vcc, s14, v0
	s_and_saveexec_b64 s[0:1], vcc
	s_cbranch_execz .LBB18_48
.LBB18_65:
	v_add_u32_e32 v3, s33, v0
	v_add_u32_e32 v0, 0x100, v0
	global_store_byte_d16_hi v3, v2, s[16:17]
	s_or_b64 exec, exec, s[0:1]
	v_cmp_gt_i32_e32 vcc, s14, v0
	s_and_saveexec_b64 s[0:1], vcc
	s_cbranch_execz .LBB18_49
.LBB18_66:
	v_lshrrev_b32_e32 v2, 24, v2
	v_add_u32_e32 v3, s33, v0
	v_add_u32_e32 v0, 0x100, v0
	global_store_byte v3, v2, s[16:17]
	s_or_b64 exec, exec, s[0:1]
	v_cmp_gt_i32_e32 vcc, s14, v0
	s_and_saveexec_b64 s[0:1], vcc
	s_cbranch_execz .LBB18_50
.LBB18_67:
	v_add_u32_e32 v2, s33, v0
	v_add_u32_e32 v0, 0x100, v0
	global_store_byte v2, v1, s[16:17]
	s_or_b64 exec, exec, s[0:1]
	v_cmp_gt_i32_e32 vcc, s14, v0
	s_and_saveexec_b64 s[0:1], vcc
	s_cbranch_execz .LBB18_51
.LBB18_68:
	v_lshrrev_b32_e32 v2, 8, v1
	v_add_u32_e32 v3, s33, v0
	v_add_u32_e32 v0, 0x100, v0
	global_store_byte v3, v2, s[16:17]
	s_or_b64 exec, exec, s[0:1]
	v_cmp_gt_i32_e32 vcc, s14, v0
	s_and_saveexec_b64 s[0:1], vcc
	s_cbranch_execz .LBB18_52
.LBB18_69:
	v_add_u32_e32 v2, s33, v0
	v_add_u32_e32 v0, 0x100, v0
	global_store_byte_d16_hi v2, v1, s[16:17]
	s_or_b64 exec, exec, s[0:1]
	v_cmp_gt_i32_e32 vcc, s14, v0
	s_and_saveexec_b64 s[0:1], vcc
	s_cbranch_execnz .LBB18_53
	s_branch .LBB18_54
	.section	.rodata,"a",@progbits
	.p2align	6, 0x0
	.amdhsa_kernel _ZN2at6native29vectorized_elementwise_kernelILi4ENS0_13BinaryFunctorIaabNS0_12_GLOBAL__N_116CompareEqFunctorIaEEEESt5arrayIPcLm3EEEEviT0_T1_
		.amdhsa_group_segment_fixed_size 0
		.amdhsa_private_segment_fixed_size 0
		.amdhsa_kernarg_size 32
		.amdhsa_user_sgpr_count 6
		.amdhsa_user_sgpr_private_segment_buffer 1
		.amdhsa_user_sgpr_dispatch_ptr 0
		.amdhsa_user_sgpr_queue_ptr 0
		.amdhsa_user_sgpr_kernarg_segment_ptr 1
		.amdhsa_user_sgpr_dispatch_id 0
		.amdhsa_user_sgpr_flat_scratch_init 0
		.amdhsa_user_sgpr_private_segment_size 0
		.amdhsa_uses_dynamic_stack 0
		.amdhsa_system_sgpr_private_segment_wavefront_offset 0
		.amdhsa_system_sgpr_workgroup_id_x 1
		.amdhsa_system_sgpr_workgroup_id_y 0
		.amdhsa_system_sgpr_workgroup_id_z 0
		.amdhsa_system_sgpr_workgroup_info 0
		.amdhsa_system_vgpr_workitem_id 0
		.amdhsa_next_free_vgpr 39
		.amdhsa_next_free_sgpr 42
		.amdhsa_reserve_vcc 1
		.amdhsa_reserve_flat_scratch 0
		.amdhsa_float_round_mode_32 0
		.amdhsa_float_round_mode_16_64 0
		.amdhsa_float_denorm_mode_32 3
		.amdhsa_float_denorm_mode_16_64 3
		.amdhsa_dx10_clamp 1
		.amdhsa_ieee_mode 1
		.amdhsa_fp16_overflow 0
		.amdhsa_exception_fp_ieee_invalid_op 0
		.amdhsa_exception_fp_denorm_src 0
		.amdhsa_exception_fp_ieee_div_zero 0
		.amdhsa_exception_fp_ieee_overflow 0
		.amdhsa_exception_fp_ieee_underflow 0
		.amdhsa_exception_fp_ieee_inexact 0
		.amdhsa_exception_int_div_zero 0
	.end_amdhsa_kernel
	.section	.text._ZN2at6native29vectorized_elementwise_kernelILi4ENS0_13BinaryFunctorIaabNS0_12_GLOBAL__N_116CompareEqFunctorIaEEEESt5arrayIPcLm3EEEEviT0_T1_,"axG",@progbits,_ZN2at6native29vectorized_elementwise_kernelILi4ENS0_13BinaryFunctorIaabNS0_12_GLOBAL__N_116CompareEqFunctorIaEEEESt5arrayIPcLm3EEEEviT0_T1_,comdat
.Lfunc_end18:
	.size	_ZN2at6native29vectorized_elementwise_kernelILi4ENS0_13BinaryFunctorIaabNS0_12_GLOBAL__N_116CompareEqFunctorIaEEEESt5arrayIPcLm3EEEEviT0_T1_, .Lfunc_end18-_ZN2at6native29vectorized_elementwise_kernelILi4ENS0_13BinaryFunctorIaabNS0_12_GLOBAL__N_116CompareEqFunctorIaEEEESt5arrayIPcLm3EEEEviT0_T1_
                                        ; -- End function
	.set _ZN2at6native29vectorized_elementwise_kernelILi4ENS0_13BinaryFunctorIaabNS0_12_GLOBAL__N_116CompareEqFunctorIaEEEESt5arrayIPcLm3EEEEviT0_T1_.num_vgpr, 39
	.set _ZN2at6native29vectorized_elementwise_kernelILi4ENS0_13BinaryFunctorIaabNS0_12_GLOBAL__N_116CompareEqFunctorIaEEEESt5arrayIPcLm3EEEEviT0_T1_.num_agpr, 0
	.set _ZN2at6native29vectorized_elementwise_kernelILi4ENS0_13BinaryFunctorIaabNS0_12_GLOBAL__N_116CompareEqFunctorIaEEEESt5arrayIPcLm3EEEEviT0_T1_.numbered_sgpr, 42
	.set _ZN2at6native29vectorized_elementwise_kernelILi4ENS0_13BinaryFunctorIaabNS0_12_GLOBAL__N_116CompareEqFunctorIaEEEESt5arrayIPcLm3EEEEviT0_T1_.num_named_barrier, 0
	.set _ZN2at6native29vectorized_elementwise_kernelILi4ENS0_13BinaryFunctorIaabNS0_12_GLOBAL__N_116CompareEqFunctorIaEEEESt5arrayIPcLm3EEEEviT0_T1_.private_seg_size, 0
	.set _ZN2at6native29vectorized_elementwise_kernelILi4ENS0_13BinaryFunctorIaabNS0_12_GLOBAL__N_116CompareEqFunctorIaEEEESt5arrayIPcLm3EEEEviT0_T1_.uses_vcc, 1
	.set _ZN2at6native29vectorized_elementwise_kernelILi4ENS0_13BinaryFunctorIaabNS0_12_GLOBAL__N_116CompareEqFunctorIaEEEESt5arrayIPcLm3EEEEviT0_T1_.uses_flat_scratch, 0
	.set _ZN2at6native29vectorized_elementwise_kernelILi4ENS0_13BinaryFunctorIaabNS0_12_GLOBAL__N_116CompareEqFunctorIaEEEESt5arrayIPcLm3EEEEviT0_T1_.has_dyn_sized_stack, 0
	.set _ZN2at6native29vectorized_elementwise_kernelILi4ENS0_13BinaryFunctorIaabNS0_12_GLOBAL__N_116CompareEqFunctorIaEEEESt5arrayIPcLm3EEEEviT0_T1_.has_recursion, 0
	.set _ZN2at6native29vectorized_elementwise_kernelILi4ENS0_13BinaryFunctorIaabNS0_12_GLOBAL__N_116CompareEqFunctorIaEEEESt5arrayIPcLm3EEEEviT0_T1_.has_indirect_call, 0
	.section	.AMDGPU.csdata,"",@progbits
; Kernel info:
; codeLenInByte = 4440
; TotalNumSgprs: 46
; NumVgprs: 39
; ScratchSize: 0
; MemoryBound: 0
; FloatMode: 240
; IeeeMode: 1
; LDSByteSize: 0 bytes/workgroup (compile time only)
; SGPRBlocks: 5
; VGPRBlocks: 9
; NumSGPRsForWavesPerEU: 46
; NumVGPRsForWavesPerEU: 39
; Occupancy: 6
; WaveLimiterHint : 1
; COMPUTE_PGM_RSRC2:SCRATCH_EN: 0
; COMPUTE_PGM_RSRC2:USER_SGPR: 6
; COMPUTE_PGM_RSRC2:TRAP_HANDLER: 0
; COMPUTE_PGM_RSRC2:TGID_X_EN: 1
; COMPUTE_PGM_RSRC2:TGID_Y_EN: 0
; COMPUTE_PGM_RSRC2:TGID_Z_EN: 0
; COMPUTE_PGM_RSRC2:TIDIG_COMP_CNT: 0
	.section	.text._ZN2at6native29vectorized_elementwise_kernelILi2ENS0_13BinaryFunctorIaabNS0_12_GLOBAL__N_116CompareEqFunctorIaEEEESt5arrayIPcLm3EEEEviT0_T1_,"axG",@progbits,_ZN2at6native29vectorized_elementwise_kernelILi2ENS0_13BinaryFunctorIaabNS0_12_GLOBAL__N_116CompareEqFunctorIaEEEESt5arrayIPcLm3EEEEviT0_T1_,comdat
	.globl	_ZN2at6native29vectorized_elementwise_kernelILi2ENS0_13BinaryFunctorIaabNS0_12_GLOBAL__N_116CompareEqFunctorIaEEEESt5arrayIPcLm3EEEEviT0_T1_ ; -- Begin function _ZN2at6native29vectorized_elementwise_kernelILi2ENS0_13BinaryFunctorIaabNS0_12_GLOBAL__N_116CompareEqFunctorIaEEEESt5arrayIPcLm3EEEEviT0_T1_
	.p2align	8
	.type	_ZN2at6native29vectorized_elementwise_kernelILi2ENS0_13BinaryFunctorIaabNS0_12_GLOBAL__N_116CompareEqFunctorIaEEEESt5arrayIPcLm3EEEEviT0_T1_,@function
_ZN2at6native29vectorized_elementwise_kernelILi2ENS0_13BinaryFunctorIaabNS0_12_GLOBAL__N_116CompareEqFunctorIaEEEESt5arrayIPcLm3EEEEviT0_T1_: ; @_ZN2at6native29vectorized_elementwise_kernelILi2ENS0_13BinaryFunctorIaabNS0_12_GLOBAL__N_116CompareEqFunctorIaEEEESt5arrayIPcLm3EEEEviT0_T1_
; %bb.0:
	s_load_dwordx2 s[14:15], s[4:5], 0x0
	s_load_dwordx4 s[16:19], s[4:5], 0x8
	s_load_dwordx2 s[20:21], s[4:5], 0x18
	s_lshl_b32 s33, s6, 12
	s_mov_b64 s[0:1], -1
	s_waitcnt lgkmcnt(0)
	s_sub_i32 s14, s14, s33
	s_cmpk_gt_i32 s14, 0xfff
	s_cbranch_scc0 .LBB19_2
; %bb.1:
	s_ashr_i32 s26, s33, 31
	s_add_u32 s0, s18, s33
	s_addc_u32 s1, s19, s26
	s_add_u32 s2, s20, s33
	v_lshlrev_b32_e32 v1, 1, v0
	s_addc_u32 s3, s21, s26
	global_load_ushort v2, v1, s[2:3]
	global_load_ushort v3, v1, s[0:1]
	global_load_ushort v4, v1, s[0:1] offset:512
	global_load_ushort v5, v1, s[2:3] offset:512
	;; [unrolled: 1-line block ×13, first 2 shown]
                                        ; kill: killed $sgpr0 killed $sgpr1
	global_load_ushort v17, v1, s[2:3] offset:3584
	s_cmp_eq_u32 s15, 0
	s_cselect_b64 s[22:23], -1, 0
	s_movk_i32 s27, 0xff
	s_waitcnt vmcnt(14)
	v_cmp_ne_u16_sdwa s[0:1], v3, v2 src0_sel:BYTE_0 src1_sel:BYTE_0
	s_xor_b64 s[0:1], s[22:23], s[0:1]
	s_waitcnt vmcnt(12)
	v_cmp_ne_u16_sdwa s[2:3], v4, v5 src0_sel:BYTE_0 src1_sel:BYTE_0
	v_xor_b32_e32 v2, v2, v3
	v_xor_b32_e32 v3, v5, v4
	s_waitcnt vmcnt(10)
	v_cmp_ne_u16_sdwa s[4:5], v7, v6 src0_sel:BYTE_0 src1_sel:BYTE_0
	v_xor_b32_e32 v4, v6, v7
	s_waitcnt vmcnt(8)
	v_cmp_ne_u16_sdwa s[6:7], v8, v9 src0_sel:BYTE_0 src1_sel:BYTE_0
	s_waitcnt vmcnt(6)
	v_cmp_ne_u16_sdwa s[8:9], v11, v10 src0_sel:BYTE_0 src1_sel:BYTE_0
	v_xor_b32_e32 v6, v10, v11
	v_cndmask_b32_e64 v10, 0, 1, s[0:1]
	s_xor_b64 s[0:1], s[22:23], s[2:3]
	v_cmp_lt_u16_e32 vcc, s27, v2
	v_cndmask_b32_e64 v2, 0, 1, s[0:1]
	v_cmp_lt_u16_e64 s[0:1], s27, v3
	s_xor_b64 s[2:3], s[22:23], s[4:5]
	v_xor_b32_e32 v5, v9, v8
	v_cndmask_b32_e64 v3, 0, 1, s[2:3]
	v_cmp_lt_u16_e64 s[2:3], s27, v4
	s_xor_b64 s[4:5], s[22:23], s[6:7]
	s_xor_b64 s[0:1], s[22:23], s[0:1]
	s_waitcnt vmcnt(4)
	v_cmp_ne_u16_sdwa s[10:11], v12, v13 src0_sel:BYTE_0 src1_sel:BYTE_0
	v_cndmask_b32_e64 v4, 0, 1, s[4:5]
	v_cmp_lt_u16_e64 s[4:5], s27, v5
	s_xor_b64 s[6:7], s[22:23], s[8:9]
	v_cndmask_b32_e64 v11, 0, 1, s[0:1]
	s_xor_b64 s[0:1], s[22:23], s[2:3]
	v_xor_b32_e32 v7, v13, v12
	s_waitcnt vmcnt(2)
	v_cmp_ne_u16_sdwa s[12:13], v15, v14 src0_sel:BYTE_0 src1_sel:BYTE_0
	v_cndmask_b32_e64 v5, 0, 1, s[6:7]
	v_cmp_lt_u16_e64 s[6:7], s27, v6
	s_xor_b64 s[8:9], s[22:23], s[10:11]
	v_cndmask_b32_e64 v12, 0, 1, s[0:1]
	s_xor_b64 s[0:1], s[22:23], s[4:5]
	v_xor_b32_e32 v8, v14, v15
	;; [unrolled: 8-line block ×3, first 2 shown]
	v_cndmask_b32_e64 v7, 0, 1, s[10:11]
	v_cmp_lt_u16_e64 s[10:11], s27, v8
	s_xor_b64 s[12:13], s[22:23], s[24:25]
	v_cndmask_b32_e64 v14, 0, 1, s[0:1]
	s_xor_b64 s[0:1], s[22:23], s[8:9]
	v_cndmask_b32_e64 v8, 0, 1, s[12:13]
	v_cmp_lt_u16_e64 s[12:13], s27, v9
	s_xor_b64 s[24:25], s[22:23], vcc
	v_cndmask_b32_e64 v15, 0, 1, s[0:1]
	s_xor_b64 s[0:1], s[22:23], s[10:11]
	v_cndmask_b32_e64 v9, 0, 1, s[24:25]
	v_cndmask_b32_e64 v16, 0, 1, s[0:1]
	s_xor_b64 s[0:1], s[22:23], s[12:13]
	v_cndmask_b32_e64 v17, 0, 1, s[0:1]
	v_lshlrev_b16_e32 v9, 8, v9
	s_add_u32 s0, s16, s33
	v_lshlrev_b16_e32 v17, 8, v17
	v_lshlrev_b16_e32 v16, 8, v16
	;; [unrolled: 1-line block ×7, first 2 shown]
	v_or_b32_e32 v9, v10, v9
	s_addc_u32 s1, s17, s26
	v_or_b32_e32 v8, v8, v17
	v_or_b32_e32 v7, v7, v16
	;; [unrolled: 1-line block ×7, first 2 shown]
	global_store_short v1, v9, s[0:1]
	global_store_short v1, v2, s[0:1] offset:512
	global_store_short v1, v3, s[0:1] offset:1024
	global_store_short v1, v4, s[0:1] offset:1536
	global_store_short v1, v5, s[0:1] offset:2048
	global_store_short v1, v6, s[0:1] offset:2560
	global_store_short v1, v7, s[0:1] offset:3072
	global_store_short v1, v8, s[0:1] offset:3584
	s_mov_b64 s[0:1], 0
.LBB19_2:
	s_andn2_b64 vcc, exec, s[0:1]
	s_cbranch_vccnz .LBB19_54
; %bb.3:
	v_cmp_gt_i32_e32 vcc, s14, v0
	v_cmp_le_i32_e64 s[0:1], s14, v0
                                        ; implicit-def: $vgpr5
	s_and_saveexec_b64 s[2:3], s[0:1]
	s_xor_b64 s[0:1], exec, s[2:3]
; %bb.4:
	v_or_b32_e32 v5, 0x100, v0
; %bb.5:
	s_or_saveexec_b64 s[2:3], s[0:1]
	v_mov_b32_e32 v36, 0
	s_mov_b64 s[4:5], 0
	v_or_b32_e32 v6, s33, v0
	v_mov_b32_e32 v35, 0
	v_mov_b32_e32 v34, 0
	;; [unrolled: 1-line block ×29, first 2 shown]
	s_xor_b64 exec, exec, s[2:3]
	s_cbranch_execz .LBB19_37
; %bb.6:
	global_load_ubyte v7, v6, s[18:19]
	global_load_ubyte v8, v6, s[20:21]
	v_or_b32_e32 v5, 0x100, v0
	v_cmp_gt_u32_e64 s[0:1], s14, v5
	s_mov_b64 s[6:7], 0
	v_mov_b32_e32 v9, 0
	v_mov_b32_e32 v10, 0
	;; [unrolled: 1-line block ×28, first 2 shown]
	s_and_saveexec_b64 s[4:5], s[0:1]
	s_cbranch_execz .LBB19_36
; %bb.7:
	v_add_u32_e32 v3, s33, v0
	global_load_ubyte v10, v3, s[18:19] offset:256
	global_load_ubyte v9, v3, s[20:21] offset:256
	v_or_b32_e32 v1, 0x200, v0
	v_mov_b32_e32 v11, 0
	v_cmp_gt_u32_e64 s[0:1], s14, v1
	s_mov_b64 s[8:9], 0
	v_mov_b32_e32 v13, 0
	v_mov_b32_e32 v12, 0
	;; [unrolled: 1-line block ×25, first 2 shown]
	s_and_saveexec_b64 s[6:7], s[0:1]
	s_cbranch_execz .LBB19_35
; %bb.8:
	v_mov_b32_e32 v2, s19
	v_add_co_u32_e64 v1, s[0:1], s18, v3
	v_addc_co_u32_e64 v2, s[0:1], 0, v2, s[0:1]
	v_mov_b32_e32 v4, s21
	v_add_co_u32_e64 v3, s[0:1], s20, v3
	v_addc_co_u32_e64 v4, s[0:1], 0, v4, s[0:1]
	global_load_ubyte v13, v[1:2], off offset:512
	global_load_ubyte v11, v[3:4], off offset:512
	v_or_b32_e32 v12, 0x300, v0
	v_cmp_gt_u32_e64 s[0:1], s14, v12
	s_mov_b64 s[10:11], 0
	v_mov_b32_e32 v12, 0
	v_mov_b32_e32 v15, 0
	;; [unrolled: 1-line block ×24, first 2 shown]
	s_and_saveexec_b64 s[8:9], s[0:1]
	s_cbranch_execz .LBB19_34
; %bb.9:
	global_load_ubyte v15, v[1:2], off offset:768
	global_load_ubyte v12, v[3:4], off offset:768
	v_or_b32_e32 v14, 0x400, v0
	v_cmp_gt_u32_e64 s[0:1], s14, v14
	s_mov_b64 s[12:13], 0
	v_mov_b32_e32 v16, 0
	v_mov_b32_e32 v17, 0
	;; [unrolled: 1-line block ×22, first 2 shown]
	s_and_saveexec_b64 s[10:11], s[0:1]
	s_cbranch_execz .LBB19_33
; %bb.10:
	global_load_ubyte v17, v[1:2], off offset:1024
	global_load_ubyte v16, v[3:4], off offset:1024
	v_or_b32_e32 v14, 0x500, v0
	v_cmp_gt_u32_e64 s[0:1], s14, v14
	s_mov_b64 s[18:19], 0
	v_mov_b32_e32 v18, 0
	v_mov_b32_e32 v21, 0
	;; [unrolled: 1-line block ×20, first 2 shown]
	s_and_saveexec_b64 s[12:13], s[0:1]
	s_cbranch_execz .LBB19_32
; %bb.11:
	global_load_ubyte v21, v[1:2], off offset:1280
	global_load_ubyte v18, v[3:4], off offset:1280
	v_or_b32_e32 v14, 0x600, v0
	v_cmp_gt_u32_e64 s[0:1], s14, v14
	s_mov_b64 s[20:21], 0
	v_mov_b32_e32 v14, 0
	v_mov_b32_e32 v19, 0
	;; [unrolled: 1-line block ×18, first 2 shown]
	s_and_saveexec_b64 s[18:19], s[0:1]
	s_cbranch_execz .LBB19_31
; %bb.12:
	global_load_ubyte v19, v[1:2], off offset:1536
	global_load_ubyte v14, v[3:4], off offset:1536
	v_or_b32_e32 v20, 0x700, v0
	v_cmp_gt_u32_e64 s[0:1], s14, v20
	s_mov_b64 s[22:23], 0
	v_mov_b32_e32 v20, 0
	v_mov_b32_e32 v22, 0
	;; [unrolled: 1-line block ×16, first 2 shown]
	s_and_saveexec_b64 s[20:21], s[0:1]
	s_cbranch_execz .LBB19_30
; %bb.13:
	global_load_ubyte v22, v[1:2], off offset:1792
	global_load_ubyte v20, v[3:4], off offset:1792
	v_or_b32_e32 v23, 0x800, v0
	v_cmp_gt_u32_e64 s[0:1], s14, v23
	s_mov_b64 s[24:25], 0
	v_mov_b32_e32 v23, 0
	v_mov_b32_e32 v24, 0
	;; [unrolled: 1-line block ×14, first 2 shown]
	s_and_saveexec_b64 s[22:23], s[0:1]
	s_cbranch_execz .LBB19_29
; %bb.14:
	global_load_ubyte v24, v[1:2], off offset:2048
	global_load_ubyte v23, v[3:4], off offset:2048
	v_or_b32_e32 v25, 0x900, v0
	v_cmp_gt_u32_e64 s[0:1], s14, v25
	s_mov_b64 s[26:27], 0
	v_mov_b32_e32 v25, 0
	v_mov_b32_e32 v26, 0
	;; [unrolled: 1-line block ×12, first 2 shown]
	s_and_saveexec_b64 s[24:25], s[0:1]
	s_cbranch_execz .LBB19_28
; %bb.15:
	global_load_ubyte v26, v[1:2], off offset:2304
	global_load_ubyte v25, v[3:4], off offset:2304
	v_or_b32_e32 v27, 0xa00, v0
	v_cmp_gt_u32_e64 s[0:1], s14, v27
	s_mov_b64 s[28:29], 0
	v_mov_b32_e32 v27, 0
	v_mov_b32_e32 v28, 0
	;; [unrolled: 1-line block ×10, first 2 shown]
	s_and_saveexec_b64 s[26:27], s[0:1]
	s_cbranch_execz .LBB19_27
; %bb.16:
	global_load_ubyte v28, v[1:2], off offset:2560
	global_load_ubyte v27, v[3:4], off offset:2560
	v_or_b32_e32 v29, 0xb00, v0
	v_cmp_gt_u32_e64 s[0:1], s14, v29
	s_mov_b64 s[30:31], 0
	v_mov_b32_e32 v29, 0
	v_mov_b32_e32 v30, 0
	;; [unrolled: 1-line block ×8, first 2 shown]
	s_and_saveexec_b64 s[28:29], s[0:1]
	s_cbranch_execz .LBB19_26
; %bb.17:
	global_load_ubyte v30, v[1:2], off offset:2816
	global_load_ubyte v29, v[3:4], off offset:2816
	v_or_b32_e32 v31, 0xc00, v0
	v_cmp_gt_u32_e64 s[0:1], s14, v31
	s_mov_b64 s[34:35], 0
	v_mov_b32_e32 v31, 0
	v_mov_b32_e32 v32, 0
	;; [unrolled: 1-line block ×6, first 2 shown]
	s_and_saveexec_b64 s[30:31], s[0:1]
	s_cbranch_execz .LBB19_25
; %bb.18:
	global_load_ubyte v32, v[1:2], off offset:3072
	global_load_ubyte v31, v[3:4], off offset:3072
	v_or_b32_e32 v33, 0xd00, v0
	v_cmp_gt_u32_e64 s[0:1], s14, v33
	s_mov_b64 s[36:37], 0
	v_mov_b32_e32 v33, 0
	v_mov_b32_e32 v34, 0
	;; [unrolled: 1-line block ×4, first 2 shown]
	s_and_saveexec_b64 s[34:35], s[0:1]
	s_cbranch_execz .LBB19_24
; %bb.19:
	global_load_ubyte v34, v[1:2], off offset:3328
	global_load_ubyte v33, v[3:4], off offset:3328
	v_or_b32_e32 v35, 0xe00, v0
	v_cmp_gt_u32_e64 s[0:1], s14, v35
	s_mov_b64 s[38:39], 0
	v_mov_b32_e32 v35, 0
	v_mov_b32_e32 v36, 0
	s_and_saveexec_b64 s[36:37], s[0:1]
	s_cbranch_execz .LBB19_23
; %bb.20:
	global_load_ubyte v36, v[1:2], off offset:3584
	global_load_ubyte v35, v[3:4], off offset:3584
	v_or_b32_e32 v37, 0xf00, v0
	v_cmp_gt_u32_e64 s[0:1], s14, v37
	s_mov_b64 s[40:41], 0
	s_and_saveexec_b64 s[38:39], s[0:1]
	s_cbranch_execz .LBB19_22
; %bb.21:
	global_load_ubyte v37, v[1:2], off offset:3840
	global_load_ubyte v38, v[3:4], off offset:3840
	s_waitcnt vmcnt(0)
	v_cmp_ne_u16_e64 s[0:1], v37, v38
	s_and_b64 s[40:41], s[0:1], exec
.LBB19_22:
	s_or_b64 exec, exec, s[38:39]
	s_and_b64 s[38:39], s[40:41], exec
.LBB19_23:
	s_or_b64 exec, exec, s[36:37]
	s_and_b64 s[36:37], s[38:39], exec
.LBB19_24:
	s_or_b64 exec, exec, s[34:35]
	s_and_b64 s[34:35], s[36:37], exec
.LBB19_25:
	s_or_b64 exec, exec, s[30:31]
	s_and_b64 s[30:31], s[34:35], exec
.LBB19_26:
	s_or_b64 exec, exec, s[28:29]
	s_and_b64 s[28:29], s[30:31], exec
.LBB19_27:
	s_or_b64 exec, exec, s[26:27]
	s_and_b64 s[26:27], s[28:29], exec
.LBB19_28:
	s_or_b64 exec, exec, s[24:25]
	s_and_b64 s[24:25], s[26:27], exec
.LBB19_29:
	s_or_b64 exec, exec, s[22:23]
	s_and_b64 s[22:23], s[24:25], exec
.LBB19_30:
	s_or_b64 exec, exec, s[20:21]
	s_and_b64 s[20:21], s[22:23], exec
.LBB19_31:
	s_or_b64 exec, exec, s[18:19]
	s_and_b64 s[18:19], s[20:21], exec
.LBB19_32:
	s_or_b64 exec, exec, s[12:13]
	s_and_b64 s[12:13], s[18:19], exec
.LBB19_33:
	s_or_b64 exec, exec, s[10:11]
	s_and_b64 s[10:11], s[12:13], exec
.LBB19_34:
	s_or_b64 exec, exec, s[8:9]
	s_and_b64 s[8:9], s[10:11], exec
.LBB19_35:
	s_or_b64 exec, exec, s[6:7]
	s_and_b64 s[6:7], s[8:9], exec
.LBB19_36:
	s_or_b64 exec, exec, s[4:5]
	s_and_b64 s[4:5], s[6:7], exec
.LBB19_37:
	s_or_b64 exec, exec, s[2:3]
	s_cmp_eq_u32 s15, 0
	s_cselect_b64 s[2:3], -1, 0
	s_waitcnt vmcnt(0)
	v_cmp_ne_u16_sdwa s[0:1], v7, v8 src0_sel:BYTE_0 src1_sel:BYTE_0
	s_xor_b64 s[0:1], s[2:3], s[0:1]
	v_cndmask_b32_e64 v1, 0, 1, s[0:1]
	v_cmp_ne_u16_sdwa s[0:1], v10, v9 src0_sel:BYTE_0 src1_sel:BYTE_0
	s_xor_b64 s[0:1], s[2:3], s[0:1]
	v_cndmask_b32_e64 v2, 0, 1, s[0:1]
	v_cndmask_b32_e32 v1, 0, v1, vcc
	v_lshlrev_b16_e32 v2, 8, v2
	v_or_b32_e32 v2, v1, v2
	v_and_b32_e32 v2, 0xffff, v2
	v_cmp_gt_i32_e64 s[0:1], s14, v5
	v_cndmask_b32_e64 v1, v1, v2, s[0:1]
	v_cmp_ne_u16_sdwa s[0:1], v13, v11 src0_sel:BYTE_0 src1_sel:BYTE_0
	s_xor_b64 s[0:1], s[2:3], s[0:1]
	v_or_b32_e32 v2, 0x200, v0
	v_cndmask_b32_e64 v3, 0, 1, s[0:1]
	v_lshl_or_b32 v3, v3, 16, v1
	v_cmp_gt_i32_e64 s[0:1], s14, v2
	v_cndmask_b32_e64 v1, v1, v3, s[0:1]
	v_cmp_ne_u16_sdwa s[0:1], v15, v12 src0_sel:BYTE_0 src1_sel:BYTE_0
	s_xor_b64 s[0:1], s[2:3], s[0:1]
	s_movk_i32 s6, 0xff
	v_cndmask_b32_e64 v4, 0, 1, s[0:1]
	v_and_b32_sdwa v2, v1, s6 dst_sel:DWORD dst_unused:UNUSED_PAD src0_sel:WORD_1 src1_sel:DWORD
	v_lshlrev_b16_e32 v4, 8, v4
	s_mov_b32 s7, 0xffff
	v_or_b32_e32 v3, 0x300, v0
	v_or_b32_sdwa v2, v2, v4 dst_sel:WORD_1 dst_unused:UNUSED_PAD src0_sel:DWORD src1_sel:DWORD
	v_and_or_b32 v2, v1, s7, v2
	v_cmp_gt_i32_e64 s[0:1], s14, v3
	v_cndmask_b32_e64 v4, v1, v2, s[0:1]
	v_cmp_ne_u16_sdwa s[0:1], v17, v16 src0_sel:BYTE_0 src1_sel:BYTE_0
	s_xor_b64 s[0:1], s[2:3], s[0:1]
	v_cndmask_b32_e64 v1, 0, 1, s[0:1]
	v_or_b32_e32 v2, 0x400, v0
	v_and_b32_e32 v1, 0xffff, v1
	v_cmp_gt_i32_e64 s[0:1], s14, v2
	v_cndmask_b32_e64 v1, 0, v1, s[0:1]
	v_cmp_ne_u16_sdwa s[0:1], v21, v18 src0_sel:BYTE_0 src1_sel:BYTE_0
	s_xor_b64 s[0:1], s[2:3], s[0:1]
	v_cndmask_b32_e64 v3, 0, 1, s[0:1]
	v_lshlrev_b16_e32 v3, 8, v3
	v_or_b32_e32 v2, 0x500, v0
	v_or_b32_sdwa v3, v1, v3 dst_sel:DWORD dst_unused:UNUSED_PAD src0_sel:BYTE_0 src1_sel:DWORD
	v_and_b32_e32 v3, 0xffff, v3
	v_cmp_gt_i32_e64 s[0:1], s14, v2
	v_cndmask_b32_e64 v1, v1, v3, s[0:1]
	v_cmp_ne_u16_sdwa s[0:1], v19, v14 src0_sel:BYTE_0 src1_sel:BYTE_0
	s_movk_i32 s8, 0xff00
	s_xor_b64 s[0:1], s[2:3], s[0:1]
	v_and_b32_sdwa v2, v1, s8 dst_sel:DWORD dst_unused:UNUSED_PAD src0_sel:WORD_1 src1_sel:DWORD
	v_cndmask_b32_e64 v3, 0, 1, s[0:1]
	v_or_b32_sdwa v2, v3, v2 dst_sel:WORD_1 dst_unused:UNUSED_PAD src0_sel:DWORD src1_sel:DWORD
	v_or_b32_e32 v3, 0x600, v0
	v_and_or_b32 v2, v1, s7, v2
	v_cmp_gt_i32_e64 s[0:1], s14, v3
	v_cndmask_b32_e64 v1, v1, v2, s[0:1]
	v_cmp_ne_u16_sdwa s[0:1], v22, v20 src0_sel:BYTE_0 src1_sel:BYTE_0
	s_xor_b64 s[0:1], s[2:3], s[0:1]
	v_cndmask_b32_e64 v7, 0, 1, s[0:1]
	v_and_b32_sdwa v2, v1, s6 dst_sel:DWORD dst_unused:UNUSED_PAD src0_sel:WORD_1 src1_sel:DWORD
	v_lshlrev_b16_e32 v7, 8, v7
	v_or_b32_e32 v3, 0x700, v0
	v_or_b32_sdwa v2, v2, v7 dst_sel:WORD_1 dst_unused:UNUSED_PAD src0_sel:DWORD src1_sel:DWORD
	v_and_or_b32 v2, v1, s7, v2
	v_cmp_gt_i32_e64 s[0:1], s14, v3
	v_cndmask_b32_e64 v3, v1, v2, s[0:1]
	v_cmp_ne_u16_sdwa s[0:1], v24, v23 src0_sel:BYTE_0 src1_sel:BYTE_0
	v_or_b32_e32 v1, 0x800, v0
	s_xor_b64 s[0:1], s[2:3], s[0:1]
	v_cndmask_b32_e64 v2, 0, 1, s[0:1]
	v_cmp_gt_i32_e64 s[0:1], s14, v1
	v_cndmask_b32_e64 v1, 0, v2, s[0:1]
	v_cmp_ne_u16_sdwa s[0:1], v26, v25 src0_sel:BYTE_0 src1_sel:BYTE_0
	s_xor_b64 s[0:1], s[2:3], s[0:1]
	v_cndmask_b32_e64 v7, 0, 1, s[0:1]
	v_lshlrev_b16_e32 v7, 8, v7
	v_or_b32_e32 v2, 0x900, v0
	v_or_b32_e32 v7, v1, v7
	v_and_b32_e32 v7, 0xffff, v7
	v_cmp_gt_i32_e64 s[0:1], s14, v2
	v_cndmask_b32_e64 v1, v1, v7, s[0:1]
	v_cmp_ne_u16_sdwa s[0:1], v28, v27 src0_sel:BYTE_0 src1_sel:BYTE_0
	s_xor_b64 s[0:1], s[2:3], s[0:1]
	v_cndmask_b32_e64 v7, 0, 1, s[0:1]
	v_or_b32_e32 v2, 0xa00, v0
	v_lshlrev_b32_e32 v7, 16, v7
	s_movk_i32 s0, 0x1ff
	v_and_or_b32 v7, v1, s0, v7
	v_cmp_gt_i32_e64 s[0:1], s14, v2
	v_cndmask_b32_e64 v1, v1, v7, s[0:1]
	v_cmp_ne_u16_sdwa s[0:1], v30, v29 src0_sel:BYTE_0 src1_sel:BYTE_0
	s_xor_b64 s[0:1], s[2:3], s[0:1]
	v_cndmask_b32_e64 v8, 0, 1, s[0:1]
	v_and_b32_sdwa v2, v1, s6 dst_sel:DWORD dst_unused:UNUSED_PAD src0_sel:WORD_1 src1_sel:DWORD
	v_lshlrev_b16_e32 v8, 8, v8
	v_or_b32_e32 v7, 0xb00, v0
	v_or_b32_sdwa v2, v2, v8 dst_sel:WORD_1 dst_unused:UNUSED_PAD src0_sel:DWORD src1_sel:DWORD
	v_and_or_b32 v2, v1, s7, v2
	v_cmp_gt_i32_e64 s[0:1], s14, v7
	v_cndmask_b32_e64 v2, v1, v2, s[0:1]
	v_cmp_ne_u16_sdwa s[0:1], v32, v31 src0_sel:BYTE_0 src1_sel:BYTE_0
	v_or_b32_e32 v1, 0xc00, v0
	s_xor_b64 s[0:1], s[2:3], s[0:1]
	v_cndmask_b32_e64 v7, 0, 1, s[0:1]
	v_cmp_gt_i32_e64 s[0:1], s14, v1
	v_cndmask_b32_e64 v1, 0, v7, s[0:1]
	v_cmp_ne_u16_sdwa s[0:1], v34, v33 src0_sel:BYTE_0 src1_sel:BYTE_0
	s_xor_b64 s[0:1], s[2:3], s[0:1]
	v_cndmask_b32_e64 v8, 0, 1, s[0:1]
	v_lshlrev_b16_e32 v8, 8, v8
	v_or_b32_e32 v7, 0xd00, v0
	v_or_b32_sdwa v8, v1, v8 dst_sel:DWORD dst_unused:UNUSED_PAD src0_sel:BYTE_0 src1_sel:DWORD
	v_and_b32_e32 v8, 0xffff, v8
	v_cmp_gt_i32_e64 s[0:1], s14, v7
	v_cndmask_b32_e64 v1, v1, v8, s[0:1]
	v_cmp_ne_u16_sdwa s[0:1], v36, v35 src0_sel:BYTE_0 src1_sel:BYTE_0
	s_xor_b64 s[0:1], s[2:3], s[0:1]
	v_and_b32_sdwa v7, v1, s8 dst_sel:DWORD dst_unused:UNUSED_PAD src0_sel:WORD_1 src1_sel:DWORD
	v_cndmask_b32_e64 v8, 0, 1, s[0:1]
	v_or_b32_sdwa v7, v8, v7 dst_sel:WORD_1 dst_unused:UNUSED_PAD src0_sel:DWORD src1_sel:DWORD
	v_or_b32_e32 v8, 0xe00, v0
	v_and_or_b32 v7, v1, s7, v7
	v_cmp_gt_i32_e64 s[0:1], s14, v8
	v_cndmask_b32_e64 v1, v1, v7, s[0:1]
	s_xor_b64 s[0:1], s[2:3], s[4:5]
	v_cndmask_b32_e64 v9, 0, 1, s[0:1]
	v_and_b32_sdwa v7, v1, s6 dst_sel:DWORD dst_unused:UNUSED_PAD src0_sel:WORD_1 src1_sel:DWORD
	v_lshlrev_b16_e32 v9, 8, v9
	v_or_b32_e32 v8, 0xf00, v0
	v_or_b32_sdwa v7, v7, v9 dst_sel:WORD_1 dst_unused:UNUSED_PAD src0_sel:DWORD src1_sel:DWORD
	v_and_or_b32 v7, v1, s7, v7
	v_cmp_gt_i32_e64 s[0:1], s14, v8
	v_cndmask_b32_e64 v1, v1, v7, s[0:1]
	s_and_saveexec_b64 s[0:1], vcc
	s_cbranch_execnz .LBB19_55
; %bb.38:
	s_or_b64 exec, exec, s[0:1]
	v_cmp_gt_i32_e32 vcc, s14, v0
	s_and_saveexec_b64 s[0:1], vcc
	s_cbranch_execnz .LBB19_56
.LBB19_39:
	s_or_b64 exec, exec, s[0:1]
	v_cmp_gt_i32_e32 vcc, s14, v0
	s_and_saveexec_b64 s[0:1], vcc
	s_cbranch_execnz .LBB19_57
.LBB19_40:
	s_or_b64 exec, exec, s[0:1]
	v_cmp_gt_i32_e32 vcc, s14, v0
	s_and_saveexec_b64 s[0:1], vcc
	s_cbranch_execnz .LBB19_58
.LBB19_41:
	s_or_b64 exec, exec, s[0:1]
	v_cmp_gt_i32_e32 vcc, s14, v0
	s_and_saveexec_b64 s[0:1], vcc
	s_cbranch_execnz .LBB19_59
.LBB19_42:
	s_or_b64 exec, exec, s[0:1]
	v_cmp_gt_i32_e32 vcc, s14, v0
	s_and_saveexec_b64 s[0:1], vcc
	s_cbranch_execnz .LBB19_60
.LBB19_43:
	s_or_b64 exec, exec, s[0:1]
	v_cmp_gt_i32_e32 vcc, s14, v0
	s_and_saveexec_b64 s[0:1], vcc
	s_cbranch_execnz .LBB19_61
.LBB19_44:
	s_or_b64 exec, exec, s[0:1]
	v_cmp_gt_i32_e32 vcc, s14, v0
	s_and_saveexec_b64 s[0:1], vcc
	s_cbranch_execnz .LBB19_62
.LBB19_45:
	s_or_b64 exec, exec, s[0:1]
	v_cmp_gt_i32_e32 vcc, s14, v0
	s_and_saveexec_b64 s[0:1], vcc
	s_cbranch_execnz .LBB19_63
.LBB19_46:
	s_or_b64 exec, exec, s[0:1]
	v_cmp_gt_i32_e32 vcc, s14, v0
	s_and_saveexec_b64 s[0:1], vcc
	s_cbranch_execnz .LBB19_64
.LBB19_47:
	s_or_b64 exec, exec, s[0:1]
	v_cmp_gt_i32_e32 vcc, s14, v0
	s_and_saveexec_b64 s[0:1], vcc
	s_cbranch_execnz .LBB19_65
.LBB19_48:
	s_or_b64 exec, exec, s[0:1]
	v_cmp_gt_i32_e32 vcc, s14, v0
	s_and_saveexec_b64 s[0:1], vcc
	s_cbranch_execnz .LBB19_66
.LBB19_49:
	s_or_b64 exec, exec, s[0:1]
	v_cmp_gt_i32_e32 vcc, s14, v0
	s_and_saveexec_b64 s[0:1], vcc
	s_cbranch_execnz .LBB19_67
.LBB19_50:
	s_or_b64 exec, exec, s[0:1]
	v_cmp_gt_i32_e32 vcc, s14, v0
	s_and_saveexec_b64 s[0:1], vcc
	s_cbranch_execnz .LBB19_68
.LBB19_51:
	s_or_b64 exec, exec, s[0:1]
	v_cmp_gt_i32_e32 vcc, s14, v0
	s_and_saveexec_b64 s[0:1], vcc
	s_cbranch_execnz .LBB19_69
.LBB19_52:
	s_or_b64 exec, exec, s[0:1]
	v_cmp_gt_i32_e32 vcc, s14, v0
	s_and_saveexec_b64 s[0:1], vcc
	s_cbranch_execz .LBB19_54
.LBB19_53:
	v_lshrrev_b32_e32 v1, 24, v1
	v_add_u32_e32 v0, s33, v0
	global_store_byte v0, v1, s[16:17]
.LBB19_54:
	s_endpgm
.LBB19_55:
	v_mov_b32_e32 v0, v5
	global_store_byte v6, v4, s[16:17]
	s_or_b64 exec, exec, s[0:1]
	v_cmp_gt_i32_e32 vcc, s14, v0
	s_and_saveexec_b64 s[0:1], vcc
	s_cbranch_execz .LBB19_39
.LBB19_56:
	v_lshrrev_b32_e32 v5, 8, v4
	v_add_u32_e32 v6, s33, v0
	v_add_u32_e32 v0, 0x100, v0
	global_store_byte v6, v5, s[16:17]
	s_or_b64 exec, exec, s[0:1]
	v_cmp_gt_i32_e32 vcc, s14, v0
	s_and_saveexec_b64 s[0:1], vcc
	s_cbranch_execz .LBB19_40
.LBB19_57:
	v_add_u32_e32 v5, s33, v0
	v_add_u32_e32 v0, 0x100, v0
	global_store_byte_d16_hi v5, v4, s[16:17]
	s_or_b64 exec, exec, s[0:1]
	v_cmp_gt_i32_e32 vcc, s14, v0
	s_and_saveexec_b64 s[0:1], vcc
	s_cbranch_execz .LBB19_41
.LBB19_58:
	v_lshrrev_b32_e32 v4, 24, v4
	v_add_u32_e32 v5, s33, v0
	v_add_u32_e32 v0, 0x100, v0
	global_store_byte v5, v4, s[16:17]
	s_or_b64 exec, exec, s[0:1]
	v_cmp_gt_i32_e32 vcc, s14, v0
	s_and_saveexec_b64 s[0:1], vcc
	s_cbranch_execz .LBB19_42
.LBB19_59:
	v_add_u32_e32 v4, s33, v0
	v_add_u32_e32 v0, 0x100, v0
	global_store_byte v4, v3, s[16:17]
	s_or_b64 exec, exec, s[0:1]
	v_cmp_gt_i32_e32 vcc, s14, v0
	s_and_saveexec_b64 s[0:1], vcc
	s_cbranch_execz .LBB19_43
.LBB19_60:
	v_lshrrev_b32_e32 v4, 8, v3
	v_add_u32_e32 v5, s33, v0
	v_add_u32_e32 v0, 0x100, v0
	global_store_byte v5, v4, s[16:17]
	s_or_b64 exec, exec, s[0:1]
	v_cmp_gt_i32_e32 vcc, s14, v0
	s_and_saveexec_b64 s[0:1], vcc
	s_cbranch_execz .LBB19_44
.LBB19_61:
	v_add_u32_e32 v4, s33, v0
	v_add_u32_e32 v0, 0x100, v0
	global_store_byte_d16_hi v4, v3, s[16:17]
	s_or_b64 exec, exec, s[0:1]
	v_cmp_gt_i32_e32 vcc, s14, v0
	s_and_saveexec_b64 s[0:1], vcc
	s_cbranch_execz .LBB19_45
.LBB19_62:
	v_lshrrev_b32_e32 v3, 24, v3
	v_add_u32_e32 v4, s33, v0
	v_add_u32_e32 v0, 0x100, v0
	global_store_byte v4, v3, s[16:17]
	s_or_b64 exec, exec, s[0:1]
	v_cmp_gt_i32_e32 vcc, s14, v0
	s_and_saveexec_b64 s[0:1], vcc
	s_cbranch_execz .LBB19_46
.LBB19_63:
	v_add_u32_e32 v3, s33, v0
	v_add_u32_e32 v0, 0x100, v0
	global_store_byte v3, v2, s[16:17]
	s_or_b64 exec, exec, s[0:1]
	v_cmp_gt_i32_e32 vcc, s14, v0
	s_and_saveexec_b64 s[0:1], vcc
	s_cbranch_execz .LBB19_47
.LBB19_64:
	v_lshrrev_b32_e32 v3, 8, v2
	v_add_u32_e32 v4, s33, v0
	v_add_u32_e32 v0, 0x100, v0
	global_store_byte v4, v3, s[16:17]
	s_or_b64 exec, exec, s[0:1]
	v_cmp_gt_i32_e32 vcc, s14, v0
	s_and_saveexec_b64 s[0:1], vcc
	s_cbranch_execz .LBB19_48
.LBB19_65:
	v_add_u32_e32 v3, s33, v0
	v_add_u32_e32 v0, 0x100, v0
	global_store_byte_d16_hi v3, v2, s[16:17]
	s_or_b64 exec, exec, s[0:1]
	v_cmp_gt_i32_e32 vcc, s14, v0
	s_and_saveexec_b64 s[0:1], vcc
	s_cbranch_execz .LBB19_49
.LBB19_66:
	v_lshrrev_b32_e32 v2, 24, v2
	v_add_u32_e32 v3, s33, v0
	v_add_u32_e32 v0, 0x100, v0
	global_store_byte v3, v2, s[16:17]
	s_or_b64 exec, exec, s[0:1]
	v_cmp_gt_i32_e32 vcc, s14, v0
	s_and_saveexec_b64 s[0:1], vcc
	s_cbranch_execz .LBB19_50
.LBB19_67:
	v_add_u32_e32 v2, s33, v0
	v_add_u32_e32 v0, 0x100, v0
	global_store_byte v2, v1, s[16:17]
	s_or_b64 exec, exec, s[0:1]
	v_cmp_gt_i32_e32 vcc, s14, v0
	s_and_saveexec_b64 s[0:1], vcc
	s_cbranch_execz .LBB19_51
.LBB19_68:
	v_lshrrev_b32_e32 v2, 8, v1
	v_add_u32_e32 v3, s33, v0
	v_add_u32_e32 v0, 0x100, v0
	global_store_byte v3, v2, s[16:17]
	s_or_b64 exec, exec, s[0:1]
	v_cmp_gt_i32_e32 vcc, s14, v0
	s_and_saveexec_b64 s[0:1], vcc
	s_cbranch_execz .LBB19_52
.LBB19_69:
	v_add_u32_e32 v2, s33, v0
	v_add_u32_e32 v0, 0x100, v0
	global_store_byte_d16_hi v2, v1, s[16:17]
	s_or_b64 exec, exec, s[0:1]
	v_cmp_gt_i32_e32 vcc, s14, v0
	s_and_saveexec_b64 s[0:1], vcc
	s_cbranch_execnz .LBB19_53
	s_branch .LBB19_54
	.section	.rodata,"a",@progbits
	.p2align	6, 0x0
	.amdhsa_kernel _ZN2at6native29vectorized_elementwise_kernelILi2ENS0_13BinaryFunctorIaabNS0_12_GLOBAL__N_116CompareEqFunctorIaEEEESt5arrayIPcLm3EEEEviT0_T1_
		.amdhsa_group_segment_fixed_size 0
		.amdhsa_private_segment_fixed_size 0
		.amdhsa_kernarg_size 32
		.amdhsa_user_sgpr_count 6
		.amdhsa_user_sgpr_private_segment_buffer 1
		.amdhsa_user_sgpr_dispatch_ptr 0
		.amdhsa_user_sgpr_queue_ptr 0
		.amdhsa_user_sgpr_kernarg_segment_ptr 1
		.amdhsa_user_sgpr_dispatch_id 0
		.amdhsa_user_sgpr_flat_scratch_init 0
		.amdhsa_user_sgpr_private_segment_size 0
		.amdhsa_uses_dynamic_stack 0
		.amdhsa_system_sgpr_private_segment_wavefront_offset 0
		.amdhsa_system_sgpr_workgroup_id_x 1
		.amdhsa_system_sgpr_workgroup_id_y 0
		.amdhsa_system_sgpr_workgroup_id_z 0
		.amdhsa_system_sgpr_workgroup_info 0
		.amdhsa_system_vgpr_workitem_id 0
		.amdhsa_next_free_vgpr 39
		.amdhsa_next_free_sgpr 42
		.amdhsa_reserve_vcc 1
		.amdhsa_reserve_flat_scratch 0
		.amdhsa_float_round_mode_32 0
		.amdhsa_float_round_mode_16_64 0
		.amdhsa_float_denorm_mode_32 3
		.amdhsa_float_denorm_mode_16_64 3
		.amdhsa_dx10_clamp 1
		.amdhsa_ieee_mode 1
		.amdhsa_fp16_overflow 0
		.amdhsa_exception_fp_ieee_invalid_op 0
		.amdhsa_exception_fp_denorm_src 0
		.amdhsa_exception_fp_ieee_div_zero 0
		.amdhsa_exception_fp_ieee_overflow 0
		.amdhsa_exception_fp_ieee_underflow 0
		.amdhsa_exception_fp_ieee_inexact 0
		.amdhsa_exception_int_div_zero 0
	.end_amdhsa_kernel
	.section	.text._ZN2at6native29vectorized_elementwise_kernelILi2ENS0_13BinaryFunctorIaabNS0_12_GLOBAL__N_116CompareEqFunctorIaEEEESt5arrayIPcLm3EEEEviT0_T1_,"axG",@progbits,_ZN2at6native29vectorized_elementwise_kernelILi2ENS0_13BinaryFunctorIaabNS0_12_GLOBAL__N_116CompareEqFunctorIaEEEESt5arrayIPcLm3EEEEviT0_T1_,comdat
.Lfunc_end19:
	.size	_ZN2at6native29vectorized_elementwise_kernelILi2ENS0_13BinaryFunctorIaabNS0_12_GLOBAL__N_116CompareEqFunctorIaEEEESt5arrayIPcLm3EEEEviT0_T1_, .Lfunc_end19-_ZN2at6native29vectorized_elementwise_kernelILi2ENS0_13BinaryFunctorIaabNS0_12_GLOBAL__N_116CompareEqFunctorIaEEEESt5arrayIPcLm3EEEEviT0_T1_
                                        ; -- End function
	.set _ZN2at6native29vectorized_elementwise_kernelILi2ENS0_13BinaryFunctorIaabNS0_12_GLOBAL__N_116CompareEqFunctorIaEEEESt5arrayIPcLm3EEEEviT0_T1_.num_vgpr, 39
	.set _ZN2at6native29vectorized_elementwise_kernelILi2ENS0_13BinaryFunctorIaabNS0_12_GLOBAL__N_116CompareEqFunctorIaEEEESt5arrayIPcLm3EEEEviT0_T1_.num_agpr, 0
	.set _ZN2at6native29vectorized_elementwise_kernelILi2ENS0_13BinaryFunctorIaabNS0_12_GLOBAL__N_116CompareEqFunctorIaEEEESt5arrayIPcLm3EEEEviT0_T1_.numbered_sgpr, 42
	.set _ZN2at6native29vectorized_elementwise_kernelILi2ENS0_13BinaryFunctorIaabNS0_12_GLOBAL__N_116CompareEqFunctorIaEEEESt5arrayIPcLm3EEEEviT0_T1_.num_named_barrier, 0
	.set _ZN2at6native29vectorized_elementwise_kernelILi2ENS0_13BinaryFunctorIaabNS0_12_GLOBAL__N_116CompareEqFunctorIaEEEESt5arrayIPcLm3EEEEviT0_T1_.private_seg_size, 0
	.set _ZN2at6native29vectorized_elementwise_kernelILi2ENS0_13BinaryFunctorIaabNS0_12_GLOBAL__N_116CompareEqFunctorIaEEEESt5arrayIPcLm3EEEEviT0_T1_.uses_vcc, 1
	.set _ZN2at6native29vectorized_elementwise_kernelILi2ENS0_13BinaryFunctorIaabNS0_12_GLOBAL__N_116CompareEqFunctorIaEEEESt5arrayIPcLm3EEEEviT0_T1_.uses_flat_scratch, 0
	.set _ZN2at6native29vectorized_elementwise_kernelILi2ENS0_13BinaryFunctorIaabNS0_12_GLOBAL__N_116CompareEqFunctorIaEEEESt5arrayIPcLm3EEEEviT0_T1_.has_dyn_sized_stack, 0
	.set _ZN2at6native29vectorized_elementwise_kernelILi2ENS0_13BinaryFunctorIaabNS0_12_GLOBAL__N_116CompareEqFunctorIaEEEESt5arrayIPcLm3EEEEviT0_T1_.has_recursion, 0
	.set _ZN2at6native29vectorized_elementwise_kernelILi2ENS0_13BinaryFunctorIaabNS0_12_GLOBAL__N_116CompareEqFunctorIaEEEESt5arrayIPcLm3EEEEviT0_T1_.has_indirect_call, 0
	.section	.AMDGPU.csdata,"",@progbits
; Kernel info:
; codeLenInByte = 4400
; TotalNumSgprs: 46
; NumVgprs: 39
; ScratchSize: 0
; MemoryBound: 0
; FloatMode: 240
; IeeeMode: 1
; LDSByteSize: 0 bytes/workgroup (compile time only)
; SGPRBlocks: 5
; VGPRBlocks: 9
; NumSGPRsForWavesPerEU: 46
; NumVGPRsForWavesPerEU: 39
; Occupancy: 6
; WaveLimiterHint : 1
; COMPUTE_PGM_RSRC2:SCRATCH_EN: 0
; COMPUTE_PGM_RSRC2:USER_SGPR: 6
; COMPUTE_PGM_RSRC2:TRAP_HANDLER: 0
; COMPUTE_PGM_RSRC2:TGID_X_EN: 1
; COMPUTE_PGM_RSRC2:TGID_Y_EN: 0
; COMPUTE_PGM_RSRC2:TGID_Z_EN: 0
; COMPUTE_PGM_RSRC2:TIDIG_COMP_CNT: 0
	.section	.text._ZN2at6native27unrolled_elementwise_kernelINS0_13BinaryFunctorIaabNS0_12_GLOBAL__N_116CompareEqFunctorIaEEEESt5arrayIPcLm3EELi4E23TrivialOffsetCalculatorILi2EjESA_ILi1EjENS0_6memory15LoadWithoutCastENSD_16StoreWithoutCastEEEviT_T0_T2_T3_T4_T5_,"axG",@progbits,_ZN2at6native27unrolled_elementwise_kernelINS0_13BinaryFunctorIaabNS0_12_GLOBAL__N_116CompareEqFunctorIaEEEESt5arrayIPcLm3EELi4E23TrivialOffsetCalculatorILi2EjESA_ILi1EjENS0_6memory15LoadWithoutCastENSD_16StoreWithoutCastEEEviT_T0_T2_T3_T4_T5_,comdat
	.globl	_ZN2at6native27unrolled_elementwise_kernelINS0_13BinaryFunctorIaabNS0_12_GLOBAL__N_116CompareEqFunctorIaEEEESt5arrayIPcLm3EELi4E23TrivialOffsetCalculatorILi2EjESA_ILi1EjENS0_6memory15LoadWithoutCastENSD_16StoreWithoutCastEEEviT_T0_T2_T3_T4_T5_ ; -- Begin function _ZN2at6native27unrolled_elementwise_kernelINS0_13BinaryFunctorIaabNS0_12_GLOBAL__N_116CompareEqFunctorIaEEEESt5arrayIPcLm3EELi4E23TrivialOffsetCalculatorILi2EjESA_ILi1EjENS0_6memory15LoadWithoutCastENSD_16StoreWithoutCastEEEviT_T0_T2_T3_T4_T5_
	.p2align	8
	.type	_ZN2at6native27unrolled_elementwise_kernelINS0_13BinaryFunctorIaabNS0_12_GLOBAL__N_116CompareEqFunctorIaEEEESt5arrayIPcLm3EELi4E23TrivialOffsetCalculatorILi2EjESA_ILi1EjENS0_6memory15LoadWithoutCastENSD_16StoreWithoutCastEEEviT_T0_T2_T3_T4_T5_,@function
_ZN2at6native27unrolled_elementwise_kernelINS0_13BinaryFunctorIaabNS0_12_GLOBAL__N_116CompareEqFunctorIaEEEESt5arrayIPcLm3EELi4E23TrivialOffsetCalculatorILi2EjESA_ILi1EjENS0_6memory15LoadWithoutCastENSD_16StoreWithoutCastEEEviT_T0_T2_T3_T4_T5_: ; @_ZN2at6native27unrolled_elementwise_kernelINS0_13BinaryFunctorIaabNS0_12_GLOBAL__N_116CompareEqFunctorIaEEEESt5arrayIPcLm3EELi4E23TrivialOffsetCalculatorILi2EjESA_ILi1EjENS0_6memory15LoadWithoutCastENSD_16StoreWithoutCastEEEviT_T0_T2_T3_T4_T5_
; %bb.0:
	s_load_dwordx2 s[2:3], s[4:5], 0x0
	s_load_dwordx4 s[8:11], s[4:5], 0x8
	s_load_dwordx2 s[12:13], s[4:5], 0x18
	s_lshl_b32 s20, s6, 10
                                        ; implicit-def: $vgpr1
	s_waitcnt lgkmcnt(0)
	s_sub_i32 s2, s2, s20
	v_cmp_gt_i32_e32 vcc, s2, v0
	v_cmp_le_i32_e64 s[0:1], s2, v0
	s_and_saveexec_b64 s[4:5], s[0:1]
	s_xor_b64 s[0:1], exec, s[4:5]
; %bb.1:
	v_or_b32_e32 v1, 0x100, v0
; %bb.2:
	s_or_saveexec_b64 s[4:5], s[0:1]
	v_mov_b32_e32 v3, 0
	s_mov_b64 s[6:7], 0
	v_or_b32_e32 v2, s20, v0
	v_mov_b32_e32 v5, 0
	v_mov_b32_e32 v7, 0
	;; [unrolled: 1-line block ×5, first 2 shown]
	s_xor_b64 exec, exec, s[4:5]
	s_cbranch_execz .LBB20_10
; %bb.3:
	global_load_ubyte v4, v2, s[10:11]
	global_load_ubyte v8, v2, s[12:13]
	v_or_b32_e32 v1, 0x100, v0
	v_cmp_gt_u32_e64 s[0:1], s2, v1
	s_mov_b64 s[14:15], 0
	v_mov_b32_e32 v6, 0
	v_mov_b32_e32 v7, 0
	;; [unrolled: 1-line block ×4, first 2 shown]
	s_and_saveexec_b64 s[6:7], s[0:1]
	s_cbranch_execz .LBB20_9
; %bb.4:
	v_add_u32_e32 v3, s20, v1
	global_load_ubyte v7, v3, s[10:11]
	global_load_ubyte v6, v3, s[12:13]
	v_or_b32_e32 v9, 0x200, v0
	v_cmp_gt_u32_e64 s[0:1], s2, v9
	s_mov_b64 s[16:17], 0
	v_mov_b32_e32 v5, 0
	v_mov_b32_e32 v3, 0
	s_and_saveexec_b64 s[14:15], s[0:1]
	s_cbranch_execz .LBB20_8
; %bb.5:
	v_add_u32_e32 v9, s20, v9
	global_load_ubyte v3, v9, s[10:11]
	global_load_ubyte v5, v9, s[12:13]
	v_or_b32_e32 v9, 0x300, v0
	v_cmp_gt_u32_e64 s[0:1], s2, v9
	s_mov_b64 s[18:19], 0
	s_and_saveexec_b64 s[16:17], s[0:1]
	s_cbranch_execz .LBB20_7
; %bb.6:
	v_add_u32_e32 v9, s20, v9
	global_load_ubyte v10, v9, s[10:11]
	global_load_ubyte v11, v9, s[12:13]
	s_waitcnt vmcnt(0)
	v_cmp_ne_u16_e64 s[0:1], v10, v11
	s_and_b64 s[18:19], s[0:1], exec
.LBB20_7:
	s_or_b64 exec, exec, s[16:17]
	s_and_b64 s[16:17], s[18:19], exec
.LBB20_8:
	s_or_b64 exec, exec, s[14:15]
	s_and_b64 s[14:15], s[16:17], exec
.LBB20_9:
	s_or_b64 exec, exec, s[6:7]
	s_and_b64 s[6:7], s[14:15], exec
.LBB20_10:
	s_or_b64 exec, exec, s[4:5]
	s_cmp_eq_u32 s3, 0
	s_cselect_b64 s[4:5], -1, 0
	s_waitcnt vmcnt(0)
	v_cmp_ne_u16_sdwa s[0:1], v4, v8 src0_sel:BYTE_0 src1_sel:BYTE_0
	s_xor_b64 s[0:1], s[4:5], s[0:1]
	v_cndmask_b32_e64 v4, 0, 1, s[0:1]
	v_cmp_ne_u16_sdwa s[0:1], v7, v6 src0_sel:BYTE_0 src1_sel:BYTE_0
	s_xor_b64 s[0:1], s[4:5], s[0:1]
	v_cndmask_b32_e64 v6, 0, 1, s[0:1]
	v_cndmask_b32_e32 v4, 0, v4, vcc
	v_lshlrev_b16_e32 v6, 8, v6
	v_or_b32_e32 v6, v4, v6
	v_and_b32_e32 v6, 0xffff, v6
	v_cmp_gt_i32_e64 s[0:1], s2, v1
	v_cndmask_b32_e64 v4, v4, v6, s[0:1]
	v_cmp_ne_u16_sdwa s[0:1], v3, v5 src0_sel:BYTE_0 src1_sel:BYTE_0
	s_xor_b64 s[0:1], s[4:5], s[0:1]
	v_cndmask_b32_e64 v3, 0, 1, s[0:1]
	v_or_b32_e32 v6, 0x200, v0
	v_lshlrev_b32_e32 v3, 16, v3
	v_or_b32_e32 v3, v4, v3
	v_cmp_gt_i32_e64 s[0:1], s2, v6
	v_cndmask_b32_e64 v3, v4, v3, s[0:1]
	s_xor_b64 s[0:1], s[4:5], s[6:7]
	s_movk_i32 s3, 0xff
	v_cndmask_b32_e64 v6, 0, 1, s[0:1]
	v_and_b32_sdwa v4, v3, s3 dst_sel:DWORD dst_unused:UNUSED_PAD src0_sel:WORD_1 src1_sel:DWORD
	v_lshlrev_b16_e32 v6, 8, v6
	s_mov_b32 s10, 0xffff
	v_or_b32_e32 v5, 0x300, v0
	v_or_b32_sdwa v4, v4, v6 dst_sel:WORD_1 dst_unused:UNUSED_PAD src0_sel:DWORD src1_sel:DWORD
	v_and_or_b32 v4, v3, s10, v4
	v_cmp_gt_i32_e64 s[0:1], s2, v5
	v_cndmask_b32_e64 v3, v3, v4, s[0:1]
	s_and_saveexec_b64 s[0:1], vcc
	s_cbranch_execnz .LBB20_15
; %bb.11:
	s_or_b64 exec, exec, s[0:1]
	v_cmp_gt_i32_e32 vcc, s2, v0
	s_and_saveexec_b64 s[0:1], vcc
	s_cbranch_execnz .LBB20_16
.LBB20_12:
	s_or_b64 exec, exec, s[0:1]
	v_cmp_gt_i32_e32 vcc, s2, v0
	s_and_saveexec_b64 s[0:1], vcc
	s_cbranch_execnz .LBB20_17
.LBB20_13:
	s_or_b64 exec, exec, s[0:1]
	v_cmp_gt_i32_e32 vcc, s2, v0
	s_and_saveexec_b64 s[0:1], vcc
	s_cbranch_execnz .LBB20_18
.LBB20_14:
	s_endpgm
.LBB20_15:
	v_mov_b32_e32 v0, v1
	global_store_byte v2, v3, s[8:9]
	s_or_b64 exec, exec, s[0:1]
	v_cmp_gt_i32_e32 vcc, s2, v0
	s_and_saveexec_b64 s[0:1], vcc
	s_cbranch_execz .LBB20_12
.LBB20_16:
	v_add_u32_e32 v1, 0x100, v0
	v_add_u32_e32 v0, s20, v0
	v_lshrrev_b32_e32 v2, 8, v3
	global_store_byte v0, v2, s[8:9]
	v_mov_b32_e32 v0, v1
	s_or_b64 exec, exec, s[0:1]
	v_cmp_gt_i32_e32 vcc, s2, v0
	s_and_saveexec_b64 s[0:1], vcc
	s_cbranch_execz .LBB20_13
.LBB20_17:
	v_add_u32_e32 v1, 0x100, v0
	v_add_u32_e32 v0, s20, v0
	global_store_byte_d16_hi v0, v3, s[8:9]
	v_mov_b32_e32 v0, v1
	s_or_b64 exec, exec, s[0:1]
	v_cmp_gt_i32_e32 vcc, s2, v0
	s_and_saveexec_b64 s[0:1], vcc
	s_cbranch_execz .LBB20_14
.LBB20_18:
	v_add_u32_e32 v0, s20, v0
	v_lshrrev_b32_e32 v1, 24, v3
	global_store_byte v0, v1, s[8:9]
	s_endpgm
	.section	.rodata,"a",@progbits
	.p2align	6, 0x0
	.amdhsa_kernel _ZN2at6native27unrolled_elementwise_kernelINS0_13BinaryFunctorIaabNS0_12_GLOBAL__N_116CompareEqFunctorIaEEEESt5arrayIPcLm3EELi4E23TrivialOffsetCalculatorILi2EjESA_ILi1EjENS0_6memory15LoadWithoutCastENSD_16StoreWithoutCastEEEviT_T0_T2_T3_T4_T5_
		.amdhsa_group_segment_fixed_size 0
		.amdhsa_private_segment_fixed_size 0
		.amdhsa_kernarg_size 36
		.amdhsa_user_sgpr_count 6
		.amdhsa_user_sgpr_private_segment_buffer 1
		.amdhsa_user_sgpr_dispatch_ptr 0
		.amdhsa_user_sgpr_queue_ptr 0
		.amdhsa_user_sgpr_kernarg_segment_ptr 1
		.amdhsa_user_sgpr_dispatch_id 0
		.amdhsa_user_sgpr_flat_scratch_init 0
		.amdhsa_user_sgpr_private_segment_size 0
		.amdhsa_uses_dynamic_stack 0
		.amdhsa_system_sgpr_private_segment_wavefront_offset 0
		.amdhsa_system_sgpr_workgroup_id_x 1
		.amdhsa_system_sgpr_workgroup_id_y 0
		.amdhsa_system_sgpr_workgroup_id_z 0
		.amdhsa_system_sgpr_workgroup_info 0
		.amdhsa_system_vgpr_workitem_id 0
		.amdhsa_next_free_vgpr 12
		.amdhsa_next_free_sgpr 21
		.amdhsa_reserve_vcc 1
		.amdhsa_reserve_flat_scratch 0
		.amdhsa_float_round_mode_32 0
		.amdhsa_float_round_mode_16_64 0
		.amdhsa_float_denorm_mode_32 3
		.amdhsa_float_denorm_mode_16_64 3
		.amdhsa_dx10_clamp 1
		.amdhsa_ieee_mode 1
		.amdhsa_fp16_overflow 0
		.amdhsa_exception_fp_ieee_invalid_op 0
		.amdhsa_exception_fp_denorm_src 0
		.amdhsa_exception_fp_ieee_div_zero 0
		.amdhsa_exception_fp_ieee_overflow 0
		.amdhsa_exception_fp_ieee_underflow 0
		.amdhsa_exception_fp_ieee_inexact 0
		.amdhsa_exception_int_div_zero 0
	.end_amdhsa_kernel
	.section	.text._ZN2at6native27unrolled_elementwise_kernelINS0_13BinaryFunctorIaabNS0_12_GLOBAL__N_116CompareEqFunctorIaEEEESt5arrayIPcLm3EELi4E23TrivialOffsetCalculatorILi2EjESA_ILi1EjENS0_6memory15LoadWithoutCastENSD_16StoreWithoutCastEEEviT_T0_T2_T3_T4_T5_,"axG",@progbits,_ZN2at6native27unrolled_elementwise_kernelINS0_13BinaryFunctorIaabNS0_12_GLOBAL__N_116CompareEqFunctorIaEEEESt5arrayIPcLm3EELi4E23TrivialOffsetCalculatorILi2EjESA_ILi1EjENS0_6memory15LoadWithoutCastENSD_16StoreWithoutCastEEEviT_T0_T2_T3_T4_T5_,comdat
.Lfunc_end20:
	.size	_ZN2at6native27unrolled_elementwise_kernelINS0_13BinaryFunctorIaabNS0_12_GLOBAL__N_116CompareEqFunctorIaEEEESt5arrayIPcLm3EELi4E23TrivialOffsetCalculatorILi2EjESA_ILi1EjENS0_6memory15LoadWithoutCastENSD_16StoreWithoutCastEEEviT_T0_T2_T3_T4_T5_, .Lfunc_end20-_ZN2at6native27unrolled_elementwise_kernelINS0_13BinaryFunctorIaabNS0_12_GLOBAL__N_116CompareEqFunctorIaEEEESt5arrayIPcLm3EELi4E23TrivialOffsetCalculatorILi2EjESA_ILi1EjENS0_6memory15LoadWithoutCastENSD_16StoreWithoutCastEEEviT_T0_T2_T3_T4_T5_
                                        ; -- End function
	.set _ZN2at6native27unrolled_elementwise_kernelINS0_13BinaryFunctorIaabNS0_12_GLOBAL__N_116CompareEqFunctorIaEEEESt5arrayIPcLm3EELi4E23TrivialOffsetCalculatorILi2EjESA_ILi1EjENS0_6memory15LoadWithoutCastENSD_16StoreWithoutCastEEEviT_T0_T2_T3_T4_T5_.num_vgpr, 12
	.set _ZN2at6native27unrolled_elementwise_kernelINS0_13BinaryFunctorIaabNS0_12_GLOBAL__N_116CompareEqFunctorIaEEEESt5arrayIPcLm3EELi4E23TrivialOffsetCalculatorILi2EjESA_ILi1EjENS0_6memory15LoadWithoutCastENSD_16StoreWithoutCastEEEviT_T0_T2_T3_T4_T5_.num_agpr, 0
	.set _ZN2at6native27unrolled_elementwise_kernelINS0_13BinaryFunctorIaabNS0_12_GLOBAL__N_116CompareEqFunctorIaEEEESt5arrayIPcLm3EELi4E23TrivialOffsetCalculatorILi2EjESA_ILi1EjENS0_6memory15LoadWithoutCastENSD_16StoreWithoutCastEEEviT_T0_T2_T3_T4_T5_.numbered_sgpr, 21
	.set _ZN2at6native27unrolled_elementwise_kernelINS0_13BinaryFunctorIaabNS0_12_GLOBAL__N_116CompareEqFunctorIaEEEESt5arrayIPcLm3EELi4E23TrivialOffsetCalculatorILi2EjESA_ILi1EjENS0_6memory15LoadWithoutCastENSD_16StoreWithoutCastEEEviT_T0_T2_T3_T4_T5_.num_named_barrier, 0
	.set _ZN2at6native27unrolled_elementwise_kernelINS0_13BinaryFunctorIaabNS0_12_GLOBAL__N_116CompareEqFunctorIaEEEESt5arrayIPcLm3EELi4E23TrivialOffsetCalculatorILi2EjESA_ILi1EjENS0_6memory15LoadWithoutCastENSD_16StoreWithoutCastEEEviT_T0_T2_T3_T4_T5_.private_seg_size, 0
	.set _ZN2at6native27unrolled_elementwise_kernelINS0_13BinaryFunctorIaabNS0_12_GLOBAL__N_116CompareEqFunctorIaEEEESt5arrayIPcLm3EELi4E23TrivialOffsetCalculatorILi2EjESA_ILi1EjENS0_6memory15LoadWithoutCastENSD_16StoreWithoutCastEEEviT_T0_T2_T3_T4_T5_.uses_vcc, 1
	.set _ZN2at6native27unrolled_elementwise_kernelINS0_13BinaryFunctorIaabNS0_12_GLOBAL__N_116CompareEqFunctorIaEEEESt5arrayIPcLm3EELi4E23TrivialOffsetCalculatorILi2EjESA_ILi1EjENS0_6memory15LoadWithoutCastENSD_16StoreWithoutCastEEEviT_T0_T2_T3_T4_T5_.uses_flat_scratch, 0
	.set _ZN2at6native27unrolled_elementwise_kernelINS0_13BinaryFunctorIaabNS0_12_GLOBAL__N_116CompareEqFunctorIaEEEESt5arrayIPcLm3EELi4E23TrivialOffsetCalculatorILi2EjESA_ILi1EjENS0_6memory15LoadWithoutCastENSD_16StoreWithoutCastEEEviT_T0_T2_T3_T4_T5_.has_dyn_sized_stack, 0
	.set _ZN2at6native27unrolled_elementwise_kernelINS0_13BinaryFunctorIaabNS0_12_GLOBAL__N_116CompareEqFunctorIaEEEESt5arrayIPcLm3EELi4E23TrivialOffsetCalculatorILi2EjESA_ILi1EjENS0_6memory15LoadWithoutCastENSD_16StoreWithoutCastEEEviT_T0_T2_T3_T4_T5_.has_recursion, 0
	.set _ZN2at6native27unrolled_elementwise_kernelINS0_13BinaryFunctorIaabNS0_12_GLOBAL__N_116CompareEqFunctorIaEEEESt5arrayIPcLm3EELi4E23TrivialOffsetCalculatorILi2EjESA_ILi1EjENS0_6memory15LoadWithoutCastENSD_16StoreWithoutCastEEEviT_T0_T2_T3_T4_T5_.has_indirect_call, 0
	.section	.AMDGPU.csdata,"",@progbits
; Kernel info:
; codeLenInByte = 744
; TotalNumSgprs: 25
; NumVgprs: 12
; ScratchSize: 0
; MemoryBound: 0
; FloatMode: 240
; IeeeMode: 1
; LDSByteSize: 0 bytes/workgroup (compile time only)
; SGPRBlocks: 3
; VGPRBlocks: 2
; NumSGPRsForWavesPerEU: 25
; NumVGPRsForWavesPerEU: 12
; Occupancy: 10
; WaveLimiterHint : 0
; COMPUTE_PGM_RSRC2:SCRATCH_EN: 0
; COMPUTE_PGM_RSRC2:USER_SGPR: 6
; COMPUTE_PGM_RSRC2:TRAP_HANDLER: 0
; COMPUTE_PGM_RSRC2:TGID_X_EN: 1
; COMPUTE_PGM_RSRC2:TGID_Y_EN: 0
; COMPUTE_PGM_RSRC2:TGID_Z_EN: 0
; COMPUTE_PGM_RSRC2:TIDIG_COMP_CNT: 0
	.section	.text._ZN2at6native32elementwise_kernel_manual_unrollILi128ELi8EZNS0_22gpu_kernel_impl_nocastINS0_13BinaryFunctorIaabNS0_12_GLOBAL__N_116CompareEqFunctorIaEEEEEEvRNS_18TensorIteratorBaseERKT_EUlibE_EEviT1_,"axG",@progbits,_ZN2at6native32elementwise_kernel_manual_unrollILi128ELi8EZNS0_22gpu_kernel_impl_nocastINS0_13BinaryFunctorIaabNS0_12_GLOBAL__N_116CompareEqFunctorIaEEEEEEvRNS_18TensorIteratorBaseERKT_EUlibE_EEviT1_,comdat
	.globl	_ZN2at6native32elementwise_kernel_manual_unrollILi128ELi8EZNS0_22gpu_kernel_impl_nocastINS0_13BinaryFunctorIaabNS0_12_GLOBAL__N_116CompareEqFunctorIaEEEEEEvRNS_18TensorIteratorBaseERKT_EUlibE_EEviT1_ ; -- Begin function _ZN2at6native32elementwise_kernel_manual_unrollILi128ELi8EZNS0_22gpu_kernel_impl_nocastINS0_13BinaryFunctorIaabNS0_12_GLOBAL__N_116CompareEqFunctorIaEEEEEEvRNS_18TensorIteratorBaseERKT_EUlibE_EEviT1_
	.p2align	8
	.type	_ZN2at6native32elementwise_kernel_manual_unrollILi128ELi8EZNS0_22gpu_kernel_impl_nocastINS0_13BinaryFunctorIaabNS0_12_GLOBAL__N_116CompareEqFunctorIaEEEEEEvRNS_18TensorIteratorBaseERKT_EUlibE_EEviT1_,@function
_ZN2at6native32elementwise_kernel_manual_unrollILi128ELi8EZNS0_22gpu_kernel_impl_nocastINS0_13BinaryFunctorIaabNS0_12_GLOBAL__N_116CompareEqFunctorIaEEEEEEvRNS_18TensorIteratorBaseERKT_EUlibE_EEviT1_: ; @_ZN2at6native32elementwise_kernel_manual_unrollILi128ELi8EZNS0_22gpu_kernel_impl_nocastINS0_13BinaryFunctorIaabNS0_12_GLOBAL__N_116CompareEqFunctorIaEEEEEEvRNS_18TensorIteratorBaseERKT_EUlibE_EEviT1_
; %bb.0:
	s_load_dword s38, s[4:5], 0x0
	s_load_dword s33, s[4:5], 0x8
	s_add_u32 s12, s4, 8
	s_addc_u32 s13, s5, 0
	v_lshl_or_b32 v31, s6, 10, v0
	v_or_b32_e32 v41, 0x380, v31
	s_waitcnt lgkmcnt(0)
	s_add_i32 s36, s33, -1
	s_cmp_gt_u32 s36, 1
	v_cmp_le_i32_e32 vcc, s38, v41
	s_cselect_b64 s[14:15], -1, 0
	s_and_saveexec_b64 s[0:1], vcc
	s_xor_b64 s[16:17], exec, s[0:1]
	s_cbranch_execz .LBB21_106
; %bb.1:
	s_load_dwordx4 s[8:11], s[12:13], 0x4
	s_load_dwordx2 s[24:25], s[12:13], 0x14
	s_load_dwordx4 s[4:7], s[12:13], 0xc4
	s_load_dwordx2 s[22:23], s[12:13], 0xd4
	s_load_dword s20, s[12:13], 0x1a0
	s_cmp_lg_u32 s33, 0
	s_load_dwordx2 s[18:19], s[12:13], 0x198
	s_load_dwordx4 s[0:3], s[12:13], 0x188
	s_cselect_b64 s[28:29], -1, 0
	s_min_u32 s37, s36, 15
	s_cmp_gt_u32 s33, 1
	s_cselect_b64 s[26:27], -1, 0
	s_waitcnt lgkmcnt(0)
	s_cmp_eq_u32 s20, 0
	s_cselect_b64 s[20:21], -1, 0
	v_cmp_gt_i32_e32 vcc, s38, v31
	s_and_saveexec_b64 s[30:31], vcc
	s_cbranch_execnz .LBB21_9
; %bb.2:
	s_or_b64 exec, exec, s[30:31]
	v_cmp_gt_i32_e32 vcc, s38, v31
	s_and_saveexec_b64 s[30:31], vcc
	s_cbranch_execnz .LBB21_21
.LBB21_3:
	s_or_b64 exec, exec, s[30:31]
	v_cmp_gt_i32_e32 vcc, s38, v31
	s_and_saveexec_b64 s[30:31], vcc
	s_cbranch_execnz .LBB21_33
.LBB21_4:
	s_or_b64 exec, exec, s[30:31]
	v_cmp_gt_i32_e32 vcc, s38, v31
	s_and_saveexec_b64 s[30:31], vcc
	s_cbranch_execnz .LBB21_45
.LBB21_5:
	s_or_b64 exec, exec, s[30:31]
	v_cmp_gt_i32_e32 vcc, s38, v31
	s_and_saveexec_b64 s[30:31], vcc
	s_cbranch_execnz .LBB21_57
.LBB21_6:
	s_or_b64 exec, exec, s[30:31]
	v_cmp_gt_i32_e32 vcc, s38, v31
	s_and_saveexec_b64 s[30:31], vcc
	s_cbranch_execnz .LBB21_69
.LBB21_7:
	s_or_b64 exec, exec, s[30:31]
	v_cmp_gt_i32_e32 vcc, s38, v31
	s_and_saveexec_b64 s[30:31], vcc
	s_cbranch_execnz .LBB21_81
.LBB21_8:
	s_or_b64 exec, exec, s[30:31]
	v_cmp_gt_i32_e32 vcc, s38, v31
	s_and_saveexec_b64 s[30:31], vcc
	s_cbranch_execnz .LBB21_93
	s_branch .LBB21_105
.LBB21_9:
	s_andn2_b64 vcc, exec, s[14:15]
	s_cbranch_vccnz .LBB21_15
; %bb.10:
	s_andn2_b64 vcc, exec, s[28:29]
	s_cbranch_vccnz .LBB21_16
; %bb.11:
	s_add_i32 s34, s37, 1
	s_and_b32 s39, s34, 30
	s_add_u32 s34, s12, 0xffffffe8
	s_addc_u32 s35, s13, -1
	v_mov_b32_e32 v2, 0
	v_mov_b32_e32 v4, 0
	v_mov_b32_e32 v0, 0
	v_mov_b32_e32 v1, v31
.LBB21_12:                              ; =>This Inner Loop Header: Depth=1
	s_load_dwordx4 s[40:43], s[34:35], 0x1c
	s_load_dwordx2 s[48:49], s[34:35], 0x2c
	s_load_dwordx2 s[50:51], s[34:35], 0xec
	s_load_dwordx4 s[44:47], s[34:35], 0xdc
	s_add_u32 s34, s34, 24
	s_waitcnt lgkmcnt(0)
	v_mul_hi_u32 v3, s41, v1
	s_addc_u32 s35, s35, 0
	s_add_i32 s39, s39, -2
	s_cmp_lg_u32 s39, 0
	v_add_u32_e32 v3, v1, v3
	v_lshrrev_b32_e32 v3, s42, v3
	v_mul_lo_u32 v5, v3, s40
	v_mul_hi_u32 v6, s48, v3
	v_sub_u32_e32 v5, v1, v5
	v_add_u32_e32 v1, v3, v6
	v_lshrrev_b32_e32 v1, s49, v1
	v_mul_lo_u32 v8, v1, s43
	v_mul_lo_u32 v6, v5, s44
	;; [unrolled: 1-line block ×4, first 2 shown]
	v_sub_u32_e32 v3, v3, v8
	v_mul_lo_u32 v8, v3, s47
	v_mul_lo_u32 v9, v3, s50
	;; [unrolled: 1-line block ×3, first 2 shown]
	v_add3_u32 v0, v6, v0, v8
	v_add3_u32 v4, v7, v4, v9
	;; [unrolled: 1-line block ×3, first 2 shown]
	s_cbranch_scc1 .LBB21_12
; %bb.13:
	s_bitcmp1_b32 s37, 0
	s_cselect_b64 s[40:41], -1, 0
	s_and_b64 vcc, exec, s[40:41]
	s_cbranch_vccnz .LBB21_17
; %bb.14:
	s_load_dwordx2 s[40:41], s[34:35], 0x1c
	s_load_dword s39, s[34:35], 0x24
	s_load_dwordx2 s[42:43], s[34:35], 0xdc
	s_waitcnt lgkmcnt(0)
	v_mul_hi_u32 v3, s41, v1
	v_add_u32_e32 v3, v1, v3
	v_lshrrev_b32_e32 v3, s39, v3
	v_mul_lo_u32 v3, v3, s40
	s_load_dword s39, s[34:35], 0xe4
	v_sub_u32_e32 v3, v1, v3
	v_mad_u64_u32 v[0:1], s[34:35], v3, s42, v[0:1]
	v_mad_u64_u32 v[4:5], s[34:35], v3, s43, v[4:5]
	s_waitcnt lgkmcnt(0)
	v_mad_u64_u32 v[2:3], s[34:35], v3, s39, v[2:3]
	s_cbranch_execz .LBB21_18
	s_branch .LBB21_20
.LBB21_15:
                                        ; implicit-def: $vgpr0
                                        ; implicit-def: $vgpr4
                                        ; implicit-def: $vgpr2
	s_branch .LBB21_18
.LBB21_16:
	v_mov_b32_e32 v0, 0
	v_mov_b32_e32 v4, 0
	;; [unrolled: 1-line block ×3, first 2 shown]
.LBB21_17:
	s_cbranch_execnz .LBB21_20
.LBB21_18:
	v_mul_hi_u32 v0, s9, v31
	s_andn2_b64 vcc, exec, s[26:27]
	v_add_u32_e32 v0, v31, v0
	v_lshrrev_b32_e32 v1, s10, v0
	v_mul_lo_u32 v0, v1, s8
	v_sub_u32_e32 v2, v31, v0
	v_mul_lo_u32 v0, v2, s4
	v_mul_lo_u32 v4, v2, s5
	;; [unrolled: 1-line block ×3, first 2 shown]
	s_cbranch_vccnz .LBB21_20
; %bb.19:
	v_mul_hi_u32 v3, s24, v1
	v_add_u32_e32 v3, v1, v3
	v_lshrrev_b32_e32 v3, s25, v3
	v_mul_lo_u32 v3, v3, s11
	v_sub_u32_e32 v3, v1, v3
	v_mad_u64_u32 v[0:1], s[34:35], v3, s7, v[0:1]
	v_mad_u64_u32 v[4:5], s[34:35], v3, s22, v[4:5]
	;; [unrolled: 1-line block ×3, first 2 shown]
.LBB21_20:
	global_load_ubyte v1, v4, s[2:3]
	global_load_ubyte v3, v2, s[18:19]
	v_add_u32_e32 v31, 0x80, v31
	s_waitcnt vmcnt(0)
	v_cmp_ne_u16_e32 vcc, v1, v3
	s_xor_b64 s[34:35], s[20:21], vcc
	v_cndmask_b32_e64 v1, 0, 1, s[34:35]
	global_store_byte v0, v1, s[0:1]
	s_or_b64 exec, exec, s[30:31]
	v_cmp_gt_i32_e32 vcc, s38, v31
	s_and_saveexec_b64 s[30:31], vcc
	s_cbranch_execz .LBB21_3
.LBB21_21:
	s_andn2_b64 vcc, exec, s[14:15]
	s_cbranch_vccnz .LBB21_27
; %bb.22:
	s_andn2_b64 vcc, exec, s[28:29]
	s_cbranch_vccnz .LBB21_28
; %bb.23:
	s_add_i32 s34, s37, 1
	s_and_b32 s39, s34, 30
	s_add_u32 s34, s12, 0xffffffe8
	s_addc_u32 s35, s13, -1
	v_mov_b32_e32 v2, 0
	v_mov_b32_e32 v4, 0
	;; [unrolled: 1-line block ×4, first 2 shown]
.LBB21_24:                              ; =>This Inner Loop Header: Depth=1
	s_load_dwordx4 s[40:43], s[34:35], 0x1c
	s_load_dwordx2 s[48:49], s[34:35], 0x2c
	s_load_dwordx2 s[50:51], s[34:35], 0xec
	s_load_dwordx4 s[44:47], s[34:35], 0xdc
	s_add_u32 s34, s34, 24
	s_waitcnt lgkmcnt(0)
	v_mul_hi_u32 v3, s41, v1
	s_addc_u32 s35, s35, 0
	s_add_i32 s39, s39, -2
	s_cmp_eq_u32 s39, 0
	v_add_u32_e32 v3, v1, v3
	v_lshrrev_b32_e32 v3, s42, v3
	v_mul_lo_u32 v5, v3, s40
	v_mul_hi_u32 v6, s48, v3
	v_sub_u32_e32 v5, v1, v5
	v_add_u32_e32 v1, v3, v6
	v_lshrrev_b32_e32 v1, s49, v1
	v_mul_lo_u32 v8, v1, s43
	v_mul_lo_u32 v6, v5, s44
	;; [unrolled: 1-line block ×4, first 2 shown]
	v_sub_u32_e32 v3, v3, v8
	v_mul_lo_u32 v8, v3, s47
	v_mul_lo_u32 v9, v3, s50
	;; [unrolled: 1-line block ×3, first 2 shown]
	v_add3_u32 v0, v6, v0, v8
	v_add3_u32 v4, v7, v4, v9
	;; [unrolled: 1-line block ×3, first 2 shown]
	s_cbranch_scc0 .LBB21_24
; %bb.25:
	s_bitcmp1_b32 s37, 0
	s_cselect_b64 s[40:41], -1, 0
	s_and_b64 vcc, exec, s[40:41]
	s_cbranch_vccnz .LBB21_29
; %bb.26:
	s_load_dwordx2 s[40:41], s[34:35], 0x1c
	s_load_dword s39, s[34:35], 0x24
	s_load_dwordx2 s[42:43], s[34:35], 0xdc
	s_waitcnt lgkmcnt(0)
	v_mul_hi_u32 v3, s41, v1
	v_add_u32_e32 v3, v1, v3
	v_lshrrev_b32_e32 v3, s39, v3
	v_mul_lo_u32 v3, v3, s40
	s_load_dword s39, s[34:35], 0xe4
	v_sub_u32_e32 v3, v1, v3
	v_mad_u64_u32 v[0:1], s[34:35], v3, s42, v[0:1]
	v_mad_u64_u32 v[4:5], s[34:35], v3, s43, v[4:5]
	s_waitcnt lgkmcnt(0)
	v_mad_u64_u32 v[2:3], s[34:35], v3, s39, v[2:3]
	s_branch .LBB21_29
.LBB21_27:
                                        ; implicit-def: $vgpr0
                                        ; implicit-def: $vgpr4
                                        ; implicit-def: $vgpr2
	s_branch .LBB21_30
.LBB21_28:
	v_mov_b32_e32 v0, 0
	v_mov_b32_e32 v4, 0
	;; [unrolled: 1-line block ×3, first 2 shown]
.LBB21_29:
	s_cbranch_execnz .LBB21_32
.LBB21_30:
	v_mul_hi_u32 v0, s9, v31
	s_andn2_b64 vcc, exec, s[26:27]
	v_add_u32_e32 v0, v31, v0
	v_lshrrev_b32_e32 v1, s10, v0
	v_mul_lo_u32 v0, v1, s8
	v_sub_u32_e32 v2, v31, v0
	v_mul_lo_u32 v0, v2, s4
	v_mul_lo_u32 v4, v2, s5
	;; [unrolled: 1-line block ×3, first 2 shown]
	s_cbranch_vccnz .LBB21_32
; %bb.31:
	v_mul_hi_u32 v3, s24, v1
	v_add_u32_e32 v3, v1, v3
	v_lshrrev_b32_e32 v3, s25, v3
	v_mul_lo_u32 v3, v3, s11
	v_sub_u32_e32 v3, v1, v3
	v_mad_u64_u32 v[0:1], s[34:35], v3, s7, v[0:1]
	v_mad_u64_u32 v[4:5], s[34:35], v3, s22, v[4:5]
	;; [unrolled: 1-line block ×3, first 2 shown]
.LBB21_32:
	global_load_ubyte v1, v4, s[2:3]
	global_load_ubyte v3, v2, s[18:19]
	v_add_u32_e32 v31, 0x80, v31
	s_waitcnt vmcnt(0)
	v_cmp_ne_u16_e32 vcc, v1, v3
	s_xor_b64 s[34:35], s[20:21], vcc
	v_cndmask_b32_e64 v1, 0, 1, s[34:35]
	global_store_byte v0, v1, s[0:1]
	s_or_b64 exec, exec, s[30:31]
	v_cmp_gt_i32_e32 vcc, s38, v31
	s_and_saveexec_b64 s[30:31], vcc
	s_cbranch_execz .LBB21_4
.LBB21_33:
	s_andn2_b64 vcc, exec, s[14:15]
	s_cbranch_vccnz .LBB21_39
; %bb.34:
	s_andn2_b64 vcc, exec, s[28:29]
	s_cbranch_vccnz .LBB21_40
; %bb.35:
	s_add_i32 s34, s37, 1
	s_and_b32 s39, s34, 30
	s_add_u32 s34, s12, 0xffffffe8
	s_addc_u32 s35, s13, -1
	v_mov_b32_e32 v2, 0
	v_mov_b32_e32 v4, 0
	;; [unrolled: 1-line block ×4, first 2 shown]
.LBB21_36:                              ; =>This Inner Loop Header: Depth=1
	s_load_dwordx4 s[40:43], s[34:35], 0x1c
	s_load_dwordx2 s[48:49], s[34:35], 0x2c
	s_load_dwordx2 s[50:51], s[34:35], 0xec
	s_load_dwordx4 s[44:47], s[34:35], 0xdc
	s_add_u32 s34, s34, 24
	s_waitcnt lgkmcnt(0)
	v_mul_hi_u32 v3, s41, v1
	s_addc_u32 s35, s35, 0
	s_add_i32 s39, s39, -2
	s_cmp_eq_u32 s39, 0
	v_add_u32_e32 v3, v1, v3
	v_lshrrev_b32_e32 v3, s42, v3
	v_mul_lo_u32 v5, v3, s40
	v_mul_hi_u32 v6, s48, v3
	v_sub_u32_e32 v5, v1, v5
	v_add_u32_e32 v1, v3, v6
	v_lshrrev_b32_e32 v1, s49, v1
	v_mul_lo_u32 v8, v1, s43
	v_mul_lo_u32 v6, v5, s44
	;; [unrolled: 1-line block ×4, first 2 shown]
	v_sub_u32_e32 v3, v3, v8
	v_mul_lo_u32 v8, v3, s47
	v_mul_lo_u32 v9, v3, s50
	;; [unrolled: 1-line block ×3, first 2 shown]
	v_add3_u32 v0, v6, v0, v8
	v_add3_u32 v4, v7, v4, v9
	;; [unrolled: 1-line block ×3, first 2 shown]
	s_cbranch_scc0 .LBB21_36
; %bb.37:
	s_bitcmp1_b32 s37, 0
	s_cselect_b64 s[40:41], -1, 0
	s_and_b64 vcc, exec, s[40:41]
	s_cbranch_vccnz .LBB21_41
; %bb.38:
	s_load_dwordx2 s[40:41], s[34:35], 0x1c
	s_load_dword s39, s[34:35], 0x24
	s_load_dwordx2 s[42:43], s[34:35], 0xdc
	s_waitcnt lgkmcnt(0)
	v_mul_hi_u32 v3, s41, v1
	v_add_u32_e32 v3, v1, v3
	v_lshrrev_b32_e32 v3, s39, v3
	v_mul_lo_u32 v3, v3, s40
	s_load_dword s39, s[34:35], 0xe4
	v_sub_u32_e32 v3, v1, v3
	v_mad_u64_u32 v[0:1], s[34:35], v3, s42, v[0:1]
	v_mad_u64_u32 v[4:5], s[34:35], v3, s43, v[4:5]
	s_waitcnt lgkmcnt(0)
	v_mad_u64_u32 v[2:3], s[34:35], v3, s39, v[2:3]
	s_branch .LBB21_41
.LBB21_39:
                                        ; implicit-def: $vgpr0
                                        ; implicit-def: $vgpr4
                                        ; implicit-def: $vgpr2
	s_branch .LBB21_42
.LBB21_40:
	v_mov_b32_e32 v0, 0
	v_mov_b32_e32 v4, 0
	;; [unrolled: 1-line block ×3, first 2 shown]
.LBB21_41:
	s_cbranch_execnz .LBB21_44
.LBB21_42:
	v_mul_hi_u32 v0, s9, v31
	s_andn2_b64 vcc, exec, s[26:27]
	v_add_u32_e32 v0, v31, v0
	v_lshrrev_b32_e32 v1, s10, v0
	v_mul_lo_u32 v0, v1, s8
	v_sub_u32_e32 v2, v31, v0
	v_mul_lo_u32 v0, v2, s4
	v_mul_lo_u32 v4, v2, s5
	;; [unrolled: 1-line block ×3, first 2 shown]
	s_cbranch_vccnz .LBB21_44
; %bb.43:
	v_mul_hi_u32 v3, s24, v1
	v_add_u32_e32 v3, v1, v3
	v_lshrrev_b32_e32 v3, s25, v3
	v_mul_lo_u32 v3, v3, s11
	v_sub_u32_e32 v3, v1, v3
	v_mad_u64_u32 v[0:1], s[34:35], v3, s7, v[0:1]
	v_mad_u64_u32 v[4:5], s[34:35], v3, s22, v[4:5]
	;; [unrolled: 1-line block ×3, first 2 shown]
.LBB21_44:
	global_load_ubyte v1, v4, s[2:3]
	global_load_ubyte v3, v2, s[18:19]
	v_add_u32_e32 v31, 0x80, v31
	s_waitcnt vmcnt(0)
	v_cmp_ne_u16_e32 vcc, v1, v3
	s_xor_b64 s[34:35], s[20:21], vcc
	v_cndmask_b32_e64 v1, 0, 1, s[34:35]
	global_store_byte v0, v1, s[0:1]
	s_or_b64 exec, exec, s[30:31]
	v_cmp_gt_i32_e32 vcc, s38, v31
	s_and_saveexec_b64 s[30:31], vcc
	s_cbranch_execz .LBB21_5
.LBB21_45:
	s_andn2_b64 vcc, exec, s[14:15]
	s_cbranch_vccnz .LBB21_51
; %bb.46:
	s_andn2_b64 vcc, exec, s[28:29]
	s_cbranch_vccnz .LBB21_52
; %bb.47:
	s_add_i32 s34, s37, 1
	s_and_b32 s39, s34, 30
	s_add_u32 s34, s12, 0xffffffe8
	s_addc_u32 s35, s13, -1
	v_mov_b32_e32 v2, 0
	v_mov_b32_e32 v4, 0
	;; [unrolled: 1-line block ×4, first 2 shown]
.LBB21_48:                              ; =>This Inner Loop Header: Depth=1
	s_load_dwordx4 s[40:43], s[34:35], 0x1c
	s_load_dwordx2 s[48:49], s[34:35], 0x2c
	s_load_dwordx2 s[50:51], s[34:35], 0xec
	s_load_dwordx4 s[44:47], s[34:35], 0xdc
	s_add_u32 s34, s34, 24
	s_waitcnt lgkmcnt(0)
	v_mul_hi_u32 v3, s41, v1
	s_addc_u32 s35, s35, 0
	s_add_i32 s39, s39, -2
	s_cmp_eq_u32 s39, 0
	v_add_u32_e32 v3, v1, v3
	v_lshrrev_b32_e32 v3, s42, v3
	v_mul_lo_u32 v5, v3, s40
	v_mul_hi_u32 v6, s48, v3
	v_sub_u32_e32 v5, v1, v5
	v_add_u32_e32 v1, v3, v6
	v_lshrrev_b32_e32 v1, s49, v1
	v_mul_lo_u32 v8, v1, s43
	v_mul_lo_u32 v6, v5, s44
	;; [unrolled: 1-line block ×4, first 2 shown]
	v_sub_u32_e32 v3, v3, v8
	v_mul_lo_u32 v8, v3, s47
	v_mul_lo_u32 v9, v3, s50
	;; [unrolled: 1-line block ×3, first 2 shown]
	v_add3_u32 v0, v6, v0, v8
	v_add3_u32 v4, v7, v4, v9
	;; [unrolled: 1-line block ×3, first 2 shown]
	s_cbranch_scc0 .LBB21_48
; %bb.49:
	s_bitcmp1_b32 s37, 0
	s_cselect_b64 s[40:41], -1, 0
	s_and_b64 vcc, exec, s[40:41]
	s_cbranch_vccnz .LBB21_53
; %bb.50:
	s_load_dwordx2 s[40:41], s[34:35], 0x1c
	s_load_dword s39, s[34:35], 0x24
	s_load_dwordx2 s[42:43], s[34:35], 0xdc
	s_waitcnt lgkmcnt(0)
	v_mul_hi_u32 v3, s41, v1
	v_add_u32_e32 v3, v1, v3
	v_lshrrev_b32_e32 v3, s39, v3
	v_mul_lo_u32 v3, v3, s40
	s_load_dword s39, s[34:35], 0xe4
	v_sub_u32_e32 v3, v1, v3
	v_mad_u64_u32 v[0:1], s[34:35], v3, s42, v[0:1]
	v_mad_u64_u32 v[4:5], s[34:35], v3, s43, v[4:5]
	s_waitcnt lgkmcnt(0)
	v_mad_u64_u32 v[2:3], s[34:35], v3, s39, v[2:3]
	s_branch .LBB21_53
.LBB21_51:
                                        ; implicit-def: $vgpr0
                                        ; implicit-def: $vgpr4
                                        ; implicit-def: $vgpr2
	s_branch .LBB21_54
.LBB21_52:
	v_mov_b32_e32 v0, 0
	v_mov_b32_e32 v4, 0
	;; [unrolled: 1-line block ×3, first 2 shown]
.LBB21_53:
	s_cbranch_execnz .LBB21_56
.LBB21_54:
	v_mul_hi_u32 v0, s9, v31
	s_andn2_b64 vcc, exec, s[26:27]
	v_add_u32_e32 v0, v31, v0
	v_lshrrev_b32_e32 v1, s10, v0
	v_mul_lo_u32 v0, v1, s8
	v_sub_u32_e32 v2, v31, v0
	v_mul_lo_u32 v0, v2, s4
	v_mul_lo_u32 v4, v2, s5
	;; [unrolled: 1-line block ×3, first 2 shown]
	s_cbranch_vccnz .LBB21_56
; %bb.55:
	v_mul_hi_u32 v3, s24, v1
	v_add_u32_e32 v3, v1, v3
	v_lshrrev_b32_e32 v3, s25, v3
	v_mul_lo_u32 v3, v3, s11
	v_sub_u32_e32 v3, v1, v3
	v_mad_u64_u32 v[0:1], s[34:35], v3, s7, v[0:1]
	v_mad_u64_u32 v[4:5], s[34:35], v3, s22, v[4:5]
	;; [unrolled: 1-line block ×3, first 2 shown]
.LBB21_56:
	global_load_ubyte v1, v4, s[2:3]
	global_load_ubyte v3, v2, s[18:19]
	v_add_u32_e32 v31, 0x80, v31
	s_waitcnt vmcnt(0)
	v_cmp_ne_u16_e32 vcc, v1, v3
	s_xor_b64 s[34:35], s[20:21], vcc
	v_cndmask_b32_e64 v1, 0, 1, s[34:35]
	global_store_byte v0, v1, s[0:1]
	s_or_b64 exec, exec, s[30:31]
	v_cmp_gt_i32_e32 vcc, s38, v31
	s_and_saveexec_b64 s[30:31], vcc
	s_cbranch_execz .LBB21_6
.LBB21_57:
	s_andn2_b64 vcc, exec, s[14:15]
	s_cbranch_vccnz .LBB21_63
; %bb.58:
	s_andn2_b64 vcc, exec, s[28:29]
	s_cbranch_vccnz .LBB21_64
; %bb.59:
	s_add_i32 s34, s37, 1
	s_and_b32 s39, s34, 30
	s_add_u32 s34, s12, 0xffffffe8
	s_addc_u32 s35, s13, -1
	v_mov_b32_e32 v2, 0
	v_mov_b32_e32 v4, 0
	;; [unrolled: 1-line block ×4, first 2 shown]
.LBB21_60:                              ; =>This Inner Loop Header: Depth=1
	s_load_dwordx4 s[40:43], s[34:35], 0x1c
	s_load_dwordx2 s[48:49], s[34:35], 0x2c
	s_load_dwordx2 s[50:51], s[34:35], 0xec
	s_load_dwordx4 s[44:47], s[34:35], 0xdc
	s_add_u32 s34, s34, 24
	s_waitcnt lgkmcnt(0)
	v_mul_hi_u32 v3, s41, v1
	s_addc_u32 s35, s35, 0
	s_add_i32 s39, s39, -2
	s_cmp_eq_u32 s39, 0
	v_add_u32_e32 v3, v1, v3
	v_lshrrev_b32_e32 v3, s42, v3
	v_mul_lo_u32 v5, v3, s40
	v_mul_hi_u32 v6, s48, v3
	v_sub_u32_e32 v5, v1, v5
	v_add_u32_e32 v1, v3, v6
	v_lshrrev_b32_e32 v1, s49, v1
	v_mul_lo_u32 v8, v1, s43
	v_mul_lo_u32 v6, v5, s44
	;; [unrolled: 1-line block ×4, first 2 shown]
	v_sub_u32_e32 v3, v3, v8
	v_mul_lo_u32 v8, v3, s47
	v_mul_lo_u32 v9, v3, s50
	;; [unrolled: 1-line block ×3, first 2 shown]
	v_add3_u32 v0, v6, v0, v8
	v_add3_u32 v4, v7, v4, v9
	;; [unrolled: 1-line block ×3, first 2 shown]
	s_cbranch_scc0 .LBB21_60
; %bb.61:
	s_bitcmp1_b32 s37, 0
	s_cselect_b64 s[40:41], -1, 0
	s_and_b64 vcc, exec, s[40:41]
	s_cbranch_vccnz .LBB21_65
; %bb.62:
	s_load_dwordx2 s[40:41], s[34:35], 0x1c
	s_load_dword s39, s[34:35], 0x24
	s_load_dwordx2 s[42:43], s[34:35], 0xdc
	s_waitcnt lgkmcnt(0)
	v_mul_hi_u32 v3, s41, v1
	v_add_u32_e32 v3, v1, v3
	v_lshrrev_b32_e32 v3, s39, v3
	v_mul_lo_u32 v3, v3, s40
	s_load_dword s39, s[34:35], 0xe4
	v_sub_u32_e32 v3, v1, v3
	v_mad_u64_u32 v[0:1], s[34:35], v3, s42, v[0:1]
	v_mad_u64_u32 v[4:5], s[34:35], v3, s43, v[4:5]
	s_waitcnt lgkmcnt(0)
	v_mad_u64_u32 v[2:3], s[34:35], v3, s39, v[2:3]
	s_branch .LBB21_65
.LBB21_63:
                                        ; implicit-def: $vgpr0
                                        ; implicit-def: $vgpr4
                                        ; implicit-def: $vgpr2
	s_branch .LBB21_66
.LBB21_64:
	v_mov_b32_e32 v0, 0
	v_mov_b32_e32 v4, 0
	;; [unrolled: 1-line block ×3, first 2 shown]
.LBB21_65:
	s_cbranch_execnz .LBB21_68
.LBB21_66:
	v_mul_hi_u32 v0, s9, v31
	s_andn2_b64 vcc, exec, s[26:27]
	v_add_u32_e32 v0, v31, v0
	v_lshrrev_b32_e32 v1, s10, v0
	v_mul_lo_u32 v0, v1, s8
	v_sub_u32_e32 v2, v31, v0
	v_mul_lo_u32 v0, v2, s4
	v_mul_lo_u32 v4, v2, s5
	;; [unrolled: 1-line block ×3, first 2 shown]
	s_cbranch_vccnz .LBB21_68
; %bb.67:
	v_mul_hi_u32 v3, s24, v1
	v_add_u32_e32 v3, v1, v3
	v_lshrrev_b32_e32 v3, s25, v3
	v_mul_lo_u32 v3, v3, s11
	v_sub_u32_e32 v3, v1, v3
	v_mad_u64_u32 v[0:1], s[34:35], v3, s7, v[0:1]
	v_mad_u64_u32 v[4:5], s[34:35], v3, s22, v[4:5]
	v_mad_u64_u32 v[2:3], s[34:35], v3, s23, v[2:3]
.LBB21_68:
	global_load_ubyte v1, v4, s[2:3]
	global_load_ubyte v3, v2, s[18:19]
	v_add_u32_e32 v31, 0x80, v31
	s_waitcnt vmcnt(0)
	v_cmp_ne_u16_e32 vcc, v1, v3
	s_xor_b64 s[34:35], s[20:21], vcc
	v_cndmask_b32_e64 v1, 0, 1, s[34:35]
	global_store_byte v0, v1, s[0:1]
	s_or_b64 exec, exec, s[30:31]
	v_cmp_gt_i32_e32 vcc, s38, v31
	s_and_saveexec_b64 s[30:31], vcc
	s_cbranch_execz .LBB21_7
.LBB21_69:
	s_andn2_b64 vcc, exec, s[14:15]
	s_cbranch_vccnz .LBB21_75
; %bb.70:
	s_andn2_b64 vcc, exec, s[28:29]
	s_cbranch_vccnz .LBB21_76
; %bb.71:
	s_add_i32 s34, s37, 1
	s_and_b32 s39, s34, 30
	s_add_u32 s34, s12, 0xffffffe8
	s_addc_u32 s35, s13, -1
	v_mov_b32_e32 v2, 0
	v_mov_b32_e32 v4, 0
	;; [unrolled: 1-line block ×4, first 2 shown]
.LBB21_72:                              ; =>This Inner Loop Header: Depth=1
	s_load_dwordx4 s[40:43], s[34:35], 0x1c
	s_load_dwordx2 s[48:49], s[34:35], 0x2c
	s_load_dwordx2 s[50:51], s[34:35], 0xec
	s_load_dwordx4 s[44:47], s[34:35], 0xdc
	s_add_u32 s34, s34, 24
	s_waitcnt lgkmcnt(0)
	v_mul_hi_u32 v3, s41, v1
	s_addc_u32 s35, s35, 0
	s_add_i32 s39, s39, -2
	s_cmp_eq_u32 s39, 0
	v_add_u32_e32 v3, v1, v3
	v_lshrrev_b32_e32 v3, s42, v3
	v_mul_lo_u32 v5, v3, s40
	v_mul_hi_u32 v6, s48, v3
	v_sub_u32_e32 v5, v1, v5
	v_add_u32_e32 v1, v3, v6
	v_lshrrev_b32_e32 v1, s49, v1
	v_mul_lo_u32 v8, v1, s43
	v_mul_lo_u32 v6, v5, s44
	;; [unrolled: 1-line block ×4, first 2 shown]
	v_sub_u32_e32 v3, v3, v8
	v_mul_lo_u32 v8, v3, s47
	v_mul_lo_u32 v9, v3, s50
	;; [unrolled: 1-line block ×3, first 2 shown]
	v_add3_u32 v0, v6, v0, v8
	v_add3_u32 v4, v7, v4, v9
	;; [unrolled: 1-line block ×3, first 2 shown]
	s_cbranch_scc0 .LBB21_72
; %bb.73:
	s_bitcmp1_b32 s37, 0
	s_cselect_b64 s[40:41], -1, 0
	s_and_b64 vcc, exec, s[40:41]
	s_cbranch_vccnz .LBB21_77
; %bb.74:
	s_load_dwordx2 s[40:41], s[34:35], 0x1c
	s_load_dword s39, s[34:35], 0x24
	s_load_dwordx2 s[42:43], s[34:35], 0xdc
	s_waitcnt lgkmcnt(0)
	v_mul_hi_u32 v3, s41, v1
	v_add_u32_e32 v3, v1, v3
	v_lshrrev_b32_e32 v3, s39, v3
	v_mul_lo_u32 v3, v3, s40
	s_load_dword s39, s[34:35], 0xe4
	v_sub_u32_e32 v3, v1, v3
	v_mad_u64_u32 v[0:1], s[34:35], v3, s42, v[0:1]
	v_mad_u64_u32 v[4:5], s[34:35], v3, s43, v[4:5]
	s_waitcnt lgkmcnt(0)
	v_mad_u64_u32 v[2:3], s[34:35], v3, s39, v[2:3]
	s_branch .LBB21_77
.LBB21_75:
                                        ; implicit-def: $vgpr0
                                        ; implicit-def: $vgpr4
                                        ; implicit-def: $vgpr2
	s_branch .LBB21_78
.LBB21_76:
	v_mov_b32_e32 v0, 0
	v_mov_b32_e32 v4, 0
	;; [unrolled: 1-line block ×3, first 2 shown]
.LBB21_77:
	s_cbranch_execnz .LBB21_80
.LBB21_78:
	v_mul_hi_u32 v0, s9, v31
	s_andn2_b64 vcc, exec, s[26:27]
	v_add_u32_e32 v0, v31, v0
	v_lshrrev_b32_e32 v1, s10, v0
	v_mul_lo_u32 v0, v1, s8
	v_sub_u32_e32 v2, v31, v0
	v_mul_lo_u32 v0, v2, s4
	v_mul_lo_u32 v4, v2, s5
	v_mul_lo_u32 v2, v2, s6
	s_cbranch_vccnz .LBB21_80
; %bb.79:
	v_mul_hi_u32 v3, s24, v1
	v_add_u32_e32 v3, v1, v3
	v_lshrrev_b32_e32 v3, s25, v3
	v_mul_lo_u32 v3, v3, s11
	v_sub_u32_e32 v3, v1, v3
	v_mad_u64_u32 v[0:1], s[34:35], v3, s7, v[0:1]
	v_mad_u64_u32 v[4:5], s[34:35], v3, s22, v[4:5]
	;; [unrolled: 1-line block ×3, first 2 shown]
.LBB21_80:
	global_load_ubyte v1, v4, s[2:3]
	global_load_ubyte v3, v2, s[18:19]
	v_add_u32_e32 v31, 0x80, v31
	s_waitcnt vmcnt(0)
	v_cmp_ne_u16_e32 vcc, v1, v3
	s_xor_b64 s[34:35], s[20:21], vcc
	v_cndmask_b32_e64 v1, 0, 1, s[34:35]
	global_store_byte v0, v1, s[0:1]
	s_or_b64 exec, exec, s[30:31]
	v_cmp_gt_i32_e32 vcc, s38, v31
	s_and_saveexec_b64 s[30:31], vcc
	s_cbranch_execz .LBB21_8
.LBB21_81:
	s_andn2_b64 vcc, exec, s[14:15]
	s_cbranch_vccnz .LBB21_87
; %bb.82:
	s_andn2_b64 vcc, exec, s[28:29]
	s_cbranch_vccnz .LBB21_88
; %bb.83:
	s_add_i32 s34, s37, 1
	s_and_b32 s39, s34, 30
	s_add_u32 s34, s12, 0xffffffe8
	s_addc_u32 s35, s13, -1
	v_mov_b32_e32 v2, 0
	v_mov_b32_e32 v4, 0
	;; [unrolled: 1-line block ×4, first 2 shown]
.LBB21_84:                              ; =>This Inner Loop Header: Depth=1
	s_load_dwordx4 s[40:43], s[34:35], 0x1c
	s_load_dwordx2 s[48:49], s[34:35], 0x2c
	s_load_dwordx2 s[50:51], s[34:35], 0xec
	s_load_dwordx4 s[44:47], s[34:35], 0xdc
	s_add_u32 s34, s34, 24
	s_waitcnt lgkmcnt(0)
	v_mul_hi_u32 v3, s41, v1
	s_addc_u32 s35, s35, 0
	s_add_i32 s39, s39, -2
	s_cmp_eq_u32 s39, 0
	v_add_u32_e32 v3, v1, v3
	v_lshrrev_b32_e32 v3, s42, v3
	v_mul_lo_u32 v5, v3, s40
	v_mul_hi_u32 v6, s48, v3
	v_sub_u32_e32 v5, v1, v5
	v_add_u32_e32 v1, v3, v6
	v_lshrrev_b32_e32 v1, s49, v1
	v_mul_lo_u32 v8, v1, s43
	v_mul_lo_u32 v6, v5, s44
	;; [unrolled: 1-line block ×4, first 2 shown]
	v_sub_u32_e32 v3, v3, v8
	v_mul_lo_u32 v8, v3, s47
	v_mul_lo_u32 v9, v3, s50
	;; [unrolled: 1-line block ×3, first 2 shown]
	v_add3_u32 v0, v6, v0, v8
	v_add3_u32 v4, v7, v4, v9
	;; [unrolled: 1-line block ×3, first 2 shown]
	s_cbranch_scc0 .LBB21_84
; %bb.85:
	s_bitcmp1_b32 s37, 0
	s_cselect_b64 s[40:41], -1, 0
	s_and_b64 vcc, exec, s[40:41]
	s_cbranch_vccnz .LBB21_89
; %bb.86:
	s_load_dwordx2 s[40:41], s[34:35], 0x1c
	s_load_dword s39, s[34:35], 0x24
	s_load_dwordx2 s[42:43], s[34:35], 0xdc
	s_waitcnt lgkmcnt(0)
	v_mul_hi_u32 v3, s41, v1
	v_add_u32_e32 v3, v1, v3
	v_lshrrev_b32_e32 v3, s39, v3
	v_mul_lo_u32 v3, v3, s40
	s_load_dword s39, s[34:35], 0xe4
	v_sub_u32_e32 v3, v1, v3
	v_mad_u64_u32 v[0:1], s[34:35], v3, s42, v[0:1]
	v_mad_u64_u32 v[4:5], s[34:35], v3, s43, v[4:5]
	s_waitcnt lgkmcnt(0)
	v_mad_u64_u32 v[2:3], s[34:35], v3, s39, v[2:3]
	s_branch .LBB21_89
.LBB21_87:
                                        ; implicit-def: $vgpr0
                                        ; implicit-def: $vgpr4
                                        ; implicit-def: $vgpr2
	s_branch .LBB21_90
.LBB21_88:
	v_mov_b32_e32 v0, 0
	v_mov_b32_e32 v4, 0
	;; [unrolled: 1-line block ×3, first 2 shown]
.LBB21_89:
	s_cbranch_execnz .LBB21_92
.LBB21_90:
	v_mul_hi_u32 v0, s9, v31
	s_andn2_b64 vcc, exec, s[26:27]
	v_add_u32_e32 v0, v31, v0
	v_lshrrev_b32_e32 v1, s10, v0
	v_mul_lo_u32 v0, v1, s8
	v_sub_u32_e32 v2, v31, v0
	v_mul_lo_u32 v0, v2, s4
	v_mul_lo_u32 v4, v2, s5
	;; [unrolled: 1-line block ×3, first 2 shown]
	s_cbranch_vccnz .LBB21_92
; %bb.91:
	v_mul_hi_u32 v3, s24, v1
	v_add_u32_e32 v3, v1, v3
	v_lshrrev_b32_e32 v3, s25, v3
	v_mul_lo_u32 v3, v3, s11
	v_sub_u32_e32 v3, v1, v3
	v_mad_u64_u32 v[0:1], s[34:35], v3, s7, v[0:1]
	v_mad_u64_u32 v[4:5], s[34:35], v3, s22, v[4:5]
	;; [unrolled: 1-line block ×3, first 2 shown]
.LBB21_92:
	global_load_ubyte v1, v4, s[2:3]
	global_load_ubyte v3, v2, s[18:19]
	v_add_u32_e32 v31, 0x80, v31
	s_waitcnt vmcnt(0)
	v_cmp_ne_u16_e32 vcc, v1, v3
	s_xor_b64 s[34:35], s[20:21], vcc
	v_cndmask_b32_e64 v1, 0, 1, s[34:35]
	global_store_byte v0, v1, s[0:1]
	s_or_b64 exec, exec, s[30:31]
	v_cmp_gt_i32_e32 vcc, s38, v31
	s_and_saveexec_b64 s[30:31], vcc
	s_cbranch_execz .LBB21_105
.LBB21_93:
	s_andn2_b64 vcc, exec, s[14:15]
	s_cbranch_vccnz .LBB21_99
; %bb.94:
	s_andn2_b64 vcc, exec, s[28:29]
	s_cbranch_vccnz .LBB21_100
; %bb.95:
	s_add_i32 s28, s37, 1
	s_and_b32 s34, s28, 30
	s_add_u32 s28, s12, 0xffffffe8
	s_addc_u32 s29, s13, -1
	v_mov_b32_e32 v4, 0
	v_mov_b32_e32 v2, 0
	;; [unrolled: 1-line block ×4, first 2 shown]
.LBB21_96:                              ; =>This Inner Loop Header: Depth=1
	s_load_dwordx4 s[40:43], s[28:29], 0x1c
	s_load_dwordx2 s[38:39], s[28:29], 0x2c
	s_load_dwordx2 s[48:49], s[28:29], 0xec
	s_load_dwordx4 s[44:47], s[28:29], 0xdc
	s_add_u32 s28, s28, 24
	s_waitcnt lgkmcnt(0)
	v_mul_hi_u32 v3, s41, v1
	s_addc_u32 s29, s29, 0
	s_add_i32 s34, s34, -2
	s_cmp_eq_u32 s34, 0
	v_add_u32_e32 v3, v1, v3
	v_lshrrev_b32_e32 v3, s42, v3
	v_mul_lo_u32 v5, v3, s40
	v_mul_hi_u32 v6, s38, v3
	v_sub_u32_e32 v5, v1, v5
	v_add_u32_e32 v1, v3, v6
	v_lshrrev_b32_e32 v1, s39, v1
	v_mul_lo_u32 v8, v1, s43
	v_mul_lo_u32 v6, v5, s44
	;; [unrolled: 1-line block ×4, first 2 shown]
	v_sub_u32_e32 v3, v3, v8
	v_mul_lo_u32 v8, v3, s47
	v_mul_lo_u32 v9, v3, s48
	;; [unrolled: 1-line block ×3, first 2 shown]
	v_add3_u32 v0, v6, v0, v8
	v_add3_u32 v2, v7, v2, v9
	;; [unrolled: 1-line block ×3, first 2 shown]
	s_cbranch_scc0 .LBB21_96
; %bb.97:
	s_bitcmp1_b32 s37, 0
	s_cselect_b64 s[34:35], -1, 0
	s_and_b64 vcc, exec, s[34:35]
	s_cbranch_vccnz .LBB21_101
; %bb.98:
	s_load_dwordx2 s[34:35], s[28:29], 0x1c
	s_load_dword s37, s[28:29], 0x24
	s_load_dwordx2 s[38:39], s[28:29], 0xdc
	s_waitcnt lgkmcnt(0)
	v_mul_hi_u32 v3, s35, v1
	v_add_u32_e32 v3, v1, v3
	v_lshrrev_b32_e32 v3, s37, v3
	v_mul_lo_u32 v3, v3, s34
	s_load_dword s34, s[28:29], 0xe4
	v_sub_u32_e32 v5, v1, v3
	v_mad_u64_u32 v[0:1], s[28:29], v5, s38, v[0:1]
	v_mad_u64_u32 v[2:3], s[28:29], v5, s39, v[2:3]
	s_waitcnt lgkmcnt(0)
	v_mad_u64_u32 v[4:5], s[28:29], v5, s34, v[4:5]
	s_branch .LBB21_101
.LBB21_99:
                                        ; implicit-def: $vgpr0
                                        ; implicit-def: $vgpr2
                                        ; implicit-def: $vgpr4
	s_branch .LBB21_102
.LBB21_100:
	v_mov_b32_e32 v0, 0
	v_mov_b32_e32 v2, 0
	;; [unrolled: 1-line block ×3, first 2 shown]
.LBB21_101:
	s_cbranch_execnz .LBB21_104
.LBB21_102:
	v_mul_hi_u32 v0, s9, v31
	s_andn2_b64 vcc, exec, s[26:27]
	v_add_u32_e32 v0, v31, v0
	v_lshrrev_b32_e32 v1, s10, v0
	v_mul_lo_u32 v0, v1, s8
	v_sub_u32_e32 v3, v31, v0
	v_mul_lo_u32 v0, v3, s4
	v_mul_lo_u32 v2, v3, s5
	;; [unrolled: 1-line block ×3, first 2 shown]
	s_cbranch_vccnz .LBB21_104
; %bb.103:
	v_mul_hi_u32 v3, s24, v1
	v_add_u32_e32 v3, v1, v3
	v_lshrrev_b32_e32 v3, s25, v3
	v_mul_lo_u32 v3, v3, s11
	v_sub_u32_e32 v5, v1, v3
	v_mad_u64_u32 v[0:1], s[4:5], v5, s7, v[0:1]
	v_mad_u64_u32 v[2:3], s[4:5], v5, s22, v[2:3]
	;; [unrolled: 1-line block ×3, first 2 shown]
.LBB21_104:
	global_load_ubyte v1, v2, s[2:3]
	global_load_ubyte v3, v4, s[18:19]
	s_waitcnt vmcnt(0)
	v_cmp_ne_u16_e32 vcc, v1, v3
	s_xor_b64 s[2:3], s[20:21], vcc
	v_cndmask_b32_e64 v1, 0, 1, s[2:3]
	global_store_byte v0, v1, s[0:1]
.LBB21_105:
	s_or_b64 exec, exec, s[30:31]
                                        ; implicit-def: $vgpr41
                                        ; implicit-def: $vgpr31
.LBB21_106:
	s_andn2_saveexec_b64 s[0:1], s[16:17]
	s_cbranch_execz .LBB21_113
; %bb.107:
	v_cndmask_b32_e64 v0, 0, 1, s[14:15]
	v_cmp_ne_u32_e64 s[0:1], 1, v0
	s_andn2_b64 vcc, exec, s[14:15]
	s_cbranch_vccnz .LBB21_114
; %bb.108:
	s_cmp_lg_u32 s33, 0
	s_cbranch_scc0 .LBB21_115
; %bb.109:
	s_min_u32 s4, s36, 15
	s_add_i32 s2, s4, 1
	s_and_b32 s5, s2, 30
	s_add_u32 s2, s12, 0xffffffe8
	s_addc_u32 s3, s13, -1
	v_mov_b32_e32 v2, 0
	v_mov_b32_e32 v4, 0
	;; [unrolled: 1-line block ×4, first 2 shown]
.LBB21_110:                             ; =>This Inner Loop Header: Depth=1
	s_load_dwordx4 s[8:11], s[2:3], 0x1c
	s_load_dwordx2 s[6:7], s[2:3], 0x2c
	s_load_dwordx2 s[14:15], s[2:3], 0xec
	s_load_dwordx4 s[16:19], s[2:3], 0xdc
	s_add_u32 s2, s2, 24
	s_waitcnt lgkmcnt(0)
	v_mul_hi_u32 v3, s9, v1
	s_addc_u32 s3, s3, 0
	s_add_i32 s5, s5, -2
	s_cmp_lg_u32 s5, 0
	v_add_u32_e32 v3, v1, v3
	v_lshrrev_b32_e32 v3, s10, v3
	v_mul_lo_u32 v5, v3, s8
	v_mul_hi_u32 v6, s6, v3
	v_sub_u32_e32 v5, v1, v5
	v_add_u32_e32 v1, v3, v6
	v_lshrrev_b32_e32 v1, s7, v1
	v_mul_lo_u32 v8, v1, s11
	v_mul_lo_u32 v6, v5, s16
	;; [unrolled: 1-line block ×4, first 2 shown]
	v_sub_u32_e32 v3, v3, v8
	v_mul_lo_u32 v8, v3, s19
	v_mul_lo_u32 v9, v3, s14
	;; [unrolled: 1-line block ×3, first 2 shown]
	v_add3_u32 v0, v6, v0, v8
	v_add3_u32 v4, v7, v4, v9
	;; [unrolled: 1-line block ×3, first 2 shown]
	s_cbranch_scc1 .LBB21_110
; %bb.111:
	s_bitcmp1_b32 s4, 0
	s_cselect_b64 s[4:5], -1, 0
	s_and_b64 vcc, exec, s[4:5]
	s_cbranch_vccnz .LBB21_116
; %bb.112:
	s_load_dwordx2 s[4:5], s[2:3], 0x1c
	s_load_dword s8, s[2:3], 0x24
	s_load_dwordx2 s[6:7], s[2:3], 0xdc
	s_waitcnt lgkmcnt(0)
	v_mul_hi_u32 v3, s5, v1
	v_add_u32_e32 v3, v1, v3
	v_lshrrev_b32_e32 v3, s8, v3
	v_mul_lo_u32 v3, v3, s4
	s_load_dword s4, s[2:3], 0xe4
	v_sub_u32_e32 v3, v1, v3
	v_mad_u64_u32 v[0:1], s[2:3], v3, s6, v[0:1]
	v_mad_u64_u32 v[4:5], s[2:3], v3, s7, v[4:5]
	s_waitcnt lgkmcnt(0)
	v_mad_u64_u32 v[2:3], s[2:3], v3, s4, v[2:3]
	s_cbranch_execz .LBB21_117
	s_branch .LBB21_119
.LBB21_113:
	s_endpgm
.LBB21_114:
                                        ; implicit-def: $vgpr0
                                        ; implicit-def: $vgpr4
                                        ; implicit-def: $vgpr2
	s_branch .LBB21_117
.LBB21_115:
	v_mov_b32_e32 v0, 0
	v_mov_b32_e32 v4, 0
	;; [unrolled: 1-line block ×3, first 2 shown]
.LBB21_116:
	s_cbranch_execnz .LBB21_119
.LBB21_117:
	s_load_dwordx4 s[4:7], s[12:13], 0x4
	s_load_dwordx4 s[8:11], s[12:13], 0xc4
	s_cmp_lt_u32 s33, 2
	s_waitcnt lgkmcnt(0)
	v_mul_hi_u32 v0, s5, v31
	v_add_u32_e32 v0, v31, v0
	v_lshrrev_b32_e32 v1, s6, v0
	v_mul_lo_u32 v0, v1, s4
	v_sub_u32_e32 v2, v31, v0
	v_mul_lo_u32 v0, v2, s8
	v_mul_lo_u32 v4, v2, s9
	;; [unrolled: 1-line block ×3, first 2 shown]
	s_cbranch_scc1 .LBB21_119
; %bb.118:
	s_load_dwordx4 s[4:7], s[12:13], 0x10
	s_load_dwordx4 s[8:11], s[12:13], 0xd0
	s_waitcnt lgkmcnt(0)
	v_mul_hi_u32 v3, s5, v1
	v_add_u32_e32 v3, v1, v3
	v_lshrrev_b32_e32 v3, s6, v3
	v_mul_lo_u32 v3, v3, s4
	v_sub_u32_e32 v3, v1, v3
	v_mad_u64_u32 v[0:1], s[2:3], v3, s8, v[0:1]
	v_mad_u64_u32 v[4:5], s[2:3], v3, s9, v[4:5]
	;; [unrolled: 1-line block ×3, first 2 shown]
.LBB21_119:
	s_and_b64 vcc, exec, s[0:1]
	v_add_u32_e32 v1, 0x80, v31
	s_cbranch_vccnz .LBB21_125
; %bb.120:
	s_cmp_lg_u32 s33, 0
	s_cbranch_scc0 .LBB21_126
; %bb.121:
	s_min_u32 s4, s36, 15
	s_add_i32 s2, s4, 1
	s_and_b32 s5, s2, 30
	s_add_u32 s2, s12, 0xffffffe8
	s_addc_u32 s3, s13, -1
	v_mov_b32_e32 v7, 0
	v_mov_b32_e32 v9, 0
	;; [unrolled: 1-line block ×4, first 2 shown]
.LBB21_122:                             ; =>This Inner Loop Header: Depth=1
	s_load_dwordx4 s[8:11], s[2:3], 0x1c
	s_load_dwordx2 s[6:7], s[2:3], 0x2c
	s_load_dwordx2 s[14:15], s[2:3], 0xec
	s_load_dwordx4 s[16:19], s[2:3], 0xdc
	s_add_u32 s2, s2, 24
	s_waitcnt lgkmcnt(0)
	v_mul_hi_u32 v6, s9, v3
	s_addc_u32 s3, s3, 0
	s_add_i32 s5, s5, -2
	s_cmp_lg_u32 s5, 0
	v_add_u32_e32 v6, v3, v6
	v_lshrrev_b32_e32 v6, s10, v6
	v_mul_lo_u32 v8, v6, s8
	v_mul_hi_u32 v10, s6, v6
	v_sub_u32_e32 v8, v3, v8
	v_add_u32_e32 v3, v6, v10
	v_lshrrev_b32_e32 v3, s7, v3
	v_mul_lo_u32 v12, v3, s11
	v_mul_lo_u32 v10, v8, s16
	;; [unrolled: 1-line block ×4, first 2 shown]
	v_sub_u32_e32 v6, v6, v12
	v_mul_lo_u32 v12, v6, s19
	v_mul_lo_u32 v13, v6, s14
	;; [unrolled: 1-line block ×3, first 2 shown]
	v_add3_u32 v5, v10, v5, v12
	v_add3_u32 v9, v11, v9, v13
	;; [unrolled: 1-line block ×3, first 2 shown]
	s_cbranch_scc1 .LBB21_122
; %bb.123:
	s_bitcmp1_b32 s4, 0
	s_cselect_b64 s[4:5], -1, 0
	s_and_b64 vcc, exec, s[4:5]
	s_cbranch_vccnz .LBB21_127
; %bb.124:
	s_load_dwordx2 s[4:5], s[2:3], 0x1c
	s_load_dword s8, s[2:3], 0x24
	s_load_dwordx2 s[6:7], s[2:3], 0xdc
	s_waitcnt lgkmcnt(0)
	v_mul_hi_u32 v6, s5, v3
	v_add_u32_e32 v6, v3, v6
	v_lshrrev_b32_e32 v6, s8, v6
	v_mul_lo_u32 v6, v6, s4
	s_load_dword s4, s[2:3], 0xe4
	v_sub_u32_e32 v3, v3, v6
	v_mad_u64_u32 v[5:6], s[2:3], v3, s6, v[5:6]
	v_mad_u64_u32 v[9:10], s[2:3], v3, s7, v[9:10]
	s_waitcnt lgkmcnt(0)
	v_mad_u64_u32 v[7:8], s[2:3], v3, s4, v[7:8]
	s_cbranch_execz .LBB21_128
	s_branch .LBB21_130
.LBB21_125:
                                        ; implicit-def: $vgpr5
                                        ; implicit-def: $vgpr9
                                        ; implicit-def: $vgpr7
	s_branch .LBB21_128
.LBB21_126:
	v_mov_b32_e32 v5, 0
	v_mov_b32_e32 v9, 0
	;; [unrolled: 1-line block ×3, first 2 shown]
.LBB21_127:
	s_cbranch_execnz .LBB21_130
.LBB21_128:
	s_load_dwordx4 s[4:7], s[12:13], 0x4
	s_load_dwordx4 s[8:11], s[12:13], 0xc4
	s_cmp_lt_u32 s33, 2
	s_waitcnt lgkmcnt(0)
	v_mul_hi_u32 v3, s5, v1
	v_add_u32_e32 v3, v1, v3
	v_lshrrev_b32_e32 v3, s6, v3
	v_mul_lo_u32 v5, v3, s4
	v_sub_u32_e32 v1, v1, v5
	v_mul_lo_u32 v5, v1, s8
	v_mul_lo_u32 v9, v1, s9
	;; [unrolled: 1-line block ×3, first 2 shown]
	s_cbranch_scc1 .LBB21_130
; %bb.129:
	s_load_dwordx4 s[4:7], s[12:13], 0x10
	s_load_dwordx4 s[8:11], s[12:13], 0xd0
	s_waitcnt lgkmcnt(0)
	v_mul_hi_u32 v1, s5, v3
	v_add_u32_e32 v1, v3, v1
	v_lshrrev_b32_e32 v1, s6, v1
	v_mul_lo_u32 v1, v1, s4
	v_sub_u32_e32 v1, v3, v1
	v_mad_u64_u32 v[5:6], s[2:3], v1, s8, v[5:6]
	v_mad_u64_u32 v[9:10], s[2:3], v1, s9, v[9:10]
	v_mad_u64_u32 v[7:8], s[2:3], v1, s10, v[7:8]
.LBB21_130:
	s_and_b64 vcc, exec, s[0:1]
	v_add_u32_e32 v1, 0x100, v31
	s_cbranch_vccnz .LBB21_136
; %bb.131:
	s_cmp_lg_u32 s33, 0
	s_cbranch_scc0 .LBB21_137
; %bb.132:
	s_min_u32 s4, s36, 15
	s_add_i32 s2, s4, 1
	s_and_b32 s5, s2, 30
	s_add_u32 s2, s12, 0xffffffe8
	s_addc_u32 s3, s13, -1
	v_mov_b32_e32 v12, 0
	v_mov_b32_e32 v14, 0
	;; [unrolled: 1-line block ×4, first 2 shown]
.LBB21_133:                             ; =>This Inner Loop Header: Depth=1
	s_load_dwordx4 s[8:11], s[2:3], 0x1c
	s_load_dwordx2 s[6:7], s[2:3], 0x2c
	s_load_dwordx2 s[14:15], s[2:3], 0xec
	s_load_dwordx4 s[16:19], s[2:3], 0xdc
	s_add_u32 s2, s2, 24
	s_waitcnt lgkmcnt(0)
	v_mul_hi_u32 v6, s9, v3
	s_addc_u32 s3, s3, 0
	s_add_i32 s5, s5, -2
	s_cmp_lg_u32 s5, 0
	v_add_u32_e32 v6, v3, v6
	v_lshrrev_b32_e32 v6, s10, v6
	v_mul_lo_u32 v8, v6, s8
	v_mul_hi_u32 v11, s6, v6
	v_sub_u32_e32 v8, v3, v8
	v_add_u32_e32 v3, v6, v11
	v_lshrrev_b32_e32 v3, s7, v3
	v_mul_lo_u32 v15, v3, s11
	v_mul_lo_u32 v11, v8, s16
	;; [unrolled: 1-line block ×4, first 2 shown]
	v_sub_u32_e32 v6, v6, v15
	v_mul_lo_u32 v15, v6, s19
	v_mul_lo_u32 v16, v6, s14
	;; [unrolled: 1-line block ×3, first 2 shown]
	v_add3_u32 v10, v11, v10, v15
	v_add3_u32 v14, v13, v14, v16
	;; [unrolled: 1-line block ×3, first 2 shown]
	s_cbranch_scc1 .LBB21_133
; %bb.134:
	s_bitcmp1_b32 s4, 0
	s_cselect_b64 s[4:5], -1, 0
	s_and_b64 vcc, exec, s[4:5]
	s_cbranch_vccnz .LBB21_138
; %bb.135:
	s_load_dwordx2 s[4:5], s[2:3], 0x1c
	s_load_dword s8, s[2:3], 0x24
	s_load_dwordx2 s[6:7], s[2:3], 0xdc
	s_waitcnt lgkmcnt(0)
	v_mul_hi_u32 v6, s5, v3
	v_add_u32_e32 v6, v3, v6
	v_lshrrev_b32_e32 v6, s8, v6
	v_mul_lo_u32 v6, v6, s4
	s_load_dword s4, s[2:3], 0xe4
	v_sub_u32_e32 v3, v3, v6
	v_mad_u64_u32 v[10:11], s[2:3], v3, s6, v[10:11]
	v_mad_u64_u32 v[14:15], s[2:3], v3, s7, v[14:15]
	s_waitcnt lgkmcnt(0)
	v_mad_u64_u32 v[12:13], s[2:3], v3, s4, v[12:13]
	s_cbranch_execz .LBB21_139
	s_branch .LBB21_141
.LBB21_136:
                                        ; implicit-def: $vgpr10
                                        ; implicit-def: $vgpr14
                                        ; implicit-def: $vgpr12
	s_branch .LBB21_139
.LBB21_137:
	v_mov_b32_e32 v10, 0
	v_mov_b32_e32 v14, 0
	;; [unrolled: 1-line block ×3, first 2 shown]
.LBB21_138:
	s_cbranch_execnz .LBB21_141
.LBB21_139:
	s_load_dwordx4 s[4:7], s[12:13], 0x4
	s_load_dwordx4 s[8:11], s[12:13], 0xc4
	s_cmp_lt_u32 s33, 2
	s_waitcnt lgkmcnt(0)
	v_mul_hi_u32 v3, s5, v1
	v_add_u32_e32 v3, v1, v3
	v_lshrrev_b32_e32 v3, s6, v3
	v_mul_lo_u32 v6, v3, s4
	v_sub_u32_e32 v1, v1, v6
	v_mul_lo_u32 v10, v1, s8
	v_mul_lo_u32 v14, v1, s9
	;; [unrolled: 1-line block ×3, first 2 shown]
	s_cbranch_scc1 .LBB21_141
; %bb.140:
	s_load_dwordx4 s[4:7], s[12:13], 0x10
	s_load_dwordx4 s[8:11], s[12:13], 0xd0
	s_waitcnt lgkmcnt(0)
	v_mul_hi_u32 v1, s5, v3
	v_add_u32_e32 v1, v3, v1
	v_lshrrev_b32_e32 v1, s6, v1
	v_mul_lo_u32 v1, v1, s4
	v_sub_u32_e32 v1, v3, v1
	v_mad_u64_u32 v[10:11], s[2:3], v1, s8, v[10:11]
	v_mad_u64_u32 v[14:15], s[2:3], v1, s9, v[14:15]
	;; [unrolled: 1-line block ×3, first 2 shown]
.LBB21_141:
	s_and_b64 vcc, exec, s[0:1]
	v_add_u32_e32 v1, 0x180, v31
	s_cbranch_vccnz .LBB21_147
; %bb.142:
	s_cmp_lg_u32 s33, 0
	s_cbranch_scc0 .LBB21_148
; %bb.143:
	s_min_u32 s4, s36, 15
	s_add_i32 s2, s4, 1
	s_and_b32 s5, s2, 30
	s_add_u32 s2, s12, 0xffffffe8
	s_addc_u32 s3, s13, -1
	v_mov_b32_e32 v17, 0
	v_mov_b32_e32 v19, 0
	;; [unrolled: 1-line block ×4, first 2 shown]
.LBB21_144:                             ; =>This Inner Loop Header: Depth=1
	s_load_dwordx4 s[8:11], s[2:3], 0x1c
	s_load_dwordx2 s[6:7], s[2:3], 0x2c
	s_load_dwordx2 s[14:15], s[2:3], 0xec
	s_load_dwordx4 s[16:19], s[2:3], 0xdc
	s_add_u32 s2, s2, 24
	s_waitcnt lgkmcnt(0)
	v_mul_hi_u32 v6, s9, v3
	s_addc_u32 s3, s3, 0
	s_add_i32 s5, s5, -2
	s_cmp_lg_u32 s5, 0
	v_add_u32_e32 v6, v3, v6
	v_lshrrev_b32_e32 v6, s10, v6
	v_mul_lo_u32 v8, v6, s8
	v_mul_hi_u32 v11, s6, v6
	v_sub_u32_e32 v8, v3, v8
	v_add_u32_e32 v3, v6, v11
	v_lshrrev_b32_e32 v3, s7, v3
	v_mul_lo_u32 v16, v3, s11
	v_mul_lo_u32 v11, v8, s16
	;; [unrolled: 1-line block ×4, first 2 shown]
	v_sub_u32_e32 v6, v6, v16
	v_mul_lo_u32 v16, v6, s19
	v_mul_lo_u32 v18, v6, s14
	v_mul_lo_u32 v6, v6, s15
	v_add3_u32 v15, v11, v15, v16
	v_add3_u32 v19, v13, v19, v18
	;; [unrolled: 1-line block ×3, first 2 shown]
	s_cbranch_scc1 .LBB21_144
; %bb.145:
	s_bitcmp1_b32 s4, 0
	s_cselect_b64 s[4:5], -1, 0
	s_and_b64 vcc, exec, s[4:5]
	s_cbranch_vccnz .LBB21_149
; %bb.146:
	s_load_dwordx2 s[4:5], s[2:3], 0x1c
	s_load_dword s8, s[2:3], 0x24
	s_load_dwordx2 s[6:7], s[2:3], 0xdc
	s_waitcnt lgkmcnt(0)
	v_mul_hi_u32 v6, s5, v3
	v_add_u32_e32 v6, v3, v6
	v_lshrrev_b32_e32 v6, s8, v6
	v_mul_lo_u32 v6, v6, s4
	s_load_dword s4, s[2:3], 0xe4
	v_sub_u32_e32 v3, v3, v6
	v_mad_u64_u32 v[15:16], s[2:3], v3, s6, v[15:16]
	v_mad_u64_u32 v[19:20], s[2:3], v3, s7, v[19:20]
	s_waitcnt lgkmcnt(0)
	v_mad_u64_u32 v[17:18], s[2:3], v3, s4, v[17:18]
	s_cbranch_execz .LBB21_150
	s_branch .LBB21_152
.LBB21_147:
                                        ; implicit-def: $vgpr15
                                        ; implicit-def: $vgpr19
                                        ; implicit-def: $vgpr17
	s_branch .LBB21_150
.LBB21_148:
	v_mov_b32_e32 v15, 0
	v_mov_b32_e32 v19, 0
	;; [unrolled: 1-line block ×3, first 2 shown]
.LBB21_149:
	s_cbranch_execnz .LBB21_152
.LBB21_150:
	s_load_dwordx4 s[4:7], s[12:13], 0x4
	s_load_dwordx4 s[8:11], s[12:13], 0xc4
	s_cmp_lt_u32 s33, 2
	s_waitcnt lgkmcnt(0)
	v_mul_hi_u32 v3, s5, v1
	v_add_u32_e32 v3, v1, v3
	v_lshrrev_b32_e32 v3, s6, v3
	v_mul_lo_u32 v6, v3, s4
	v_sub_u32_e32 v1, v1, v6
	v_mul_lo_u32 v15, v1, s8
	v_mul_lo_u32 v19, v1, s9
	;; [unrolled: 1-line block ×3, first 2 shown]
	s_cbranch_scc1 .LBB21_152
; %bb.151:
	s_load_dwordx4 s[4:7], s[12:13], 0x10
	s_load_dwordx4 s[8:11], s[12:13], 0xd0
	s_waitcnt lgkmcnt(0)
	v_mul_hi_u32 v1, s5, v3
	v_add_u32_e32 v1, v3, v1
	v_lshrrev_b32_e32 v1, s6, v1
	v_mul_lo_u32 v1, v1, s4
	v_sub_u32_e32 v1, v3, v1
	v_mad_u64_u32 v[15:16], s[2:3], v1, s8, v[15:16]
	v_mad_u64_u32 v[19:20], s[2:3], v1, s9, v[19:20]
	v_mad_u64_u32 v[17:18], s[2:3], v1, s10, v[17:18]
.LBB21_152:
	s_and_b64 vcc, exec, s[0:1]
	v_add_u32_e32 v1, 0x200, v31
	s_cbranch_vccnz .LBB21_158
; %bb.153:
	s_cmp_lg_u32 s33, 0
	s_cbranch_scc0 .LBB21_159
; %bb.154:
	s_min_u32 s4, s36, 15
	s_add_i32 s2, s4, 1
	s_and_b32 s5, s2, 30
	s_add_u32 s2, s12, 0xffffffe8
	s_addc_u32 s3, s13, -1
	v_mov_b32_e32 v22, 0
	v_mov_b32_e32 v24, 0
	;; [unrolled: 1-line block ×4, first 2 shown]
.LBB21_155:                             ; =>This Inner Loop Header: Depth=1
	s_load_dwordx4 s[8:11], s[2:3], 0x1c
	s_load_dwordx2 s[6:7], s[2:3], 0x2c
	s_load_dwordx2 s[14:15], s[2:3], 0xec
	s_load_dwordx4 s[16:19], s[2:3], 0xdc
	s_add_u32 s2, s2, 24
	s_waitcnt lgkmcnt(0)
	v_mul_hi_u32 v6, s9, v3
	s_addc_u32 s3, s3, 0
	s_add_i32 s5, s5, -2
	s_cmp_lg_u32 s5, 0
	v_add_u32_e32 v6, v3, v6
	v_lshrrev_b32_e32 v6, s10, v6
	v_mul_lo_u32 v8, v6, s8
	v_mul_hi_u32 v11, s6, v6
	v_sub_u32_e32 v8, v3, v8
	v_add_u32_e32 v3, v6, v11
	v_lshrrev_b32_e32 v3, s7, v3
	v_mul_lo_u32 v16, v3, s11
	v_mul_lo_u32 v11, v8, s16
	;; [unrolled: 1-line block ×4, first 2 shown]
	v_sub_u32_e32 v6, v6, v16
	v_mul_lo_u32 v16, v6, s19
	v_mul_lo_u32 v18, v6, s14
	;; [unrolled: 1-line block ×3, first 2 shown]
	v_add3_u32 v20, v11, v20, v16
	v_add3_u32 v24, v13, v24, v18
	v_add3_u32 v22, v8, v22, v6
	s_cbranch_scc1 .LBB21_155
; %bb.156:
	s_bitcmp1_b32 s4, 0
	s_cselect_b64 s[4:5], -1, 0
	s_and_b64 vcc, exec, s[4:5]
	s_cbranch_vccnz .LBB21_160
; %bb.157:
	s_load_dwordx2 s[4:5], s[2:3], 0x1c
	s_load_dword s8, s[2:3], 0x24
	s_load_dwordx2 s[6:7], s[2:3], 0xdc
	s_waitcnt lgkmcnt(0)
	v_mul_hi_u32 v6, s5, v3
	v_add_u32_e32 v6, v3, v6
	v_lshrrev_b32_e32 v6, s8, v6
	v_mul_lo_u32 v6, v6, s4
	s_load_dword s4, s[2:3], 0xe4
	v_sub_u32_e32 v3, v3, v6
	v_mad_u64_u32 v[20:21], s[2:3], v3, s6, v[20:21]
	v_mad_u64_u32 v[24:25], s[2:3], v3, s7, v[24:25]
	s_waitcnt lgkmcnt(0)
	v_mad_u64_u32 v[22:23], s[2:3], v3, s4, v[22:23]
	s_cbranch_execz .LBB21_161
	s_branch .LBB21_163
.LBB21_158:
                                        ; implicit-def: $vgpr20
                                        ; implicit-def: $vgpr24
                                        ; implicit-def: $vgpr22
	s_branch .LBB21_161
.LBB21_159:
	v_mov_b32_e32 v20, 0
	v_mov_b32_e32 v24, 0
	;; [unrolled: 1-line block ×3, first 2 shown]
.LBB21_160:
	s_cbranch_execnz .LBB21_163
.LBB21_161:
	s_load_dwordx4 s[4:7], s[12:13], 0x4
	s_load_dwordx4 s[8:11], s[12:13], 0xc4
	s_cmp_lt_u32 s33, 2
	s_waitcnt lgkmcnt(0)
	v_mul_hi_u32 v3, s5, v1
	v_add_u32_e32 v3, v1, v3
	v_lshrrev_b32_e32 v3, s6, v3
	v_mul_lo_u32 v6, v3, s4
	v_sub_u32_e32 v1, v1, v6
	v_mul_lo_u32 v20, v1, s8
	v_mul_lo_u32 v24, v1, s9
	;; [unrolled: 1-line block ×3, first 2 shown]
	s_cbranch_scc1 .LBB21_163
; %bb.162:
	s_load_dwordx4 s[4:7], s[12:13], 0x10
	s_load_dwordx4 s[8:11], s[12:13], 0xd0
	s_waitcnt lgkmcnt(0)
	v_mul_hi_u32 v1, s5, v3
	v_add_u32_e32 v1, v3, v1
	v_lshrrev_b32_e32 v1, s6, v1
	v_mul_lo_u32 v1, v1, s4
	v_sub_u32_e32 v1, v3, v1
	v_mad_u64_u32 v[20:21], s[2:3], v1, s8, v[20:21]
	v_mad_u64_u32 v[24:25], s[2:3], v1, s9, v[24:25]
	v_mad_u64_u32 v[22:23], s[2:3], v1, s10, v[22:23]
.LBB21_163:
	s_and_b64 vcc, exec, s[0:1]
	v_add_u32_e32 v1, 0x280, v31
	s_cbranch_vccnz .LBB21_169
; %bb.164:
	s_cmp_lg_u32 s33, 0
	s_cbranch_scc0 .LBB21_170
; %bb.165:
	s_min_u32 s4, s36, 15
	s_add_i32 s2, s4, 1
	s_and_b32 s5, s2, 30
	s_add_u32 s2, s12, 0xffffffe8
	s_addc_u32 s3, s13, -1
	v_mov_b32_e32 v27, 0
	v_mov_b32_e32 v29, 0
	;; [unrolled: 1-line block ×4, first 2 shown]
.LBB21_166:                             ; =>This Inner Loop Header: Depth=1
	s_load_dwordx4 s[8:11], s[2:3], 0x1c
	s_load_dwordx2 s[6:7], s[2:3], 0x2c
	s_load_dwordx2 s[14:15], s[2:3], 0xec
	s_load_dwordx4 s[16:19], s[2:3], 0xdc
	s_add_u32 s2, s2, 24
	s_waitcnt lgkmcnt(0)
	v_mul_hi_u32 v6, s9, v3
	s_addc_u32 s3, s3, 0
	s_add_i32 s5, s5, -2
	s_cmp_lg_u32 s5, 0
	v_add_u32_e32 v6, v3, v6
	v_lshrrev_b32_e32 v6, s10, v6
	v_mul_lo_u32 v8, v6, s8
	v_mul_hi_u32 v11, s6, v6
	v_sub_u32_e32 v8, v3, v8
	v_add_u32_e32 v3, v6, v11
	v_lshrrev_b32_e32 v3, s7, v3
	v_mul_lo_u32 v16, v3, s11
	v_mul_lo_u32 v11, v8, s16
	;; [unrolled: 1-line block ×4, first 2 shown]
	v_sub_u32_e32 v6, v6, v16
	v_mul_lo_u32 v16, v6, s19
	v_mul_lo_u32 v18, v6, s14
	v_mul_lo_u32 v6, v6, s15
	v_add3_u32 v25, v11, v25, v16
	v_add3_u32 v29, v13, v29, v18
	;; [unrolled: 1-line block ×3, first 2 shown]
	s_cbranch_scc1 .LBB21_166
; %bb.167:
	s_bitcmp1_b32 s4, 0
	s_cselect_b64 s[4:5], -1, 0
	s_and_b64 vcc, exec, s[4:5]
	s_cbranch_vccnz .LBB21_171
; %bb.168:
	s_load_dwordx2 s[4:5], s[2:3], 0x1c
	s_load_dword s8, s[2:3], 0x24
	s_load_dwordx2 s[6:7], s[2:3], 0xdc
	s_waitcnt lgkmcnt(0)
	v_mul_hi_u32 v6, s5, v3
	v_add_u32_e32 v6, v3, v6
	v_lshrrev_b32_e32 v6, s8, v6
	v_mul_lo_u32 v6, v6, s4
	s_load_dword s4, s[2:3], 0xe4
	v_sub_u32_e32 v3, v3, v6
	v_mad_u64_u32 v[25:26], s[2:3], v3, s6, v[25:26]
	v_mad_u64_u32 v[29:30], s[2:3], v3, s7, v[29:30]
	s_waitcnt lgkmcnt(0)
	v_mad_u64_u32 v[27:28], s[2:3], v3, s4, v[27:28]
	s_cbranch_execz .LBB21_172
	s_branch .LBB21_174
.LBB21_169:
                                        ; implicit-def: $vgpr25
                                        ; implicit-def: $vgpr29
                                        ; implicit-def: $vgpr27
	s_branch .LBB21_172
.LBB21_170:
	v_mov_b32_e32 v25, 0
	v_mov_b32_e32 v29, 0
	;; [unrolled: 1-line block ×3, first 2 shown]
.LBB21_171:
	s_cbranch_execnz .LBB21_174
.LBB21_172:
	s_load_dwordx4 s[4:7], s[12:13], 0x4
	s_load_dwordx4 s[8:11], s[12:13], 0xc4
	s_cmp_lt_u32 s33, 2
	s_waitcnt lgkmcnt(0)
	v_mul_hi_u32 v3, s5, v1
	v_add_u32_e32 v3, v1, v3
	v_lshrrev_b32_e32 v3, s6, v3
	v_mul_lo_u32 v6, v3, s4
	v_sub_u32_e32 v1, v1, v6
	v_mul_lo_u32 v25, v1, s8
	v_mul_lo_u32 v29, v1, s9
	v_mul_lo_u32 v27, v1, s10
	s_cbranch_scc1 .LBB21_174
; %bb.173:
	s_load_dwordx4 s[4:7], s[12:13], 0x10
	s_load_dwordx4 s[8:11], s[12:13], 0xd0
	s_waitcnt lgkmcnt(0)
	v_mul_hi_u32 v1, s5, v3
	v_add_u32_e32 v1, v3, v1
	v_lshrrev_b32_e32 v1, s6, v1
	v_mul_lo_u32 v1, v1, s4
	v_sub_u32_e32 v1, v3, v1
	v_mad_u64_u32 v[25:26], s[2:3], v1, s8, v[25:26]
	v_mad_u64_u32 v[29:30], s[2:3], v1, s9, v[29:30]
	;; [unrolled: 1-line block ×3, first 2 shown]
.LBB21_174:
	s_and_b64 vcc, exec, s[0:1]
	v_add_u32_e32 v1, 0x300, v31
	s_cbranch_vccnz .LBB21_180
; %bb.175:
	s_cmp_lg_u32 s33, 0
	s_cbranch_scc0 .LBB21_181
; %bb.176:
	s_min_u32 s4, s36, 15
	s_add_i32 s2, s4, 1
	s_and_b32 s5, s2, 30
	s_add_u32 s2, s12, 0xffffffe8
	s_addc_u32 s3, s13, -1
	v_mov_b32_e32 v34, 0
	v_mov_b32_e32 v32, 0
	;; [unrolled: 1-line block ×4, first 2 shown]
.LBB21_177:                             ; =>This Inner Loop Header: Depth=1
	s_load_dwordx4 s[8:11], s[2:3], 0x1c
	s_load_dwordx2 s[6:7], s[2:3], 0x2c
	s_load_dwordx2 s[14:15], s[2:3], 0xec
	s_load_dwordx4 s[16:19], s[2:3], 0xdc
	s_add_u32 s2, s2, 24
	s_waitcnt lgkmcnt(0)
	v_mul_hi_u32 v6, s9, v3
	s_addc_u32 s3, s3, 0
	s_add_i32 s5, s5, -2
	s_cmp_lg_u32 s5, 0
	v_add_u32_e32 v6, v3, v6
	v_lshrrev_b32_e32 v6, s10, v6
	v_mul_lo_u32 v8, v6, s8
	v_mul_hi_u32 v11, s6, v6
	v_sub_u32_e32 v8, v3, v8
	v_add_u32_e32 v3, v6, v11
	v_lshrrev_b32_e32 v3, s7, v3
	v_mul_lo_u32 v16, v3, s11
	v_mul_lo_u32 v11, v8, s16
	;; [unrolled: 1-line block ×4, first 2 shown]
	v_sub_u32_e32 v6, v6, v16
	v_mul_lo_u32 v16, v6, s19
	v_mul_lo_u32 v18, v6, s14
	;; [unrolled: 1-line block ×3, first 2 shown]
	v_add3_u32 v30, v11, v30, v16
	v_add3_u32 v32, v13, v32, v18
	;; [unrolled: 1-line block ×3, first 2 shown]
	s_cbranch_scc1 .LBB21_177
; %bb.178:
	s_bitcmp1_b32 s4, 0
	s_cselect_b64 s[4:5], -1, 0
	s_and_b64 vcc, exec, s[4:5]
	s_cbranch_vccnz .LBB21_182
; %bb.179:
	s_load_dwordx2 s[4:5], s[2:3], 0x1c
	s_load_dword s8, s[2:3], 0x24
	s_load_dwordx2 s[6:7], s[2:3], 0xdc
	s_waitcnt lgkmcnt(0)
	v_mul_hi_u32 v6, s5, v3
	v_add_u32_e32 v6, v3, v6
	v_lshrrev_b32_e32 v6, s8, v6
	v_mul_lo_u32 v6, v6, s4
	s_load_dword s4, s[2:3], 0xe4
	v_sub_u32_e32 v3, v3, v6
	v_mad_u64_u32 v[30:31], s[2:3], v3, s6, v[30:31]
	v_mad_u64_u32 v[32:33], s[2:3], v3, s7, v[32:33]
	s_waitcnt lgkmcnt(0)
	v_mad_u64_u32 v[34:35], s[2:3], v3, s4, v[34:35]
	s_cbranch_execz .LBB21_183
	s_branch .LBB21_185
.LBB21_180:
                                        ; implicit-def: $vgpr30
                                        ; implicit-def: $vgpr32
                                        ; implicit-def: $vgpr34
	s_branch .LBB21_183
.LBB21_181:
	v_mov_b32_e32 v30, 0
	v_mov_b32_e32 v32, 0
	;; [unrolled: 1-line block ×3, first 2 shown]
.LBB21_182:
	s_cbranch_execnz .LBB21_185
.LBB21_183:
	s_load_dwordx4 s[4:7], s[12:13], 0x4
	s_load_dwordx4 s[8:11], s[12:13], 0xc4
	s_cmp_lt_u32 s33, 2
	s_waitcnt lgkmcnt(0)
	v_mul_hi_u32 v3, s5, v1
	v_add_u32_e32 v3, v1, v3
	v_lshrrev_b32_e32 v3, s6, v3
	v_mul_lo_u32 v6, v3, s4
	v_sub_u32_e32 v1, v1, v6
	v_mul_lo_u32 v30, v1, s8
	v_mul_lo_u32 v32, v1, s9
	;; [unrolled: 1-line block ×3, first 2 shown]
	s_cbranch_scc1 .LBB21_185
; %bb.184:
	s_load_dwordx4 s[4:7], s[12:13], 0x10
	s_load_dwordx4 s[8:11], s[12:13], 0xd0
	s_waitcnt lgkmcnt(0)
	v_mul_hi_u32 v1, s5, v3
	v_add_u32_e32 v1, v3, v1
	v_lshrrev_b32_e32 v1, s6, v1
	v_mul_lo_u32 v1, v1, s4
	v_sub_u32_e32 v1, v3, v1
	v_mad_u64_u32 v[30:31], s[2:3], v1, s8, v[30:31]
	v_mad_u64_u32 v[32:33], s[2:3], v1, s9, v[32:33]
	;; [unrolled: 1-line block ×3, first 2 shown]
.LBB21_185:
	s_and_b64 vcc, exec, s[0:1]
	s_cbranch_vccnz .LBB21_191
; %bb.186:
	s_cmp_lg_u32 s33, 0
	s_cbranch_scc0 .LBB21_192
; %bb.187:
	s_min_u32 s2, s36, 15
	s_add_i32 s0, s2, 1
	s_and_b32 s3, s0, 30
	s_add_u32 s0, s12, 0xffffffe8
	s_addc_u32 s1, s13, -1
	v_mov_b32_e32 v39, 0
	v_mov_b32_e32 v37, 0
	;; [unrolled: 1-line block ×4, first 2 shown]
.LBB21_188:                             ; =>This Inner Loop Header: Depth=1
	s_load_dwordx4 s[4:7], s[0:1], 0x1c
	s_load_dwordx2 s[14:15], s[0:1], 0x2c
	s_load_dwordx2 s[16:17], s[0:1], 0xec
	s_load_dwordx4 s[8:11], s[0:1], 0xdc
	s_add_u32 s0, s0, 24
	s_waitcnt lgkmcnt(0)
	v_mul_hi_u32 v3, s5, v1
	s_addc_u32 s1, s1, 0
	s_add_i32 s3, s3, -2
	s_cmp_lg_u32 s3, 0
	v_add_u32_e32 v3, v1, v3
	v_lshrrev_b32_e32 v3, s6, v3
	v_mul_lo_u32 v6, v3, s4
	v_mul_hi_u32 v8, s14, v3
	v_sub_u32_e32 v6, v1, v6
	v_add_u32_e32 v1, v3, v8
	v_lshrrev_b32_e32 v1, s15, v1
	v_mul_lo_u32 v13, v1, s7
	v_mul_lo_u32 v8, v6, s8
	v_mul_lo_u32 v11, v6, s9
	v_mul_lo_u32 v6, v6, s10
	v_sub_u32_e32 v3, v3, v13
	v_mul_lo_u32 v13, v3, s11
	v_mul_lo_u32 v16, v3, s16
	;; [unrolled: 1-line block ×3, first 2 shown]
	v_add3_u32 v35, v8, v35, v13
	v_add3_u32 v37, v11, v37, v16
	;; [unrolled: 1-line block ×3, first 2 shown]
	s_cbranch_scc1 .LBB21_188
; %bb.189:
	s_bitcmp1_b32 s2, 0
	s_cselect_b64 s[2:3], -1, 0
	s_and_b64 vcc, exec, s[2:3]
	s_cbranch_vccnz .LBB21_193
; %bb.190:
	s_load_dwordx2 s[2:3], s[0:1], 0x1c
	s_load_dword s6, s[0:1], 0x24
	s_load_dwordx2 s[4:5], s[0:1], 0xdc
	s_waitcnt lgkmcnt(0)
	v_mul_hi_u32 v3, s3, v1
	v_add_u32_e32 v3, v1, v3
	v_lshrrev_b32_e32 v3, s6, v3
	v_mul_lo_u32 v3, v3, s2
	s_load_dword s2, s[0:1], 0xe4
	v_sub_u32_e32 v1, v1, v3
	v_mad_u64_u32 v[35:36], s[0:1], v1, s4, v[35:36]
	v_mad_u64_u32 v[37:38], s[0:1], v1, s5, v[37:38]
	s_waitcnt lgkmcnt(0)
	v_mad_u64_u32 v[39:40], s[0:1], v1, s2, v[39:40]
	s_cbranch_execz .LBB21_194
	s_branch .LBB21_196
.LBB21_191:
                                        ; implicit-def: $vgpr35
                                        ; implicit-def: $vgpr37
                                        ; implicit-def: $vgpr39
	s_branch .LBB21_194
.LBB21_192:
	v_mov_b32_e32 v35, 0
	v_mov_b32_e32 v37, 0
	v_mov_b32_e32 v39, 0
.LBB21_193:
	s_cbranch_execnz .LBB21_196
.LBB21_194:
	s_load_dwordx4 s[0:3], s[12:13], 0x4
	s_load_dwordx4 s[4:7], s[12:13], 0xc4
	s_cmp_lt_u32 s33, 2
	s_waitcnt lgkmcnt(0)
	v_mul_hi_u32 v1, s1, v41
	v_add_u32_e32 v1, v41, v1
	v_lshrrev_b32_e32 v1, s2, v1
	v_mul_lo_u32 v3, v1, s0
	v_sub_u32_e32 v3, v41, v3
	v_mul_lo_u32 v35, v3, s4
	v_mul_lo_u32 v37, v3, s5
	;; [unrolled: 1-line block ×3, first 2 shown]
	s_cbranch_scc1 .LBB21_196
; %bb.195:
	s_load_dwordx4 s[0:3], s[12:13], 0x10
	s_load_dwordx4 s[4:7], s[12:13], 0xd0
	s_waitcnt lgkmcnt(0)
	v_mul_hi_u32 v3, s1, v1
	v_add_u32_e32 v3, v1, v3
	v_lshrrev_b32_e32 v3, s2, v3
	v_mul_lo_u32 v3, v3, s0
	v_sub_u32_e32 v1, v1, v3
	v_mad_u64_u32 v[35:36], s[0:1], v1, s4, v[35:36]
	v_mad_u64_u32 v[37:38], s[0:1], v1, s5, v[37:38]
	;; [unrolled: 1-line block ×3, first 2 shown]
.LBB21_196:
	s_load_dwordx4 s[16:19], s[12:13], 0x188
	s_load_dwordx2 s[0:1], s[12:13], 0x198
	s_waitcnt lgkmcnt(0)
	global_load_ubyte v1, v4, s[18:19]
	s_nop 0
	global_load_ubyte v3, v2, s[0:1]
	global_load_ubyte v6, v9, s[18:19]
	;; [unrolled: 1-line block ×7, first 2 shown]
                                        ; kill: killed $vgpr4
                                        ; kill: killed $vgpr9
                                        ; kill: killed $vgpr2
                                        ; kill: killed $vgpr14
                                        ; kill: killed $vgpr7
                                        ; kill: killed $vgpr19
                                        ; kill: killed $vgpr12
                                        ; kill: killed $vgpr17
	global_load_ubyte v2, v24, s[18:19]
	global_load_ubyte v4, v22, s[0:1]
	global_load_ubyte v7, v29, s[18:19]
	global_load_ubyte v9, v27, s[0:1]
	global_load_ubyte v12, v32, s[18:19]
	global_load_ubyte v14, v34, s[0:1]
	global_load_ubyte v17, v37, s[18:19]
	global_load_ubyte v19, v39, s[0:1]
	s_load_dword s0, s[12:13], 0x1a0
	s_waitcnt lgkmcnt(0)
	s_cmp_eq_u32 s0, 0
	s_cselect_b64 s[14:15], -1, 0
	s_waitcnt vmcnt(14)
	v_cmp_ne_u16_e32 vcc, v1, v3
	s_xor_b64 s[18:19], s[14:15], vcc
	s_waitcnt vmcnt(12)
	v_cmp_ne_u16_e64 s[0:1], v6, v8
	s_xor_b64 s[0:1], s[14:15], s[0:1]
	s_waitcnt vmcnt(10)
	v_cmp_ne_u16_e64 s[2:3], v11, v13
	v_cndmask_b32_e64 v1, 0, 1, s[18:19]
	s_waitcnt vmcnt(8)
	v_cmp_ne_u16_e64 s[4:5], v16, v18
	s_waitcnt vmcnt(6)
	v_cmp_ne_u16_e64 s[6:7], v2, v4
	v_cndmask_b32_e64 v2, 0, 1, s[0:1]
	s_xor_b64 s[0:1], s[14:15], s[2:3]
	v_cndmask_b32_e64 v3, 0, 1, s[0:1]
	s_xor_b64 s[0:1], s[14:15], s[4:5]
	s_waitcnt vmcnt(4)
	v_cmp_ne_u16_e64 s[8:9], v7, v9
	v_cndmask_b32_e64 v4, 0, 1, s[0:1]
	s_xor_b64 s[0:1], s[14:15], s[6:7]
	s_waitcnt vmcnt(2)
	v_cmp_ne_u16_e64 s[10:11], v12, v14
	;; [unrolled: 4-line block ×3, first 2 shown]
	v_cndmask_b32_e64 v7, 0, 1, s[0:1]
	s_xor_b64 s[0:1], s[14:15], s[10:11]
	v_cndmask_b32_e64 v8, 0, 1, s[0:1]
	s_xor_b64 s[0:1], s[14:15], s[12:13]
	v_cndmask_b32_e64 v9, 0, 1, s[0:1]
	global_store_byte v0, v1, s[16:17]
	global_store_byte v5, v2, s[16:17]
	;; [unrolled: 1-line block ×8, first 2 shown]
	s_endpgm
	.section	.rodata,"a",@progbits
	.p2align	6, 0x0
	.amdhsa_kernel _ZN2at6native32elementwise_kernel_manual_unrollILi128ELi8EZNS0_22gpu_kernel_impl_nocastINS0_13BinaryFunctorIaabNS0_12_GLOBAL__N_116CompareEqFunctorIaEEEEEEvRNS_18TensorIteratorBaseERKT_EUlibE_EEviT1_
		.amdhsa_group_segment_fixed_size 0
		.amdhsa_private_segment_fixed_size 0
		.amdhsa_kernarg_size 432
		.amdhsa_user_sgpr_count 6
		.amdhsa_user_sgpr_private_segment_buffer 1
		.amdhsa_user_sgpr_dispatch_ptr 0
		.amdhsa_user_sgpr_queue_ptr 0
		.amdhsa_user_sgpr_kernarg_segment_ptr 1
		.amdhsa_user_sgpr_dispatch_id 0
		.amdhsa_user_sgpr_flat_scratch_init 0
		.amdhsa_user_sgpr_private_segment_size 0
		.amdhsa_uses_dynamic_stack 0
		.amdhsa_system_sgpr_private_segment_wavefront_offset 0
		.amdhsa_system_sgpr_workgroup_id_x 1
		.amdhsa_system_sgpr_workgroup_id_y 0
		.amdhsa_system_sgpr_workgroup_id_z 0
		.amdhsa_system_sgpr_workgroup_info 0
		.amdhsa_system_vgpr_workitem_id 0
		.amdhsa_next_free_vgpr 42
		.amdhsa_next_free_sgpr 52
		.amdhsa_reserve_vcc 1
		.amdhsa_reserve_flat_scratch 0
		.amdhsa_float_round_mode_32 0
		.amdhsa_float_round_mode_16_64 0
		.amdhsa_float_denorm_mode_32 3
		.amdhsa_float_denorm_mode_16_64 3
		.amdhsa_dx10_clamp 1
		.amdhsa_ieee_mode 1
		.amdhsa_fp16_overflow 0
		.amdhsa_exception_fp_ieee_invalid_op 0
		.amdhsa_exception_fp_denorm_src 0
		.amdhsa_exception_fp_ieee_div_zero 0
		.amdhsa_exception_fp_ieee_overflow 0
		.amdhsa_exception_fp_ieee_underflow 0
		.amdhsa_exception_fp_ieee_inexact 0
		.amdhsa_exception_int_div_zero 0
	.end_amdhsa_kernel
	.section	.text._ZN2at6native32elementwise_kernel_manual_unrollILi128ELi8EZNS0_22gpu_kernel_impl_nocastINS0_13BinaryFunctorIaabNS0_12_GLOBAL__N_116CompareEqFunctorIaEEEEEEvRNS_18TensorIteratorBaseERKT_EUlibE_EEviT1_,"axG",@progbits,_ZN2at6native32elementwise_kernel_manual_unrollILi128ELi8EZNS0_22gpu_kernel_impl_nocastINS0_13BinaryFunctorIaabNS0_12_GLOBAL__N_116CompareEqFunctorIaEEEEEEvRNS_18TensorIteratorBaseERKT_EUlibE_EEviT1_,comdat
.Lfunc_end21:
	.size	_ZN2at6native32elementwise_kernel_manual_unrollILi128ELi8EZNS0_22gpu_kernel_impl_nocastINS0_13BinaryFunctorIaabNS0_12_GLOBAL__N_116CompareEqFunctorIaEEEEEEvRNS_18TensorIteratorBaseERKT_EUlibE_EEviT1_, .Lfunc_end21-_ZN2at6native32elementwise_kernel_manual_unrollILi128ELi8EZNS0_22gpu_kernel_impl_nocastINS0_13BinaryFunctorIaabNS0_12_GLOBAL__N_116CompareEqFunctorIaEEEEEEvRNS_18TensorIteratorBaseERKT_EUlibE_EEviT1_
                                        ; -- End function
	.set _ZN2at6native32elementwise_kernel_manual_unrollILi128ELi8EZNS0_22gpu_kernel_impl_nocastINS0_13BinaryFunctorIaabNS0_12_GLOBAL__N_116CompareEqFunctorIaEEEEEEvRNS_18TensorIteratorBaseERKT_EUlibE_EEviT1_.num_vgpr, 42
	.set _ZN2at6native32elementwise_kernel_manual_unrollILi128ELi8EZNS0_22gpu_kernel_impl_nocastINS0_13BinaryFunctorIaabNS0_12_GLOBAL__N_116CompareEqFunctorIaEEEEEEvRNS_18TensorIteratorBaseERKT_EUlibE_EEviT1_.num_agpr, 0
	.set _ZN2at6native32elementwise_kernel_manual_unrollILi128ELi8EZNS0_22gpu_kernel_impl_nocastINS0_13BinaryFunctorIaabNS0_12_GLOBAL__N_116CompareEqFunctorIaEEEEEEvRNS_18TensorIteratorBaseERKT_EUlibE_EEviT1_.numbered_sgpr, 52
	.set _ZN2at6native32elementwise_kernel_manual_unrollILi128ELi8EZNS0_22gpu_kernel_impl_nocastINS0_13BinaryFunctorIaabNS0_12_GLOBAL__N_116CompareEqFunctorIaEEEEEEvRNS_18TensorIteratorBaseERKT_EUlibE_EEviT1_.num_named_barrier, 0
	.set _ZN2at6native32elementwise_kernel_manual_unrollILi128ELi8EZNS0_22gpu_kernel_impl_nocastINS0_13BinaryFunctorIaabNS0_12_GLOBAL__N_116CompareEqFunctorIaEEEEEEvRNS_18TensorIteratorBaseERKT_EUlibE_EEviT1_.private_seg_size, 0
	.set _ZN2at6native32elementwise_kernel_manual_unrollILi128ELi8EZNS0_22gpu_kernel_impl_nocastINS0_13BinaryFunctorIaabNS0_12_GLOBAL__N_116CompareEqFunctorIaEEEEEEvRNS_18TensorIteratorBaseERKT_EUlibE_EEviT1_.uses_vcc, 1
	.set _ZN2at6native32elementwise_kernel_manual_unrollILi128ELi8EZNS0_22gpu_kernel_impl_nocastINS0_13BinaryFunctorIaabNS0_12_GLOBAL__N_116CompareEqFunctorIaEEEEEEvRNS_18TensorIteratorBaseERKT_EUlibE_EEviT1_.uses_flat_scratch, 0
	.set _ZN2at6native32elementwise_kernel_manual_unrollILi128ELi8EZNS0_22gpu_kernel_impl_nocastINS0_13BinaryFunctorIaabNS0_12_GLOBAL__N_116CompareEqFunctorIaEEEEEEvRNS_18TensorIteratorBaseERKT_EUlibE_EEviT1_.has_dyn_sized_stack, 0
	.set _ZN2at6native32elementwise_kernel_manual_unrollILi128ELi8EZNS0_22gpu_kernel_impl_nocastINS0_13BinaryFunctorIaabNS0_12_GLOBAL__N_116CompareEqFunctorIaEEEEEEvRNS_18TensorIteratorBaseERKT_EUlibE_EEviT1_.has_recursion, 0
	.set _ZN2at6native32elementwise_kernel_manual_unrollILi128ELi8EZNS0_22gpu_kernel_impl_nocastINS0_13BinaryFunctorIaabNS0_12_GLOBAL__N_116CompareEqFunctorIaEEEEEEvRNS_18TensorIteratorBaseERKT_EUlibE_EEviT1_.has_indirect_call, 0
	.section	.AMDGPU.csdata,"",@progbits
; Kernel info:
; codeLenInByte = 9384
; TotalNumSgprs: 56
; NumVgprs: 42
; ScratchSize: 0
; MemoryBound: 0
; FloatMode: 240
; IeeeMode: 1
; LDSByteSize: 0 bytes/workgroup (compile time only)
; SGPRBlocks: 6
; VGPRBlocks: 10
; NumSGPRsForWavesPerEU: 56
; NumVGPRsForWavesPerEU: 42
; Occupancy: 5
; WaveLimiterHint : 1
; COMPUTE_PGM_RSRC2:SCRATCH_EN: 0
; COMPUTE_PGM_RSRC2:USER_SGPR: 6
; COMPUTE_PGM_RSRC2:TRAP_HANDLER: 0
; COMPUTE_PGM_RSRC2:TGID_X_EN: 1
; COMPUTE_PGM_RSRC2:TGID_Y_EN: 0
; COMPUTE_PGM_RSRC2:TGID_Z_EN: 0
; COMPUTE_PGM_RSRC2:TIDIG_COMP_CNT: 0
	.section	.text._ZN2at6native32elementwise_kernel_manual_unrollILi128ELi4EZNS0_15gpu_kernel_implINS0_13BinaryFunctorIaabNS0_12_GLOBAL__N_116CompareEqFunctorIaEEEEEEvRNS_18TensorIteratorBaseERKT_EUlibE_EEviT1_,"axG",@progbits,_ZN2at6native32elementwise_kernel_manual_unrollILi128ELi4EZNS0_15gpu_kernel_implINS0_13BinaryFunctorIaabNS0_12_GLOBAL__N_116CompareEqFunctorIaEEEEEEvRNS_18TensorIteratorBaseERKT_EUlibE_EEviT1_,comdat
	.globl	_ZN2at6native32elementwise_kernel_manual_unrollILi128ELi4EZNS0_15gpu_kernel_implINS0_13BinaryFunctorIaabNS0_12_GLOBAL__N_116CompareEqFunctorIaEEEEEEvRNS_18TensorIteratorBaseERKT_EUlibE_EEviT1_ ; -- Begin function _ZN2at6native32elementwise_kernel_manual_unrollILi128ELi4EZNS0_15gpu_kernel_implINS0_13BinaryFunctorIaabNS0_12_GLOBAL__N_116CompareEqFunctorIaEEEEEEvRNS_18TensorIteratorBaseERKT_EUlibE_EEviT1_
	.p2align	8
	.type	_ZN2at6native32elementwise_kernel_manual_unrollILi128ELi4EZNS0_15gpu_kernel_implINS0_13BinaryFunctorIaabNS0_12_GLOBAL__N_116CompareEqFunctorIaEEEEEEvRNS_18TensorIteratorBaseERKT_EUlibE_EEviT1_,@function
_ZN2at6native32elementwise_kernel_manual_unrollILi128ELi4EZNS0_15gpu_kernel_implINS0_13BinaryFunctorIaabNS0_12_GLOBAL__N_116CompareEqFunctorIaEEEEEEvRNS_18TensorIteratorBaseERKT_EUlibE_EEviT1_: ; @_ZN2at6native32elementwise_kernel_manual_unrollILi128ELi4EZNS0_15gpu_kernel_implINS0_13BinaryFunctorIaabNS0_12_GLOBAL__N_116CompareEqFunctorIaEEEEEEvRNS_18TensorIteratorBaseERKT_EUlibE_EEviT1_
; %bb.0:
	s_load_dword s33, s[4:5], 0x30
	s_load_dword s50, s[4:5], 0x0
	s_load_dwordx4 s[8:11], s[4:5], 0x8
	s_load_dwordx2 s[2:3], s[4:5], 0x18
	s_load_dwordx4 s[12:15], s[4:5], 0x20
	v_lshl_or_b32 v14, s6, 9, v0
	v_or_b32_e32 v0, 0x180, v14
	s_waitcnt lgkmcnt(0)
	s_lshr_b32 s57, s33, 8
	s_lshr_b32 s56, s33, 16
	v_cmp_le_i32_e32 vcc, s50, v0
	s_mov_b64 s[4:5], 0
	s_mov_b64 s[16:17], 0
	s_and_saveexec_b64 s[0:1], vcc
	s_xor_b64 s[6:7], exec, s[0:1]
	s_cbranch_execz .LBB22_1512
; %bb.1:
	s_cmp_eq_u32 s15, 0
	s_cselect_b64 s[16:17], -1, 0
	v_cmp_gt_i32_e32 vcc, s50, v14
	s_mov_b64 s[0:1], -1
	s_mov_b64 s[28:29], 0
	s_mov_b64 s[22:23], 0
	;; [unrolled: 1-line block ×4, first 2 shown]
	s_and_saveexec_b64 s[24:25], vcc
	s_cbranch_execz .LBB22_375
; %bb.2:
	v_mul_lo_u32 v0, v14, s13
	v_mov_b32_e32 v1, s11
	s_and_b32 s20, s57, 0xff
	s_cmp_lt_i32 s20, 11
	v_ashrrev_i32_e32 v3, 31, v0
	v_add_co_u32_e32 v2, vcc, s10, v0
	v_addc_co_u32_e32 v3, vcc, v1, v3, vcc
	s_cbranch_scc1 .LBB22_9
; %bb.3:
	s_and_b32 s21, 0xffff, s20
	s_cmp_gt_i32 s21, 25
	s_cbranch_scc0 .LBB22_18
; %bb.4:
	s_cmp_gt_i32 s21, 28
	s_cbranch_scc0 .LBB22_28
; %bb.5:
	;; [unrolled: 3-line block ×4, first 2 shown]
	s_cmp_eq_u32 s21, 46
	s_cbranch_scc0 .LBB22_37
; %bb.8:
	global_load_dword v0, v[2:3], off
	s_waitcnt vmcnt(0)
	v_lshlrev_b32_e32 v0, 16, v0
	v_cvt_i32_f32_e32 v0, v0
	s_branch .LBB22_39
.LBB22_9:
                                        ; implicit-def: $vgpr0
	s_mov_b64 s[0:1], 0
	s_cbranch_execnz .LBB22_101
.LBB22_10:
	s_andn2_b64 vcc, exec, s[0:1]
	s_cbranch_vccnz .LBB22_148
.LBB22_11:
	s_waitcnt vmcnt(0)
	v_mul_lo_u32 v1, v14, s14
	v_mov_b32_e32 v2, s3
	s_and_b32 s26, s56, 0xff
	s_cmp_lt_i32 s26, 11
	v_ashrrev_i32_e32 v3, 31, v1
	v_add_co_u32_e32 v1, vcc, s2, v1
	v_addc_co_u32_e32 v2, vcc, v2, v3, vcc
	s_cbranch_scc1 .LBB22_19
; %bb.12:
	s_and_b32 s27, 0xffff, s26
	s_cmp_gt_i32 s27, 25
	s_cbranch_scc0 .LBB22_29
; %bb.13:
	s_cmp_gt_i32 s27, 28
	s_cbranch_scc0 .LBB22_32
; %bb.14:
	;; [unrolled: 3-line block ×4, first 2 shown]
	s_cmp_eq_u32 s27, 46
	s_mov_b64 s[18:19], 0
	s_cbranch_scc0 .LBB22_149
; %bb.17:
	global_load_dword v3, v[1:2], off
	s_mov_b64 s[0:1], -1
	s_mov_b64 s[20:21], 0
	s_waitcnt vmcnt(0)
	v_lshlrev_b32_e32 v3, 16, v3
	v_cvt_i32_f32_e32 v3, v3
	s_branch .LBB22_151
.LBB22_18:
	s_mov_b64 s[0:1], 0
                                        ; implicit-def: $vgpr0
	s_cbranch_execnz .LBB22_68
	s_branch .LBB22_100
.LBB22_19:
	s_mov_b64 s[20:21], 0
                                        ; implicit-def: $vgpr3
	s_mov_b64 s[0:1], 0
	s_cbranch_execnz .LBB22_324
.LBB22_20:
	s_andn2_b64 vcc, exec, s[0:1]
	s_cbranch_vccnz .LBB22_372
.LBB22_21:
	v_mul_lo_u32 v1, v14, s12
	s_waitcnt vmcnt(0)
	v_cmp_ne_u16_sdwa s[0:1], v0, v3 src0_sel:BYTE_0 src1_sel:BYTE_0
	v_mov_b32_e32 v2, s9
	s_xor_b64 s[18:19], s[16:17], s[0:1]
	v_ashrrev_i32_e32 v3, 31, v1
	s_and_b32 s36, s33, 0xff
	v_add_co_u32_e32 v0, vcc, s8, v1
	s_cmp_lt_i32 s36, 11
	v_addc_co_u32_e32 v1, vcc, v2, v3, vcc
	s_cbranch_scc1 .LBB22_30
; %bb.22:
	s_and_b32 s37, 0xffff, s36
	s_cmp_gt_i32 s37, 25
	s_cbranch_scc0 .LBB22_33
; %bb.23:
	s_cmp_gt_i32 s37, 28
	s_cbranch_scc0 .LBB22_36
; %bb.24:
	;; [unrolled: 3-line block ×4, first 2 shown]
	s_mov_b64 s[30:31], 0
	s_mov_b64 s[0:1], -1
	s_cmp_eq_u32 s37, 46
	s_mov_b64 s[26:27], 0
	s_cbranch_scc0 .LBB22_155
; %bb.27:
	v_cndmask_b32_e64 v2, 0, 1.0, s[18:19]
	v_bfe_u32 v3, v2, 16, 1
	s_movk_i32 s0, 0x7fff
	v_add3_u32 v2, v2, v3, s0
	v_lshrrev_b32_e32 v2, 16, v2
	global_store_dword v[0:1], v2, off
	s_mov_b64 s[26:27], -1
	s_mov_b64 s[0:1], 0
	s_branch .LBB22_155
.LBB22_28:
	s_mov_b64 s[18:19], -1
	s_mov_b64 s[0:1], 0
                                        ; implicit-def: $vgpr0
	s_branch .LBB22_51
.LBB22_29:
	s_mov_b64 s[18:19], -1
	s_mov_b64 s[20:21], 0
	s_mov_b64 s[0:1], 0
                                        ; implicit-def: $vgpr3
	s_branch .LBB22_290
.LBB22_30:
	s_mov_b64 s[30:31], -1
	s_mov_b64 s[0:1], 0
	s_mov_b64 s[26:27], 0
	s_branch .LBB22_224
.LBB22_31:
	s_mov_b64 s[18:19], -1
	s_mov_b64 s[0:1], 0
                                        ; implicit-def: $vgpr0
	s_branch .LBB22_46
.LBB22_32:
	s_mov_b64 s[18:19], -1
	s_mov_b64 s[20:21], 0
	s_mov_b64 s[0:1], 0
                                        ; implicit-def: $vgpr3
	s_branch .LBB22_273
.LBB22_33:
	s_mov_b64 s[30:31], -1
	s_mov_b64 s[0:1], 0
	s_mov_b64 s[26:27], 0
	s_branch .LBB22_182
.LBB22_34:
	s_mov_b64 s[18:19], -1
	s_branch .LBB22_38
.LBB22_35:
	s_mov_b64 s[18:19], -1
	s_mov_b64 s[20:21], 0
	s_mov_b64 s[0:1], 0
                                        ; implicit-def: $vgpr3
	s_branch .LBB22_268
.LBB22_36:
	s_mov_b64 s[30:31], -1
	s_mov_b64 s[0:1], 0
	s_mov_b64 s[26:27], 0
	s_branch .LBB22_165
.LBB22_37:
	s_mov_b64 s[22:23], -1
.LBB22_38:
	s_mov_b64 s[0:1], 0
                                        ; implicit-def: $vgpr0
.LBB22_39:
	s_and_b64 vcc, exec, s[18:19]
	s_cbranch_vccz .LBB22_45
; %bb.40:
	s_cmp_eq_u32 s21, 44
	s_cbranch_scc0 .LBB22_44
; %bb.41:
	global_load_ubyte v0, v[2:3], off
	s_mov_b64 s[0:1], -1
	s_mov_b64 s[22:23], 0
	s_waitcnt vmcnt(0)
	v_lshlrev_b32_e32 v1, 23, v0
	v_cvt_i32_f32_e32 v1, v1
	v_cmp_ne_u32_e32 vcc, 0, v0
	v_cndmask_b32_e32 v0, 0, v1, vcc
	s_branch .LBB22_45
.LBB22_42:
	s_mov_b64 s[18:19], -1
	s_mov_b64 s[20:21], 0
	s_branch .LBB22_150
.LBB22_43:
	s_mov_b64 s[30:31], -1
	s_mov_b64 s[0:1], 0
	s_mov_b64 s[26:27], 0
	s_branch .LBB22_161
.LBB22_44:
	s_mov_b64 s[22:23], -1
                                        ; implicit-def: $vgpr0
.LBB22_45:
	s_mov_b64 s[18:19], 0
.LBB22_46:
	s_and_b64 vcc, exec, s[18:19]
	s_cbranch_vccz .LBB22_50
; %bb.47:
	s_cmp_eq_u32 s21, 29
	s_cbranch_scc0 .LBB22_49
; %bb.48:
	global_load_dwordx2 v[0:1], v[2:3], off
	s_mov_b64 s[0:1], -1
	s_mov_b64 s[22:23], 0
	s_branch .LBB22_50
.LBB22_49:
	s_mov_b64 s[22:23], -1
                                        ; implicit-def: $vgpr0
.LBB22_50:
	s_mov_b64 s[18:19], 0
.LBB22_51:
	s_and_b64 vcc, exec, s[18:19]
	s_cbranch_vccz .LBB22_67
; %bb.52:
	s_cmp_lt_i32 s21, 27
	s_cbranch_scc1 .LBB22_55
; %bb.53:
	s_cmp_gt_i32 s21, 27
	s_cbranch_scc0 .LBB22_56
; %bb.54:
	global_load_dword v0, v[2:3], off
	s_mov_b64 s[0:1], 0
	s_branch .LBB22_57
.LBB22_55:
	s_mov_b64 s[0:1], -1
                                        ; implicit-def: $vgpr0
	s_branch .LBB22_60
.LBB22_56:
	s_mov_b64 s[0:1], -1
                                        ; implicit-def: $vgpr0
.LBB22_57:
	s_andn2_b64 vcc, exec, s[0:1]
	s_cbranch_vccnz .LBB22_59
; %bb.58:
	global_load_ushort v0, v[2:3], off
.LBB22_59:
	s_mov_b64 s[0:1], 0
.LBB22_60:
	s_andn2_b64 vcc, exec, s[0:1]
	s_cbranch_vccnz .LBB22_66
; %bb.61:
	global_load_ubyte v1, v[2:3], off
	s_movk_i32 s0, 0x7f
	s_mov_b64 s[18:19], 0
	s_waitcnt vmcnt(0)
	v_cmp_lt_i16_e32 vcc, s0, v1
	s_and_saveexec_b64 s[0:1], vcc
	s_xor_b64 s[0:1], exec, s[0:1]
	s_cbranch_execz .LBB22_77
; %bb.62:
	s_movk_i32 s18, 0x80
	v_cmp_ne_u16_e32 vcc, s18, v1
	s_and_b64 s[18:19], vcc, exec
	s_andn2_saveexec_b64 s[0:1], s[0:1]
	s_cbranch_execnz .LBB22_78
.LBB22_63:
	s_or_b64 exec, exec, s[0:1]
	v_mov_b32_e32 v0, 0
	s_and_saveexec_b64 s[0:1], s[18:19]
	s_cbranch_execz .LBB22_65
.LBB22_64:
	v_lshlrev_b32_e32 v0, 24, v1
	v_and_b32_e32 v1, 0xffff, v1
	v_and_b32_e32 v4, 7, v1
	v_ffbh_u32_e32 v6, v4
	v_min_u32_e32 v6, 32, v6
	v_subrev_u32_e32 v7, 28, v6
	v_bfe_u32 v5, v1, 3, 4
	v_lshlrev_b32_e32 v1, v7, v1
	v_sub_u32_e32 v6, 29, v6
	v_and_b32_e32 v1, 7, v1
	v_cmp_eq_u32_e32 vcc, 0, v5
	v_cndmask_b32_e32 v5, v5, v6, vcc
	v_cndmask_b32_e32 v1, v4, v1, vcc
	v_mov_b32_e32 v4, 0x3b800000
	v_lshlrev_b32_e32 v1, 20, v1
	v_and_b32_e32 v0, 0x80000000, v0
	v_lshl_add_u32 v4, v5, 23, v4
	v_or3_b32 v0, v0, v4, v1
	v_cvt_i32_f32_e32 v0, v0
.LBB22_65:
	s_or_b64 exec, exec, s[0:1]
.LBB22_66:
	s_mov_b64 s[0:1], -1
.LBB22_67:
	s_branch .LBB22_100
.LBB22_68:
	s_cmp_gt_i32 s21, 22
	s_cbranch_scc0 .LBB22_76
; %bb.69:
	s_cmp_lt_i32 s21, 24
	s_cbranch_scc1 .LBB22_79
; %bb.70:
	s_cmp_gt_i32 s21, 24
	s_cbranch_scc0 .LBB22_80
; %bb.71:
	global_load_ubyte v1, v[2:3], off
	s_movk_i32 s0, 0x7f
	s_mov_b64 s[18:19], 0
	s_waitcnt vmcnt(0)
	v_cmp_lt_i16_e32 vcc, s0, v1
	s_and_saveexec_b64 s[0:1], vcc
	s_xor_b64 s[0:1], exec, s[0:1]
	s_cbranch_execz .LBB22_92
; %bb.72:
	s_movk_i32 s18, 0x80
	v_cmp_ne_u16_e32 vcc, s18, v1
	s_and_b64 s[18:19], vcc, exec
	s_andn2_saveexec_b64 s[0:1], s[0:1]
	s_cbranch_execnz .LBB22_93
.LBB22_73:
	s_or_b64 exec, exec, s[0:1]
	v_mov_b32_e32 v0, 0
	s_and_saveexec_b64 s[0:1], s[18:19]
	s_cbranch_execz .LBB22_75
.LBB22_74:
	v_lshlrev_b32_e32 v0, 24, v1
	v_and_b32_e32 v1, 0xffff, v1
	v_and_b32_e32 v4, 3, v1
	v_ffbh_u32_e32 v6, v4
	v_min_u32_e32 v6, 32, v6
	v_subrev_u32_e32 v7, 29, v6
	v_bfe_u32 v5, v1, 2, 5
	v_lshlrev_b32_e32 v1, v7, v1
	v_sub_u32_e32 v6, 30, v6
	v_and_b32_e32 v1, 3, v1
	v_cmp_eq_u32_e32 vcc, 0, v5
	v_cndmask_b32_e32 v5, v5, v6, vcc
	v_cndmask_b32_e32 v1, v4, v1, vcc
	v_mov_b32_e32 v4, 0x37800000
	v_lshlrev_b32_e32 v1, 21, v1
	v_and_b32_e32 v0, 0x80000000, v0
	v_lshl_add_u32 v4, v5, 23, v4
	v_or3_b32 v0, v0, v4, v1
	v_cvt_i32_f32_e32 v0, v0
.LBB22_75:
	s_or_b64 exec, exec, s[0:1]
	s_mov_b64 s[0:1], 0
	s_branch .LBB22_81
.LBB22_76:
	s_mov_b64 s[18:19], -1
                                        ; implicit-def: $vgpr0
	s_branch .LBB22_87
.LBB22_77:
	s_andn2_saveexec_b64 s[0:1], s[0:1]
	s_cbranch_execz .LBB22_63
.LBB22_78:
	v_cmp_ne_u16_e32 vcc, 0, v1
	s_andn2_b64 s[18:19], s[18:19], exec
	s_and_b64 s[26:27], vcc, exec
	s_or_b64 s[18:19], s[18:19], s[26:27]
	s_or_b64 exec, exec, s[0:1]
	v_mov_b32_e32 v0, 0
	s_and_saveexec_b64 s[0:1], s[18:19]
	s_cbranch_execnz .LBB22_64
	s_branch .LBB22_65
.LBB22_79:
	s_mov_b64 s[0:1], -1
                                        ; implicit-def: $vgpr0
	s_branch .LBB22_84
.LBB22_80:
	s_mov_b64 s[0:1], -1
                                        ; implicit-def: $vgpr0
.LBB22_81:
	s_and_b64 vcc, exec, s[0:1]
	s_cbranch_vccz .LBB22_83
; %bb.82:
	global_load_ubyte v0, v[2:3], off
	s_mov_b32 s0, 0x7f800000
	s_waitcnt vmcnt(0)
	v_lshlrev_b32_e32 v0, 24, v0
	v_and_b32_e32 v1, 0x7f000000, v0
	v_ffbh_u32_e32 v4, v1
	v_min_u32_e32 v4, 32, v4
	v_sub_u32_e64 v4, v4, 4 clamp
	v_lshlrev_b32_e32 v6, v4, v1
	v_lshlrev_b32_e32 v4, 23, v4
	v_lshrrev_b32_e32 v6, 4, v6
	v_add_u32_e32 v5, 0x1000000, v1
	v_sub_u32_e32 v4, v6, v4
	v_ashrrev_i32_e32 v5, 8, v5
	v_add_u32_e32 v4, 0x3c000000, v4
	v_and_or_b32 v4, v5, s0, v4
	v_cmp_ne_u32_e32 vcc, 0, v1
	v_cndmask_b32_e32 v1, 0, v4, vcc
	s_brev_b32 s0, 1
	v_and_or_b32 v0, v0, s0, v1
	v_cvt_i32_f32_e32 v0, v0
.LBB22_83:
	s_mov_b64 s[0:1], 0
.LBB22_84:
	s_andn2_b64 vcc, exec, s[0:1]
	s_cbranch_vccnz .LBB22_86
; %bb.85:
	global_load_ubyte v0, v[2:3], off
	s_movk_i32 s0, 0x7f00
	s_brev_b32 s1, 16
	s_waitcnt vmcnt(0)
	v_lshlrev_b16_e32 v1, 8, v0
	v_lshlrev_b32_e32 v0, 25, v0
	v_lshrrev_b32_e32 v4, 4, v0
	v_and_or_b32 v5, v1, s0, 0.5
	v_or_b32_e32 v4, 0x70000000, v4
	v_add_f32_e32 v5, -0.5, v5
	v_mul_f32_e32 v4, 0x7800000, v4
	v_cmp_gt_u32_e32 vcc, s1, v0
	v_bfe_i32 v1, v1, 0, 16
	v_cndmask_b32_e32 v0, v4, v5, vcc
	s_brev_b32 s0, 1
	v_and_or_b32 v0, v1, s0, v0
	v_cvt_i32_f32_e32 v0, v0
.LBB22_86:
	s_mov_b64 s[18:19], 0
	s_mov_b64 s[0:1], -1
.LBB22_87:
	s_andn2_b64 vcc, exec, s[18:19]
	s_cbranch_vccnz .LBB22_100
; %bb.88:
	s_cmp_gt_i32 s21, 14
	s_cbranch_scc0 .LBB22_91
; %bb.89:
	s_cmp_eq_u32 s21, 15
	s_cbranch_scc0 .LBB22_94
; %bb.90:
	global_load_ushort v0, v[2:3], off
	s_mov_b64 s[0:1], -1
	s_mov_b64 s[22:23], 0
	s_waitcnt vmcnt(0)
	v_lshlrev_b32_e32 v0, 16, v0
	v_cvt_i32_f32_e32 v0, v0
	s_branch .LBB22_95
.LBB22_91:
	s_mov_b64 s[18:19], -1
                                        ; implicit-def: $vgpr0
	s_branch .LBB22_96
.LBB22_92:
	s_andn2_saveexec_b64 s[0:1], s[0:1]
	s_cbranch_execz .LBB22_73
.LBB22_93:
	v_cmp_ne_u16_e32 vcc, 0, v1
	s_andn2_b64 s[18:19], s[18:19], exec
	s_and_b64 s[26:27], vcc, exec
	s_or_b64 s[18:19], s[18:19], s[26:27]
	s_or_b64 exec, exec, s[0:1]
	v_mov_b32_e32 v0, 0
	s_and_saveexec_b64 s[0:1], s[18:19]
	s_cbranch_execnz .LBB22_74
	s_branch .LBB22_75
.LBB22_94:
	s_mov_b64 s[22:23], -1
                                        ; implicit-def: $vgpr0
.LBB22_95:
	s_mov_b64 s[18:19], 0
.LBB22_96:
	s_and_b64 vcc, exec, s[18:19]
	s_cbranch_vccz .LBB22_100
; %bb.97:
	s_cmp_eq_u32 s21, 11
	s_cbranch_scc0 .LBB22_99
; %bb.98:
	global_load_ubyte v0, v[2:3], off
	s_mov_b64 s[0:1], -1
	s_mov_b64 s[22:23], 0
	s_waitcnt vmcnt(0)
	v_cmp_ne_u16_e32 vcc, 0, v0
	v_cndmask_b32_e64 v0, 0, 1, vcc
	s_branch .LBB22_100
.LBB22_99:
	s_mov_b64 s[22:23], -1
                                        ; implicit-def: $vgpr0
.LBB22_100:
	s_branch .LBB22_10
.LBB22_101:
	s_and_b32 s18, 0xffff, s20
	s_cmp_lt_i32 s18, 5
	s_cbranch_scc1 .LBB22_106
; %bb.102:
	s_cmp_lt_i32 s18, 8
	s_cbranch_scc1 .LBB22_107
; %bb.103:
	;; [unrolled: 3-line block ×3, first 2 shown]
	s_cmp_gt_i32 s18, 9
	s_cbranch_scc0 .LBB22_109
; %bb.105:
	global_load_dwordx2 v[0:1], v[2:3], off
	s_mov_b64 s[0:1], 0
	s_waitcnt vmcnt(0)
	v_cvt_i32_f64_e32 v0, v[0:1]
	s_branch .LBB22_110
.LBB22_106:
                                        ; implicit-def: $vgpr0
	s_branch .LBB22_128
.LBB22_107:
	s_mov_b64 s[0:1], -1
                                        ; implicit-def: $vgpr0
	s_branch .LBB22_116
.LBB22_108:
	s_mov_b64 s[0:1], -1
                                        ; implicit-def: $vgpr0
	s_branch .LBB22_113
.LBB22_109:
	s_mov_b64 s[0:1], -1
                                        ; implicit-def: $vgpr0
.LBB22_110:
	s_andn2_b64 vcc, exec, s[0:1]
	s_cbranch_vccnz .LBB22_112
; %bb.111:
	global_load_dword v0, v[2:3], off
	s_waitcnt vmcnt(0)
	v_cvt_i32_f32_e32 v0, v0
.LBB22_112:
	s_mov_b64 s[0:1], 0
.LBB22_113:
	s_andn2_b64 vcc, exec, s[0:1]
	s_cbranch_vccnz .LBB22_115
; %bb.114:
	global_load_dword v0, v[2:3], off
	s_waitcnt vmcnt(0)
	v_cvt_i16_f16_e32 v0, v0
.LBB22_115:
	s_mov_b64 s[0:1], 0
.LBB22_116:
	s_andn2_b64 vcc, exec, s[0:1]
	s_cbranch_vccnz .LBB22_127
; %bb.117:
	s_cmp_lt_i32 s18, 6
	s_cbranch_scc1 .LBB22_120
; %bb.118:
	s_cmp_gt_i32 s18, 6
	s_cbranch_scc0 .LBB22_121
; %bb.119:
	global_load_dwordx2 v[0:1], v[2:3], off
	s_mov_b64 s[0:1], 0
	s_waitcnt vmcnt(0)
	v_cvt_i32_f64_e32 v0, v[0:1]
	s_branch .LBB22_122
.LBB22_120:
	s_mov_b64 s[0:1], -1
                                        ; implicit-def: $vgpr0
	s_branch .LBB22_125
.LBB22_121:
	s_mov_b64 s[0:1], -1
                                        ; implicit-def: $vgpr0
.LBB22_122:
	s_andn2_b64 vcc, exec, s[0:1]
	s_cbranch_vccnz .LBB22_124
; %bb.123:
	global_load_dword v0, v[2:3], off
	s_waitcnt vmcnt(0)
	v_cvt_i32_f32_e32 v0, v0
.LBB22_124:
	s_mov_b64 s[0:1], 0
.LBB22_125:
	s_andn2_b64 vcc, exec, s[0:1]
	s_cbranch_vccnz .LBB22_127
; %bb.126:
	global_load_ushort v0, v[2:3], off
	s_waitcnt vmcnt(0)
	v_cvt_i16_f16_e32 v0, v0
.LBB22_127:
	s_cbranch_execnz .LBB22_147
.LBB22_128:
	s_cmp_lt_i32 s18, 2
	s_cbranch_scc1 .LBB22_132
; %bb.129:
	s_cmp_lt_i32 s18, 3
	s_cbranch_scc1 .LBB22_133
; %bb.130:
	s_cmp_gt_i32 s18, 3
	s_cbranch_scc0 .LBB22_134
; %bb.131:
	global_load_dwordx2 v[0:1], v[2:3], off
	s_mov_b64 s[0:1], 0
	s_branch .LBB22_135
.LBB22_132:
	s_mov_b64 s[0:1], -1
                                        ; implicit-def: $vgpr0
	s_branch .LBB22_141
.LBB22_133:
	s_mov_b64 s[0:1], -1
                                        ; implicit-def: $vgpr0
	s_branch .LBB22_138
.LBB22_134:
	s_mov_b64 s[0:1], -1
                                        ; implicit-def: $vgpr0
.LBB22_135:
	s_andn2_b64 vcc, exec, s[0:1]
	s_cbranch_vccnz .LBB22_137
; %bb.136:
	global_load_dword v0, v[2:3], off
.LBB22_137:
	s_mov_b64 s[0:1], 0
.LBB22_138:
	s_andn2_b64 vcc, exec, s[0:1]
	s_cbranch_vccnz .LBB22_140
; %bb.139:
	global_load_ushort v0, v[2:3], off
.LBB22_140:
	s_mov_b64 s[0:1], 0
.LBB22_141:
	s_andn2_b64 vcc, exec, s[0:1]
	s_cbranch_vccnz .LBB22_147
; %bb.142:
	s_cmp_gt_i32 s18, 0
	s_cbranch_scc0 .LBB22_144
; %bb.143:
	global_load_ubyte v0, v[2:3], off
	s_mov_b64 s[0:1], 0
	s_branch .LBB22_145
.LBB22_144:
	s_mov_b64 s[0:1], -1
                                        ; implicit-def: $vgpr0
.LBB22_145:
	s_andn2_b64 vcc, exec, s[0:1]
	s_cbranch_vccnz .LBB22_147
; %bb.146:
	global_load_ubyte v0, v[2:3], off
.LBB22_147:
	s_branch .LBB22_11
.LBB22_148:
	s_mov_b64 s[0:1], 0
	s_mov_b64 s[20:21], 0
	s_branch .LBB22_373
.LBB22_149:
	s_mov_b64 s[20:21], -1
.LBB22_150:
	s_mov_b64 s[0:1], 0
                                        ; implicit-def: $vgpr3
.LBB22_151:
	s_and_b64 vcc, exec, s[18:19]
	s_cbranch_vccz .LBB22_267
; %bb.152:
	s_cmp_eq_u32 s27, 44
	s_cbranch_scc0 .LBB22_266
; %bb.153:
	global_load_ubyte v3, v[1:2], off
	s_mov_b64 s[0:1], -1
	s_mov_b64 s[20:21], 0
	s_waitcnt vmcnt(0)
	v_lshlrev_b32_e32 v4, 23, v3
	v_cvt_i32_f32_e32 v4, v4
	v_cmp_ne_u32_e32 vcc, 0, v3
	v_cndmask_b32_e32 v3, 0, v4, vcc
	s_branch .LBB22_267
.LBB22_154:
	s_mov_b64 s[30:31], -1
	s_mov_b64 s[0:1], 0
	s_mov_b64 s[26:27], 0
.LBB22_155:
	s_and_b64 vcc, exec, s[30:31]
	s_cbranch_vccz .LBB22_160
; %bb.156:
	s_cmp_eq_u32 s37, 44
	s_mov_b64 s[0:1], -1
	s_cbranch_scc0 .LBB22_160
; %bb.157:
	v_cndmask_b32_e64 v3, 0, 1.0, s[18:19]
	v_lshrrev_b32_e32 v2, 23, v3
	s_movk_i32 s0, 0xff
	v_cmp_ne_u32_e32 vcc, s0, v2
	v_mov_b32_e32 v4, 0xff
	s_and_saveexec_b64 s[26:27], vcc
; %bb.158:
	s_mov_b32 s0, 0x3fffff
	v_and_b32_e32 v4, 0x400000, v3
	v_and_or_b32 v3, v3, s0, v2
	v_cmp_ne_u32_e32 vcc, 0, v4
	v_cmp_ne_u32_e64 s[0:1], 0, v3
	s_and_b64 s[0:1], vcc, s[0:1]
	v_cndmask_b32_e64 v3, 0, 1, s[0:1]
	v_add_u32_e32 v4, v2, v3
; %bb.159:
	s_or_b64 exec, exec, s[26:27]
	s_mov_b64 s[26:27], -1
	s_mov_b64 s[0:1], 0
	global_store_byte v[0:1], v4, off
.LBB22_160:
	s_mov_b64 s[30:31], 0
.LBB22_161:
	s_and_b64 vcc, exec, s[30:31]
	s_cbranch_vccz .LBB22_164
; %bb.162:
	s_cmp_eq_u32 s37, 29
	s_mov_b64 s[0:1], -1
	s_cbranch_scc0 .LBB22_164
; %bb.163:
	s_mov_b32 s0, 0
	v_cndmask_b32_e64 v2, 0, 1, s[18:19]
	v_mov_b32_e32 v3, s0
	global_store_dwordx2 v[0:1], v[2:3], off
	s_mov_b64 s[26:27], -1
	s_mov_b64 s[0:1], 0
.LBB22_164:
	s_mov_b64 s[30:31], 0
.LBB22_165:
	s_and_b64 vcc, exec, s[30:31]
	s_cbranch_vccz .LBB22_181
; %bb.166:
	s_cmp_lt_i32 s37, 27
	s_mov_b64 s[26:27], -1
	s_cbranch_scc1 .LBB22_172
; %bb.167:
	s_cmp_gt_i32 s37, 27
	s_cbranch_scc0 .LBB22_169
; %bb.168:
	v_cndmask_b32_e64 v2, 0, 1, s[18:19]
	s_mov_b64 s[26:27], 0
	global_store_dword v[0:1], v2, off
.LBB22_169:
	s_andn2_b64 vcc, exec, s[26:27]
	s_cbranch_vccnz .LBB22_171
; %bb.170:
	v_cndmask_b32_e64 v2, 0, 1, s[18:19]
	global_store_short v[0:1], v2, off
.LBB22_171:
	s_mov_b64 s[26:27], 0
.LBB22_172:
	s_andn2_b64 vcc, exec, s[26:27]
	s_cbranch_vccnz .LBB22_180
; %bb.173:
	v_cndmask_b32_e64 v3, 0, 1.0, s[18:19]
	s_mov_b32 s26, 0x43800000
	v_cmp_gt_u32_e32 vcc, s26, v3
	v_mov_b32_e32 v4, 0x80
	s_and_saveexec_b64 s[26:27], vcc
	s_cbranch_execz .LBB22_179
; %bb.174:
	s_mov_b32 s30, 0x3bffffff
	v_cmp_lt_u32_e32 vcc, s30, v3
	s_mov_b64 s[30:31], 0
                                        ; implicit-def: $vgpr2
	s_and_saveexec_b64 s[34:35], vcc
	s_xor_b64 s[34:35], exec, s[34:35]
	s_cbranch_execz .LBB22_404
; %bb.175:
	v_bfe_u32 v2, v3, 20, 1
	s_mov_b32 s38, 0x487ffff
	v_add3_u32 v2, v3, v2, s38
	s_mov_b64 s[30:31], exec
	v_lshrrev_b32_e32 v2, 20, v2
                                        ; implicit-def: $vgpr3
	s_andn2_saveexec_b64 s[34:35], s[34:35]
	s_cbranch_execnz .LBB22_405
.LBB22_176:
	s_or_b64 exec, exec, s[34:35]
	v_mov_b32_e32 v4, 0
	s_and_saveexec_b64 s[34:35], s[30:31]
.LBB22_177:
	v_mov_b32_e32 v4, v2
.LBB22_178:
	s_or_b64 exec, exec, s[34:35]
.LBB22_179:
	s_or_b64 exec, exec, s[26:27]
	global_store_byte v[0:1], v4, off
.LBB22_180:
	s_mov_b64 s[26:27], -1
.LBB22_181:
	s_mov_b64 s[30:31], 0
.LBB22_182:
	s_and_b64 vcc, exec, s[30:31]
	s_cbranch_vccz .LBB22_223
; %bb.183:
	s_cmp_gt_i32 s37, 22
	s_mov_b64 s[30:31], -1
	s_cbranch_scc0 .LBB22_215
; %bb.184:
	s_cmp_lt_i32 s37, 24
	s_mov_b64 s[26:27], -1
	s_cbranch_scc1 .LBB22_204
; %bb.185:
	s_cmp_gt_i32 s37, 24
	s_cbranch_scc0 .LBB22_193
; %bb.186:
	v_cndmask_b32_e64 v3, 0, 1.0, s[18:19]
	s_mov_b32 s26, 0x47800000
	v_cmp_gt_u32_e32 vcc, s26, v3
	v_mov_b32_e32 v4, 0x80
	s_and_saveexec_b64 s[26:27], vcc
	s_cbranch_execz .LBB22_192
; %bb.187:
	s_mov_b32 s30, 0x37ffffff
	v_cmp_lt_u32_e32 vcc, s30, v3
	s_mov_b64 s[30:31], 0
                                        ; implicit-def: $vgpr2
	s_and_saveexec_b64 s[34:35], vcc
	s_xor_b64 s[34:35], exec, s[34:35]
	s_cbranch_execz .LBB22_519
; %bb.188:
	v_bfe_u32 v2, v3, 21, 1
	s_mov_b32 s38, 0x88fffff
	v_add3_u32 v2, v3, v2, s38
	s_mov_b64 s[30:31], exec
	v_lshrrev_b32_e32 v2, 21, v2
                                        ; implicit-def: $vgpr3
	s_andn2_saveexec_b64 s[34:35], s[34:35]
	s_cbranch_execnz .LBB22_520
.LBB22_189:
	s_or_b64 exec, exec, s[34:35]
	v_mov_b32_e32 v4, 0
	s_and_saveexec_b64 s[34:35], s[30:31]
.LBB22_190:
	v_mov_b32_e32 v4, v2
.LBB22_191:
	s_or_b64 exec, exec, s[34:35]
.LBB22_192:
	s_or_b64 exec, exec, s[26:27]
	s_mov_b64 s[26:27], 0
	global_store_byte v[0:1], v4, off
.LBB22_193:
	s_and_b64 vcc, exec, s[26:27]
	s_cbranch_vccz .LBB22_203
; %bb.194:
	v_cndmask_b32_e64 v2, 0, 1.0, s[18:19]
	s_mov_b32 s26, 0x43f00000
	v_cmp_gt_u32_e32 vcc, s26, v2
                                        ; implicit-def: $vgpr3
	s_and_saveexec_b64 s[26:27], vcc
	s_xor_b64 s[26:27], exec, s[26:27]
	s_cbranch_execz .LBB22_200
; %bb.195:
	s_mov_b32 s30, 0x3c7fffff
	v_cmp_lt_u32_e32 vcc, s30, v2
                                        ; implicit-def: $vgpr3
	s_and_saveexec_b64 s[30:31], vcc
	s_xor_b64 s[30:31], exec, s[30:31]
; %bb.196:
	v_bfe_u32 v3, v2, 20, 1
	s_mov_b32 s34, 0x407ffff
	v_add3_u32 v2, v2, v3, s34
	v_lshrrev_b32_e32 v3, 20, v2
	v_and_b32_e32 v2, 0xff00000, v2
	s_mov_b32 s34, 0x7f00000
	v_mov_b32_e32 v4, 0x7e
	v_cmp_ne_u32_e32 vcc, s34, v2
	v_cndmask_b32_e32 v3, v4, v3, vcc
                                        ; implicit-def: $vgpr2
; %bb.197:
	s_andn2_saveexec_b64 s[30:31], s[30:31]
; %bb.198:
	v_add_f32_e32 v3, 0x46800000, v2
; %bb.199:
	s_or_b64 exec, exec, s[30:31]
                                        ; implicit-def: $vgpr2
.LBB22_200:
	s_andn2_saveexec_b64 s[26:27], s[26:27]
; %bb.201:
	s_mov_b32 s30, 0x7f800000
	v_mov_b32_e32 v3, 0x7e
	v_mov_b32_e32 v4, 0x7f
	v_cmp_lt_u32_e32 vcc, s30, v2
	v_cndmask_b32_e32 v3, v3, v4, vcc
; %bb.202:
	s_or_b64 exec, exec, s[26:27]
	global_store_byte v[0:1], v3, off
.LBB22_203:
	s_mov_b64 s[26:27], 0
.LBB22_204:
	s_andn2_b64 vcc, exec, s[26:27]
	s_cbranch_vccnz .LBB22_214
; %bb.205:
	v_cndmask_b32_e64 v2, 0, 1.0, s[18:19]
	s_mov_b32 s26, 0x47800000
	v_cmp_gt_u32_e32 vcc, s26, v2
                                        ; implicit-def: $vgpr3
	s_and_saveexec_b64 s[26:27], vcc
	s_xor_b64 s[26:27], exec, s[26:27]
	s_cbranch_execz .LBB22_211
; %bb.206:
	s_mov_b32 s30, 0x387fffff
	v_cmp_lt_u32_e32 vcc, s30, v2
                                        ; implicit-def: $vgpr3
	s_and_saveexec_b64 s[30:31], vcc
	s_xor_b64 s[30:31], exec, s[30:31]
; %bb.207:
	v_bfe_u32 v3, v2, 21, 1
	s_mov_b32 s34, 0x80fffff
	v_add3_u32 v2, v2, v3, s34
	v_lshrrev_b32_e32 v3, 21, v2
                                        ; implicit-def: $vgpr2
; %bb.208:
	s_andn2_saveexec_b64 s[30:31], s[30:31]
; %bb.209:
	v_add_f32_e32 v3, 0x43000000, v2
; %bb.210:
	s_or_b64 exec, exec, s[30:31]
                                        ; implicit-def: $vgpr2
.LBB22_211:
	s_andn2_saveexec_b64 s[26:27], s[26:27]
; %bb.212:
	s_mov_b32 s30, 0x7f800000
	v_mov_b32_e32 v3, 0x7c
	v_mov_b32_e32 v4, 0x7f
	v_cmp_lt_u32_e32 vcc, s30, v2
	v_cndmask_b32_e32 v3, v3, v4, vcc
; %bb.213:
	s_or_b64 exec, exec, s[26:27]
	global_store_byte v[0:1], v3, off
.LBB22_214:
	s_mov_b64 s[30:31], 0
	s_mov_b64 s[26:27], -1
.LBB22_215:
	s_andn2_b64 vcc, exec, s[30:31]
	s_cbranch_vccnz .LBB22_223
; %bb.216:
	s_cmp_gt_i32 s37, 14
	s_mov_b64 s[30:31], -1
	s_cbranch_scc0 .LBB22_220
; %bb.217:
	s_cmp_eq_u32 s37, 15
	s_mov_b64 s[0:1], -1
	s_cbranch_scc0 .LBB22_219
; %bb.218:
	v_cndmask_b32_e64 v2, 0, 1.0, s[18:19]
	v_bfe_u32 v3, v2, 16, 1
	s_movk_i32 s0, 0x7fff
	v_add3_u32 v2, v2, v3, s0
	global_store_short_d16_hi v[0:1], v2, off
	s_mov_b64 s[26:27], -1
	s_mov_b64 s[0:1], 0
.LBB22_219:
	s_mov_b64 s[30:31], 0
.LBB22_220:
	s_and_b64 vcc, exec, s[30:31]
	s_cbranch_vccz .LBB22_223
; %bb.221:
	s_cmp_eq_u32 s37, 11
	s_mov_b64 s[0:1], -1
	s_cbranch_scc0 .LBB22_223
; %bb.222:
	v_cndmask_b32_e64 v2, 0, 1, s[18:19]
	s_mov_b64 s[26:27], -1
	s_mov_b64 s[0:1], 0
	global_store_byte v[0:1], v2, off
.LBB22_223:
	s_mov_b64 s[30:31], 0
.LBB22_224:
	s_and_b64 vcc, exec, s[30:31]
	s_cbranch_vccz .LBB22_263
; %bb.225:
	s_and_b32 s30, 0xffff, s36
	s_cmp_lt_i32 s30, 5
	s_mov_b64 s[26:27], -1
	s_cbranch_scc1 .LBB22_246
; %bb.226:
	s_cmp_lt_i32 s30, 8
	s_cbranch_scc1 .LBB22_236
; %bb.227:
	s_cmp_lt_i32 s30, 9
	s_cbranch_scc1 .LBB22_233
; %bb.228:
	s_cmp_gt_i32 s30, 9
	s_cbranch_scc0 .LBB22_230
; %bb.229:
	v_cndmask_b32_e64 v2, 0, 1, s[18:19]
	v_cvt_f64_u32_e32 v[2:3], v2
	v_mov_b32_e32 v4, 0
	v_mov_b32_e32 v5, v4
	s_mov_b64 s[26:27], 0
	global_store_dwordx4 v[0:1], v[2:5], off
.LBB22_230:
	s_andn2_b64 vcc, exec, s[26:27]
	s_cbranch_vccnz .LBB22_232
; %bb.231:
	v_cndmask_b32_e64 v2, 0, 1.0, s[18:19]
	v_mov_b32_e32 v3, 0
	global_store_dwordx2 v[0:1], v[2:3], off
.LBB22_232:
	s_mov_b64 s[26:27], 0
.LBB22_233:
	s_andn2_b64 vcc, exec, s[26:27]
	s_cbranch_vccnz .LBB22_235
; %bb.234:
	v_cndmask_b32_e64 v2, 0, 1.0, s[18:19]
	v_cvt_f16_f32_e32 v2, v2
	global_store_dword v[0:1], v2, off
.LBB22_235:
	s_mov_b64 s[26:27], 0
.LBB22_236:
	s_andn2_b64 vcc, exec, s[26:27]
	s_cbranch_vccnz .LBB22_245
; %bb.237:
	s_cmp_lt_i32 s30, 6
	s_mov_b64 s[26:27], -1
	s_cbranch_scc1 .LBB22_243
; %bb.238:
	s_cmp_gt_i32 s30, 6
	s_cbranch_scc0 .LBB22_240
; %bb.239:
	v_cndmask_b32_e64 v2, 0, 1, s[18:19]
	v_cvt_f64_u32_e32 v[2:3], v2
	s_mov_b64 s[26:27], 0
	global_store_dwordx2 v[0:1], v[2:3], off
.LBB22_240:
	s_andn2_b64 vcc, exec, s[26:27]
	s_cbranch_vccnz .LBB22_242
; %bb.241:
	v_cndmask_b32_e64 v2, 0, 1.0, s[18:19]
	global_store_dword v[0:1], v2, off
.LBB22_242:
	s_mov_b64 s[26:27], 0
.LBB22_243:
	s_andn2_b64 vcc, exec, s[26:27]
	s_cbranch_vccnz .LBB22_245
; %bb.244:
	v_cndmask_b32_e64 v2, 0, 1.0, s[18:19]
	v_cvt_f16_f32_e32 v2, v2
	global_store_short v[0:1], v2, off
.LBB22_245:
	s_mov_b64 s[26:27], 0
.LBB22_246:
	s_andn2_b64 vcc, exec, s[26:27]
	s_cbranch_vccnz .LBB22_262
; %bb.247:
	s_cmp_lt_i32 s30, 2
	s_mov_b64 s[26:27], -1
	s_cbranch_scc1 .LBB22_257
; %bb.248:
	s_cmp_lt_i32 s30, 3
	s_cbranch_scc1 .LBB22_254
; %bb.249:
	s_cmp_gt_i32 s30, 3
	s_cbranch_scc0 .LBB22_251
; %bb.250:
	s_mov_b32 s26, 0
	v_cndmask_b32_e64 v2, 0, 1, s[18:19]
	v_mov_b32_e32 v3, s26
	global_store_dwordx2 v[0:1], v[2:3], off
	s_mov_b64 s[26:27], 0
.LBB22_251:
	s_andn2_b64 vcc, exec, s[26:27]
	s_cbranch_vccnz .LBB22_253
; %bb.252:
	v_cndmask_b32_e64 v2, 0, 1, s[18:19]
	global_store_dword v[0:1], v2, off
.LBB22_253:
	s_mov_b64 s[26:27], 0
.LBB22_254:
	s_andn2_b64 vcc, exec, s[26:27]
	s_cbranch_vccnz .LBB22_256
; %bb.255:
	v_cndmask_b32_e64 v2, 0, 1, s[18:19]
	global_store_short v[0:1], v2, off
.LBB22_256:
	s_mov_b64 s[26:27], 0
.LBB22_257:
	s_andn2_b64 vcc, exec, s[26:27]
	s_cbranch_vccnz .LBB22_262
; %bb.258:
	s_mov_b64 s[26:27], -1
	s_cmp_gt_i32 s30, 0
	v_cndmask_b32_e64 v2, 0, 1, s[18:19]
	s_cbranch_scc0 .LBB22_260
; %bb.259:
	global_store_byte v[0:1], v2, off
	s_mov_b64 s[26:27], 0
.LBB22_260:
	s_andn2_b64 vcc, exec, s[26:27]
	s_cbranch_vccnz .LBB22_262
; %bb.261:
	global_store_byte v[0:1], v2, off
.LBB22_262:
	s_mov_b64 s[26:27], -1
.LBB22_263:
	s_andn2_b64 vcc, exec, s[26:27]
	s_cbranch_vccnz .LBB22_265
; %bb.264:
	v_add_u32_e32 v14, 0x80, v14
	s_mov_b64 s[26:27], -1
	s_branch .LBB22_374
.LBB22_265:
	s_mov_b64 s[26:27], 0
                                        ; implicit-def: $vgpr14
	s_branch .LBB22_374
.LBB22_266:
	s_mov_b64 s[20:21], -1
                                        ; implicit-def: $vgpr3
.LBB22_267:
	s_mov_b64 s[18:19], 0
.LBB22_268:
	s_and_b64 vcc, exec, s[18:19]
	s_cbranch_vccz .LBB22_272
; %bb.269:
	s_cmp_eq_u32 s27, 29
	s_cbranch_scc0 .LBB22_271
; %bb.270:
	global_load_dwordx2 v[3:4], v[1:2], off
	s_mov_b64 s[0:1], -1
	s_mov_b64 s[20:21], 0
	s_branch .LBB22_272
.LBB22_271:
	s_mov_b64 s[20:21], -1
                                        ; implicit-def: $vgpr3
.LBB22_272:
	s_mov_b64 s[18:19], 0
.LBB22_273:
	s_and_b64 vcc, exec, s[18:19]
	s_cbranch_vccz .LBB22_289
; %bb.274:
	s_cmp_lt_i32 s27, 27
	s_cbranch_scc1 .LBB22_277
; %bb.275:
	s_cmp_gt_i32 s27, 27
	s_cbranch_scc0 .LBB22_278
; %bb.276:
	global_load_dword v3, v[1:2], off
	s_mov_b64 s[0:1], 0
	s_branch .LBB22_279
.LBB22_277:
	s_mov_b64 s[0:1], -1
                                        ; implicit-def: $vgpr3
	s_branch .LBB22_282
.LBB22_278:
	s_mov_b64 s[0:1], -1
                                        ; implicit-def: $vgpr3
.LBB22_279:
	s_andn2_b64 vcc, exec, s[0:1]
	s_cbranch_vccnz .LBB22_281
; %bb.280:
	global_load_ushort v3, v[1:2], off
.LBB22_281:
	s_mov_b64 s[0:1], 0
.LBB22_282:
	s_andn2_b64 vcc, exec, s[0:1]
	s_cbranch_vccnz .LBB22_288
; %bb.283:
	global_load_ubyte v4, v[1:2], off
	s_movk_i32 s0, 0x7f
	s_mov_b64 s[18:19], 0
	s_waitcnt vmcnt(0)
	v_cmp_lt_i16_e32 vcc, s0, v4
	s_and_saveexec_b64 s[0:1], vcc
	s_xor_b64 s[0:1], exec, s[0:1]
	s_cbranch_execz .LBB22_300
; %bb.284:
	s_movk_i32 s18, 0x80
	v_cmp_ne_u16_e32 vcc, s18, v4
	s_and_b64 s[18:19], vcc, exec
	s_andn2_saveexec_b64 s[0:1], s[0:1]
	s_cbranch_execnz .LBB22_301
.LBB22_285:
	s_or_b64 exec, exec, s[0:1]
	v_mov_b32_e32 v3, 0
	s_and_saveexec_b64 s[0:1], s[18:19]
	s_cbranch_execz .LBB22_287
.LBB22_286:
	v_lshlrev_b32_e32 v3, 24, v4
	v_and_b32_e32 v4, 0xffff, v4
	v_and_b32_e32 v5, 7, v4
	v_ffbh_u32_e32 v7, v5
	v_min_u32_e32 v7, 32, v7
	v_subrev_u32_e32 v8, 28, v7
	v_bfe_u32 v6, v4, 3, 4
	v_lshlrev_b32_e32 v4, v8, v4
	v_sub_u32_e32 v7, 29, v7
	v_and_b32_e32 v4, 7, v4
	v_cmp_eq_u32_e32 vcc, 0, v6
	v_cndmask_b32_e32 v6, v6, v7, vcc
	v_cndmask_b32_e32 v4, v5, v4, vcc
	v_mov_b32_e32 v5, 0x3b800000
	v_lshlrev_b32_e32 v4, 20, v4
	v_and_b32_e32 v3, 0x80000000, v3
	v_lshl_add_u32 v5, v6, 23, v5
	v_or3_b32 v3, v3, v5, v4
	v_cvt_i32_f32_e32 v3, v3
.LBB22_287:
	s_or_b64 exec, exec, s[0:1]
.LBB22_288:
	s_mov_b64 s[0:1], -1
.LBB22_289:
	s_mov_b64 s[18:19], 0
.LBB22_290:
	s_and_b64 vcc, exec, s[18:19]
	s_cbranch_vccz .LBB22_323
; %bb.291:
	s_cmp_gt_i32 s27, 22
	s_cbranch_scc0 .LBB22_299
; %bb.292:
	s_cmp_lt_i32 s27, 24
	s_cbranch_scc1 .LBB22_302
; %bb.293:
	s_cmp_gt_i32 s27, 24
	s_cbranch_scc0 .LBB22_303
; %bb.294:
	global_load_ubyte v4, v[1:2], off
	s_movk_i32 s0, 0x7f
	s_mov_b64 s[18:19], 0
	s_waitcnt vmcnt(0)
	v_cmp_lt_i16_e32 vcc, s0, v4
	s_and_saveexec_b64 s[0:1], vcc
	s_xor_b64 s[0:1], exec, s[0:1]
	s_cbranch_execz .LBB22_315
; %bb.295:
	s_movk_i32 s18, 0x80
	v_cmp_ne_u16_e32 vcc, s18, v4
	s_and_b64 s[18:19], vcc, exec
	s_andn2_saveexec_b64 s[0:1], s[0:1]
	s_cbranch_execnz .LBB22_316
.LBB22_296:
	s_or_b64 exec, exec, s[0:1]
	v_mov_b32_e32 v3, 0
	s_and_saveexec_b64 s[0:1], s[18:19]
	s_cbranch_execz .LBB22_298
.LBB22_297:
	v_lshlrev_b32_e32 v3, 24, v4
	v_and_b32_e32 v4, 0xffff, v4
	v_and_b32_e32 v5, 3, v4
	v_ffbh_u32_e32 v7, v5
	v_min_u32_e32 v7, 32, v7
	v_subrev_u32_e32 v8, 29, v7
	v_bfe_u32 v6, v4, 2, 5
	v_lshlrev_b32_e32 v4, v8, v4
	v_sub_u32_e32 v7, 30, v7
	v_and_b32_e32 v4, 3, v4
	v_cmp_eq_u32_e32 vcc, 0, v6
	v_cndmask_b32_e32 v6, v6, v7, vcc
	v_cndmask_b32_e32 v4, v5, v4, vcc
	v_mov_b32_e32 v5, 0x37800000
	v_lshlrev_b32_e32 v4, 21, v4
	v_and_b32_e32 v3, 0x80000000, v3
	v_lshl_add_u32 v5, v6, 23, v5
	v_or3_b32 v3, v3, v5, v4
	v_cvt_i32_f32_e32 v3, v3
.LBB22_298:
	s_or_b64 exec, exec, s[0:1]
	s_mov_b64 s[0:1], 0
	s_branch .LBB22_304
.LBB22_299:
	s_mov_b64 s[18:19], -1
                                        ; implicit-def: $vgpr3
	s_branch .LBB22_310
.LBB22_300:
	s_andn2_saveexec_b64 s[0:1], s[0:1]
	s_cbranch_execz .LBB22_285
.LBB22_301:
	v_cmp_ne_u16_e32 vcc, 0, v4
	s_andn2_b64 s[18:19], s[18:19], exec
	s_and_b64 s[30:31], vcc, exec
	s_or_b64 s[18:19], s[18:19], s[30:31]
	s_or_b64 exec, exec, s[0:1]
	v_mov_b32_e32 v3, 0
	s_and_saveexec_b64 s[0:1], s[18:19]
	s_cbranch_execnz .LBB22_286
	s_branch .LBB22_287
.LBB22_302:
	s_mov_b64 s[0:1], -1
                                        ; implicit-def: $vgpr3
	s_branch .LBB22_307
.LBB22_303:
	s_mov_b64 s[0:1], -1
                                        ; implicit-def: $vgpr3
.LBB22_304:
	s_and_b64 vcc, exec, s[0:1]
	s_cbranch_vccz .LBB22_306
; %bb.305:
	global_load_ubyte v3, v[1:2], off
	s_mov_b32 s0, 0x7f800000
	s_waitcnt vmcnt(0)
	v_lshlrev_b32_e32 v3, 24, v3
	v_and_b32_e32 v4, 0x7f000000, v3
	v_ffbh_u32_e32 v5, v4
	v_min_u32_e32 v5, 32, v5
	v_sub_u32_e64 v5, v5, 4 clamp
	v_lshlrev_b32_e32 v7, v5, v4
	v_lshlrev_b32_e32 v5, 23, v5
	v_lshrrev_b32_e32 v7, 4, v7
	v_add_u32_e32 v6, 0x1000000, v4
	v_sub_u32_e32 v5, v7, v5
	v_ashrrev_i32_e32 v6, 8, v6
	v_add_u32_e32 v5, 0x3c000000, v5
	v_and_or_b32 v5, v6, s0, v5
	v_cmp_ne_u32_e32 vcc, 0, v4
	v_cndmask_b32_e32 v4, 0, v5, vcc
	s_brev_b32 s0, 1
	v_and_or_b32 v3, v3, s0, v4
	v_cvt_i32_f32_e32 v3, v3
.LBB22_306:
	s_mov_b64 s[0:1], 0
.LBB22_307:
	s_andn2_b64 vcc, exec, s[0:1]
	s_cbranch_vccnz .LBB22_309
; %bb.308:
	global_load_ubyte v3, v[1:2], off
	s_movk_i32 s0, 0x7f00
	s_brev_b32 s1, 16
	s_waitcnt vmcnt(0)
	v_lshlrev_b16_e32 v4, 8, v3
	v_lshlrev_b32_e32 v3, 25, v3
	v_lshrrev_b32_e32 v5, 4, v3
	v_and_or_b32 v6, v4, s0, 0.5
	v_or_b32_e32 v5, 0x70000000, v5
	v_add_f32_e32 v6, -0.5, v6
	v_mul_f32_e32 v5, 0x7800000, v5
	v_cmp_gt_u32_e32 vcc, s1, v3
	v_bfe_i32 v4, v4, 0, 16
	v_cndmask_b32_e32 v3, v5, v6, vcc
	s_brev_b32 s0, 1
	v_and_or_b32 v3, v4, s0, v3
	v_cvt_i32_f32_e32 v3, v3
.LBB22_309:
	s_mov_b64 s[18:19], 0
	s_mov_b64 s[0:1], -1
.LBB22_310:
	s_andn2_b64 vcc, exec, s[18:19]
	s_cbranch_vccnz .LBB22_323
; %bb.311:
	s_cmp_gt_i32 s27, 14
	s_cbranch_scc0 .LBB22_314
; %bb.312:
	s_cmp_eq_u32 s27, 15
	s_cbranch_scc0 .LBB22_317
; %bb.313:
	global_load_ushort v3, v[1:2], off
	s_mov_b64 s[0:1], -1
	s_mov_b64 s[20:21], 0
	s_waitcnt vmcnt(0)
	v_lshlrev_b32_e32 v3, 16, v3
	v_cvt_i32_f32_e32 v3, v3
	s_branch .LBB22_318
.LBB22_314:
	s_mov_b64 s[18:19], -1
                                        ; implicit-def: $vgpr3
	s_branch .LBB22_319
.LBB22_315:
	s_andn2_saveexec_b64 s[0:1], s[0:1]
	s_cbranch_execz .LBB22_296
.LBB22_316:
	v_cmp_ne_u16_e32 vcc, 0, v4
	s_andn2_b64 s[18:19], s[18:19], exec
	s_and_b64 s[30:31], vcc, exec
	s_or_b64 s[18:19], s[18:19], s[30:31]
	s_or_b64 exec, exec, s[0:1]
	v_mov_b32_e32 v3, 0
	s_and_saveexec_b64 s[0:1], s[18:19]
	s_cbranch_execnz .LBB22_297
	s_branch .LBB22_298
.LBB22_317:
	s_mov_b64 s[20:21], -1
                                        ; implicit-def: $vgpr3
.LBB22_318:
	s_mov_b64 s[18:19], 0
.LBB22_319:
	s_and_b64 vcc, exec, s[18:19]
	s_cbranch_vccz .LBB22_323
; %bb.320:
	s_cmp_eq_u32 s27, 11
	s_cbranch_scc0 .LBB22_322
; %bb.321:
	global_load_ubyte v3, v[1:2], off
	s_mov_b64 s[0:1], -1
	s_mov_b64 s[20:21], 0
	s_waitcnt vmcnt(0)
	v_cmp_ne_u16_e32 vcc, 0, v3
	v_cndmask_b32_e64 v3, 0, 1, vcc
	s_branch .LBB22_323
.LBB22_322:
	s_mov_b64 s[20:21], -1
                                        ; implicit-def: $vgpr3
.LBB22_323:
	s_branch .LBB22_20
.LBB22_324:
	s_and_b32 s18, 0xffff, s26
	s_cmp_lt_i32 s18, 5
	s_cbranch_scc1 .LBB22_329
; %bb.325:
	s_cmp_lt_i32 s18, 8
	s_cbranch_scc1 .LBB22_330
; %bb.326:
	;; [unrolled: 3-line block ×3, first 2 shown]
	s_cmp_gt_i32 s18, 9
	s_cbranch_scc0 .LBB22_332
; %bb.328:
	global_load_dwordx2 v[3:4], v[1:2], off
	s_mov_b64 s[0:1], 0
	s_waitcnt vmcnt(0)
	v_cvt_i32_f64_e32 v3, v[3:4]
	s_branch .LBB22_333
.LBB22_329:
	s_mov_b64 s[0:1], -1
                                        ; implicit-def: $vgpr3
	s_branch .LBB22_351
.LBB22_330:
	s_mov_b64 s[0:1], -1
                                        ; implicit-def: $vgpr3
	s_branch .LBB22_339
.LBB22_331:
	s_mov_b64 s[0:1], -1
                                        ; implicit-def: $vgpr3
	s_branch .LBB22_336
.LBB22_332:
	s_mov_b64 s[0:1], -1
                                        ; implicit-def: $vgpr3
.LBB22_333:
	s_andn2_b64 vcc, exec, s[0:1]
	s_cbranch_vccnz .LBB22_335
; %bb.334:
	global_load_dword v3, v[1:2], off
	s_waitcnt vmcnt(0)
	v_cvt_i32_f32_e32 v3, v3
.LBB22_335:
	s_mov_b64 s[0:1], 0
.LBB22_336:
	s_andn2_b64 vcc, exec, s[0:1]
	s_cbranch_vccnz .LBB22_338
; %bb.337:
	global_load_dword v3, v[1:2], off
	s_waitcnt vmcnt(0)
	v_cvt_i16_f16_e32 v3, v3
.LBB22_338:
	s_mov_b64 s[0:1], 0
.LBB22_339:
	s_andn2_b64 vcc, exec, s[0:1]
	s_cbranch_vccnz .LBB22_350
; %bb.340:
	s_cmp_lt_i32 s18, 6
	s_cbranch_scc1 .LBB22_343
; %bb.341:
	s_cmp_gt_i32 s18, 6
	s_cbranch_scc0 .LBB22_344
; %bb.342:
	global_load_dwordx2 v[3:4], v[1:2], off
	s_mov_b64 s[0:1], 0
	s_waitcnt vmcnt(0)
	v_cvt_i32_f64_e32 v3, v[3:4]
	s_branch .LBB22_345
.LBB22_343:
	s_mov_b64 s[0:1], -1
                                        ; implicit-def: $vgpr3
	s_branch .LBB22_348
.LBB22_344:
	s_mov_b64 s[0:1], -1
                                        ; implicit-def: $vgpr3
.LBB22_345:
	s_andn2_b64 vcc, exec, s[0:1]
	s_cbranch_vccnz .LBB22_347
; %bb.346:
	global_load_dword v3, v[1:2], off
	s_waitcnt vmcnt(0)
	v_cvt_i32_f32_e32 v3, v3
.LBB22_347:
	s_mov_b64 s[0:1], 0
.LBB22_348:
	s_andn2_b64 vcc, exec, s[0:1]
	s_cbranch_vccnz .LBB22_350
; %bb.349:
	global_load_ushort v3, v[1:2], off
	s_waitcnt vmcnt(0)
	v_cvt_i16_f16_e32 v3, v3
.LBB22_350:
	s_mov_b64 s[0:1], 0
.LBB22_351:
	s_andn2_b64 vcc, exec, s[0:1]
	s_cbranch_vccnz .LBB22_371
; %bb.352:
	s_cmp_lt_i32 s18, 2
	s_cbranch_scc1 .LBB22_356
; %bb.353:
	s_cmp_lt_i32 s18, 3
	s_cbranch_scc1 .LBB22_357
; %bb.354:
	s_cmp_gt_i32 s18, 3
	s_cbranch_scc0 .LBB22_358
; %bb.355:
	global_load_dwordx2 v[3:4], v[1:2], off
	s_mov_b64 s[0:1], 0
	s_branch .LBB22_359
.LBB22_356:
	s_mov_b64 s[0:1], -1
                                        ; implicit-def: $vgpr3
	s_branch .LBB22_365
.LBB22_357:
	s_mov_b64 s[0:1], -1
                                        ; implicit-def: $vgpr3
	s_branch .LBB22_362
.LBB22_358:
	s_mov_b64 s[0:1], -1
                                        ; implicit-def: $vgpr3
.LBB22_359:
	s_andn2_b64 vcc, exec, s[0:1]
	s_cbranch_vccnz .LBB22_361
; %bb.360:
	global_load_dword v3, v[1:2], off
.LBB22_361:
	s_mov_b64 s[0:1], 0
.LBB22_362:
	s_andn2_b64 vcc, exec, s[0:1]
	s_cbranch_vccnz .LBB22_364
; %bb.363:
	global_load_ushort v3, v[1:2], off
.LBB22_364:
	s_mov_b64 s[0:1], 0
.LBB22_365:
	s_andn2_b64 vcc, exec, s[0:1]
	s_cbranch_vccnz .LBB22_371
; %bb.366:
	s_cmp_gt_i32 s18, 0
	s_cbranch_scc0 .LBB22_368
; %bb.367:
	global_load_ubyte v3, v[1:2], off
	s_mov_b64 s[0:1], 0
	s_branch .LBB22_369
.LBB22_368:
	s_mov_b64 s[0:1], -1
                                        ; implicit-def: $vgpr3
.LBB22_369:
	s_andn2_b64 vcc, exec, s[0:1]
	s_cbranch_vccnz .LBB22_371
; %bb.370:
	global_load_ubyte v3, v[1:2], off
.LBB22_371:
	s_branch .LBB22_21
.LBB22_372:
	s_mov_b64 s[0:1], 0
.LBB22_373:
                                        ; implicit-def: $vgpr14
	s_mov_b64 s[26:27], 0
.LBB22_374:
	s_and_b64 s[18:19], s[0:1], exec
	s_and_b64 s[20:21], s[20:21], exec
	;; [unrolled: 1-line block ×3, first 2 shown]
	s_orn2_b64 s[0:1], s[26:27], exec
.LBB22_375:
	s_or_b64 exec, exec, s[24:25]
	s_mov_b64 s[34:35], 0
	s_mov_b64 s[30:31], 0
                                        ; implicit-def: $sgpr58
                                        ; implicit-def: $vgpr2_vgpr3
                                        ; implicit-def: $vgpr0
	s_and_saveexec_b64 s[24:25], s[0:1]
	s_cbranch_execz .LBB22_384
; %bb.376:
	v_cmp_gt_i32_e32 vcc, s50, v14
	s_mov_b64 s[0:1], -1
	s_mov_b64 s[26:27], s[22:23]
	s_mov_b64 s[28:29], s[20:21]
	s_mov_b64 s[30:31], s[18:19]
	s_and_saveexec_b64 s[34:35], vcc
	s_cbranch_execz .LBB22_757
; %bb.377:
	s_waitcnt vmcnt(0)
	v_mul_lo_u32 v0, v14, s13
	v_mov_b32_e32 v1, s11
	s_and_b32 s30, s57, 0xff
	s_cmp_lt_i32 s30, 11
	v_ashrrev_i32_e32 v3, 31, v0
	v_add_co_u32_e32 v2, vcc, s10, v0
	v_addc_co_u32_e32 v3, vcc, v1, v3, vcc
	s_cbranch_scc1 .LBB22_387
; %bb.378:
	s_and_b32 s31, 0xffff, s30
	s_cmp_gt_i32 s31, 25
	s_cbranch_scc0 .LBB22_396
; %bb.379:
	s_cmp_gt_i32 s31, 28
	s_cbranch_scc0 .LBB22_398
; %bb.380:
	;; [unrolled: 3-line block ×4, first 2 shown]
	s_cmp_eq_u32 s31, 46
	s_mov_b64 s[28:29], 0
	s_cbranch_scc0 .LBB22_406
; %bb.383:
	global_load_dword v0, v[2:3], off
	s_mov_b64 s[26:27], 0
	s_waitcnt vmcnt(0)
	v_lshlrev_b32_e32 v0, 16, v0
	v_cvt_i32_f32_e32 v0, v0
	s_branch .LBB22_407
.LBB22_384:
	s_or_b64 exec, exec, s[24:25]
	s_mov_b64 s[24:25], 0
	s_and_saveexec_b64 s[0:1], s[22:23]
	s_cbranch_execnz .LBB22_1220
.LBB22_385:
	s_or_b64 exec, exec, s[0:1]
	s_and_saveexec_b64 s[0:1], s[28:29]
	s_xor_b64 s[0:1], exec, s[0:1]
	s_cbranch_execz .LBB22_1221
.LBB22_386:
	s_waitcnt vmcnt(0)
	global_load_ubyte v0, v[2:3], off
	s_or_b64 s[30:31], s[30:31], exec
	s_waitcnt vmcnt(0)
	v_cmp_ne_u16_e32 vcc, 0, v0
	v_cndmask_b32_e64 v0, 0, 1, vcc
	s_or_b64 exec, exec, s[0:1]
	s_and_saveexec_b64 s[0:1], s[34:35]
	s_cbranch_execz .LBB22_1267
	s_branch .LBB22_1222
.LBB22_387:
	s_mov_b64 s[0:1], 0
                                        ; implicit-def: $vgpr0
	s_mov_b64 s[26:27], s[22:23]
	s_cbranch_execnz .LBB22_469
.LBB22_388:
	s_andn2_b64 vcc, exec, s[0:1]
	s_cbranch_vccnz .LBB22_517
.LBB22_389:
	s_waitcnt vmcnt(0)
	v_mul_lo_u32 v1, v14, s14
	v_mov_b32_e32 v2, s3
	s_and_b32 s36, s56, 0xff
	s_cmp_lt_i32 s36, 11
	v_ashrrev_i32_e32 v3, 31, v1
	v_add_co_u32_e32 v1, vcc, s2, v1
	v_addc_co_u32_e32 v2, vcc, v2, v3, vcc
	s_cbranch_scc1 .LBB22_397
; %bb.390:
	s_and_b32 s37, 0xffff, s36
	s_cmp_gt_i32 s37, 25
	s_cbranch_scc0 .LBB22_399
; %bb.391:
	s_cmp_gt_i32 s37, 28
	s_cbranch_scc0 .LBB22_401
; %bb.392:
	;; [unrolled: 3-line block ×4, first 2 shown]
	s_cmp_eq_u32 s37, 46
	s_mov_b64 s[30:31], 0
	s_cbranch_scc0 .LBB22_521
; %bb.395:
	global_load_dword v3, v[1:2], off
	s_mov_b64 s[0:1], -1
	s_mov_b64 s[28:29], 0
	s_waitcnt vmcnt(0)
	v_lshlrev_b32_e32 v3, 16, v3
	v_cvt_i32_f32_e32 v3, v3
	s_branch .LBB22_522
.LBB22_396:
	s_mov_b64 s[28:29], -1
	s_mov_b64 s[0:1], 0
	s_mov_b64 s[26:27], s[22:23]
                                        ; implicit-def: $vgpr0
	s_branch .LBB22_435
.LBB22_397:
	s_mov_b64 s[30:31], -1
	s_mov_b64 s[0:1], 0
                                        ; implicit-def: $vgpr3
	s_mov_b64 s[28:29], s[20:21]
	s_branch .LBB22_583
.LBB22_398:
	s_mov_b64 s[28:29], -1
	s_mov_b64 s[0:1], 0
	s_mov_b64 s[26:27], s[22:23]
                                        ; implicit-def: $vgpr0
	s_branch .LBB22_418
.LBB22_399:
	s_mov_b64 s[30:31], -1
	s_mov_b64 s[0:1], 0
	s_mov_b64 s[28:29], s[20:21]
                                        ; implicit-def: $vgpr3
	s_branch .LBB22_549
.LBB22_400:
	s_mov_b64 s[28:29], -1
	s_mov_b64 s[0:1], 0
	s_mov_b64 s[26:27], s[22:23]
                                        ; implicit-def: $vgpr0
	s_branch .LBB22_413
.LBB22_401:
	s_mov_b64 s[30:31], -1
	s_mov_b64 s[0:1], 0
	s_mov_b64 s[28:29], s[20:21]
                                        ; implicit-def: $vgpr3
	s_branch .LBB22_532
.LBB22_402:
	s_mov_b64 s[28:29], -1
	s_mov_b64 s[0:1], 0
	s_mov_b64 s[26:27], s[22:23]
                                        ; implicit-def: $vgpr0
	s_branch .LBB22_407
.LBB22_403:
	s_mov_b64 s[30:31], -1
	s_mov_b64 s[0:1], 0
	s_mov_b64 s[28:29], s[20:21]
                                        ; implicit-def: $vgpr3
	s_branch .LBB22_527
.LBB22_404:
	s_andn2_saveexec_b64 s[34:35], s[34:35]
	s_cbranch_execz .LBB22_176
.LBB22_405:
	v_add_f32_e32 v2, 0x46000000, v3
	v_and_b32_e32 v2, 0xff, v2
	v_cmp_ne_u32_e32 vcc, 0, v2
	s_andn2_b64 s[30:31], s[30:31], exec
	s_and_b64 s[38:39], vcc, exec
	s_or_b64 s[30:31], s[30:31], s[38:39]
	s_or_b64 exec, exec, s[34:35]
	v_mov_b32_e32 v4, 0
	s_and_saveexec_b64 s[34:35], s[30:31]
	s_cbranch_execnz .LBB22_177
	s_branch .LBB22_178
.LBB22_406:
	s_mov_b64 s[26:27], -1
                                        ; implicit-def: $vgpr0
	s_mov_b64 s[0:1], 0
.LBB22_407:
	s_and_b64 vcc, exec, s[28:29]
	s_cbranch_vccz .LBB22_412
; %bb.408:
	s_cmp_eq_u32 s31, 44
	s_cbranch_scc0 .LBB22_411
; %bb.409:
	global_load_ubyte v0, v[2:3], off
	s_mov_b64 s[0:1], -1
	s_mov_b64 s[26:27], 0
	s_waitcnt vmcnt(0)
	v_lshlrev_b32_e32 v1, 23, v0
	v_cvt_i32_f32_e32 v1, v1
	v_cmp_ne_u32_e32 vcc, 0, v0
	v_cndmask_b32_e32 v0, 0, v1, vcc
	s_branch .LBB22_412
.LBB22_410:
	s_mov_b64 s[30:31], -1
	s_mov_b64 s[0:1], 0
	s_mov_b64 s[28:29], s[20:21]
                                        ; implicit-def: $vgpr3
	s_branch .LBB22_522
.LBB22_411:
	s_mov_b64 s[26:27], -1
                                        ; implicit-def: $vgpr0
.LBB22_412:
	s_mov_b64 s[28:29], 0
.LBB22_413:
	s_and_b64 vcc, exec, s[28:29]
	s_cbranch_vccz .LBB22_417
; %bb.414:
	s_cmp_eq_u32 s31, 29
	s_cbranch_scc0 .LBB22_416
; %bb.415:
	global_load_dwordx2 v[0:1], v[2:3], off
	s_mov_b64 s[0:1], -1
	s_mov_b64 s[26:27], 0
	s_branch .LBB22_417
.LBB22_416:
	s_mov_b64 s[26:27], -1
                                        ; implicit-def: $vgpr0
.LBB22_417:
	s_mov_b64 s[28:29], 0
.LBB22_418:
	s_and_b64 vcc, exec, s[28:29]
	s_cbranch_vccz .LBB22_434
; %bb.419:
	s_cmp_lt_i32 s31, 27
	s_cbranch_scc1 .LBB22_422
; %bb.420:
	s_cmp_gt_i32 s31, 27
	s_cbranch_scc0 .LBB22_423
; %bb.421:
	global_load_dword v0, v[2:3], off
	s_mov_b64 s[0:1], 0
	s_branch .LBB22_424
.LBB22_422:
	s_mov_b64 s[0:1], -1
                                        ; implicit-def: $vgpr0
	s_branch .LBB22_427
.LBB22_423:
	s_mov_b64 s[0:1], -1
                                        ; implicit-def: $vgpr0
.LBB22_424:
	s_andn2_b64 vcc, exec, s[0:1]
	s_cbranch_vccnz .LBB22_426
; %bb.425:
	global_load_ushort v0, v[2:3], off
.LBB22_426:
	s_mov_b64 s[0:1], 0
.LBB22_427:
	s_andn2_b64 vcc, exec, s[0:1]
	s_cbranch_vccnz .LBB22_433
; %bb.428:
	global_load_ubyte v1, v[2:3], off
	s_movk_i32 s0, 0x7f
	s_mov_b64 s[28:29], 0
	s_waitcnt vmcnt(0)
	v_cmp_lt_i16_e32 vcc, s0, v1
	s_and_saveexec_b64 s[0:1], vcc
	s_xor_b64 s[0:1], exec, s[0:1]
	s_cbranch_execz .LBB22_445
; %bb.429:
	s_movk_i32 s28, 0x80
	v_cmp_ne_u16_e32 vcc, s28, v1
	s_and_b64 s[28:29], vcc, exec
	s_andn2_saveexec_b64 s[0:1], s[0:1]
	s_cbranch_execnz .LBB22_446
.LBB22_430:
	s_or_b64 exec, exec, s[0:1]
	v_mov_b32_e32 v0, 0
	s_and_saveexec_b64 s[0:1], s[28:29]
	s_cbranch_execz .LBB22_432
.LBB22_431:
	v_lshlrev_b32_e32 v0, 24, v1
	v_and_b32_e32 v1, 0xffff, v1
	v_and_b32_e32 v4, 7, v1
	v_ffbh_u32_e32 v6, v4
	v_min_u32_e32 v6, 32, v6
	v_subrev_u32_e32 v7, 28, v6
	v_bfe_u32 v5, v1, 3, 4
	v_lshlrev_b32_e32 v1, v7, v1
	v_sub_u32_e32 v6, 29, v6
	v_and_b32_e32 v1, 7, v1
	v_cmp_eq_u32_e32 vcc, 0, v5
	v_cndmask_b32_e32 v5, v5, v6, vcc
	v_cndmask_b32_e32 v1, v4, v1, vcc
	v_mov_b32_e32 v4, 0x3b800000
	v_lshlrev_b32_e32 v1, 20, v1
	v_and_b32_e32 v0, 0x80000000, v0
	v_lshl_add_u32 v4, v5, 23, v4
	v_or3_b32 v0, v0, v4, v1
	v_cvt_i32_f32_e32 v0, v0
.LBB22_432:
	s_or_b64 exec, exec, s[0:1]
.LBB22_433:
	s_mov_b64 s[0:1], -1
.LBB22_434:
	s_mov_b64 s[28:29], 0
.LBB22_435:
	s_and_b64 vcc, exec, s[28:29]
	s_cbranch_vccz .LBB22_468
; %bb.436:
	s_cmp_gt_i32 s31, 22
	s_cbranch_scc0 .LBB22_444
; %bb.437:
	s_cmp_lt_i32 s31, 24
	s_cbranch_scc1 .LBB22_447
; %bb.438:
	s_cmp_gt_i32 s31, 24
	s_cbranch_scc0 .LBB22_448
; %bb.439:
	global_load_ubyte v1, v[2:3], off
	s_movk_i32 s0, 0x7f
	s_mov_b64 s[28:29], 0
	s_waitcnt vmcnt(0)
	v_cmp_lt_i16_e32 vcc, s0, v1
	s_and_saveexec_b64 s[0:1], vcc
	s_xor_b64 s[0:1], exec, s[0:1]
	s_cbranch_execz .LBB22_460
; %bb.440:
	s_movk_i32 s28, 0x80
	v_cmp_ne_u16_e32 vcc, s28, v1
	s_and_b64 s[28:29], vcc, exec
	s_andn2_saveexec_b64 s[0:1], s[0:1]
	s_cbranch_execnz .LBB22_461
.LBB22_441:
	s_or_b64 exec, exec, s[0:1]
	v_mov_b32_e32 v0, 0
	s_and_saveexec_b64 s[0:1], s[28:29]
	s_cbranch_execz .LBB22_443
.LBB22_442:
	v_lshlrev_b32_e32 v0, 24, v1
	v_and_b32_e32 v1, 0xffff, v1
	v_and_b32_e32 v4, 3, v1
	v_ffbh_u32_e32 v6, v4
	v_min_u32_e32 v6, 32, v6
	v_subrev_u32_e32 v7, 29, v6
	v_bfe_u32 v5, v1, 2, 5
	v_lshlrev_b32_e32 v1, v7, v1
	v_sub_u32_e32 v6, 30, v6
	v_and_b32_e32 v1, 3, v1
	v_cmp_eq_u32_e32 vcc, 0, v5
	v_cndmask_b32_e32 v5, v5, v6, vcc
	v_cndmask_b32_e32 v1, v4, v1, vcc
	v_mov_b32_e32 v4, 0x37800000
	v_lshlrev_b32_e32 v1, 21, v1
	v_and_b32_e32 v0, 0x80000000, v0
	v_lshl_add_u32 v4, v5, 23, v4
	v_or3_b32 v0, v0, v4, v1
	v_cvt_i32_f32_e32 v0, v0
.LBB22_443:
	s_or_b64 exec, exec, s[0:1]
	s_mov_b64 s[0:1], 0
	s_branch .LBB22_449
.LBB22_444:
	s_mov_b64 s[28:29], -1
                                        ; implicit-def: $vgpr0
	s_branch .LBB22_455
.LBB22_445:
	s_andn2_saveexec_b64 s[0:1], s[0:1]
	s_cbranch_execz .LBB22_430
.LBB22_446:
	v_cmp_ne_u16_e32 vcc, 0, v1
	s_andn2_b64 s[28:29], s[28:29], exec
	s_and_b64 s[36:37], vcc, exec
	s_or_b64 s[28:29], s[28:29], s[36:37]
	s_or_b64 exec, exec, s[0:1]
	v_mov_b32_e32 v0, 0
	s_and_saveexec_b64 s[0:1], s[28:29]
	s_cbranch_execnz .LBB22_431
	s_branch .LBB22_432
.LBB22_447:
	s_mov_b64 s[0:1], -1
                                        ; implicit-def: $vgpr0
	s_branch .LBB22_452
.LBB22_448:
	s_mov_b64 s[0:1], -1
                                        ; implicit-def: $vgpr0
.LBB22_449:
	s_and_b64 vcc, exec, s[0:1]
	s_cbranch_vccz .LBB22_451
; %bb.450:
	global_load_ubyte v0, v[2:3], off
	s_mov_b32 s0, 0x7f800000
	s_waitcnt vmcnt(0)
	v_lshlrev_b32_e32 v0, 24, v0
	v_and_b32_e32 v1, 0x7f000000, v0
	v_ffbh_u32_e32 v4, v1
	v_min_u32_e32 v4, 32, v4
	v_sub_u32_e64 v4, v4, 4 clamp
	v_lshlrev_b32_e32 v6, v4, v1
	v_lshlrev_b32_e32 v4, 23, v4
	v_lshrrev_b32_e32 v6, 4, v6
	v_add_u32_e32 v5, 0x1000000, v1
	v_sub_u32_e32 v4, v6, v4
	v_ashrrev_i32_e32 v5, 8, v5
	v_add_u32_e32 v4, 0x3c000000, v4
	v_and_or_b32 v4, v5, s0, v4
	v_cmp_ne_u32_e32 vcc, 0, v1
	v_cndmask_b32_e32 v1, 0, v4, vcc
	s_brev_b32 s0, 1
	v_and_or_b32 v0, v0, s0, v1
	v_cvt_i32_f32_e32 v0, v0
.LBB22_451:
	s_mov_b64 s[0:1], 0
.LBB22_452:
	s_andn2_b64 vcc, exec, s[0:1]
	s_cbranch_vccnz .LBB22_454
; %bb.453:
	global_load_ubyte v0, v[2:3], off
	s_movk_i32 s0, 0x7f00
	s_brev_b32 s1, 16
	s_waitcnt vmcnt(0)
	v_lshlrev_b16_e32 v1, 8, v0
	v_lshlrev_b32_e32 v0, 25, v0
	v_lshrrev_b32_e32 v4, 4, v0
	v_and_or_b32 v5, v1, s0, 0.5
	v_or_b32_e32 v4, 0x70000000, v4
	v_add_f32_e32 v5, -0.5, v5
	v_mul_f32_e32 v4, 0x7800000, v4
	v_cmp_gt_u32_e32 vcc, s1, v0
	v_bfe_i32 v1, v1, 0, 16
	v_cndmask_b32_e32 v0, v4, v5, vcc
	s_brev_b32 s0, 1
	v_and_or_b32 v0, v1, s0, v0
	v_cvt_i32_f32_e32 v0, v0
.LBB22_454:
	s_mov_b64 s[28:29], 0
	s_mov_b64 s[0:1], -1
.LBB22_455:
	s_andn2_b64 vcc, exec, s[28:29]
	s_cbranch_vccnz .LBB22_468
; %bb.456:
	s_cmp_gt_i32 s31, 14
	s_cbranch_scc0 .LBB22_459
; %bb.457:
	s_cmp_eq_u32 s31, 15
	s_cbranch_scc0 .LBB22_462
; %bb.458:
	global_load_ushort v0, v[2:3], off
	s_mov_b64 s[0:1], -1
	s_mov_b64 s[26:27], 0
	s_waitcnt vmcnt(0)
	v_lshlrev_b32_e32 v0, 16, v0
	v_cvt_i32_f32_e32 v0, v0
	s_branch .LBB22_463
.LBB22_459:
	s_mov_b64 s[28:29], -1
                                        ; implicit-def: $vgpr0
	s_branch .LBB22_464
.LBB22_460:
	s_andn2_saveexec_b64 s[0:1], s[0:1]
	s_cbranch_execz .LBB22_441
.LBB22_461:
	v_cmp_ne_u16_e32 vcc, 0, v1
	s_andn2_b64 s[28:29], s[28:29], exec
	s_and_b64 s[36:37], vcc, exec
	s_or_b64 s[28:29], s[28:29], s[36:37]
	s_or_b64 exec, exec, s[0:1]
	v_mov_b32_e32 v0, 0
	s_and_saveexec_b64 s[0:1], s[28:29]
	s_cbranch_execnz .LBB22_442
	s_branch .LBB22_443
.LBB22_462:
	s_mov_b64 s[26:27], -1
                                        ; implicit-def: $vgpr0
.LBB22_463:
	s_mov_b64 s[28:29], 0
.LBB22_464:
	s_and_b64 vcc, exec, s[28:29]
	s_cbranch_vccz .LBB22_468
; %bb.465:
	s_cmp_eq_u32 s31, 11
	s_cbranch_scc0 .LBB22_467
; %bb.466:
	global_load_ubyte v0, v[2:3], off
	s_mov_b64 s[0:1], -1
	s_mov_b64 s[26:27], 0
	s_waitcnt vmcnt(0)
	v_cmp_ne_u16_e32 vcc, 0, v0
	v_cndmask_b32_e64 v0, 0, 1, vcc
	s_branch .LBB22_468
.LBB22_467:
	s_mov_b64 s[26:27], -1
                                        ; implicit-def: $vgpr0
.LBB22_468:
	s_branch .LBB22_388
.LBB22_469:
	s_and_b32 s28, 0xffff, s30
	s_cmp_lt_i32 s28, 5
	s_cbranch_scc1 .LBB22_474
; %bb.470:
	s_cmp_lt_i32 s28, 8
	s_cbranch_scc1 .LBB22_475
; %bb.471:
	;; [unrolled: 3-line block ×3, first 2 shown]
	s_cmp_gt_i32 s28, 9
	s_cbranch_scc0 .LBB22_477
; %bb.473:
	global_load_dwordx2 v[0:1], v[2:3], off
	s_mov_b64 s[0:1], 0
	s_waitcnt vmcnt(0)
	v_cvt_i32_f64_e32 v0, v[0:1]
	s_branch .LBB22_478
.LBB22_474:
	s_mov_b64 s[0:1], -1
                                        ; implicit-def: $vgpr0
	s_branch .LBB22_496
.LBB22_475:
	s_mov_b64 s[0:1], -1
                                        ; implicit-def: $vgpr0
	s_branch .LBB22_484
.LBB22_476:
	s_mov_b64 s[0:1], -1
                                        ; implicit-def: $vgpr0
	s_branch .LBB22_481
.LBB22_477:
	s_mov_b64 s[0:1], -1
                                        ; implicit-def: $vgpr0
.LBB22_478:
	s_andn2_b64 vcc, exec, s[0:1]
	s_cbranch_vccnz .LBB22_480
; %bb.479:
	global_load_dword v0, v[2:3], off
	s_waitcnt vmcnt(0)
	v_cvt_i32_f32_e32 v0, v0
.LBB22_480:
	s_mov_b64 s[0:1], 0
.LBB22_481:
	s_andn2_b64 vcc, exec, s[0:1]
	s_cbranch_vccnz .LBB22_483
; %bb.482:
	global_load_dword v0, v[2:3], off
	s_waitcnt vmcnt(0)
	v_cvt_i16_f16_e32 v0, v0
.LBB22_483:
	s_mov_b64 s[0:1], 0
.LBB22_484:
	s_andn2_b64 vcc, exec, s[0:1]
	s_cbranch_vccnz .LBB22_495
; %bb.485:
	s_cmp_lt_i32 s28, 6
	s_cbranch_scc1 .LBB22_488
; %bb.486:
	s_cmp_gt_i32 s28, 6
	s_cbranch_scc0 .LBB22_489
; %bb.487:
	global_load_dwordx2 v[0:1], v[2:3], off
	s_mov_b64 s[0:1], 0
	s_waitcnt vmcnt(0)
	v_cvt_i32_f64_e32 v0, v[0:1]
	s_branch .LBB22_490
.LBB22_488:
	s_mov_b64 s[0:1], -1
                                        ; implicit-def: $vgpr0
	s_branch .LBB22_493
.LBB22_489:
	s_mov_b64 s[0:1], -1
                                        ; implicit-def: $vgpr0
.LBB22_490:
	s_andn2_b64 vcc, exec, s[0:1]
	s_cbranch_vccnz .LBB22_492
; %bb.491:
	global_load_dword v0, v[2:3], off
	s_waitcnt vmcnt(0)
	v_cvt_i32_f32_e32 v0, v0
.LBB22_492:
	s_mov_b64 s[0:1], 0
.LBB22_493:
	s_andn2_b64 vcc, exec, s[0:1]
	s_cbranch_vccnz .LBB22_495
; %bb.494:
	global_load_ushort v0, v[2:3], off
	s_waitcnt vmcnt(0)
	v_cvt_i16_f16_e32 v0, v0
.LBB22_495:
	s_mov_b64 s[0:1], 0
.LBB22_496:
	s_andn2_b64 vcc, exec, s[0:1]
	s_cbranch_vccnz .LBB22_516
; %bb.497:
	s_cmp_lt_i32 s28, 2
	s_cbranch_scc1 .LBB22_501
; %bb.498:
	s_cmp_lt_i32 s28, 3
	s_cbranch_scc1 .LBB22_502
; %bb.499:
	s_cmp_gt_i32 s28, 3
	s_cbranch_scc0 .LBB22_503
; %bb.500:
	global_load_dwordx2 v[0:1], v[2:3], off
	s_mov_b64 s[0:1], 0
	s_branch .LBB22_504
.LBB22_501:
	s_mov_b64 s[0:1], -1
                                        ; implicit-def: $vgpr0
	s_branch .LBB22_510
.LBB22_502:
	s_mov_b64 s[0:1], -1
                                        ; implicit-def: $vgpr0
	s_branch .LBB22_507
.LBB22_503:
	s_mov_b64 s[0:1], -1
                                        ; implicit-def: $vgpr0
.LBB22_504:
	s_andn2_b64 vcc, exec, s[0:1]
	s_cbranch_vccnz .LBB22_506
; %bb.505:
	global_load_dword v0, v[2:3], off
.LBB22_506:
	s_mov_b64 s[0:1], 0
.LBB22_507:
	s_andn2_b64 vcc, exec, s[0:1]
	s_cbranch_vccnz .LBB22_509
; %bb.508:
	global_load_ushort v0, v[2:3], off
.LBB22_509:
	s_mov_b64 s[0:1], 0
.LBB22_510:
	s_andn2_b64 vcc, exec, s[0:1]
	s_cbranch_vccnz .LBB22_516
; %bb.511:
	s_cmp_gt_i32 s28, 0
	s_cbranch_scc0 .LBB22_513
; %bb.512:
	global_load_ubyte v0, v[2:3], off
	s_mov_b64 s[0:1], 0
	s_branch .LBB22_514
.LBB22_513:
	s_mov_b64 s[0:1], -1
                                        ; implicit-def: $vgpr0
.LBB22_514:
	s_andn2_b64 vcc, exec, s[0:1]
	s_cbranch_vccnz .LBB22_516
; %bb.515:
	global_load_ubyte v0, v[2:3], off
.LBB22_516:
	s_branch .LBB22_389
.LBB22_517:
	s_mov_b64 s[36:37], 0
	s_mov_b64 s[0:1], s[18:19]
	;; [unrolled: 1-line block ×3, first 2 shown]
.LBB22_518:
                                        ; implicit-def: $vgpr14
	s_branch .LBB22_756
.LBB22_519:
	s_andn2_saveexec_b64 s[34:35], s[34:35]
	s_cbranch_execz .LBB22_189
.LBB22_520:
	v_add_f32_e32 v2, 0x42800000, v3
	v_and_b32_e32 v2, 0xff, v2
	v_cmp_ne_u32_e32 vcc, 0, v2
	s_andn2_b64 s[30:31], s[30:31], exec
	s_and_b64 s[38:39], vcc, exec
	s_or_b64 s[30:31], s[30:31], s[38:39]
	s_or_b64 exec, exec, s[34:35]
	v_mov_b32_e32 v4, 0
	s_and_saveexec_b64 s[34:35], s[30:31]
	s_cbranch_execnz .LBB22_190
	s_branch .LBB22_191
.LBB22_521:
	s_mov_b64 s[28:29], -1
                                        ; implicit-def: $vgpr3
	s_mov_b64 s[0:1], 0
.LBB22_522:
	s_and_b64 vcc, exec, s[30:31]
	s_cbranch_vccz .LBB22_526
; %bb.523:
	s_cmp_eq_u32 s37, 44
	s_cbranch_scc0 .LBB22_525
; %bb.524:
	global_load_ubyte v3, v[1:2], off
	s_mov_b64 s[0:1], -1
	s_mov_b64 s[28:29], 0
	s_waitcnt vmcnt(0)
	v_lshlrev_b32_e32 v4, 23, v3
	v_cvt_i32_f32_e32 v4, v4
	v_cmp_ne_u32_e32 vcc, 0, v3
	v_cndmask_b32_e32 v3, 0, v4, vcc
	s_branch .LBB22_526
.LBB22_525:
	s_mov_b64 s[28:29], -1
                                        ; implicit-def: $vgpr3
.LBB22_526:
	s_mov_b64 s[30:31], 0
.LBB22_527:
	s_and_b64 vcc, exec, s[30:31]
	s_cbranch_vccz .LBB22_531
; %bb.528:
	s_cmp_eq_u32 s37, 29
	s_cbranch_scc0 .LBB22_530
; %bb.529:
	global_load_dwordx2 v[3:4], v[1:2], off
	s_mov_b64 s[0:1], -1
	s_mov_b64 s[28:29], 0
	s_branch .LBB22_531
.LBB22_530:
	s_mov_b64 s[28:29], -1
                                        ; implicit-def: $vgpr3
.LBB22_531:
	s_mov_b64 s[30:31], 0
.LBB22_532:
	s_and_b64 vcc, exec, s[30:31]
	s_cbranch_vccz .LBB22_548
; %bb.533:
	s_cmp_lt_i32 s37, 27
	s_cbranch_scc1 .LBB22_536
; %bb.534:
	s_cmp_gt_i32 s37, 27
	s_cbranch_scc0 .LBB22_537
; %bb.535:
	global_load_dword v3, v[1:2], off
	s_mov_b64 s[0:1], 0
	s_branch .LBB22_538
.LBB22_536:
	s_mov_b64 s[0:1], -1
                                        ; implicit-def: $vgpr3
	s_branch .LBB22_541
.LBB22_537:
	s_mov_b64 s[0:1], -1
                                        ; implicit-def: $vgpr3
.LBB22_538:
	s_andn2_b64 vcc, exec, s[0:1]
	s_cbranch_vccnz .LBB22_540
; %bb.539:
	global_load_ushort v3, v[1:2], off
.LBB22_540:
	s_mov_b64 s[0:1], 0
.LBB22_541:
	s_andn2_b64 vcc, exec, s[0:1]
	s_cbranch_vccnz .LBB22_547
; %bb.542:
	global_load_ubyte v4, v[1:2], off
	s_movk_i32 s0, 0x7f
	s_mov_b64 s[30:31], 0
	s_waitcnt vmcnt(0)
	v_cmp_lt_i16_e32 vcc, s0, v4
	s_and_saveexec_b64 s[0:1], vcc
	s_xor_b64 s[0:1], exec, s[0:1]
	s_cbranch_execz .LBB22_559
; %bb.543:
	s_movk_i32 s30, 0x80
	v_cmp_ne_u16_e32 vcc, s30, v4
	s_and_b64 s[30:31], vcc, exec
	s_andn2_saveexec_b64 s[0:1], s[0:1]
	s_cbranch_execnz .LBB22_560
.LBB22_544:
	s_or_b64 exec, exec, s[0:1]
	v_mov_b32_e32 v3, 0
	s_and_saveexec_b64 s[0:1], s[30:31]
	s_cbranch_execz .LBB22_546
.LBB22_545:
	v_lshlrev_b32_e32 v3, 24, v4
	v_and_b32_e32 v4, 0xffff, v4
	v_and_b32_e32 v5, 7, v4
	v_ffbh_u32_e32 v7, v5
	v_min_u32_e32 v7, 32, v7
	v_subrev_u32_e32 v8, 28, v7
	v_bfe_u32 v6, v4, 3, 4
	v_lshlrev_b32_e32 v4, v8, v4
	v_sub_u32_e32 v7, 29, v7
	v_and_b32_e32 v4, 7, v4
	v_cmp_eq_u32_e32 vcc, 0, v6
	v_cndmask_b32_e32 v6, v6, v7, vcc
	v_cndmask_b32_e32 v4, v5, v4, vcc
	v_mov_b32_e32 v5, 0x3b800000
	v_lshlrev_b32_e32 v4, 20, v4
	v_and_b32_e32 v3, 0x80000000, v3
	v_lshl_add_u32 v5, v6, 23, v5
	v_or3_b32 v3, v3, v5, v4
	v_cvt_i32_f32_e32 v3, v3
.LBB22_546:
	s_or_b64 exec, exec, s[0:1]
.LBB22_547:
	s_mov_b64 s[0:1], -1
.LBB22_548:
	s_mov_b64 s[30:31], 0
.LBB22_549:
	s_and_b64 vcc, exec, s[30:31]
	s_cbranch_vccz .LBB22_582
; %bb.550:
	s_cmp_gt_i32 s37, 22
	s_cbranch_scc0 .LBB22_558
; %bb.551:
	s_cmp_lt_i32 s37, 24
	s_cbranch_scc1 .LBB22_561
; %bb.552:
	s_cmp_gt_i32 s37, 24
	s_cbranch_scc0 .LBB22_562
; %bb.553:
	global_load_ubyte v4, v[1:2], off
	s_movk_i32 s0, 0x7f
	s_mov_b64 s[30:31], 0
	s_waitcnt vmcnt(0)
	v_cmp_lt_i16_e32 vcc, s0, v4
	s_and_saveexec_b64 s[0:1], vcc
	s_xor_b64 s[0:1], exec, s[0:1]
	s_cbranch_execz .LBB22_574
; %bb.554:
	s_movk_i32 s30, 0x80
	v_cmp_ne_u16_e32 vcc, s30, v4
	s_and_b64 s[30:31], vcc, exec
	s_andn2_saveexec_b64 s[0:1], s[0:1]
	s_cbranch_execnz .LBB22_575
.LBB22_555:
	s_or_b64 exec, exec, s[0:1]
	v_mov_b32_e32 v3, 0
	s_and_saveexec_b64 s[0:1], s[30:31]
	s_cbranch_execz .LBB22_557
.LBB22_556:
	v_lshlrev_b32_e32 v3, 24, v4
	v_and_b32_e32 v4, 0xffff, v4
	v_and_b32_e32 v5, 3, v4
	v_ffbh_u32_e32 v7, v5
	v_min_u32_e32 v7, 32, v7
	v_subrev_u32_e32 v8, 29, v7
	v_bfe_u32 v6, v4, 2, 5
	v_lshlrev_b32_e32 v4, v8, v4
	v_sub_u32_e32 v7, 30, v7
	v_and_b32_e32 v4, 3, v4
	v_cmp_eq_u32_e32 vcc, 0, v6
	v_cndmask_b32_e32 v6, v6, v7, vcc
	v_cndmask_b32_e32 v4, v5, v4, vcc
	v_mov_b32_e32 v5, 0x37800000
	v_lshlrev_b32_e32 v4, 21, v4
	v_and_b32_e32 v3, 0x80000000, v3
	v_lshl_add_u32 v5, v6, 23, v5
	v_or3_b32 v3, v3, v5, v4
	v_cvt_i32_f32_e32 v3, v3
.LBB22_557:
	s_or_b64 exec, exec, s[0:1]
	s_mov_b64 s[0:1], 0
	s_branch .LBB22_563
.LBB22_558:
	s_mov_b64 s[30:31], -1
                                        ; implicit-def: $vgpr3
	s_branch .LBB22_569
.LBB22_559:
	s_andn2_saveexec_b64 s[0:1], s[0:1]
	s_cbranch_execz .LBB22_544
.LBB22_560:
	v_cmp_ne_u16_e32 vcc, 0, v4
	s_andn2_b64 s[30:31], s[30:31], exec
	s_and_b64 s[38:39], vcc, exec
	s_or_b64 s[30:31], s[30:31], s[38:39]
	s_or_b64 exec, exec, s[0:1]
	v_mov_b32_e32 v3, 0
	s_and_saveexec_b64 s[0:1], s[30:31]
	s_cbranch_execnz .LBB22_545
	s_branch .LBB22_546
.LBB22_561:
	s_mov_b64 s[0:1], -1
                                        ; implicit-def: $vgpr3
	s_branch .LBB22_566
.LBB22_562:
	s_mov_b64 s[0:1], -1
                                        ; implicit-def: $vgpr3
.LBB22_563:
	s_and_b64 vcc, exec, s[0:1]
	s_cbranch_vccz .LBB22_565
; %bb.564:
	global_load_ubyte v3, v[1:2], off
	s_mov_b32 s0, 0x7f800000
	s_waitcnt vmcnt(0)
	v_lshlrev_b32_e32 v3, 24, v3
	v_and_b32_e32 v4, 0x7f000000, v3
	v_ffbh_u32_e32 v5, v4
	v_min_u32_e32 v5, 32, v5
	v_sub_u32_e64 v5, v5, 4 clamp
	v_lshlrev_b32_e32 v7, v5, v4
	v_lshlrev_b32_e32 v5, 23, v5
	v_lshrrev_b32_e32 v7, 4, v7
	v_add_u32_e32 v6, 0x1000000, v4
	v_sub_u32_e32 v5, v7, v5
	v_ashrrev_i32_e32 v6, 8, v6
	v_add_u32_e32 v5, 0x3c000000, v5
	v_and_or_b32 v5, v6, s0, v5
	v_cmp_ne_u32_e32 vcc, 0, v4
	v_cndmask_b32_e32 v4, 0, v5, vcc
	s_brev_b32 s0, 1
	v_and_or_b32 v3, v3, s0, v4
	v_cvt_i32_f32_e32 v3, v3
.LBB22_565:
	s_mov_b64 s[0:1], 0
.LBB22_566:
	s_andn2_b64 vcc, exec, s[0:1]
	s_cbranch_vccnz .LBB22_568
; %bb.567:
	global_load_ubyte v3, v[1:2], off
	s_movk_i32 s0, 0x7f00
	s_brev_b32 s1, 16
	s_waitcnt vmcnt(0)
	v_lshlrev_b16_e32 v4, 8, v3
	v_lshlrev_b32_e32 v3, 25, v3
	v_lshrrev_b32_e32 v5, 4, v3
	v_and_or_b32 v6, v4, s0, 0.5
	v_or_b32_e32 v5, 0x70000000, v5
	v_add_f32_e32 v6, -0.5, v6
	v_mul_f32_e32 v5, 0x7800000, v5
	v_cmp_gt_u32_e32 vcc, s1, v3
	v_bfe_i32 v4, v4, 0, 16
	v_cndmask_b32_e32 v3, v5, v6, vcc
	s_brev_b32 s0, 1
	v_and_or_b32 v3, v4, s0, v3
	v_cvt_i32_f32_e32 v3, v3
.LBB22_568:
	s_mov_b64 s[30:31], 0
	s_mov_b64 s[0:1], -1
.LBB22_569:
	s_andn2_b64 vcc, exec, s[30:31]
	s_cbranch_vccnz .LBB22_582
; %bb.570:
	s_cmp_gt_i32 s37, 14
	s_cbranch_scc0 .LBB22_573
; %bb.571:
	s_cmp_eq_u32 s37, 15
	s_cbranch_scc0 .LBB22_576
; %bb.572:
	global_load_ushort v3, v[1:2], off
	s_mov_b64 s[0:1], -1
	s_mov_b64 s[28:29], 0
	s_waitcnt vmcnt(0)
	v_lshlrev_b32_e32 v3, 16, v3
	v_cvt_i32_f32_e32 v3, v3
	s_branch .LBB22_577
.LBB22_573:
	s_mov_b64 s[30:31], -1
                                        ; implicit-def: $vgpr3
	s_branch .LBB22_578
.LBB22_574:
	s_andn2_saveexec_b64 s[0:1], s[0:1]
	s_cbranch_execz .LBB22_555
.LBB22_575:
	v_cmp_ne_u16_e32 vcc, 0, v4
	s_andn2_b64 s[30:31], s[30:31], exec
	s_and_b64 s[38:39], vcc, exec
	s_or_b64 s[30:31], s[30:31], s[38:39]
	s_or_b64 exec, exec, s[0:1]
	v_mov_b32_e32 v3, 0
	s_and_saveexec_b64 s[0:1], s[30:31]
	s_cbranch_execnz .LBB22_556
	s_branch .LBB22_557
.LBB22_576:
	s_mov_b64 s[28:29], -1
                                        ; implicit-def: $vgpr3
.LBB22_577:
	s_mov_b64 s[30:31], 0
.LBB22_578:
	s_and_b64 vcc, exec, s[30:31]
	s_cbranch_vccz .LBB22_582
; %bb.579:
	s_cmp_eq_u32 s37, 11
	s_cbranch_scc0 .LBB22_581
; %bb.580:
	global_load_ubyte v3, v[1:2], off
	s_mov_b64 s[0:1], -1
	s_mov_b64 s[28:29], 0
	s_waitcnt vmcnt(0)
	v_cmp_ne_u16_e32 vcc, 0, v3
	v_cndmask_b32_e64 v3, 0, 1, vcc
	s_branch .LBB22_582
.LBB22_581:
	s_mov_b64 s[28:29], -1
                                        ; implicit-def: $vgpr3
.LBB22_582:
	s_mov_b64 s[30:31], 0
.LBB22_583:
	s_and_b64 vcc, exec, s[30:31]
	s_cbranch_vccz .LBB22_632
; %bb.584:
	s_and_b32 s30, 0xffff, s36
	s_cmp_lt_i32 s30, 5
	s_cbranch_scc1 .LBB22_589
; %bb.585:
	s_cmp_lt_i32 s30, 8
	s_cbranch_scc1 .LBB22_590
; %bb.586:
	;; [unrolled: 3-line block ×3, first 2 shown]
	s_cmp_gt_i32 s30, 9
	s_cbranch_scc0 .LBB22_592
; %bb.588:
	global_load_dwordx2 v[3:4], v[1:2], off
	s_mov_b64 s[0:1], 0
	s_waitcnt vmcnt(0)
	v_cvt_i32_f64_e32 v3, v[3:4]
	s_branch .LBB22_593
.LBB22_589:
	s_mov_b64 s[0:1], -1
                                        ; implicit-def: $vgpr3
	s_branch .LBB22_611
.LBB22_590:
	s_mov_b64 s[0:1], -1
                                        ; implicit-def: $vgpr3
	s_branch .LBB22_599
.LBB22_591:
	s_mov_b64 s[0:1], -1
                                        ; implicit-def: $vgpr3
	s_branch .LBB22_596
.LBB22_592:
	s_mov_b64 s[0:1], -1
                                        ; implicit-def: $vgpr3
.LBB22_593:
	s_andn2_b64 vcc, exec, s[0:1]
	s_cbranch_vccnz .LBB22_595
; %bb.594:
	global_load_dword v3, v[1:2], off
	s_waitcnt vmcnt(0)
	v_cvt_i32_f32_e32 v3, v3
.LBB22_595:
	s_mov_b64 s[0:1], 0
.LBB22_596:
	s_andn2_b64 vcc, exec, s[0:1]
	s_cbranch_vccnz .LBB22_598
; %bb.597:
	global_load_dword v3, v[1:2], off
	s_waitcnt vmcnt(0)
	v_cvt_i16_f16_e32 v3, v3
.LBB22_598:
	s_mov_b64 s[0:1], 0
.LBB22_599:
	s_andn2_b64 vcc, exec, s[0:1]
	s_cbranch_vccnz .LBB22_610
; %bb.600:
	s_cmp_lt_i32 s30, 6
	s_cbranch_scc1 .LBB22_603
; %bb.601:
	s_cmp_gt_i32 s30, 6
	s_cbranch_scc0 .LBB22_604
; %bb.602:
	global_load_dwordx2 v[3:4], v[1:2], off
	s_mov_b64 s[0:1], 0
	s_waitcnt vmcnt(0)
	v_cvt_i32_f64_e32 v3, v[3:4]
	s_branch .LBB22_605
.LBB22_603:
	s_mov_b64 s[0:1], -1
                                        ; implicit-def: $vgpr3
	s_branch .LBB22_608
.LBB22_604:
	s_mov_b64 s[0:1], -1
                                        ; implicit-def: $vgpr3
.LBB22_605:
	s_andn2_b64 vcc, exec, s[0:1]
	s_cbranch_vccnz .LBB22_607
; %bb.606:
	global_load_dword v3, v[1:2], off
	s_waitcnt vmcnt(0)
	v_cvt_i32_f32_e32 v3, v3
.LBB22_607:
	s_mov_b64 s[0:1], 0
.LBB22_608:
	s_andn2_b64 vcc, exec, s[0:1]
	s_cbranch_vccnz .LBB22_610
; %bb.609:
	global_load_ushort v3, v[1:2], off
	s_waitcnt vmcnt(0)
	v_cvt_i16_f16_e32 v3, v3
.LBB22_610:
	s_mov_b64 s[0:1], 0
.LBB22_611:
	s_andn2_b64 vcc, exec, s[0:1]
	s_cbranch_vccnz .LBB22_631
; %bb.612:
	s_cmp_lt_i32 s30, 2
	s_cbranch_scc1 .LBB22_616
; %bb.613:
	s_cmp_lt_i32 s30, 3
	s_cbranch_scc1 .LBB22_617
; %bb.614:
	s_cmp_gt_i32 s30, 3
	s_cbranch_scc0 .LBB22_618
; %bb.615:
	global_load_dwordx2 v[3:4], v[1:2], off
	s_mov_b64 s[0:1], 0
	s_branch .LBB22_619
.LBB22_616:
	s_mov_b64 s[0:1], -1
                                        ; implicit-def: $vgpr3
	s_branch .LBB22_625
.LBB22_617:
	s_mov_b64 s[0:1], -1
                                        ; implicit-def: $vgpr3
	s_branch .LBB22_622
.LBB22_618:
	s_mov_b64 s[0:1], -1
                                        ; implicit-def: $vgpr3
.LBB22_619:
	s_andn2_b64 vcc, exec, s[0:1]
	s_cbranch_vccnz .LBB22_621
; %bb.620:
	global_load_dword v3, v[1:2], off
.LBB22_621:
	s_mov_b64 s[0:1], 0
.LBB22_622:
	s_andn2_b64 vcc, exec, s[0:1]
	s_cbranch_vccnz .LBB22_624
; %bb.623:
	global_load_ushort v3, v[1:2], off
.LBB22_624:
	s_mov_b64 s[0:1], 0
.LBB22_625:
	s_andn2_b64 vcc, exec, s[0:1]
	s_cbranch_vccnz .LBB22_631
; %bb.626:
	s_cmp_gt_i32 s30, 0
	s_cbranch_scc0 .LBB22_628
; %bb.627:
	global_load_ubyte v3, v[1:2], off
	s_mov_b64 s[0:1], 0
	s_branch .LBB22_629
.LBB22_628:
	s_mov_b64 s[0:1], -1
                                        ; implicit-def: $vgpr3
.LBB22_629:
	s_andn2_b64 vcc, exec, s[0:1]
	s_cbranch_vccnz .LBB22_631
; %bb.630:
	global_load_ubyte v3, v[1:2], off
.LBB22_631:
	s_mov_b64 s[0:1], -1
.LBB22_632:
	s_andn2_b64 vcc, exec, s[0:1]
	s_cbranch_vccnz .LBB22_640
; %bb.633:
	v_mul_lo_u32 v1, v14, s12
	s_waitcnt vmcnt(0)
	v_cmp_ne_u16_sdwa s[0:1], v0, v3 src0_sel:BYTE_0 src1_sel:BYTE_0
	v_mov_b32_e32 v2, s9
	s_xor_b64 s[30:31], s[16:17], s[0:1]
	v_ashrrev_i32_e32 v3, 31, v1
	s_and_b32 s42, s33, 0xff
	v_add_co_u32_e32 v0, vcc, s8, v1
	s_cmp_lt_i32 s42, 11
	v_addc_co_u32_e32 v1, vcc, v2, v3, vcc
	s_cbranch_scc1 .LBB22_641
; %bb.634:
	s_and_b32 s43, 0xffff, s42
	s_cmp_gt_i32 s43, 25
	s_cbranch_scc0 .LBB22_642
; %bb.635:
	s_cmp_gt_i32 s43, 28
	s_cbranch_scc0 .LBB22_643
; %bb.636:
	;; [unrolled: 3-line block ×4, first 2 shown]
	s_mov_b64 s[38:39], 0
	s_mov_b64 s[0:1], -1
	s_cmp_eq_u32 s43, 46
	s_mov_b64 s[36:37], 0
	s_cbranch_scc0 .LBB22_646
; %bb.639:
	v_cndmask_b32_e64 v2, 0, 1.0, s[30:31]
	v_bfe_u32 v3, v2, 16, 1
	s_movk_i32 s0, 0x7fff
	v_add3_u32 v2, v2, v3, s0
	v_lshrrev_b32_e32 v2, 16, v2
	global_store_dword v[0:1], v2, off
	s_mov_b64 s[36:37], -1
	s_mov_b64 s[0:1], 0
	s_branch .LBB22_646
.LBB22_640:
	s_mov_b64 s[36:37], 0
                                        ; implicit-def: $vgpr14
	s_mov_b64 s[0:1], s[18:19]
	s_branch .LBB22_756
.LBB22_641:
	s_mov_b64 s[38:39], -1
	s_mov_b64 s[36:37], 0
	s_mov_b64 s[0:1], s[18:19]
	s_branch .LBB22_715
.LBB22_642:
	s_mov_b64 s[38:39], -1
	s_mov_b64 s[36:37], 0
	s_mov_b64 s[0:1], s[18:19]
	s_branch .LBB22_673
.LBB22_643:
	s_mov_b64 s[38:39], -1
	s_mov_b64 s[36:37], 0
	s_mov_b64 s[0:1], s[18:19]
	s_branch .LBB22_656
.LBB22_644:
	s_mov_b64 s[38:39], -1
	s_mov_b64 s[36:37], 0
	s_mov_b64 s[0:1], s[18:19]
	s_branch .LBB22_652
.LBB22_645:
	s_mov_b64 s[38:39], -1
	s_mov_b64 s[36:37], 0
	s_mov_b64 s[0:1], s[18:19]
.LBB22_646:
	s_and_b64 vcc, exec, s[38:39]
	s_cbranch_vccz .LBB22_651
; %bb.647:
	s_cmp_eq_u32 s43, 44
	s_mov_b64 s[0:1], -1
	s_cbranch_scc0 .LBB22_651
; %bb.648:
	v_cndmask_b32_e64 v3, 0, 1.0, s[30:31]
	v_lshrrev_b32_e32 v2, 23, v3
	s_movk_i32 s0, 0xff
	v_cmp_ne_u32_e32 vcc, s0, v2
	v_mov_b32_e32 v4, 0xff
	s_and_saveexec_b64 s[36:37], vcc
; %bb.649:
	s_mov_b32 s0, 0x3fffff
	v_and_b32_e32 v4, 0x400000, v3
	v_and_or_b32 v3, v3, s0, v2
	v_cmp_ne_u32_e32 vcc, 0, v4
	v_cmp_ne_u32_e64 s[0:1], 0, v3
	s_and_b64 s[0:1], vcc, s[0:1]
	v_cndmask_b32_e64 v3, 0, 1, s[0:1]
	v_add_u32_e32 v4, v2, v3
; %bb.650:
	s_or_b64 exec, exec, s[36:37]
	s_mov_b64 s[36:37], -1
	s_mov_b64 s[0:1], 0
	global_store_byte v[0:1], v4, off
.LBB22_651:
	s_mov_b64 s[38:39], 0
.LBB22_652:
	s_and_b64 vcc, exec, s[38:39]
	s_cbranch_vccz .LBB22_655
; %bb.653:
	s_cmp_eq_u32 s43, 29
	s_mov_b64 s[0:1], -1
	s_cbranch_scc0 .LBB22_655
; %bb.654:
	s_mov_b32 s0, 0
	v_cndmask_b32_e64 v2, 0, 1, s[30:31]
	v_mov_b32_e32 v3, s0
	global_store_dwordx2 v[0:1], v[2:3], off
	s_mov_b64 s[36:37], -1
	s_mov_b64 s[0:1], 0
.LBB22_655:
	s_mov_b64 s[38:39], 0
.LBB22_656:
	s_and_b64 vcc, exec, s[38:39]
	s_cbranch_vccz .LBB22_672
; %bb.657:
	s_cmp_lt_i32 s43, 27
	s_mov_b64 s[36:37], -1
	s_cbranch_scc1 .LBB22_663
; %bb.658:
	s_cmp_gt_i32 s43, 27
	s_cbranch_scc0 .LBB22_660
; %bb.659:
	v_cndmask_b32_e64 v2, 0, 1, s[30:31]
	s_mov_b64 s[36:37], 0
	global_store_dword v[0:1], v2, off
.LBB22_660:
	s_andn2_b64 vcc, exec, s[36:37]
	s_cbranch_vccnz .LBB22_662
; %bb.661:
	v_cndmask_b32_e64 v2, 0, 1, s[30:31]
	global_store_short v[0:1], v2, off
.LBB22_662:
	s_mov_b64 s[36:37], 0
.LBB22_663:
	s_andn2_b64 vcc, exec, s[36:37]
	s_cbranch_vccnz .LBB22_671
; %bb.664:
	v_cndmask_b32_e64 v3, 0, 1.0, s[30:31]
	s_mov_b32 s36, 0x43800000
	v_cmp_gt_u32_e32 vcc, s36, v3
	v_mov_b32_e32 v4, 0x80
	s_and_saveexec_b64 s[36:37], vcc
	s_cbranch_execz .LBB22_670
; %bb.665:
	s_mov_b32 s38, 0x3bffffff
	v_cmp_lt_u32_e32 vcc, s38, v3
	s_mov_b64 s[38:39], 0
                                        ; implicit-def: $vgpr2
	s_and_saveexec_b64 s[40:41], vcc
	s_xor_b64 s[40:41], exec, s[40:41]
	s_cbranch_execz .LBB22_772
; %bb.666:
	v_bfe_u32 v2, v3, 20, 1
	s_mov_b32 s44, 0x487ffff
	v_add3_u32 v2, v3, v2, s44
	s_mov_b64 s[38:39], exec
	v_lshrrev_b32_e32 v2, 20, v2
                                        ; implicit-def: $vgpr3
	s_andn2_saveexec_b64 s[40:41], s[40:41]
	s_cbranch_execnz .LBB22_773
.LBB22_667:
	s_or_b64 exec, exec, s[40:41]
	v_mov_b32_e32 v4, 0
	s_and_saveexec_b64 s[40:41], s[38:39]
.LBB22_668:
	v_mov_b32_e32 v4, v2
.LBB22_669:
	s_or_b64 exec, exec, s[40:41]
.LBB22_670:
	s_or_b64 exec, exec, s[36:37]
	global_store_byte v[0:1], v4, off
.LBB22_671:
	s_mov_b64 s[36:37], -1
.LBB22_672:
	s_mov_b64 s[38:39], 0
.LBB22_673:
	s_and_b64 vcc, exec, s[38:39]
	s_cbranch_vccz .LBB22_714
; %bb.674:
	s_cmp_gt_i32 s43, 22
	s_mov_b64 s[38:39], -1
	s_cbranch_scc0 .LBB22_706
; %bb.675:
	s_cmp_lt_i32 s43, 24
	s_mov_b64 s[36:37], -1
	s_cbranch_scc1 .LBB22_695
; %bb.676:
	s_cmp_gt_i32 s43, 24
	s_cbranch_scc0 .LBB22_684
; %bb.677:
	v_cndmask_b32_e64 v3, 0, 1.0, s[30:31]
	s_mov_b32 s36, 0x47800000
	v_cmp_gt_u32_e32 vcc, s36, v3
	v_mov_b32_e32 v4, 0x80
	s_and_saveexec_b64 s[36:37], vcc
	s_cbranch_execz .LBB22_683
; %bb.678:
	s_mov_b32 s38, 0x37ffffff
	v_cmp_lt_u32_e32 vcc, s38, v3
	s_mov_b64 s[38:39], 0
                                        ; implicit-def: $vgpr2
	s_and_saveexec_b64 s[40:41], vcc
	s_xor_b64 s[40:41], exec, s[40:41]
	s_cbranch_execz .LBB22_900
; %bb.679:
	v_bfe_u32 v2, v3, 21, 1
	s_mov_b32 s44, 0x88fffff
	v_add3_u32 v2, v3, v2, s44
	s_mov_b64 s[38:39], exec
	v_lshrrev_b32_e32 v2, 21, v2
                                        ; implicit-def: $vgpr3
	s_andn2_saveexec_b64 s[40:41], s[40:41]
	s_cbranch_execnz .LBB22_901
.LBB22_680:
	s_or_b64 exec, exec, s[40:41]
	v_mov_b32_e32 v4, 0
	s_and_saveexec_b64 s[40:41], s[38:39]
.LBB22_681:
	v_mov_b32_e32 v4, v2
.LBB22_682:
	s_or_b64 exec, exec, s[40:41]
.LBB22_683:
	s_or_b64 exec, exec, s[36:37]
	s_mov_b64 s[36:37], 0
	global_store_byte v[0:1], v4, off
.LBB22_684:
	s_and_b64 vcc, exec, s[36:37]
	s_cbranch_vccz .LBB22_694
; %bb.685:
	v_cndmask_b32_e64 v2, 0, 1.0, s[30:31]
	s_mov_b32 s36, 0x43f00000
	v_cmp_gt_u32_e32 vcc, s36, v2
                                        ; implicit-def: $vgpr3
	s_and_saveexec_b64 s[36:37], vcc
	s_xor_b64 s[36:37], exec, s[36:37]
	s_cbranch_execz .LBB22_691
; %bb.686:
	s_mov_b32 s38, 0x3c7fffff
	v_cmp_lt_u32_e32 vcc, s38, v2
                                        ; implicit-def: $vgpr3
	s_and_saveexec_b64 s[38:39], vcc
	s_xor_b64 s[38:39], exec, s[38:39]
; %bb.687:
	v_bfe_u32 v3, v2, 20, 1
	s_mov_b32 s40, 0x407ffff
	v_add3_u32 v2, v2, v3, s40
	v_lshrrev_b32_e32 v3, 20, v2
	v_and_b32_e32 v2, 0xff00000, v2
	s_mov_b32 s40, 0x7f00000
	v_mov_b32_e32 v4, 0x7e
	v_cmp_ne_u32_e32 vcc, s40, v2
	v_cndmask_b32_e32 v3, v4, v3, vcc
                                        ; implicit-def: $vgpr2
; %bb.688:
	s_andn2_saveexec_b64 s[38:39], s[38:39]
; %bb.689:
	v_add_f32_e32 v3, 0x46800000, v2
; %bb.690:
	s_or_b64 exec, exec, s[38:39]
                                        ; implicit-def: $vgpr2
.LBB22_691:
	s_andn2_saveexec_b64 s[36:37], s[36:37]
; %bb.692:
	s_mov_b32 s38, 0x7f800000
	v_mov_b32_e32 v3, 0x7e
	v_mov_b32_e32 v4, 0x7f
	v_cmp_lt_u32_e32 vcc, s38, v2
	v_cndmask_b32_e32 v3, v3, v4, vcc
; %bb.693:
	s_or_b64 exec, exec, s[36:37]
	global_store_byte v[0:1], v3, off
.LBB22_694:
	s_mov_b64 s[36:37], 0
.LBB22_695:
	s_andn2_b64 vcc, exec, s[36:37]
	s_cbranch_vccnz .LBB22_705
; %bb.696:
	v_cndmask_b32_e64 v2, 0, 1.0, s[30:31]
	s_mov_b32 s36, 0x47800000
	v_cmp_gt_u32_e32 vcc, s36, v2
                                        ; implicit-def: $vgpr3
	s_and_saveexec_b64 s[36:37], vcc
	s_xor_b64 s[36:37], exec, s[36:37]
	s_cbranch_execz .LBB22_702
; %bb.697:
	s_mov_b32 s38, 0x387fffff
	v_cmp_lt_u32_e32 vcc, s38, v2
                                        ; implicit-def: $vgpr3
	s_and_saveexec_b64 s[38:39], vcc
	s_xor_b64 s[38:39], exec, s[38:39]
; %bb.698:
	v_bfe_u32 v3, v2, 21, 1
	s_mov_b32 s40, 0x80fffff
	v_add3_u32 v2, v2, v3, s40
	v_lshrrev_b32_e32 v3, 21, v2
                                        ; implicit-def: $vgpr2
; %bb.699:
	s_andn2_saveexec_b64 s[38:39], s[38:39]
; %bb.700:
	v_add_f32_e32 v3, 0x43000000, v2
; %bb.701:
	s_or_b64 exec, exec, s[38:39]
                                        ; implicit-def: $vgpr2
.LBB22_702:
	s_andn2_saveexec_b64 s[36:37], s[36:37]
; %bb.703:
	s_mov_b32 s38, 0x7f800000
	v_mov_b32_e32 v3, 0x7c
	v_mov_b32_e32 v4, 0x7f
	v_cmp_lt_u32_e32 vcc, s38, v2
	v_cndmask_b32_e32 v3, v3, v4, vcc
; %bb.704:
	s_or_b64 exec, exec, s[36:37]
	global_store_byte v[0:1], v3, off
.LBB22_705:
	s_mov_b64 s[38:39], 0
	s_mov_b64 s[36:37], -1
.LBB22_706:
	s_andn2_b64 vcc, exec, s[38:39]
	s_cbranch_vccnz .LBB22_714
; %bb.707:
	s_cmp_gt_i32 s43, 14
	s_mov_b64 s[38:39], -1
	s_cbranch_scc0 .LBB22_711
; %bb.708:
	s_cmp_eq_u32 s43, 15
	s_mov_b64 s[0:1], -1
	s_cbranch_scc0 .LBB22_710
; %bb.709:
	v_cndmask_b32_e64 v2, 0, 1.0, s[30:31]
	v_bfe_u32 v3, v2, 16, 1
	s_movk_i32 s0, 0x7fff
	v_add3_u32 v2, v2, v3, s0
	global_store_short_d16_hi v[0:1], v2, off
	s_mov_b64 s[36:37], -1
	s_mov_b64 s[0:1], 0
.LBB22_710:
	s_mov_b64 s[38:39], 0
.LBB22_711:
	s_and_b64 vcc, exec, s[38:39]
	s_cbranch_vccz .LBB22_714
; %bb.712:
	s_cmp_eq_u32 s43, 11
	s_mov_b64 s[0:1], -1
	s_cbranch_scc0 .LBB22_714
; %bb.713:
	v_cndmask_b32_e64 v2, 0, 1, s[30:31]
	s_mov_b64 s[36:37], -1
	s_mov_b64 s[0:1], 0
	global_store_byte v[0:1], v2, off
.LBB22_714:
	s_mov_b64 s[38:39], 0
.LBB22_715:
	s_and_b64 vcc, exec, s[38:39]
	s_cbranch_vccz .LBB22_754
; %bb.716:
	s_and_b32 s38, 0xffff, s42
	s_cmp_lt_i32 s38, 5
	s_mov_b64 s[36:37], -1
	s_cbranch_scc1 .LBB22_737
; %bb.717:
	s_cmp_lt_i32 s38, 8
	s_cbranch_scc1 .LBB22_727
; %bb.718:
	s_cmp_lt_i32 s38, 9
	s_cbranch_scc1 .LBB22_724
; %bb.719:
	s_cmp_gt_i32 s38, 9
	s_cbranch_scc0 .LBB22_721
; %bb.720:
	v_cndmask_b32_e64 v2, 0, 1, s[30:31]
	v_cvt_f64_u32_e32 v[2:3], v2
	v_mov_b32_e32 v4, 0
	v_mov_b32_e32 v5, v4
	s_mov_b64 s[36:37], 0
	global_store_dwordx4 v[0:1], v[2:5], off
.LBB22_721:
	s_andn2_b64 vcc, exec, s[36:37]
	s_cbranch_vccnz .LBB22_723
; %bb.722:
	v_cndmask_b32_e64 v2, 0, 1.0, s[30:31]
	v_mov_b32_e32 v3, 0
	global_store_dwordx2 v[0:1], v[2:3], off
.LBB22_723:
	s_mov_b64 s[36:37], 0
.LBB22_724:
	s_andn2_b64 vcc, exec, s[36:37]
	s_cbranch_vccnz .LBB22_726
; %bb.725:
	v_cndmask_b32_e64 v2, 0, 1.0, s[30:31]
	v_cvt_f16_f32_e32 v2, v2
	global_store_dword v[0:1], v2, off
.LBB22_726:
	s_mov_b64 s[36:37], 0
.LBB22_727:
	s_andn2_b64 vcc, exec, s[36:37]
	s_cbranch_vccnz .LBB22_736
; %bb.728:
	s_cmp_lt_i32 s38, 6
	s_mov_b64 s[36:37], -1
	s_cbranch_scc1 .LBB22_734
; %bb.729:
	s_cmp_gt_i32 s38, 6
	s_cbranch_scc0 .LBB22_731
; %bb.730:
	v_cndmask_b32_e64 v2, 0, 1, s[30:31]
	v_cvt_f64_u32_e32 v[2:3], v2
	s_mov_b64 s[36:37], 0
	global_store_dwordx2 v[0:1], v[2:3], off
.LBB22_731:
	s_andn2_b64 vcc, exec, s[36:37]
	s_cbranch_vccnz .LBB22_733
; %bb.732:
	v_cndmask_b32_e64 v2, 0, 1.0, s[30:31]
	global_store_dword v[0:1], v2, off
.LBB22_733:
	s_mov_b64 s[36:37], 0
.LBB22_734:
	s_andn2_b64 vcc, exec, s[36:37]
	s_cbranch_vccnz .LBB22_736
; %bb.735:
	v_cndmask_b32_e64 v2, 0, 1.0, s[30:31]
	v_cvt_f16_f32_e32 v2, v2
	global_store_short v[0:1], v2, off
.LBB22_736:
	s_mov_b64 s[36:37], 0
.LBB22_737:
	s_andn2_b64 vcc, exec, s[36:37]
	s_cbranch_vccnz .LBB22_753
; %bb.738:
	s_cmp_lt_i32 s38, 2
	s_mov_b64 s[36:37], -1
	s_cbranch_scc1 .LBB22_748
; %bb.739:
	s_cmp_lt_i32 s38, 3
	s_cbranch_scc1 .LBB22_745
; %bb.740:
	s_cmp_gt_i32 s38, 3
	s_cbranch_scc0 .LBB22_742
; %bb.741:
	s_mov_b32 s36, 0
	v_cndmask_b32_e64 v2, 0, 1, s[30:31]
	v_mov_b32_e32 v3, s36
	s_mov_b64 s[36:37], 0
	global_store_dwordx2 v[0:1], v[2:3], off
.LBB22_742:
	s_andn2_b64 vcc, exec, s[36:37]
	s_cbranch_vccnz .LBB22_744
; %bb.743:
	v_cndmask_b32_e64 v2, 0, 1, s[30:31]
	global_store_dword v[0:1], v2, off
.LBB22_744:
	s_mov_b64 s[36:37], 0
.LBB22_745:
	s_andn2_b64 vcc, exec, s[36:37]
	s_cbranch_vccnz .LBB22_747
; %bb.746:
	v_cndmask_b32_e64 v2, 0, 1, s[30:31]
	global_store_short v[0:1], v2, off
.LBB22_747:
	s_mov_b64 s[36:37], 0
.LBB22_748:
	s_andn2_b64 vcc, exec, s[36:37]
	s_cbranch_vccnz .LBB22_753
; %bb.749:
	s_mov_b64 s[36:37], -1
	s_cmp_gt_i32 s38, 0
	v_cndmask_b32_e64 v2, 0, 1, s[30:31]
	s_cbranch_scc0 .LBB22_751
; %bb.750:
	s_mov_b64 s[36:37], 0
	global_store_byte v[0:1], v2, off
.LBB22_751:
	s_andn2_b64 vcc, exec, s[36:37]
	s_cbranch_vccnz .LBB22_753
; %bb.752:
	global_store_byte v[0:1], v2, off
.LBB22_753:
	s_mov_b64 s[36:37], -1
.LBB22_754:
	s_andn2_b64 vcc, exec, s[36:37]
	s_cbranch_vccnz .LBB22_767
; %bb.755:
	v_add_u32_e32 v14, 0x80, v14
	s_mov_b64 s[36:37], -1
.LBB22_756:
	s_andn2_b64 s[30:31], s[18:19], exec
	s_and_b64 s[0:1], s[0:1], exec
	s_or_b64 s[30:31], s[30:31], s[0:1]
	s_andn2_b64 s[0:1], s[20:21], exec
	s_and_b64 s[28:29], s[28:29], exec
	s_or_b64 s[28:29], s[0:1], s[28:29]
	;; [unrolled: 3-line block ×3, first 2 shown]
	s_orn2_b64 s[0:1], s[36:37], exec
.LBB22_757:
	s_or_b64 exec, exec, s[34:35]
	s_mov_b64 s[36:37], 0
	s_mov_b64 s[38:39], 0
	;; [unrolled: 1-line block ×3, first 2 shown]
                                        ; implicit-def: $sgpr58
                                        ; implicit-def: $vgpr2_vgpr3
                                        ; implicit-def: $vgpr0
	s_and_saveexec_b64 s[34:35], s[0:1]
	s_cbranch_execz .LBB22_1219
; %bb.758:
	v_cmp_gt_i32_e32 vcc, s50, v14
	s_mov_b64 s[48:49], -1
	s_mov_b64 s[0:1], s[26:27]
	s_mov_b64 s[40:41], s[28:29]
	;; [unrolled: 1-line block ×3, first 2 shown]
	s_and_saveexec_b64 s[36:37], vcc
	s_cbranch_execz .LBB22_1138
; %bb.759:
	s_waitcnt vmcnt(0)
	v_mul_lo_u32 v0, v14, s13
	v_mov_b32_e32 v1, s11
	s_and_b32 s42, s57, 0xff
	s_cmp_lt_i32 s42, 11
	v_ashrrev_i32_e32 v3, 31, v0
	v_add_co_u32_e32 v2, vcc, s10, v0
	v_addc_co_u32_e32 v3, vcc, v1, v3, vcc
	s_cbranch_scc1 .LBB22_766
; %bb.760:
	s_and_b32 s43, 0xffff, s42
	s_cmp_gt_i32 s43, 25
	s_cbranch_scc0 .LBB22_768
; %bb.761:
	s_cmp_gt_i32 s43, 28
	s_cbranch_scc0 .LBB22_769
; %bb.762:
	;; [unrolled: 3-line block ×4, first 2 shown]
	s_cmp_eq_u32 s43, 46
	s_mov_b64 s[40:41], 0
	s_cbranch_scc0 .LBB22_774
; %bb.765:
	global_load_dword v0, v[2:3], off
	s_mov_b64 s[0:1], -1
	s_waitcnt vmcnt(0)
	v_lshlrev_b32_e32 v0, 16, v0
	v_cvt_i32_f32_e32 v0, v0
	s_branch .LBB22_775
.LBB22_766:
	s_mov_b64 s[40:41], -1
	s_mov_b64 s[0:1], 0
                                        ; implicit-def: $vgpr0
	s_mov_b64 s[38:39], s[26:27]
	s_branch .LBB22_836
.LBB22_767:
	s_mov_b64 s[36:37], 0
	s_branch .LBB22_518
.LBB22_768:
	s_mov_b64 s[40:41], -1
	s_mov_b64 s[0:1], 0
	s_mov_b64 s[38:39], s[26:27]
                                        ; implicit-def: $vgpr0
	s_branch .LBB22_802
.LBB22_769:
	s_mov_b64 s[40:41], -1
	s_mov_b64 s[0:1], 0
	s_mov_b64 s[38:39], s[26:27]
                                        ; implicit-def: $vgpr0
	s_branch .LBB22_785
.LBB22_770:
	s_mov_b64 s[40:41], -1
	s_mov_b64 s[0:1], 0
	s_mov_b64 s[38:39], s[26:27]
                                        ; implicit-def: $vgpr0
	s_branch .LBB22_780
.LBB22_771:
	s_mov_b64 s[40:41], -1
	s_mov_b64 s[0:1], 0
	s_mov_b64 s[38:39], s[26:27]
                                        ; implicit-def: $vgpr0
	s_branch .LBB22_775
.LBB22_772:
	s_andn2_saveexec_b64 s[40:41], s[40:41]
	s_cbranch_execz .LBB22_667
.LBB22_773:
	v_add_f32_e32 v2, 0x46000000, v3
	v_and_b32_e32 v2, 0xff, v2
	v_cmp_ne_u32_e32 vcc, 0, v2
	s_andn2_b64 s[38:39], s[38:39], exec
	s_and_b64 s[44:45], vcc, exec
	s_or_b64 s[38:39], s[38:39], s[44:45]
	s_or_b64 exec, exec, s[40:41]
	v_mov_b32_e32 v4, 0
	s_and_saveexec_b64 s[40:41], s[38:39]
	s_cbranch_execnz .LBB22_668
	s_branch .LBB22_669
.LBB22_774:
	s_mov_b64 s[38:39], -1
                                        ; implicit-def: $vgpr0
	s_mov_b64 s[0:1], 0
.LBB22_775:
	s_and_b64 vcc, exec, s[40:41]
	s_cbranch_vccz .LBB22_779
; %bb.776:
	s_cmp_eq_u32 s43, 44
	s_cbranch_scc0 .LBB22_778
; %bb.777:
	global_load_ubyte v0, v[2:3], off
	s_mov_b64 s[0:1], -1
	s_mov_b64 s[38:39], 0
	s_waitcnt vmcnt(0)
	v_lshlrev_b32_e32 v1, 23, v0
	v_cvt_i32_f32_e32 v1, v1
	v_cmp_ne_u32_e32 vcc, 0, v0
	v_cndmask_b32_e32 v0, 0, v1, vcc
	s_branch .LBB22_779
.LBB22_778:
	s_mov_b64 s[38:39], -1
                                        ; implicit-def: $vgpr0
.LBB22_779:
	s_mov_b64 s[40:41], 0
.LBB22_780:
	s_and_b64 vcc, exec, s[40:41]
	s_cbranch_vccz .LBB22_784
; %bb.781:
	s_cmp_eq_u32 s43, 29
	s_cbranch_scc0 .LBB22_783
; %bb.782:
	global_load_dwordx2 v[0:1], v[2:3], off
	s_mov_b64 s[0:1], -1
	s_mov_b64 s[38:39], 0
	s_branch .LBB22_784
.LBB22_783:
	s_mov_b64 s[38:39], -1
                                        ; implicit-def: $vgpr0
.LBB22_784:
	s_mov_b64 s[40:41], 0
.LBB22_785:
	s_and_b64 vcc, exec, s[40:41]
	s_cbranch_vccz .LBB22_801
; %bb.786:
	s_cmp_lt_i32 s43, 27
	s_cbranch_scc1 .LBB22_789
; %bb.787:
	s_cmp_gt_i32 s43, 27
	s_cbranch_scc0 .LBB22_790
; %bb.788:
	global_load_dword v0, v[2:3], off
	s_mov_b64 s[0:1], 0
	s_branch .LBB22_791
.LBB22_789:
	s_mov_b64 s[0:1], -1
                                        ; implicit-def: $vgpr0
	s_branch .LBB22_794
.LBB22_790:
	s_mov_b64 s[0:1], -1
                                        ; implicit-def: $vgpr0
.LBB22_791:
	s_andn2_b64 vcc, exec, s[0:1]
	s_cbranch_vccnz .LBB22_793
; %bb.792:
	global_load_ushort v0, v[2:3], off
.LBB22_793:
	s_mov_b64 s[0:1], 0
.LBB22_794:
	s_andn2_b64 vcc, exec, s[0:1]
	s_cbranch_vccnz .LBB22_800
; %bb.795:
	global_load_ubyte v1, v[2:3], off
	s_movk_i32 s0, 0x7f
	s_mov_b64 s[40:41], 0
	s_waitcnt vmcnt(0)
	v_cmp_lt_i16_e32 vcc, s0, v1
	s_and_saveexec_b64 s[0:1], vcc
	s_xor_b64 s[0:1], exec, s[0:1]
	s_cbranch_execz .LBB22_812
; %bb.796:
	s_movk_i32 s40, 0x80
	v_cmp_ne_u16_e32 vcc, s40, v1
	s_and_b64 s[40:41], vcc, exec
	s_andn2_saveexec_b64 s[0:1], s[0:1]
	s_cbranch_execnz .LBB22_813
.LBB22_797:
	s_or_b64 exec, exec, s[0:1]
	v_mov_b32_e32 v0, 0
	s_and_saveexec_b64 s[0:1], s[40:41]
	s_cbranch_execz .LBB22_799
.LBB22_798:
	v_lshlrev_b32_e32 v0, 24, v1
	v_and_b32_e32 v1, 0xffff, v1
	v_and_b32_e32 v4, 7, v1
	v_ffbh_u32_e32 v6, v4
	v_min_u32_e32 v6, 32, v6
	v_subrev_u32_e32 v7, 28, v6
	v_bfe_u32 v5, v1, 3, 4
	v_lshlrev_b32_e32 v1, v7, v1
	v_sub_u32_e32 v6, 29, v6
	v_and_b32_e32 v1, 7, v1
	v_cmp_eq_u32_e32 vcc, 0, v5
	v_cndmask_b32_e32 v5, v5, v6, vcc
	v_cndmask_b32_e32 v1, v4, v1, vcc
	v_mov_b32_e32 v4, 0x3b800000
	v_lshlrev_b32_e32 v1, 20, v1
	v_and_b32_e32 v0, 0x80000000, v0
	v_lshl_add_u32 v4, v5, 23, v4
	v_or3_b32 v0, v0, v4, v1
	v_cvt_i32_f32_e32 v0, v0
.LBB22_799:
	s_or_b64 exec, exec, s[0:1]
.LBB22_800:
	s_mov_b64 s[0:1], -1
.LBB22_801:
	s_mov_b64 s[40:41], 0
.LBB22_802:
	s_and_b64 vcc, exec, s[40:41]
	s_cbranch_vccz .LBB22_835
; %bb.803:
	s_cmp_gt_i32 s43, 22
	s_cbranch_scc0 .LBB22_811
; %bb.804:
	s_cmp_lt_i32 s43, 24
	s_cbranch_scc1 .LBB22_814
; %bb.805:
	s_cmp_gt_i32 s43, 24
	s_cbranch_scc0 .LBB22_815
; %bb.806:
	global_load_ubyte v1, v[2:3], off
	s_movk_i32 s0, 0x7f
	s_mov_b64 s[40:41], 0
	s_waitcnt vmcnt(0)
	v_cmp_lt_i16_e32 vcc, s0, v1
	s_and_saveexec_b64 s[0:1], vcc
	s_xor_b64 s[0:1], exec, s[0:1]
	s_cbranch_execz .LBB22_827
; %bb.807:
	s_movk_i32 s40, 0x80
	v_cmp_ne_u16_e32 vcc, s40, v1
	s_and_b64 s[40:41], vcc, exec
	s_andn2_saveexec_b64 s[0:1], s[0:1]
	s_cbranch_execnz .LBB22_828
.LBB22_808:
	s_or_b64 exec, exec, s[0:1]
	v_mov_b32_e32 v0, 0
	s_and_saveexec_b64 s[0:1], s[40:41]
	s_cbranch_execz .LBB22_810
.LBB22_809:
	v_lshlrev_b32_e32 v0, 24, v1
	v_and_b32_e32 v1, 0xffff, v1
	v_and_b32_e32 v4, 3, v1
	v_ffbh_u32_e32 v6, v4
	v_min_u32_e32 v6, 32, v6
	v_subrev_u32_e32 v7, 29, v6
	v_bfe_u32 v5, v1, 2, 5
	v_lshlrev_b32_e32 v1, v7, v1
	v_sub_u32_e32 v6, 30, v6
	v_and_b32_e32 v1, 3, v1
	v_cmp_eq_u32_e32 vcc, 0, v5
	v_cndmask_b32_e32 v5, v5, v6, vcc
	v_cndmask_b32_e32 v1, v4, v1, vcc
	v_mov_b32_e32 v4, 0x37800000
	v_lshlrev_b32_e32 v1, 21, v1
	v_and_b32_e32 v0, 0x80000000, v0
	v_lshl_add_u32 v4, v5, 23, v4
	v_or3_b32 v0, v0, v4, v1
	v_cvt_i32_f32_e32 v0, v0
.LBB22_810:
	s_or_b64 exec, exec, s[0:1]
	s_mov_b64 s[0:1], 0
	s_branch .LBB22_816
.LBB22_811:
	s_mov_b64 s[40:41], -1
                                        ; implicit-def: $vgpr0
	s_branch .LBB22_822
.LBB22_812:
	s_andn2_saveexec_b64 s[0:1], s[0:1]
	s_cbranch_execz .LBB22_797
.LBB22_813:
	v_cmp_ne_u16_e32 vcc, 0, v1
	s_andn2_b64 s[40:41], s[40:41], exec
	s_and_b64 s[44:45], vcc, exec
	s_or_b64 s[40:41], s[40:41], s[44:45]
	s_or_b64 exec, exec, s[0:1]
	v_mov_b32_e32 v0, 0
	s_and_saveexec_b64 s[0:1], s[40:41]
	s_cbranch_execnz .LBB22_798
	s_branch .LBB22_799
.LBB22_814:
	s_mov_b64 s[0:1], -1
                                        ; implicit-def: $vgpr0
	s_branch .LBB22_819
.LBB22_815:
	s_mov_b64 s[0:1], -1
                                        ; implicit-def: $vgpr0
.LBB22_816:
	s_and_b64 vcc, exec, s[0:1]
	s_cbranch_vccz .LBB22_818
; %bb.817:
	global_load_ubyte v0, v[2:3], off
	s_mov_b32 s0, 0x7f800000
	s_waitcnt vmcnt(0)
	v_lshlrev_b32_e32 v0, 24, v0
	v_and_b32_e32 v1, 0x7f000000, v0
	v_ffbh_u32_e32 v4, v1
	v_min_u32_e32 v4, 32, v4
	v_sub_u32_e64 v4, v4, 4 clamp
	v_lshlrev_b32_e32 v6, v4, v1
	v_lshlrev_b32_e32 v4, 23, v4
	v_lshrrev_b32_e32 v6, 4, v6
	v_add_u32_e32 v5, 0x1000000, v1
	v_sub_u32_e32 v4, v6, v4
	v_ashrrev_i32_e32 v5, 8, v5
	v_add_u32_e32 v4, 0x3c000000, v4
	v_and_or_b32 v4, v5, s0, v4
	v_cmp_ne_u32_e32 vcc, 0, v1
	v_cndmask_b32_e32 v1, 0, v4, vcc
	s_brev_b32 s0, 1
	v_and_or_b32 v0, v0, s0, v1
	v_cvt_i32_f32_e32 v0, v0
.LBB22_818:
	s_mov_b64 s[0:1], 0
.LBB22_819:
	s_andn2_b64 vcc, exec, s[0:1]
	s_cbranch_vccnz .LBB22_821
; %bb.820:
	global_load_ubyte v0, v[2:3], off
	s_movk_i32 s0, 0x7f00
	s_brev_b32 s1, 16
	s_waitcnt vmcnt(0)
	v_lshlrev_b16_e32 v1, 8, v0
	v_lshlrev_b32_e32 v0, 25, v0
	v_lshrrev_b32_e32 v4, 4, v0
	v_and_or_b32 v5, v1, s0, 0.5
	v_or_b32_e32 v4, 0x70000000, v4
	v_add_f32_e32 v5, -0.5, v5
	v_mul_f32_e32 v4, 0x7800000, v4
	v_cmp_gt_u32_e32 vcc, s1, v0
	v_bfe_i32 v1, v1, 0, 16
	v_cndmask_b32_e32 v0, v4, v5, vcc
	s_brev_b32 s0, 1
	v_and_or_b32 v0, v1, s0, v0
	v_cvt_i32_f32_e32 v0, v0
.LBB22_821:
	s_mov_b64 s[40:41], 0
	s_mov_b64 s[0:1], -1
.LBB22_822:
	s_andn2_b64 vcc, exec, s[40:41]
	s_cbranch_vccnz .LBB22_835
; %bb.823:
	s_cmp_gt_i32 s43, 14
	s_cbranch_scc0 .LBB22_826
; %bb.824:
	s_cmp_eq_u32 s43, 15
	s_cbranch_scc0 .LBB22_829
; %bb.825:
	global_load_ushort v0, v[2:3], off
	s_mov_b64 s[0:1], -1
	s_mov_b64 s[38:39], 0
	s_waitcnt vmcnt(0)
	v_lshlrev_b32_e32 v0, 16, v0
	v_cvt_i32_f32_e32 v0, v0
	s_branch .LBB22_830
.LBB22_826:
	s_mov_b64 s[40:41], -1
                                        ; implicit-def: $vgpr0
	s_branch .LBB22_831
.LBB22_827:
	s_andn2_saveexec_b64 s[0:1], s[0:1]
	s_cbranch_execz .LBB22_808
.LBB22_828:
	v_cmp_ne_u16_e32 vcc, 0, v1
	s_andn2_b64 s[40:41], s[40:41], exec
	s_and_b64 s[44:45], vcc, exec
	s_or_b64 s[40:41], s[40:41], s[44:45]
	s_or_b64 exec, exec, s[0:1]
	v_mov_b32_e32 v0, 0
	s_and_saveexec_b64 s[0:1], s[40:41]
	s_cbranch_execnz .LBB22_809
	s_branch .LBB22_810
.LBB22_829:
	s_mov_b64 s[38:39], -1
                                        ; implicit-def: $vgpr0
.LBB22_830:
	s_mov_b64 s[40:41], 0
.LBB22_831:
	s_and_b64 vcc, exec, s[40:41]
	s_cbranch_vccz .LBB22_835
; %bb.832:
	s_cmp_eq_u32 s43, 11
	s_cbranch_scc0 .LBB22_834
; %bb.833:
	global_load_ubyte v0, v[2:3], off
	s_mov_b64 s[0:1], -1
	s_mov_b64 s[38:39], 0
	s_waitcnt vmcnt(0)
	v_cmp_ne_u16_e32 vcc, 0, v0
	v_cndmask_b32_e64 v0, 0, 1, vcc
	s_branch .LBB22_835
.LBB22_834:
	s_mov_b64 s[38:39], -1
                                        ; implicit-def: $vgpr0
.LBB22_835:
	s_mov_b64 s[40:41], 0
.LBB22_836:
	s_and_b64 vcc, exec, s[40:41]
	s_cbranch_vccz .LBB22_885
; %bb.837:
	s_and_b32 s40, 0xffff, s42
	s_cmp_lt_i32 s40, 5
	s_cbranch_scc1 .LBB22_842
; %bb.838:
	s_cmp_lt_i32 s40, 8
	s_cbranch_scc1 .LBB22_843
; %bb.839:
	;; [unrolled: 3-line block ×3, first 2 shown]
	s_cmp_gt_i32 s40, 9
	s_cbranch_scc0 .LBB22_845
; %bb.841:
	global_load_dwordx2 v[0:1], v[2:3], off
	s_mov_b64 s[0:1], 0
	s_waitcnt vmcnt(0)
	v_cvt_i32_f64_e32 v0, v[0:1]
	s_branch .LBB22_846
.LBB22_842:
	s_mov_b64 s[0:1], -1
                                        ; implicit-def: $vgpr0
	s_branch .LBB22_864
.LBB22_843:
	s_mov_b64 s[0:1], -1
                                        ; implicit-def: $vgpr0
	s_branch .LBB22_852
.LBB22_844:
	s_mov_b64 s[0:1], -1
                                        ; implicit-def: $vgpr0
	s_branch .LBB22_849
.LBB22_845:
	s_mov_b64 s[0:1], -1
                                        ; implicit-def: $vgpr0
.LBB22_846:
	s_andn2_b64 vcc, exec, s[0:1]
	s_cbranch_vccnz .LBB22_848
; %bb.847:
	global_load_dword v0, v[2:3], off
	s_waitcnt vmcnt(0)
	v_cvt_i32_f32_e32 v0, v0
.LBB22_848:
	s_mov_b64 s[0:1], 0
.LBB22_849:
	s_andn2_b64 vcc, exec, s[0:1]
	s_cbranch_vccnz .LBB22_851
; %bb.850:
	global_load_dword v0, v[2:3], off
	s_waitcnt vmcnt(0)
	v_cvt_i16_f16_e32 v0, v0
.LBB22_851:
	s_mov_b64 s[0:1], 0
.LBB22_852:
	s_andn2_b64 vcc, exec, s[0:1]
	s_cbranch_vccnz .LBB22_863
; %bb.853:
	s_cmp_lt_i32 s40, 6
	s_cbranch_scc1 .LBB22_856
; %bb.854:
	s_cmp_gt_i32 s40, 6
	s_cbranch_scc0 .LBB22_857
; %bb.855:
	global_load_dwordx2 v[0:1], v[2:3], off
	s_mov_b64 s[0:1], 0
	s_waitcnt vmcnt(0)
	v_cvt_i32_f64_e32 v0, v[0:1]
	s_branch .LBB22_858
.LBB22_856:
	s_mov_b64 s[0:1], -1
                                        ; implicit-def: $vgpr0
	s_branch .LBB22_861
.LBB22_857:
	s_mov_b64 s[0:1], -1
                                        ; implicit-def: $vgpr0
.LBB22_858:
	s_andn2_b64 vcc, exec, s[0:1]
	s_cbranch_vccnz .LBB22_860
; %bb.859:
	global_load_dword v0, v[2:3], off
	s_waitcnt vmcnt(0)
	v_cvt_i32_f32_e32 v0, v0
.LBB22_860:
	s_mov_b64 s[0:1], 0
.LBB22_861:
	s_andn2_b64 vcc, exec, s[0:1]
	s_cbranch_vccnz .LBB22_863
; %bb.862:
	global_load_ushort v0, v[2:3], off
	s_waitcnt vmcnt(0)
	v_cvt_i16_f16_e32 v0, v0
.LBB22_863:
	s_mov_b64 s[0:1], 0
.LBB22_864:
	s_andn2_b64 vcc, exec, s[0:1]
	s_cbranch_vccnz .LBB22_884
; %bb.865:
	s_cmp_lt_i32 s40, 2
	s_cbranch_scc1 .LBB22_869
; %bb.866:
	s_cmp_lt_i32 s40, 3
	s_cbranch_scc1 .LBB22_870
; %bb.867:
	s_cmp_gt_i32 s40, 3
	s_cbranch_scc0 .LBB22_871
; %bb.868:
	global_load_dwordx2 v[0:1], v[2:3], off
	s_mov_b64 s[0:1], 0
	s_branch .LBB22_872
.LBB22_869:
	s_mov_b64 s[0:1], -1
                                        ; implicit-def: $vgpr0
	s_branch .LBB22_878
.LBB22_870:
	s_mov_b64 s[0:1], -1
                                        ; implicit-def: $vgpr0
	s_branch .LBB22_875
.LBB22_871:
	s_mov_b64 s[0:1], -1
                                        ; implicit-def: $vgpr0
.LBB22_872:
	s_andn2_b64 vcc, exec, s[0:1]
	s_cbranch_vccnz .LBB22_874
; %bb.873:
	global_load_dword v0, v[2:3], off
.LBB22_874:
	s_mov_b64 s[0:1], 0
.LBB22_875:
	s_andn2_b64 vcc, exec, s[0:1]
	s_cbranch_vccnz .LBB22_877
; %bb.876:
	global_load_ushort v0, v[2:3], off
.LBB22_877:
	s_mov_b64 s[0:1], 0
.LBB22_878:
	s_andn2_b64 vcc, exec, s[0:1]
	s_cbranch_vccnz .LBB22_884
; %bb.879:
	s_cmp_gt_i32 s40, 0
	s_cbranch_scc0 .LBB22_881
; %bb.880:
	global_load_ubyte v0, v[2:3], off
	s_mov_b64 s[0:1], 0
	s_branch .LBB22_882
.LBB22_881:
	s_mov_b64 s[0:1], -1
                                        ; implicit-def: $vgpr0
.LBB22_882:
	s_andn2_b64 vcc, exec, s[0:1]
	s_cbranch_vccnz .LBB22_884
; %bb.883:
	global_load_ubyte v0, v[2:3], off
.LBB22_884:
	s_mov_b64 s[0:1], -1
.LBB22_885:
	s_andn2_b64 vcc, exec, s[0:1]
	s_cbranch_vccnz .LBB22_893
; %bb.886:
	s_waitcnt vmcnt(0)
	v_mul_lo_u32 v1, v14, s14
	v_mov_b32_e32 v2, s3
	s_and_b32 s44, s56, 0xff
	s_cmp_lt_i32 s44, 11
	v_ashrrev_i32_e32 v3, 31, v1
	v_add_co_u32_e32 v1, vcc, s2, v1
	v_addc_co_u32_e32 v2, vcc, v2, v3, vcc
	s_cbranch_scc1 .LBB22_895
; %bb.887:
	s_and_b32 s45, 0xffff, s44
	s_cmp_gt_i32 s45, 25
	s_cbranch_scc0 .LBB22_896
; %bb.888:
	s_cmp_gt_i32 s45, 28
	s_cbranch_scc0 .LBB22_897
; %bb.889:
	;; [unrolled: 3-line block ×4, first 2 shown]
	s_cmp_eq_u32 s45, 46
	s_mov_b64 s[42:43], 0
	s_cbranch_scc0 .LBB22_902
; %bb.892:
	global_load_dword v3, v[1:2], off
	s_mov_b64 s[0:1], -1
	s_mov_b64 s[40:41], 0
	s_waitcnt vmcnt(0)
	v_lshlrev_b32_e32 v3, 16, v3
	v_cvt_i32_f32_e32 v3, v3
	s_branch .LBB22_903
.LBB22_893:
	s_mov_b64 s[44:45], 0
	s_mov_b64 s[0:1], s[30:31]
	;; [unrolled: 1-line block ×3, first 2 shown]
.LBB22_894:
                                        ; implicit-def: $vgpr14
	s_branch .LBB22_1137
.LBB22_895:
	s_mov_b64 s[42:43], -1
	s_mov_b64 s[0:1], 0
                                        ; implicit-def: $vgpr3
	s_mov_b64 s[40:41], s[28:29]
	s_branch .LBB22_964
.LBB22_896:
	s_mov_b64 s[42:43], -1
	s_mov_b64 s[0:1], 0
	s_mov_b64 s[40:41], s[28:29]
                                        ; implicit-def: $vgpr3
	s_branch .LBB22_930
.LBB22_897:
	s_mov_b64 s[42:43], -1
	s_mov_b64 s[0:1], 0
	s_mov_b64 s[40:41], s[28:29]
                                        ; implicit-def: $vgpr3
	s_branch .LBB22_913
.LBB22_898:
	s_mov_b64 s[42:43], -1
	s_mov_b64 s[0:1], 0
	s_mov_b64 s[40:41], s[28:29]
                                        ; implicit-def: $vgpr3
	s_branch .LBB22_908
.LBB22_899:
	s_mov_b64 s[42:43], -1
	s_mov_b64 s[0:1], 0
	s_mov_b64 s[40:41], s[28:29]
                                        ; implicit-def: $vgpr3
	s_branch .LBB22_903
.LBB22_900:
	s_andn2_saveexec_b64 s[40:41], s[40:41]
	s_cbranch_execz .LBB22_680
.LBB22_901:
	v_add_f32_e32 v2, 0x42800000, v3
	v_and_b32_e32 v2, 0xff, v2
	v_cmp_ne_u32_e32 vcc, 0, v2
	s_andn2_b64 s[38:39], s[38:39], exec
	s_and_b64 s[44:45], vcc, exec
	s_or_b64 s[38:39], s[38:39], s[44:45]
	s_or_b64 exec, exec, s[40:41]
	v_mov_b32_e32 v4, 0
	s_and_saveexec_b64 s[40:41], s[38:39]
	s_cbranch_execnz .LBB22_681
	s_branch .LBB22_682
.LBB22_902:
	s_mov_b64 s[40:41], -1
                                        ; implicit-def: $vgpr3
	s_mov_b64 s[0:1], 0
.LBB22_903:
	s_and_b64 vcc, exec, s[42:43]
	s_cbranch_vccz .LBB22_907
; %bb.904:
	s_cmp_eq_u32 s45, 44
	s_cbranch_scc0 .LBB22_906
; %bb.905:
	global_load_ubyte v3, v[1:2], off
	s_mov_b64 s[0:1], -1
	s_mov_b64 s[40:41], 0
	s_waitcnt vmcnt(0)
	v_lshlrev_b32_e32 v4, 23, v3
	v_cvt_i32_f32_e32 v4, v4
	v_cmp_ne_u32_e32 vcc, 0, v3
	v_cndmask_b32_e32 v3, 0, v4, vcc
	s_branch .LBB22_907
.LBB22_906:
	s_mov_b64 s[40:41], -1
                                        ; implicit-def: $vgpr3
.LBB22_907:
	s_mov_b64 s[42:43], 0
.LBB22_908:
	s_and_b64 vcc, exec, s[42:43]
	s_cbranch_vccz .LBB22_912
; %bb.909:
	s_cmp_eq_u32 s45, 29
	s_cbranch_scc0 .LBB22_911
; %bb.910:
	global_load_dwordx2 v[3:4], v[1:2], off
	s_mov_b64 s[0:1], -1
	s_mov_b64 s[40:41], 0
	s_branch .LBB22_912
.LBB22_911:
	s_mov_b64 s[40:41], -1
                                        ; implicit-def: $vgpr3
.LBB22_912:
	s_mov_b64 s[42:43], 0
.LBB22_913:
	s_and_b64 vcc, exec, s[42:43]
	s_cbranch_vccz .LBB22_929
; %bb.914:
	s_cmp_lt_i32 s45, 27
	s_cbranch_scc1 .LBB22_917
; %bb.915:
	s_cmp_gt_i32 s45, 27
	s_cbranch_scc0 .LBB22_918
; %bb.916:
	global_load_dword v3, v[1:2], off
	s_mov_b64 s[0:1], 0
	s_branch .LBB22_919
.LBB22_917:
	s_mov_b64 s[0:1], -1
                                        ; implicit-def: $vgpr3
	s_branch .LBB22_922
.LBB22_918:
	s_mov_b64 s[0:1], -1
                                        ; implicit-def: $vgpr3
.LBB22_919:
	s_andn2_b64 vcc, exec, s[0:1]
	s_cbranch_vccnz .LBB22_921
; %bb.920:
	global_load_ushort v3, v[1:2], off
.LBB22_921:
	s_mov_b64 s[0:1], 0
.LBB22_922:
	s_andn2_b64 vcc, exec, s[0:1]
	s_cbranch_vccnz .LBB22_928
; %bb.923:
	global_load_ubyte v4, v[1:2], off
	s_movk_i32 s0, 0x7f
	s_mov_b64 s[42:43], 0
	s_waitcnt vmcnt(0)
	v_cmp_lt_i16_e32 vcc, s0, v4
	s_and_saveexec_b64 s[0:1], vcc
	s_xor_b64 s[0:1], exec, s[0:1]
	s_cbranch_execz .LBB22_940
; %bb.924:
	s_movk_i32 s42, 0x80
	v_cmp_ne_u16_e32 vcc, s42, v4
	s_and_b64 s[42:43], vcc, exec
	s_andn2_saveexec_b64 s[0:1], s[0:1]
	s_cbranch_execnz .LBB22_941
.LBB22_925:
	s_or_b64 exec, exec, s[0:1]
	v_mov_b32_e32 v3, 0
	s_and_saveexec_b64 s[0:1], s[42:43]
	s_cbranch_execz .LBB22_927
.LBB22_926:
	v_lshlrev_b32_e32 v3, 24, v4
	v_and_b32_e32 v4, 0xffff, v4
	v_and_b32_e32 v5, 7, v4
	v_ffbh_u32_e32 v7, v5
	v_min_u32_e32 v7, 32, v7
	v_subrev_u32_e32 v8, 28, v7
	v_bfe_u32 v6, v4, 3, 4
	v_lshlrev_b32_e32 v4, v8, v4
	v_sub_u32_e32 v7, 29, v7
	v_and_b32_e32 v4, 7, v4
	v_cmp_eq_u32_e32 vcc, 0, v6
	v_cndmask_b32_e32 v6, v6, v7, vcc
	v_cndmask_b32_e32 v4, v5, v4, vcc
	v_mov_b32_e32 v5, 0x3b800000
	v_lshlrev_b32_e32 v4, 20, v4
	v_and_b32_e32 v3, 0x80000000, v3
	v_lshl_add_u32 v5, v6, 23, v5
	v_or3_b32 v3, v3, v5, v4
	v_cvt_i32_f32_e32 v3, v3
.LBB22_927:
	s_or_b64 exec, exec, s[0:1]
.LBB22_928:
	s_mov_b64 s[0:1], -1
.LBB22_929:
	s_mov_b64 s[42:43], 0
.LBB22_930:
	s_and_b64 vcc, exec, s[42:43]
	s_cbranch_vccz .LBB22_963
; %bb.931:
	s_cmp_gt_i32 s45, 22
	s_cbranch_scc0 .LBB22_939
; %bb.932:
	s_cmp_lt_i32 s45, 24
	s_cbranch_scc1 .LBB22_942
; %bb.933:
	s_cmp_gt_i32 s45, 24
	s_cbranch_scc0 .LBB22_943
; %bb.934:
	global_load_ubyte v4, v[1:2], off
	s_movk_i32 s0, 0x7f
	s_mov_b64 s[42:43], 0
	s_waitcnt vmcnt(0)
	v_cmp_lt_i16_e32 vcc, s0, v4
	s_and_saveexec_b64 s[0:1], vcc
	s_xor_b64 s[0:1], exec, s[0:1]
	s_cbranch_execz .LBB22_955
; %bb.935:
	s_movk_i32 s42, 0x80
	v_cmp_ne_u16_e32 vcc, s42, v4
	s_and_b64 s[42:43], vcc, exec
	s_andn2_saveexec_b64 s[0:1], s[0:1]
	s_cbranch_execnz .LBB22_956
.LBB22_936:
	s_or_b64 exec, exec, s[0:1]
	v_mov_b32_e32 v3, 0
	s_and_saveexec_b64 s[0:1], s[42:43]
	s_cbranch_execz .LBB22_938
.LBB22_937:
	v_lshlrev_b32_e32 v3, 24, v4
	v_and_b32_e32 v4, 0xffff, v4
	v_and_b32_e32 v5, 3, v4
	v_ffbh_u32_e32 v7, v5
	v_min_u32_e32 v7, 32, v7
	v_subrev_u32_e32 v8, 29, v7
	v_bfe_u32 v6, v4, 2, 5
	v_lshlrev_b32_e32 v4, v8, v4
	v_sub_u32_e32 v7, 30, v7
	v_and_b32_e32 v4, 3, v4
	v_cmp_eq_u32_e32 vcc, 0, v6
	v_cndmask_b32_e32 v6, v6, v7, vcc
	v_cndmask_b32_e32 v4, v5, v4, vcc
	v_mov_b32_e32 v5, 0x37800000
	v_lshlrev_b32_e32 v4, 21, v4
	v_and_b32_e32 v3, 0x80000000, v3
	v_lshl_add_u32 v5, v6, 23, v5
	v_or3_b32 v3, v3, v5, v4
	v_cvt_i32_f32_e32 v3, v3
.LBB22_938:
	s_or_b64 exec, exec, s[0:1]
	s_mov_b64 s[0:1], 0
	s_branch .LBB22_944
.LBB22_939:
	s_mov_b64 s[42:43], -1
                                        ; implicit-def: $vgpr3
	s_branch .LBB22_950
.LBB22_940:
	s_andn2_saveexec_b64 s[0:1], s[0:1]
	s_cbranch_execz .LBB22_925
.LBB22_941:
	v_cmp_ne_u16_e32 vcc, 0, v4
	s_andn2_b64 s[42:43], s[42:43], exec
	s_and_b64 s[46:47], vcc, exec
	s_or_b64 s[42:43], s[42:43], s[46:47]
	s_or_b64 exec, exec, s[0:1]
	v_mov_b32_e32 v3, 0
	s_and_saveexec_b64 s[0:1], s[42:43]
	s_cbranch_execnz .LBB22_926
	s_branch .LBB22_927
.LBB22_942:
	s_mov_b64 s[0:1], -1
                                        ; implicit-def: $vgpr3
	s_branch .LBB22_947
.LBB22_943:
	s_mov_b64 s[0:1], -1
                                        ; implicit-def: $vgpr3
.LBB22_944:
	s_and_b64 vcc, exec, s[0:1]
	s_cbranch_vccz .LBB22_946
; %bb.945:
	global_load_ubyte v3, v[1:2], off
	s_mov_b32 s0, 0x7f800000
	s_waitcnt vmcnt(0)
	v_lshlrev_b32_e32 v3, 24, v3
	v_and_b32_e32 v4, 0x7f000000, v3
	v_ffbh_u32_e32 v5, v4
	v_min_u32_e32 v5, 32, v5
	v_sub_u32_e64 v5, v5, 4 clamp
	v_lshlrev_b32_e32 v7, v5, v4
	v_lshlrev_b32_e32 v5, 23, v5
	v_lshrrev_b32_e32 v7, 4, v7
	v_add_u32_e32 v6, 0x1000000, v4
	v_sub_u32_e32 v5, v7, v5
	v_ashrrev_i32_e32 v6, 8, v6
	v_add_u32_e32 v5, 0x3c000000, v5
	v_and_or_b32 v5, v6, s0, v5
	v_cmp_ne_u32_e32 vcc, 0, v4
	v_cndmask_b32_e32 v4, 0, v5, vcc
	s_brev_b32 s0, 1
	v_and_or_b32 v3, v3, s0, v4
	v_cvt_i32_f32_e32 v3, v3
.LBB22_946:
	s_mov_b64 s[0:1], 0
.LBB22_947:
	s_andn2_b64 vcc, exec, s[0:1]
	s_cbranch_vccnz .LBB22_949
; %bb.948:
	global_load_ubyte v3, v[1:2], off
	s_movk_i32 s0, 0x7f00
	s_brev_b32 s1, 16
	s_waitcnt vmcnt(0)
	v_lshlrev_b16_e32 v4, 8, v3
	v_lshlrev_b32_e32 v3, 25, v3
	v_lshrrev_b32_e32 v5, 4, v3
	v_and_or_b32 v6, v4, s0, 0.5
	v_or_b32_e32 v5, 0x70000000, v5
	v_add_f32_e32 v6, -0.5, v6
	v_mul_f32_e32 v5, 0x7800000, v5
	v_cmp_gt_u32_e32 vcc, s1, v3
	v_bfe_i32 v4, v4, 0, 16
	v_cndmask_b32_e32 v3, v5, v6, vcc
	s_brev_b32 s0, 1
	v_and_or_b32 v3, v4, s0, v3
	v_cvt_i32_f32_e32 v3, v3
.LBB22_949:
	s_mov_b64 s[42:43], 0
	s_mov_b64 s[0:1], -1
.LBB22_950:
	s_andn2_b64 vcc, exec, s[42:43]
	s_cbranch_vccnz .LBB22_963
; %bb.951:
	s_cmp_gt_i32 s45, 14
	s_cbranch_scc0 .LBB22_954
; %bb.952:
	s_cmp_eq_u32 s45, 15
	s_cbranch_scc0 .LBB22_957
; %bb.953:
	global_load_ushort v3, v[1:2], off
	s_mov_b64 s[0:1], -1
	s_mov_b64 s[40:41], 0
	s_waitcnt vmcnt(0)
	v_lshlrev_b32_e32 v3, 16, v3
	v_cvt_i32_f32_e32 v3, v3
	s_branch .LBB22_958
.LBB22_954:
	s_mov_b64 s[42:43], -1
                                        ; implicit-def: $vgpr3
	s_branch .LBB22_959
.LBB22_955:
	s_andn2_saveexec_b64 s[0:1], s[0:1]
	s_cbranch_execz .LBB22_936
.LBB22_956:
	v_cmp_ne_u16_e32 vcc, 0, v4
	s_andn2_b64 s[42:43], s[42:43], exec
	s_and_b64 s[46:47], vcc, exec
	s_or_b64 s[42:43], s[42:43], s[46:47]
	s_or_b64 exec, exec, s[0:1]
	v_mov_b32_e32 v3, 0
	s_and_saveexec_b64 s[0:1], s[42:43]
	s_cbranch_execnz .LBB22_937
	s_branch .LBB22_938
.LBB22_957:
	s_mov_b64 s[40:41], -1
                                        ; implicit-def: $vgpr3
.LBB22_958:
	s_mov_b64 s[42:43], 0
.LBB22_959:
	s_and_b64 vcc, exec, s[42:43]
	s_cbranch_vccz .LBB22_963
; %bb.960:
	s_cmp_eq_u32 s45, 11
	s_cbranch_scc0 .LBB22_962
; %bb.961:
	global_load_ubyte v3, v[1:2], off
	s_mov_b64 s[0:1], -1
	s_mov_b64 s[40:41], 0
	s_waitcnt vmcnt(0)
	v_cmp_ne_u16_e32 vcc, 0, v3
	v_cndmask_b32_e64 v3, 0, 1, vcc
	s_branch .LBB22_963
.LBB22_962:
	s_mov_b64 s[40:41], -1
                                        ; implicit-def: $vgpr3
.LBB22_963:
	s_mov_b64 s[42:43], 0
.LBB22_964:
	s_and_b64 vcc, exec, s[42:43]
	s_cbranch_vccz .LBB22_1013
; %bb.965:
	s_and_b32 s42, 0xffff, s44
	s_cmp_lt_i32 s42, 5
	s_cbranch_scc1 .LBB22_970
; %bb.966:
	s_cmp_lt_i32 s42, 8
	s_cbranch_scc1 .LBB22_971
; %bb.967:
	;; [unrolled: 3-line block ×3, first 2 shown]
	s_cmp_gt_i32 s42, 9
	s_cbranch_scc0 .LBB22_973
; %bb.969:
	global_load_dwordx2 v[3:4], v[1:2], off
	s_mov_b64 s[0:1], 0
	s_waitcnt vmcnt(0)
	v_cvt_i32_f64_e32 v3, v[3:4]
	s_branch .LBB22_974
.LBB22_970:
	s_mov_b64 s[0:1], -1
                                        ; implicit-def: $vgpr3
	s_branch .LBB22_992
.LBB22_971:
	s_mov_b64 s[0:1], -1
                                        ; implicit-def: $vgpr3
	s_branch .LBB22_980
.LBB22_972:
	s_mov_b64 s[0:1], -1
                                        ; implicit-def: $vgpr3
	s_branch .LBB22_977
.LBB22_973:
	s_mov_b64 s[0:1], -1
                                        ; implicit-def: $vgpr3
.LBB22_974:
	s_andn2_b64 vcc, exec, s[0:1]
	s_cbranch_vccnz .LBB22_976
; %bb.975:
	global_load_dword v3, v[1:2], off
	s_waitcnt vmcnt(0)
	v_cvt_i32_f32_e32 v3, v3
.LBB22_976:
	s_mov_b64 s[0:1], 0
.LBB22_977:
	s_andn2_b64 vcc, exec, s[0:1]
	s_cbranch_vccnz .LBB22_979
; %bb.978:
	global_load_dword v3, v[1:2], off
	s_waitcnt vmcnt(0)
	v_cvt_i16_f16_e32 v3, v3
.LBB22_979:
	s_mov_b64 s[0:1], 0
.LBB22_980:
	s_andn2_b64 vcc, exec, s[0:1]
	s_cbranch_vccnz .LBB22_991
; %bb.981:
	s_cmp_lt_i32 s42, 6
	s_cbranch_scc1 .LBB22_984
; %bb.982:
	s_cmp_gt_i32 s42, 6
	s_cbranch_scc0 .LBB22_985
; %bb.983:
	global_load_dwordx2 v[3:4], v[1:2], off
	s_mov_b64 s[0:1], 0
	s_waitcnt vmcnt(0)
	v_cvt_i32_f64_e32 v3, v[3:4]
	s_branch .LBB22_986
.LBB22_984:
	s_mov_b64 s[0:1], -1
                                        ; implicit-def: $vgpr3
	s_branch .LBB22_989
.LBB22_985:
	s_mov_b64 s[0:1], -1
                                        ; implicit-def: $vgpr3
.LBB22_986:
	s_andn2_b64 vcc, exec, s[0:1]
	s_cbranch_vccnz .LBB22_988
; %bb.987:
	global_load_dword v3, v[1:2], off
	s_waitcnt vmcnt(0)
	v_cvt_i32_f32_e32 v3, v3
.LBB22_988:
	s_mov_b64 s[0:1], 0
.LBB22_989:
	s_andn2_b64 vcc, exec, s[0:1]
	s_cbranch_vccnz .LBB22_991
; %bb.990:
	global_load_ushort v3, v[1:2], off
	s_waitcnt vmcnt(0)
	v_cvt_i16_f16_e32 v3, v3
.LBB22_991:
	s_mov_b64 s[0:1], 0
.LBB22_992:
	s_andn2_b64 vcc, exec, s[0:1]
	s_cbranch_vccnz .LBB22_1012
; %bb.993:
	s_cmp_lt_i32 s42, 2
	s_cbranch_scc1 .LBB22_997
; %bb.994:
	s_cmp_lt_i32 s42, 3
	s_cbranch_scc1 .LBB22_998
; %bb.995:
	s_cmp_gt_i32 s42, 3
	s_cbranch_scc0 .LBB22_999
; %bb.996:
	global_load_dwordx2 v[3:4], v[1:2], off
	s_mov_b64 s[0:1], 0
	s_branch .LBB22_1000
.LBB22_997:
	s_mov_b64 s[0:1], -1
                                        ; implicit-def: $vgpr3
	s_branch .LBB22_1006
.LBB22_998:
	s_mov_b64 s[0:1], -1
                                        ; implicit-def: $vgpr3
	s_branch .LBB22_1003
.LBB22_999:
	s_mov_b64 s[0:1], -1
                                        ; implicit-def: $vgpr3
.LBB22_1000:
	s_andn2_b64 vcc, exec, s[0:1]
	s_cbranch_vccnz .LBB22_1002
; %bb.1001:
	global_load_dword v3, v[1:2], off
.LBB22_1002:
	s_mov_b64 s[0:1], 0
.LBB22_1003:
	s_andn2_b64 vcc, exec, s[0:1]
	s_cbranch_vccnz .LBB22_1005
; %bb.1004:
	global_load_ushort v3, v[1:2], off
.LBB22_1005:
	s_mov_b64 s[0:1], 0
.LBB22_1006:
	s_andn2_b64 vcc, exec, s[0:1]
	s_cbranch_vccnz .LBB22_1012
; %bb.1007:
	s_cmp_gt_i32 s42, 0
	s_cbranch_scc0 .LBB22_1009
; %bb.1008:
	global_load_ubyte v3, v[1:2], off
	s_mov_b64 s[0:1], 0
	s_branch .LBB22_1010
.LBB22_1009:
	s_mov_b64 s[0:1], -1
                                        ; implicit-def: $vgpr3
.LBB22_1010:
	s_andn2_b64 vcc, exec, s[0:1]
	s_cbranch_vccnz .LBB22_1012
; %bb.1011:
	global_load_ubyte v3, v[1:2], off
.LBB22_1012:
	s_mov_b64 s[0:1], -1
.LBB22_1013:
	s_andn2_b64 vcc, exec, s[0:1]
	s_cbranch_vccnz .LBB22_1021
; %bb.1014:
	v_mul_lo_u32 v1, v14, s12
	s_waitcnt vmcnt(0)
	v_cmp_ne_u16_sdwa s[0:1], v0, v3 src0_sel:BYTE_0 src1_sel:BYTE_0
	v_mov_b32_e32 v2, s9
	s_xor_b64 s[42:43], s[16:17], s[0:1]
	v_ashrrev_i32_e32 v3, 31, v1
	s_and_b32 s51, s33, 0xff
	v_add_co_u32_e32 v0, vcc, s8, v1
	s_cmp_lt_i32 s51, 11
	v_addc_co_u32_e32 v1, vcc, v2, v3, vcc
	s_cbranch_scc1 .LBB22_1022
; %bb.1015:
	s_and_b32 s52, 0xffff, s51
	s_cmp_gt_i32 s52, 25
	s_cbranch_scc0 .LBB22_1023
; %bb.1016:
	s_cmp_gt_i32 s52, 28
	s_cbranch_scc0 .LBB22_1024
; %bb.1017:
	;; [unrolled: 3-line block ×4, first 2 shown]
	s_mov_b64 s[46:47], 0
	s_mov_b64 s[0:1], -1
	s_cmp_eq_u32 s52, 46
	s_mov_b64 s[44:45], 0
	s_cbranch_scc0 .LBB22_1027
; %bb.1020:
	v_cndmask_b32_e64 v2, 0, 1.0, s[42:43]
	v_bfe_u32 v3, v2, 16, 1
	s_movk_i32 s0, 0x7fff
	v_add3_u32 v2, v2, v3, s0
	v_lshrrev_b32_e32 v2, 16, v2
	global_store_dword v[0:1], v2, off
	s_mov_b64 s[44:45], -1
	s_mov_b64 s[0:1], 0
	s_branch .LBB22_1027
.LBB22_1021:
	s_mov_b64 s[44:45], 0
                                        ; implicit-def: $vgpr14
	s_mov_b64 s[0:1], s[30:31]
	s_branch .LBB22_1137
.LBB22_1022:
	s_mov_b64 s[46:47], -1
	s_mov_b64 s[44:45], 0
	s_mov_b64 s[0:1], s[30:31]
	s_branch .LBB22_1096
.LBB22_1023:
	s_mov_b64 s[46:47], -1
	s_mov_b64 s[44:45], 0
	s_mov_b64 s[0:1], s[30:31]
	s_branch .LBB22_1054
.LBB22_1024:
	s_mov_b64 s[46:47], -1
	s_mov_b64 s[44:45], 0
	s_mov_b64 s[0:1], s[30:31]
	s_branch .LBB22_1037
.LBB22_1025:
	s_mov_b64 s[46:47], -1
	s_mov_b64 s[44:45], 0
	s_mov_b64 s[0:1], s[30:31]
	s_branch .LBB22_1033
.LBB22_1026:
	s_mov_b64 s[46:47], -1
	s_mov_b64 s[44:45], 0
	s_mov_b64 s[0:1], s[30:31]
.LBB22_1027:
	s_and_b64 vcc, exec, s[46:47]
	s_cbranch_vccz .LBB22_1032
; %bb.1028:
	s_cmp_eq_u32 s52, 44
	s_mov_b64 s[0:1], -1
	s_cbranch_scc0 .LBB22_1032
; %bb.1029:
	v_cndmask_b32_e64 v3, 0, 1.0, s[42:43]
	v_lshrrev_b32_e32 v2, 23, v3
	s_movk_i32 s0, 0xff
	v_cmp_ne_u32_e32 vcc, s0, v2
	v_mov_b32_e32 v4, 0xff
	s_and_saveexec_b64 s[44:45], vcc
; %bb.1030:
	s_mov_b32 s0, 0x3fffff
	v_and_b32_e32 v4, 0x400000, v3
	v_and_or_b32 v3, v3, s0, v2
	v_cmp_ne_u32_e32 vcc, 0, v4
	v_cmp_ne_u32_e64 s[0:1], 0, v3
	s_and_b64 s[0:1], vcc, s[0:1]
	v_cndmask_b32_e64 v3, 0, 1, s[0:1]
	v_add_u32_e32 v4, v2, v3
; %bb.1031:
	s_or_b64 exec, exec, s[44:45]
	s_mov_b64 s[44:45], -1
	s_mov_b64 s[0:1], 0
	global_store_byte v[0:1], v4, off
.LBB22_1032:
	s_mov_b64 s[46:47], 0
.LBB22_1033:
	s_and_b64 vcc, exec, s[46:47]
	s_cbranch_vccz .LBB22_1036
; %bb.1034:
	s_cmp_eq_u32 s52, 29
	s_mov_b64 s[0:1], -1
	s_cbranch_scc0 .LBB22_1036
; %bb.1035:
	s_mov_b32 s0, 0
	v_cndmask_b32_e64 v2, 0, 1, s[42:43]
	v_mov_b32_e32 v3, s0
	global_store_dwordx2 v[0:1], v[2:3], off
	s_mov_b64 s[44:45], -1
	s_mov_b64 s[0:1], 0
.LBB22_1036:
	s_mov_b64 s[46:47], 0
.LBB22_1037:
	s_and_b64 vcc, exec, s[46:47]
	s_cbranch_vccz .LBB22_1053
; %bb.1038:
	s_cmp_lt_i32 s52, 27
	s_mov_b64 s[44:45], -1
	s_cbranch_scc1 .LBB22_1044
; %bb.1039:
	s_cmp_gt_i32 s52, 27
	s_cbranch_scc0 .LBB22_1041
; %bb.1040:
	v_cndmask_b32_e64 v2, 0, 1, s[42:43]
	s_mov_b64 s[44:45], 0
	global_store_dword v[0:1], v2, off
.LBB22_1041:
	s_andn2_b64 vcc, exec, s[44:45]
	s_cbranch_vccnz .LBB22_1043
; %bb.1042:
	v_cndmask_b32_e64 v2, 0, 1, s[42:43]
	global_store_short v[0:1], v2, off
.LBB22_1043:
	s_mov_b64 s[44:45], 0
.LBB22_1044:
	s_andn2_b64 vcc, exec, s[44:45]
	s_cbranch_vccnz .LBB22_1052
; %bb.1045:
	v_cndmask_b32_e64 v3, 0, 1.0, s[42:43]
	s_mov_b32 s44, 0x43800000
	v_cmp_gt_u32_e32 vcc, s44, v3
	v_mov_b32_e32 v4, 0x80
	s_and_saveexec_b64 s[44:45], vcc
	s_cbranch_execz .LBB22_1051
; %bb.1046:
	s_mov_b32 s46, 0x3bffffff
	v_cmp_lt_u32_e32 vcc, s46, v3
	s_mov_b64 s[46:47], 0
                                        ; implicit-def: $vgpr2
	s_and_saveexec_b64 s[48:49], vcc
	s_xor_b64 s[48:49], exec, s[48:49]
	s_cbranch_execz .LBB22_1153
; %bb.1047:
	v_bfe_u32 v2, v3, 20, 1
	s_mov_b32 s53, 0x487ffff
	v_add3_u32 v2, v3, v2, s53
	s_mov_b64 s[46:47], exec
	v_lshrrev_b32_e32 v2, 20, v2
                                        ; implicit-def: $vgpr3
	s_andn2_saveexec_b64 s[48:49], s[48:49]
	s_cbranch_execnz .LBB22_1154
.LBB22_1048:
	s_or_b64 exec, exec, s[48:49]
	v_mov_b32_e32 v4, 0
	s_and_saveexec_b64 s[48:49], s[46:47]
.LBB22_1049:
	v_mov_b32_e32 v4, v2
.LBB22_1050:
	s_or_b64 exec, exec, s[48:49]
.LBB22_1051:
	s_or_b64 exec, exec, s[44:45]
	global_store_byte v[0:1], v4, off
.LBB22_1052:
	s_mov_b64 s[44:45], -1
.LBB22_1053:
	s_mov_b64 s[46:47], 0
.LBB22_1054:
	s_and_b64 vcc, exec, s[46:47]
	s_cbranch_vccz .LBB22_1095
; %bb.1055:
	s_cmp_gt_i32 s52, 22
	s_mov_b64 s[46:47], -1
	s_cbranch_scc0 .LBB22_1087
; %bb.1056:
	s_cmp_lt_i32 s52, 24
	s_mov_b64 s[44:45], -1
	s_cbranch_scc1 .LBB22_1076
; %bb.1057:
	s_cmp_gt_i32 s52, 24
	s_cbranch_scc0 .LBB22_1065
; %bb.1058:
	v_cndmask_b32_e64 v3, 0, 1.0, s[42:43]
	s_mov_b32 s44, 0x47800000
	v_cmp_gt_u32_e32 vcc, s44, v3
	v_mov_b32_e32 v4, 0x80
	s_and_saveexec_b64 s[44:45], vcc
	s_cbranch_execz .LBB22_1064
; %bb.1059:
	s_mov_b32 s46, 0x37ffffff
	v_cmp_lt_u32_e32 vcc, s46, v3
	s_mov_b64 s[46:47], 0
                                        ; implicit-def: $vgpr2
	s_and_saveexec_b64 s[48:49], vcc
	s_xor_b64 s[48:49], exec, s[48:49]
	s_cbranch_execz .LBB22_2147
; %bb.1060:
	v_bfe_u32 v2, v3, 21, 1
	s_mov_b32 s53, 0x88fffff
	v_add3_u32 v2, v3, v2, s53
	s_mov_b64 s[46:47], exec
	v_lshrrev_b32_e32 v2, 21, v2
                                        ; implicit-def: $vgpr3
	s_andn2_saveexec_b64 s[48:49], s[48:49]
	s_cbranch_execnz .LBB22_2148
.LBB22_1061:
	s_or_b64 exec, exec, s[48:49]
	v_mov_b32_e32 v4, 0
	s_and_saveexec_b64 s[48:49], s[46:47]
.LBB22_1062:
	v_mov_b32_e32 v4, v2
.LBB22_1063:
	s_or_b64 exec, exec, s[48:49]
.LBB22_1064:
	s_or_b64 exec, exec, s[44:45]
	s_mov_b64 s[44:45], 0
	global_store_byte v[0:1], v4, off
.LBB22_1065:
	s_and_b64 vcc, exec, s[44:45]
	s_cbranch_vccz .LBB22_1075
; %bb.1066:
	v_cndmask_b32_e64 v2, 0, 1.0, s[42:43]
	s_mov_b32 s44, 0x43f00000
	v_cmp_gt_u32_e32 vcc, s44, v2
                                        ; implicit-def: $vgpr3
	s_and_saveexec_b64 s[44:45], vcc
	s_xor_b64 s[44:45], exec, s[44:45]
	s_cbranch_execz .LBB22_1072
; %bb.1067:
	s_mov_b32 s46, 0x3c7fffff
	v_cmp_lt_u32_e32 vcc, s46, v2
                                        ; implicit-def: $vgpr3
	s_and_saveexec_b64 s[46:47], vcc
	s_xor_b64 s[46:47], exec, s[46:47]
; %bb.1068:
	v_bfe_u32 v3, v2, 20, 1
	s_mov_b32 s48, 0x407ffff
	v_add3_u32 v2, v2, v3, s48
	v_lshrrev_b32_e32 v3, 20, v2
	v_and_b32_e32 v2, 0xff00000, v2
	s_mov_b32 s48, 0x7f00000
	v_mov_b32_e32 v4, 0x7e
	v_cmp_ne_u32_e32 vcc, s48, v2
	v_cndmask_b32_e32 v3, v4, v3, vcc
                                        ; implicit-def: $vgpr2
; %bb.1069:
	s_andn2_saveexec_b64 s[46:47], s[46:47]
; %bb.1070:
	v_add_f32_e32 v3, 0x46800000, v2
; %bb.1071:
	s_or_b64 exec, exec, s[46:47]
                                        ; implicit-def: $vgpr2
.LBB22_1072:
	s_andn2_saveexec_b64 s[44:45], s[44:45]
; %bb.1073:
	s_mov_b32 s46, 0x7f800000
	v_mov_b32_e32 v3, 0x7e
	v_mov_b32_e32 v4, 0x7f
	v_cmp_lt_u32_e32 vcc, s46, v2
	v_cndmask_b32_e32 v3, v3, v4, vcc
; %bb.1074:
	s_or_b64 exec, exec, s[44:45]
	global_store_byte v[0:1], v3, off
.LBB22_1075:
	s_mov_b64 s[44:45], 0
.LBB22_1076:
	s_andn2_b64 vcc, exec, s[44:45]
	s_cbranch_vccnz .LBB22_1086
; %bb.1077:
	v_cndmask_b32_e64 v2, 0, 1.0, s[42:43]
	s_mov_b32 s44, 0x47800000
	v_cmp_gt_u32_e32 vcc, s44, v2
                                        ; implicit-def: $vgpr3
	s_and_saveexec_b64 s[44:45], vcc
	s_xor_b64 s[44:45], exec, s[44:45]
	s_cbranch_execz .LBB22_1083
; %bb.1078:
	s_mov_b32 s46, 0x387fffff
	v_cmp_lt_u32_e32 vcc, s46, v2
                                        ; implicit-def: $vgpr3
	s_and_saveexec_b64 s[46:47], vcc
	s_xor_b64 s[46:47], exec, s[46:47]
; %bb.1079:
	v_bfe_u32 v3, v2, 21, 1
	s_mov_b32 s48, 0x80fffff
	v_add3_u32 v2, v2, v3, s48
	v_lshrrev_b32_e32 v3, 21, v2
                                        ; implicit-def: $vgpr2
; %bb.1080:
	s_andn2_saveexec_b64 s[46:47], s[46:47]
; %bb.1081:
	v_add_f32_e32 v3, 0x43000000, v2
; %bb.1082:
	s_or_b64 exec, exec, s[46:47]
                                        ; implicit-def: $vgpr2
.LBB22_1083:
	s_andn2_saveexec_b64 s[44:45], s[44:45]
; %bb.1084:
	s_mov_b32 s46, 0x7f800000
	v_mov_b32_e32 v3, 0x7c
	v_mov_b32_e32 v4, 0x7f
	v_cmp_lt_u32_e32 vcc, s46, v2
	v_cndmask_b32_e32 v3, v3, v4, vcc
; %bb.1085:
	s_or_b64 exec, exec, s[44:45]
	global_store_byte v[0:1], v3, off
.LBB22_1086:
	s_mov_b64 s[46:47], 0
	s_mov_b64 s[44:45], -1
.LBB22_1087:
	s_andn2_b64 vcc, exec, s[46:47]
	s_cbranch_vccnz .LBB22_1095
; %bb.1088:
	s_cmp_gt_i32 s52, 14
	s_mov_b64 s[46:47], -1
	s_cbranch_scc0 .LBB22_1092
; %bb.1089:
	s_cmp_eq_u32 s52, 15
	s_mov_b64 s[0:1], -1
	s_cbranch_scc0 .LBB22_1091
; %bb.1090:
	v_cndmask_b32_e64 v2, 0, 1.0, s[42:43]
	v_bfe_u32 v3, v2, 16, 1
	s_movk_i32 s0, 0x7fff
	v_add3_u32 v2, v2, v3, s0
	global_store_short_d16_hi v[0:1], v2, off
	s_mov_b64 s[44:45], -1
	s_mov_b64 s[0:1], 0
.LBB22_1091:
	s_mov_b64 s[46:47], 0
.LBB22_1092:
	s_and_b64 vcc, exec, s[46:47]
	s_cbranch_vccz .LBB22_1095
; %bb.1093:
	s_cmp_eq_u32 s52, 11
	s_mov_b64 s[0:1], -1
	s_cbranch_scc0 .LBB22_1095
; %bb.1094:
	v_cndmask_b32_e64 v2, 0, 1, s[42:43]
	s_mov_b64 s[44:45], -1
	s_mov_b64 s[0:1], 0
	global_store_byte v[0:1], v2, off
.LBB22_1095:
	s_mov_b64 s[46:47], 0
.LBB22_1096:
	s_and_b64 vcc, exec, s[46:47]
	s_cbranch_vccz .LBB22_1135
; %bb.1097:
	s_and_b32 s46, 0xffff, s51
	s_cmp_lt_i32 s46, 5
	s_mov_b64 s[44:45], -1
	s_cbranch_scc1 .LBB22_1118
; %bb.1098:
	s_cmp_lt_i32 s46, 8
	s_cbranch_scc1 .LBB22_1108
; %bb.1099:
	s_cmp_lt_i32 s46, 9
	s_cbranch_scc1 .LBB22_1105
; %bb.1100:
	s_cmp_gt_i32 s46, 9
	s_cbranch_scc0 .LBB22_1102
; %bb.1101:
	v_cndmask_b32_e64 v2, 0, 1, s[42:43]
	v_cvt_f64_u32_e32 v[2:3], v2
	v_mov_b32_e32 v4, 0
	v_mov_b32_e32 v5, v4
	s_mov_b64 s[44:45], 0
	global_store_dwordx4 v[0:1], v[2:5], off
.LBB22_1102:
	s_andn2_b64 vcc, exec, s[44:45]
	s_cbranch_vccnz .LBB22_1104
; %bb.1103:
	v_cndmask_b32_e64 v2, 0, 1.0, s[42:43]
	v_mov_b32_e32 v3, 0
	global_store_dwordx2 v[0:1], v[2:3], off
.LBB22_1104:
	s_mov_b64 s[44:45], 0
.LBB22_1105:
	s_andn2_b64 vcc, exec, s[44:45]
	s_cbranch_vccnz .LBB22_1107
; %bb.1106:
	v_cndmask_b32_e64 v2, 0, 1.0, s[42:43]
	v_cvt_f16_f32_e32 v2, v2
	global_store_dword v[0:1], v2, off
.LBB22_1107:
	s_mov_b64 s[44:45], 0
.LBB22_1108:
	s_andn2_b64 vcc, exec, s[44:45]
	s_cbranch_vccnz .LBB22_1117
; %bb.1109:
	s_cmp_lt_i32 s46, 6
	s_mov_b64 s[44:45], -1
	s_cbranch_scc1 .LBB22_1115
; %bb.1110:
	s_cmp_gt_i32 s46, 6
	s_cbranch_scc0 .LBB22_1112
; %bb.1111:
	v_cndmask_b32_e64 v2, 0, 1, s[42:43]
	v_cvt_f64_u32_e32 v[2:3], v2
	s_mov_b64 s[44:45], 0
	global_store_dwordx2 v[0:1], v[2:3], off
.LBB22_1112:
	s_andn2_b64 vcc, exec, s[44:45]
	s_cbranch_vccnz .LBB22_1114
; %bb.1113:
	v_cndmask_b32_e64 v2, 0, 1.0, s[42:43]
	global_store_dword v[0:1], v2, off
.LBB22_1114:
	s_mov_b64 s[44:45], 0
.LBB22_1115:
	s_andn2_b64 vcc, exec, s[44:45]
	s_cbranch_vccnz .LBB22_1117
; %bb.1116:
	v_cndmask_b32_e64 v2, 0, 1.0, s[42:43]
	v_cvt_f16_f32_e32 v2, v2
	global_store_short v[0:1], v2, off
.LBB22_1117:
	s_mov_b64 s[44:45], 0
.LBB22_1118:
	s_andn2_b64 vcc, exec, s[44:45]
	s_cbranch_vccnz .LBB22_1134
; %bb.1119:
	s_cmp_lt_i32 s46, 2
	s_mov_b64 s[44:45], -1
	s_cbranch_scc1 .LBB22_1129
; %bb.1120:
	s_cmp_lt_i32 s46, 3
	s_cbranch_scc1 .LBB22_1126
; %bb.1121:
	s_cmp_gt_i32 s46, 3
	s_cbranch_scc0 .LBB22_1123
; %bb.1122:
	s_mov_b32 s44, 0
	v_cndmask_b32_e64 v2, 0, 1, s[42:43]
	v_mov_b32_e32 v3, s44
	s_mov_b64 s[44:45], 0
	global_store_dwordx2 v[0:1], v[2:3], off
.LBB22_1123:
	s_andn2_b64 vcc, exec, s[44:45]
	s_cbranch_vccnz .LBB22_1125
; %bb.1124:
	v_cndmask_b32_e64 v2, 0, 1, s[42:43]
	global_store_dword v[0:1], v2, off
.LBB22_1125:
	s_mov_b64 s[44:45], 0
.LBB22_1126:
	s_andn2_b64 vcc, exec, s[44:45]
	s_cbranch_vccnz .LBB22_1128
; %bb.1127:
	v_cndmask_b32_e64 v2, 0, 1, s[42:43]
	global_store_short v[0:1], v2, off
.LBB22_1128:
	s_mov_b64 s[44:45], 0
.LBB22_1129:
	s_andn2_b64 vcc, exec, s[44:45]
	s_cbranch_vccnz .LBB22_1134
; %bb.1130:
	s_mov_b64 s[44:45], -1
	s_cmp_gt_i32 s46, 0
	v_cndmask_b32_e64 v2, 0, 1, s[42:43]
	s_cbranch_scc0 .LBB22_1132
; %bb.1131:
	s_mov_b64 s[44:45], 0
	global_store_byte v[0:1], v2, off
.LBB22_1132:
	s_andn2_b64 vcc, exec, s[44:45]
	s_cbranch_vccnz .LBB22_1134
; %bb.1133:
	global_store_byte v[0:1], v2, off
.LBB22_1134:
	s_mov_b64 s[44:45], -1
.LBB22_1135:
	s_andn2_b64 vcc, exec, s[44:45]
	s_cbranch_vccnz .LBB22_1148
; %bb.1136:
	v_add_u32_e32 v14, 0x80, v14
	s_mov_b64 s[44:45], -1
.LBB22_1137:
	s_andn2_b64 s[42:43], s[30:31], exec
	s_and_b64 s[0:1], s[0:1], exec
	s_or_b64 s[42:43], s[42:43], s[0:1]
	s_andn2_b64 s[0:1], s[28:29], exec
	s_and_b64 s[40:41], s[40:41], exec
	s_or_b64 s[40:41], s[0:1], s[40:41]
	;; [unrolled: 3-line block ×3, first 2 shown]
	s_orn2_b64 s[48:49], s[44:45], exec
.LBB22_1138:
	s_or_b64 exec, exec, s[36:37]
	s_mov_b64 s[44:45], 0
	s_mov_b64 s[38:39], 0
	;; [unrolled: 1-line block ×3, first 2 shown]
                                        ; implicit-def: $sgpr58
                                        ; implicit-def: $vgpr2_vgpr3
                                        ; implicit-def: $vgpr0
	s_and_saveexec_b64 s[36:37], s[48:49]
	s_cbranch_execz .LBB22_1218
; %bb.1139:
	v_cmp_gt_i32_e32 vcc, s50, v14
	s_mov_b64 s[48:49], 0
	s_mov_b64 s[50:51], s[0:1]
	;; [unrolled: 1-line block ×4, first 2 shown]
                                        ; implicit-def: $sgpr58
                                        ; implicit-def: $vgpr2_vgpr3
                                        ; implicit-def: $vgpr0
	s_and_saveexec_b64 s[38:39], vcc
	s_cbranch_execz .LBB22_1217
; %bb.1140:
	s_waitcnt vmcnt(0)
	v_mul_lo_u32 v0, v14, s13
	v_mov_b32_e32 v1, s11
	s_and_b32 s58, s57, 0xff
	s_cmp_lt_i32 s58, 11
	v_ashrrev_i32_e32 v3, 31, v0
	v_add_co_u32_e32 v2, vcc, s10, v0
	v_addc_co_u32_e32 v3, vcc, v1, v3, vcc
	s_cbranch_scc1 .LBB22_1147
; %bb.1141:
	s_and_b32 s52, 0xffff, s58
	s_cmp_gt_i32 s52, 25
	s_cbranch_scc0 .LBB22_1149
; %bb.1142:
	s_cmp_gt_i32 s52, 28
	s_cbranch_scc0 .LBB22_1150
; %bb.1143:
	;; [unrolled: 3-line block ×4, first 2 shown]
	s_cmp_eq_u32 s52, 46
	s_mov_b64 s[50:51], 0
	s_cbranch_scc0 .LBB22_1155
; %bb.1146:
	global_load_dword v0, v[2:3], off
	s_mov_b64 s[48:49], -1
	s_waitcnt vmcnt(0)
	v_lshlrev_b32_e32 v0, 16, v0
	v_cvt_i32_f32_e32 v0, v0
	s_branch .LBB22_1157
.LBB22_1147:
	s_mov_b64 s[50:51], -1
                                        ; implicit-def: $vgpr0
	s_mov_b64 s[44:45], s[0:1]
	s_branch .LBB22_1216
.LBB22_1148:
	s_mov_b64 s[44:45], 0
	s_branch .LBB22_894
.LBB22_1149:
	s_mov_b64 s[50:51], -1
	s_mov_b64 s[44:45], s[0:1]
                                        ; implicit-def: $vgpr0
	s_branch .LBB22_1184
.LBB22_1150:
	s_mov_b64 s[50:51], -1
	s_mov_b64 s[44:45], s[0:1]
                                        ; implicit-def: $vgpr0
	s_branch .LBB22_1167
.LBB22_1151:
	s_mov_b64 s[50:51], -1
	s_mov_b64 s[44:45], s[0:1]
                                        ; implicit-def: $vgpr0
	s_branch .LBB22_1162
.LBB22_1152:
	s_mov_b64 s[50:51], -1
	s_mov_b64 s[44:45], s[0:1]
	s_branch .LBB22_1156
.LBB22_1153:
	s_andn2_saveexec_b64 s[48:49], s[48:49]
	s_cbranch_execz .LBB22_1048
.LBB22_1154:
	v_add_f32_e32 v2, 0x46000000, v3
	v_and_b32_e32 v2, 0xff, v2
	v_cmp_ne_u32_e32 vcc, 0, v2
	s_andn2_b64 s[46:47], s[46:47], exec
	s_and_b64 s[54:55], vcc, exec
	s_or_b64 s[46:47], s[46:47], s[54:55]
	s_or_b64 exec, exec, s[48:49]
	v_mov_b32_e32 v4, 0
	s_and_saveexec_b64 s[48:49], s[46:47]
	s_cbranch_execnz .LBB22_1049
	s_branch .LBB22_1050
.LBB22_1155:
	s_mov_b64 s[44:45], -1
.LBB22_1156:
                                        ; implicit-def: $vgpr0
.LBB22_1157:
	s_and_b64 vcc, exec, s[50:51]
	s_cbranch_vccz .LBB22_1161
; %bb.1158:
	s_cmp_eq_u32 s52, 44
	s_cbranch_scc0 .LBB22_1160
; %bb.1159:
	global_load_ubyte v0, v[2:3], off
	s_mov_b64 s[44:45], 0
	s_mov_b64 s[48:49], -1
	s_waitcnt vmcnt(0)
	v_lshlrev_b32_e32 v1, 23, v0
	v_cvt_i32_f32_e32 v1, v1
	v_cmp_ne_u32_e32 vcc, 0, v0
	v_cndmask_b32_e32 v0, 0, v1, vcc
	s_branch .LBB22_1161
.LBB22_1160:
	s_mov_b64 s[44:45], -1
                                        ; implicit-def: $vgpr0
.LBB22_1161:
	s_mov_b64 s[50:51], 0
.LBB22_1162:
	s_and_b64 vcc, exec, s[50:51]
	s_cbranch_vccz .LBB22_1166
; %bb.1163:
	s_cmp_eq_u32 s52, 29
	s_cbranch_scc0 .LBB22_1165
; %bb.1164:
	global_load_dwordx2 v[0:1], v[2:3], off
	s_mov_b64 s[44:45], 0
	s_mov_b64 s[48:49], -1
	s_branch .LBB22_1166
.LBB22_1165:
	s_mov_b64 s[44:45], -1
                                        ; implicit-def: $vgpr0
.LBB22_1166:
	s_mov_b64 s[50:51], 0
.LBB22_1167:
	s_and_b64 vcc, exec, s[50:51]
	s_cbranch_vccz .LBB22_1183
; %bb.1168:
	s_cmp_lt_i32 s52, 27
	s_cbranch_scc1 .LBB22_1171
; %bb.1169:
	s_cmp_gt_i32 s52, 27
	s_cbranch_scc0 .LBB22_1172
; %bb.1170:
	global_load_dword v0, v[2:3], off
	s_mov_b64 s[48:49], 0
	s_branch .LBB22_1173
.LBB22_1171:
	s_mov_b64 s[48:49], -1
                                        ; implicit-def: $vgpr0
	s_branch .LBB22_1176
.LBB22_1172:
	s_mov_b64 s[48:49], -1
                                        ; implicit-def: $vgpr0
.LBB22_1173:
	s_andn2_b64 vcc, exec, s[48:49]
	s_cbranch_vccnz .LBB22_1175
; %bb.1174:
	global_load_ushort v0, v[2:3], off
.LBB22_1175:
	s_mov_b64 s[48:49], 0
.LBB22_1176:
	s_andn2_b64 vcc, exec, s[48:49]
	s_cbranch_vccnz .LBB22_1182
; %bb.1177:
	global_load_ubyte v1, v[2:3], off
	s_movk_i32 s48, 0x7f
	s_mov_b64 s[50:51], 0
	s_waitcnt vmcnt(0)
	v_cmp_lt_i16_e32 vcc, s48, v1
	s_and_saveexec_b64 s[48:49], vcc
	s_xor_b64 s[48:49], exec, s[48:49]
	s_cbranch_execz .LBB22_1194
; %bb.1178:
	s_movk_i32 s50, 0x80
	v_cmp_ne_u16_e32 vcc, s50, v1
	s_and_b64 s[50:51], vcc, exec
	s_andn2_saveexec_b64 s[48:49], s[48:49]
	s_cbranch_execnz .LBB22_1195
.LBB22_1179:
	s_or_b64 exec, exec, s[48:49]
	v_mov_b32_e32 v0, 0
	s_and_saveexec_b64 s[48:49], s[50:51]
	s_cbranch_execz .LBB22_1181
.LBB22_1180:
	v_lshlrev_b32_e32 v0, 24, v1
	v_and_b32_e32 v1, 0xffff, v1
	v_and_b32_e32 v4, 7, v1
	v_ffbh_u32_e32 v6, v4
	v_min_u32_e32 v6, 32, v6
	v_subrev_u32_e32 v7, 28, v6
	v_bfe_u32 v5, v1, 3, 4
	v_lshlrev_b32_e32 v1, v7, v1
	v_sub_u32_e32 v6, 29, v6
	v_and_b32_e32 v1, 7, v1
	v_cmp_eq_u32_e32 vcc, 0, v5
	v_cndmask_b32_e32 v5, v5, v6, vcc
	v_cndmask_b32_e32 v1, v4, v1, vcc
	v_mov_b32_e32 v4, 0x3b800000
	v_lshlrev_b32_e32 v1, 20, v1
	v_and_b32_e32 v0, 0x80000000, v0
	v_lshl_add_u32 v4, v5, 23, v4
	v_or3_b32 v0, v0, v4, v1
	v_cvt_i32_f32_e32 v0, v0
.LBB22_1181:
	s_or_b64 exec, exec, s[48:49]
.LBB22_1182:
	s_mov_b64 s[48:49], -1
.LBB22_1183:
	s_mov_b64 s[50:51], 0
.LBB22_1184:
	s_and_b64 vcc, exec, s[50:51]
	s_cbranch_vccz .LBB22_1215
; %bb.1185:
	s_cmp_gt_i32 s52, 22
	s_cbranch_scc0 .LBB22_1193
; %bb.1186:
	s_cmp_lt_i32 s52, 24
	s_cbranch_scc1 .LBB22_1196
; %bb.1187:
	s_cmp_gt_i32 s52, 24
	s_cbranch_scc0 .LBB22_1197
; %bb.1188:
	global_load_ubyte v1, v[2:3], off
	s_movk_i32 s46, 0x7f
	s_mov_b64 s[48:49], 0
	s_waitcnt vmcnt(0)
	v_cmp_lt_i16_e32 vcc, s46, v1
	s_and_saveexec_b64 s[46:47], vcc
	s_xor_b64 s[46:47], exec, s[46:47]
	s_cbranch_execz .LBB22_1209
; %bb.1189:
	s_movk_i32 s48, 0x80
	v_cmp_ne_u16_e32 vcc, s48, v1
	s_and_b64 s[48:49], vcc, exec
	s_andn2_saveexec_b64 s[46:47], s[46:47]
	s_cbranch_execnz .LBB22_1210
.LBB22_1190:
	s_or_b64 exec, exec, s[46:47]
	v_mov_b32_e32 v0, 0
	s_and_saveexec_b64 s[46:47], s[48:49]
	s_cbranch_execz .LBB22_1192
.LBB22_1191:
	v_lshlrev_b32_e32 v0, 24, v1
	v_and_b32_e32 v1, 0xffff, v1
	v_and_b32_e32 v4, 3, v1
	v_ffbh_u32_e32 v6, v4
	v_min_u32_e32 v6, 32, v6
	v_subrev_u32_e32 v7, 29, v6
	v_bfe_u32 v5, v1, 2, 5
	v_lshlrev_b32_e32 v1, v7, v1
	v_sub_u32_e32 v6, 30, v6
	v_and_b32_e32 v1, 3, v1
	v_cmp_eq_u32_e32 vcc, 0, v5
	v_cndmask_b32_e32 v5, v5, v6, vcc
	v_cndmask_b32_e32 v1, v4, v1, vcc
	v_mov_b32_e32 v4, 0x37800000
	v_lshlrev_b32_e32 v1, 21, v1
	v_and_b32_e32 v0, 0x80000000, v0
	v_lshl_add_u32 v4, v5, 23, v4
	v_or3_b32 v0, v0, v4, v1
	v_cvt_i32_f32_e32 v0, v0
.LBB22_1192:
	s_or_b64 exec, exec, s[46:47]
	s_mov_b64 s[46:47], 0
	s_branch .LBB22_1198
.LBB22_1193:
	s_mov_b64 s[46:47], -1
                                        ; implicit-def: $vgpr0
	s_branch .LBB22_1204
.LBB22_1194:
	s_andn2_saveexec_b64 s[48:49], s[48:49]
	s_cbranch_execz .LBB22_1179
.LBB22_1195:
	v_cmp_ne_u16_e32 vcc, 0, v1
	s_andn2_b64 s[50:51], s[50:51], exec
	s_and_b64 s[54:55], vcc, exec
	s_or_b64 s[50:51], s[50:51], s[54:55]
	s_or_b64 exec, exec, s[48:49]
	v_mov_b32_e32 v0, 0
	s_and_saveexec_b64 s[48:49], s[50:51]
	s_cbranch_execnz .LBB22_1180
	s_branch .LBB22_1181
.LBB22_1196:
	s_mov_b64 s[46:47], -1
                                        ; implicit-def: $vgpr0
	s_branch .LBB22_1201
.LBB22_1197:
	s_mov_b64 s[46:47], -1
                                        ; implicit-def: $vgpr0
.LBB22_1198:
	s_and_b64 vcc, exec, s[46:47]
	s_cbranch_vccz .LBB22_1200
; %bb.1199:
	global_load_ubyte v0, v[2:3], off
	s_mov_b32 s46, 0x7f800000
	s_waitcnt vmcnt(0)
	v_lshlrev_b32_e32 v0, 24, v0
	v_and_b32_e32 v1, 0x7f000000, v0
	v_ffbh_u32_e32 v4, v1
	v_min_u32_e32 v4, 32, v4
	v_sub_u32_e64 v4, v4, 4 clamp
	v_lshlrev_b32_e32 v6, v4, v1
	v_lshlrev_b32_e32 v4, 23, v4
	v_lshrrev_b32_e32 v6, 4, v6
	v_add_u32_e32 v5, 0x1000000, v1
	v_sub_u32_e32 v4, v6, v4
	v_ashrrev_i32_e32 v5, 8, v5
	v_add_u32_e32 v4, 0x3c000000, v4
	v_and_or_b32 v4, v5, s46, v4
	v_cmp_ne_u32_e32 vcc, 0, v1
	v_cndmask_b32_e32 v1, 0, v4, vcc
	s_brev_b32 s46, 1
	v_and_or_b32 v0, v0, s46, v1
	v_cvt_i32_f32_e32 v0, v0
.LBB22_1200:
	s_mov_b64 s[46:47], 0
.LBB22_1201:
	s_andn2_b64 vcc, exec, s[46:47]
	s_cbranch_vccnz .LBB22_1203
; %bb.1202:
	global_load_ubyte v0, v[2:3], off
	s_movk_i32 s46, 0x7f00
	s_brev_b32 s47, 16
	s_waitcnt vmcnt(0)
	v_lshlrev_b16_e32 v1, 8, v0
	v_lshlrev_b32_e32 v0, 25, v0
	v_lshrrev_b32_e32 v4, 4, v0
	v_and_or_b32 v5, v1, s46, 0.5
	v_or_b32_e32 v4, 0x70000000, v4
	v_add_f32_e32 v5, -0.5, v5
	v_mul_f32_e32 v4, 0x7800000, v4
	v_cmp_gt_u32_e32 vcc, s47, v0
	v_bfe_i32 v1, v1, 0, 16
	v_cndmask_b32_e32 v0, v4, v5, vcc
	s_brev_b32 s46, 1
	v_and_or_b32 v0, v1, s46, v0
	v_cvt_i32_f32_e32 v0, v0
.LBB22_1203:
	s_mov_b64 s[46:47], 0
	s_mov_b64 s[48:49], -1
.LBB22_1204:
	s_andn2_b64 vcc, exec, s[46:47]
	s_mov_b64 s[46:47], 0
	s_cbranch_vccnz .LBB22_1215
; %bb.1205:
	s_cmp_gt_i32 s52, 14
	s_cbranch_scc0 .LBB22_1208
; %bb.1206:
	s_cmp_eq_u32 s52, 15
	s_cbranch_scc0 .LBB22_1211
; %bb.1207:
	global_load_ushort v0, v[2:3], off
	s_mov_b64 s[44:45], 0
	s_mov_b64 s[48:49], -1
	s_waitcnt vmcnt(0)
	v_lshlrev_b32_e32 v0, 16, v0
	v_cvt_i32_f32_e32 v0, v0
	s_branch .LBB22_1212
.LBB22_1208:
	s_mov_b64 s[50:51], -1
                                        ; implicit-def: $vgpr0
	s_branch .LBB22_1213
.LBB22_1209:
	s_andn2_saveexec_b64 s[46:47], s[46:47]
	s_cbranch_execz .LBB22_1190
.LBB22_1210:
	v_cmp_ne_u16_e32 vcc, 0, v1
	s_andn2_b64 s[48:49], s[48:49], exec
	s_and_b64 s[50:51], vcc, exec
	s_or_b64 s[48:49], s[48:49], s[50:51]
	s_or_b64 exec, exec, s[46:47]
	v_mov_b32_e32 v0, 0
	s_and_saveexec_b64 s[46:47], s[48:49]
	s_cbranch_execnz .LBB22_1191
	s_branch .LBB22_1192
.LBB22_1211:
	s_mov_b64 s[44:45], -1
                                        ; implicit-def: $vgpr0
.LBB22_1212:
	s_mov_b64 s[50:51], 0
.LBB22_1213:
	s_and_b64 vcc, exec, s[50:51]
	s_cbranch_vccz .LBB22_1215
; %bb.1214:
	s_cmp_lg_u32 s52, 11
	s_cselect_b64 s[50:51], -1, 0
	s_andn2_b64 s[44:45], s[44:45], exec
	s_and_b64 s[50:51], s[50:51], exec
	s_mov_b64 s[46:47], -1
	s_or_b64 s[44:45], s[44:45], s[50:51]
.LBB22_1215:
	s_mov_b64 s[50:51], 0
.LBB22_1216:
	s_and_b64 s[54:55], s[48:49], exec
	s_and_b64 s[48:49], s[46:47], exec
	s_andn2_b64 s[46:47], s[0:1], exec
	s_and_b64 s[44:45], s[44:45], exec
	s_and_b64 s[52:53], s[50:51], exec
	s_or_b64 s[50:51], s[46:47], s[44:45]
.LBB22_1217:
	s_or_b64 exec, exec, s[38:39]
	s_and_b64 s[44:45], s[48:49], exec
	s_andn2_b64 s[0:1], s[0:1], exec
	s_and_b64 s[48:49], s[50:51], exec
	s_and_b64 s[46:47], s[54:55], exec
	;; [unrolled: 1-line block ×3, first 2 shown]
	s_or_b64 s[0:1], s[0:1], s[48:49]
.LBB22_1218:
	s_or_b64 exec, exec, s[36:37]
	s_andn2_b64 s[30:31], s[30:31], exec
	s_and_b64 s[36:37], s[42:43], exec
	s_or_b64 s[30:31], s[30:31], s[36:37]
	s_andn2_b64 s[28:29], s[28:29], exec
	s_and_b64 s[36:37], s[40:41], exec
	s_andn2_b64 s[26:27], s[26:27], exec
	s_and_b64 s[0:1], s[0:1], exec
	s_or_b64 s[28:29], s[28:29], s[36:37]
	s_and_b64 s[40:41], s[46:47], exec
	s_and_b64 s[38:39], s[38:39], exec
	;; [unrolled: 1-line block ×3, first 2 shown]
	s_or_b64 s[26:27], s[26:27], s[0:1]
.LBB22_1219:
	s_or_b64 exec, exec, s[34:35]
	s_andn2_b64 s[0:1], s[18:19], exec
	s_and_b64 s[18:19], s[30:31], exec
	s_or_b64 s[18:19], s[0:1], s[18:19]
	s_andn2_b64 s[0:1], s[20:21], exec
	s_and_b64 s[20:21], s[28:29], exec
	s_or_b64 s[20:21], s[0:1], s[20:21]
	s_andn2_b64 s[0:1], s[22:23], exec
	s_and_b64 s[22:23], s[26:27], exec
	s_and_b64 s[30:31], s[40:41], exec
	;; [unrolled: 1-line block ×4, first 2 shown]
	s_or_b64 s[22:23], s[0:1], s[22:23]
	s_or_b64 exec, exec, s[24:25]
	s_mov_b64 s[24:25], 0
	s_and_saveexec_b64 s[0:1], s[22:23]
	s_cbranch_execz .LBB22_385
.LBB22_1220:
	s_mov_b64 s[24:25], exec
	s_andn2_b64 s[28:29], s[28:29], exec
	s_trap 2
	s_or_b64 exec, exec, s[0:1]
	s_and_saveexec_b64 s[0:1], s[28:29]
	s_xor_b64 s[0:1], exec, s[0:1]
	s_cbranch_execnz .LBB22_386
.LBB22_1221:
	s_or_b64 exec, exec, s[0:1]
	s_and_saveexec_b64 s[0:1], s[34:35]
	s_cbranch_execz .LBB22_1267
.LBB22_1222:
	s_sext_i32_i16 s22, s58
	s_cmp_lt_i32 s22, 5
	s_cbranch_scc1 .LBB22_1227
; %bb.1223:
	s_cmp_lt_i32 s22, 8
	s_cbranch_scc1 .LBB22_1228
; %bb.1224:
	;; [unrolled: 3-line block ×3, first 2 shown]
	s_cmp_gt_i32 s22, 9
	s_cbranch_scc0 .LBB22_1230
; %bb.1226:
	s_waitcnt vmcnt(0)
	global_load_dwordx2 v[0:1], v[2:3], off
	s_mov_b64 s[22:23], 0
	s_waitcnt vmcnt(0)
	v_cvt_i32_f64_e32 v0, v[0:1]
	s_branch .LBB22_1231
.LBB22_1227:
                                        ; implicit-def: $vgpr0
	s_branch .LBB22_1248
.LBB22_1228:
                                        ; implicit-def: $vgpr0
	s_branch .LBB22_1237
.LBB22_1229:
	s_mov_b64 s[22:23], -1
                                        ; implicit-def: $vgpr0
	s_branch .LBB22_1234
.LBB22_1230:
	s_mov_b64 s[22:23], -1
                                        ; implicit-def: $vgpr0
.LBB22_1231:
	s_andn2_b64 vcc, exec, s[22:23]
	s_cbranch_vccnz .LBB22_1233
; %bb.1232:
	s_waitcnt vmcnt(0)
	global_load_dword v0, v[2:3], off
	s_waitcnt vmcnt(0)
	v_cvt_i32_f32_e32 v0, v0
.LBB22_1233:
	s_mov_b64 s[22:23], 0
.LBB22_1234:
	s_andn2_b64 vcc, exec, s[22:23]
	s_cbranch_vccnz .LBB22_1236
; %bb.1235:
	s_waitcnt vmcnt(0)
	global_load_dword v0, v[2:3], off
	s_waitcnt vmcnt(0)
	v_cvt_i16_f16_e32 v0, v0
.LBB22_1236:
	s_cbranch_execnz .LBB22_1247
.LBB22_1237:
	s_sext_i32_i16 s22, s58
	s_cmp_lt_i32 s22, 6
	s_cbranch_scc1 .LBB22_1240
; %bb.1238:
	s_cmp_gt_i32 s22, 6
	s_cbranch_scc0 .LBB22_1241
; %bb.1239:
	s_waitcnt vmcnt(0)
	global_load_dwordx2 v[0:1], v[2:3], off
	s_mov_b64 s[22:23], 0
	s_waitcnt vmcnt(0)
	v_cvt_i32_f64_e32 v0, v[0:1]
	s_branch .LBB22_1242
.LBB22_1240:
	s_mov_b64 s[22:23], -1
                                        ; implicit-def: $vgpr0
	s_branch .LBB22_1245
.LBB22_1241:
	s_mov_b64 s[22:23], -1
                                        ; implicit-def: $vgpr0
.LBB22_1242:
	s_andn2_b64 vcc, exec, s[22:23]
	s_cbranch_vccnz .LBB22_1244
; %bb.1243:
	s_waitcnt vmcnt(0)
	global_load_dword v0, v[2:3], off
	s_waitcnt vmcnt(0)
	v_cvt_i32_f32_e32 v0, v0
.LBB22_1244:
	s_mov_b64 s[22:23], 0
.LBB22_1245:
	s_andn2_b64 vcc, exec, s[22:23]
	s_cbranch_vccnz .LBB22_1247
; %bb.1246:
	s_waitcnt vmcnt(0)
	global_load_ushort v0, v[2:3], off
	s_waitcnt vmcnt(0)
	v_cvt_i16_f16_e32 v0, v0
.LBB22_1247:
	s_cbranch_execnz .LBB22_1266
.LBB22_1248:
	s_sext_i32_i16 s22, s58
	s_cmp_lt_i32 s22, 2
	s_cbranch_scc1 .LBB22_1252
; %bb.1249:
	s_cmp_lt_i32 s22, 3
	s_cbranch_scc1 .LBB22_1253
; %bb.1250:
	s_cmp_gt_i32 s22, 3
	s_cbranch_scc0 .LBB22_1254
; %bb.1251:
	s_waitcnt vmcnt(0)
	global_load_dwordx2 v[0:1], v[2:3], off
	s_mov_b64 s[22:23], 0
	s_branch .LBB22_1255
.LBB22_1252:
                                        ; implicit-def: $vgpr0
	s_branch .LBB22_1261
.LBB22_1253:
	s_mov_b64 s[22:23], -1
                                        ; implicit-def: $vgpr0
	s_branch .LBB22_1258
.LBB22_1254:
	s_mov_b64 s[22:23], -1
                                        ; implicit-def: $vgpr0
.LBB22_1255:
	s_andn2_b64 vcc, exec, s[22:23]
	s_cbranch_vccnz .LBB22_1257
; %bb.1256:
	s_waitcnt vmcnt(0)
	global_load_dword v0, v[2:3], off
.LBB22_1257:
	s_mov_b64 s[22:23], 0
.LBB22_1258:
	s_andn2_b64 vcc, exec, s[22:23]
	s_cbranch_vccnz .LBB22_1260
; %bb.1259:
	s_waitcnt vmcnt(0)
	global_load_ushort v0, v[2:3], off
.LBB22_1260:
	s_cbranch_execnz .LBB22_1266
.LBB22_1261:
	s_sext_i32_i16 s22, s58
	s_cmp_gt_i32 s22, 0
	s_cbranch_scc0 .LBB22_1263
; %bb.1262:
	s_waitcnt vmcnt(0)
	global_load_ubyte v0, v[2:3], off
	s_mov_b64 s[22:23], 0
	s_branch .LBB22_1264
.LBB22_1263:
	s_mov_b64 s[22:23], -1
                                        ; implicit-def: $vgpr0
.LBB22_1264:
	s_andn2_b64 vcc, exec, s[22:23]
	s_cbranch_vccnz .LBB22_1266
; %bb.1265:
	s_waitcnt vmcnt(0)
	global_load_ubyte v0, v[2:3], off
.LBB22_1266:
	s_or_b64 s[30:31], s[30:31], exec
.LBB22_1267:
	s_or_b64 exec, exec, s[0:1]
	s_mov_b64 s[28:29], 0
	s_mov_b64 s[34:35], 0
	;; [unrolled: 1-line block ×3, first 2 shown]
                                        ; implicit-def: $sgpr36
                                        ; implicit-def: $vgpr1_vgpr2
                                        ; implicit-def: $vgpr3
	s_and_saveexec_b64 s[0:1], s[30:31]
	s_cbranch_execz .LBB22_1275
; %bb.1268:
	s_waitcnt vmcnt(0)
	v_mul_lo_u32 v1, v14, s14
	v_mov_b32_e32 v2, s3
	s_and_b32 s36, s56, 0xff
	s_cmp_lt_i32 s36, 11
	v_ashrrev_i32_e32 v3, 31, v1
	v_add_co_u32_e32 v1, vcc, s2, v1
	v_addc_co_u32_e32 v2, vcc, v2, v3, vcc
	s_cbranch_scc1 .LBB22_1278
; %bb.1269:
	s_and_b32 s34, 0xffff, s36
	s_cmp_gt_i32 s34, 25
	s_cbranch_scc0 .LBB22_1279
; %bb.1270:
	s_cmp_gt_i32 s34, 28
	s_cbranch_scc0 .LBB22_1280
; %bb.1271:
	s_cmp_gt_i32 s34, 43
	s_cbranch_scc0 .LBB22_1281
; %bb.1272:
	s_cmp_gt_i32 s34, 45
	s_cbranch_scc0 .LBB22_1282
; %bb.1273:
	s_cmp_eq_u32 s34, 46
	s_mov_b64 s[30:31], 0
	s_cbranch_scc0 .LBB22_1283
; %bb.1274:
	global_load_dword v3, v[1:2], off
	s_mov_b64 s[22:23], 0
	s_mov_b64 s[26:27], -1
	s_waitcnt vmcnt(0)
	v_lshlrev_b32_e32 v3, 16, v3
	v_cvt_i32_f32_e32 v3, v3
	s_branch .LBB22_1285
.LBB22_1275:
	s_or_b64 exec, exec, s[0:1]
	s_and_saveexec_b64 s[0:1], s[20:21]
	s_cbranch_execnz .LBB22_1344
.LBB22_1276:
	s_or_b64 exec, exec, s[0:1]
	s_and_saveexec_b64 s[0:1], s[28:29]
	s_xor_b64 s[0:1], exec, s[0:1]
	s_cbranch_execz .LBB22_1345
.LBB22_1277:
	s_waitcnt vmcnt(0)
	global_load_ubyte v3, v[1:2], off
	s_or_b64 s[26:27], s[26:27], exec
	s_waitcnt vmcnt(0)
	v_cmp_ne_u16_e32 vcc, 0, v3
	v_cndmask_b32_e64 v3, 0, 1, vcc
	s_or_b64 exec, exec, s[0:1]
	s_and_saveexec_b64 s[0:1], s[34:35]
	s_cbranch_execz .LBB22_1391
	s_branch .LBB22_1346
.LBB22_1278:
	s_mov_b64 s[30:31], -1
                                        ; implicit-def: $vgpr3
	s_mov_b64 s[22:23], s[20:21]
	s_branch .LBB22_1343
.LBB22_1279:
	s_mov_b64 s[22:23], s[20:21]
                                        ; implicit-def: $vgpr3
	s_cbranch_execnz .LBB22_1312
	s_branch .LBB22_1342
.LBB22_1280:
	s_mov_b64 s[30:31], -1
	s_mov_b64 s[22:23], s[20:21]
                                        ; implicit-def: $vgpr3
	s_branch .LBB22_1295
.LBB22_1281:
	s_mov_b64 s[30:31], -1
	s_mov_b64 s[22:23], s[20:21]
                                        ; implicit-def: $vgpr3
	s_branch .LBB22_1290
.LBB22_1282:
	s_mov_b64 s[30:31], -1
	s_mov_b64 s[22:23], s[20:21]
	s_branch .LBB22_1284
.LBB22_1283:
	s_mov_b64 s[22:23], -1
.LBB22_1284:
                                        ; implicit-def: $vgpr3
.LBB22_1285:
	s_and_b64 vcc, exec, s[30:31]
	s_cbranch_vccz .LBB22_1289
; %bb.1286:
	s_cmp_eq_u32 s34, 44
	s_cbranch_scc0 .LBB22_1288
; %bb.1287:
	global_load_ubyte v3, v[1:2], off
	s_mov_b64 s[22:23], 0
	s_mov_b64 s[26:27], -1
	s_waitcnt vmcnt(0)
	v_lshlrev_b32_e32 v4, 23, v3
	v_cvt_i32_f32_e32 v4, v4
	v_cmp_ne_u32_e32 vcc, 0, v3
	v_cndmask_b32_e32 v3, 0, v4, vcc
	s_branch .LBB22_1289
.LBB22_1288:
	s_mov_b64 s[22:23], -1
                                        ; implicit-def: $vgpr3
.LBB22_1289:
	s_mov_b64 s[30:31], 0
.LBB22_1290:
	s_and_b64 vcc, exec, s[30:31]
	s_cbranch_vccz .LBB22_1294
; %bb.1291:
	s_cmp_eq_u32 s34, 29
	s_cbranch_scc0 .LBB22_1293
; %bb.1292:
	global_load_dwordx2 v[3:4], v[1:2], off
	s_mov_b64 s[22:23], 0
	s_mov_b64 s[26:27], -1
	s_branch .LBB22_1294
.LBB22_1293:
	s_mov_b64 s[22:23], -1
                                        ; implicit-def: $vgpr3
.LBB22_1294:
	s_mov_b64 s[30:31], 0
.LBB22_1295:
	s_and_b64 vcc, exec, s[30:31]
	s_cbranch_vccz .LBB22_1311
; %bb.1296:
	s_cmp_lt_i32 s34, 27
	s_cbranch_scc1 .LBB22_1299
; %bb.1297:
	s_cmp_gt_i32 s34, 27
	s_cbranch_scc0 .LBB22_1300
; %bb.1298:
	global_load_dword v3, v[1:2], off
	s_mov_b64 s[26:27], 0
	s_branch .LBB22_1301
.LBB22_1299:
	s_mov_b64 s[26:27], -1
                                        ; implicit-def: $vgpr3
	s_branch .LBB22_1304
.LBB22_1300:
	s_mov_b64 s[26:27], -1
                                        ; implicit-def: $vgpr3
.LBB22_1301:
	s_andn2_b64 vcc, exec, s[26:27]
	s_cbranch_vccnz .LBB22_1303
; %bb.1302:
	global_load_ushort v3, v[1:2], off
.LBB22_1303:
	s_mov_b64 s[26:27], 0
.LBB22_1304:
	s_andn2_b64 vcc, exec, s[26:27]
	s_cbranch_vccnz .LBB22_1310
; %bb.1305:
	global_load_ubyte v4, v[1:2], off
	s_movk_i32 s26, 0x7f
	s_mov_b64 s[30:31], 0
	s_waitcnt vmcnt(0)
	v_cmp_lt_i16_e32 vcc, s26, v4
	s_and_saveexec_b64 s[26:27], vcc
	s_xor_b64 s[26:27], exec, s[26:27]
	s_cbranch_execz .LBB22_1321
; %bb.1306:
	s_movk_i32 s30, 0x80
	v_cmp_ne_u16_e32 vcc, s30, v4
	s_and_b64 s[30:31], vcc, exec
	s_andn2_saveexec_b64 s[26:27], s[26:27]
	s_cbranch_execnz .LBB22_1322
.LBB22_1307:
	s_or_b64 exec, exec, s[26:27]
	v_mov_b32_e32 v3, 0
	s_and_saveexec_b64 s[26:27], s[30:31]
	s_cbranch_execz .LBB22_1309
.LBB22_1308:
	v_lshlrev_b32_e32 v3, 24, v4
	v_and_b32_e32 v4, 0xffff, v4
	v_and_b32_e32 v5, 7, v4
	v_ffbh_u32_e32 v7, v5
	v_min_u32_e32 v7, 32, v7
	v_subrev_u32_e32 v8, 28, v7
	v_bfe_u32 v6, v4, 3, 4
	v_lshlrev_b32_e32 v4, v8, v4
	v_sub_u32_e32 v7, 29, v7
	v_and_b32_e32 v4, 7, v4
	v_cmp_eq_u32_e32 vcc, 0, v6
	v_cndmask_b32_e32 v6, v6, v7, vcc
	v_cndmask_b32_e32 v4, v5, v4, vcc
	v_mov_b32_e32 v5, 0x3b800000
	v_lshlrev_b32_e32 v4, 20, v4
	v_and_b32_e32 v3, 0x80000000, v3
	v_lshl_add_u32 v5, v6, 23, v5
	v_or3_b32 v3, v3, v5, v4
	v_cvt_i32_f32_e32 v3, v3
.LBB22_1309:
	s_or_b64 exec, exec, s[26:27]
.LBB22_1310:
	s_mov_b64 s[26:27], -1
.LBB22_1311:
	s_branch .LBB22_1342
.LBB22_1312:
	s_cmp_gt_i32 s34, 22
	s_cbranch_scc0 .LBB22_1320
; %bb.1313:
	s_cmp_lt_i32 s34, 24
	s_cbranch_scc1 .LBB22_1323
; %bb.1314:
	s_cmp_gt_i32 s34, 24
	s_cbranch_scc0 .LBB22_1324
; %bb.1315:
	global_load_ubyte v4, v[1:2], off
	s_movk_i32 s26, 0x7f
	s_waitcnt vmcnt(0)
	v_cmp_lt_i16_e32 vcc, s26, v4
	s_and_saveexec_b64 s[26:27], vcc
	s_xor_b64 s[26:27], exec, s[26:27]
	s_cbranch_execz .LBB22_1336
; %bb.1316:
	s_movk_i32 s28, 0x80
	v_cmp_ne_u16_e32 vcc, s28, v4
	s_and_b64 s[28:29], vcc, exec
	s_andn2_saveexec_b64 s[26:27], s[26:27]
	s_cbranch_execnz .LBB22_1337
.LBB22_1317:
	s_or_b64 exec, exec, s[26:27]
	v_mov_b32_e32 v3, 0
	s_and_saveexec_b64 s[26:27], s[28:29]
	s_cbranch_execz .LBB22_1319
.LBB22_1318:
	v_lshlrev_b32_e32 v3, 24, v4
	v_and_b32_e32 v4, 0xffff, v4
	v_and_b32_e32 v5, 3, v4
	v_ffbh_u32_e32 v7, v5
	v_min_u32_e32 v7, 32, v7
	v_subrev_u32_e32 v8, 29, v7
	v_bfe_u32 v6, v4, 2, 5
	v_lshlrev_b32_e32 v4, v8, v4
	v_sub_u32_e32 v7, 30, v7
	v_and_b32_e32 v4, 3, v4
	v_cmp_eq_u32_e32 vcc, 0, v6
	v_cndmask_b32_e32 v6, v6, v7, vcc
	v_cndmask_b32_e32 v4, v5, v4, vcc
	v_mov_b32_e32 v5, 0x37800000
	v_lshlrev_b32_e32 v4, 21, v4
	v_and_b32_e32 v3, 0x80000000, v3
	v_lshl_add_u32 v5, v6, 23, v5
	v_or3_b32 v3, v3, v5, v4
	v_cvt_i32_f32_e32 v3, v3
.LBB22_1319:
	s_or_b64 exec, exec, s[26:27]
	s_mov_b64 s[26:27], 0
	s_branch .LBB22_1325
.LBB22_1320:
	s_mov_b64 s[28:29], -1
                                        ; implicit-def: $vgpr3
	s_branch .LBB22_1331
.LBB22_1321:
	s_andn2_saveexec_b64 s[26:27], s[26:27]
	s_cbranch_execz .LBB22_1307
.LBB22_1322:
	v_cmp_ne_u16_e32 vcc, 0, v4
	s_andn2_b64 s[30:31], s[30:31], exec
	s_and_b64 s[38:39], vcc, exec
	s_or_b64 s[30:31], s[30:31], s[38:39]
	s_or_b64 exec, exec, s[26:27]
	v_mov_b32_e32 v3, 0
	s_and_saveexec_b64 s[26:27], s[30:31]
	s_cbranch_execnz .LBB22_1308
	s_branch .LBB22_1309
.LBB22_1323:
	s_mov_b64 s[26:27], -1
                                        ; implicit-def: $vgpr3
	s_branch .LBB22_1328
.LBB22_1324:
	s_mov_b64 s[26:27], -1
                                        ; implicit-def: $vgpr3
.LBB22_1325:
	s_and_b64 vcc, exec, s[26:27]
	s_cbranch_vccz .LBB22_1327
; %bb.1326:
	global_load_ubyte v3, v[1:2], off
	s_mov_b32 s26, 0x7f800000
	s_waitcnt vmcnt(0)
	v_lshlrev_b32_e32 v3, 24, v3
	v_and_b32_e32 v4, 0x7f000000, v3
	v_ffbh_u32_e32 v5, v4
	v_min_u32_e32 v5, 32, v5
	v_sub_u32_e64 v5, v5, 4 clamp
	v_lshlrev_b32_e32 v7, v5, v4
	v_lshlrev_b32_e32 v5, 23, v5
	v_lshrrev_b32_e32 v7, 4, v7
	v_add_u32_e32 v6, 0x1000000, v4
	v_sub_u32_e32 v5, v7, v5
	v_ashrrev_i32_e32 v6, 8, v6
	v_add_u32_e32 v5, 0x3c000000, v5
	v_and_or_b32 v5, v6, s26, v5
	v_cmp_ne_u32_e32 vcc, 0, v4
	v_cndmask_b32_e32 v4, 0, v5, vcc
	s_brev_b32 s26, 1
	v_and_or_b32 v3, v3, s26, v4
	v_cvt_i32_f32_e32 v3, v3
.LBB22_1327:
	s_mov_b64 s[26:27], 0
.LBB22_1328:
	s_andn2_b64 vcc, exec, s[26:27]
	s_cbranch_vccnz .LBB22_1330
; %bb.1329:
	global_load_ubyte v3, v[1:2], off
	s_movk_i32 s26, 0x7f00
	s_brev_b32 s27, 16
	s_waitcnt vmcnt(0)
	v_lshlrev_b16_e32 v4, 8, v3
	v_lshlrev_b32_e32 v3, 25, v3
	v_lshrrev_b32_e32 v5, 4, v3
	v_and_or_b32 v6, v4, s26, 0.5
	v_or_b32_e32 v5, 0x70000000, v5
	v_add_f32_e32 v6, -0.5, v6
	v_mul_f32_e32 v5, 0x7800000, v5
	v_cmp_gt_u32_e32 vcc, s27, v3
	v_bfe_i32 v4, v4, 0, 16
	v_cndmask_b32_e32 v3, v5, v6, vcc
	s_brev_b32 s26, 1
	v_and_or_b32 v3, v4, s26, v3
	v_cvt_i32_f32_e32 v3, v3
.LBB22_1330:
	s_mov_b64 s[28:29], 0
	s_mov_b64 s[26:27], -1
.LBB22_1331:
	s_andn2_b64 vcc, exec, s[28:29]
	s_mov_b64 s[28:29], 0
	s_cbranch_vccnz .LBB22_1342
; %bb.1332:
	s_cmp_gt_i32 s34, 14
	s_cbranch_scc0 .LBB22_1335
; %bb.1333:
	s_cmp_eq_u32 s34, 15
	s_cbranch_scc0 .LBB22_1338
; %bb.1334:
	global_load_ushort v3, v[1:2], off
	s_mov_b64 s[22:23], 0
	s_mov_b64 s[26:27], -1
	s_waitcnt vmcnt(0)
	v_lshlrev_b32_e32 v3, 16, v3
	v_cvt_i32_f32_e32 v3, v3
	s_branch .LBB22_1339
.LBB22_1335:
	s_mov_b64 s[30:31], -1
                                        ; implicit-def: $vgpr3
	s_branch .LBB22_1340
.LBB22_1336:
	s_andn2_saveexec_b64 s[26:27], s[26:27]
	s_cbranch_execz .LBB22_1317
.LBB22_1337:
	v_cmp_ne_u16_e32 vcc, 0, v4
	s_andn2_b64 s[28:29], s[28:29], exec
	s_and_b64 s[30:31], vcc, exec
	s_or_b64 s[28:29], s[28:29], s[30:31]
	s_or_b64 exec, exec, s[26:27]
	v_mov_b32_e32 v3, 0
	s_and_saveexec_b64 s[26:27], s[28:29]
	s_cbranch_execnz .LBB22_1318
	s_branch .LBB22_1319
.LBB22_1338:
	s_mov_b64 s[22:23], -1
                                        ; implicit-def: $vgpr3
.LBB22_1339:
	s_mov_b64 s[30:31], 0
.LBB22_1340:
	s_and_b64 vcc, exec, s[30:31]
	s_cbranch_vccz .LBB22_1342
; %bb.1341:
	s_cmp_lg_u32 s34, 11
	s_cselect_b64 s[30:31], -1, 0
	s_andn2_b64 s[22:23], s[22:23], exec
	s_and_b64 s[30:31], s[30:31], exec
	s_mov_b64 s[28:29], -1
	s_or_b64 s[22:23], s[22:23], s[30:31]
.LBB22_1342:
	s_mov_b64 s[30:31], 0
.LBB22_1343:
	s_andn2_b64 s[20:21], s[20:21], exec
	s_and_b64 s[22:23], s[22:23], exec
	s_and_b64 s[26:27], s[26:27], exec
	s_and_b64 s[34:35], s[30:31], exec
	s_and_b64 s[28:29], s[28:29], exec
	s_or_b64 s[20:21], s[20:21], s[22:23]
	s_or_b64 exec, exec, s[0:1]
	s_and_saveexec_b64 s[0:1], s[20:21]
	s_cbranch_execz .LBB22_1276
.LBB22_1344:
	s_or_b64 s[24:25], s[24:25], exec
	s_andn2_b64 s[28:29], s[28:29], exec
	s_trap 2
	s_or_b64 exec, exec, s[0:1]
	s_and_saveexec_b64 s[0:1], s[28:29]
	s_xor_b64 s[0:1], exec, s[0:1]
	s_cbranch_execnz .LBB22_1277
.LBB22_1345:
	s_or_b64 exec, exec, s[0:1]
	s_and_saveexec_b64 s[0:1], s[34:35]
	s_cbranch_execz .LBB22_1391
.LBB22_1346:
	s_sext_i32_i16 s20, s36
	s_cmp_lt_i32 s20, 5
	s_cbranch_scc1 .LBB22_1351
; %bb.1347:
	s_cmp_lt_i32 s20, 8
	s_cbranch_scc1 .LBB22_1352
; %bb.1348:
	;; [unrolled: 3-line block ×3, first 2 shown]
	s_cmp_gt_i32 s20, 9
	s_cbranch_scc0 .LBB22_1354
; %bb.1350:
	s_waitcnt vmcnt(0)
	global_load_dwordx2 v[3:4], v[1:2], off
	s_mov_b64 s[20:21], 0
	s_waitcnt vmcnt(0)
	v_cvt_i32_f64_e32 v3, v[3:4]
	s_branch .LBB22_1355
.LBB22_1351:
                                        ; implicit-def: $vgpr3
	s_branch .LBB22_1372
.LBB22_1352:
                                        ; implicit-def: $vgpr3
	s_branch .LBB22_1361
.LBB22_1353:
	s_mov_b64 s[20:21], -1
                                        ; implicit-def: $vgpr3
	s_branch .LBB22_1358
.LBB22_1354:
	s_mov_b64 s[20:21], -1
                                        ; implicit-def: $vgpr3
.LBB22_1355:
	s_andn2_b64 vcc, exec, s[20:21]
	s_cbranch_vccnz .LBB22_1357
; %bb.1356:
	s_waitcnt vmcnt(0)
	global_load_dword v3, v[1:2], off
	s_waitcnt vmcnt(0)
	v_cvt_i32_f32_e32 v3, v3
.LBB22_1357:
	s_mov_b64 s[20:21], 0
.LBB22_1358:
	s_andn2_b64 vcc, exec, s[20:21]
	s_cbranch_vccnz .LBB22_1360
; %bb.1359:
	s_waitcnt vmcnt(0)
	global_load_dword v3, v[1:2], off
	s_waitcnt vmcnt(0)
	v_cvt_i16_f16_e32 v3, v3
.LBB22_1360:
	s_cbranch_execnz .LBB22_1371
.LBB22_1361:
	s_sext_i32_i16 s20, s36
	s_cmp_lt_i32 s20, 6
	s_cbranch_scc1 .LBB22_1364
; %bb.1362:
	s_cmp_gt_i32 s20, 6
	s_cbranch_scc0 .LBB22_1365
; %bb.1363:
	s_waitcnt vmcnt(0)
	global_load_dwordx2 v[3:4], v[1:2], off
	s_mov_b64 s[20:21], 0
	s_waitcnt vmcnt(0)
	v_cvt_i32_f64_e32 v3, v[3:4]
	s_branch .LBB22_1366
.LBB22_1364:
	s_mov_b64 s[20:21], -1
                                        ; implicit-def: $vgpr3
	s_branch .LBB22_1369
.LBB22_1365:
	s_mov_b64 s[20:21], -1
                                        ; implicit-def: $vgpr3
.LBB22_1366:
	s_andn2_b64 vcc, exec, s[20:21]
	s_cbranch_vccnz .LBB22_1368
; %bb.1367:
	s_waitcnt vmcnt(0)
	global_load_dword v3, v[1:2], off
	s_waitcnt vmcnt(0)
	v_cvt_i32_f32_e32 v3, v3
.LBB22_1368:
	s_mov_b64 s[20:21], 0
.LBB22_1369:
	s_andn2_b64 vcc, exec, s[20:21]
	s_cbranch_vccnz .LBB22_1371
; %bb.1370:
	s_waitcnt vmcnt(0)
	global_load_ushort v3, v[1:2], off
	s_waitcnt vmcnt(0)
	v_cvt_i16_f16_e32 v3, v3
.LBB22_1371:
	s_cbranch_execnz .LBB22_1390
.LBB22_1372:
	s_sext_i32_i16 s20, s36
	s_cmp_lt_i32 s20, 2
	s_cbranch_scc1 .LBB22_1376
; %bb.1373:
	s_cmp_lt_i32 s20, 3
	s_cbranch_scc1 .LBB22_1377
; %bb.1374:
	s_cmp_gt_i32 s20, 3
	s_cbranch_scc0 .LBB22_1378
; %bb.1375:
	s_waitcnt vmcnt(0)
	global_load_dwordx2 v[3:4], v[1:2], off
	s_mov_b64 s[20:21], 0
	s_branch .LBB22_1379
.LBB22_1376:
                                        ; implicit-def: $vgpr3
	s_branch .LBB22_1385
.LBB22_1377:
	s_mov_b64 s[20:21], -1
                                        ; implicit-def: $vgpr3
	s_branch .LBB22_1382
.LBB22_1378:
	s_mov_b64 s[20:21], -1
                                        ; implicit-def: $vgpr3
.LBB22_1379:
	s_andn2_b64 vcc, exec, s[20:21]
	s_cbranch_vccnz .LBB22_1381
; %bb.1380:
	s_waitcnt vmcnt(0)
	global_load_dword v3, v[1:2], off
.LBB22_1381:
	s_mov_b64 s[20:21], 0
.LBB22_1382:
	s_andn2_b64 vcc, exec, s[20:21]
	s_cbranch_vccnz .LBB22_1384
; %bb.1383:
	s_waitcnt vmcnt(0)
	global_load_ushort v3, v[1:2], off
.LBB22_1384:
	s_cbranch_execnz .LBB22_1390
.LBB22_1385:
	s_sext_i32_i16 s20, s36
	s_cmp_gt_i32 s20, 0
	s_cbranch_scc0 .LBB22_1387
; %bb.1386:
	s_waitcnt vmcnt(0)
	global_load_ubyte v3, v[1:2], off
	s_mov_b64 s[20:21], 0
	s_branch .LBB22_1388
.LBB22_1387:
	s_mov_b64 s[20:21], -1
                                        ; implicit-def: $vgpr3
.LBB22_1388:
	s_andn2_b64 vcc, exec, s[20:21]
	s_cbranch_vccnz .LBB22_1390
; %bb.1389:
	s_waitcnt vmcnt(0)
	global_load_ubyte v3, v[1:2], off
.LBB22_1390:
	s_or_b64 s[26:27], s[26:27], exec
.LBB22_1391:
	s_or_b64 exec, exec, s[0:1]
	s_mov_b64 s[30:31], 0
	s_mov_b64 s[28:29], 0
                                        ; implicit-def: $sgpr20_sgpr21
                                        ; implicit-def: $sgpr34
                                        ; implicit-def: $vgpr1_vgpr2
	s_and_saveexec_b64 s[22:23], s[26:27]
	s_cbranch_execz .LBB22_1466
; %bb.1392:
	s_waitcnt vmcnt(0)
	v_mul_lo_u32 v1, v14, s12
	v_cmp_ne_u16_sdwa s[0:1], v0, v3 src0_sel:BYTE_0 src1_sel:BYTE_0
	v_mov_b32_e32 v0, s9
	s_xor_b64 s[20:21], s[16:17], s[0:1]
	v_ashrrev_i32_e32 v2, 31, v1
	s_and_b32 s34, s33, 0xff
	v_add_co_u32_e32 v1, vcc, s8, v1
	s_cmp_lt_i32 s34, 11
	v_addc_co_u32_e32 v2, vcc, v0, v2, vcc
	s_cbranch_scc1 .LBB22_1469
; %bb.1393:
	s_and_b32 s35, 0xffff, s34
	s_mov_b64 s[26:27], -1
	s_cmp_gt_i32 s35, 25
	s_mov_b64 s[0:1], s[18:19]
	s_cbranch_scc0 .LBB22_1426
; %bb.1394:
	s_mov_b64 s[16:17], -1
	s_cmp_gt_i32 s35, 28
	s_mov_b64 s[0:1], s[18:19]
	s_cbranch_scc0 .LBB22_1410
; %bb.1395:
	s_cmp_gt_i32 s35, 43
	s_mov_b64 s[0:1], s[18:19]
	s_cbranch_scc0 .LBB22_1406
; %bb.1396:
	;; [unrolled: 4-line block ×3, first 2 shown]
	s_cmp_eq_u32 s35, 46
	s_mov_b64 s[0:1], -1
	s_cbranch_scc0 .LBB22_1399
; %bb.1398:
	v_cndmask_b32_e64 v0, 0, 1.0, s[20:21]
	v_bfe_u32 v3, v0, 16, 1
	s_movk_i32 s0, 0x7fff
	v_add3_u32 v0, v0, v3, s0
	v_lshrrev_b32_e32 v0, 16, v0
	global_store_dword v[1:2], v0, off
	s_mov_b64 s[0:1], 0
.LBB22_1399:
	s_mov_b64 s[16:17], 0
.LBB22_1400:
	s_and_b64 vcc, exec, s[16:17]
	s_cbranch_vccz .LBB22_1405
; %bb.1401:
	s_cmp_eq_u32 s35, 44
	s_mov_b64 s[0:1], -1
	s_cbranch_scc0 .LBB22_1405
; %bb.1402:
	v_cndmask_b32_e64 v3, 0, 1.0, s[20:21]
	v_lshrrev_b32_e32 v0, 23, v3
	s_movk_i32 s0, 0xff
	v_cmp_ne_u32_e32 vcc, s0, v0
	v_mov_b32_e32 v4, 0xff
	s_and_saveexec_b64 s[16:17], vcc
; %bb.1403:
	s_mov_b32 s0, 0x3fffff
	v_and_b32_e32 v4, 0x400000, v3
	v_and_or_b32 v3, v3, s0, v0
	v_cmp_ne_u32_e32 vcc, 0, v4
	v_cmp_ne_u32_e64 s[0:1], 0, v3
	s_and_b64 s[0:1], vcc, s[0:1]
	v_cndmask_b32_e64 v3, 0, 1, s[0:1]
	v_add_u32_e32 v4, v0, v3
; %bb.1404:
	s_or_b64 exec, exec, s[16:17]
	s_mov_b64 s[0:1], 0
	global_store_byte v[1:2], v4, off
.LBB22_1405:
	s_mov_b64 s[16:17], 0
.LBB22_1406:
	s_and_b64 vcc, exec, s[16:17]
	s_cbranch_vccz .LBB22_1409
; %bb.1407:
	s_cmp_eq_u32 s35, 29
	s_mov_b64 s[0:1], -1
	s_cbranch_scc0 .LBB22_1409
; %bb.1408:
	s_mov_b32 s0, 0
	v_cndmask_b32_e64 v3, 0, 1, s[20:21]
	v_mov_b32_e32 v4, s0
	global_store_dwordx2 v[1:2], v[3:4], off
	s_mov_b64 s[0:1], 0
.LBB22_1409:
	s_mov_b64 s[16:17], 0
.LBB22_1410:
	s_and_b64 vcc, exec, s[16:17]
	s_cbranch_vccz .LBB22_1425
; %bb.1411:
	s_cmp_lt_i32 s35, 27
	s_mov_b64 s[16:17], -1
	s_cbranch_scc1 .LBB22_1417
; %bb.1412:
	s_cmp_gt_i32 s35, 27
	v_cndmask_b32_e64 v0, 0, 1, s[20:21]
	s_cbranch_scc0 .LBB22_1414
; %bb.1413:
	s_mov_b64 s[16:17], 0
	global_store_dword v[1:2], v0, off
.LBB22_1414:
	s_andn2_b64 vcc, exec, s[16:17]
	s_cbranch_vccnz .LBB22_1416
; %bb.1415:
	global_store_short v[1:2], v0, off
.LBB22_1416:
	s_mov_b64 s[16:17], 0
.LBB22_1417:
	s_andn2_b64 vcc, exec, s[16:17]
	s_cbranch_vccnz .LBB22_1425
; %bb.1418:
	v_cndmask_b32_e64 v3, 0, 1.0, s[20:21]
	s_mov_b32 s16, 0x43800000
	v_cmp_gt_u32_e32 vcc, s16, v3
	v_mov_b32_e32 v4, 0x80
	s_and_saveexec_b64 s[16:17], vcc
	s_cbranch_execz .LBB22_1424
; %bb.1419:
	s_mov_b32 s26, 0x3bffffff
	v_cmp_lt_u32_e32 vcc, s26, v3
	s_mov_b64 s[26:27], 0
                                        ; implicit-def: $vgpr0
	s_and_saveexec_b64 s[28:29], vcc
	s_xor_b64 s[28:29], exec, s[28:29]
	s_cbranch_execz .LBB22_1526
; %bb.1420:
	v_bfe_u32 v0, v3, 20, 1
	s_mov_b32 s30, 0x487ffff
	v_add3_u32 v0, v3, v0, s30
	s_mov_b64 s[26:27], exec
	v_lshrrev_b32_e32 v0, 20, v0
                                        ; implicit-def: $vgpr3
	s_andn2_saveexec_b64 s[28:29], s[28:29]
	s_cbranch_execnz .LBB22_1527
.LBB22_1421:
	s_or_b64 exec, exec, s[28:29]
	v_mov_b32_e32 v4, 0
	s_and_saveexec_b64 s[28:29], s[26:27]
.LBB22_1422:
	v_mov_b32_e32 v4, v0
.LBB22_1423:
	s_or_b64 exec, exec, s[28:29]
.LBB22_1424:
	s_or_b64 exec, exec, s[16:17]
	global_store_byte v[1:2], v4, off
.LBB22_1425:
	s_mov_b64 s[26:27], 0
.LBB22_1426:
	s_mov_b64 s[16:17], 0
	s_and_b64 vcc, exec, s[26:27]
	s_cbranch_vccz .LBB22_1470
; %bb.1427:
	s_cmp_gt_i32 s35, 22
	s_mov_b64 s[26:27], -1
	s_cbranch_scc0 .LBB22_1459
; %bb.1428:
	s_cmp_lt_i32 s35, 24
	s_cbranch_scc1 .LBB22_1448
; %bb.1429:
	s_cmp_gt_i32 s35, 24
	s_cbranch_scc0 .LBB22_1437
; %bb.1430:
	v_cndmask_b32_e64 v3, 0, 1.0, s[20:21]
	s_mov_b32 s26, 0x47800000
	v_cmp_gt_u32_e32 vcc, s26, v3
	v_mov_b32_e32 v4, 0x80
	s_and_saveexec_b64 s[26:27], vcc
	s_cbranch_execz .LBB22_1436
; %bb.1431:
	s_mov_b32 s28, 0x37ffffff
	v_cmp_lt_u32_e32 vcc, s28, v3
	s_mov_b64 s[28:29], 0
                                        ; implicit-def: $vgpr0
	s_and_saveexec_b64 s[30:31], vcc
	s_xor_b64 s[30:31], exec, s[30:31]
	s_cbranch_execz .LBB22_1646
; %bb.1432:
	v_bfe_u32 v0, v3, 21, 1
	s_mov_b32 s36, 0x88fffff
	v_add3_u32 v0, v3, v0, s36
	s_mov_b64 s[28:29], exec
	v_lshrrev_b32_e32 v0, 21, v0
                                        ; implicit-def: $vgpr3
	s_andn2_saveexec_b64 s[30:31], s[30:31]
	s_cbranch_execnz .LBB22_1647
.LBB22_1433:
	s_or_b64 exec, exec, s[30:31]
	v_mov_b32_e32 v4, 0
	s_and_saveexec_b64 s[30:31], s[28:29]
.LBB22_1434:
	v_mov_b32_e32 v4, v0
.LBB22_1435:
	s_or_b64 exec, exec, s[30:31]
.LBB22_1436:
	s_or_b64 exec, exec, s[26:27]
	s_mov_b64 s[26:27], 0
	global_store_byte v[1:2], v4, off
.LBB22_1437:
	s_and_b64 vcc, exec, s[26:27]
	s_cbranch_vccz .LBB22_1447
; %bb.1438:
	v_cndmask_b32_e64 v0, 0, 1.0, s[20:21]
	s_mov_b32 s26, 0x43f00000
	v_cmp_gt_u32_e32 vcc, s26, v0
                                        ; implicit-def: $vgpr3
	s_and_saveexec_b64 s[26:27], vcc
	s_xor_b64 s[26:27], exec, s[26:27]
	s_cbranch_execz .LBB22_1444
; %bb.1439:
	s_mov_b32 s28, 0x3c7fffff
	v_cmp_lt_u32_e32 vcc, s28, v0
                                        ; implicit-def: $vgpr3
	s_and_saveexec_b64 s[28:29], vcc
	s_xor_b64 s[28:29], exec, s[28:29]
; %bb.1440:
	v_bfe_u32 v3, v0, 20, 1
	s_mov_b32 s30, 0x407ffff
	v_add3_u32 v0, v0, v3, s30
	v_lshrrev_b32_e32 v3, 20, v0
	v_and_b32_e32 v0, 0xff00000, v0
	s_mov_b32 s30, 0x7f00000
	v_mov_b32_e32 v4, 0x7e
	v_cmp_ne_u32_e32 vcc, s30, v0
	v_cndmask_b32_e32 v3, v4, v3, vcc
                                        ; implicit-def: $vgpr0
; %bb.1441:
	s_andn2_saveexec_b64 s[28:29], s[28:29]
; %bb.1442:
	v_add_f32_e32 v3, 0x46800000, v0
; %bb.1443:
	s_or_b64 exec, exec, s[28:29]
                                        ; implicit-def: $vgpr0
.LBB22_1444:
	s_andn2_saveexec_b64 s[26:27], s[26:27]
; %bb.1445:
	s_mov_b32 s28, 0x7f800000
	v_mov_b32_e32 v3, 0x7e
	v_mov_b32_e32 v4, 0x7f
	v_cmp_lt_u32_e32 vcc, s28, v0
	v_cndmask_b32_e32 v3, v3, v4, vcc
; %bb.1446:
	s_or_b64 exec, exec, s[26:27]
	global_store_byte v[1:2], v3, off
.LBB22_1447:
	s_mov_b64 s[26:27], 0
.LBB22_1448:
	s_andn2_b64 vcc, exec, s[26:27]
	s_cbranch_vccnz .LBB22_1458
; %bb.1449:
	v_cndmask_b32_e64 v0, 0, 1.0, s[20:21]
	s_mov_b32 s26, 0x47800000
	v_cmp_gt_u32_e32 vcc, s26, v0
                                        ; implicit-def: $vgpr3
	s_and_saveexec_b64 s[26:27], vcc
	s_xor_b64 s[26:27], exec, s[26:27]
	s_cbranch_execz .LBB22_1455
; %bb.1450:
	s_mov_b32 s28, 0x387fffff
	v_cmp_lt_u32_e32 vcc, s28, v0
                                        ; implicit-def: $vgpr3
	s_and_saveexec_b64 s[28:29], vcc
	s_xor_b64 s[28:29], exec, s[28:29]
; %bb.1451:
	v_bfe_u32 v3, v0, 21, 1
	s_mov_b32 s30, 0x80fffff
	v_add3_u32 v0, v0, v3, s30
	v_lshrrev_b32_e32 v3, 21, v0
                                        ; implicit-def: $vgpr0
; %bb.1452:
	s_andn2_saveexec_b64 s[28:29], s[28:29]
; %bb.1453:
	v_add_f32_e32 v3, 0x43000000, v0
; %bb.1454:
	s_or_b64 exec, exec, s[28:29]
                                        ; implicit-def: $vgpr0
.LBB22_1455:
	s_andn2_saveexec_b64 s[26:27], s[26:27]
; %bb.1456:
	s_mov_b32 s28, 0x7f800000
	v_mov_b32_e32 v3, 0x7c
	v_mov_b32_e32 v4, 0x7f
	v_cmp_lt_u32_e32 vcc, s28, v0
	v_cndmask_b32_e32 v3, v3, v4, vcc
; %bb.1457:
	s_or_b64 exec, exec, s[26:27]
	global_store_byte v[1:2], v3, off
.LBB22_1458:
	s_mov_b64 s[26:27], 0
.LBB22_1459:
	s_andn2_b64 vcc, exec, s[26:27]
	s_mov_b64 s[26:27], 0
	s_cbranch_vccnz .LBB22_1471
; %bb.1460:
	s_cmp_gt_i32 s35, 14
	s_mov_b64 s[28:29], -1
	s_cbranch_scc0 .LBB22_1464
; %bb.1461:
	s_cmp_eq_u32 s35, 15
	s_mov_b64 s[0:1], -1
	s_cbranch_scc0 .LBB22_1463
; %bb.1462:
	v_cndmask_b32_e64 v0, 0, 1.0, s[20:21]
	v_bfe_u32 v3, v0, 16, 1
	s_movk_i32 s0, 0x7fff
	v_add3_u32 v0, v0, v3, s0
	global_store_short_d16_hi v[1:2], v0, off
	s_mov_b64 s[0:1], 0
.LBB22_1463:
	s_mov_b64 s[28:29], 0
.LBB22_1464:
	s_and_b64 vcc, exec, s[28:29]
	s_cbranch_vccz .LBB22_1471
; %bb.1465:
	s_cmp_lg_u32 s35, 11
	s_cselect_b64 s[28:29], -1, 0
	s_andn2_b64 s[0:1], s[0:1], exec
	s_and_b64 s[28:29], s[28:29], exec
	s_mov_b64 s[26:27], -1
	s_or_b64 s[0:1], s[0:1], s[28:29]
	s_branch .LBB22_1471
.LBB22_1466:
	s_or_b64 exec, exec, s[22:23]
	s_and_saveexec_b64 s[0:1], s[18:19]
	s_cbranch_execnz .LBB22_1472
.LBB22_1467:
	s_or_b64 exec, exec, s[0:1]
	s_and_saveexec_b64 s[0:1], s[30:31]
	s_xor_b64 s[0:1], exec, s[0:1]
	s_cbranch_execz .LBB22_1473
.LBB22_1468:
	s_waitcnt vmcnt(0)
	v_cndmask_b32_e64 v0, 0, 1, s[20:21]
	global_store_byte v[1:2], v0, off
	s_or_b64 exec, exec, s[0:1]
	s_and_saveexec_b64 s[0:1], s[28:29]
	s_xor_b64 s[0:1], exec, s[0:1]
	s_cbranch_execz .LBB22_1511
	s_branch .LBB22_1474
.LBB22_1469:
	s_mov_b64 s[26:27], 0
	s_mov_b64 s[16:17], -1
	s_mov_b64 s[0:1], s[18:19]
	s_branch .LBB22_1471
.LBB22_1470:
	s_mov_b64 s[26:27], 0
.LBB22_1471:
	s_and_b64 s[28:29], s[16:17], exec
	s_andn2_b64 s[16:17], s[18:19], exec
	s_and_b64 s[0:1], s[0:1], exec
	s_and_b64 s[30:31], s[26:27], exec
	s_or_b64 s[18:19], s[16:17], s[0:1]
	s_or_b64 exec, exec, s[22:23]
	s_and_saveexec_b64 s[0:1], s[18:19]
	s_cbranch_execz .LBB22_1467
.LBB22_1472:
	s_or_b64 s[24:25], s[24:25], exec
	s_andn2_b64 s[30:31], s[30:31], exec
	s_trap 2
	s_or_b64 exec, exec, s[0:1]
	s_and_saveexec_b64 s[0:1], s[30:31]
	s_xor_b64 s[0:1], exec, s[0:1]
	s_cbranch_execnz .LBB22_1468
.LBB22_1473:
	s_or_b64 exec, exec, s[0:1]
	s_and_saveexec_b64 s[0:1], s[28:29]
	s_xor_b64 s[0:1], exec, s[0:1]
	s_cbranch_execz .LBB22_1511
.LBB22_1474:
	s_sext_i32_i16 s18, s34
	s_cmp_lt_i32 s18, 5
	s_mov_b64 s[16:17], -1
	s_cbranch_scc1 .LBB22_1495
; %bb.1475:
	s_cmp_lt_i32 s18, 8
	s_cbranch_scc1 .LBB22_1485
; %bb.1476:
	s_cmp_lt_i32 s18, 9
	s_cbranch_scc1 .LBB22_1482
; %bb.1477:
	s_cmp_gt_i32 s18, 9
	s_cbranch_scc0 .LBB22_1479
; %bb.1478:
	s_waitcnt vmcnt(0)
	v_cndmask_b32_e64 v0, 0, 1, s[20:21]
	v_cvt_f64_u32_e32 v[3:4], v0
	v_mov_b32_e32 v5, 0
	v_mov_b32_e32 v6, v5
	s_mov_b64 s[16:17], 0
	global_store_dwordx4 v[1:2], v[3:6], off
.LBB22_1479:
	s_andn2_b64 vcc, exec, s[16:17]
	s_cbranch_vccnz .LBB22_1481
; %bb.1480:
	s_waitcnt vmcnt(0)
	v_cndmask_b32_e64 v3, 0, 1.0, s[20:21]
	v_mov_b32_e32 v4, 0
	global_store_dwordx2 v[1:2], v[3:4], off
.LBB22_1481:
	s_mov_b64 s[16:17], 0
.LBB22_1482:
	s_andn2_b64 vcc, exec, s[16:17]
	s_cbranch_vccnz .LBB22_1484
; %bb.1483:
	s_waitcnt vmcnt(0)
	v_cndmask_b32_e64 v0, 0, 1.0, s[20:21]
	v_cvt_f16_f32_e32 v0, v0
	global_store_dword v[1:2], v0, off
.LBB22_1484:
	s_mov_b64 s[16:17], 0
.LBB22_1485:
	s_andn2_b64 vcc, exec, s[16:17]
	s_cbranch_vccnz .LBB22_1494
; %bb.1486:
	s_sext_i32_i16 s18, s34
	s_cmp_lt_i32 s18, 6
	s_mov_b64 s[16:17], -1
	s_cbranch_scc1 .LBB22_1492
; %bb.1487:
	s_cmp_gt_i32 s18, 6
	s_cbranch_scc0 .LBB22_1489
; %bb.1488:
	s_waitcnt vmcnt(0)
	v_cndmask_b32_e64 v0, 0, 1, s[20:21]
	v_cvt_f64_u32_e32 v[3:4], v0
	s_mov_b64 s[16:17], 0
	global_store_dwordx2 v[1:2], v[3:4], off
.LBB22_1489:
	s_andn2_b64 vcc, exec, s[16:17]
	s_cbranch_vccnz .LBB22_1491
; %bb.1490:
	s_waitcnt vmcnt(0)
	v_cndmask_b32_e64 v0, 0, 1.0, s[20:21]
	global_store_dword v[1:2], v0, off
.LBB22_1491:
	s_mov_b64 s[16:17], 0
.LBB22_1492:
	s_andn2_b64 vcc, exec, s[16:17]
	s_cbranch_vccnz .LBB22_1494
; %bb.1493:
	s_waitcnt vmcnt(0)
	v_cndmask_b32_e64 v0, 0, 1.0, s[20:21]
	v_cvt_f16_f32_e32 v0, v0
	global_store_short v[1:2], v0, off
.LBB22_1494:
	s_mov_b64 s[16:17], 0
.LBB22_1495:
	s_andn2_b64 vcc, exec, s[16:17]
	s_cbranch_vccnz .LBB22_1511
; %bb.1496:
	s_sext_i32_i16 s18, s34
	s_cmp_lt_i32 s18, 2
	s_mov_b64 s[16:17], -1
	s_cbranch_scc1 .LBB22_1506
; %bb.1497:
	s_cmp_lt_i32 s18, 3
	s_cbranch_scc1 .LBB22_1503
; %bb.1498:
	s_cmp_gt_i32 s18, 3
	s_cbranch_scc0 .LBB22_1500
; %bb.1499:
	s_mov_b32 s16, 0
	s_waitcnt vmcnt(0)
	v_cndmask_b32_e64 v3, 0, 1, s[20:21]
	v_mov_b32_e32 v4, s16
	s_mov_b64 s[16:17], 0
	global_store_dwordx2 v[1:2], v[3:4], off
.LBB22_1500:
	s_andn2_b64 vcc, exec, s[16:17]
	s_cbranch_vccnz .LBB22_1502
; %bb.1501:
	s_waitcnt vmcnt(0)
	v_cndmask_b32_e64 v0, 0, 1, s[20:21]
	global_store_dword v[1:2], v0, off
.LBB22_1502:
	s_mov_b64 s[16:17], 0
.LBB22_1503:
	s_andn2_b64 vcc, exec, s[16:17]
	s_cbranch_vccnz .LBB22_1505
; %bb.1504:
	s_waitcnt vmcnt(0)
	v_cndmask_b32_e64 v0, 0, 1, s[20:21]
	global_store_short v[1:2], v0, off
.LBB22_1505:
	s_mov_b64 s[16:17], 0
.LBB22_1506:
	s_andn2_b64 vcc, exec, s[16:17]
	s_cbranch_vccnz .LBB22_1511
; %bb.1507:
	s_sext_i32_i16 s18, s34
	s_mov_b64 s[16:17], -1
	s_cmp_gt_i32 s18, 0
	s_waitcnt vmcnt(0)
	v_cndmask_b32_e64 v0, 0, 1, s[20:21]
	s_cbranch_scc0 .LBB22_1509
; %bb.1508:
	s_mov_b64 s[16:17], 0
	global_store_byte v[1:2], v0, off
.LBB22_1509:
	s_andn2_b64 vcc, exec, s[16:17]
	s_cbranch_vccnz .LBB22_1511
; %bb.1510:
	global_store_byte v[1:2], v0, off
.LBB22_1511:
	s_or_b64 exec, exec, s[0:1]
	s_and_b64 s[16:17], s[24:25], exec
                                        ; implicit-def: $vgpr14
.LBB22_1512:
	s_or_saveexec_b64 s[6:7], s[6:7]
	s_mov_b64 s[0:1], 0
                                        ; implicit-def: $sgpr20_sgpr21
                                        ; implicit-def: $sgpr24
                                        ; implicit-def: $vgpr0_vgpr1
	s_xor_b64 exec, exec, s[6:7]
	s_cbranch_execz .LBB22_2949
; %bb.1513:
	v_mul_lo_u32 v5, s13, v14
	s_waitcnt vmcnt(0)
	v_mov_b32_e32 v0, s11
	s_and_b32 s24, s57, 0xff
	s_cmp_lt_i32 s24, 11
	v_ashrrev_i32_e32 v1, 31, v5
	v_add_co_u32_e32 v2, vcc, s10, v5
	v_addc_co_u32_e32 v3, vcc, v0, v1, vcc
	s_cbranch_scc1 .LBB22_1520
; %bb.1514:
	s_and_b32 s22, 0xffff, s24
	s_cmp_gt_i32 s22, 25
	s_cbranch_scc0 .LBB22_1522
; %bb.1515:
	s_cmp_gt_i32 s22, 28
	s_cbranch_scc0 .LBB22_1523
; %bb.1516:
	;; [unrolled: 3-line block ×4, first 2 shown]
	s_cmp_eq_u32 s22, 46
	s_mov_b64 s[18:19], 0
	s_cbranch_scc0 .LBB22_1528
; %bb.1519:
	global_load_dword v0, v[2:3], off
	s_mov_b64 s[20:21], -1
	s_waitcnt vmcnt(0)
	v_lshlrev_b32_e32 v0, 16, v0
	v_cvt_i32_f32_e32 v0, v0
	s_branch .LBB22_1529
.LBB22_1520:
	s_mov_b64 s[20:21], 0
                                        ; implicit-def: $vgpr0
	s_mov_b64 s[18:19], s[16:17]
	s_cbranch_execnz .LBB22_1587
.LBB22_1521:
	s_andn2_b64 vcc, exec, s[20:21]
	s_cbranch_vccz .LBB22_1632
	s_branch .LBB22_2947
.LBB22_1522:
	s_mov_b64 s[20:21], 0
                                        ; implicit-def: $vgpr0
	s_cbranch_execnz .LBB22_1554
	s_branch .LBB22_1583
.LBB22_1523:
	s_mov_b64 s[20:21], 0
                                        ; implicit-def: $vgpr0
	s_cbranch_execz .LBB22_1553
	s_branch .LBB22_1538
.LBB22_1524:
	s_mov_b64 s[20:21], 0
                                        ; implicit-def: $vgpr0
	s_cbranch_execnz .LBB22_1534
	s_branch .LBB22_1537
.LBB22_1525:
	s_mov_b64 s[18:19], -1
	s_mov_b64 s[20:21], 0
                                        ; implicit-def: $vgpr0
	s_branch .LBB22_1529
.LBB22_1526:
	s_andn2_saveexec_b64 s[28:29], s[28:29]
	s_cbranch_execz .LBB22_1421
.LBB22_1527:
	v_add_f32_e32 v0, 0x46000000, v3
	v_and_b32_e32 v0, 0xff, v0
	v_cmp_ne_u32_e32 vcc, 0, v0
	s_andn2_b64 s[26:27], s[26:27], exec
	s_and_b64 s[30:31], vcc, exec
	s_or_b64 s[26:27], s[26:27], s[30:31]
	s_or_b64 exec, exec, s[28:29]
	v_mov_b32_e32 v4, 0
	s_and_saveexec_b64 s[28:29], s[26:27]
	s_cbranch_execnz .LBB22_1422
	s_branch .LBB22_1423
.LBB22_1528:
	s_mov_b64 s[0:1], -1
                                        ; implicit-def: $vgpr0
	s_mov_b64 s[20:21], 0
.LBB22_1529:
	s_and_b64 vcc, exec, s[18:19]
	s_cbranch_vccz .LBB22_1532
; %bb.1530:
	s_cmp_eq_u32 s22, 44
	s_cbranch_scc0 .LBB22_1533
; %bb.1531:
	global_load_ubyte v0, v[2:3], off
	s_mov_b64 s[0:1], 0
	s_mov_b64 s[20:21], -1
	s_waitcnt vmcnt(0)
	v_lshlrev_b32_e32 v1, 23, v0
	v_cvt_i32_f32_e32 v1, v1
	v_cmp_ne_u32_e32 vcc, 0, v0
	v_cndmask_b32_e32 v0, 0, v1, vcc
.LBB22_1532:
	s_branch .LBB22_1537
.LBB22_1533:
	s_mov_b64 s[0:1], -1
                                        ; implicit-def: $vgpr0
	s_branch .LBB22_1537
.LBB22_1534:
	s_cmp_eq_u32 s22, 29
	s_cbranch_scc0 .LBB22_1536
; %bb.1535:
	global_load_dwordx2 v[0:1], v[2:3], off
	s_mov_b64 s[0:1], 0
	s_mov_b64 s[20:21], -1
	s_branch .LBB22_1537
.LBB22_1536:
	s_mov_b64 s[0:1], -1
                                        ; implicit-def: $vgpr0
.LBB22_1537:
	s_branch .LBB22_1553
.LBB22_1538:
	s_cmp_lt_i32 s22, 27
	s_cbranch_scc1 .LBB22_1541
; %bb.1539:
	s_cmp_gt_i32 s22, 27
	s_cbranch_scc0 .LBB22_1542
; %bb.1540:
	global_load_dword v0, v[2:3], off
	s_mov_b64 s[18:19], 0
	s_branch .LBB22_1543
.LBB22_1541:
	s_mov_b64 s[18:19], -1
                                        ; implicit-def: $vgpr0
	s_branch .LBB22_1546
.LBB22_1542:
	s_mov_b64 s[18:19], -1
                                        ; implicit-def: $vgpr0
.LBB22_1543:
	s_andn2_b64 vcc, exec, s[18:19]
	s_cbranch_vccnz .LBB22_1545
; %bb.1544:
	global_load_ushort v0, v[2:3], off
.LBB22_1545:
	s_mov_b64 s[18:19], 0
.LBB22_1546:
	s_andn2_b64 vcc, exec, s[18:19]
	s_cbranch_vccnz .LBB22_1552
; %bb.1547:
	global_load_ubyte v1, v[2:3], off
	s_movk_i32 s18, 0x7f
	s_mov_b64 s[20:21], 0
	s_waitcnt vmcnt(0)
	v_cmp_lt_i16_e32 vcc, s18, v1
	s_and_saveexec_b64 s[18:19], vcc
	s_xor_b64 s[18:19], exec, s[18:19]
	s_cbranch_execz .LBB22_1563
; %bb.1548:
	s_movk_i32 s20, 0x80
	v_cmp_ne_u16_e32 vcc, s20, v1
	s_and_b64 s[20:21], vcc, exec
	s_andn2_saveexec_b64 s[18:19], s[18:19]
	s_cbranch_execnz .LBB22_1564
.LBB22_1549:
	s_or_b64 exec, exec, s[18:19]
	v_mov_b32_e32 v0, 0
	s_and_saveexec_b64 s[18:19], s[20:21]
	s_cbranch_execz .LBB22_1551
.LBB22_1550:
	v_lshlrev_b32_e32 v0, 24, v1
	v_and_b32_e32 v1, 0xffff, v1
	v_and_b32_e32 v4, 7, v1
	v_ffbh_u32_e32 v7, v4
	v_min_u32_e32 v7, 32, v7
	v_subrev_u32_e32 v8, 28, v7
	v_bfe_u32 v6, v1, 3, 4
	v_lshlrev_b32_e32 v1, v8, v1
	v_sub_u32_e32 v7, 29, v7
	v_and_b32_e32 v1, 7, v1
	v_cmp_eq_u32_e32 vcc, 0, v6
	v_cndmask_b32_e32 v6, v6, v7, vcc
	v_cndmask_b32_e32 v1, v4, v1, vcc
	v_mov_b32_e32 v4, 0x3b800000
	v_lshlrev_b32_e32 v1, 20, v1
	v_and_b32_e32 v0, 0x80000000, v0
	v_lshl_add_u32 v4, v6, 23, v4
	v_or3_b32 v0, v0, v4, v1
	v_cvt_i32_f32_e32 v0, v0
.LBB22_1551:
	s_or_b64 exec, exec, s[18:19]
.LBB22_1552:
	s_mov_b64 s[20:21], -1
.LBB22_1553:
	s_branch .LBB22_1583
.LBB22_1554:
	s_cmp_gt_i32 s22, 22
	s_cbranch_scc0 .LBB22_1562
; %bb.1555:
	s_cmp_lt_i32 s22, 24
	s_cbranch_scc1 .LBB22_1565
; %bb.1556:
	s_cmp_gt_i32 s22, 24
	s_cbranch_scc0 .LBB22_1566
; %bb.1557:
	global_load_ubyte v1, v[2:3], off
	s_movk_i32 s4, 0x7f
	s_mov_b64 s[18:19], 0
	s_waitcnt vmcnt(0)
	v_cmp_lt_i16_e32 vcc, s4, v1
	s_and_saveexec_b64 s[4:5], vcc
	s_xor_b64 s[4:5], exec, s[4:5]
	s_cbranch_execz .LBB22_1577
; %bb.1558:
	s_movk_i32 s18, 0x80
	v_cmp_ne_u16_e32 vcc, s18, v1
	s_and_b64 s[18:19], vcc, exec
	s_andn2_saveexec_b64 s[4:5], s[4:5]
	s_cbranch_execnz .LBB22_1578
.LBB22_1559:
	s_or_b64 exec, exec, s[4:5]
	v_mov_b32_e32 v0, 0
	s_and_saveexec_b64 s[4:5], s[18:19]
	s_cbranch_execz .LBB22_1561
.LBB22_1560:
	v_lshlrev_b32_e32 v0, 24, v1
	v_and_b32_e32 v1, 0xffff, v1
	v_and_b32_e32 v4, 3, v1
	v_ffbh_u32_e32 v7, v4
	v_min_u32_e32 v7, 32, v7
	v_subrev_u32_e32 v8, 29, v7
	v_bfe_u32 v6, v1, 2, 5
	v_lshlrev_b32_e32 v1, v8, v1
	v_sub_u32_e32 v7, 30, v7
	v_and_b32_e32 v1, 3, v1
	v_cmp_eq_u32_e32 vcc, 0, v6
	v_cndmask_b32_e32 v6, v6, v7, vcc
	v_cndmask_b32_e32 v1, v4, v1, vcc
	v_mov_b32_e32 v4, 0x37800000
	v_lshlrev_b32_e32 v1, 21, v1
	v_and_b32_e32 v0, 0x80000000, v0
	v_lshl_add_u32 v4, v6, 23, v4
	v_or3_b32 v0, v0, v4, v1
	v_cvt_i32_f32_e32 v0, v0
.LBB22_1561:
	s_or_b64 exec, exec, s[4:5]
	s_mov_b64 s[4:5], 0
	s_branch .LBB22_1567
.LBB22_1562:
                                        ; implicit-def: $vgpr0
	s_mov_b64 s[4:5], 0
	s_branch .LBB22_1573
.LBB22_1563:
	s_andn2_saveexec_b64 s[18:19], s[18:19]
	s_cbranch_execz .LBB22_1549
.LBB22_1564:
	v_cmp_ne_u16_e32 vcc, 0, v1
	s_andn2_b64 s[20:21], s[20:21], exec
	s_and_b64 s[26:27], vcc, exec
	s_or_b64 s[20:21], s[20:21], s[26:27]
	s_or_b64 exec, exec, s[18:19]
	v_mov_b32_e32 v0, 0
	s_and_saveexec_b64 s[18:19], s[20:21]
	s_cbranch_execnz .LBB22_1550
	s_branch .LBB22_1551
.LBB22_1565:
	s_mov_b64 s[4:5], -1
                                        ; implicit-def: $vgpr0
	s_branch .LBB22_1570
.LBB22_1566:
	s_mov_b64 s[4:5], -1
                                        ; implicit-def: $vgpr0
.LBB22_1567:
	s_and_b64 vcc, exec, s[4:5]
	s_cbranch_vccz .LBB22_1569
; %bb.1568:
	global_load_ubyte v0, v[2:3], off
	s_mov_b32 s4, 0x7f800000
	s_waitcnt vmcnt(0)
	v_lshlrev_b32_e32 v0, 24, v0
	v_and_b32_e32 v1, 0x7f000000, v0
	v_ffbh_u32_e32 v4, v1
	v_min_u32_e32 v4, 32, v4
	v_sub_u32_e64 v4, v4, 4 clamp
	v_lshlrev_b32_e32 v7, v4, v1
	v_lshlrev_b32_e32 v4, 23, v4
	v_lshrrev_b32_e32 v7, 4, v7
	v_add_u32_e32 v6, 0x1000000, v1
	v_sub_u32_e32 v4, v7, v4
	v_ashrrev_i32_e32 v6, 8, v6
	v_add_u32_e32 v4, 0x3c000000, v4
	v_and_or_b32 v4, v6, s4, v4
	v_cmp_ne_u32_e32 vcc, 0, v1
	v_cndmask_b32_e32 v1, 0, v4, vcc
	s_brev_b32 s4, 1
	v_and_or_b32 v0, v0, s4, v1
	v_cvt_i32_f32_e32 v0, v0
.LBB22_1569:
	s_mov_b64 s[4:5], 0
.LBB22_1570:
	s_andn2_b64 vcc, exec, s[4:5]
	s_cbranch_vccnz .LBB22_1572
; %bb.1571:
	global_load_ubyte v0, v[2:3], off
	s_movk_i32 s4, 0x7f00
	s_brev_b32 s5, 16
	s_waitcnt vmcnt(0)
	v_lshlrev_b16_e32 v1, 8, v0
	v_lshlrev_b32_e32 v0, 25, v0
	v_lshrrev_b32_e32 v4, 4, v0
	v_and_or_b32 v6, v1, s4, 0.5
	v_or_b32_e32 v4, 0x70000000, v4
	v_add_f32_e32 v6, -0.5, v6
	v_mul_f32_e32 v4, 0x7800000, v4
	v_cmp_gt_u32_e32 vcc, s5, v0
	v_bfe_i32 v1, v1, 0, 16
	v_cndmask_b32_e32 v0, v4, v6, vcc
	s_brev_b32 s4, 1
	v_and_or_b32 v0, v1, s4, v0
	v_cvt_i32_f32_e32 v0, v0
.LBB22_1572:
	s_mov_b64 s[20:21], -1
	s_mov_b64 s[4:5], 0
	s_cbranch_execnz .LBB22_1583
.LBB22_1573:
	s_cmp_gt_i32 s22, 14
	s_cbranch_scc0 .LBB22_1576
; %bb.1574:
	s_cmp_eq_u32 s22, 15
	s_cbranch_scc0 .LBB22_1579
; %bb.1575:
	global_load_ushort v0, v[2:3], off
	s_mov_b64 s[0:1], 0
	s_mov_b64 s[20:21], -1
	s_waitcnt vmcnt(0)
	v_lshlrev_b32_e32 v0, 16, v0
	v_cvt_i32_f32_e32 v0, v0
	s_branch .LBB22_1580
.LBB22_1576:
	s_mov_b64 s[18:19], -1
                                        ; implicit-def: $vgpr0
	s_branch .LBB22_1581
.LBB22_1577:
	s_andn2_saveexec_b64 s[4:5], s[4:5]
	s_cbranch_execz .LBB22_1559
.LBB22_1578:
	v_cmp_ne_u16_e32 vcc, 0, v1
	s_andn2_b64 s[18:19], s[18:19], exec
	s_and_b64 s[20:21], vcc, exec
	s_or_b64 s[18:19], s[18:19], s[20:21]
	s_or_b64 exec, exec, s[4:5]
	v_mov_b32_e32 v0, 0
	s_and_saveexec_b64 s[4:5], s[18:19]
	s_cbranch_execnz .LBB22_1560
	s_branch .LBB22_1561
.LBB22_1579:
	s_mov_b64 s[0:1], -1
                                        ; implicit-def: $vgpr0
.LBB22_1580:
	s_mov_b64 s[18:19], 0
.LBB22_1581:
	s_and_b64 vcc, exec, s[18:19]
	s_cbranch_vccz .LBB22_1583
; %bb.1582:
	s_cmp_lg_u32 s22, 11
	s_mov_b64 s[4:5], -1
	s_cselect_b64 s[0:1], -1, 0
.LBB22_1583:
	s_and_b64 vcc, exec, s[0:1]
	s_mov_b64 s[18:19], s[16:17]
	s_cbranch_vccnz .LBB22_1644
; %bb.1584:
	s_andn2_b64 vcc, exec, s[4:5]
	s_cbranch_vccnz .LBB22_1586
.LBB22_1585:
	global_load_ubyte v0, v[2:3], off
	s_mov_b64 s[20:21], -1
	s_waitcnt vmcnt(0)
	v_cmp_ne_u16_e32 vcc, 0, v0
	v_cndmask_b32_e64 v0, 0, 1, vcc
.LBB22_1586:
	s_branch .LBB22_1521
.LBB22_1587:
	s_and_b32 s4, 0xffff, s24
	s_cmp_lt_i32 s4, 5
	s_cbranch_scc1 .LBB22_1592
; %bb.1588:
	s_cmp_lt_i32 s4, 8
	s_cbranch_scc1 .LBB22_1593
; %bb.1589:
	;; [unrolled: 3-line block ×3, first 2 shown]
	s_cmp_gt_i32 s4, 9
	s_cbranch_scc0 .LBB22_1595
; %bb.1591:
	global_load_dwordx2 v[0:1], v[2:3], off
	s_mov_b64 s[0:1], 0
	s_waitcnt vmcnt(0)
	v_cvt_i32_f64_e32 v0, v[0:1]
	s_branch .LBB22_1596
.LBB22_1592:
                                        ; implicit-def: $vgpr0
	s_branch .LBB22_1613
.LBB22_1593:
                                        ; implicit-def: $vgpr0
	s_branch .LBB22_1602
.LBB22_1594:
	s_mov_b64 s[0:1], -1
                                        ; implicit-def: $vgpr0
	s_branch .LBB22_1599
.LBB22_1595:
	s_mov_b64 s[0:1], -1
                                        ; implicit-def: $vgpr0
.LBB22_1596:
	s_andn2_b64 vcc, exec, s[0:1]
	s_cbranch_vccnz .LBB22_1598
; %bb.1597:
	global_load_dword v0, v[2:3], off
	s_waitcnt vmcnt(0)
	v_cvt_i32_f32_e32 v0, v0
.LBB22_1598:
	s_mov_b64 s[0:1], 0
.LBB22_1599:
	s_andn2_b64 vcc, exec, s[0:1]
	s_cbranch_vccnz .LBB22_1601
; %bb.1600:
	global_load_dword v0, v[2:3], off
	s_waitcnt vmcnt(0)
	v_cvt_i16_f16_e32 v0, v0
.LBB22_1601:
	s_cbranch_execnz .LBB22_1612
.LBB22_1602:
	s_cmp_lt_i32 s4, 6
	s_cbranch_scc1 .LBB22_1605
; %bb.1603:
	s_cmp_gt_i32 s4, 6
	s_cbranch_scc0 .LBB22_1606
; %bb.1604:
	global_load_dwordx2 v[0:1], v[2:3], off
	s_mov_b64 s[0:1], 0
	s_waitcnt vmcnt(0)
	v_cvt_i32_f64_e32 v0, v[0:1]
	s_branch .LBB22_1607
.LBB22_1605:
	s_mov_b64 s[0:1], -1
                                        ; implicit-def: $vgpr0
	s_branch .LBB22_1610
.LBB22_1606:
	s_mov_b64 s[0:1], -1
                                        ; implicit-def: $vgpr0
.LBB22_1607:
	s_andn2_b64 vcc, exec, s[0:1]
	s_cbranch_vccnz .LBB22_1609
; %bb.1608:
	global_load_dword v0, v[2:3], off
	s_waitcnt vmcnt(0)
	v_cvt_i32_f32_e32 v0, v0
.LBB22_1609:
	s_mov_b64 s[0:1], 0
.LBB22_1610:
	s_andn2_b64 vcc, exec, s[0:1]
	s_cbranch_vccnz .LBB22_1612
; %bb.1611:
	global_load_ushort v0, v[2:3], off
	s_waitcnt vmcnt(0)
	v_cvt_i16_f16_e32 v0, v0
.LBB22_1612:
	s_cbranch_execnz .LBB22_1631
.LBB22_1613:
	s_cmp_lt_i32 s4, 2
	s_cbranch_scc1 .LBB22_1617
; %bb.1614:
	s_cmp_lt_i32 s4, 3
	s_cbranch_scc1 .LBB22_1618
; %bb.1615:
	s_cmp_gt_i32 s4, 3
	s_cbranch_scc0 .LBB22_1619
; %bb.1616:
	global_load_dwordx2 v[0:1], v[2:3], off
	s_mov_b64 s[0:1], 0
	s_branch .LBB22_1620
.LBB22_1617:
                                        ; implicit-def: $vgpr0
	s_branch .LBB22_1626
.LBB22_1618:
	s_mov_b64 s[0:1], -1
                                        ; implicit-def: $vgpr0
	s_branch .LBB22_1623
.LBB22_1619:
	s_mov_b64 s[0:1], -1
                                        ; implicit-def: $vgpr0
.LBB22_1620:
	s_andn2_b64 vcc, exec, s[0:1]
	s_cbranch_vccnz .LBB22_1622
; %bb.1621:
	global_load_dword v0, v[2:3], off
.LBB22_1622:
	s_mov_b64 s[0:1], 0
.LBB22_1623:
	s_andn2_b64 vcc, exec, s[0:1]
	s_cbranch_vccnz .LBB22_1625
; %bb.1624:
	global_load_ushort v0, v[2:3], off
.LBB22_1625:
	s_cbranch_execnz .LBB22_1631
.LBB22_1626:
	s_cmp_gt_i32 s4, 0
	s_cbranch_scc0 .LBB22_1628
; %bb.1627:
	global_load_ubyte v0, v[2:3], off
	s_mov_b64 s[0:1], 0
	s_branch .LBB22_1629
.LBB22_1628:
	s_mov_b64 s[0:1], -1
                                        ; implicit-def: $vgpr0
.LBB22_1629:
	s_andn2_b64 vcc, exec, s[0:1]
	s_cbranch_vccnz .LBB22_1631
; %bb.1630:
	global_load_ubyte v0, v[2:3], off
.LBB22_1631:
.LBB22_1632:
	v_mul_lo_u32 v6, s14, v14
	v_mov_b32_e32 v2, s3
	s_and_b32 s25, s56, 0xff
	s_cmp_lt_i32 s25, 11
	v_ashrrev_i32_e32 v3, 31, v6
	s_waitcnt vmcnt(0)
	v_add_co_u32_e32 v1, vcc, s2, v6
	v_addc_co_u32_e32 v2, vcc, v2, v3, vcc
	s_cbranch_scc1 .LBB22_1639
; %bb.1633:
	s_and_b32 s26, 0xffff, s25
	s_cmp_gt_i32 s26, 25
	s_mov_b64 s[4:5], 0
	s_cbranch_scc0 .LBB22_1641
; %bb.1634:
	s_cmp_gt_i32 s26, 28
	s_cbranch_scc0 .LBB22_1642
; %bb.1635:
	s_cmp_gt_i32 s26, 43
	;; [unrolled: 3-line block ×3, first 2 shown]
	s_cbranch_scc0 .LBB22_1645
; %bb.1637:
	s_cmp_eq_u32 s26, 46
	s_mov_b64 s[22:23], 0
	s_cbranch_scc0 .LBB22_1648
; %bb.1638:
	global_load_dword v3, v[1:2], off
	s_mov_b64 s[0:1], 0
	s_mov_b64 s[20:21], -1
	s_waitcnt vmcnt(0)
	v_lshlrev_b32_e32 v3, 16, v3
	v_cvt_i32_f32_e32 v3, v3
	s_branch .LBB22_1649
.LBB22_1639:
	s_mov_b64 s[20:21], 0
                                        ; implicit-def: $vgpr3
	s_cbranch_execnz .LBB22_1710
.LBB22_1640:
	s_andn2_b64 vcc, exec, s[20:21]
	s_cbranch_vccnz .LBB22_2947
	s_branch .LBB22_1757
.LBB22_1641:
	s_mov_b64 s[20:21], 0
	s_mov_b64 s[0:1], 0
                                        ; implicit-def: $vgpr3
	s_cbranch_execnz .LBB22_1676
	s_branch .LBB22_1706
.LBB22_1642:
	s_mov_b64 s[22:23], -1
	s_mov_b64 s[20:21], 0
	s_mov_b64 s[0:1], 0
                                        ; implicit-def: $vgpr3
	s_branch .LBB22_1659
.LBB22_1643:
	s_mov_b64 s[22:23], -1
	s_mov_b64 s[20:21], 0
	s_mov_b64 s[0:1], 0
                                        ; implicit-def: $vgpr3
	s_branch .LBB22_1654
.LBB22_1644:
	s_or_b64 s[18:19], s[16:17], exec
	s_trap 2
	s_cbranch_execz .LBB22_1585
	s_branch .LBB22_1586
.LBB22_1645:
	s_mov_b64 s[22:23], -1
	s_mov_b64 s[20:21], 0
	s_mov_b64 s[0:1], 0
                                        ; implicit-def: $vgpr3
	s_branch .LBB22_1649
.LBB22_1646:
	s_andn2_saveexec_b64 s[30:31], s[30:31]
	s_cbranch_execz .LBB22_1433
.LBB22_1647:
	v_add_f32_e32 v0, 0x42800000, v3
	v_and_b32_e32 v0, 0xff, v0
	v_cmp_ne_u32_e32 vcc, 0, v0
	s_andn2_b64 s[28:29], s[28:29], exec
	s_and_b64 s[36:37], vcc, exec
	s_or_b64 s[28:29], s[28:29], s[36:37]
	s_or_b64 exec, exec, s[30:31]
	v_mov_b32_e32 v4, 0
	s_and_saveexec_b64 s[30:31], s[28:29]
	s_cbranch_execnz .LBB22_1434
	s_branch .LBB22_1435
.LBB22_1648:
	s_mov_b64 s[0:1], -1
                                        ; implicit-def: $vgpr3
	s_mov_b64 s[20:21], 0
.LBB22_1649:
	s_and_b64 vcc, exec, s[22:23]
	s_cbranch_vccz .LBB22_1653
; %bb.1650:
	s_cmp_eq_u32 s26, 44
	s_cbranch_scc0 .LBB22_1652
; %bb.1651:
	global_load_ubyte v3, v[1:2], off
	s_mov_b64 s[0:1], 0
	s_mov_b64 s[20:21], -1
	s_waitcnt vmcnt(0)
	v_lshlrev_b32_e32 v4, 23, v3
	v_cvt_i32_f32_e32 v4, v4
	v_cmp_ne_u32_e32 vcc, 0, v3
	v_cndmask_b32_e32 v3, 0, v4, vcc
	s_branch .LBB22_1653
.LBB22_1652:
	s_mov_b64 s[0:1], -1
                                        ; implicit-def: $vgpr3
.LBB22_1653:
	s_mov_b64 s[22:23], 0
.LBB22_1654:
	s_and_b64 vcc, exec, s[22:23]
	s_cbranch_vccz .LBB22_1658
; %bb.1655:
	s_cmp_eq_u32 s26, 29
	s_cbranch_scc0 .LBB22_1657
; %bb.1656:
	global_load_dwordx2 v[3:4], v[1:2], off
	s_mov_b64 s[0:1], 0
	s_mov_b64 s[20:21], -1
	s_branch .LBB22_1658
.LBB22_1657:
	s_mov_b64 s[0:1], -1
                                        ; implicit-def: $vgpr3
.LBB22_1658:
	s_mov_b64 s[22:23], 0
.LBB22_1659:
	s_and_b64 vcc, exec, s[22:23]
	s_cbranch_vccz .LBB22_1675
; %bb.1660:
	s_cmp_lt_i32 s26, 27
	s_cbranch_scc1 .LBB22_1663
; %bb.1661:
	s_cmp_gt_i32 s26, 27
	s_cbranch_scc0 .LBB22_1664
; %bb.1662:
	global_load_dword v3, v[1:2], off
	s_mov_b64 s[20:21], 0
	s_branch .LBB22_1665
.LBB22_1663:
	s_mov_b64 s[20:21], -1
                                        ; implicit-def: $vgpr3
	s_branch .LBB22_1668
.LBB22_1664:
	s_mov_b64 s[20:21], -1
                                        ; implicit-def: $vgpr3
.LBB22_1665:
	s_andn2_b64 vcc, exec, s[20:21]
	s_cbranch_vccnz .LBB22_1667
; %bb.1666:
	global_load_ushort v3, v[1:2], off
.LBB22_1667:
	s_mov_b64 s[20:21], 0
.LBB22_1668:
	s_andn2_b64 vcc, exec, s[20:21]
	s_cbranch_vccnz .LBB22_1674
; %bb.1669:
	global_load_ubyte v4, v[1:2], off
	s_movk_i32 s20, 0x7f
	s_mov_b64 s[22:23], 0
	s_waitcnt vmcnt(0)
	v_cmp_lt_i16_e32 vcc, s20, v4
	s_and_saveexec_b64 s[20:21], vcc
	s_xor_b64 s[20:21], exec, s[20:21]
	s_cbranch_execz .LBB22_1685
; %bb.1670:
	s_movk_i32 s22, 0x80
	v_cmp_ne_u16_e32 vcc, s22, v4
	s_and_b64 s[22:23], vcc, exec
	s_andn2_saveexec_b64 s[20:21], s[20:21]
	s_cbranch_execnz .LBB22_1686
.LBB22_1671:
	s_or_b64 exec, exec, s[20:21]
	v_mov_b32_e32 v3, 0
	s_and_saveexec_b64 s[20:21], s[22:23]
	s_cbranch_execz .LBB22_1673
.LBB22_1672:
	v_lshlrev_b32_e32 v3, 24, v4
	v_and_b32_e32 v4, 0xffff, v4
	v_and_b32_e32 v7, 7, v4
	v_ffbh_u32_e32 v9, v7
	v_min_u32_e32 v9, 32, v9
	v_subrev_u32_e32 v10, 28, v9
	v_bfe_u32 v8, v4, 3, 4
	v_lshlrev_b32_e32 v4, v10, v4
	v_sub_u32_e32 v9, 29, v9
	v_and_b32_e32 v4, 7, v4
	v_cmp_eq_u32_e32 vcc, 0, v8
	v_cndmask_b32_e32 v8, v8, v9, vcc
	v_cndmask_b32_e32 v4, v7, v4, vcc
	v_mov_b32_e32 v7, 0x3b800000
	v_lshlrev_b32_e32 v4, 20, v4
	v_and_b32_e32 v3, 0x80000000, v3
	v_lshl_add_u32 v7, v8, 23, v7
	v_or3_b32 v3, v3, v7, v4
	v_cvt_i32_f32_e32 v3, v3
.LBB22_1673:
	s_or_b64 exec, exec, s[20:21]
.LBB22_1674:
	s_mov_b64 s[20:21], -1
.LBB22_1675:
	s_branch .LBB22_1706
.LBB22_1676:
	s_cmp_gt_i32 s26, 22
	s_cbranch_scc0 .LBB22_1684
; %bb.1677:
	s_cmp_lt_i32 s26, 24
	s_cbranch_scc1 .LBB22_1687
; %bb.1678:
	s_cmp_gt_i32 s26, 24
	s_cbranch_scc0 .LBB22_1688
; %bb.1679:
	global_load_ubyte v4, v[1:2], off
	s_movk_i32 s4, 0x7f
	s_mov_b64 s[20:21], 0
	s_waitcnt vmcnt(0)
	v_cmp_lt_i16_e32 vcc, s4, v4
	s_and_saveexec_b64 s[4:5], vcc
	s_xor_b64 s[4:5], exec, s[4:5]
	s_cbranch_execz .LBB22_1700
; %bb.1680:
	s_movk_i32 s20, 0x80
	v_cmp_ne_u16_e32 vcc, s20, v4
	s_and_b64 s[20:21], vcc, exec
	s_andn2_saveexec_b64 s[4:5], s[4:5]
	s_cbranch_execnz .LBB22_1701
.LBB22_1681:
	s_or_b64 exec, exec, s[4:5]
	v_mov_b32_e32 v3, 0
	s_and_saveexec_b64 s[4:5], s[20:21]
	s_cbranch_execz .LBB22_1683
.LBB22_1682:
	v_lshlrev_b32_e32 v3, 24, v4
	v_and_b32_e32 v4, 0xffff, v4
	v_and_b32_e32 v7, 3, v4
	v_ffbh_u32_e32 v9, v7
	v_min_u32_e32 v9, 32, v9
	v_subrev_u32_e32 v10, 29, v9
	v_bfe_u32 v8, v4, 2, 5
	v_lshlrev_b32_e32 v4, v10, v4
	v_sub_u32_e32 v9, 30, v9
	v_and_b32_e32 v4, 3, v4
	v_cmp_eq_u32_e32 vcc, 0, v8
	v_cndmask_b32_e32 v8, v8, v9, vcc
	v_cndmask_b32_e32 v4, v7, v4, vcc
	v_mov_b32_e32 v7, 0x37800000
	v_lshlrev_b32_e32 v4, 21, v4
	v_and_b32_e32 v3, 0x80000000, v3
	v_lshl_add_u32 v7, v8, 23, v7
	v_or3_b32 v3, v3, v7, v4
	v_cvt_i32_f32_e32 v3, v3
.LBB22_1683:
	s_or_b64 exec, exec, s[4:5]
	s_mov_b64 s[4:5], 0
	s_branch .LBB22_1689
.LBB22_1684:
	s_mov_b64 s[4:5], -1
                                        ; implicit-def: $vgpr3
	s_branch .LBB22_1695
.LBB22_1685:
	s_andn2_saveexec_b64 s[20:21], s[20:21]
	s_cbranch_execz .LBB22_1671
.LBB22_1686:
	v_cmp_ne_u16_e32 vcc, 0, v4
	s_andn2_b64 s[22:23], s[22:23], exec
	s_and_b64 s[28:29], vcc, exec
	s_or_b64 s[22:23], s[22:23], s[28:29]
	s_or_b64 exec, exec, s[20:21]
	v_mov_b32_e32 v3, 0
	s_and_saveexec_b64 s[20:21], s[22:23]
	s_cbranch_execnz .LBB22_1672
	s_branch .LBB22_1673
.LBB22_1687:
	s_mov_b64 s[4:5], -1
                                        ; implicit-def: $vgpr3
	s_branch .LBB22_1692
.LBB22_1688:
	s_mov_b64 s[4:5], -1
                                        ; implicit-def: $vgpr3
.LBB22_1689:
	s_and_b64 vcc, exec, s[4:5]
	s_cbranch_vccz .LBB22_1691
; %bb.1690:
	global_load_ubyte v3, v[1:2], off
	s_mov_b32 s4, 0x7f800000
	s_waitcnt vmcnt(0)
	v_lshlrev_b32_e32 v3, 24, v3
	v_and_b32_e32 v4, 0x7f000000, v3
	v_ffbh_u32_e32 v7, v4
	v_min_u32_e32 v7, 32, v7
	v_sub_u32_e64 v7, v7, 4 clamp
	v_lshlrev_b32_e32 v9, v7, v4
	v_lshlrev_b32_e32 v7, 23, v7
	v_lshrrev_b32_e32 v9, 4, v9
	v_add_u32_e32 v8, 0x1000000, v4
	v_sub_u32_e32 v7, v9, v7
	v_ashrrev_i32_e32 v8, 8, v8
	v_add_u32_e32 v7, 0x3c000000, v7
	v_and_or_b32 v7, v8, s4, v7
	v_cmp_ne_u32_e32 vcc, 0, v4
	v_cndmask_b32_e32 v4, 0, v7, vcc
	s_brev_b32 s4, 1
	v_and_or_b32 v3, v3, s4, v4
	v_cvt_i32_f32_e32 v3, v3
.LBB22_1691:
	s_mov_b64 s[4:5], 0
.LBB22_1692:
	s_andn2_b64 vcc, exec, s[4:5]
	s_cbranch_vccnz .LBB22_1694
; %bb.1693:
	global_load_ubyte v3, v[1:2], off
	s_movk_i32 s4, 0x7f00
	s_brev_b32 s5, 16
	s_waitcnt vmcnt(0)
	v_lshlrev_b16_e32 v4, 8, v3
	v_lshlrev_b32_e32 v3, 25, v3
	v_lshrrev_b32_e32 v7, 4, v3
	v_and_or_b32 v8, v4, s4, 0.5
	v_or_b32_e32 v7, 0x70000000, v7
	v_add_f32_e32 v8, -0.5, v8
	v_mul_f32_e32 v7, 0x7800000, v7
	v_cmp_gt_u32_e32 vcc, s5, v3
	v_bfe_i32 v4, v4, 0, 16
	v_cndmask_b32_e32 v3, v7, v8, vcc
	s_brev_b32 s4, 1
	v_and_or_b32 v3, v4, s4, v3
	v_cvt_i32_f32_e32 v3, v3
.LBB22_1694:
	s_mov_b64 s[4:5], 0
	s_mov_b64 s[20:21], -1
.LBB22_1695:
	s_andn2_b64 vcc, exec, s[4:5]
	s_mov_b64 s[4:5], 0
	s_cbranch_vccnz .LBB22_1706
; %bb.1696:
	s_cmp_gt_i32 s26, 14
	s_cbranch_scc0 .LBB22_1699
; %bb.1697:
	s_cmp_eq_u32 s26, 15
	s_cbranch_scc0 .LBB22_1702
; %bb.1698:
	global_load_ushort v3, v[1:2], off
	s_mov_b64 s[0:1], 0
	s_mov_b64 s[20:21], -1
	s_waitcnt vmcnt(0)
	v_lshlrev_b32_e32 v3, 16, v3
	v_cvt_i32_f32_e32 v3, v3
	s_branch .LBB22_1703
.LBB22_1699:
	s_mov_b64 s[22:23], -1
                                        ; implicit-def: $vgpr3
	s_branch .LBB22_1704
.LBB22_1700:
	s_andn2_saveexec_b64 s[4:5], s[4:5]
	s_cbranch_execz .LBB22_1681
.LBB22_1701:
	v_cmp_ne_u16_e32 vcc, 0, v4
	s_andn2_b64 s[20:21], s[20:21], exec
	s_and_b64 s[22:23], vcc, exec
	s_or_b64 s[20:21], s[20:21], s[22:23]
	s_or_b64 exec, exec, s[4:5]
	v_mov_b32_e32 v3, 0
	s_and_saveexec_b64 s[4:5], s[20:21]
	s_cbranch_execnz .LBB22_1682
	s_branch .LBB22_1683
.LBB22_1702:
	s_mov_b64 s[0:1], -1
                                        ; implicit-def: $vgpr3
.LBB22_1703:
	s_mov_b64 s[22:23], 0
.LBB22_1704:
	s_and_b64 vcc, exec, s[22:23]
	s_cbranch_vccz .LBB22_1706
; %bb.1705:
	s_cmp_lg_u32 s26, 11
	s_mov_b64 s[4:5], -1
	s_cselect_b64 s[0:1], -1, 0
.LBB22_1706:
	s_and_b64 vcc, exec, s[0:1]
	s_cbranch_vccnz .LBB22_1769
; %bb.1707:
	s_andn2_b64 vcc, exec, s[4:5]
	s_cbranch_vccnz .LBB22_1709
.LBB22_1708:
	global_load_ubyte v3, v[1:2], off
	s_mov_b64 s[20:21], -1
	s_waitcnt vmcnt(0)
	v_cmp_ne_u16_e32 vcc, 0, v3
	v_cndmask_b32_e64 v3, 0, 1, vcc
.LBB22_1709:
	s_branch .LBB22_1640
.LBB22_1710:
	s_and_b32 s4, 0xffff, s25
	s_cmp_lt_i32 s4, 5
	s_cbranch_scc1 .LBB22_1715
; %bb.1711:
	s_cmp_lt_i32 s4, 8
	s_cbranch_scc1 .LBB22_1716
; %bb.1712:
	s_cmp_lt_i32 s4, 9
	s_cbranch_scc1 .LBB22_1717
; %bb.1713:
	s_cmp_gt_i32 s4, 9
	s_cbranch_scc0 .LBB22_1718
; %bb.1714:
	global_load_dwordx2 v[3:4], v[1:2], off
	s_mov_b64 s[0:1], 0
	s_waitcnt vmcnt(0)
	v_cvt_i32_f64_e32 v3, v[3:4]
	s_branch .LBB22_1719
.LBB22_1715:
                                        ; implicit-def: $vgpr3
	s_branch .LBB22_1737
.LBB22_1716:
	s_mov_b64 s[0:1], -1
                                        ; implicit-def: $vgpr3
	s_branch .LBB22_1725
.LBB22_1717:
	s_mov_b64 s[0:1], -1
                                        ; implicit-def: $vgpr3
	s_branch .LBB22_1722
.LBB22_1718:
	s_mov_b64 s[0:1], -1
                                        ; implicit-def: $vgpr3
.LBB22_1719:
	s_andn2_b64 vcc, exec, s[0:1]
	s_cbranch_vccnz .LBB22_1721
; %bb.1720:
	global_load_dword v3, v[1:2], off
	s_waitcnt vmcnt(0)
	v_cvt_i32_f32_e32 v3, v3
.LBB22_1721:
	s_mov_b64 s[0:1], 0
.LBB22_1722:
	s_andn2_b64 vcc, exec, s[0:1]
	s_cbranch_vccnz .LBB22_1724
; %bb.1723:
	global_load_dword v3, v[1:2], off
	s_waitcnt vmcnt(0)
	v_cvt_i16_f16_e32 v3, v3
.LBB22_1724:
	s_mov_b64 s[0:1], 0
.LBB22_1725:
	s_andn2_b64 vcc, exec, s[0:1]
	s_cbranch_vccnz .LBB22_1736
; %bb.1726:
	s_cmp_lt_i32 s4, 6
	s_cbranch_scc1 .LBB22_1729
; %bb.1727:
	s_cmp_gt_i32 s4, 6
	s_cbranch_scc0 .LBB22_1730
; %bb.1728:
	global_load_dwordx2 v[3:4], v[1:2], off
	s_mov_b64 s[0:1], 0
	s_waitcnt vmcnt(0)
	v_cvt_i32_f64_e32 v3, v[3:4]
	s_branch .LBB22_1731
.LBB22_1729:
	s_mov_b64 s[0:1], -1
                                        ; implicit-def: $vgpr3
	s_branch .LBB22_1734
.LBB22_1730:
	s_mov_b64 s[0:1], -1
                                        ; implicit-def: $vgpr3
.LBB22_1731:
	s_andn2_b64 vcc, exec, s[0:1]
	s_cbranch_vccnz .LBB22_1733
; %bb.1732:
	global_load_dword v3, v[1:2], off
	s_waitcnt vmcnt(0)
	v_cvt_i32_f32_e32 v3, v3
.LBB22_1733:
	s_mov_b64 s[0:1], 0
.LBB22_1734:
	s_andn2_b64 vcc, exec, s[0:1]
	s_cbranch_vccnz .LBB22_1736
; %bb.1735:
	global_load_ushort v3, v[1:2], off
	s_waitcnt vmcnt(0)
	v_cvt_i16_f16_e32 v3, v3
.LBB22_1736:
	s_cbranch_execnz .LBB22_1756
.LBB22_1737:
	s_cmp_lt_i32 s4, 2
	s_cbranch_scc1 .LBB22_1741
; %bb.1738:
	s_cmp_lt_i32 s4, 3
	s_cbranch_scc1 .LBB22_1742
; %bb.1739:
	s_cmp_gt_i32 s4, 3
	s_cbranch_scc0 .LBB22_1743
; %bb.1740:
	global_load_dwordx2 v[3:4], v[1:2], off
	s_mov_b64 s[0:1], 0
	s_branch .LBB22_1744
.LBB22_1741:
	s_mov_b64 s[0:1], -1
                                        ; implicit-def: $vgpr3
	s_branch .LBB22_1750
.LBB22_1742:
	s_mov_b64 s[0:1], -1
                                        ; implicit-def: $vgpr3
	s_branch .LBB22_1747
.LBB22_1743:
	s_mov_b64 s[0:1], -1
                                        ; implicit-def: $vgpr3
.LBB22_1744:
	s_andn2_b64 vcc, exec, s[0:1]
	s_cbranch_vccnz .LBB22_1746
; %bb.1745:
	global_load_dword v3, v[1:2], off
.LBB22_1746:
	s_mov_b64 s[0:1], 0
.LBB22_1747:
	s_andn2_b64 vcc, exec, s[0:1]
	s_cbranch_vccnz .LBB22_1749
; %bb.1748:
	global_load_ushort v3, v[1:2], off
.LBB22_1749:
	s_mov_b64 s[0:1], 0
.LBB22_1750:
	s_andn2_b64 vcc, exec, s[0:1]
	s_cbranch_vccnz .LBB22_1756
; %bb.1751:
	s_cmp_gt_i32 s4, 0
	s_cbranch_scc0 .LBB22_1753
; %bb.1752:
	global_load_ubyte v3, v[1:2], off
	s_mov_b64 s[0:1], 0
	s_branch .LBB22_1754
.LBB22_1753:
	s_mov_b64 s[0:1], -1
                                        ; implicit-def: $vgpr3
.LBB22_1754:
	s_andn2_b64 vcc, exec, s[0:1]
	s_cbranch_vccnz .LBB22_1756
; %bb.1755:
	global_load_ubyte v3, v[1:2], off
.LBB22_1756:
.LBB22_1757:
	s_lshl_b32 s13, s13, 7
	v_add_u32_e32 v8, s13, v5
	v_ashrrev_i32_e32 v1, 31, v8
	v_mov_b32_e32 v2, s11
	s_waitcnt vmcnt(0)
	v_add_co_u32_e32 v4, vcc, s10, v8
	s_cmp_lt_i32 s24, 11
	v_addc_co_u32_e32 v5, vcc, v2, v1, vcc
	s_cbranch_scc1 .LBB22_1764
; %bb.1758:
	s_and_b32 s26, 0xffff, s24
	s_cmp_gt_i32 s26, 25
	s_mov_b64 s[4:5], 0
	s_cbranch_scc0 .LBB22_1766
; %bb.1759:
	s_cmp_gt_i32 s26, 28
	s_cbranch_scc0 .LBB22_1767
; %bb.1760:
	s_cmp_gt_i32 s26, 43
	;; [unrolled: 3-line block ×3, first 2 shown]
	s_cbranch_scc0 .LBB22_1770
; %bb.1762:
	s_cmp_eq_u32 s26, 46
	s_mov_b64 s[22:23], 0
	s_cbranch_scc0 .LBB22_1771
; %bb.1763:
	global_load_dword v1, v[4:5], off
	s_mov_b64 s[0:1], 0
	s_mov_b64 s[20:21], -1
	s_waitcnt vmcnt(0)
	v_lshlrev_b32_e32 v1, 16, v1
	v_cvt_i32_f32_e32 v1, v1
	s_branch .LBB22_1772
.LBB22_1764:
	s_mov_b64 s[20:21], 0
                                        ; implicit-def: $vgpr1
	s_cbranch_execnz .LBB22_1834
.LBB22_1765:
	s_andn2_b64 vcc, exec, s[20:21]
	s_cbranch_vccnz .LBB22_2947
	s_branch .LBB22_1882
.LBB22_1766:
	s_mov_b64 s[22:23], -1
	s_mov_b64 s[20:21], 0
	s_mov_b64 s[0:1], 0
                                        ; implicit-def: $vgpr1
	s_branch .LBB22_1799
.LBB22_1767:
	s_mov_b64 s[22:23], -1
	s_mov_b64 s[20:21], 0
	s_mov_b64 s[0:1], 0
                                        ; implicit-def: $vgpr1
	s_branch .LBB22_1782
.LBB22_1768:
	s_mov_b64 s[22:23], -1
	s_mov_b64 s[20:21], 0
	s_mov_b64 s[0:1], 0
                                        ; implicit-def: $vgpr1
	s_branch .LBB22_1777
.LBB22_1769:
	s_trap 2
	s_or_b64 s[18:19], s[18:19], exec
	s_cbranch_execz .LBB22_1708
	s_branch .LBB22_1709
.LBB22_1770:
	s_mov_b64 s[22:23], -1
	s_mov_b64 s[20:21], 0
	s_mov_b64 s[0:1], 0
                                        ; implicit-def: $vgpr1
	s_branch .LBB22_1772
.LBB22_1771:
	s_mov_b64 s[0:1], -1
                                        ; implicit-def: $vgpr1
	s_mov_b64 s[20:21], 0
.LBB22_1772:
	s_and_b64 vcc, exec, s[22:23]
	s_cbranch_vccz .LBB22_1776
; %bb.1773:
	s_cmp_eq_u32 s26, 44
	s_cbranch_scc0 .LBB22_1775
; %bb.1774:
	global_load_ubyte v1, v[4:5], off
	s_mov_b64 s[0:1], 0
	s_mov_b64 s[20:21], -1
	s_waitcnt vmcnt(0)
	v_lshlrev_b32_e32 v2, 23, v1
	v_cvt_i32_f32_e32 v2, v2
	v_cmp_ne_u32_e32 vcc, 0, v1
	v_cndmask_b32_e32 v1, 0, v2, vcc
	s_branch .LBB22_1776
.LBB22_1775:
	s_mov_b64 s[0:1], -1
                                        ; implicit-def: $vgpr1
.LBB22_1776:
	s_mov_b64 s[22:23], 0
.LBB22_1777:
	s_and_b64 vcc, exec, s[22:23]
	s_cbranch_vccz .LBB22_1781
; %bb.1778:
	s_cmp_eq_u32 s26, 29
	s_cbranch_scc0 .LBB22_1780
; %bb.1779:
	global_load_dwordx2 v[1:2], v[4:5], off
	s_mov_b64 s[0:1], 0
	s_mov_b64 s[20:21], -1
	s_branch .LBB22_1781
.LBB22_1780:
	s_mov_b64 s[0:1], -1
                                        ; implicit-def: $vgpr1
.LBB22_1781:
	s_mov_b64 s[22:23], 0
.LBB22_1782:
	s_and_b64 vcc, exec, s[22:23]
	s_cbranch_vccz .LBB22_1798
; %bb.1783:
	s_cmp_lt_i32 s26, 27
	s_cbranch_scc1 .LBB22_1786
; %bb.1784:
	s_cmp_gt_i32 s26, 27
	s_cbranch_scc0 .LBB22_1787
; %bb.1785:
	global_load_dword v1, v[4:5], off
	s_mov_b64 s[20:21], 0
	s_branch .LBB22_1788
.LBB22_1786:
	s_mov_b64 s[20:21], -1
                                        ; implicit-def: $vgpr1
	s_branch .LBB22_1791
.LBB22_1787:
	s_mov_b64 s[20:21], -1
                                        ; implicit-def: $vgpr1
.LBB22_1788:
	s_andn2_b64 vcc, exec, s[20:21]
	s_cbranch_vccnz .LBB22_1790
; %bb.1789:
	global_load_ushort v1, v[4:5], off
.LBB22_1790:
	s_mov_b64 s[20:21], 0
.LBB22_1791:
	s_andn2_b64 vcc, exec, s[20:21]
	s_cbranch_vccnz .LBB22_1797
; %bb.1792:
	global_load_ubyte v2, v[4:5], off
	s_movk_i32 s20, 0x7f
	s_mov_b64 s[22:23], 0
	s_waitcnt vmcnt(0)
	v_cmp_lt_i16_e32 vcc, s20, v2
	s_and_saveexec_b64 s[20:21], vcc
	s_xor_b64 s[20:21], exec, s[20:21]
	s_cbranch_execz .LBB22_1809
; %bb.1793:
	s_movk_i32 s22, 0x80
	v_cmp_ne_u16_e32 vcc, s22, v2
	s_and_b64 s[22:23], vcc, exec
	s_andn2_saveexec_b64 s[20:21], s[20:21]
	s_cbranch_execnz .LBB22_1810
.LBB22_1794:
	s_or_b64 exec, exec, s[20:21]
	v_mov_b32_e32 v1, 0
	s_and_saveexec_b64 s[20:21], s[22:23]
	s_cbranch_execz .LBB22_1796
.LBB22_1795:
	v_lshlrev_b32_e32 v1, 24, v2
	v_and_b32_e32 v2, 0xffff, v2
	v_and_b32_e32 v7, 7, v2
	v_ffbh_u32_e32 v10, v7
	v_min_u32_e32 v10, 32, v10
	v_subrev_u32_e32 v11, 28, v10
	v_bfe_u32 v9, v2, 3, 4
	v_lshlrev_b32_e32 v2, v11, v2
	v_sub_u32_e32 v10, 29, v10
	v_and_b32_e32 v2, 7, v2
	v_cmp_eq_u32_e32 vcc, 0, v9
	v_cndmask_b32_e32 v9, v9, v10, vcc
	v_cndmask_b32_e32 v2, v7, v2, vcc
	v_mov_b32_e32 v7, 0x3b800000
	v_lshlrev_b32_e32 v2, 20, v2
	v_and_b32_e32 v1, 0x80000000, v1
	v_lshl_add_u32 v7, v9, 23, v7
	v_or3_b32 v1, v1, v7, v2
	v_cvt_i32_f32_e32 v1, v1
.LBB22_1796:
	s_or_b64 exec, exec, s[20:21]
.LBB22_1797:
	s_mov_b64 s[20:21], -1
.LBB22_1798:
	s_mov_b64 s[22:23], 0
.LBB22_1799:
	s_and_b64 vcc, exec, s[22:23]
	s_cbranch_vccz .LBB22_1830
; %bb.1800:
	s_cmp_gt_i32 s26, 22
	s_cbranch_scc0 .LBB22_1808
; %bb.1801:
	s_cmp_lt_i32 s26, 24
	s_cbranch_scc1 .LBB22_1811
; %bb.1802:
	s_cmp_gt_i32 s26, 24
	s_cbranch_scc0 .LBB22_1812
; %bb.1803:
	global_load_ubyte v2, v[4:5], off
	s_movk_i32 s4, 0x7f
	s_mov_b64 s[20:21], 0
	s_waitcnt vmcnt(0)
	v_cmp_lt_i16_e32 vcc, s4, v2
	s_and_saveexec_b64 s[4:5], vcc
	s_xor_b64 s[4:5], exec, s[4:5]
	s_cbranch_execz .LBB22_1824
; %bb.1804:
	s_movk_i32 s20, 0x80
	v_cmp_ne_u16_e32 vcc, s20, v2
	s_and_b64 s[20:21], vcc, exec
	s_andn2_saveexec_b64 s[4:5], s[4:5]
	s_cbranch_execnz .LBB22_1825
.LBB22_1805:
	s_or_b64 exec, exec, s[4:5]
	v_mov_b32_e32 v1, 0
	s_and_saveexec_b64 s[4:5], s[20:21]
	s_cbranch_execz .LBB22_1807
.LBB22_1806:
	v_lshlrev_b32_e32 v1, 24, v2
	v_and_b32_e32 v2, 0xffff, v2
	v_and_b32_e32 v7, 3, v2
	v_ffbh_u32_e32 v10, v7
	v_min_u32_e32 v10, 32, v10
	v_subrev_u32_e32 v11, 29, v10
	v_bfe_u32 v9, v2, 2, 5
	v_lshlrev_b32_e32 v2, v11, v2
	v_sub_u32_e32 v10, 30, v10
	v_and_b32_e32 v2, 3, v2
	v_cmp_eq_u32_e32 vcc, 0, v9
	v_cndmask_b32_e32 v9, v9, v10, vcc
	v_cndmask_b32_e32 v2, v7, v2, vcc
	v_mov_b32_e32 v7, 0x37800000
	v_lshlrev_b32_e32 v2, 21, v2
	v_and_b32_e32 v1, 0x80000000, v1
	v_lshl_add_u32 v7, v9, 23, v7
	v_or3_b32 v1, v1, v7, v2
	v_cvt_i32_f32_e32 v1, v1
.LBB22_1807:
	s_or_b64 exec, exec, s[4:5]
	s_mov_b64 s[4:5], 0
	s_branch .LBB22_1813
.LBB22_1808:
	s_mov_b64 s[4:5], -1
                                        ; implicit-def: $vgpr1
	s_branch .LBB22_1819
.LBB22_1809:
	s_andn2_saveexec_b64 s[20:21], s[20:21]
	s_cbranch_execz .LBB22_1794
.LBB22_1810:
	v_cmp_ne_u16_e32 vcc, 0, v2
	s_andn2_b64 s[22:23], s[22:23], exec
	s_and_b64 s[28:29], vcc, exec
	s_or_b64 s[22:23], s[22:23], s[28:29]
	s_or_b64 exec, exec, s[20:21]
	v_mov_b32_e32 v1, 0
	s_and_saveexec_b64 s[20:21], s[22:23]
	s_cbranch_execnz .LBB22_1795
	s_branch .LBB22_1796
.LBB22_1811:
	s_mov_b64 s[4:5], -1
                                        ; implicit-def: $vgpr1
	s_branch .LBB22_1816
.LBB22_1812:
	s_mov_b64 s[4:5], -1
                                        ; implicit-def: $vgpr1
.LBB22_1813:
	s_and_b64 vcc, exec, s[4:5]
	s_cbranch_vccz .LBB22_1815
; %bb.1814:
	global_load_ubyte v1, v[4:5], off
	s_mov_b32 s4, 0x7f800000
	s_waitcnt vmcnt(0)
	v_lshlrev_b32_e32 v1, 24, v1
	v_and_b32_e32 v2, 0x7f000000, v1
	v_ffbh_u32_e32 v7, v2
	v_min_u32_e32 v7, 32, v7
	v_sub_u32_e64 v7, v7, 4 clamp
	v_lshlrev_b32_e32 v10, v7, v2
	v_lshlrev_b32_e32 v7, 23, v7
	v_lshrrev_b32_e32 v10, 4, v10
	v_add_u32_e32 v9, 0x1000000, v2
	v_sub_u32_e32 v7, v10, v7
	v_ashrrev_i32_e32 v9, 8, v9
	v_add_u32_e32 v7, 0x3c000000, v7
	v_and_or_b32 v7, v9, s4, v7
	v_cmp_ne_u32_e32 vcc, 0, v2
	v_cndmask_b32_e32 v2, 0, v7, vcc
	s_brev_b32 s4, 1
	v_and_or_b32 v1, v1, s4, v2
	v_cvt_i32_f32_e32 v1, v1
.LBB22_1815:
	s_mov_b64 s[4:5], 0
.LBB22_1816:
	s_andn2_b64 vcc, exec, s[4:5]
	s_cbranch_vccnz .LBB22_1818
; %bb.1817:
	global_load_ubyte v1, v[4:5], off
	s_movk_i32 s4, 0x7f00
	s_brev_b32 s5, 16
	s_waitcnt vmcnt(0)
	v_lshlrev_b16_e32 v2, 8, v1
	v_lshlrev_b32_e32 v1, 25, v1
	v_lshrrev_b32_e32 v7, 4, v1
	v_and_or_b32 v9, v2, s4, 0.5
	v_or_b32_e32 v7, 0x70000000, v7
	v_add_f32_e32 v9, -0.5, v9
	v_mul_f32_e32 v7, 0x7800000, v7
	v_cmp_gt_u32_e32 vcc, s5, v1
	v_bfe_i32 v2, v2, 0, 16
	v_cndmask_b32_e32 v1, v7, v9, vcc
	s_brev_b32 s4, 1
	v_and_or_b32 v1, v2, s4, v1
	v_cvt_i32_f32_e32 v1, v1
.LBB22_1818:
	s_mov_b64 s[4:5], 0
	s_mov_b64 s[20:21], -1
.LBB22_1819:
	s_andn2_b64 vcc, exec, s[4:5]
	s_mov_b64 s[4:5], 0
	s_cbranch_vccnz .LBB22_1830
; %bb.1820:
	s_cmp_gt_i32 s26, 14
	s_cbranch_scc0 .LBB22_1823
; %bb.1821:
	s_cmp_eq_u32 s26, 15
	s_cbranch_scc0 .LBB22_1826
; %bb.1822:
	global_load_ushort v1, v[4:5], off
	s_mov_b64 s[0:1], 0
	s_mov_b64 s[20:21], -1
	s_waitcnt vmcnt(0)
	v_lshlrev_b32_e32 v1, 16, v1
	v_cvt_i32_f32_e32 v1, v1
	s_branch .LBB22_1827
.LBB22_1823:
	s_mov_b64 s[22:23], -1
                                        ; implicit-def: $vgpr1
	s_branch .LBB22_1828
.LBB22_1824:
	s_andn2_saveexec_b64 s[4:5], s[4:5]
	s_cbranch_execz .LBB22_1805
.LBB22_1825:
	v_cmp_ne_u16_e32 vcc, 0, v2
	s_andn2_b64 s[20:21], s[20:21], exec
	s_and_b64 s[22:23], vcc, exec
	s_or_b64 s[20:21], s[20:21], s[22:23]
	s_or_b64 exec, exec, s[4:5]
	v_mov_b32_e32 v1, 0
	s_and_saveexec_b64 s[4:5], s[20:21]
	s_cbranch_execnz .LBB22_1806
	s_branch .LBB22_1807
.LBB22_1826:
	s_mov_b64 s[0:1], -1
                                        ; implicit-def: $vgpr1
.LBB22_1827:
	s_mov_b64 s[22:23], 0
.LBB22_1828:
	s_and_b64 vcc, exec, s[22:23]
	s_cbranch_vccz .LBB22_1830
; %bb.1829:
	s_cmp_lg_u32 s26, 11
	s_mov_b64 s[4:5], -1
	s_cselect_b64 s[0:1], -1, 0
.LBB22_1830:
	s_and_b64 vcc, exec, s[0:1]
	s_cbranch_vccnz .LBB22_1893
; %bb.1831:
	s_andn2_b64 vcc, exec, s[4:5]
	s_cbranch_vccnz .LBB22_1833
.LBB22_1832:
	global_load_ubyte v1, v[4:5], off
	s_mov_b64 s[20:21], -1
	s_waitcnt vmcnt(0)
	v_cmp_ne_u16_e32 vcc, 0, v1
	v_cndmask_b32_e64 v1, 0, 1, vcc
.LBB22_1833:
	s_branch .LBB22_1765
.LBB22_1834:
	s_and_b32 s4, 0xffff, s24
	s_cmp_lt_i32 s4, 5
	s_cbranch_scc1 .LBB22_1839
; %bb.1835:
	s_cmp_lt_i32 s4, 8
	s_cbranch_scc1 .LBB22_1840
; %bb.1836:
	;; [unrolled: 3-line block ×3, first 2 shown]
	s_cmp_gt_i32 s4, 9
	s_cbranch_scc0 .LBB22_1842
; %bb.1838:
	global_load_dwordx2 v[1:2], v[4:5], off
	s_mov_b64 s[0:1], 0
	s_waitcnt vmcnt(0)
	v_cvt_i32_f64_e32 v1, v[1:2]
	s_branch .LBB22_1843
.LBB22_1839:
	s_mov_b64 s[0:1], -1
                                        ; implicit-def: $vgpr1
	s_branch .LBB22_1861
.LBB22_1840:
	s_mov_b64 s[0:1], -1
                                        ; implicit-def: $vgpr1
	s_branch .LBB22_1849
.LBB22_1841:
	s_mov_b64 s[0:1], -1
                                        ; implicit-def: $vgpr1
	s_branch .LBB22_1846
.LBB22_1842:
	s_mov_b64 s[0:1], -1
                                        ; implicit-def: $vgpr1
.LBB22_1843:
	s_andn2_b64 vcc, exec, s[0:1]
	s_cbranch_vccnz .LBB22_1845
; %bb.1844:
	global_load_dword v1, v[4:5], off
	s_waitcnt vmcnt(0)
	v_cvt_i32_f32_e32 v1, v1
.LBB22_1845:
	s_mov_b64 s[0:1], 0
.LBB22_1846:
	s_andn2_b64 vcc, exec, s[0:1]
	s_cbranch_vccnz .LBB22_1848
; %bb.1847:
	global_load_dword v1, v[4:5], off
	s_waitcnt vmcnt(0)
	v_cvt_i16_f16_e32 v1, v1
.LBB22_1848:
	s_mov_b64 s[0:1], 0
.LBB22_1849:
	s_andn2_b64 vcc, exec, s[0:1]
	s_cbranch_vccnz .LBB22_1860
; %bb.1850:
	s_cmp_lt_i32 s4, 6
	s_cbranch_scc1 .LBB22_1853
; %bb.1851:
	s_cmp_gt_i32 s4, 6
	s_cbranch_scc0 .LBB22_1854
; %bb.1852:
	global_load_dwordx2 v[1:2], v[4:5], off
	s_mov_b64 s[0:1], 0
	s_waitcnt vmcnt(0)
	v_cvt_i32_f64_e32 v1, v[1:2]
	s_branch .LBB22_1855
.LBB22_1853:
	s_mov_b64 s[0:1], -1
                                        ; implicit-def: $vgpr1
	s_branch .LBB22_1858
.LBB22_1854:
	s_mov_b64 s[0:1], -1
                                        ; implicit-def: $vgpr1
.LBB22_1855:
	s_andn2_b64 vcc, exec, s[0:1]
	s_cbranch_vccnz .LBB22_1857
; %bb.1856:
	global_load_dword v1, v[4:5], off
	s_waitcnt vmcnt(0)
	v_cvt_i32_f32_e32 v1, v1
.LBB22_1857:
	s_mov_b64 s[0:1], 0
.LBB22_1858:
	s_andn2_b64 vcc, exec, s[0:1]
	s_cbranch_vccnz .LBB22_1860
; %bb.1859:
	global_load_ushort v1, v[4:5], off
	s_waitcnt vmcnt(0)
	v_cvt_i16_f16_e32 v1, v1
.LBB22_1860:
	s_mov_b64 s[0:1], 0
.LBB22_1861:
	s_andn2_b64 vcc, exec, s[0:1]
	s_cbranch_vccnz .LBB22_1881
; %bb.1862:
	s_cmp_lt_i32 s4, 2
	s_cbranch_scc1 .LBB22_1866
; %bb.1863:
	s_cmp_lt_i32 s4, 3
	s_cbranch_scc1 .LBB22_1867
; %bb.1864:
	s_cmp_gt_i32 s4, 3
	s_cbranch_scc0 .LBB22_1868
; %bb.1865:
	global_load_dwordx2 v[1:2], v[4:5], off
	s_mov_b64 s[0:1], 0
	s_branch .LBB22_1869
.LBB22_1866:
	s_mov_b64 s[0:1], -1
                                        ; implicit-def: $vgpr1
	s_branch .LBB22_1875
.LBB22_1867:
	s_mov_b64 s[0:1], -1
                                        ; implicit-def: $vgpr1
	s_branch .LBB22_1872
.LBB22_1868:
	s_mov_b64 s[0:1], -1
                                        ; implicit-def: $vgpr1
.LBB22_1869:
	s_andn2_b64 vcc, exec, s[0:1]
	s_cbranch_vccnz .LBB22_1871
; %bb.1870:
	global_load_dword v1, v[4:5], off
.LBB22_1871:
	s_mov_b64 s[0:1], 0
.LBB22_1872:
	s_andn2_b64 vcc, exec, s[0:1]
	s_cbranch_vccnz .LBB22_1874
; %bb.1873:
	global_load_ushort v1, v[4:5], off
.LBB22_1874:
	s_mov_b64 s[0:1], 0
.LBB22_1875:
	s_andn2_b64 vcc, exec, s[0:1]
	s_cbranch_vccnz .LBB22_1881
; %bb.1876:
	s_cmp_gt_i32 s4, 0
	s_cbranch_scc0 .LBB22_1878
; %bb.1877:
	global_load_ubyte v1, v[4:5], off
	s_mov_b64 s[0:1], 0
	s_branch .LBB22_1879
.LBB22_1878:
	s_mov_b64 s[0:1], -1
                                        ; implicit-def: $vgpr1
.LBB22_1879:
	s_andn2_b64 vcc, exec, s[0:1]
	s_cbranch_vccnz .LBB22_1881
; %bb.1880:
	global_load_ubyte v1, v[4:5], off
.LBB22_1881:
.LBB22_1882:
	s_lshl_b32 s14, s14, 7
	s_waitcnt vmcnt(0)
	v_add_u32_e32 v2, s14, v6
	v_ashrrev_i32_e32 v5, 31, v2
	v_mov_b32_e32 v6, s3
	v_add_co_u32_e32 v4, vcc, s2, v2
	s_cmp_lt_i32 s25, 11
	v_addc_co_u32_e32 v5, vcc, v6, v5, vcc
	s_cbranch_scc1 .LBB22_1889
; %bb.1883:
	s_and_b32 s26, 0xffff, s25
	s_cmp_gt_i32 s26, 25
	s_mov_b64 s[4:5], 0
	s_cbranch_scc0 .LBB22_1890
; %bb.1884:
	s_cmp_gt_i32 s26, 28
	s_cbranch_scc0 .LBB22_1891
; %bb.1885:
	s_cmp_gt_i32 s26, 43
	;; [unrolled: 3-line block ×3, first 2 shown]
	s_cbranch_scc0 .LBB22_1894
; %bb.1887:
	s_cmp_eq_u32 s26, 46
	s_mov_b64 s[22:23], 0
	s_cbranch_scc0 .LBB22_1895
; %bb.1888:
	global_load_dword v6, v[4:5], off
	s_mov_b64 s[0:1], 0
	s_mov_b64 s[20:21], -1
	s_waitcnt vmcnt(0)
	v_lshlrev_b32_e32 v6, 16, v6
	v_cvt_i32_f32_e32 v6, v6
	s_branch .LBB22_1896
.LBB22_1889:
	s_mov_b64 s[0:1], -1
	s_mov_b64 s[20:21], 0
                                        ; implicit-def: $vgpr6
	s_branch .LBB22_1958
.LBB22_1890:
	s_mov_b64 s[22:23], -1
	s_mov_b64 s[20:21], 0
	s_mov_b64 s[0:1], 0
                                        ; implicit-def: $vgpr6
	s_branch .LBB22_1923
.LBB22_1891:
	s_mov_b64 s[22:23], -1
	s_mov_b64 s[20:21], 0
	s_mov_b64 s[0:1], 0
                                        ; implicit-def: $vgpr6
	s_branch .LBB22_1906
.LBB22_1892:
	s_mov_b64 s[22:23], -1
	s_mov_b64 s[20:21], 0
	s_mov_b64 s[0:1], 0
                                        ; implicit-def: $vgpr6
	s_branch .LBB22_1901
.LBB22_1893:
	s_trap 2
	s_or_b64 s[18:19], s[18:19], exec
	s_cbranch_execz .LBB22_1832
	s_branch .LBB22_1833
.LBB22_1894:
	s_mov_b64 s[22:23], -1
	s_mov_b64 s[20:21], 0
	s_mov_b64 s[0:1], 0
                                        ; implicit-def: $vgpr6
	s_branch .LBB22_1896
.LBB22_1895:
	s_mov_b64 s[0:1], -1
                                        ; implicit-def: $vgpr6
	s_mov_b64 s[20:21], 0
.LBB22_1896:
	s_and_b64 vcc, exec, s[22:23]
	s_cbranch_vccz .LBB22_1900
; %bb.1897:
	s_cmp_eq_u32 s26, 44
	s_cbranch_scc0 .LBB22_1899
; %bb.1898:
	global_load_ubyte v6, v[4:5], off
	s_mov_b64 s[0:1], 0
	s_mov_b64 s[20:21], -1
	s_waitcnt vmcnt(0)
	v_lshlrev_b32_e32 v7, 23, v6
	v_cvt_i32_f32_e32 v7, v7
	v_cmp_ne_u32_e32 vcc, 0, v6
	v_cndmask_b32_e32 v6, 0, v7, vcc
	s_branch .LBB22_1900
.LBB22_1899:
	s_mov_b64 s[0:1], -1
                                        ; implicit-def: $vgpr6
.LBB22_1900:
	s_mov_b64 s[22:23], 0
.LBB22_1901:
	s_and_b64 vcc, exec, s[22:23]
	s_cbranch_vccz .LBB22_1905
; %bb.1902:
	s_cmp_eq_u32 s26, 29
	s_cbranch_scc0 .LBB22_1904
; %bb.1903:
	global_load_dwordx2 v[6:7], v[4:5], off
	s_mov_b64 s[0:1], 0
	s_mov_b64 s[20:21], -1
	s_branch .LBB22_1905
.LBB22_1904:
	s_mov_b64 s[0:1], -1
                                        ; implicit-def: $vgpr6
.LBB22_1905:
	s_mov_b64 s[22:23], 0
.LBB22_1906:
	s_and_b64 vcc, exec, s[22:23]
	s_cbranch_vccz .LBB22_1922
; %bb.1907:
	s_cmp_lt_i32 s26, 27
	s_cbranch_scc1 .LBB22_1910
; %bb.1908:
	s_cmp_gt_i32 s26, 27
	s_cbranch_scc0 .LBB22_1911
; %bb.1909:
	global_load_dword v6, v[4:5], off
	s_mov_b64 s[20:21], 0
	s_branch .LBB22_1912
.LBB22_1910:
	s_mov_b64 s[20:21], -1
                                        ; implicit-def: $vgpr6
	s_branch .LBB22_1915
.LBB22_1911:
	s_mov_b64 s[20:21], -1
                                        ; implicit-def: $vgpr6
.LBB22_1912:
	s_andn2_b64 vcc, exec, s[20:21]
	s_cbranch_vccnz .LBB22_1914
; %bb.1913:
	global_load_ushort v6, v[4:5], off
.LBB22_1914:
	s_mov_b64 s[20:21], 0
.LBB22_1915:
	s_andn2_b64 vcc, exec, s[20:21]
	s_cbranch_vccnz .LBB22_1921
; %bb.1916:
	global_load_ubyte v7, v[4:5], off
	s_movk_i32 s20, 0x7f
	s_mov_b64 s[22:23], 0
	s_waitcnt vmcnt(0)
	v_cmp_lt_i16_e32 vcc, s20, v7
	s_and_saveexec_b64 s[20:21], vcc
	s_xor_b64 s[20:21], exec, s[20:21]
	s_cbranch_execz .LBB22_1933
; %bb.1917:
	s_movk_i32 s22, 0x80
	v_cmp_ne_u16_e32 vcc, s22, v7
	s_and_b64 s[22:23], vcc, exec
	s_andn2_saveexec_b64 s[20:21], s[20:21]
	s_cbranch_execnz .LBB22_1934
.LBB22_1918:
	s_or_b64 exec, exec, s[20:21]
	v_mov_b32_e32 v6, 0
	s_and_saveexec_b64 s[20:21], s[22:23]
	s_cbranch_execz .LBB22_1920
.LBB22_1919:
	v_lshlrev_b32_e32 v6, 24, v7
	v_and_b32_e32 v7, 0xffff, v7
	v_and_b32_e32 v9, 7, v7
	v_ffbh_u32_e32 v11, v9
	v_min_u32_e32 v11, 32, v11
	v_subrev_u32_e32 v12, 28, v11
	v_bfe_u32 v10, v7, 3, 4
	v_lshlrev_b32_e32 v7, v12, v7
	v_sub_u32_e32 v11, 29, v11
	v_and_b32_e32 v7, 7, v7
	v_cmp_eq_u32_e32 vcc, 0, v10
	v_cndmask_b32_e32 v10, v10, v11, vcc
	v_cndmask_b32_e32 v7, v9, v7, vcc
	v_mov_b32_e32 v9, 0x3b800000
	v_lshlrev_b32_e32 v7, 20, v7
	v_and_b32_e32 v6, 0x80000000, v6
	v_lshl_add_u32 v9, v10, 23, v9
	v_or3_b32 v6, v6, v9, v7
	v_cvt_i32_f32_e32 v6, v6
.LBB22_1920:
	s_or_b64 exec, exec, s[20:21]
.LBB22_1921:
	s_mov_b64 s[20:21], -1
.LBB22_1922:
	s_mov_b64 s[22:23], 0
.LBB22_1923:
	s_and_b64 vcc, exec, s[22:23]
	s_cbranch_vccz .LBB22_1954
; %bb.1924:
	s_cmp_gt_i32 s26, 22
	s_cbranch_scc0 .LBB22_1932
; %bb.1925:
	s_cmp_lt_i32 s26, 24
	s_cbranch_scc1 .LBB22_1935
; %bb.1926:
	s_cmp_gt_i32 s26, 24
	s_cbranch_scc0 .LBB22_1936
; %bb.1927:
	global_load_ubyte v7, v[4:5], off
	s_movk_i32 s4, 0x7f
	s_mov_b64 s[20:21], 0
	s_waitcnt vmcnt(0)
	v_cmp_lt_i16_e32 vcc, s4, v7
	s_and_saveexec_b64 s[4:5], vcc
	s_xor_b64 s[4:5], exec, s[4:5]
	s_cbranch_execz .LBB22_1948
; %bb.1928:
	s_movk_i32 s20, 0x80
	v_cmp_ne_u16_e32 vcc, s20, v7
	s_and_b64 s[20:21], vcc, exec
	s_andn2_saveexec_b64 s[4:5], s[4:5]
	s_cbranch_execnz .LBB22_1949
.LBB22_1929:
	s_or_b64 exec, exec, s[4:5]
	v_mov_b32_e32 v6, 0
	s_and_saveexec_b64 s[4:5], s[20:21]
	s_cbranch_execz .LBB22_1931
.LBB22_1930:
	v_lshlrev_b32_e32 v6, 24, v7
	v_and_b32_e32 v7, 0xffff, v7
	v_and_b32_e32 v9, 3, v7
	v_ffbh_u32_e32 v11, v9
	v_min_u32_e32 v11, 32, v11
	v_subrev_u32_e32 v12, 29, v11
	v_bfe_u32 v10, v7, 2, 5
	v_lshlrev_b32_e32 v7, v12, v7
	v_sub_u32_e32 v11, 30, v11
	v_and_b32_e32 v7, 3, v7
	v_cmp_eq_u32_e32 vcc, 0, v10
	v_cndmask_b32_e32 v10, v10, v11, vcc
	v_cndmask_b32_e32 v7, v9, v7, vcc
	v_mov_b32_e32 v9, 0x37800000
	v_lshlrev_b32_e32 v7, 21, v7
	v_and_b32_e32 v6, 0x80000000, v6
	v_lshl_add_u32 v9, v10, 23, v9
	v_or3_b32 v6, v6, v9, v7
	v_cvt_i32_f32_e32 v6, v6
.LBB22_1931:
	s_or_b64 exec, exec, s[4:5]
	s_mov_b64 s[4:5], 0
	s_branch .LBB22_1937
.LBB22_1932:
	s_mov_b64 s[4:5], -1
                                        ; implicit-def: $vgpr6
	s_branch .LBB22_1943
.LBB22_1933:
	s_andn2_saveexec_b64 s[20:21], s[20:21]
	s_cbranch_execz .LBB22_1918
.LBB22_1934:
	v_cmp_ne_u16_e32 vcc, 0, v7
	s_andn2_b64 s[22:23], s[22:23], exec
	s_and_b64 s[28:29], vcc, exec
	s_or_b64 s[22:23], s[22:23], s[28:29]
	s_or_b64 exec, exec, s[20:21]
	v_mov_b32_e32 v6, 0
	s_and_saveexec_b64 s[20:21], s[22:23]
	s_cbranch_execnz .LBB22_1919
	s_branch .LBB22_1920
.LBB22_1935:
	s_mov_b64 s[4:5], -1
                                        ; implicit-def: $vgpr6
	s_branch .LBB22_1940
.LBB22_1936:
	s_mov_b64 s[4:5], -1
                                        ; implicit-def: $vgpr6
.LBB22_1937:
	s_and_b64 vcc, exec, s[4:5]
	s_cbranch_vccz .LBB22_1939
; %bb.1938:
	global_load_ubyte v6, v[4:5], off
	s_mov_b32 s4, 0x7f800000
	s_waitcnt vmcnt(0)
	v_lshlrev_b32_e32 v6, 24, v6
	v_and_b32_e32 v7, 0x7f000000, v6
	v_ffbh_u32_e32 v9, v7
	v_min_u32_e32 v9, 32, v9
	v_sub_u32_e64 v9, v9, 4 clamp
	v_lshlrev_b32_e32 v11, v9, v7
	v_lshlrev_b32_e32 v9, 23, v9
	v_lshrrev_b32_e32 v11, 4, v11
	v_add_u32_e32 v10, 0x1000000, v7
	v_sub_u32_e32 v9, v11, v9
	v_ashrrev_i32_e32 v10, 8, v10
	v_add_u32_e32 v9, 0x3c000000, v9
	v_and_or_b32 v9, v10, s4, v9
	v_cmp_ne_u32_e32 vcc, 0, v7
	v_cndmask_b32_e32 v7, 0, v9, vcc
	s_brev_b32 s4, 1
	v_and_or_b32 v6, v6, s4, v7
	v_cvt_i32_f32_e32 v6, v6
.LBB22_1939:
	s_mov_b64 s[4:5], 0
.LBB22_1940:
	s_andn2_b64 vcc, exec, s[4:5]
	s_cbranch_vccnz .LBB22_1942
; %bb.1941:
	global_load_ubyte v6, v[4:5], off
	s_movk_i32 s4, 0x7f00
	s_brev_b32 s5, 16
	s_waitcnt vmcnt(0)
	v_lshlrev_b16_e32 v7, 8, v6
	v_lshlrev_b32_e32 v6, 25, v6
	v_lshrrev_b32_e32 v9, 4, v6
	v_and_or_b32 v10, v7, s4, 0.5
	v_or_b32_e32 v9, 0x70000000, v9
	v_add_f32_e32 v10, -0.5, v10
	v_mul_f32_e32 v9, 0x7800000, v9
	v_cmp_gt_u32_e32 vcc, s5, v6
	v_bfe_i32 v7, v7, 0, 16
	v_cndmask_b32_e32 v6, v9, v10, vcc
	s_brev_b32 s4, 1
	v_and_or_b32 v6, v7, s4, v6
	v_cvt_i32_f32_e32 v6, v6
.LBB22_1942:
	s_mov_b64 s[4:5], 0
	s_mov_b64 s[20:21], -1
.LBB22_1943:
	s_andn2_b64 vcc, exec, s[4:5]
	s_mov_b64 s[4:5], 0
	s_cbranch_vccnz .LBB22_1954
; %bb.1944:
	s_cmp_gt_i32 s26, 14
	s_cbranch_scc0 .LBB22_1947
; %bb.1945:
	s_cmp_eq_u32 s26, 15
	s_cbranch_scc0 .LBB22_1950
; %bb.1946:
	global_load_ushort v6, v[4:5], off
	s_mov_b64 s[0:1], 0
	s_mov_b64 s[20:21], -1
	s_waitcnt vmcnt(0)
	v_lshlrev_b32_e32 v6, 16, v6
	v_cvt_i32_f32_e32 v6, v6
	s_branch .LBB22_1951
.LBB22_1947:
	s_mov_b64 s[22:23], -1
                                        ; implicit-def: $vgpr6
	s_branch .LBB22_1952
.LBB22_1948:
	s_andn2_saveexec_b64 s[4:5], s[4:5]
	s_cbranch_execz .LBB22_1929
.LBB22_1949:
	v_cmp_ne_u16_e32 vcc, 0, v7
	s_andn2_b64 s[20:21], s[20:21], exec
	s_and_b64 s[22:23], vcc, exec
	s_or_b64 s[20:21], s[20:21], s[22:23]
	s_or_b64 exec, exec, s[4:5]
	v_mov_b32_e32 v6, 0
	s_and_saveexec_b64 s[4:5], s[20:21]
	s_cbranch_execnz .LBB22_1930
	s_branch .LBB22_1931
.LBB22_1950:
	s_mov_b64 s[0:1], -1
                                        ; implicit-def: $vgpr6
.LBB22_1951:
	s_mov_b64 s[22:23], 0
.LBB22_1952:
	s_and_b64 vcc, exec, s[22:23]
	s_cbranch_vccz .LBB22_1954
; %bb.1953:
	s_cmp_lg_u32 s26, 11
	s_mov_b64 s[4:5], -1
	s_cselect_b64 s[0:1], -1, 0
.LBB22_1954:
	s_and_b64 vcc, exec, s[0:1]
	s_cbranch_vccnz .LBB22_2019
; %bb.1955:
	s_andn2_b64 vcc, exec, s[4:5]
	s_cbranch_vccnz .LBB22_1957
.LBB22_1956:
	global_load_ubyte v6, v[4:5], off
	s_mov_b64 s[20:21], -1
	s_waitcnt vmcnt(0)
	v_cmp_ne_u16_e32 vcc, 0, v6
	v_cndmask_b32_e64 v6, 0, 1, vcc
.LBB22_1957:
	s_mov_b64 s[0:1], 0
.LBB22_1958:
	s_and_b64 vcc, exec, s[0:1]
	s_cbranch_vccz .LBB22_2007
; %bb.1959:
	s_and_b32 s4, 0xffff, s25
	s_cmp_lt_i32 s4, 5
	s_cbranch_scc1 .LBB22_1964
; %bb.1960:
	s_cmp_lt_i32 s4, 8
	s_cbranch_scc1 .LBB22_1965
; %bb.1961:
	;; [unrolled: 3-line block ×3, first 2 shown]
	s_cmp_gt_i32 s4, 9
	s_cbranch_scc0 .LBB22_1967
; %bb.1963:
	global_load_dwordx2 v[6:7], v[4:5], off
	s_mov_b64 s[0:1], 0
	s_waitcnt vmcnt(0)
	v_cvt_i32_f64_e32 v6, v[6:7]
	s_branch .LBB22_1968
.LBB22_1964:
	s_mov_b64 s[0:1], -1
                                        ; implicit-def: $vgpr6
	s_branch .LBB22_1986
.LBB22_1965:
	s_mov_b64 s[0:1], -1
                                        ; implicit-def: $vgpr6
	s_branch .LBB22_1974
.LBB22_1966:
	s_mov_b64 s[0:1], -1
                                        ; implicit-def: $vgpr6
	s_branch .LBB22_1971
.LBB22_1967:
	s_mov_b64 s[0:1], -1
                                        ; implicit-def: $vgpr6
.LBB22_1968:
	s_andn2_b64 vcc, exec, s[0:1]
	s_cbranch_vccnz .LBB22_1970
; %bb.1969:
	global_load_dword v6, v[4:5], off
	s_waitcnt vmcnt(0)
	v_cvt_i32_f32_e32 v6, v6
.LBB22_1970:
	s_mov_b64 s[0:1], 0
.LBB22_1971:
	s_andn2_b64 vcc, exec, s[0:1]
	s_cbranch_vccnz .LBB22_1973
; %bb.1972:
	global_load_dword v6, v[4:5], off
	s_waitcnt vmcnt(0)
	v_cvt_i16_f16_e32 v6, v6
.LBB22_1973:
	s_mov_b64 s[0:1], 0
.LBB22_1974:
	s_andn2_b64 vcc, exec, s[0:1]
	s_cbranch_vccnz .LBB22_1985
; %bb.1975:
	s_cmp_lt_i32 s4, 6
	s_cbranch_scc1 .LBB22_1978
; %bb.1976:
	s_cmp_gt_i32 s4, 6
	s_cbranch_scc0 .LBB22_1979
; %bb.1977:
	global_load_dwordx2 v[6:7], v[4:5], off
	s_mov_b64 s[0:1], 0
	s_waitcnt vmcnt(0)
	v_cvt_i32_f64_e32 v6, v[6:7]
	s_branch .LBB22_1980
.LBB22_1978:
	s_mov_b64 s[0:1], -1
                                        ; implicit-def: $vgpr6
	s_branch .LBB22_1983
.LBB22_1979:
	s_mov_b64 s[0:1], -1
                                        ; implicit-def: $vgpr6
.LBB22_1980:
	s_andn2_b64 vcc, exec, s[0:1]
	s_cbranch_vccnz .LBB22_1982
; %bb.1981:
	global_load_dword v6, v[4:5], off
	s_waitcnt vmcnt(0)
	v_cvt_i32_f32_e32 v6, v6
.LBB22_1982:
	s_mov_b64 s[0:1], 0
.LBB22_1983:
	s_andn2_b64 vcc, exec, s[0:1]
	s_cbranch_vccnz .LBB22_1985
; %bb.1984:
	global_load_ushort v6, v[4:5], off
	s_waitcnt vmcnt(0)
	v_cvt_i16_f16_e32 v6, v6
.LBB22_1985:
	s_mov_b64 s[0:1], 0
.LBB22_1986:
	s_andn2_b64 vcc, exec, s[0:1]
	s_cbranch_vccnz .LBB22_2006
; %bb.1987:
	s_cmp_lt_i32 s4, 2
	s_cbranch_scc1 .LBB22_1991
; %bb.1988:
	s_cmp_lt_i32 s4, 3
	s_cbranch_scc1 .LBB22_1992
; %bb.1989:
	s_cmp_gt_i32 s4, 3
	s_cbranch_scc0 .LBB22_1993
; %bb.1990:
	global_load_dwordx2 v[6:7], v[4:5], off
	s_mov_b64 s[0:1], 0
	s_branch .LBB22_1994
.LBB22_1991:
	s_mov_b64 s[0:1], -1
                                        ; implicit-def: $vgpr6
	s_branch .LBB22_2000
.LBB22_1992:
	s_mov_b64 s[0:1], -1
                                        ; implicit-def: $vgpr6
	s_branch .LBB22_1997
.LBB22_1993:
	s_mov_b64 s[0:1], -1
                                        ; implicit-def: $vgpr6
.LBB22_1994:
	s_andn2_b64 vcc, exec, s[0:1]
	s_cbranch_vccnz .LBB22_1996
; %bb.1995:
	global_load_dword v6, v[4:5], off
.LBB22_1996:
	s_mov_b64 s[0:1], 0
.LBB22_1997:
	s_andn2_b64 vcc, exec, s[0:1]
	s_cbranch_vccnz .LBB22_1999
; %bb.1998:
	global_load_ushort v6, v[4:5], off
.LBB22_1999:
	s_mov_b64 s[0:1], 0
.LBB22_2000:
	s_andn2_b64 vcc, exec, s[0:1]
	s_cbranch_vccnz .LBB22_2006
; %bb.2001:
	s_cmp_gt_i32 s4, 0
	s_cbranch_scc0 .LBB22_2003
; %bb.2002:
	global_load_ubyte v6, v[4:5], off
	s_mov_b64 s[0:1], 0
	s_branch .LBB22_2004
.LBB22_2003:
	s_mov_b64 s[0:1], -1
                                        ; implicit-def: $vgpr6
.LBB22_2004:
	s_andn2_b64 vcc, exec, s[0:1]
	s_cbranch_vccnz .LBB22_2006
; %bb.2005:
	global_load_ubyte v6, v[4:5], off
.LBB22_2006:
	s_mov_b64 s[20:21], -1
.LBB22_2007:
	s_andn2_b64 vcc, exec, s[20:21]
	s_cbranch_vccnz .LBB22_2947
; %bb.2008:
	v_add_u32_e32 v11, s13, v8
	v_ashrrev_i32_e32 v4, 31, v11
	v_mov_b32_e32 v5, s11
	s_waitcnt vmcnt(0)
	v_add_co_u32_e32 v7, vcc, s10, v11
	s_cmp_lt_i32 s24, 11
	v_addc_co_u32_e32 v8, vcc, v5, v4, vcc
	s_cbranch_scc1 .LBB22_2015
; %bb.2009:
	s_and_b32 s26, 0xffff, s24
	s_cmp_gt_i32 s26, 25
	s_mov_b64 s[4:5], 0
	s_cbranch_scc0 .LBB22_2016
; %bb.2010:
	s_cmp_gt_i32 s26, 28
	s_cbranch_scc0 .LBB22_2017
; %bb.2011:
	s_cmp_gt_i32 s26, 43
	;; [unrolled: 3-line block ×3, first 2 shown]
	s_cbranch_scc0 .LBB22_2020
; %bb.2013:
	s_cmp_eq_u32 s26, 46
	s_mov_b64 s[22:23], 0
	s_cbranch_scc0 .LBB22_2021
; %bb.2014:
	global_load_dword v4, v[7:8], off
	s_mov_b64 s[0:1], 0
	s_mov_b64 s[20:21], -1
	s_waitcnt vmcnt(0)
	v_lshlrev_b32_e32 v4, 16, v4
	v_cvt_i32_f32_e32 v4, v4
	s_branch .LBB22_2022
.LBB22_2015:
	s_mov_b64 s[0:1], -1
	s_mov_b64 s[20:21], 0
                                        ; implicit-def: $vgpr4
	s_branch .LBB22_2084
.LBB22_2016:
	s_mov_b64 s[22:23], -1
	s_mov_b64 s[20:21], 0
	s_mov_b64 s[0:1], 0
                                        ; implicit-def: $vgpr4
	s_branch .LBB22_2049
.LBB22_2017:
	s_mov_b64 s[22:23], -1
	s_mov_b64 s[20:21], 0
	s_mov_b64 s[0:1], 0
                                        ; implicit-def: $vgpr4
	s_branch .LBB22_2032
.LBB22_2018:
	s_mov_b64 s[22:23], -1
	s_mov_b64 s[20:21], 0
	s_mov_b64 s[0:1], 0
                                        ; implicit-def: $vgpr4
	s_branch .LBB22_2027
.LBB22_2019:
	s_trap 2
	s_or_b64 s[18:19], s[18:19], exec
	s_cbranch_execz .LBB22_1956
	s_branch .LBB22_1957
.LBB22_2020:
	s_mov_b64 s[22:23], -1
	s_mov_b64 s[20:21], 0
	s_mov_b64 s[0:1], 0
                                        ; implicit-def: $vgpr4
	s_branch .LBB22_2022
.LBB22_2021:
	s_mov_b64 s[0:1], -1
                                        ; implicit-def: $vgpr4
	s_mov_b64 s[20:21], 0
.LBB22_2022:
	s_and_b64 vcc, exec, s[22:23]
	s_cbranch_vccz .LBB22_2026
; %bb.2023:
	s_cmp_eq_u32 s26, 44
	s_cbranch_scc0 .LBB22_2025
; %bb.2024:
	global_load_ubyte v4, v[7:8], off
	s_mov_b64 s[0:1], 0
	s_mov_b64 s[20:21], -1
	s_waitcnt vmcnt(0)
	v_lshlrev_b32_e32 v5, 23, v4
	v_cvt_i32_f32_e32 v5, v5
	v_cmp_ne_u32_e32 vcc, 0, v4
	v_cndmask_b32_e32 v4, 0, v5, vcc
	s_branch .LBB22_2026
.LBB22_2025:
	s_mov_b64 s[0:1], -1
                                        ; implicit-def: $vgpr4
.LBB22_2026:
	s_mov_b64 s[22:23], 0
.LBB22_2027:
	s_and_b64 vcc, exec, s[22:23]
	s_cbranch_vccz .LBB22_2031
; %bb.2028:
	s_cmp_eq_u32 s26, 29
	s_cbranch_scc0 .LBB22_2030
; %bb.2029:
	global_load_dwordx2 v[4:5], v[7:8], off
	s_mov_b64 s[0:1], 0
	s_mov_b64 s[20:21], -1
	s_branch .LBB22_2031
.LBB22_2030:
	s_mov_b64 s[0:1], -1
                                        ; implicit-def: $vgpr4
.LBB22_2031:
	s_mov_b64 s[22:23], 0
.LBB22_2032:
	s_and_b64 vcc, exec, s[22:23]
	s_cbranch_vccz .LBB22_2048
; %bb.2033:
	s_cmp_lt_i32 s26, 27
	s_cbranch_scc1 .LBB22_2036
; %bb.2034:
	s_cmp_gt_i32 s26, 27
	s_cbranch_scc0 .LBB22_2037
; %bb.2035:
	global_load_dword v4, v[7:8], off
	s_mov_b64 s[20:21], 0
	s_branch .LBB22_2038
.LBB22_2036:
	s_mov_b64 s[20:21], -1
                                        ; implicit-def: $vgpr4
	s_branch .LBB22_2041
.LBB22_2037:
	s_mov_b64 s[20:21], -1
                                        ; implicit-def: $vgpr4
.LBB22_2038:
	s_andn2_b64 vcc, exec, s[20:21]
	s_cbranch_vccnz .LBB22_2040
; %bb.2039:
	global_load_ushort v4, v[7:8], off
.LBB22_2040:
	s_mov_b64 s[20:21], 0
.LBB22_2041:
	s_andn2_b64 vcc, exec, s[20:21]
	s_cbranch_vccnz .LBB22_2047
; %bb.2042:
	global_load_ubyte v5, v[7:8], off
	s_movk_i32 s20, 0x7f
	s_mov_b64 s[22:23], 0
	s_waitcnt vmcnt(0)
	v_cmp_lt_i16_e32 vcc, s20, v5
	s_and_saveexec_b64 s[20:21], vcc
	s_xor_b64 s[20:21], exec, s[20:21]
	s_cbranch_execz .LBB22_2059
; %bb.2043:
	s_movk_i32 s22, 0x80
	v_cmp_ne_u16_e32 vcc, s22, v5
	s_and_b64 s[22:23], vcc, exec
	s_andn2_saveexec_b64 s[20:21], s[20:21]
	s_cbranch_execnz .LBB22_2060
.LBB22_2044:
	s_or_b64 exec, exec, s[20:21]
	v_mov_b32_e32 v4, 0
	s_and_saveexec_b64 s[20:21], s[22:23]
	s_cbranch_execz .LBB22_2046
.LBB22_2045:
	v_lshlrev_b32_e32 v4, 24, v5
	v_and_b32_e32 v5, 0xffff, v5
	v_and_b32_e32 v9, 7, v5
	v_ffbh_u32_e32 v12, v9
	v_min_u32_e32 v12, 32, v12
	v_subrev_u32_e32 v13, 28, v12
	v_bfe_u32 v10, v5, 3, 4
	v_lshlrev_b32_e32 v5, v13, v5
	v_sub_u32_e32 v12, 29, v12
	v_and_b32_e32 v5, 7, v5
	v_cmp_eq_u32_e32 vcc, 0, v10
	v_cndmask_b32_e32 v10, v10, v12, vcc
	v_cndmask_b32_e32 v5, v9, v5, vcc
	v_mov_b32_e32 v9, 0x3b800000
	v_lshlrev_b32_e32 v5, 20, v5
	v_and_b32_e32 v4, 0x80000000, v4
	v_lshl_add_u32 v9, v10, 23, v9
	v_or3_b32 v4, v4, v9, v5
	v_cvt_i32_f32_e32 v4, v4
.LBB22_2046:
	s_or_b64 exec, exec, s[20:21]
.LBB22_2047:
	s_mov_b64 s[20:21], -1
.LBB22_2048:
	s_mov_b64 s[22:23], 0
.LBB22_2049:
	s_and_b64 vcc, exec, s[22:23]
	s_cbranch_vccz .LBB22_2080
; %bb.2050:
	s_cmp_gt_i32 s26, 22
	s_cbranch_scc0 .LBB22_2058
; %bb.2051:
	s_cmp_lt_i32 s26, 24
	s_cbranch_scc1 .LBB22_2061
; %bb.2052:
	s_cmp_gt_i32 s26, 24
	s_cbranch_scc0 .LBB22_2062
; %bb.2053:
	global_load_ubyte v5, v[7:8], off
	s_movk_i32 s4, 0x7f
	s_mov_b64 s[20:21], 0
	s_waitcnt vmcnt(0)
	v_cmp_lt_i16_e32 vcc, s4, v5
	s_and_saveexec_b64 s[4:5], vcc
	s_xor_b64 s[4:5], exec, s[4:5]
	s_cbranch_execz .LBB22_2074
; %bb.2054:
	s_movk_i32 s20, 0x80
	v_cmp_ne_u16_e32 vcc, s20, v5
	s_and_b64 s[20:21], vcc, exec
	s_andn2_saveexec_b64 s[4:5], s[4:5]
	s_cbranch_execnz .LBB22_2075
.LBB22_2055:
	s_or_b64 exec, exec, s[4:5]
	v_mov_b32_e32 v4, 0
	s_and_saveexec_b64 s[4:5], s[20:21]
	s_cbranch_execz .LBB22_2057
.LBB22_2056:
	v_lshlrev_b32_e32 v4, 24, v5
	v_and_b32_e32 v5, 0xffff, v5
	v_and_b32_e32 v9, 3, v5
	v_ffbh_u32_e32 v12, v9
	v_min_u32_e32 v12, 32, v12
	v_subrev_u32_e32 v13, 29, v12
	v_bfe_u32 v10, v5, 2, 5
	v_lshlrev_b32_e32 v5, v13, v5
	v_sub_u32_e32 v12, 30, v12
	v_and_b32_e32 v5, 3, v5
	v_cmp_eq_u32_e32 vcc, 0, v10
	v_cndmask_b32_e32 v10, v10, v12, vcc
	v_cndmask_b32_e32 v5, v9, v5, vcc
	v_mov_b32_e32 v9, 0x37800000
	v_lshlrev_b32_e32 v5, 21, v5
	v_and_b32_e32 v4, 0x80000000, v4
	v_lshl_add_u32 v9, v10, 23, v9
	v_or3_b32 v4, v4, v9, v5
	v_cvt_i32_f32_e32 v4, v4
.LBB22_2057:
	s_or_b64 exec, exec, s[4:5]
	s_mov_b64 s[4:5], 0
	s_branch .LBB22_2063
.LBB22_2058:
	s_mov_b64 s[4:5], -1
                                        ; implicit-def: $vgpr4
	s_branch .LBB22_2069
.LBB22_2059:
	s_andn2_saveexec_b64 s[20:21], s[20:21]
	s_cbranch_execz .LBB22_2044
.LBB22_2060:
	v_cmp_ne_u16_e32 vcc, 0, v5
	s_andn2_b64 s[22:23], s[22:23], exec
	s_and_b64 s[28:29], vcc, exec
	s_or_b64 s[22:23], s[22:23], s[28:29]
	s_or_b64 exec, exec, s[20:21]
	v_mov_b32_e32 v4, 0
	s_and_saveexec_b64 s[20:21], s[22:23]
	s_cbranch_execnz .LBB22_2045
	s_branch .LBB22_2046
.LBB22_2061:
	s_mov_b64 s[4:5], -1
                                        ; implicit-def: $vgpr4
	s_branch .LBB22_2066
.LBB22_2062:
	s_mov_b64 s[4:5], -1
                                        ; implicit-def: $vgpr4
.LBB22_2063:
	s_and_b64 vcc, exec, s[4:5]
	s_cbranch_vccz .LBB22_2065
; %bb.2064:
	global_load_ubyte v4, v[7:8], off
	s_mov_b32 s4, 0x7f800000
	s_waitcnt vmcnt(0)
	v_lshlrev_b32_e32 v4, 24, v4
	v_and_b32_e32 v5, 0x7f000000, v4
	v_ffbh_u32_e32 v9, v5
	v_min_u32_e32 v9, 32, v9
	v_sub_u32_e64 v9, v9, 4 clamp
	v_lshlrev_b32_e32 v12, v9, v5
	v_lshlrev_b32_e32 v9, 23, v9
	v_lshrrev_b32_e32 v12, 4, v12
	v_add_u32_e32 v10, 0x1000000, v5
	v_sub_u32_e32 v9, v12, v9
	v_ashrrev_i32_e32 v10, 8, v10
	v_add_u32_e32 v9, 0x3c000000, v9
	v_and_or_b32 v9, v10, s4, v9
	v_cmp_ne_u32_e32 vcc, 0, v5
	v_cndmask_b32_e32 v5, 0, v9, vcc
	s_brev_b32 s4, 1
	v_and_or_b32 v4, v4, s4, v5
	v_cvt_i32_f32_e32 v4, v4
.LBB22_2065:
	s_mov_b64 s[4:5], 0
.LBB22_2066:
	s_andn2_b64 vcc, exec, s[4:5]
	s_cbranch_vccnz .LBB22_2068
; %bb.2067:
	global_load_ubyte v4, v[7:8], off
	s_movk_i32 s4, 0x7f00
	s_brev_b32 s5, 16
	s_waitcnt vmcnt(0)
	v_lshlrev_b16_e32 v5, 8, v4
	v_lshlrev_b32_e32 v4, 25, v4
	v_lshrrev_b32_e32 v9, 4, v4
	v_and_or_b32 v10, v5, s4, 0.5
	v_or_b32_e32 v9, 0x70000000, v9
	v_add_f32_e32 v10, -0.5, v10
	v_mul_f32_e32 v9, 0x7800000, v9
	v_cmp_gt_u32_e32 vcc, s5, v4
	v_bfe_i32 v5, v5, 0, 16
	v_cndmask_b32_e32 v4, v9, v10, vcc
	s_brev_b32 s4, 1
	v_and_or_b32 v4, v5, s4, v4
	v_cvt_i32_f32_e32 v4, v4
.LBB22_2068:
	s_mov_b64 s[4:5], 0
	s_mov_b64 s[20:21], -1
.LBB22_2069:
	s_andn2_b64 vcc, exec, s[4:5]
	s_mov_b64 s[4:5], 0
	s_cbranch_vccnz .LBB22_2080
; %bb.2070:
	s_cmp_gt_i32 s26, 14
	s_cbranch_scc0 .LBB22_2073
; %bb.2071:
	s_cmp_eq_u32 s26, 15
	s_cbranch_scc0 .LBB22_2076
; %bb.2072:
	global_load_ushort v4, v[7:8], off
	s_mov_b64 s[0:1], 0
	s_mov_b64 s[20:21], -1
	s_waitcnt vmcnt(0)
	v_lshlrev_b32_e32 v4, 16, v4
	v_cvt_i32_f32_e32 v4, v4
	s_branch .LBB22_2077
.LBB22_2073:
	s_mov_b64 s[22:23], -1
                                        ; implicit-def: $vgpr4
	s_branch .LBB22_2078
.LBB22_2074:
	s_andn2_saveexec_b64 s[4:5], s[4:5]
	s_cbranch_execz .LBB22_2055
.LBB22_2075:
	v_cmp_ne_u16_e32 vcc, 0, v5
	s_andn2_b64 s[20:21], s[20:21], exec
	s_and_b64 s[22:23], vcc, exec
	s_or_b64 s[20:21], s[20:21], s[22:23]
	s_or_b64 exec, exec, s[4:5]
	v_mov_b32_e32 v4, 0
	s_and_saveexec_b64 s[4:5], s[20:21]
	s_cbranch_execnz .LBB22_2056
	s_branch .LBB22_2057
.LBB22_2076:
	s_mov_b64 s[0:1], -1
                                        ; implicit-def: $vgpr4
.LBB22_2077:
	s_mov_b64 s[22:23], 0
.LBB22_2078:
	s_and_b64 vcc, exec, s[22:23]
	s_cbranch_vccz .LBB22_2080
; %bb.2079:
	s_cmp_lg_u32 s26, 11
	s_mov_b64 s[4:5], -1
	s_cselect_b64 s[0:1], -1, 0
.LBB22_2080:
	s_and_b64 vcc, exec, s[0:1]
	s_cbranch_vccnz .LBB22_2145
; %bb.2081:
	s_andn2_b64 vcc, exec, s[4:5]
	s_cbranch_vccnz .LBB22_2083
.LBB22_2082:
	global_load_ubyte v4, v[7:8], off
	s_mov_b64 s[20:21], -1
	s_waitcnt vmcnt(0)
	v_cmp_ne_u16_e32 vcc, 0, v4
	v_cndmask_b32_e64 v4, 0, 1, vcc
.LBB22_2083:
	s_mov_b64 s[0:1], 0
.LBB22_2084:
	s_and_b64 vcc, exec, s[0:1]
	s_cbranch_vccz .LBB22_2133
; %bb.2085:
	s_and_b32 s4, 0xffff, s24
	s_cmp_lt_i32 s4, 5
	s_cbranch_scc1 .LBB22_2090
; %bb.2086:
	s_cmp_lt_i32 s4, 8
	s_cbranch_scc1 .LBB22_2091
; %bb.2087:
	;; [unrolled: 3-line block ×3, first 2 shown]
	s_cmp_gt_i32 s4, 9
	s_cbranch_scc0 .LBB22_2093
; %bb.2089:
	global_load_dwordx2 v[4:5], v[7:8], off
	s_mov_b64 s[0:1], 0
	s_waitcnt vmcnt(0)
	v_cvt_i32_f64_e32 v4, v[4:5]
	s_branch .LBB22_2094
.LBB22_2090:
	s_mov_b64 s[0:1], -1
                                        ; implicit-def: $vgpr4
	s_branch .LBB22_2112
.LBB22_2091:
	s_mov_b64 s[0:1], -1
                                        ; implicit-def: $vgpr4
	s_branch .LBB22_2100
.LBB22_2092:
	s_mov_b64 s[0:1], -1
                                        ; implicit-def: $vgpr4
	s_branch .LBB22_2097
.LBB22_2093:
	s_mov_b64 s[0:1], -1
                                        ; implicit-def: $vgpr4
.LBB22_2094:
	s_andn2_b64 vcc, exec, s[0:1]
	s_cbranch_vccnz .LBB22_2096
; %bb.2095:
	global_load_dword v4, v[7:8], off
	s_waitcnt vmcnt(0)
	v_cvt_i32_f32_e32 v4, v4
.LBB22_2096:
	s_mov_b64 s[0:1], 0
.LBB22_2097:
	s_andn2_b64 vcc, exec, s[0:1]
	s_cbranch_vccnz .LBB22_2099
; %bb.2098:
	global_load_dword v4, v[7:8], off
	s_waitcnt vmcnt(0)
	v_cvt_i16_f16_e32 v4, v4
.LBB22_2099:
	s_mov_b64 s[0:1], 0
.LBB22_2100:
	s_andn2_b64 vcc, exec, s[0:1]
	s_cbranch_vccnz .LBB22_2111
; %bb.2101:
	s_cmp_lt_i32 s4, 6
	s_cbranch_scc1 .LBB22_2104
; %bb.2102:
	s_cmp_gt_i32 s4, 6
	s_cbranch_scc0 .LBB22_2105
; %bb.2103:
	global_load_dwordx2 v[4:5], v[7:8], off
	s_mov_b64 s[0:1], 0
	s_waitcnt vmcnt(0)
	v_cvt_i32_f64_e32 v4, v[4:5]
	s_branch .LBB22_2106
.LBB22_2104:
	s_mov_b64 s[0:1], -1
                                        ; implicit-def: $vgpr4
	s_branch .LBB22_2109
.LBB22_2105:
	s_mov_b64 s[0:1], -1
                                        ; implicit-def: $vgpr4
.LBB22_2106:
	s_andn2_b64 vcc, exec, s[0:1]
	s_cbranch_vccnz .LBB22_2108
; %bb.2107:
	global_load_dword v4, v[7:8], off
	s_waitcnt vmcnt(0)
	v_cvt_i32_f32_e32 v4, v4
.LBB22_2108:
	s_mov_b64 s[0:1], 0
.LBB22_2109:
	s_andn2_b64 vcc, exec, s[0:1]
	s_cbranch_vccnz .LBB22_2111
; %bb.2110:
	global_load_ushort v4, v[7:8], off
	s_waitcnt vmcnt(0)
	v_cvt_i16_f16_e32 v4, v4
.LBB22_2111:
	s_mov_b64 s[0:1], 0
.LBB22_2112:
	s_andn2_b64 vcc, exec, s[0:1]
	s_cbranch_vccnz .LBB22_2132
; %bb.2113:
	s_cmp_lt_i32 s4, 2
	s_cbranch_scc1 .LBB22_2117
; %bb.2114:
	s_cmp_lt_i32 s4, 3
	s_cbranch_scc1 .LBB22_2118
; %bb.2115:
	s_cmp_gt_i32 s4, 3
	s_cbranch_scc0 .LBB22_2119
; %bb.2116:
	global_load_dwordx2 v[4:5], v[7:8], off
	s_mov_b64 s[0:1], 0
	s_branch .LBB22_2120
.LBB22_2117:
	s_mov_b64 s[0:1], -1
                                        ; implicit-def: $vgpr4
	s_branch .LBB22_2126
.LBB22_2118:
	s_mov_b64 s[0:1], -1
                                        ; implicit-def: $vgpr4
	s_branch .LBB22_2123
.LBB22_2119:
	s_mov_b64 s[0:1], -1
                                        ; implicit-def: $vgpr4
.LBB22_2120:
	s_andn2_b64 vcc, exec, s[0:1]
	s_cbranch_vccnz .LBB22_2122
; %bb.2121:
	global_load_dword v4, v[7:8], off
.LBB22_2122:
	s_mov_b64 s[0:1], 0
.LBB22_2123:
	s_andn2_b64 vcc, exec, s[0:1]
	s_cbranch_vccnz .LBB22_2125
; %bb.2124:
	global_load_ushort v4, v[7:8], off
.LBB22_2125:
	s_mov_b64 s[0:1], 0
.LBB22_2126:
	s_andn2_b64 vcc, exec, s[0:1]
	s_cbranch_vccnz .LBB22_2132
; %bb.2127:
	s_cmp_gt_i32 s4, 0
	s_cbranch_scc0 .LBB22_2129
; %bb.2128:
	global_load_ubyte v4, v[7:8], off
	s_mov_b64 s[0:1], 0
	s_branch .LBB22_2130
.LBB22_2129:
	s_mov_b64 s[0:1], -1
                                        ; implicit-def: $vgpr4
.LBB22_2130:
	s_andn2_b64 vcc, exec, s[0:1]
	s_cbranch_vccnz .LBB22_2132
; %bb.2131:
	global_load_ubyte v4, v[7:8], off
.LBB22_2132:
	s_mov_b64 s[20:21], -1
.LBB22_2133:
	s_andn2_b64 vcc, exec, s[20:21]
	s_cbranch_vccnz .LBB22_2947
; %bb.2134:
	v_add_u32_e32 v2, s14, v2
	s_waitcnt vmcnt(0)
	v_ashrrev_i32_e32 v5, 31, v2
	v_mov_b32_e32 v8, s3
	v_add_co_u32_e32 v7, vcc, s2, v2
	s_cmp_lt_i32 s25, 11
	v_addc_co_u32_e32 v8, vcc, v8, v5, vcc
	s_cbranch_scc1 .LBB22_2141
; %bb.2135:
	s_and_b32 s26, 0xffff, s25
	s_cmp_gt_i32 s26, 25
	s_mov_b64 s[4:5], 0
	s_cbranch_scc0 .LBB22_2142
; %bb.2136:
	s_cmp_gt_i32 s26, 28
	s_cbranch_scc0 .LBB22_2143
; %bb.2137:
	s_cmp_gt_i32 s26, 43
	;; [unrolled: 3-line block ×3, first 2 shown]
	s_cbranch_scc0 .LBB22_2146
; %bb.2139:
	s_cmp_eq_u32 s26, 46
	s_mov_b64 s[22:23], 0
	s_cbranch_scc0 .LBB22_2149
; %bb.2140:
	global_load_dword v5, v[7:8], off
	s_mov_b64 s[0:1], 0
	s_mov_b64 s[20:21], -1
	s_waitcnt vmcnt(0)
	v_lshlrev_b32_e32 v5, 16, v5
	v_cvt_i32_f32_e32 v9, v5
	s_branch .LBB22_2150
.LBB22_2141:
	s_mov_b64 s[0:1], -1
	s_mov_b64 s[20:21], 0
                                        ; implicit-def: $vgpr9
	s_branch .LBB22_2212
.LBB22_2142:
	s_mov_b64 s[22:23], -1
	s_mov_b64 s[20:21], 0
	s_mov_b64 s[0:1], 0
                                        ; implicit-def: $vgpr9
	s_branch .LBB22_2177
.LBB22_2143:
	s_mov_b64 s[22:23], -1
	s_mov_b64 s[20:21], 0
	s_mov_b64 s[0:1], 0
                                        ; implicit-def: $vgpr9
	s_branch .LBB22_2160
.LBB22_2144:
	s_mov_b64 s[22:23], -1
	s_mov_b64 s[20:21], 0
	s_mov_b64 s[0:1], 0
                                        ; implicit-def: $vgpr9
	s_branch .LBB22_2155
.LBB22_2145:
	s_trap 2
	s_or_b64 s[18:19], s[18:19], exec
	s_cbranch_execz .LBB22_2082
	s_branch .LBB22_2083
.LBB22_2146:
	s_mov_b64 s[22:23], -1
	s_mov_b64 s[20:21], 0
	s_mov_b64 s[0:1], 0
                                        ; implicit-def: $vgpr9
	s_branch .LBB22_2150
.LBB22_2147:
	s_andn2_saveexec_b64 s[48:49], s[48:49]
	s_cbranch_execz .LBB22_1061
.LBB22_2148:
	v_add_f32_e32 v2, 0x42800000, v3
	v_and_b32_e32 v2, 0xff, v2
	v_cmp_ne_u32_e32 vcc, 0, v2
	s_andn2_b64 s[46:47], s[46:47], exec
	s_and_b64 s[54:55], vcc, exec
	s_or_b64 s[46:47], s[46:47], s[54:55]
	s_or_b64 exec, exec, s[48:49]
	v_mov_b32_e32 v4, 0
	s_and_saveexec_b64 s[48:49], s[46:47]
	s_cbranch_execnz .LBB22_1062
	s_branch .LBB22_1063
.LBB22_2149:
	s_mov_b64 s[0:1], -1
                                        ; implicit-def: $vgpr9
	s_mov_b64 s[20:21], 0
.LBB22_2150:
	s_and_b64 vcc, exec, s[22:23]
	s_cbranch_vccz .LBB22_2154
; %bb.2151:
	s_cmp_eq_u32 s26, 44
	s_cbranch_scc0 .LBB22_2153
; %bb.2152:
	global_load_ubyte v5, v[7:8], off
	s_mov_b64 s[0:1], 0
	s_mov_b64 s[20:21], -1
	s_waitcnt vmcnt(0)
	v_lshlrev_b32_e32 v9, 23, v5
	v_cvt_i32_f32_e32 v9, v9
	v_cmp_ne_u32_e32 vcc, 0, v5
	v_cndmask_b32_e32 v9, 0, v9, vcc
	s_branch .LBB22_2154
.LBB22_2153:
	s_mov_b64 s[0:1], -1
                                        ; implicit-def: $vgpr9
.LBB22_2154:
	s_mov_b64 s[22:23], 0
.LBB22_2155:
	s_and_b64 vcc, exec, s[22:23]
	s_cbranch_vccz .LBB22_2159
; %bb.2156:
	s_cmp_eq_u32 s26, 29
	s_cbranch_scc0 .LBB22_2158
; %bb.2157:
	global_load_dwordx2 v[9:10], v[7:8], off
	s_mov_b64 s[0:1], 0
	s_mov_b64 s[20:21], -1
	s_branch .LBB22_2159
.LBB22_2158:
	s_mov_b64 s[0:1], -1
                                        ; implicit-def: $vgpr9
.LBB22_2159:
	s_mov_b64 s[22:23], 0
.LBB22_2160:
	s_and_b64 vcc, exec, s[22:23]
	s_cbranch_vccz .LBB22_2176
; %bb.2161:
	s_cmp_lt_i32 s26, 27
	s_cbranch_scc1 .LBB22_2164
; %bb.2162:
	s_cmp_gt_i32 s26, 27
	s_cbranch_scc0 .LBB22_2165
; %bb.2163:
	global_load_dword v9, v[7:8], off
	s_mov_b64 s[20:21], 0
	s_branch .LBB22_2166
.LBB22_2164:
	s_mov_b64 s[20:21], -1
                                        ; implicit-def: $vgpr9
	s_branch .LBB22_2169
.LBB22_2165:
	s_mov_b64 s[20:21], -1
                                        ; implicit-def: $vgpr9
.LBB22_2166:
	s_andn2_b64 vcc, exec, s[20:21]
	s_cbranch_vccnz .LBB22_2168
; %bb.2167:
	global_load_ushort v9, v[7:8], off
.LBB22_2168:
	s_mov_b64 s[20:21], 0
.LBB22_2169:
	s_andn2_b64 vcc, exec, s[20:21]
	s_cbranch_vccnz .LBB22_2175
; %bb.2170:
	global_load_ubyte v5, v[7:8], off
	s_movk_i32 s20, 0x7f
	s_mov_b64 s[22:23], 0
	s_waitcnt vmcnt(0)
	v_cmp_lt_i16_e32 vcc, s20, v5
	s_and_saveexec_b64 s[20:21], vcc
	s_xor_b64 s[20:21], exec, s[20:21]
	s_cbranch_execz .LBB22_2187
; %bb.2171:
	s_movk_i32 s22, 0x80
	v_cmp_ne_u16_e32 vcc, s22, v5
	s_and_b64 s[22:23], vcc, exec
	s_andn2_saveexec_b64 s[20:21], s[20:21]
	s_cbranch_execnz .LBB22_2188
.LBB22_2172:
	s_or_b64 exec, exec, s[20:21]
	v_mov_b32_e32 v9, 0
	s_and_saveexec_b64 s[20:21], s[22:23]
	s_cbranch_execz .LBB22_2174
.LBB22_2173:
	v_lshlrev_b32_e32 v9, 24, v5
	v_and_b32_e32 v5, 0xffff, v5
	v_and_b32_e32 v10, 7, v5
	v_ffbh_u32_e32 v13, v10
	v_min_u32_e32 v13, 32, v13
	v_subrev_u32_e32 v15, 28, v13
	v_bfe_u32 v12, v5, 3, 4
	v_lshlrev_b32_e32 v5, v15, v5
	v_sub_u32_e32 v13, 29, v13
	v_and_b32_e32 v5, 7, v5
	v_cmp_eq_u32_e32 vcc, 0, v12
	v_cndmask_b32_e32 v12, v12, v13, vcc
	v_cndmask_b32_e32 v5, v10, v5, vcc
	v_mov_b32_e32 v10, 0x3b800000
	v_lshlrev_b32_e32 v5, 20, v5
	v_and_b32_e32 v9, 0x80000000, v9
	v_lshl_add_u32 v10, v12, 23, v10
	v_or3_b32 v5, v9, v10, v5
	v_cvt_i32_f32_e32 v9, v5
.LBB22_2174:
	s_or_b64 exec, exec, s[20:21]
.LBB22_2175:
	s_mov_b64 s[20:21], -1
.LBB22_2176:
	s_mov_b64 s[22:23], 0
.LBB22_2177:
	s_and_b64 vcc, exec, s[22:23]
	s_cbranch_vccz .LBB22_2208
; %bb.2178:
	s_cmp_gt_i32 s26, 22
	s_cbranch_scc0 .LBB22_2186
; %bb.2179:
	s_cmp_lt_i32 s26, 24
	s_cbranch_scc1 .LBB22_2189
; %bb.2180:
	s_cmp_gt_i32 s26, 24
	s_cbranch_scc0 .LBB22_2190
; %bb.2181:
	global_load_ubyte v5, v[7:8], off
	s_movk_i32 s4, 0x7f
	s_mov_b64 s[20:21], 0
	s_waitcnt vmcnt(0)
	v_cmp_lt_i16_e32 vcc, s4, v5
	s_and_saveexec_b64 s[4:5], vcc
	s_xor_b64 s[4:5], exec, s[4:5]
	s_cbranch_execz .LBB22_2202
; %bb.2182:
	s_movk_i32 s20, 0x80
	v_cmp_ne_u16_e32 vcc, s20, v5
	s_and_b64 s[20:21], vcc, exec
	s_andn2_saveexec_b64 s[4:5], s[4:5]
	s_cbranch_execnz .LBB22_2203
.LBB22_2183:
	s_or_b64 exec, exec, s[4:5]
	v_mov_b32_e32 v9, 0
	s_and_saveexec_b64 s[4:5], s[20:21]
	s_cbranch_execz .LBB22_2185
.LBB22_2184:
	v_lshlrev_b32_e32 v9, 24, v5
	v_and_b32_e32 v5, 0xffff, v5
	v_and_b32_e32 v10, 3, v5
	v_ffbh_u32_e32 v13, v10
	v_min_u32_e32 v13, 32, v13
	v_subrev_u32_e32 v15, 29, v13
	v_bfe_u32 v12, v5, 2, 5
	v_lshlrev_b32_e32 v5, v15, v5
	v_sub_u32_e32 v13, 30, v13
	v_and_b32_e32 v5, 3, v5
	v_cmp_eq_u32_e32 vcc, 0, v12
	v_cndmask_b32_e32 v12, v12, v13, vcc
	v_cndmask_b32_e32 v5, v10, v5, vcc
	v_mov_b32_e32 v10, 0x37800000
	v_lshlrev_b32_e32 v5, 21, v5
	v_and_b32_e32 v9, 0x80000000, v9
	v_lshl_add_u32 v10, v12, 23, v10
	v_or3_b32 v5, v9, v10, v5
	v_cvt_i32_f32_e32 v9, v5
.LBB22_2185:
	s_or_b64 exec, exec, s[4:5]
	s_mov_b64 s[4:5], 0
	s_branch .LBB22_2191
.LBB22_2186:
	s_mov_b64 s[4:5], -1
                                        ; implicit-def: $vgpr9
	s_branch .LBB22_2197
.LBB22_2187:
	s_andn2_saveexec_b64 s[20:21], s[20:21]
	s_cbranch_execz .LBB22_2172
.LBB22_2188:
	v_cmp_ne_u16_e32 vcc, 0, v5
	s_andn2_b64 s[22:23], s[22:23], exec
	s_and_b64 s[28:29], vcc, exec
	s_or_b64 s[22:23], s[22:23], s[28:29]
	s_or_b64 exec, exec, s[20:21]
	v_mov_b32_e32 v9, 0
	s_and_saveexec_b64 s[20:21], s[22:23]
	s_cbranch_execnz .LBB22_2173
	s_branch .LBB22_2174
.LBB22_2189:
	s_mov_b64 s[4:5], -1
                                        ; implicit-def: $vgpr9
	s_branch .LBB22_2194
.LBB22_2190:
	s_mov_b64 s[4:5], -1
                                        ; implicit-def: $vgpr9
.LBB22_2191:
	s_and_b64 vcc, exec, s[4:5]
	s_cbranch_vccz .LBB22_2193
; %bb.2192:
	global_load_ubyte v5, v[7:8], off
	s_mov_b32 s4, 0x7f800000
	s_waitcnt vmcnt(0)
	v_lshlrev_b32_e32 v5, 24, v5
	v_and_b32_e32 v9, 0x7f000000, v5
	v_ffbh_u32_e32 v10, v9
	v_min_u32_e32 v10, 32, v10
	v_sub_u32_e64 v10, v10, 4 clamp
	v_lshlrev_b32_e32 v13, v10, v9
	v_lshlrev_b32_e32 v10, 23, v10
	v_lshrrev_b32_e32 v13, 4, v13
	v_add_u32_e32 v12, 0x1000000, v9
	v_sub_u32_e32 v10, v13, v10
	v_ashrrev_i32_e32 v12, 8, v12
	v_add_u32_e32 v10, 0x3c000000, v10
	v_and_or_b32 v10, v12, s4, v10
	v_cmp_ne_u32_e32 vcc, 0, v9
	v_cndmask_b32_e32 v9, 0, v10, vcc
	s_brev_b32 s4, 1
	v_and_or_b32 v5, v5, s4, v9
	v_cvt_i32_f32_e32 v9, v5
.LBB22_2193:
	s_mov_b64 s[4:5], 0
.LBB22_2194:
	s_andn2_b64 vcc, exec, s[4:5]
	s_cbranch_vccnz .LBB22_2196
; %bb.2195:
	global_load_ubyte v5, v[7:8], off
	s_movk_i32 s4, 0x7f00
	s_brev_b32 s5, 16
	s_waitcnt vmcnt(0)
	v_lshlrev_b16_e32 v9, 8, v5
	v_lshlrev_b32_e32 v5, 25, v5
	v_lshrrev_b32_e32 v10, 4, v5
	v_and_or_b32 v12, v9, s4, 0.5
	v_or_b32_e32 v10, 0x70000000, v10
	v_add_f32_e32 v12, -0.5, v12
	v_mul_f32_e32 v10, 0x7800000, v10
	v_cmp_gt_u32_e32 vcc, s5, v5
	v_bfe_i32 v9, v9, 0, 16
	v_cndmask_b32_e32 v5, v10, v12, vcc
	s_brev_b32 s4, 1
	v_and_or_b32 v5, v9, s4, v5
	v_cvt_i32_f32_e32 v9, v5
.LBB22_2196:
	s_mov_b64 s[4:5], 0
	s_mov_b64 s[20:21], -1
.LBB22_2197:
	s_andn2_b64 vcc, exec, s[4:5]
	s_mov_b64 s[4:5], 0
	s_cbranch_vccnz .LBB22_2208
; %bb.2198:
	s_cmp_gt_i32 s26, 14
	s_cbranch_scc0 .LBB22_2201
; %bb.2199:
	s_cmp_eq_u32 s26, 15
	s_cbranch_scc0 .LBB22_2204
; %bb.2200:
	global_load_ushort v5, v[7:8], off
	s_mov_b64 s[0:1], 0
	s_mov_b64 s[20:21], -1
	s_waitcnt vmcnt(0)
	v_lshlrev_b32_e32 v5, 16, v5
	v_cvt_i32_f32_e32 v9, v5
	s_branch .LBB22_2205
.LBB22_2201:
	s_mov_b64 s[22:23], -1
                                        ; implicit-def: $vgpr9
	s_branch .LBB22_2206
.LBB22_2202:
	s_andn2_saveexec_b64 s[4:5], s[4:5]
	s_cbranch_execz .LBB22_2183
.LBB22_2203:
	v_cmp_ne_u16_e32 vcc, 0, v5
	s_andn2_b64 s[20:21], s[20:21], exec
	s_and_b64 s[22:23], vcc, exec
	s_or_b64 s[20:21], s[20:21], s[22:23]
	s_or_b64 exec, exec, s[4:5]
	v_mov_b32_e32 v9, 0
	s_and_saveexec_b64 s[4:5], s[20:21]
	s_cbranch_execnz .LBB22_2184
	s_branch .LBB22_2185
.LBB22_2204:
	s_mov_b64 s[0:1], -1
                                        ; implicit-def: $vgpr9
.LBB22_2205:
	s_mov_b64 s[22:23], 0
.LBB22_2206:
	s_and_b64 vcc, exec, s[22:23]
	s_cbranch_vccz .LBB22_2208
; %bb.2207:
	s_cmp_lg_u32 s26, 11
	s_mov_b64 s[4:5], -1
	s_cselect_b64 s[0:1], -1, 0
.LBB22_2208:
	s_and_b64 vcc, exec, s[0:1]
	s_cbranch_vccnz .LBB22_2273
; %bb.2209:
	s_andn2_b64 vcc, exec, s[4:5]
	s_cbranch_vccnz .LBB22_2211
.LBB22_2210:
	global_load_ubyte v5, v[7:8], off
	s_mov_b64 s[20:21], -1
	s_waitcnt vmcnt(0)
	v_cmp_ne_u16_e32 vcc, 0, v5
	v_cndmask_b32_e64 v9, 0, 1, vcc
.LBB22_2211:
	s_mov_b64 s[0:1], 0
.LBB22_2212:
	s_and_b64 vcc, exec, s[0:1]
	s_cbranch_vccz .LBB22_2261
; %bb.2213:
	s_and_b32 s4, 0xffff, s25
	s_cmp_lt_i32 s4, 5
	s_cbranch_scc1 .LBB22_2218
; %bb.2214:
	s_cmp_lt_i32 s4, 8
	s_cbranch_scc1 .LBB22_2219
; %bb.2215:
	;; [unrolled: 3-line block ×3, first 2 shown]
	s_cmp_gt_i32 s4, 9
	s_cbranch_scc0 .LBB22_2221
; %bb.2217:
	global_load_dwordx2 v[9:10], v[7:8], off
	s_mov_b64 s[0:1], 0
	s_waitcnt vmcnt(0)
	v_cvt_i32_f64_e32 v9, v[9:10]
	s_branch .LBB22_2222
.LBB22_2218:
	s_mov_b64 s[0:1], -1
                                        ; implicit-def: $vgpr9
	s_branch .LBB22_2240
.LBB22_2219:
	s_mov_b64 s[0:1], -1
                                        ; implicit-def: $vgpr9
	s_branch .LBB22_2228
.LBB22_2220:
	s_mov_b64 s[0:1], -1
                                        ; implicit-def: $vgpr9
	s_branch .LBB22_2225
.LBB22_2221:
	s_mov_b64 s[0:1], -1
                                        ; implicit-def: $vgpr9
.LBB22_2222:
	s_andn2_b64 vcc, exec, s[0:1]
	s_cbranch_vccnz .LBB22_2224
; %bb.2223:
	global_load_dword v5, v[7:8], off
	s_waitcnt vmcnt(0)
	v_cvt_i32_f32_e32 v9, v5
.LBB22_2224:
	s_mov_b64 s[0:1], 0
.LBB22_2225:
	s_andn2_b64 vcc, exec, s[0:1]
	s_cbranch_vccnz .LBB22_2227
; %bb.2226:
	global_load_dword v5, v[7:8], off
	s_waitcnt vmcnt(0)
	v_cvt_i16_f16_e32 v9, v5
.LBB22_2227:
	s_mov_b64 s[0:1], 0
.LBB22_2228:
	s_andn2_b64 vcc, exec, s[0:1]
	s_cbranch_vccnz .LBB22_2239
; %bb.2229:
	s_cmp_lt_i32 s4, 6
	s_cbranch_scc1 .LBB22_2232
; %bb.2230:
	s_cmp_gt_i32 s4, 6
	s_cbranch_scc0 .LBB22_2233
; %bb.2231:
	global_load_dwordx2 v[9:10], v[7:8], off
	s_mov_b64 s[0:1], 0
	s_waitcnt vmcnt(0)
	v_cvt_i32_f64_e32 v9, v[9:10]
	s_branch .LBB22_2234
.LBB22_2232:
	s_mov_b64 s[0:1], -1
                                        ; implicit-def: $vgpr9
	s_branch .LBB22_2237
.LBB22_2233:
	s_mov_b64 s[0:1], -1
                                        ; implicit-def: $vgpr9
.LBB22_2234:
	s_andn2_b64 vcc, exec, s[0:1]
	s_cbranch_vccnz .LBB22_2236
; %bb.2235:
	global_load_dword v5, v[7:8], off
	s_waitcnt vmcnt(0)
	v_cvt_i32_f32_e32 v9, v5
.LBB22_2236:
	s_mov_b64 s[0:1], 0
.LBB22_2237:
	s_andn2_b64 vcc, exec, s[0:1]
	s_cbranch_vccnz .LBB22_2239
; %bb.2238:
	global_load_ushort v5, v[7:8], off
	s_waitcnt vmcnt(0)
	v_cvt_i16_f16_e32 v9, v5
.LBB22_2239:
	s_mov_b64 s[0:1], 0
.LBB22_2240:
	s_andn2_b64 vcc, exec, s[0:1]
	s_cbranch_vccnz .LBB22_2260
; %bb.2241:
	s_cmp_lt_i32 s4, 2
	s_cbranch_scc1 .LBB22_2245
; %bb.2242:
	s_cmp_lt_i32 s4, 3
	s_cbranch_scc1 .LBB22_2246
; %bb.2243:
	s_cmp_gt_i32 s4, 3
	s_cbranch_scc0 .LBB22_2247
; %bb.2244:
	global_load_dwordx2 v[9:10], v[7:8], off
	s_mov_b64 s[0:1], 0
	s_branch .LBB22_2248
.LBB22_2245:
	s_mov_b64 s[0:1], -1
                                        ; implicit-def: $vgpr9
	s_branch .LBB22_2254
.LBB22_2246:
	s_mov_b64 s[0:1], -1
                                        ; implicit-def: $vgpr9
	s_branch .LBB22_2251
.LBB22_2247:
	s_mov_b64 s[0:1], -1
                                        ; implicit-def: $vgpr9
.LBB22_2248:
	s_andn2_b64 vcc, exec, s[0:1]
	s_cbranch_vccnz .LBB22_2250
; %bb.2249:
	global_load_dword v9, v[7:8], off
.LBB22_2250:
	s_mov_b64 s[0:1], 0
.LBB22_2251:
	s_andn2_b64 vcc, exec, s[0:1]
	s_cbranch_vccnz .LBB22_2253
; %bb.2252:
	global_load_ushort v9, v[7:8], off
.LBB22_2253:
	s_mov_b64 s[0:1], 0
.LBB22_2254:
	s_andn2_b64 vcc, exec, s[0:1]
	s_cbranch_vccnz .LBB22_2260
; %bb.2255:
	s_cmp_gt_i32 s4, 0
	s_cbranch_scc0 .LBB22_2257
; %bb.2256:
	global_load_ubyte v9, v[7:8], off
	s_mov_b64 s[0:1], 0
	s_branch .LBB22_2258
.LBB22_2257:
	s_mov_b64 s[0:1], -1
                                        ; implicit-def: $vgpr9
.LBB22_2258:
	s_andn2_b64 vcc, exec, s[0:1]
	s_cbranch_vccnz .LBB22_2260
; %bb.2259:
	global_load_ubyte v9, v[7:8], off
.LBB22_2260:
	s_mov_b64 s[20:21], -1
.LBB22_2261:
	s_andn2_b64 vcc, exec, s[20:21]
	s_cbranch_vccnz .LBB22_2947
; %bb.2262:
	v_add_u32_e32 v5, s13, v11
	v_ashrrev_i32_e32 v7, 31, v5
	v_mov_b32_e32 v8, s11
	s_waitcnt vmcnt(0)
	v_add_co_u32_e32 v10, vcc, s10, v5
	s_cmp_lt_i32 s24, 11
	v_addc_co_u32_e32 v11, vcc, v8, v7, vcc
	s_cbranch_scc1 .LBB22_2269
; %bb.2263:
	s_and_b32 s13, 0xffff, s24
	s_cmp_gt_i32 s13, 25
	s_mov_b64 s[4:5], 0
	s_cbranch_scc0 .LBB22_2270
; %bb.2264:
	s_cmp_gt_i32 s13, 28
	s_cbranch_scc0 .LBB22_2271
; %bb.2265:
	s_cmp_gt_i32 s13, 43
	;; [unrolled: 3-line block ×3, first 2 shown]
	s_cbranch_scc0 .LBB22_2274
; %bb.2267:
	s_cmp_eq_u32 s13, 46
	s_mov_b64 s[20:21], 0
	s_cbranch_scc0 .LBB22_2275
; %bb.2268:
	global_load_dword v5, v[10:11], off
	s_mov_b64 s[0:1], 0
	s_mov_b64 s[10:11], -1
	s_waitcnt vmcnt(0)
	v_lshlrev_b32_e32 v5, 16, v5
	v_cvt_i32_f32_e32 v7, v5
	s_branch .LBB22_2276
.LBB22_2269:
	s_mov_b64 s[0:1], -1
	s_mov_b64 s[10:11], 0
                                        ; implicit-def: $vgpr7
	s_branch .LBB22_2338
.LBB22_2270:
	s_mov_b64 s[20:21], -1
	s_mov_b64 s[10:11], 0
	s_mov_b64 s[0:1], 0
                                        ; implicit-def: $vgpr7
	s_branch .LBB22_2303
.LBB22_2271:
	s_mov_b64 s[20:21], -1
	s_mov_b64 s[10:11], 0
	s_mov_b64 s[0:1], 0
                                        ; implicit-def: $vgpr7
	s_branch .LBB22_2286
.LBB22_2272:
	s_mov_b64 s[20:21], -1
	s_mov_b64 s[10:11], 0
	s_mov_b64 s[0:1], 0
                                        ; implicit-def: $vgpr7
	s_branch .LBB22_2281
.LBB22_2273:
	s_trap 2
	s_or_b64 s[18:19], s[18:19], exec
	s_cbranch_execz .LBB22_2210
	s_branch .LBB22_2211
.LBB22_2274:
	s_mov_b64 s[20:21], -1
	s_mov_b64 s[10:11], 0
	s_mov_b64 s[0:1], 0
                                        ; implicit-def: $vgpr7
	s_branch .LBB22_2276
.LBB22_2275:
	s_mov_b64 s[0:1], -1
                                        ; implicit-def: $vgpr7
	s_mov_b64 s[10:11], 0
.LBB22_2276:
	s_and_b64 vcc, exec, s[20:21]
	s_cbranch_vccz .LBB22_2280
; %bb.2277:
	s_cmp_eq_u32 s13, 44
	s_cbranch_scc0 .LBB22_2279
; %bb.2278:
	global_load_ubyte v5, v[10:11], off
	s_mov_b64 s[0:1], 0
	s_mov_b64 s[10:11], -1
	s_waitcnt vmcnt(0)
	v_lshlrev_b32_e32 v7, 23, v5
	v_cvt_i32_f32_e32 v7, v7
	v_cmp_ne_u32_e32 vcc, 0, v5
	v_cndmask_b32_e32 v7, 0, v7, vcc
	s_branch .LBB22_2280
.LBB22_2279:
	s_mov_b64 s[0:1], -1
                                        ; implicit-def: $vgpr7
.LBB22_2280:
	s_mov_b64 s[20:21], 0
.LBB22_2281:
	s_and_b64 vcc, exec, s[20:21]
	s_cbranch_vccz .LBB22_2285
; %bb.2282:
	s_cmp_eq_u32 s13, 29
	s_cbranch_scc0 .LBB22_2284
; %bb.2283:
	global_load_dwordx2 v[7:8], v[10:11], off
	s_mov_b64 s[0:1], 0
	s_mov_b64 s[10:11], -1
	s_branch .LBB22_2285
.LBB22_2284:
	s_mov_b64 s[0:1], -1
                                        ; implicit-def: $vgpr7
.LBB22_2285:
	s_mov_b64 s[20:21], 0
.LBB22_2286:
	s_and_b64 vcc, exec, s[20:21]
	s_cbranch_vccz .LBB22_2302
; %bb.2287:
	s_cmp_lt_i32 s13, 27
	s_cbranch_scc1 .LBB22_2290
; %bb.2288:
	s_cmp_gt_i32 s13, 27
	s_cbranch_scc0 .LBB22_2291
; %bb.2289:
	global_load_dword v7, v[10:11], off
	s_mov_b64 s[10:11], 0
	s_branch .LBB22_2292
.LBB22_2290:
	s_mov_b64 s[10:11], -1
                                        ; implicit-def: $vgpr7
	s_branch .LBB22_2295
.LBB22_2291:
	s_mov_b64 s[10:11], -1
                                        ; implicit-def: $vgpr7
.LBB22_2292:
	s_andn2_b64 vcc, exec, s[10:11]
	s_cbranch_vccnz .LBB22_2294
; %bb.2293:
	global_load_ushort v7, v[10:11], off
.LBB22_2294:
	s_mov_b64 s[10:11], 0
.LBB22_2295:
	s_andn2_b64 vcc, exec, s[10:11]
	s_cbranch_vccnz .LBB22_2301
; %bb.2296:
	global_load_ubyte v5, v[10:11], off
	s_movk_i32 s10, 0x7f
	s_mov_b64 s[20:21], 0
	s_waitcnt vmcnt(0)
	v_cmp_lt_i16_e32 vcc, s10, v5
	s_and_saveexec_b64 s[10:11], vcc
	s_xor_b64 s[10:11], exec, s[10:11]
	s_cbranch_execz .LBB22_2313
; %bb.2297:
	s_movk_i32 s20, 0x80
	v_cmp_ne_u16_e32 vcc, s20, v5
	s_and_b64 s[20:21], vcc, exec
	s_andn2_saveexec_b64 s[10:11], s[10:11]
	s_cbranch_execnz .LBB22_2314
.LBB22_2298:
	s_or_b64 exec, exec, s[10:11]
	v_mov_b32_e32 v7, 0
	s_and_saveexec_b64 s[10:11], s[20:21]
	s_cbranch_execz .LBB22_2300
.LBB22_2299:
	v_lshlrev_b32_e32 v7, 24, v5
	v_and_b32_e32 v5, 0xffff, v5
	v_and_b32_e32 v8, 7, v5
	v_ffbh_u32_e32 v13, v8
	v_min_u32_e32 v13, 32, v13
	v_subrev_u32_e32 v15, 28, v13
	v_bfe_u32 v12, v5, 3, 4
	v_lshlrev_b32_e32 v5, v15, v5
	v_sub_u32_e32 v13, 29, v13
	v_and_b32_e32 v5, 7, v5
	v_cmp_eq_u32_e32 vcc, 0, v12
	v_cndmask_b32_e32 v12, v12, v13, vcc
	v_cndmask_b32_e32 v5, v8, v5, vcc
	v_mov_b32_e32 v8, 0x3b800000
	v_lshlrev_b32_e32 v5, 20, v5
	v_and_b32_e32 v7, 0x80000000, v7
	v_lshl_add_u32 v8, v12, 23, v8
	v_or3_b32 v5, v7, v8, v5
	v_cvt_i32_f32_e32 v7, v5
.LBB22_2300:
	s_or_b64 exec, exec, s[10:11]
.LBB22_2301:
	s_mov_b64 s[10:11], -1
.LBB22_2302:
	s_mov_b64 s[20:21], 0
.LBB22_2303:
	s_and_b64 vcc, exec, s[20:21]
	s_cbranch_vccz .LBB22_2334
; %bb.2304:
	s_cmp_gt_i32 s13, 22
	s_cbranch_scc0 .LBB22_2312
; %bb.2305:
	s_cmp_lt_i32 s13, 24
	s_cbranch_scc1 .LBB22_2315
; %bb.2306:
	s_cmp_gt_i32 s13, 24
	s_cbranch_scc0 .LBB22_2316
; %bb.2307:
	global_load_ubyte v5, v[10:11], off
	s_movk_i32 s4, 0x7f
	s_mov_b64 s[10:11], 0
	s_waitcnt vmcnt(0)
	v_cmp_lt_i16_e32 vcc, s4, v5
	s_and_saveexec_b64 s[4:5], vcc
	s_xor_b64 s[4:5], exec, s[4:5]
	s_cbranch_execz .LBB22_2328
; %bb.2308:
	s_movk_i32 s10, 0x80
	v_cmp_ne_u16_e32 vcc, s10, v5
	s_and_b64 s[10:11], vcc, exec
	s_andn2_saveexec_b64 s[4:5], s[4:5]
	s_cbranch_execnz .LBB22_2329
.LBB22_2309:
	s_or_b64 exec, exec, s[4:5]
	v_mov_b32_e32 v7, 0
	s_and_saveexec_b64 s[4:5], s[10:11]
	s_cbranch_execz .LBB22_2311
.LBB22_2310:
	v_lshlrev_b32_e32 v7, 24, v5
	v_and_b32_e32 v5, 0xffff, v5
	v_and_b32_e32 v8, 3, v5
	v_ffbh_u32_e32 v13, v8
	v_min_u32_e32 v13, 32, v13
	v_subrev_u32_e32 v15, 29, v13
	v_bfe_u32 v12, v5, 2, 5
	v_lshlrev_b32_e32 v5, v15, v5
	v_sub_u32_e32 v13, 30, v13
	v_and_b32_e32 v5, 3, v5
	v_cmp_eq_u32_e32 vcc, 0, v12
	v_cndmask_b32_e32 v12, v12, v13, vcc
	v_cndmask_b32_e32 v5, v8, v5, vcc
	v_mov_b32_e32 v8, 0x37800000
	v_lshlrev_b32_e32 v5, 21, v5
	v_and_b32_e32 v7, 0x80000000, v7
	v_lshl_add_u32 v8, v12, 23, v8
	v_or3_b32 v5, v7, v8, v5
	v_cvt_i32_f32_e32 v7, v5
.LBB22_2311:
	s_or_b64 exec, exec, s[4:5]
	s_mov_b64 s[4:5], 0
	s_branch .LBB22_2317
.LBB22_2312:
	s_mov_b64 s[4:5], -1
                                        ; implicit-def: $vgpr7
	s_branch .LBB22_2323
.LBB22_2313:
	s_andn2_saveexec_b64 s[10:11], s[10:11]
	s_cbranch_execz .LBB22_2298
.LBB22_2314:
	v_cmp_ne_u16_e32 vcc, 0, v5
	s_andn2_b64 s[20:21], s[20:21], exec
	s_and_b64 s[22:23], vcc, exec
	s_or_b64 s[20:21], s[20:21], s[22:23]
	s_or_b64 exec, exec, s[10:11]
	v_mov_b32_e32 v7, 0
	s_and_saveexec_b64 s[10:11], s[20:21]
	s_cbranch_execnz .LBB22_2299
	s_branch .LBB22_2300
.LBB22_2315:
	s_mov_b64 s[4:5], -1
                                        ; implicit-def: $vgpr7
	s_branch .LBB22_2320
.LBB22_2316:
	s_mov_b64 s[4:5], -1
                                        ; implicit-def: $vgpr7
.LBB22_2317:
	s_and_b64 vcc, exec, s[4:5]
	s_cbranch_vccz .LBB22_2319
; %bb.2318:
	global_load_ubyte v5, v[10:11], off
	s_mov_b32 s4, 0x7f800000
	s_waitcnt vmcnt(0)
	v_lshlrev_b32_e32 v5, 24, v5
	v_and_b32_e32 v7, 0x7f000000, v5
	v_ffbh_u32_e32 v8, v7
	v_min_u32_e32 v8, 32, v8
	v_sub_u32_e64 v8, v8, 4 clamp
	v_lshlrev_b32_e32 v13, v8, v7
	v_lshlrev_b32_e32 v8, 23, v8
	v_lshrrev_b32_e32 v13, 4, v13
	v_add_u32_e32 v12, 0x1000000, v7
	v_sub_u32_e32 v8, v13, v8
	v_ashrrev_i32_e32 v12, 8, v12
	v_add_u32_e32 v8, 0x3c000000, v8
	v_and_or_b32 v8, v12, s4, v8
	v_cmp_ne_u32_e32 vcc, 0, v7
	v_cndmask_b32_e32 v7, 0, v8, vcc
	s_brev_b32 s4, 1
	v_and_or_b32 v5, v5, s4, v7
	v_cvt_i32_f32_e32 v7, v5
.LBB22_2319:
	s_mov_b64 s[4:5], 0
.LBB22_2320:
	s_andn2_b64 vcc, exec, s[4:5]
	s_cbranch_vccnz .LBB22_2322
; %bb.2321:
	global_load_ubyte v5, v[10:11], off
	s_movk_i32 s4, 0x7f00
	s_brev_b32 s5, 16
	s_waitcnt vmcnt(0)
	v_lshlrev_b16_e32 v7, 8, v5
	v_lshlrev_b32_e32 v5, 25, v5
	v_lshrrev_b32_e32 v8, 4, v5
	v_and_or_b32 v12, v7, s4, 0.5
	v_or_b32_e32 v8, 0x70000000, v8
	v_add_f32_e32 v12, -0.5, v12
	v_mul_f32_e32 v8, 0x7800000, v8
	v_cmp_gt_u32_e32 vcc, s5, v5
	v_bfe_i32 v7, v7, 0, 16
	v_cndmask_b32_e32 v5, v8, v12, vcc
	s_brev_b32 s4, 1
	v_and_or_b32 v5, v7, s4, v5
	v_cvt_i32_f32_e32 v7, v5
.LBB22_2322:
	s_mov_b64 s[4:5], 0
	s_mov_b64 s[10:11], -1
.LBB22_2323:
	s_andn2_b64 vcc, exec, s[4:5]
	s_mov_b64 s[4:5], 0
	s_cbranch_vccnz .LBB22_2334
; %bb.2324:
	s_cmp_gt_i32 s13, 14
	s_cbranch_scc0 .LBB22_2327
; %bb.2325:
	s_cmp_eq_u32 s13, 15
	s_cbranch_scc0 .LBB22_2330
; %bb.2326:
	global_load_ushort v5, v[10:11], off
	s_mov_b64 s[0:1], 0
	s_mov_b64 s[10:11], -1
	s_waitcnt vmcnt(0)
	v_lshlrev_b32_e32 v5, 16, v5
	v_cvt_i32_f32_e32 v7, v5
	s_branch .LBB22_2331
.LBB22_2327:
	s_mov_b64 s[20:21], -1
                                        ; implicit-def: $vgpr7
	s_branch .LBB22_2332
.LBB22_2328:
	s_andn2_saveexec_b64 s[4:5], s[4:5]
	s_cbranch_execz .LBB22_2309
.LBB22_2329:
	v_cmp_ne_u16_e32 vcc, 0, v5
	s_andn2_b64 s[10:11], s[10:11], exec
	s_and_b64 s[20:21], vcc, exec
	s_or_b64 s[10:11], s[10:11], s[20:21]
	s_or_b64 exec, exec, s[4:5]
	v_mov_b32_e32 v7, 0
	s_and_saveexec_b64 s[4:5], s[10:11]
	s_cbranch_execnz .LBB22_2310
	s_branch .LBB22_2311
.LBB22_2330:
	s_mov_b64 s[0:1], -1
                                        ; implicit-def: $vgpr7
.LBB22_2331:
	s_mov_b64 s[20:21], 0
.LBB22_2332:
	s_and_b64 vcc, exec, s[20:21]
	s_cbranch_vccz .LBB22_2334
; %bb.2333:
	s_cmp_lg_u32 s13, 11
	s_mov_b64 s[4:5], -1
	s_cselect_b64 s[0:1], -1, 0
.LBB22_2334:
	s_and_b64 vcc, exec, s[0:1]
	s_cbranch_vccnz .LBB22_2399
; %bb.2335:
	s_andn2_b64 vcc, exec, s[4:5]
	s_cbranch_vccnz .LBB22_2337
.LBB22_2336:
	global_load_ubyte v5, v[10:11], off
	s_mov_b64 s[10:11], -1
	s_waitcnt vmcnt(0)
	v_cmp_ne_u16_e32 vcc, 0, v5
	v_cndmask_b32_e64 v7, 0, 1, vcc
.LBB22_2337:
	s_mov_b64 s[0:1], 0
.LBB22_2338:
	s_and_b64 vcc, exec, s[0:1]
	s_cbranch_vccz .LBB22_2387
; %bb.2339:
	s_and_b32 s4, 0xffff, s24
	s_cmp_lt_i32 s4, 5
	s_cbranch_scc1 .LBB22_2344
; %bb.2340:
	s_cmp_lt_i32 s4, 8
	s_cbranch_scc1 .LBB22_2345
; %bb.2341:
	;; [unrolled: 3-line block ×3, first 2 shown]
	s_cmp_gt_i32 s4, 9
	s_cbranch_scc0 .LBB22_2347
; %bb.2343:
	global_load_dwordx2 v[7:8], v[10:11], off
	s_mov_b64 s[0:1], 0
	s_waitcnt vmcnt(0)
	v_cvt_i32_f64_e32 v7, v[7:8]
	s_branch .LBB22_2348
.LBB22_2344:
	s_mov_b64 s[0:1], -1
                                        ; implicit-def: $vgpr7
	s_branch .LBB22_2366
.LBB22_2345:
	s_mov_b64 s[0:1], -1
                                        ; implicit-def: $vgpr7
	s_branch .LBB22_2354
.LBB22_2346:
	s_mov_b64 s[0:1], -1
                                        ; implicit-def: $vgpr7
	s_branch .LBB22_2351
.LBB22_2347:
	s_mov_b64 s[0:1], -1
                                        ; implicit-def: $vgpr7
.LBB22_2348:
	s_andn2_b64 vcc, exec, s[0:1]
	s_cbranch_vccnz .LBB22_2350
; %bb.2349:
	global_load_dword v5, v[10:11], off
	s_waitcnt vmcnt(0)
	v_cvt_i32_f32_e32 v7, v5
.LBB22_2350:
	s_mov_b64 s[0:1], 0
.LBB22_2351:
	s_andn2_b64 vcc, exec, s[0:1]
	s_cbranch_vccnz .LBB22_2353
; %bb.2352:
	global_load_dword v5, v[10:11], off
	s_waitcnt vmcnt(0)
	v_cvt_i16_f16_e32 v7, v5
.LBB22_2353:
	s_mov_b64 s[0:1], 0
.LBB22_2354:
	s_andn2_b64 vcc, exec, s[0:1]
	s_cbranch_vccnz .LBB22_2365
; %bb.2355:
	s_cmp_lt_i32 s4, 6
	s_cbranch_scc1 .LBB22_2358
; %bb.2356:
	s_cmp_gt_i32 s4, 6
	s_cbranch_scc0 .LBB22_2359
; %bb.2357:
	global_load_dwordx2 v[7:8], v[10:11], off
	s_mov_b64 s[0:1], 0
	s_waitcnt vmcnt(0)
	v_cvt_i32_f64_e32 v7, v[7:8]
	s_branch .LBB22_2360
.LBB22_2358:
	s_mov_b64 s[0:1], -1
                                        ; implicit-def: $vgpr7
	s_branch .LBB22_2363
.LBB22_2359:
	s_mov_b64 s[0:1], -1
                                        ; implicit-def: $vgpr7
.LBB22_2360:
	s_andn2_b64 vcc, exec, s[0:1]
	s_cbranch_vccnz .LBB22_2362
; %bb.2361:
	global_load_dword v5, v[10:11], off
	s_waitcnt vmcnt(0)
	v_cvt_i32_f32_e32 v7, v5
.LBB22_2362:
	s_mov_b64 s[0:1], 0
.LBB22_2363:
	s_andn2_b64 vcc, exec, s[0:1]
	s_cbranch_vccnz .LBB22_2365
; %bb.2364:
	global_load_ushort v5, v[10:11], off
	s_waitcnt vmcnt(0)
	v_cvt_i16_f16_e32 v7, v5
.LBB22_2365:
	s_mov_b64 s[0:1], 0
.LBB22_2366:
	s_andn2_b64 vcc, exec, s[0:1]
	s_cbranch_vccnz .LBB22_2386
; %bb.2367:
	s_cmp_lt_i32 s4, 2
	s_cbranch_scc1 .LBB22_2371
; %bb.2368:
	s_cmp_lt_i32 s4, 3
	s_cbranch_scc1 .LBB22_2372
; %bb.2369:
	s_cmp_gt_i32 s4, 3
	s_cbranch_scc0 .LBB22_2373
; %bb.2370:
	global_load_dwordx2 v[7:8], v[10:11], off
	s_mov_b64 s[0:1], 0
	s_branch .LBB22_2374
.LBB22_2371:
	s_mov_b64 s[0:1], -1
                                        ; implicit-def: $vgpr7
	s_branch .LBB22_2380
.LBB22_2372:
	s_mov_b64 s[0:1], -1
                                        ; implicit-def: $vgpr7
	s_branch .LBB22_2377
.LBB22_2373:
	s_mov_b64 s[0:1], -1
                                        ; implicit-def: $vgpr7
.LBB22_2374:
	s_andn2_b64 vcc, exec, s[0:1]
	s_cbranch_vccnz .LBB22_2376
; %bb.2375:
	global_load_dword v7, v[10:11], off
.LBB22_2376:
	s_mov_b64 s[0:1], 0
.LBB22_2377:
	s_andn2_b64 vcc, exec, s[0:1]
	s_cbranch_vccnz .LBB22_2379
; %bb.2378:
	global_load_ushort v7, v[10:11], off
.LBB22_2379:
	s_mov_b64 s[0:1], 0
.LBB22_2380:
	s_andn2_b64 vcc, exec, s[0:1]
	s_cbranch_vccnz .LBB22_2386
; %bb.2381:
	s_cmp_gt_i32 s4, 0
	s_cbranch_scc0 .LBB22_2383
; %bb.2382:
	global_load_ubyte v7, v[10:11], off
	s_mov_b64 s[0:1], 0
	s_branch .LBB22_2384
.LBB22_2383:
	s_mov_b64 s[0:1], -1
                                        ; implicit-def: $vgpr7
.LBB22_2384:
	s_andn2_b64 vcc, exec, s[0:1]
	s_cbranch_vccnz .LBB22_2386
; %bb.2385:
	global_load_ubyte v7, v[10:11], off
.LBB22_2386:
	s_mov_b64 s[10:11], -1
.LBB22_2387:
	s_andn2_b64 vcc, exec, s[10:11]
	s_cbranch_vccnz .LBB22_2947
; %bb.2388:
	v_add_u32_e32 v2, s14, v2
	v_ashrrev_i32_e32 v5, 31, v2
	s_waitcnt vmcnt(0)
	v_mov_b32_e32 v8, s3
	v_add_co_u32_e32 v12, vcc, s2, v2
	s_cmp_lt_i32 s25, 11
	v_addc_co_u32_e32 v13, vcc, v8, v5, vcc
	s_cbranch_scc1 .LBB22_2395
; %bb.2389:
	s_and_b32 s13, 0xffff, s25
	s_cmp_gt_i32 s13, 25
	s_mov_b64 s[2:3], 0
	s_cbranch_scc0 .LBB22_2396
; %bb.2390:
	s_cmp_gt_i32 s13, 28
	s_cbranch_scc0 .LBB22_2397
; %bb.2391:
	s_cmp_gt_i32 s13, 43
	;; [unrolled: 3-line block ×3, first 2 shown]
	s_cbranch_scc0 .LBB22_2400
; %bb.2393:
	s_cmp_eq_u32 s13, 46
	s_mov_b64 s[10:11], 0
	s_cbranch_scc0 .LBB22_2401
; %bb.2394:
	global_load_dword v2, v[12:13], off
	s_mov_b64 s[0:1], 0
	s_mov_b64 s[4:5], -1
	s_waitcnt vmcnt(0)
	v_lshlrev_b32_e32 v2, 16, v2
	v_cvt_i32_f32_e32 v10, v2
	s_branch .LBB22_2402
.LBB22_2395:
	s_mov_b64 s[0:1], -1
	s_mov_b64 s[4:5], 0
                                        ; implicit-def: $vgpr10
	s_branch .LBB22_2464
.LBB22_2396:
	s_mov_b64 s[10:11], -1
	s_mov_b64 s[4:5], 0
	s_mov_b64 s[0:1], 0
                                        ; implicit-def: $vgpr10
	s_branch .LBB22_2429
.LBB22_2397:
	s_mov_b64 s[10:11], -1
	s_mov_b64 s[4:5], 0
	s_mov_b64 s[0:1], 0
                                        ; implicit-def: $vgpr10
	s_branch .LBB22_2412
.LBB22_2398:
	s_mov_b64 s[10:11], -1
	s_mov_b64 s[4:5], 0
	s_mov_b64 s[0:1], 0
                                        ; implicit-def: $vgpr10
	s_branch .LBB22_2407
.LBB22_2399:
	s_trap 2
	s_or_b64 s[18:19], s[18:19], exec
	s_cbranch_execz .LBB22_2336
	s_branch .LBB22_2337
.LBB22_2400:
	s_mov_b64 s[10:11], -1
	s_mov_b64 s[4:5], 0
	s_mov_b64 s[0:1], 0
                                        ; implicit-def: $vgpr10
	s_branch .LBB22_2402
.LBB22_2401:
	s_mov_b64 s[0:1], -1
                                        ; implicit-def: $vgpr10
	s_mov_b64 s[4:5], 0
.LBB22_2402:
	s_and_b64 vcc, exec, s[10:11]
	s_cbranch_vccz .LBB22_2406
; %bb.2403:
	s_cmp_eq_u32 s13, 44
	s_cbranch_scc0 .LBB22_2405
; %bb.2404:
	global_load_ubyte v2, v[12:13], off
	s_mov_b64 s[0:1], 0
	s_mov_b64 s[4:5], -1
	s_waitcnt vmcnt(0)
	v_lshlrev_b32_e32 v5, 23, v2
	v_cvt_i32_f32_e32 v5, v5
	v_cmp_ne_u32_e32 vcc, 0, v2
	v_cndmask_b32_e32 v10, 0, v5, vcc
	s_branch .LBB22_2406
.LBB22_2405:
	s_mov_b64 s[0:1], -1
                                        ; implicit-def: $vgpr10
.LBB22_2406:
	s_mov_b64 s[10:11], 0
.LBB22_2407:
	s_and_b64 vcc, exec, s[10:11]
	s_cbranch_vccz .LBB22_2411
; %bb.2408:
	s_cmp_eq_u32 s13, 29
	s_cbranch_scc0 .LBB22_2410
; %bb.2409:
	global_load_dwordx2 v[10:11], v[12:13], off
	s_mov_b64 s[0:1], 0
	s_mov_b64 s[4:5], -1
	s_branch .LBB22_2411
.LBB22_2410:
	s_mov_b64 s[0:1], -1
                                        ; implicit-def: $vgpr10
.LBB22_2411:
	s_mov_b64 s[10:11], 0
.LBB22_2412:
	s_and_b64 vcc, exec, s[10:11]
	s_cbranch_vccz .LBB22_2428
; %bb.2413:
	s_cmp_lt_i32 s13, 27
	s_cbranch_scc1 .LBB22_2416
; %bb.2414:
	s_cmp_gt_i32 s13, 27
	s_cbranch_scc0 .LBB22_2417
; %bb.2415:
	global_load_dword v10, v[12:13], off
	s_mov_b64 s[4:5], 0
	s_branch .LBB22_2418
.LBB22_2416:
	s_mov_b64 s[4:5], -1
                                        ; implicit-def: $vgpr10
	s_branch .LBB22_2421
.LBB22_2417:
	s_mov_b64 s[4:5], -1
                                        ; implicit-def: $vgpr10
.LBB22_2418:
	s_andn2_b64 vcc, exec, s[4:5]
	s_cbranch_vccnz .LBB22_2420
; %bb.2419:
	global_load_ushort v10, v[12:13], off
.LBB22_2420:
	s_mov_b64 s[4:5], 0
.LBB22_2421:
	s_andn2_b64 vcc, exec, s[4:5]
	s_cbranch_vccnz .LBB22_2427
; %bb.2422:
	global_load_ubyte v2, v[12:13], off
	s_movk_i32 s4, 0x7f
	s_mov_b64 s[10:11], 0
	s_waitcnt vmcnt(0)
	v_cmp_lt_i16_e32 vcc, s4, v2
	s_and_saveexec_b64 s[4:5], vcc
	s_xor_b64 s[4:5], exec, s[4:5]
	s_cbranch_execz .LBB22_2439
; %bb.2423:
	s_movk_i32 s10, 0x80
	v_cmp_ne_u16_e32 vcc, s10, v2
	s_and_b64 s[10:11], vcc, exec
	s_andn2_saveexec_b64 s[4:5], s[4:5]
	s_cbranch_execnz .LBB22_2440
.LBB22_2424:
	s_or_b64 exec, exec, s[4:5]
	v_mov_b32_e32 v10, 0
	s_and_saveexec_b64 s[4:5], s[10:11]
	s_cbranch_execz .LBB22_2426
.LBB22_2425:
	v_lshlrev_b32_e32 v5, 24, v2
	v_and_b32_e32 v2, 0xffff, v2
	v_and_b32_e32 v8, 7, v2
	v_ffbh_u32_e32 v11, v8
	v_min_u32_e32 v11, 32, v11
	v_subrev_u32_e32 v15, 28, v11
	v_bfe_u32 v10, v2, 3, 4
	v_lshlrev_b32_e32 v2, v15, v2
	v_sub_u32_e32 v11, 29, v11
	v_and_b32_e32 v2, 7, v2
	v_cmp_eq_u32_e32 vcc, 0, v10
	v_cndmask_b32_e32 v10, v10, v11, vcc
	v_cndmask_b32_e32 v2, v8, v2, vcc
	v_mov_b32_e32 v8, 0x3b800000
	v_lshlrev_b32_e32 v2, 20, v2
	v_and_b32_e32 v5, 0x80000000, v5
	v_lshl_add_u32 v8, v10, 23, v8
	v_or3_b32 v2, v5, v8, v2
	v_cvt_i32_f32_e32 v10, v2
.LBB22_2426:
	s_or_b64 exec, exec, s[4:5]
.LBB22_2427:
	s_mov_b64 s[4:5], -1
.LBB22_2428:
	s_mov_b64 s[10:11], 0
.LBB22_2429:
	s_and_b64 vcc, exec, s[10:11]
	s_cbranch_vccz .LBB22_2460
; %bb.2430:
	s_cmp_gt_i32 s13, 22
	s_cbranch_scc0 .LBB22_2438
; %bb.2431:
	s_cmp_lt_i32 s13, 24
	s_cbranch_scc1 .LBB22_2441
; %bb.2432:
	s_cmp_gt_i32 s13, 24
	s_cbranch_scc0 .LBB22_2442
; %bb.2433:
	global_load_ubyte v2, v[12:13], off
	s_movk_i32 s2, 0x7f
	s_mov_b64 s[4:5], 0
	s_waitcnt vmcnt(0)
	v_cmp_lt_i16_e32 vcc, s2, v2
	s_and_saveexec_b64 s[2:3], vcc
	s_xor_b64 s[2:3], exec, s[2:3]
	s_cbranch_execz .LBB22_2454
; %bb.2434:
	s_movk_i32 s4, 0x80
	v_cmp_ne_u16_e32 vcc, s4, v2
	s_and_b64 s[4:5], vcc, exec
	s_andn2_saveexec_b64 s[2:3], s[2:3]
	s_cbranch_execnz .LBB22_2455
.LBB22_2435:
	s_or_b64 exec, exec, s[2:3]
	v_mov_b32_e32 v10, 0
	s_and_saveexec_b64 s[2:3], s[4:5]
	s_cbranch_execz .LBB22_2437
.LBB22_2436:
	v_lshlrev_b32_e32 v5, 24, v2
	v_and_b32_e32 v2, 0xffff, v2
	v_and_b32_e32 v8, 3, v2
	v_ffbh_u32_e32 v11, v8
	v_min_u32_e32 v11, 32, v11
	v_subrev_u32_e32 v15, 29, v11
	v_bfe_u32 v10, v2, 2, 5
	v_lshlrev_b32_e32 v2, v15, v2
	v_sub_u32_e32 v11, 30, v11
	v_and_b32_e32 v2, 3, v2
	v_cmp_eq_u32_e32 vcc, 0, v10
	v_cndmask_b32_e32 v10, v10, v11, vcc
	v_cndmask_b32_e32 v2, v8, v2, vcc
	v_mov_b32_e32 v8, 0x37800000
	v_lshlrev_b32_e32 v2, 21, v2
	v_and_b32_e32 v5, 0x80000000, v5
	v_lshl_add_u32 v8, v10, 23, v8
	v_or3_b32 v2, v5, v8, v2
	v_cvt_i32_f32_e32 v10, v2
.LBB22_2437:
	s_or_b64 exec, exec, s[2:3]
	s_mov_b64 s[2:3], 0
	s_branch .LBB22_2443
.LBB22_2438:
	s_mov_b64 s[2:3], -1
                                        ; implicit-def: $vgpr10
	s_branch .LBB22_2449
.LBB22_2439:
	s_andn2_saveexec_b64 s[4:5], s[4:5]
	s_cbranch_execz .LBB22_2424
.LBB22_2440:
	v_cmp_ne_u16_e32 vcc, 0, v2
	s_andn2_b64 s[10:11], s[10:11], exec
	s_and_b64 s[20:21], vcc, exec
	s_or_b64 s[10:11], s[10:11], s[20:21]
	s_or_b64 exec, exec, s[4:5]
	v_mov_b32_e32 v10, 0
	s_and_saveexec_b64 s[4:5], s[10:11]
	s_cbranch_execnz .LBB22_2425
	s_branch .LBB22_2426
.LBB22_2441:
	s_mov_b64 s[2:3], -1
                                        ; implicit-def: $vgpr10
	s_branch .LBB22_2446
.LBB22_2442:
	s_mov_b64 s[2:3], -1
                                        ; implicit-def: $vgpr10
.LBB22_2443:
	s_and_b64 vcc, exec, s[2:3]
	s_cbranch_vccz .LBB22_2445
; %bb.2444:
	global_load_ubyte v2, v[12:13], off
	s_mov_b32 s2, 0x7f800000
	s_waitcnt vmcnt(0)
	v_lshlrev_b32_e32 v2, 24, v2
	v_and_b32_e32 v5, 0x7f000000, v2
	v_ffbh_u32_e32 v8, v5
	v_min_u32_e32 v8, 32, v8
	v_sub_u32_e64 v8, v8, 4 clamp
	v_lshlrev_b32_e32 v11, v8, v5
	v_lshlrev_b32_e32 v8, 23, v8
	v_lshrrev_b32_e32 v11, 4, v11
	v_add_u32_e32 v10, 0x1000000, v5
	v_sub_u32_e32 v8, v11, v8
	v_ashrrev_i32_e32 v10, 8, v10
	v_add_u32_e32 v8, 0x3c000000, v8
	v_and_or_b32 v8, v10, s2, v8
	v_cmp_ne_u32_e32 vcc, 0, v5
	v_cndmask_b32_e32 v5, 0, v8, vcc
	s_brev_b32 s2, 1
	v_and_or_b32 v2, v2, s2, v5
	v_cvt_i32_f32_e32 v10, v2
.LBB22_2445:
	s_mov_b64 s[2:3], 0
.LBB22_2446:
	s_andn2_b64 vcc, exec, s[2:3]
	s_cbranch_vccnz .LBB22_2448
; %bb.2447:
	global_load_ubyte v2, v[12:13], off
	s_movk_i32 s2, 0x7f00
	s_brev_b32 s3, 16
	s_waitcnt vmcnt(0)
	v_lshlrev_b16_e32 v5, 8, v2
	v_lshlrev_b32_e32 v2, 25, v2
	v_lshrrev_b32_e32 v8, 4, v2
	v_and_or_b32 v10, v5, s2, 0.5
	v_or_b32_e32 v8, 0x70000000, v8
	v_add_f32_e32 v10, -0.5, v10
	v_mul_f32_e32 v8, 0x7800000, v8
	v_cmp_gt_u32_e32 vcc, s3, v2
	v_bfe_i32 v5, v5, 0, 16
	v_cndmask_b32_e32 v2, v8, v10, vcc
	s_brev_b32 s2, 1
	v_and_or_b32 v2, v5, s2, v2
	v_cvt_i32_f32_e32 v10, v2
.LBB22_2448:
	s_mov_b64 s[2:3], 0
	s_mov_b64 s[4:5], -1
.LBB22_2449:
	s_andn2_b64 vcc, exec, s[2:3]
	s_mov_b64 s[2:3], 0
	s_cbranch_vccnz .LBB22_2460
; %bb.2450:
	s_cmp_gt_i32 s13, 14
	s_cbranch_scc0 .LBB22_2453
; %bb.2451:
	s_cmp_eq_u32 s13, 15
	s_cbranch_scc0 .LBB22_2456
; %bb.2452:
	global_load_ushort v2, v[12:13], off
	s_mov_b64 s[0:1], 0
	s_mov_b64 s[4:5], -1
	s_waitcnt vmcnt(0)
	v_lshlrev_b32_e32 v2, 16, v2
	v_cvt_i32_f32_e32 v10, v2
	s_branch .LBB22_2457
.LBB22_2453:
	s_mov_b64 s[10:11], -1
                                        ; implicit-def: $vgpr10
	s_branch .LBB22_2458
.LBB22_2454:
	s_andn2_saveexec_b64 s[2:3], s[2:3]
	s_cbranch_execz .LBB22_2435
.LBB22_2455:
	v_cmp_ne_u16_e32 vcc, 0, v2
	s_andn2_b64 s[4:5], s[4:5], exec
	s_and_b64 s[10:11], vcc, exec
	s_or_b64 s[4:5], s[4:5], s[10:11]
	s_or_b64 exec, exec, s[2:3]
	v_mov_b32_e32 v10, 0
	s_and_saveexec_b64 s[2:3], s[4:5]
	s_cbranch_execnz .LBB22_2436
	s_branch .LBB22_2437
.LBB22_2456:
	s_mov_b64 s[0:1], -1
                                        ; implicit-def: $vgpr10
.LBB22_2457:
	s_mov_b64 s[10:11], 0
.LBB22_2458:
	s_and_b64 vcc, exec, s[10:11]
	s_cbranch_vccz .LBB22_2460
; %bb.2459:
	s_cmp_lg_u32 s13, 11
	s_mov_b64 s[2:3], -1
	s_cselect_b64 s[0:1], -1, 0
.LBB22_2460:
	s_and_b64 vcc, exec, s[0:1]
	s_cbranch_vccnz .LBB22_2993
; %bb.2461:
	s_andn2_b64 vcc, exec, s[2:3]
	s_cbranch_vccnz .LBB22_2463
.LBB22_2462:
	global_load_ubyte v2, v[12:13], off
	s_mov_b64 s[4:5], -1
	s_waitcnt vmcnt(0)
	v_cmp_ne_u16_e32 vcc, 0, v2
	v_cndmask_b32_e64 v10, 0, 1, vcc
.LBB22_2463:
	s_mov_b64 s[0:1], 0
.LBB22_2464:
	s_and_b64 vcc, exec, s[0:1]
	s_cbranch_vccz .LBB22_2513
; %bb.2465:
	s_and_b32 s2, 0xffff, s25
	s_cmp_lt_i32 s2, 5
	s_cbranch_scc1 .LBB22_2470
; %bb.2466:
	s_cmp_lt_i32 s2, 8
	s_cbranch_scc1 .LBB22_2471
; %bb.2467:
	s_cmp_lt_i32 s2, 9
	s_cbranch_scc1 .LBB22_2472
; %bb.2468:
	s_cmp_gt_i32 s2, 9
	s_cbranch_scc0 .LBB22_2473
; %bb.2469:
	global_load_dwordx2 v[10:11], v[12:13], off
	s_mov_b64 s[0:1], 0
	s_waitcnt vmcnt(0)
	v_cvt_i32_f64_e32 v10, v[10:11]
	s_branch .LBB22_2474
.LBB22_2470:
	s_mov_b64 s[0:1], -1
                                        ; implicit-def: $vgpr10
	s_branch .LBB22_2492
.LBB22_2471:
	s_mov_b64 s[0:1], -1
                                        ; implicit-def: $vgpr10
	s_branch .LBB22_2480
.LBB22_2472:
	s_mov_b64 s[0:1], -1
                                        ; implicit-def: $vgpr10
	s_branch .LBB22_2477
.LBB22_2473:
	s_mov_b64 s[0:1], -1
                                        ; implicit-def: $vgpr10
.LBB22_2474:
	s_andn2_b64 vcc, exec, s[0:1]
	s_cbranch_vccnz .LBB22_2476
; %bb.2475:
	global_load_dword v2, v[12:13], off
	s_waitcnt vmcnt(0)
	v_cvt_i32_f32_e32 v10, v2
.LBB22_2476:
	s_mov_b64 s[0:1], 0
.LBB22_2477:
	s_andn2_b64 vcc, exec, s[0:1]
	s_cbranch_vccnz .LBB22_2479
; %bb.2478:
	global_load_dword v2, v[12:13], off
	s_waitcnt vmcnt(0)
	v_cvt_i16_f16_e32 v10, v2
.LBB22_2479:
	s_mov_b64 s[0:1], 0
.LBB22_2480:
	s_andn2_b64 vcc, exec, s[0:1]
	s_cbranch_vccnz .LBB22_2491
; %bb.2481:
	s_cmp_lt_i32 s2, 6
	s_cbranch_scc1 .LBB22_2484
; %bb.2482:
	s_cmp_gt_i32 s2, 6
	s_cbranch_scc0 .LBB22_2485
; %bb.2483:
	global_load_dwordx2 v[10:11], v[12:13], off
	s_mov_b64 s[0:1], 0
	s_waitcnt vmcnt(0)
	v_cvt_i32_f64_e32 v10, v[10:11]
	s_branch .LBB22_2486
.LBB22_2484:
	s_mov_b64 s[0:1], -1
                                        ; implicit-def: $vgpr10
	s_branch .LBB22_2489
.LBB22_2485:
	s_mov_b64 s[0:1], -1
                                        ; implicit-def: $vgpr10
.LBB22_2486:
	s_andn2_b64 vcc, exec, s[0:1]
	s_cbranch_vccnz .LBB22_2488
; %bb.2487:
	global_load_dword v2, v[12:13], off
	s_waitcnt vmcnt(0)
	v_cvt_i32_f32_e32 v10, v2
.LBB22_2488:
	s_mov_b64 s[0:1], 0
.LBB22_2489:
	s_andn2_b64 vcc, exec, s[0:1]
	s_cbranch_vccnz .LBB22_2491
; %bb.2490:
	global_load_ushort v2, v[12:13], off
	s_waitcnt vmcnt(0)
	v_cvt_i16_f16_e32 v10, v2
.LBB22_2491:
	s_mov_b64 s[0:1], 0
.LBB22_2492:
	s_andn2_b64 vcc, exec, s[0:1]
	s_cbranch_vccnz .LBB22_2512
; %bb.2493:
	s_cmp_lt_i32 s2, 2
	s_cbranch_scc1 .LBB22_2497
; %bb.2494:
	s_cmp_lt_i32 s2, 3
	s_cbranch_scc1 .LBB22_2498
; %bb.2495:
	s_cmp_gt_i32 s2, 3
	s_cbranch_scc0 .LBB22_2499
; %bb.2496:
	global_load_dwordx2 v[10:11], v[12:13], off
	s_mov_b64 s[0:1], 0
	s_branch .LBB22_2500
.LBB22_2497:
	s_mov_b64 s[0:1], -1
                                        ; implicit-def: $vgpr10
	s_branch .LBB22_2506
.LBB22_2498:
	s_mov_b64 s[0:1], -1
                                        ; implicit-def: $vgpr10
	s_branch .LBB22_2503
.LBB22_2499:
	s_mov_b64 s[0:1], -1
                                        ; implicit-def: $vgpr10
.LBB22_2500:
	s_andn2_b64 vcc, exec, s[0:1]
	s_cbranch_vccnz .LBB22_2502
; %bb.2501:
	global_load_dword v10, v[12:13], off
.LBB22_2502:
	s_mov_b64 s[0:1], 0
.LBB22_2503:
	s_andn2_b64 vcc, exec, s[0:1]
	s_cbranch_vccnz .LBB22_2505
; %bb.2504:
	global_load_ushort v10, v[12:13], off
.LBB22_2505:
	s_mov_b64 s[0:1], 0
.LBB22_2506:
	s_andn2_b64 vcc, exec, s[0:1]
	s_cbranch_vccnz .LBB22_2512
; %bb.2507:
	s_cmp_gt_i32 s2, 0
	s_cbranch_scc0 .LBB22_2509
; %bb.2508:
	global_load_ubyte v10, v[12:13], off
	s_mov_b64 s[0:1], 0
	s_branch .LBB22_2510
.LBB22_2509:
	s_mov_b64 s[0:1], -1
                                        ; implicit-def: $vgpr10
.LBB22_2510:
	s_andn2_b64 vcc, exec, s[0:1]
	s_cbranch_vccnz .LBB22_2512
; %bb.2511:
	global_load_ubyte v10, v[12:13], off
.LBB22_2512:
	s_mov_b64 s[4:5], -1
.LBB22_2513:
	s_andn2_b64 vcc, exec, s[4:5]
	s_cbranch_vccnz .LBB22_2947
; %bb.2514:
	v_mul_lo_u32 v5, s12, v14
	s_cmp_eq_u32 s15, 0
	s_cselect_b64 s[2:3], -1, 0
	v_cmp_ne_u16_sdwa s[0:1], v0, v3 src0_sel:BYTE_0 src1_sel:BYTE_0
	s_xor_b64 s[4:5], s[2:3], s[0:1]
	v_ashrrev_i32_e32 v0, 31, v5
	v_mov_b32_e32 v3, s9
	s_and_b32 s24, s33, 0xff
	v_add_co_u32_e32 v2, vcc, s8, v5
	s_cmp_lt_i32 s24, 11
	v_addc_co_u32_e32 v3, vcc, v3, v0, vcc
	s_cbranch_scc1 .LBB22_2592
; %bb.2515:
	s_and_b32 s13, 0xffff, s24
	s_mov_b64 s[20:21], -1
	s_mov_b64 s[10:11], 0
	s_cmp_gt_i32 s13, 25
	s_mov_b64 s[14:15], 0
	s_mov_b64 s[0:1], 0
	s_cbranch_scc0 .LBB22_2548
; %bb.2516:
	s_cmp_gt_i32 s13, 28
	s_cbranch_scc0 .LBB22_2531
; %bb.2517:
	s_cmp_gt_i32 s13, 43
	;; [unrolled: 3-line block ×3, first 2 shown]
	s_cbranch_scc0 .LBB22_2521
; %bb.2519:
	s_mov_b64 s[0:1], -1
	s_mov_b64 s[20:21], 0
	s_cmp_eq_u32 s13, 46
	s_cbranch_scc0 .LBB22_2521
; %bb.2520:
	v_cndmask_b32_e64 v0, 0, 1.0, s[4:5]
	v_bfe_u32 v8, v0, 16, 1
	s_movk_i32 s0, 0x7fff
	v_add3_u32 v0, v0, v8, s0
	v_lshrrev_b32_e32 v0, 16, v0
	global_store_dword v[2:3], v0, off
	s_mov_b64 s[0:1], 0
	s_mov_b64 s[14:15], -1
.LBB22_2521:
	s_and_b64 vcc, exec, s[20:21]
	s_cbranch_vccz .LBB22_2526
; %bb.2522:
	s_cmp_eq_u32 s13, 44
	s_mov_b64 s[0:1], -1
	s_cbranch_scc0 .LBB22_2526
; %bb.2523:
	v_cndmask_b32_e64 v8, 0, 1.0, s[4:5]
	v_lshrrev_b32_e32 v0, 23, v8
	s_movk_i32 s0, 0xff
	v_cmp_ne_u32_e32 vcc, s0, v0
	s_waitcnt vmcnt(0)
	v_mov_b32_e32 v11, 0xff
	s_and_saveexec_b64 s[14:15], vcc
; %bb.2524:
	s_mov_b32 s0, 0x3fffff
	v_and_b32_e32 v11, 0x400000, v8
	v_and_or_b32 v8, v8, s0, v0
	v_cmp_ne_u32_e32 vcc, 0, v11
	v_cmp_ne_u32_e64 s[0:1], 0, v8
	s_and_b64 s[0:1], vcc, s[0:1]
	v_cndmask_b32_e64 v8, 0, 1, s[0:1]
	v_add_u32_e32 v11, v0, v8
; %bb.2525:
	s_or_b64 exec, exec, s[14:15]
	s_mov_b64 s[0:1], 0
	s_mov_b64 s[14:15], -1
	global_store_byte v[2:3], v11, off
.LBB22_2526:
	s_mov_b64 s[20:21], 0
.LBB22_2527:
	s_and_b64 vcc, exec, s[20:21]
	s_cbranch_vccz .LBB22_2530
; %bb.2528:
	s_cmp_eq_u32 s13, 29
	s_mov_b64 s[0:1], -1
	s_cbranch_scc0 .LBB22_2530
; %bb.2529:
	s_mov_b32 s0, 0
	s_waitcnt vmcnt(0)
	v_cndmask_b32_e64 v11, 0, 1, s[4:5]
	v_mov_b32_e32 v12, s0
	global_store_dwordx2 v[2:3], v[11:12], off
	s_mov_b64 s[0:1], 0
	s_mov_b64 s[14:15], -1
.LBB22_2530:
	s_mov_b64 s[20:21], 0
.LBB22_2531:
	s_and_b64 vcc, exec, s[20:21]
	s_cbranch_vccz .LBB22_2547
; %bb.2532:
	s_cmp_lt_i32 s13, 27
	s_mov_b64 s[14:15], -1
	s_cbranch_scc1 .LBB22_2538
; %bb.2533:
	s_cmp_gt_i32 s13, 27
	s_cbranch_scc0 .LBB22_2535
; %bb.2534:
	v_cndmask_b32_e64 v0, 0, 1, s[4:5]
	s_mov_b64 s[14:15], 0
	global_store_dword v[2:3], v0, off
.LBB22_2535:
	s_andn2_b64 vcc, exec, s[14:15]
	s_cbranch_vccnz .LBB22_2537
; %bb.2536:
	v_cndmask_b32_e64 v0, 0, 1, s[4:5]
	global_store_short v[2:3], v0, off
.LBB22_2537:
	s_mov_b64 s[14:15], 0
.LBB22_2538:
	s_andn2_b64 vcc, exec, s[14:15]
	s_cbranch_vccnz .LBB22_2546
; %bb.2539:
	v_cndmask_b32_e64 v8, 0, 1.0, s[4:5]
	s_mov_b32 s14, 0x43800000
	v_cmp_gt_u32_e32 vcc, s14, v8
	s_waitcnt vmcnt(0)
	v_mov_b32_e32 v11, 0x80
	s_and_saveexec_b64 s[14:15], vcc
	s_cbranch_execz .LBB22_2545
; %bb.2540:
	s_mov_b32 s20, 0x3bffffff
	v_cmp_lt_u32_e32 vcc, s20, v8
	s_mov_b64 s[20:21], 0
                                        ; implicit-def: $vgpr0
	s_and_saveexec_b64 s[22:23], vcc
	s_xor_b64 s[22:23], exec, s[22:23]
	s_cbranch_execz .LBB22_2994
; %bb.2541:
	v_bfe_u32 v0, v8, 20, 1
	s_mov_b32 s25, 0x487ffff
	v_add3_u32 v0, v8, v0, s25
	s_mov_b64 s[20:21], exec
	v_lshrrev_b32_e32 v0, 20, v0
                                        ; implicit-def: $vgpr8
	s_andn2_saveexec_b64 s[22:23], s[22:23]
	s_cbranch_execnz .LBB22_2995
.LBB22_2542:
	s_or_b64 exec, exec, s[22:23]
	v_mov_b32_e32 v11, 0
	s_and_saveexec_b64 s[22:23], s[20:21]
.LBB22_2543:
	v_mov_b32_e32 v11, v0
.LBB22_2544:
	s_or_b64 exec, exec, s[22:23]
.LBB22_2545:
	s_or_b64 exec, exec, s[14:15]
	global_store_byte v[2:3], v11, off
.LBB22_2546:
	s_mov_b64 s[14:15], -1
.LBB22_2547:
	s_mov_b64 s[20:21], 0
.LBB22_2548:
	s_and_b64 vcc, exec, s[20:21]
	s_cbranch_vccz .LBB22_2588
; %bb.2549:
	s_cmp_gt_i32 s13, 22
	s_mov_b64 s[10:11], -1
	s_cbranch_scc0 .LBB22_2581
; %bb.2550:
	s_cmp_lt_i32 s13, 24
	s_cbranch_scc1 .LBB22_2570
; %bb.2551:
	s_cmp_gt_i32 s13, 24
	s_cbranch_scc0 .LBB22_2559
; %bb.2552:
	v_cndmask_b32_e64 v8, 0, 1.0, s[4:5]
	s_mov_b32 s10, 0x47800000
	v_cmp_gt_u32_e32 vcc, s10, v8
	s_waitcnt vmcnt(0)
	v_mov_b32_e32 v11, 0x80
	s_and_saveexec_b64 s[10:11], vcc
	s_cbranch_execz .LBB22_2558
; %bb.2553:
	s_mov_b32 s14, 0x37ffffff
	v_cmp_lt_u32_e32 vcc, s14, v8
	s_mov_b64 s[14:15], 0
                                        ; implicit-def: $vgpr0
	s_and_saveexec_b64 s[20:21], vcc
	s_xor_b64 s[20:21], exec, s[20:21]
	s_cbranch_execz .LBB22_2997
; %bb.2554:
	v_bfe_u32 v0, v8, 21, 1
	s_mov_b32 s22, 0x88fffff
	v_add3_u32 v0, v8, v0, s22
	s_mov_b64 s[14:15], exec
	v_lshrrev_b32_e32 v0, 21, v0
                                        ; implicit-def: $vgpr8
	s_andn2_saveexec_b64 s[20:21], s[20:21]
	s_cbranch_execnz .LBB22_2998
.LBB22_2555:
	s_or_b64 exec, exec, s[20:21]
	v_mov_b32_e32 v11, 0
	s_and_saveexec_b64 s[20:21], s[14:15]
.LBB22_2556:
	v_mov_b32_e32 v11, v0
.LBB22_2557:
	s_or_b64 exec, exec, s[20:21]
.LBB22_2558:
	s_or_b64 exec, exec, s[10:11]
	s_mov_b64 s[10:11], 0
	global_store_byte v[2:3], v11, off
.LBB22_2559:
	s_and_b64 vcc, exec, s[10:11]
	s_cbranch_vccz .LBB22_2569
; %bb.2560:
	v_cndmask_b32_e64 v0, 0, 1.0, s[4:5]
	s_mov_b32 s10, 0x43f00000
	v_cmp_gt_u32_e32 vcc, s10, v0
                                        ; implicit-def: $vgpr8
	s_and_saveexec_b64 s[10:11], vcc
	s_xor_b64 s[10:11], exec, s[10:11]
	s_cbranch_execz .LBB22_2566
; %bb.2561:
	s_mov_b32 s14, 0x3c7fffff
	v_cmp_lt_u32_e32 vcc, s14, v0
                                        ; implicit-def: $vgpr8
	s_and_saveexec_b64 s[14:15], vcc
	s_xor_b64 s[14:15], exec, s[14:15]
	s_cbranch_execz .LBB22_2563
; %bb.2562:
	v_bfe_u32 v8, v0, 20, 1
	s_mov_b32 s20, 0x407ffff
	v_add3_u32 v0, v0, v8, s20
	v_lshrrev_b32_e32 v8, 20, v0
	v_and_b32_e32 v0, 0xff00000, v0
	s_mov_b32 s20, 0x7f00000
	s_waitcnt vmcnt(0)
	v_mov_b32_e32 v11, 0x7e
	v_cmp_ne_u32_e32 vcc, s20, v0
	v_cndmask_b32_e32 v8, v11, v8, vcc
                                        ; implicit-def: $vgpr0
.LBB22_2563:
	s_andn2_saveexec_b64 s[14:15], s[14:15]
; %bb.2564:
	v_add_f32_e32 v8, 0x46800000, v0
; %bb.2565:
	s_or_b64 exec, exec, s[14:15]
                                        ; implicit-def: $vgpr0
.LBB22_2566:
	s_andn2_saveexec_b64 s[10:11], s[10:11]
	s_cbranch_execz .LBB22_2568
; %bb.2567:
	s_mov_b32 s14, 0x7f800000
	v_mov_b32_e32 v8, 0x7e
	s_waitcnt vmcnt(0)
	v_mov_b32_e32 v11, 0x7f
	v_cmp_lt_u32_e32 vcc, s14, v0
	v_cndmask_b32_e32 v8, v8, v11, vcc
.LBB22_2568:
	s_or_b64 exec, exec, s[10:11]
	global_store_byte v[2:3], v8, off
.LBB22_2569:
	s_mov_b64 s[10:11], 0
.LBB22_2570:
	s_andn2_b64 vcc, exec, s[10:11]
	s_cbranch_vccnz .LBB22_2580
; %bb.2571:
	v_cndmask_b32_e64 v0, 0, 1.0, s[4:5]
	s_mov_b32 s10, 0x47800000
	v_cmp_gt_u32_e32 vcc, s10, v0
                                        ; implicit-def: $vgpr8
	s_and_saveexec_b64 s[10:11], vcc
	s_xor_b64 s[10:11], exec, s[10:11]
	s_cbranch_execz .LBB22_2577
; %bb.2572:
	s_mov_b32 s14, 0x387fffff
	v_cmp_lt_u32_e32 vcc, s14, v0
                                        ; implicit-def: $vgpr8
	s_and_saveexec_b64 s[14:15], vcc
	s_xor_b64 s[14:15], exec, s[14:15]
; %bb.2573:
	v_bfe_u32 v8, v0, 21, 1
	s_mov_b32 s20, 0x80fffff
	v_add3_u32 v0, v0, v8, s20
	v_lshrrev_b32_e32 v8, 21, v0
                                        ; implicit-def: $vgpr0
; %bb.2574:
	s_andn2_saveexec_b64 s[14:15], s[14:15]
; %bb.2575:
	v_add_f32_e32 v8, 0x43000000, v0
; %bb.2576:
	s_or_b64 exec, exec, s[14:15]
                                        ; implicit-def: $vgpr0
.LBB22_2577:
	s_andn2_saveexec_b64 s[10:11], s[10:11]
	s_cbranch_execz .LBB22_2579
; %bb.2578:
	s_mov_b32 s14, 0x7f800000
	v_mov_b32_e32 v8, 0x7c
	s_waitcnt vmcnt(0)
	v_mov_b32_e32 v11, 0x7f
	v_cmp_lt_u32_e32 vcc, s14, v0
	v_cndmask_b32_e32 v8, v8, v11, vcc
.LBB22_2579:
	s_or_b64 exec, exec, s[10:11]
	global_store_byte v[2:3], v8, off
.LBB22_2580:
	s_mov_b64 s[10:11], 0
	s_mov_b64 s[14:15], -1
.LBB22_2581:
	s_andn2_b64 vcc, exec, s[10:11]
	s_mov_b64 s[10:11], 0
	s_cbranch_vccnz .LBB22_2588
; %bb.2582:
	s_cmp_gt_i32 s13, 14
	s_mov_b64 s[20:21], -1
	s_cbranch_scc0 .LBB22_2586
; %bb.2583:
	s_cmp_eq_u32 s13, 15
	s_mov_b64 s[0:1], -1
	s_cbranch_scc0 .LBB22_2585
; %bb.2584:
	v_cndmask_b32_e64 v0, 0, 1.0, s[4:5]
	v_bfe_u32 v8, v0, 16, 1
	s_movk_i32 s0, 0x7fff
	v_add3_u32 v0, v0, v8, s0
	global_store_short_d16_hi v[2:3], v0, off
	s_mov_b64 s[0:1], 0
	s_mov_b64 s[14:15], -1
.LBB22_2585:
	s_mov_b64 s[20:21], 0
.LBB22_2586:
	s_and_b64 vcc, exec, s[20:21]
	s_cbranch_vccz .LBB22_2588
; %bb.2587:
	s_cmp_lg_u32 s13, 11
	s_mov_b64 s[10:11], -1
	s_cselect_b64 s[0:1], -1, 0
.LBB22_2588:
	s_and_b64 vcc, exec, s[0:1]
	s_cbranch_vccnz .LBB22_2996
; %bb.2589:
	s_andn2_b64 vcc, exec, s[10:11]
	s_cbranch_vccnz .LBB22_2591
.LBB22_2590:
	v_cndmask_b32_e64 v0, 0, 1, s[4:5]
	s_mov_b64 s[14:15], -1
	global_store_byte v[2:3], v0, off
.LBB22_2591:
	s_mov_b64 s[0:1], 0
	s_branch .LBB22_2593
.LBB22_2592:
	s_mov_b64 s[0:1], -1
	s_mov_b64 s[14:15], 0
.LBB22_2593:
	s_and_b64 vcc, exec, s[0:1]
	s_cbranch_vccz .LBB22_2632
; %bb.2594:
	s_and_b32 s10, 0xffff, s24
	s_cmp_lt_i32 s10, 5
	s_mov_b64 s[0:1], -1
	s_cbranch_scc1 .LBB22_2615
; %bb.2595:
	s_cmp_lt_i32 s10, 8
	s_cbranch_scc1 .LBB22_2605
; %bb.2596:
	s_cmp_lt_i32 s10, 9
	s_cbranch_scc1 .LBB22_2602
; %bb.2597:
	s_cmp_gt_i32 s10, 9
	s_cbranch_scc0 .LBB22_2599
; %bb.2598:
	v_cndmask_b32_e64 v0, 0, 1, s[4:5]
	s_waitcnt vmcnt(0)
	v_cvt_f64_u32_e32 v[11:12], v0
	v_mov_b32_e32 v13, 0
	v_mov_b32_e32 v14, v13
	s_mov_b64 s[0:1], 0
	global_store_dwordx4 v[2:3], v[11:14], off
.LBB22_2599:
	s_andn2_b64 vcc, exec, s[0:1]
	s_cbranch_vccnz .LBB22_2601
; %bb.2600:
	s_waitcnt vmcnt(0)
	v_cndmask_b32_e64 v11, 0, 1.0, s[4:5]
	v_mov_b32_e32 v12, 0
	global_store_dwordx2 v[2:3], v[11:12], off
.LBB22_2601:
	s_mov_b64 s[0:1], 0
.LBB22_2602:
	s_andn2_b64 vcc, exec, s[0:1]
	s_cbranch_vccnz .LBB22_2604
; %bb.2603:
	v_cndmask_b32_e64 v0, 0, 1.0, s[4:5]
	v_cvt_f16_f32_e32 v0, v0
	global_store_dword v[2:3], v0, off
.LBB22_2604:
	s_mov_b64 s[0:1], 0
.LBB22_2605:
	s_andn2_b64 vcc, exec, s[0:1]
	s_cbranch_vccnz .LBB22_2614
; %bb.2606:
	s_cmp_lt_i32 s10, 6
	s_mov_b64 s[0:1], -1
	s_cbranch_scc1 .LBB22_2612
; %bb.2607:
	s_cmp_gt_i32 s10, 6
	s_cbranch_scc0 .LBB22_2609
; %bb.2608:
	v_cndmask_b32_e64 v0, 0, 1, s[4:5]
	s_waitcnt vmcnt(0)
	v_cvt_f64_u32_e32 v[11:12], v0
	s_mov_b64 s[0:1], 0
	global_store_dwordx2 v[2:3], v[11:12], off
.LBB22_2609:
	s_andn2_b64 vcc, exec, s[0:1]
	s_cbranch_vccnz .LBB22_2611
; %bb.2610:
	v_cndmask_b32_e64 v0, 0, 1.0, s[4:5]
	global_store_dword v[2:3], v0, off
.LBB22_2611:
	s_mov_b64 s[0:1], 0
.LBB22_2612:
	s_andn2_b64 vcc, exec, s[0:1]
	s_cbranch_vccnz .LBB22_2614
; %bb.2613:
	v_cndmask_b32_e64 v0, 0, 1.0, s[4:5]
	v_cvt_f16_f32_e32 v0, v0
	global_store_short v[2:3], v0, off
.LBB22_2614:
	s_mov_b64 s[0:1], 0
.LBB22_2615:
	s_andn2_b64 vcc, exec, s[0:1]
	s_cbranch_vccnz .LBB22_2631
; %bb.2616:
	s_cmp_lt_i32 s10, 2
	s_mov_b64 s[0:1], -1
	s_cbranch_scc1 .LBB22_2626
; %bb.2617:
	s_cmp_lt_i32 s10, 3
	s_cbranch_scc1 .LBB22_2623
; %bb.2618:
	s_cmp_gt_i32 s10, 3
	s_cbranch_scc0 .LBB22_2620
; %bb.2619:
	s_mov_b32 s0, 0
	s_waitcnt vmcnt(0)
	v_cndmask_b32_e64 v11, 0, 1, s[4:5]
	v_mov_b32_e32 v12, s0
	global_store_dwordx2 v[2:3], v[11:12], off
	s_mov_b64 s[0:1], 0
.LBB22_2620:
	s_andn2_b64 vcc, exec, s[0:1]
	s_cbranch_vccnz .LBB22_2622
; %bb.2621:
	v_cndmask_b32_e64 v0, 0, 1, s[4:5]
	global_store_dword v[2:3], v0, off
.LBB22_2622:
	s_mov_b64 s[0:1], 0
.LBB22_2623:
	s_andn2_b64 vcc, exec, s[0:1]
	s_cbranch_vccnz .LBB22_2625
; %bb.2624:
	v_cndmask_b32_e64 v0, 0, 1, s[4:5]
	global_store_short v[2:3], v0, off
.LBB22_2625:
	s_mov_b64 s[0:1], 0
.LBB22_2626:
	s_andn2_b64 vcc, exec, s[0:1]
	s_cbranch_vccnz .LBB22_2631
; %bb.2627:
	s_mov_b64 s[0:1], -1
	s_cmp_gt_i32 s10, 0
	v_cndmask_b32_e64 v0, 0, 1, s[4:5]
	s_cbranch_scc0 .LBB22_2629
; %bb.2628:
	global_store_byte v[2:3], v0, off
	s_mov_b64 s[0:1], 0
.LBB22_2629:
	s_andn2_b64 vcc, exec, s[0:1]
	s_cbranch_vccnz .LBB22_2631
; %bb.2630:
	global_store_byte v[2:3], v0, off
.LBB22_2631:
	s_mov_b64 s[14:15], -1
.LBB22_2632:
	s_andn2_b64 vcc, exec, s[14:15]
	s_cbranch_vccnz .LBB22_2947
; %bb.2633:
	s_lshl_b32 s22, s12, 7
	v_cmp_ne_u16_sdwa s[0:1], v1, v6 src0_sel:BYTE_0 src1_sel:BYTE_0
	v_add_u32_e32 v2, s22, v5
	s_xor_b64 s[4:5], s[2:3], s[0:1]
	v_ashrrev_i32_e32 v1, 31, v2
	v_mov_b32_e32 v3, s9
	v_add_co_u32_e32 v0, vcc, s8, v2
	s_cmp_lt_i32 s24, 11
	v_addc_co_u32_e32 v1, vcc, v3, v1, vcc
	s_cbranch_scc1 .LBB22_2711
; %bb.2634:
	s_and_b32 s23, 0xffff, s24
	s_mov_b64 s[14:15], -1
	s_mov_b64 s[10:11], 0
	s_cmp_gt_i32 s23, 25
	s_mov_b64 s[12:13], 0
	s_mov_b64 s[0:1], 0
	s_cbranch_scc0 .LBB22_2667
; %bb.2635:
	s_cmp_gt_i32 s23, 28
	s_cbranch_scc0 .LBB22_2650
; %bb.2636:
	s_cmp_gt_i32 s23, 43
	;; [unrolled: 3-line block ×3, first 2 shown]
	s_cbranch_scc0 .LBB22_2640
; %bb.2638:
	s_mov_b64 s[0:1], -1
	s_mov_b64 s[14:15], 0
	s_cmp_eq_u32 s23, 46
	s_cbranch_scc0 .LBB22_2640
; %bb.2639:
	v_cndmask_b32_e64 v3, 0, 1.0, s[4:5]
	v_bfe_u32 v5, v3, 16, 1
	s_movk_i32 s0, 0x7fff
	v_add3_u32 v3, v3, v5, s0
	v_lshrrev_b32_e32 v3, 16, v3
	global_store_dword v[0:1], v3, off
	s_mov_b64 s[0:1], 0
	s_mov_b64 s[12:13], -1
.LBB22_2640:
	s_and_b64 vcc, exec, s[14:15]
	s_cbranch_vccz .LBB22_2645
; %bb.2641:
	s_cmp_eq_u32 s23, 44
	s_mov_b64 s[0:1], -1
	s_cbranch_scc0 .LBB22_2645
; %bb.2642:
	v_cndmask_b32_e64 v5, 0, 1.0, s[4:5]
	v_lshrrev_b32_e32 v3, 23, v5
	s_movk_i32 s0, 0xff
	v_cmp_ne_u32_e32 vcc, s0, v3
	v_mov_b32_e32 v6, 0xff
	s_and_saveexec_b64 s[12:13], vcc
; %bb.2643:
	s_mov_b32 s0, 0x3fffff
	v_and_b32_e32 v6, 0x400000, v5
	v_and_or_b32 v5, v5, s0, v3
	v_cmp_ne_u32_e32 vcc, 0, v6
	v_cmp_ne_u32_e64 s[0:1], 0, v5
	s_and_b64 s[0:1], vcc, s[0:1]
	v_cndmask_b32_e64 v5, 0, 1, s[0:1]
	v_add_u32_e32 v6, v3, v5
; %bb.2644:
	s_or_b64 exec, exec, s[12:13]
	s_mov_b64 s[0:1], 0
	s_mov_b64 s[12:13], -1
	global_store_byte v[0:1], v6, off
.LBB22_2645:
	s_mov_b64 s[14:15], 0
.LBB22_2646:
	s_and_b64 vcc, exec, s[14:15]
	s_cbranch_vccz .LBB22_2649
; %bb.2647:
	s_cmp_eq_u32 s23, 29
	s_mov_b64 s[0:1], -1
	s_cbranch_scc0 .LBB22_2649
; %bb.2648:
	s_mov_b32 s0, 0
	v_cndmask_b32_e64 v5, 0, 1, s[4:5]
	v_mov_b32_e32 v6, s0
	global_store_dwordx2 v[0:1], v[5:6], off
	s_mov_b64 s[0:1], 0
	s_mov_b64 s[12:13], -1
.LBB22_2649:
	s_mov_b64 s[14:15], 0
.LBB22_2650:
	s_and_b64 vcc, exec, s[14:15]
	s_cbranch_vccz .LBB22_2666
; %bb.2651:
	s_cmp_lt_i32 s23, 27
	s_mov_b64 s[12:13], -1
	s_cbranch_scc1 .LBB22_2657
; %bb.2652:
	s_cmp_gt_i32 s23, 27
	s_cbranch_scc0 .LBB22_2654
; %bb.2653:
	v_cndmask_b32_e64 v3, 0, 1, s[4:5]
	s_mov_b64 s[12:13], 0
	global_store_dword v[0:1], v3, off
.LBB22_2654:
	s_andn2_b64 vcc, exec, s[12:13]
	s_cbranch_vccnz .LBB22_2656
; %bb.2655:
	v_cndmask_b32_e64 v3, 0, 1, s[4:5]
	global_store_short v[0:1], v3, off
.LBB22_2656:
	s_mov_b64 s[12:13], 0
.LBB22_2657:
	s_andn2_b64 vcc, exec, s[12:13]
	s_cbranch_vccnz .LBB22_2665
; %bb.2658:
	v_cndmask_b32_e64 v5, 0, 1.0, s[4:5]
	s_mov_b32 s12, 0x43800000
	v_cmp_gt_u32_e32 vcc, s12, v5
	v_mov_b32_e32 v6, 0x80
	s_and_saveexec_b64 s[12:13], vcc
	s_cbranch_execz .LBB22_2664
; %bb.2659:
	s_mov_b32 s14, 0x3bffffff
	v_cmp_lt_u32_e32 vcc, s14, v5
	s_mov_b64 s[14:15], 0
                                        ; implicit-def: $vgpr3
	s_and_saveexec_b64 s[20:21], vcc
	s_xor_b64 s[20:21], exec, s[20:21]
	s_cbranch_execz .LBB22_2999
; %bb.2660:
	v_bfe_u32 v3, v5, 20, 1
	s_mov_b32 s25, 0x487ffff
	v_add3_u32 v3, v5, v3, s25
	s_mov_b64 s[14:15], exec
	v_lshrrev_b32_e32 v3, 20, v3
                                        ; implicit-def: $vgpr5
	s_andn2_saveexec_b64 s[20:21], s[20:21]
	s_cbranch_execnz .LBB22_3000
.LBB22_2661:
	s_or_b64 exec, exec, s[20:21]
	v_mov_b32_e32 v6, 0
	s_and_saveexec_b64 s[20:21], s[14:15]
.LBB22_2662:
	v_mov_b32_e32 v6, v3
.LBB22_2663:
	s_or_b64 exec, exec, s[20:21]
.LBB22_2664:
	s_or_b64 exec, exec, s[12:13]
	global_store_byte v[0:1], v6, off
.LBB22_2665:
	s_mov_b64 s[12:13], -1
.LBB22_2666:
	s_mov_b64 s[14:15], 0
.LBB22_2667:
	s_and_b64 vcc, exec, s[14:15]
	s_cbranch_vccz .LBB22_2707
; %bb.2668:
	s_cmp_gt_i32 s23, 22
	s_mov_b64 s[10:11], -1
	s_cbranch_scc0 .LBB22_2700
; %bb.2669:
	s_cmp_lt_i32 s23, 24
	s_cbranch_scc1 .LBB22_2689
; %bb.2670:
	s_cmp_gt_i32 s23, 24
	s_cbranch_scc0 .LBB22_2678
; %bb.2671:
	v_cndmask_b32_e64 v5, 0, 1.0, s[4:5]
	s_mov_b32 s10, 0x47800000
	v_cmp_gt_u32_e32 vcc, s10, v5
	v_mov_b32_e32 v6, 0x80
	s_and_saveexec_b64 s[10:11], vcc
	s_cbranch_execz .LBB22_2677
; %bb.2672:
	s_mov_b32 s12, 0x37ffffff
	v_cmp_lt_u32_e32 vcc, s12, v5
	s_mov_b64 s[12:13], 0
                                        ; implicit-def: $vgpr3
	s_and_saveexec_b64 s[14:15], vcc
	s_xor_b64 s[14:15], exec, s[14:15]
	s_cbranch_execz .LBB22_3002
; %bb.2673:
	v_bfe_u32 v3, v5, 21, 1
	s_mov_b32 s20, 0x88fffff
	v_add3_u32 v3, v5, v3, s20
	s_mov_b64 s[12:13], exec
	v_lshrrev_b32_e32 v3, 21, v3
                                        ; implicit-def: $vgpr5
	s_andn2_saveexec_b64 s[14:15], s[14:15]
	s_cbranch_execnz .LBB22_3003
.LBB22_2674:
	s_or_b64 exec, exec, s[14:15]
	v_mov_b32_e32 v6, 0
	s_and_saveexec_b64 s[14:15], s[12:13]
.LBB22_2675:
	v_mov_b32_e32 v6, v3
.LBB22_2676:
	s_or_b64 exec, exec, s[14:15]
.LBB22_2677:
	s_or_b64 exec, exec, s[10:11]
	s_mov_b64 s[10:11], 0
	global_store_byte v[0:1], v6, off
.LBB22_2678:
	s_and_b64 vcc, exec, s[10:11]
	s_cbranch_vccz .LBB22_2688
; %bb.2679:
	v_cndmask_b32_e64 v3, 0, 1.0, s[4:5]
	s_mov_b32 s10, 0x43f00000
	v_cmp_gt_u32_e32 vcc, s10, v3
                                        ; implicit-def: $vgpr5
	s_and_saveexec_b64 s[10:11], vcc
	s_xor_b64 s[10:11], exec, s[10:11]
	s_cbranch_execz .LBB22_2685
; %bb.2680:
	s_mov_b32 s12, 0x3c7fffff
	v_cmp_lt_u32_e32 vcc, s12, v3
                                        ; implicit-def: $vgpr5
	s_and_saveexec_b64 s[12:13], vcc
	s_xor_b64 s[12:13], exec, s[12:13]
; %bb.2681:
	v_bfe_u32 v5, v3, 20, 1
	s_mov_b32 s14, 0x407ffff
	v_add3_u32 v3, v3, v5, s14
	v_lshrrev_b32_e32 v5, 20, v3
	v_and_b32_e32 v3, 0xff00000, v3
	s_mov_b32 s14, 0x7f00000
	v_mov_b32_e32 v6, 0x7e
	v_cmp_ne_u32_e32 vcc, s14, v3
	v_cndmask_b32_e32 v5, v6, v5, vcc
                                        ; implicit-def: $vgpr3
; %bb.2682:
	s_andn2_saveexec_b64 s[12:13], s[12:13]
; %bb.2683:
	v_add_f32_e32 v5, 0x46800000, v3
; %bb.2684:
	s_or_b64 exec, exec, s[12:13]
                                        ; implicit-def: $vgpr3
.LBB22_2685:
	s_andn2_saveexec_b64 s[10:11], s[10:11]
; %bb.2686:
	s_mov_b32 s12, 0x7f800000
	v_mov_b32_e32 v5, 0x7e
	v_mov_b32_e32 v6, 0x7f
	v_cmp_lt_u32_e32 vcc, s12, v3
	v_cndmask_b32_e32 v5, v5, v6, vcc
; %bb.2687:
	s_or_b64 exec, exec, s[10:11]
	global_store_byte v[0:1], v5, off
.LBB22_2688:
	s_mov_b64 s[10:11], 0
.LBB22_2689:
	s_andn2_b64 vcc, exec, s[10:11]
	s_cbranch_vccnz .LBB22_2699
; %bb.2690:
	v_cndmask_b32_e64 v3, 0, 1.0, s[4:5]
	s_mov_b32 s10, 0x47800000
	v_cmp_gt_u32_e32 vcc, s10, v3
                                        ; implicit-def: $vgpr5
	s_and_saveexec_b64 s[10:11], vcc
	s_xor_b64 s[10:11], exec, s[10:11]
	s_cbranch_execz .LBB22_2696
; %bb.2691:
	s_mov_b32 s12, 0x387fffff
	v_cmp_lt_u32_e32 vcc, s12, v3
                                        ; implicit-def: $vgpr5
	s_and_saveexec_b64 s[12:13], vcc
	s_xor_b64 s[12:13], exec, s[12:13]
; %bb.2692:
	v_bfe_u32 v5, v3, 21, 1
	s_mov_b32 s14, 0x80fffff
	v_add3_u32 v3, v3, v5, s14
	v_lshrrev_b32_e32 v5, 21, v3
                                        ; implicit-def: $vgpr3
; %bb.2693:
	s_andn2_saveexec_b64 s[12:13], s[12:13]
; %bb.2694:
	v_add_f32_e32 v5, 0x43000000, v3
; %bb.2695:
	s_or_b64 exec, exec, s[12:13]
                                        ; implicit-def: $vgpr3
.LBB22_2696:
	s_andn2_saveexec_b64 s[10:11], s[10:11]
; %bb.2697:
	s_mov_b32 s12, 0x7f800000
	v_mov_b32_e32 v5, 0x7c
	v_mov_b32_e32 v6, 0x7f
	v_cmp_lt_u32_e32 vcc, s12, v3
	v_cndmask_b32_e32 v5, v5, v6, vcc
; %bb.2698:
	s_or_b64 exec, exec, s[10:11]
	global_store_byte v[0:1], v5, off
.LBB22_2699:
	s_mov_b64 s[10:11], 0
	s_mov_b64 s[12:13], -1
.LBB22_2700:
	s_andn2_b64 vcc, exec, s[10:11]
	s_mov_b64 s[10:11], 0
	s_cbranch_vccnz .LBB22_2707
; %bb.2701:
	s_cmp_gt_i32 s23, 14
	s_mov_b64 s[14:15], -1
	s_cbranch_scc0 .LBB22_2705
; %bb.2702:
	s_cmp_eq_u32 s23, 15
	s_mov_b64 s[0:1], -1
	s_cbranch_scc0 .LBB22_2704
; %bb.2703:
	v_cndmask_b32_e64 v3, 0, 1.0, s[4:5]
	v_bfe_u32 v5, v3, 16, 1
	s_movk_i32 s0, 0x7fff
	v_add3_u32 v3, v3, v5, s0
	global_store_short_d16_hi v[0:1], v3, off
	s_mov_b64 s[0:1], 0
	s_mov_b64 s[12:13], -1
.LBB22_2704:
	s_mov_b64 s[14:15], 0
.LBB22_2705:
	s_and_b64 vcc, exec, s[14:15]
	s_cbranch_vccz .LBB22_2707
; %bb.2706:
	s_cmp_lg_u32 s23, 11
	s_mov_b64 s[10:11], -1
	s_cselect_b64 s[0:1], -1, 0
.LBB22_2707:
	s_and_b64 vcc, exec, s[0:1]
	s_cbranch_vccnz .LBB22_3001
; %bb.2708:
	s_andn2_b64 vcc, exec, s[10:11]
	s_cbranch_vccnz .LBB22_2710
.LBB22_2709:
	v_cndmask_b32_e64 v3, 0, 1, s[4:5]
	s_mov_b64 s[12:13], -1
	global_store_byte v[0:1], v3, off
.LBB22_2710:
	s_mov_b64 s[0:1], 0
	s_branch .LBB22_2712
.LBB22_2711:
	s_mov_b64 s[0:1], -1
	s_mov_b64 s[12:13], 0
.LBB22_2712:
	s_and_b64 vcc, exec, s[0:1]
	s_cbranch_vccz .LBB22_2751
; %bb.2713:
	s_and_b32 s10, 0xffff, s24
	s_cmp_lt_i32 s10, 5
	s_mov_b64 s[0:1], -1
	s_cbranch_scc1 .LBB22_2734
; %bb.2714:
	s_cmp_lt_i32 s10, 8
	s_cbranch_scc1 .LBB22_2724
; %bb.2715:
	s_cmp_lt_i32 s10, 9
	s_cbranch_scc1 .LBB22_2721
; %bb.2716:
	s_cmp_gt_i32 s10, 9
	s_cbranch_scc0 .LBB22_2718
; %bb.2717:
	v_cndmask_b32_e64 v3, 0, 1, s[4:5]
	s_waitcnt vmcnt(0)
	v_cvt_f64_u32_e32 v[11:12], v3
	v_mov_b32_e32 v13, 0
	v_mov_b32_e32 v14, v13
	s_mov_b64 s[0:1], 0
	global_store_dwordx4 v[0:1], v[11:14], off
.LBB22_2718:
	s_andn2_b64 vcc, exec, s[0:1]
	s_cbranch_vccnz .LBB22_2720
; %bb.2719:
	v_cndmask_b32_e64 v5, 0, 1.0, s[4:5]
	v_mov_b32_e32 v6, 0
	global_store_dwordx2 v[0:1], v[5:6], off
.LBB22_2720:
	s_mov_b64 s[0:1], 0
.LBB22_2721:
	s_andn2_b64 vcc, exec, s[0:1]
	s_cbranch_vccnz .LBB22_2723
; %bb.2722:
	v_cndmask_b32_e64 v3, 0, 1.0, s[4:5]
	v_cvt_f16_f32_e32 v3, v3
	global_store_dword v[0:1], v3, off
.LBB22_2723:
	s_mov_b64 s[0:1], 0
.LBB22_2724:
	s_andn2_b64 vcc, exec, s[0:1]
	s_cbranch_vccnz .LBB22_2733
; %bb.2725:
	s_cmp_lt_i32 s10, 6
	s_mov_b64 s[0:1], -1
	s_cbranch_scc1 .LBB22_2731
; %bb.2726:
	s_cmp_gt_i32 s10, 6
	s_cbranch_scc0 .LBB22_2728
; %bb.2727:
	v_cndmask_b32_e64 v3, 0, 1, s[4:5]
	v_cvt_f64_u32_e32 v[5:6], v3
	s_mov_b64 s[0:1], 0
	global_store_dwordx2 v[0:1], v[5:6], off
.LBB22_2728:
	s_andn2_b64 vcc, exec, s[0:1]
	s_cbranch_vccnz .LBB22_2730
; %bb.2729:
	v_cndmask_b32_e64 v3, 0, 1.0, s[4:5]
	global_store_dword v[0:1], v3, off
.LBB22_2730:
	s_mov_b64 s[0:1], 0
.LBB22_2731:
	s_andn2_b64 vcc, exec, s[0:1]
	s_cbranch_vccnz .LBB22_2733
; %bb.2732:
	v_cndmask_b32_e64 v3, 0, 1.0, s[4:5]
	v_cvt_f16_f32_e32 v3, v3
	global_store_short v[0:1], v3, off
.LBB22_2733:
	s_mov_b64 s[0:1], 0
.LBB22_2734:
	s_andn2_b64 vcc, exec, s[0:1]
	s_cbranch_vccnz .LBB22_2750
; %bb.2735:
	s_cmp_lt_i32 s10, 2
	s_mov_b64 s[0:1], -1
	s_cbranch_scc1 .LBB22_2745
; %bb.2736:
	s_cmp_lt_i32 s10, 3
	s_cbranch_scc1 .LBB22_2742
; %bb.2737:
	s_cmp_gt_i32 s10, 3
	s_cbranch_scc0 .LBB22_2739
; %bb.2738:
	s_mov_b32 s0, 0
	v_cndmask_b32_e64 v5, 0, 1, s[4:5]
	v_mov_b32_e32 v6, s0
	global_store_dwordx2 v[0:1], v[5:6], off
	s_mov_b64 s[0:1], 0
.LBB22_2739:
	s_andn2_b64 vcc, exec, s[0:1]
	s_cbranch_vccnz .LBB22_2741
; %bb.2740:
	v_cndmask_b32_e64 v3, 0, 1, s[4:5]
	global_store_dword v[0:1], v3, off
.LBB22_2741:
	s_mov_b64 s[0:1], 0
.LBB22_2742:
	s_andn2_b64 vcc, exec, s[0:1]
	s_cbranch_vccnz .LBB22_2744
; %bb.2743:
	v_cndmask_b32_e64 v3, 0, 1, s[4:5]
	global_store_short v[0:1], v3, off
.LBB22_2744:
	s_mov_b64 s[0:1], 0
.LBB22_2745:
	s_andn2_b64 vcc, exec, s[0:1]
	s_cbranch_vccnz .LBB22_2750
; %bb.2746:
	s_mov_b64 s[0:1], -1
	s_cmp_gt_i32 s10, 0
	v_cndmask_b32_e64 v3, 0, 1, s[4:5]
	s_cbranch_scc0 .LBB22_2748
; %bb.2747:
	global_store_byte v[0:1], v3, off
	s_mov_b64 s[0:1], 0
.LBB22_2748:
	s_andn2_b64 vcc, exec, s[0:1]
	s_cbranch_vccnz .LBB22_2750
; %bb.2749:
	global_store_byte v[0:1], v3, off
.LBB22_2750:
	s_mov_b64 s[12:13], -1
.LBB22_2751:
	s_andn2_b64 vcc, exec, s[12:13]
	s_cbranch_vccnz .LBB22_2947
; %bb.2752:
	v_cmp_ne_u16_sdwa s[0:1], v4, v9 src0_sel:BYTE_0 src1_sel:BYTE_0
	v_add_u32_e32 v2, s22, v2
	s_xor_b64 s[4:5], s[2:3], s[0:1]
	v_ashrrev_i32_e32 v1, 31, v2
	v_mov_b32_e32 v3, s9
	v_add_co_u32_e32 v0, vcc, s8, v2
	s_cmp_lt_i32 s24, 11
	v_addc_co_u32_e32 v1, vcc, v3, v1, vcc
	s_cbranch_scc1 .LBB22_2830
; %bb.2753:
	s_and_b32 s23, 0xffff, s24
	s_mov_b64 s[14:15], -1
	s_mov_b64 s[10:11], 0
	s_cmp_gt_i32 s23, 25
	s_mov_b64 s[12:13], 0
	s_mov_b64 s[0:1], 0
	s_cbranch_scc0 .LBB22_2786
; %bb.2754:
	s_cmp_gt_i32 s23, 28
	s_cbranch_scc0 .LBB22_2769
; %bb.2755:
	s_cmp_gt_i32 s23, 43
	;; [unrolled: 3-line block ×3, first 2 shown]
	s_cbranch_scc0 .LBB22_2759
; %bb.2757:
	s_mov_b64 s[0:1], -1
	s_mov_b64 s[14:15], 0
	s_cmp_eq_u32 s23, 46
	s_cbranch_scc0 .LBB22_2759
; %bb.2758:
	v_cndmask_b32_e64 v3, 0, 1.0, s[4:5]
	v_bfe_u32 v4, v3, 16, 1
	s_movk_i32 s0, 0x7fff
	v_add3_u32 v3, v3, v4, s0
	v_lshrrev_b32_e32 v3, 16, v3
	global_store_dword v[0:1], v3, off
	s_mov_b64 s[0:1], 0
	s_mov_b64 s[12:13], -1
.LBB22_2759:
	s_and_b64 vcc, exec, s[14:15]
	s_cbranch_vccz .LBB22_2764
; %bb.2760:
	s_cmp_eq_u32 s23, 44
	s_mov_b64 s[0:1], -1
	s_cbranch_scc0 .LBB22_2764
; %bb.2761:
	v_cndmask_b32_e64 v4, 0, 1.0, s[4:5]
	v_lshrrev_b32_e32 v3, 23, v4
	s_movk_i32 s0, 0xff
	v_cmp_ne_u32_e32 vcc, s0, v3
	v_mov_b32_e32 v5, 0xff
	s_and_saveexec_b64 s[12:13], vcc
; %bb.2762:
	s_mov_b32 s0, 0x3fffff
	v_and_b32_e32 v5, 0x400000, v4
	v_and_or_b32 v4, v4, s0, v3
	v_cmp_ne_u32_e32 vcc, 0, v5
	v_cmp_ne_u32_e64 s[0:1], 0, v4
	s_and_b64 s[0:1], vcc, s[0:1]
	v_cndmask_b32_e64 v4, 0, 1, s[0:1]
	v_add_u32_e32 v5, v3, v4
; %bb.2763:
	s_or_b64 exec, exec, s[12:13]
	s_mov_b64 s[0:1], 0
	s_mov_b64 s[12:13], -1
	global_store_byte v[0:1], v5, off
.LBB22_2764:
	s_mov_b64 s[14:15], 0
.LBB22_2765:
	s_and_b64 vcc, exec, s[14:15]
	s_cbranch_vccz .LBB22_2768
; %bb.2766:
	s_cmp_eq_u32 s23, 29
	s_mov_b64 s[0:1], -1
	s_cbranch_scc0 .LBB22_2768
; %bb.2767:
	s_mov_b32 s0, 0
	v_cndmask_b32_e64 v3, 0, 1, s[4:5]
	v_mov_b32_e32 v4, s0
	global_store_dwordx2 v[0:1], v[3:4], off
	s_mov_b64 s[0:1], 0
	s_mov_b64 s[12:13], -1
.LBB22_2768:
	s_mov_b64 s[14:15], 0
.LBB22_2769:
	s_and_b64 vcc, exec, s[14:15]
	s_cbranch_vccz .LBB22_2785
; %bb.2770:
	s_cmp_lt_i32 s23, 27
	s_mov_b64 s[12:13], -1
	s_cbranch_scc1 .LBB22_2776
; %bb.2771:
	s_cmp_gt_i32 s23, 27
	s_cbranch_scc0 .LBB22_2773
; %bb.2772:
	v_cndmask_b32_e64 v3, 0, 1, s[4:5]
	s_mov_b64 s[12:13], 0
	global_store_dword v[0:1], v3, off
.LBB22_2773:
	s_andn2_b64 vcc, exec, s[12:13]
	s_cbranch_vccnz .LBB22_2775
; %bb.2774:
	v_cndmask_b32_e64 v3, 0, 1, s[4:5]
	global_store_short v[0:1], v3, off
.LBB22_2775:
	s_mov_b64 s[12:13], 0
.LBB22_2776:
	s_andn2_b64 vcc, exec, s[12:13]
	s_cbranch_vccnz .LBB22_2784
; %bb.2777:
	v_cndmask_b32_e64 v4, 0, 1.0, s[4:5]
	s_mov_b32 s12, 0x43800000
	v_cmp_gt_u32_e32 vcc, s12, v4
	v_mov_b32_e32 v5, 0x80
	s_and_saveexec_b64 s[12:13], vcc
	s_cbranch_execz .LBB22_2783
; %bb.2778:
	s_mov_b32 s14, 0x3bffffff
	v_cmp_lt_u32_e32 vcc, s14, v4
	s_mov_b64 s[14:15], 0
                                        ; implicit-def: $vgpr3
	s_and_saveexec_b64 s[20:21], vcc
	s_xor_b64 s[20:21], exec, s[20:21]
	s_cbranch_execz .LBB22_3004
; %bb.2779:
	v_bfe_u32 v3, v4, 20, 1
	s_mov_b32 s25, 0x487ffff
	v_add3_u32 v3, v4, v3, s25
	s_mov_b64 s[14:15], exec
	v_lshrrev_b32_e32 v3, 20, v3
                                        ; implicit-def: $vgpr4
	s_andn2_saveexec_b64 s[20:21], s[20:21]
	s_cbranch_execnz .LBB22_3005
.LBB22_2780:
	s_or_b64 exec, exec, s[20:21]
	v_mov_b32_e32 v5, 0
	s_and_saveexec_b64 s[20:21], s[14:15]
.LBB22_2781:
	v_mov_b32_e32 v5, v3
.LBB22_2782:
	s_or_b64 exec, exec, s[20:21]
.LBB22_2783:
	s_or_b64 exec, exec, s[12:13]
	global_store_byte v[0:1], v5, off
.LBB22_2784:
	s_mov_b64 s[12:13], -1
.LBB22_2785:
	s_mov_b64 s[14:15], 0
.LBB22_2786:
	s_and_b64 vcc, exec, s[14:15]
	s_cbranch_vccz .LBB22_2826
; %bb.2787:
	s_cmp_gt_i32 s23, 22
	s_mov_b64 s[10:11], -1
	s_cbranch_scc0 .LBB22_2819
; %bb.2788:
	s_cmp_lt_i32 s23, 24
	s_cbranch_scc1 .LBB22_2808
; %bb.2789:
	s_cmp_gt_i32 s23, 24
	s_cbranch_scc0 .LBB22_2797
; %bb.2790:
	v_cndmask_b32_e64 v4, 0, 1.0, s[4:5]
	s_mov_b32 s10, 0x47800000
	v_cmp_gt_u32_e32 vcc, s10, v4
	v_mov_b32_e32 v5, 0x80
	s_and_saveexec_b64 s[10:11], vcc
	s_cbranch_execz .LBB22_2796
; %bb.2791:
	s_mov_b32 s12, 0x37ffffff
	v_cmp_lt_u32_e32 vcc, s12, v4
	s_mov_b64 s[12:13], 0
                                        ; implicit-def: $vgpr3
	s_and_saveexec_b64 s[14:15], vcc
	s_xor_b64 s[14:15], exec, s[14:15]
	s_cbranch_execz .LBB22_3007
; %bb.2792:
	v_bfe_u32 v3, v4, 21, 1
	s_mov_b32 s20, 0x88fffff
	v_add3_u32 v3, v4, v3, s20
	s_mov_b64 s[12:13], exec
	v_lshrrev_b32_e32 v3, 21, v3
                                        ; implicit-def: $vgpr4
	s_andn2_saveexec_b64 s[14:15], s[14:15]
	s_cbranch_execnz .LBB22_3008
.LBB22_2793:
	s_or_b64 exec, exec, s[14:15]
	v_mov_b32_e32 v5, 0
	s_and_saveexec_b64 s[14:15], s[12:13]
.LBB22_2794:
	v_mov_b32_e32 v5, v3
.LBB22_2795:
	s_or_b64 exec, exec, s[14:15]
.LBB22_2796:
	s_or_b64 exec, exec, s[10:11]
	s_mov_b64 s[10:11], 0
	global_store_byte v[0:1], v5, off
.LBB22_2797:
	s_and_b64 vcc, exec, s[10:11]
	s_cbranch_vccz .LBB22_2807
; %bb.2798:
	v_cndmask_b32_e64 v3, 0, 1.0, s[4:5]
	s_mov_b32 s10, 0x43f00000
	v_cmp_gt_u32_e32 vcc, s10, v3
                                        ; implicit-def: $vgpr4
	s_and_saveexec_b64 s[10:11], vcc
	s_xor_b64 s[10:11], exec, s[10:11]
	s_cbranch_execz .LBB22_2804
; %bb.2799:
	s_mov_b32 s12, 0x3c7fffff
	v_cmp_lt_u32_e32 vcc, s12, v3
                                        ; implicit-def: $vgpr4
	s_and_saveexec_b64 s[12:13], vcc
	s_xor_b64 s[12:13], exec, s[12:13]
; %bb.2800:
	v_bfe_u32 v4, v3, 20, 1
	s_mov_b32 s14, 0x407ffff
	v_add3_u32 v3, v3, v4, s14
	v_lshrrev_b32_e32 v4, 20, v3
	v_and_b32_e32 v3, 0xff00000, v3
	s_mov_b32 s14, 0x7f00000
	v_mov_b32_e32 v5, 0x7e
	v_cmp_ne_u32_e32 vcc, s14, v3
	v_cndmask_b32_e32 v4, v5, v4, vcc
                                        ; implicit-def: $vgpr3
; %bb.2801:
	s_andn2_saveexec_b64 s[12:13], s[12:13]
; %bb.2802:
	v_add_f32_e32 v4, 0x46800000, v3
; %bb.2803:
	s_or_b64 exec, exec, s[12:13]
                                        ; implicit-def: $vgpr3
.LBB22_2804:
	s_andn2_saveexec_b64 s[10:11], s[10:11]
; %bb.2805:
	s_mov_b32 s12, 0x7f800000
	v_mov_b32_e32 v4, 0x7e
	v_mov_b32_e32 v5, 0x7f
	v_cmp_lt_u32_e32 vcc, s12, v3
	v_cndmask_b32_e32 v4, v4, v5, vcc
; %bb.2806:
	s_or_b64 exec, exec, s[10:11]
	global_store_byte v[0:1], v4, off
.LBB22_2807:
	s_mov_b64 s[10:11], 0
.LBB22_2808:
	s_andn2_b64 vcc, exec, s[10:11]
	s_cbranch_vccnz .LBB22_2818
; %bb.2809:
	v_cndmask_b32_e64 v3, 0, 1.0, s[4:5]
	s_mov_b32 s10, 0x47800000
	v_cmp_gt_u32_e32 vcc, s10, v3
                                        ; implicit-def: $vgpr4
	s_and_saveexec_b64 s[10:11], vcc
	s_xor_b64 s[10:11], exec, s[10:11]
	s_cbranch_execz .LBB22_2815
; %bb.2810:
	s_mov_b32 s12, 0x387fffff
	v_cmp_lt_u32_e32 vcc, s12, v3
                                        ; implicit-def: $vgpr4
	s_and_saveexec_b64 s[12:13], vcc
	s_xor_b64 s[12:13], exec, s[12:13]
; %bb.2811:
	v_bfe_u32 v4, v3, 21, 1
	s_mov_b32 s14, 0x80fffff
	v_add3_u32 v3, v3, v4, s14
	v_lshrrev_b32_e32 v4, 21, v3
                                        ; implicit-def: $vgpr3
; %bb.2812:
	s_andn2_saveexec_b64 s[12:13], s[12:13]
; %bb.2813:
	v_add_f32_e32 v4, 0x43000000, v3
; %bb.2814:
	s_or_b64 exec, exec, s[12:13]
                                        ; implicit-def: $vgpr3
.LBB22_2815:
	s_andn2_saveexec_b64 s[10:11], s[10:11]
; %bb.2816:
	s_mov_b32 s12, 0x7f800000
	v_mov_b32_e32 v4, 0x7c
	v_mov_b32_e32 v5, 0x7f
	v_cmp_lt_u32_e32 vcc, s12, v3
	v_cndmask_b32_e32 v4, v4, v5, vcc
; %bb.2817:
	s_or_b64 exec, exec, s[10:11]
	global_store_byte v[0:1], v4, off
.LBB22_2818:
	s_mov_b64 s[10:11], 0
	s_mov_b64 s[12:13], -1
.LBB22_2819:
	s_andn2_b64 vcc, exec, s[10:11]
	s_mov_b64 s[10:11], 0
	s_cbranch_vccnz .LBB22_2826
; %bb.2820:
	s_cmp_gt_i32 s23, 14
	s_mov_b64 s[14:15], -1
	s_cbranch_scc0 .LBB22_2824
; %bb.2821:
	s_cmp_eq_u32 s23, 15
	s_mov_b64 s[0:1], -1
	s_cbranch_scc0 .LBB22_2823
; %bb.2822:
	v_cndmask_b32_e64 v3, 0, 1.0, s[4:5]
	v_bfe_u32 v4, v3, 16, 1
	s_movk_i32 s0, 0x7fff
	v_add3_u32 v3, v3, v4, s0
	global_store_short_d16_hi v[0:1], v3, off
	s_mov_b64 s[0:1], 0
	s_mov_b64 s[12:13], -1
.LBB22_2823:
	s_mov_b64 s[14:15], 0
.LBB22_2824:
	s_and_b64 vcc, exec, s[14:15]
	s_cbranch_vccz .LBB22_2826
; %bb.2825:
	s_cmp_lg_u32 s23, 11
	s_mov_b64 s[10:11], -1
	s_cselect_b64 s[0:1], -1, 0
.LBB22_2826:
	s_and_b64 vcc, exec, s[0:1]
	s_cbranch_vccnz .LBB22_3006
; %bb.2827:
	s_andn2_b64 vcc, exec, s[10:11]
	s_cbranch_vccnz .LBB22_2829
.LBB22_2828:
	v_cndmask_b32_e64 v3, 0, 1, s[4:5]
	s_mov_b64 s[12:13], -1
	global_store_byte v[0:1], v3, off
.LBB22_2829:
	s_mov_b64 s[0:1], 0
	s_branch .LBB22_2831
.LBB22_2830:
	s_mov_b64 s[0:1], -1
	s_mov_b64 s[12:13], 0
.LBB22_2831:
	s_and_b64 vcc, exec, s[0:1]
	s_cbranch_vccz .LBB22_2870
; %bb.2832:
	s_and_b32 s10, 0xffff, s24
	s_cmp_lt_i32 s10, 5
	s_mov_b64 s[0:1], -1
	s_cbranch_scc1 .LBB22_2853
; %bb.2833:
	s_cmp_lt_i32 s10, 8
	s_cbranch_scc1 .LBB22_2843
; %bb.2834:
	s_cmp_lt_i32 s10, 9
	s_cbranch_scc1 .LBB22_2840
; %bb.2835:
	s_cmp_gt_i32 s10, 9
	s_cbranch_scc0 .LBB22_2837
; %bb.2836:
	v_cndmask_b32_e64 v3, 0, 1, s[4:5]
	v_cvt_f64_u32_e32 v[3:4], v3
	v_mov_b32_e32 v5, 0
	v_mov_b32_e32 v6, v5
	s_mov_b64 s[0:1], 0
	global_store_dwordx4 v[0:1], v[3:6], off
.LBB22_2837:
	s_andn2_b64 vcc, exec, s[0:1]
	s_cbranch_vccnz .LBB22_2839
; %bb.2838:
	v_cndmask_b32_e64 v3, 0, 1.0, s[4:5]
	v_mov_b32_e32 v4, 0
	global_store_dwordx2 v[0:1], v[3:4], off
.LBB22_2839:
	s_mov_b64 s[0:1], 0
.LBB22_2840:
	s_andn2_b64 vcc, exec, s[0:1]
	s_cbranch_vccnz .LBB22_2842
; %bb.2841:
	v_cndmask_b32_e64 v3, 0, 1.0, s[4:5]
	v_cvt_f16_f32_e32 v3, v3
	global_store_dword v[0:1], v3, off
.LBB22_2842:
	s_mov_b64 s[0:1], 0
.LBB22_2843:
	s_andn2_b64 vcc, exec, s[0:1]
	s_cbranch_vccnz .LBB22_2852
; %bb.2844:
	s_cmp_lt_i32 s10, 6
	s_mov_b64 s[0:1], -1
	s_cbranch_scc1 .LBB22_2850
; %bb.2845:
	s_cmp_gt_i32 s10, 6
	s_cbranch_scc0 .LBB22_2847
; %bb.2846:
	v_cndmask_b32_e64 v3, 0, 1, s[4:5]
	v_cvt_f64_u32_e32 v[3:4], v3
	s_mov_b64 s[0:1], 0
	global_store_dwordx2 v[0:1], v[3:4], off
.LBB22_2847:
	s_andn2_b64 vcc, exec, s[0:1]
	s_cbranch_vccnz .LBB22_2849
; %bb.2848:
	v_cndmask_b32_e64 v3, 0, 1.0, s[4:5]
	global_store_dword v[0:1], v3, off
.LBB22_2849:
	s_mov_b64 s[0:1], 0
.LBB22_2850:
	s_andn2_b64 vcc, exec, s[0:1]
	s_cbranch_vccnz .LBB22_2852
; %bb.2851:
	v_cndmask_b32_e64 v3, 0, 1.0, s[4:5]
	v_cvt_f16_f32_e32 v3, v3
	global_store_short v[0:1], v3, off
.LBB22_2852:
	s_mov_b64 s[0:1], 0
.LBB22_2853:
	s_andn2_b64 vcc, exec, s[0:1]
	s_cbranch_vccnz .LBB22_2869
; %bb.2854:
	s_cmp_lt_i32 s10, 2
	s_mov_b64 s[0:1], -1
	s_cbranch_scc1 .LBB22_2864
; %bb.2855:
	s_cmp_lt_i32 s10, 3
	s_cbranch_scc1 .LBB22_2861
; %bb.2856:
	s_cmp_gt_i32 s10, 3
	s_cbranch_scc0 .LBB22_2858
; %bb.2857:
	s_mov_b32 s0, 0
	v_cndmask_b32_e64 v3, 0, 1, s[4:5]
	v_mov_b32_e32 v4, s0
	global_store_dwordx2 v[0:1], v[3:4], off
	s_mov_b64 s[0:1], 0
.LBB22_2858:
	s_andn2_b64 vcc, exec, s[0:1]
	s_cbranch_vccnz .LBB22_2860
; %bb.2859:
	v_cndmask_b32_e64 v3, 0, 1, s[4:5]
	global_store_dword v[0:1], v3, off
.LBB22_2860:
	s_mov_b64 s[0:1], 0
.LBB22_2861:
	s_andn2_b64 vcc, exec, s[0:1]
	s_cbranch_vccnz .LBB22_2863
; %bb.2862:
	v_cndmask_b32_e64 v3, 0, 1, s[4:5]
	global_store_short v[0:1], v3, off
.LBB22_2863:
	s_mov_b64 s[0:1], 0
.LBB22_2864:
	s_andn2_b64 vcc, exec, s[0:1]
	s_cbranch_vccnz .LBB22_2869
; %bb.2865:
	s_mov_b64 s[0:1], -1
	s_cmp_gt_i32 s10, 0
	v_cndmask_b32_e64 v3, 0, 1, s[4:5]
	s_cbranch_scc0 .LBB22_2867
; %bb.2866:
	global_store_byte v[0:1], v3, off
	s_mov_b64 s[0:1], 0
.LBB22_2867:
	s_andn2_b64 vcc, exec, s[0:1]
	s_cbranch_vccnz .LBB22_2869
; %bb.2868:
	global_store_byte v[0:1], v3, off
.LBB22_2869:
	s_mov_b64 s[12:13], -1
.LBB22_2870:
	s_andn2_b64 vcc, exec, s[12:13]
	s_cbranch_vccnz .LBB22_2947
; %bb.2871:
	s_waitcnt vmcnt(0)
	v_cmp_ne_u16_sdwa s[0:1], v7, v10 src0_sel:BYTE_0 src1_sel:BYTE_0
	v_add_u32_e32 v0, s22, v2
	s_xor_b64 s[20:21], s[2:3], s[0:1]
	v_ashrrev_i32_e32 v1, 31, v0
	v_mov_b32_e32 v2, s9
	v_add_co_u32_e32 v0, vcc, s8, v0
	s_cmp_lt_i32 s24, 11
	v_addc_co_u32_e32 v1, vcc, v2, v1, vcc
	s_cbranch_scc1 .LBB22_2992
; %bb.2872:
	s_and_b32 s12, 0xffff, s24
	s_mov_b64 s[4:5], -1
	s_mov_b64 s[2:3], 0
	s_cmp_gt_i32 s12, 25
	s_mov_b64 s[0:1], 0
	s_cbranch_scc0 .LBB22_2905
; %bb.2873:
	s_cmp_gt_i32 s12, 28
	s_cbranch_scc0 .LBB22_2889
; %bb.2874:
	s_cmp_gt_i32 s12, 43
	;; [unrolled: 3-line block ×3, first 2 shown]
	s_cbranch_scc0 .LBB22_2879
; %bb.2876:
	s_cmp_eq_u32 s12, 46
	s_mov_b64 s[0:1], -1
	s_cbranch_scc0 .LBB22_2878
; %bb.2877:
	v_cndmask_b32_e64 v2, 0, 1.0, s[20:21]
	v_bfe_u32 v3, v2, 16, 1
	s_movk_i32 s0, 0x7fff
	v_add3_u32 v2, v2, v3, s0
	v_lshrrev_b32_e32 v2, 16, v2
	global_store_dword v[0:1], v2, off
	s_mov_b64 s[0:1], 0
.LBB22_2878:
	s_mov_b64 s[4:5], 0
.LBB22_2879:
	s_and_b64 vcc, exec, s[4:5]
	s_cbranch_vccz .LBB22_2884
; %bb.2880:
	s_cmp_eq_u32 s12, 44
	s_mov_b64 s[0:1], -1
	s_cbranch_scc0 .LBB22_2884
; %bb.2881:
	v_cndmask_b32_e64 v3, 0, 1.0, s[20:21]
	v_lshrrev_b32_e32 v2, 23, v3
	s_movk_i32 s0, 0xff
	v_cmp_ne_u32_e32 vcc, s0, v2
	v_mov_b32_e32 v4, 0xff
	s_and_saveexec_b64 s[4:5], vcc
; %bb.2882:
	s_mov_b32 s0, 0x3fffff
	v_and_b32_e32 v4, 0x400000, v3
	v_and_or_b32 v3, v3, s0, v2
	v_cmp_ne_u32_e32 vcc, 0, v4
	v_cmp_ne_u32_e64 s[0:1], 0, v3
	s_and_b64 s[0:1], vcc, s[0:1]
	v_cndmask_b32_e64 v3, 0, 1, s[0:1]
	v_add_u32_e32 v4, v2, v3
; %bb.2883:
	s_or_b64 exec, exec, s[4:5]
	s_mov_b64 s[0:1], 0
	global_store_byte v[0:1], v4, off
.LBB22_2884:
	s_mov_b64 s[4:5], 0
.LBB22_2885:
	s_and_b64 vcc, exec, s[4:5]
	s_cbranch_vccz .LBB22_2888
; %bb.2886:
	s_cmp_eq_u32 s12, 29
	s_mov_b64 s[0:1], -1
	s_cbranch_scc0 .LBB22_2888
; %bb.2887:
	s_mov_b32 s0, 0
	v_cndmask_b32_e64 v2, 0, 1, s[20:21]
	v_mov_b32_e32 v3, s0
	global_store_dwordx2 v[0:1], v[2:3], off
	s_mov_b64 s[0:1], 0
.LBB22_2888:
	s_mov_b64 s[4:5], 0
.LBB22_2889:
	s_and_b64 vcc, exec, s[4:5]
	s_cbranch_vccz .LBB22_2904
; %bb.2890:
	s_cmp_lt_i32 s12, 27
	s_mov_b64 s[4:5], -1
	s_cbranch_scc1 .LBB22_2896
; %bb.2891:
	s_cmp_gt_i32 s12, 27
	v_cndmask_b32_e64 v2, 0, 1, s[20:21]
	s_cbranch_scc0 .LBB22_2893
; %bb.2892:
	global_store_dword v[0:1], v2, off
	s_mov_b64 s[4:5], 0
.LBB22_2893:
	s_andn2_b64 vcc, exec, s[4:5]
	s_cbranch_vccnz .LBB22_2895
; %bb.2894:
	global_store_short v[0:1], v2, off
.LBB22_2895:
	s_mov_b64 s[4:5], 0
.LBB22_2896:
	s_andn2_b64 vcc, exec, s[4:5]
	s_cbranch_vccnz .LBB22_2904
; %bb.2897:
	v_cndmask_b32_e64 v3, 0, 1.0, s[20:21]
	s_mov_b32 s4, 0x43800000
	v_cmp_gt_u32_e32 vcc, s4, v3
	v_mov_b32_e32 v4, 0x80
	s_and_saveexec_b64 s[4:5], vcc
	s_cbranch_execz .LBB22_2903
; %bb.2898:
	s_mov_b32 s8, 0x3bffffff
	v_cmp_lt_u32_e32 vcc, s8, v3
	s_mov_b64 s[8:9], 0
                                        ; implicit-def: $vgpr2
	s_and_saveexec_b64 s[10:11], vcc
	s_xor_b64 s[10:11], exec, s[10:11]
	s_cbranch_execz .LBB22_3009
; %bb.2899:
	v_bfe_u32 v2, v3, 20, 1
	s_mov_b32 s13, 0x487ffff
	v_add3_u32 v2, v3, v2, s13
	s_mov_b64 s[8:9], exec
	v_lshrrev_b32_e32 v2, 20, v2
                                        ; implicit-def: $vgpr3
	s_andn2_saveexec_b64 s[10:11], s[10:11]
	s_cbranch_execnz .LBB22_3010
.LBB22_2900:
	s_or_b64 exec, exec, s[10:11]
	v_mov_b32_e32 v4, 0
	s_and_saveexec_b64 s[10:11], s[8:9]
.LBB22_2901:
	v_mov_b32_e32 v4, v2
.LBB22_2902:
	s_or_b64 exec, exec, s[10:11]
.LBB22_2903:
	s_or_b64 exec, exec, s[4:5]
	global_store_byte v[0:1], v4, off
.LBB22_2904:
	s_mov_b64 s[4:5], 0
.LBB22_2905:
	s_and_b64 vcc, exec, s[4:5]
	s_cbranch_vccz .LBB22_2945
; %bb.2906:
	s_cmp_gt_i32 s12, 22
	s_mov_b64 s[2:3], -1
	s_cbranch_scc0 .LBB22_2938
; %bb.2907:
	s_cmp_lt_i32 s12, 24
	s_cbranch_scc1 .LBB22_2927
; %bb.2908:
	s_cmp_gt_i32 s12, 24
	s_cbranch_scc0 .LBB22_2916
; %bb.2909:
	v_cndmask_b32_e64 v3, 0, 1.0, s[20:21]
	s_mov_b32 s2, 0x47800000
	v_cmp_gt_u32_e32 vcc, s2, v3
	v_mov_b32_e32 v4, 0x80
	s_and_saveexec_b64 s[2:3], vcc
	s_cbranch_execz .LBB22_2915
; %bb.2910:
	s_mov_b32 s4, 0x37ffffff
	v_cmp_lt_u32_e32 vcc, s4, v3
	s_mov_b64 s[4:5], 0
                                        ; implicit-def: $vgpr2
	s_and_saveexec_b64 s[8:9], vcc
	s_xor_b64 s[8:9], exec, s[8:9]
	s_cbranch_execz .LBB22_3012
; %bb.2911:
	v_bfe_u32 v2, v3, 21, 1
	s_mov_b32 s10, 0x88fffff
	v_add3_u32 v2, v3, v2, s10
	s_mov_b64 s[4:5], exec
	v_lshrrev_b32_e32 v2, 21, v2
                                        ; implicit-def: $vgpr3
	s_andn2_saveexec_b64 s[8:9], s[8:9]
	s_cbranch_execnz .LBB22_3013
.LBB22_2912:
	s_or_b64 exec, exec, s[8:9]
	v_mov_b32_e32 v4, 0
	s_and_saveexec_b64 s[8:9], s[4:5]
.LBB22_2913:
	v_mov_b32_e32 v4, v2
.LBB22_2914:
	s_or_b64 exec, exec, s[8:9]
.LBB22_2915:
	s_or_b64 exec, exec, s[2:3]
	s_mov_b64 s[2:3], 0
	global_store_byte v[0:1], v4, off
.LBB22_2916:
	s_and_b64 vcc, exec, s[2:3]
	s_cbranch_vccz .LBB22_2926
; %bb.2917:
	v_cndmask_b32_e64 v2, 0, 1.0, s[20:21]
	s_mov_b32 s2, 0x43f00000
	v_cmp_gt_u32_e32 vcc, s2, v2
                                        ; implicit-def: $vgpr3
	s_and_saveexec_b64 s[2:3], vcc
	s_xor_b64 s[2:3], exec, s[2:3]
	s_cbranch_execz .LBB22_2923
; %bb.2918:
	s_mov_b32 s4, 0x3c7fffff
	v_cmp_lt_u32_e32 vcc, s4, v2
                                        ; implicit-def: $vgpr3
	s_and_saveexec_b64 s[4:5], vcc
	s_xor_b64 s[4:5], exec, s[4:5]
; %bb.2919:
	v_bfe_u32 v3, v2, 20, 1
	s_mov_b32 s8, 0x407ffff
	v_add3_u32 v2, v2, v3, s8
	v_lshrrev_b32_e32 v3, 20, v2
	v_and_b32_e32 v2, 0xff00000, v2
	s_mov_b32 s8, 0x7f00000
	v_mov_b32_e32 v4, 0x7e
	v_cmp_ne_u32_e32 vcc, s8, v2
	v_cndmask_b32_e32 v3, v4, v3, vcc
                                        ; implicit-def: $vgpr2
; %bb.2920:
	s_andn2_saveexec_b64 s[4:5], s[4:5]
; %bb.2921:
	v_add_f32_e32 v3, 0x46800000, v2
; %bb.2922:
	s_or_b64 exec, exec, s[4:5]
                                        ; implicit-def: $vgpr2
.LBB22_2923:
	s_andn2_saveexec_b64 s[2:3], s[2:3]
; %bb.2924:
	s_mov_b32 s4, 0x7f800000
	v_mov_b32_e32 v3, 0x7e
	v_mov_b32_e32 v4, 0x7f
	v_cmp_lt_u32_e32 vcc, s4, v2
	v_cndmask_b32_e32 v3, v3, v4, vcc
; %bb.2925:
	s_or_b64 exec, exec, s[2:3]
	global_store_byte v[0:1], v3, off
.LBB22_2926:
	s_mov_b64 s[2:3], 0
.LBB22_2927:
	s_andn2_b64 vcc, exec, s[2:3]
	s_cbranch_vccnz .LBB22_2937
; %bb.2928:
	v_cndmask_b32_e64 v2, 0, 1.0, s[20:21]
	s_mov_b32 s2, 0x47800000
	v_cmp_gt_u32_e32 vcc, s2, v2
                                        ; implicit-def: $vgpr3
	s_and_saveexec_b64 s[2:3], vcc
	s_xor_b64 s[2:3], exec, s[2:3]
	s_cbranch_execz .LBB22_2934
; %bb.2929:
	s_mov_b32 s4, 0x387fffff
	v_cmp_lt_u32_e32 vcc, s4, v2
                                        ; implicit-def: $vgpr3
	s_and_saveexec_b64 s[4:5], vcc
	s_xor_b64 s[4:5], exec, s[4:5]
; %bb.2930:
	v_bfe_u32 v3, v2, 21, 1
	s_mov_b32 s8, 0x80fffff
	v_add3_u32 v2, v2, v3, s8
	v_lshrrev_b32_e32 v3, 21, v2
                                        ; implicit-def: $vgpr2
; %bb.2931:
	s_andn2_saveexec_b64 s[4:5], s[4:5]
; %bb.2932:
	v_add_f32_e32 v3, 0x43000000, v2
; %bb.2933:
	s_or_b64 exec, exec, s[4:5]
                                        ; implicit-def: $vgpr2
.LBB22_2934:
	s_andn2_saveexec_b64 s[2:3], s[2:3]
; %bb.2935:
	s_mov_b32 s4, 0x7f800000
	v_mov_b32_e32 v3, 0x7c
	v_mov_b32_e32 v4, 0x7f
	v_cmp_lt_u32_e32 vcc, s4, v2
	v_cndmask_b32_e32 v3, v3, v4, vcc
; %bb.2936:
	s_or_b64 exec, exec, s[2:3]
	global_store_byte v[0:1], v3, off
.LBB22_2937:
	s_mov_b64 s[2:3], 0
.LBB22_2938:
	s_andn2_b64 vcc, exec, s[2:3]
	s_mov_b64 s[2:3], 0
	s_cbranch_vccnz .LBB22_2945
; %bb.2939:
	s_cmp_gt_i32 s12, 14
	s_mov_b64 s[4:5], -1
	s_cbranch_scc0 .LBB22_2943
; %bb.2940:
	s_cmp_eq_u32 s12, 15
	s_mov_b64 s[0:1], -1
	s_cbranch_scc0 .LBB22_2942
; %bb.2941:
	v_cndmask_b32_e64 v2, 0, 1.0, s[20:21]
	v_bfe_u32 v3, v2, 16, 1
	s_movk_i32 s0, 0x7fff
	v_add3_u32 v2, v2, v3, s0
	global_store_short_d16_hi v[0:1], v2, off
	s_mov_b64 s[0:1], 0
.LBB22_2942:
	s_mov_b64 s[4:5], 0
.LBB22_2943:
	s_and_b64 vcc, exec, s[4:5]
	s_cbranch_vccz .LBB22_2945
; %bb.2944:
	s_cmp_lg_u32 s12, 11
	s_mov_b64 s[2:3], -1
	s_cselect_b64 s[0:1], -1, 0
.LBB22_2945:
	s_and_b64 vcc, exec, s[0:1]
	s_cbranch_vccnz .LBB22_3011
.LBB22_2946:
	s_mov_b64 s[0:1], 0
	s_branch .LBB22_2948
.LBB22_2947:
	s_mov_b64 s[0:1], 0
	s_mov_b64 s[2:3], 0
                                        ; implicit-def: $sgpr20_sgpr21
                                        ; implicit-def: $sgpr24
                                        ; implicit-def: $vgpr0_vgpr1
.LBB22_2948:
	s_and_b64 s[4:5], s[2:3], exec
	s_andn2_b64 s[2:3], s[16:17], exec
	s_and_b64 s[8:9], s[18:19], exec
	s_and_b64 s[0:1], s[0:1], exec
	s_or_b64 s[16:17], s[2:3], s[8:9]
.LBB22_2949:
	s_or_b64 exec, exec, s[6:7]
	s_and_saveexec_b64 s[2:3], s[16:17]
	s_cbranch_execz .LBB22_2952
; %bb.2950:
	; divergent unreachable
	s_or_b64 exec, exec, s[2:3]
	s_and_saveexec_b64 s[2:3], s[4:5]
	s_xor_b64 s[2:3], exec, s[2:3]
	s_cbranch_execnz .LBB22_2953
.LBB22_2951:
	s_or_b64 exec, exec, s[2:3]
	s_and_saveexec_b64 s[2:3], s[0:1]
	s_cbranch_execnz .LBB22_2954
	s_branch .LBB22_2991
.LBB22_2952:
	s_or_b64 exec, exec, s[2:3]
	s_and_saveexec_b64 s[2:3], s[4:5]
	s_xor_b64 s[2:3], exec, s[2:3]
	s_cbranch_execz .LBB22_2951
.LBB22_2953:
	s_waitcnt vmcnt(0)
	v_cndmask_b32_e64 v2, 0, 1, s[20:21]
	global_store_byte v[0:1], v2, off
	s_or_b64 exec, exec, s[2:3]
	s_and_saveexec_b64 s[2:3], s[0:1]
	s_cbranch_execz .LBB22_2991
.LBB22_2954:
	s_sext_i32_i16 s2, s24
	s_cmp_lt_i32 s2, 5
	s_mov_b64 s[0:1], -1
	s_cbranch_scc1 .LBB22_2975
; %bb.2955:
	s_cmp_lt_i32 s2, 8
	s_cbranch_scc1 .LBB22_2965
; %bb.2956:
	s_cmp_lt_i32 s2, 9
	s_cbranch_scc1 .LBB22_2962
; %bb.2957:
	s_cmp_gt_i32 s2, 9
	s_cbranch_scc0 .LBB22_2959
; %bb.2958:
	s_waitcnt vmcnt(0)
	v_cndmask_b32_e64 v2, 0, 1, s[20:21]
	v_cvt_f64_u32_e32 v[2:3], v2
	v_mov_b32_e32 v4, 0
	v_mov_b32_e32 v5, v4
	s_mov_b64 s[0:1], 0
	global_store_dwordx4 v[0:1], v[2:5], off
.LBB22_2959:
	s_andn2_b64 vcc, exec, s[0:1]
	s_cbranch_vccnz .LBB22_2961
; %bb.2960:
	s_waitcnt vmcnt(0)
	v_cndmask_b32_e64 v2, 0, 1.0, s[20:21]
	v_mov_b32_e32 v3, 0
	global_store_dwordx2 v[0:1], v[2:3], off
.LBB22_2961:
	s_mov_b64 s[0:1], 0
.LBB22_2962:
	s_andn2_b64 vcc, exec, s[0:1]
	s_cbranch_vccnz .LBB22_2964
; %bb.2963:
	s_waitcnt vmcnt(0)
	v_cndmask_b32_e64 v2, 0, 1.0, s[20:21]
	v_cvt_f16_f32_e32 v2, v2
	global_store_dword v[0:1], v2, off
.LBB22_2964:
	s_mov_b64 s[0:1], 0
.LBB22_2965:
	s_andn2_b64 vcc, exec, s[0:1]
	s_cbranch_vccnz .LBB22_2974
; %bb.2966:
	s_sext_i32_i16 s2, s24
	s_cmp_lt_i32 s2, 6
	s_mov_b64 s[0:1], -1
	s_cbranch_scc1 .LBB22_2972
; %bb.2967:
	s_cmp_gt_i32 s2, 6
	s_cbranch_scc0 .LBB22_2969
; %bb.2968:
	s_waitcnt vmcnt(0)
	v_cndmask_b32_e64 v2, 0, 1, s[20:21]
	v_cvt_f64_u32_e32 v[2:3], v2
	s_mov_b64 s[0:1], 0
	global_store_dwordx2 v[0:1], v[2:3], off
.LBB22_2969:
	s_andn2_b64 vcc, exec, s[0:1]
	s_cbranch_vccnz .LBB22_2971
; %bb.2970:
	s_waitcnt vmcnt(0)
	v_cndmask_b32_e64 v2, 0, 1.0, s[20:21]
	global_store_dword v[0:1], v2, off
.LBB22_2971:
	s_mov_b64 s[0:1], 0
.LBB22_2972:
	s_andn2_b64 vcc, exec, s[0:1]
	s_cbranch_vccnz .LBB22_2974
; %bb.2973:
	s_waitcnt vmcnt(0)
	v_cndmask_b32_e64 v2, 0, 1.0, s[20:21]
	v_cvt_f16_f32_e32 v2, v2
	global_store_short v[0:1], v2, off
.LBB22_2974:
	s_mov_b64 s[0:1], 0
.LBB22_2975:
	s_andn2_b64 vcc, exec, s[0:1]
	s_cbranch_vccnz .LBB22_2991
; %bb.2976:
	s_sext_i32_i16 s2, s24
	s_cmp_lt_i32 s2, 2
	s_mov_b64 s[0:1], -1
	s_cbranch_scc1 .LBB22_2986
; %bb.2977:
	s_cmp_lt_i32 s2, 3
	s_cbranch_scc1 .LBB22_2983
; %bb.2978:
	s_cmp_gt_i32 s2, 3
	s_cbranch_scc0 .LBB22_2980
; %bb.2979:
	s_mov_b32 s0, 0
	s_waitcnt vmcnt(0)
	v_cndmask_b32_e64 v2, 0, 1, s[20:21]
	v_mov_b32_e32 v3, s0
	global_store_dwordx2 v[0:1], v[2:3], off
	s_mov_b64 s[0:1], 0
.LBB22_2980:
	s_andn2_b64 vcc, exec, s[0:1]
	s_cbranch_vccnz .LBB22_2982
; %bb.2981:
	s_waitcnt vmcnt(0)
	v_cndmask_b32_e64 v2, 0, 1, s[20:21]
	global_store_dword v[0:1], v2, off
.LBB22_2982:
	s_mov_b64 s[0:1], 0
.LBB22_2983:
	s_andn2_b64 vcc, exec, s[0:1]
	s_cbranch_vccnz .LBB22_2985
; %bb.2984:
	s_waitcnt vmcnt(0)
	v_cndmask_b32_e64 v2, 0, 1, s[20:21]
	global_store_short v[0:1], v2, off
.LBB22_2985:
	s_mov_b64 s[0:1], 0
.LBB22_2986:
	s_andn2_b64 vcc, exec, s[0:1]
	s_cbranch_vccnz .LBB22_2991
; %bb.2987:
	s_sext_i32_i16 s2, s24
	s_mov_b64 s[0:1], -1
	s_cmp_gt_i32 s2, 0
	s_waitcnt vmcnt(0)
	v_cndmask_b32_e64 v2, 0, 1, s[20:21]
	s_cbranch_scc0 .LBB22_2989
; %bb.2988:
	global_store_byte v[0:1], v2, off
	s_mov_b64 s[0:1], 0
.LBB22_2989:
	s_andn2_b64 vcc, exec, s[0:1]
	s_cbranch_vccnz .LBB22_2991
; %bb.2990:
	global_store_byte v[0:1], v2, off
	s_endpgm
.LBB22_2991:
	s_endpgm
.LBB22_2992:
	s_mov_b64 s[2:3], 0
	s_mov_b64 s[0:1], -1
	s_branch .LBB22_2948
.LBB22_2993:
	s_trap 2
	s_or_b64 s[18:19], s[18:19], exec
	s_cbranch_execz .LBB22_2462
	s_branch .LBB22_2463
.LBB22_2994:
	s_andn2_saveexec_b64 s[22:23], s[22:23]
	s_cbranch_execz .LBB22_2542
.LBB22_2995:
	v_add_f32_e32 v0, 0x46000000, v8
	v_and_b32_e32 v0, 0xff, v0
	v_cmp_ne_u32_e32 vcc, 0, v0
	s_andn2_b64 s[20:21], s[20:21], exec
	s_and_b64 s[26:27], vcc, exec
	s_or_b64 s[20:21], s[20:21], s[26:27]
	s_or_b64 exec, exec, s[22:23]
	v_mov_b32_e32 v11, 0
	s_and_saveexec_b64 s[22:23], s[20:21]
	s_cbranch_execnz .LBB22_2543
	s_branch .LBB22_2544
.LBB22_2996:
	s_trap 2
	s_or_b64 s[18:19], s[18:19], exec
	s_cbranch_execz .LBB22_2590
	s_branch .LBB22_2591
.LBB22_2997:
	s_andn2_saveexec_b64 s[20:21], s[20:21]
	s_cbranch_execz .LBB22_2555
.LBB22_2998:
	v_add_f32_e32 v0, 0x42800000, v8
	v_and_b32_e32 v0, 0xff, v0
	v_cmp_ne_u32_e32 vcc, 0, v0
	s_andn2_b64 s[14:15], s[14:15], exec
	s_and_b64 s[22:23], vcc, exec
	s_or_b64 s[14:15], s[14:15], s[22:23]
	s_or_b64 exec, exec, s[20:21]
	v_mov_b32_e32 v11, 0
	s_and_saveexec_b64 s[20:21], s[14:15]
	s_cbranch_execnz .LBB22_2556
	s_branch .LBB22_2557
.LBB22_2999:
	s_andn2_saveexec_b64 s[20:21], s[20:21]
	s_cbranch_execz .LBB22_2661
.LBB22_3000:
	v_add_f32_e32 v3, 0x46000000, v5
	v_and_b32_e32 v3, 0xff, v3
	v_cmp_ne_u32_e32 vcc, 0, v3
	s_andn2_b64 s[14:15], s[14:15], exec
	s_and_b64 s[26:27], vcc, exec
	s_or_b64 s[14:15], s[14:15], s[26:27]
	s_or_b64 exec, exec, s[20:21]
	v_mov_b32_e32 v6, 0
	s_and_saveexec_b64 s[20:21], s[14:15]
	s_cbranch_execnz .LBB22_2662
	s_branch .LBB22_2663
.LBB22_3001:
	s_trap 2
	s_or_b64 s[18:19], s[18:19], exec
	s_cbranch_execz .LBB22_2709
	s_branch .LBB22_2710
.LBB22_3002:
	s_andn2_saveexec_b64 s[14:15], s[14:15]
	s_cbranch_execz .LBB22_2674
.LBB22_3003:
	v_add_f32_e32 v3, 0x42800000, v5
	v_and_b32_e32 v3, 0xff, v3
	v_cmp_ne_u32_e32 vcc, 0, v3
	s_andn2_b64 s[12:13], s[12:13], exec
	s_and_b64 s[20:21], vcc, exec
	s_or_b64 s[12:13], s[12:13], s[20:21]
	s_or_b64 exec, exec, s[14:15]
	v_mov_b32_e32 v6, 0
	s_and_saveexec_b64 s[14:15], s[12:13]
	s_cbranch_execnz .LBB22_2675
	s_branch .LBB22_2676
.LBB22_3004:
	s_andn2_saveexec_b64 s[20:21], s[20:21]
	s_cbranch_execz .LBB22_2780
.LBB22_3005:
	v_add_f32_e32 v3, 0x46000000, v4
	v_and_b32_e32 v3, 0xff, v3
	v_cmp_ne_u32_e32 vcc, 0, v3
	s_andn2_b64 s[14:15], s[14:15], exec
	s_and_b64 s[26:27], vcc, exec
	s_or_b64 s[14:15], s[14:15], s[26:27]
	s_or_b64 exec, exec, s[20:21]
	v_mov_b32_e32 v5, 0
	s_and_saveexec_b64 s[20:21], s[14:15]
	s_cbranch_execnz .LBB22_2781
	s_branch .LBB22_2782
.LBB22_3006:
	s_trap 2
	s_or_b64 s[18:19], s[18:19], exec
	s_cbranch_execz .LBB22_2828
	s_branch .LBB22_2829
.LBB22_3007:
	s_andn2_saveexec_b64 s[14:15], s[14:15]
	s_cbranch_execz .LBB22_2793
.LBB22_3008:
	v_add_f32_e32 v3, 0x42800000, v4
	v_and_b32_e32 v3, 0xff, v3
	v_cmp_ne_u32_e32 vcc, 0, v3
	s_andn2_b64 s[12:13], s[12:13], exec
	s_and_b64 s[20:21], vcc, exec
	s_or_b64 s[12:13], s[12:13], s[20:21]
	s_or_b64 exec, exec, s[14:15]
	v_mov_b32_e32 v5, 0
	s_and_saveexec_b64 s[14:15], s[12:13]
	s_cbranch_execnz .LBB22_2794
	s_branch .LBB22_2795
.LBB22_3009:
	s_andn2_saveexec_b64 s[10:11], s[10:11]
	s_cbranch_execz .LBB22_2900
.LBB22_3010:
	v_add_f32_e32 v2, 0x46000000, v3
	v_and_b32_e32 v2, 0xff, v2
	v_cmp_ne_u32_e32 vcc, 0, v2
	s_andn2_b64 s[8:9], s[8:9], exec
	s_and_b64 s[14:15], vcc, exec
	s_or_b64 s[8:9], s[8:9], s[14:15]
	s_or_b64 exec, exec, s[10:11]
	v_mov_b32_e32 v4, 0
	s_and_saveexec_b64 s[10:11], s[8:9]
	s_cbranch_execnz .LBB22_2901
	s_branch .LBB22_2902
.LBB22_3011:
	s_mov_b64 s[2:3], 0
	s_or_b64 s[18:19], s[18:19], exec
	s_trap 2
	s_branch .LBB22_2946
.LBB22_3012:
	s_andn2_saveexec_b64 s[8:9], s[8:9]
	s_cbranch_execz .LBB22_2912
.LBB22_3013:
	v_add_f32_e32 v2, 0x42800000, v3
	v_and_b32_e32 v2, 0xff, v2
	v_cmp_ne_u32_e32 vcc, 0, v2
	s_andn2_b64 s[4:5], s[4:5], exec
	s_and_b64 s[10:11], vcc, exec
	s_or_b64 s[4:5], s[4:5], s[10:11]
	s_or_b64 exec, exec, s[8:9]
	v_mov_b32_e32 v4, 0
	s_and_saveexec_b64 s[8:9], s[4:5]
	s_cbranch_execnz .LBB22_2913
	s_branch .LBB22_2914
	.section	.rodata,"a",@progbits
	.p2align	6, 0x0
	.amdhsa_kernel _ZN2at6native32elementwise_kernel_manual_unrollILi128ELi4EZNS0_15gpu_kernel_implINS0_13BinaryFunctorIaabNS0_12_GLOBAL__N_116CompareEqFunctorIaEEEEEEvRNS_18TensorIteratorBaseERKT_EUlibE_EEviT1_
		.amdhsa_group_segment_fixed_size 0
		.amdhsa_private_segment_fixed_size 0
		.amdhsa_kernarg_size 56
		.amdhsa_user_sgpr_count 6
		.amdhsa_user_sgpr_private_segment_buffer 1
		.amdhsa_user_sgpr_dispatch_ptr 0
		.amdhsa_user_sgpr_queue_ptr 0
		.amdhsa_user_sgpr_kernarg_segment_ptr 1
		.amdhsa_user_sgpr_dispatch_id 0
		.amdhsa_user_sgpr_flat_scratch_init 0
		.amdhsa_user_sgpr_private_segment_size 0
		.amdhsa_uses_dynamic_stack 0
		.amdhsa_system_sgpr_private_segment_wavefront_offset 0
		.amdhsa_system_sgpr_workgroup_id_x 1
		.amdhsa_system_sgpr_workgroup_id_y 0
		.amdhsa_system_sgpr_workgroup_id_z 0
		.amdhsa_system_sgpr_workgroup_info 0
		.amdhsa_system_vgpr_workitem_id 0
		.amdhsa_next_free_vgpr 16
		.amdhsa_next_free_sgpr 59
		.amdhsa_reserve_vcc 1
		.amdhsa_reserve_flat_scratch 0
		.amdhsa_float_round_mode_32 0
		.amdhsa_float_round_mode_16_64 0
		.amdhsa_float_denorm_mode_32 3
		.amdhsa_float_denorm_mode_16_64 3
		.amdhsa_dx10_clamp 1
		.amdhsa_ieee_mode 1
		.amdhsa_fp16_overflow 0
		.amdhsa_exception_fp_ieee_invalid_op 0
		.amdhsa_exception_fp_denorm_src 0
		.amdhsa_exception_fp_ieee_div_zero 0
		.amdhsa_exception_fp_ieee_overflow 0
		.amdhsa_exception_fp_ieee_underflow 0
		.amdhsa_exception_fp_ieee_inexact 0
		.amdhsa_exception_int_div_zero 0
	.end_amdhsa_kernel
	.section	.text._ZN2at6native32elementwise_kernel_manual_unrollILi128ELi4EZNS0_15gpu_kernel_implINS0_13BinaryFunctorIaabNS0_12_GLOBAL__N_116CompareEqFunctorIaEEEEEEvRNS_18TensorIteratorBaseERKT_EUlibE_EEviT1_,"axG",@progbits,_ZN2at6native32elementwise_kernel_manual_unrollILi128ELi4EZNS0_15gpu_kernel_implINS0_13BinaryFunctorIaabNS0_12_GLOBAL__N_116CompareEqFunctorIaEEEEEEvRNS_18TensorIteratorBaseERKT_EUlibE_EEviT1_,comdat
.Lfunc_end22:
	.size	_ZN2at6native32elementwise_kernel_manual_unrollILi128ELi4EZNS0_15gpu_kernel_implINS0_13BinaryFunctorIaabNS0_12_GLOBAL__N_116CompareEqFunctorIaEEEEEEvRNS_18TensorIteratorBaseERKT_EUlibE_EEviT1_, .Lfunc_end22-_ZN2at6native32elementwise_kernel_manual_unrollILi128ELi4EZNS0_15gpu_kernel_implINS0_13BinaryFunctorIaabNS0_12_GLOBAL__N_116CompareEqFunctorIaEEEEEEvRNS_18TensorIteratorBaseERKT_EUlibE_EEviT1_
                                        ; -- End function
	.set _ZN2at6native32elementwise_kernel_manual_unrollILi128ELi4EZNS0_15gpu_kernel_implINS0_13BinaryFunctorIaabNS0_12_GLOBAL__N_116CompareEqFunctorIaEEEEEEvRNS_18TensorIteratorBaseERKT_EUlibE_EEviT1_.num_vgpr, 16
	.set _ZN2at6native32elementwise_kernel_manual_unrollILi128ELi4EZNS0_15gpu_kernel_implINS0_13BinaryFunctorIaabNS0_12_GLOBAL__N_116CompareEqFunctorIaEEEEEEvRNS_18TensorIteratorBaseERKT_EUlibE_EEviT1_.num_agpr, 0
	.set _ZN2at6native32elementwise_kernel_manual_unrollILi128ELi4EZNS0_15gpu_kernel_implINS0_13BinaryFunctorIaabNS0_12_GLOBAL__N_116CompareEqFunctorIaEEEEEEvRNS_18TensorIteratorBaseERKT_EUlibE_EEviT1_.numbered_sgpr, 59
	.set _ZN2at6native32elementwise_kernel_manual_unrollILi128ELi4EZNS0_15gpu_kernel_implINS0_13BinaryFunctorIaabNS0_12_GLOBAL__N_116CompareEqFunctorIaEEEEEEvRNS_18TensorIteratorBaseERKT_EUlibE_EEviT1_.num_named_barrier, 0
	.set _ZN2at6native32elementwise_kernel_manual_unrollILi128ELi4EZNS0_15gpu_kernel_implINS0_13BinaryFunctorIaabNS0_12_GLOBAL__N_116CompareEqFunctorIaEEEEEEvRNS_18TensorIteratorBaseERKT_EUlibE_EEviT1_.private_seg_size, 0
	.set _ZN2at6native32elementwise_kernel_manual_unrollILi128ELi4EZNS0_15gpu_kernel_implINS0_13BinaryFunctorIaabNS0_12_GLOBAL__N_116CompareEqFunctorIaEEEEEEvRNS_18TensorIteratorBaseERKT_EUlibE_EEviT1_.uses_vcc, 1
	.set _ZN2at6native32elementwise_kernel_manual_unrollILi128ELi4EZNS0_15gpu_kernel_implINS0_13BinaryFunctorIaabNS0_12_GLOBAL__N_116CompareEqFunctorIaEEEEEEvRNS_18TensorIteratorBaseERKT_EUlibE_EEviT1_.uses_flat_scratch, 0
	.set _ZN2at6native32elementwise_kernel_manual_unrollILi128ELi4EZNS0_15gpu_kernel_implINS0_13BinaryFunctorIaabNS0_12_GLOBAL__N_116CompareEqFunctorIaEEEEEEvRNS_18TensorIteratorBaseERKT_EUlibE_EEviT1_.has_dyn_sized_stack, 0
	.set _ZN2at6native32elementwise_kernel_manual_unrollILi128ELi4EZNS0_15gpu_kernel_implINS0_13BinaryFunctorIaabNS0_12_GLOBAL__N_116CompareEqFunctorIaEEEEEEvRNS_18TensorIteratorBaseERKT_EUlibE_EEviT1_.has_recursion, 0
	.set _ZN2at6native32elementwise_kernel_manual_unrollILi128ELi4EZNS0_15gpu_kernel_implINS0_13BinaryFunctorIaabNS0_12_GLOBAL__N_116CompareEqFunctorIaEEEEEEvRNS_18TensorIteratorBaseERKT_EUlibE_EEviT1_.has_indirect_call, 0
	.section	.AMDGPU.csdata,"",@progbits
; Kernel info:
; codeLenInByte = 43564
; TotalNumSgprs: 63
; NumVgprs: 16
; ScratchSize: 0
; MemoryBound: 1
; FloatMode: 240
; IeeeMode: 1
; LDSByteSize: 0 bytes/workgroup (compile time only)
; SGPRBlocks: 7
; VGPRBlocks: 3
; NumSGPRsForWavesPerEU: 63
; NumVGPRsForWavesPerEU: 16
; Occupancy: 10
; WaveLimiterHint : 0
; COMPUTE_PGM_RSRC2:SCRATCH_EN: 0
; COMPUTE_PGM_RSRC2:USER_SGPR: 6
; COMPUTE_PGM_RSRC2:TRAP_HANDLER: 0
; COMPUTE_PGM_RSRC2:TGID_X_EN: 1
; COMPUTE_PGM_RSRC2:TGID_Y_EN: 0
; COMPUTE_PGM_RSRC2:TGID_Z_EN: 0
; COMPUTE_PGM_RSRC2:TIDIG_COMP_CNT: 0
	.section	.text._ZN2at6native32elementwise_kernel_manual_unrollILi128ELi4EZNS0_15gpu_kernel_implINS0_13BinaryFunctorIaabNS0_12_GLOBAL__N_116CompareEqFunctorIaEEEEEEvRNS_18TensorIteratorBaseERKT_EUlibE0_EEviT1_,"axG",@progbits,_ZN2at6native32elementwise_kernel_manual_unrollILi128ELi4EZNS0_15gpu_kernel_implINS0_13BinaryFunctorIaabNS0_12_GLOBAL__N_116CompareEqFunctorIaEEEEEEvRNS_18TensorIteratorBaseERKT_EUlibE0_EEviT1_,comdat
	.globl	_ZN2at6native32elementwise_kernel_manual_unrollILi128ELi4EZNS0_15gpu_kernel_implINS0_13BinaryFunctorIaabNS0_12_GLOBAL__N_116CompareEqFunctorIaEEEEEEvRNS_18TensorIteratorBaseERKT_EUlibE0_EEviT1_ ; -- Begin function _ZN2at6native32elementwise_kernel_manual_unrollILi128ELi4EZNS0_15gpu_kernel_implINS0_13BinaryFunctorIaabNS0_12_GLOBAL__N_116CompareEqFunctorIaEEEEEEvRNS_18TensorIteratorBaseERKT_EUlibE0_EEviT1_
	.p2align	8
	.type	_ZN2at6native32elementwise_kernel_manual_unrollILi128ELi4EZNS0_15gpu_kernel_implINS0_13BinaryFunctorIaabNS0_12_GLOBAL__N_116CompareEqFunctorIaEEEEEEvRNS_18TensorIteratorBaseERKT_EUlibE0_EEviT1_,@function
_ZN2at6native32elementwise_kernel_manual_unrollILi128ELi4EZNS0_15gpu_kernel_implINS0_13BinaryFunctorIaabNS0_12_GLOBAL__N_116CompareEqFunctorIaEEEEEEvRNS_18TensorIteratorBaseERKT_EUlibE0_EEviT1_: ; @_ZN2at6native32elementwise_kernel_manual_unrollILi128ELi4EZNS0_15gpu_kernel_implINS0_13BinaryFunctorIaabNS0_12_GLOBAL__N_116CompareEqFunctorIaEEEEEEvRNS_18TensorIteratorBaseERKT_EUlibE0_EEviT1_
; %bb.0:
	s_load_dword s70, s[4:5], 0x0
	s_load_dword s33, s[4:5], 0x8
	s_add_u32 s2, s4, 8
	s_addc_u32 s3, s5, 0
	v_lshl_or_b32 v10, s6, 9, v0
	v_or_b32_e32 v21, 0x180, v10
	s_waitcnt lgkmcnt(0)
	s_add_i32 s72, s33, -1
	s_cmp_gt_u32 s72, 1
	v_cmp_le_i32_e32 vcc, s70, v21
	s_cselect_b64 s[24:25], -1, 0
	s_mov_b64 s[6:7], 0
	s_mov_b64 s[12:13], 0
	s_and_saveexec_b64 s[0:1], vcc
	s_xor_b64 s[26:27], exec, s[0:1]
	s_cbranch_execz .LBB23_1557
; %bb.1:
	s_cmp_lg_u32 s33, 0
	s_load_dwordx4 s[16:19], s[2:3], 0x4
	s_load_dwordx2 s[34:35], s[2:3], 0x14
	s_load_dwordx8 s[8:15], s[2:3], 0x188
	s_load_dwordx4 s[20:23], s[2:3], 0xc4
	s_load_dwordx2 s[30:31], s[2:3], 0xd4
	s_cselect_b64 s[38:39], -1, 0
	s_min_u32 s75, s72, 15
	s_cmp_gt_u32 s33, 1
	s_cselect_b64 s[36:37], -1, 0
	s_waitcnt lgkmcnt(0)
	s_lshr_b32 s74, s15, 8
	s_lshr_b32 s73, s15, 16
	s_cmp_eq_u32 s14, 0
	s_cselect_b64 s[28:29], -1, 0
	v_cmp_gt_i32_e32 vcc, s70, v10
	s_mov_b64 s[0:1], -1
	s_mov_b64 s[50:51], 0
	s_mov_b64 s[44:45], 0
	;; [unrolled: 1-line block ×4, first 2 shown]
	s_and_saveexec_b64 s[46:47], vcc
	s_cbranch_execz .LBB23_386
; %bb.2:
	s_andn2_b64 vcc, exec, s[24:25]
	s_cbranch_vccnz .LBB23_8
; %bb.3:
	s_andn2_b64 vcc, exec, s[38:39]
	s_cbranch_vccnz .LBB23_9
; %bb.4:
	s_add_i32 s0, s75, 1
	s_and_b32 s14, s0, 30
	s_add_u32 s0, s2, 0xffffffe8
	s_addc_u32 s1, s3, -1
	v_mov_b32_e32 v3, 0
	v_mov_b32_e32 v5, 0
	;; [unrolled: 1-line block ×4, first 2 shown]
.LBB23_5:                               ; =>This Inner Loop Header: Depth=1
	s_load_dwordx4 s[40:43], s[0:1], 0x1c
	s_load_dwordx2 s[44:45], s[0:1], 0x2c
	s_load_dwordx2 s[48:49], s[0:1], 0xec
	s_load_dwordx4 s[52:55], s[0:1], 0xdc
	s_add_u32 s0, s0, 24
	s_waitcnt lgkmcnt(0)
	v_mul_hi_u32 v2, s41, v1
	s_addc_u32 s1, s1, 0
	s_add_i32 s14, s14, -2
	s_cmp_lg_u32 s14, 0
	v_add_u32_e32 v2, v1, v2
	v_lshrrev_b32_e32 v2, s42, v2
	v_mul_lo_u32 v4, v2, s40
	v_mul_hi_u32 v6, s44, v2
	v_sub_u32_e32 v4, v1, v4
	v_add_u32_e32 v1, v2, v6
	v_lshrrev_b32_e32 v1, s45, v1
	v_mul_lo_u32 v8, v1, s43
	v_mul_lo_u32 v6, v4, s52
	;; [unrolled: 1-line block ×4, first 2 shown]
	v_sub_u32_e32 v2, v2, v8
	v_mul_lo_u32 v8, v2, s55
	v_mul_lo_u32 v9, v2, s48
	;; [unrolled: 1-line block ×3, first 2 shown]
	v_add3_u32 v0, v6, v0, v8
	v_add3_u32 v5, v7, v5, v9
	;; [unrolled: 1-line block ×3, first 2 shown]
	s_cbranch_scc1 .LBB23_5
; %bb.6:
	s_bitcmp1_b32 s75, 0
	s_cselect_b64 s[40:41], -1, 0
	s_and_b64 vcc, exec, s[40:41]
	s_cbranch_vccnz .LBB23_10
; %bb.7:
	s_load_dwordx2 s[40:41], s[0:1], 0x1c
	s_load_dword s14, s[0:1], 0x24
	s_load_dwordx2 s[42:43], s[0:1], 0xdc
	s_waitcnt lgkmcnt(0)
	v_mul_hi_u32 v2, s41, v1
	v_add_u32_e32 v2, v1, v2
	v_lshrrev_b32_e32 v2, s14, v2
	v_mul_lo_u32 v2, v2, s40
	s_load_dword s14, s[0:1], 0xe4
	v_sub_u32_e32 v2, v1, v2
	v_mad_u64_u32 v[0:1], s[0:1], v2, s42, v[0:1]
	v_mad_u64_u32 v[5:6], s[0:1], v2, s43, v[5:6]
	s_waitcnt lgkmcnt(0)
	v_mad_u64_u32 v[3:4], s[0:1], v2, s14, v[3:4]
	s_cbranch_execz .LBB23_11
	s_branch .LBB23_13
.LBB23_8:
                                        ; implicit-def: $vgpr0
                                        ; implicit-def: $vgpr5
                                        ; implicit-def: $vgpr3
	s_andn2_b64 vcc, exec, s[0:1]
	s_cbranch_vccz .LBB23_11
	s_branch .LBB23_13
.LBB23_9:
	v_mov_b32_e32 v0, 0
	v_mov_b32_e32 v5, 0
	;; [unrolled: 1-line block ×3, first 2 shown]
.LBB23_10:
	s_cbranch_execnz .LBB23_13
.LBB23_11:
	v_mul_hi_u32 v0, s17, v10
	s_andn2_b64 vcc, exec, s[36:37]
	v_add_u32_e32 v0, v10, v0
	v_lshrrev_b32_e32 v1, s18, v0
	v_mul_lo_u32 v0, v1, s16
	v_sub_u32_e32 v2, v10, v0
	v_mul_lo_u32 v0, v2, s20
	v_mul_lo_u32 v5, v2, s21
	;; [unrolled: 1-line block ×3, first 2 shown]
	s_cbranch_vccnz .LBB23_13
; %bb.12:
	v_mul_hi_u32 v2, s34, v1
	v_add_u32_e32 v2, v1, v2
	v_lshrrev_b32_e32 v2, s35, v2
	v_mul_lo_u32 v2, v2, s19
	v_sub_u32_e32 v2, v1, v2
	v_mad_u64_u32 v[0:1], s[0:1], v2, s23, v[0:1]
	v_mad_u64_u32 v[5:6], s[0:1], v2, s30, v[5:6]
	;; [unrolled: 1-line block ×3, first 2 shown]
.LBB23_13:
	v_mov_b32_e32 v1, s11
	s_and_b32 s14, s74, 0xff
	v_add_co_u32_e32 v4, vcc, s10, v5
	s_cmp_lt_i32 s14, 11
	v_addc_co_u32_e32 v5, vcc, 0, v1, vcc
	s_cbranch_scc1 .LBB23_20
; %bb.14:
	s_and_b32 s42, 0xffff, s14
	s_cmp_gt_i32 s42, 25
	s_cbranch_scc0 .LBB23_29
; %bb.15:
	s_cmp_gt_i32 s42, 28
	s_cbranch_scc0 .LBB23_39
; %bb.16:
	;; [unrolled: 3-line block ×4, first 2 shown]
	s_cmp_eq_u32 s42, 46
	s_mov_b64 s[40:41], 0
	s_cbranch_scc0 .LBB23_48
; %bb.19:
	global_load_dword v1, v[4:5], off
	s_mov_b64 s[0:1], -1
	s_mov_b64 s[44:45], 0
	s_waitcnt vmcnt(0)
	v_lshlrev_b32_e32 v1, 16, v1
	v_cvt_i32_f32_e32 v1, v1
	s_branch .LBB23_50
.LBB23_20:
	s_mov_b64 s[44:45], 0
                                        ; implicit-def: $vgpr1
	s_mov_b64 s[0:1], 0
	s_cbranch_execnz .LBB23_112
.LBB23_21:
	s_andn2_b64 vcc, exec, s[0:1]
	s_cbranch_vccnz .LBB23_159
.LBB23_22:
	v_mov_b32_e32 v4, s13
	s_and_b32 s14, s73, 0xff
	s_waitcnt vmcnt(0)
	v_add_co_u32_e32 v2, vcc, s12, v3
	s_cmp_lt_i32 s14, 11
	v_addc_co_u32_e32 v3, vcc, 0, v4, vcc
	s_cbranch_scc1 .LBB23_30
; %bb.23:
	s_and_b32 s48, 0xffff, s14
	s_cmp_gt_i32 s48, 25
	s_cbranch_scc0 .LBB23_40
; %bb.24:
	s_cmp_gt_i32 s48, 28
	s_cbranch_scc0 .LBB23_43
; %bb.25:
	;; [unrolled: 3-line block ×4, first 2 shown]
	s_cmp_eq_u32 s48, 46
	s_mov_b64 s[40:41], 0
	s_cbranch_scc0 .LBB23_160
; %bb.28:
	global_load_dword v4, v[2:3], off
	s_mov_b64 s[0:1], -1
	s_mov_b64 s[42:43], 0
	s_waitcnt vmcnt(0)
	v_lshlrev_b32_e32 v4, 16, v4
	v_cvt_i32_f32_e32 v4, v4
	s_branch .LBB23_162
.LBB23_29:
	s_mov_b64 s[44:45], 0
	s_mov_b64 s[0:1], 0
                                        ; implicit-def: $vgpr1
	s_cbranch_execnz .LBB23_79
	s_branch .LBB23_111
.LBB23_30:
	s_mov_b64 s[42:43], 0
                                        ; implicit-def: $vgpr4
	s_mov_b64 s[0:1], 0
	s_cbranch_execnz .LBB23_335
.LBB23_31:
	s_andn2_b64 vcc, exec, s[0:1]
	s_cbranch_vccnz .LBB23_383
.LBB23_32:
	s_waitcnt vmcnt(0)
	v_cmp_ne_u16_sdwa s[0:1], v1, v4 src0_sel:BYTE_0 src1_sel:BYTE_0
	s_xor_b64 s[40:41], s[28:29], s[0:1]
	v_mov_b32_e32 v1, s9
	s_and_b32 s14, s15, 0xff
	v_add_co_u32_e32 v0, vcc, s8, v0
	s_cmp_lt_i32 s14, 11
	v_addc_co_u32_e32 v1, vcc, 0, v1, vcc
	s_cbranch_scc1 .LBB23_41
; %bb.33:
	s_and_b32 s56, 0xffff, s14
	s_cmp_gt_i32 s56, 25
	s_cbranch_scc0 .LBB23_44
; %bb.34:
	s_cmp_gt_i32 s56, 28
	s_cbranch_scc0 .LBB23_47
; %bb.35:
	;; [unrolled: 3-line block ×4, first 2 shown]
	s_mov_b64 s[52:53], 0
	s_mov_b64 s[0:1], -1
	s_cmp_eq_u32 s56, 46
	s_mov_b64 s[48:49], 0
	s_cbranch_scc0 .LBB23_166
; %bb.38:
	v_cndmask_b32_e64 v2, 0, 1.0, s[40:41]
	v_bfe_u32 v3, v2, 16, 1
	s_movk_i32 s0, 0x7fff
	v_add3_u32 v2, v2, v3, s0
	v_lshrrev_b32_e32 v2, 16, v2
	global_store_dword v[0:1], v2, off
	s_mov_b64 s[48:49], -1
	s_mov_b64 s[0:1], 0
	s_branch .LBB23_166
.LBB23_39:
	s_mov_b64 s[40:41], -1
	s_mov_b64 s[44:45], 0
	s_mov_b64 s[0:1], 0
                                        ; implicit-def: $vgpr1
	s_branch .LBB23_62
.LBB23_40:
	s_mov_b64 s[40:41], -1
	s_mov_b64 s[42:43], 0
	s_mov_b64 s[0:1], 0
                                        ; implicit-def: $vgpr4
	s_branch .LBB23_301
.LBB23_41:
	s_mov_b64 s[52:53], -1
	s_mov_b64 s[0:1], 0
	s_mov_b64 s[48:49], 0
	s_branch .LBB23_235
.LBB23_42:
	s_mov_b64 s[40:41], -1
	s_mov_b64 s[44:45], 0
	s_mov_b64 s[0:1], 0
                                        ; implicit-def: $vgpr1
	s_branch .LBB23_57
.LBB23_43:
	s_mov_b64 s[40:41], -1
	s_mov_b64 s[42:43], 0
	s_mov_b64 s[0:1], 0
                                        ; implicit-def: $vgpr4
	s_branch .LBB23_284
.LBB23_44:
	s_mov_b64 s[52:53], -1
	s_mov_b64 s[0:1], 0
	s_mov_b64 s[48:49], 0
	s_branch .LBB23_193
.LBB23_45:
	s_mov_b64 s[40:41], -1
	s_mov_b64 s[44:45], 0
	s_branch .LBB23_49
.LBB23_46:
	s_mov_b64 s[40:41], -1
	s_mov_b64 s[42:43], 0
	s_mov_b64 s[0:1], 0
                                        ; implicit-def: $vgpr4
	s_branch .LBB23_279
.LBB23_47:
	s_mov_b64 s[52:53], -1
	s_mov_b64 s[0:1], 0
	s_mov_b64 s[48:49], 0
	s_branch .LBB23_176
.LBB23_48:
	s_mov_b64 s[44:45], -1
.LBB23_49:
	s_mov_b64 s[0:1], 0
                                        ; implicit-def: $vgpr1
.LBB23_50:
	s_and_b64 vcc, exec, s[40:41]
	s_cbranch_vccz .LBB23_56
; %bb.51:
	s_cmp_eq_u32 s42, 44
	s_cbranch_scc0 .LBB23_55
; %bb.52:
	global_load_ubyte v1, v[4:5], off
	s_mov_b64 s[0:1], -1
	s_mov_b64 s[44:45], 0
	s_waitcnt vmcnt(0)
	v_lshlrev_b32_e32 v2, 23, v1
	v_cvt_i32_f32_e32 v2, v2
	v_cmp_ne_u32_e32 vcc, 0, v1
	v_cndmask_b32_e32 v1, 0, v2, vcc
	s_branch .LBB23_56
.LBB23_53:
	s_mov_b64 s[40:41], -1
	s_mov_b64 s[42:43], 0
	s_branch .LBB23_161
.LBB23_54:
	s_mov_b64 s[52:53], -1
	s_mov_b64 s[0:1], 0
	s_mov_b64 s[48:49], 0
	s_branch .LBB23_172
.LBB23_55:
	s_mov_b64 s[44:45], -1
                                        ; implicit-def: $vgpr1
.LBB23_56:
	s_mov_b64 s[40:41], 0
.LBB23_57:
	s_and_b64 vcc, exec, s[40:41]
	s_cbranch_vccz .LBB23_61
; %bb.58:
	s_cmp_eq_u32 s42, 29
	s_cbranch_scc0 .LBB23_60
; %bb.59:
	global_load_dwordx2 v[1:2], v[4:5], off
	s_mov_b64 s[0:1], -1
	s_mov_b64 s[44:45], 0
	s_branch .LBB23_61
.LBB23_60:
	s_mov_b64 s[44:45], -1
                                        ; implicit-def: $vgpr1
.LBB23_61:
	s_mov_b64 s[40:41], 0
.LBB23_62:
	s_and_b64 vcc, exec, s[40:41]
	s_cbranch_vccz .LBB23_78
; %bb.63:
	s_cmp_lt_i32 s42, 27
	s_cbranch_scc1 .LBB23_66
; %bb.64:
	s_cmp_gt_i32 s42, 27
	s_cbranch_scc0 .LBB23_67
; %bb.65:
	global_load_dword v1, v[4:5], off
	s_mov_b64 s[0:1], 0
	s_branch .LBB23_68
.LBB23_66:
	s_mov_b64 s[0:1], -1
                                        ; implicit-def: $vgpr1
	s_branch .LBB23_71
.LBB23_67:
	s_mov_b64 s[0:1], -1
                                        ; implicit-def: $vgpr1
.LBB23_68:
	s_andn2_b64 vcc, exec, s[0:1]
	s_cbranch_vccnz .LBB23_70
; %bb.69:
	global_load_ushort v1, v[4:5], off
.LBB23_70:
	s_mov_b64 s[0:1], 0
.LBB23_71:
	s_andn2_b64 vcc, exec, s[0:1]
	s_cbranch_vccnz .LBB23_77
; %bb.72:
	global_load_ubyte v2, v[4:5], off
	s_movk_i32 s0, 0x7f
	s_mov_b64 s[40:41], 0
	s_waitcnt vmcnt(0)
	v_cmp_lt_i16_e32 vcc, s0, v2
	s_and_saveexec_b64 s[0:1], vcc
	s_xor_b64 s[0:1], exec, s[0:1]
	s_cbranch_execz .LBB23_88
; %bb.73:
	s_movk_i32 s40, 0x80
	v_cmp_ne_u16_e32 vcc, s40, v2
	s_and_b64 s[40:41], vcc, exec
	s_andn2_saveexec_b64 s[0:1], s[0:1]
	s_cbranch_execnz .LBB23_89
.LBB23_74:
	s_or_b64 exec, exec, s[0:1]
	v_mov_b32_e32 v1, 0
	s_and_saveexec_b64 s[0:1], s[40:41]
	s_cbranch_execz .LBB23_76
.LBB23_75:
	v_lshlrev_b32_e32 v1, 24, v2
	v_and_b32_e32 v2, 0xffff, v2
	v_and_b32_e32 v6, 7, v2
	v_ffbh_u32_e32 v8, v6
	v_min_u32_e32 v8, 32, v8
	v_subrev_u32_e32 v9, 28, v8
	v_bfe_u32 v7, v2, 3, 4
	v_lshlrev_b32_e32 v2, v9, v2
	v_sub_u32_e32 v8, 29, v8
	v_and_b32_e32 v2, 7, v2
	v_cmp_eq_u32_e32 vcc, 0, v7
	v_cndmask_b32_e32 v7, v7, v8, vcc
	v_cndmask_b32_e32 v2, v6, v2, vcc
	v_mov_b32_e32 v6, 0x3b800000
	v_lshlrev_b32_e32 v2, 20, v2
	v_and_b32_e32 v1, 0x80000000, v1
	v_lshl_add_u32 v6, v7, 23, v6
	v_or3_b32 v1, v1, v6, v2
	v_cvt_i32_f32_e32 v1, v1
.LBB23_76:
	s_or_b64 exec, exec, s[0:1]
.LBB23_77:
	s_mov_b64 s[0:1], -1
.LBB23_78:
	s_branch .LBB23_111
.LBB23_79:
	s_cmp_gt_i32 s42, 22
	s_cbranch_scc0 .LBB23_87
; %bb.80:
	s_cmp_lt_i32 s42, 24
	s_cbranch_scc1 .LBB23_90
; %bb.81:
	s_cmp_gt_i32 s42, 24
	s_cbranch_scc0 .LBB23_91
; %bb.82:
	global_load_ubyte v2, v[4:5], off
	s_movk_i32 s0, 0x7f
	s_mov_b64 s[40:41], 0
	s_waitcnt vmcnt(0)
	v_cmp_lt_i16_e32 vcc, s0, v2
	s_and_saveexec_b64 s[0:1], vcc
	s_xor_b64 s[0:1], exec, s[0:1]
	s_cbranch_execz .LBB23_103
; %bb.83:
	s_movk_i32 s40, 0x80
	v_cmp_ne_u16_e32 vcc, s40, v2
	s_and_b64 s[40:41], vcc, exec
	s_andn2_saveexec_b64 s[0:1], s[0:1]
	s_cbranch_execnz .LBB23_104
.LBB23_84:
	s_or_b64 exec, exec, s[0:1]
	v_mov_b32_e32 v1, 0
	s_and_saveexec_b64 s[0:1], s[40:41]
	s_cbranch_execz .LBB23_86
.LBB23_85:
	v_lshlrev_b32_e32 v1, 24, v2
	v_and_b32_e32 v2, 0xffff, v2
	v_and_b32_e32 v6, 3, v2
	v_ffbh_u32_e32 v8, v6
	v_min_u32_e32 v8, 32, v8
	v_subrev_u32_e32 v9, 29, v8
	v_bfe_u32 v7, v2, 2, 5
	v_lshlrev_b32_e32 v2, v9, v2
	v_sub_u32_e32 v8, 30, v8
	v_and_b32_e32 v2, 3, v2
	v_cmp_eq_u32_e32 vcc, 0, v7
	v_cndmask_b32_e32 v7, v7, v8, vcc
	v_cndmask_b32_e32 v2, v6, v2, vcc
	v_mov_b32_e32 v6, 0x37800000
	v_lshlrev_b32_e32 v2, 21, v2
	v_and_b32_e32 v1, 0x80000000, v1
	v_lshl_add_u32 v6, v7, 23, v6
	v_or3_b32 v1, v1, v6, v2
	v_cvt_i32_f32_e32 v1, v1
.LBB23_86:
	s_or_b64 exec, exec, s[0:1]
	s_mov_b64 s[0:1], 0
	s_branch .LBB23_92
.LBB23_87:
	s_mov_b64 s[40:41], -1
                                        ; implicit-def: $vgpr1
	s_branch .LBB23_98
.LBB23_88:
	s_andn2_saveexec_b64 s[0:1], s[0:1]
	s_cbranch_execz .LBB23_74
.LBB23_89:
	v_cmp_ne_u16_e32 vcc, 0, v2
	s_andn2_b64 s[40:41], s[40:41], exec
	s_and_b64 s[48:49], vcc, exec
	s_or_b64 s[40:41], s[40:41], s[48:49]
	s_or_b64 exec, exec, s[0:1]
	v_mov_b32_e32 v1, 0
	s_and_saveexec_b64 s[0:1], s[40:41]
	s_cbranch_execnz .LBB23_75
	s_branch .LBB23_76
.LBB23_90:
	s_mov_b64 s[0:1], -1
                                        ; implicit-def: $vgpr1
	s_branch .LBB23_95
.LBB23_91:
	s_mov_b64 s[0:1], -1
                                        ; implicit-def: $vgpr1
.LBB23_92:
	s_and_b64 vcc, exec, s[0:1]
	s_cbranch_vccz .LBB23_94
; %bb.93:
	global_load_ubyte v1, v[4:5], off
	s_mov_b32 s0, 0x7f800000
	s_waitcnt vmcnt(0)
	v_lshlrev_b32_e32 v1, 24, v1
	v_and_b32_e32 v2, 0x7f000000, v1
	v_ffbh_u32_e32 v6, v2
	v_min_u32_e32 v6, 32, v6
	v_sub_u32_e64 v6, v6, 4 clamp
	v_lshlrev_b32_e32 v8, v6, v2
	v_lshlrev_b32_e32 v6, 23, v6
	v_lshrrev_b32_e32 v8, 4, v8
	v_add_u32_e32 v7, 0x1000000, v2
	v_sub_u32_e32 v6, v8, v6
	v_ashrrev_i32_e32 v7, 8, v7
	v_add_u32_e32 v6, 0x3c000000, v6
	v_and_or_b32 v6, v7, s0, v6
	v_cmp_ne_u32_e32 vcc, 0, v2
	v_cndmask_b32_e32 v2, 0, v6, vcc
	s_brev_b32 s0, 1
	v_and_or_b32 v1, v1, s0, v2
	v_cvt_i32_f32_e32 v1, v1
.LBB23_94:
	s_mov_b64 s[0:1], 0
.LBB23_95:
	s_andn2_b64 vcc, exec, s[0:1]
	s_cbranch_vccnz .LBB23_97
; %bb.96:
	global_load_ubyte v1, v[4:5], off
	s_movk_i32 s0, 0x7f00
	s_brev_b32 s1, 16
	s_waitcnt vmcnt(0)
	v_lshlrev_b16_e32 v2, 8, v1
	v_lshlrev_b32_e32 v1, 25, v1
	v_lshrrev_b32_e32 v6, 4, v1
	v_and_or_b32 v7, v2, s0, 0.5
	v_or_b32_e32 v6, 0x70000000, v6
	v_add_f32_e32 v7, -0.5, v7
	v_mul_f32_e32 v6, 0x7800000, v6
	v_cmp_gt_u32_e32 vcc, s1, v1
	v_bfe_i32 v2, v2, 0, 16
	v_cndmask_b32_e32 v1, v6, v7, vcc
	s_brev_b32 s0, 1
	v_and_or_b32 v1, v2, s0, v1
	v_cvt_i32_f32_e32 v1, v1
.LBB23_97:
	s_mov_b64 s[40:41], 0
	s_mov_b64 s[0:1], -1
.LBB23_98:
	s_andn2_b64 vcc, exec, s[40:41]
	s_cbranch_vccnz .LBB23_111
; %bb.99:
	s_cmp_gt_i32 s42, 14
	s_cbranch_scc0 .LBB23_102
; %bb.100:
	s_cmp_eq_u32 s42, 15
	s_cbranch_scc0 .LBB23_105
; %bb.101:
	global_load_ushort v1, v[4:5], off
	s_mov_b64 s[0:1], -1
	s_mov_b64 s[44:45], 0
	s_waitcnt vmcnt(0)
	v_lshlrev_b32_e32 v1, 16, v1
	v_cvt_i32_f32_e32 v1, v1
	s_branch .LBB23_106
.LBB23_102:
	s_mov_b64 s[40:41], -1
                                        ; implicit-def: $vgpr1
	s_branch .LBB23_107
.LBB23_103:
	s_andn2_saveexec_b64 s[0:1], s[0:1]
	s_cbranch_execz .LBB23_84
.LBB23_104:
	v_cmp_ne_u16_e32 vcc, 0, v2
	s_andn2_b64 s[40:41], s[40:41], exec
	s_and_b64 s[48:49], vcc, exec
	s_or_b64 s[40:41], s[40:41], s[48:49]
	s_or_b64 exec, exec, s[0:1]
	v_mov_b32_e32 v1, 0
	s_and_saveexec_b64 s[0:1], s[40:41]
	s_cbranch_execnz .LBB23_85
	s_branch .LBB23_86
.LBB23_105:
	s_mov_b64 s[44:45], -1
                                        ; implicit-def: $vgpr1
.LBB23_106:
	s_mov_b64 s[40:41], 0
.LBB23_107:
	s_and_b64 vcc, exec, s[40:41]
	s_cbranch_vccz .LBB23_111
; %bb.108:
	s_cmp_eq_u32 s42, 11
	s_cbranch_scc0 .LBB23_110
; %bb.109:
	global_load_ubyte v1, v[4:5], off
	s_mov_b64 s[0:1], -1
	s_mov_b64 s[44:45], 0
	s_waitcnt vmcnt(0)
	v_cmp_ne_u16_e32 vcc, 0, v1
	v_cndmask_b32_e64 v1, 0, 1, vcc
	s_branch .LBB23_111
.LBB23_110:
	s_mov_b64 s[44:45], -1
                                        ; implicit-def: $vgpr1
.LBB23_111:
	s_branch .LBB23_21
.LBB23_112:
	s_and_b32 s14, 0xffff, s14
	s_cmp_lt_i32 s14, 5
	s_cbranch_scc1 .LBB23_117
; %bb.113:
	s_cmp_lt_i32 s14, 8
	s_cbranch_scc1 .LBB23_118
; %bb.114:
	;; [unrolled: 3-line block ×3, first 2 shown]
	s_cmp_gt_i32 s14, 9
	s_cbranch_scc0 .LBB23_120
; %bb.116:
	global_load_dwordx2 v[1:2], v[4:5], off
	s_mov_b64 s[0:1], 0
	s_waitcnt vmcnt(0)
	v_cvt_i32_f64_e32 v1, v[1:2]
	s_branch .LBB23_121
.LBB23_117:
                                        ; implicit-def: $vgpr1
	s_branch .LBB23_139
.LBB23_118:
	s_mov_b64 s[0:1], -1
                                        ; implicit-def: $vgpr1
	s_branch .LBB23_127
.LBB23_119:
	s_mov_b64 s[0:1], -1
                                        ; implicit-def: $vgpr1
	s_branch .LBB23_124
.LBB23_120:
	s_mov_b64 s[0:1], -1
                                        ; implicit-def: $vgpr1
.LBB23_121:
	s_andn2_b64 vcc, exec, s[0:1]
	s_cbranch_vccnz .LBB23_123
; %bb.122:
	global_load_dword v1, v[4:5], off
	s_waitcnt vmcnt(0)
	v_cvt_i32_f32_e32 v1, v1
.LBB23_123:
	s_mov_b64 s[0:1], 0
.LBB23_124:
	s_andn2_b64 vcc, exec, s[0:1]
	s_cbranch_vccnz .LBB23_126
; %bb.125:
	global_load_dword v1, v[4:5], off
	s_waitcnt vmcnt(0)
	v_cvt_i16_f16_e32 v1, v1
.LBB23_126:
	s_mov_b64 s[0:1], 0
.LBB23_127:
	s_andn2_b64 vcc, exec, s[0:1]
	s_cbranch_vccnz .LBB23_138
; %bb.128:
	s_cmp_lt_i32 s14, 6
	s_cbranch_scc1 .LBB23_131
; %bb.129:
	s_cmp_gt_i32 s14, 6
	s_cbranch_scc0 .LBB23_132
; %bb.130:
	global_load_dwordx2 v[1:2], v[4:5], off
	s_mov_b64 s[0:1], 0
	s_waitcnt vmcnt(0)
	v_cvt_i32_f64_e32 v1, v[1:2]
	s_branch .LBB23_133
.LBB23_131:
	s_mov_b64 s[0:1], -1
                                        ; implicit-def: $vgpr1
	s_branch .LBB23_136
.LBB23_132:
	s_mov_b64 s[0:1], -1
                                        ; implicit-def: $vgpr1
.LBB23_133:
	s_andn2_b64 vcc, exec, s[0:1]
	s_cbranch_vccnz .LBB23_135
; %bb.134:
	global_load_dword v1, v[4:5], off
	s_waitcnt vmcnt(0)
	v_cvt_i32_f32_e32 v1, v1
.LBB23_135:
	s_mov_b64 s[0:1], 0
.LBB23_136:
	s_andn2_b64 vcc, exec, s[0:1]
	s_cbranch_vccnz .LBB23_138
; %bb.137:
	global_load_ushort v1, v[4:5], off
	s_waitcnt vmcnt(0)
	v_cvt_i16_f16_e32 v1, v1
.LBB23_138:
	s_cbranch_execnz .LBB23_158
.LBB23_139:
	s_cmp_lt_i32 s14, 2
	s_cbranch_scc1 .LBB23_143
; %bb.140:
	s_cmp_lt_i32 s14, 3
	s_cbranch_scc1 .LBB23_144
; %bb.141:
	s_cmp_gt_i32 s14, 3
	s_cbranch_scc0 .LBB23_145
; %bb.142:
	global_load_dwordx2 v[1:2], v[4:5], off
	s_mov_b64 s[0:1], 0
	s_branch .LBB23_146
.LBB23_143:
	s_mov_b64 s[0:1], -1
                                        ; implicit-def: $vgpr1
	s_branch .LBB23_152
.LBB23_144:
	s_mov_b64 s[0:1], -1
                                        ; implicit-def: $vgpr1
	s_branch .LBB23_149
.LBB23_145:
	s_mov_b64 s[0:1], -1
                                        ; implicit-def: $vgpr1
.LBB23_146:
	s_andn2_b64 vcc, exec, s[0:1]
	s_cbranch_vccnz .LBB23_148
; %bb.147:
	global_load_dword v1, v[4:5], off
.LBB23_148:
	s_mov_b64 s[0:1], 0
.LBB23_149:
	s_andn2_b64 vcc, exec, s[0:1]
	s_cbranch_vccnz .LBB23_151
; %bb.150:
	global_load_ushort v1, v[4:5], off
.LBB23_151:
	s_mov_b64 s[0:1], 0
.LBB23_152:
	s_andn2_b64 vcc, exec, s[0:1]
	s_cbranch_vccnz .LBB23_158
; %bb.153:
	s_cmp_gt_i32 s14, 0
	s_cbranch_scc0 .LBB23_155
; %bb.154:
	global_load_ubyte v1, v[4:5], off
	s_mov_b64 s[0:1], 0
	s_branch .LBB23_156
.LBB23_155:
	s_mov_b64 s[0:1], -1
                                        ; implicit-def: $vgpr1
.LBB23_156:
	s_andn2_b64 vcc, exec, s[0:1]
	s_cbranch_vccnz .LBB23_158
; %bb.157:
	global_load_ubyte v1, v[4:5], off
.LBB23_158:
	s_branch .LBB23_22
.LBB23_159:
	s_mov_b64 s[0:1], 0
	s_mov_b64 s[42:43], 0
	s_branch .LBB23_384
.LBB23_160:
	s_mov_b64 s[42:43], -1
.LBB23_161:
	s_mov_b64 s[0:1], 0
                                        ; implicit-def: $vgpr4
.LBB23_162:
	s_and_b64 vcc, exec, s[40:41]
	s_cbranch_vccz .LBB23_278
; %bb.163:
	s_cmp_eq_u32 s48, 44
	s_cbranch_scc0 .LBB23_277
; %bb.164:
	global_load_ubyte v4, v[2:3], off
	s_mov_b64 s[0:1], -1
	s_mov_b64 s[42:43], 0
	s_waitcnt vmcnt(0)
	v_lshlrev_b32_e32 v5, 23, v4
	v_cvt_i32_f32_e32 v5, v5
	v_cmp_ne_u32_e32 vcc, 0, v4
	v_cndmask_b32_e32 v4, 0, v5, vcc
	s_branch .LBB23_278
.LBB23_165:
	s_mov_b64 s[52:53], -1
	s_mov_b64 s[0:1], 0
	s_mov_b64 s[48:49], 0
.LBB23_166:
	s_and_b64 vcc, exec, s[52:53]
	s_cbranch_vccz .LBB23_171
; %bb.167:
	s_cmp_eq_u32 s56, 44
	s_mov_b64 s[0:1], -1
	s_cbranch_scc0 .LBB23_171
; %bb.168:
	v_cndmask_b32_e64 v3, 0, 1.0, s[40:41]
	v_lshrrev_b32_e32 v2, 23, v3
	s_movk_i32 s0, 0xff
	v_cmp_ne_u32_e32 vcc, s0, v2
	v_mov_b32_e32 v4, 0xff
	s_and_saveexec_b64 s[48:49], vcc
; %bb.169:
	s_mov_b32 s0, 0x3fffff
	v_and_b32_e32 v4, 0x400000, v3
	v_and_or_b32 v3, v3, s0, v2
	v_cmp_ne_u32_e32 vcc, 0, v4
	v_cmp_ne_u32_e64 s[0:1], 0, v3
	s_and_b64 s[0:1], vcc, s[0:1]
	v_cndmask_b32_e64 v3, 0, 1, s[0:1]
	v_add_u32_e32 v4, v2, v3
; %bb.170:
	s_or_b64 exec, exec, s[48:49]
	s_mov_b64 s[48:49], -1
	s_mov_b64 s[0:1], 0
	global_store_byte v[0:1], v4, off
.LBB23_171:
	s_mov_b64 s[52:53], 0
.LBB23_172:
	s_and_b64 vcc, exec, s[52:53]
	s_cbranch_vccz .LBB23_175
; %bb.173:
	s_cmp_eq_u32 s56, 29
	s_mov_b64 s[0:1], -1
	s_cbranch_scc0 .LBB23_175
; %bb.174:
	s_mov_b32 s0, 0
	v_cndmask_b32_e64 v2, 0, 1, s[40:41]
	v_mov_b32_e32 v3, s0
	global_store_dwordx2 v[0:1], v[2:3], off
	s_mov_b64 s[48:49], -1
	s_mov_b64 s[0:1], 0
.LBB23_175:
	s_mov_b64 s[52:53], 0
.LBB23_176:
	s_and_b64 vcc, exec, s[52:53]
	s_cbranch_vccz .LBB23_192
; %bb.177:
	s_cmp_lt_i32 s56, 27
	s_mov_b64 s[48:49], -1
	s_cbranch_scc1 .LBB23_183
; %bb.178:
	s_cmp_gt_i32 s56, 27
	s_cbranch_scc0 .LBB23_180
; %bb.179:
	v_cndmask_b32_e64 v2, 0, 1, s[40:41]
	s_mov_b64 s[48:49], 0
	global_store_dword v[0:1], v2, off
.LBB23_180:
	s_andn2_b64 vcc, exec, s[48:49]
	s_cbranch_vccnz .LBB23_182
; %bb.181:
	v_cndmask_b32_e64 v2, 0, 1, s[40:41]
	global_store_short v[0:1], v2, off
.LBB23_182:
	s_mov_b64 s[48:49], 0
.LBB23_183:
	s_andn2_b64 vcc, exec, s[48:49]
	s_cbranch_vccnz .LBB23_191
; %bb.184:
	v_cndmask_b32_e64 v3, 0, 1.0, s[40:41]
	s_mov_b32 s48, 0x43800000
	v_cmp_gt_u32_e32 vcc, s48, v3
	v_mov_b32_e32 v4, 0x80
	s_and_saveexec_b64 s[48:49], vcc
	s_cbranch_execz .LBB23_190
; %bb.185:
	s_mov_b32 s52, 0x3bffffff
	v_cmp_lt_u32_e32 vcc, s52, v3
	s_mov_b64 s[52:53], 0
                                        ; implicit-def: $vgpr2
	s_and_saveexec_b64 s[54:55], vcc
	s_xor_b64 s[54:55], exec, s[54:55]
	s_cbranch_execz .LBB23_426
; %bb.186:
	v_bfe_u32 v2, v3, 20, 1
	s_mov_b32 s57, 0x487ffff
	v_add3_u32 v2, v3, v2, s57
	s_mov_b64 s[52:53], exec
	v_lshrrev_b32_e32 v2, 20, v2
                                        ; implicit-def: $vgpr3
	s_andn2_saveexec_b64 s[54:55], s[54:55]
	s_cbranch_execnz .LBB23_427
.LBB23_187:
	s_or_b64 exec, exec, s[54:55]
	v_mov_b32_e32 v4, 0
	s_and_saveexec_b64 s[54:55], s[52:53]
.LBB23_188:
	v_mov_b32_e32 v4, v2
.LBB23_189:
	s_or_b64 exec, exec, s[54:55]
.LBB23_190:
	s_or_b64 exec, exec, s[48:49]
	global_store_byte v[0:1], v4, off
.LBB23_191:
	s_mov_b64 s[48:49], -1
.LBB23_192:
	s_mov_b64 s[52:53], 0
.LBB23_193:
	s_and_b64 vcc, exec, s[52:53]
	s_cbranch_vccz .LBB23_234
; %bb.194:
	s_cmp_gt_i32 s56, 22
	s_mov_b64 s[52:53], -1
	s_cbranch_scc0 .LBB23_226
; %bb.195:
	s_cmp_lt_i32 s56, 24
	s_mov_b64 s[48:49], -1
	s_cbranch_scc1 .LBB23_215
; %bb.196:
	s_cmp_gt_i32 s56, 24
	s_cbranch_scc0 .LBB23_204
; %bb.197:
	v_cndmask_b32_e64 v3, 0, 1.0, s[40:41]
	s_mov_b32 s48, 0x47800000
	v_cmp_gt_u32_e32 vcc, s48, v3
	v_mov_b32_e32 v4, 0x80
	s_and_saveexec_b64 s[48:49], vcc
	s_cbranch_execz .LBB23_203
; %bb.198:
	s_mov_b32 s52, 0x37ffffff
	v_cmp_lt_u32_e32 vcc, s52, v3
	s_mov_b64 s[52:53], 0
                                        ; implicit-def: $vgpr2
	s_and_saveexec_b64 s[54:55], vcc
	s_xor_b64 s[54:55], exec, s[54:55]
	s_cbranch_execz .LBB23_541
; %bb.199:
	v_bfe_u32 v2, v3, 21, 1
	s_mov_b32 s57, 0x88fffff
	v_add3_u32 v2, v3, v2, s57
	s_mov_b64 s[52:53], exec
	v_lshrrev_b32_e32 v2, 21, v2
                                        ; implicit-def: $vgpr3
	s_andn2_saveexec_b64 s[54:55], s[54:55]
	s_cbranch_execnz .LBB23_542
.LBB23_200:
	s_or_b64 exec, exec, s[54:55]
	v_mov_b32_e32 v4, 0
	s_and_saveexec_b64 s[54:55], s[52:53]
.LBB23_201:
	v_mov_b32_e32 v4, v2
.LBB23_202:
	s_or_b64 exec, exec, s[54:55]
.LBB23_203:
	s_or_b64 exec, exec, s[48:49]
	s_mov_b64 s[48:49], 0
	global_store_byte v[0:1], v4, off
.LBB23_204:
	s_and_b64 vcc, exec, s[48:49]
	s_cbranch_vccz .LBB23_214
; %bb.205:
	v_cndmask_b32_e64 v2, 0, 1.0, s[40:41]
	s_mov_b32 s48, 0x43f00000
	v_cmp_gt_u32_e32 vcc, s48, v2
                                        ; implicit-def: $vgpr3
	s_and_saveexec_b64 s[48:49], vcc
	s_xor_b64 s[48:49], exec, s[48:49]
	s_cbranch_execz .LBB23_211
; %bb.206:
	s_mov_b32 s52, 0x3c7fffff
	v_cmp_lt_u32_e32 vcc, s52, v2
                                        ; implicit-def: $vgpr3
	s_and_saveexec_b64 s[52:53], vcc
	s_xor_b64 s[52:53], exec, s[52:53]
; %bb.207:
	v_bfe_u32 v3, v2, 20, 1
	s_mov_b32 s54, 0x407ffff
	v_add3_u32 v2, v2, v3, s54
	v_lshrrev_b32_e32 v3, 20, v2
	v_and_b32_e32 v2, 0xff00000, v2
	s_mov_b32 s54, 0x7f00000
	v_mov_b32_e32 v4, 0x7e
	v_cmp_ne_u32_e32 vcc, s54, v2
	v_cndmask_b32_e32 v3, v4, v3, vcc
                                        ; implicit-def: $vgpr2
; %bb.208:
	s_andn2_saveexec_b64 s[52:53], s[52:53]
; %bb.209:
	v_add_f32_e32 v3, 0x46800000, v2
; %bb.210:
	s_or_b64 exec, exec, s[52:53]
                                        ; implicit-def: $vgpr2
.LBB23_211:
	s_andn2_saveexec_b64 s[48:49], s[48:49]
; %bb.212:
	s_mov_b32 s52, 0x7f800000
	v_mov_b32_e32 v3, 0x7e
	v_mov_b32_e32 v4, 0x7f
	v_cmp_lt_u32_e32 vcc, s52, v2
	v_cndmask_b32_e32 v3, v3, v4, vcc
; %bb.213:
	s_or_b64 exec, exec, s[48:49]
	global_store_byte v[0:1], v3, off
.LBB23_214:
	s_mov_b64 s[48:49], 0
.LBB23_215:
	s_andn2_b64 vcc, exec, s[48:49]
	s_cbranch_vccnz .LBB23_225
; %bb.216:
	v_cndmask_b32_e64 v2, 0, 1.0, s[40:41]
	s_mov_b32 s48, 0x47800000
	v_cmp_gt_u32_e32 vcc, s48, v2
                                        ; implicit-def: $vgpr3
	s_and_saveexec_b64 s[48:49], vcc
	s_xor_b64 s[48:49], exec, s[48:49]
	s_cbranch_execz .LBB23_222
; %bb.217:
	s_mov_b32 s52, 0x387fffff
	v_cmp_lt_u32_e32 vcc, s52, v2
                                        ; implicit-def: $vgpr3
	s_and_saveexec_b64 s[52:53], vcc
	s_xor_b64 s[52:53], exec, s[52:53]
; %bb.218:
	v_bfe_u32 v3, v2, 21, 1
	s_mov_b32 s54, 0x80fffff
	v_add3_u32 v2, v2, v3, s54
	v_lshrrev_b32_e32 v3, 21, v2
                                        ; implicit-def: $vgpr2
; %bb.219:
	s_andn2_saveexec_b64 s[52:53], s[52:53]
; %bb.220:
	v_add_f32_e32 v3, 0x43000000, v2
; %bb.221:
	s_or_b64 exec, exec, s[52:53]
                                        ; implicit-def: $vgpr2
.LBB23_222:
	s_andn2_saveexec_b64 s[48:49], s[48:49]
; %bb.223:
	s_mov_b32 s52, 0x7f800000
	v_mov_b32_e32 v3, 0x7c
	v_mov_b32_e32 v4, 0x7f
	v_cmp_lt_u32_e32 vcc, s52, v2
	v_cndmask_b32_e32 v3, v3, v4, vcc
; %bb.224:
	s_or_b64 exec, exec, s[48:49]
	global_store_byte v[0:1], v3, off
.LBB23_225:
	s_mov_b64 s[52:53], 0
	s_mov_b64 s[48:49], -1
.LBB23_226:
	s_andn2_b64 vcc, exec, s[52:53]
	s_cbranch_vccnz .LBB23_234
; %bb.227:
	s_cmp_gt_i32 s56, 14
	s_mov_b64 s[52:53], -1
	s_cbranch_scc0 .LBB23_231
; %bb.228:
	s_cmp_eq_u32 s56, 15
	s_mov_b64 s[0:1], -1
	s_cbranch_scc0 .LBB23_230
; %bb.229:
	v_cndmask_b32_e64 v2, 0, 1.0, s[40:41]
	v_bfe_u32 v3, v2, 16, 1
	s_movk_i32 s0, 0x7fff
	v_add3_u32 v2, v2, v3, s0
	global_store_short_d16_hi v[0:1], v2, off
	s_mov_b64 s[48:49], -1
	s_mov_b64 s[0:1], 0
.LBB23_230:
	s_mov_b64 s[52:53], 0
.LBB23_231:
	s_and_b64 vcc, exec, s[52:53]
	s_cbranch_vccz .LBB23_234
; %bb.232:
	s_cmp_eq_u32 s56, 11
	s_mov_b64 s[0:1], -1
	s_cbranch_scc0 .LBB23_234
; %bb.233:
	v_cndmask_b32_e64 v2, 0, 1, s[40:41]
	s_mov_b64 s[48:49], -1
	s_mov_b64 s[0:1], 0
	global_store_byte v[0:1], v2, off
.LBB23_234:
	s_mov_b64 s[52:53], 0
.LBB23_235:
	s_and_b64 vcc, exec, s[52:53]
	s_cbranch_vccz .LBB23_274
; %bb.236:
	s_and_b32 s14, 0xffff, s14
	s_cmp_lt_i32 s14, 5
	s_mov_b64 s[48:49], -1
	s_cbranch_scc1 .LBB23_257
; %bb.237:
	s_cmp_lt_i32 s14, 8
	s_cbranch_scc1 .LBB23_247
; %bb.238:
	s_cmp_lt_i32 s14, 9
	s_cbranch_scc1 .LBB23_244
; %bb.239:
	s_cmp_gt_i32 s14, 9
	s_cbranch_scc0 .LBB23_241
; %bb.240:
	v_cndmask_b32_e64 v2, 0, 1, s[40:41]
	v_cvt_f64_u32_e32 v[2:3], v2
	v_mov_b32_e32 v4, 0
	v_mov_b32_e32 v5, v4
	s_mov_b64 s[48:49], 0
	global_store_dwordx4 v[0:1], v[2:5], off
.LBB23_241:
	s_andn2_b64 vcc, exec, s[48:49]
	s_cbranch_vccnz .LBB23_243
; %bb.242:
	v_cndmask_b32_e64 v2, 0, 1.0, s[40:41]
	v_mov_b32_e32 v3, 0
	global_store_dwordx2 v[0:1], v[2:3], off
.LBB23_243:
	s_mov_b64 s[48:49], 0
.LBB23_244:
	s_andn2_b64 vcc, exec, s[48:49]
	s_cbranch_vccnz .LBB23_246
; %bb.245:
	v_cndmask_b32_e64 v2, 0, 1.0, s[40:41]
	v_cvt_f16_f32_e32 v2, v2
	global_store_dword v[0:1], v2, off
.LBB23_246:
	s_mov_b64 s[48:49], 0
.LBB23_247:
	s_andn2_b64 vcc, exec, s[48:49]
	s_cbranch_vccnz .LBB23_256
; %bb.248:
	s_cmp_lt_i32 s14, 6
	s_mov_b64 s[48:49], -1
	s_cbranch_scc1 .LBB23_254
; %bb.249:
	s_cmp_gt_i32 s14, 6
	s_cbranch_scc0 .LBB23_251
; %bb.250:
	v_cndmask_b32_e64 v2, 0, 1, s[40:41]
	v_cvt_f64_u32_e32 v[2:3], v2
	s_mov_b64 s[48:49], 0
	global_store_dwordx2 v[0:1], v[2:3], off
.LBB23_251:
	s_andn2_b64 vcc, exec, s[48:49]
	s_cbranch_vccnz .LBB23_253
; %bb.252:
	v_cndmask_b32_e64 v2, 0, 1.0, s[40:41]
	global_store_dword v[0:1], v2, off
.LBB23_253:
	s_mov_b64 s[48:49], 0
.LBB23_254:
	s_andn2_b64 vcc, exec, s[48:49]
	s_cbranch_vccnz .LBB23_256
; %bb.255:
	v_cndmask_b32_e64 v2, 0, 1.0, s[40:41]
	v_cvt_f16_f32_e32 v2, v2
	global_store_short v[0:1], v2, off
.LBB23_256:
	s_mov_b64 s[48:49], 0
.LBB23_257:
	s_andn2_b64 vcc, exec, s[48:49]
	s_cbranch_vccnz .LBB23_273
; %bb.258:
	s_cmp_lt_i32 s14, 2
	s_mov_b64 s[48:49], -1
	s_cbranch_scc1 .LBB23_268
; %bb.259:
	s_cmp_lt_i32 s14, 3
	s_cbranch_scc1 .LBB23_265
; %bb.260:
	s_cmp_gt_i32 s14, 3
	s_cbranch_scc0 .LBB23_262
; %bb.261:
	s_mov_b32 s48, 0
	v_cndmask_b32_e64 v2, 0, 1, s[40:41]
	v_mov_b32_e32 v3, s48
	global_store_dwordx2 v[0:1], v[2:3], off
	s_mov_b64 s[48:49], 0
.LBB23_262:
	s_andn2_b64 vcc, exec, s[48:49]
	s_cbranch_vccnz .LBB23_264
; %bb.263:
	v_cndmask_b32_e64 v2, 0, 1, s[40:41]
	global_store_dword v[0:1], v2, off
.LBB23_264:
	s_mov_b64 s[48:49], 0
.LBB23_265:
	s_andn2_b64 vcc, exec, s[48:49]
	s_cbranch_vccnz .LBB23_267
; %bb.266:
	v_cndmask_b32_e64 v2, 0, 1, s[40:41]
	global_store_short v[0:1], v2, off
.LBB23_267:
	s_mov_b64 s[48:49], 0
.LBB23_268:
	s_andn2_b64 vcc, exec, s[48:49]
	s_cbranch_vccnz .LBB23_273
; %bb.269:
	s_cmp_gt_i32 s14, 0
	s_mov_b64 s[48:49], -1
	s_cbranch_scc0 .LBB23_271
; %bb.270:
	v_cndmask_b32_e64 v2, 0, 1, s[40:41]
	global_store_byte v[0:1], v2, off
	s_mov_b64 s[48:49], 0
.LBB23_271:
	s_andn2_b64 vcc, exec, s[48:49]
	s_cbranch_vccnz .LBB23_273
; %bb.272:
	v_cndmask_b32_e64 v2, 0, 1, s[40:41]
	global_store_byte v[0:1], v2, off
.LBB23_273:
	s_mov_b64 s[48:49], -1
.LBB23_274:
	s_andn2_b64 vcc, exec, s[48:49]
	s_cbranch_vccnz .LBB23_276
; %bb.275:
	v_add_u32_e32 v10, 0x80, v10
	s_mov_b64 s[48:49], -1
	s_branch .LBB23_385
.LBB23_276:
	s_mov_b64 s[48:49], 0
                                        ; implicit-def: $vgpr10
	s_branch .LBB23_385
.LBB23_277:
	s_mov_b64 s[42:43], -1
                                        ; implicit-def: $vgpr4
.LBB23_278:
	s_mov_b64 s[40:41], 0
.LBB23_279:
	s_and_b64 vcc, exec, s[40:41]
	s_cbranch_vccz .LBB23_283
; %bb.280:
	s_cmp_eq_u32 s48, 29
	s_cbranch_scc0 .LBB23_282
; %bb.281:
	global_load_dwordx2 v[4:5], v[2:3], off
	s_mov_b64 s[0:1], -1
	s_mov_b64 s[42:43], 0
	s_branch .LBB23_283
.LBB23_282:
	s_mov_b64 s[42:43], -1
                                        ; implicit-def: $vgpr4
.LBB23_283:
	s_mov_b64 s[40:41], 0
.LBB23_284:
	s_and_b64 vcc, exec, s[40:41]
	s_cbranch_vccz .LBB23_300
; %bb.285:
	s_cmp_lt_i32 s48, 27
	s_cbranch_scc1 .LBB23_288
; %bb.286:
	s_cmp_gt_i32 s48, 27
	s_cbranch_scc0 .LBB23_289
; %bb.287:
	global_load_dword v4, v[2:3], off
	s_mov_b64 s[0:1], 0
	s_branch .LBB23_290
.LBB23_288:
	s_mov_b64 s[0:1], -1
                                        ; implicit-def: $vgpr4
	s_branch .LBB23_293
.LBB23_289:
	s_mov_b64 s[0:1], -1
                                        ; implicit-def: $vgpr4
.LBB23_290:
	s_andn2_b64 vcc, exec, s[0:1]
	s_cbranch_vccnz .LBB23_292
; %bb.291:
	global_load_ushort v4, v[2:3], off
.LBB23_292:
	s_mov_b64 s[0:1], 0
.LBB23_293:
	s_andn2_b64 vcc, exec, s[0:1]
	s_cbranch_vccnz .LBB23_299
; %bb.294:
	global_load_ubyte v5, v[2:3], off
	s_movk_i32 s0, 0x7f
	s_mov_b64 s[40:41], 0
	s_waitcnt vmcnt(0)
	v_cmp_lt_i16_e32 vcc, s0, v5
	s_and_saveexec_b64 s[0:1], vcc
	s_xor_b64 s[0:1], exec, s[0:1]
	s_cbranch_execz .LBB23_311
; %bb.295:
	s_movk_i32 s40, 0x80
	v_cmp_ne_u16_e32 vcc, s40, v5
	s_and_b64 s[40:41], vcc, exec
	s_andn2_saveexec_b64 s[0:1], s[0:1]
	s_cbranch_execnz .LBB23_312
.LBB23_296:
	s_or_b64 exec, exec, s[0:1]
	v_mov_b32_e32 v4, 0
	s_and_saveexec_b64 s[0:1], s[40:41]
	s_cbranch_execz .LBB23_298
.LBB23_297:
	v_lshlrev_b32_e32 v4, 24, v5
	v_and_b32_e32 v5, 0xffff, v5
	v_and_b32_e32 v6, 7, v5
	v_ffbh_u32_e32 v8, v6
	v_min_u32_e32 v8, 32, v8
	v_subrev_u32_e32 v9, 28, v8
	v_bfe_u32 v7, v5, 3, 4
	v_lshlrev_b32_e32 v5, v9, v5
	v_sub_u32_e32 v8, 29, v8
	v_and_b32_e32 v5, 7, v5
	v_cmp_eq_u32_e32 vcc, 0, v7
	v_cndmask_b32_e32 v7, v7, v8, vcc
	v_cndmask_b32_e32 v5, v6, v5, vcc
	v_mov_b32_e32 v6, 0x3b800000
	v_lshlrev_b32_e32 v5, 20, v5
	v_and_b32_e32 v4, 0x80000000, v4
	v_lshl_add_u32 v6, v7, 23, v6
	v_or3_b32 v4, v4, v6, v5
	v_cvt_i32_f32_e32 v4, v4
.LBB23_298:
	s_or_b64 exec, exec, s[0:1]
.LBB23_299:
	s_mov_b64 s[0:1], -1
.LBB23_300:
	s_mov_b64 s[40:41], 0
.LBB23_301:
	s_and_b64 vcc, exec, s[40:41]
	s_cbranch_vccz .LBB23_334
; %bb.302:
	s_cmp_gt_i32 s48, 22
	s_cbranch_scc0 .LBB23_310
; %bb.303:
	s_cmp_lt_i32 s48, 24
	s_cbranch_scc1 .LBB23_313
; %bb.304:
	s_cmp_gt_i32 s48, 24
	s_cbranch_scc0 .LBB23_314
; %bb.305:
	global_load_ubyte v5, v[2:3], off
	s_movk_i32 s0, 0x7f
	s_mov_b64 s[40:41], 0
	s_waitcnt vmcnt(0)
	v_cmp_lt_i16_e32 vcc, s0, v5
	s_and_saveexec_b64 s[0:1], vcc
	s_xor_b64 s[0:1], exec, s[0:1]
	s_cbranch_execz .LBB23_326
; %bb.306:
	s_movk_i32 s40, 0x80
	v_cmp_ne_u16_e32 vcc, s40, v5
	s_and_b64 s[40:41], vcc, exec
	s_andn2_saveexec_b64 s[0:1], s[0:1]
	s_cbranch_execnz .LBB23_327
.LBB23_307:
	s_or_b64 exec, exec, s[0:1]
	v_mov_b32_e32 v4, 0
	s_and_saveexec_b64 s[0:1], s[40:41]
	s_cbranch_execz .LBB23_309
.LBB23_308:
	v_lshlrev_b32_e32 v4, 24, v5
	v_and_b32_e32 v5, 0xffff, v5
	v_and_b32_e32 v6, 3, v5
	v_ffbh_u32_e32 v8, v6
	v_min_u32_e32 v8, 32, v8
	v_subrev_u32_e32 v9, 29, v8
	v_bfe_u32 v7, v5, 2, 5
	v_lshlrev_b32_e32 v5, v9, v5
	v_sub_u32_e32 v8, 30, v8
	v_and_b32_e32 v5, 3, v5
	v_cmp_eq_u32_e32 vcc, 0, v7
	v_cndmask_b32_e32 v7, v7, v8, vcc
	v_cndmask_b32_e32 v5, v6, v5, vcc
	v_mov_b32_e32 v6, 0x37800000
	v_lshlrev_b32_e32 v5, 21, v5
	v_and_b32_e32 v4, 0x80000000, v4
	v_lshl_add_u32 v6, v7, 23, v6
	v_or3_b32 v4, v4, v6, v5
	v_cvt_i32_f32_e32 v4, v4
.LBB23_309:
	s_or_b64 exec, exec, s[0:1]
	s_mov_b64 s[0:1], 0
	s_branch .LBB23_315
.LBB23_310:
	s_mov_b64 s[40:41], -1
                                        ; implicit-def: $vgpr4
	s_branch .LBB23_321
.LBB23_311:
	s_andn2_saveexec_b64 s[0:1], s[0:1]
	s_cbranch_execz .LBB23_296
.LBB23_312:
	v_cmp_ne_u16_e32 vcc, 0, v5
	s_andn2_b64 s[40:41], s[40:41], exec
	s_and_b64 s[52:53], vcc, exec
	s_or_b64 s[40:41], s[40:41], s[52:53]
	s_or_b64 exec, exec, s[0:1]
	v_mov_b32_e32 v4, 0
	s_and_saveexec_b64 s[0:1], s[40:41]
	s_cbranch_execnz .LBB23_297
	s_branch .LBB23_298
.LBB23_313:
	s_mov_b64 s[0:1], -1
                                        ; implicit-def: $vgpr4
	s_branch .LBB23_318
.LBB23_314:
	s_mov_b64 s[0:1], -1
                                        ; implicit-def: $vgpr4
.LBB23_315:
	s_and_b64 vcc, exec, s[0:1]
	s_cbranch_vccz .LBB23_317
; %bb.316:
	global_load_ubyte v4, v[2:3], off
	s_mov_b32 s0, 0x7f800000
	s_waitcnt vmcnt(0)
	v_lshlrev_b32_e32 v4, 24, v4
	v_and_b32_e32 v5, 0x7f000000, v4
	v_ffbh_u32_e32 v6, v5
	v_min_u32_e32 v6, 32, v6
	v_sub_u32_e64 v6, v6, 4 clamp
	v_lshlrev_b32_e32 v8, v6, v5
	v_lshlrev_b32_e32 v6, 23, v6
	v_lshrrev_b32_e32 v8, 4, v8
	v_add_u32_e32 v7, 0x1000000, v5
	v_sub_u32_e32 v6, v8, v6
	v_ashrrev_i32_e32 v7, 8, v7
	v_add_u32_e32 v6, 0x3c000000, v6
	v_and_or_b32 v6, v7, s0, v6
	v_cmp_ne_u32_e32 vcc, 0, v5
	v_cndmask_b32_e32 v5, 0, v6, vcc
	s_brev_b32 s0, 1
	v_and_or_b32 v4, v4, s0, v5
	v_cvt_i32_f32_e32 v4, v4
.LBB23_317:
	s_mov_b64 s[0:1], 0
.LBB23_318:
	s_andn2_b64 vcc, exec, s[0:1]
	s_cbranch_vccnz .LBB23_320
; %bb.319:
	global_load_ubyte v4, v[2:3], off
	s_movk_i32 s0, 0x7f00
	s_brev_b32 s1, 16
	s_waitcnt vmcnt(0)
	v_lshlrev_b16_e32 v5, 8, v4
	v_lshlrev_b32_e32 v4, 25, v4
	v_lshrrev_b32_e32 v6, 4, v4
	v_and_or_b32 v7, v5, s0, 0.5
	v_or_b32_e32 v6, 0x70000000, v6
	v_add_f32_e32 v7, -0.5, v7
	v_mul_f32_e32 v6, 0x7800000, v6
	v_cmp_gt_u32_e32 vcc, s1, v4
	v_bfe_i32 v5, v5, 0, 16
	v_cndmask_b32_e32 v4, v6, v7, vcc
	s_brev_b32 s0, 1
	v_and_or_b32 v4, v5, s0, v4
	v_cvt_i32_f32_e32 v4, v4
.LBB23_320:
	s_mov_b64 s[40:41], 0
	s_mov_b64 s[0:1], -1
.LBB23_321:
	s_andn2_b64 vcc, exec, s[40:41]
	s_cbranch_vccnz .LBB23_334
; %bb.322:
	s_cmp_gt_i32 s48, 14
	s_cbranch_scc0 .LBB23_325
; %bb.323:
	s_cmp_eq_u32 s48, 15
	s_cbranch_scc0 .LBB23_328
; %bb.324:
	global_load_ushort v4, v[2:3], off
	s_mov_b64 s[0:1], -1
	s_mov_b64 s[42:43], 0
	s_waitcnt vmcnt(0)
	v_lshlrev_b32_e32 v4, 16, v4
	v_cvt_i32_f32_e32 v4, v4
	s_branch .LBB23_329
.LBB23_325:
	s_mov_b64 s[40:41], -1
                                        ; implicit-def: $vgpr4
	s_branch .LBB23_330
.LBB23_326:
	s_andn2_saveexec_b64 s[0:1], s[0:1]
	s_cbranch_execz .LBB23_307
.LBB23_327:
	v_cmp_ne_u16_e32 vcc, 0, v5
	s_andn2_b64 s[40:41], s[40:41], exec
	s_and_b64 s[52:53], vcc, exec
	s_or_b64 s[40:41], s[40:41], s[52:53]
	s_or_b64 exec, exec, s[0:1]
	v_mov_b32_e32 v4, 0
	s_and_saveexec_b64 s[0:1], s[40:41]
	s_cbranch_execnz .LBB23_308
	s_branch .LBB23_309
.LBB23_328:
	s_mov_b64 s[42:43], -1
                                        ; implicit-def: $vgpr4
.LBB23_329:
	s_mov_b64 s[40:41], 0
.LBB23_330:
	s_and_b64 vcc, exec, s[40:41]
	s_cbranch_vccz .LBB23_334
; %bb.331:
	s_cmp_eq_u32 s48, 11
	s_cbranch_scc0 .LBB23_333
; %bb.332:
	global_load_ubyte v4, v[2:3], off
	s_mov_b64 s[0:1], -1
	s_mov_b64 s[42:43], 0
	s_waitcnt vmcnt(0)
	v_cmp_ne_u16_e32 vcc, 0, v4
	v_cndmask_b32_e64 v4, 0, 1, vcc
	s_branch .LBB23_334
.LBB23_333:
	s_mov_b64 s[42:43], -1
                                        ; implicit-def: $vgpr4
.LBB23_334:
	s_branch .LBB23_31
.LBB23_335:
	s_and_b32 s14, 0xffff, s14
	s_cmp_lt_i32 s14, 5
	s_cbranch_scc1 .LBB23_340
; %bb.336:
	s_cmp_lt_i32 s14, 8
	s_cbranch_scc1 .LBB23_341
; %bb.337:
	;; [unrolled: 3-line block ×3, first 2 shown]
	s_cmp_gt_i32 s14, 9
	s_cbranch_scc0 .LBB23_343
; %bb.339:
	global_load_dwordx2 v[4:5], v[2:3], off
	s_mov_b64 s[0:1], 0
	s_waitcnt vmcnt(0)
	v_cvt_i32_f64_e32 v4, v[4:5]
	s_branch .LBB23_344
.LBB23_340:
	s_mov_b64 s[0:1], -1
                                        ; implicit-def: $vgpr4
	s_branch .LBB23_362
.LBB23_341:
	s_mov_b64 s[0:1], -1
                                        ; implicit-def: $vgpr4
	s_branch .LBB23_350
.LBB23_342:
	s_mov_b64 s[0:1], -1
                                        ; implicit-def: $vgpr4
	s_branch .LBB23_347
.LBB23_343:
	s_mov_b64 s[0:1], -1
                                        ; implicit-def: $vgpr4
.LBB23_344:
	s_andn2_b64 vcc, exec, s[0:1]
	s_cbranch_vccnz .LBB23_346
; %bb.345:
	global_load_dword v4, v[2:3], off
	s_waitcnt vmcnt(0)
	v_cvt_i32_f32_e32 v4, v4
.LBB23_346:
	s_mov_b64 s[0:1], 0
.LBB23_347:
	s_andn2_b64 vcc, exec, s[0:1]
	s_cbranch_vccnz .LBB23_349
; %bb.348:
	global_load_dword v4, v[2:3], off
	s_waitcnt vmcnt(0)
	v_cvt_i16_f16_e32 v4, v4
.LBB23_349:
	s_mov_b64 s[0:1], 0
.LBB23_350:
	s_andn2_b64 vcc, exec, s[0:1]
	s_cbranch_vccnz .LBB23_361
; %bb.351:
	s_cmp_lt_i32 s14, 6
	s_cbranch_scc1 .LBB23_354
; %bb.352:
	s_cmp_gt_i32 s14, 6
	s_cbranch_scc0 .LBB23_355
; %bb.353:
	global_load_dwordx2 v[4:5], v[2:3], off
	s_mov_b64 s[0:1], 0
	s_waitcnt vmcnt(0)
	v_cvt_i32_f64_e32 v4, v[4:5]
	s_branch .LBB23_356
.LBB23_354:
	s_mov_b64 s[0:1], -1
                                        ; implicit-def: $vgpr4
	s_branch .LBB23_359
.LBB23_355:
	s_mov_b64 s[0:1], -1
                                        ; implicit-def: $vgpr4
.LBB23_356:
	s_andn2_b64 vcc, exec, s[0:1]
	s_cbranch_vccnz .LBB23_358
; %bb.357:
	global_load_dword v4, v[2:3], off
	s_waitcnt vmcnt(0)
	v_cvt_i32_f32_e32 v4, v4
.LBB23_358:
	s_mov_b64 s[0:1], 0
.LBB23_359:
	s_andn2_b64 vcc, exec, s[0:1]
	s_cbranch_vccnz .LBB23_361
; %bb.360:
	global_load_ushort v4, v[2:3], off
	s_waitcnt vmcnt(0)
	v_cvt_i16_f16_e32 v4, v4
.LBB23_361:
	s_mov_b64 s[0:1], 0
.LBB23_362:
	s_andn2_b64 vcc, exec, s[0:1]
	s_cbranch_vccnz .LBB23_382
; %bb.363:
	s_cmp_lt_i32 s14, 2
	s_cbranch_scc1 .LBB23_367
; %bb.364:
	s_cmp_lt_i32 s14, 3
	s_cbranch_scc1 .LBB23_368
; %bb.365:
	s_cmp_gt_i32 s14, 3
	s_cbranch_scc0 .LBB23_369
; %bb.366:
	global_load_dwordx2 v[4:5], v[2:3], off
	s_mov_b64 s[0:1], 0
	s_branch .LBB23_370
.LBB23_367:
	s_mov_b64 s[0:1], -1
                                        ; implicit-def: $vgpr4
	s_branch .LBB23_376
.LBB23_368:
	s_mov_b64 s[0:1], -1
                                        ; implicit-def: $vgpr4
	s_branch .LBB23_373
.LBB23_369:
	s_mov_b64 s[0:1], -1
                                        ; implicit-def: $vgpr4
.LBB23_370:
	s_andn2_b64 vcc, exec, s[0:1]
	s_cbranch_vccnz .LBB23_372
; %bb.371:
	global_load_dword v4, v[2:3], off
.LBB23_372:
	s_mov_b64 s[0:1], 0
.LBB23_373:
	s_andn2_b64 vcc, exec, s[0:1]
	s_cbranch_vccnz .LBB23_375
; %bb.374:
	global_load_ushort v4, v[2:3], off
.LBB23_375:
	s_mov_b64 s[0:1], 0
.LBB23_376:
	s_andn2_b64 vcc, exec, s[0:1]
	s_cbranch_vccnz .LBB23_382
; %bb.377:
	s_cmp_gt_i32 s14, 0
	s_cbranch_scc0 .LBB23_379
; %bb.378:
	global_load_ubyte v4, v[2:3], off
	s_mov_b64 s[0:1], 0
	s_branch .LBB23_380
.LBB23_379:
	s_mov_b64 s[0:1], -1
                                        ; implicit-def: $vgpr4
.LBB23_380:
	s_andn2_b64 vcc, exec, s[0:1]
	s_cbranch_vccnz .LBB23_382
; %bb.381:
	global_load_ubyte v4, v[2:3], off
.LBB23_382:
	s_branch .LBB23_32
.LBB23_383:
	s_mov_b64 s[0:1], 0
.LBB23_384:
                                        ; implicit-def: $vgpr10
	s_mov_b64 s[48:49], 0
.LBB23_385:
	s_and_b64 s[40:41], s[0:1], exec
	s_and_b64 s[42:43], s[42:43], exec
	s_and_b64 s[44:45], s[44:45], exec
	s_orn2_b64 s[0:1], s[48:49], exec
.LBB23_386:
	s_or_b64 exec, exec, s[46:47]
	s_mov_b64 s[54:55], 0
	s_mov_b64 s[52:53], 0
                                        ; implicit-def: $sgpr14
                                        ; implicit-def: $vgpr4_vgpr5
                                        ; implicit-def: $vgpr0
                                        ; implicit-def: $vgpr3
                                        ; implicit-def: $vgpr1
	s_and_saveexec_b64 s[46:47], s[0:1]
	s_cbranch_execz .LBB23_394
; %bb.387:
	v_cmp_gt_i32_e32 vcc, s70, v10
	s_mov_b64 s[0:1], -1
	s_mov_b64 s[48:49], s[44:45]
	s_mov_b64 s[50:51], s[42:43]
	;; [unrolled: 1-line block ×3, first 2 shown]
	s_and_saveexec_b64 s[54:55], vcc
	s_cbranch_execz .LBB23_779
; %bb.388:
	s_andn2_b64 vcc, exec, s[24:25]
	s_cbranch_vccnz .LBB23_397
; %bb.389:
	s_andn2_b64 vcc, exec, s[38:39]
	s_cbranch_vccnz .LBB23_398
; %bb.390:
	s_add_i32 s0, s75, 1
	s_and_b32 s14, s0, 30
	s_add_u32 s0, s2, 0xffffffe8
	s_addc_u32 s1, s3, -1
	v_mov_b32_e32 v3, 0
	s_waitcnt vmcnt(0)
	v_mov_b32_e32 v5, 0
	v_mov_b32_e32 v0, 0
	;; [unrolled: 1-line block ×3, first 2 shown]
.LBB23_391:                             ; =>This Inner Loop Header: Depth=1
	s_load_dwordx4 s[48:51], s[0:1], 0x1c
	s_load_dwordx2 s[52:53], s[0:1], 0x2c
	s_load_dwordx2 s[60:61], s[0:1], 0xec
	s_load_dwordx4 s[56:59], s[0:1], 0xdc
	s_add_u32 s0, s0, 24
	s_waitcnt lgkmcnt(0)
	v_mul_hi_u32 v2, s49, v1
	s_addc_u32 s1, s1, 0
	s_add_i32 s14, s14, -2
	s_cmp_eq_u32 s14, 0
	v_add_u32_e32 v2, v1, v2
	v_lshrrev_b32_e32 v2, s50, v2
	v_mul_lo_u32 v4, v2, s48
	v_mul_hi_u32 v6, s52, v2
	v_sub_u32_e32 v4, v1, v4
	v_add_u32_e32 v1, v2, v6
	v_lshrrev_b32_e32 v1, s53, v1
	v_mul_lo_u32 v8, v1, s51
	v_mul_lo_u32 v6, v4, s56
	;; [unrolled: 1-line block ×4, first 2 shown]
	v_sub_u32_e32 v2, v2, v8
	v_mul_lo_u32 v8, v2, s59
	v_mul_lo_u32 v9, v2, s60
	;; [unrolled: 1-line block ×3, first 2 shown]
	v_add3_u32 v0, v6, v0, v8
	v_add3_u32 v5, v7, v5, v9
	;; [unrolled: 1-line block ×3, first 2 shown]
	s_cbranch_scc0 .LBB23_391
; %bb.392:
	s_bitcmp1_b32 s75, 0
	s_cselect_b64 s[48:49], -1, 0
	s_and_b64 vcc, exec, s[48:49]
	s_cbranch_vccnz .LBB23_399
; %bb.393:
	s_load_dwordx2 s[48:49], s[0:1], 0x1c
	s_load_dword s14, s[0:1], 0x24
	s_load_dwordx2 s[50:51], s[0:1], 0xdc
	s_waitcnt lgkmcnt(0)
	v_mul_hi_u32 v2, s49, v1
	v_add_u32_e32 v2, v1, v2
	v_lshrrev_b32_e32 v2, s14, v2
	v_mul_lo_u32 v2, v2, s48
	s_load_dword s14, s[0:1], 0xe4
	v_sub_u32_e32 v2, v1, v2
	v_mad_u64_u32 v[0:1], s[0:1], v2, s50, v[0:1]
	v_mad_u64_u32 v[5:6], s[0:1], v2, s51, v[5:6]
	s_waitcnt lgkmcnt(0)
	v_mad_u64_u32 v[3:4], s[0:1], v2, s14, v[3:4]
	s_branch .LBB23_399
.LBB23_394:
	s_or_b64 exec, exec, s[46:47]
	s_mov_b64 s[10:11], 0
	s_and_saveexec_b64 s[0:1], s[44:45]
	s_cbranch_execnz .LBB23_1265
.LBB23_395:
	s_or_b64 exec, exec, s[0:1]
	s_and_saveexec_b64 s[0:1], s[50:51]
	s_xor_b64 s[0:1], exec, s[0:1]
	s_cbranch_execz .LBB23_1266
.LBB23_396:
	s_waitcnt vmcnt(0)
	global_load_ubyte v1, v[4:5], off
	s_or_b64 s[52:53], s[52:53], exec
	s_waitcnt vmcnt(0)
	v_cmp_ne_u16_e32 vcc, 0, v1
	v_cndmask_b32_e64 v1, 0, 1, vcc
	s_or_b64 exec, exec, s[0:1]
	s_and_saveexec_b64 s[0:1], s[54:55]
	s_cbranch_execz .LBB23_1312
	s_branch .LBB23_1267
.LBB23_397:
                                        ; implicit-def: $vgpr0
                                        ; implicit-def: $vgpr5
                                        ; implicit-def: $vgpr3
	s_andn2_b64 vcc, exec, s[0:1]
	s_cbranch_vccz .LBB23_400
	s_branch .LBB23_402
.LBB23_398:
	v_mov_b32_e32 v0, 0
	s_waitcnt vmcnt(0)
	v_mov_b32_e32 v5, 0
	v_mov_b32_e32 v3, 0
.LBB23_399:
	s_cbranch_execnz .LBB23_402
.LBB23_400:
	v_mul_hi_u32 v0, s17, v10
	s_andn2_b64 vcc, exec, s[36:37]
	v_add_u32_e32 v0, v10, v0
	s_waitcnt vmcnt(0)
	v_lshrrev_b32_e32 v1, s18, v0
	v_mul_lo_u32 v0, v1, s16
	v_sub_u32_e32 v2, v10, v0
	v_mul_lo_u32 v0, v2, s20
	v_mul_lo_u32 v5, v2, s21
	;; [unrolled: 1-line block ×3, first 2 shown]
	s_cbranch_vccnz .LBB23_402
; %bb.401:
	v_mul_hi_u32 v2, s34, v1
	v_add_u32_e32 v2, v1, v2
	v_lshrrev_b32_e32 v2, s35, v2
	v_mul_lo_u32 v2, v2, s19
	v_sub_u32_e32 v2, v1, v2
	v_mad_u64_u32 v[0:1], s[0:1], v2, s23, v[0:1]
	v_mad_u64_u32 v[5:6], s[0:1], v2, s30, v[5:6]
	;; [unrolled: 1-line block ×3, first 2 shown]
.LBB23_402:
	s_waitcnt vmcnt(0)
	v_mov_b32_e32 v1, s11
	s_and_b32 s14, s74, 0xff
	v_add_co_u32_e32 v4, vcc, s10, v5
	s_cmp_lt_i32 s14, 11
	v_addc_co_u32_e32 v5, vcc, 0, v1, vcc
	s_cbranch_scc1 .LBB23_409
; %bb.403:
	s_and_b32 s52, 0xffff, s14
	s_cmp_gt_i32 s52, 25
	s_cbranch_scc0 .LBB23_418
; %bb.404:
	s_cmp_gt_i32 s52, 28
	s_cbranch_scc0 .LBB23_420
; %bb.405:
	s_cmp_gt_i32 s52, 43
	s_cbranch_scc0 .LBB23_422
; %bb.406:
	s_cmp_gt_i32 s52, 45
	s_cbranch_scc0 .LBB23_424
; %bb.407:
	s_cmp_eq_u32 s52, 46
	s_mov_b64 s[50:51], 0
	s_cbranch_scc0 .LBB23_428
; %bb.408:
	global_load_dword v1, v[4:5], off
	s_mov_b64 s[0:1], -1
	s_mov_b64 s[48:49], 0
	s_waitcnt vmcnt(0)
	v_lshlrev_b32_e32 v1, 16, v1
	v_cvt_i32_f32_e32 v1, v1
	s_branch .LBB23_429
.LBB23_409:
	s_mov_b64 s[0:1], 0
                                        ; implicit-def: $vgpr1
	s_mov_b64 s[48:49], s[44:45]
	s_cbranch_execnz .LBB23_491
.LBB23_410:
	s_andn2_b64 vcc, exec, s[0:1]
	s_cbranch_vccnz .LBB23_539
.LBB23_411:
	v_mov_b32_e32 v4, s13
	s_and_b32 s14, s73, 0xff
	s_waitcnt vmcnt(0)
	v_add_co_u32_e32 v2, vcc, s12, v3
	s_cmp_lt_i32 s14, 11
	v_addc_co_u32_e32 v3, vcc, 0, v4, vcc
	s_cbranch_scc1 .LBB23_419
; %bb.412:
	s_and_b32 s56, 0xffff, s14
	s_cmp_gt_i32 s56, 25
	s_cbranch_scc0 .LBB23_421
; %bb.413:
	s_cmp_gt_i32 s56, 28
	s_cbranch_scc0 .LBB23_423
; %bb.414:
	;; [unrolled: 3-line block ×4, first 2 shown]
	s_cmp_eq_u32 s56, 46
	s_mov_b64 s[52:53], 0
	s_cbranch_scc0 .LBB23_543
; %bb.417:
	global_load_dword v4, v[2:3], off
	s_mov_b64 s[0:1], -1
	s_mov_b64 s[50:51], 0
	s_waitcnt vmcnt(0)
	v_lshlrev_b32_e32 v4, 16, v4
	v_cvt_i32_f32_e32 v4, v4
	s_branch .LBB23_544
.LBB23_418:
	s_mov_b64 s[50:51], -1
	s_mov_b64 s[0:1], 0
	s_mov_b64 s[48:49], s[44:45]
                                        ; implicit-def: $vgpr1
	s_branch .LBB23_457
.LBB23_419:
	s_mov_b64 s[52:53], -1
	s_mov_b64 s[0:1], 0
                                        ; implicit-def: $vgpr4
	s_mov_b64 s[50:51], s[42:43]
	s_branch .LBB23_605
.LBB23_420:
	s_mov_b64 s[50:51], -1
	s_mov_b64 s[0:1], 0
	s_mov_b64 s[48:49], s[44:45]
                                        ; implicit-def: $vgpr1
	s_branch .LBB23_440
.LBB23_421:
	s_mov_b64 s[52:53], -1
	s_mov_b64 s[0:1], 0
	s_mov_b64 s[50:51], s[42:43]
                                        ; implicit-def: $vgpr4
	s_branch .LBB23_571
.LBB23_422:
	s_mov_b64 s[50:51], -1
	s_mov_b64 s[0:1], 0
	s_mov_b64 s[48:49], s[44:45]
                                        ; implicit-def: $vgpr1
	s_branch .LBB23_435
.LBB23_423:
	s_mov_b64 s[52:53], -1
	s_mov_b64 s[0:1], 0
	s_mov_b64 s[50:51], s[42:43]
                                        ; implicit-def: $vgpr4
	s_branch .LBB23_554
.LBB23_424:
	s_mov_b64 s[50:51], -1
	s_mov_b64 s[0:1], 0
	s_mov_b64 s[48:49], s[44:45]
                                        ; implicit-def: $vgpr1
	s_branch .LBB23_429
.LBB23_425:
	s_mov_b64 s[52:53], -1
	s_mov_b64 s[0:1], 0
	s_mov_b64 s[50:51], s[42:43]
                                        ; implicit-def: $vgpr4
	s_branch .LBB23_549
.LBB23_426:
	s_andn2_saveexec_b64 s[54:55], s[54:55]
	s_cbranch_execz .LBB23_187
.LBB23_427:
	v_add_f32_e32 v2, 0x46000000, v3
	v_and_b32_e32 v2, 0xff, v2
	v_cmp_ne_u32_e32 vcc, 0, v2
	s_andn2_b64 s[52:53], s[52:53], exec
	s_and_b64 s[58:59], vcc, exec
	s_or_b64 s[52:53], s[52:53], s[58:59]
	s_or_b64 exec, exec, s[54:55]
	v_mov_b32_e32 v4, 0
	s_and_saveexec_b64 s[54:55], s[52:53]
	s_cbranch_execnz .LBB23_188
	s_branch .LBB23_189
.LBB23_428:
	s_mov_b64 s[48:49], -1
                                        ; implicit-def: $vgpr1
	s_mov_b64 s[0:1], 0
.LBB23_429:
	s_and_b64 vcc, exec, s[50:51]
	s_cbranch_vccz .LBB23_434
; %bb.430:
	s_cmp_eq_u32 s52, 44
	s_cbranch_scc0 .LBB23_433
; %bb.431:
	global_load_ubyte v1, v[4:5], off
	s_mov_b64 s[0:1], -1
	s_mov_b64 s[48:49], 0
	s_waitcnt vmcnt(0)
	v_lshlrev_b32_e32 v2, 23, v1
	v_cvt_i32_f32_e32 v2, v2
	v_cmp_ne_u32_e32 vcc, 0, v1
	v_cndmask_b32_e32 v1, 0, v2, vcc
	s_branch .LBB23_434
.LBB23_432:
	s_mov_b64 s[52:53], -1
	s_mov_b64 s[0:1], 0
	s_mov_b64 s[50:51], s[42:43]
                                        ; implicit-def: $vgpr4
	s_branch .LBB23_544
.LBB23_433:
	s_mov_b64 s[48:49], -1
                                        ; implicit-def: $vgpr1
.LBB23_434:
	s_mov_b64 s[50:51], 0
.LBB23_435:
	s_and_b64 vcc, exec, s[50:51]
	s_cbranch_vccz .LBB23_439
; %bb.436:
	s_cmp_eq_u32 s52, 29
	s_cbranch_scc0 .LBB23_438
; %bb.437:
	global_load_dwordx2 v[1:2], v[4:5], off
	s_mov_b64 s[0:1], -1
	s_mov_b64 s[48:49], 0
	s_branch .LBB23_439
.LBB23_438:
	s_mov_b64 s[48:49], -1
                                        ; implicit-def: $vgpr1
.LBB23_439:
	s_mov_b64 s[50:51], 0
.LBB23_440:
	s_and_b64 vcc, exec, s[50:51]
	s_cbranch_vccz .LBB23_456
; %bb.441:
	s_cmp_lt_i32 s52, 27
	s_cbranch_scc1 .LBB23_444
; %bb.442:
	s_cmp_gt_i32 s52, 27
	s_cbranch_scc0 .LBB23_445
; %bb.443:
	global_load_dword v1, v[4:5], off
	s_mov_b64 s[0:1], 0
	s_branch .LBB23_446
.LBB23_444:
	s_mov_b64 s[0:1], -1
                                        ; implicit-def: $vgpr1
	s_branch .LBB23_449
.LBB23_445:
	s_mov_b64 s[0:1], -1
                                        ; implicit-def: $vgpr1
.LBB23_446:
	s_andn2_b64 vcc, exec, s[0:1]
	s_cbranch_vccnz .LBB23_448
; %bb.447:
	global_load_ushort v1, v[4:5], off
.LBB23_448:
	s_mov_b64 s[0:1], 0
.LBB23_449:
	s_andn2_b64 vcc, exec, s[0:1]
	s_cbranch_vccnz .LBB23_455
; %bb.450:
	global_load_ubyte v2, v[4:5], off
	s_movk_i32 s0, 0x7f
	s_mov_b64 s[50:51], 0
	s_waitcnt vmcnt(0)
	v_cmp_lt_i16_e32 vcc, s0, v2
	s_and_saveexec_b64 s[0:1], vcc
	s_xor_b64 s[0:1], exec, s[0:1]
	s_cbranch_execz .LBB23_467
; %bb.451:
	s_movk_i32 s50, 0x80
	v_cmp_ne_u16_e32 vcc, s50, v2
	s_and_b64 s[50:51], vcc, exec
	s_andn2_saveexec_b64 s[0:1], s[0:1]
	s_cbranch_execnz .LBB23_468
.LBB23_452:
	s_or_b64 exec, exec, s[0:1]
	v_mov_b32_e32 v1, 0
	s_and_saveexec_b64 s[0:1], s[50:51]
	s_cbranch_execz .LBB23_454
.LBB23_453:
	v_lshlrev_b32_e32 v1, 24, v2
	v_and_b32_e32 v2, 0xffff, v2
	v_and_b32_e32 v6, 7, v2
	v_ffbh_u32_e32 v8, v6
	v_min_u32_e32 v8, 32, v8
	v_subrev_u32_e32 v9, 28, v8
	v_bfe_u32 v7, v2, 3, 4
	v_lshlrev_b32_e32 v2, v9, v2
	v_sub_u32_e32 v8, 29, v8
	v_and_b32_e32 v2, 7, v2
	v_cmp_eq_u32_e32 vcc, 0, v7
	v_cndmask_b32_e32 v7, v7, v8, vcc
	v_cndmask_b32_e32 v2, v6, v2, vcc
	v_mov_b32_e32 v6, 0x3b800000
	v_lshlrev_b32_e32 v2, 20, v2
	v_and_b32_e32 v1, 0x80000000, v1
	v_lshl_add_u32 v6, v7, 23, v6
	v_or3_b32 v1, v1, v6, v2
	v_cvt_i32_f32_e32 v1, v1
.LBB23_454:
	s_or_b64 exec, exec, s[0:1]
.LBB23_455:
	s_mov_b64 s[0:1], -1
.LBB23_456:
	s_mov_b64 s[50:51], 0
.LBB23_457:
	s_and_b64 vcc, exec, s[50:51]
	s_cbranch_vccz .LBB23_490
; %bb.458:
	s_cmp_gt_i32 s52, 22
	s_cbranch_scc0 .LBB23_466
; %bb.459:
	s_cmp_lt_i32 s52, 24
	s_cbranch_scc1 .LBB23_469
; %bb.460:
	s_cmp_gt_i32 s52, 24
	s_cbranch_scc0 .LBB23_470
; %bb.461:
	global_load_ubyte v2, v[4:5], off
	s_movk_i32 s0, 0x7f
	s_mov_b64 s[50:51], 0
	s_waitcnt vmcnt(0)
	v_cmp_lt_i16_e32 vcc, s0, v2
	s_and_saveexec_b64 s[0:1], vcc
	s_xor_b64 s[0:1], exec, s[0:1]
	s_cbranch_execz .LBB23_482
; %bb.462:
	s_movk_i32 s50, 0x80
	v_cmp_ne_u16_e32 vcc, s50, v2
	s_and_b64 s[50:51], vcc, exec
	s_andn2_saveexec_b64 s[0:1], s[0:1]
	s_cbranch_execnz .LBB23_483
.LBB23_463:
	s_or_b64 exec, exec, s[0:1]
	v_mov_b32_e32 v1, 0
	s_and_saveexec_b64 s[0:1], s[50:51]
	s_cbranch_execz .LBB23_465
.LBB23_464:
	v_lshlrev_b32_e32 v1, 24, v2
	v_and_b32_e32 v2, 0xffff, v2
	v_and_b32_e32 v6, 3, v2
	v_ffbh_u32_e32 v8, v6
	v_min_u32_e32 v8, 32, v8
	v_subrev_u32_e32 v9, 29, v8
	v_bfe_u32 v7, v2, 2, 5
	v_lshlrev_b32_e32 v2, v9, v2
	v_sub_u32_e32 v8, 30, v8
	v_and_b32_e32 v2, 3, v2
	v_cmp_eq_u32_e32 vcc, 0, v7
	v_cndmask_b32_e32 v7, v7, v8, vcc
	v_cndmask_b32_e32 v2, v6, v2, vcc
	v_mov_b32_e32 v6, 0x37800000
	v_lshlrev_b32_e32 v2, 21, v2
	v_and_b32_e32 v1, 0x80000000, v1
	v_lshl_add_u32 v6, v7, 23, v6
	v_or3_b32 v1, v1, v6, v2
	v_cvt_i32_f32_e32 v1, v1
.LBB23_465:
	s_or_b64 exec, exec, s[0:1]
	s_mov_b64 s[0:1], 0
	s_branch .LBB23_471
.LBB23_466:
	s_mov_b64 s[50:51], -1
                                        ; implicit-def: $vgpr1
	s_branch .LBB23_477
.LBB23_467:
	s_andn2_saveexec_b64 s[0:1], s[0:1]
	s_cbranch_execz .LBB23_452
.LBB23_468:
	v_cmp_ne_u16_e32 vcc, 0, v2
	s_andn2_b64 s[50:51], s[50:51], exec
	s_and_b64 s[56:57], vcc, exec
	s_or_b64 s[50:51], s[50:51], s[56:57]
	s_or_b64 exec, exec, s[0:1]
	v_mov_b32_e32 v1, 0
	s_and_saveexec_b64 s[0:1], s[50:51]
	s_cbranch_execnz .LBB23_453
	s_branch .LBB23_454
.LBB23_469:
	s_mov_b64 s[0:1], -1
                                        ; implicit-def: $vgpr1
	s_branch .LBB23_474
.LBB23_470:
	s_mov_b64 s[0:1], -1
                                        ; implicit-def: $vgpr1
.LBB23_471:
	s_and_b64 vcc, exec, s[0:1]
	s_cbranch_vccz .LBB23_473
; %bb.472:
	global_load_ubyte v1, v[4:5], off
	s_mov_b32 s0, 0x7f800000
	s_waitcnt vmcnt(0)
	v_lshlrev_b32_e32 v1, 24, v1
	v_and_b32_e32 v2, 0x7f000000, v1
	v_ffbh_u32_e32 v6, v2
	v_min_u32_e32 v6, 32, v6
	v_sub_u32_e64 v6, v6, 4 clamp
	v_lshlrev_b32_e32 v8, v6, v2
	v_lshlrev_b32_e32 v6, 23, v6
	v_lshrrev_b32_e32 v8, 4, v8
	v_add_u32_e32 v7, 0x1000000, v2
	v_sub_u32_e32 v6, v8, v6
	v_ashrrev_i32_e32 v7, 8, v7
	v_add_u32_e32 v6, 0x3c000000, v6
	v_and_or_b32 v6, v7, s0, v6
	v_cmp_ne_u32_e32 vcc, 0, v2
	v_cndmask_b32_e32 v2, 0, v6, vcc
	s_brev_b32 s0, 1
	v_and_or_b32 v1, v1, s0, v2
	v_cvt_i32_f32_e32 v1, v1
.LBB23_473:
	s_mov_b64 s[0:1], 0
.LBB23_474:
	s_andn2_b64 vcc, exec, s[0:1]
	s_cbranch_vccnz .LBB23_476
; %bb.475:
	global_load_ubyte v1, v[4:5], off
	s_movk_i32 s0, 0x7f00
	s_brev_b32 s1, 16
	s_waitcnt vmcnt(0)
	v_lshlrev_b16_e32 v2, 8, v1
	v_lshlrev_b32_e32 v1, 25, v1
	v_lshrrev_b32_e32 v6, 4, v1
	v_and_or_b32 v7, v2, s0, 0.5
	v_or_b32_e32 v6, 0x70000000, v6
	v_add_f32_e32 v7, -0.5, v7
	v_mul_f32_e32 v6, 0x7800000, v6
	v_cmp_gt_u32_e32 vcc, s1, v1
	v_bfe_i32 v2, v2, 0, 16
	v_cndmask_b32_e32 v1, v6, v7, vcc
	s_brev_b32 s0, 1
	v_and_or_b32 v1, v2, s0, v1
	v_cvt_i32_f32_e32 v1, v1
.LBB23_476:
	s_mov_b64 s[50:51], 0
	s_mov_b64 s[0:1], -1
.LBB23_477:
	s_andn2_b64 vcc, exec, s[50:51]
	s_cbranch_vccnz .LBB23_490
; %bb.478:
	s_cmp_gt_i32 s52, 14
	s_cbranch_scc0 .LBB23_481
; %bb.479:
	s_cmp_eq_u32 s52, 15
	s_cbranch_scc0 .LBB23_484
; %bb.480:
	global_load_ushort v1, v[4:5], off
	s_mov_b64 s[0:1], -1
	s_mov_b64 s[48:49], 0
	s_waitcnt vmcnt(0)
	v_lshlrev_b32_e32 v1, 16, v1
	v_cvt_i32_f32_e32 v1, v1
	s_branch .LBB23_485
.LBB23_481:
	s_mov_b64 s[50:51], -1
                                        ; implicit-def: $vgpr1
	s_branch .LBB23_486
.LBB23_482:
	s_andn2_saveexec_b64 s[0:1], s[0:1]
	s_cbranch_execz .LBB23_463
.LBB23_483:
	v_cmp_ne_u16_e32 vcc, 0, v2
	s_andn2_b64 s[50:51], s[50:51], exec
	s_and_b64 s[56:57], vcc, exec
	s_or_b64 s[50:51], s[50:51], s[56:57]
	s_or_b64 exec, exec, s[0:1]
	v_mov_b32_e32 v1, 0
	s_and_saveexec_b64 s[0:1], s[50:51]
	s_cbranch_execnz .LBB23_464
	s_branch .LBB23_465
.LBB23_484:
	s_mov_b64 s[48:49], -1
                                        ; implicit-def: $vgpr1
.LBB23_485:
	s_mov_b64 s[50:51], 0
.LBB23_486:
	s_and_b64 vcc, exec, s[50:51]
	s_cbranch_vccz .LBB23_490
; %bb.487:
	s_cmp_eq_u32 s52, 11
	s_cbranch_scc0 .LBB23_489
; %bb.488:
	global_load_ubyte v1, v[4:5], off
	s_mov_b64 s[0:1], -1
	s_mov_b64 s[48:49], 0
	s_waitcnt vmcnt(0)
	v_cmp_ne_u16_e32 vcc, 0, v1
	v_cndmask_b32_e64 v1, 0, 1, vcc
	s_branch .LBB23_490
.LBB23_489:
	s_mov_b64 s[48:49], -1
                                        ; implicit-def: $vgpr1
.LBB23_490:
	s_branch .LBB23_410
.LBB23_491:
	s_and_b32 s14, 0xffff, s14
	s_cmp_lt_i32 s14, 5
	s_cbranch_scc1 .LBB23_496
; %bb.492:
	s_cmp_lt_i32 s14, 8
	s_cbranch_scc1 .LBB23_497
; %bb.493:
	s_cmp_lt_i32 s14, 9
	s_cbranch_scc1 .LBB23_498
; %bb.494:
	s_cmp_gt_i32 s14, 9
	s_cbranch_scc0 .LBB23_499
; %bb.495:
	global_load_dwordx2 v[1:2], v[4:5], off
	s_mov_b64 s[0:1], 0
	s_waitcnt vmcnt(0)
	v_cvt_i32_f64_e32 v1, v[1:2]
	s_branch .LBB23_500
.LBB23_496:
	s_mov_b64 s[0:1], -1
                                        ; implicit-def: $vgpr1
	s_branch .LBB23_518
.LBB23_497:
	s_mov_b64 s[0:1], -1
                                        ; implicit-def: $vgpr1
	s_branch .LBB23_506
.LBB23_498:
	s_mov_b64 s[0:1], -1
                                        ; implicit-def: $vgpr1
	s_branch .LBB23_503
.LBB23_499:
	s_mov_b64 s[0:1], -1
                                        ; implicit-def: $vgpr1
.LBB23_500:
	s_andn2_b64 vcc, exec, s[0:1]
	s_cbranch_vccnz .LBB23_502
; %bb.501:
	global_load_dword v1, v[4:5], off
	s_waitcnt vmcnt(0)
	v_cvt_i32_f32_e32 v1, v1
.LBB23_502:
	s_mov_b64 s[0:1], 0
.LBB23_503:
	s_andn2_b64 vcc, exec, s[0:1]
	s_cbranch_vccnz .LBB23_505
; %bb.504:
	global_load_dword v1, v[4:5], off
	s_waitcnt vmcnt(0)
	v_cvt_i16_f16_e32 v1, v1
.LBB23_505:
	s_mov_b64 s[0:1], 0
.LBB23_506:
	s_andn2_b64 vcc, exec, s[0:1]
	s_cbranch_vccnz .LBB23_517
; %bb.507:
	s_cmp_lt_i32 s14, 6
	s_cbranch_scc1 .LBB23_510
; %bb.508:
	s_cmp_gt_i32 s14, 6
	s_cbranch_scc0 .LBB23_511
; %bb.509:
	global_load_dwordx2 v[1:2], v[4:5], off
	s_mov_b64 s[0:1], 0
	s_waitcnt vmcnt(0)
	v_cvt_i32_f64_e32 v1, v[1:2]
	s_branch .LBB23_512
.LBB23_510:
	s_mov_b64 s[0:1], -1
                                        ; implicit-def: $vgpr1
	s_branch .LBB23_515
.LBB23_511:
	s_mov_b64 s[0:1], -1
                                        ; implicit-def: $vgpr1
.LBB23_512:
	s_andn2_b64 vcc, exec, s[0:1]
	s_cbranch_vccnz .LBB23_514
; %bb.513:
	global_load_dword v1, v[4:5], off
	s_waitcnt vmcnt(0)
	v_cvt_i32_f32_e32 v1, v1
.LBB23_514:
	s_mov_b64 s[0:1], 0
.LBB23_515:
	s_andn2_b64 vcc, exec, s[0:1]
	s_cbranch_vccnz .LBB23_517
; %bb.516:
	global_load_ushort v1, v[4:5], off
	s_waitcnt vmcnt(0)
	v_cvt_i16_f16_e32 v1, v1
.LBB23_517:
	s_mov_b64 s[0:1], 0
.LBB23_518:
	s_andn2_b64 vcc, exec, s[0:1]
	s_cbranch_vccnz .LBB23_538
; %bb.519:
	s_cmp_lt_i32 s14, 2
	s_cbranch_scc1 .LBB23_523
; %bb.520:
	s_cmp_lt_i32 s14, 3
	s_cbranch_scc1 .LBB23_524
; %bb.521:
	s_cmp_gt_i32 s14, 3
	s_cbranch_scc0 .LBB23_525
; %bb.522:
	global_load_dwordx2 v[1:2], v[4:5], off
	s_mov_b64 s[0:1], 0
	s_branch .LBB23_526
.LBB23_523:
	s_mov_b64 s[0:1], -1
                                        ; implicit-def: $vgpr1
	s_branch .LBB23_532
.LBB23_524:
	s_mov_b64 s[0:1], -1
                                        ; implicit-def: $vgpr1
	s_branch .LBB23_529
.LBB23_525:
	s_mov_b64 s[0:1], -1
                                        ; implicit-def: $vgpr1
.LBB23_526:
	s_andn2_b64 vcc, exec, s[0:1]
	s_cbranch_vccnz .LBB23_528
; %bb.527:
	global_load_dword v1, v[4:5], off
.LBB23_528:
	s_mov_b64 s[0:1], 0
.LBB23_529:
	s_andn2_b64 vcc, exec, s[0:1]
	s_cbranch_vccnz .LBB23_531
; %bb.530:
	global_load_ushort v1, v[4:5], off
.LBB23_531:
	s_mov_b64 s[0:1], 0
.LBB23_532:
	s_andn2_b64 vcc, exec, s[0:1]
	s_cbranch_vccnz .LBB23_538
; %bb.533:
	s_cmp_gt_i32 s14, 0
	s_cbranch_scc0 .LBB23_535
; %bb.534:
	global_load_ubyte v1, v[4:5], off
	s_mov_b64 s[0:1], 0
	s_branch .LBB23_536
.LBB23_535:
	s_mov_b64 s[0:1], -1
                                        ; implicit-def: $vgpr1
.LBB23_536:
	s_andn2_b64 vcc, exec, s[0:1]
	s_cbranch_vccnz .LBB23_538
; %bb.537:
	global_load_ubyte v1, v[4:5], off
.LBB23_538:
	s_branch .LBB23_411
.LBB23_539:
	s_mov_b64 s[56:57], 0
	s_mov_b64 s[0:1], s[40:41]
	;; [unrolled: 1-line block ×3, first 2 shown]
.LBB23_540:
                                        ; implicit-def: $vgpr10
	s_branch .LBB23_778
.LBB23_541:
	s_andn2_saveexec_b64 s[54:55], s[54:55]
	s_cbranch_execz .LBB23_200
.LBB23_542:
	v_add_f32_e32 v2, 0x42800000, v3
	v_and_b32_e32 v2, 0xff, v2
	v_cmp_ne_u32_e32 vcc, 0, v2
	s_andn2_b64 s[52:53], s[52:53], exec
	s_and_b64 s[58:59], vcc, exec
	s_or_b64 s[52:53], s[52:53], s[58:59]
	s_or_b64 exec, exec, s[54:55]
	v_mov_b32_e32 v4, 0
	s_and_saveexec_b64 s[54:55], s[52:53]
	s_cbranch_execnz .LBB23_201
	s_branch .LBB23_202
.LBB23_543:
	s_mov_b64 s[50:51], -1
                                        ; implicit-def: $vgpr4
	s_mov_b64 s[0:1], 0
.LBB23_544:
	s_and_b64 vcc, exec, s[52:53]
	s_cbranch_vccz .LBB23_548
; %bb.545:
	s_cmp_eq_u32 s56, 44
	s_cbranch_scc0 .LBB23_547
; %bb.546:
	global_load_ubyte v4, v[2:3], off
	s_mov_b64 s[0:1], -1
	s_mov_b64 s[50:51], 0
	s_waitcnt vmcnt(0)
	v_lshlrev_b32_e32 v5, 23, v4
	v_cvt_i32_f32_e32 v5, v5
	v_cmp_ne_u32_e32 vcc, 0, v4
	v_cndmask_b32_e32 v4, 0, v5, vcc
	s_branch .LBB23_548
.LBB23_547:
	s_mov_b64 s[50:51], -1
                                        ; implicit-def: $vgpr4
.LBB23_548:
	s_mov_b64 s[52:53], 0
.LBB23_549:
	s_and_b64 vcc, exec, s[52:53]
	s_cbranch_vccz .LBB23_553
; %bb.550:
	s_cmp_eq_u32 s56, 29
	s_cbranch_scc0 .LBB23_552
; %bb.551:
	global_load_dwordx2 v[4:5], v[2:3], off
	s_mov_b64 s[0:1], -1
	s_mov_b64 s[50:51], 0
	s_branch .LBB23_553
.LBB23_552:
	s_mov_b64 s[50:51], -1
                                        ; implicit-def: $vgpr4
.LBB23_553:
	s_mov_b64 s[52:53], 0
.LBB23_554:
	s_and_b64 vcc, exec, s[52:53]
	s_cbranch_vccz .LBB23_570
; %bb.555:
	s_cmp_lt_i32 s56, 27
	s_cbranch_scc1 .LBB23_558
; %bb.556:
	s_cmp_gt_i32 s56, 27
	s_cbranch_scc0 .LBB23_559
; %bb.557:
	global_load_dword v4, v[2:3], off
	s_mov_b64 s[0:1], 0
	s_branch .LBB23_560
.LBB23_558:
	s_mov_b64 s[0:1], -1
                                        ; implicit-def: $vgpr4
	s_branch .LBB23_563
.LBB23_559:
	s_mov_b64 s[0:1], -1
                                        ; implicit-def: $vgpr4
.LBB23_560:
	s_andn2_b64 vcc, exec, s[0:1]
	s_cbranch_vccnz .LBB23_562
; %bb.561:
	global_load_ushort v4, v[2:3], off
.LBB23_562:
	s_mov_b64 s[0:1], 0
.LBB23_563:
	s_andn2_b64 vcc, exec, s[0:1]
	s_cbranch_vccnz .LBB23_569
; %bb.564:
	global_load_ubyte v5, v[2:3], off
	s_movk_i32 s0, 0x7f
	s_mov_b64 s[52:53], 0
	s_waitcnt vmcnt(0)
	v_cmp_lt_i16_e32 vcc, s0, v5
	s_and_saveexec_b64 s[0:1], vcc
	s_xor_b64 s[0:1], exec, s[0:1]
	s_cbranch_execz .LBB23_581
; %bb.565:
	s_movk_i32 s52, 0x80
	v_cmp_ne_u16_e32 vcc, s52, v5
	s_and_b64 s[52:53], vcc, exec
	s_andn2_saveexec_b64 s[0:1], s[0:1]
	s_cbranch_execnz .LBB23_582
.LBB23_566:
	s_or_b64 exec, exec, s[0:1]
	v_mov_b32_e32 v4, 0
	s_and_saveexec_b64 s[0:1], s[52:53]
	s_cbranch_execz .LBB23_568
.LBB23_567:
	v_lshlrev_b32_e32 v4, 24, v5
	v_and_b32_e32 v5, 0xffff, v5
	v_and_b32_e32 v6, 7, v5
	v_ffbh_u32_e32 v8, v6
	v_min_u32_e32 v8, 32, v8
	v_subrev_u32_e32 v9, 28, v8
	v_bfe_u32 v7, v5, 3, 4
	v_lshlrev_b32_e32 v5, v9, v5
	v_sub_u32_e32 v8, 29, v8
	v_and_b32_e32 v5, 7, v5
	v_cmp_eq_u32_e32 vcc, 0, v7
	v_cndmask_b32_e32 v7, v7, v8, vcc
	v_cndmask_b32_e32 v5, v6, v5, vcc
	v_mov_b32_e32 v6, 0x3b800000
	v_lshlrev_b32_e32 v5, 20, v5
	v_and_b32_e32 v4, 0x80000000, v4
	v_lshl_add_u32 v6, v7, 23, v6
	v_or3_b32 v4, v4, v6, v5
	v_cvt_i32_f32_e32 v4, v4
.LBB23_568:
	s_or_b64 exec, exec, s[0:1]
.LBB23_569:
	s_mov_b64 s[0:1], -1
.LBB23_570:
	s_mov_b64 s[52:53], 0
.LBB23_571:
	s_and_b64 vcc, exec, s[52:53]
	s_cbranch_vccz .LBB23_604
; %bb.572:
	s_cmp_gt_i32 s56, 22
	s_cbranch_scc0 .LBB23_580
; %bb.573:
	s_cmp_lt_i32 s56, 24
	s_cbranch_scc1 .LBB23_583
; %bb.574:
	s_cmp_gt_i32 s56, 24
	s_cbranch_scc0 .LBB23_584
; %bb.575:
	global_load_ubyte v5, v[2:3], off
	s_movk_i32 s0, 0x7f
	s_mov_b64 s[52:53], 0
	s_waitcnt vmcnt(0)
	v_cmp_lt_i16_e32 vcc, s0, v5
	s_and_saveexec_b64 s[0:1], vcc
	s_xor_b64 s[0:1], exec, s[0:1]
	s_cbranch_execz .LBB23_596
; %bb.576:
	s_movk_i32 s52, 0x80
	v_cmp_ne_u16_e32 vcc, s52, v5
	s_and_b64 s[52:53], vcc, exec
	s_andn2_saveexec_b64 s[0:1], s[0:1]
	s_cbranch_execnz .LBB23_597
.LBB23_577:
	s_or_b64 exec, exec, s[0:1]
	v_mov_b32_e32 v4, 0
	s_and_saveexec_b64 s[0:1], s[52:53]
	s_cbranch_execz .LBB23_579
.LBB23_578:
	v_lshlrev_b32_e32 v4, 24, v5
	v_and_b32_e32 v5, 0xffff, v5
	v_and_b32_e32 v6, 3, v5
	v_ffbh_u32_e32 v8, v6
	v_min_u32_e32 v8, 32, v8
	v_subrev_u32_e32 v9, 29, v8
	v_bfe_u32 v7, v5, 2, 5
	v_lshlrev_b32_e32 v5, v9, v5
	v_sub_u32_e32 v8, 30, v8
	v_and_b32_e32 v5, 3, v5
	v_cmp_eq_u32_e32 vcc, 0, v7
	v_cndmask_b32_e32 v7, v7, v8, vcc
	v_cndmask_b32_e32 v5, v6, v5, vcc
	v_mov_b32_e32 v6, 0x37800000
	v_lshlrev_b32_e32 v5, 21, v5
	v_and_b32_e32 v4, 0x80000000, v4
	v_lshl_add_u32 v6, v7, 23, v6
	v_or3_b32 v4, v4, v6, v5
	v_cvt_i32_f32_e32 v4, v4
.LBB23_579:
	s_or_b64 exec, exec, s[0:1]
	s_mov_b64 s[0:1], 0
	s_branch .LBB23_585
.LBB23_580:
	s_mov_b64 s[52:53], -1
                                        ; implicit-def: $vgpr4
	s_branch .LBB23_591
.LBB23_581:
	s_andn2_saveexec_b64 s[0:1], s[0:1]
	s_cbranch_execz .LBB23_566
.LBB23_582:
	v_cmp_ne_u16_e32 vcc, 0, v5
	s_andn2_b64 s[52:53], s[52:53], exec
	s_and_b64 s[58:59], vcc, exec
	s_or_b64 s[52:53], s[52:53], s[58:59]
	s_or_b64 exec, exec, s[0:1]
	v_mov_b32_e32 v4, 0
	s_and_saveexec_b64 s[0:1], s[52:53]
	s_cbranch_execnz .LBB23_567
	s_branch .LBB23_568
.LBB23_583:
	s_mov_b64 s[0:1], -1
                                        ; implicit-def: $vgpr4
	s_branch .LBB23_588
.LBB23_584:
	s_mov_b64 s[0:1], -1
                                        ; implicit-def: $vgpr4
.LBB23_585:
	s_and_b64 vcc, exec, s[0:1]
	s_cbranch_vccz .LBB23_587
; %bb.586:
	global_load_ubyte v4, v[2:3], off
	s_mov_b32 s0, 0x7f800000
	s_waitcnt vmcnt(0)
	v_lshlrev_b32_e32 v4, 24, v4
	v_and_b32_e32 v5, 0x7f000000, v4
	v_ffbh_u32_e32 v6, v5
	v_min_u32_e32 v6, 32, v6
	v_sub_u32_e64 v6, v6, 4 clamp
	v_lshlrev_b32_e32 v8, v6, v5
	v_lshlrev_b32_e32 v6, 23, v6
	v_lshrrev_b32_e32 v8, 4, v8
	v_add_u32_e32 v7, 0x1000000, v5
	v_sub_u32_e32 v6, v8, v6
	v_ashrrev_i32_e32 v7, 8, v7
	v_add_u32_e32 v6, 0x3c000000, v6
	v_and_or_b32 v6, v7, s0, v6
	v_cmp_ne_u32_e32 vcc, 0, v5
	v_cndmask_b32_e32 v5, 0, v6, vcc
	s_brev_b32 s0, 1
	v_and_or_b32 v4, v4, s0, v5
	v_cvt_i32_f32_e32 v4, v4
.LBB23_587:
	s_mov_b64 s[0:1], 0
.LBB23_588:
	s_andn2_b64 vcc, exec, s[0:1]
	s_cbranch_vccnz .LBB23_590
; %bb.589:
	global_load_ubyte v4, v[2:3], off
	s_movk_i32 s0, 0x7f00
	s_brev_b32 s1, 16
	s_waitcnt vmcnt(0)
	v_lshlrev_b16_e32 v5, 8, v4
	v_lshlrev_b32_e32 v4, 25, v4
	v_lshrrev_b32_e32 v6, 4, v4
	v_and_or_b32 v7, v5, s0, 0.5
	v_or_b32_e32 v6, 0x70000000, v6
	v_add_f32_e32 v7, -0.5, v7
	v_mul_f32_e32 v6, 0x7800000, v6
	v_cmp_gt_u32_e32 vcc, s1, v4
	v_bfe_i32 v5, v5, 0, 16
	v_cndmask_b32_e32 v4, v6, v7, vcc
	s_brev_b32 s0, 1
	v_and_or_b32 v4, v5, s0, v4
	v_cvt_i32_f32_e32 v4, v4
.LBB23_590:
	s_mov_b64 s[52:53], 0
	s_mov_b64 s[0:1], -1
.LBB23_591:
	s_andn2_b64 vcc, exec, s[52:53]
	s_cbranch_vccnz .LBB23_604
; %bb.592:
	s_cmp_gt_i32 s56, 14
	s_cbranch_scc0 .LBB23_595
; %bb.593:
	s_cmp_eq_u32 s56, 15
	s_cbranch_scc0 .LBB23_598
; %bb.594:
	global_load_ushort v4, v[2:3], off
	s_mov_b64 s[0:1], -1
	s_mov_b64 s[50:51], 0
	s_waitcnt vmcnt(0)
	v_lshlrev_b32_e32 v4, 16, v4
	v_cvt_i32_f32_e32 v4, v4
	s_branch .LBB23_599
.LBB23_595:
	s_mov_b64 s[52:53], -1
                                        ; implicit-def: $vgpr4
	s_branch .LBB23_600
.LBB23_596:
	s_andn2_saveexec_b64 s[0:1], s[0:1]
	s_cbranch_execz .LBB23_577
.LBB23_597:
	v_cmp_ne_u16_e32 vcc, 0, v5
	s_andn2_b64 s[52:53], s[52:53], exec
	s_and_b64 s[58:59], vcc, exec
	s_or_b64 s[52:53], s[52:53], s[58:59]
	s_or_b64 exec, exec, s[0:1]
	v_mov_b32_e32 v4, 0
	s_and_saveexec_b64 s[0:1], s[52:53]
	s_cbranch_execnz .LBB23_578
	s_branch .LBB23_579
.LBB23_598:
	s_mov_b64 s[50:51], -1
                                        ; implicit-def: $vgpr4
.LBB23_599:
	s_mov_b64 s[52:53], 0
.LBB23_600:
	s_and_b64 vcc, exec, s[52:53]
	s_cbranch_vccz .LBB23_604
; %bb.601:
	s_cmp_eq_u32 s56, 11
	s_cbranch_scc0 .LBB23_603
; %bb.602:
	global_load_ubyte v4, v[2:3], off
	s_mov_b64 s[0:1], -1
	s_mov_b64 s[50:51], 0
	s_waitcnt vmcnt(0)
	v_cmp_ne_u16_e32 vcc, 0, v4
	v_cndmask_b32_e64 v4, 0, 1, vcc
	s_branch .LBB23_604
.LBB23_603:
	s_mov_b64 s[50:51], -1
                                        ; implicit-def: $vgpr4
.LBB23_604:
	s_mov_b64 s[52:53], 0
.LBB23_605:
	s_and_b64 vcc, exec, s[52:53]
	s_cbranch_vccz .LBB23_654
; %bb.606:
	s_and_b32 s14, 0xffff, s14
	s_cmp_lt_i32 s14, 5
	s_cbranch_scc1 .LBB23_611
; %bb.607:
	s_cmp_lt_i32 s14, 8
	s_cbranch_scc1 .LBB23_612
; %bb.608:
	;; [unrolled: 3-line block ×3, first 2 shown]
	s_cmp_gt_i32 s14, 9
	s_cbranch_scc0 .LBB23_614
; %bb.610:
	global_load_dwordx2 v[4:5], v[2:3], off
	s_mov_b64 s[0:1], 0
	s_waitcnt vmcnt(0)
	v_cvt_i32_f64_e32 v4, v[4:5]
	s_branch .LBB23_615
.LBB23_611:
	s_mov_b64 s[0:1], -1
                                        ; implicit-def: $vgpr4
	s_branch .LBB23_633
.LBB23_612:
	s_mov_b64 s[0:1], -1
                                        ; implicit-def: $vgpr4
	s_branch .LBB23_621
.LBB23_613:
	s_mov_b64 s[0:1], -1
                                        ; implicit-def: $vgpr4
	s_branch .LBB23_618
.LBB23_614:
	s_mov_b64 s[0:1], -1
                                        ; implicit-def: $vgpr4
.LBB23_615:
	s_andn2_b64 vcc, exec, s[0:1]
	s_cbranch_vccnz .LBB23_617
; %bb.616:
	global_load_dword v4, v[2:3], off
	s_waitcnt vmcnt(0)
	v_cvt_i32_f32_e32 v4, v4
.LBB23_617:
	s_mov_b64 s[0:1], 0
.LBB23_618:
	s_andn2_b64 vcc, exec, s[0:1]
	s_cbranch_vccnz .LBB23_620
; %bb.619:
	global_load_dword v4, v[2:3], off
	s_waitcnt vmcnt(0)
	v_cvt_i16_f16_e32 v4, v4
.LBB23_620:
	s_mov_b64 s[0:1], 0
.LBB23_621:
	s_andn2_b64 vcc, exec, s[0:1]
	s_cbranch_vccnz .LBB23_632
; %bb.622:
	s_cmp_lt_i32 s14, 6
	s_cbranch_scc1 .LBB23_625
; %bb.623:
	s_cmp_gt_i32 s14, 6
	s_cbranch_scc0 .LBB23_626
; %bb.624:
	global_load_dwordx2 v[4:5], v[2:3], off
	s_mov_b64 s[0:1], 0
	s_waitcnt vmcnt(0)
	v_cvt_i32_f64_e32 v4, v[4:5]
	s_branch .LBB23_627
.LBB23_625:
	s_mov_b64 s[0:1], -1
                                        ; implicit-def: $vgpr4
	s_branch .LBB23_630
.LBB23_626:
	s_mov_b64 s[0:1], -1
                                        ; implicit-def: $vgpr4
.LBB23_627:
	s_andn2_b64 vcc, exec, s[0:1]
	s_cbranch_vccnz .LBB23_629
; %bb.628:
	global_load_dword v4, v[2:3], off
	s_waitcnt vmcnt(0)
	v_cvt_i32_f32_e32 v4, v4
.LBB23_629:
	s_mov_b64 s[0:1], 0
.LBB23_630:
	s_andn2_b64 vcc, exec, s[0:1]
	s_cbranch_vccnz .LBB23_632
; %bb.631:
	global_load_ushort v4, v[2:3], off
	s_waitcnt vmcnt(0)
	v_cvt_i16_f16_e32 v4, v4
.LBB23_632:
	s_mov_b64 s[0:1], 0
.LBB23_633:
	s_andn2_b64 vcc, exec, s[0:1]
	s_cbranch_vccnz .LBB23_653
; %bb.634:
	s_cmp_lt_i32 s14, 2
	s_cbranch_scc1 .LBB23_638
; %bb.635:
	s_cmp_lt_i32 s14, 3
	s_cbranch_scc1 .LBB23_639
; %bb.636:
	s_cmp_gt_i32 s14, 3
	s_cbranch_scc0 .LBB23_640
; %bb.637:
	global_load_dwordx2 v[4:5], v[2:3], off
	s_mov_b64 s[0:1], 0
	s_branch .LBB23_641
.LBB23_638:
	s_mov_b64 s[0:1], -1
                                        ; implicit-def: $vgpr4
	s_branch .LBB23_647
.LBB23_639:
	s_mov_b64 s[0:1], -1
                                        ; implicit-def: $vgpr4
	s_branch .LBB23_644
.LBB23_640:
	s_mov_b64 s[0:1], -1
                                        ; implicit-def: $vgpr4
.LBB23_641:
	s_andn2_b64 vcc, exec, s[0:1]
	s_cbranch_vccnz .LBB23_643
; %bb.642:
	global_load_dword v4, v[2:3], off
.LBB23_643:
	s_mov_b64 s[0:1], 0
.LBB23_644:
	s_andn2_b64 vcc, exec, s[0:1]
	s_cbranch_vccnz .LBB23_646
; %bb.645:
	global_load_ushort v4, v[2:3], off
.LBB23_646:
	s_mov_b64 s[0:1], 0
.LBB23_647:
	s_andn2_b64 vcc, exec, s[0:1]
	s_cbranch_vccnz .LBB23_653
; %bb.648:
	s_cmp_gt_i32 s14, 0
	s_cbranch_scc0 .LBB23_650
; %bb.649:
	global_load_ubyte v4, v[2:3], off
	s_mov_b64 s[0:1], 0
	s_branch .LBB23_651
.LBB23_650:
	s_mov_b64 s[0:1], -1
                                        ; implicit-def: $vgpr4
.LBB23_651:
	s_andn2_b64 vcc, exec, s[0:1]
	s_cbranch_vccnz .LBB23_653
; %bb.652:
	global_load_ubyte v4, v[2:3], off
.LBB23_653:
	s_mov_b64 s[0:1], -1
.LBB23_654:
	s_andn2_b64 vcc, exec, s[0:1]
	s_cbranch_vccnz .LBB23_662
; %bb.655:
	s_waitcnt vmcnt(0)
	v_cmp_ne_u16_sdwa s[0:1], v1, v4 src0_sel:BYTE_0 src1_sel:BYTE_0
	s_xor_b64 s[52:53], s[28:29], s[0:1]
	v_mov_b32_e32 v1, s9
	s_and_b32 s14, s15, 0xff
	v_add_co_u32_e32 v0, vcc, s8, v0
	s_cmp_lt_i32 s14, 11
	v_addc_co_u32_e32 v1, vcc, 0, v1, vcc
	s_cbranch_scc1 .LBB23_663
; %bb.656:
	s_and_b32 s62, 0xffff, s14
	s_cmp_gt_i32 s62, 25
	s_cbranch_scc0 .LBB23_664
; %bb.657:
	s_cmp_gt_i32 s62, 28
	s_cbranch_scc0 .LBB23_665
; %bb.658:
	;; [unrolled: 3-line block ×4, first 2 shown]
	s_mov_b64 s[58:59], 0
	s_mov_b64 s[0:1], -1
	s_cmp_eq_u32 s62, 46
	s_mov_b64 s[56:57], 0
	s_cbranch_scc0 .LBB23_668
; %bb.661:
	v_cndmask_b32_e64 v2, 0, 1.0, s[52:53]
	v_bfe_u32 v3, v2, 16, 1
	s_movk_i32 s0, 0x7fff
	v_add3_u32 v2, v2, v3, s0
	v_lshrrev_b32_e32 v2, 16, v2
	global_store_dword v[0:1], v2, off
	s_mov_b64 s[56:57], -1
	s_mov_b64 s[0:1], 0
	s_branch .LBB23_668
.LBB23_662:
	s_mov_b64 s[56:57], 0
                                        ; implicit-def: $vgpr10
	s_mov_b64 s[0:1], s[40:41]
	s_branch .LBB23_778
.LBB23_663:
	s_mov_b64 s[58:59], -1
	s_mov_b64 s[56:57], 0
	s_mov_b64 s[0:1], s[40:41]
	s_branch .LBB23_737
.LBB23_664:
	s_mov_b64 s[58:59], -1
	s_mov_b64 s[56:57], 0
	s_mov_b64 s[0:1], s[40:41]
	s_branch .LBB23_695
.LBB23_665:
	s_mov_b64 s[58:59], -1
	s_mov_b64 s[56:57], 0
	s_mov_b64 s[0:1], s[40:41]
	s_branch .LBB23_678
.LBB23_666:
	s_mov_b64 s[58:59], -1
	s_mov_b64 s[56:57], 0
	s_mov_b64 s[0:1], s[40:41]
	s_branch .LBB23_674
.LBB23_667:
	s_mov_b64 s[58:59], -1
	s_mov_b64 s[56:57], 0
	s_mov_b64 s[0:1], s[40:41]
.LBB23_668:
	s_and_b64 vcc, exec, s[58:59]
	s_cbranch_vccz .LBB23_673
; %bb.669:
	s_cmp_eq_u32 s62, 44
	s_mov_b64 s[0:1], -1
	s_cbranch_scc0 .LBB23_673
; %bb.670:
	v_cndmask_b32_e64 v3, 0, 1.0, s[52:53]
	v_lshrrev_b32_e32 v2, 23, v3
	s_movk_i32 s0, 0xff
	v_cmp_ne_u32_e32 vcc, s0, v2
	v_mov_b32_e32 v4, 0xff
	s_and_saveexec_b64 s[56:57], vcc
; %bb.671:
	s_mov_b32 s0, 0x3fffff
	v_and_b32_e32 v4, 0x400000, v3
	v_and_or_b32 v3, v3, s0, v2
	v_cmp_ne_u32_e32 vcc, 0, v4
	v_cmp_ne_u32_e64 s[0:1], 0, v3
	s_and_b64 s[0:1], vcc, s[0:1]
	v_cndmask_b32_e64 v3, 0, 1, s[0:1]
	v_add_u32_e32 v4, v2, v3
; %bb.672:
	s_or_b64 exec, exec, s[56:57]
	s_mov_b64 s[56:57], -1
	s_mov_b64 s[0:1], 0
	global_store_byte v[0:1], v4, off
.LBB23_673:
	s_mov_b64 s[58:59], 0
.LBB23_674:
	s_and_b64 vcc, exec, s[58:59]
	s_cbranch_vccz .LBB23_677
; %bb.675:
	s_cmp_eq_u32 s62, 29
	s_mov_b64 s[0:1], -1
	s_cbranch_scc0 .LBB23_677
; %bb.676:
	s_mov_b32 s0, 0
	v_cndmask_b32_e64 v2, 0, 1, s[52:53]
	v_mov_b32_e32 v3, s0
	global_store_dwordx2 v[0:1], v[2:3], off
	s_mov_b64 s[56:57], -1
	s_mov_b64 s[0:1], 0
.LBB23_677:
	s_mov_b64 s[58:59], 0
.LBB23_678:
	s_and_b64 vcc, exec, s[58:59]
	s_cbranch_vccz .LBB23_694
; %bb.679:
	s_cmp_lt_i32 s62, 27
	s_mov_b64 s[56:57], -1
	s_cbranch_scc1 .LBB23_685
; %bb.680:
	s_cmp_gt_i32 s62, 27
	s_cbranch_scc0 .LBB23_682
; %bb.681:
	v_cndmask_b32_e64 v2, 0, 1, s[52:53]
	s_mov_b64 s[56:57], 0
	global_store_dword v[0:1], v2, off
.LBB23_682:
	s_andn2_b64 vcc, exec, s[56:57]
	s_cbranch_vccnz .LBB23_684
; %bb.683:
	v_cndmask_b32_e64 v2, 0, 1, s[52:53]
	global_store_short v[0:1], v2, off
.LBB23_684:
	s_mov_b64 s[56:57], 0
.LBB23_685:
	s_andn2_b64 vcc, exec, s[56:57]
	s_cbranch_vccnz .LBB23_693
; %bb.686:
	v_cndmask_b32_e64 v3, 0, 1.0, s[52:53]
	s_mov_b32 s56, 0x43800000
	v_cmp_gt_u32_e32 vcc, s56, v3
	v_mov_b32_e32 v4, 0x80
	s_and_saveexec_b64 s[56:57], vcc
	s_cbranch_execz .LBB23_692
; %bb.687:
	s_mov_b32 s58, 0x3bffffff
	v_cmp_lt_u32_e32 vcc, s58, v3
	s_mov_b64 s[58:59], 0
                                        ; implicit-def: $vgpr2
	s_and_saveexec_b64 s[60:61], vcc
	s_xor_b64 s[60:61], exec, s[60:61]
	s_cbranch_execz .LBB23_806
; %bb.688:
	v_bfe_u32 v2, v3, 20, 1
	s_mov_b32 s63, 0x487ffff
	v_add3_u32 v2, v3, v2, s63
	s_mov_b64 s[58:59], exec
	v_lshrrev_b32_e32 v2, 20, v2
                                        ; implicit-def: $vgpr3
	s_andn2_saveexec_b64 s[60:61], s[60:61]
	s_cbranch_execnz .LBB23_807
.LBB23_689:
	s_or_b64 exec, exec, s[60:61]
	v_mov_b32_e32 v4, 0
	s_and_saveexec_b64 s[60:61], s[58:59]
.LBB23_690:
	v_mov_b32_e32 v4, v2
.LBB23_691:
	s_or_b64 exec, exec, s[60:61]
.LBB23_692:
	s_or_b64 exec, exec, s[56:57]
	global_store_byte v[0:1], v4, off
.LBB23_693:
	s_mov_b64 s[56:57], -1
.LBB23_694:
	s_mov_b64 s[58:59], 0
.LBB23_695:
	s_and_b64 vcc, exec, s[58:59]
	s_cbranch_vccz .LBB23_736
; %bb.696:
	s_cmp_gt_i32 s62, 22
	s_mov_b64 s[58:59], -1
	s_cbranch_scc0 .LBB23_728
; %bb.697:
	s_cmp_lt_i32 s62, 24
	s_mov_b64 s[56:57], -1
	s_cbranch_scc1 .LBB23_717
; %bb.698:
	s_cmp_gt_i32 s62, 24
	s_cbranch_scc0 .LBB23_706
; %bb.699:
	v_cndmask_b32_e64 v3, 0, 1.0, s[52:53]
	s_mov_b32 s56, 0x47800000
	v_cmp_gt_u32_e32 vcc, s56, v3
	v_mov_b32_e32 v4, 0x80
	s_and_saveexec_b64 s[56:57], vcc
	s_cbranch_execz .LBB23_705
; %bb.700:
	s_mov_b32 s58, 0x37ffffff
	v_cmp_lt_u32_e32 vcc, s58, v3
	s_mov_b64 s[58:59], 0
                                        ; implicit-def: $vgpr2
	s_and_saveexec_b64 s[60:61], vcc
	s_xor_b64 s[60:61], exec, s[60:61]
	s_cbranch_execz .LBB23_934
; %bb.701:
	v_bfe_u32 v2, v3, 21, 1
	s_mov_b32 s63, 0x88fffff
	v_add3_u32 v2, v3, v2, s63
	s_mov_b64 s[58:59], exec
	v_lshrrev_b32_e32 v2, 21, v2
                                        ; implicit-def: $vgpr3
	s_andn2_saveexec_b64 s[60:61], s[60:61]
	s_cbranch_execnz .LBB23_935
.LBB23_702:
	s_or_b64 exec, exec, s[60:61]
	v_mov_b32_e32 v4, 0
	s_and_saveexec_b64 s[60:61], s[58:59]
.LBB23_703:
	v_mov_b32_e32 v4, v2
.LBB23_704:
	s_or_b64 exec, exec, s[60:61]
.LBB23_705:
	s_or_b64 exec, exec, s[56:57]
	s_mov_b64 s[56:57], 0
	global_store_byte v[0:1], v4, off
.LBB23_706:
	s_and_b64 vcc, exec, s[56:57]
	s_cbranch_vccz .LBB23_716
; %bb.707:
	v_cndmask_b32_e64 v2, 0, 1.0, s[52:53]
	s_mov_b32 s56, 0x43f00000
	v_cmp_gt_u32_e32 vcc, s56, v2
                                        ; implicit-def: $vgpr3
	s_and_saveexec_b64 s[56:57], vcc
	s_xor_b64 s[56:57], exec, s[56:57]
	s_cbranch_execz .LBB23_713
; %bb.708:
	s_mov_b32 s58, 0x3c7fffff
	v_cmp_lt_u32_e32 vcc, s58, v2
                                        ; implicit-def: $vgpr3
	s_and_saveexec_b64 s[58:59], vcc
	s_xor_b64 s[58:59], exec, s[58:59]
; %bb.709:
	v_bfe_u32 v3, v2, 20, 1
	s_mov_b32 s60, 0x407ffff
	v_add3_u32 v2, v2, v3, s60
	v_lshrrev_b32_e32 v3, 20, v2
	v_and_b32_e32 v2, 0xff00000, v2
	s_mov_b32 s60, 0x7f00000
	v_mov_b32_e32 v4, 0x7e
	v_cmp_ne_u32_e32 vcc, s60, v2
	v_cndmask_b32_e32 v3, v4, v3, vcc
                                        ; implicit-def: $vgpr2
; %bb.710:
	s_andn2_saveexec_b64 s[58:59], s[58:59]
; %bb.711:
	v_add_f32_e32 v3, 0x46800000, v2
; %bb.712:
	s_or_b64 exec, exec, s[58:59]
                                        ; implicit-def: $vgpr2
.LBB23_713:
	s_andn2_saveexec_b64 s[56:57], s[56:57]
; %bb.714:
	s_mov_b32 s58, 0x7f800000
	v_mov_b32_e32 v3, 0x7e
	v_mov_b32_e32 v4, 0x7f
	v_cmp_lt_u32_e32 vcc, s58, v2
	v_cndmask_b32_e32 v3, v3, v4, vcc
; %bb.715:
	s_or_b64 exec, exec, s[56:57]
	global_store_byte v[0:1], v3, off
.LBB23_716:
	s_mov_b64 s[56:57], 0
.LBB23_717:
	s_andn2_b64 vcc, exec, s[56:57]
	s_cbranch_vccnz .LBB23_727
; %bb.718:
	v_cndmask_b32_e64 v2, 0, 1.0, s[52:53]
	s_mov_b32 s56, 0x47800000
	v_cmp_gt_u32_e32 vcc, s56, v2
                                        ; implicit-def: $vgpr3
	s_and_saveexec_b64 s[56:57], vcc
	s_xor_b64 s[56:57], exec, s[56:57]
	s_cbranch_execz .LBB23_724
; %bb.719:
	s_mov_b32 s58, 0x387fffff
	v_cmp_lt_u32_e32 vcc, s58, v2
                                        ; implicit-def: $vgpr3
	s_and_saveexec_b64 s[58:59], vcc
	s_xor_b64 s[58:59], exec, s[58:59]
; %bb.720:
	v_bfe_u32 v3, v2, 21, 1
	s_mov_b32 s60, 0x80fffff
	v_add3_u32 v2, v2, v3, s60
	v_lshrrev_b32_e32 v3, 21, v2
                                        ; implicit-def: $vgpr2
; %bb.721:
	s_andn2_saveexec_b64 s[58:59], s[58:59]
; %bb.722:
	v_add_f32_e32 v3, 0x43000000, v2
; %bb.723:
	s_or_b64 exec, exec, s[58:59]
                                        ; implicit-def: $vgpr2
.LBB23_724:
	s_andn2_saveexec_b64 s[56:57], s[56:57]
; %bb.725:
	s_mov_b32 s58, 0x7f800000
	v_mov_b32_e32 v3, 0x7c
	v_mov_b32_e32 v4, 0x7f
	v_cmp_lt_u32_e32 vcc, s58, v2
	v_cndmask_b32_e32 v3, v3, v4, vcc
; %bb.726:
	s_or_b64 exec, exec, s[56:57]
	global_store_byte v[0:1], v3, off
.LBB23_727:
	s_mov_b64 s[58:59], 0
	s_mov_b64 s[56:57], -1
.LBB23_728:
	s_andn2_b64 vcc, exec, s[58:59]
	s_cbranch_vccnz .LBB23_736
; %bb.729:
	s_cmp_gt_i32 s62, 14
	s_mov_b64 s[58:59], -1
	s_cbranch_scc0 .LBB23_733
; %bb.730:
	s_cmp_eq_u32 s62, 15
	s_mov_b64 s[0:1], -1
	s_cbranch_scc0 .LBB23_732
; %bb.731:
	v_cndmask_b32_e64 v2, 0, 1.0, s[52:53]
	v_bfe_u32 v3, v2, 16, 1
	s_movk_i32 s0, 0x7fff
	v_add3_u32 v2, v2, v3, s0
	global_store_short_d16_hi v[0:1], v2, off
	s_mov_b64 s[56:57], -1
	s_mov_b64 s[0:1], 0
.LBB23_732:
	s_mov_b64 s[58:59], 0
.LBB23_733:
	s_and_b64 vcc, exec, s[58:59]
	s_cbranch_vccz .LBB23_736
; %bb.734:
	s_cmp_eq_u32 s62, 11
	s_mov_b64 s[0:1], -1
	s_cbranch_scc0 .LBB23_736
; %bb.735:
	v_cndmask_b32_e64 v2, 0, 1, s[52:53]
	s_mov_b64 s[56:57], -1
	s_mov_b64 s[0:1], 0
	global_store_byte v[0:1], v2, off
.LBB23_736:
	s_mov_b64 s[58:59], 0
.LBB23_737:
	s_and_b64 vcc, exec, s[58:59]
	s_cbranch_vccz .LBB23_776
; %bb.738:
	s_and_b32 s14, 0xffff, s14
	s_cmp_lt_i32 s14, 5
	s_mov_b64 s[56:57], -1
	s_cbranch_scc1 .LBB23_759
; %bb.739:
	s_cmp_lt_i32 s14, 8
	s_cbranch_scc1 .LBB23_749
; %bb.740:
	s_cmp_lt_i32 s14, 9
	s_cbranch_scc1 .LBB23_746
; %bb.741:
	s_cmp_gt_i32 s14, 9
	s_cbranch_scc0 .LBB23_743
; %bb.742:
	v_cndmask_b32_e64 v2, 0, 1, s[52:53]
	v_cvt_f64_u32_e32 v[2:3], v2
	v_mov_b32_e32 v4, 0
	v_mov_b32_e32 v5, v4
	s_mov_b64 s[56:57], 0
	global_store_dwordx4 v[0:1], v[2:5], off
.LBB23_743:
	s_andn2_b64 vcc, exec, s[56:57]
	s_cbranch_vccnz .LBB23_745
; %bb.744:
	v_cndmask_b32_e64 v2, 0, 1.0, s[52:53]
	v_mov_b32_e32 v3, 0
	global_store_dwordx2 v[0:1], v[2:3], off
.LBB23_745:
	s_mov_b64 s[56:57], 0
.LBB23_746:
	s_andn2_b64 vcc, exec, s[56:57]
	s_cbranch_vccnz .LBB23_748
; %bb.747:
	v_cndmask_b32_e64 v2, 0, 1.0, s[52:53]
	v_cvt_f16_f32_e32 v2, v2
	global_store_dword v[0:1], v2, off
.LBB23_748:
	s_mov_b64 s[56:57], 0
.LBB23_749:
	s_andn2_b64 vcc, exec, s[56:57]
	s_cbranch_vccnz .LBB23_758
; %bb.750:
	s_cmp_lt_i32 s14, 6
	s_mov_b64 s[56:57], -1
	s_cbranch_scc1 .LBB23_756
; %bb.751:
	s_cmp_gt_i32 s14, 6
	s_cbranch_scc0 .LBB23_753
; %bb.752:
	v_cndmask_b32_e64 v2, 0, 1, s[52:53]
	v_cvt_f64_u32_e32 v[2:3], v2
	s_mov_b64 s[56:57], 0
	global_store_dwordx2 v[0:1], v[2:3], off
.LBB23_753:
	s_andn2_b64 vcc, exec, s[56:57]
	s_cbranch_vccnz .LBB23_755
; %bb.754:
	v_cndmask_b32_e64 v2, 0, 1.0, s[52:53]
	global_store_dword v[0:1], v2, off
.LBB23_755:
	s_mov_b64 s[56:57], 0
.LBB23_756:
	s_andn2_b64 vcc, exec, s[56:57]
	s_cbranch_vccnz .LBB23_758
; %bb.757:
	v_cndmask_b32_e64 v2, 0, 1.0, s[52:53]
	v_cvt_f16_f32_e32 v2, v2
	global_store_short v[0:1], v2, off
.LBB23_758:
	s_mov_b64 s[56:57], 0
.LBB23_759:
	s_andn2_b64 vcc, exec, s[56:57]
	s_cbranch_vccnz .LBB23_775
; %bb.760:
	s_cmp_lt_i32 s14, 2
	s_mov_b64 s[56:57], -1
	s_cbranch_scc1 .LBB23_770
; %bb.761:
	s_cmp_lt_i32 s14, 3
	s_cbranch_scc1 .LBB23_767
; %bb.762:
	s_cmp_gt_i32 s14, 3
	s_cbranch_scc0 .LBB23_764
; %bb.763:
	s_mov_b32 s56, 0
	v_cndmask_b32_e64 v2, 0, 1, s[52:53]
	v_mov_b32_e32 v3, s56
	s_mov_b64 s[56:57], 0
	global_store_dwordx2 v[0:1], v[2:3], off
.LBB23_764:
	s_andn2_b64 vcc, exec, s[56:57]
	s_cbranch_vccnz .LBB23_766
; %bb.765:
	v_cndmask_b32_e64 v2, 0, 1, s[52:53]
	global_store_dword v[0:1], v2, off
.LBB23_766:
	s_mov_b64 s[56:57], 0
.LBB23_767:
	s_andn2_b64 vcc, exec, s[56:57]
	s_cbranch_vccnz .LBB23_769
; %bb.768:
	v_cndmask_b32_e64 v2, 0, 1, s[52:53]
	global_store_short v[0:1], v2, off
.LBB23_769:
	s_mov_b64 s[56:57], 0
.LBB23_770:
	s_andn2_b64 vcc, exec, s[56:57]
	s_cbranch_vccnz .LBB23_775
; %bb.771:
	s_mov_b64 s[56:57], -1
	s_cmp_gt_i32 s14, 0
	v_cndmask_b32_e64 v2, 0, 1, s[52:53]
	s_cbranch_scc0 .LBB23_773
; %bb.772:
	s_mov_b64 s[56:57], 0
	global_store_byte v[0:1], v2, off
.LBB23_773:
	s_andn2_b64 vcc, exec, s[56:57]
	s_cbranch_vccnz .LBB23_775
; %bb.774:
	global_store_byte v[0:1], v2, off
.LBB23_775:
	s_mov_b64 s[56:57], -1
.LBB23_776:
	s_andn2_b64 vcc, exec, s[56:57]
	s_cbranch_vccnz .LBB23_788
; %bb.777:
	v_add_u32_e32 v10, 0x80, v10
	s_mov_b64 s[56:57], -1
.LBB23_778:
	s_andn2_b64 s[52:53], s[40:41], exec
	s_and_b64 s[0:1], s[0:1], exec
	s_or_b64 s[52:53], s[52:53], s[0:1]
	s_andn2_b64 s[0:1], s[42:43], exec
	s_and_b64 s[50:51], s[50:51], exec
	s_or_b64 s[50:51], s[0:1], s[50:51]
	;; [unrolled: 3-line block ×3, first 2 shown]
	s_orn2_b64 s[0:1], s[56:57], exec
.LBB23_779:
	s_or_b64 exec, exec, s[54:55]
	s_mov_b64 s[56:57], 0
	s_mov_b64 s[58:59], 0
	s_mov_b64 s[60:61], 0
                                        ; implicit-def: $sgpr14
                                        ; implicit-def: $vgpr4_vgpr5
                                        ; implicit-def: $vgpr0
                                        ; implicit-def: $vgpr3
                                        ; implicit-def: $vgpr1
	s_and_saveexec_b64 s[54:55], s[0:1]
	s_cbranch_execz .LBB23_1264
; %bb.780:
	v_cmp_gt_i32_e32 vcc, s70, v10
	s_mov_b64 s[68:69], -1
	s_mov_b64 s[0:1], s[48:49]
	s_mov_b64 s[60:61], s[50:51]
	;; [unrolled: 1-line block ×3, first 2 shown]
	s_and_saveexec_b64 s[56:57], vcc
	s_cbranch_execz .LBB23_1172
; %bb.781:
	s_andn2_b64 vcc, exec, s[24:25]
	s_cbranch_vccnz .LBB23_787
; %bb.782:
	s_andn2_b64 vcc, exec, s[38:39]
	s_cbranch_vccnz .LBB23_789
; %bb.783:
	s_add_i32 s0, s75, 1
	s_and_b32 s14, s0, 30
	s_add_u32 s0, s2, 0xffffffe8
	s_addc_u32 s1, s3, -1
	v_mov_b32_e32 v3, 0
	s_waitcnt vmcnt(0)
	v_mov_b32_e32 v5, 0
	v_mov_b32_e32 v0, 0
	;; [unrolled: 1-line block ×3, first 2 shown]
.LBB23_784:                             ; =>This Inner Loop Header: Depth=1
	s_load_dwordx4 s[60:63], s[0:1], 0x1c
	s_load_dwordx2 s[58:59], s[0:1], 0x2c
	s_load_dwordx2 s[68:69], s[0:1], 0xec
	s_load_dwordx4 s[64:67], s[0:1], 0xdc
	s_add_u32 s0, s0, 24
	s_waitcnt lgkmcnt(0)
	v_mul_hi_u32 v2, s61, v1
	s_addc_u32 s1, s1, 0
	s_add_i32 s14, s14, -2
	s_cmp_eq_u32 s14, 0
	v_add_u32_e32 v2, v1, v2
	v_lshrrev_b32_e32 v2, s62, v2
	v_mul_lo_u32 v4, v2, s60
	v_mul_hi_u32 v6, s58, v2
	v_sub_u32_e32 v4, v1, v4
	v_add_u32_e32 v1, v2, v6
	v_lshrrev_b32_e32 v1, s59, v1
	v_mul_lo_u32 v8, v1, s63
	v_mul_lo_u32 v6, v4, s64
	;; [unrolled: 1-line block ×4, first 2 shown]
	v_sub_u32_e32 v2, v2, v8
	v_mul_lo_u32 v8, v2, s67
	v_mul_lo_u32 v9, v2, s68
	;; [unrolled: 1-line block ×3, first 2 shown]
	v_add3_u32 v0, v6, v0, v8
	v_add3_u32 v5, v7, v5, v9
	;; [unrolled: 1-line block ×3, first 2 shown]
	s_cbranch_scc0 .LBB23_784
; %bb.785:
	s_bitcmp1_b32 s75, 0
	s_cselect_b64 s[58:59], -1, 0
	s_and_b64 vcc, exec, s[58:59]
	s_cbranch_vccnz .LBB23_790
; %bb.786:
	s_load_dwordx2 s[58:59], s[0:1], 0x1c
	s_load_dword s14, s[0:1], 0x24
	s_load_dwordx2 s[60:61], s[0:1], 0xdc
	s_waitcnt lgkmcnt(0)
	v_mul_hi_u32 v2, s59, v1
	v_add_u32_e32 v2, v1, v2
	v_lshrrev_b32_e32 v2, s14, v2
	v_mul_lo_u32 v2, v2, s58
	s_load_dword s14, s[0:1], 0xe4
	v_sub_u32_e32 v2, v1, v2
	v_mad_u64_u32 v[0:1], s[0:1], v2, s60, v[0:1]
	v_mad_u64_u32 v[5:6], s[0:1], v2, s61, v[5:6]
	s_waitcnt lgkmcnt(0)
	v_mad_u64_u32 v[3:4], s[0:1], v2, s14, v[3:4]
	s_branch .LBB23_790
.LBB23_787:
	s_mov_b64 s[0:1], -1
                                        ; implicit-def: $vgpr0
                                        ; implicit-def: $vgpr5
                                        ; implicit-def: $vgpr3
	s_branch .LBB23_791
.LBB23_788:
	s_mov_b64 s[56:57], 0
	s_branch .LBB23_540
.LBB23_789:
	v_mov_b32_e32 v0, 0
	s_waitcnt vmcnt(0)
	v_mov_b32_e32 v5, 0
	v_mov_b32_e32 v3, 0
.LBB23_790:
	s_mov_b64 s[0:1], 0
.LBB23_791:
	s_andn2_b64 vcc, exec, s[0:1]
	s_cbranch_vccnz .LBB23_794
; %bb.792:
	v_mul_hi_u32 v0, s17, v10
	s_andn2_b64 vcc, exec, s[36:37]
	v_add_u32_e32 v0, v10, v0
	s_waitcnt vmcnt(0)
	v_lshrrev_b32_e32 v1, s18, v0
	v_mul_lo_u32 v0, v1, s16
	v_sub_u32_e32 v2, v10, v0
	v_mul_lo_u32 v0, v2, s20
	v_mul_lo_u32 v5, v2, s21
	;; [unrolled: 1-line block ×3, first 2 shown]
	s_cbranch_vccnz .LBB23_794
; %bb.793:
	v_mul_hi_u32 v2, s34, v1
	v_add_u32_e32 v2, v1, v2
	v_lshrrev_b32_e32 v2, s35, v2
	v_mul_lo_u32 v2, v2, s19
	v_sub_u32_e32 v2, v1, v2
	v_mad_u64_u32 v[0:1], s[0:1], v2, s23, v[0:1]
	v_mad_u64_u32 v[5:6], s[0:1], v2, s30, v[5:6]
	;; [unrolled: 1-line block ×3, first 2 shown]
.LBB23_794:
	s_waitcnt vmcnt(0)
	v_mov_b32_e32 v1, s11
	s_and_b32 s14, s74, 0xff
	v_add_co_u32_e32 v4, vcc, s10, v5
	s_cmp_lt_i32 s14, 11
	v_addc_co_u32_e32 v5, vcc, 0, v1, vcc
	s_cbranch_scc1 .LBB23_801
; %bb.795:
	s_and_b32 s62, 0xffff, s14
	s_cmp_gt_i32 s62, 25
	s_cbranch_scc0 .LBB23_802
; %bb.796:
	s_cmp_gt_i32 s62, 28
	s_cbranch_scc0 .LBB23_803
; %bb.797:
	;; [unrolled: 3-line block ×4, first 2 shown]
	s_cmp_eq_u32 s62, 46
	s_mov_b64 s[60:61], 0
	s_cbranch_scc0 .LBB23_808
; %bb.800:
	global_load_dword v1, v[4:5], off
	s_mov_b64 s[0:1], -1
	s_mov_b64 s[58:59], 0
	s_waitcnt vmcnt(0)
	v_lshlrev_b32_e32 v1, 16, v1
	v_cvt_i32_f32_e32 v1, v1
	s_branch .LBB23_809
.LBB23_801:
	s_mov_b64 s[60:61], -1
	s_mov_b64 s[0:1], 0
                                        ; implicit-def: $vgpr1
	s_mov_b64 s[58:59], s[48:49]
	s_branch .LBB23_870
.LBB23_802:
	s_mov_b64 s[60:61], -1
	s_mov_b64 s[0:1], 0
	s_mov_b64 s[58:59], s[48:49]
                                        ; implicit-def: $vgpr1
	s_branch .LBB23_836
.LBB23_803:
	s_mov_b64 s[60:61], -1
	s_mov_b64 s[0:1], 0
	s_mov_b64 s[58:59], s[48:49]
                                        ; implicit-def: $vgpr1
	s_branch .LBB23_819
.LBB23_804:
	s_mov_b64 s[60:61], -1
	s_mov_b64 s[0:1], 0
	s_mov_b64 s[58:59], s[48:49]
                                        ; implicit-def: $vgpr1
	s_branch .LBB23_814
.LBB23_805:
	s_mov_b64 s[60:61], -1
	s_mov_b64 s[0:1], 0
	s_mov_b64 s[58:59], s[48:49]
                                        ; implicit-def: $vgpr1
	s_branch .LBB23_809
.LBB23_806:
	s_andn2_saveexec_b64 s[60:61], s[60:61]
	s_cbranch_execz .LBB23_689
.LBB23_807:
	v_add_f32_e32 v2, 0x46000000, v3
	v_and_b32_e32 v2, 0xff, v2
	v_cmp_ne_u32_e32 vcc, 0, v2
	s_andn2_b64 s[58:59], s[58:59], exec
	s_and_b64 s[64:65], vcc, exec
	s_or_b64 s[58:59], s[58:59], s[64:65]
	s_or_b64 exec, exec, s[60:61]
	v_mov_b32_e32 v4, 0
	s_and_saveexec_b64 s[60:61], s[58:59]
	s_cbranch_execnz .LBB23_690
	s_branch .LBB23_691
.LBB23_808:
	s_mov_b64 s[58:59], -1
                                        ; implicit-def: $vgpr1
	s_mov_b64 s[0:1], 0
.LBB23_809:
	s_and_b64 vcc, exec, s[60:61]
	s_cbranch_vccz .LBB23_813
; %bb.810:
	s_cmp_eq_u32 s62, 44
	s_cbranch_scc0 .LBB23_812
; %bb.811:
	global_load_ubyte v1, v[4:5], off
	s_mov_b64 s[0:1], -1
	s_mov_b64 s[58:59], 0
	s_waitcnt vmcnt(0)
	v_lshlrev_b32_e32 v2, 23, v1
	v_cvt_i32_f32_e32 v2, v2
	v_cmp_ne_u32_e32 vcc, 0, v1
	v_cndmask_b32_e32 v1, 0, v2, vcc
	s_branch .LBB23_813
.LBB23_812:
	s_mov_b64 s[58:59], -1
                                        ; implicit-def: $vgpr1
.LBB23_813:
	s_mov_b64 s[60:61], 0
.LBB23_814:
	s_and_b64 vcc, exec, s[60:61]
	s_cbranch_vccz .LBB23_818
; %bb.815:
	s_cmp_eq_u32 s62, 29
	s_cbranch_scc0 .LBB23_817
; %bb.816:
	global_load_dwordx2 v[1:2], v[4:5], off
	s_mov_b64 s[0:1], -1
	s_mov_b64 s[58:59], 0
	s_branch .LBB23_818
.LBB23_817:
	s_mov_b64 s[58:59], -1
                                        ; implicit-def: $vgpr1
.LBB23_818:
	s_mov_b64 s[60:61], 0
.LBB23_819:
	s_and_b64 vcc, exec, s[60:61]
	s_cbranch_vccz .LBB23_835
; %bb.820:
	s_cmp_lt_i32 s62, 27
	s_cbranch_scc1 .LBB23_823
; %bb.821:
	s_cmp_gt_i32 s62, 27
	s_cbranch_scc0 .LBB23_824
; %bb.822:
	global_load_dword v1, v[4:5], off
	s_mov_b64 s[0:1], 0
	s_branch .LBB23_825
.LBB23_823:
	s_mov_b64 s[0:1], -1
                                        ; implicit-def: $vgpr1
	s_branch .LBB23_828
.LBB23_824:
	s_mov_b64 s[0:1], -1
                                        ; implicit-def: $vgpr1
.LBB23_825:
	s_andn2_b64 vcc, exec, s[0:1]
	s_cbranch_vccnz .LBB23_827
; %bb.826:
	global_load_ushort v1, v[4:5], off
.LBB23_827:
	s_mov_b64 s[0:1], 0
.LBB23_828:
	s_andn2_b64 vcc, exec, s[0:1]
	s_cbranch_vccnz .LBB23_834
; %bb.829:
	global_load_ubyte v2, v[4:5], off
	s_movk_i32 s0, 0x7f
	s_mov_b64 s[60:61], 0
	s_waitcnt vmcnt(0)
	v_cmp_lt_i16_e32 vcc, s0, v2
	s_and_saveexec_b64 s[0:1], vcc
	s_xor_b64 s[0:1], exec, s[0:1]
	s_cbranch_execz .LBB23_846
; %bb.830:
	s_movk_i32 s60, 0x80
	v_cmp_ne_u16_e32 vcc, s60, v2
	s_and_b64 s[60:61], vcc, exec
	s_andn2_saveexec_b64 s[0:1], s[0:1]
	s_cbranch_execnz .LBB23_847
.LBB23_831:
	s_or_b64 exec, exec, s[0:1]
	v_mov_b32_e32 v1, 0
	s_and_saveexec_b64 s[0:1], s[60:61]
	s_cbranch_execz .LBB23_833
.LBB23_832:
	v_lshlrev_b32_e32 v1, 24, v2
	v_and_b32_e32 v2, 0xffff, v2
	v_and_b32_e32 v6, 7, v2
	v_ffbh_u32_e32 v8, v6
	v_min_u32_e32 v8, 32, v8
	v_subrev_u32_e32 v9, 28, v8
	v_bfe_u32 v7, v2, 3, 4
	v_lshlrev_b32_e32 v2, v9, v2
	v_sub_u32_e32 v8, 29, v8
	v_and_b32_e32 v2, 7, v2
	v_cmp_eq_u32_e32 vcc, 0, v7
	v_cndmask_b32_e32 v7, v7, v8, vcc
	v_cndmask_b32_e32 v2, v6, v2, vcc
	v_mov_b32_e32 v6, 0x3b800000
	v_lshlrev_b32_e32 v2, 20, v2
	v_and_b32_e32 v1, 0x80000000, v1
	v_lshl_add_u32 v6, v7, 23, v6
	v_or3_b32 v1, v1, v6, v2
	v_cvt_i32_f32_e32 v1, v1
.LBB23_833:
	s_or_b64 exec, exec, s[0:1]
.LBB23_834:
	s_mov_b64 s[0:1], -1
.LBB23_835:
	s_mov_b64 s[60:61], 0
.LBB23_836:
	s_and_b64 vcc, exec, s[60:61]
	s_cbranch_vccz .LBB23_869
; %bb.837:
	s_cmp_gt_i32 s62, 22
	s_cbranch_scc0 .LBB23_845
; %bb.838:
	s_cmp_lt_i32 s62, 24
	s_cbranch_scc1 .LBB23_848
; %bb.839:
	s_cmp_gt_i32 s62, 24
	s_cbranch_scc0 .LBB23_849
; %bb.840:
	global_load_ubyte v2, v[4:5], off
	s_movk_i32 s0, 0x7f
	s_mov_b64 s[60:61], 0
	s_waitcnt vmcnt(0)
	v_cmp_lt_i16_e32 vcc, s0, v2
	s_and_saveexec_b64 s[0:1], vcc
	s_xor_b64 s[0:1], exec, s[0:1]
	s_cbranch_execz .LBB23_861
; %bb.841:
	s_movk_i32 s60, 0x80
	v_cmp_ne_u16_e32 vcc, s60, v2
	s_and_b64 s[60:61], vcc, exec
	s_andn2_saveexec_b64 s[0:1], s[0:1]
	s_cbranch_execnz .LBB23_862
.LBB23_842:
	s_or_b64 exec, exec, s[0:1]
	v_mov_b32_e32 v1, 0
	s_and_saveexec_b64 s[0:1], s[60:61]
	s_cbranch_execz .LBB23_844
.LBB23_843:
	v_lshlrev_b32_e32 v1, 24, v2
	v_and_b32_e32 v2, 0xffff, v2
	v_and_b32_e32 v6, 3, v2
	v_ffbh_u32_e32 v8, v6
	v_min_u32_e32 v8, 32, v8
	v_subrev_u32_e32 v9, 29, v8
	v_bfe_u32 v7, v2, 2, 5
	v_lshlrev_b32_e32 v2, v9, v2
	v_sub_u32_e32 v8, 30, v8
	v_and_b32_e32 v2, 3, v2
	v_cmp_eq_u32_e32 vcc, 0, v7
	v_cndmask_b32_e32 v7, v7, v8, vcc
	v_cndmask_b32_e32 v2, v6, v2, vcc
	v_mov_b32_e32 v6, 0x37800000
	v_lshlrev_b32_e32 v2, 21, v2
	v_and_b32_e32 v1, 0x80000000, v1
	v_lshl_add_u32 v6, v7, 23, v6
	v_or3_b32 v1, v1, v6, v2
	v_cvt_i32_f32_e32 v1, v1
.LBB23_844:
	s_or_b64 exec, exec, s[0:1]
	s_mov_b64 s[0:1], 0
	s_branch .LBB23_850
.LBB23_845:
	s_mov_b64 s[60:61], -1
                                        ; implicit-def: $vgpr1
	s_branch .LBB23_856
.LBB23_846:
	s_andn2_saveexec_b64 s[0:1], s[0:1]
	s_cbranch_execz .LBB23_831
.LBB23_847:
	v_cmp_ne_u16_e32 vcc, 0, v2
	s_andn2_b64 s[60:61], s[60:61], exec
	s_and_b64 s[64:65], vcc, exec
	s_or_b64 s[60:61], s[60:61], s[64:65]
	s_or_b64 exec, exec, s[0:1]
	v_mov_b32_e32 v1, 0
	s_and_saveexec_b64 s[0:1], s[60:61]
	s_cbranch_execnz .LBB23_832
	s_branch .LBB23_833
.LBB23_848:
	s_mov_b64 s[0:1], -1
                                        ; implicit-def: $vgpr1
	s_branch .LBB23_853
.LBB23_849:
	s_mov_b64 s[0:1], -1
                                        ; implicit-def: $vgpr1
.LBB23_850:
	s_and_b64 vcc, exec, s[0:1]
	s_cbranch_vccz .LBB23_852
; %bb.851:
	global_load_ubyte v1, v[4:5], off
	s_mov_b32 s0, 0x7f800000
	s_waitcnt vmcnt(0)
	v_lshlrev_b32_e32 v1, 24, v1
	v_and_b32_e32 v2, 0x7f000000, v1
	v_ffbh_u32_e32 v6, v2
	v_min_u32_e32 v6, 32, v6
	v_sub_u32_e64 v6, v6, 4 clamp
	v_lshlrev_b32_e32 v8, v6, v2
	v_lshlrev_b32_e32 v6, 23, v6
	v_lshrrev_b32_e32 v8, 4, v8
	v_add_u32_e32 v7, 0x1000000, v2
	v_sub_u32_e32 v6, v8, v6
	v_ashrrev_i32_e32 v7, 8, v7
	v_add_u32_e32 v6, 0x3c000000, v6
	v_and_or_b32 v6, v7, s0, v6
	v_cmp_ne_u32_e32 vcc, 0, v2
	v_cndmask_b32_e32 v2, 0, v6, vcc
	s_brev_b32 s0, 1
	v_and_or_b32 v1, v1, s0, v2
	v_cvt_i32_f32_e32 v1, v1
.LBB23_852:
	s_mov_b64 s[0:1], 0
.LBB23_853:
	s_andn2_b64 vcc, exec, s[0:1]
	s_cbranch_vccnz .LBB23_855
; %bb.854:
	global_load_ubyte v1, v[4:5], off
	s_movk_i32 s0, 0x7f00
	s_brev_b32 s1, 16
	s_waitcnt vmcnt(0)
	v_lshlrev_b16_e32 v2, 8, v1
	v_lshlrev_b32_e32 v1, 25, v1
	v_lshrrev_b32_e32 v6, 4, v1
	v_and_or_b32 v7, v2, s0, 0.5
	v_or_b32_e32 v6, 0x70000000, v6
	v_add_f32_e32 v7, -0.5, v7
	v_mul_f32_e32 v6, 0x7800000, v6
	v_cmp_gt_u32_e32 vcc, s1, v1
	v_bfe_i32 v2, v2, 0, 16
	v_cndmask_b32_e32 v1, v6, v7, vcc
	s_brev_b32 s0, 1
	v_and_or_b32 v1, v2, s0, v1
	v_cvt_i32_f32_e32 v1, v1
.LBB23_855:
	s_mov_b64 s[60:61], 0
	s_mov_b64 s[0:1], -1
.LBB23_856:
	s_andn2_b64 vcc, exec, s[60:61]
	s_cbranch_vccnz .LBB23_869
; %bb.857:
	s_cmp_gt_i32 s62, 14
	s_cbranch_scc0 .LBB23_860
; %bb.858:
	s_cmp_eq_u32 s62, 15
	s_cbranch_scc0 .LBB23_863
; %bb.859:
	global_load_ushort v1, v[4:5], off
	s_mov_b64 s[0:1], -1
	s_mov_b64 s[58:59], 0
	s_waitcnt vmcnt(0)
	v_lshlrev_b32_e32 v1, 16, v1
	v_cvt_i32_f32_e32 v1, v1
	s_branch .LBB23_864
.LBB23_860:
	s_mov_b64 s[60:61], -1
                                        ; implicit-def: $vgpr1
	s_branch .LBB23_865
.LBB23_861:
	s_andn2_saveexec_b64 s[0:1], s[0:1]
	s_cbranch_execz .LBB23_842
.LBB23_862:
	v_cmp_ne_u16_e32 vcc, 0, v2
	s_andn2_b64 s[60:61], s[60:61], exec
	s_and_b64 s[64:65], vcc, exec
	s_or_b64 s[60:61], s[60:61], s[64:65]
	s_or_b64 exec, exec, s[0:1]
	v_mov_b32_e32 v1, 0
	s_and_saveexec_b64 s[0:1], s[60:61]
	s_cbranch_execnz .LBB23_843
	s_branch .LBB23_844
.LBB23_863:
	s_mov_b64 s[58:59], -1
                                        ; implicit-def: $vgpr1
.LBB23_864:
	s_mov_b64 s[60:61], 0
.LBB23_865:
	s_and_b64 vcc, exec, s[60:61]
	s_cbranch_vccz .LBB23_869
; %bb.866:
	s_cmp_eq_u32 s62, 11
	s_cbranch_scc0 .LBB23_868
; %bb.867:
	global_load_ubyte v1, v[4:5], off
	s_mov_b64 s[0:1], -1
	s_mov_b64 s[58:59], 0
	s_waitcnt vmcnt(0)
	v_cmp_ne_u16_e32 vcc, 0, v1
	v_cndmask_b32_e64 v1, 0, 1, vcc
	s_branch .LBB23_869
.LBB23_868:
	s_mov_b64 s[58:59], -1
                                        ; implicit-def: $vgpr1
.LBB23_869:
	s_mov_b64 s[60:61], 0
.LBB23_870:
	s_and_b64 vcc, exec, s[60:61]
	s_cbranch_vccz .LBB23_919
; %bb.871:
	s_and_b32 s14, 0xffff, s14
	s_cmp_lt_i32 s14, 5
	s_cbranch_scc1 .LBB23_876
; %bb.872:
	s_cmp_lt_i32 s14, 8
	s_cbranch_scc1 .LBB23_877
; %bb.873:
	;; [unrolled: 3-line block ×3, first 2 shown]
	s_cmp_gt_i32 s14, 9
	s_cbranch_scc0 .LBB23_879
; %bb.875:
	global_load_dwordx2 v[1:2], v[4:5], off
	s_mov_b64 s[0:1], 0
	s_waitcnt vmcnt(0)
	v_cvt_i32_f64_e32 v1, v[1:2]
	s_branch .LBB23_880
.LBB23_876:
	s_mov_b64 s[0:1], -1
                                        ; implicit-def: $vgpr1
	s_branch .LBB23_898
.LBB23_877:
	s_mov_b64 s[0:1], -1
                                        ; implicit-def: $vgpr1
	s_branch .LBB23_886
.LBB23_878:
	s_mov_b64 s[0:1], -1
                                        ; implicit-def: $vgpr1
	s_branch .LBB23_883
.LBB23_879:
	s_mov_b64 s[0:1], -1
                                        ; implicit-def: $vgpr1
.LBB23_880:
	s_andn2_b64 vcc, exec, s[0:1]
	s_cbranch_vccnz .LBB23_882
; %bb.881:
	global_load_dword v1, v[4:5], off
	s_waitcnt vmcnt(0)
	v_cvt_i32_f32_e32 v1, v1
.LBB23_882:
	s_mov_b64 s[0:1], 0
.LBB23_883:
	s_andn2_b64 vcc, exec, s[0:1]
	s_cbranch_vccnz .LBB23_885
; %bb.884:
	global_load_dword v1, v[4:5], off
	s_waitcnt vmcnt(0)
	v_cvt_i16_f16_e32 v1, v1
.LBB23_885:
	s_mov_b64 s[0:1], 0
.LBB23_886:
	s_andn2_b64 vcc, exec, s[0:1]
	s_cbranch_vccnz .LBB23_897
; %bb.887:
	s_cmp_lt_i32 s14, 6
	s_cbranch_scc1 .LBB23_890
; %bb.888:
	s_cmp_gt_i32 s14, 6
	s_cbranch_scc0 .LBB23_891
; %bb.889:
	global_load_dwordx2 v[1:2], v[4:5], off
	s_mov_b64 s[0:1], 0
	s_waitcnt vmcnt(0)
	v_cvt_i32_f64_e32 v1, v[1:2]
	s_branch .LBB23_892
.LBB23_890:
	s_mov_b64 s[0:1], -1
                                        ; implicit-def: $vgpr1
	s_branch .LBB23_895
.LBB23_891:
	s_mov_b64 s[0:1], -1
                                        ; implicit-def: $vgpr1
.LBB23_892:
	s_andn2_b64 vcc, exec, s[0:1]
	s_cbranch_vccnz .LBB23_894
; %bb.893:
	global_load_dword v1, v[4:5], off
	s_waitcnt vmcnt(0)
	v_cvt_i32_f32_e32 v1, v1
.LBB23_894:
	s_mov_b64 s[0:1], 0
.LBB23_895:
	s_andn2_b64 vcc, exec, s[0:1]
	s_cbranch_vccnz .LBB23_897
; %bb.896:
	global_load_ushort v1, v[4:5], off
	s_waitcnt vmcnt(0)
	v_cvt_i16_f16_e32 v1, v1
.LBB23_897:
	s_mov_b64 s[0:1], 0
.LBB23_898:
	s_andn2_b64 vcc, exec, s[0:1]
	s_cbranch_vccnz .LBB23_918
; %bb.899:
	s_cmp_lt_i32 s14, 2
	s_cbranch_scc1 .LBB23_903
; %bb.900:
	s_cmp_lt_i32 s14, 3
	s_cbranch_scc1 .LBB23_904
; %bb.901:
	s_cmp_gt_i32 s14, 3
	s_cbranch_scc0 .LBB23_905
; %bb.902:
	global_load_dwordx2 v[1:2], v[4:5], off
	s_mov_b64 s[0:1], 0
	s_branch .LBB23_906
.LBB23_903:
	s_mov_b64 s[0:1], -1
                                        ; implicit-def: $vgpr1
	s_branch .LBB23_912
.LBB23_904:
	s_mov_b64 s[0:1], -1
                                        ; implicit-def: $vgpr1
	s_branch .LBB23_909
.LBB23_905:
	s_mov_b64 s[0:1], -1
                                        ; implicit-def: $vgpr1
.LBB23_906:
	s_andn2_b64 vcc, exec, s[0:1]
	s_cbranch_vccnz .LBB23_908
; %bb.907:
	global_load_dword v1, v[4:5], off
.LBB23_908:
	s_mov_b64 s[0:1], 0
.LBB23_909:
	s_andn2_b64 vcc, exec, s[0:1]
	s_cbranch_vccnz .LBB23_911
; %bb.910:
	global_load_ushort v1, v[4:5], off
.LBB23_911:
	s_mov_b64 s[0:1], 0
.LBB23_912:
	s_andn2_b64 vcc, exec, s[0:1]
	s_cbranch_vccnz .LBB23_918
; %bb.913:
	s_cmp_gt_i32 s14, 0
	s_cbranch_scc0 .LBB23_915
; %bb.914:
	global_load_ubyte v1, v[4:5], off
	s_mov_b64 s[0:1], 0
	s_branch .LBB23_916
.LBB23_915:
	s_mov_b64 s[0:1], -1
                                        ; implicit-def: $vgpr1
.LBB23_916:
	s_andn2_b64 vcc, exec, s[0:1]
	s_cbranch_vccnz .LBB23_918
; %bb.917:
	global_load_ubyte v1, v[4:5], off
.LBB23_918:
	s_mov_b64 s[0:1], -1
.LBB23_919:
	s_andn2_b64 vcc, exec, s[0:1]
	s_cbranch_vccnz .LBB23_927
; %bb.920:
	v_mov_b32_e32 v4, s13
	s_and_b32 s14, s73, 0xff
	s_waitcnt vmcnt(0)
	v_add_co_u32_e32 v2, vcc, s12, v3
	s_cmp_lt_i32 s14, 11
	v_addc_co_u32_e32 v3, vcc, 0, v4, vcc
	s_cbranch_scc1 .LBB23_929
; %bb.921:
	s_and_b32 s64, 0xffff, s14
	s_cmp_gt_i32 s64, 25
	s_cbranch_scc0 .LBB23_930
; %bb.922:
	s_cmp_gt_i32 s64, 28
	s_cbranch_scc0 .LBB23_931
; %bb.923:
	;; [unrolled: 3-line block ×4, first 2 shown]
	s_cmp_eq_u32 s64, 46
	s_mov_b64 s[62:63], 0
	s_cbranch_scc0 .LBB23_936
; %bb.926:
	global_load_dword v4, v[2:3], off
	s_mov_b64 s[0:1], -1
	s_mov_b64 s[60:61], 0
	s_waitcnt vmcnt(0)
	v_lshlrev_b32_e32 v4, 16, v4
	v_cvt_i32_f32_e32 v4, v4
	s_branch .LBB23_937
.LBB23_927:
	s_mov_b64 s[64:65], 0
	s_mov_b64 s[0:1], s[52:53]
	;; [unrolled: 1-line block ×3, first 2 shown]
.LBB23_928:
                                        ; implicit-def: $vgpr10
	s_branch .LBB23_1171
.LBB23_929:
	s_mov_b64 s[62:63], -1
	s_mov_b64 s[0:1], 0
                                        ; implicit-def: $vgpr4
	s_mov_b64 s[60:61], s[50:51]
	s_branch .LBB23_998
.LBB23_930:
	s_mov_b64 s[62:63], -1
	s_mov_b64 s[0:1], 0
	s_mov_b64 s[60:61], s[50:51]
                                        ; implicit-def: $vgpr4
	s_branch .LBB23_964
.LBB23_931:
	s_mov_b64 s[62:63], -1
	s_mov_b64 s[0:1], 0
	s_mov_b64 s[60:61], s[50:51]
                                        ; implicit-def: $vgpr4
	s_branch .LBB23_947
.LBB23_932:
	s_mov_b64 s[62:63], -1
	s_mov_b64 s[0:1], 0
	s_mov_b64 s[60:61], s[50:51]
                                        ; implicit-def: $vgpr4
	s_branch .LBB23_942
.LBB23_933:
	s_mov_b64 s[62:63], -1
	s_mov_b64 s[0:1], 0
	s_mov_b64 s[60:61], s[50:51]
                                        ; implicit-def: $vgpr4
	s_branch .LBB23_937
.LBB23_934:
	s_andn2_saveexec_b64 s[60:61], s[60:61]
	s_cbranch_execz .LBB23_702
.LBB23_935:
	v_add_f32_e32 v2, 0x42800000, v3
	v_and_b32_e32 v2, 0xff, v2
	v_cmp_ne_u32_e32 vcc, 0, v2
	s_andn2_b64 s[58:59], s[58:59], exec
	s_and_b64 s[64:65], vcc, exec
	s_or_b64 s[58:59], s[58:59], s[64:65]
	s_or_b64 exec, exec, s[60:61]
	v_mov_b32_e32 v4, 0
	s_and_saveexec_b64 s[60:61], s[58:59]
	s_cbranch_execnz .LBB23_703
	s_branch .LBB23_704
.LBB23_936:
	s_mov_b64 s[60:61], -1
                                        ; implicit-def: $vgpr4
	s_mov_b64 s[0:1], 0
.LBB23_937:
	s_and_b64 vcc, exec, s[62:63]
	s_cbranch_vccz .LBB23_941
; %bb.938:
	s_cmp_eq_u32 s64, 44
	s_cbranch_scc0 .LBB23_940
; %bb.939:
	global_load_ubyte v4, v[2:3], off
	s_mov_b64 s[0:1], -1
	s_mov_b64 s[60:61], 0
	s_waitcnt vmcnt(0)
	v_lshlrev_b32_e32 v5, 23, v4
	v_cvt_i32_f32_e32 v5, v5
	v_cmp_ne_u32_e32 vcc, 0, v4
	v_cndmask_b32_e32 v4, 0, v5, vcc
	s_branch .LBB23_941
.LBB23_940:
	s_mov_b64 s[60:61], -1
                                        ; implicit-def: $vgpr4
.LBB23_941:
	s_mov_b64 s[62:63], 0
.LBB23_942:
	s_and_b64 vcc, exec, s[62:63]
	s_cbranch_vccz .LBB23_946
; %bb.943:
	s_cmp_eq_u32 s64, 29
	s_cbranch_scc0 .LBB23_945
; %bb.944:
	global_load_dwordx2 v[4:5], v[2:3], off
	s_mov_b64 s[0:1], -1
	s_mov_b64 s[60:61], 0
	s_branch .LBB23_946
.LBB23_945:
	s_mov_b64 s[60:61], -1
                                        ; implicit-def: $vgpr4
.LBB23_946:
	s_mov_b64 s[62:63], 0
.LBB23_947:
	s_and_b64 vcc, exec, s[62:63]
	s_cbranch_vccz .LBB23_963
; %bb.948:
	s_cmp_lt_i32 s64, 27
	s_cbranch_scc1 .LBB23_951
; %bb.949:
	s_cmp_gt_i32 s64, 27
	s_cbranch_scc0 .LBB23_952
; %bb.950:
	global_load_dword v4, v[2:3], off
	s_mov_b64 s[0:1], 0
	s_branch .LBB23_953
.LBB23_951:
	s_mov_b64 s[0:1], -1
                                        ; implicit-def: $vgpr4
	s_branch .LBB23_956
.LBB23_952:
	s_mov_b64 s[0:1], -1
                                        ; implicit-def: $vgpr4
.LBB23_953:
	s_andn2_b64 vcc, exec, s[0:1]
	s_cbranch_vccnz .LBB23_955
; %bb.954:
	global_load_ushort v4, v[2:3], off
.LBB23_955:
	s_mov_b64 s[0:1], 0
.LBB23_956:
	s_andn2_b64 vcc, exec, s[0:1]
	s_cbranch_vccnz .LBB23_962
; %bb.957:
	global_load_ubyte v5, v[2:3], off
	s_movk_i32 s0, 0x7f
	s_mov_b64 s[62:63], 0
	s_waitcnt vmcnt(0)
	v_cmp_lt_i16_e32 vcc, s0, v5
	s_and_saveexec_b64 s[0:1], vcc
	s_xor_b64 s[0:1], exec, s[0:1]
	s_cbranch_execz .LBB23_974
; %bb.958:
	s_movk_i32 s62, 0x80
	v_cmp_ne_u16_e32 vcc, s62, v5
	s_and_b64 s[62:63], vcc, exec
	s_andn2_saveexec_b64 s[0:1], s[0:1]
	s_cbranch_execnz .LBB23_975
.LBB23_959:
	s_or_b64 exec, exec, s[0:1]
	v_mov_b32_e32 v4, 0
	s_and_saveexec_b64 s[0:1], s[62:63]
	s_cbranch_execz .LBB23_961
.LBB23_960:
	v_lshlrev_b32_e32 v4, 24, v5
	v_and_b32_e32 v5, 0xffff, v5
	v_and_b32_e32 v6, 7, v5
	v_ffbh_u32_e32 v8, v6
	v_min_u32_e32 v8, 32, v8
	v_subrev_u32_e32 v9, 28, v8
	v_bfe_u32 v7, v5, 3, 4
	v_lshlrev_b32_e32 v5, v9, v5
	v_sub_u32_e32 v8, 29, v8
	v_and_b32_e32 v5, 7, v5
	v_cmp_eq_u32_e32 vcc, 0, v7
	v_cndmask_b32_e32 v7, v7, v8, vcc
	v_cndmask_b32_e32 v5, v6, v5, vcc
	v_mov_b32_e32 v6, 0x3b800000
	v_lshlrev_b32_e32 v5, 20, v5
	v_and_b32_e32 v4, 0x80000000, v4
	v_lshl_add_u32 v6, v7, 23, v6
	v_or3_b32 v4, v4, v6, v5
	v_cvt_i32_f32_e32 v4, v4
.LBB23_961:
	s_or_b64 exec, exec, s[0:1]
.LBB23_962:
	s_mov_b64 s[0:1], -1
.LBB23_963:
	s_mov_b64 s[62:63], 0
.LBB23_964:
	s_and_b64 vcc, exec, s[62:63]
	s_cbranch_vccz .LBB23_997
; %bb.965:
	s_cmp_gt_i32 s64, 22
	s_cbranch_scc0 .LBB23_973
; %bb.966:
	s_cmp_lt_i32 s64, 24
	s_cbranch_scc1 .LBB23_976
; %bb.967:
	s_cmp_gt_i32 s64, 24
	s_cbranch_scc0 .LBB23_977
; %bb.968:
	global_load_ubyte v5, v[2:3], off
	s_movk_i32 s0, 0x7f
	s_mov_b64 s[62:63], 0
	s_waitcnt vmcnt(0)
	v_cmp_lt_i16_e32 vcc, s0, v5
	s_and_saveexec_b64 s[0:1], vcc
	s_xor_b64 s[0:1], exec, s[0:1]
	s_cbranch_execz .LBB23_989
; %bb.969:
	s_movk_i32 s62, 0x80
	v_cmp_ne_u16_e32 vcc, s62, v5
	s_and_b64 s[62:63], vcc, exec
	s_andn2_saveexec_b64 s[0:1], s[0:1]
	s_cbranch_execnz .LBB23_990
.LBB23_970:
	s_or_b64 exec, exec, s[0:1]
	v_mov_b32_e32 v4, 0
	s_and_saveexec_b64 s[0:1], s[62:63]
	s_cbranch_execz .LBB23_972
.LBB23_971:
	v_lshlrev_b32_e32 v4, 24, v5
	v_and_b32_e32 v5, 0xffff, v5
	v_and_b32_e32 v6, 3, v5
	v_ffbh_u32_e32 v8, v6
	v_min_u32_e32 v8, 32, v8
	v_subrev_u32_e32 v9, 29, v8
	v_bfe_u32 v7, v5, 2, 5
	v_lshlrev_b32_e32 v5, v9, v5
	v_sub_u32_e32 v8, 30, v8
	v_and_b32_e32 v5, 3, v5
	v_cmp_eq_u32_e32 vcc, 0, v7
	v_cndmask_b32_e32 v7, v7, v8, vcc
	v_cndmask_b32_e32 v5, v6, v5, vcc
	v_mov_b32_e32 v6, 0x37800000
	v_lshlrev_b32_e32 v5, 21, v5
	v_and_b32_e32 v4, 0x80000000, v4
	v_lshl_add_u32 v6, v7, 23, v6
	v_or3_b32 v4, v4, v6, v5
	v_cvt_i32_f32_e32 v4, v4
.LBB23_972:
	s_or_b64 exec, exec, s[0:1]
	s_mov_b64 s[0:1], 0
	s_branch .LBB23_978
.LBB23_973:
	s_mov_b64 s[62:63], -1
                                        ; implicit-def: $vgpr4
	s_branch .LBB23_984
.LBB23_974:
	s_andn2_saveexec_b64 s[0:1], s[0:1]
	s_cbranch_execz .LBB23_959
.LBB23_975:
	v_cmp_ne_u16_e32 vcc, 0, v5
	s_andn2_b64 s[62:63], s[62:63], exec
	s_and_b64 s[66:67], vcc, exec
	s_or_b64 s[62:63], s[62:63], s[66:67]
	s_or_b64 exec, exec, s[0:1]
	v_mov_b32_e32 v4, 0
	s_and_saveexec_b64 s[0:1], s[62:63]
	s_cbranch_execnz .LBB23_960
	s_branch .LBB23_961
.LBB23_976:
	s_mov_b64 s[0:1], -1
                                        ; implicit-def: $vgpr4
	s_branch .LBB23_981
.LBB23_977:
	s_mov_b64 s[0:1], -1
                                        ; implicit-def: $vgpr4
.LBB23_978:
	s_and_b64 vcc, exec, s[0:1]
	s_cbranch_vccz .LBB23_980
; %bb.979:
	global_load_ubyte v4, v[2:3], off
	s_mov_b32 s0, 0x7f800000
	s_waitcnt vmcnt(0)
	v_lshlrev_b32_e32 v4, 24, v4
	v_and_b32_e32 v5, 0x7f000000, v4
	v_ffbh_u32_e32 v6, v5
	v_min_u32_e32 v6, 32, v6
	v_sub_u32_e64 v6, v6, 4 clamp
	v_lshlrev_b32_e32 v8, v6, v5
	v_lshlrev_b32_e32 v6, 23, v6
	v_lshrrev_b32_e32 v8, 4, v8
	v_add_u32_e32 v7, 0x1000000, v5
	v_sub_u32_e32 v6, v8, v6
	v_ashrrev_i32_e32 v7, 8, v7
	v_add_u32_e32 v6, 0x3c000000, v6
	v_and_or_b32 v6, v7, s0, v6
	v_cmp_ne_u32_e32 vcc, 0, v5
	v_cndmask_b32_e32 v5, 0, v6, vcc
	s_brev_b32 s0, 1
	v_and_or_b32 v4, v4, s0, v5
	v_cvt_i32_f32_e32 v4, v4
.LBB23_980:
	s_mov_b64 s[0:1], 0
.LBB23_981:
	s_andn2_b64 vcc, exec, s[0:1]
	s_cbranch_vccnz .LBB23_983
; %bb.982:
	global_load_ubyte v4, v[2:3], off
	s_movk_i32 s0, 0x7f00
	s_brev_b32 s1, 16
	s_waitcnt vmcnt(0)
	v_lshlrev_b16_e32 v5, 8, v4
	v_lshlrev_b32_e32 v4, 25, v4
	v_lshrrev_b32_e32 v6, 4, v4
	v_and_or_b32 v7, v5, s0, 0.5
	v_or_b32_e32 v6, 0x70000000, v6
	v_add_f32_e32 v7, -0.5, v7
	v_mul_f32_e32 v6, 0x7800000, v6
	v_cmp_gt_u32_e32 vcc, s1, v4
	v_bfe_i32 v5, v5, 0, 16
	v_cndmask_b32_e32 v4, v6, v7, vcc
	s_brev_b32 s0, 1
	v_and_or_b32 v4, v5, s0, v4
	v_cvt_i32_f32_e32 v4, v4
.LBB23_983:
	s_mov_b64 s[62:63], 0
	s_mov_b64 s[0:1], -1
.LBB23_984:
	s_andn2_b64 vcc, exec, s[62:63]
	s_cbranch_vccnz .LBB23_997
; %bb.985:
	s_cmp_gt_i32 s64, 14
	s_cbranch_scc0 .LBB23_988
; %bb.986:
	s_cmp_eq_u32 s64, 15
	s_cbranch_scc0 .LBB23_991
; %bb.987:
	global_load_ushort v4, v[2:3], off
	s_mov_b64 s[0:1], -1
	s_mov_b64 s[60:61], 0
	s_waitcnt vmcnt(0)
	v_lshlrev_b32_e32 v4, 16, v4
	v_cvt_i32_f32_e32 v4, v4
	s_branch .LBB23_992
.LBB23_988:
	s_mov_b64 s[62:63], -1
                                        ; implicit-def: $vgpr4
	s_branch .LBB23_993
.LBB23_989:
	s_andn2_saveexec_b64 s[0:1], s[0:1]
	s_cbranch_execz .LBB23_970
.LBB23_990:
	v_cmp_ne_u16_e32 vcc, 0, v5
	s_andn2_b64 s[62:63], s[62:63], exec
	s_and_b64 s[66:67], vcc, exec
	s_or_b64 s[62:63], s[62:63], s[66:67]
	s_or_b64 exec, exec, s[0:1]
	v_mov_b32_e32 v4, 0
	s_and_saveexec_b64 s[0:1], s[62:63]
	s_cbranch_execnz .LBB23_971
	s_branch .LBB23_972
.LBB23_991:
	s_mov_b64 s[60:61], -1
                                        ; implicit-def: $vgpr4
.LBB23_992:
	s_mov_b64 s[62:63], 0
.LBB23_993:
	s_and_b64 vcc, exec, s[62:63]
	s_cbranch_vccz .LBB23_997
; %bb.994:
	s_cmp_eq_u32 s64, 11
	s_cbranch_scc0 .LBB23_996
; %bb.995:
	global_load_ubyte v4, v[2:3], off
	s_mov_b64 s[0:1], -1
	s_mov_b64 s[60:61], 0
	s_waitcnt vmcnt(0)
	v_cmp_ne_u16_e32 vcc, 0, v4
	v_cndmask_b32_e64 v4, 0, 1, vcc
	s_branch .LBB23_997
.LBB23_996:
	s_mov_b64 s[60:61], -1
                                        ; implicit-def: $vgpr4
.LBB23_997:
	s_mov_b64 s[62:63], 0
.LBB23_998:
	s_and_b64 vcc, exec, s[62:63]
	s_cbranch_vccz .LBB23_1047
; %bb.999:
	s_and_b32 s14, 0xffff, s14
	s_cmp_lt_i32 s14, 5
	s_cbranch_scc1 .LBB23_1004
; %bb.1000:
	s_cmp_lt_i32 s14, 8
	s_cbranch_scc1 .LBB23_1005
; %bb.1001:
	s_cmp_lt_i32 s14, 9
	s_cbranch_scc1 .LBB23_1006
; %bb.1002:
	s_cmp_gt_i32 s14, 9
	s_cbranch_scc0 .LBB23_1007
; %bb.1003:
	global_load_dwordx2 v[4:5], v[2:3], off
	s_mov_b64 s[0:1], 0
	s_waitcnt vmcnt(0)
	v_cvt_i32_f64_e32 v4, v[4:5]
	s_branch .LBB23_1008
.LBB23_1004:
	s_mov_b64 s[0:1], -1
                                        ; implicit-def: $vgpr4
	s_branch .LBB23_1026
.LBB23_1005:
	s_mov_b64 s[0:1], -1
                                        ; implicit-def: $vgpr4
	s_branch .LBB23_1014
.LBB23_1006:
	s_mov_b64 s[0:1], -1
                                        ; implicit-def: $vgpr4
	s_branch .LBB23_1011
.LBB23_1007:
	s_mov_b64 s[0:1], -1
                                        ; implicit-def: $vgpr4
.LBB23_1008:
	s_andn2_b64 vcc, exec, s[0:1]
	s_cbranch_vccnz .LBB23_1010
; %bb.1009:
	global_load_dword v4, v[2:3], off
	s_waitcnt vmcnt(0)
	v_cvt_i32_f32_e32 v4, v4
.LBB23_1010:
	s_mov_b64 s[0:1], 0
.LBB23_1011:
	s_andn2_b64 vcc, exec, s[0:1]
	s_cbranch_vccnz .LBB23_1013
; %bb.1012:
	global_load_dword v4, v[2:3], off
	s_waitcnt vmcnt(0)
	v_cvt_i16_f16_e32 v4, v4
.LBB23_1013:
	s_mov_b64 s[0:1], 0
.LBB23_1014:
	s_andn2_b64 vcc, exec, s[0:1]
	s_cbranch_vccnz .LBB23_1025
; %bb.1015:
	s_cmp_lt_i32 s14, 6
	s_cbranch_scc1 .LBB23_1018
; %bb.1016:
	s_cmp_gt_i32 s14, 6
	s_cbranch_scc0 .LBB23_1019
; %bb.1017:
	global_load_dwordx2 v[4:5], v[2:3], off
	s_mov_b64 s[0:1], 0
	s_waitcnt vmcnt(0)
	v_cvt_i32_f64_e32 v4, v[4:5]
	s_branch .LBB23_1020
.LBB23_1018:
	s_mov_b64 s[0:1], -1
                                        ; implicit-def: $vgpr4
	s_branch .LBB23_1023
.LBB23_1019:
	s_mov_b64 s[0:1], -1
                                        ; implicit-def: $vgpr4
.LBB23_1020:
	s_andn2_b64 vcc, exec, s[0:1]
	s_cbranch_vccnz .LBB23_1022
; %bb.1021:
	global_load_dword v4, v[2:3], off
	s_waitcnt vmcnt(0)
	v_cvt_i32_f32_e32 v4, v4
.LBB23_1022:
	s_mov_b64 s[0:1], 0
.LBB23_1023:
	s_andn2_b64 vcc, exec, s[0:1]
	s_cbranch_vccnz .LBB23_1025
; %bb.1024:
	global_load_ushort v4, v[2:3], off
	s_waitcnt vmcnt(0)
	v_cvt_i16_f16_e32 v4, v4
.LBB23_1025:
	s_mov_b64 s[0:1], 0
.LBB23_1026:
	s_andn2_b64 vcc, exec, s[0:1]
	s_cbranch_vccnz .LBB23_1046
; %bb.1027:
	s_cmp_lt_i32 s14, 2
	s_cbranch_scc1 .LBB23_1031
; %bb.1028:
	s_cmp_lt_i32 s14, 3
	s_cbranch_scc1 .LBB23_1032
; %bb.1029:
	s_cmp_gt_i32 s14, 3
	s_cbranch_scc0 .LBB23_1033
; %bb.1030:
	global_load_dwordx2 v[4:5], v[2:3], off
	s_mov_b64 s[0:1], 0
	s_branch .LBB23_1034
.LBB23_1031:
	s_mov_b64 s[0:1], -1
                                        ; implicit-def: $vgpr4
	s_branch .LBB23_1040
.LBB23_1032:
	s_mov_b64 s[0:1], -1
                                        ; implicit-def: $vgpr4
	s_branch .LBB23_1037
.LBB23_1033:
	s_mov_b64 s[0:1], -1
                                        ; implicit-def: $vgpr4
.LBB23_1034:
	s_andn2_b64 vcc, exec, s[0:1]
	s_cbranch_vccnz .LBB23_1036
; %bb.1035:
	global_load_dword v4, v[2:3], off
.LBB23_1036:
	s_mov_b64 s[0:1], 0
.LBB23_1037:
	s_andn2_b64 vcc, exec, s[0:1]
	s_cbranch_vccnz .LBB23_1039
; %bb.1038:
	global_load_ushort v4, v[2:3], off
.LBB23_1039:
	s_mov_b64 s[0:1], 0
.LBB23_1040:
	s_andn2_b64 vcc, exec, s[0:1]
	s_cbranch_vccnz .LBB23_1046
; %bb.1041:
	s_cmp_gt_i32 s14, 0
	s_cbranch_scc0 .LBB23_1043
; %bb.1042:
	global_load_ubyte v4, v[2:3], off
	s_mov_b64 s[0:1], 0
	s_branch .LBB23_1044
.LBB23_1043:
	s_mov_b64 s[0:1], -1
                                        ; implicit-def: $vgpr4
.LBB23_1044:
	s_andn2_b64 vcc, exec, s[0:1]
	s_cbranch_vccnz .LBB23_1046
; %bb.1045:
	global_load_ubyte v4, v[2:3], off
.LBB23_1046:
	s_mov_b64 s[0:1], -1
.LBB23_1047:
	s_andn2_b64 vcc, exec, s[0:1]
	s_cbranch_vccnz .LBB23_1055
; %bb.1048:
	s_waitcnt vmcnt(0)
	v_cmp_ne_u16_sdwa s[0:1], v1, v4 src0_sel:BYTE_0 src1_sel:BYTE_0
	s_xor_b64 s[62:63], s[28:29], s[0:1]
	v_mov_b32_e32 v1, s9
	s_and_b32 s14, s15, 0xff
	v_add_co_u32_e32 v0, vcc, s8, v0
	s_cmp_lt_i32 s14, 11
	v_addc_co_u32_e32 v1, vcc, 0, v1, vcc
	s_cbranch_scc1 .LBB23_1056
; %bb.1049:
	s_and_b32 s71, 0xffff, s14
	s_cmp_gt_i32 s71, 25
	s_cbranch_scc0 .LBB23_1057
; %bb.1050:
	s_cmp_gt_i32 s71, 28
	s_cbranch_scc0 .LBB23_1058
; %bb.1051:
	;; [unrolled: 3-line block ×4, first 2 shown]
	s_mov_b64 s[66:67], 0
	s_mov_b64 s[0:1], -1
	s_cmp_eq_u32 s71, 46
	s_mov_b64 s[64:65], 0
	s_cbranch_scc0 .LBB23_1061
; %bb.1054:
	v_cndmask_b32_e64 v2, 0, 1.0, s[62:63]
	v_bfe_u32 v3, v2, 16, 1
	s_movk_i32 s0, 0x7fff
	v_add3_u32 v2, v2, v3, s0
	v_lshrrev_b32_e32 v2, 16, v2
	global_store_dword v[0:1], v2, off
	s_mov_b64 s[64:65], -1
	s_mov_b64 s[0:1], 0
	s_branch .LBB23_1061
.LBB23_1055:
	s_mov_b64 s[64:65], 0
                                        ; implicit-def: $vgpr10
	s_mov_b64 s[0:1], s[52:53]
	s_branch .LBB23_1171
.LBB23_1056:
	s_mov_b64 s[66:67], -1
	s_mov_b64 s[64:65], 0
	s_mov_b64 s[0:1], s[52:53]
	s_branch .LBB23_1130
.LBB23_1057:
	s_mov_b64 s[66:67], -1
	s_mov_b64 s[64:65], 0
	s_mov_b64 s[0:1], s[52:53]
	s_branch .LBB23_1088
.LBB23_1058:
	s_mov_b64 s[66:67], -1
	s_mov_b64 s[64:65], 0
	s_mov_b64 s[0:1], s[52:53]
	s_branch .LBB23_1071
.LBB23_1059:
	s_mov_b64 s[66:67], -1
	s_mov_b64 s[64:65], 0
	s_mov_b64 s[0:1], s[52:53]
	s_branch .LBB23_1067
.LBB23_1060:
	s_mov_b64 s[66:67], -1
	s_mov_b64 s[64:65], 0
	s_mov_b64 s[0:1], s[52:53]
.LBB23_1061:
	s_and_b64 vcc, exec, s[66:67]
	s_cbranch_vccz .LBB23_1066
; %bb.1062:
	s_cmp_eq_u32 s71, 44
	s_mov_b64 s[0:1], -1
	s_cbranch_scc0 .LBB23_1066
; %bb.1063:
	v_cndmask_b32_e64 v3, 0, 1.0, s[62:63]
	v_lshrrev_b32_e32 v2, 23, v3
	s_movk_i32 s0, 0xff
	v_cmp_ne_u32_e32 vcc, s0, v2
	v_mov_b32_e32 v4, 0xff
	s_and_saveexec_b64 s[64:65], vcc
; %bb.1064:
	s_mov_b32 s0, 0x3fffff
	v_and_b32_e32 v4, 0x400000, v3
	v_and_or_b32 v3, v3, s0, v2
	v_cmp_ne_u32_e32 vcc, 0, v4
	v_cmp_ne_u32_e64 s[0:1], 0, v3
	s_and_b64 s[0:1], vcc, s[0:1]
	v_cndmask_b32_e64 v3, 0, 1, s[0:1]
	v_add_u32_e32 v4, v2, v3
; %bb.1065:
	s_or_b64 exec, exec, s[64:65]
	s_mov_b64 s[64:65], -1
	s_mov_b64 s[0:1], 0
	global_store_byte v[0:1], v4, off
.LBB23_1066:
	s_mov_b64 s[66:67], 0
.LBB23_1067:
	s_and_b64 vcc, exec, s[66:67]
	s_cbranch_vccz .LBB23_1070
; %bb.1068:
	s_cmp_eq_u32 s71, 29
	s_mov_b64 s[0:1], -1
	s_cbranch_scc0 .LBB23_1070
; %bb.1069:
	s_mov_b32 s0, 0
	v_cndmask_b32_e64 v2, 0, 1, s[62:63]
	v_mov_b32_e32 v3, s0
	global_store_dwordx2 v[0:1], v[2:3], off
	s_mov_b64 s[64:65], -1
	s_mov_b64 s[0:1], 0
.LBB23_1070:
	s_mov_b64 s[66:67], 0
.LBB23_1071:
	s_and_b64 vcc, exec, s[66:67]
	s_cbranch_vccz .LBB23_1087
; %bb.1072:
	s_cmp_lt_i32 s71, 27
	s_mov_b64 s[64:65], -1
	s_cbranch_scc1 .LBB23_1078
; %bb.1073:
	s_cmp_gt_i32 s71, 27
	s_cbranch_scc0 .LBB23_1075
; %bb.1074:
	v_cndmask_b32_e64 v2, 0, 1, s[62:63]
	s_mov_b64 s[64:65], 0
	global_store_dword v[0:1], v2, off
.LBB23_1075:
	s_andn2_b64 vcc, exec, s[64:65]
	s_cbranch_vccnz .LBB23_1077
; %bb.1076:
	v_cndmask_b32_e64 v2, 0, 1, s[62:63]
	global_store_short v[0:1], v2, off
.LBB23_1077:
	s_mov_b64 s[64:65], 0
.LBB23_1078:
	s_andn2_b64 vcc, exec, s[64:65]
	s_cbranch_vccnz .LBB23_1086
; %bb.1079:
	v_cndmask_b32_e64 v3, 0, 1.0, s[62:63]
	s_mov_b32 s64, 0x43800000
	v_cmp_gt_u32_e32 vcc, s64, v3
	v_mov_b32_e32 v4, 0x80
	s_and_saveexec_b64 s[64:65], vcc
	s_cbranch_execz .LBB23_1085
; %bb.1080:
	s_mov_b32 s66, 0x3bffffff
	v_cmp_lt_u32_e32 vcc, s66, v3
	s_mov_b64 s[66:67], 0
                                        ; implicit-def: $vgpr2
	s_and_saveexec_b64 s[68:69], vcc
	s_xor_b64 s[68:69], exec, s[68:69]
	s_cbranch_execz .LBB23_1199
; %bb.1081:
	v_bfe_u32 v2, v3, 20, 1
	s_mov_b32 s76, 0x487ffff
	v_add3_u32 v2, v3, v2, s76
	s_mov_b64 s[66:67], exec
	v_lshrrev_b32_e32 v2, 20, v2
                                        ; implicit-def: $vgpr3
	s_andn2_saveexec_b64 s[68:69], s[68:69]
	s_cbranch_execnz .LBB23_1200
.LBB23_1082:
	s_or_b64 exec, exec, s[68:69]
	v_mov_b32_e32 v4, 0
	s_and_saveexec_b64 s[68:69], s[66:67]
.LBB23_1083:
	v_mov_b32_e32 v4, v2
.LBB23_1084:
	s_or_b64 exec, exec, s[68:69]
.LBB23_1085:
	s_or_b64 exec, exec, s[64:65]
	global_store_byte v[0:1], v4, off
.LBB23_1086:
	s_mov_b64 s[64:65], -1
.LBB23_1087:
	s_mov_b64 s[66:67], 0
.LBB23_1088:
	s_and_b64 vcc, exec, s[66:67]
	s_cbranch_vccz .LBB23_1129
; %bb.1089:
	s_cmp_gt_i32 s71, 22
	s_mov_b64 s[66:67], -1
	s_cbranch_scc0 .LBB23_1121
; %bb.1090:
	s_cmp_lt_i32 s71, 24
	s_mov_b64 s[64:65], -1
	s_cbranch_scc1 .LBB23_1110
; %bb.1091:
	s_cmp_gt_i32 s71, 24
	s_cbranch_scc0 .LBB23_1099
; %bb.1092:
	v_cndmask_b32_e64 v3, 0, 1.0, s[62:63]
	s_mov_b32 s64, 0x47800000
	v_cmp_gt_u32_e32 vcc, s64, v3
	v_mov_b32_e32 v4, 0x80
	s_and_saveexec_b64 s[64:65], vcc
	s_cbranch_execz .LBB23_1098
; %bb.1093:
	s_mov_b32 s66, 0x37ffffff
	v_cmp_lt_u32_e32 vcc, s66, v3
	s_mov_b64 s[66:67], 0
                                        ; implicit-def: $vgpr2
	s_and_saveexec_b64 s[68:69], vcc
	s_xor_b64 s[68:69], exec, s[68:69]
	s_cbranch_execz .LBB23_2236
; %bb.1094:
	v_bfe_u32 v2, v3, 21, 1
	s_mov_b32 s76, 0x88fffff
	v_add3_u32 v2, v3, v2, s76
	s_mov_b64 s[66:67], exec
	v_lshrrev_b32_e32 v2, 21, v2
                                        ; implicit-def: $vgpr3
	s_andn2_saveexec_b64 s[68:69], s[68:69]
	s_cbranch_execnz .LBB23_2237
.LBB23_1095:
	s_or_b64 exec, exec, s[68:69]
	v_mov_b32_e32 v4, 0
	s_and_saveexec_b64 s[68:69], s[66:67]
.LBB23_1096:
	v_mov_b32_e32 v4, v2
.LBB23_1097:
	s_or_b64 exec, exec, s[68:69]
.LBB23_1098:
	s_or_b64 exec, exec, s[64:65]
	s_mov_b64 s[64:65], 0
	global_store_byte v[0:1], v4, off
.LBB23_1099:
	s_and_b64 vcc, exec, s[64:65]
	s_cbranch_vccz .LBB23_1109
; %bb.1100:
	v_cndmask_b32_e64 v2, 0, 1.0, s[62:63]
	s_mov_b32 s64, 0x43f00000
	v_cmp_gt_u32_e32 vcc, s64, v2
                                        ; implicit-def: $vgpr3
	s_and_saveexec_b64 s[64:65], vcc
	s_xor_b64 s[64:65], exec, s[64:65]
	s_cbranch_execz .LBB23_1106
; %bb.1101:
	s_mov_b32 s66, 0x3c7fffff
	v_cmp_lt_u32_e32 vcc, s66, v2
                                        ; implicit-def: $vgpr3
	s_and_saveexec_b64 s[66:67], vcc
	s_xor_b64 s[66:67], exec, s[66:67]
; %bb.1102:
	v_bfe_u32 v3, v2, 20, 1
	s_mov_b32 s68, 0x407ffff
	v_add3_u32 v2, v2, v3, s68
	v_lshrrev_b32_e32 v3, 20, v2
	v_and_b32_e32 v2, 0xff00000, v2
	s_mov_b32 s68, 0x7f00000
	v_mov_b32_e32 v4, 0x7e
	v_cmp_ne_u32_e32 vcc, s68, v2
	v_cndmask_b32_e32 v3, v4, v3, vcc
                                        ; implicit-def: $vgpr2
; %bb.1103:
	s_andn2_saveexec_b64 s[66:67], s[66:67]
; %bb.1104:
	v_add_f32_e32 v3, 0x46800000, v2
; %bb.1105:
	s_or_b64 exec, exec, s[66:67]
                                        ; implicit-def: $vgpr2
.LBB23_1106:
	s_andn2_saveexec_b64 s[64:65], s[64:65]
; %bb.1107:
	s_mov_b32 s66, 0x7f800000
	v_mov_b32_e32 v3, 0x7e
	v_mov_b32_e32 v4, 0x7f
	v_cmp_lt_u32_e32 vcc, s66, v2
	v_cndmask_b32_e32 v3, v3, v4, vcc
; %bb.1108:
	s_or_b64 exec, exec, s[64:65]
	global_store_byte v[0:1], v3, off
.LBB23_1109:
	s_mov_b64 s[64:65], 0
.LBB23_1110:
	s_andn2_b64 vcc, exec, s[64:65]
	s_cbranch_vccnz .LBB23_1120
; %bb.1111:
	v_cndmask_b32_e64 v2, 0, 1.0, s[62:63]
	s_mov_b32 s64, 0x47800000
	v_cmp_gt_u32_e32 vcc, s64, v2
                                        ; implicit-def: $vgpr3
	s_and_saveexec_b64 s[64:65], vcc
	s_xor_b64 s[64:65], exec, s[64:65]
	s_cbranch_execz .LBB23_1117
; %bb.1112:
	s_mov_b32 s66, 0x387fffff
	v_cmp_lt_u32_e32 vcc, s66, v2
                                        ; implicit-def: $vgpr3
	s_and_saveexec_b64 s[66:67], vcc
	s_xor_b64 s[66:67], exec, s[66:67]
; %bb.1113:
	v_bfe_u32 v3, v2, 21, 1
	s_mov_b32 s68, 0x80fffff
	v_add3_u32 v2, v2, v3, s68
	v_lshrrev_b32_e32 v3, 21, v2
                                        ; implicit-def: $vgpr2
; %bb.1114:
	s_andn2_saveexec_b64 s[66:67], s[66:67]
; %bb.1115:
	v_add_f32_e32 v3, 0x43000000, v2
; %bb.1116:
	s_or_b64 exec, exec, s[66:67]
                                        ; implicit-def: $vgpr2
.LBB23_1117:
	s_andn2_saveexec_b64 s[64:65], s[64:65]
; %bb.1118:
	s_mov_b32 s66, 0x7f800000
	v_mov_b32_e32 v3, 0x7c
	v_mov_b32_e32 v4, 0x7f
	v_cmp_lt_u32_e32 vcc, s66, v2
	v_cndmask_b32_e32 v3, v3, v4, vcc
; %bb.1119:
	s_or_b64 exec, exec, s[64:65]
	global_store_byte v[0:1], v3, off
.LBB23_1120:
	s_mov_b64 s[66:67], 0
	s_mov_b64 s[64:65], -1
.LBB23_1121:
	s_andn2_b64 vcc, exec, s[66:67]
	s_cbranch_vccnz .LBB23_1129
; %bb.1122:
	s_cmp_gt_i32 s71, 14
	s_mov_b64 s[66:67], -1
	s_cbranch_scc0 .LBB23_1126
; %bb.1123:
	s_cmp_eq_u32 s71, 15
	s_mov_b64 s[0:1], -1
	s_cbranch_scc0 .LBB23_1125
; %bb.1124:
	v_cndmask_b32_e64 v2, 0, 1.0, s[62:63]
	v_bfe_u32 v3, v2, 16, 1
	s_movk_i32 s0, 0x7fff
	v_add3_u32 v2, v2, v3, s0
	global_store_short_d16_hi v[0:1], v2, off
	s_mov_b64 s[64:65], -1
	s_mov_b64 s[0:1], 0
.LBB23_1125:
	s_mov_b64 s[66:67], 0
.LBB23_1126:
	s_and_b64 vcc, exec, s[66:67]
	s_cbranch_vccz .LBB23_1129
; %bb.1127:
	s_cmp_eq_u32 s71, 11
	s_mov_b64 s[0:1], -1
	s_cbranch_scc0 .LBB23_1129
; %bb.1128:
	v_cndmask_b32_e64 v2, 0, 1, s[62:63]
	s_mov_b64 s[64:65], -1
	s_mov_b64 s[0:1], 0
	global_store_byte v[0:1], v2, off
.LBB23_1129:
	s_mov_b64 s[66:67], 0
.LBB23_1130:
	s_and_b64 vcc, exec, s[66:67]
	s_cbranch_vccz .LBB23_1169
; %bb.1131:
	s_and_b32 s14, 0xffff, s14
	s_cmp_lt_i32 s14, 5
	s_mov_b64 s[64:65], -1
	s_cbranch_scc1 .LBB23_1152
; %bb.1132:
	s_cmp_lt_i32 s14, 8
	s_cbranch_scc1 .LBB23_1142
; %bb.1133:
	s_cmp_lt_i32 s14, 9
	s_cbranch_scc1 .LBB23_1139
; %bb.1134:
	s_cmp_gt_i32 s14, 9
	s_cbranch_scc0 .LBB23_1136
; %bb.1135:
	v_cndmask_b32_e64 v2, 0, 1, s[62:63]
	v_cvt_f64_u32_e32 v[2:3], v2
	v_mov_b32_e32 v4, 0
	v_mov_b32_e32 v5, v4
	s_mov_b64 s[64:65], 0
	global_store_dwordx4 v[0:1], v[2:5], off
.LBB23_1136:
	s_andn2_b64 vcc, exec, s[64:65]
	s_cbranch_vccnz .LBB23_1138
; %bb.1137:
	v_cndmask_b32_e64 v2, 0, 1.0, s[62:63]
	v_mov_b32_e32 v3, 0
	global_store_dwordx2 v[0:1], v[2:3], off
.LBB23_1138:
	s_mov_b64 s[64:65], 0
.LBB23_1139:
	s_andn2_b64 vcc, exec, s[64:65]
	s_cbranch_vccnz .LBB23_1141
; %bb.1140:
	v_cndmask_b32_e64 v2, 0, 1.0, s[62:63]
	v_cvt_f16_f32_e32 v2, v2
	global_store_dword v[0:1], v2, off
.LBB23_1141:
	s_mov_b64 s[64:65], 0
.LBB23_1142:
	s_andn2_b64 vcc, exec, s[64:65]
	s_cbranch_vccnz .LBB23_1151
; %bb.1143:
	s_cmp_lt_i32 s14, 6
	s_mov_b64 s[64:65], -1
	s_cbranch_scc1 .LBB23_1149
; %bb.1144:
	s_cmp_gt_i32 s14, 6
	s_cbranch_scc0 .LBB23_1146
; %bb.1145:
	v_cndmask_b32_e64 v2, 0, 1, s[62:63]
	v_cvt_f64_u32_e32 v[2:3], v2
	s_mov_b64 s[64:65], 0
	global_store_dwordx2 v[0:1], v[2:3], off
.LBB23_1146:
	s_andn2_b64 vcc, exec, s[64:65]
	s_cbranch_vccnz .LBB23_1148
; %bb.1147:
	v_cndmask_b32_e64 v2, 0, 1.0, s[62:63]
	global_store_dword v[0:1], v2, off
.LBB23_1148:
	s_mov_b64 s[64:65], 0
.LBB23_1149:
	s_andn2_b64 vcc, exec, s[64:65]
	s_cbranch_vccnz .LBB23_1151
; %bb.1150:
	v_cndmask_b32_e64 v2, 0, 1.0, s[62:63]
	v_cvt_f16_f32_e32 v2, v2
	global_store_short v[0:1], v2, off
.LBB23_1151:
	s_mov_b64 s[64:65], 0
.LBB23_1152:
	s_andn2_b64 vcc, exec, s[64:65]
	s_cbranch_vccnz .LBB23_1168
; %bb.1153:
	s_cmp_lt_i32 s14, 2
	s_mov_b64 s[64:65], -1
	s_cbranch_scc1 .LBB23_1163
; %bb.1154:
	s_cmp_lt_i32 s14, 3
	s_cbranch_scc1 .LBB23_1160
; %bb.1155:
	s_cmp_gt_i32 s14, 3
	s_cbranch_scc0 .LBB23_1157
; %bb.1156:
	s_mov_b32 s64, 0
	v_cndmask_b32_e64 v2, 0, 1, s[62:63]
	v_mov_b32_e32 v3, s64
	s_mov_b64 s[64:65], 0
	global_store_dwordx2 v[0:1], v[2:3], off
.LBB23_1157:
	s_andn2_b64 vcc, exec, s[64:65]
	s_cbranch_vccnz .LBB23_1159
; %bb.1158:
	v_cndmask_b32_e64 v2, 0, 1, s[62:63]
	global_store_dword v[0:1], v2, off
.LBB23_1159:
	s_mov_b64 s[64:65], 0
.LBB23_1160:
	s_andn2_b64 vcc, exec, s[64:65]
	s_cbranch_vccnz .LBB23_1162
; %bb.1161:
	v_cndmask_b32_e64 v2, 0, 1, s[62:63]
	global_store_short v[0:1], v2, off
.LBB23_1162:
	s_mov_b64 s[64:65], 0
.LBB23_1163:
	s_andn2_b64 vcc, exec, s[64:65]
	s_cbranch_vccnz .LBB23_1168
; %bb.1164:
	s_mov_b64 s[64:65], -1
	s_cmp_gt_i32 s14, 0
	v_cndmask_b32_e64 v2, 0, 1, s[62:63]
	s_cbranch_scc0 .LBB23_1166
; %bb.1165:
	s_mov_b64 s[64:65], 0
	global_store_byte v[0:1], v2, off
.LBB23_1166:
	s_andn2_b64 vcc, exec, s[64:65]
	s_cbranch_vccnz .LBB23_1168
; %bb.1167:
	global_store_byte v[0:1], v2, off
.LBB23_1168:
	s_mov_b64 s[64:65], -1
.LBB23_1169:
	s_andn2_b64 vcc, exec, s[64:65]
	s_cbranch_vccnz .LBB23_1181
; %bb.1170:
	v_add_u32_e32 v10, 0x80, v10
	s_mov_b64 s[64:65], -1
.LBB23_1171:
	s_andn2_b64 s[62:63], s[52:53], exec
	s_and_b64 s[0:1], s[0:1], exec
	s_or_b64 s[62:63], s[62:63], s[0:1]
	s_andn2_b64 s[0:1], s[50:51], exec
	s_and_b64 s[60:61], s[60:61], exec
	s_or_b64 s[60:61], s[0:1], s[60:61]
	;; [unrolled: 3-line block ×3, first 2 shown]
	s_orn2_b64 s[68:69], s[64:65], exec
.LBB23_1172:
	s_or_b64 exec, exec, s[56:57]
	s_mov_b64 s[64:65], 0
	s_mov_b64 s[58:59], 0
	;; [unrolled: 1-line block ×3, first 2 shown]
                                        ; implicit-def: $sgpr14
                                        ; implicit-def: $vgpr4_vgpr5
                                        ; implicit-def: $vgpr0
                                        ; implicit-def: $vgpr3
                                        ; implicit-def: $vgpr1
	s_and_saveexec_b64 s[56:57], s[68:69]
	s_cbranch_execz .LBB23_1263
; %bb.1173:
	v_cmp_gt_i32_e32 vcc, s70, v10
	s_mov_b64 s[68:69], s[0:1]
	s_mov_b64 s[70:71], 0
                                        ; implicit-def: $sgpr14
                                        ; implicit-def: $vgpr4_vgpr5
                                        ; implicit-def: $vgpr0
                                        ; implicit-def: $vgpr3
                                        ; implicit-def: $vgpr1
	s_and_saveexec_b64 s[58:59], vcc
	s_cbranch_execz .LBB23_1262
; %bb.1174:
	s_andn2_b64 vcc, exec, s[24:25]
	s_cbranch_vccnz .LBB23_1180
; %bb.1175:
	s_andn2_b64 vcc, exec, s[38:39]
	s_cbranch_vccnz .LBB23_1182
; %bb.1176:
	s_add_i32 s14, s75, 1
	s_and_b32 s14, s14, 30
	s_add_u32 s38, s2, 0xffffffe8
	s_addc_u32 s39, s3, -1
	v_mov_b32_e32 v3, 0
	s_waitcnt vmcnt(0)
	v_mov_b32_e32 v5, 0
	v_mov_b32_e32 v0, 0
	;; [unrolled: 1-line block ×3, first 2 shown]
.LBB23_1177:                            ; =>This Inner Loop Header: Depth=1
	s_load_dwordx4 s[64:67], s[38:39], 0x1c
	s_load_dwordx2 s[76:77], s[38:39], 0x2c
	s_load_dwordx2 s[78:79], s[38:39], 0xec
	s_load_dwordx4 s[68:71], s[38:39], 0xdc
	s_add_u32 s38, s38, 24
	s_waitcnt lgkmcnt(0)
	v_mul_hi_u32 v2, s65, v1
	s_addc_u32 s39, s39, 0
	s_add_i32 s14, s14, -2
	s_cmp_eq_u32 s14, 0
	v_add_u32_e32 v2, v1, v2
	v_lshrrev_b32_e32 v2, s66, v2
	v_mul_lo_u32 v4, v2, s64
	v_mul_hi_u32 v6, s76, v2
	v_sub_u32_e32 v4, v1, v4
	v_add_u32_e32 v1, v2, v6
	v_lshrrev_b32_e32 v1, s77, v1
	v_mul_lo_u32 v8, v1, s67
	v_mul_lo_u32 v6, v4, s68
	v_mul_lo_u32 v7, v4, s69
	v_mul_lo_u32 v4, v4, s70
	v_sub_u32_e32 v2, v2, v8
	v_mul_lo_u32 v8, v2, s71
	v_mul_lo_u32 v9, v2, s78
	;; [unrolled: 1-line block ×3, first 2 shown]
	v_add3_u32 v0, v6, v0, v8
	v_add3_u32 v5, v7, v5, v9
	;; [unrolled: 1-line block ×3, first 2 shown]
	s_cbranch_scc0 .LBB23_1177
; %bb.1178:
	s_bitcmp1_b32 s75, 0
	s_cselect_b64 s[64:65], -1, 0
	s_and_b64 vcc, exec, s[64:65]
	s_cbranch_vccnz .LBB23_1183
; %bb.1179:
	s_load_dwordx2 s[64:65], s[38:39], 0x1c
	s_load_dword s14, s[38:39], 0x24
	s_load_dwordx2 s[66:67], s[38:39], 0xdc
	s_waitcnt lgkmcnt(0)
	v_mul_hi_u32 v2, s65, v1
	v_add_u32_e32 v2, v1, v2
	v_lshrrev_b32_e32 v2, s14, v2
	v_mul_lo_u32 v2, v2, s64
	s_load_dword s14, s[38:39], 0xe4
	v_sub_u32_e32 v2, v1, v2
	v_mad_u64_u32 v[0:1], s[38:39], v2, s66, v[0:1]
	v_mad_u64_u32 v[5:6], s[38:39], v2, s67, v[5:6]
	s_waitcnt lgkmcnt(0)
	v_mad_u64_u32 v[3:4], s[38:39], v2, s14, v[3:4]
	s_branch .LBB23_1183
.LBB23_1180:
	s_mov_b64 s[38:39], -1
                                        ; implicit-def: $vgpr0
                                        ; implicit-def: $vgpr5
                                        ; implicit-def: $vgpr3
	s_branch .LBB23_1184
.LBB23_1181:
	s_mov_b64 s[64:65], 0
	s_branch .LBB23_928
.LBB23_1182:
	v_mov_b32_e32 v0, 0
	s_waitcnt vmcnt(0)
	v_mov_b32_e32 v5, 0
	v_mov_b32_e32 v3, 0
.LBB23_1183:
	s_mov_b64 s[38:39], 0
.LBB23_1184:
	s_andn2_b64 vcc, exec, s[38:39]
	s_cbranch_vccnz .LBB23_1187
; %bb.1185:
	v_mul_hi_u32 v0, s17, v10
	s_andn2_b64 vcc, exec, s[36:37]
	v_add_u32_e32 v0, v10, v0
	s_waitcnt vmcnt(0)
	v_lshrrev_b32_e32 v1, s18, v0
	v_mul_lo_u32 v0, v1, s16
	v_sub_u32_e32 v2, v10, v0
	v_mul_lo_u32 v0, v2, s20
	v_mul_lo_u32 v5, v2, s21
	;; [unrolled: 1-line block ×3, first 2 shown]
	s_cbranch_vccnz .LBB23_1187
; %bb.1186:
	v_mul_hi_u32 v2, s34, v1
	v_add_u32_e32 v2, v1, v2
	v_lshrrev_b32_e32 v2, s35, v2
	v_mul_lo_u32 v2, v2, s19
	v_sub_u32_e32 v2, v1, v2
	v_mad_u64_u32 v[0:1], s[16:17], v2, s23, v[0:1]
	v_mad_u64_u32 v[5:6], s[16:17], v2, s30, v[5:6]
	;; [unrolled: 1-line block ×3, first 2 shown]
.LBB23_1187:
	s_waitcnt vmcnt(0)
	v_mov_b32_e32 v1, s11
	s_and_b32 s14, s74, 0xff
	v_add_co_u32_e32 v4, vcc, s10, v5
	s_cmp_lt_i32 s14, 11
	v_addc_co_u32_e32 v5, vcc, 0, v1, vcc
	s_cbranch_scc1 .LBB23_1194
; %bb.1188:
	s_and_b32 s22, 0xffff, s14
	s_cmp_gt_i32 s22, 25
	s_mov_b64 s[16:17], 0
	s_cbranch_scc0 .LBB23_1195
; %bb.1189:
	s_cmp_gt_i32 s22, 28
	s_cbranch_scc0 .LBB23_1196
; %bb.1190:
	s_cmp_gt_i32 s22, 43
	;; [unrolled: 3-line block ×3, first 2 shown]
	s_cbranch_scc0 .LBB23_1198
; %bb.1192:
	s_cmp_eq_u32 s22, 46
	s_mov_b64 s[20:21], 0
	s_cbranch_scc0 .LBB23_1201
; %bb.1193:
	global_load_dword v1, v[4:5], off
	s_mov_b64 s[10:11], 0
	s_mov_b64 s[18:19], -1
	s_waitcnt vmcnt(0)
	v_lshlrev_b32_e32 v1, 16, v1
	v_cvt_i32_f32_e32 v1, v1
	s_branch .LBB23_1202
.LBB23_1194:
	s_mov_b64 s[20:21], -1
	s_mov_b64 s[18:19], 0
	s_mov_b64 s[16:17], 0
	s_mov_b64 s[10:11], s[0:1]
                                        ; implicit-def: $vgpr1
	s_branch .LBB23_1261
.LBB23_1195:
	s_mov_b64 s[20:21], -1
	s_mov_b64 s[18:19], 0
	s_mov_b64 s[10:11], s[0:1]
                                        ; implicit-def: $vgpr1
	s_branch .LBB23_1229
.LBB23_1196:
	s_mov_b64 s[20:21], -1
	s_mov_b64 s[18:19], 0
	s_mov_b64 s[10:11], s[0:1]
                                        ; implicit-def: $vgpr1
	s_branch .LBB23_1212
.LBB23_1197:
	s_mov_b64 s[20:21], -1
	s_mov_b64 s[18:19], 0
	s_mov_b64 s[10:11], s[0:1]
                                        ; implicit-def: $vgpr1
	s_branch .LBB23_1207
.LBB23_1198:
	s_mov_b64 s[20:21], -1
	s_mov_b64 s[18:19], 0
	s_mov_b64 s[10:11], s[0:1]
                                        ; implicit-def: $vgpr1
	s_branch .LBB23_1202
.LBB23_1199:
	s_andn2_saveexec_b64 s[68:69], s[68:69]
	s_cbranch_execz .LBB23_1082
.LBB23_1200:
	v_add_f32_e32 v2, 0x46000000, v3
	v_and_b32_e32 v2, 0xff, v2
	v_cmp_ne_u32_e32 vcc, 0, v2
	s_andn2_b64 s[66:67], s[66:67], exec
	s_and_b64 s[76:77], vcc, exec
	s_or_b64 s[66:67], s[66:67], s[76:77]
	s_or_b64 exec, exec, s[68:69]
	v_mov_b32_e32 v4, 0
	s_and_saveexec_b64 s[68:69], s[66:67]
	s_cbranch_execnz .LBB23_1083
	s_branch .LBB23_1084
.LBB23_1201:
	s_mov_b64 s[10:11], -1
                                        ; implicit-def: $vgpr1
	s_mov_b64 s[18:19], 0
.LBB23_1202:
	s_and_b64 vcc, exec, s[20:21]
	s_cbranch_vccz .LBB23_1206
; %bb.1203:
	s_cmp_eq_u32 s22, 44
	s_cbranch_scc0 .LBB23_1205
; %bb.1204:
	global_load_ubyte v1, v[4:5], off
	s_mov_b64 s[10:11], 0
	s_mov_b64 s[18:19], -1
	s_waitcnt vmcnt(0)
	v_lshlrev_b32_e32 v2, 23, v1
	v_cvt_i32_f32_e32 v2, v2
	v_cmp_ne_u32_e32 vcc, 0, v1
	v_cndmask_b32_e32 v1, 0, v2, vcc
	s_branch .LBB23_1206
.LBB23_1205:
	s_mov_b64 s[10:11], -1
                                        ; implicit-def: $vgpr1
.LBB23_1206:
	s_mov_b64 s[20:21], 0
.LBB23_1207:
	s_and_b64 vcc, exec, s[20:21]
	s_cbranch_vccz .LBB23_1211
; %bb.1208:
	s_cmp_eq_u32 s22, 29
	s_cbranch_scc0 .LBB23_1210
; %bb.1209:
	global_load_dwordx2 v[1:2], v[4:5], off
	s_mov_b64 s[10:11], 0
	s_mov_b64 s[18:19], -1
	s_branch .LBB23_1211
.LBB23_1210:
	s_mov_b64 s[10:11], -1
                                        ; implicit-def: $vgpr1
.LBB23_1211:
	s_mov_b64 s[20:21], 0
.LBB23_1212:
	s_and_b64 vcc, exec, s[20:21]
	s_cbranch_vccz .LBB23_1228
; %bb.1213:
	s_cmp_lt_i32 s22, 27
	s_cbranch_scc1 .LBB23_1216
; %bb.1214:
	s_cmp_gt_i32 s22, 27
	s_cbranch_scc0 .LBB23_1217
; %bb.1215:
	global_load_dword v1, v[4:5], off
	s_mov_b64 s[18:19], 0
	s_branch .LBB23_1218
.LBB23_1216:
	s_mov_b64 s[18:19], -1
                                        ; implicit-def: $vgpr1
	s_branch .LBB23_1221
.LBB23_1217:
	s_mov_b64 s[18:19], -1
                                        ; implicit-def: $vgpr1
.LBB23_1218:
	s_andn2_b64 vcc, exec, s[18:19]
	s_cbranch_vccnz .LBB23_1220
; %bb.1219:
	global_load_ushort v1, v[4:5], off
.LBB23_1220:
	s_mov_b64 s[18:19], 0
.LBB23_1221:
	s_andn2_b64 vcc, exec, s[18:19]
	s_cbranch_vccnz .LBB23_1227
; %bb.1222:
	global_load_ubyte v2, v[4:5], off
	s_movk_i32 s18, 0x7f
	s_mov_b64 s[20:21], 0
	s_waitcnt vmcnt(0)
	v_cmp_lt_i16_e32 vcc, s18, v2
	s_and_saveexec_b64 s[18:19], vcc
	s_xor_b64 s[18:19], exec, s[18:19]
	s_cbranch_execz .LBB23_1239
; %bb.1223:
	s_movk_i32 s20, 0x80
	v_cmp_ne_u16_e32 vcc, s20, v2
	s_and_b64 s[20:21], vcc, exec
	s_andn2_saveexec_b64 s[18:19], s[18:19]
	s_cbranch_execnz .LBB23_1240
.LBB23_1224:
	s_or_b64 exec, exec, s[18:19]
	v_mov_b32_e32 v1, 0
	s_and_saveexec_b64 s[18:19], s[20:21]
	s_cbranch_execz .LBB23_1226
.LBB23_1225:
	v_lshlrev_b32_e32 v1, 24, v2
	v_and_b32_e32 v2, 0xffff, v2
	v_and_b32_e32 v6, 7, v2
	v_ffbh_u32_e32 v8, v6
	v_min_u32_e32 v8, 32, v8
	v_subrev_u32_e32 v9, 28, v8
	v_bfe_u32 v7, v2, 3, 4
	v_lshlrev_b32_e32 v2, v9, v2
	v_sub_u32_e32 v8, 29, v8
	v_and_b32_e32 v2, 7, v2
	v_cmp_eq_u32_e32 vcc, 0, v7
	v_cndmask_b32_e32 v7, v7, v8, vcc
	v_cndmask_b32_e32 v2, v6, v2, vcc
	v_mov_b32_e32 v6, 0x3b800000
	v_lshlrev_b32_e32 v2, 20, v2
	v_and_b32_e32 v1, 0x80000000, v1
	v_lshl_add_u32 v6, v7, 23, v6
	v_or3_b32 v1, v1, v6, v2
	v_cvt_i32_f32_e32 v1, v1
.LBB23_1226:
	s_or_b64 exec, exec, s[18:19]
.LBB23_1227:
	s_mov_b64 s[18:19], -1
.LBB23_1228:
	s_mov_b64 s[20:21], 0
.LBB23_1229:
	s_and_b64 vcc, exec, s[20:21]
	s_cbranch_vccz .LBB23_1260
; %bb.1230:
	s_cmp_gt_i32 s22, 22
	s_cbranch_scc0 .LBB23_1238
; %bb.1231:
	s_cmp_lt_i32 s22, 24
	s_cbranch_scc1 .LBB23_1241
; %bb.1232:
	s_cmp_gt_i32 s22, 24
	s_cbranch_scc0 .LBB23_1242
; %bb.1233:
	global_load_ubyte v2, v[4:5], off
	s_movk_i32 s16, 0x7f
	s_mov_b64 s[18:19], 0
	s_waitcnt vmcnt(0)
	v_cmp_lt_i16_e32 vcc, s16, v2
	s_and_saveexec_b64 s[16:17], vcc
	s_xor_b64 s[16:17], exec, s[16:17]
	s_cbranch_execz .LBB23_1254
; %bb.1234:
	s_movk_i32 s18, 0x80
	v_cmp_ne_u16_e32 vcc, s18, v2
	s_and_b64 s[18:19], vcc, exec
	s_andn2_saveexec_b64 s[16:17], s[16:17]
	s_cbranch_execnz .LBB23_1255
.LBB23_1235:
	s_or_b64 exec, exec, s[16:17]
	v_mov_b32_e32 v1, 0
	s_and_saveexec_b64 s[16:17], s[18:19]
	s_cbranch_execz .LBB23_1237
.LBB23_1236:
	v_lshlrev_b32_e32 v1, 24, v2
	v_and_b32_e32 v2, 0xffff, v2
	v_and_b32_e32 v6, 3, v2
	v_ffbh_u32_e32 v8, v6
	v_min_u32_e32 v8, 32, v8
	v_subrev_u32_e32 v9, 29, v8
	v_bfe_u32 v7, v2, 2, 5
	v_lshlrev_b32_e32 v2, v9, v2
	v_sub_u32_e32 v8, 30, v8
	v_and_b32_e32 v2, 3, v2
	v_cmp_eq_u32_e32 vcc, 0, v7
	v_cndmask_b32_e32 v7, v7, v8, vcc
	v_cndmask_b32_e32 v2, v6, v2, vcc
	v_mov_b32_e32 v6, 0x37800000
	v_lshlrev_b32_e32 v2, 21, v2
	v_and_b32_e32 v1, 0x80000000, v1
	v_lshl_add_u32 v6, v7, 23, v6
	v_or3_b32 v1, v1, v6, v2
	v_cvt_i32_f32_e32 v1, v1
.LBB23_1237:
	s_or_b64 exec, exec, s[16:17]
	s_mov_b64 s[16:17], 0
	s_branch .LBB23_1243
.LBB23_1238:
	s_mov_b64 s[16:17], -1
                                        ; implicit-def: $vgpr1
	s_branch .LBB23_1249
.LBB23_1239:
	s_andn2_saveexec_b64 s[18:19], s[18:19]
	s_cbranch_execz .LBB23_1224
.LBB23_1240:
	v_cmp_ne_u16_e32 vcc, 0, v2
	s_andn2_b64 s[20:21], s[20:21], exec
	s_and_b64 s[30:31], vcc, exec
	s_or_b64 s[20:21], s[20:21], s[30:31]
	s_or_b64 exec, exec, s[18:19]
	v_mov_b32_e32 v1, 0
	s_and_saveexec_b64 s[18:19], s[20:21]
	s_cbranch_execnz .LBB23_1225
	s_branch .LBB23_1226
.LBB23_1241:
	s_mov_b64 s[16:17], -1
                                        ; implicit-def: $vgpr1
	s_branch .LBB23_1246
.LBB23_1242:
	s_mov_b64 s[16:17], -1
                                        ; implicit-def: $vgpr1
.LBB23_1243:
	s_and_b64 vcc, exec, s[16:17]
	s_cbranch_vccz .LBB23_1245
; %bb.1244:
	global_load_ubyte v1, v[4:5], off
	s_mov_b32 s16, 0x7f800000
	s_waitcnt vmcnt(0)
	v_lshlrev_b32_e32 v1, 24, v1
	v_and_b32_e32 v2, 0x7f000000, v1
	v_ffbh_u32_e32 v6, v2
	v_min_u32_e32 v6, 32, v6
	v_sub_u32_e64 v6, v6, 4 clamp
	v_lshlrev_b32_e32 v8, v6, v2
	v_lshlrev_b32_e32 v6, 23, v6
	v_lshrrev_b32_e32 v8, 4, v8
	v_add_u32_e32 v7, 0x1000000, v2
	v_sub_u32_e32 v6, v8, v6
	v_ashrrev_i32_e32 v7, 8, v7
	v_add_u32_e32 v6, 0x3c000000, v6
	v_and_or_b32 v6, v7, s16, v6
	v_cmp_ne_u32_e32 vcc, 0, v2
	v_cndmask_b32_e32 v2, 0, v6, vcc
	s_brev_b32 s16, 1
	v_and_or_b32 v1, v1, s16, v2
	v_cvt_i32_f32_e32 v1, v1
.LBB23_1245:
	s_mov_b64 s[16:17], 0
.LBB23_1246:
	s_andn2_b64 vcc, exec, s[16:17]
	s_cbranch_vccnz .LBB23_1248
; %bb.1247:
	global_load_ubyte v1, v[4:5], off
	s_movk_i32 s16, 0x7f00
	s_brev_b32 s17, 16
	s_waitcnt vmcnt(0)
	v_lshlrev_b16_e32 v2, 8, v1
	v_lshlrev_b32_e32 v1, 25, v1
	v_lshrrev_b32_e32 v6, 4, v1
	v_and_or_b32 v7, v2, s16, 0.5
	v_or_b32_e32 v6, 0x70000000, v6
	v_add_f32_e32 v7, -0.5, v7
	v_mul_f32_e32 v6, 0x7800000, v6
	v_cmp_gt_u32_e32 vcc, s17, v1
	v_bfe_i32 v2, v2, 0, 16
	v_cndmask_b32_e32 v1, v6, v7, vcc
	s_brev_b32 s16, 1
	v_and_or_b32 v1, v2, s16, v1
	v_cvt_i32_f32_e32 v1, v1
.LBB23_1248:
	s_mov_b64 s[16:17], 0
	s_mov_b64 s[18:19], -1
.LBB23_1249:
	s_andn2_b64 vcc, exec, s[16:17]
	s_mov_b64 s[16:17], 0
	s_cbranch_vccnz .LBB23_1260
; %bb.1250:
	s_cmp_gt_i32 s22, 14
	s_cbranch_scc0 .LBB23_1253
; %bb.1251:
	s_cmp_eq_u32 s22, 15
	s_cbranch_scc0 .LBB23_1256
; %bb.1252:
	global_load_ushort v1, v[4:5], off
	s_mov_b64 s[10:11], 0
	s_mov_b64 s[18:19], -1
	s_waitcnt vmcnt(0)
	v_lshlrev_b32_e32 v1, 16, v1
	v_cvt_i32_f32_e32 v1, v1
	s_branch .LBB23_1257
.LBB23_1253:
	s_mov_b64 s[20:21], -1
                                        ; implicit-def: $vgpr1
	s_branch .LBB23_1258
.LBB23_1254:
	s_andn2_saveexec_b64 s[16:17], s[16:17]
	s_cbranch_execz .LBB23_1235
.LBB23_1255:
	v_cmp_ne_u16_e32 vcc, 0, v2
	s_andn2_b64 s[18:19], s[18:19], exec
	s_and_b64 s[20:21], vcc, exec
	s_or_b64 s[18:19], s[18:19], s[20:21]
	s_or_b64 exec, exec, s[16:17]
	v_mov_b32_e32 v1, 0
	s_and_saveexec_b64 s[16:17], s[18:19]
	s_cbranch_execnz .LBB23_1236
	s_branch .LBB23_1237
.LBB23_1256:
	s_mov_b64 s[10:11], -1
                                        ; implicit-def: $vgpr1
.LBB23_1257:
	s_mov_b64 s[20:21], 0
.LBB23_1258:
	s_and_b64 vcc, exec, s[20:21]
	s_cbranch_vccz .LBB23_1260
; %bb.1259:
	s_cmp_lg_u32 s22, 11
	s_cselect_b64 s[20:21], -1, 0
	s_andn2_b64 s[10:11], s[10:11], exec
	s_and_b64 s[20:21], s[20:21], exec
	s_mov_b64 s[16:17], -1
	s_or_b64 s[10:11], s[10:11], s[20:21]
.LBB23_1260:
	s_mov_b64 s[20:21], 0
.LBB23_1261:
	s_and_b64 s[64:65], s[16:17], exec
	s_andn2_b64 s[16:17], s[0:1], exec
	s_and_b64 s[10:11], s[10:11], exec
	s_and_b64 s[66:67], s[18:19], exec
	;; [unrolled: 1-line block ×3, first 2 shown]
	s_or_b64 s[68:69], s[16:17], s[10:11]
.LBB23_1262:
	s_or_b64 exec, exec, s[58:59]
	s_andn2_b64 s[0:1], s[0:1], exec
	s_and_b64 s[10:11], s[68:69], exec
	s_and_b64 s[66:67], s[66:67], exec
	;; [unrolled: 1-line block ×4, first 2 shown]
	s_or_b64 s[0:1], s[0:1], s[10:11]
.LBB23_1263:
	s_or_b64 exec, exec, s[56:57]
	s_andn2_b64 s[10:11], s[52:53], exec
	s_and_b64 s[16:17], s[62:63], exec
	s_or_b64 s[52:53], s[10:11], s[16:17]
	s_andn2_b64 s[10:11], s[50:51], exec
	s_and_b64 s[16:17], s[60:61], exec
	s_or_b64 s[50:51], s[10:11], s[16:17]
	s_andn2_b64 s[10:11], s[48:49], exec
	s_and_b64 s[0:1], s[0:1], exec
	s_and_b64 s[60:61], s[66:67], exec
	;; [unrolled: 1-line block ×4, first 2 shown]
	s_or_b64 s[48:49], s[10:11], s[0:1]
.LBB23_1264:
	s_or_b64 exec, exec, s[54:55]
	s_andn2_b64 s[0:1], s[40:41], exec
	s_and_b64 s[10:11], s[52:53], exec
	s_or_b64 s[40:41], s[0:1], s[10:11]
	s_andn2_b64 s[0:1], s[42:43], exec
	s_and_b64 s[10:11], s[50:51], exec
	s_or_b64 s[42:43], s[0:1], s[10:11]
	s_andn2_b64 s[0:1], s[44:45], exec
	s_and_b64 s[10:11], s[48:49], exec
	s_and_b64 s[52:53], s[60:61], exec
	;; [unrolled: 1-line block ×4, first 2 shown]
	s_or_b64 s[44:45], s[0:1], s[10:11]
	s_or_b64 exec, exec, s[46:47]
	s_mov_b64 s[10:11], 0
	s_and_saveexec_b64 s[0:1], s[44:45]
	s_cbranch_execz .LBB23_395
.LBB23_1265:
	s_mov_b64 s[10:11], exec
	s_andn2_b64 s[50:51], s[50:51], exec
	s_trap 2
	s_or_b64 exec, exec, s[0:1]
	s_and_saveexec_b64 s[0:1], s[50:51]
	s_xor_b64 s[0:1], exec, s[0:1]
	s_cbranch_execnz .LBB23_396
.LBB23_1266:
	s_or_b64 exec, exec, s[0:1]
	s_and_saveexec_b64 s[0:1], s[54:55]
	s_cbranch_execz .LBB23_1312
.LBB23_1267:
	s_sext_i32_i16 s16, s14
	s_cmp_lt_i32 s16, 5
	s_cbranch_scc1 .LBB23_1272
; %bb.1268:
	s_cmp_lt_i32 s16, 8
	s_cbranch_scc1 .LBB23_1273
; %bb.1269:
	;; [unrolled: 3-line block ×3, first 2 shown]
	s_cmp_gt_i32 s16, 9
	s_cbranch_scc0 .LBB23_1275
; %bb.1271:
	s_waitcnt vmcnt(0)
	global_load_dwordx2 v[1:2], v[4:5], off
	s_mov_b64 s[16:17], 0
	s_waitcnt vmcnt(0)
	v_cvt_i32_f64_e32 v1, v[1:2]
	s_branch .LBB23_1276
.LBB23_1272:
                                        ; implicit-def: $vgpr1
	s_branch .LBB23_1293
.LBB23_1273:
                                        ; implicit-def: $vgpr1
	s_branch .LBB23_1282
.LBB23_1274:
	s_mov_b64 s[16:17], -1
                                        ; implicit-def: $vgpr1
	s_branch .LBB23_1279
.LBB23_1275:
	s_mov_b64 s[16:17], -1
                                        ; implicit-def: $vgpr1
.LBB23_1276:
	s_andn2_b64 vcc, exec, s[16:17]
	s_cbranch_vccnz .LBB23_1278
; %bb.1277:
	s_waitcnt vmcnt(0)
	global_load_dword v1, v[4:5], off
	s_waitcnt vmcnt(0)
	v_cvt_i32_f32_e32 v1, v1
.LBB23_1278:
	s_mov_b64 s[16:17], 0
.LBB23_1279:
	s_andn2_b64 vcc, exec, s[16:17]
	s_cbranch_vccnz .LBB23_1281
; %bb.1280:
	s_waitcnt vmcnt(0)
	global_load_dword v1, v[4:5], off
	s_waitcnt vmcnt(0)
	v_cvt_i16_f16_e32 v1, v1
.LBB23_1281:
	s_cbranch_execnz .LBB23_1292
.LBB23_1282:
	s_sext_i32_i16 s16, s14
	s_cmp_lt_i32 s16, 6
	s_cbranch_scc1 .LBB23_1285
; %bb.1283:
	s_cmp_gt_i32 s16, 6
	s_cbranch_scc0 .LBB23_1286
; %bb.1284:
	s_waitcnt vmcnt(0)
	global_load_dwordx2 v[1:2], v[4:5], off
	s_mov_b64 s[16:17], 0
	s_waitcnt vmcnt(0)
	v_cvt_i32_f64_e32 v1, v[1:2]
	s_branch .LBB23_1287
.LBB23_1285:
	s_mov_b64 s[16:17], -1
                                        ; implicit-def: $vgpr1
	s_branch .LBB23_1290
.LBB23_1286:
	s_mov_b64 s[16:17], -1
                                        ; implicit-def: $vgpr1
.LBB23_1287:
	s_andn2_b64 vcc, exec, s[16:17]
	s_cbranch_vccnz .LBB23_1289
; %bb.1288:
	s_waitcnt vmcnt(0)
	global_load_dword v1, v[4:5], off
	s_waitcnt vmcnt(0)
	v_cvt_i32_f32_e32 v1, v1
.LBB23_1289:
	s_mov_b64 s[16:17], 0
.LBB23_1290:
	s_andn2_b64 vcc, exec, s[16:17]
	s_cbranch_vccnz .LBB23_1292
; %bb.1291:
	s_waitcnt vmcnt(0)
	global_load_ushort v1, v[4:5], off
	s_waitcnt vmcnt(0)
	v_cvt_i16_f16_e32 v1, v1
.LBB23_1292:
	s_cbranch_execnz .LBB23_1311
.LBB23_1293:
	s_sext_i32_i16 s16, s14
	s_cmp_lt_i32 s16, 2
	s_cbranch_scc1 .LBB23_1297
; %bb.1294:
	s_cmp_lt_i32 s16, 3
	s_cbranch_scc1 .LBB23_1298
; %bb.1295:
	s_cmp_gt_i32 s16, 3
	s_cbranch_scc0 .LBB23_1299
; %bb.1296:
	s_waitcnt vmcnt(0)
	global_load_dwordx2 v[1:2], v[4:5], off
	s_mov_b64 s[16:17], 0
	s_branch .LBB23_1300
.LBB23_1297:
                                        ; implicit-def: $vgpr1
	s_branch .LBB23_1306
.LBB23_1298:
	s_mov_b64 s[16:17], -1
                                        ; implicit-def: $vgpr1
	s_branch .LBB23_1303
.LBB23_1299:
	s_mov_b64 s[16:17], -1
                                        ; implicit-def: $vgpr1
.LBB23_1300:
	s_andn2_b64 vcc, exec, s[16:17]
	s_cbranch_vccnz .LBB23_1302
; %bb.1301:
	s_waitcnt vmcnt(0)
	global_load_dword v1, v[4:5], off
.LBB23_1302:
	s_mov_b64 s[16:17], 0
.LBB23_1303:
	s_andn2_b64 vcc, exec, s[16:17]
	s_cbranch_vccnz .LBB23_1305
; %bb.1304:
	s_waitcnt vmcnt(0)
	global_load_ushort v1, v[4:5], off
.LBB23_1305:
	s_cbranch_execnz .LBB23_1311
.LBB23_1306:
	s_sext_i32_i16 s14, s14
	s_cmp_gt_i32 s14, 0
	s_cbranch_scc0 .LBB23_1308
; %bb.1307:
	s_waitcnt vmcnt(0)
	global_load_ubyte v1, v[4:5], off
	s_mov_b64 s[16:17], 0
	s_branch .LBB23_1309
.LBB23_1308:
	s_mov_b64 s[16:17], -1
                                        ; implicit-def: $vgpr1
.LBB23_1309:
	s_andn2_b64 vcc, exec, s[16:17]
	s_cbranch_vccnz .LBB23_1311
; %bb.1310:
	s_waitcnt vmcnt(0)
	global_load_ubyte v1, v[4:5], off
.LBB23_1311:
	s_or_b64 s[52:53], s[52:53], exec
.LBB23_1312:
	s_or_b64 exec, exec, s[0:1]
	s_mov_b64 s[16:17], 0
	s_mov_b64 s[20:21], 0
	;; [unrolled: 1-line block ×3, first 2 shown]
                                        ; implicit-def: $sgpr14
                                        ; implicit-def: $vgpr4_vgpr5
                                        ; implicit-def: $vgpr6
	s_and_saveexec_b64 s[0:1], s[52:53]
	s_cbranch_execz .LBB23_1320
; %bb.1313:
	s_waitcnt vmcnt(0)
	v_mov_b32_e32 v2, s13
	s_and_b32 s14, s73, 0xff
	v_add_co_u32_e32 v4, vcc, s12, v3
	s_cmp_lt_i32 s14, 11
	v_addc_co_u32_e32 v5, vcc, 0, v2, vcc
	s_cbranch_scc1 .LBB23_1323
; %bb.1314:
	s_and_b32 s22, 0xffff, s14
	s_cmp_gt_i32 s22, 25
	s_cbranch_scc0 .LBB23_1324
; %bb.1315:
	s_cmp_gt_i32 s22, 28
	s_cbranch_scc0 .LBB23_1325
; %bb.1316:
	;; [unrolled: 3-line block ×4, first 2 shown]
	s_cmp_eq_u32 s22, 46
	s_cbranch_scc0 .LBB23_1328
; %bb.1319:
	global_load_dword v2, v[4:5], off
	s_mov_b64 s[12:13], 0
	s_mov_b64 s[18:19], -1
	s_waitcnt vmcnt(0)
	v_lshlrev_b32_e32 v2, 16, v2
	v_cvt_i32_f32_e32 v6, v2
	s_branch .LBB23_1330
.LBB23_1320:
	s_or_b64 exec, exec, s[0:1]
	s_and_saveexec_b64 s[0:1], s[42:43]
	s_cbranch_execnz .LBB23_1389
.LBB23_1321:
	s_or_b64 exec, exec, s[0:1]
	s_and_saveexec_b64 s[0:1], s[16:17]
	s_xor_b64 s[0:1], exec, s[0:1]
	s_cbranch_execz .LBB23_1390
.LBB23_1322:
	s_waitcnt vmcnt(0)
	global_load_ubyte v2, v[4:5], off
	s_or_b64 s[18:19], s[18:19], exec
	s_waitcnt vmcnt(0)
	v_cmp_ne_u16_e32 vcc, 0, v2
	v_cndmask_b32_e64 v6, 0, 1, vcc
	s_or_b64 exec, exec, s[0:1]
	s_and_saveexec_b64 s[0:1], s[20:21]
	s_cbranch_execz .LBB23_1436
	s_branch .LBB23_1391
.LBB23_1323:
	s_mov_b64 s[20:21], -1
                                        ; implicit-def: $vgpr6
	s_mov_b64 s[12:13], s[42:43]
	s_branch .LBB23_1388
.LBB23_1324:
	s_mov_b64 s[12:13], s[42:43]
                                        ; implicit-def: $vgpr6
	s_cbranch_execnz .LBB23_1357
	s_branch .LBB23_1387
.LBB23_1325:
	s_mov_b64 s[20:21], -1
	s_mov_b64 s[12:13], s[42:43]
                                        ; implicit-def: $vgpr6
	s_branch .LBB23_1340
.LBB23_1326:
	s_mov_b64 s[20:21], -1
	s_mov_b64 s[12:13], s[42:43]
                                        ; implicit-def: $vgpr6
	s_branch .LBB23_1335
.LBB23_1327:
	s_mov_b64 s[20:21], -1
	s_mov_b64 s[12:13], s[42:43]
	s_branch .LBB23_1329
.LBB23_1328:
	s_mov_b64 s[12:13], -1
.LBB23_1329:
                                        ; implicit-def: $vgpr6
.LBB23_1330:
	s_and_b64 vcc, exec, s[20:21]
	s_cbranch_vccz .LBB23_1334
; %bb.1331:
	s_cmp_eq_u32 s22, 44
	s_cbranch_scc0 .LBB23_1333
; %bb.1332:
	global_load_ubyte v2, v[4:5], off
	s_mov_b64 s[12:13], 0
	s_mov_b64 s[18:19], -1
	s_waitcnt vmcnt(0)
	v_lshlrev_b32_e32 v3, 23, v2
	v_cvt_i32_f32_e32 v3, v3
	v_cmp_ne_u32_e32 vcc, 0, v2
	v_cndmask_b32_e32 v6, 0, v3, vcc
	s_branch .LBB23_1334
.LBB23_1333:
	s_mov_b64 s[12:13], -1
                                        ; implicit-def: $vgpr6
.LBB23_1334:
	s_mov_b64 s[20:21], 0
.LBB23_1335:
	s_and_b64 vcc, exec, s[20:21]
	s_cbranch_vccz .LBB23_1339
; %bb.1336:
	s_cmp_eq_u32 s22, 29
	s_cbranch_scc0 .LBB23_1338
; %bb.1337:
	global_load_dwordx2 v[6:7], v[4:5], off
	s_mov_b64 s[12:13], 0
	s_mov_b64 s[18:19], -1
	s_branch .LBB23_1339
.LBB23_1338:
	s_mov_b64 s[12:13], -1
                                        ; implicit-def: $vgpr6
.LBB23_1339:
	s_mov_b64 s[20:21], 0
.LBB23_1340:
	s_and_b64 vcc, exec, s[20:21]
	s_cbranch_vccz .LBB23_1356
; %bb.1341:
	s_cmp_lt_i32 s22, 27
	s_cbranch_scc1 .LBB23_1344
; %bb.1342:
	s_cmp_gt_i32 s22, 27
	s_cbranch_scc0 .LBB23_1345
; %bb.1343:
	global_load_dword v6, v[4:5], off
	s_mov_b64 s[18:19], 0
	s_branch .LBB23_1346
.LBB23_1344:
	s_mov_b64 s[18:19], -1
                                        ; implicit-def: $vgpr6
	s_branch .LBB23_1349
.LBB23_1345:
	s_mov_b64 s[18:19], -1
                                        ; implicit-def: $vgpr6
.LBB23_1346:
	s_andn2_b64 vcc, exec, s[18:19]
	s_cbranch_vccnz .LBB23_1348
; %bb.1347:
	global_load_ushort v6, v[4:5], off
.LBB23_1348:
	s_mov_b64 s[18:19], 0
.LBB23_1349:
	s_andn2_b64 vcc, exec, s[18:19]
	s_cbranch_vccnz .LBB23_1355
; %bb.1350:
	global_load_ubyte v2, v[4:5], off
	s_movk_i32 s18, 0x7f
	s_mov_b64 s[20:21], 0
	s_waitcnt vmcnt(0)
	v_cmp_lt_i16_e32 vcc, s18, v2
	s_and_saveexec_b64 s[18:19], vcc
	s_xor_b64 s[18:19], exec, s[18:19]
	s_cbranch_execz .LBB23_1366
; %bb.1351:
	s_movk_i32 s20, 0x80
	v_cmp_ne_u16_e32 vcc, s20, v2
	s_and_b64 s[20:21], vcc, exec
	s_andn2_saveexec_b64 s[18:19], s[18:19]
	s_cbranch_execnz .LBB23_1367
.LBB23_1352:
	s_or_b64 exec, exec, s[18:19]
	v_mov_b32_e32 v6, 0
	s_and_saveexec_b64 s[18:19], s[20:21]
	s_cbranch_execz .LBB23_1354
.LBB23_1353:
	v_lshlrev_b32_e32 v3, 24, v2
	v_and_b32_e32 v2, 0xffff, v2
	v_and_b32_e32 v6, 7, v2
	v_ffbh_u32_e32 v8, v6
	v_min_u32_e32 v8, 32, v8
	v_subrev_u32_e32 v9, 28, v8
	v_bfe_u32 v7, v2, 3, 4
	v_lshlrev_b32_e32 v2, v9, v2
	v_sub_u32_e32 v8, 29, v8
	v_and_b32_e32 v2, 7, v2
	v_cmp_eq_u32_e32 vcc, 0, v7
	v_cndmask_b32_e32 v7, v7, v8, vcc
	v_cndmask_b32_e32 v2, v6, v2, vcc
	v_mov_b32_e32 v6, 0x3b800000
	v_lshlrev_b32_e32 v2, 20, v2
	v_and_b32_e32 v3, 0x80000000, v3
	v_lshl_add_u32 v6, v7, 23, v6
	v_or3_b32 v2, v3, v6, v2
	v_cvt_i32_f32_e32 v6, v2
.LBB23_1354:
	s_or_b64 exec, exec, s[18:19]
.LBB23_1355:
	s_mov_b64 s[18:19], -1
.LBB23_1356:
	s_branch .LBB23_1387
.LBB23_1357:
	s_cmp_gt_i32 s22, 22
	s_cbranch_scc0 .LBB23_1365
; %bb.1358:
	s_cmp_lt_i32 s22, 24
	s_cbranch_scc1 .LBB23_1368
; %bb.1359:
	s_cmp_gt_i32 s22, 24
	s_cbranch_scc0 .LBB23_1369
; %bb.1360:
	global_load_ubyte v2, v[4:5], off
	s_movk_i32 s16, 0x7f
	s_mov_b64 s[18:19], 0
	s_waitcnt vmcnt(0)
	v_cmp_lt_i16_e32 vcc, s16, v2
	s_and_saveexec_b64 s[16:17], vcc
	s_xor_b64 s[16:17], exec, s[16:17]
	s_cbranch_execz .LBB23_1381
; %bb.1361:
	s_movk_i32 s18, 0x80
	v_cmp_ne_u16_e32 vcc, s18, v2
	s_and_b64 s[18:19], vcc, exec
	s_andn2_saveexec_b64 s[16:17], s[16:17]
	s_cbranch_execnz .LBB23_1382
.LBB23_1362:
	s_or_b64 exec, exec, s[16:17]
	v_mov_b32_e32 v6, 0
	s_and_saveexec_b64 s[16:17], s[18:19]
	s_cbranch_execz .LBB23_1364
.LBB23_1363:
	v_lshlrev_b32_e32 v3, 24, v2
	v_and_b32_e32 v2, 0xffff, v2
	v_and_b32_e32 v6, 3, v2
	v_ffbh_u32_e32 v8, v6
	v_min_u32_e32 v8, 32, v8
	v_subrev_u32_e32 v9, 29, v8
	v_bfe_u32 v7, v2, 2, 5
	v_lshlrev_b32_e32 v2, v9, v2
	v_sub_u32_e32 v8, 30, v8
	v_and_b32_e32 v2, 3, v2
	v_cmp_eq_u32_e32 vcc, 0, v7
	v_cndmask_b32_e32 v7, v7, v8, vcc
	v_cndmask_b32_e32 v2, v6, v2, vcc
	v_mov_b32_e32 v6, 0x37800000
	v_lshlrev_b32_e32 v2, 21, v2
	v_and_b32_e32 v3, 0x80000000, v3
	v_lshl_add_u32 v6, v7, 23, v6
	v_or3_b32 v2, v3, v6, v2
	v_cvt_i32_f32_e32 v6, v2
.LBB23_1364:
	s_or_b64 exec, exec, s[16:17]
	s_mov_b64 s[16:17], 0
	s_branch .LBB23_1370
.LBB23_1365:
	s_mov_b64 s[16:17], -1
                                        ; implicit-def: $vgpr6
	s_branch .LBB23_1376
.LBB23_1366:
	s_andn2_saveexec_b64 s[18:19], s[18:19]
	s_cbranch_execz .LBB23_1352
.LBB23_1367:
	v_cmp_ne_u16_e32 vcc, 0, v2
	s_andn2_b64 s[20:21], s[20:21], exec
	s_and_b64 s[30:31], vcc, exec
	s_or_b64 s[20:21], s[20:21], s[30:31]
	s_or_b64 exec, exec, s[18:19]
	v_mov_b32_e32 v6, 0
	s_and_saveexec_b64 s[18:19], s[20:21]
	s_cbranch_execnz .LBB23_1353
	s_branch .LBB23_1354
.LBB23_1368:
	s_mov_b64 s[16:17], -1
                                        ; implicit-def: $vgpr6
	s_branch .LBB23_1373
.LBB23_1369:
	s_mov_b64 s[16:17], -1
                                        ; implicit-def: $vgpr6
.LBB23_1370:
	s_and_b64 vcc, exec, s[16:17]
	s_cbranch_vccz .LBB23_1372
; %bb.1371:
	global_load_ubyte v2, v[4:5], off
	s_mov_b32 s16, 0x7f800000
	s_waitcnt vmcnt(0)
	v_lshlrev_b32_e32 v2, 24, v2
	v_and_b32_e32 v3, 0x7f000000, v2
	v_ffbh_u32_e32 v6, v3
	v_min_u32_e32 v6, 32, v6
	v_sub_u32_e64 v6, v6, 4 clamp
	v_lshlrev_b32_e32 v8, v6, v3
	v_lshlrev_b32_e32 v6, 23, v6
	v_lshrrev_b32_e32 v8, 4, v8
	v_add_u32_e32 v7, 0x1000000, v3
	v_sub_u32_e32 v6, v8, v6
	v_ashrrev_i32_e32 v7, 8, v7
	v_add_u32_e32 v6, 0x3c000000, v6
	v_and_or_b32 v6, v7, s16, v6
	v_cmp_ne_u32_e32 vcc, 0, v3
	v_cndmask_b32_e32 v3, 0, v6, vcc
	s_brev_b32 s16, 1
	v_and_or_b32 v2, v2, s16, v3
	v_cvt_i32_f32_e32 v6, v2
.LBB23_1372:
	s_mov_b64 s[16:17], 0
.LBB23_1373:
	s_andn2_b64 vcc, exec, s[16:17]
	s_cbranch_vccnz .LBB23_1375
; %bb.1374:
	global_load_ubyte v2, v[4:5], off
	s_movk_i32 s16, 0x7f00
	s_brev_b32 s17, 16
	s_waitcnt vmcnt(0)
	v_lshlrev_b16_e32 v3, 8, v2
	v_lshlrev_b32_e32 v2, 25, v2
	v_lshrrev_b32_e32 v6, 4, v2
	v_and_or_b32 v7, v3, s16, 0.5
	v_or_b32_e32 v6, 0x70000000, v6
	v_add_f32_e32 v7, -0.5, v7
	v_mul_f32_e32 v6, 0x7800000, v6
	v_cmp_gt_u32_e32 vcc, s17, v2
	v_bfe_i32 v3, v3, 0, 16
	v_cndmask_b32_e32 v2, v6, v7, vcc
	s_brev_b32 s16, 1
	v_and_or_b32 v2, v3, s16, v2
	v_cvt_i32_f32_e32 v6, v2
.LBB23_1375:
	s_mov_b64 s[16:17], 0
	s_mov_b64 s[18:19], -1
.LBB23_1376:
	s_andn2_b64 vcc, exec, s[16:17]
	s_mov_b64 s[16:17], 0
	s_cbranch_vccnz .LBB23_1387
; %bb.1377:
	s_cmp_gt_i32 s22, 14
	s_cbranch_scc0 .LBB23_1380
; %bb.1378:
	s_cmp_eq_u32 s22, 15
	s_cbranch_scc0 .LBB23_1383
; %bb.1379:
	global_load_ushort v2, v[4:5], off
	s_mov_b64 s[12:13], 0
	s_mov_b64 s[18:19], -1
	s_waitcnt vmcnt(0)
	v_lshlrev_b32_e32 v2, 16, v2
	v_cvt_i32_f32_e32 v6, v2
	s_branch .LBB23_1384
.LBB23_1380:
	s_mov_b64 s[20:21], -1
                                        ; implicit-def: $vgpr6
	s_branch .LBB23_1385
.LBB23_1381:
	s_andn2_saveexec_b64 s[16:17], s[16:17]
	s_cbranch_execz .LBB23_1362
.LBB23_1382:
	v_cmp_ne_u16_e32 vcc, 0, v2
	s_andn2_b64 s[18:19], s[18:19], exec
	s_and_b64 s[20:21], vcc, exec
	s_or_b64 s[18:19], s[18:19], s[20:21]
	s_or_b64 exec, exec, s[16:17]
	v_mov_b32_e32 v6, 0
	s_and_saveexec_b64 s[16:17], s[18:19]
	s_cbranch_execnz .LBB23_1363
	s_branch .LBB23_1364
.LBB23_1383:
	s_mov_b64 s[12:13], -1
                                        ; implicit-def: $vgpr6
.LBB23_1384:
	s_mov_b64 s[20:21], 0
.LBB23_1385:
	s_and_b64 vcc, exec, s[20:21]
	s_cbranch_vccz .LBB23_1387
; %bb.1386:
	s_cmp_lg_u32 s22, 11
	s_cselect_b64 s[20:21], -1, 0
	s_andn2_b64 s[12:13], s[12:13], exec
	s_and_b64 s[20:21], s[20:21], exec
	s_mov_b64 s[16:17], -1
	s_or_b64 s[12:13], s[12:13], s[20:21]
.LBB23_1387:
	s_mov_b64 s[20:21], 0
.LBB23_1388:
	s_andn2_b64 s[22:23], s[42:43], exec
	s_and_b64 s[12:13], s[12:13], exec
	s_and_b64 s[18:19], s[18:19], exec
	;; [unrolled: 1-line block ×4, first 2 shown]
	s_or_b64 s[42:43], s[22:23], s[12:13]
	s_or_b64 exec, exec, s[0:1]
	s_and_saveexec_b64 s[0:1], s[42:43]
	s_cbranch_execz .LBB23_1321
.LBB23_1389:
	s_or_b64 s[10:11], s[10:11], exec
	s_andn2_b64 s[16:17], s[16:17], exec
	s_trap 2
	s_or_b64 exec, exec, s[0:1]
	s_and_saveexec_b64 s[0:1], s[16:17]
	s_xor_b64 s[0:1], exec, s[0:1]
	s_cbranch_execnz .LBB23_1322
.LBB23_1390:
	s_or_b64 exec, exec, s[0:1]
	s_and_saveexec_b64 s[0:1], s[20:21]
	s_cbranch_execz .LBB23_1436
.LBB23_1391:
	s_sext_i32_i16 s12, s14
	s_cmp_lt_i32 s12, 5
	s_cbranch_scc1 .LBB23_1396
; %bb.1392:
	s_cmp_lt_i32 s12, 8
	s_cbranch_scc1 .LBB23_1397
; %bb.1393:
	;; [unrolled: 3-line block ×3, first 2 shown]
	s_cmp_gt_i32 s12, 9
	s_cbranch_scc0 .LBB23_1399
; %bb.1395:
	s_waitcnt vmcnt(0)
	global_load_dwordx2 v[2:3], v[4:5], off
	s_mov_b64 s[12:13], 0
	s_waitcnt vmcnt(0)
	v_cvt_i32_f64_e32 v6, v[2:3]
	s_branch .LBB23_1400
.LBB23_1396:
                                        ; implicit-def: $vgpr6
	s_branch .LBB23_1417
.LBB23_1397:
                                        ; implicit-def: $vgpr6
	s_branch .LBB23_1406
.LBB23_1398:
	s_mov_b64 s[12:13], -1
                                        ; implicit-def: $vgpr6
	s_branch .LBB23_1403
.LBB23_1399:
	s_mov_b64 s[12:13], -1
                                        ; implicit-def: $vgpr6
.LBB23_1400:
	s_andn2_b64 vcc, exec, s[12:13]
	s_cbranch_vccnz .LBB23_1402
; %bb.1401:
	s_waitcnt vmcnt(0)
	global_load_dword v2, v[4:5], off
	s_waitcnt vmcnt(0)
	v_cvt_i32_f32_e32 v6, v2
.LBB23_1402:
	s_mov_b64 s[12:13], 0
.LBB23_1403:
	s_andn2_b64 vcc, exec, s[12:13]
	s_cbranch_vccnz .LBB23_1405
; %bb.1404:
	s_waitcnt vmcnt(0)
	global_load_dword v2, v[4:5], off
	s_waitcnt vmcnt(0)
	v_cvt_i16_f16_e32 v6, v2
.LBB23_1405:
	s_cbranch_execnz .LBB23_1416
.LBB23_1406:
	s_sext_i32_i16 s12, s14
	s_cmp_lt_i32 s12, 6
	s_cbranch_scc1 .LBB23_1409
; %bb.1407:
	s_cmp_gt_i32 s12, 6
	s_cbranch_scc0 .LBB23_1410
; %bb.1408:
	s_waitcnt vmcnt(0)
	global_load_dwordx2 v[2:3], v[4:5], off
	s_mov_b64 s[12:13], 0
	s_waitcnt vmcnt(0)
	v_cvt_i32_f64_e32 v6, v[2:3]
	s_branch .LBB23_1411
.LBB23_1409:
	s_mov_b64 s[12:13], -1
                                        ; implicit-def: $vgpr6
	s_branch .LBB23_1414
.LBB23_1410:
	s_mov_b64 s[12:13], -1
                                        ; implicit-def: $vgpr6
.LBB23_1411:
	s_andn2_b64 vcc, exec, s[12:13]
	s_cbranch_vccnz .LBB23_1413
; %bb.1412:
	s_waitcnt vmcnt(0)
	global_load_dword v2, v[4:5], off
	s_waitcnt vmcnt(0)
	v_cvt_i32_f32_e32 v6, v2
.LBB23_1413:
	s_mov_b64 s[12:13], 0
.LBB23_1414:
	s_andn2_b64 vcc, exec, s[12:13]
	s_cbranch_vccnz .LBB23_1416
; %bb.1415:
	s_waitcnt vmcnt(0)
	global_load_ushort v2, v[4:5], off
	s_waitcnt vmcnt(0)
	v_cvt_i16_f16_e32 v6, v2
.LBB23_1416:
	s_cbranch_execnz .LBB23_1435
.LBB23_1417:
	s_sext_i32_i16 s12, s14
	s_cmp_lt_i32 s12, 2
	s_cbranch_scc1 .LBB23_1421
; %bb.1418:
	s_cmp_lt_i32 s12, 3
	s_cbranch_scc1 .LBB23_1422
; %bb.1419:
	s_cmp_gt_i32 s12, 3
	s_cbranch_scc0 .LBB23_1423
; %bb.1420:
	s_waitcnt vmcnt(0)
	global_load_dwordx2 v[6:7], v[4:5], off
	s_mov_b64 s[12:13], 0
	s_branch .LBB23_1424
.LBB23_1421:
                                        ; implicit-def: $vgpr6
	s_branch .LBB23_1430
.LBB23_1422:
	s_mov_b64 s[12:13], -1
                                        ; implicit-def: $vgpr6
	s_branch .LBB23_1427
.LBB23_1423:
	s_mov_b64 s[12:13], -1
                                        ; implicit-def: $vgpr6
.LBB23_1424:
	s_andn2_b64 vcc, exec, s[12:13]
	s_cbranch_vccnz .LBB23_1426
; %bb.1425:
	s_waitcnt vmcnt(0)
	global_load_dword v6, v[4:5], off
.LBB23_1426:
	s_mov_b64 s[12:13], 0
.LBB23_1427:
	s_andn2_b64 vcc, exec, s[12:13]
	s_cbranch_vccnz .LBB23_1429
; %bb.1428:
	s_waitcnt vmcnt(0)
	global_load_ushort v6, v[4:5], off
.LBB23_1429:
	s_cbranch_execnz .LBB23_1435
.LBB23_1430:
	s_sext_i32_i16 s12, s14
	s_cmp_gt_i32 s12, 0
	s_cbranch_scc0 .LBB23_1432
; %bb.1431:
	s_waitcnt vmcnt(0)
	global_load_ubyte v6, v[4:5], off
	s_mov_b64 s[12:13], 0
	s_branch .LBB23_1433
.LBB23_1432:
	s_mov_b64 s[12:13], -1
                                        ; implicit-def: $vgpr6
.LBB23_1433:
	s_andn2_b64 vcc, exec, s[12:13]
	s_cbranch_vccnz .LBB23_1435
; %bb.1434:
	s_waitcnt vmcnt(0)
	global_load_ubyte v6, v[4:5], off
.LBB23_1435:
	s_or_b64 s[18:19], s[18:19], exec
.LBB23_1436:
	s_or_b64 exec, exec, s[0:1]
	s_mov_b64 s[22:23], 0
	s_mov_b64 s[20:21], 0
                                        ; implicit-def: $sgpr12_sgpr13
                                        ; implicit-def: $sgpr30
                                        ; implicit-def: $vgpr2_vgpr3
	s_and_saveexec_b64 s[16:17], s[18:19]
	s_cbranch_execz .LBB23_1511
; %bb.1437:
	s_waitcnt vmcnt(0)
	v_cmp_ne_u16_sdwa s[0:1], v1, v6 src0_sel:BYTE_0 src1_sel:BYTE_0
	s_xor_b64 s[12:13], s[28:29], s[0:1]
	v_mov_b32_e32 v1, s9
	s_and_b32 s30, s15, 0xff
	v_add_co_u32_e32 v2, vcc, s8, v0
	s_cmp_lt_i32 s30, 11
	v_addc_co_u32_e32 v3, vcc, 0, v1, vcc
	s_cbranch_scc1 .LBB23_1514
; %bb.1438:
	s_and_b32 s22, 0xffff, s30
	s_mov_b64 s[14:15], -1
	s_cmp_gt_i32 s22, 25
	s_mov_b64 s[0:1], s[40:41]
	s_cbranch_scc0 .LBB23_1471
; %bb.1439:
	s_mov_b64 s[8:9], -1
	s_cmp_gt_i32 s22, 28
	s_mov_b64 s[0:1], s[40:41]
	s_cbranch_scc0 .LBB23_1455
; %bb.1440:
	s_cmp_gt_i32 s22, 43
	s_mov_b64 s[0:1], s[40:41]
	s_cbranch_scc0 .LBB23_1451
; %bb.1441:
	;; [unrolled: 4-line block ×3, first 2 shown]
	s_cmp_eq_u32 s22, 46
	s_mov_b64 s[0:1], -1
	s_cbranch_scc0 .LBB23_1444
; %bb.1443:
	v_cndmask_b32_e64 v0, 0, 1.0, s[12:13]
	v_bfe_u32 v1, v0, 16, 1
	s_movk_i32 s0, 0x7fff
	v_add3_u32 v0, v0, v1, s0
	v_lshrrev_b32_e32 v0, 16, v0
	global_store_dword v[2:3], v0, off
	s_mov_b64 s[0:1], 0
.LBB23_1444:
	s_mov_b64 s[8:9], 0
.LBB23_1445:
	s_and_b64 vcc, exec, s[8:9]
	s_cbranch_vccz .LBB23_1450
; %bb.1446:
	s_cmp_eq_u32 s22, 44
	s_mov_b64 s[0:1], -1
	s_cbranch_scc0 .LBB23_1450
; %bb.1447:
	v_cndmask_b32_e64 v1, 0, 1.0, s[12:13]
	v_lshrrev_b32_e32 v0, 23, v1
	s_movk_i32 s0, 0xff
	v_cmp_ne_u32_e32 vcc, s0, v0
	v_mov_b32_e32 v4, 0xff
	s_and_saveexec_b64 s[8:9], vcc
; %bb.1448:
	s_mov_b32 s0, 0x3fffff
	v_and_b32_e32 v4, 0x400000, v1
	v_and_or_b32 v1, v1, s0, v0
	v_cmp_ne_u32_e32 vcc, 0, v4
	v_cmp_ne_u32_e64 s[0:1], 0, v1
	s_and_b64 s[0:1], vcc, s[0:1]
	v_cndmask_b32_e64 v1, 0, 1, s[0:1]
	v_add_u32_e32 v4, v0, v1
; %bb.1449:
	s_or_b64 exec, exec, s[8:9]
	s_mov_b64 s[0:1], 0
	global_store_byte v[2:3], v4, off
.LBB23_1450:
	s_mov_b64 s[8:9], 0
.LBB23_1451:
	s_and_b64 vcc, exec, s[8:9]
	s_cbranch_vccz .LBB23_1454
; %bb.1452:
	s_cmp_eq_u32 s22, 29
	s_mov_b64 s[0:1], -1
	s_cbranch_scc0 .LBB23_1454
; %bb.1453:
	s_mov_b32 s0, 0
	v_cndmask_b32_e64 v0, 0, 1, s[12:13]
	v_mov_b32_e32 v1, s0
	global_store_dwordx2 v[2:3], v[0:1], off
	s_mov_b64 s[0:1], 0
.LBB23_1454:
	s_mov_b64 s[8:9], 0
.LBB23_1455:
	s_and_b64 vcc, exec, s[8:9]
	s_cbranch_vccz .LBB23_1470
; %bb.1456:
	s_cmp_lt_i32 s22, 27
	s_mov_b64 s[8:9], -1
	s_cbranch_scc1 .LBB23_1462
; %bb.1457:
	s_cmp_gt_i32 s22, 27
	s_cbranch_scc0 .LBB23_1459
; %bb.1458:
	v_cndmask_b32_e64 v0, 0, 1, s[12:13]
	s_mov_b64 s[8:9], 0
	global_store_dword v[2:3], v0, off
.LBB23_1459:
	s_andn2_b64 vcc, exec, s[8:9]
	s_cbranch_vccnz .LBB23_1461
; %bb.1460:
	v_cndmask_b32_e64 v0, 0, 1, s[12:13]
	global_store_short v[2:3], v0, off
.LBB23_1461:
	s_mov_b64 s[8:9], 0
.LBB23_1462:
	s_andn2_b64 vcc, exec, s[8:9]
	s_cbranch_vccnz .LBB23_1470
; %bb.1463:
	v_cndmask_b32_e64 v1, 0, 1.0, s[12:13]
	s_mov_b32 s8, 0x43800000
	v_cmp_gt_u32_e32 vcc, s8, v1
	v_mov_b32_e32 v4, 0x80
	s_and_saveexec_b64 s[8:9], vcc
	s_cbranch_execz .LBB23_1469
; %bb.1464:
	s_mov_b32 s14, 0x3bffffff
	v_cmp_lt_u32_e32 vcc, s14, v1
	s_mov_b64 s[14:15], 0
                                        ; implicit-def: $vgpr0
	s_and_saveexec_b64 s[18:19], vcc
	s_xor_b64 s[18:19], exec, s[18:19]
	s_cbranch_execz .LBB23_1615
; %bb.1465:
	v_bfe_u32 v0, v1, 20, 1
	s_mov_b32 s20, 0x487ffff
	v_add3_u32 v0, v1, v0, s20
	s_mov_b64 s[14:15], exec
	v_lshrrev_b32_e32 v0, 20, v0
                                        ; implicit-def: $vgpr1
	s_andn2_saveexec_b64 s[18:19], s[18:19]
	s_cbranch_execnz .LBB23_1616
.LBB23_1466:
	s_or_b64 exec, exec, s[18:19]
	v_mov_b32_e32 v4, 0
	s_and_saveexec_b64 s[18:19], s[14:15]
.LBB23_1467:
	v_mov_b32_e32 v4, v0
.LBB23_1468:
	s_or_b64 exec, exec, s[18:19]
.LBB23_1469:
	s_or_b64 exec, exec, s[8:9]
	global_store_byte v[2:3], v4, off
.LBB23_1470:
	s_mov_b64 s[14:15], 0
.LBB23_1471:
	s_mov_b64 s[8:9], 0
	s_and_b64 vcc, exec, s[14:15]
	s_cbranch_vccz .LBB23_1515
; %bb.1472:
	s_cmp_gt_i32 s22, 22
	s_mov_b64 s[14:15], -1
	s_cbranch_scc0 .LBB23_1504
; %bb.1473:
	s_cmp_lt_i32 s22, 24
	s_cbranch_scc1 .LBB23_1493
; %bb.1474:
	s_cmp_gt_i32 s22, 24
	s_cbranch_scc0 .LBB23_1482
; %bb.1475:
	v_cndmask_b32_e64 v1, 0, 1.0, s[12:13]
	s_mov_b32 s14, 0x47800000
	v_cmp_gt_u32_e32 vcc, s14, v1
	v_mov_b32_e32 v4, 0x80
	s_and_saveexec_b64 s[14:15], vcc
	s_cbranch_execz .LBB23_1481
; %bb.1476:
	s_mov_b32 s18, 0x37ffffff
	v_cmp_lt_u32_e32 vcc, s18, v1
	s_mov_b64 s[18:19], 0
                                        ; implicit-def: $vgpr0
	s_and_saveexec_b64 s[20:21], vcc
	s_xor_b64 s[20:21], exec, s[20:21]
	s_cbranch_execz .LBB23_1735
; %bb.1477:
	v_bfe_u32 v0, v1, 21, 1
	s_mov_b32 s23, 0x88fffff
	v_add3_u32 v0, v1, v0, s23
	s_mov_b64 s[18:19], exec
	v_lshrrev_b32_e32 v0, 21, v0
                                        ; implicit-def: $vgpr1
	s_andn2_saveexec_b64 s[20:21], s[20:21]
	s_cbranch_execnz .LBB23_1736
.LBB23_1478:
	s_or_b64 exec, exec, s[20:21]
	v_mov_b32_e32 v4, 0
	s_and_saveexec_b64 s[20:21], s[18:19]
.LBB23_1479:
	v_mov_b32_e32 v4, v0
.LBB23_1480:
	s_or_b64 exec, exec, s[20:21]
.LBB23_1481:
	s_or_b64 exec, exec, s[14:15]
	s_mov_b64 s[14:15], 0
	global_store_byte v[2:3], v4, off
.LBB23_1482:
	s_and_b64 vcc, exec, s[14:15]
	s_cbranch_vccz .LBB23_1492
; %bb.1483:
	v_cndmask_b32_e64 v0, 0, 1.0, s[12:13]
	s_mov_b32 s14, 0x43f00000
	v_cmp_gt_u32_e32 vcc, s14, v0
                                        ; implicit-def: $vgpr1
	s_and_saveexec_b64 s[14:15], vcc
	s_xor_b64 s[14:15], exec, s[14:15]
	s_cbranch_execz .LBB23_1489
; %bb.1484:
	s_mov_b32 s18, 0x3c7fffff
	v_cmp_lt_u32_e32 vcc, s18, v0
                                        ; implicit-def: $vgpr1
	s_and_saveexec_b64 s[18:19], vcc
	s_xor_b64 s[18:19], exec, s[18:19]
; %bb.1485:
	v_bfe_u32 v1, v0, 20, 1
	s_mov_b32 s20, 0x407ffff
	v_add3_u32 v0, v0, v1, s20
	v_lshrrev_b32_e32 v1, 20, v0
	v_and_b32_e32 v0, 0xff00000, v0
	s_mov_b32 s20, 0x7f00000
	v_mov_b32_e32 v4, 0x7e
	v_cmp_ne_u32_e32 vcc, s20, v0
	v_cndmask_b32_e32 v1, v4, v1, vcc
                                        ; implicit-def: $vgpr0
; %bb.1486:
	s_andn2_saveexec_b64 s[18:19], s[18:19]
; %bb.1487:
	v_add_f32_e32 v1, 0x46800000, v0
; %bb.1488:
	s_or_b64 exec, exec, s[18:19]
                                        ; implicit-def: $vgpr0
.LBB23_1489:
	s_andn2_saveexec_b64 s[14:15], s[14:15]
; %bb.1490:
	s_mov_b32 s18, 0x7f800000
	v_mov_b32_e32 v1, 0x7e
	v_mov_b32_e32 v4, 0x7f
	v_cmp_lt_u32_e32 vcc, s18, v0
	v_cndmask_b32_e32 v1, v1, v4, vcc
; %bb.1491:
	s_or_b64 exec, exec, s[14:15]
	global_store_byte v[2:3], v1, off
.LBB23_1492:
	s_mov_b64 s[14:15], 0
.LBB23_1493:
	s_andn2_b64 vcc, exec, s[14:15]
	s_cbranch_vccnz .LBB23_1503
; %bb.1494:
	v_cndmask_b32_e64 v0, 0, 1.0, s[12:13]
	s_mov_b32 s14, 0x47800000
	v_cmp_gt_u32_e32 vcc, s14, v0
                                        ; implicit-def: $vgpr1
	s_and_saveexec_b64 s[14:15], vcc
	s_xor_b64 s[14:15], exec, s[14:15]
	s_cbranch_execz .LBB23_1500
; %bb.1495:
	s_mov_b32 s18, 0x387fffff
	v_cmp_lt_u32_e32 vcc, s18, v0
                                        ; implicit-def: $vgpr1
	s_and_saveexec_b64 s[18:19], vcc
	s_xor_b64 s[18:19], exec, s[18:19]
; %bb.1496:
	v_bfe_u32 v1, v0, 21, 1
	s_mov_b32 s20, 0x80fffff
	v_add3_u32 v0, v0, v1, s20
	v_lshrrev_b32_e32 v1, 21, v0
                                        ; implicit-def: $vgpr0
; %bb.1497:
	s_andn2_saveexec_b64 s[18:19], s[18:19]
; %bb.1498:
	v_add_f32_e32 v1, 0x43000000, v0
; %bb.1499:
	s_or_b64 exec, exec, s[18:19]
                                        ; implicit-def: $vgpr0
.LBB23_1500:
	s_andn2_saveexec_b64 s[14:15], s[14:15]
; %bb.1501:
	s_mov_b32 s18, 0x7f800000
	v_mov_b32_e32 v1, 0x7c
	v_mov_b32_e32 v4, 0x7f
	v_cmp_lt_u32_e32 vcc, s18, v0
	v_cndmask_b32_e32 v1, v1, v4, vcc
; %bb.1502:
	s_or_b64 exec, exec, s[14:15]
	global_store_byte v[2:3], v1, off
.LBB23_1503:
	s_mov_b64 s[14:15], 0
.LBB23_1504:
	s_andn2_b64 vcc, exec, s[14:15]
	s_mov_b64 s[14:15], 0
	s_cbranch_vccnz .LBB23_1516
; %bb.1505:
	s_cmp_gt_i32 s22, 14
	s_mov_b64 s[18:19], -1
	s_cbranch_scc0 .LBB23_1509
; %bb.1506:
	s_cmp_eq_u32 s22, 15
	s_mov_b64 s[0:1], -1
	s_cbranch_scc0 .LBB23_1508
; %bb.1507:
	v_cndmask_b32_e64 v0, 0, 1.0, s[12:13]
	v_bfe_u32 v1, v0, 16, 1
	s_movk_i32 s0, 0x7fff
	v_add3_u32 v0, v0, v1, s0
	global_store_short_d16_hi v[2:3], v0, off
	s_mov_b64 s[0:1], 0
.LBB23_1508:
	s_mov_b64 s[18:19], 0
.LBB23_1509:
	s_and_b64 vcc, exec, s[18:19]
	s_cbranch_vccz .LBB23_1516
; %bb.1510:
	s_cmp_lg_u32 s22, 11
	s_cselect_b64 s[18:19], -1, 0
	s_andn2_b64 s[0:1], s[0:1], exec
	s_and_b64 s[18:19], s[18:19], exec
	s_mov_b64 s[14:15], -1
	s_or_b64 s[0:1], s[0:1], s[18:19]
	s_branch .LBB23_1516
.LBB23_1511:
	s_or_b64 exec, exec, s[16:17]
	s_and_saveexec_b64 s[0:1], s[40:41]
	s_cbranch_execnz .LBB23_1517
.LBB23_1512:
	s_or_b64 exec, exec, s[0:1]
	s_and_saveexec_b64 s[0:1], s[22:23]
	s_xor_b64 s[0:1], exec, s[0:1]
	s_cbranch_execz .LBB23_1518
.LBB23_1513:
	v_cndmask_b32_e64 v0, 0, 1, s[12:13]
	s_waitcnt vmcnt(0)
	global_store_byte v[2:3], v0, off
	s_or_b64 exec, exec, s[0:1]
	s_and_saveexec_b64 s[0:1], s[20:21]
	s_xor_b64 s[0:1], exec, s[0:1]
	s_cbranch_execz .LBB23_1556
	s_branch .LBB23_1519
.LBB23_1514:
	s_mov_b64 s[14:15], 0
	s_mov_b64 s[8:9], -1
	s_mov_b64 s[0:1], s[40:41]
	s_branch .LBB23_1516
.LBB23_1515:
	s_mov_b64 s[14:15], 0
.LBB23_1516:
	s_and_b64 s[20:21], s[8:9], exec
	s_andn2_b64 s[8:9], s[40:41], exec
	s_and_b64 s[0:1], s[0:1], exec
	s_and_b64 s[22:23], s[14:15], exec
	s_or_b64 s[40:41], s[8:9], s[0:1]
	s_or_b64 exec, exec, s[16:17]
	s_and_saveexec_b64 s[0:1], s[40:41]
	s_cbranch_execz .LBB23_1512
.LBB23_1517:
	s_or_b64 s[10:11], s[10:11], exec
	s_andn2_b64 s[22:23], s[22:23], exec
	s_trap 2
	s_or_b64 exec, exec, s[0:1]
	s_and_saveexec_b64 s[0:1], s[22:23]
	s_xor_b64 s[0:1], exec, s[0:1]
	s_cbranch_execnz .LBB23_1513
.LBB23_1518:
	s_or_b64 exec, exec, s[0:1]
	s_and_saveexec_b64 s[0:1], s[20:21]
	s_xor_b64 s[0:1], exec, s[0:1]
	s_cbranch_execz .LBB23_1556
.LBB23_1519:
	s_sext_i32_i16 s14, s30
	s_cmp_lt_i32 s14, 5
	s_mov_b64 s[8:9], -1
	s_cbranch_scc1 .LBB23_1540
; %bb.1520:
	s_cmp_lt_i32 s14, 8
	s_cbranch_scc1 .LBB23_1530
; %bb.1521:
	s_cmp_lt_i32 s14, 9
	s_cbranch_scc1 .LBB23_1527
; %bb.1522:
	s_cmp_gt_i32 s14, 9
	s_cbranch_scc0 .LBB23_1524
; %bb.1523:
	v_cndmask_b32_e64 v0, 0, 1, s[12:13]
	s_waitcnt vmcnt(0)
	v_cvt_f64_u32_e32 v[4:5], v0
	v_mov_b32_e32 v6, 0
	v_mov_b32_e32 v7, v6
	s_mov_b64 s[8:9], 0
	global_store_dwordx4 v[2:3], v[4:7], off
.LBB23_1524:
	s_andn2_b64 vcc, exec, s[8:9]
	s_cbranch_vccnz .LBB23_1526
; %bb.1525:
	v_cndmask_b32_e64 v0, 0, 1.0, s[12:13]
	s_waitcnt vmcnt(0)
	v_mov_b32_e32 v1, 0
	global_store_dwordx2 v[2:3], v[0:1], off
.LBB23_1526:
	s_mov_b64 s[8:9], 0
.LBB23_1527:
	s_andn2_b64 vcc, exec, s[8:9]
	s_cbranch_vccnz .LBB23_1529
; %bb.1528:
	v_cndmask_b32_e64 v0, 0, 1.0, s[12:13]
	v_cvt_f16_f32_e32 v0, v0
	s_waitcnt vmcnt(0)
	global_store_dword v[2:3], v0, off
.LBB23_1529:
	s_mov_b64 s[8:9], 0
.LBB23_1530:
	s_andn2_b64 vcc, exec, s[8:9]
	s_cbranch_vccnz .LBB23_1539
; %bb.1531:
	s_sext_i32_i16 s14, s30
	s_cmp_lt_i32 s14, 6
	s_mov_b64 s[8:9], -1
	s_cbranch_scc1 .LBB23_1537
; %bb.1532:
	s_cmp_gt_i32 s14, 6
	s_cbranch_scc0 .LBB23_1534
; %bb.1533:
	v_cndmask_b32_e64 v0, 0, 1, s[12:13]
	s_waitcnt vmcnt(0)
	v_cvt_f64_u32_e32 v[0:1], v0
	s_mov_b64 s[8:9], 0
	global_store_dwordx2 v[2:3], v[0:1], off
.LBB23_1534:
	s_andn2_b64 vcc, exec, s[8:9]
	s_cbranch_vccnz .LBB23_1536
; %bb.1535:
	v_cndmask_b32_e64 v0, 0, 1.0, s[12:13]
	s_waitcnt vmcnt(0)
	global_store_dword v[2:3], v0, off
.LBB23_1536:
	s_mov_b64 s[8:9], 0
.LBB23_1537:
	s_andn2_b64 vcc, exec, s[8:9]
	s_cbranch_vccnz .LBB23_1539
; %bb.1538:
	v_cndmask_b32_e64 v0, 0, 1.0, s[12:13]
	v_cvt_f16_f32_e32 v0, v0
	s_waitcnt vmcnt(0)
	global_store_short v[2:3], v0, off
.LBB23_1539:
	s_mov_b64 s[8:9], 0
.LBB23_1540:
	s_andn2_b64 vcc, exec, s[8:9]
	s_cbranch_vccnz .LBB23_1556
; %bb.1541:
	s_sext_i32_i16 s14, s30
	s_cmp_lt_i32 s14, 2
	s_mov_b64 s[8:9], -1
	s_cbranch_scc1 .LBB23_1551
; %bb.1542:
	s_cmp_lt_i32 s14, 3
	s_cbranch_scc1 .LBB23_1548
; %bb.1543:
	s_cmp_gt_i32 s14, 3
	s_cbranch_scc0 .LBB23_1545
; %bb.1544:
	s_mov_b32 s8, 0
	v_cndmask_b32_e64 v0, 0, 1, s[12:13]
	s_waitcnt vmcnt(0)
	v_mov_b32_e32 v1, s8
	s_mov_b64 s[8:9], 0
	global_store_dwordx2 v[2:3], v[0:1], off
.LBB23_1545:
	s_andn2_b64 vcc, exec, s[8:9]
	s_cbranch_vccnz .LBB23_1547
; %bb.1546:
	v_cndmask_b32_e64 v0, 0, 1, s[12:13]
	s_waitcnt vmcnt(0)
	global_store_dword v[2:3], v0, off
.LBB23_1547:
	s_mov_b64 s[8:9], 0
.LBB23_1548:
	s_andn2_b64 vcc, exec, s[8:9]
	s_cbranch_vccnz .LBB23_1550
; %bb.1549:
	v_cndmask_b32_e64 v0, 0, 1, s[12:13]
	s_waitcnt vmcnt(0)
	global_store_short v[2:3], v0, off
.LBB23_1550:
	s_mov_b64 s[8:9], 0
.LBB23_1551:
	s_andn2_b64 vcc, exec, s[8:9]
	s_cbranch_vccnz .LBB23_1556
; %bb.1552:
	s_sext_i32_i16 s14, s30
	s_mov_b64 s[8:9], -1
	s_cmp_gt_i32 s14, 0
	v_cndmask_b32_e64 v0, 0, 1, s[12:13]
	s_cbranch_scc0 .LBB23_1554
; %bb.1553:
	s_mov_b64 s[8:9], 0
	s_waitcnt vmcnt(0)
	global_store_byte v[2:3], v0, off
.LBB23_1554:
	s_andn2_b64 vcc, exec, s[8:9]
	s_cbranch_vccnz .LBB23_1556
; %bb.1555:
	s_waitcnt vmcnt(0)
	global_store_byte v[2:3], v0, off
.LBB23_1556:
	s_or_b64 exec, exec, s[0:1]
	s_and_b64 s[12:13], s[10:11], exec
                                        ; implicit-def: $vgpr21
                                        ; implicit-def: $vgpr10
.LBB23_1557:
	s_or_saveexec_b64 s[14:15], s[26:27]
	s_mov_b64 s[0:1], 0
                                        ; implicit-def: $sgpr10_sgpr11
                                        ; implicit-def: $vgpr0_vgpr1
                                        ; implicit-def: $sgpr22
	s_xor_b64 exec, exec, s[14:15]
	s_cbranch_execz .LBB23_3038
; %bb.1558:
	v_cndmask_b32_e64 v0, 0, 1, s[24:25]
	v_cmp_ne_u32_e64 s[0:1], 1, v0
	s_andn2_b64 vcc, exec, s[24:25]
	s_cbranch_vccnz .LBB23_1564
; %bb.1559:
	s_cmp_lg_u32 s33, 0
	s_cbranch_scc0 .LBB23_1565
; %bb.1560:
	s_min_u32 s8, s72, 15
	s_add_i32 s6, s8, 1
	s_and_b32 s9, s6, 30
	s_add_u32 s6, s2, 0xffffffe8
	s_addc_u32 s7, s3, -1
	v_mov_b32_e32 v13, 0
	v_mov_b32_e32 v8, 0
	s_waitcnt vmcnt(0)
	v_mov_b32_e32 v6, 0
	v_mov_b32_e32 v0, v10
.LBB23_1561:                            ; =>This Inner Loop Header: Depth=1
	s_load_dwordx4 s[16:19], s[6:7], 0x1c
	s_load_dwordx2 s[10:11], s[6:7], 0x2c
	s_load_dwordx2 s[24:25], s[6:7], 0xec
	s_load_dwordx4 s[20:23], s[6:7], 0xdc
	s_add_u32 s6, s6, 24
	s_waitcnt lgkmcnt(0)
	v_mul_hi_u32 v1, s17, v0
	s_addc_u32 s7, s7, 0
	s_add_i32 s9, s9, -2
	s_cmp_lg_u32 s9, 0
	v_add_u32_e32 v1, v0, v1
	v_lshrrev_b32_e32 v1, s18, v1
	v_mul_lo_u32 v2, v1, s16
	v_mul_hi_u32 v3, s10, v1
	v_sub_u32_e32 v2, v0, v2
	v_add_u32_e32 v0, v1, v3
	v_lshrrev_b32_e32 v0, s11, v0
	v_mul_lo_u32 v5, v0, s19
	v_mul_lo_u32 v3, v2, s20
	;; [unrolled: 1-line block ×4, first 2 shown]
	v_sub_u32_e32 v1, v1, v5
	v_mul_lo_u32 v5, v1, s23
	v_mul_lo_u32 v7, v1, s24
	;; [unrolled: 1-line block ×3, first 2 shown]
	v_add3_u32 v6, v3, v6, v5
	v_add3_u32 v8, v4, v8, v7
	;; [unrolled: 1-line block ×3, first 2 shown]
	s_cbranch_scc1 .LBB23_1561
; %bb.1562:
	s_bitcmp1_b32 s8, 0
	s_cselect_b64 s[8:9], -1, 0
	s_and_b64 vcc, exec, s[8:9]
	s_cbranch_vccnz .LBB23_1566
; %bb.1563:
	s_load_dwordx2 s[8:9], s[6:7], 0x1c
	s_load_dword s16, s[6:7], 0x24
	s_load_dwordx2 s[10:11], s[6:7], 0xdc
	s_waitcnt lgkmcnt(0)
	v_mul_hi_u32 v1, s9, v0
	v_add_u32_e32 v1, v0, v1
	v_lshrrev_b32_e32 v1, s16, v1
	v_mul_lo_u32 v1, v1, s8
	s_load_dword s8, s[6:7], 0xe4
	v_sub_u32_e32 v0, v0, v1
	v_mad_u64_u32 v[6:7], s[6:7], v0, s10, v[6:7]
	v_mad_u64_u32 v[8:9], s[6:7], v0, s11, v[8:9]
	s_waitcnt lgkmcnt(0)
	v_mad_u64_u32 v[13:14], s[6:7], v0, s8, v[13:14]
	s_cbranch_execz .LBB23_1567
	s_branch .LBB23_1569
.LBB23_1564:
                                        ; implicit-def: $vgpr6
                                        ; implicit-def: $vgpr8
                                        ; implicit-def: $vgpr13
	s_branch .LBB23_1567
.LBB23_1565:
	s_waitcnt vmcnt(0)
	v_mov_b32_e32 v6, 0
	v_mov_b32_e32 v8, 0
	;; [unrolled: 1-line block ×3, first 2 shown]
.LBB23_1566:
	s_cbranch_execnz .LBB23_1569
.LBB23_1567:
	s_load_dwordx4 s[8:11], s[2:3], 0x4
	s_load_dwordx4 s[16:19], s[2:3], 0xc4
	s_cmp_lt_u32 s33, 2
	s_waitcnt lgkmcnt(0)
	v_mul_hi_u32 v0, s9, v10
	v_add_u32_e32 v0, v10, v0
	v_lshrrev_b32_e32 v0, s10, v0
	s_waitcnt vmcnt(0)
	v_mul_lo_u32 v1, v0, s8
	v_sub_u32_e32 v1, v10, v1
	v_mul_lo_u32 v6, v1, s16
	v_mul_lo_u32 v8, v1, s17
	;; [unrolled: 1-line block ×3, first 2 shown]
	s_cbranch_scc1 .LBB23_1569
; %bb.1568:
	s_load_dwordx4 s[8:11], s[2:3], 0x10
	s_load_dwordx4 s[16:19], s[2:3], 0xd0
	s_waitcnt lgkmcnt(0)
	v_mul_hi_u32 v1, s9, v0
	v_add_u32_e32 v1, v0, v1
	v_lshrrev_b32_e32 v1, s10, v1
	v_mul_lo_u32 v1, v1, s8
	v_sub_u32_e32 v0, v0, v1
	v_mad_u64_u32 v[6:7], s[6:7], v0, s16, v[6:7]
	v_mad_u64_u32 v[8:9], s[6:7], v0, s17, v[8:9]
	;; [unrolled: 1-line block ×3, first 2 shown]
.LBB23_1569:
	s_and_b64 vcc, exec, s[0:1]
	v_add_u32_e32 v0, 0x80, v10
	s_cbranch_vccnz .LBB23_1575
; %bb.1570:
	s_cmp_lg_u32 s33, 0
	s_cbranch_scc0 .LBB23_1576
; %bb.1571:
	s_min_u32 s8, s72, 15
	s_add_i32 s6, s8, 1
	s_and_b32 s9, s6, 30
	s_add_u32 s6, s2, 0xffffffe8
	s_addc_u32 s7, s3, -1
	v_mov_b32_e32 v18, 0
	v_mov_b32_e32 v11, 0
	s_waitcnt vmcnt(0)
	v_mov_b32_e32 v4, 0
	v_mov_b32_e32 v1, v0
.LBB23_1572:                            ; =>This Inner Loop Header: Depth=1
	s_load_dwordx4 s[16:19], s[6:7], 0x1c
	s_load_dwordx2 s[10:11], s[6:7], 0x2c
	s_load_dwordx2 s[24:25], s[6:7], 0xec
	s_load_dwordx4 s[20:23], s[6:7], 0xdc
	s_add_u32 s6, s6, 24
	s_waitcnt lgkmcnt(0)
	v_mul_hi_u32 v2, s17, v1
	s_addc_u32 s7, s7, 0
	s_add_i32 s9, s9, -2
	s_cmp_lg_u32 s9, 0
	v_add_u32_e32 v2, v1, v2
	v_lshrrev_b32_e32 v2, s18, v2
	v_mul_lo_u32 v3, v2, s16
	v_mul_hi_u32 v5, s10, v2
	v_sub_u32_e32 v3, v1, v3
	v_add_u32_e32 v1, v2, v5
	v_lshrrev_b32_e32 v1, s11, v1
	v_mul_lo_u32 v9, v1, s19
	v_mul_lo_u32 v5, v3, s20
	;; [unrolled: 1-line block ×4, first 2 shown]
	v_sub_u32_e32 v2, v2, v9
	v_mul_lo_u32 v9, v2, s23
	v_mul_lo_u32 v12, v2, s24
	;; [unrolled: 1-line block ×3, first 2 shown]
	v_add3_u32 v4, v5, v4, v9
	v_add3_u32 v11, v7, v11, v12
	;; [unrolled: 1-line block ×3, first 2 shown]
	s_cbranch_scc1 .LBB23_1572
; %bb.1573:
	s_bitcmp1_b32 s8, 0
	s_cselect_b64 s[8:9], -1, 0
	s_and_b64 vcc, exec, s[8:9]
	s_cbranch_vccnz .LBB23_1577
; %bb.1574:
	s_load_dwordx2 s[8:9], s[6:7], 0x1c
	s_load_dword s16, s[6:7], 0x24
	s_load_dwordx2 s[10:11], s[6:7], 0xdc
	s_waitcnt lgkmcnt(0)
	v_mul_hi_u32 v2, s9, v1
	v_add_u32_e32 v2, v1, v2
	v_lshrrev_b32_e32 v2, s16, v2
	v_mul_lo_u32 v2, v2, s8
	s_load_dword s8, s[6:7], 0xe4
	v_sub_u32_e32 v1, v1, v2
	v_mad_u64_u32 v[4:5], s[6:7], v1, s10, v[4:5]
	v_mad_u64_u32 v[11:12], s[6:7], v1, s11, v[11:12]
	s_waitcnt lgkmcnt(0)
	v_mad_u64_u32 v[18:19], s[6:7], v1, s8, v[18:19]
	s_cbranch_execz .LBB23_1578
	s_branch .LBB23_1580
.LBB23_1575:
                                        ; implicit-def: $vgpr4
                                        ; implicit-def: $vgpr11
                                        ; implicit-def: $vgpr18
	s_branch .LBB23_1578
.LBB23_1576:
	s_waitcnt vmcnt(0)
	v_mov_b32_e32 v4, 0
	v_mov_b32_e32 v11, 0
	;; [unrolled: 1-line block ×3, first 2 shown]
.LBB23_1577:
	s_cbranch_execnz .LBB23_1580
.LBB23_1578:
	s_load_dwordx4 s[8:11], s[2:3], 0x4
	s_load_dwordx4 s[16:19], s[2:3], 0xc4
	s_cmp_lt_u32 s33, 2
	s_waitcnt vmcnt(0) lgkmcnt(0)
	v_mul_hi_u32 v1, s9, v0
	v_add_u32_e32 v1, v0, v1
	v_lshrrev_b32_e32 v1, s10, v1
	v_mul_lo_u32 v2, v1, s8
	v_sub_u32_e32 v0, v0, v2
	v_mul_lo_u32 v4, v0, s16
	v_mul_lo_u32 v11, v0, s17
	;; [unrolled: 1-line block ×3, first 2 shown]
	s_cbranch_scc1 .LBB23_1580
; %bb.1579:
	s_load_dwordx4 s[8:11], s[2:3], 0x10
	s_load_dwordx4 s[16:19], s[2:3], 0xd0
	s_waitcnt lgkmcnt(0)
	v_mul_hi_u32 v0, s9, v1
	v_add_u32_e32 v0, v1, v0
	v_lshrrev_b32_e32 v0, s10, v0
	v_mul_lo_u32 v0, v0, s8
	v_sub_u32_e32 v0, v1, v0
	v_mad_u64_u32 v[4:5], s[6:7], v0, s16, v[4:5]
	v_mad_u64_u32 v[11:12], s[6:7], v0, s17, v[11:12]
	;; [unrolled: 1-line block ×3, first 2 shown]
.LBB23_1580:
	s_and_b64 vcc, exec, s[0:1]
	v_add_u32_e32 v0, 0x100, v10
	s_cbranch_vccnz .LBB23_1586
; %bb.1581:
	s_cmp_lg_u32 s33, 0
	s_cbranch_scc0 .LBB23_1587
; %bb.1582:
	s_min_u32 s8, s72, 15
	s_add_i32 s6, s8, 1
	s_and_b32 s9, s6, 30
	s_add_u32 s6, s2, 0xffffffe8
	s_addc_u32 s7, s3, -1
	v_mov_b32_e32 v19, 0
	v_mov_b32_e32 v16, 0
	s_waitcnt vmcnt(0)
	v_mov_b32_e32 v2, 0
	v_mov_b32_e32 v1, v0
.LBB23_1583:                            ; =>This Inner Loop Header: Depth=1
	s_load_dwordx4 s[16:19], s[6:7], 0x1c
	s_load_dwordx2 s[10:11], s[6:7], 0x2c
	s_load_dwordx2 s[24:25], s[6:7], 0xec
	s_load_dwordx4 s[20:23], s[6:7], 0xdc
	s_add_u32 s6, s6, 24
	s_waitcnt lgkmcnt(0)
	v_mul_hi_u32 v3, s17, v1
	s_addc_u32 s7, s7, 0
	s_add_i32 s9, s9, -2
	s_cmp_lg_u32 s9, 0
	v_add_u32_e32 v3, v1, v3
	v_lshrrev_b32_e32 v3, s18, v3
	v_mul_lo_u32 v5, v3, s16
	v_mul_hi_u32 v7, s10, v3
	v_sub_u32_e32 v5, v1, v5
	v_add_u32_e32 v1, v3, v7
	v_lshrrev_b32_e32 v1, s11, v1
	v_mul_lo_u32 v10, v1, s19
	v_mul_lo_u32 v7, v5, s20
	;; [unrolled: 1-line block ×4, first 2 shown]
	v_sub_u32_e32 v3, v3, v10
	v_mul_lo_u32 v10, v3, s23
	v_mul_lo_u32 v12, v3, s24
	;; [unrolled: 1-line block ×3, first 2 shown]
	v_add3_u32 v2, v7, v2, v10
	v_add3_u32 v16, v9, v16, v12
	;; [unrolled: 1-line block ×3, first 2 shown]
	s_cbranch_scc1 .LBB23_1583
; %bb.1584:
	s_bitcmp1_b32 s8, 0
	s_cselect_b64 s[8:9], -1, 0
	s_and_b64 vcc, exec, s[8:9]
	s_cbranch_vccnz .LBB23_1588
; %bb.1585:
	s_load_dwordx2 s[8:9], s[6:7], 0x1c
	s_load_dword s16, s[6:7], 0x24
	s_load_dwordx2 s[10:11], s[6:7], 0xdc
	s_waitcnt lgkmcnt(0)
	v_mul_hi_u32 v3, s9, v1
	v_add_u32_e32 v3, v1, v3
	v_lshrrev_b32_e32 v3, s16, v3
	v_mul_lo_u32 v3, v3, s8
	s_load_dword s8, s[6:7], 0xe4
	v_sub_u32_e32 v1, v1, v3
	v_mad_u64_u32 v[2:3], s[6:7], v1, s10, v[2:3]
	v_mad_u64_u32 v[16:17], s[6:7], v1, s11, v[16:17]
	s_waitcnt lgkmcnt(0)
	v_mad_u64_u32 v[19:20], s[6:7], v1, s8, v[19:20]
	s_cbranch_execz .LBB23_1589
	s_branch .LBB23_1591
.LBB23_1586:
                                        ; implicit-def: $vgpr2
                                        ; implicit-def: $vgpr16
                                        ; implicit-def: $vgpr19
	s_branch .LBB23_1589
.LBB23_1587:
	s_waitcnt vmcnt(0)
	v_mov_b32_e32 v2, 0
	v_mov_b32_e32 v16, 0
	;; [unrolled: 1-line block ×3, first 2 shown]
.LBB23_1588:
	s_cbranch_execnz .LBB23_1591
.LBB23_1589:
	s_load_dwordx4 s[8:11], s[2:3], 0x4
	s_load_dwordx4 s[16:19], s[2:3], 0xc4
	s_cmp_lt_u32 s33, 2
	s_waitcnt vmcnt(0) lgkmcnt(0)
	v_mul_hi_u32 v1, s9, v0
	v_add_u32_e32 v1, v0, v1
	v_lshrrev_b32_e32 v1, s10, v1
	v_mul_lo_u32 v2, v1, s8
	v_sub_u32_e32 v0, v0, v2
	v_mul_lo_u32 v2, v0, s16
	v_mul_lo_u32 v16, v0, s17
	;; [unrolled: 1-line block ×3, first 2 shown]
	s_cbranch_scc1 .LBB23_1591
; %bb.1590:
	s_load_dwordx4 s[8:11], s[2:3], 0x10
	s_load_dwordx4 s[16:19], s[2:3], 0xd0
	s_waitcnt lgkmcnt(0)
	v_mul_hi_u32 v0, s9, v1
	v_add_u32_e32 v0, v1, v0
	v_lshrrev_b32_e32 v0, s10, v0
	v_mul_lo_u32 v0, v0, s8
	v_sub_u32_e32 v0, v1, v0
	v_mad_u64_u32 v[2:3], s[6:7], v0, s16, v[2:3]
	v_mad_u64_u32 v[16:17], s[6:7], v0, s17, v[16:17]
	;; [unrolled: 1-line block ×3, first 2 shown]
.LBB23_1591:
	s_and_b64 vcc, exec, s[0:1]
	s_cbranch_vccnz .LBB23_1597
; %bb.1592:
	s_cmp_lg_u32 s33, 0
	s_cbranch_scc0 .LBB23_1598
; %bb.1593:
	s_min_u32 s6, s72, 15
	s_add_i32 s0, s6, 1
	s_and_b32 s7, s0, 30
	s_add_u32 s0, s2, 0xffffffe8
	s_addc_u32 s1, s3, -1
	v_mov_b32_e32 v9, 0
	v_mov_b32_e32 v14, 0
	;; [unrolled: 1-line block ×3, first 2 shown]
	s_waitcnt vmcnt(0)
	v_mov_b32_e32 v1, v21
.LBB23_1594:                            ; =>This Inner Loop Header: Depth=1
	s_load_dwordx4 s[8:11], s[0:1], 0x1c
	s_load_dwordx2 s[20:21], s[0:1], 0x2c
	s_load_dwordx2 s[22:23], s[0:1], 0xec
	s_load_dwordx4 s[16:19], s[0:1], 0xdc
	s_add_u32 s0, s0, 24
	s_waitcnt lgkmcnt(0)
	v_mul_hi_u32 v3, s9, v1
	s_addc_u32 s1, s1, 0
	s_add_i32 s7, s7, -2
	s_cmp_lg_u32 s7, 0
	v_add_u32_e32 v3, v1, v3
	v_lshrrev_b32_e32 v3, s10, v3
	v_mul_lo_u32 v5, v3, s8
	v_mul_hi_u32 v7, s20, v3
	v_sub_u32_e32 v5, v1, v5
	v_add_u32_e32 v1, v3, v7
	v_lshrrev_b32_e32 v1, s21, v1
	v_mul_lo_u32 v12, v1, s11
	v_mul_lo_u32 v7, v5, s16
	;; [unrolled: 1-line block ×4, first 2 shown]
	v_sub_u32_e32 v3, v3, v12
	v_mul_lo_u32 v12, v3, s19
	v_mul_lo_u32 v15, v3, s22
	;; [unrolled: 1-line block ×3, first 2 shown]
	v_add3_u32 v0, v7, v0, v12
	v_add3_u32 v14, v10, v14, v15
	;; [unrolled: 1-line block ×3, first 2 shown]
	s_cbranch_scc1 .LBB23_1594
; %bb.1595:
	s_bitcmp1_b32 s6, 0
	s_cselect_b64 s[6:7], -1, 0
	s_and_b64 vcc, exec, s[6:7]
	s_cbranch_vccnz .LBB23_1599
; %bb.1596:
	s_load_dwordx2 s[6:7], s[0:1], 0x1c
	s_load_dword s10, s[0:1], 0x24
	s_load_dwordx2 s[8:9], s[0:1], 0xdc
	s_waitcnt lgkmcnt(0)
	v_mul_hi_u32 v3, s7, v1
	v_add_u32_e32 v3, v1, v3
	v_lshrrev_b32_e32 v3, s10, v3
	v_mul_lo_u32 v3, v3, s6
	s_load_dword s6, s[0:1], 0xe4
	v_sub_u32_e32 v3, v1, v3
	v_mad_u64_u32 v[0:1], s[0:1], v3, s8, v[0:1]
	v_mad_u64_u32 v[14:15], s[0:1], v3, s9, v[14:15]
	s_waitcnt lgkmcnt(0)
	v_mad_u64_u32 v[9:10], s[0:1], v3, s6, v[9:10]
	s_cbranch_execz .LBB23_1600
	s_branch .LBB23_1602
.LBB23_1597:
                                        ; implicit-def: $vgpr0
                                        ; implicit-def: $vgpr14
                                        ; implicit-def: $vgpr9
	s_branch .LBB23_1600
.LBB23_1598:
	v_mov_b32_e32 v0, 0
	v_mov_b32_e32 v14, 0
	;; [unrolled: 1-line block ×3, first 2 shown]
.LBB23_1599:
	s_cbranch_execnz .LBB23_1602
.LBB23_1600:
	s_load_dwordx4 s[8:11], s[2:3], 0x4
	s_load_dwordx4 s[16:19], s[2:3], 0xc4
	s_cmp_lt_u32 s33, 2
	s_waitcnt lgkmcnt(0)
	v_mul_hi_u32 v0, s9, v21
	v_add_u32_e32 v0, v21, v0
	s_waitcnt vmcnt(0)
	v_lshrrev_b32_e32 v1, s10, v0
	v_mul_lo_u32 v0, v1, s8
	v_sub_u32_e32 v3, v21, v0
	v_mul_lo_u32 v0, v3, s16
	v_mul_lo_u32 v14, v3, s17
	;; [unrolled: 1-line block ×3, first 2 shown]
	s_cbranch_scc1 .LBB23_1602
; %bb.1601:
	s_load_dwordx4 s[8:11], s[2:3], 0x10
	s_load_dwordx4 s[16:19], s[2:3], 0xd0
	s_waitcnt lgkmcnt(0)
	v_mul_hi_u32 v3, s9, v1
	v_add_u32_e32 v3, v1, v3
	v_lshrrev_b32_e32 v3, s10, v3
	v_mul_lo_u32 v3, v3, s8
	v_sub_u32_e32 v3, v1, v3
	v_mad_u64_u32 v[0:1], s[0:1], v3, s16, v[0:1]
	v_mad_u64_u32 v[14:15], s[0:1], v3, s17, v[14:15]
	;; [unrolled: 1-line block ×3, first 2 shown]
.LBB23_1602:
	s_load_dwordx4 s[8:11], s[2:3], 0x188
	s_load_dword s23, s[4:5], 0x1ac
	s_waitcnt vmcnt(0) lgkmcnt(0)
	v_mov_b32_e32 v1, s11
	s_bfe_u32 s18, s23, 0x80008
	v_add_co_u32_e32 v20, vcc, s10, v8
	s_cmp_lt_i32 s18, 11
	v_addc_co_u32_e32 v21, vcc, 0, v1, vcc
	s_cbranch_scc1 .LBB23_1609
; %bb.1603:
	s_and_b32 s19, 0xffff, s18
	s_cmp_gt_i32 s19, 25
	s_mov_b64 s[6:7], 0
	s_cbranch_scc0 .LBB23_1611
; %bb.1604:
	s_cmp_gt_i32 s19, 28
	s_cbranch_scc0 .LBB23_1612
; %bb.1605:
	s_cmp_gt_i32 s19, 43
	s_cbranch_scc0 .LBB23_1613
; %bb.1606:
	s_cmp_gt_i32 s19, 45
	s_cbranch_scc0 .LBB23_1614
; %bb.1607:
	s_cmp_eq_u32 s19, 46
	s_mov_b64 s[4:5], 0
	s_cbranch_scc0 .LBB23_1617
; %bb.1608:
	global_load_dword v1, v[20:21], off
	s_mov_b64 s[0:1], 0
	s_mov_b64 s[16:17], -1
	s_waitcnt vmcnt(0)
	v_lshlrev_b32_e32 v1, 16, v1
	v_cvt_i32_f32_e32 v7, v1
	s_branch .LBB23_1618
.LBB23_1609:
	s_mov_b64 s[16:17], 0
                                        ; implicit-def: $vgpr7
	s_mov_b64 s[4:5], s[12:13]
	s_cbranch_execnz .LBB23_1676
.LBB23_1610:
	s_andn2_b64 vcc, exec, s[16:17]
	s_cbranch_vccz .LBB23_1721
	s_branch .LBB23_3036
.LBB23_1611:
	s_mov_b64 s[16:17], 0
	s_mov_b64 s[0:1], 0
                                        ; implicit-def: $vgpr7
	s_cbranch_execnz .LBB23_1643
	s_branch .LBB23_1672
.LBB23_1612:
	s_mov_b64 s[16:17], 0
	s_mov_b64 s[0:1], 0
                                        ; implicit-def: $vgpr7
	s_cbranch_execz .LBB23_1642
	s_branch .LBB23_1627
.LBB23_1613:
	s_mov_b64 s[16:17], 0
	s_mov_b64 s[0:1], 0
                                        ; implicit-def: $vgpr7
	s_cbranch_execnz .LBB23_1623
	s_branch .LBB23_1626
.LBB23_1614:
	s_mov_b64 s[4:5], -1
	s_mov_b64 s[16:17], 0
	s_mov_b64 s[0:1], 0
                                        ; implicit-def: $vgpr7
	s_branch .LBB23_1618
.LBB23_1615:
	s_andn2_saveexec_b64 s[18:19], s[18:19]
	s_cbranch_execz .LBB23_1466
.LBB23_1616:
	v_add_f32_e32 v0, 0x46000000, v1
	v_and_b32_e32 v0, 0xff, v0
	v_cmp_ne_u32_e32 vcc, 0, v0
	s_andn2_b64 s[14:15], s[14:15], exec
	s_and_b64 s[20:21], vcc, exec
	s_or_b64 s[14:15], s[14:15], s[20:21]
	s_or_b64 exec, exec, s[18:19]
	v_mov_b32_e32 v4, 0
	s_and_saveexec_b64 s[18:19], s[14:15]
	s_cbranch_execnz .LBB23_1467
	s_branch .LBB23_1468
.LBB23_1617:
	s_mov_b64 s[0:1], -1
                                        ; implicit-def: $vgpr7
	s_mov_b64 s[16:17], 0
.LBB23_1618:
	s_and_b64 vcc, exec, s[4:5]
	s_cbranch_vccz .LBB23_1621
; %bb.1619:
	s_cmp_eq_u32 s19, 44
	s_cbranch_scc0 .LBB23_1622
; %bb.1620:
	global_load_ubyte v1, v[20:21], off
	s_mov_b64 s[0:1], 0
	s_mov_b64 s[16:17], -1
	s_waitcnt vmcnt(0)
	v_lshlrev_b32_e32 v3, 23, v1
	v_cvt_i32_f32_e32 v3, v3
	v_cmp_ne_u32_e32 vcc, 0, v1
	v_cndmask_b32_e32 v7, 0, v3, vcc
.LBB23_1621:
	s_branch .LBB23_1626
.LBB23_1622:
	s_mov_b64 s[0:1], -1
                                        ; implicit-def: $vgpr7
	s_branch .LBB23_1626
.LBB23_1623:
	s_cmp_eq_u32 s19, 29
	s_cbranch_scc0 .LBB23_1625
; %bb.1624:
	global_load_dwordx2 v[7:8], v[20:21], off
	s_mov_b64 s[0:1], 0
	s_mov_b64 s[16:17], -1
	s_branch .LBB23_1626
.LBB23_1625:
	s_mov_b64 s[0:1], -1
                                        ; implicit-def: $vgpr7
.LBB23_1626:
	s_branch .LBB23_1642
.LBB23_1627:
	s_cmp_lt_i32 s19, 27
	s_cbranch_scc1 .LBB23_1630
; %bb.1628:
	s_cmp_gt_i32 s19, 27
	s_cbranch_scc0 .LBB23_1631
; %bb.1629:
	global_load_dword v7, v[20:21], off
	s_mov_b64 s[4:5], 0
	s_branch .LBB23_1632
.LBB23_1630:
	s_mov_b64 s[4:5], -1
                                        ; implicit-def: $vgpr7
	s_branch .LBB23_1635
.LBB23_1631:
	s_mov_b64 s[4:5], -1
                                        ; implicit-def: $vgpr7
.LBB23_1632:
	s_andn2_b64 vcc, exec, s[4:5]
	s_cbranch_vccnz .LBB23_1634
; %bb.1633:
	global_load_ushort v7, v[20:21], off
.LBB23_1634:
	s_mov_b64 s[4:5], 0
.LBB23_1635:
	s_andn2_b64 vcc, exec, s[4:5]
	s_cbranch_vccnz .LBB23_1641
; %bb.1636:
	global_load_ubyte v1, v[20:21], off
	s_movk_i32 s4, 0x7f
	s_mov_b64 s[16:17], 0
	s_waitcnt vmcnt(0)
	v_cmp_lt_i16_e32 vcc, s4, v1
	s_and_saveexec_b64 s[4:5], vcc
	s_xor_b64 s[4:5], exec, s[4:5]
	s_cbranch_execz .LBB23_1652
; %bb.1637:
	s_movk_i32 s16, 0x80
	v_cmp_ne_u16_e32 vcc, s16, v1
	s_and_b64 s[16:17], vcc, exec
	s_andn2_saveexec_b64 s[4:5], s[4:5]
	s_cbranch_execnz .LBB23_1653
.LBB23_1638:
	s_or_b64 exec, exec, s[4:5]
	v_mov_b32_e32 v7, 0
	s_and_saveexec_b64 s[4:5], s[16:17]
	s_cbranch_execz .LBB23_1640
.LBB23_1639:
	v_lshlrev_b32_e32 v3, 24, v1
	v_and_b32_e32 v1, 0xffff, v1
	v_and_b32_e32 v5, 7, v1
	v_ffbh_u32_e32 v8, v5
	v_min_u32_e32 v8, 32, v8
	v_subrev_u32_e32 v10, 28, v8
	v_bfe_u32 v7, v1, 3, 4
	v_lshlrev_b32_e32 v1, v10, v1
	v_sub_u32_e32 v8, 29, v8
	v_and_b32_e32 v1, 7, v1
	v_cmp_eq_u32_e32 vcc, 0, v7
	v_cndmask_b32_e32 v7, v7, v8, vcc
	v_cndmask_b32_e32 v1, v5, v1, vcc
	v_mov_b32_e32 v5, 0x3b800000
	v_lshlrev_b32_e32 v1, 20, v1
	v_and_b32_e32 v3, 0x80000000, v3
	v_lshl_add_u32 v5, v7, 23, v5
	v_or3_b32 v1, v3, v5, v1
	v_cvt_i32_f32_e32 v7, v1
.LBB23_1640:
	s_or_b64 exec, exec, s[4:5]
.LBB23_1641:
	s_mov_b64 s[16:17], -1
.LBB23_1642:
	s_branch .LBB23_1672
.LBB23_1643:
	s_cmp_gt_i32 s19, 22
	s_cbranch_scc0 .LBB23_1651
; %bb.1644:
	s_cmp_lt_i32 s19, 24
	s_cbranch_scc1 .LBB23_1654
; %bb.1645:
	s_cmp_gt_i32 s19, 24
	s_cbranch_scc0 .LBB23_1655
; %bb.1646:
	global_load_ubyte v1, v[20:21], off
	s_movk_i32 s4, 0x7f
	s_waitcnt vmcnt(0)
	v_cmp_lt_i16_e32 vcc, s4, v1
	s_and_saveexec_b64 s[4:5], vcc
	s_xor_b64 s[4:5], exec, s[4:5]
	s_cbranch_execz .LBB23_1666
; %bb.1647:
	s_movk_i32 s6, 0x80
	v_cmp_ne_u16_e32 vcc, s6, v1
	s_and_b64 s[6:7], vcc, exec
	s_andn2_saveexec_b64 s[4:5], s[4:5]
	s_cbranch_execnz .LBB23_1667
.LBB23_1648:
	s_or_b64 exec, exec, s[4:5]
	v_mov_b32_e32 v7, 0
	s_and_saveexec_b64 s[4:5], s[6:7]
	s_cbranch_execz .LBB23_1650
.LBB23_1649:
	v_lshlrev_b32_e32 v3, 24, v1
	v_and_b32_e32 v1, 0xffff, v1
	v_and_b32_e32 v5, 3, v1
	v_ffbh_u32_e32 v8, v5
	v_min_u32_e32 v8, 32, v8
	v_subrev_u32_e32 v10, 29, v8
	v_bfe_u32 v7, v1, 2, 5
	v_lshlrev_b32_e32 v1, v10, v1
	v_sub_u32_e32 v8, 30, v8
	v_and_b32_e32 v1, 3, v1
	v_cmp_eq_u32_e32 vcc, 0, v7
	v_cndmask_b32_e32 v7, v7, v8, vcc
	v_cndmask_b32_e32 v1, v5, v1, vcc
	v_mov_b32_e32 v5, 0x37800000
	v_lshlrev_b32_e32 v1, 21, v1
	v_and_b32_e32 v3, 0x80000000, v3
	v_lshl_add_u32 v5, v7, 23, v5
	v_or3_b32 v1, v3, v5, v1
	v_cvt_i32_f32_e32 v7, v1
.LBB23_1650:
	s_or_b64 exec, exec, s[4:5]
	s_mov_b64 s[4:5], 0
	s_branch .LBB23_1656
.LBB23_1651:
                                        ; implicit-def: $vgpr7
	s_mov_b64 s[6:7], 0
	s_branch .LBB23_1662
.LBB23_1652:
	s_andn2_saveexec_b64 s[4:5], s[4:5]
	s_cbranch_execz .LBB23_1638
.LBB23_1653:
	v_cmp_ne_u16_e32 vcc, 0, v1
	s_andn2_b64 s[16:17], s[16:17], exec
	s_and_b64 s[20:21], vcc, exec
	s_or_b64 s[16:17], s[16:17], s[20:21]
	s_or_b64 exec, exec, s[4:5]
	v_mov_b32_e32 v7, 0
	s_and_saveexec_b64 s[4:5], s[16:17]
	s_cbranch_execnz .LBB23_1639
	s_branch .LBB23_1640
.LBB23_1654:
	s_mov_b64 s[4:5], -1
                                        ; implicit-def: $vgpr7
	s_branch .LBB23_1659
.LBB23_1655:
	s_mov_b64 s[4:5], -1
                                        ; implicit-def: $vgpr7
.LBB23_1656:
	s_and_b64 vcc, exec, s[4:5]
	s_cbranch_vccz .LBB23_1658
; %bb.1657:
	global_load_ubyte v1, v[20:21], off
	s_mov_b32 s4, 0x7f800000
	s_waitcnt vmcnt(0)
	v_lshlrev_b32_e32 v1, 24, v1
	v_and_b32_e32 v3, 0x7f000000, v1
	v_ffbh_u32_e32 v5, v3
	v_min_u32_e32 v5, 32, v5
	v_sub_u32_e64 v5, v5, 4 clamp
	v_lshlrev_b32_e32 v8, v5, v3
	v_lshlrev_b32_e32 v5, 23, v5
	v_lshrrev_b32_e32 v8, 4, v8
	v_add_u32_e32 v7, 0x1000000, v3
	v_sub_u32_e32 v5, v8, v5
	v_ashrrev_i32_e32 v7, 8, v7
	v_add_u32_e32 v5, 0x3c000000, v5
	v_and_or_b32 v5, v7, s4, v5
	v_cmp_ne_u32_e32 vcc, 0, v3
	v_cndmask_b32_e32 v3, 0, v5, vcc
	s_brev_b32 s4, 1
	v_and_or_b32 v1, v1, s4, v3
	v_cvt_i32_f32_e32 v7, v1
.LBB23_1658:
	s_mov_b64 s[4:5], 0
.LBB23_1659:
	s_andn2_b64 vcc, exec, s[4:5]
	s_cbranch_vccnz .LBB23_1661
; %bb.1660:
	global_load_ubyte v1, v[20:21], off
	s_movk_i32 s4, 0x7f00
	s_brev_b32 s5, 16
	s_waitcnt vmcnt(0)
	v_lshlrev_b16_e32 v3, 8, v1
	v_lshlrev_b32_e32 v1, 25, v1
	v_lshrrev_b32_e32 v5, 4, v1
	v_and_or_b32 v7, v3, s4, 0.5
	v_or_b32_e32 v5, 0x70000000, v5
	v_add_f32_e32 v7, -0.5, v7
	v_mul_f32_e32 v5, 0x7800000, v5
	v_cmp_gt_u32_e32 vcc, s5, v1
	v_bfe_i32 v3, v3, 0, 16
	v_cndmask_b32_e32 v1, v5, v7, vcc
	s_brev_b32 s4, 1
	v_and_or_b32 v1, v3, s4, v1
	v_cvt_i32_f32_e32 v7, v1
.LBB23_1661:
	s_mov_b64 s[16:17], -1
	s_mov_b64 s[6:7], 0
	s_cbranch_execnz .LBB23_1672
.LBB23_1662:
	s_cmp_gt_i32 s19, 14
	s_cbranch_scc0 .LBB23_1665
; %bb.1663:
	s_cmp_eq_u32 s19, 15
	s_cbranch_scc0 .LBB23_1668
; %bb.1664:
	global_load_ushort v1, v[20:21], off
	s_mov_b64 s[0:1], 0
	s_mov_b64 s[16:17], -1
	s_waitcnt vmcnt(0)
	v_lshlrev_b32_e32 v1, 16, v1
	v_cvt_i32_f32_e32 v7, v1
	s_branch .LBB23_1669
.LBB23_1665:
	s_mov_b64 s[4:5], -1
                                        ; implicit-def: $vgpr7
	s_branch .LBB23_1670
.LBB23_1666:
	s_andn2_saveexec_b64 s[4:5], s[4:5]
	s_cbranch_execz .LBB23_1648
.LBB23_1667:
	v_cmp_ne_u16_e32 vcc, 0, v1
	s_andn2_b64 s[6:7], s[6:7], exec
	s_and_b64 s[16:17], vcc, exec
	s_or_b64 s[6:7], s[6:7], s[16:17]
	s_or_b64 exec, exec, s[4:5]
	v_mov_b32_e32 v7, 0
	s_and_saveexec_b64 s[4:5], s[6:7]
	s_cbranch_execnz .LBB23_1649
	s_branch .LBB23_1650
.LBB23_1668:
	s_mov_b64 s[0:1], -1
                                        ; implicit-def: $vgpr7
.LBB23_1669:
	s_mov_b64 s[4:5], 0
.LBB23_1670:
	s_and_b64 vcc, exec, s[4:5]
	s_cbranch_vccz .LBB23_1672
; %bb.1671:
	s_cmp_lg_u32 s19, 11
	s_mov_b64 s[6:7], -1
	s_cselect_b64 s[0:1], -1, 0
.LBB23_1672:
	s_and_b64 vcc, exec, s[0:1]
	s_mov_b64 s[4:5], s[12:13]
	s_cbranch_vccnz .LBB23_1733
; %bb.1673:
	s_andn2_b64 vcc, exec, s[6:7]
	s_cbranch_vccnz .LBB23_1675
.LBB23_1674:
	global_load_ubyte v1, v[20:21], off
	s_mov_b64 s[16:17], -1
	s_waitcnt vmcnt(0)
	v_cmp_ne_u16_e32 vcc, 0, v1
	v_cndmask_b32_e64 v7, 0, 1, vcc
.LBB23_1675:
	s_branch .LBB23_1610
.LBB23_1676:
	s_and_b32 s6, 0xffff, s18
	s_cmp_lt_i32 s6, 5
	s_cbranch_scc1 .LBB23_1681
; %bb.1677:
	s_cmp_lt_i32 s6, 8
	s_cbranch_scc1 .LBB23_1682
; %bb.1678:
	;; [unrolled: 3-line block ×3, first 2 shown]
	s_cmp_gt_i32 s6, 9
	s_cbranch_scc0 .LBB23_1684
; %bb.1680:
	global_load_dwordx2 v[7:8], v[20:21], off
	s_mov_b64 s[0:1], 0
	s_waitcnt vmcnt(0)
	v_cvt_i32_f64_e32 v7, v[7:8]
	s_branch .LBB23_1685
.LBB23_1681:
                                        ; implicit-def: $vgpr7
	s_branch .LBB23_1702
.LBB23_1682:
                                        ; implicit-def: $vgpr7
	s_branch .LBB23_1691
.LBB23_1683:
	s_mov_b64 s[0:1], -1
                                        ; implicit-def: $vgpr7
	s_branch .LBB23_1688
.LBB23_1684:
	s_mov_b64 s[0:1], -1
                                        ; implicit-def: $vgpr7
.LBB23_1685:
	s_andn2_b64 vcc, exec, s[0:1]
	s_cbranch_vccnz .LBB23_1687
; %bb.1686:
	global_load_dword v1, v[20:21], off
	s_waitcnt vmcnt(0)
	v_cvt_i32_f32_e32 v7, v1
.LBB23_1687:
	s_mov_b64 s[0:1], 0
.LBB23_1688:
	s_andn2_b64 vcc, exec, s[0:1]
	s_cbranch_vccnz .LBB23_1690
; %bb.1689:
	global_load_dword v1, v[20:21], off
	s_waitcnt vmcnt(0)
	v_cvt_i16_f16_e32 v7, v1
.LBB23_1690:
	s_cbranch_execnz .LBB23_1701
.LBB23_1691:
	s_cmp_lt_i32 s6, 6
	s_cbranch_scc1 .LBB23_1694
; %bb.1692:
	s_cmp_gt_i32 s6, 6
	s_cbranch_scc0 .LBB23_1695
; %bb.1693:
	global_load_dwordx2 v[7:8], v[20:21], off
	s_mov_b64 s[0:1], 0
	s_waitcnt vmcnt(0)
	v_cvt_i32_f64_e32 v7, v[7:8]
	s_branch .LBB23_1696
.LBB23_1694:
	s_mov_b64 s[0:1], -1
                                        ; implicit-def: $vgpr7
	s_branch .LBB23_1699
.LBB23_1695:
	s_mov_b64 s[0:1], -1
                                        ; implicit-def: $vgpr7
.LBB23_1696:
	s_andn2_b64 vcc, exec, s[0:1]
	s_cbranch_vccnz .LBB23_1698
; %bb.1697:
	global_load_dword v1, v[20:21], off
	s_waitcnt vmcnt(0)
	v_cvt_i32_f32_e32 v7, v1
.LBB23_1698:
	s_mov_b64 s[0:1], 0
.LBB23_1699:
	s_andn2_b64 vcc, exec, s[0:1]
	s_cbranch_vccnz .LBB23_1701
; %bb.1700:
	global_load_ushort v1, v[20:21], off
	s_waitcnt vmcnt(0)
	v_cvt_i16_f16_e32 v7, v1
.LBB23_1701:
	s_cbranch_execnz .LBB23_1720
.LBB23_1702:
	s_cmp_lt_i32 s6, 2
	s_cbranch_scc1 .LBB23_1706
; %bb.1703:
	s_cmp_lt_i32 s6, 3
	s_cbranch_scc1 .LBB23_1707
; %bb.1704:
	s_cmp_gt_i32 s6, 3
	s_cbranch_scc0 .LBB23_1708
; %bb.1705:
	global_load_dwordx2 v[7:8], v[20:21], off
	s_mov_b64 s[0:1], 0
	s_branch .LBB23_1709
.LBB23_1706:
                                        ; implicit-def: $vgpr7
	s_branch .LBB23_1715
.LBB23_1707:
	s_mov_b64 s[0:1], -1
                                        ; implicit-def: $vgpr7
	s_branch .LBB23_1712
.LBB23_1708:
	s_mov_b64 s[0:1], -1
                                        ; implicit-def: $vgpr7
.LBB23_1709:
	s_andn2_b64 vcc, exec, s[0:1]
	s_cbranch_vccnz .LBB23_1711
; %bb.1710:
	global_load_dword v7, v[20:21], off
.LBB23_1711:
	s_mov_b64 s[0:1], 0
.LBB23_1712:
	s_andn2_b64 vcc, exec, s[0:1]
	s_cbranch_vccnz .LBB23_1714
; %bb.1713:
	global_load_ushort v7, v[20:21], off
.LBB23_1714:
	s_cbranch_execnz .LBB23_1720
.LBB23_1715:
	s_cmp_gt_i32 s6, 0
	s_cbranch_scc0 .LBB23_1717
; %bb.1716:
	global_load_ubyte v7, v[20:21], off
	s_mov_b64 s[0:1], 0
	s_branch .LBB23_1718
.LBB23_1717:
	s_mov_b64 s[0:1], -1
                                        ; implicit-def: $vgpr7
.LBB23_1718:
	s_andn2_b64 vcc, exec, s[0:1]
	s_cbranch_vccnz .LBB23_1720
; %bb.1719:
	global_load_ubyte v7, v[20:21], off
.LBB23_1720:
.LBB23_1721:
	s_load_dwordx2 s[0:1], s[2:3], 0x198
	s_bfe_u32 s22, s23, 0x80010
	s_cmp_lt_i32 s22, 11
	s_waitcnt lgkmcnt(0)
	v_mov_b32_e32 v1, s1
	v_add_co_u32_e32 v20, vcc, s0, v13
	v_addc_co_u32_e32 v21, vcc, 0, v1, vcc
	s_cbranch_scc1 .LBB23_1728
; %bb.1722:
	s_and_b32 s24, 0xffff, s22
	s_cmp_gt_i32 s24, 25
	s_mov_b64 s[16:17], 0
	s_cbranch_scc0 .LBB23_1730
; %bb.1723:
	s_cmp_gt_i32 s24, 28
	s_cbranch_scc0 .LBB23_1731
; %bb.1724:
	s_cmp_gt_i32 s24, 43
	;; [unrolled: 3-line block ×3, first 2 shown]
	s_cbranch_scc0 .LBB23_1734
; %bb.1726:
	s_cmp_eq_u32 s24, 46
	s_mov_b64 s[20:21], 0
	s_cbranch_scc0 .LBB23_1737
; %bb.1727:
	global_load_dword v1, v[20:21], off
	s_mov_b64 s[6:7], 0
	s_mov_b64 s[18:19], -1
	s_waitcnt vmcnt(0)
	v_lshlrev_b32_e32 v1, 16, v1
	v_cvt_i32_f32_e32 v12, v1
	s_branch .LBB23_1738
.LBB23_1728:
	s_mov_b64 s[18:19], 0
                                        ; implicit-def: $vgpr12
	s_cbranch_execnz .LBB23_1799
.LBB23_1729:
	s_andn2_b64 vcc, exec, s[18:19]
	s_cbranch_vccnz .LBB23_3036
	s_branch .LBB23_1846
.LBB23_1730:
	s_mov_b64 s[18:19], 0
	s_mov_b64 s[6:7], 0
                                        ; implicit-def: $vgpr12
	s_cbranch_execnz .LBB23_1765
	s_branch .LBB23_1795
.LBB23_1731:
	s_mov_b64 s[20:21], -1
	s_mov_b64 s[18:19], 0
	s_mov_b64 s[6:7], 0
                                        ; implicit-def: $vgpr12
	s_branch .LBB23_1748
.LBB23_1732:
	s_mov_b64 s[20:21], -1
	s_mov_b64 s[18:19], 0
	s_mov_b64 s[6:7], 0
                                        ; implicit-def: $vgpr12
	s_branch .LBB23_1743
.LBB23_1733:
	s_or_b64 s[4:5], s[12:13], exec
	s_trap 2
	s_cbranch_execz .LBB23_1674
	s_branch .LBB23_1675
.LBB23_1734:
	s_mov_b64 s[20:21], -1
	s_mov_b64 s[18:19], 0
	s_mov_b64 s[6:7], 0
                                        ; implicit-def: $vgpr12
	s_branch .LBB23_1738
.LBB23_1735:
	s_andn2_saveexec_b64 s[20:21], s[20:21]
	s_cbranch_execz .LBB23_1478
.LBB23_1736:
	v_add_f32_e32 v0, 0x42800000, v1
	v_and_b32_e32 v0, 0xff, v0
	v_cmp_ne_u32_e32 vcc, 0, v0
	s_andn2_b64 s[18:19], s[18:19], exec
	s_and_b64 s[28:29], vcc, exec
	s_or_b64 s[18:19], s[18:19], s[28:29]
	s_or_b64 exec, exec, s[20:21]
	v_mov_b32_e32 v4, 0
	s_and_saveexec_b64 s[20:21], s[18:19]
	s_cbranch_execnz .LBB23_1479
	s_branch .LBB23_1480
.LBB23_1737:
	s_mov_b64 s[6:7], -1
                                        ; implicit-def: $vgpr12
	s_mov_b64 s[18:19], 0
.LBB23_1738:
	s_and_b64 vcc, exec, s[20:21]
	s_cbranch_vccz .LBB23_1742
; %bb.1739:
	s_cmp_eq_u32 s24, 44
	s_cbranch_scc0 .LBB23_1741
; %bb.1740:
	global_load_ubyte v1, v[20:21], off
	s_mov_b64 s[6:7], 0
	s_mov_b64 s[18:19], -1
	s_waitcnt vmcnt(0)
	v_lshlrev_b32_e32 v3, 23, v1
	v_cvt_i32_f32_e32 v3, v3
	v_cmp_ne_u32_e32 vcc, 0, v1
	v_cndmask_b32_e32 v12, 0, v3, vcc
	s_branch .LBB23_1742
.LBB23_1741:
	s_mov_b64 s[6:7], -1
                                        ; implicit-def: $vgpr12
.LBB23_1742:
	s_mov_b64 s[20:21], 0
.LBB23_1743:
	s_and_b64 vcc, exec, s[20:21]
	s_cbranch_vccz .LBB23_1747
; %bb.1744:
	s_cmp_eq_u32 s24, 29
	s_cbranch_scc0 .LBB23_1746
; %bb.1745:
	global_load_dwordx2 v[12:13], v[20:21], off
	s_mov_b64 s[6:7], 0
	s_mov_b64 s[18:19], -1
	s_branch .LBB23_1747
.LBB23_1746:
	s_mov_b64 s[6:7], -1
                                        ; implicit-def: $vgpr12
.LBB23_1747:
	s_mov_b64 s[20:21], 0
.LBB23_1748:
	s_and_b64 vcc, exec, s[20:21]
	s_cbranch_vccz .LBB23_1764
; %bb.1749:
	s_cmp_lt_i32 s24, 27
	s_cbranch_scc1 .LBB23_1752
; %bb.1750:
	s_cmp_gt_i32 s24, 27
	s_cbranch_scc0 .LBB23_1753
; %bb.1751:
	global_load_dword v12, v[20:21], off
	s_mov_b64 s[18:19], 0
	s_branch .LBB23_1754
.LBB23_1752:
	s_mov_b64 s[18:19], -1
                                        ; implicit-def: $vgpr12
	s_branch .LBB23_1757
.LBB23_1753:
	s_mov_b64 s[18:19], -1
                                        ; implicit-def: $vgpr12
.LBB23_1754:
	s_andn2_b64 vcc, exec, s[18:19]
	s_cbranch_vccnz .LBB23_1756
; %bb.1755:
	global_load_ushort v12, v[20:21], off
.LBB23_1756:
	s_mov_b64 s[18:19], 0
.LBB23_1757:
	s_andn2_b64 vcc, exec, s[18:19]
	s_cbranch_vccnz .LBB23_1763
; %bb.1758:
	global_load_ubyte v1, v[20:21], off
	s_movk_i32 s18, 0x7f
	s_mov_b64 s[20:21], 0
	s_waitcnt vmcnt(0)
	v_cmp_lt_i16_e32 vcc, s18, v1
	s_and_saveexec_b64 s[18:19], vcc
	s_xor_b64 s[18:19], exec, s[18:19]
	s_cbranch_execz .LBB23_1774
; %bb.1759:
	s_movk_i32 s20, 0x80
	v_cmp_ne_u16_e32 vcc, s20, v1
	s_and_b64 s[20:21], vcc, exec
	s_andn2_saveexec_b64 s[18:19], s[18:19]
	s_cbranch_execnz .LBB23_1775
.LBB23_1760:
	s_or_b64 exec, exec, s[18:19]
	v_mov_b32_e32 v12, 0
	s_and_saveexec_b64 s[18:19], s[20:21]
	s_cbranch_execz .LBB23_1762
.LBB23_1761:
	v_lshlrev_b32_e32 v3, 24, v1
	v_and_b32_e32 v1, 0xffff, v1
	v_and_b32_e32 v5, 7, v1
	v_ffbh_u32_e32 v10, v5
	v_min_u32_e32 v10, 32, v10
	v_subrev_u32_e32 v12, 28, v10
	v_bfe_u32 v8, v1, 3, 4
	v_lshlrev_b32_e32 v1, v12, v1
	v_sub_u32_e32 v10, 29, v10
	v_and_b32_e32 v1, 7, v1
	v_cmp_eq_u32_e32 vcc, 0, v8
	v_cndmask_b32_e32 v8, v8, v10, vcc
	v_cndmask_b32_e32 v1, v5, v1, vcc
	v_mov_b32_e32 v5, 0x3b800000
	v_lshlrev_b32_e32 v1, 20, v1
	v_and_b32_e32 v3, 0x80000000, v3
	v_lshl_add_u32 v5, v8, 23, v5
	v_or3_b32 v1, v3, v5, v1
	v_cvt_i32_f32_e32 v12, v1
.LBB23_1762:
	s_or_b64 exec, exec, s[18:19]
.LBB23_1763:
	s_mov_b64 s[18:19], -1
.LBB23_1764:
	s_branch .LBB23_1795
.LBB23_1765:
	s_cmp_gt_i32 s24, 22
	s_cbranch_scc0 .LBB23_1773
; %bb.1766:
	s_cmp_lt_i32 s24, 24
	s_cbranch_scc1 .LBB23_1776
; %bb.1767:
	s_cmp_gt_i32 s24, 24
	s_cbranch_scc0 .LBB23_1777
; %bb.1768:
	global_load_ubyte v1, v[20:21], off
	s_movk_i32 s16, 0x7f
	s_mov_b64 s[18:19], 0
	s_waitcnt vmcnt(0)
	v_cmp_lt_i16_e32 vcc, s16, v1
	s_and_saveexec_b64 s[16:17], vcc
	s_xor_b64 s[16:17], exec, s[16:17]
	s_cbranch_execz .LBB23_1789
; %bb.1769:
	s_movk_i32 s18, 0x80
	v_cmp_ne_u16_e32 vcc, s18, v1
	s_and_b64 s[18:19], vcc, exec
	s_andn2_saveexec_b64 s[16:17], s[16:17]
	s_cbranch_execnz .LBB23_1790
.LBB23_1770:
	s_or_b64 exec, exec, s[16:17]
	v_mov_b32_e32 v12, 0
	s_and_saveexec_b64 s[16:17], s[18:19]
	s_cbranch_execz .LBB23_1772
.LBB23_1771:
	v_lshlrev_b32_e32 v3, 24, v1
	v_and_b32_e32 v1, 0xffff, v1
	v_and_b32_e32 v5, 3, v1
	v_ffbh_u32_e32 v10, v5
	v_min_u32_e32 v10, 32, v10
	v_subrev_u32_e32 v12, 29, v10
	v_bfe_u32 v8, v1, 2, 5
	v_lshlrev_b32_e32 v1, v12, v1
	v_sub_u32_e32 v10, 30, v10
	v_and_b32_e32 v1, 3, v1
	v_cmp_eq_u32_e32 vcc, 0, v8
	v_cndmask_b32_e32 v8, v8, v10, vcc
	v_cndmask_b32_e32 v1, v5, v1, vcc
	v_mov_b32_e32 v5, 0x37800000
	v_lshlrev_b32_e32 v1, 21, v1
	v_and_b32_e32 v3, 0x80000000, v3
	v_lshl_add_u32 v5, v8, 23, v5
	v_or3_b32 v1, v3, v5, v1
	v_cvt_i32_f32_e32 v12, v1
.LBB23_1772:
	s_or_b64 exec, exec, s[16:17]
	s_mov_b64 s[16:17], 0
	s_branch .LBB23_1778
.LBB23_1773:
	s_mov_b64 s[16:17], -1
                                        ; implicit-def: $vgpr12
	s_branch .LBB23_1784
.LBB23_1774:
	s_andn2_saveexec_b64 s[18:19], s[18:19]
	s_cbranch_execz .LBB23_1760
.LBB23_1775:
	v_cmp_ne_u16_e32 vcc, 0, v1
	s_andn2_b64 s[20:21], s[20:21], exec
	s_and_b64 s[26:27], vcc, exec
	s_or_b64 s[20:21], s[20:21], s[26:27]
	s_or_b64 exec, exec, s[18:19]
	v_mov_b32_e32 v12, 0
	s_and_saveexec_b64 s[18:19], s[20:21]
	s_cbranch_execnz .LBB23_1761
	s_branch .LBB23_1762
.LBB23_1776:
	s_mov_b64 s[16:17], -1
                                        ; implicit-def: $vgpr12
	s_branch .LBB23_1781
.LBB23_1777:
	s_mov_b64 s[16:17], -1
                                        ; implicit-def: $vgpr12
.LBB23_1778:
	s_and_b64 vcc, exec, s[16:17]
	s_cbranch_vccz .LBB23_1780
; %bb.1779:
	global_load_ubyte v1, v[20:21], off
	s_mov_b32 s16, 0x7f800000
	s_waitcnt vmcnt(0)
	v_lshlrev_b32_e32 v1, 24, v1
	v_and_b32_e32 v3, 0x7f000000, v1
	v_ffbh_u32_e32 v5, v3
	v_min_u32_e32 v5, 32, v5
	v_sub_u32_e64 v5, v5, 4 clamp
	v_lshlrev_b32_e32 v10, v5, v3
	v_lshlrev_b32_e32 v5, 23, v5
	v_lshrrev_b32_e32 v10, 4, v10
	v_add_u32_e32 v8, 0x1000000, v3
	v_sub_u32_e32 v5, v10, v5
	v_ashrrev_i32_e32 v8, 8, v8
	v_add_u32_e32 v5, 0x3c000000, v5
	v_and_or_b32 v5, v8, s16, v5
	v_cmp_ne_u32_e32 vcc, 0, v3
	v_cndmask_b32_e32 v3, 0, v5, vcc
	s_brev_b32 s16, 1
	v_and_or_b32 v1, v1, s16, v3
	v_cvt_i32_f32_e32 v12, v1
.LBB23_1780:
	s_mov_b64 s[16:17], 0
.LBB23_1781:
	s_andn2_b64 vcc, exec, s[16:17]
	s_cbranch_vccnz .LBB23_1783
; %bb.1782:
	global_load_ubyte v1, v[20:21], off
	s_movk_i32 s16, 0x7f00
	s_brev_b32 s17, 16
	s_waitcnt vmcnt(0)
	v_lshlrev_b16_e32 v3, 8, v1
	v_lshlrev_b32_e32 v1, 25, v1
	v_lshrrev_b32_e32 v5, 4, v1
	v_and_or_b32 v8, v3, s16, 0.5
	v_or_b32_e32 v5, 0x70000000, v5
	v_add_f32_e32 v8, -0.5, v8
	v_mul_f32_e32 v5, 0x7800000, v5
	v_cmp_gt_u32_e32 vcc, s17, v1
	v_bfe_i32 v3, v3, 0, 16
	v_cndmask_b32_e32 v1, v5, v8, vcc
	s_brev_b32 s16, 1
	v_and_or_b32 v1, v3, s16, v1
	v_cvt_i32_f32_e32 v12, v1
.LBB23_1783:
	s_mov_b64 s[16:17], 0
	s_mov_b64 s[18:19], -1
.LBB23_1784:
	s_andn2_b64 vcc, exec, s[16:17]
	s_mov_b64 s[16:17], 0
	s_cbranch_vccnz .LBB23_1795
; %bb.1785:
	s_cmp_gt_i32 s24, 14
	s_cbranch_scc0 .LBB23_1788
; %bb.1786:
	s_cmp_eq_u32 s24, 15
	s_cbranch_scc0 .LBB23_1791
; %bb.1787:
	global_load_ushort v1, v[20:21], off
	s_mov_b64 s[6:7], 0
	s_mov_b64 s[18:19], -1
	s_waitcnt vmcnt(0)
	v_lshlrev_b32_e32 v1, 16, v1
	v_cvt_i32_f32_e32 v12, v1
	s_branch .LBB23_1792
.LBB23_1788:
	s_mov_b64 s[20:21], -1
                                        ; implicit-def: $vgpr12
	s_branch .LBB23_1793
.LBB23_1789:
	s_andn2_saveexec_b64 s[16:17], s[16:17]
	s_cbranch_execz .LBB23_1770
.LBB23_1790:
	v_cmp_ne_u16_e32 vcc, 0, v1
	s_andn2_b64 s[18:19], s[18:19], exec
	s_and_b64 s[20:21], vcc, exec
	s_or_b64 s[18:19], s[18:19], s[20:21]
	s_or_b64 exec, exec, s[16:17]
	v_mov_b32_e32 v12, 0
	s_and_saveexec_b64 s[16:17], s[18:19]
	s_cbranch_execnz .LBB23_1771
	s_branch .LBB23_1772
.LBB23_1791:
	s_mov_b64 s[6:7], -1
                                        ; implicit-def: $vgpr12
.LBB23_1792:
	s_mov_b64 s[20:21], 0
.LBB23_1793:
	s_and_b64 vcc, exec, s[20:21]
	s_cbranch_vccz .LBB23_1795
; %bb.1794:
	s_cmp_lg_u32 s24, 11
	s_mov_b64 s[16:17], -1
	s_cselect_b64 s[6:7], -1, 0
.LBB23_1795:
	s_and_b64 vcc, exec, s[6:7]
	s_cbranch_vccnz .LBB23_1858
; %bb.1796:
	s_andn2_b64 vcc, exec, s[16:17]
	s_cbranch_vccnz .LBB23_1798
.LBB23_1797:
	global_load_ubyte v1, v[20:21], off
	s_mov_b64 s[18:19], -1
	s_waitcnt vmcnt(0)
	v_cmp_ne_u16_e32 vcc, 0, v1
	v_cndmask_b32_e64 v12, 0, 1, vcc
.LBB23_1798:
	s_branch .LBB23_1729
.LBB23_1799:
	s_and_b32 s16, 0xffff, s22
	s_cmp_lt_i32 s16, 5
	s_cbranch_scc1 .LBB23_1804
; %bb.1800:
	s_cmp_lt_i32 s16, 8
	s_cbranch_scc1 .LBB23_1805
; %bb.1801:
	;; [unrolled: 3-line block ×3, first 2 shown]
	s_cmp_gt_i32 s16, 9
	s_cbranch_scc0 .LBB23_1807
; %bb.1803:
	global_load_dwordx2 v[12:13], v[20:21], off
	s_mov_b64 s[6:7], 0
	s_waitcnt vmcnt(0)
	v_cvt_i32_f64_e32 v12, v[12:13]
	s_branch .LBB23_1808
.LBB23_1804:
                                        ; implicit-def: $vgpr12
	s_branch .LBB23_1826
.LBB23_1805:
	s_mov_b64 s[6:7], -1
                                        ; implicit-def: $vgpr12
	s_branch .LBB23_1814
.LBB23_1806:
	s_mov_b64 s[6:7], -1
                                        ; implicit-def: $vgpr12
	s_branch .LBB23_1811
.LBB23_1807:
	s_mov_b64 s[6:7], -1
                                        ; implicit-def: $vgpr12
.LBB23_1808:
	s_andn2_b64 vcc, exec, s[6:7]
	s_cbranch_vccnz .LBB23_1810
; %bb.1809:
	global_load_dword v1, v[20:21], off
	s_waitcnt vmcnt(0)
	v_cvt_i32_f32_e32 v12, v1
.LBB23_1810:
	s_mov_b64 s[6:7], 0
.LBB23_1811:
	s_andn2_b64 vcc, exec, s[6:7]
	s_cbranch_vccnz .LBB23_1813
; %bb.1812:
	global_load_dword v1, v[20:21], off
	s_waitcnt vmcnt(0)
	v_cvt_i16_f16_e32 v12, v1
.LBB23_1813:
	s_mov_b64 s[6:7], 0
.LBB23_1814:
	s_andn2_b64 vcc, exec, s[6:7]
	s_cbranch_vccnz .LBB23_1825
; %bb.1815:
	s_cmp_lt_i32 s16, 6
	s_cbranch_scc1 .LBB23_1818
; %bb.1816:
	s_cmp_gt_i32 s16, 6
	s_cbranch_scc0 .LBB23_1819
; %bb.1817:
	global_load_dwordx2 v[12:13], v[20:21], off
	s_mov_b64 s[6:7], 0
	s_waitcnt vmcnt(0)
	v_cvt_i32_f64_e32 v12, v[12:13]
	s_branch .LBB23_1820
.LBB23_1818:
	s_mov_b64 s[6:7], -1
                                        ; implicit-def: $vgpr12
	s_branch .LBB23_1823
.LBB23_1819:
	s_mov_b64 s[6:7], -1
                                        ; implicit-def: $vgpr12
.LBB23_1820:
	s_andn2_b64 vcc, exec, s[6:7]
	s_cbranch_vccnz .LBB23_1822
; %bb.1821:
	global_load_dword v1, v[20:21], off
	s_waitcnt vmcnt(0)
	v_cvt_i32_f32_e32 v12, v1
.LBB23_1822:
	s_mov_b64 s[6:7], 0
.LBB23_1823:
	s_andn2_b64 vcc, exec, s[6:7]
	s_cbranch_vccnz .LBB23_1825
; %bb.1824:
	global_load_ushort v1, v[20:21], off
	s_waitcnt vmcnt(0)
	v_cvt_i16_f16_e32 v12, v1
.LBB23_1825:
	s_cbranch_execnz .LBB23_1845
.LBB23_1826:
	s_cmp_lt_i32 s16, 2
	s_cbranch_scc1 .LBB23_1830
; %bb.1827:
	s_cmp_lt_i32 s16, 3
	s_cbranch_scc1 .LBB23_1831
; %bb.1828:
	s_cmp_gt_i32 s16, 3
	s_cbranch_scc0 .LBB23_1832
; %bb.1829:
	global_load_dwordx2 v[12:13], v[20:21], off
	s_mov_b64 s[6:7], 0
	s_branch .LBB23_1833
.LBB23_1830:
	s_mov_b64 s[6:7], -1
                                        ; implicit-def: $vgpr12
	s_branch .LBB23_1839
.LBB23_1831:
	s_mov_b64 s[6:7], -1
                                        ; implicit-def: $vgpr12
	s_branch .LBB23_1836
.LBB23_1832:
	s_mov_b64 s[6:7], -1
                                        ; implicit-def: $vgpr12
.LBB23_1833:
	s_andn2_b64 vcc, exec, s[6:7]
	s_cbranch_vccnz .LBB23_1835
; %bb.1834:
	global_load_dword v12, v[20:21], off
.LBB23_1835:
	s_mov_b64 s[6:7], 0
.LBB23_1836:
	s_andn2_b64 vcc, exec, s[6:7]
	s_cbranch_vccnz .LBB23_1838
; %bb.1837:
	global_load_ushort v12, v[20:21], off
.LBB23_1838:
	s_mov_b64 s[6:7], 0
.LBB23_1839:
	s_andn2_b64 vcc, exec, s[6:7]
	s_cbranch_vccnz .LBB23_1845
; %bb.1840:
	s_cmp_gt_i32 s16, 0
	s_cbranch_scc0 .LBB23_1842
; %bb.1841:
	global_load_ubyte v12, v[20:21], off
	s_mov_b64 s[6:7], 0
	s_branch .LBB23_1843
.LBB23_1842:
	s_mov_b64 s[6:7], -1
                                        ; implicit-def: $vgpr12
.LBB23_1843:
	s_andn2_b64 vcc, exec, s[6:7]
	s_cbranch_vccnz .LBB23_1845
; %bb.1844:
	global_load_ubyte v12, v[20:21], off
.LBB23_1845:
.LBB23_1846:
	s_lshr_b32 s6, s23, 8
	v_mov_b32_e32 v1, s11
	s_and_b32 s22, s6, 0xff
	v_add_co_u32_e32 v20, vcc, s10, v11
	s_cmp_lt_i32 s22, 11
	v_addc_co_u32_e32 v21, vcc, 0, v1, vcc
	s_cbranch_scc1 .LBB23_1853
; %bb.1847:
	s_and_b32 s24, 0xffff, s22
	s_cmp_gt_i32 s24, 25
	s_mov_b64 s[16:17], 0
	s_cbranch_scc0 .LBB23_1855
; %bb.1848:
	s_cmp_gt_i32 s24, 28
	s_cbranch_scc0 .LBB23_1856
; %bb.1849:
	s_cmp_gt_i32 s24, 43
	;; [unrolled: 3-line block ×3, first 2 shown]
	s_cbranch_scc0 .LBB23_1859
; %bb.1851:
	s_cmp_eq_u32 s24, 46
	s_mov_b64 s[20:21], 0
	s_cbranch_scc0 .LBB23_1860
; %bb.1852:
	global_load_dword v1, v[20:21], off
	s_mov_b64 s[6:7], 0
	s_mov_b64 s[18:19], -1
	s_waitcnt vmcnt(0)
	v_lshlrev_b32_e32 v1, 16, v1
	v_cvt_i32_f32_e32 v10, v1
	s_branch .LBB23_1861
.LBB23_1853:
	s_mov_b64 s[18:19], 0
                                        ; implicit-def: $vgpr10
	s_cbranch_execnz .LBB23_1923
.LBB23_1854:
	s_andn2_b64 vcc, exec, s[18:19]
	s_cbranch_vccnz .LBB23_3036
	s_branch .LBB23_1971
.LBB23_1855:
	s_mov_b64 s[20:21], -1
	s_mov_b64 s[18:19], 0
	s_mov_b64 s[6:7], 0
                                        ; implicit-def: $vgpr10
	s_branch .LBB23_1888
.LBB23_1856:
	s_mov_b64 s[20:21], -1
	s_mov_b64 s[18:19], 0
	s_mov_b64 s[6:7], 0
                                        ; implicit-def: $vgpr10
	s_branch .LBB23_1871
.LBB23_1857:
	s_mov_b64 s[20:21], -1
	s_mov_b64 s[18:19], 0
	s_mov_b64 s[6:7], 0
                                        ; implicit-def: $vgpr10
	s_branch .LBB23_1866
.LBB23_1858:
	s_trap 2
	s_or_b64 s[4:5], s[4:5], exec
	s_cbranch_execz .LBB23_1797
	s_branch .LBB23_1798
.LBB23_1859:
	s_mov_b64 s[20:21], -1
	s_mov_b64 s[18:19], 0
	s_mov_b64 s[6:7], 0
                                        ; implicit-def: $vgpr10
	s_branch .LBB23_1861
.LBB23_1860:
	s_mov_b64 s[6:7], -1
                                        ; implicit-def: $vgpr10
	s_mov_b64 s[18:19], 0
.LBB23_1861:
	s_and_b64 vcc, exec, s[20:21]
	s_cbranch_vccz .LBB23_1865
; %bb.1862:
	s_cmp_eq_u32 s24, 44
	s_cbranch_scc0 .LBB23_1864
; %bb.1863:
	global_load_ubyte v1, v[20:21], off
	s_mov_b64 s[6:7], 0
	s_mov_b64 s[18:19], -1
	s_waitcnt vmcnt(0)
	v_lshlrev_b32_e32 v3, 23, v1
	v_cvt_i32_f32_e32 v3, v3
	v_cmp_ne_u32_e32 vcc, 0, v1
	v_cndmask_b32_e32 v10, 0, v3, vcc
	s_branch .LBB23_1865
.LBB23_1864:
	s_mov_b64 s[6:7], -1
                                        ; implicit-def: $vgpr10
.LBB23_1865:
	s_mov_b64 s[20:21], 0
.LBB23_1866:
	s_and_b64 vcc, exec, s[20:21]
	s_cbranch_vccz .LBB23_1870
; %bb.1867:
	s_cmp_eq_u32 s24, 29
	s_cbranch_scc0 .LBB23_1869
; %bb.1868:
	global_load_dwordx2 v[10:11], v[20:21], off
	s_mov_b64 s[6:7], 0
	s_mov_b64 s[18:19], -1
	s_branch .LBB23_1870
.LBB23_1869:
	s_mov_b64 s[6:7], -1
                                        ; implicit-def: $vgpr10
.LBB23_1870:
	s_mov_b64 s[20:21], 0
.LBB23_1871:
	s_and_b64 vcc, exec, s[20:21]
	s_cbranch_vccz .LBB23_1887
; %bb.1872:
	s_cmp_lt_i32 s24, 27
	s_cbranch_scc1 .LBB23_1875
; %bb.1873:
	s_cmp_gt_i32 s24, 27
	s_cbranch_scc0 .LBB23_1876
; %bb.1874:
	global_load_dword v10, v[20:21], off
	s_mov_b64 s[18:19], 0
	s_branch .LBB23_1877
.LBB23_1875:
	s_mov_b64 s[18:19], -1
                                        ; implicit-def: $vgpr10
	s_branch .LBB23_1880
.LBB23_1876:
	s_mov_b64 s[18:19], -1
                                        ; implicit-def: $vgpr10
.LBB23_1877:
	s_andn2_b64 vcc, exec, s[18:19]
	s_cbranch_vccnz .LBB23_1879
; %bb.1878:
	global_load_ushort v10, v[20:21], off
.LBB23_1879:
	s_mov_b64 s[18:19], 0
.LBB23_1880:
	s_andn2_b64 vcc, exec, s[18:19]
	s_cbranch_vccnz .LBB23_1886
; %bb.1881:
	global_load_ubyte v1, v[20:21], off
	s_movk_i32 s18, 0x7f
	s_mov_b64 s[20:21], 0
	s_waitcnt vmcnt(0)
	v_cmp_lt_i16_e32 vcc, s18, v1
	s_and_saveexec_b64 s[18:19], vcc
	s_xor_b64 s[18:19], exec, s[18:19]
	s_cbranch_execz .LBB23_1898
; %bb.1882:
	s_movk_i32 s20, 0x80
	v_cmp_ne_u16_e32 vcc, s20, v1
	s_and_b64 s[20:21], vcc, exec
	s_andn2_saveexec_b64 s[18:19], s[18:19]
	s_cbranch_execnz .LBB23_1899
.LBB23_1883:
	s_or_b64 exec, exec, s[18:19]
	v_mov_b32_e32 v10, 0
	s_and_saveexec_b64 s[18:19], s[20:21]
	s_cbranch_execz .LBB23_1885
.LBB23_1884:
	v_lshlrev_b32_e32 v3, 24, v1
	v_and_b32_e32 v1, 0xffff, v1
	v_and_b32_e32 v5, 7, v1
	v_ffbh_u32_e32 v10, v5
	v_min_u32_e32 v10, 32, v10
	v_subrev_u32_e32 v11, 28, v10
	v_bfe_u32 v8, v1, 3, 4
	v_lshlrev_b32_e32 v1, v11, v1
	v_sub_u32_e32 v10, 29, v10
	v_and_b32_e32 v1, 7, v1
	v_cmp_eq_u32_e32 vcc, 0, v8
	v_cndmask_b32_e32 v8, v8, v10, vcc
	v_cndmask_b32_e32 v1, v5, v1, vcc
	v_mov_b32_e32 v5, 0x3b800000
	v_lshlrev_b32_e32 v1, 20, v1
	v_and_b32_e32 v3, 0x80000000, v3
	v_lshl_add_u32 v5, v8, 23, v5
	v_or3_b32 v1, v3, v5, v1
	v_cvt_i32_f32_e32 v10, v1
.LBB23_1885:
	s_or_b64 exec, exec, s[18:19]
.LBB23_1886:
	s_mov_b64 s[18:19], -1
.LBB23_1887:
	s_mov_b64 s[20:21], 0
.LBB23_1888:
	s_and_b64 vcc, exec, s[20:21]
	s_cbranch_vccz .LBB23_1919
; %bb.1889:
	s_cmp_gt_i32 s24, 22
	s_cbranch_scc0 .LBB23_1897
; %bb.1890:
	s_cmp_lt_i32 s24, 24
	s_cbranch_scc1 .LBB23_1900
; %bb.1891:
	s_cmp_gt_i32 s24, 24
	s_cbranch_scc0 .LBB23_1901
; %bb.1892:
	global_load_ubyte v1, v[20:21], off
	s_movk_i32 s16, 0x7f
	s_mov_b64 s[18:19], 0
	s_waitcnt vmcnt(0)
	v_cmp_lt_i16_e32 vcc, s16, v1
	s_and_saveexec_b64 s[16:17], vcc
	s_xor_b64 s[16:17], exec, s[16:17]
	s_cbranch_execz .LBB23_1913
; %bb.1893:
	s_movk_i32 s18, 0x80
	v_cmp_ne_u16_e32 vcc, s18, v1
	s_and_b64 s[18:19], vcc, exec
	s_andn2_saveexec_b64 s[16:17], s[16:17]
	s_cbranch_execnz .LBB23_1914
.LBB23_1894:
	s_or_b64 exec, exec, s[16:17]
	v_mov_b32_e32 v10, 0
	s_and_saveexec_b64 s[16:17], s[18:19]
	s_cbranch_execz .LBB23_1896
.LBB23_1895:
	v_lshlrev_b32_e32 v3, 24, v1
	v_and_b32_e32 v1, 0xffff, v1
	v_and_b32_e32 v5, 3, v1
	v_ffbh_u32_e32 v10, v5
	v_min_u32_e32 v10, 32, v10
	v_subrev_u32_e32 v11, 29, v10
	v_bfe_u32 v8, v1, 2, 5
	v_lshlrev_b32_e32 v1, v11, v1
	v_sub_u32_e32 v10, 30, v10
	v_and_b32_e32 v1, 3, v1
	v_cmp_eq_u32_e32 vcc, 0, v8
	v_cndmask_b32_e32 v8, v8, v10, vcc
	v_cndmask_b32_e32 v1, v5, v1, vcc
	v_mov_b32_e32 v5, 0x37800000
	v_lshlrev_b32_e32 v1, 21, v1
	v_and_b32_e32 v3, 0x80000000, v3
	v_lshl_add_u32 v5, v8, 23, v5
	v_or3_b32 v1, v3, v5, v1
	v_cvt_i32_f32_e32 v10, v1
.LBB23_1896:
	s_or_b64 exec, exec, s[16:17]
	s_mov_b64 s[16:17], 0
	s_branch .LBB23_1902
.LBB23_1897:
	s_mov_b64 s[16:17], -1
                                        ; implicit-def: $vgpr10
	s_branch .LBB23_1908
.LBB23_1898:
	s_andn2_saveexec_b64 s[18:19], s[18:19]
	s_cbranch_execz .LBB23_1883
.LBB23_1899:
	v_cmp_ne_u16_e32 vcc, 0, v1
	s_andn2_b64 s[20:21], s[20:21], exec
	s_and_b64 s[26:27], vcc, exec
	s_or_b64 s[20:21], s[20:21], s[26:27]
	s_or_b64 exec, exec, s[18:19]
	v_mov_b32_e32 v10, 0
	s_and_saveexec_b64 s[18:19], s[20:21]
	s_cbranch_execnz .LBB23_1884
	s_branch .LBB23_1885
.LBB23_1900:
	s_mov_b64 s[16:17], -1
                                        ; implicit-def: $vgpr10
	s_branch .LBB23_1905
.LBB23_1901:
	s_mov_b64 s[16:17], -1
                                        ; implicit-def: $vgpr10
.LBB23_1902:
	s_and_b64 vcc, exec, s[16:17]
	s_cbranch_vccz .LBB23_1904
; %bb.1903:
	global_load_ubyte v1, v[20:21], off
	s_mov_b32 s16, 0x7f800000
	s_waitcnt vmcnt(0)
	v_lshlrev_b32_e32 v1, 24, v1
	v_and_b32_e32 v3, 0x7f000000, v1
	v_ffbh_u32_e32 v5, v3
	v_min_u32_e32 v5, 32, v5
	v_sub_u32_e64 v5, v5, 4 clamp
	v_lshlrev_b32_e32 v10, v5, v3
	v_lshlrev_b32_e32 v5, 23, v5
	v_lshrrev_b32_e32 v10, 4, v10
	v_add_u32_e32 v8, 0x1000000, v3
	v_sub_u32_e32 v5, v10, v5
	v_ashrrev_i32_e32 v8, 8, v8
	v_add_u32_e32 v5, 0x3c000000, v5
	v_and_or_b32 v5, v8, s16, v5
	v_cmp_ne_u32_e32 vcc, 0, v3
	v_cndmask_b32_e32 v3, 0, v5, vcc
	s_brev_b32 s16, 1
	v_and_or_b32 v1, v1, s16, v3
	v_cvt_i32_f32_e32 v10, v1
.LBB23_1904:
	s_mov_b64 s[16:17], 0
.LBB23_1905:
	s_andn2_b64 vcc, exec, s[16:17]
	s_cbranch_vccnz .LBB23_1907
; %bb.1906:
	global_load_ubyte v1, v[20:21], off
	s_movk_i32 s16, 0x7f00
	s_brev_b32 s17, 16
	s_waitcnt vmcnt(0)
	v_lshlrev_b16_e32 v3, 8, v1
	v_lshlrev_b32_e32 v1, 25, v1
	v_lshrrev_b32_e32 v5, 4, v1
	v_and_or_b32 v8, v3, s16, 0.5
	v_or_b32_e32 v5, 0x70000000, v5
	v_add_f32_e32 v8, -0.5, v8
	v_mul_f32_e32 v5, 0x7800000, v5
	v_cmp_gt_u32_e32 vcc, s17, v1
	v_bfe_i32 v3, v3, 0, 16
	v_cndmask_b32_e32 v1, v5, v8, vcc
	s_brev_b32 s16, 1
	v_and_or_b32 v1, v3, s16, v1
	v_cvt_i32_f32_e32 v10, v1
.LBB23_1907:
	s_mov_b64 s[16:17], 0
	s_mov_b64 s[18:19], -1
.LBB23_1908:
	s_andn2_b64 vcc, exec, s[16:17]
	s_mov_b64 s[16:17], 0
	s_cbranch_vccnz .LBB23_1919
; %bb.1909:
	s_cmp_gt_i32 s24, 14
	s_cbranch_scc0 .LBB23_1912
; %bb.1910:
	s_cmp_eq_u32 s24, 15
	s_cbranch_scc0 .LBB23_1915
; %bb.1911:
	global_load_ushort v1, v[20:21], off
	s_mov_b64 s[6:7], 0
	s_mov_b64 s[18:19], -1
	s_waitcnt vmcnt(0)
	v_lshlrev_b32_e32 v1, 16, v1
	v_cvt_i32_f32_e32 v10, v1
	s_branch .LBB23_1916
.LBB23_1912:
	s_mov_b64 s[20:21], -1
                                        ; implicit-def: $vgpr10
	s_branch .LBB23_1917
.LBB23_1913:
	s_andn2_saveexec_b64 s[16:17], s[16:17]
	s_cbranch_execz .LBB23_1894
.LBB23_1914:
	v_cmp_ne_u16_e32 vcc, 0, v1
	s_andn2_b64 s[18:19], s[18:19], exec
	s_and_b64 s[20:21], vcc, exec
	s_or_b64 s[18:19], s[18:19], s[20:21]
	s_or_b64 exec, exec, s[16:17]
	v_mov_b32_e32 v10, 0
	s_and_saveexec_b64 s[16:17], s[18:19]
	s_cbranch_execnz .LBB23_1895
	s_branch .LBB23_1896
.LBB23_1915:
	s_mov_b64 s[6:7], -1
                                        ; implicit-def: $vgpr10
.LBB23_1916:
	s_mov_b64 s[20:21], 0
.LBB23_1917:
	s_and_b64 vcc, exec, s[20:21]
	s_cbranch_vccz .LBB23_1919
; %bb.1918:
	s_cmp_lg_u32 s24, 11
	s_mov_b64 s[16:17], -1
	s_cselect_b64 s[6:7], -1, 0
.LBB23_1919:
	s_and_b64 vcc, exec, s[6:7]
	s_cbranch_vccnz .LBB23_1982
; %bb.1920:
	s_andn2_b64 vcc, exec, s[16:17]
	s_cbranch_vccnz .LBB23_1922
.LBB23_1921:
	global_load_ubyte v1, v[20:21], off
	s_mov_b64 s[18:19], -1
	s_waitcnt vmcnt(0)
	v_cmp_ne_u16_e32 vcc, 0, v1
	v_cndmask_b32_e64 v10, 0, 1, vcc
.LBB23_1922:
	s_branch .LBB23_1854
.LBB23_1923:
	s_and_b32 s16, 0xffff, s22
	s_cmp_lt_i32 s16, 5
	s_cbranch_scc1 .LBB23_1928
; %bb.1924:
	s_cmp_lt_i32 s16, 8
	s_cbranch_scc1 .LBB23_1929
; %bb.1925:
	;; [unrolled: 3-line block ×3, first 2 shown]
	s_cmp_gt_i32 s16, 9
	s_cbranch_scc0 .LBB23_1931
; %bb.1927:
	global_load_dwordx2 v[10:11], v[20:21], off
	s_mov_b64 s[6:7], 0
	s_waitcnt vmcnt(0)
	v_cvt_i32_f64_e32 v10, v[10:11]
	s_branch .LBB23_1932
.LBB23_1928:
	s_mov_b64 s[6:7], -1
                                        ; implicit-def: $vgpr10
	s_branch .LBB23_1950
.LBB23_1929:
	s_mov_b64 s[6:7], -1
                                        ; implicit-def: $vgpr10
	s_branch .LBB23_1938
.LBB23_1930:
	s_mov_b64 s[6:7], -1
                                        ; implicit-def: $vgpr10
	s_branch .LBB23_1935
.LBB23_1931:
	s_mov_b64 s[6:7], -1
                                        ; implicit-def: $vgpr10
.LBB23_1932:
	s_andn2_b64 vcc, exec, s[6:7]
	s_cbranch_vccnz .LBB23_1934
; %bb.1933:
	global_load_dword v1, v[20:21], off
	s_waitcnt vmcnt(0)
	v_cvt_i32_f32_e32 v10, v1
.LBB23_1934:
	s_mov_b64 s[6:7], 0
.LBB23_1935:
	s_andn2_b64 vcc, exec, s[6:7]
	s_cbranch_vccnz .LBB23_1937
; %bb.1936:
	global_load_dword v1, v[20:21], off
	s_waitcnt vmcnt(0)
	v_cvt_i16_f16_e32 v10, v1
.LBB23_1937:
	s_mov_b64 s[6:7], 0
.LBB23_1938:
	s_andn2_b64 vcc, exec, s[6:7]
	s_cbranch_vccnz .LBB23_1949
; %bb.1939:
	s_cmp_lt_i32 s16, 6
	s_cbranch_scc1 .LBB23_1942
; %bb.1940:
	s_cmp_gt_i32 s16, 6
	s_cbranch_scc0 .LBB23_1943
; %bb.1941:
	global_load_dwordx2 v[10:11], v[20:21], off
	s_mov_b64 s[6:7], 0
	s_waitcnt vmcnt(0)
	v_cvt_i32_f64_e32 v10, v[10:11]
	s_branch .LBB23_1944
.LBB23_1942:
	s_mov_b64 s[6:7], -1
                                        ; implicit-def: $vgpr10
	s_branch .LBB23_1947
.LBB23_1943:
	s_mov_b64 s[6:7], -1
                                        ; implicit-def: $vgpr10
.LBB23_1944:
	s_andn2_b64 vcc, exec, s[6:7]
	s_cbranch_vccnz .LBB23_1946
; %bb.1945:
	global_load_dword v1, v[20:21], off
	s_waitcnt vmcnt(0)
	v_cvt_i32_f32_e32 v10, v1
.LBB23_1946:
	s_mov_b64 s[6:7], 0
.LBB23_1947:
	s_andn2_b64 vcc, exec, s[6:7]
	s_cbranch_vccnz .LBB23_1949
; %bb.1948:
	global_load_ushort v1, v[20:21], off
	s_waitcnt vmcnt(0)
	v_cvt_i16_f16_e32 v10, v1
.LBB23_1949:
	s_mov_b64 s[6:7], 0
.LBB23_1950:
	s_andn2_b64 vcc, exec, s[6:7]
	s_cbranch_vccnz .LBB23_1970
; %bb.1951:
	s_cmp_lt_i32 s16, 2
	s_cbranch_scc1 .LBB23_1955
; %bb.1952:
	s_cmp_lt_i32 s16, 3
	s_cbranch_scc1 .LBB23_1956
; %bb.1953:
	s_cmp_gt_i32 s16, 3
	s_cbranch_scc0 .LBB23_1957
; %bb.1954:
	global_load_dwordx2 v[10:11], v[20:21], off
	s_mov_b64 s[6:7], 0
	s_branch .LBB23_1958
.LBB23_1955:
	s_mov_b64 s[6:7], -1
                                        ; implicit-def: $vgpr10
	s_branch .LBB23_1964
.LBB23_1956:
	s_mov_b64 s[6:7], -1
                                        ; implicit-def: $vgpr10
	s_branch .LBB23_1961
.LBB23_1957:
	s_mov_b64 s[6:7], -1
                                        ; implicit-def: $vgpr10
.LBB23_1958:
	s_andn2_b64 vcc, exec, s[6:7]
	s_cbranch_vccnz .LBB23_1960
; %bb.1959:
	global_load_dword v10, v[20:21], off
.LBB23_1960:
	s_mov_b64 s[6:7], 0
.LBB23_1961:
	s_andn2_b64 vcc, exec, s[6:7]
	s_cbranch_vccnz .LBB23_1963
; %bb.1962:
	global_load_ushort v10, v[20:21], off
.LBB23_1963:
	s_mov_b64 s[6:7], 0
.LBB23_1964:
	s_andn2_b64 vcc, exec, s[6:7]
	s_cbranch_vccnz .LBB23_1970
; %bb.1965:
	s_cmp_gt_i32 s16, 0
	s_cbranch_scc0 .LBB23_1967
; %bb.1966:
	global_load_ubyte v10, v[20:21], off
	s_mov_b64 s[6:7], 0
	s_branch .LBB23_1968
.LBB23_1967:
	s_mov_b64 s[6:7], -1
                                        ; implicit-def: $vgpr10
.LBB23_1968:
	s_andn2_b64 vcc, exec, s[6:7]
	s_cbranch_vccnz .LBB23_1970
; %bb.1969:
	global_load_ubyte v10, v[20:21], off
.LBB23_1970:
.LBB23_1971:
	s_lshr_b32 s6, s23, 16
	v_mov_b32_e32 v1, s1
	s_and_b32 s23, s6, 0xff
	v_add_co_u32_e32 v20, vcc, s0, v18
	s_cmp_lt_i32 s23, 11
	v_addc_co_u32_e32 v21, vcc, 0, v1, vcc
	s_cbranch_scc1 .LBB23_1978
; %bb.1972:
	s_and_b32 s24, 0xffff, s23
	s_cmp_gt_i32 s24, 25
	s_mov_b64 s[16:17], 0
	s_cbranch_scc0 .LBB23_1979
; %bb.1973:
	s_cmp_gt_i32 s24, 28
	s_cbranch_scc0 .LBB23_1980
; %bb.1974:
	s_cmp_gt_i32 s24, 43
	;; [unrolled: 3-line block ×3, first 2 shown]
	s_cbranch_scc0 .LBB23_1983
; %bb.1976:
	s_cmp_eq_u32 s24, 46
	s_mov_b64 s[20:21], 0
	s_cbranch_scc0 .LBB23_1984
; %bb.1977:
	global_load_dword v1, v[20:21], off
	s_mov_b64 s[6:7], 0
	s_mov_b64 s[18:19], -1
	s_waitcnt vmcnt(0)
	v_lshlrev_b32_e32 v1, 16, v1
	v_cvt_i32_f32_e32 v17, v1
	s_branch .LBB23_1985
.LBB23_1978:
	s_mov_b64 s[6:7], -1
	s_mov_b64 s[18:19], 0
                                        ; implicit-def: $vgpr17
	s_branch .LBB23_2047
.LBB23_1979:
	s_mov_b64 s[20:21], -1
	s_mov_b64 s[18:19], 0
	s_mov_b64 s[6:7], 0
                                        ; implicit-def: $vgpr17
	s_branch .LBB23_2012
.LBB23_1980:
	s_mov_b64 s[20:21], -1
	s_mov_b64 s[18:19], 0
	s_mov_b64 s[6:7], 0
                                        ; implicit-def: $vgpr17
	s_branch .LBB23_1995
.LBB23_1981:
	s_mov_b64 s[20:21], -1
	s_mov_b64 s[18:19], 0
	s_mov_b64 s[6:7], 0
                                        ; implicit-def: $vgpr17
	s_branch .LBB23_1990
.LBB23_1982:
	s_trap 2
	s_or_b64 s[4:5], s[4:5], exec
	s_cbranch_execz .LBB23_1921
	s_branch .LBB23_1922
.LBB23_1983:
	s_mov_b64 s[20:21], -1
	s_mov_b64 s[18:19], 0
	s_mov_b64 s[6:7], 0
                                        ; implicit-def: $vgpr17
	s_branch .LBB23_1985
.LBB23_1984:
	s_mov_b64 s[6:7], -1
                                        ; implicit-def: $vgpr17
	s_mov_b64 s[18:19], 0
.LBB23_1985:
	s_and_b64 vcc, exec, s[20:21]
	s_cbranch_vccz .LBB23_1989
; %bb.1986:
	s_cmp_eq_u32 s24, 44
	s_cbranch_scc0 .LBB23_1988
; %bb.1987:
	global_load_ubyte v1, v[20:21], off
	s_mov_b64 s[6:7], 0
	s_mov_b64 s[18:19], -1
	s_waitcnt vmcnt(0)
	v_lshlrev_b32_e32 v3, 23, v1
	v_cvt_i32_f32_e32 v3, v3
	v_cmp_ne_u32_e32 vcc, 0, v1
	v_cndmask_b32_e32 v17, 0, v3, vcc
	s_branch .LBB23_1989
.LBB23_1988:
	s_mov_b64 s[6:7], -1
                                        ; implicit-def: $vgpr17
.LBB23_1989:
	s_mov_b64 s[20:21], 0
.LBB23_1990:
	s_and_b64 vcc, exec, s[20:21]
	s_cbranch_vccz .LBB23_1994
; %bb.1991:
	s_cmp_eq_u32 s24, 29
	s_cbranch_scc0 .LBB23_1993
; %bb.1992:
	global_load_dwordx2 v[17:18], v[20:21], off
	s_mov_b64 s[6:7], 0
	s_mov_b64 s[18:19], -1
	s_branch .LBB23_1994
.LBB23_1993:
	s_mov_b64 s[6:7], -1
                                        ; implicit-def: $vgpr17
.LBB23_1994:
	s_mov_b64 s[20:21], 0
.LBB23_1995:
	s_and_b64 vcc, exec, s[20:21]
	s_cbranch_vccz .LBB23_2011
; %bb.1996:
	s_cmp_lt_i32 s24, 27
	s_cbranch_scc1 .LBB23_1999
; %bb.1997:
	s_cmp_gt_i32 s24, 27
	s_cbranch_scc0 .LBB23_2000
; %bb.1998:
	global_load_dword v17, v[20:21], off
	s_mov_b64 s[18:19], 0
	s_branch .LBB23_2001
.LBB23_1999:
	s_mov_b64 s[18:19], -1
                                        ; implicit-def: $vgpr17
	s_branch .LBB23_2004
.LBB23_2000:
	s_mov_b64 s[18:19], -1
                                        ; implicit-def: $vgpr17
.LBB23_2001:
	s_andn2_b64 vcc, exec, s[18:19]
	s_cbranch_vccnz .LBB23_2003
; %bb.2002:
	global_load_ushort v17, v[20:21], off
.LBB23_2003:
	s_mov_b64 s[18:19], 0
.LBB23_2004:
	s_andn2_b64 vcc, exec, s[18:19]
	s_cbranch_vccnz .LBB23_2010
; %bb.2005:
	global_load_ubyte v1, v[20:21], off
	s_movk_i32 s18, 0x7f
	s_mov_b64 s[20:21], 0
	s_waitcnt vmcnt(0)
	v_cmp_lt_i16_e32 vcc, s18, v1
	s_and_saveexec_b64 s[18:19], vcc
	s_xor_b64 s[18:19], exec, s[18:19]
	s_cbranch_execz .LBB23_2022
; %bb.2006:
	s_movk_i32 s20, 0x80
	v_cmp_ne_u16_e32 vcc, s20, v1
	s_and_b64 s[20:21], vcc, exec
	s_andn2_saveexec_b64 s[18:19], s[18:19]
	s_cbranch_execnz .LBB23_2023
.LBB23_2007:
	s_or_b64 exec, exec, s[18:19]
	v_mov_b32_e32 v17, 0
	s_and_saveexec_b64 s[18:19], s[20:21]
	s_cbranch_execz .LBB23_2009
.LBB23_2008:
	v_lshlrev_b32_e32 v3, 24, v1
	v_and_b32_e32 v1, 0xffff, v1
	v_and_b32_e32 v5, 7, v1
	v_ffbh_u32_e32 v11, v5
	v_min_u32_e32 v11, 32, v11
	v_subrev_u32_e32 v13, 28, v11
	v_bfe_u32 v8, v1, 3, 4
	v_lshlrev_b32_e32 v1, v13, v1
	v_sub_u32_e32 v11, 29, v11
	v_and_b32_e32 v1, 7, v1
	v_cmp_eq_u32_e32 vcc, 0, v8
	v_cndmask_b32_e32 v8, v8, v11, vcc
	v_cndmask_b32_e32 v1, v5, v1, vcc
	v_mov_b32_e32 v5, 0x3b800000
	v_lshlrev_b32_e32 v1, 20, v1
	v_and_b32_e32 v3, 0x80000000, v3
	v_lshl_add_u32 v5, v8, 23, v5
	v_or3_b32 v1, v3, v5, v1
	v_cvt_i32_f32_e32 v17, v1
.LBB23_2009:
	s_or_b64 exec, exec, s[18:19]
.LBB23_2010:
	s_mov_b64 s[18:19], -1
.LBB23_2011:
	s_mov_b64 s[20:21], 0
.LBB23_2012:
	s_and_b64 vcc, exec, s[20:21]
	s_cbranch_vccz .LBB23_2043
; %bb.2013:
	s_cmp_gt_i32 s24, 22
	s_cbranch_scc0 .LBB23_2021
; %bb.2014:
	s_cmp_lt_i32 s24, 24
	s_cbranch_scc1 .LBB23_2024
; %bb.2015:
	s_cmp_gt_i32 s24, 24
	s_cbranch_scc0 .LBB23_2025
; %bb.2016:
	global_load_ubyte v1, v[20:21], off
	s_movk_i32 s16, 0x7f
	s_mov_b64 s[18:19], 0
	s_waitcnt vmcnt(0)
	v_cmp_lt_i16_e32 vcc, s16, v1
	s_and_saveexec_b64 s[16:17], vcc
	s_xor_b64 s[16:17], exec, s[16:17]
	s_cbranch_execz .LBB23_2037
; %bb.2017:
	s_movk_i32 s18, 0x80
	v_cmp_ne_u16_e32 vcc, s18, v1
	s_and_b64 s[18:19], vcc, exec
	s_andn2_saveexec_b64 s[16:17], s[16:17]
	s_cbranch_execnz .LBB23_2038
.LBB23_2018:
	s_or_b64 exec, exec, s[16:17]
	v_mov_b32_e32 v17, 0
	s_and_saveexec_b64 s[16:17], s[18:19]
	s_cbranch_execz .LBB23_2020
.LBB23_2019:
	v_lshlrev_b32_e32 v3, 24, v1
	v_and_b32_e32 v1, 0xffff, v1
	v_and_b32_e32 v5, 3, v1
	v_ffbh_u32_e32 v11, v5
	v_min_u32_e32 v11, 32, v11
	v_subrev_u32_e32 v13, 29, v11
	v_bfe_u32 v8, v1, 2, 5
	v_lshlrev_b32_e32 v1, v13, v1
	v_sub_u32_e32 v11, 30, v11
	v_and_b32_e32 v1, 3, v1
	v_cmp_eq_u32_e32 vcc, 0, v8
	v_cndmask_b32_e32 v8, v8, v11, vcc
	v_cndmask_b32_e32 v1, v5, v1, vcc
	v_mov_b32_e32 v5, 0x37800000
	v_lshlrev_b32_e32 v1, 21, v1
	v_and_b32_e32 v3, 0x80000000, v3
	v_lshl_add_u32 v5, v8, 23, v5
	v_or3_b32 v1, v3, v5, v1
	v_cvt_i32_f32_e32 v17, v1
.LBB23_2020:
	s_or_b64 exec, exec, s[16:17]
	s_mov_b64 s[16:17], 0
	s_branch .LBB23_2026
.LBB23_2021:
	s_mov_b64 s[16:17], -1
                                        ; implicit-def: $vgpr17
	s_branch .LBB23_2032
.LBB23_2022:
	s_andn2_saveexec_b64 s[18:19], s[18:19]
	s_cbranch_execz .LBB23_2007
.LBB23_2023:
	v_cmp_ne_u16_e32 vcc, 0, v1
	s_andn2_b64 s[20:21], s[20:21], exec
	s_and_b64 s[26:27], vcc, exec
	s_or_b64 s[20:21], s[20:21], s[26:27]
	s_or_b64 exec, exec, s[18:19]
	v_mov_b32_e32 v17, 0
	s_and_saveexec_b64 s[18:19], s[20:21]
	s_cbranch_execnz .LBB23_2008
	s_branch .LBB23_2009
.LBB23_2024:
	s_mov_b64 s[16:17], -1
                                        ; implicit-def: $vgpr17
	s_branch .LBB23_2029
.LBB23_2025:
	s_mov_b64 s[16:17], -1
                                        ; implicit-def: $vgpr17
.LBB23_2026:
	s_and_b64 vcc, exec, s[16:17]
	s_cbranch_vccz .LBB23_2028
; %bb.2027:
	global_load_ubyte v1, v[20:21], off
	s_mov_b32 s16, 0x7f800000
	s_waitcnt vmcnt(0)
	v_lshlrev_b32_e32 v1, 24, v1
	v_and_b32_e32 v3, 0x7f000000, v1
	v_ffbh_u32_e32 v5, v3
	v_min_u32_e32 v5, 32, v5
	v_sub_u32_e64 v5, v5, 4 clamp
	v_lshlrev_b32_e32 v11, v5, v3
	v_lshlrev_b32_e32 v5, 23, v5
	v_lshrrev_b32_e32 v11, 4, v11
	v_add_u32_e32 v8, 0x1000000, v3
	v_sub_u32_e32 v5, v11, v5
	v_ashrrev_i32_e32 v8, 8, v8
	v_add_u32_e32 v5, 0x3c000000, v5
	v_and_or_b32 v5, v8, s16, v5
	v_cmp_ne_u32_e32 vcc, 0, v3
	v_cndmask_b32_e32 v3, 0, v5, vcc
	s_brev_b32 s16, 1
	v_and_or_b32 v1, v1, s16, v3
	v_cvt_i32_f32_e32 v17, v1
.LBB23_2028:
	s_mov_b64 s[16:17], 0
.LBB23_2029:
	s_andn2_b64 vcc, exec, s[16:17]
	s_cbranch_vccnz .LBB23_2031
; %bb.2030:
	global_load_ubyte v1, v[20:21], off
	s_movk_i32 s16, 0x7f00
	s_brev_b32 s17, 16
	s_waitcnt vmcnt(0)
	v_lshlrev_b16_e32 v3, 8, v1
	v_lshlrev_b32_e32 v1, 25, v1
	v_lshrrev_b32_e32 v5, 4, v1
	v_and_or_b32 v8, v3, s16, 0.5
	v_or_b32_e32 v5, 0x70000000, v5
	v_add_f32_e32 v8, -0.5, v8
	v_mul_f32_e32 v5, 0x7800000, v5
	v_cmp_gt_u32_e32 vcc, s17, v1
	v_bfe_i32 v3, v3, 0, 16
	v_cndmask_b32_e32 v1, v5, v8, vcc
	s_brev_b32 s16, 1
	v_and_or_b32 v1, v3, s16, v1
	v_cvt_i32_f32_e32 v17, v1
.LBB23_2031:
	s_mov_b64 s[16:17], 0
	s_mov_b64 s[18:19], -1
.LBB23_2032:
	s_andn2_b64 vcc, exec, s[16:17]
	s_mov_b64 s[16:17], 0
	s_cbranch_vccnz .LBB23_2043
; %bb.2033:
	s_cmp_gt_i32 s24, 14
	s_cbranch_scc0 .LBB23_2036
; %bb.2034:
	s_cmp_eq_u32 s24, 15
	s_cbranch_scc0 .LBB23_2039
; %bb.2035:
	global_load_ushort v1, v[20:21], off
	s_mov_b64 s[6:7], 0
	s_mov_b64 s[18:19], -1
	s_waitcnt vmcnt(0)
	v_lshlrev_b32_e32 v1, 16, v1
	v_cvt_i32_f32_e32 v17, v1
	s_branch .LBB23_2040
.LBB23_2036:
	s_mov_b64 s[20:21], -1
                                        ; implicit-def: $vgpr17
	s_branch .LBB23_2041
.LBB23_2037:
	s_andn2_saveexec_b64 s[16:17], s[16:17]
	s_cbranch_execz .LBB23_2018
.LBB23_2038:
	v_cmp_ne_u16_e32 vcc, 0, v1
	s_andn2_b64 s[18:19], s[18:19], exec
	s_and_b64 s[20:21], vcc, exec
	s_or_b64 s[18:19], s[18:19], s[20:21]
	s_or_b64 exec, exec, s[16:17]
	v_mov_b32_e32 v17, 0
	s_and_saveexec_b64 s[16:17], s[18:19]
	s_cbranch_execnz .LBB23_2019
	s_branch .LBB23_2020
.LBB23_2039:
	s_mov_b64 s[6:7], -1
                                        ; implicit-def: $vgpr17
.LBB23_2040:
	s_mov_b64 s[20:21], 0
.LBB23_2041:
	s_and_b64 vcc, exec, s[20:21]
	s_cbranch_vccz .LBB23_2043
; %bb.2042:
	s_cmp_lg_u32 s24, 11
	s_mov_b64 s[16:17], -1
	s_cselect_b64 s[6:7], -1, 0
.LBB23_2043:
	s_and_b64 vcc, exec, s[6:7]
	s_cbranch_vccnz .LBB23_2108
; %bb.2044:
	s_andn2_b64 vcc, exec, s[16:17]
	s_cbranch_vccnz .LBB23_2046
.LBB23_2045:
	global_load_ubyte v1, v[20:21], off
	s_mov_b64 s[18:19], -1
	s_waitcnt vmcnt(0)
	v_cmp_ne_u16_e32 vcc, 0, v1
	v_cndmask_b32_e64 v17, 0, 1, vcc
.LBB23_2046:
	s_mov_b64 s[6:7], 0
.LBB23_2047:
	s_and_b64 vcc, exec, s[6:7]
	s_cbranch_vccz .LBB23_2096
; %bb.2048:
	s_and_b32 s16, 0xffff, s23
	s_cmp_lt_i32 s16, 5
	s_cbranch_scc1 .LBB23_2053
; %bb.2049:
	s_cmp_lt_i32 s16, 8
	s_cbranch_scc1 .LBB23_2054
; %bb.2050:
	;; [unrolled: 3-line block ×3, first 2 shown]
	s_cmp_gt_i32 s16, 9
	s_cbranch_scc0 .LBB23_2056
; %bb.2052:
	global_load_dwordx2 v[17:18], v[20:21], off
	s_mov_b64 s[6:7], 0
	s_waitcnt vmcnt(0)
	v_cvt_i32_f64_e32 v17, v[17:18]
	s_branch .LBB23_2057
.LBB23_2053:
	s_mov_b64 s[6:7], -1
                                        ; implicit-def: $vgpr17
	s_branch .LBB23_2075
.LBB23_2054:
	s_mov_b64 s[6:7], -1
                                        ; implicit-def: $vgpr17
	s_branch .LBB23_2063
.LBB23_2055:
	s_mov_b64 s[6:7], -1
                                        ; implicit-def: $vgpr17
	s_branch .LBB23_2060
.LBB23_2056:
	s_mov_b64 s[6:7], -1
                                        ; implicit-def: $vgpr17
.LBB23_2057:
	s_andn2_b64 vcc, exec, s[6:7]
	s_cbranch_vccnz .LBB23_2059
; %bb.2058:
	global_load_dword v1, v[20:21], off
	s_waitcnt vmcnt(0)
	v_cvt_i32_f32_e32 v17, v1
.LBB23_2059:
	s_mov_b64 s[6:7], 0
.LBB23_2060:
	s_andn2_b64 vcc, exec, s[6:7]
	s_cbranch_vccnz .LBB23_2062
; %bb.2061:
	global_load_dword v1, v[20:21], off
	s_waitcnt vmcnt(0)
	v_cvt_i16_f16_e32 v17, v1
.LBB23_2062:
	s_mov_b64 s[6:7], 0
.LBB23_2063:
	s_andn2_b64 vcc, exec, s[6:7]
	s_cbranch_vccnz .LBB23_2074
; %bb.2064:
	s_cmp_lt_i32 s16, 6
	s_cbranch_scc1 .LBB23_2067
; %bb.2065:
	s_cmp_gt_i32 s16, 6
	s_cbranch_scc0 .LBB23_2068
; %bb.2066:
	global_load_dwordx2 v[17:18], v[20:21], off
	s_mov_b64 s[6:7], 0
	s_waitcnt vmcnt(0)
	v_cvt_i32_f64_e32 v17, v[17:18]
	s_branch .LBB23_2069
.LBB23_2067:
	s_mov_b64 s[6:7], -1
                                        ; implicit-def: $vgpr17
	s_branch .LBB23_2072
.LBB23_2068:
	s_mov_b64 s[6:7], -1
                                        ; implicit-def: $vgpr17
.LBB23_2069:
	s_andn2_b64 vcc, exec, s[6:7]
	s_cbranch_vccnz .LBB23_2071
; %bb.2070:
	global_load_dword v1, v[20:21], off
	s_waitcnt vmcnt(0)
	v_cvt_i32_f32_e32 v17, v1
.LBB23_2071:
	s_mov_b64 s[6:7], 0
.LBB23_2072:
	s_andn2_b64 vcc, exec, s[6:7]
	s_cbranch_vccnz .LBB23_2074
; %bb.2073:
	global_load_ushort v1, v[20:21], off
	s_waitcnt vmcnt(0)
	v_cvt_i16_f16_e32 v17, v1
.LBB23_2074:
	s_mov_b64 s[6:7], 0
.LBB23_2075:
	s_andn2_b64 vcc, exec, s[6:7]
	s_cbranch_vccnz .LBB23_2095
; %bb.2076:
	s_cmp_lt_i32 s16, 2
	s_cbranch_scc1 .LBB23_2080
; %bb.2077:
	s_cmp_lt_i32 s16, 3
	s_cbranch_scc1 .LBB23_2081
; %bb.2078:
	s_cmp_gt_i32 s16, 3
	s_cbranch_scc0 .LBB23_2082
; %bb.2079:
	global_load_dwordx2 v[17:18], v[20:21], off
	s_mov_b64 s[6:7], 0
	s_branch .LBB23_2083
.LBB23_2080:
	s_mov_b64 s[6:7], -1
                                        ; implicit-def: $vgpr17
	s_branch .LBB23_2089
.LBB23_2081:
	s_mov_b64 s[6:7], -1
                                        ; implicit-def: $vgpr17
	s_branch .LBB23_2086
.LBB23_2082:
	s_mov_b64 s[6:7], -1
                                        ; implicit-def: $vgpr17
.LBB23_2083:
	s_andn2_b64 vcc, exec, s[6:7]
	s_cbranch_vccnz .LBB23_2085
; %bb.2084:
	global_load_dword v17, v[20:21], off
.LBB23_2085:
	s_mov_b64 s[6:7], 0
.LBB23_2086:
	s_andn2_b64 vcc, exec, s[6:7]
	s_cbranch_vccnz .LBB23_2088
; %bb.2087:
	global_load_ushort v17, v[20:21], off
.LBB23_2088:
	s_mov_b64 s[6:7], 0
.LBB23_2089:
	s_andn2_b64 vcc, exec, s[6:7]
	s_cbranch_vccnz .LBB23_2095
; %bb.2090:
	s_cmp_gt_i32 s16, 0
	s_cbranch_scc0 .LBB23_2092
; %bb.2091:
	global_load_ubyte v17, v[20:21], off
	s_mov_b64 s[6:7], 0
	s_branch .LBB23_2093
.LBB23_2092:
	s_mov_b64 s[6:7], -1
                                        ; implicit-def: $vgpr17
.LBB23_2093:
	s_andn2_b64 vcc, exec, s[6:7]
	s_cbranch_vccnz .LBB23_2095
; %bb.2094:
	global_load_ubyte v17, v[20:21], off
.LBB23_2095:
	s_mov_b64 s[18:19], -1
.LBB23_2096:
	s_andn2_b64 vcc, exec, s[18:19]
	s_cbranch_vccnz .LBB23_3036
; %bb.2097:
	v_mov_b32_e32 v1, s11
	v_add_co_u32_e32 v20, vcc, s10, v16
	s_cmp_lt_i32 s22, 11
	v_addc_co_u32_e32 v21, vcc, 0, v1, vcc
	s_cbranch_scc1 .LBB23_2104
; %bb.2098:
	s_and_b32 s24, 0xffff, s22
	s_cmp_gt_i32 s24, 25
	s_mov_b64 s[16:17], 0
	s_cbranch_scc0 .LBB23_2105
; %bb.2099:
	s_cmp_gt_i32 s24, 28
	s_cbranch_scc0 .LBB23_2106
; %bb.2100:
	s_cmp_gt_i32 s24, 43
	s_cbranch_scc0 .LBB23_2107
; %bb.2101:
	s_cmp_gt_i32 s24, 45
	s_cbranch_scc0 .LBB23_2109
; %bb.2102:
	s_cmp_eq_u32 s24, 46
	s_mov_b64 s[20:21], 0
	s_cbranch_scc0 .LBB23_2110
; %bb.2103:
	global_load_dword v1, v[20:21], off
	s_mov_b64 s[6:7], 0
	s_mov_b64 s[18:19], -1
	s_waitcnt vmcnt(0)
	v_lshlrev_b32_e32 v1, 16, v1
	v_cvt_i32_f32_e32 v15, v1
	s_branch .LBB23_2111
.LBB23_2104:
	s_mov_b64 s[6:7], -1
	s_mov_b64 s[18:19], 0
                                        ; implicit-def: $vgpr15
	s_branch .LBB23_2173
.LBB23_2105:
	s_mov_b64 s[20:21], -1
	s_mov_b64 s[18:19], 0
	s_mov_b64 s[6:7], 0
                                        ; implicit-def: $vgpr15
	s_branch .LBB23_2138
.LBB23_2106:
	s_mov_b64 s[20:21], -1
	s_mov_b64 s[18:19], 0
	s_mov_b64 s[6:7], 0
                                        ; implicit-def: $vgpr15
	s_branch .LBB23_2121
.LBB23_2107:
	s_mov_b64 s[20:21], -1
	s_mov_b64 s[18:19], 0
	s_mov_b64 s[6:7], 0
                                        ; implicit-def: $vgpr15
	s_branch .LBB23_2116
.LBB23_2108:
	s_trap 2
	s_or_b64 s[4:5], s[4:5], exec
	s_cbranch_execz .LBB23_2045
	s_branch .LBB23_2046
.LBB23_2109:
	s_mov_b64 s[20:21], -1
	s_mov_b64 s[18:19], 0
	s_mov_b64 s[6:7], 0
                                        ; implicit-def: $vgpr15
	s_branch .LBB23_2111
.LBB23_2110:
	s_mov_b64 s[6:7], -1
                                        ; implicit-def: $vgpr15
	s_mov_b64 s[18:19], 0
.LBB23_2111:
	s_and_b64 vcc, exec, s[20:21]
	s_cbranch_vccz .LBB23_2115
; %bb.2112:
	s_cmp_eq_u32 s24, 44
	s_cbranch_scc0 .LBB23_2114
; %bb.2113:
	global_load_ubyte v1, v[20:21], off
	s_mov_b64 s[6:7], 0
	s_mov_b64 s[18:19], -1
	s_waitcnt vmcnt(0)
	v_lshlrev_b32_e32 v3, 23, v1
	v_cvt_i32_f32_e32 v3, v3
	v_cmp_ne_u32_e32 vcc, 0, v1
	v_cndmask_b32_e32 v15, 0, v3, vcc
	s_branch .LBB23_2115
.LBB23_2114:
	s_mov_b64 s[6:7], -1
                                        ; implicit-def: $vgpr15
.LBB23_2115:
	s_mov_b64 s[20:21], 0
.LBB23_2116:
	s_and_b64 vcc, exec, s[20:21]
	s_cbranch_vccz .LBB23_2120
; %bb.2117:
	s_cmp_eq_u32 s24, 29
	s_cbranch_scc0 .LBB23_2119
; %bb.2118:
	global_load_dwordx2 v[15:16], v[20:21], off
	s_mov_b64 s[6:7], 0
	s_mov_b64 s[18:19], -1
	s_branch .LBB23_2120
.LBB23_2119:
	s_mov_b64 s[6:7], -1
                                        ; implicit-def: $vgpr15
.LBB23_2120:
	s_mov_b64 s[20:21], 0
.LBB23_2121:
	s_and_b64 vcc, exec, s[20:21]
	s_cbranch_vccz .LBB23_2137
; %bb.2122:
	s_cmp_lt_i32 s24, 27
	s_cbranch_scc1 .LBB23_2125
; %bb.2123:
	s_cmp_gt_i32 s24, 27
	s_cbranch_scc0 .LBB23_2126
; %bb.2124:
	global_load_dword v15, v[20:21], off
	s_mov_b64 s[18:19], 0
	s_branch .LBB23_2127
.LBB23_2125:
	s_mov_b64 s[18:19], -1
                                        ; implicit-def: $vgpr15
	s_branch .LBB23_2130
.LBB23_2126:
	s_mov_b64 s[18:19], -1
                                        ; implicit-def: $vgpr15
.LBB23_2127:
	s_andn2_b64 vcc, exec, s[18:19]
	s_cbranch_vccnz .LBB23_2129
; %bb.2128:
	global_load_ushort v15, v[20:21], off
.LBB23_2129:
	s_mov_b64 s[18:19], 0
.LBB23_2130:
	s_andn2_b64 vcc, exec, s[18:19]
	s_cbranch_vccnz .LBB23_2136
; %bb.2131:
	global_load_ubyte v1, v[20:21], off
	s_movk_i32 s18, 0x7f
	s_mov_b64 s[20:21], 0
	s_waitcnt vmcnt(0)
	v_cmp_lt_i16_e32 vcc, s18, v1
	s_and_saveexec_b64 s[18:19], vcc
	s_xor_b64 s[18:19], exec, s[18:19]
	s_cbranch_execz .LBB23_2148
; %bb.2132:
	s_movk_i32 s20, 0x80
	v_cmp_ne_u16_e32 vcc, s20, v1
	s_and_b64 s[20:21], vcc, exec
	s_andn2_saveexec_b64 s[18:19], s[18:19]
	s_cbranch_execnz .LBB23_2149
.LBB23_2133:
	s_or_b64 exec, exec, s[18:19]
	v_mov_b32_e32 v15, 0
	s_and_saveexec_b64 s[18:19], s[20:21]
	s_cbranch_execz .LBB23_2135
.LBB23_2134:
	v_lshlrev_b32_e32 v3, 24, v1
	v_and_b32_e32 v1, 0xffff, v1
	v_and_b32_e32 v5, 7, v1
	v_ffbh_u32_e32 v11, v5
	v_min_u32_e32 v11, 32, v11
	v_subrev_u32_e32 v13, 28, v11
	v_bfe_u32 v8, v1, 3, 4
	v_lshlrev_b32_e32 v1, v13, v1
	v_sub_u32_e32 v11, 29, v11
	v_and_b32_e32 v1, 7, v1
	v_cmp_eq_u32_e32 vcc, 0, v8
	v_cndmask_b32_e32 v8, v8, v11, vcc
	v_cndmask_b32_e32 v1, v5, v1, vcc
	v_mov_b32_e32 v5, 0x3b800000
	v_lshlrev_b32_e32 v1, 20, v1
	v_and_b32_e32 v3, 0x80000000, v3
	v_lshl_add_u32 v5, v8, 23, v5
	v_or3_b32 v1, v3, v5, v1
	v_cvt_i32_f32_e32 v15, v1
.LBB23_2135:
	s_or_b64 exec, exec, s[18:19]
.LBB23_2136:
	s_mov_b64 s[18:19], -1
.LBB23_2137:
	s_mov_b64 s[20:21], 0
.LBB23_2138:
	s_and_b64 vcc, exec, s[20:21]
	s_cbranch_vccz .LBB23_2169
; %bb.2139:
	s_cmp_gt_i32 s24, 22
	s_cbranch_scc0 .LBB23_2147
; %bb.2140:
	s_cmp_lt_i32 s24, 24
	s_cbranch_scc1 .LBB23_2150
; %bb.2141:
	s_cmp_gt_i32 s24, 24
	s_cbranch_scc0 .LBB23_2151
; %bb.2142:
	global_load_ubyte v1, v[20:21], off
	s_movk_i32 s16, 0x7f
	s_mov_b64 s[18:19], 0
	s_waitcnt vmcnt(0)
	v_cmp_lt_i16_e32 vcc, s16, v1
	s_and_saveexec_b64 s[16:17], vcc
	s_xor_b64 s[16:17], exec, s[16:17]
	s_cbranch_execz .LBB23_2163
; %bb.2143:
	s_movk_i32 s18, 0x80
	v_cmp_ne_u16_e32 vcc, s18, v1
	s_and_b64 s[18:19], vcc, exec
	s_andn2_saveexec_b64 s[16:17], s[16:17]
	s_cbranch_execnz .LBB23_2164
.LBB23_2144:
	s_or_b64 exec, exec, s[16:17]
	v_mov_b32_e32 v15, 0
	s_and_saveexec_b64 s[16:17], s[18:19]
	s_cbranch_execz .LBB23_2146
.LBB23_2145:
	v_lshlrev_b32_e32 v3, 24, v1
	v_and_b32_e32 v1, 0xffff, v1
	v_and_b32_e32 v5, 3, v1
	v_ffbh_u32_e32 v11, v5
	v_min_u32_e32 v11, 32, v11
	v_subrev_u32_e32 v13, 29, v11
	v_bfe_u32 v8, v1, 2, 5
	v_lshlrev_b32_e32 v1, v13, v1
	v_sub_u32_e32 v11, 30, v11
	v_and_b32_e32 v1, 3, v1
	v_cmp_eq_u32_e32 vcc, 0, v8
	v_cndmask_b32_e32 v8, v8, v11, vcc
	v_cndmask_b32_e32 v1, v5, v1, vcc
	v_mov_b32_e32 v5, 0x37800000
	v_lshlrev_b32_e32 v1, 21, v1
	v_and_b32_e32 v3, 0x80000000, v3
	v_lshl_add_u32 v5, v8, 23, v5
	v_or3_b32 v1, v3, v5, v1
	v_cvt_i32_f32_e32 v15, v1
.LBB23_2146:
	s_or_b64 exec, exec, s[16:17]
	s_mov_b64 s[16:17], 0
	s_branch .LBB23_2152
.LBB23_2147:
	s_mov_b64 s[16:17], -1
                                        ; implicit-def: $vgpr15
	s_branch .LBB23_2158
.LBB23_2148:
	s_andn2_saveexec_b64 s[18:19], s[18:19]
	s_cbranch_execz .LBB23_2133
.LBB23_2149:
	v_cmp_ne_u16_e32 vcc, 0, v1
	s_andn2_b64 s[20:21], s[20:21], exec
	s_and_b64 s[26:27], vcc, exec
	s_or_b64 s[20:21], s[20:21], s[26:27]
	s_or_b64 exec, exec, s[18:19]
	v_mov_b32_e32 v15, 0
	s_and_saveexec_b64 s[18:19], s[20:21]
	s_cbranch_execnz .LBB23_2134
	s_branch .LBB23_2135
.LBB23_2150:
	s_mov_b64 s[16:17], -1
                                        ; implicit-def: $vgpr15
	s_branch .LBB23_2155
.LBB23_2151:
	s_mov_b64 s[16:17], -1
                                        ; implicit-def: $vgpr15
.LBB23_2152:
	s_and_b64 vcc, exec, s[16:17]
	s_cbranch_vccz .LBB23_2154
; %bb.2153:
	global_load_ubyte v1, v[20:21], off
	s_mov_b32 s16, 0x7f800000
	s_waitcnt vmcnt(0)
	v_lshlrev_b32_e32 v1, 24, v1
	v_and_b32_e32 v3, 0x7f000000, v1
	v_ffbh_u32_e32 v5, v3
	v_min_u32_e32 v5, 32, v5
	v_sub_u32_e64 v5, v5, 4 clamp
	v_lshlrev_b32_e32 v11, v5, v3
	v_lshlrev_b32_e32 v5, 23, v5
	v_lshrrev_b32_e32 v11, 4, v11
	v_add_u32_e32 v8, 0x1000000, v3
	v_sub_u32_e32 v5, v11, v5
	v_ashrrev_i32_e32 v8, 8, v8
	v_add_u32_e32 v5, 0x3c000000, v5
	v_and_or_b32 v5, v8, s16, v5
	v_cmp_ne_u32_e32 vcc, 0, v3
	v_cndmask_b32_e32 v3, 0, v5, vcc
	s_brev_b32 s16, 1
	v_and_or_b32 v1, v1, s16, v3
	v_cvt_i32_f32_e32 v15, v1
.LBB23_2154:
	s_mov_b64 s[16:17], 0
.LBB23_2155:
	s_andn2_b64 vcc, exec, s[16:17]
	s_cbranch_vccnz .LBB23_2157
; %bb.2156:
	global_load_ubyte v1, v[20:21], off
	s_movk_i32 s16, 0x7f00
	s_brev_b32 s17, 16
	s_waitcnt vmcnt(0)
	v_lshlrev_b16_e32 v3, 8, v1
	v_lshlrev_b32_e32 v1, 25, v1
	v_lshrrev_b32_e32 v5, 4, v1
	v_and_or_b32 v8, v3, s16, 0.5
	v_or_b32_e32 v5, 0x70000000, v5
	v_add_f32_e32 v8, -0.5, v8
	v_mul_f32_e32 v5, 0x7800000, v5
	v_cmp_gt_u32_e32 vcc, s17, v1
	v_bfe_i32 v3, v3, 0, 16
	v_cndmask_b32_e32 v1, v5, v8, vcc
	s_brev_b32 s16, 1
	v_and_or_b32 v1, v3, s16, v1
	v_cvt_i32_f32_e32 v15, v1
.LBB23_2157:
	s_mov_b64 s[16:17], 0
	s_mov_b64 s[18:19], -1
.LBB23_2158:
	s_andn2_b64 vcc, exec, s[16:17]
	s_mov_b64 s[16:17], 0
	s_cbranch_vccnz .LBB23_2169
; %bb.2159:
	s_cmp_gt_i32 s24, 14
	s_cbranch_scc0 .LBB23_2162
; %bb.2160:
	s_cmp_eq_u32 s24, 15
	s_cbranch_scc0 .LBB23_2165
; %bb.2161:
	global_load_ushort v1, v[20:21], off
	s_mov_b64 s[6:7], 0
	s_mov_b64 s[18:19], -1
	s_waitcnt vmcnt(0)
	v_lshlrev_b32_e32 v1, 16, v1
	v_cvt_i32_f32_e32 v15, v1
	s_branch .LBB23_2166
.LBB23_2162:
	s_mov_b64 s[20:21], -1
                                        ; implicit-def: $vgpr15
	s_branch .LBB23_2167
.LBB23_2163:
	s_andn2_saveexec_b64 s[16:17], s[16:17]
	s_cbranch_execz .LBB23_2144
.LBB23_2164:
	v_cmp_ne_u16_e32 vcc, 0, v1
	s_andn2_b64 s[18:19], s[18:19], exec
	s_and_b64 s[20:21], vcc, exec
	s_or_b64 s[18:19], s[18:19], s[20:21]
	s_or_b64 exec, exec, s[16:17]
	v_mov_b32_e32 v15, 0
	s_and_saveexec_b64 s[16:17], s[18:19]
	s_cbranch_execnz .LBB23_2145
	s_branch .LBB23_2146
.LBB23_2165:
	s_mov_b64 s[6:7], -1
                                        ; implicit-def: $vgpr15
.LBB23_2166:
	s_mov_b64 s[20:21], 0
.LBB23_2167:
	s_and_b64 vcc, exec, s[20:21]
	s_cbranch_vccz .LBB23_2169
; %bb.2168:
	s_cmp_lg_u32 s24, 11
	s_mov_b64 s[16:17], -1
	s_cselect_b64 s[6:7], -1, 0
.LBB23_2169:
	s_and_b64 vcc, exec, s[6:7]
	s_cbranch_vccnz .LBB23_2234
; %bb.2170:
	s_andn2_b64 vcc, exec, s[16:17]
	s_cbranch_vccnz .LBB23_2172
.LBB23_2171:
	global_load_ubyte v1, v[20:21], off
	s_mov_b64 s[18:19], -1
	s_waitcnt vmcnt(0)
	v_cmp_ne_u16_e32 vcc, 0, v1
	v_cndmask_b32_e64 v15, 0, 1, vcc
.LBB23_2172:
	s_mov_b64 s[6:7], 0
.LBB23_2173:
	s_and_b64 vcc, exec, s[6:7]
	s_cbranch_vccz .LBB23_2222
; %bb.2174:
	s_and_b32 s16, 0xffff, s22
	s_cmp_lt_i32 s16, 5
	s_cbranch_scc1 .LBB23_2179
; %bb.2175:
	s_cmp_lt_i32 s16, 8
	s_cbranch_scc1 .LBB23_2180
; %bb.2176:
	;; [unrolled: 3-line block ×3, first 2 shown]
	s_cmp_gt_i32 s16, 9
	s_cbranch_scc0 .LBB23_2182
; %bb.2178:
	global_load_dwordx2 v[15:16], v[20:21], off
	s_mov_b64 s[6:7], 0
	s_waitcnt vmcnt(0)
	v_cvt_i32_f64_e32 v15, v[15:16]
	s_branch .LBB23_2183
.LBB23_2179:
	s_mov_b64 s[6:7], -1
                                        ; implicit-def: $vgpr15
	s_branch .LBB23_2201
.LBB23_2180:
	s_mov_b64 s[6:7], -1
                                        ; implicit-def: $vgpr15
	s_branch .LBB23_2189
.LBB23_2181:
	s_mov_b64 s[6:7], -1
                                        ; implicit-def: $vgpr15
	s_branch .LBB23_2186
.LBB23_2182:
	s_mov_b64 s[6:7], -1
                                        ; implicit-def: $vgpr15
.LBB23_2183:
	s_andn2_b64 vcc, exec, s[6:7]
	s_cbranch_vccnz .LBB23_2185
; %bb.2184:
	global_load_dword v1, v[20:21], off
	s_waitcnt vmcnt(0)
	v_cvt_i32_f32_e32 v15, v1
.LBB23_2185:
	s_mov_b64 s[6:7], 0
.LBB23_2186:
	s_andn2_b64 vcc, exec, s[6:7]
	s_cbranch_vccnz .LBB23_2188
; %bb.2187:
	global_load_dword v1, v[20:21], off
	s_waitcnt vmcnt(0)
	v_cvt_i16_f16_e32 v15, v1
.LBB23_2188:
	s_mov_b64 s[6:7], 0
.LBB23_2189:
	s_andn2_b64 vcc, exec, s[6:7]
	s_cbranch_vccnz .LBB23_2200
; %bb.2190:
	s_cmp_lt_i32 s16, 6
	s_cbranch_scc1 .LBB23_2193
; %bb.2191:
	s_cmp_gt_i32 s16, 6
	s_cbranch_scc0 .LBB23_2194
; %bb.2192:
	global_load_dwordx2 v[15:16], v[20:21], off
	s_mov_b64 s[6:7], 0
	s_waitcnt vmcnt(0)
	v_cvt_i32_f64_e32 v15, v[15:16]
	s_branch .LBB23_2195
.LBB23_2193:
	s_mov_b64 s[6:7], -1
                                        ; implicit-def: $vgpr15
	s_branch .LBB23_2198
.LBB23_2194:
	s_mov_b64 s[6:7], -1
                                        ; implicit-def: $vgpr15
.LBB23_2195:
	s_andn2_b64 vcc, exec, s[6:7]
	s_cbranch_vccnz .LBB23_2197
; %bb.2196:
	global_load_dword v1, v[20:21], off
	s_waitcnt vmcnt(0)
	v_cvt_i32_f32_e32 v15, v1
.LBB23_2197:
	s_mov_b64 s[6:7], 0
.LBB23_2198:
	s_andn2_b64 vcc, exec, s[6:7]
	s_cbranch_vccnz .LBB23_2200
; %bb.2199:
	global_load_ushort v1, v[20:21], off
	s_waitcnt vmcnt(0)
	v_cvt_i16_f16_e32 v15, v1
.LBB23_2200:
	s_mov_b64 s[6:7], 0
.LBB23_2201:
	s_andn2_b64 vcc, exec, s[6:7]
	s_cbranch_vccnz .LBB23_2221
; %bb.2202:
	s_cmp_lt_i32 s16, 2
	s_cbranch_scc1 .LBB23_2206
; %bb.2203:
	s_cmp_lt_i32 s16, 3
	s_cbranch_scc1 .LBB23_2207
; %bb.2204:
	s_cmp_gt_i32 s16, 3
	s_cbranch_scc0 .LBB23_2208
; %bb.2205:
	global_load_dwordx2 v[15:16], v[20:21], off
	s_mov_b64 s[6:7], 0
	s_branch .LBB23_2209
.LBB23_2206:
	s_mov_b64 s[6:7], -1
                                        ; implicit-def: $vgpr15
	s_branch .LBB23_2215
.LBB23_2207:
	s_mov_b64 s[6:7], -1
                                        ; implicit-def: $vgpr15
	s_branch .LBB23_2212
.LBB23_2208:
	s_mov_b64 s[6:7], -1
                                        ; implicit-def: $vgpr15
.LBB23_2209:
	s_andn2_b64 vcc, exec, s[6:7]
	s_cbranch_vccnz .LBB23_2211
; %bb.2210:
	global_load_dword v15, v[20:21], off
.LBB23_2211:
	s_mov_b64 s[6:7], 0
.LBB23_2212:
	s_andn2_b64 vcc, exec, s[6:7]
	s_cbranch_vccnz .LBB23_2214
; %bb.2213:
	global_load_ushort v15, v[20:21], off
.LBB23_2214:
	s_mov_b64 s[6:7], 0
.LBB23_2215:
	s_andn2_b64 vcc, exec, s[6:7]
	s_cbranch_vccnz .LBB23_2221
; %bb.2216:
	s_cmp_gt_i32 s16, 0
	s_cbranch_scc0 .LBB23_2218
; %bb.2217:
	global_load_ubyte v15, v[20:21], off
	s_mov_b64 s[6:7], 0
	s_branch .LBB23_2219
.LBB23_2218:
	s_mov_b64 s[6:7], -1
                                        ; implicit-def: $vgpr15
.LBB23_2219:
	s_andn2_b64 vcc, exec, s[6:7]
	s_cbranch_vccnz .LBB23_2221
; %bb.2220:
	global_load_ubyte v15, v[20:21], off
.LBB23_2221:
	s_mov_b64 s[18:19], -1
.LBB23_2222:
	s_andn2_b64 vcc, exec, s[18:19]
	s_cbranch_vccnz .LBB23_3036
; %bb.2223:
	v_mov_b32_e32 v1, s1
	v_add_co_u32_e32 v20, vcc, s0, v19
	s_cmp_lt_i32 s23, 11
	v_addc_co_u32_e32 v21, vcc, 0, v1, vcc
	s_cbranch_scc1 .LBB23_2230
; %bb.2224:
	s_and_b32 s24, 0xffff, s23
	s_cmp_gt_i32 s24, 25
	s_mov_b64 s[16:17], 0
	s_cbranch_scc0 .LBB23_2231
; %bb.2225:
	s_cmp_gt_i32 s24, 28
	s_cbranch_scc0 .LBB23_2232
; %bb.2226:
	s_cmp_gt_i32 s24, 43
	;; [unrolled: 3-line block ×3, first 2 shown]
	s_cbranch_scc0 .LBB23_2235
; %bb.2228:
	s_cmp_eq_u32 s24, 46
	s_mov_b64 s[20:21], 0
	s_cbranch_scc0 .LBB23_2238
; %bb.2229:
	global_load_dword v1, v[20:21], off
	s_mov_b64 s[6:7], 0
	s_mov_b64 s[18:19], -1
	s_waitcnt vmcnt(0)
	v_lshlrev_b32_e32 v1, 16, v1
	v_cvt_i32_f32_e32 v18, v1
	s_branch .LBB23_2239
.LBB23_2230:
	s_mov_b64 s[6:7], -1
	s_mov_b64 s[18:19], 0
                                        ; implicit-def: $vgpr18
	s_branch .LBB23_2301
.LBB23_2231:
	s_mov_b64 s[20:21], -1
	s_mov_b64 s[18:19], 0
	s_mov_b64 s[6:7], 0
                                        ; implicit-def: $vgpr18
	s_branch .LBB23_2266
.LBB23_2232:
	s_mov_b64 s[20:21], -1
	s_mov_b64 s[18:19], 0
	s_mov_b64 s[6:7], 0
                                        ; implicit-def: $vgpr18
	s_branch .LBB23_2249
.LBB23_2233:
	s_mov_b64 s[20:21], -1
	s_mov_b64 s[18:19], 0
	s_mov_b64 s[6:7], 0
                                        ; implicit-def: $vgpr18
	s_branch .LBB23_2244
.LBB23_2234:
	s_trap 2
	s_or_b64 s[4:5], s[4:5], exec
	s_cbranch_execz .LBB23_2171
	s_branch .LBB23_2172
.LBB23_2235:
	s_mov_b64 s[20:21], -1
	s_mov_b64 s[18:19], 0
	s_mov_b64 s[6:7], 0
                                        ; implicit-def: $vgpr18
	s_branch .LBB23_2239
.LBB23_2236:
	s_andn2_saveexec_b64 s[68:69], s[68:69]
	s_cbranch_execz .LBB23_1095
.LBB23_2237:
	v_add_f32_e32 v2, 0x42800000, v3
	v_and_b32_e32 v2, 0xff, v2
	v_cmp_ne_u32_e32 vcc, 0, v2
	s_andn2_b64 s[66:67], s[66:67], exec
	s_and_b64 s[76:77], vcc, exec
	s_or_b64 s[66:67], s[66:67], s[76:77]
	s_or_b64 exec, exec, s[68:69]
	v_mov_b32_e32 v4, 0
	s_and_saveexec_b64 s[68:69], s[66:67]
	s_cbranch_execnz .LBB23_1096
	s_branch .LBB23_1097
.LBB23_2238:
	s_mov_b64 s[6:7], -1
                                        ; implicit-def: $vgpr18
	s_mov_b64 s[18:19], 0
.LBB23_2239:
	s_and_b64 vcc, exec, s[20:21]
	s_cbranch_vccz .LBB23_2243
; %bb.2240:
	s_cmp_eq_u32 s24, 44
	s_cbranch_scc0 .LBB23_2242
; %bb.2241:
	global_load_ubyte v1, v[20:21], off
	s_mov_b64 s[6:7], 0
	s_mov_b64 s[18:19], -1
	s_waitcnt vmcnt(0)
	v_lshlrev_b32_e32 v3, 23, v1
	v_cvt_i32_f32_e32 v3, v3
	v_cmp_ne_u32_e32 vcc, 0, v1
	v_cndmask_b32_e32 v18, 0, v3, vcc
	s_branch .LBB23_2243
.LBB23_2242:
	s_mov_b64 s[6:7], -1
                                        ; implicit-def: $vgpr18
.LBB23_2243:
	s_mov_b64 s[20:21], 0
.LBB23_2244:
	s_and_b64 vcc, exec, s[20:21]
	s_cbranch_vccz .LBB23_2248
; %bb.2245:
	s_cmp_eq_u32 s24, 29
	s_cbranch_scc0 .LBB23_2247
; %bb.2246:
	global_load_dwordx2 v[18:19], v[20:21], off
	s_mov_b64 s[6:7], 0
	s_mov_b64 s[18:19], -1
	s_branch .LBB23_2248
.LBB23_2247:
	s_mov_b64 s[6:7], -1
                                        ; implicit-def: $vgpr18
.LBB23_2248:
	s_mov_b64 s[20:21], 0
.LBB23_2249:
	s_and_b64 vcc, exec, s[20:21]
	s_cbranch_vccz .LBB23_2265
; %bb.2250:
	s_cmp_lt_i32 s24, 27
	s_cbranch_scc1 .LBB23_2253
; %bb.2251:
	s_cmp_gt_i32 s24, 27
	s_cbranch_scc0 .LBB23_2254
; %bb.2252:
	global_load_dword v18, v[20:21], off
	s_mov_b64 s[18:19], 0
	s_branch .LBB23_2255
.LBB23_2253:
	s_mov_b64 s[18:19], -1
                                        ; implicit-def: $vgpr18
	s_branch .LBB23_2258
.LBB23_2254:
	s_mov_b64 s[18:19], -1
                                        ; implicit-def: $vgpr18
.LBB23_2255:
	s_andn2_b64 vcc, exec, s[18:19]
	s_cbranch_vccnz .LBB23_2257
; %bb.2256:
	global_load_ushort v18, v[20:21], off
.LBB23_2257:
	s_mov_b64 s[18:19], 0
.LBB23_2258:
	s_andn2_b64 vcc, exec, s[18:19]
	s_cbranch_vccnz .LBB23_2264
; %bb.2259:
	global_load_ubyte v1, v[20:21], off
	s_movk_i32 s18, 0x7f
	s_mov_b64 s[20:21], 0
	s_waitcnt vmcnt(0)
	v_cmp_lt_i16_e32 vcc, s18, v1
	s_and_saveexec_b64 s[18:19], vcc
	s_xor_b64 s[18:19], exec, s[18:19]
	s_cbranch_execz .LBB23_2276
; %bb.2260:
	s_movk_i32 s20, 0x80
	v_cmp_ne_u16_e32 vcc, s20, v1
	s_and_b64 s[20:21], vcc, exec
	s_andn2_saveexec_b64 s[18:19], s[18:19]
	s_cbranch_execnz .LBB23_2277
.LBB23_2261:
	s_or_b64 exec, exec, s[18:19]
	v_mov_b32_e32 v18, 0
	s_and_saveexec_b64 s[18:19], s[20:21]
	s_cbranch_execz .LBB23_2263
.LBB23_2262:
	v_lshlrev_b32_e32 v3, 24, v1
	v_and_b32_e32 v1, 0xffff, v1
	v_and_b32_e32 v5, 7, v1
	v_ffbh_u32_e32 v11, v5
	v_min_u32_e32 v11, 32, v11
	v_subrev_u32_e32 v13, 28, v11
	v_bfe_u32 v8, v1, 3, 4
	v_lshlrev_b32_e32 v1, v13, v1
	v_sub_u32_e32 v11, 29, v11
	v_and_b32_e32 v1, 7, v1
	v_cmp_eq_u32_e32 vcc, 0, v8
	v_cndmask_b32_e32 v8, v8, v11, vcc
	v_cndmask_b32_e32 v1, v5, v1, vcc
	v_mov_b32_e32 v5, 0x3b800000
	v_lshlrev_b32_e32 v1, 20, v1
	v_and_b32_e32 v3, 0x80000000, v3
	v_lshl_add_u32 v5, v8, 23, v5
	v_or3_b32 v1, v3, v5, v1
	v_cvt_i32_f32_e32 v18, v1
.LBB23_2263:
	s_or_b64 exec, exec, s[18:19]
.LBB23_2264:
	s_mov_b64 s[18:19], -1
.LBB23_2265:
	s_mov_b64 s[20:21], 0
.LBB23_2266:
	s_and_b64 vcc, exec, s[20:21]
	s_cbranch_vccz .LBB23_2297
; %bb.2267:
	s_cmp_gt_i32 s24, 22
	s_cbranch_scc0 .LBB23_2275
; %bb.2268:
	s_cmp_lt_i32 s24, 24
	s_cbranch_scc1 .LBB23_2278
; %bb.2269:
	s_cmp_gt_i32 s24, 24
	s_cbranch_scc0 .LBB23_2279
; %bb.2270:
	global_load_ubyte v1, v[20:21], off
	s_movk_i32 s16, 0x7f
	s_mov_b64 s[18:19], 0
	s_waitcnt vmcnt(0)
	v_cmp_lt_i16_e32 vcc, s16, v1
	s_and_saveexec_b64 s[16:17], vcc
	s_xor_b64 s[16:17], exec, s[16:17]
	s_cbranch_execz .LBB23_2291
; %bb.2271:
	s_movk_i32 s18, 0x80
	v_cmp_ne_u16_e32 vcc, s18, v1
	s_and_b64 s[18:19], vcc, exec
	s_andn2_saveexec_b64 s[16:17], s[16:17]
	s_cbranch_execnz .LBB23_2292
.LBB23_2272:
	s_or_b64 exec, exec, s[16:17]
	v_mov_b32_e32 v18, 0
	s_and_saveexec_b64 s[16:17], s[18:19]
	s_cbranch_execz .LBB23_2274
.LBB23_2273:
	v_lshlrev_b32_e32 v3, 24, v1
	v_and_b32_e32 v1, 0xffff, v1
	v_and_b32_e32 v5, 3, v1
	v_ffbh_u32_e32 v11, v5
	v_min_u32_e32 v11, 32, v11
	v_subrev_u32_e32 v13, 29, v11
	v_bfe_u32 v8, v1, 2, 5
	v_lshlrev_b32_e32 v1, v13, v1
	v_sub_u32_e32 v11, 30, v11
	v_and_b32_e32 v1, 3, v1
	v_cmp_eq_u32_e32 vcc, 0, v8
	v_cndmask_b32_e32 v8, v8, v11, vcc
	v_cndmask_b32_e32 v1, v5, v1, vcc
	v_mov_b32_e32 v5, 0x37800000
	v_lshlrev_b32_e32 v1, 21, v1
	v_and_b32_e32 v3, 0x80000000, v3
	v_lshl_add_u32 v5, v8, 23, v5
	v_or3_b32 v1, v3, v5, v1
	v_cvt_i32_f32_e32 v18, v1
.LBB23_2274:
	s_or_b64 exec, exec, s[16:17]
	s_mov_b64 s[16:17], 0
	s_branch .LBB23_2280
.LBB23_2275:
	s_mov_b64 s[16:17], -1
                                        ; implicit-def: $vgpr18
	s_branch .LBB23_2286
.LBB23_2276:
	s_andn2_saveexec_b64 s[18:19], s[18:19]
	s_cbranch_execz .LBB23_2261
.LBB23_2277:
	v_cmp_ne_u16_e32 vcc, 0, v1
	s_andn2_b64 s[20:21], s[20:21], exec
	s_and_b64 s[26:27], vcc, exec
	s_or_b64 s[20:21], s[20:21], s[26:27]
	s_or_b64 exec, exec, s[18:19]
	v_mov_b32_e32 v18, 0
	s_and_saveexec_b64 s[18:19], s[20:21]
	s_cbranch_execnz .LBB23_2262
	s_branch .LBB23_2263
.LBB23_2278:
	s_mov_b64 s[16:17], -1
                                        ; implicit-def: $vgpr18
	s_branch .LBB23_2283
.LBB23_2279:
	s_mov_b64 s[16:17], -1
                                        ; implicit-def: $vgpr18
.LBB23_2280:
	s_and_b64 vcc, exec, s[16:17]
	s_cbranch_vccz .LBB23_2282
; %bb.2281:
	global_load_ubyte v1, v[20:21], off
	s_mov_b32 s16, 0x7f800000
	s_waitcnt vmcnt(0)
	v_lshlrev_b32_e32 v1, 24, v1
	v_and_b32_e32 v3, 0x7f000000, v1
	v_ffbh_u32_e32 v5, v3
	v_min_u32_e32 v5, 32, v5
	v_sub_u32_e64 v5, v5, 4 clamp
	v_lshlrev_b32_e32 v11, v5, v3
	v_lshlrev_b32_e32 v5, 23, v5
	v_lshrrev_b32_e32 v11, 4, v11
	v_add_u32_e32 v8, 0x1000000, v3
	v_sub_u32_e32 v5, v11, v5
	v_ashrrev_i32_e32 v8, 8, v8
	v_add_u32_e32 v5, 0x3c000000, v5
	v_and_or_b32 v5, v8, s16, v5
	v_cmp_ne_u32_e32 vcc, 0, v3
	v_cndmask_b32_e32 v3, 0, v5, vcc
	s_brev_b32 s16, 1
	v_and_or_b32 v1, v1, s16, v3
	v_cvt_i32_f32_e32 v18, v1
.LBB23_2282:
	s_mov_b64 s[16:17], 0
.LBB23_2283:
	s_andn2_b64 vcc, exec, s[16:17]
	s_cbranch_vccnz .LBB23_2285
; %bb.2284:
	global_load_ubyte v1, v[20:21], off
	s_movk_i32 s16, 0x7f00
	s_brev_b32 s17, 16
	s_waitcnt vmcnt(0)
	v_lshlrev_b16_e32 v3, 8, v1
	v_lshlrev_b32_e32 v1, 25, v1
	v_lshrrev_b32_e32 v5, 4, v1
	v_and_or_b32 v8, v3, s16, 0.5
	v_or_b32_e32 v5, 0x70000000, v5
	v_add_f32_e32 v8, -0.5, v8
	v_mul_f32_e32 v5, 0x7800000, v5
	v_cmp_gt_u32_e32 vcc, s17, v1
	v_bfe_i32 v3, v3, 0, 16
	v_cndmask_b32_e32 v1, v5, v8, vcc
	s_brev_b32 s16, 1
	v_and_or_b32 v1, v3, s16, v1
	v_cvt_i32_f32_e32 v18, v1
.LBB23_2285:
	s_mov_b64 s[16:17], 0
	s_mov_b64 s[18:19], -1
.LBB23_2286:
	s_andn2_b64 vcc, exec, s[16:17]
	s_mov_b64 s[16:17], 0
	s_cbranch_vccnz .LBB23_2297
; %bb.2287:
	s_cmp_gt_i32 s24, 14
	s_cbranch_scc0 .LBB23_2290
; %bb.2288:
	s_cmp_eq_u32 s24, 15
	s_cbranch_scc0 .LBB23_2293
; %bb.2289:
	global_load_ushort v1, v[20:21], off
	s_mov_b64 s[6:7], 0
	s_mov_b64 s[18:19], -1
	s_waitcnt vmcnt(0)
	v_lshlrev_b32_e32 v1, 16, v1
	v_cvt_i32_f32_e32 v18, v1
	s_branch .LBB23_2294
.LBB23_2290:
	s_mov_b64 s[20:21], -1
                                        ; implicit-def: $vgpr18
	s_branch .LBB23_2295
.LBB23_2291:
	s_andn2_saveexec_b64 s[16:17], s[16:17]
	s_cbranch_execz .LBB23_2272
.LBB23_2292:
	v_cmp_ne_u16_e32 vcc, 0, v1
	s_andn2_b64 s[18:19], s[18:19], exec
	s_and_b64 s[20:21], vcc, exec
	s_or_b64 s[18:19], s[18:19], s[20:21]
	s_or_b64 exec, exec, s[16:17]
	v_mov_b32_e32 v18, 0
	s_and_saveexec_b64 s[16:17], s[18:19]
	s_cbranch_execnz .LBB23_2273
	s_branch .LBB23_2274
.LBB23_2293:
	s_mov_b64 s[6:7], -1
                                        ; implicit-def: $vgpr18
.LBB23_2294:
	s_mov_b64 s[20:21], 0
.LBB23_2295:
	s_and_b64 vcc, exec, s[20:21]
	s_cbranch_vccz .LBB23_2297
; %bb.2296:
	s_cmp_lg_u32 s24, 11
	s_mov_b64 s[16:17], -1
	s_cselect_b64 s[6:7], -1, 0
.LBB23_2297:
	s_and_b64 vcc, exec, s[6:7]
	s_cbranch_vccnz .LBB23_2362
; %bb.2298:
	s_andn2_b64 vcc, exec, s[16:17]
	s_cbranch_vccnz .LBB23_2300
.LBB23_2299:
	global_load_ubyte v1, v[20:21], off
	s_mov_b64 s[18:19], -1
	s_waitcnt vmcnt(0)
	v_cmp_ne_u16_e32 vcc, 0, v1
	v_cndmask_b32_e64 v18, 0, 1, vcc
.LBB23_2300:
	s_mov_b64 s[6:7], 0
.LBB23_2301:
	s_and_b64 vcc, exec, s[6:7]
	s_cbranch_vccz .LBB23_2350
; %bb.2302:
	s_and_b32 s16, 0xffff, s23
	s_cmp_lt_i32 s16, 5
	s_cbranch_scc1 .LBB23_2307
; %bb.2303:
	s_cmp_lt_i32 s16, 8
	s_cbranch_scc1 .LBB23_2308
; %bb.2304:
	;; [unrolled: 3-line block ×3, first 2 shown]
	s_cmp_gt_i32 s16, 9
	s_cbranch_scc0 .LBB23_2310
; %bb.2306:
	global_load_dwordx2 v[18:19], v[20:21], off
	s_mov_b64 s[6:7], 0
	s_waitcnt vmcnt(0)
	v_cvt_i32_f64_e32 v18, v[18:19]
	s_branch .LBB23_2311
.LBB23_2307:
	s_mov_b64 s[6:7], -1
                                        ; implicit-def: $vgpr18
	s_branch .LBB23_2329
.LBB23_2308:
	s_mov_b64 s[6:7], -1
                                        ; implicit-def: $vgpr18
	s_branch .LBB23_2317
.LBB23_2309:
	s_mov_b64 s[6:7], -1
                                        ; implicit-def: $vgpr18
	s_branch .LBB23_2314
.LBB23_2310:
	s_mov_b64 s[6:7], -1
                                        ; implicit-def: $vgpr18
.LBB23_2311:
	s_andn2_b64 vcc, exec, s[6:7]
	s_cbranch_vccnz .LBB23_2313
; %bb.2312:
	global_load_dword v1, v[20:21], off
	s_waitcnt vmcnt(0)
	v_cvt_i32_f32_e32 v18, v1
.LBB23_2313:
	s_mov_b64 s[6:7], 0
.LBB23_2314:
	s_andn2_b64 vcc, exec, s[6:7]
	s_cbranch_vccnz .LBB23_2316
; %bb.2315:
	global_load_dword v1, v[20:21], off
	s_waitcnt vmcnt(0)
	v_cvt_i16_f16_e32 v18, v1
.LBB23_2316:
	s_mov_b64 s[6:7], 0
.LBB23_2317:
	s_andn2_b64 vcc, exec, s[6:7]
	s_cbranch_vccnz .LBB23_2328
; %bb.2318:
	s_cmp_lt_i32 s16, 6
	s_cbranch_scc1 .LBB23_2321
; %bb.2319:
	s_cmp_gt_i32 s16, 6
	s_cbranch_scc0 .LBB23_2322
; %bb.2320:
	global_load_dwordx2 v[18:19], v[20:21], off
	s_mov_b64 s[6:7], 0
	s_waitcnt vmcnt(0)
	v_cvt_i32_f64_e32 v18, v[18:19]
	s_branch .LBB23_2323
.LBB23_2321:
	s_mov_b64 s[6:7], -1
                                        ; implicit-def: $vgpr18
	s_branch .LBB23_2326
.LBB23_2322:
	s_mov_b64 s[6:7], -1
                                        ; implicit-def: $vgpr18
.LBB23_2323:
	s_andn2_b64 vcc, exec, s[6:7]
	s_cbranch_vccnz .LBB23_2325
; %bb.2324:
	global_load_dword v1, v[20:21], off
	s_waitcnt vmcnt(0)
	v_cvt_i32_f32_e32 v18, v1
.LBB23_2325:
	s_mov_b64 s[6:7], 0
.LBB23_2326:
	s_andn2_b64 vcc, exec, s[6:7]
	s_cbranch_vccnz .LBB23_2328
; %bb.2327:
	global_load_ushort v1, v[20:21], off
	s_waitcnt vmcnt(0)
	v_cvt_i16_f16_e32 v18, v1
.LBB23_2328:
	s_mov_b64 s[6:7], 0
.LBB23_2329:
	s_andn2_b64 vcc, exec, s[6:7]
	s_cbranch_vccnz .LBB23_2349
; %bb.2330:
	s_cmp_lt_i32 s16, 2
	s_cbranch_scc1 .LBB23_2334
; %bb.2331:
	s_cmp_lt_i32 s16, 3
	s_cbranch_scc1 .LBB23_2335
; %bb.2332:
	s_cmp_gt_i32 s16, 3
	s_cbranch_scc0 .LBB23_2336
; %bb.2333:
	global_load_dwordx2 v[18:19], v[20:21], off
	s_mov_b64 s[6:7], 0
	s_branch .LBB23_2337
.LBB23_2334:
	s_mov_b64 s[6:7], -1
                                        ; implicit-def: $vgpr18
	s_branch .LBB23_2343
.LBB23_2335:
	s_mov_b64 s[6:7], -1
                                        ; implicit-def: $vgpr18
	s_branch .LBB23_2340
.LBB23_2336:
	s_mov_b64 s[6:7], -1
                                        ; implicit-def: $vgpr18
.LBB23_2337:
	s_andn2_b64 vcc, exec, s[6:7]
	s_cbranch_vccnz .LBB23_2339
; %bb.2338:
	global_load_dword v18, v[20:21], off
.LBB23_2339:
	s_mov_b64 s[6:7], 0
.LBB23_2340:
	s_andn2_b64 vcc, exec, s[6:7]
	s_cbranch_vccnz .LBB23_2342
; %bb.2341:
	global_load_ushort v18, v[20:21], off
.LBB23_2342:
	s_mov_b64 s[6:7], 0
.LBB23_2343:
	s_andn2_b64 vcc, exec, s[6:7]
	s_cbranch_vccnz .LBB23_2349
; %bb.2344:
	s_cmp_gt_i32 s16, 0
	s_cbranch_scc0 .LBB23_2346
; %bb.2345:
	global_load_ubyte v18, v[20:21], off
	s_mov_b64 s[6:7], 0
	s_branch .LBB23_2347
.LBB23_2346:
	s_mov_b64 s[6:7], -1
                                        ; implicit-def: $vgpr18
.LBB23_2347:
	s_andn2_b64 vcc, exec, s[6:7]
	s_cbranch_vccnz .LBB23_2349
; %bb.2348:
	global_load_ubyte v18, v[20:21], off
.LBB23_2349:
	s_mov_b64 s[18:19], -1
.LBB23_2350:
	s_andn2_b64 vcc, exec, s[18:19]
	s_cbranch_vccnz .LBB23_3036
; %bb.2351:
	v_mov_b32_e32 v1, s11
	s_waitcnt vmcnt(0)
	v_add_co_u32_e32 v19, vcc, s10, v14
	s_cmp_lt_i32 s22, 11
	v_addc_co_u32_e32 v20, vcc, 0, v1, vcc
	s_cbranch_scc1 .LBB23_2358
; %bb.2352:
	s_and_b32 s20, 0xffff, s22
	s_cmp_gt_i32 s20, 25
	s_mov_b64 s[10:11], 0
	s_cbranch_scc0 .LBB23_2359
; %bb.2353:
	s_cmp_gt_i32 s20, 28
	s_cbranch_scc0 .LBB23_2360
; %bb.2354:
	s_cmp_gt_i32 s20, 43
	;; [unrolled: 3-line block ×3, first 2 shown]
	s_cbranch_scc0 .LBB23_2363
; %bb.2356:
	s_cmp_eq_u32 s20, 46
	s_mov_b64 s[18:19], 0
	s_cbranch_scc0 .LBB23_2364
; %bb.2357:
	global_load_dword v1, v[19:20], off
	s_mov_b64 s[6:7], 0
	s_mov_b64 s[16:17], -1
	s_waitcnt vmcnt(0)
	v_lshlrev_b32_e32 v1, 16, v1
	v_cvt_i32_f32_e32 v13, v1
	s_branch .LBB23_2365
.LBB23_2358:
	s_mov_b64 s[6:7], -1
	s_mov_b64 s[16:17], 0
                                        ; implicit-def: $vgpr13
	s_branch .LBB23_2427
.LBB23_2359:
	s_mov_b64 s[18:19], -1
	s_mov_b64 s[16:17], 0
	s_mov_b64 s[6:7], 0
                                        ; implicit-def: $vgpr13
	s_branch .LBB23_2392
.LBB23_2360:
	s_mov_b64 s[18:19], -1
	s_mov_b64 s[16:17], 0
	s_mov_b64 s[6:7], 0
                                        ; implicit-def: $vgpr13
	s_branch .LBB23_2375
.LBB23_2361:
	s_mov_b64 s[18:19], -1
	s_mov_b64 s[16:17], 0
	s_mov_b64 s[6:7], 0
                                        ; implicit-def: $vgpr13
	s_branch .LBB23_2370
.LBB23_2362:
	s_trap 2
	s_or_b64 s[4:5], s[4:5], exec
	s_cbranch_execz .LBB23_2299
	s_branch .LBB23_2300
.LBB23_2363:
	s_mov_b64 s[18:19], -1
	s_mov_b64 s[16:17], 0
	s_mov_b64 s[6:7], 0
                                        ; implicit-def: $vgpr13
	s_branch .LBB23_2365
.LBB23_2364:
	s_mov_b64 s[6:7], -1
                                        ; implicit-def: $vgpr13
	s_mov_b64 s[16:17], 0
.LBB23_2365:
	s_and_b64 vcc, exec, s[18:19]
	s_cbranch_vccz .LBB23_2369
; %bb.2366:
	s_cmp_eq_u32 s20, 44
	s_cbranch_scc0 .LBB23_2368
; %bb.2367:
	global_load_ubyte v1, v[19:20], off
	s_mov_b64 s[6:7], 0
	s_mov_b64 s[16:17], -1
	s_waitcnt vmcnt(0)
	v_lshlrev_b32_e32 v3, 23, v1
	v_cvt_i32_f32_e32 v3, v3
	v_cmp_ne_u32_e32 vcc, 0, v1
	v_cndmask_b32_e32 v13, 0, v3, vcc
	s_branch .LBB23_2369
.LBB23_2368:
	s_mov_b64 s[6:7], -1
                                        ; implicit-def: $vgpr13
.LBB23_2369:
	s_mov_b64 s[18:19], 0
.LBB23_2370:
	s_and_b64 vcc, exec, s[18:19]
	s_cbranch_vccz .LBB23_2374
; %bb.2371:
	s_cmp_eq_u32 s20, 29
	s_cbranch_scc0 .LBB23_2373
; %bb.2372:
	global_load_dwordx2 v[13:14], v[19:20], off
	s_mov_b64 s[6:7], 0
	s_mov_b64 s[16:17], -1
	s_branch .LBB23_2374
.LBB23_2373:
	s_mov_b64 s[6:7], -1
                                        ; implicit-def: $vgpr13
.LBB23_2374:
	s_mov_b64 s[18:19], 0
.LBB23_2375:
	s_and_b64 vcc, exec, s[18:19]
	s_cbranch_vccz .LBB23_2391
; %bb.2376:
	s_cmp_lt_i32 s20, 27
	s_cbranch_scc1 .LBB23_2379
; %bb.2377:
	s_cmp_gt_i32 s20, 27
	s_cbranch_scc0 .LBB23_2380
; %bb.2378:
	global_load_dword v13, v[19:20], off
	s_mov_b64 s[16:17], 0
	s_branch .LBB23_2381
.LBB23_2379:
	s_mov_b64 s[16:17], -1
                                        ; implicit-def: $vgpr13
	s_branch .LBB23_2384
.LBB23_2380:
	s_mov_b64 s[16:17], -1
                                        ; implicit-def: $vgpr13
.LBB23_2381:
	s_andn2_b64 vcc, exec, s[16:17]
	s_cbranch_vccnz .LBB23_2383
; %bb.2382:
	global_load_ushort v13, v[19:20], off
.LBB23_2383:
	s_mov_b64 s[16:17], 0
.LBB23_2384:
	s_andn2_b64 vcc, exec, s[16:17]
	s_cbranch_vccnz .LBB23_2390
; %bb.2385:
	global_load_ubyte v1, v[19:20], off
	s_movk_i32 s16, 0x7f
	s_mov_b64 s[18:19], 0
	s_waitcnt vmcnt(0)
	v_cmp_lt_i16_e32 vcc, s16, v1
	s_and_saveexec_b64 s[16:17], vcc
	s_xor_b64 s[16:17], exec, s[16:17]
	s_cbranch_execz .LBB23_2402
; %bb.2386:
	s_movk_i32 s18, 0x80
	v_cmp_ne_u16_e32 vcc, s18, v1
	s_and_b64 s[18:19], vcc, exec
	s_andn2_saveexec_b64 s[16:17], s[16:17]
	s_cbranch_execnz .LBB23_2403
.LBB23_2387:
	s_or_b64 exec, exec, s[16:17]
	v_mov_b32_e32 v13, 0
	s_and_saveexec_b64 s[16:17], s[18:19]
	s_cbranch_execz .LBB23_2389
.LBB23_2388:
	v_lshlrev_b32_e32 v3, 24, v1
	v_and_b32_e32 v1, 0xffff, v1
	v_and_b32_e32 v5, 7, v1
	v_ffbh_u32_e32 v11, v5
	v_min_u32_e32 v11, 32, v11
	v_subrev_u32_e32 v13, 28, v11
	v_bfe_u32 v8, v1, 3, 4
	v_lshlrev_b32_e32 v1, v13, v1
	v_sub_u32_e32 v11, 29, v11
	v_and_b32_e32 v1, 7, v1
	v_cmp_eq_u32_e32 vcc, 0, v8
	v_cndmask_b32_e32 v8, v8, v11, vcc
	v_cndmask_b32_e32 v1, v5, v1, vcc
	v_mov_b32_e32 v5, 0x3b800000
	v_lshlrev_b32_e32 v1, 20, v1
	v_and_b32_e32 v3, 0x80000000, v3
	v_lshl_add_u32 v5, v8, 23, v5
	v_or3_b32 v1, v3, v5, v1
	v_cvt_i32_f32_e32 v13, v1
.LBB23_2389:
	s_or_b64 exec, exec, s[16:17]
.LBB23_2390:
	s_mov_b64 s[16:17], -1
.LBB23_2391:
	s_mov_b64 s[18:19], 0
.LBB23_2392:
	s_and_b64 vcc, exec, s[18:19]
	s_cbranch_vccz .LBB23_2423
; %bb.2393:
	s_cmp_gt_i32 s20, 22
	s_cbranch_scc0 .LBB23_2401
; %bb.2394:
	s_cmp_lt_i32 s20, 24
	s_cbranch_scc1 .LBB23_2404
; %bb.2395:
	s_cmp_gt_i32 s20, 24
	s_cbranch_scc0 .LBB23_2405
; %bb.2396:
	global_load_ubyte v1, v[19:20], off
	s_movk_i32 s10, 0x7f
	s_mov_b64 s[16:17], 0
	s_waitcnt vmcnt(0)
	v_cmp_lt_i16_e32 vcc, s10, v1
	s_and_saveexec_b64 s[10:11], vcc
	s_xor_b64 s[10:11], exec, s[10:11]
	s_cbranch_execz .LBB23_2417
; %bb.2397:
	s_movk_i32 s16, 0x80
	v_cmp_ne_u16_e32 vcc, s16, v1
	s_and_b64 s[16:17], vcc, exec
	s_andn2_saveexec_b64 s[10:11], s[10:11]
	s_cbranch_execnz .LBB23_2418
.LBB23_2398:
	s_or_b64 exec, exec, s[10:11]
	v_mov_b32_e32 v13, 0
	s_and_saveexec_b64 s[10:11], s[16:17]
	s_cbranch_execz .LBB23_2400
.LBB23_2399:
	v_lshlrev_b32_e32 v3, 24, v1
	v_and_b32_e32 v1, 0xffff, v1
	v_and_b32_e32 v5, 3, v1
	v_ffbh_u32_e32 v11, v5
	v_min_u32_e32 v11, 32, v11
	v_subrev_u32_e32 v13, 29, v11
	v_bfe_u32 v8, v1, 2, 5
	v_lshlrev_b32_e32 v1, v13, v1
	v_sub_u32_e32 v11, 30, v11
	v_and_b32_e32 v1, 3, v1
	v_cmp_eq_u32_e32 vcc, 0, v8
	v_cndmask_b32_e32 v8, v8, v11, vcc
	v_cndmask_b32_e32 v1, v5, v1, vcc
	v_mov_b32_e32 v5, 0x37800000
	v_lshlrev_b32_e32 v1, 21, v1
	v_and_b32_e32 v3, 0x80000000, v3
	v_lshl_add_u32 v5, v8, 23, v5
	v_or3_b32 v1, v3, v5, v1
	v_cvt_i32_f32_e32 v13, v1
.LBB23_2400:
	s_or_b64 exec, exec, s[10:11]
	s_mov_b64 s[10:11], 0
	s_branch .LBB23_2406
.LBB23_2401:
	s_mov_b64 s[10:11], -1
                                        ; implicit-def: $vgpr13
	s_branch .LBB23_2412
.LBB23_2402:
	s_andn2_saveexec_b64 s[16:17], s[16:17]
	s_cbranch_execz .LBB23_2387
.LBB23_2403:
	v_cmp_ne_u16_e32 vcc, 0, v1
	s_andn2_b64 s[18:19], s[18:19], exec
	s_and_b64 s[24:25], vcc, exec
	s_or_b64 s[18:19], s[18:19], s[24:25]
	s_or_b64 exec, exec, s[16:17]
	v_mov_b32_e32 v13, 0
	s_and_saveexec_b64 s[16:17], s[18:19]
	s_cbranch_execnz .LBB23_2388
	s_branch .LBB23_2389
.LBB23_2404:
	s_mov_b64 s[10:11], -1
                                        ; implicit-def: $vgpr13
	s_branch .LBB23_2409
.LBB23_2405:
	s_mov_b64 s[10:11], -1
                                        ; implicit-def: $vgpr13
.LBB23_2406:
	s_and_b64 vcc, exec, s[10:11]
	s_cbranch_vccz .LBB23_2408
; %bb.2407:
	global_load_ubyte v1, v[19:20], off
	s_mov_b32 s10, 0x7f800000
	s_waitcnt vmcnt(0)
	v_lshlrev_b32_e32 v1, 24, v1
	v_and_b32_e32 v3, 0x7f000000, v1
	v_ffbh_u32_e32 v5, v3
	v_min_u32_e32 v5, 32, v5
	v_sub_u32_e64 v5, v5, 4 clamp
	v_lshlrev_b32_e32 v11, v5, v3
	v_lshlrev_b32_e32 v5, 23, v5
	v_lshrrev_b32_e32 v11, 4, v11
	v_add_u32_e32 v8, 0x1000000, v3
	v_sub_u32_e32 v5, v11, v5
	v_ashrrev_i32_e32 v8, 8, v8
	v_add_u32_e32 v5, 0x3c000000, v5
	v_and_or_b32 v5, v8, s10, v5
	v_cmp_ne_u32_e32 vcc, 0, v3
	v_cndmask_b32_e32 v3, 0, v5, vcc
	s_brev_b32 s10, 1
	v_and_or_b32 v1, v1, s10, v3
	v_cvt_i32_f32_e32 v13, v1
.LBB23_2408:
	s_mov_b64 s[10:11], 0
.LBB23_2409:
	s_andn2_b64 vcc, exec, s[10:11]
	s_cbranch_vccnz .LBB23_2411
; %bb.2410:
	global_load_ubyte v1, v[19:20], off
	s_movk_i32 s10, 0x7f00
	s_brev_b32 s11, 16
	s_waitcnt vmcnt(0)
	v_lshlrev_b16_e32 v3, 8, v1
	v_lshlrev_b32_e32 v1, 25, v1
	v_lshrrev_b32_e32 v5, 4, v1
	v_and_or_b32 v8, v3, s10, 0.5
	v_or_b32_e32 v5, 0x70000000, v5
	v_add_f32_e32 v8, -0.5, v8
	v_mul_f32_e32 v5, 0x7800000, v5
	v_cmp_gt_u32_e32 vcc, s11, v1
	v_bfe_i32 v3, v3, 0, 16
	v_cndmask_b32_e32 v1, v5, v8, vcc
	s_brev_b32 s10, 1
	v_and_or_b32 v1, v3, s10, v1
	v_cvt_i32_f32_e32 v13, v1
.LBB23_2411:
	s_mov_b64 s[10:11], 0
	s_mov_b64 s[16:17], -1
.LBB23_2412:
	s_andn2_b64 vcc, exec, s[10:11]
	s_mov_b64 s[10:11], 0
	s_cbranch_vccnz .LBB23_2423
; %bb.2413:
	s_cmp_gt_i32 s20, 14
	s_cbranch_scc0 .LBB23_2416
; %bb.2414:
	s_cmp_eq_u32 s20, 15
	s_cbranch_scc0 .LBB23_2419
; %bb.2415:
	global_load_ushort v1, v[19:20], off
	s_mov_b64 s[6:7], 0
	s_mov_b64 s[16:17], -1
	s_waitcnt vmcnt(0)
	v_lshlrev_b32_e32 v1, 16, v1
	v_cvt_i32_f32_e32 v13, v1
	s_branch .LBB23_2420
.LBB23_2416:
	s_mov_b64 s[18:19], -1
                                        ; implicit-def: $vgpr13
	s_branch .LBB23_2421
.LBB23_2417:
	s_andn2_saveexec_b64 s[10:11], s[10:11]
	s_cbranch_execz .LBB23_2398
.LBB23_2418:
	v_cmp_ne_u16_e32 vcc, 0, v1
	s_andn2_b64 s[16:17], s[16:17], exec
	s_and_b64 s[18:19], vcc, exec
	s_or_b64 s[16:17], s[16:17], s[18:19]
	s_or_b64 exec, exec, s[10:11]
	v_mov_b32_e32 v13, 0
	s_and_saveexec_b64 s[10:11], s[16:17]
	s_cbranch_execnz .LBB23_2399
	s_branch .LBB23_2400
.LBB23_2419:
	s_mov_b64 s[6:7], -1
                                        ; implicit-def: $vgpr13
.LBB23_2420:
	s_mov_b64 s[18:19], 0
.LBB23_2421:
	s_and_b64 vcc, exec, s[18:19]
	s_cbranch_vccz .LBB23_2423
; %bb.2422:
	s_cmp_lg_u32 s20, 11
	s_mov_b64 s[10:11], -1
	s_cselect_b64 s[6:7], -1, 0
.LBB23_2423:
	s_and_b64 vcc, exec, s[6:7]
	s_cbranch_vccnz .LBB23_2488
; %bb.2424:
	s_andn2_b64 vcc, exec, s[10:11]
	s_cbranch_vccnz .LBB23_2426
.LBB23_2425:
	global_load_ubyte v1, v[19:20], off
	s_mov_b64 s[16:17], -1
	s_waitcnt vmcnt(0)
	v_cmp_ne_u16_e32 vcc, 0, v1
	v_cndmask_b32_e64 v13, 0, 1, vcc
.LBB23_2426:
	s_mov_b64 s[6:7], 0
.LBB23_2427:
	s_and_b64 vcc, exec, s[6:7]
	s_cbranch_vccz .LBB23_2476
; %bb.2428:
	s_and_b32 s10, 0xffff, s22
	s_cmp_lt_i32 s10, 5
	s_cbranch_scc1 .LBB23_2433
; %bb.2429:
	s_cmp_lt_i32 s10, 8
	s_cbranch_scc1 .LBB23_2434
; %bb.2430:
	;; [unrolled: 3-line block ×3, first 2 shown]
	s_cmp_gt_i32 s10, 9
	s_cbranch_scc0 .LBB23_2436
; %bb.2432:
	global_load_dwordx2 v[13:14], v[19:20], off
	s_mov_b64 s[6:7], 0
	s_waitcnt vmcnt(0)
	v_cvt_i32_f64_e32 v13, v[13:14]
	s_branch .LBB23_2437
.LBB23_2433:
	s_mov_b64 s[6:7], -1
                                        ; implicit-def: $vgpr13
	s_branch .LBB23_2455
.LBB23_2434:
	s_mov_b64 s[6:7], -1
                                        ; implicit-def: $vgpr13
	s_branch .LBB23_2443
.LBB23_2435:
	s_mov_b64 s[6:7], -1
                                        ; implicit-def: $vgpr13
	s_branch .LBB23_2440
.LBB23_2436:
	s_mov_b64 s[6:7], -1
                                        ; implicit-def: $vgpr13
.LBB23_2437:
	s_andn2_b64 vcc, exec, s[6:7]
	s_cbranch_vccnz .LBB23_2439
; %bb.2438:
	global_load_dword v1, v[19:20], off
	s_waitcnt vmcnt(0)
	v_cvt_i32_f32_e32 v13, v1
.LBB23_2439:
	s_mov_b64 s[6:7], 0
.LBB23_2440:
	s_andn2_b64 vcc, exec, s[6:7]
	s_cbranch_vccnz .LBB23_2442
; %bb.2441:
	global_load_dword v1, v[19:20], off
	s_waitcnt vmcnt(0)
	v_cvt_i16_f16_e32 v13, v1
.LBB23_2442:
	s_mov_b64 s[6:7], 0
.LBB23_2443:
	s_andn2_b64 vcc, exec, s[6:7]
	s_cbranch_vccnz .LBB23_2454
; %bb.2444:
	s_cmp_lt_i32 s10, 6
	s_cbranch_scc1 .LBB23_2447
; %bb.2445:
	s_cmp_gt_i32 s10, 6
	s_cbranch_scc0 .LBB23_2448
; %bb.2446:
	global_load_dwordx2 v[13:14], v[19:20], off
	s_mov_b64 s[6:7], 0
	s_waitcnt vmcnt(0)
	v_cvt_i32_f64_e32 v13, v[13:14]
	s_branch .LBB23_2449
.LBB23_2447:
	s_mov_b64 s[6:7], -1
                                        ; implicit-def: $vgpr13
	s_branch .LBB23_2452
.LBB23_2448:
	s_mov_b64 s[6:7], -1
                                        ; implicit-def: $vgpr13
.LBB23_2449:
	s_andn2_b64 vcc, exec, s[6:7]
	s_cbranch_vccnz .LBB23_2451
; %bb.2450:
	global_load_dword v1, v[19:20], off
	s_waitcnt vmcnt(0)
	v_cvt_i32_f32_e32 v13, v1
.LBB23_2451:
	s_mov_b64 s[6:7], 0
.LBB23_2452:
	s_andn2_b64 vcc, exec, s[6:7]
	s_cbranch_vccnz .LBB23_2454
; %bb.2453:
	global_load_ushort v1, v[19:20], off
	s_waitcnt vmcnt(0)
	v_cvt_i16_f16_e32 v13, v1
.LBB23_2454:
	s_mov_b64 s[6:7], 0
.LBB23_2455:
	s_andn2_b64 vcc, exec, s[6:7]
	s_cbranch_vccnz .LBB23_2475
; %bb.2456:
	s_cmp_lt_i32 s10, 2
	s_cbranch_scc1 .LBB23_2460
; %bb.2457:
	s_cmp_lt_i32 s10, 3
	s_cbranch_scc1 .LBB23_2461
; %bb.2458:
	s_cmp_gt_i32 s10, 3
	s_cbranch_scc0 .LBB23_2462
; %bb.2459:
	global_load_dwordx2 v[13:14], v[19:20], off
	s_mov_b64 s[6:7], 0
	s_branch .LBB23_2463
.LBB23_2460:
	s_mov_b64 s[6:7], -1
                                        ; implicit-def: $vgpr13
	s_branch .LBB23_2469
.LBB23_2461:
	s_mov_b64 s[6:7], -1
                                        ; implicit-def: $vgpr13
	s_branch .LBB23_2466
.LBB23_2462:
	s_mov_b64 s[6:7], -1
                                        ; implicit-def: $vgpr13
.LBB23_2463:
	s_andn2_b64 vcc, exec, s[6:7]
	s_cbranch_vccnz .LBB23_2465
; %bb.2464:
	global_load_dword v13, v[19:20], off
.LBB23_2465:
	s_mov_b64 s[6:7], 0
.LBB23_2466:
	s_andn2_b64 vcc, exec, s[6:7]
	s_cbranch_vccnz .LBB23_2468
; %bb.2467:
	global_load_ushort v13, v[19:20], off
.LBB23_2468:
	s_mov_b64 s[6:7], 0
.LBB23_2469:
	s_andn2_b64 vcc, exec, s[6:7]
	s_cbranch_vccnz .LBB23_2475
; %bb.2470:
	s_cmp_gt_i32 s10, 0
	s_cbranch_scc0 .LBB23_2472
; %bb.2471:
	global_load_ubyte v13, v[19:20], off
	s_mov_b64 s[6:7], 0
	s_branch .LBB23_2473
.LBB23_2472:
	s_mov_b64 s[6:7], -1
                                        ; implicit-def: $vgpr13
.LBB23_2473:
	s_andn2_b64 vcc, exec, s[6:7]
	s_cbranch_vccnz .LBB23_2475
; %bb.2474:
	global_load_ubyte v13, v[19:20], off
.LBB23_2475:
	s_mov_b64 s[16:17], -1
.LBB23_2476:
	s_andn2_b64 vcc, exec, s[16:17]
	s_cbranch_vccnz .LBB23_3036
; %bb.2477:
	v_mov_b32_e32 v1, s1
	v_add_co_u32_e32 v19, vcc, s0, v9
	s_cmp_lt_i32 s23, 11
	v_addc_co_u32_e32 v20, vcc, 0, v1, vcc
	s_cbranch_scc1 .LBB23_2484
; %bb.2478:
	s_and_b32 s18, 0xffff, s23
	s_cmp_gt_i32 s18, 25
	s_mov_b64 s[6:7], 0
	s_cbranch_scc0 .LBB23_2485
; %bb.2479:
	s_cmp_gt_i32 s18, 28
	s_cbranch_scc0 .LBB23_2486
; %bb.2480:
	s_cmp_gt_i32 s18, 43
	;; [unrolled: 3-line block ×3, first 2 shown]
	s_cbranch_scc0 .LBB23_2489
; %bb.2482:
	s_cmp_eq_u32 s18, 46
	s_mov_b64 s[16:17], 0
	s_cbranch_scc0 .LBB23_2490
; %bb.2483:
	global_load_dword v1, v[19:20], off
	s_mov_b64 s[0:1], 0
	s_mov_b64 s[10:11], -1
	s_waitcnt vmcnt(0)
	v_lshlrev_b32_e32 v1, 16, v1
	v_cvt_i32_f32_e32 v8, v1
	s_branch .LBB23_2491
.LBB23_2484:
	s_mov_b64 s[0:1], -1
	s_mov_b64 s[10:11], 0
                                        ; implicit-def: $vgpr8
	s_branch .LBB23_2553
.LBB23_2485:
	s_mov_b64 s[16:17], -1
	s_mov_b64 s[10:11], 0
	s_mov_b64 s[0:1], 0
                                        ; implicit-def: $vgpr8
	s_branch .LBB23_2518
.LBB23_2486:
	s_mov_b64 s[16:17], -1
	s_mov_b64 s[10:11], 0
	s_mov_b64 s[0:1], 0
                                        ; implicit-def: $vgpr8
	s_branch .LBB23_2501
.LBB23_2487:
	s_mov_b64 s[16:17], -1
	s_mov_b64 s[10:11], 0
	s_mov_b64 s[0:1], 0
                                        ; implicit-def: $vgpr8
	s_branch .LBB23_2496
.LBB23_2488:
	s_trap 2
	s_or_b64 s[4:5], s[4:5], exec
	s_cbranch_execz .LBB23_2425
	s_branch .LBB23_2426
.LBB23_2489:
	s_mov_b64 s[16:17], -1
	s_mov_b64 s[10:11], 0
	s_mov_b64 s[0:1], 0
                                        ; implicit-def: $vgpr8
	s_branch .LBB23_2491
.LBB23_2490:
	s_mov_b64 s[0:1], -1
                                        ; implicit-def: $vgpr8
	s_mov_b64 s[10:11], 0
.LBB23_2491:
	s_and_b64 vcc, exec, s[16:17]
	s_cbranch_vccz .LBB23_2495
; %bb.2492:
	s_cmp_eq_u32 s18, 44
	s_cbranch_scc0 .LBB23_2494
; %bb.2493:
	global_load_ubyte v1, v[19:20], off
	s_mov_b64 s[0:1], 0
	s_mov_b64 s[10:11], -1
	s_waitcnt vmcnt(0)
	v_lshlrev_b32_e32 v3, 23, v1
	v_cvt_i32_f32_e32 v3, v3
	v_cmp_ne_u32_e32 vcc, 0, v1
	v_cndmask_b32_e32 v8, 0, v3, vcc
	s_branch .LBB23_2495
.LBB23_2494:
	s_mov_b64 s[0:1], -1
                                        ; implicit-def: $vgpr8
.LBB23_2495:
	s_mov_b64 s[16:17], 0
.LBB23_2496:
	s_and_b64 vcc, exec, s[16:17]
	s_cbranch_vccz .LBB23_2500
; %bb.2497:
	s_cmp_eq_u32 s18, 29
	s_cbranch_scc0 .LBB23_2499
; %bb.2498:
	global_load_dwordx2 v[8:9], v[19:20], off
	s_mov_b64 s[0:1], 0
	s_mov_b64 s[10:11], -1
	s_branch .LBB23_2500
.LBB23_2499:
	s_mov_b64 s[0:1], -1
                                        ; implicit-def: $vgpr8
.LBB23_2500:
	s_mov_b64 s[16:17], 0
.LBB23_2501:
	s_and_b64 vcc, exec, s[16:17]
	s_cbranch_vccz .LBB23_2517
; %bb.2502:
	s_cmp_lt_i32 s18, 27
	s_cbranch_scc1 .LBB23_2505
; %bb.2503:
	s_cmp_gt_i32 s18, 27
	s_cbranch_scc0 .LBB23_2506
; %bb.2504:
	global_load_dword v8, v[19:20], off
	s_mov_b64 s[10:11], 0
	s_branch .LBB23_2507
.LBB23_2505:
	s_mov_b64 s[10:11], -1
                                        ; implicit-def: $vgpr8
	s_branch .LBB23_2510
.LBB23_2506:
	s_mov_b64 s[10:11], -1
                                        ; implicit-def: $vgpr8
.LBB23_2507:
	s_andn2_b64 vcc, exec, s[10:11]
	s_cbranch_vccnz .LBB23_2509
; %bb.2508:
	global_load_ushort v8, v[19:20], off
.LBB23_2509:
	s_mov_b64 s[10:11], 0
.LBB23_2510:
	s_andn2_b64 vcc, exec, s[10:11]
	s_cbranch_vccnz .LBB23_2516
; %bb.2511:
	global_load_ubyte v1, v[19:20], off
	s_movk_i32 s10, 0x7f
	s_mov_b64 s[16:17], 0
	s_waitcnt vmcnt(0)
	v_cmp_lt_i16_e32 vcc, s10, v1
	s_and_saveexec_b64 s[10:11], vcc
	s_xor_b64 s[10:11], exec, s[10:11]
	s_cbranch_execz .LBB23_2528
; %bb.2512:
	s_movk_i32 s16, 0x80
	v_cmp_ne_u16_e32 vcc, s16, v1
	s_and_b64 s[16:17], vcc, exec
	s_andn2_saveexec_b64 s[10:11], s[10:11]
	s_cbranch_execnz .LBB23_2529
.LBB23_2513:
	s_or_b64 exec, exec, s[10:11]
	v_mov_b32_e32 v8, 0
	s_and_saveexec_b64 s[10:11], s[16:17]
	s_cbranch_execz .LBB23_2515
.LBB23_2514:
	v_lshlrev_b32_e32 v3, 24, v1
	v_and_b32_e32 v1, 0xffff, v1
	v_and_b32_e32 v5, 7, v1
	v_ffbh_u32_e32 v9, v5
	v_min_u32_e32 v9, 32, v9
	v_subrev_u32_e32 v11, 28, v9
	v_bfe_u32 v8, v1, 3, 4
	v_lshlrev_b32_e32 v1, v11, v1
	v_sub_u32_e32 v9, 29, v9
	v_and_b32_e32 v1, 7, v1
	v_cmp_eq_u32_e32 vcc, 0, v8
	v_cndmask_b32_e32 v8, v8, v9, vcc
	v_cndmask_b32_e32 v1, v5, v1, vcc
	v_mov_b32_e32 v5, 0x3b800000
	v_lshlrev_b32_e32 v1, 20, v1
	v_and_b32_e32 v3, 0x80000000, v3
	v_lshl_add_u32 v5, v8, 23, v5
	v_or3_b32 v1, v3, v5, v1
	v_cvt_i32_f32_e32 v8, v1
.LBB23_2515:
	s_or_b64 exec, exec, s[10:11]
.LBB23_2516:
	s_mov_b64 s[10:11], -1
.LBB23_2517:
	s_mov_b64 s[16:17], 0
.LBB23_2518:
	s_and_b64 vcc, exec, s[16:17]
	s_cbranch_vccz .LBB23_2549
; %bb.2519:
	s_cmp_gt_i32 s18, 22
	s_cbranch_scc0 .LBB23_2527
; %bb.2520:
	s_cmp_lt_i32 s18, 24
	s_cbranch_scc1 .LBB23_2530
; %bb.2521:
	s_cmp_gt_i32 s18, 24
	s_cbranch_scc0 .LBB23_2531
; %bb.2522:
	global_load_ubyte v1, v[19:20], off
	s_movk_i32 s6, 0x7f
	s_mov_b64 s[10:11], 0
	s_waitcnt vmcnt(0)
	v_cmp_lt_i16_e32 vcc, s6, v1
	s_and_saveexec_b64 s[6:7], vcc
	s_xor_b64 s[6:7], exec, s[6:7]
	s_cbranch_execz .LBB23_2543
; %bb.2523:
	s_movk_i32 s10, 0x80
	v_cmp_ne_u16_e32 vcc, s10, v1
	s_and_b64 s[10:11], vcc, exec
	s_andn2_saveexec_b64 s[6:7], s[6:7]
	s_cbranch_execnz .LBB23_2544
.LBB23_2524:
	s_or_b64 exec, exec, s[6:7]
	v_mov_b32_e32 v8, 0
	s_and_saveexec_b64 s[6:7], s[10:11]
	s_cbranch_execz .LBB23_2526
.LBB23_2525:
	v_lshlrev_b32_e32 v3, 24, v1
	v_and_b32_e32 v1, 0xffff, v1
	v_and_b32_e32 v5, 3, v1
	v_ffbh_u32_e32 v9, v5
	v_min_u32_e32 v9, 32, v9
	v_subrev_u32_e32 v11, 29, v9
	v_bfe_u32 v8, v1, 2, 5
	v_lshlrev_b32_e32 v1, v11, v1
	v_sub_u32_e32 v9, 30, v9
	v_and_b32_e32 v1, 3, v1
	v_cmp_eq_u32_e32 vcc, 0, v8
	v_cndmask_b32_e32 v8, v8, v9, vcc
	v_cndmask_b32_e32 v1, v5, v1, vcc
	v_mov_b32_e32 v5, 0x37800000
	v_lshlrev_b32_e32 v1, 21, v1
	v_and_b32_e32 v3, 0x80000000, v3
	v_lshl_add_u32 v5, v8, 23, v5
	v_or3_b32 v1, v3, v5, v1
	v_cvt_i32_f32_e32 v8, v1
.LBB23_2526:
	s_or_b64 exec, exec, s[6:7]
	s_mov_b64 s[6:7], 0
	s_branch .LBB23_2532
.LBB23_2527:
	s_mov_b64 s[6:7], -1
                                        ; implicit-def: $vgpr8
	s_branch .LBB23_2538
.LBB23_2528:
	s_andn2_saveexec_b64 s[10:11], s[10:11]
	s_cbranch_execz .LBB23_2513
.LBB23_2529:
	v_cmp_ne_u16_e32 vcc, 0, v1
	s_andn2_b64 s[16:17], s[16:17], exec
	s_and_b64 s[20:21], vcc, exec
	s_or_b64 s[16:17], s[16:17], s[20:21]
	s_or_b64 exec, exec, s[10:11]
	v_mov_b32_e32 v8, 0
	s_and_saveexec_b64 s[10:11], s[16:17]
	s_cbranch_execnz .LBB23_2514
	s_branch .LBB23_2515
.LBB23_2530:
	s_mov_b64 s[6:7], -1
                                        ; implicit-def: $vgpr8
	s_branch .LBB23_2535
.LBB23_2531:
	s_mov_b64 s[6:7], -1
                                        ; implicit-def: $vgpr8
.LBB23_2532:
	s_and_b64 vcc, exec, s[6:7]
	s_cbranch_vccz .LBB23_2534
; %bb.2533:
	global_load_ubyte v1, v[19:20], off
	s_mov_b32 s6, 0x7f800000
	s_waitcnt vmcnt(0)
	v_lshlrev_b32_e32 v1, 24, v1
	v_and_b32_e32 v3, 0x7f000000, v1
	v_ffbh_u32_e32 v5, v3
	v_min_u32_e32 v5, 32, v5
	v_sub_u32_e64 v5, v5, 4 clamp
	v_lshlrev_b32_e32 v9, v5, v3
	v_lshlrev_b32_e32 v5, 23, v5
	v_lshrrev_b32_e32 v9, 4, v9
	v_add_u32_e32 v8, 0x1000000, v3
	v_sub_u32_e32 v5, v9, v5
	v_ashrrev_i32_e32 v8, 8, v8
	v_add_u32_e32 v5, 0x3c000000, v5
	v_and_or_b32 v5, v8, s6, v5
	v_cmp_ne_u32_e32 vcc, 0, v3
	v_cndmask_b32_e32 v3, 0, v5, vcc
	s_brev_b32 s6, 1
	v_and_or_b32 v1, v1, s6, v3
	v_cvt_i32_f32_e32 v8, v1
.LBB23_2534:
	s_mov_b64 s[6:7], 0
.LBB23_2535:
	s_andn2_b64 vcc, exec, s[6:7]
	s_cbranch_vccnz .LBB23_2537
; %bb.2536:
	global_load_ubyte v1, v[19:20], off
	s_movk_i32 s6, 0x7f00
	s_brev_b32 s7, 16
	s_waitcnt vmcnt(0)
	v_lshlrev_b16_e32 v3, 8, v1
	v_lshlrev_b32_e32 v1, 25, v1
	v_lshrrev_b32_e32 v5, 4, v1
	v_and_or_b32 v8, v3, s6, 0.5
	v_or_b32_e32 v5, 0x70000000, v5
	v_add_f32_e32 v8, -0.5, v8
	v_mul_f32_e32 v5, 0x7800000, v5
	v_cmp_gt_u32_e32 vcc, s7, v1
	v_bfe_i32 v3, v3, 0, 16
	v_cndmask_b32_e32 v1, v5, v8, vcc
	s_brev_b32 s6, 1
	v_and_or_b32 v1, v3, s6, v1
	v_cvt_i32_f32_e32 v8, v1
.LBB23_2537:
	s_mov_b64 s[6:7], 0
	s_mov_b64 s[10:11], -1
.LBB23_2538:
	s_andn2_b64 vcc, exec, s[6:7]
	s_mov_b64 s[6:7], 0
	s_cbranch_vccnz .LBB23_2549
; %bb.2539:
	s_cmp_gt_i32 s18, 14
	s_cbranch_scc0 .LBB23_2542
; %bb.2540:
	s_cmp_eq_u32 s18, 15
	s_cbranch_scc0 .LBB23_2545
; %bb.2541:
	global_load_ushort v1, v[19:20], off
	s_mov_b64 s[0:1], 0
	s_mov_b64 s[10:11], -1
	s_waitcnt vmcnt(0)
	v_lshlrev_b32_e32 v1, 16, v1
	v_cvt_i32_f32_e32 v8, v1
	s_branch .LBB23_2546
.LBB23_2542:
	s_mov_b64 s[16:17], -1
                                        ; implicit-def: $vgpr8
	s_branch .LBB23_2547
.LBB23_2543:
	s_andn2_saveexec_b64 s[6:7], s[6:7]
	s_cbranch_execz .LBB23_2524
.LBB23_2544:
	v_cmp_ne_u16_e32 vcc, 0, v1
	s_andn2_b64 s[10:11], s[10:11], exec
	s_and_b64 s[16:17], vcc, exec
	s_or_b64 s[10:11], s[10:11], s[16:17]
	s_or_b64 exec, exec, s[6:7]
	v_mov_b32_e32 v8, 0
	s_and_saveexec_b64 s[6:7], s[10:11]
	s_cbranch_execnz .LBB23_2525
	s_branch .LBB23_2526
.LBB23_2545:
	s_mov_b64 s[0:1], -1
                                        ; implicit-def: $vgpr8
.LBB23_2546:
	s_mov_b64 s[16:17], 0
.LBB23_2547:
	s_and_b64 vcc, exec, s[16:17]
	s_cbranch_vccz .LBB23_2549
; %bb.2548:
	s_cmp_lg_u32 s18, 11
	s_mov_b64 s[6:7], -1
	s_cselect_b64 s[0:1], -1, 0
.LBB23_2549:
	s_and_b64 vcc, exec, s[0:1]
	s_cbranch_vccnz .LBB23_3082
; %bb.2550:
	s_andn2_b64 vcc, exec, s[6:7]
	s_cbranch_vccnz .LBB23_2552
.LBB23_2551:
	global_load_ubyte v1, v[19:20], off
	s_mov_b64 s[10:11], -1
	s_waitcnt vmcnt(0)
	v_cmp_ne_u16_e32 vcc, 0, v1
	v_cndmask_b32_e64 v8, 0, 1, vcc
.LBB23_2552:
	s_mov_b64 s[0:1], 0
.LBB23_2553:
	s_and_b64 vcc, exec, s[0:1]
	s_cbranch_vccz .LBB23_2602
; %bb.2554:
	s_and_b32 s6, 0xffff, s23
	s_cmp_lt_i32 s6, 5
	s_cbranch_scc1 .LBB23_2559
; %bb.2555:
	s_cmp_lt_i32 s6, 8
	s_cbranch_scc1 .LBB23_2560
; %bb.2556:
	;; [unrolled: 3-line block ×3, first 2 shown]
	s_cmp_gt_i32 s6, 9
	s_cbranch_scc0 .LBB23_2562
; %bb.2558:
	global_load_dwordx2 v[8:9], v[19:20], off
	s_mov_b64 s[0:1], 0
	s_waitcnt vmcnt(0)
	v_cvt_i32_f64_e32 v8, v[8:9]
	s_branch .LBB23_2563
.LBB23_2559:
	s_mov_b64 s[0:1], -1
                                        ; implicit-def: $vgpr8
	s_branch .LBB23_2581
.LBB23_2560:
	s_mov_b64 s[0:1], -1
                                        ; implicit-def: $vgpr8
	s_branch .LBB23_2569
.LBB23_2561:
	s_mov_b64 s[0:1], -1
                                        ; implicit-def: $vgpr8
	s_branch .LBB23_2566
.LBB23_2562:
	s_mov_b64 s[0:1], -1
                                        ; implicit-def: $vgpr8
.LBB23_2563:
	s_andn2_b64 vcc, exec, s[0:1]
	s_cbranch_vccnz .LBB23_2565
; %bb.2564:
	global_load_dword v1, v[19:20], off
	s_waitcnt vmcnt(0)
	v_cvt_i32_f32_e32 v8, v1
.LBB23_2565:
	s_mov_b64 s[0:1], 0
.LBB23_2566:
	s_andn2_b64 vcc, exec, s[0:1]
	s_cbranch_vccnz .LBB23_2568
; %bb.2567:
	global_load_dword v1, v[19:20], off
	s_waitcnt vmcnt(0)
	v_cvt_i16_f16_e32 v8, v1
.LBB23_2568:
	s_mov_b64 s[0:1], 0
.LBB23_2569:
	s_andn2_b64 vcc, exec, s[0:1]
	s_cbranch_vccnz .LBB23_2580
; %bb.2570:
	s_cmp_lt_i32 s6, 6
	s_cbranch_scc1 .LBB23_2573
; %bb.2571:
	s_cmp_gt_i32 s6, 6
	s_cbranch_scc0 .LBB23_2574
; %bb.2572:
	global_load_dwordx2 v[8:9], v[19:20], off
	s_mov_b64 s[0:1], 0
	s_waitcnt vmcnt(0)
	v_cvt_i32_f64_e32 v8, v[8:9]
	s_branch .LBB23_2575
.LBB23_2573:
	s_mov_b64 s[0:1], -1
                                        ; implicit-def: $vgpr8
	s_branch .LBB23_2578
.LBB23_2574:
	s_mov_b64 s[0:1], -1
                                        ; implicit-def: $vgpr8
.LBB23_2575:
	s_andn2_b64 vcc, exec, s[0:1]
	s_cbranch_vccnz .LBB23_2577
; %bb.2576:
	global_load_dword v1, v[19:20], off
	s_waitcnt vmcnt(0)
	v_cvt_i32_f32_e32 v8, v1
.LBB23_2577:
	s_mov_b64 s[0:1], 0
.LBB23_2578:
	s_andn2_b64 vcc, exec, s[0:1]
	s_cbranch_vccnz .LBB23_2580
; %bb.2579:
	global_load_ushort v1, v[19:20], off
	s_waitcnt vmcnt(0)
	v_cvt_i16_f16_e32 v8, v1
.LBB23_2580:
	s_mov_b64 s[0:1], 0
.LBB23_2581:
	s_andn2_b64 vcc, exec, s[0:1]
	s_cbranch_vccnz .LBB23_2601
; %bb.2582:
	s_cmp_lt_i32 s6, 2
	s_cbranch_scc1 .LBB23_2586
; %bb.2583:
	s_cmp_lt_i32 s6, 3
	s_cbranch_scc1 .LBB23_2587
; %bb.2584:
	s_cmp_gt_i32 s6, 3
	s_cbranch_scc0 .LBB23_2588
; %bb.2585:
	global_load_dwordx2 v[8:9], v[19:20], off
	s_mov_b64 s[0:1], 0
	s_branch .LBB23_2589
.LBB23_2586:
	s_mov_b64 s[0:1], -1
                                        ; implicit-def: $vgpr8
	s_branch .LBB23_2595
.LBB23_2587:
	s_mov_b64 s[0:1], -1
                                        ; implicit-def: $vgpr8
	s_branch .LBB23_2592
.LBB23_2588:
	s_mov_b64 s[0:1], -1
                                        ; implicit-def: $vgpr8
.LBB23_2589:
	s_andn2_b64 vcc, exec, s[0:1]
	s_cbranch_vccnz .LBB23_2591
; %bb.2590:
	global_load_dword v8, v[19:20], off
.LBB23_2591:
	s_mov_b64 s[0:1], 0
.LBB23_2592:
	s_andn2_b64 vcc, exec, s[0:1]
	s_cbranch_vccnz .LBB23_2594
; %bb.2593:
	global_load_ushort v8, v[19:20], off
.LBB23_2594:
	s_mov_b64 s[0:1], 0
.LBB23_2595:
	s_andn2_b64 vcc, exec, s[0:1]
	s_cbranch_vccnz .LBB23_2601
; %bb.2596:
	s_cmp_gt_i32 s6, 0
	s_cbranch_scc0 .LBB23_2598
; %bb.2597:
	global_load_ubyte v8, v[19:20], off
	s_mov_b64 s[0:1], 0
	s_branch .LBB23_2599
.LBB23_2598:
	s_mov_b64 s[0:1], -1
                                        ; implicit-def: $vgpr8
.LBB23_2599:
	s_andn2_b64 vcc, exec, s[0:1]
	s_cbranch_vccnz .LBB23_2601
; %bb.2600:
	global_load_ubyte v8, v[19:20], off
.LBB23_2601:
	s_mov_b64 s[10:11], -1
.LBB23_2602:
	s_andn2_b64 vcc, exec, s[10:11]
	s_cbranch_vccnz .LBB23_3036
; %bb.2603:
	s_load_dwordx2 s[0:1], s[2:3], 0x1a0
	v_cmp_ne_u16_sdwa s[6:7], v7, v12 src0_sel:BYTE_0 src1_sel:BYTE_0
	v_mov_b32_e32 v1, s9
	v_add_co_u32_e32 v5, vcc, s8, v6
	s_waitcnt lgkmcnt(0)
	s_cmp_eq_u32 s0, 0
	s_cselect_b64 s[2:3], -1, 0
	s_and_b32 s22, s1, 0xff
	s_xor_b64 s[6:7], s[2:3], s[6:7]
	s_cmp_lt_i32 s22, 11
	v_addc_co_u32_e32 v6, vcc, 0, v1, vcc
	s_cbranch_scc1 .LBB23_2681
; %bb.2604:
	s_and_b32 s23, 0xffff, s22
	s_mov_b64 s[18:19], -1
	s_mov_b64 s[10:11], 0
	s_cmp_gt_i32 s23, 25
	s_mov_b64 s[16:17], 0
	s_mov_b64 s[0:1], 0
	s_cbranch_scc0 .LBB23_2637
; %bb.2605:
	s_cmp_gt_i32 s23, 28
	s_cbranch_scc0 .LBB23_2620
; %bb.2606:
	s_cmp_gt_i32 s23, 43
	s_cbranch_scc0 .LBB23_2616
; %bb.2607:
	s_cmp_gt_i32 s23, 45
	s_cbranch_scc0 .LBB23_2610
; %bb.2608:
	s_mov_b64 s[0:1], -1
	s_mov_b64 s[18:19], 0
	s_cmp_eq_u32 s23, 46
	s_cbranch_scc0 .LBB23_2610
; %bb.2609:
	v_cndmask_b32_e64 v1, 0, 1.0, s[6:7]
	v_bfe_u32 v3, v1, 16, 1
	s_movk_i32 s0, 0x7fff
	v_add3_u32 v1, v1, v3, s0
	v_lshrrev_b32_e32 v1, 16, v1
	global_store_dword v[5:6], v1, off
	s_mov_b64 s[0:1], 0
	s_mov_b64 s[16:17], -1
.LBB23_2610:
	s_and_b64 vcc, exec, s[18:19]
	s_cbranch_vccz .LBB23_2615
; %bb.2611:
	s_cmp_eq_u32 s23, 44
	s_mov_b64 s[0:1], -1
	s_cbranch_scc0 .LBB23_2615
; %bb.2612:
	v_cndmask_b32_e64 v3, 0, 1.0, s[6:7]
	v_lshrrev_b32_e32 v1, 23, v3
	s_movk_i32 s0, 0xff
	v_cmp_ne_u32_e32 vcc, s0, v1
	v_mov_b32_e32 v7, 0xff
	s_and_saveexec_b64 s[16:17], vcc
; %bb.2613:
	s_mov_b32 s0, 0x3fffff
	v_and_b32_e32 v7, 0x400000, v3
	v_and_or_b32 v3, v3, s0, v1
	v_cmp_ne_u32_e32 vcc, 0, v7
	v_cmp_ne_u32_e64 s[0:1], 0, v3
	s_and_b64 s[0:1], vcc, s[0:1]
	v_cndmask_b32_e64 v3, 0, 1, s[0:1]
	v_add_u32_e32 v7, v1, v3
; %bb.2614:
	s_or_b64 exec, exec, s[16:17]
	s_mov_b64 s[0:1], 0
	s_mov_b64 s[16:17], -1
	global_store_byte v[5:6], v7, off
.LBB23_2615:
	s_mov_b64 s[18:19], 0
.LBB23_2616:
	s_and_b64 vcc, exec, s[18:19]
	s_cbranch_vccz .LBB23_2619
; %bb.2617:
	s_cmp_eq_u32 s23, 29
	s_mov_b64 s[0:1], -1
	s_cbranch_scc0 .LBB23_2619
; %bb.2618:
	s_mov_b32 s0, 0
	v_cndmask_b32_e64 v11, 0, 1, s[6:7]
	v_mov_b32_e32 v12, s0
	global_store_dwordx2 v[5:6], v[11:12], off
	s_mov_b64 s[0:1], 0
	s_mov_b64 s[16:17], -1
.LBB23_2619:
	s_mov_b64 s[18:19], 0
.LBB23_2620:
	s_and_b64 vcc, exec, s[18:19]
	s_cbranch_vccz .LBB23_2636
; %bb.2621:
	s_cmp_lt_i32 s23, 27
	s_mov_b64 s[16:17], -1
	s_cbranch_scc1 .LBB23_2627
; %bb.2622:
	s_cmp_gt_i32 s23, 27
	s_cbranch_scc0 .LBB23_2624
; %bb.2623:
	v_cndmask_b32_e64 v1, 0, 1, s[6:7]
	s_mov_b64 s[16:17], 0
	global_store_dword v[5:6], v1, off
.LBB23_2624:
	s_andn2_b64 vcc, exec, s[16:17]
	s_cbranch_vccnz .LBB23_2626
; %bb.2625:
	v_cndmask_b32_e64 v1, 0, 1, s[6:7]
	global_store_short v[5:6], v1, off
.LBB23_2626:
	s_mov_b64 s[16:17], 0
.LBB23_2627:
	s_andn2_b64 vcc, exec, s[16:17]
	s_cbranch_vccnz .LBB23_2635
; %bb.2628:
	v_cndmask_b32_e64 v3, 0, 1.0, s[6:7]
	s_mov_b32 s16, 0x43800000
	v_cmp_gt_u32_e32 vcc, s16, v3
	v_mov_b32_e32 v7, 0x80
	s_and_saveexec_b64 s[16:17], vcc
	s_cbranch_execz .LBB23_2634
; %bb.2629:
	s_mov_b32 s18, 0x3bffffff
	v_cmp_lt_u32_e32 vcc, s18, v3
	s_mov_b64 s[18:19], 0
                                        ; implicit-def: $vgpr1
	s_and_saveexec_b64 s[20:21], vcc
	s_xor_b64 s[20:21], exec, s[20:21]
	s_cbranch_execz .LBB23_3083
; %bb.2630:
	v_bfe_u32 v1, v3, 20, 1
	s_mov_b32 s24, 0x487ffff
	v_add3_u32 v1, v3, v1, s24
	s_mov_b64 s[18:19], exec
	v_lshrrev_b32_e32 v1, 20, v1
                                        ; implicit-def: $vgpr3
	s_andn2_saveexec_b64 s[20:21], s[20:21]
	s_cbranch_execnz .LBB23_3084
.LBB23_2631:
	s_or_b64 exec, exec, s[20:21]
	v_mov_b32_e32 v7, 0
	s_and_saveexec_b64 s[20:21], s[18:19]
.LBB23_2632:
	v_mov_b32_e32 v7, v1
.LBB23_2633:
	s_or_b64 exec, exec, s[20:21]
.LBB23_2634:
	s_or_b64 exec, exec, s[16:17]
	global_store_byte v[5:6], v7, off
.LBB23_2635:
	s_mov_b64 s[16:17], -1
.LBB23_2636:
	s_mov_b64 s[18:19], 0
.LBB23_2637:
	s_and_b64 vcc, exec, s[18:19]
	s_cbranch_vccz .LBB23_2677
; %bb.2638:
	s_cmp_gt_i32 s23, 22
	s_mov_b64 s[10:11], -1
	s_cbranch_scc0 .LBB23_2670
; %bb.2639:
	s_cmp_lt_i32 s23, 24
	s_cbranch_scc1 .LBB23_2659
; %bb.2640:
	s_cmp_gt_i32 s23, 24
	s_cbranch_scc0 .LBB23_2648
; %bb.2641:
	v_cndmask_b32_e64 v3, 0, 1.0, s[6:7]
	s_mov_b32 s10, 0x47800000
	v_cmp_gt_u32_e32 vcc, s10, v3
	v_mov_b32_e32 v7, 0x80
	s_and_saveexec_b64 s[10:11], vcc
	s_cbranch_execz .LBB23_2647
; %bb.2642:
	s_mov_b32 s16, 0x37ffffff
	v_cmp_lt_u32_e32 vcc, s16, v3
	s_mov_b64 s[16:17], 0
                                        ; implicit-def: $vgpr1
	s_and_saveexec_b64 s[18:19], vcc
	s_xor_b64 s[18:19], exec, s[18:19]
	s_cbranch_execz .LBB23_3086
; %bb.2643:
	v_bfe_u32 v1, v3, 21, 1
	s_mov_b32 s20, 0x88fffff
	v_add3_u32 v1, v3, v1, s20
	s_mov_b64 s[16:17], exec
	v_lshrrev_b32_e32 v1, 21, v1
                                        ; implicit-def: $vgpr3
	s_andn2_saveexec_b64 s[18:19], s[18:19]
	s_cbranch_execnz .LBB23_3087
.LBB23_2644:
	s_or_b64 exec, exec, s[18:19]
	v_mov_b32_e32 v7, 0
	s_and_saveexec_b64 s[18:19], s[16:17]
.LBB23_2645:
	v_mov_b32_e32 v7, v1
.LBB23_2646:
	s_or_b64 exec, exec, s[18:19]
.LBB23_2647:
	s_or_b64 exec, exec, s[10:11]
	s_mov_b64 s[10:11], 0
	global_store_byte v[5:6], v7, off
.LBB23_2648:
	s_and_b64 vcc, exec, s[10:11]
	s_cbranch_vccz .LBB23_2658
; %bb.2649:
	v_cndmask_b32_e64 v1, 0, 1.0, s[6:7]
	s_mov_b32 s10, 0x43f00000
	v_cmp_gt_u32_e32 vcc, s10, v1
                                        ; implicit-def: $vgpr3
	s_and_saveexec_b64 s[10:11], vcc
	s_xor_b64 s[10:11], exec, s[10:11]
	s_cbranch_execz .LBB23_2655
; %bb.2650:
	s_mov_b32 s16, 0x3c7fffff
	v_cmp_lt_u32_e32 vcc, s16, v1
                                        ; implicit-def: $vgpr3
	s_and_saveexec_b64 s[16:17], vcc
	s_xor_b64 s[16:17], exec, s[16:17]
; %bb.2651:
	v_bfe_u32 v3, v1, 20, 1
	s_mov_b32 s18, 0x407ffff
	v_add3_u32 v1, v1, v3, s18
	v_lshrrev_b32_e32 v3, 20, v1
	v_and_b32_e32 v1, 0xff00000, v1
	s_mov_b32 s18, 0x7f00000
	v_mov_b32_e32 v7, 0x7e
	v_cmp_ne_u32_e32 vcc, s18, v1
	v_cndmask_b32_e32 v3, v7, v3, vcc
                                        ; implicit-def: $vgpr1
; %bb.2652:
	s_andn2_saveexec_b64 s[16:17], s[16:17]
; %bb.2653:
	v_add_f32_e32 v3, 0x46800000, v1
; %bb.2654:
	s_or_b64 exec, exec, s[16:17]
                                        ; implicit-def: $vgpr1
.LBB23_2655:
	s_andn2_saveexec_b64 s[10:11], s[10:11]
; %bb.2656:
	s_mov_b32 s16, 0x7f800000
	v_mov_b32_e32 v3, 0x7e
	v_mov_b32_e32 v7, 0x7f
	v_cmp_lt_u32_e32 vcc, s16, v1
	v_cndmask_b32_e32 v3, v3, v7, vcc
; %bb.2657:
	s_or_b64 exec, exec, s[10:11]
	global_store_byte v[5:6], v3, off
.LBB23_2658:
	s_mov_b64 s[10:11], 0
.LBB23_2659:
	s_andn2_b64 vcc, exec, s[10:11]
	s_cbranch_vccnz .LBB23_2669
; %bb.2660:
	v_cndmask_b32_e64 v1, 0, 1.0, s[6:7]
	s_mov_b32 s10, 0x47800000
	v_cmp_gt_u32_e32 vcc, s10, v1
                                        ; implicit-def: $vgpr3
	s_and_saveexec_b64 s[10:11], vcc
	s_xor_b64 s[10:11], exec, s[10:11]
	s_cbranch_execz .LBB23_2666
; %bb.2661:
	s_mov_b32 s16, 0x387fffff
	v_cmp_lt_u32_e32 vcc, s16, v1
                                        ; implicit-def: $vgpr3
	s_and_saveexec_b64 s[16:17], vcc
	s_xor_b64 s[16:17], exec, s[16:17]
; %bb.2662:
	v_bfe_u32 v3, v1, 21, 1
	s_mov_b32 s18, 0x80fffff
	v_add3_u32 v1, v1, v3, s18
	v_lshrrev_b32_e32 v3, 21, v1
                                        ; implicit-def: $vgpr1
; %bb.2663:
	s_andn2_saveexec_b64 s[16:17], s[16:17]
; %bb.2664:
	v_add_f32_e32 v3, 0x43000000, v1
; %bb.2665:
	s_or_b64 exec, exec, s[16:17]
                                        ; implicit-def: $vgpr1
.LBB23_2666:
	s_andn2_saveexec_b64 s[10:11], s[10:11]
; %bb.2667:
	s_mov_b32 s16, 0x7f800000
	v_mov_b32_e32 v3, 0x7c
	v_mov_b32_e32 v7, 0x7f
	v_cmp_lt_u32_e32 vcc, s16, v1
	v_cndmask_b32_e32 v3, v3, v7, vcc
; %bb.2668:
	s_or_b64 exec, exec, s[10:11]
	global_store_byte v[5:6], v3, off
.LBB23_2669:
	s_mov_b64 s[10:11], 0
	s_mov_b64 s[16:17], -1
.LBB23_2670:
	s_andn2_b64 vcc, exec, s[10:11]
	s_mov_b64 s[10:11], 0
	s_cbranch_vccnz .LBB23_2677
; %bb.2671:
	s_cmp_gt_i32 s23, 14
	s_mov_b64 s[18:19], -1
	s_cbranch_scc0 .LBB23_2675
; %bb.2672:
	s_cmp_eq_u32 s23, 15
	s_mov_b64 s[0:1], -1
	s_cbranch_scc0 .LBB23_2674
; %bb.2673:
	v_cndmask_b32_e64 v1, 0, 1.0, s[6:7]
	v_bfe_u32 v3, v1, 16, 1
	s_movk_i32 s0, 0x7fff
	v_add3_u32 v1, v1, v3, s0
	global_store_short_d16_hi v[5:6], v1, off
	s_mov_b64 s[0:1], 0
	s_mov_b64 s[16:17], -1
.LBB23_2674:
	s_mov_b64 s[18:19], 0
.LBB23_2675:
	s_and_b64 vcc, exec, s[18:19]
	s_cbranch_vccz .LBB23_2677
; %bb.2676:
	s_cmp_lg_u32 s23, 11
	s_mov_b64 s[10:11], -1
	s_cselect_b64 s[0:1], -1, 0
.LBB23_2677:
	s_and_b64 vcc, exec, s[0:1]
	s_cbranch_vccnz .LBB23_3085
; %bb.2678:
	s_andn2_b64 vcc, exec, s[10:11]
	s_cbranch_vccnz .LBB23_2680
.LBB23_2679:
	v_cndmask_b32_e64 v1, 0, 1, s[6:7]
	s_mov_b64 s[16:17], -1
	global_store_byte v[5:6], v1, off
.LBB23_2680:
	s_mov_b64 s[0:1], 0
	s_branch .LBB23_2682
.LBB23_2681:
	s_mov_b64 s[0:1], -1
	s_mov_b64 s[16:17], 0
.LBB23_2682:
	s_and_b64 vcc, exec, s[0:1]
	s_cbranch_vccz .LBB23_2721
; %bb.2683:
	s_and_b32 s10, 0xffff, s22
	s_cmp_lt_i32 s10, 5
	s_mov_b64 s[0:1], -1
	s_cbranch_scc1 .LBB23_2704
; %bb.2684:
	s_cmp_lt_i32 s10, 8
	s_cbranch_scc1 .LBB23_2694
; %bb.2685:
	s_cmp_lt_i32 s10, 9
	s_cbranch_scc1 .LBB23_2691
; %bb.2686:
	s_cmp_gt_i32 s10, 9
	s_cbranch_scc0 .LBB23_2688
; %bb.2687:
	v_cndmask_b32_e64 v1, 0, 1, s[6:7]
	v_cvt_f64_u32_e32 v[19:20], v1
	v_mov_b32_e32 v21, 0
	v_mov_b32_e32 v22, v21
	s_mov_b64 s[0:1], 0
	global_store_dwordx4 v[5:6], v[19:22], off
.LBB23_2688:
	s_andn2_b64 vcc, exec, s[0:1]
	s_cbranch_vccnz .LBB23_2690
; %bb.2689:
	v_cndmask_b32_e64 v11, 0, 1.0, s[6:7]
	v_mov_b32_e32 v12, 0
	global_store_dwordx2 v[5:6], v[11:12], off
.LBB23_2690:
	s_mov_b64 s[0:1], 0
.LBB23_2691:
	s_andn2_b64 vcc, exec, s[0:1]
	s_cbranch_vccnz .LBB23_2693
; %bb.2692:
	v_cndmask_b32_e64 v1, 0, 1.0, s[6:7]
	v_cvt_f16_f32_e32 v1, v1
	global_store_dword v[5:6], v1, off
.LBB23_2693:
	s_mov_b64 s[0:1], 0
.LBB23_2694:
	s_andn2_b64 vcc, exec, s[0:1]
	s_cbranch_vccnz .LBB23_2703
; %bb.2695:
	s_cmp_lt_i32 s10, 6
	s_mov_b64 s[0:1], -1
	s_cbranch_scc1 .LBB23_2701
; %bb.2696:
	s_cmp_gt_i32 s10, 6
	s_cbranch_scc0 .LBB23_2698
; %bb.2697:
	v_cndmask_b32_e64 v1, 0, 1, s[6:7]
	v_cvt_f64_u32_e32 v[11:12], v1
	s_mov_b64 s[0:1], 0
	global_store_dwordx2 v[5:6], v[11:12], off
.LBB23_2698:
	s_andn2_b64 vcc, exec, s[0:1]
	s_cbranch_vccnz .LBB23_2700
; %bb.2699:
	v_cndmask_b32_e64 v1, 0, 1.0, s[6:7]
	global_store_dword v[5:6], v1, off
.LBB23_2700:
	s_mov_b64 s[0:1], 0
.LBB23_2701:
	s_andn2_b64 vcc, exec, s[0:1]
	s_cbranch_vccnz .LBB23_2703
; %bb.2702:
	v_cndmask_b32_e64 v1, 0, 1.0, s[6:7]
	v_cvt_f16_f32_e32 v1, v1
	global_store_short v[5:6], v1, off
.LBB23_2703:
	s_mov_b64 s[0:1], 0
.LBB23_2704:
	s_andn2_b64 vcc, exec, s[0:1]
	s_cbranch_vccnz .LBB23_2720
; %bb.2705:
	s_cmp_lt_i32 s10, 2
	s_mov_b64 s[0:1], -1
	s_cbranch_scc1 .LBB23_2715
; %bb.2706:
	s_cmp_lt_i32 s10, 3
	s_cbranch_scc1 .LBB23_2712
; %bb.2707:
	s_cmp_gt_i32 s10, 3
	s_cbranch_scc0 .LBB23_2709
; %bb.2708:
	s_mov_b32 s0, 0
	v_cndmask_b32_e64 v11, 0, 1, s[6:7]
	v_mov_b32_e32 v12, s0
	global_store_dwordx2 v[5:6], v[11:12], off
	s_mov_b64 s[0:1], 0
.LBB23_2709:
	s_andn2_b64 vcc, exec, s[0:1]
	s_cbranch_vccnz .LBB23_2711
; %bb.2710:
	v_cndmask_b32_e64 v1, 0, 1, s[6:7]
	global_store_dword v[5:6], v1, off
.LBB23_2711:
	s_mov_b64 s[0:1], 0
.LBB23_2712:
	s_andn2_b64 vcc, exec, s[0:1]
	s_cbranch_vccnz .LBB23_2714
; %bb.2713:
	v_cndmask_b32_e64 v1, 0, 1, s[6:7]
	global_store_short v[5:6], v1, off
.LBB23_2714:
	s_mov_b64 s[0:1], 0
.LBB23_2715:
	s_andn2_b64 vcc, exec, s[0:1]
	s_cbranch_vccnz .LBB23_2720
; %bb.2716:
	s_mov_b64 s[0:1], -1
	s_cmp_gt_i32 s10, 0
	v_cndmask_b32_e64 v1, 0, 1, s[6:7]
	s_cbranch_scc0 .LBB23_2718
; %bb.2717:
	global_store_byte v[5:6], v1, off
	s_mov_b64 s[0:1], 0
.LBB23_2718:
	s_andn2_b64 vcc, exec, s[0:1]
	s_cbranch_vccnz .LBB23_2720
; %bb.2719:
	global_store_byte v[5:6], v1, off
.LBB23_2720:
	s_mov_b64 s[16:17], -1
.LBB23_2721:
	s_andn2_b64 vcc, exec, s[16:17]
	s_cbranch_vccnz .LBB23_3036
; %bb.2722:
	v_cmp_ne_u16_sdwa s[0:1], v10, v17 src0_sel:BYTE_0 src1_sel:BYTE_0
	s_xor_b64 s[6:7], s[2:3], s[0:1]
	v_mov_b32_e32 v1, s9
	s_and_b32 s23, 0xffff, s22
	v_add_co_u32_e32 v3, vcc, s8, v4
	s_cmp_lt_i32 s23, 11
	v_addc_co_u32_e32 v4, vcc, 0, v1, vcc
	s_cbranch_scc1 .LBB23_2800
; %bb.2723:
	s_mov_b64 s[18:19], -1
	s_mov_b64 s[10:11], 0
	s_cmp_gt_i32 s23, 25
	s_mov_b64 s[16:17], 0
	s_mov_b64 s[0:1], 0
	s_cbranch_scc0 .LBB23_2756
; %bb.2724:
	s_cmp_gt_i32 s23, 28
	s_cbranch_scc0 .LBB23_2739
; %bb.2725:
	s_cmp_gt_i32 s23, 43
	;; [unrolled: 3-line block ×3, first 2 shown]
	s_cbranch_scc0 .LBB23_2729
; %bb.2727:
	s_mov_b64 s[0:1], -1
	s_mov_b64 s[18:19], 0
	s_cmp_eq_u32 s23, 46
	s_cbranch_scc0 .LBB23_2729
; %bb.2728:
	v_cndmask_b32_e64 v1, 0, 1.0, s[6:7]
	v_bfe_u32 v5, v1, 16, 1
	s_movk_i32 s0, 0x7fff
	v_add3_u32 v1, v1, v5, s0
	v_lshrrev_b32_e32 v1, 16, v1
	global_store_dword v[3:4], v1, off
	s_mov_b64 s[0:1], 0
	s_mov_b64 s[16:17], -1
.LBB23_2729:
	s_and_b64 vcc, exec, s[18:19]
	s_cbranch_vccz .LBB23_2734
; %bb.2730:
	s_cmp_eq_u32 s23, 44
	s_mov_b64 s[0:1], -1
	s_cbranch_scc0 .LBB23_2734
; %bb.2731:
	v_cndmask_b32_e64 v5, 0, 1.0, s[6:7]
	v_lshrrev_b32_e32 v1, 23, v5
	s_movk_i32 s0, 0xff
	v_cmp_ne_u32_e32 vcc, s0, v1
	v_mov_b32_e32 v6, 0xff
	s_and_saveexec_b64 s[16:17], vcc
; %bb.2732:
	s_mov_b32 s0, 0x3fffff
	v_and_b32_e32 v6, 0x400000, v5
	v_and_or_b32 v5, v5, s0, v1
	v_cmp_ne_u32_e32 vcc, 0, v6
	v_cmp_ne_u32_e64 s[0:1], 0, v5
	s_and_b64 s[0:1], vcc, s[0:1]
	v_cndmask_b32_e64 v5, 0, 1, s[0:1]
	v_add_u32_e32 v6, v1, v5
; %bb.2733:
	s_or_b64 exec, exec, s[16:17]
	s_mov_b64 s[0:1], 0
	s_mov_b64 s[16:17], -1
	global_store_byte v[3:4], v6, off
.LBB23_2734:
	s_mov_b64 s[18:19], 0
.LBB23_2735:
	s_and_b64 vcc, exec, s[18:19]
	s_cbranch_vccz .LBB23_2738
; %bb.2736:
	s_cmp_eq_u32 s23, 29
	s_mov_b64 s[0:1], -1
	s_cbranch_scc0 .LBB23_2738
; %bb.2737:
	s_mov_b32 s0, 0
	v_cndmask_b32_e64 v5, 0, 1, s[6:7]
	v_mov_b32_e32 v6, s0
	global_store_dwordx2 v[3:4], v[5:6], off
	s_mov_b64 s[0:1], 0
	s_mov_b64 s[16:17], -1
.LBB23_2738:
	s_mov_b64 s[18:19], 0
.LBB23_2739:
	s_and_b64 vcc, exec, s[18:19]
	s_cbranch_vccz .LBB23_2755
; %bb.2740:
	s_cmp_lt_i32 s23, 27
	s_mov_b64 s[16:17], -1
	s_cbranch_scc1 .LBB23_2746
; %bb.2741:
	s_cmp_gt_i32 s23, 27
	s_cbranch_scc0 .LBB23_2743
; %bb.2742:
	v_cndmask_b32_e64 v1, 0, 1, s[6:7]
	s_mov_b64 s[16:17], 0
	global_store_dword v[3:4], v1, off
.LBB23_2743:
	s_andn2_b64 vcc, exec, s[16:17]
	s_cbranch_vccnz .LBB23_2745
; %bb.2744:
	v_cndmask_b32_e64 v1, 0, 1, s[6:7]
	global_store_short v[3:4], v1, off
.LBB23_2745:
	s_mov_b64 s[16:17], 0
.LBB23_2746:
	s_andn2_b64 vcc, exec, s[16:17]
	s_cbranch_vccnz .LBB23_2754
; %bb.2747:
	v_cndmask_b32_e64 v5, 0, 1.0, s[6:7]
	s_mov_b32 s16, 0x43800000
	v_cmp_gt_u32_e32 vcc, s16, v5
	v_mov_b32_e32 v6, 0x80
	s_and_saveexec_b64 s[16:17], vcc
	s_cbranch_execz .LBB23_2753
; %bb.2748:
	s_mov_b32 s18, 0x3bffffff
	v_cmp_lt_u32_e32 vcc, s18, v5
	s_mov_b64 s[18:19], 0
                                        ; implicit-def: $vgpr1
	s_and_saveexec_b64 s[20:21], vcc
	s_xor_b64 s[20:21], exec, s[20:21]
	s_cbranch_execz .LBB23_3088
; %bb.2749:
	v_bfe_u32 v1, v5, 20, 1
	s_mov_b32 s24, 0x487ffff
	v_add3_u32 v1, v5, v1, s24
	s_mov_b64 s[18:19], exec
	v_lshrrev_b32_e32 v1, 20, v1
                                        ; implicit-def: $vgpr5
	s_andn2_saveexec_b64 s[20:21], s[20:21]
	s_cbranch_execnz .LBB23_3089
.LBB23_2750:
	s_or_b64 exec, exec, s[20:21]
	v_mov_b32_e32 v6, 0
	s_and_saveexec_b64 s[20:21], s[18:19]
.LBB23_2751:
	v_mov_b32_e32 v6, v1
.LBB23_2752:
	s_or_b64 exec, exec, s[20:21]
.LBB23_2753:
	s_or_b64 exec, exec, s[16:17]
	global_store_byte v[3:4], v6, off
.LBB23_2754:
	s_mov_b64 s[16:17], -1
.LBB23_2755:
	s_mov_b64 s[18:19], 0
.LBB23_2756:
	s_and_b64 vcc, exec, s[18:19]
	s_cbranch_vccz .LBB23_2796
; %bb.2757:
	s_cmp_gt_i32 s23, 22
	s_mov_b64 s[10:11], -1
	s_cbranch_scc0 .LBB23_2789
; %bb.2758:
	s_cmp_lt_i32 s23, 24
	s_cbranch_scc1 .LBB23_2778
; %bb.2759:
	s_cmp_gt_i32 s23, 24
	s_cbranch_scc0 .LBB23_2767
; %bb.2760:
	v_cndmask_b32_e64 v5, 0, 1.0, s[6:7]
	s_mov_b32 s10, 0x47800000
	v_cmp_gt_u32_e32 vcc, s10, v5
	v_mov_b32_e32 v6, 0x80
	s_and_saveexec_b64 s[10:11], vcc
	s_cbranch_execz .LBB23_2766
; %bb.2761:
	s_mov_b32 s16, 0x37ffffff
	v_cmp_lt_u32_e32 vcc, s16, v5
	s_mov_b64 s[16:17], 0
                                        ; implicit-def: $vgpr1
	s_and_saveexec_b64 s[18:19], vcc
	s_xor_b64 s[18:19], exec, s[18:19]
	s_cbranch_execz .LBB23_3091
; %bb.2762:
	v_bfe_u32 v1, v5, 21, 1
	s_mov_b32 s20, 0x88fffff
	v_add3_u32 v1, v5, v1, s20
	s_mov_b64 s[16:17], exec
	v_lshrrev_b32_e32 v1, 21, v1
                                        ; implicit-def: $vgpr5
	s_andn2_saveexec_b64 s[18:19], s[18:19]
	s_cbranch_execnz .LBB23_3092
.LBB23_2763:
	s_or_b64 exec, exec, s[18:19]
	v_mov_b32_e32 v6, 0
	s_and_saveexec_b64 s[18:19], s[16:17]
.LBB23_2764:
	v_mov_b32_e32 v6, v1
.LBB23_2765:
	s_or_b64 exec, exec, s[18:19]
.LBB23_2766:
	s_or_b64 exec, exec, s[10:11]
	s_mov_b64 s[10:11], 0
	global_store_byte v[3:4], v6, off
.LBB23_2767:
	s_and_b64 vcc, exec, s[10:11]
	s_cbranch_vccz .LBB23_2777
; %bb.2768:
	v_cndmask_b32_e64 v1, 0, 1.0, s[6:7]
	s_mov_b32 s10, 0x43f00000
	v_cmp_gt_u32_e32 vcc, s10, v1
                                        ; implicit-def: $vgpr5
	s_and_saveexec_b64 s[10:11], vcc
	s_xor_b64 s[10:11], exec, s[10:11]
	s_cbranch_execz .LBB23_2774
; %bb.2769:
	s_mov_b32 s16, 0x3c7fffff
	v_cmp_lt_u32_e32 vcc, s16, v1
                                        ; implicit-def: $vgpr5
	s_and_saveexec_b64 s[16:17], vcc
	s_xor_b64 s[16:17], exec, s[16:17]
; %bb.2770:
	v_bfe_u32 v5, v1, 20, 1
	s_mov_b32 s18, 0x407ffff
	v_add3_u32 v1, v1, v5, s18
	v_lshrrev_b32_e32 v5, 20, v1
	v_and_b32_e32 v1, 0xff00000, v1
	s_mov_b32 s18, 0x7f00000
	v_mov_b32_e32 v6, 0x7e
	v_cmp_ne_u32_e32 vcc, s18, v1
	v_cndmask_b32_e32 v5, v6, v5, vcc
                                        ; implicit-def: $vgpr1
; %bb.2771:
	s_andn2_saveexec_b64 s[16:17], s[16:17]
; %bb.2772:
	v_add_f32_e32 v5, 0x46800000, v1
; %bb.2773:
	s_or_b64 exec, exec, s[16:17]
                                        ; implicit-def: $vgpr1
.LBB23_2774:
	s_andn2_saveexec_b64 s[10:11], s[10:11]
; %bb.2775:
	s_mov_b32 s16, 0x7f800000
	v_mov_b32_e32 v5, 0x7e
	v_mov_b32_e32 v6, 0x7f
	v_cmp_lt_u32_e32 vcc, s16, v1
	v_cndmask_b32_e32 v5, v5, v6, vcc
; %bb.2776:
	s_or_b64 exec, exec, s[10:11]
	global_store_byte v[3:4], v5, off
.LBB23_2777:
	s_mov_b64 s[10:11], 0
.LBB23_2778:
	s_andn2_b64 vcc, exec, s[10:11]
	s_cbranch_vccnz .LBB23_2788
; %bb.2779:
	v_cndmask_b32_e64 v1, 0, 1.0, s[6:7]
	s_mov_b32 s10, 0x47800000
	v_cmp_gt_u32_e32 vcc, s10, v1
                                        ; implicit-def: $vgpr5
	s_and_saveexec_b64 s[10:11], vcc
	s_xor_b64 s[10:11], exec, s[10:11]
	s_cbranch_execz .LBB23_2785
; %bb.2780:
	s_mov_b32 s16, 0x387fffff
	v_cmp_lt_u32_e32 vcc, s16, v1
                                        ; implicit-def: $vgpr5
	s_and_saveexec_b64 s[16:17], vcc
	s_xor_b64 s[16:17], exec, s[16:17]
; %bb.2781:
	v_bfe_u32 v5, v1, 21, 1
	s_mov_b32 s18, 0x80fffff
	v_add3_u32 v1, v1, v5, s18
	v_lshrrev_b32_e32 v5, 21, v1
                                        ; implicit-def: $vgpr1
; %bb.2782:
	s_andn2_saveexec_b64 s[16:17], s[16:17]
; %bb.2783:
	v_add_f32_e32 v5, 0x43000000, v1
; %bb.2784:
	s_or_b64 exec, exec, s[16:17]
                                        ; implicit-def: $vgpr1
.LBB23_2785:
	s_andn2_saveexec_b64 s[10:11], s[10:11]
; %bb.2786:
	s_mov_b32 s16, 0x7f800000
	v_mov_b32_e32 v5, 0x7c
	v_mov_b32_e32 v6, 0x7f
	v_cmp_lt_u32_e32 vcc, s16, v1
	v_cndmask_b32_e32 v5, v5, v6, vcc
; %bb.2787:
	s_or_b64 exec, exec, s[10:11]
	global_store_byte v[3:4], v5, off
.LBB23_2788:
	s_mov_b64 s[10:11], 0
	s_mov_b64 s[16:17], -1
.LBB23_2789:
	s_andn2_b64 vcc, exec, s[10:11]
	s_mov_b64 s[10:11], 0
	s_cbranch_vccnz .LBB23_2796
; %bb.2790:
	s_cmp_gt_i32 s23, 14
	s_mov_b64 s[18:19], -1
	s_cbranch_scc0 .LBB23_2794
; %bb.2791:
	s_cmp_eq_u32 s23, 15
	s_mov_b64 s[0:1], -1
	s_cbranch_scc0 .LBB23_2793
; %bb.2792:
	v_cndmask_b32_e64 v1, 0, 1.0, s[6:7]
	v_bfe_u32 v5, v1, 16, 1
	s_movk_i32 s0, 0x7fff
	v_add3_u32 v1, v1, v5, s0
	global_store_short_d16_hi v[3:4], v1, off
	s_mov_b64 s[0:1], 0
	s_mov_b64 s[16:17], -1
.LBB23_2793:
	s_mov_b64 s[18:19], 0
.LBB23_2794:
	s_and_b64 vcc, exec, s[18:19]
	s_cbranch_vccz .LBB23_2796
; %bb.2795:
	s_cmp_lg_u32 s23, 11
	s_mov_b64 s[10:11], -1
	s_cselect_b64 s[0:1], -1, 0
.LBB23_2796:
	s_and_b64 vcc, exec, s[0:1]
	s_cbranch_vccnz .LBB23_3090
; %bb.2797:
	s_andn2_b64 vcc, exec, s[10:11]
	s_cbranch_vccnz .LBB23_2799
.LBB23_2798:
	v_cndmask_b32_e64 v1, 0, 1, s[6:7]
	s_mov_b64 s[16:17], -1
	global_store_byte v[3:4], v1, off
.LBB23_2799:
	s_mov_b64 s[0:1], 0
	s_branch .LBB23_2801
.LBB23_2800:
	s_mov_b64 s[0:1], -1
	s_mov_b64 s[16:17], 0
.LBB23_2801:
	s_and_b64 vcc, exec, s[0:1]
	s_cbranch_vccz .LBB23_2840
; %bb.2802:
	s_cmp_lt_i32 s23, 5
	s_mov_b64 s[0:1], -1
	s_cbranch_scc1 .LBB23_2823
; %bb.2803:
	s_cmp_lt_i32 s23, 8
	s_cbranch_scc1 .LBB23_2813
; %bb.2804:
	s_cmp_lt_i32 s23, 9
	s_cbranch_scc1 .LBB23_2810
; %bb.2805:
	s_cmp_gt_i32 s23, 9
	s_cbranch_scc0 .LBB23_2807
; %bb.2806:
	v_cndmask_b32_e64 v1, 0, 1, s[6:7]
	s_waitcnt vmcnt(0)
	v_cvt_f64_u32_e32 v[9:10], v1
	v_mov_b32_e32 v11, 0
	v_mov_b32_e32 v12, v11
	s_mov_b64 s[0:1], 0
	global_store_dwordx4 v[3:4], v[9:12], off
.LBB23_2807:
	s_andn2_b64 vcc, exec, s[0:1]
	s_cbranch_vccnz .LBB23_2809
; %bb.2808:
	v_cndmask_b32_e64 v5, 0, 1.0, s[6:7]
	v_mov_b32_e32 v6, 0
	global_store_dwordx2 v[3:4], v[5:6], off
.LBB23_2809:
	s_mov_b64 s[0:1], 0
.LBB23_2810:
	s_andn2_b64 vcc, exec, s[0:1]
	s_cbranch_vccnz .LBB23_2812
; %bb.2811:
	v_cndmask_b32_e64 v1, 0, 1.0, s[6:7]
	v_cvt_f16_f32_e32 v1, v1
	global_store_dword v[3:4], v1, off
.LBB23_2812:
	s_mov_b64 s[0:1], 0
.LBB23_2813:
	s_andn2_b64 vcc, exec, s[0:1]
	s_cbranch_vccnz .LBB23_2822
; %bb.2814:
	s_cmp_lt_i32 s23, 6
	s_mov_b64 s[0:1], -1
	s_cbranch_scc1 .LBB23_2820
; %bb.2815:
	s_cmp_gt_i32 s23, 6
	s_cbranch_scc0 .LBB23_2817
; %bb.2816:
	v_cndmask_b32_e64 v1, 0, 1, s[6:7]
	v_cvt_f64_u32_e32 v[5:6], v1
	s_mov_b64 s[0:1], 0
	global_store_dwordx2 v[3:4], v[5:6], off
.LBB23_2817:
	s_andn2_b64 vcc, exec, s[0:1]
	s_cbranch_vccnz .LBB23_2819
; %bb.2818:
	v_cndmask_b32_e64 v1, 0, 1.0, s[6:7]
	global_store_dword v[3:4], v1, off
.LBB23_2819:
	s_mov_b64 s[0:1], 0
.LBB23_2820:
	s_andn2_b64 vcc, exec, s[0:1]
	s_cbranch_vccnz .LBB23_2822
; %bb.2821:
	v_cndmask_b32_e64 v1, 0, 1.0, s[6:7]
	v_cvt_f16_f32_e32 v1, v1
	global_store_short v[3:4], v1, off
.LBB23_2822:
	s_mov_b64 s[0:1], 0
.LBB23_2823:
	s_andn2_b64 vcc, exec, s[0:1]
	s_cbranch_vccnz .LBB23_2839
; %bb.2824:
	s_cmp_lt_i32 s23, 2
	s_mov_b64 s[0:1], -1
	s_cbranch_scc1 .LBB23_2834
; %bb.2825:
	s_cmp_lt_i32 s23, 3
	s_cbranch_scc1 .LBB23_2831
; %bb.2826:
	s_cmp_gt_i32 s23, 3
	s_cbranch_scc0 .LBB23_2828
; %bb.2827:
	s_mov_b32 s0, 0
	v_cndmask_b32_e64 v5, 0, 1, s[6:7]
	v_mov_b32_e32 v6, s0
	global_store_dwordx2 v[3:4], v[5:6], off
	s_mov_b64 s[0:1], 0
.LBB23_2828:
	s_andn2_b64 vcc, exec, s[0:1]
	s_cbranch_vccnz .LBB23_2830
; %bb.2829:
	v_cndmask_b32_e64 v1, 0, 1, s[6:7]
	global_store_dword v[3:4], v1, off
.LBB23_2830:
	s_mov_b64 s[0:1], 0
.LBB23_2831:
	s_andn2_b64 vcc, exec, s[0:1]
	s_cbranch_vccnz .LBB23_2833
; %bb.2832:
	v_cndmask_b32_e64 v1, 0, 1, s[6:7]
	global_store_short v[3:4], v1, off
.LBB23_2833:
	s_mov_b64 s[0:1], 0
.LBB23_2834:
	s_andn2_b64 vcc, exec, s[0:1]
	s_cbranch_vccnz .LBB23_2839
; %bb.2835:
	s_mov_b64 s[0:1], -1
	s_cmp_gt_i32 s23, 0
	v_cndmask_b32_e64 v1, 0, 1, s[6:7]
	s_cbranch_scc0 .LBB23_2837
; %bb.2836:
	global_store_byte v[3:4], v1, off
	s_mov_b64 s[0:1], 0
.LBB23_2837:
	s_andn2_b64 vcc, exec, s[0:1]
	s_cbranch_vccnz .LBB23_2839
; %bb.2838:
	global_store_byte v[3:4], v1, off
.LBB23_2839:
	s_mov_b64 s[16:17], -1
.LBB23_2840:
	s_andn2_b64 vcc, exec, s[16:17]
	s_cbranch_vccnz .LBB23_3036
; %bb.2841:
	v_cmp_ne_u16_sdwa s[0:1], v15, v18 src0_sel:BYTE_0 src1_sel:BYTE_0
	s_xor_b64 s[6:7], s[2:3], s[0:1]
	v_mov_b32_e32 v3, s9
	v_add_co_u32_e32 v1, vcc, s8, v2
	s_cmp_lt_i32 s23, 11
	v_addc_co_u32_e32 v2, vcc, 0, v3, vcc
	s_cbranch_scc1 .LBB23_2919
; %bb.2842:
	s_mov_b64 s[18:19], -1
	s_mov_b64 s[10:11], 0
	s_cmp_gt_i32 s23, 25
	s_mov_b64 s[16:17], 0
	s_mov_b64 s[0:1], 0
	s_cbranch_scc0 .LBB23_2875
; %bb.2843:
	s_cmp_gt_i32 s23, 28
	s_cbranch_scc0 .LBB23_2858
; %bb.2844:
	s_cmp_gt_i32 s23, 43
	;; [unrolled: 3-line block ×3, first 2 shown]
	s_cbranch_scc0 .LBB23_2848
; %bb.2846:
	s_mov_b64 s[0:1], -1
	s_mov_b64 s[18:19], 0
	s_cmp_eq_u32 s23, 46
	s_cbranch_scc0 .LBB23_2848
; %bb.2847:
	v_cndmask_b32_e64 v3, 0, 1.0, s[6:7]
	v_bfe_u32 v4, v3, 16, 1
	s_movk_i32 s0, 0x7fff
	v_add3_u32 v3, v3, v4, s0
	v_lshrrev_b32_e32 v3, 16, v3
	global_store_dword v[1:2], v3, off
	s_mov_b64 s[0:1], 0
	s_mov_b64 s[16:17], -1
.LBB23_2848:
	s_and_b64 vcc, exec, s[18:19]
	s_cbranch_vccz .LBB23_2853
; %bb.2849:
	s_cmp_eq_u32 s23, 44
	s_mov_b64 s[0:1], -1
	s_cbranch_scc0 .LBB23_2853
; %bb.2850:
	v_cndmask_b32_e64 v4, 0, 1.0, s[6:7]
	v_lshrrev_b32_e32 v3, 23, v4
	s_movk_i32 s0, 0xff
	v_cmp_ne_u32_e32 vcc, s0, v3
	v_mov_b32_e32 v5, 0xff
	s_and_saveexec_b64 s[16:17], vcc
; %bb.2851:
	s_mov_b32 s0, 0x3fffff
	v_and_b32_e32 v5, 0x400000, v4
	v_and_or_b32 v4, v4, s0, v3
	v_cmp_ne_u32_e32 vcc, 0, v5
	v_cmp_ne_u32_e64 s[0:1], 0, v4
	s_and_b64 s[0:1], vcc, s[0:1]
	v_cndmask_b32_e64 v4, 0, 1, s[0:1]
	v_add_u32_e32 v5, v3, v4
; %bb.2852:
	s_or_b64 exec, exec, s[16:17]
	s_mov_b64 s[0:1], 0
	s_mov_b64 s[16:17], -1
	global_store_byte v[1:2], v5, off
.LBB23_2853:
	s_mov_b64 s[18:19], 0
.LBB23_2854:
	s_and_b64 vcc, exec, s[18:19]
	s_cbranch_vccz .LBB23_2857
; %bb.2855:
	s_cmp_eq_u32 s23, 29
	s_mov_b64 s[0:1], -1
	s_cbranch_scc0 .LBB23_2857
; %bb.2856:
	s_mov_b32 s0, 0
	v_cndmask_b32_e64 v3, 0, 1, s[6:7]
	v_mov_b32_e32 v4, s0
	global_store_dwordx2 v[1:2], v[3:4], off
	s_mov_b64 s[0:1], 0
	s_mov_b64 s[16:17], -1
.LBB23_2857:
	s_mov_b64 s[18:19], 0
.LBB23_2858:
	s_and_b64 vcc, exec, s[18:19]
	s_cbranch_vccz .LBB23_2874
; %bb.2859:
	s_cmp_lt_i32 s23, 27
	s_mov_b64 s[16:17], -1
	s_cbranch_scc1 .LBB23_2865
; %bb.2860:
	s_cmp_gt_i32 s23, 27
	s_cbranch_scc0 .LBB23_2862
; %bb.2861:
	v_cndmask_b32_e64 v3, 0, 1, s[6:7]
	s_mov_b64 s[16:17], 0
	global_store_dword v[1:2], v3, off
.LBB23_2862:
	s_andn2_b64 vcc, exec, s[16:17]
	s_cbranch_vccnz .LBB23_2864
; %bb.2863:
	v_cndmask_b32_e64 v3, 0, 1, s[6:7]
	global_store_short v[1:2], v3, off
.LBB23_2864:
	s_mov_b64 s[16:17], 0
.LBB23_2865:
	s_andn2_b64 vcc, exec, s[16:17]
	s_cbranch_vccnz .LBB23_2873
; %bb.2866:
	v_cndmask_b32_e64 v4, 0, 1.0, s[6:7]
	s_mov_b32 s16, 0x43800000
	v_cmp_gt_u32_e32 vcc, s16, v4
	v_mov_b32_e32 v5, 0x80
	s_and_saveexec_b64 s[16:17], vcc
	s_cbranch_execz .LBB23_2872
; %bb.2867:
	s_mov_b32 s18, 0x3bffffff
	v_cmp_lt_u32_e32 vcc, s18, v4
	s_mov_b64 s[18:19], 0
                                        ; implicit-def: $vgpr3
	s_and_saveexec_b64 s[20:21], vcc
	s_xor_b64 s[20:21], exec, s[20:21]
	s_cbranch_execz .LBB23_3093
; %bb.2868:
	v_bfe_u32 v3, v4, 20, 1
	s_mov_b32 s24, 0x487ffff
	v_add3_u32 v3, v4, v3, s24
	s_mov_b64 s[18:19], exec
	v_lshrrev_b32_e32 v3, 20, v3
                                        ; implicit-def: $vgpr4
	s_andn2_saveexec_b64 s[20:21], s[20:21]
	s_cbranch_execnz .LBB23_3094
.LBB23_2869:
	s_or_b64 exec, exec, s[20:21]
	v_mov_b32_e32 v5, 0
	s_and_saveexec_b64 s[20:21], s[18:19]
.LBB23_2870:
	v_mov_b32_e32 v5, v3
.LBB23_2871:
	s_or_b64 exec, exec, s[20:21]
.LBB23_2872:
	s_or_b64 exec, exec, s[16:17]
	global_store_byte v[1:2], v5, off
.LBB23_2873:
	s_mov_b64 s[16:17], -1
.LBB23_2874:
	s_mov_b64 s[18:19], 0
.LBB23_2875:
	s_and_b64 vcc, exec, s[18:19]
	s_cbranch_vccz .LBB23_2915
; %bb.2876:
	s_cmp_gt_i32 s23, 22
	s_mov_b64 s[10:11], -1
	s_cbranch_scc0 .LBB23_2908
; %bb.2877:
	s_cmp_lt_i32 s23, 24
	s_cbranch_scc1 .LBB23_2897
; %bb.2878:
	s_cmp_gt_i32 s23, 24
	s_cbranch_scc0 .LBB23_2886
; %bb.2879:
	v_cndmask_b32_e64 v4, 0, 1.0, s[6:7]
	s_mov_b32 s10, 0x47800000
	v_cmp_gt_u32_e32 vcc, s10, v4
	v_mov_b32_e32 v5, 0x80
	s_and_saveexec_b64 s[10:11], vcc
	s_cbranch_execz .LBB23_2885
; %bb.2880:
	s_mov_b32 s16, 0x37ffffff
	v_cmp_lt_u32_e32 vcc, s16, v4
	s_mov_b64 s[16:17], 0
                                        ; implicit-def: $vgpr3
	s_and_saveexec_b64 s[18:19], vcc
	s_xor_b64 s[18:19], exec, s[18:19]
	s_cbranch_execz .LBB23_3096
; %bb.2881:
	v_bfe_u32 v3, v4, 21, 1
	s_mov_b32 s20, 0x88fffff
	v_add3_u32 v3, v4, v3, s20
	s_mov_b64 s[16:17], exec
	v_lshrrev_b32_e32 v3, 21, v3
                                        ; implicit-def: $vgpr4
	s_andn2_saveexec_b64 s[18:19], s[18:19]
	s_cbranch_execnz .LBB23_3097
.LBB23_2882:
	s_or_b64 exec, exec, s[18:19]
	v_mov_b32_e32 v5, 0
	s_and_saveexec_b64 s[18:19], s[16:17]
.LBB23_2883:
	v_mov_b32_e32 v5, v3
.LBB23_2884:
	s_or_b64 exec, exec, s[18:19]
.LBB23_2885:
	s_or_b64 exec, exec, s[10:11]
	s_mov_b64 s[10:11], 0
	global_store_byte v[1:2], v5, off
.LBB23_2886:
	s_and_b64 vcc, exec, s[10:11]
	s_cbranch_vccz .LBB23_2896
; %bb.2887:
	v_cndmask_b32_e64 v3, 0, 1.0, s[6:7]
	s_mov_b32 s10, 0x43f00000
	v_cmp_gt_u32_e32 vcc, s10, v3
                                        ; implicit-def: $vgpr4
	s_and_saveexec_b64 s[10:11], vcc
	s_xor_b64 s[10:11], exec, s[10:11]
	s_cbranch_execz .LBB23_2893
; %bb.2888:
	s_mov_b32 s16, 0x3c7fffff
	v_cmp_lt_u32_e32 vcc, s16, v3
                                        ; implicit-def: $vgpr4
	s_and_saveexec_b64 s[16:17], vcc
	s_xor_b64 s[16:17], exec, s[16:17]
; %bb.2889:
	v_bfe_u32 v4, v3, 20, 1
	s_mov_b32 s18, 0x407ffff
	v_add3_u32 v3, v3, v4, s18
	v_lshrrev_b32_e32 v4, 20, v3
	v_and_b32_e32 v3, 0xff00000, v3
	s_mov_b32 s18, 0x7f00000
	v_mov_b32_e32 v5, 0x7e
	v_cmp_ne_u32_e32 vcc, s18, v3
	v_cndmask_b32_e32 v4, v5, v4, vcc
                                        ; implicit-def: $vgpr3
; %bb.2890:
	s_andn2_saveexec_b64 s[16:17], s[16:17]
; %bb.2891:
	v_add_f32_e32 v4, 0x46800000, v3
; %bb.2892:
	s_or_b64 exec, exec, s[16:17]
                                        ; implicit-def: $vgpr3
.LBB23_2893:
	s_andn2_saveexec_b64 s[10:11], s[10:11]
; %bb.2894:
	s_mov_b32 s16, 0x7f800000
	v_mov_b32_e32 v4, 0x7e
	v_mov_b32_e32 v5, 0x7f
	v_cmp_lt_u32_e32 vcc, s16, v3
	v_cndmask_b32_e32 v4, v4, v5, vcc
; %bb.2895:
	s_or_b64 exec, exec, s[10:11]
	global_store_byte v[1:2], v4, off
.LBB23_2896:
	s_mov_b64 s[10:11], 0
.LBB23_2897:
	s_andn2_b64 vcc, exec, s[10:11]
	s_cbranch_vccnz .LBB23_2907
; %bb.2898:
	v_cndmask_b32_e64 v3, 0, 1.0, s[6:7]
	s_mov_b32 s10, 0x47800000
	v_cmp_gt_u32_e32 vcc, s10, v3
                                        ; implicit-def: $vgpr4
	s_and_saveexec_b64 s[10:11], vcc
	s_xor_b64 s[10:11], exec, s[10:11]
	s_cbranch_execz .LBB23_2904
; %bb.2899:
	s_mov_b32 s16, 0x387fffff
	v_cmp_lt_u32_e32 vcc, s16, v3
                                        ; implicit-def: $vgpr4
	s_and_saveexec_b64 s[16:17], vcc
	s_xor_b64 s[16:17], exec, s[16:17]
; %bb.2900:
	v_bfe_u32 v4, v3, 21, 1
	s_mov_b32 s18, 0x80fffff
	v_add3_u32 v3, v3, v4, s18
	v_lshrrev_b32_e32 v4, 21, v3
                                        ; implicit-def: $vgpr3
; %bb.2901:
	s_andn2_saveexec_b64 s[16:17], s[16:17]
; %bb.2902:
	v_add_f32_e32 v4, 0x43000000, v3
; %bb.2903:
	s_or_b64 exec, exec, s[16:17]
                                        ; implicit-def: $vgpr3
.LBB23_2904:
	s_andn2_saveexec_b64 s[10:11], s[10:11]
; %bb.2905:
	s_mov_b32 s16, 0x7f800000
	v_mov_b32_e32 v4, 0x7c
	v_mov_b32_e32 v5, 0x7f
	v_cmp_lt_u32_e32 vcc, s16, v3
	v_cndmask_b32_e32 v4, v4, v5, vcc
; %bb.2906:
	s_or_b64 exec, exec, s[10:11]
	global_store_byte v[1:2], v4, off
.LBB23_2907:
	s_mov_b64 s[10:11], 0
	s_mov_b64 s[16:17], -1
.LBB23_2908:
	s_andn2_b64 vcc, exec, s[10:11]
	s_mov_b64 s[10:11], 0
	s_cbranch_vccnz .LBB23_2915
; %bb.2909:
	s_cmp_gt_i32 s23, 14
	s_mov_b64 s[18:19], -1
	s_cbranch_scc0 .LBB23_2913
; %bb.2910:
	s_cmp_eq_u32 s23, 15
	s_mov_b64 s[0:1], -1
	s_cbranch_scc0 .LBB23_2912
; %bb.2911:
	v_cndmask_b32_e64 v3, 0, 1.0, s[6:7]
	v_bfe_u32 v4, v3, 16, 1
	s_movk_i32 s0, 0x7fff
	v_add3_u32 v3, v3, v4, s0
	global_store_short_d16_hi v[1:2], v3, off
	s_mov_b64 s[0:1], 0
	s_mov_b64 s[16:17], -1
.LBB23_2912:
	s_mov_b64 s[18:19], 0
.LBB23_2913:
	s_and_b64 vcc, exec, s[18:19]
	s_cbranch_vccz .LBB23_2915
; %bb.2914:
	s_cmp_lg_u32 s23, 11
	s_mov_b64 s[10:11], -1
	s_cselect_b64 s[0:1], -1, 0
.LBB23_2915:
	s_and_b64 vcc, exec, s[0:1]
	s_cbranch_vccnz .LBB23_3095
; %bb.2916:
	s_andn2_b64 vcc, exec, s[10:11]
	s_cbranch_vccnz .LBB23_2918
.LBB23_2917:
	v_cndmask_b32_e64 v3, 0, 1, s[6:7]
	s_mov_b64 s[16:17], -1
	global_store_byte v[1:2], v3, off
.LBB23_2918:
	s_mov_b64 s[0:1], 0
	s_branch .LBB23_2920
.LBB23_2919:
	s_mov_b64 s[0:1], -1
	s_mov_b64 s[16:17], 0
.LBB23_2920:
	s_and_b64 vcc, exec, s[0:1]
	s_cbranch_vccz .LBB23_2959
; %bb.2921:
	s_cmp_lt_i32 s23, 5
	s_mov_b64 s[0:1], -1
	s_cbranch_scc1 .LBB23_2942
; %bb.2922:
	s_cmp_lt_i32 s23, 8
	s_cbranch_scc1 .LBB23_2932
; %bb.2923:
	s_cmp_lt_i32 s23, 9
	s_cbranch_scc1 .LBB23_2929
; %bb.2924:
	s_cmp_gt_i32 s23, 9
	s_cbranch_scc0 .LBB23_2926
; %bb.2925:
	v_cndmask_b32_e64 v3, 0, 1, s[6:7]
	v_cvt_f64_u32_e32 v[3:4], v3
	v_mov_b32_e32 v5, 0
	v_mov_b32_e32 v6, v5
	s_mov_b64 s[0:1], 0
	global_store_dwordx4 v[1:2], v[3:6], off
.LBB23_2926:
	s_andn2_b64 vcc, exec, s[0:1]
	s_cbranch_vccnz .LBB23_2928
; %bb.2927:
	v_cndmask_b32_e64 v3, 0, 1.0, s[6:7]
	v_mov_b32_e32 v4, 0
	global_store_dwordx2 v[1:2], v[3:4], off
.LBB23_2928:
	s_mov_b64 s[0:1], 0
.LBB23_2929:
	s_andn2_b64 vcc, exec, s[0:1]
	s_cbranch_vccnz .LBB23_2931
; %bb.2930:
	v_cndmask_b32_e64 v3, 0, 1.0, s[6:7]
	v_cvt_f16_f32_e32 v3, v3
	global_store_dword v[1:2], v3, off
.LBB23_2931:
	s_mov_b64 s[0:1], 0
.LBB23_2932:
	s_andn2_b64 vcc, exec, s[0:1]
	s_cbranch_vccnz .LBB23_2941
; %bb.2933:
	s_cmp_lt_i32 s23, 6
	s_mov_b64 s[0:1], -1
	s_cbranch_scc1 .LBB23_2939
; %bb.2934:
	s_cmp_gt_i32 s23, 6
	s_cbranch_scc0 .LBB23_2936
; %bb.2935:
	v_cndmask_b32_e64 v3, 0, 1, s[6:7]
	v_cvt_f64_u32_e32 v[3:4], v3
	s_mov_b64 s[0:1], 0
	global_store_dwordx2 v[1:2], v[3:4], off
.LBB23_2936:
	s_andn2_b64 vcc, exec, s[0:1]
	s_cbranch_vccnz .LBB23_2938
; %bb.2937:
	v_cndmask_b32_e64 v3, 0, 1.0, s[6:7]
	global_store_dword v[1:2], v3, off
.LBB23_2938:
	s_mov_b64 s[0:1], 0
.LBB23_2939:
	s_andn2_b64 vcc, exec, s[0:1]
	s_cbranch_vccnz .LBB23_2941
; %bb.2940:
	v_cndmask_b32_e64 v3, 0, 1.0, s[6:7]
	v_cvt_f16_f32_e32 v3, v3
	global_store_short v[1:2], v3, off
.LBB23_2941:
	s_mov_b64 s[0:1], 0
.LBB23_2942:
	s_andn2_b64 vcc, exec, s[0:1]
	s_cbranch_vccnz .LBB23_2958
; %bb.2943:
	s_cmp_lt_i32 s23, 2
	s_mov_b64 s[0:1], -1
	s_cbranch_scc1 .LBB23_2953
; %bb.2944:
	s_cmp_lt_i32 s23, 3
	s_cbranch_scc1 .LBB23_2950
; %bb.2945:
	s_cmp_gt_i32 s23, 3
	s_cbranch_scc0 .LBB23_2947
; %bb.2946:
	s_mov_b32 s0, 0
	v_cndmask_b32_e64 v3, 0, 1, s[6:7]
	v_mov_b32_e32 v4, s0
	global_store_dwordx2 v[1:2], v[3:4], off
	s_mov_b64 s[0:1], 0
.LBB23_2947:
	s_andn2_b64 vcc, exec, s[0:1]
	s_cbranch_vccnz .LBB23_2949
; %bb.2948:
	v_cndmask_b32_e64 v3, 0, 1, s[6:7]
	global_store_dword v[1:2], v3, off
.LBB23_2949:
	s_mov_b64 s[0:1], 0
.LBB23_2950:
	s_andn2_b64 vcc, exec, s[0:1]
	s_cbranch_vccnz .LBB23_2952
; %bb.2951:
	v_cndmask_b32_e64 v3, 0, 1, s[6:7]
	global_store_short v[1:2], v3, off
.LBB23_2952:
	s_mov_b64 s[0:1], 0
.LBB23_2953:
	s_andn2_b64 vcc, exec, s[0:1]
	s_cbranch_vccnz .LBB23_2958
; %bb.2954:
	s_cmp_gt_i32 s23, 0
	s_mov_b64 s[0:1], -1
	s_cbranch_scc0 .LBB23_2956
; %bb.2955:
	v_cndmask_b32_e64 v3, 0, 1, s[6:7]
	global_store_byte v[1:2], v3, off
	s_mov_b64 s[0:1], 0
.LBB23_2956:
	s_andn2_b64 vcc, exec, s[0:1]
	s_cbranch_vccnz .LBB23_2958
; %bb.2957:
	v_cndmask_b32_e64 v3, 0, 1, s[6:7]
	global_store_byte v[1:2], v3, off
.LBB23_2958:
	s_mov_b64 s[16:17], -1
.LBB23_2959:
	s_andn2_b64 vcc, exec, s[16:17]
	s_cbranch_vccnz .LBB23_3036
; %bb.2960:
	s_waitcnt vmcnt(0)
	v_cmp_ne_u16_sdwa s[0:1], v13, v8 src0_sel:BYTE_0 src1_sel:BYTE_0
	s_xor_b64 s[10:11], s[2:3], s[0:1]
	v_mov_b32_e32 v1, s9
	v_add_co_u32_e32 v0, vcc, s8, v0
	s_cmp_lt_i32 s23, 11
	v_addc_co_u32_e32 v1, vcc, 0, v1, vcc
	s_cbranch_scc1 .LBB23_3081
; %bb.2961:
	s_mov_b64 s[6:7], -1
	s_mov_b64 s[2:3], 0
	s_cmp_gt_i32 s23, 25
	s_mov_b64 s[0:1], 0
	s_cbranch_scc0 .LBB23_2994
; %bb.2962:
	s_cmp_gt_i32 s23, 28
	s_cbranch_scc0 .LBB23_2978
; %bb.2963:
	s_cmp_gt_i32 s23, 43
	;; [unrolled: 3-line block ×3, first 2 shown]
	s_cbranch_scc0 .LBB23_2968
; %bb.2965:
	s_cmp_eq_u32 s23, 46
	s_mov_b64 s[0:1], -1
	s_cbranch_scc0 .LBB23_2967
; %bb.2966:
	v_cndmask_b32_e64 v2, 0, 1.0, s[10:11]
	v_bfe_u32 v3, v2, 16, 1
	s_movk_i32 s0, 0x7fff
	v_add3_u32 v2, v2, v3, s0
	v_lshrrev_b32_e32 v2, 16, v2
	global_store_dword v[0:1], v2, off
	s_mov_b64 s[0:1], 0
.LBB23_2967:
	s_mov_b64 s[6:7], 0
.LBB23_2968:
	s_and_b64 vcc, exec, s[6:7]
	s_cbranch_vccz .LBB23_2973
; %bb.2969:
	s_cmp_eq_u32 s23, 44
	s_mov_b64 s[0:1], -1
	s_cbranch_scc0 .LBB23_2973
; %bb.2970:
	v_cndmask_b32_e64 v3, 0, 1.0, s[10:11]
	v_lshrrev_b32_e32 v2, 23, v3
	s_movk_i32 s0, 0xff
	v_cmp_ne_u32_e32 vcc, s0, v2
	v_mov_b32_e32 v4, 0xff
	s_and_saveexec_b64 s[6:7], vcc
; %bb.2971:
	s_mov_b32 s0, 0x3fffff
	v_and_b32_e32 v4, 0x400000, v3
	v_and_or_b32 v3, v3, s0, v2
	v_cmp_ne_u32_e32 vcc, 0, v4
	v_cmp_ne_u32_e64 s[0:1], 0, v3
	s_and_b64 s[0:1], vcc, s[0:1]
	v_cndmask_b32_e64 v3, 0, 1, s[0:1]
	v_add_u32_e32 v4, v2, v3
; %bb.2972:
	s_or_b64 exec, exec, s[6:7]
	s_mov_b64 s[0:1], 0
	global_store_byte v[0:1], v4, off
.LBB23_2973:
	s_mov_b64 s[6:7], 0
.LBB23_2974:
	s_and_b64 vcc, exec, s[6:7]
	s_cbranch_vccz .LBB23_2977
; %bb.2975:
	s_cmp_eq_u32 s23, 29
	s_mov_b64 s[0:1], -1
	s_cbranch_scc0 .LBB23_2977
; %bb.2976:
	s_mov_b32 s0, 0
	v_cndmask_b32_e64 v2, 0, 1, s[10:11]
	v_mov_b32_e32 v3, s0
	global_store_dwordx2 v[0:1], v[2:3], off
	s_mov_b64 s[0:1], 0
.LBB23_2977:
	s_mov_b64 s[6:7], 0
.LBB23_2978:
	s_and_b64 vcc, exec, s[6:7]
	s_cbranch_vccz .LBB23_2993
; %bb.2979:
	s_cmp_lt_i32 s23, 27
	s_mov_b64 s[6:7], -1
	s_cbranch_scc1 .LBB23_2985
; %bb.2980:
	s_cmp_gt_i32 s23, 27
	v_cndmask_b32_e64 v2, 0, 1, s[10:11]
	s_cbranch_scc0 .LBB23_2982
; %bb.2981:
	global_store_dword v[0:1], v2, off
	s_mov_b64 s[6:7], 0
.LBB23_2982:
	s_andn2_b64 vcc, exec, s[6:7]
	s_cbranch_vccnz .LBB23_2984
; %bb.2983:
	global_store_short v[0:1], v2, off
.LBB23_2984:
	s_mov_b64 s[6:7], 0
.LBB23_2985:
	s_andn2_b64 vcc, exec, s[6:7]
	s_cbranch_vccnz .LBB23_2993
; %bb.2986:
	v_cndmask_b32_e64 v3, 0, 1.0, s[10:11]
	s_mov_b32 s6, 0x43800000
	v_cmp_gt_u32_e32 vcc, s6, v3
	v_mov_b32_e32 v4, 0x80
	s_and_saveexec_b64 s[6:7], vcc
	s_cbranch_execz .LBB23_2992
; %bb.2987:
	s_mov_b32 s8, 0x3bffffff
	v_cmp_lt_u32_e32 vcc, s8, v3
	s_mov_b64 s[8:9], 0
                                        ; implicit-def: $vgpr2
	s_and_saveexec_b64 s[16:17], vcc
	s_xor_b64 s[16:17], exec, s[16:17]
	s_cbranch_execz .LBB23_3098
; %bb.2988:
	v_bfe_u32 v2, v3, 20, 1
	s_mov_b32 s18, 0x487ffff
	v_add3_u32 v2, v3, v2, s18
	s_mov_b64 s[8:9], exec
	v_lshrrev_b32_e32 v2, 20, v2
                                        ; implicit-def: $vgpr3
	s_andn2_saveexec_b64 s[16:17], s[16:17]
	s_cbranch_execnz .LBB23_3099
.LBB23_2989:
	s_or_b64 exec, exec, s[16:17]
	v_mov_b32_e32 v4, 0
	s_and_saveexec_b64 s[16:17], s[8:9]
.LBB23_2990:
	v_mov_b32_e32 v4, v2
.LBB23_2991:
	s_or_b64 exec, exec, s[16:17]
.LBB23_2992:
	s_or_b64 exec, exec, s[6:7]
	global_store_byte v[0:1], v4, off
.LBB23_2993:
	s_mov_b64 s[6:7], 0
.LBB23_2994:
	s_and_b64 vcc, exec, s[6:7]
	s_cbranch_vccz .LBB23_3034
; %bb.2995:
	s_cmp_gt_i32 s23, 22
	s_mov_b64 s[2:3], -1
	s_cbranch_scc0 .LBB23_3027
; %bb.2996:
	s_cmp_lt_i32 s23, 24
	s_cbranch_scc1 .LBB23_3016
; %bb.2997:
	s_cmp_gt_i32 s23, 24
	s_cbranch_scc0 .LBB23_3005
; %bb.2998:
	v_cndmask_b32_e64 v3, 0, 1.0, s[10:11]
	s_mov_b32 s2, 0x47800000
	v_cmp_gt_u32_e32 vcc, s2, v3
	v_mov_b32_e32 v4, 0x80
	s_and_saveexec_b64 s[2:3], vcc
	s_cbranch_execz .LBB23_3004
; %bb.2999:
	s_mov_b32 s6, 0x37ffffff
	v_cmp_lt_u32_e32 vcc, s6, v3
	s_mov_b64 s[6:7], 0
                                        ; implicit-def: $vgpr2
	s_and_saveexec_b64 s[8:9], vcc
	s_xor_b64 s[8:9], exec, s[8:9]
	s_cbranch_execz .LBB23_3101
; %bb.3000:
	v_bfe_u32 v2, v3, 21, 1
	s_mov_b32 s16, 0x88fffff
	v_add3_u32 v2, v3, v2, s16
	s_mov_b64 s[6:7], exec
	v_lshrrev_b32_e32 v2, 21, v2
                                        ; implicit-def: $vgpr3
	s_andn2_saveexec_b64 s[8:9], s[8:9]
	s_cbranch_execnz .LBB23_3102
.LBB23_3001:
	s_or_b64 exec, exec, s[8:9]
	v_mov_b32_e32 v4, 0
	s_and_saveexec_b64 s[8:9], s[6:7]
.LBB23_3002:
	v_mov_b32_e32 v4, v2
.LBB23_3003:
	s_or_b64 exec, exec, s[8:9]
.LBB23_3004:
	s_or_b64 exec, exec, s[2:3]
	s_mov_b64 s[2:3], 0
	global_store_byte v[0:1], v4, off
.LBB23_3005:
	s_and_b64 vcc, exec, s[2:3]
	s_cbranch_vccz .LBB23_3015
; %bb.3006:
	v_cndmask_b32_e64 v2, 0, 1.0, s[10:11]
	s_mov_b32 s2, 0x43f00000
	v_cmp_gt_u32_e32 vcc, s2, v2
                                        ; implicit-def: $vgpr3
	s_and_saveexec_b64 s[2:3], vcc
	s_xor_b64 s[2:3], exec, s[2:3]
	s_cbranch_execz .LBB23_3012
; %bb.3007:
	s_mov_b32 s6, 0x3c7fffff
	v_cmp_lt_u32_e32 vcc, s6, v2
                                        ; implicit-def: $vgpr3
	s_and_saveexec_b64 s[6:7], vcc
	s_xor_b64 s[6:7], exec, s[6:7]
; %bb.3008:
	v_bfe_u32 v3, v2, 20, 1
	s_mov_b32 s8, 0x407ffff
	v_add3_u32 v2, v2, v3, s8
	v_lshrrev_b32_e32 v3, 20, v2
	v_and_b32_e32 v2, 0xff00000, v2
	s_mov_b32 s8, 0x7f00000
	v_mov_b32_e32 v4, 0x7e
	v_cmp_ne_u32_e32 vcc, s8, v2
	v_cndmask_b32_e32 v3, v4, v3, vcc
                                        ; implicit-def: $vgpr2
; %bb.3009:
	s_andn2_saveexec_b64 s[6:7], s[6:7]
; %bb.3010:
	v_add_f32_e32 v3, 0x46800000, v2
; %bb.3011:
	s_or_b64 exec, exec, s[6:7]
                                        ; implicit-def: $vgpr2
.LBB23_3012:
	s_andn2_saveexec_b64 s[2:3], s[2:3]
; %bb.3013:
	s_mov_b32 s6, 0x7f800000
	v_mov_b32_e32 v3, 0x7e
	v_mov_b32_e32 v4, 0x7f
	v_cmp_lt_u32_e32 vcc, s6, v2
	v_cndmask_b32_e32 v3, v3, v4, vcc
; %bb.3014:
	s_or_b64 exec, exec, s[2:3]
	global_store_byte v[0:1], v3, off
.LBB23_3015:
	s_mov_b64 s[2:3], 0
.LBB23_3016:
	s_andn2_b64 vcc, exec, s[2:3]
	s_cbranch_vccnz .LBB23_3026
; %bb.3017:
	v_cndmask_b32_e64 v2, 0, 1.0, s[10:11]
	s_mov_b32 s2, 0x47800000
	v_cmp_gt_u32_e32 vcc, s2, v2
                                        ; implicit-def: $vgpr3
	s_and_saveexec_b64 s[2:3], vcc
	s_xor_b64 s[2:3], exec, s[2:3]
	s_cbranch_execz .LBB23_3023
; %bb.3018:
	s_mov_b32 s6, 0x387fffff
	v_cmp_lt_u32_e32 vcc, s6, v2
                                        ; implicit-def: $vgpr3
	s_and_saveexec_b64 s[6:7], vcc
	s_xor_b64 s[6:7], exec, s[6:7]
; %bb.3019:
	v_bfe_u32 v3, v2, 21, 1
	s_mov_b32 s8, 0x80fffff
	v_add3_u32 v2, v2, v3, s8
	v_lshrrev_b32_e32 v3, 21, v2
                                        ; implicit-def: $vgpr2
; %bb.3020:
	s_andn2_saveexec_b64 s[6:7], s[6:7]
; %bb.3021:
	v_add_f32_e32 v3, 0x43000000, v2
; %bb.3022:
	s_or_b64 exec, exec, s[6:7]
                                        ; implicit-def: $vgpr2
.LBB23_3023:
	s_andn2_saveexec_b64 s[2:3], s[2:3]
; %bb.3024:
	s_mov_b32 s6, 0x7f800000
	v_mov_b32_e32 v3, 0x7c
	v_mov_b32_e32 v4, 0x7f
	v_cmp_lt_u32_e32 vcc, s6, v2
	v_cndmask_b32_e32 v3, v3, v4, vcc
; %bb.3025:
	s_or_b64 exec, exec, s[2:3]
	global_store_byte v[0:1], v3, off
.LBB23_3026:
	s_mov_b64 s[2:3], 0
.LBB23_3027:
	s_andn2_b64 vcc, exec, s[2:3]
	s_mov_b64 s[2:3], 0
	s_cbranch_vccnz .LBB23_3034
; %bb.3028:
	s_cmp_gt_i32 s23, 14
	s_mov_b64 s[6:7], -1
	s_cbranch_scc0 .LBB23_3032
; %bb.3029:
	s_cmp_eq_u32 s23, 15
	s_mov_b64 s[0:1], -1
	s_cbranch_scc0 .LBB23_3031
; %bb.3030:
	v_cndmask_b32_e64 v2, 0, 1.0, s[10:11]
	v_bfe_u32 v3, v2, 16, 1
	s_movk_i32 s0, 0x7fff
	v_add3_u32 v2, v2, v3, s0
	global_store_short_d16_hi v[0:1], v2, off
	s_mov_b64 s[0:1], 0
.LBB23_3031:
	s_mov_b64 s[6:7], 0
.LBB23_3032:
	s_and_b64 vcc, exec, s[6:7]
	s_cbranch_vccz .LBB23_3034
; %bb.3033:
	s_cmp_lg_u32 s23, 11
	s_mov_b64 s[2:3], -1
	s_cselect_b64 s[0:1], -1, 0
.LBB23_3034:
	s_and_b64 vcc, exec, s[0:1]
	s_cbranch_vccnz .LBB23_3100
.LBB23_3035:
	s_mov_b64 s[0:1], 0
	s_branch .LBB23_3037
.LBB23_3036:
	s_mov_b64 s[0:1], 0
	s_mov_b64 s[2:3], 0
                                        ; implicit-def: $sgpr10_sgpr11
                                        ; implicit-def: $vgpr0_vgpr1
                                        ; implicit-def: $sgpr22
.LBB23_3037:
	s_and_b64 s[6:7], s[2:3], exec
	s_andn2_b64 s[2:3], s[12:13], exec
	s_and_b64 s[4:5], s[4:5], exec
	s_and_b64 s[0:1], s[0:1], exec
	s_or_b64 s[12:13], s[2:3], s[4:5]
.LBB23_3038:
	s_or_b64 exec, exec, s[14:15]
	s_and_saveexec_b64 s[2:3], s[12:13]
	s_cbranch_execz .LBB23_3041
; %bb.3039:
	; divergent unreachable
	s_or_b64 exec, exec, s[2:3]
	s_and_saveexec_b64 s[2:3], s[6:7]
	s_xor_b64 s[2:3], exec, s[2:3]
	s_cbranch_execnz .LBB23_3042
.LBB23_3040:
	s_or_b64 exec, exec, s[2:3]
	s_and_saveexec_b64 s[2:3], s[0:1]
	s_cbranch_execnz .LBB23_3043
	s_branch .LBB23_3080
.LBB23_3041:
	s_or_b64 exec, exec, s[2:3]
	s_and_saveexec_b64 s[2:3], s[6:7]
	s_xor_b64 s[2:3], exec, s[2:3]
	s_cbranch_execz .LBB23_3040
.LBB23_3042:
	s_waitcnt vmcnt(0)
	v_cndmask_b32_e64 v2, 0, 1, s[10:11]
	global_store_byte v[0:1], v2, off
	s_or_b64 exec, exec, s[2:3]
	s_and_saveexec_b64 s[2:3], s[0:1]
	s_cbranch_execz .LBB23_3080
.LBB23_3043:
	s_sext_i32_i16 s2, s22
	s_cmp_lt_i32 s2, 5
	s_mov_b64 s[0:1], -1
	s_cbranch_scc1 .LBB23_3064
; %bb.3044:
	s_cmp_lt_i32 s2, 8
	s_cbranch_scc1 .LBB23_3054
; %bb.3045:
	s_cmp_lt_i32 s2, 9
	s_cbranch_scc1 .LBB23_3051
; %bb.3046:
	s_cmp_gt_i32 s2, 9
	s_cbranch_scc0 .LBB23_3048
; %bb.3047:
	s_waitcnt vmcnt(0)
	v_cndmask_b32_e64 v2, 0, 1, s[10:11]
	v_cvt_f64_u32_e32 v[2:3], v2
	v_mov_b32_e32 v4, 0
	v_mov_b32_e32 v5, v4
	s_mov_b64 s[0:1], 0
	global_store_dwordx4 v[0:1], v[2:5], off
.LBB23_3048:
	s_andn2_b64 vcc, exec, s[0:1]
	s_cbranch_vccnz .LBB23_3050
; %bb.3049:
	s_waitcnt vmcnt(0)
	v_cndmask_b32_e64 v2, 0, 1.0, s[10:11]
	v_mov_b32_e32 v3, 0
	global_store_dwordx2 v[0:1], v[2:3], off
.LBB23_3050:
	s_mov_b64 s[0:1], 0
.LBB23_3051:
	s_andn2_b64 vcc, exec, s[0:1]
	s_cbranch_vccnz .LBB23_3053
; %bb.3052:
	s_waitcnt vmcnt(0)
	v_cndmask_b32_e64 v2, 0, 1.0, s[10:11]
	v_cvt_f16_f32_e32 v2, v2
	global_store_dword v[0:1], v2, off
.LBB23_3053:
	s_mov_b64 s[0:1], 0
.LBB23_3054:
	s_andn2_b64 vcc, exec, s[0:1]
	s_cbranch_vccnz .LBB23_3063
; %bb.3055:
	s_sext_i32_i16 s2, s22
	s_cmp_lt_i32 s2, 6
	s_mov_b64 s[0:1], -1
	s_cbranch_scc1 .LBB23_3061
; %bb.3056:
	s_cmp_gt_i32 s2, 6
	s_cbranch_scc0 .LBB23_3058
; %bb.3057:
	s_waitcnt vmcnt(0)
	v_cndmask_b32_e64 v2, 0, 1, s[10:11]
	v_cvt_f64_u32_e32 v[2:3], v2
	s_mov_b64 s[0:1], 0
	global_store_dwordx2 v[0:1], v[2:3], off
.LBB23_3058:
	s_andn2_b64 vcc, exec, s[0:1]
	s_cbranch_vccnz .LBB23_3060
; %bb.3059:
	s_waitcnt vmcnt(0)
	v_cndmask_b32_e64 v2, 0, 1.0, s[10:11]
	global_store_dword v[0:1], v2, off
.LBB23_3060:
	s_mov_b64 s[0:1], 0
.LBB23_3061:
	s_andn2_b64 vcc, exec, s[0:1]
	s_cbranch_vccnz .LBB23_3063
; %bb.3062:
	s_waitcnt vmcnt(0)
	v_cndmask_b32_e64 v2, 0, 1.0, s[10:11]
	v_cvt_f16_f32_e32 v2, v2
	global_store_short v[0:1], v2, off
.LBB23_3063:
	s_mov_b64 s[0:1], 0
.LBB23_3064:
	s_andn2_b64 vcc, exec, s[0:1]
	s_cbranch_vccnz .LBB23_3080
; %bb.3065:
	s_sext_i32_i16 s2, s22
	s_cmp_lt_i32 s2, 2
	s_mov_b64 s[0:1], -1
	s_cbranch_scc1 .LBB23_3075
; %bb.3066:
	s_cmp_lt_i32 s2, 3
	s_cbranch_scc1 .LBB23_3072
; %bb.3067:
	s_cmp_gt_i32 s2, 3
	s_cbranch_scc0 .LBB23_3069
; %bb.3068:
	s_mov_b32 s0, 0
	s_waitcnt vmcnt(0)
	v_cndmask_b32_e64 v2, 0, 1, s[10:11]
	v_mov_b32_e32 v3, s0
	global_store_dwordx2 v[0:1], v[2:3], off
	s_mov_b64 s[0:1], 0
.LBB23_3069:
	s_andn2_b64 vcc, exec, s[0:1]
	s_cbranch_vccnz .LBB23_3071
; %bb.3070:
	s_waitcnt vmcnt(0)
	v_cndmask_b32_e64 v2, 0, 1, s[10:11]
	global_store_dword v[0:1], v2, off
.LBB23_3071:
	s_mov_b64 s[0:1], 0
.LBB23_3072:
	s_andn2_b64 vcc, exec, s[0:1]
	s_cbranch_vccnz .LBB23_3074
; %bb.3073:
	s_waitcnt vmcnt(0)
	v_cndmask_b32_e64 v2, 0, 1, s[10:11]
	global_store_short v[0:1], v2, off
.LBB23_3074:
	s_mov_b64 s[0:1], 0
.LBB23_3075:
	s_andn2_b64 vcc, exec, s[0:1]
	s_cbranch_vccnz .LBB23_3080
; %bb.3076:
	s_sext_i32_i16 s0, s22
	s_cmp_gt_i32 s0, 0
	s_mov_b64 s[0:1], -1
	s_cbranch_scc0 .LBB23_3078
; %bb.3077:
	s_waitcnt vmcnt(0)
	v_cndmask_b32_e64 v2, 0, 1, s[10:11]
	global_store_byte v[0:1], v2, off
	s_mov_b64 s[0:1], 0
.LBB23_3078:
	s_andn2_b64 vcc, exec, s[0:1]
	s_cbranch_vccnz .LBB23_3080
; %bb.3079:
	s_waitcnt vmcnt(0)
	v_cndmask_b32_e64 v2, 0, 1, s[10:11]
	global_store_byte v[0:1], v2, off
	s_endpgm
.LBB23_3080:
	s_endpgm
.LBB23_3081:
	s_mov_b64 s[2:3], 0
	s_mov_b64 s[0:1], -1
	s_branch .LBB23_3037
.LBB23_3082:
	s_trap 2
	s_or_b64 s[4:5], s[4:5], exec
	s_cbranch_execz .LBB23_2551
	s_branch .LBB23_2552
.LBB23_3083:
	s_andn2_saveexec_b64 s[20:21], s[20:21]
	s_cbranch_execz .LBB23_2631
.LBB23_3084:
	v_add_f32_e32 v1, 0x46000000, v3
	v_and_b32_e32 v1, 0xff, v1
	v_cmp_ne_u32_e32 vcc, 0, v1
	s_andn2_b64 s[18:19], s[18:19], exec
	s_and_b64 s[24:25], vcc, exec
	s_or_b64 s[18:19], s[18:19], s[24:25]
	s_or_b64 exec, exec, s[20:21]
	v_mov_b32_e32 v7, 0
	s_and_saveexec_b64 s[20:21], s[18:19]
	s_cbranch_execnz .LBB23_2632
	s_branch .LBB23_2633
.LBB23_3085:
	s_trap 2
	s_or_b64 s[4:5], s[4:5], exec
	s_cbranch_execz .LBB23_2679
	s_branch .LBB23_2680
.LBB23_3086:
	s_andn2_saveexec_b64 s[18:19], s[18:19]
	s_cbranch_execz .LBB23_2644
.LBB23_3087:
	v_add_f32_e32 v1, 0x42800000, v3
	v_and_b32_e32 v1, 0xff, v1
	v_cmp_ne_u32_e32 vcc, 0, v1
	s_andn2_b64 s[16:17], s[16:17], exec
	s_and_b64 s[20:21], vcc, exec
	s_or_b64 s[16:17], s[16:17], s[20:21]
	s_or_b64 exec, exec, s[18:19]
	v_mov_b32_e32 v7, 0
	s_and_saveexec_b64 s[18:19], s[16:17]
	s_cbranch_execnz .LBB23_2645
	s_branch .LBB23_2646
.LBB23_3088:
	s_andn2_saveexec_b64 s[20:21], s[20:21]
	s_cbranch_execz .LBB23_2750
.LBB23_3089:
	v_add_f32_e32 v1, 0x46000000, v5
	v_and_b32_e32 v1, 0xff, v1
	v_cmp_ne_u32_e32 vcc, 0, v1
	s_andn2_b64 s[18:19], s[18:19], exec
	s_and_b64 s[24:25], vcc, exec
	s_or_b64 s[18:19], s[18:19], s[24:25]
	s_or_b64 exec, exec, s[20:21]
	v_mov_b32_e32 v6, 0
	s_and_saveexec_b64 s[20:21], s[18:19]
	s_cbranch_execnz .LBB23_2751
	s_branch .LBB23_2752
.LBB23_3090:
	s_trap 2
	s_or_b64 s[4:5], s[4:5], exec
	s_cbranch_execz .LBB23_2798
	s_branch .LBB23_2799
.LBB23_3091:
	s_andn2_saveexec_b64 s[18:19], s[18:19]
	s_cbranch_execz .LBB23_2763
.LBB23_3092:
	v_add_f32_e32 v1, 0x42800000, v5
	v_and_b32_e32 v1, 0xff, v1
	v_cmp_ne_u32_e32 vcc, 0, v1
	s_andn2_b64 s[16:17], s[16:17], exec
	s_and_b64 s[20:21], vcc, exec
	s_or_b64 s[16:17], s[16:17], s[20:21]
	s_or_b64 exec, exec, s[18:19]
	v_mov_b32_e32 v6, 0
	s_and_saveexec_b64 s[18:19], s[16:17]
	s_cbranch_execnz .LBB23_2764
	s_branch .LBB23_2765
.LBB23_3093:
	s_andn2_saveexec_b64 s[20:21], s[20:21]
	s_cbranch_execz .LBB23_2869
.LBB23_3094:
	v_add_f32_e32 v3, 0x46000000, v4
	v_and_b32_e32 v3, 0xff, v3
	v_cmp_ne_u32_e32 vcc, 0, v3
	s_andn2_b64 s[18:19], s[18:19], exec
	s_and_b64 s[24:25], vcc, exec
	s_or_b64 s[18:19], s[18:19], s[24:25]
	s_or_b64 exec, exec, s[20:21]
	v_mov_b32_e32 v5, 0
	s_and_saveexec_b64 s[20:21], s[18:19]
	s_cbranch_execnz .LBB23_2870
	s_branch .LBB23_2871
.LBB23_3095:
	s_trap 2
	s_or_b64 s[4:5], s[4:5], exec
	s_cbranch_execz .LBB23_2917
	s_branch .LBB23_2918
.LBB23_3096:
	s_andn2_saveexec_b64 s[18:19], s[18:19]
	s_cbranch_execz .LBB23_2882
.LBB23_3097:
	v_add_f32_e32 v3, 0x42800000, v4
	v_and_b32_e32 v3, 0xff, v3
	v_cmp_ne_u32_e32 vcc, 0, v3
	s_andn2_b64 s[16:17], s[16:17], exec
	s_and_b64 s[20:21], vcc, exec
	s_or_b64 s[16:17], s[16:17], s[20:21]
	s_or_b64 exec, exec, s[18:19]
	v_mov_b32_e32 v5, 0
	s_and_saveexec_b64 s[18:19], s[16:17]
	s_cbranch_execnz .LBB23_2883
	s_branch .LBB23_2884
.LBB23_3098:
	s_andn2_saveexec_b64 s[16:17], s[16:17]
	s_cbranch_execz .LBB23_2989
.LBB23_3099:
	v_add_f32_e32 v2, 0x46000000, v3
	v_and_b32_e32 v2, 0xff, v2
	v_cmp_ne_u32_e32 vcc, 0, v2
	s_andn2_b64 s[8:9], s[8:9], exec
	s_and_b64 s[18:19], vcc, exec
	s_or_b64 s[8:9], s[8:9], s[18:19]
	s_or_b64 exec, exec, s[16:17]
	v_mov_b32_e32 v4, 0
	s_and_saveexec_b64 s[16:17], s[8:9]
	s_cbranch_execnz .LBB23_2990
	s_branch .LBB23_2991
.LBB23_3100:
	s_mov_b64 s[2:3], 0
	s_or_b64 s[4:5], s[4:5], exec
	s_trap 2
	s_branch .LBB23_3035
.LBB23_3101:
	s_andn2_saveexec_b64 s[8:9], s[8:9]
	s_cbranch_execz .LBB23_3001
.LBB23_3102:
	v_add_f32_e32 v2, 0x42800000, v3
	v_and_b32_e32 v2, 0xff, v2
	v_cmp_ne_u32_e32 vcc, 0, v2
	s_andn2_b64 s[6:7], s[6:7], exec
	s_and_b64 s[16:17], vcc, exec
	s_or_b64 s[6:7], s[6:7], s[16:17]
	s_or_b64 exec, exec, s[8:9]
	v_mov_b32_e32 v4, 0
	s_and_saveexec_b64 s[8:9], s[6:7]
	s_cbranch_execnz .LBB23_3002
	s_branch .LBB23_3003
	.section	.rodata,"a",@progbits
	.p2align	6, 0x0
	.amdhsa_kernel _ZN2at6native32elementwise_kernel_manual_unrollILi128ELi4EZNS0_15gpu_kernel_implINS0_13BinaryFunctorIaabNS0_12_GLOBAL__N_116CompareEqFunctorIaEEEEEEvRNS_18TensorIteratorBaseERKT_EUlibE0_EEviT1_
		.amdhsa_group_segment_fixed_size 0
		.amdhsa_private_segment_fixed_size 0
		.amdhsa_kernarg_size 432
		.amdhsa_user_sgpr_count 6
		.amdhsa_user_sgpr_private_segment_buffer 1
		.amdhsa_user_sgpr_dispatch_ptr 0
		.amdhsa_user_sgpr_queue_ptr 0
		.amdhsa_user_sgpr_kernarg_segment_ptr 1
		.amdhsa_user_sgpr_dispatch_id 0
		.amdhsa_user_sgpr_flat_scratch_init 0
		.amdhsa_user_sgpr_private_segment_size 0
		.amdhsa_uses_dynamic_stack 0
		.amdhsa_system_sgpr_private_segment_wavefront_offset 0
		.amdhsa_system_sgpr_workgroup_id_x 1
		.amdhsa_system_sgpr_workgroup_id_y 0
		.amdhsa_system_sgpr_workgroup_id_z 0
		.amdhsa_system_sgpr_workgroup_info 0
		.amdhsa_system_vgpr_workitem_id 0
		.amdhsa_next_free_vgpr 23
		.amdhsa_next_free_sgpr 80
		.amdhsa_reserve_vcc 1
		.amdhsa_reserve_flat_scratch 0
		.amdhsa_float_round_mode_32 0
		.amdhsa_float_round_mode_16_64 0
		.amdhsa_float_denorm_mode_32 3
		.amdhsa_float_denorm_mode_16_64 3
		.amdhsa_dx10_clamp 1
		.amdhsa_ieee_mode 1
		.amdhsa_fp16_overflow 0
		.amdhsa_exception_fp_ieee_invalid_op 0
		.amdhsa_exception_fp_denorm_src 0
		.amdhsa_exception_fp_ieee_div_zero 0
		.amdhsa_exception_fp_ieee_overflow 0
		.amdhsa_exception_fp_ieee_underflow 0
		.amdhsa_exception_fp_ieee_inexact 0
		.amdhsa_exception_int_div_zero 0
	.end_amdhsa_kernel
	.section	.text._ZN2at6native32elementwise_kernel_manual_unrollILi128ELi4EZNS0_15gpu_kernel_implINS0_13BinaryFunctorIaabNS0_12_GLOBAL__N_116CompareEqFunctorIaEEEEEEvRNS_18TensorIteratorBaseERKT_EUlibE0_EEviT1_,"axG",@progbits,_ZN2at6native32elementwise_kernel_manual_unrollILi128ELi4EZNS0_15gpu_kernel_implINS0_13BinaryFunctorIaabNS0_12_GLOBAL__N_116CompareEqFunctorIaEEEEEEvRNS_18TensorIteratorBaseERKT_EUlibE0_EEviT1_,comdat
.Lfunc_end23:
	.size	_ZN2at6native32elementwise_kernel_manual_unrollILi128ELi4EZNS0_15gpu_kernel_implINS0_13BinaryFunctorIaabNS0_12_GLOBAL__N_116CompareEqFunctorIaEEEEEEvRNS_18TensorIteratorBaseERKT_EUlibE0_EEviT1_, .Lfunc_end23-_ZN2at6native32elementwise_kernel_manual_unrollILi128ELi4EZNS0_15gpu_kernel_implINS0_13BinaryFunctorIaabNS0_12_GLOBAL__N_116CompareEqFunctorIaEEEEEEvRNS_18TensorIteratorBaseERKT_EUlibE0_EEviT1_
                                        ; -- End function
	.set _ZN2at6native32elementwise_kernel_manual_unrollILi128ELi4EZNS0_15gpu_kernel_implINS0_13BinaryFunctorIaabNS0_12_GLOBAL__N_116CompareEqFunctorIaEEEEEEvRNS_18TensorIteratorBaseERKT_EUlibE0_EEviT1_.num_vgpr, 23
	.set _ZN2at6native32elementwise_kernel_manual_unrollILi128ELi4EZNS0_15gpu_kernel_implINS0_13BinaryFunctorIaabNS0_12_GLOBAL__N_116CompareEqFunctorIaEEEEEEvRNS_18TensorIteratorBaseERKT_EUlibE0_EEviT1_.num_agpr, 0
	.set _ZN2at6native32elementwise_kernel_manual_unrollILi128ELi4EZNS0_15gpu_kernel_implINS0_13BinaryFunctorIaabNS0_12_GLOBAL__N_116CompareEqFunctorIaEEEEEEvRNS_18TensorIteratorBaseERKT_EUlibE0_EEviT1_.numbered_sgpr, 80
	.set _ZN2at6native32elementwise_kernel_manual_unrollILi128ELi4EZNS0_15gpu_kernel_implINS0_13BinaryFunctorIaabNS0_12_GLOBAL__N_116CompareEqFunctorIaEEEEEEvRNS_18TensorIteratorBaseERKT_EUlibE0_EEviT1_.num_named_barrier, 0
	.set _ZN2at6native32elementwise_kernel_manual_unrollILi128ELi4EZNS0_15gpu_kernel_implINS0_13BinaryFunctorIaabNS0_12_GLOBAL__N_116CompareEqFunctorIaEEEEEEvRNS_18TensorIteratorBaseERKT_EUlibE0_EEviT1_.private_seg_size, 0
	.set _ZN2at6native32elementwise_kernel_manual_unrollILi128ELi4EZNS0_15gpu_kernel_implINS0_13BinaryFunctorIaabNS0_12_GLOBAL__N_116CompareEqFunctorIaEEEEEEvRNS_18TensorIteratorBaseERKT_EUlibE0_EEviT1_.uses_vcc, 1
	.set _ZN2at6native32elementwise_kernel_manual_unrollILi128ELi4EZNS0_15gpu_kernel_implINS0_13BinaryFunctorIaabNS0_12_GLOBAL__N_116CompareEqFunctorIaEEEEEEvRNS_18TensorIteratorBaseERKT_EUlibE0_EEviT1_.uses_flat_scratch, 0
	.set _ZN2at6native32elementwise_kernel_manual_unrollILi128ELi4EZNS0_15gpu_kernel_implINS0_13BinaryFunctorIaabNS0_12_GLOBAL__N_116CompareEqFunctorIaEEEEEEvRNS_18TensorIteratorBaseERKT_EUlibE0_EEviT1_.has_dyn_sized_stack, 0
	.set _ZN2at6native32elementwise_kernel_manual_unrollILi128ELi4EZNS0_15gpu_kernel_implINS0_13BinaryFunctorIaabNS0_12_GLOBAL__N_116CompareEqFunctorIaEEEEEEvRNS_18TensorIteratorBaseERKT_EUlibE0_EEviT1_.has_recursion, 0
	.set _ZN2at6native32elementwise_kernel_manual_unrollILi128ELi4EZNS0_15gpu_kernel_implINS0_13BinaryFunctorIaabNS0_12_GLOBAL__N_116CompareEqFunctorIaEEEEEEvRNS_18TensorIteratorBaseERKT_EUlibE0_EEviT1_.has_indirect_call, 0
	.section	.AMDGPU.csdata,"",@progbits
; Kernel info:
; codeLenInByte = 47620
; TotalNumSgprs: 84
; NumVgprs: 23
; ScratchSize: 0
; MemoryBound: 1
; FloatMode: 240
; IeeeMode: 1
; LDSByteSize: 0 bytes/workgroup (compile time only)
; SGPRBlocks: 10
; VGPRBlocks: 5
; NumSGPRsForWavesPerEU: 84
; NumVGPRsForWavesPerEU: 23
; Occupancy: 9
; WaveLimiterHint : 1
; COMPUTE_PGM_RSRC2:SCRATCH_EN: 0
; COMPUTE_PGM_RSRC2:USER_SGPR: 6
; COMPUTE_PGM_RSRC2:TRAP_HANDLER: 0
; COMPUTE_PGM_RSRC2:TGID_X_EN: 1
; COMPUTE_PGM_RSRC2:TGID_Y_EN: 0
; COMPUTE_PGM_RSRC2:TGID_Z_EN: 0
; COMPUTE_PGM_RSRC2:TIDIG_COMP_CNT: 0
	.section	.text._ZN2at6native29vectorized_elementwise_kernelILi16ENS0_13AUnaryFunctorIaabNS0_12_GLOBAL__N_116CompareEqFunctorIaEEEESt5arrayIPcLm2EEEEviT0_T1_,"axG",@progbits,_ZN2at6native29vectorized_elementwise_kernelILi16ENS0_13AUnaryFunctorIaabNS0_12_GLOBAL__N_116CompareEqFunctorIaEEEESt5arrayIPcLm2EEEEviT0_T1_,comdat
	.globl	_ZN2at6native29vectorized_elementwise_kernelILi16ENS0_13AUnaryFunctorIaabNS0_12_GLOBAL__N_116CompareEqFunctorIaEEEESt5arrayIPcLm2EEEEviT0_T1_ ; -- Begin function _ZN2at6native29vectorized_elementwise_kernelILi16ENS0_13AUnaryFunctorIaabNS0_12_GLOBAL__N_116CompareEqFunctorIaEEEESt5arrayIPcLm2EEEEviT0_T1_
	.p2align	8
	.type	_ZN2at6native29vectorized_elementwise_kernelILi16ENS0_13AUnaryFunctorIaabNS0_12_GLOBAL__N_116CompareEqFunctorIaEEEESt5arrayIPcLm2EEEEviT0_T1_,@function
_ZN2at6native29vectorized_elementwise_kernelILi16ENS0_13AUnaryFunctorIaabNS0_12_GLOBAL__N_116CompareEqFunctorIaEEEESt5arrayIPcLm2EEEEviT0_T1_: ; @_ZN2at6native29vectorized_elementwise_kernelILi16ENS0_13AUnaryFunctorIaabNS0_12_GLOBAL__N_116CompareEqFunctorIaEEEESt5arrayIPcLm2EEEEviT0_T1_
; %bb.0:
	s_load_dwordx8 s[8:15], s[4:5], 0x0
	s_waitcnt lgkmcnt(0)
	s_lshl_b32 s11, s6, 12
	s_mov_b64 s[0:1], -1
	s_sub_i32 s8, s8, s11
	s_cmpk_gt_i32 s8, 0xfff
	s_cbranch_scc0 .LBB24_2
; %bb.1:
	s_ashr_i32 s30, s11, 31
	s_add_u32 s0, s14, s11
	s_addc_u32 s1, s15, s30
	v_lshlrev_b32_e32 v5, 4, v0
	global_load_dwordx4 v[1:4], v5, s[0:1]
	s_cmp_eq_u32 s9, 0
	s_movk_i32 s0, 0xff
	s_cselect_b64 s[6:7], -1, 0
	s_and_b32 s31, s10, 0xff
	s_waitcnt vmcnt(0)
	v_and_b32_sdwa v7, v1, s0 dst_sel:DWORD dst_unused:UNUSED_PAD src0_sel:WORD_1 src1_sel:DWORD
	v_and_b32_sdwa v9, v2, s0 dst_sel:DWORD dst_unused:UNUSED_PAD src0_sel:WORD_1 src1_sel:DWORD
	v_and_b32_sdwa v11, v3, s0 dst_sel:DWORD dst_unused:UNUSED_PAD src0_sel:WORD_1 src1_sel:DWORD
	v_and_b32_sdwa v13, v4, s0 dst_sel:DWORD dst_unused:UNUSED_PAD src0_sel:WORD_1 src1_sel:DWORD
	v_cmp_ne_u16_sdwa s[0:1], v1, s31 src0_sel:BYTE_0 src1_sel:DWORD
	v_cmp_ne_u16_sdwa s[2:3], v1, s31 src0_sel:BYTE_3 src1_sel:DWORD
	s_xor_b64 s[0:1], s[6:7], s[0:1]
	v_lshrrev_b32_e32 v6, 8, v1
	v_cmp_ne_u16_sdwa s[4:5], v2, s31 src0_sel:BYTE_0 src1_sel:DWORD
	v_cndmask_b32_e64 v1, 0, 1, s[0:1]
	s_xor_b64 s[0:1], s[6:7], s[2:3]
	v_lshrrev_b32_e32 v8, 8, v2
	v_cmp_ne_u16_sdwa s[16:17], v2, s31 src0_sel:BYTE_3 src1_sel:DWORD
	v_cmp_ne_u16_sdwa s[20:21], v3, s31 src0_sel:BYTE_3 src1_sel:DWORD
	v_cndmask_b32_e64 v2, 0, 1, s[0:1]
	s_xor_b64 s[0:1], s[6:7], s[4:5]
	v_lshrrev_b32_e32 v10, 8, v3
	v_cmp_ne_u16_sdwa s[18:19], v3, s31 src0_sel:BYTE_0 src1_sel:DWORD
	v_cmp_ne_u16_sdwa s[22:23], v4, s31 src0_sel:BYTE_0 src1_sel:DWORD
	v_cmp_ne_u16_sdwa s[24:25], v4, s31 src0_sel:BYTE_3 src1_sel:DWORD
	v_cndmask_b32_e64 v3, 0, 1, s[0:1]
	v_cmp_ne_u16_e64 s[0:1], s31, v9
	s_xor_b64 s[2:3], s[6:7], s[16:17]
	s_xor_b64 s[4:5], s[6:7], s[20:21]
	v_lshrrev_b32_e32 v12, 8, v4
	v_cmp_ne_u16_sdwa s[26:27], v6, s31 src0_sel:BYTE_0 src1_sel:DWORD
	v_cmp_ne_u16_e32 vcc, s31, v7
	v_cndmask_b32_e64 v4, 0, 1, s[2:3]
	s_xor_b64 s[2:3], s[6:7], s[18:19]
	v_cmp_ne_u16_sdwa s[16:17], v10, s31 src0_sel:BYTE_0 src1_sel:DWORD
	v_cndmask_b32_e64 v7, 0, 1, s[4:5]
	s_xor_b64 s[4:5], s[6:7], s[22:23]
	s_xor_b64 s[20:21], s[6:7], s[24:25]
	;; [unrolled: 1-line block ×3, first 2 shown]
	v_cmp_ne_u16_sdwa s[28:29], v8, s31 src0_sel:BYTE_0 src1_sel:DWORD
	v_cndmask_b32_e64 v6, 0, 1, s[2:3]
	v_cmp_ne_u16_e64 s[2:3], s31, v11
	v_cndmask_b32_e64 v8, 0, 1, s[4:5]
	v_cmp_ne_u16_e64 s[4:5], s31, v13
	v_cndmask_b32_e64 v9, 0, 1, s[20:21]
	s_xor_b64 s[20:21], s[6:7], s[26:27]
	v_cndmask_b32_e64 v13, 0, 1, s[0:1]
	s_xor_b64 s[0:1], s[6:7], s[16:17]
	v_cmp_ne_u16_sdwa s[18:19], v12, s31 src0_sel:BYTE_0 src1_sel:DWORD
	v_cndmask_b32_e64 v10, 0, 1, s[20:21]
	s_xor_b64 s[20:21], s[6:7], vcc
	v_cndmask_b32_e64 v14, 0, 1, s[0:1]
	s_xor_b64 s[0:1], s[6:7], s[2:3]
	v_cndmask_b32_e64 v11, 0, 1, s[20:21]
	s_xor_b64 s[20:21], s[6:7], s[28:29]
	;; [unrolled: 2-line block ×3, first 2 shown]
	v_cndmask_b32_e64 v12, 0, 1, s[20:21]
	v_cndmask_b32_e64 v16, 0, 1, s[0:1]
	s_xor_b64 s[0:1], s[6:7], s[4:5]
	v_lshlrev_b16_e32 v4, 8, v4
	v_cndmask_b32_e64 v17, 0, 1, s[0:1]
	v_lshlrev_b16_e32 v9, 8, v9
	v_lshlrev_b16_e32 v7, 8, v7
	;; [unrolled: 1-line block ×6, first 2 shown]
	v_or_b32_sdwa v13, v13, v4 dst_sel:WORD_1 dst_unused:UNUSED_PAD src0_sel:DWORD src1_sel:DWORD
	v_lshlrev_b16_e32 v4, 8, v10
	s_add_u32 s0, s12, s11
	v_or_b32_sdwa v9, v17, v9 dst_sel:WORD_1 dst_unused:UNUSED_PAD src0_sel:DWORD src1_sel:DWORD
	v_or_b32_sdwa v7, v15, v7 dst_sel:WORD_1 dst_unused:UNUSED_PAD src0_sel:DWORD src1_sel:DWORD
	;; [unrolled: 1-line block ×3, first 2 shown]
	v_or_b32_e32 v2, v8, v16
	v_or_b32_e32 v6, v6, v14
	;; [unrolled: 1-line block ×4, first 2 shown]
	s_addc_u32 s1, s13, s30
	v_or_b32_sdwa v4, v2, v9 dst_sel:DWORD dst_unused:UNUSED_PAD src0_sel:WORD_0 src1_sel:DWORD
	v_or_b32_sdwa v3, v6, v7 dst_sel:DWORD dst_unused:UNUSED_PAD src0_sel:WORD_0 src1_sel:DWORD
	;; [unrolled: 1-line block ×4, first 2 shown]
	global_store_dwordx4 v5, v[1:4], s[0:1]
	s_mov_b64 s[0:1], 0
.LBB24_2:
	s_andn2_b64 vcc, exec, s[0:1]
	s_cbranch_vccnz .LBB24_52
; %bb.3:
	v_cmp_gt_i32_e32 vcc, s8, v0
	v_or_b32_e32 v3, 0x100, v0
	v_mov_b32_e32 v20, 0
	v_or_b32_e32 v4, s11, v0
	v_mov_b32_e32 v19, 0
	v_mov_b32_e32 v18, 0
	;; [unrolled: 1-line block ×15, first 2 shown]
	s_and_saveexec_b64 s[2:3], vcc
	s_cbranch_execz .LBB24_35
; %bb.4:
	global_load_ubyte v11, v4, s[14:15]
	v_cmp_gt_u32_e64 s[0:1], s8, v3
	v_mov_b32_e32 v12, 0
	v_mov_b32_e32 v13, 0
	;; [unrolled: 1-line block ×15, first 2 shown]
	s_and_saveexec_b64 s[4:5], s[0:1]
	s_cbranch_execz .LBB24_34
; %bb.5:
	v_add_u32_e32 v1, s11, v0
	global_load_ubyte v12, v1, s[14:15] offset:256
	v_or_b32_e32 v2, 0x200, v0
	v_mov_b32_e32 v13, 0
	v_cmp_gt_u32_e64 s[0:1], s8, v2
	v_mov_b32_e32 v9, 0
	v_mov_b32_e32 v7, 0
	;; [unrolled: 1-line block ×13, first 2 shown]
	s_and_saveexec_b64 s[6:7], s[0:1]
	s_cbranch_execz .LBB24_33
; %bb.6:
	v_mov_b32_e32 v2, s15
	v_add_co_u32_e64 v1, s[0:1], s14, v1
	v_addc_co_u32_e64 v2, s[0:1], 0, v2, s[0:1]
	global_load_ubyte v13, v[1:2], off offset:512
	v_or_b32_e32 v5, 0x300, v0
	v_cmp_gt_u32_e64 s[0:1], s8, v5
	v_mov_b32_e32 v9, 0
	v_mov_b32_e32 v7, 0
	;; [unrolled: 1-line block ×13, first 2 shown]
	s_and_saveexec_b64 s[14:15], s[0:1]
	s_cbranch_execz .LBB24_32
; %bb.7:
	global_load_ubyte v9, v[1:2], off offset:768
	v_or_b32_e32 v5, 0x400, v0
	v_cmp_gt_u32_e64 s[0:1], s8, v5
	v_mov_b32_e32 v7, 0
	v_mov_b32_e32 v5, 0
	;; [unrolled: 1-line block ×12, first 2 shown]
	s_and_saveexec_b64 s[16:17], s[0:1]
	s_cbranch_execz .LBB24_31
; %bb.8:
	global_load_ubyte v7, v[1:2], off offset:1024
	v_or_b32_e32 v5, 0x500, v0
	v_cmp_gt_u32_e64 s[0:1], s8, v5
	v_mov_b32_e32 v5, 0
	v_mov_b32_e32 v8, 0
	;; [unrolled: 1-line block ×11, first 2 shown]
	s_and_saveexec_b64 s[18:19], s[0:1]
	s_cbranch_execz .LBB24_30
; %bb.9:
	global_load_ubyte v5, v[1:2], off offset:1280
	v_or_b32_e32 v6, 0x600, v0
	v_cmp_gt_u32_e64 s[0:1], s8, v6
	v_mov_b32_e32 v8, 0
	v_mov_b32_e32 v6, 0
	v_mov_b32_e32 v10, 0
	v_mov_b32_e32 v14, 0
	v_mov_b32_e32 v15, 0
	v_mov_b32_e32 v16, 0
	v_mov_b32_e32 v17, 0
	v_mov_b32_e32 v18, 0
	v_mov_b32_e32 v19, 0
	v_mov_b32_e32 v20, 0
	s_and_saveexec_b64 s[20:21], s[0:1]
	s_cbranch_execz .LBB24_29
; %bb.10:
	global_load_ubyte v8, v[1:2], off offset:1536
	v_or_b32_e32 v6, 0x700, v0
	v_cmp_gt_u32_e64 s[0:1], s8, v6
	v_mov_b32_e32 v6, 0
	v_mov_b32_e32 v10, 0
	;; [unrolled: 1-line block ×9, first 2 shown]
	s_and_saveexec_b64 s[22:23], s[0:1]
	s_cbranch_execz .LBB24_28
; %bb.11:
	global_load_ubyte v6, v[1:2], off offset:1792
	v_or_b32_e32 v10, 0x800, v0
	v_cmp_gt_u32_e64 s[0:1], s8, v10
	v_mov_b32_e32 v10, 0
	v_mov_b32_e32 v14, 0
	;; [unrolled: 1-line block ×8, first 2 shown]
	s_and_saveexec_b64 s[24:25], s[0:1]
	s_cbranch_execz .LBB24_27
; %bb.12:
	global_load_ubyte v10, v[1:2], off offset:2048
	v_or_b32_e32 v14, 0x900, v0
	v_cmp_gt_u32_e64 s[0:1], s8, v14
	v_mov_b32_e32 v14, 0
	v_mov_b32_e32 v15, 0
	;; [unrolled: 1-line block ×7, first 2 shown]
	s_and_saveexec_b64 s[26:27], s[0:1]
	s_cbranch_execz .LBB24_26
; %bb.13:
	global_load_ubyte v14, v[1:2], off offset:2304
	v_or_b32_e32 v15, 0xa00, v0
	v_cmp_gt_u32_e64 s[0:1], s8, v15
	v_mov_b32_e32 v15, 0
	v_mov_b32_e32 v16, 0
	;; [unrolled: 1-line block ×6, first 2 shown]
	s_and_saveexec_b64 s[28:29], s[0:1]
	s_cbranch_execz .LBB24_25
; %bb.14:
	global_load_ubyte v15, v[1:2], off offset:2560
	v_or_b32_e32 v16, 0xb00, v0
	v_cmp_gt_u32_e64 s[0:1], s8, v16
	v_mov_b32_e32 v16, 0
	v_mov_b32_e32 v17, 0
	;; [unrolled: 1-line block ×5, first 2 shown]
	s_and_saveexec_b64 s[30:31], s[0:1]
	s_cbranch_execz .LBB24_24
; %bb.15:
	global_load_ubyte v16, v[1:2], off offset:2816
	v_or_b32_e32 v17, 0xc00, v0
	v_cmp_gt_u32_e64 s[0:1], s8, v17
	v_mov_b32_e32 v17, 0
	v_mov_b32_e32 v18, 0
	;; [unrolled: 1-line block ×4, first 2 shown]
	s_and_saveexec_b64 s[34:35], s[0:1]
	s_cbranch_execz .LBB24_23
; %bb.16:
	global_load_ubyte v17, v[1:2], off offset:3072
	v_or_b32_e32 v18, 0xd00, v0
	v_cmp_gt_u32_e64 s[0:1], s8, v18
	v_mov_b32_e32 v18, 0
	v_mov_b32_e32 v19, 0
	;; [unrolled: 1-line block ×3, first 2 shown]
	s_and_saveexec_b64 s[36:37], s[0:1]
	s_cbranch_execz .LBB24_22
; %bb.17:
	global_load_ubyte v18, v[1:2], off offset:3328
	v_or_b32_e32 v19, 0xe00, v0
	v_cmp_gt_u32_e64 s[0:1], s8, v19
	v_mov_b32_e32 v19, 0
	v_mov_b32_e32 v20, 0
	s_and_saveexec_b64 s[38:39], s[0:1]
	s_cbranch_execz .LBB24_21
; %bb.18:
	global_load_ubyte v19, v[1:2], off offset:3584
	v_or_b32_e32 v20, 0xf00, v0
	v_cmp_gt_u32_e64 s[0:1], s8, v20
	v_mov_b32_e32 v20, 0
	s_and_saveexec_b64 s[40:41], s[0:1]
	s_cbranch_execz .LBB24_20
; %bb.19:
	global_load_ubyte v20, v[1:2], off offset:3840
.LBB24_20:
	s_or_b64 exec, exec, s[40:41]
.LBB24_21:
	s_or_b64 exec, exec, s[38:39]
.LBB24_22:
	s_or_b64 exec, exec, s[36:37]
.LBB24_23:
	s_or_b64 exec, exec, s[34:35]
.LBB24_24:
	s_or_b64 exec, exec, s[30:31]
.LBB24_25:
	s_or_b64 exec, exec, s[28:29]
.LBB24_26:
	s_or_b64 exec, exec, s[26:27]
.LBB24_27:
	s_or_b64 exec, exec, s[24:25]
.LBB24_28:
	s_or_b64 exec, exec, s[22:23]
.LBB24_29:
	s_or_b64 exec, exec, s[20:21]
.LBB24_30:
	s_or_b64 exec, exec, s[18:19]
.LBB24_31:
	s_or_b64 exec, exec, s[16:17]
.LBB24_32:
	s_or_b64 exec, exec, s[14:15]
.LBB24_33:
	s_or_b64 exec, exec, s[6:7]
.LBB24_34:
	s_or_b64 exec, exec, s[4:5]
.LBB24_35:
	s_or_b64 exec, exec, s[2:3]
	s_cmp_eq_u32 s9, 0
	s_cselect_b64 s[2:3], -1, 0
	s_and_b32 s5, s10, 0xff
	s_waitcnt vmcnt(0)
	v_cmp_ne_u16_sdwa s[0:1], v11, s5 src0_sel:BYTE_0 src1_sel:DWORD
	s_xor_b64 s[0:1], s[2:3], s[0:1]
	v_cndmask_b32_e64 v1, 0, 1, s[0:1]
	v_cmp_ne_u16_sdwa s[0:1], v12, s5 src0_sel:BYTE_0 src1_sel:DWORD
	s_xor_b64 s[0:1], s[2:3], s[0:1]
	v_cndmask_b32_e64 v2, 0, 1, s[0:1]
	v_cndmask_b32_e32 v1, 0, v1, vcc
	v_lshlrev_b16_e32 v2, 8, v2
	v_or_b32_e32 v2, v1, v2
	v_and_b32_e32 v2, 0xffff, v2
	v_cmp_gt_i32_e64 s[0:1], s8, v3
	v_cndmask_b32_e64 v1, v1, v2, s[0:1]
	v_cmp_ne_u16_sdwa s[0:1], v13, s5 src0_sel:BYTE_0 src1_sel:DWORD
	s_xor_b64 s[0:1], s[2:3], s[0:1]
	v_or_b32_e32 v2, 0x200, v0
	v_cndmask_b32_e64 v11, 0, 1, s[0:1]
	v_lshl_or_b32 v11, v11, 16, v1
	v_cmp_gt_i32_e64 s[0:1], s8, v2
	v_cndmask_b32_e64 v1, v1, v11, s[0:1]
	v_cmp_ne_u16_sdwa s[0:1], v9, s5 src0_sel:BYTE_0 src1_sel:DWORD
	s_xor_b64 s[0:1], s[2:3], s[0:1]
	s_movk_i32 s4, 0xff
	v_cndmask_b32_e64 v9, 0, 1, s[0:1]
	v_and_b32_sdwa v2, v1, s4 dst_sel:DWORD dst_unused:UNUSED_PAD src0_sel:WORD_1 src1_sel:DWORD
	v_lshlrev_b16_e32 v9, 8, v9
	s_mov_b32 s6, 0xffff
	v_or_b32_e32 v11, 0x300, v0
	v_or_b32_sdwa v2, v2, v9 dst_sel:WORD_1 dst_unused:UNUSED_PAD src0_sel:DWORD src1_sel:DWORD
	v_and_or_b32 v2, v1, s6, v2
	v_cmp_gt_i32_e64 s[0:1], s8, v11
	v_cndmask_b32_e64 v9, v1, v2, s[0:1]
	v_cmp_ne_u16_sdwa s[0:1], v7, s5 src0_sel:BYTE_0 src1_sel:DWORD
	s_xor_b64 s[0:1], s[2:3], s[0:1]
	v_cndmask_b32_e64 v1, 0, 1, s[0:1]
	v_or_b32_e32 v2, 0x400, v0
	v_and_b32_e32 v1, 0xffff, v1
	v_cmp_gt_i32_e64 s[0:1], s8, v2
	v_cndmask_b32_e64 v1, 0, v1, s[0:1]
	v_cmp_ne_u16_sdwa s[0:1], v5, s5 src0_sel:BYTE_0 src1_sel:DWORD
	s_xor_b64 s[0:1], s[2:3], s[0:1]
	v_cndmask_b32_e64 v5, 0, 1, s[0:1]
	v_lshlrev_b16_e32 v5, 8, v5
	v_or_b32_e32 v2, 0x500, v0
	v_or_b32_sdwa v5, v1, v5 dst_sel:DWORD dst_unused:UNUSED_PAD src0_sel:BYTE_0 src1_sel:DWORD
	v_and_b32_e32 v5, 0xffff, v5
	v_cmp_gt_i32_e64 s[0:1], s8, v2
	v_cndmask_b32_e64 v1, v1, v5, s[0:1]
	v_cmp_ne_u16_sdwa s[0:1], v8, s5 src0_sel:BYTE_0 src1_sel:DWORD
	s_movk_i32 s7, 0xff00
	s_xor_b64 s[0:1], s[2:3], s[0:1]
	v_and_b32_sdwa v2, v1, s7 dst_sel:DWORD dst_unused:UNUSED_PAD src0_sel:WORD_1 src1_sel:DWORD
	v_cndmask_b32_e64 v5, 0, 1, s[0:1]
	v_or_b32_sdwa v2, v5, v2 dst_sel:WORD_1 dst_unused:UNUSED_PAD src0_sel:DWORD src1_sel:DWORD
	v_or_b32_e32 v5, 0x600, v0
	v_and_or_b32 v2, v1, s6, v2
	v_cmp_gt_i32_e64 s[0:1], s8, v5
	v_cndmask_b32_e64 v1, v1, v2, s[0:1]
	v_cmp_ne_u16_sdwa s[0:1], v6, s5 src0_sel:BYTE_0 src1_sel:DWORD
	s_xor_b64 s[0:1], s[2:3], s[0:1]
	v_cndmask_b32_e64 v6, 0, 1, s[0:1]
	v_and_b32_sdwa v2, v1, s4 dst_sel:DWORD dst_unused:UNUSED_PAD src0_sel:WORD_1 src1_sel:DWORD
	v_lshlrev_b16_e32 v6, 8, v6
	v_or_b32_e32 v5, 0x700, v0
	v_or_b32_sdwa v2, v2, v6 dst_sel:WORD_1 dst_unused:UNUSED_PAD src0_sel:DWORD src1_sel:DWORD
	v_and_or_b32 v2, v1, s6, v2
	v_cmp_gt_i32_e64 s[0:1], s8, v5
	v_cndmask_b32_e64 v5, v1, v2, s[0:1]
	v_cmp_ne_u16_sdwa s[0:1], v10, s5 src0_sel:BYTE_0 src1_sel:DWORD
	v_or_b32_e32 v1, 0x800, v0
	s_xor_b64 s[0:1], s[2:3], s[0:1]
	v_cndmask_b32_e64 v2, 0, 1, s[0:1]
	v_cmp_gt_i32_e64 s[0:1], s8, v1
	v_cndmask_b32_e64 v1, 0, v2, s[0:1]
	v_cmp_ne_u16_sdwa s[0:1], v14, s5 src0_sel:BYTE_0 src1_sel:DWORD
	s_xor_b64 s[0:1], s[2:3], s[0:1]
	v_cndmask_b32_e64 v6, 0, 1, s[0:1]
	v_lshlrev_b16_e32 v6, 8, v6
	v_or_b32_e32 v2, 0x900, v0
	v_or_b32_e32 v6, v1, v6
	v_and_b32_e32 v6, 0xffff, v6
	v_cmp_gt_i32_e64 s[0:1], s8, v2
	v_cndmask_b32_e64 v1, v1, v6, s[0:1]
	v_cmp_ne_u16_sdwa s[0:1], v15, s5 src0_sel:BYTE_0 src1_sel:DWORD
	s_xor_b64 s[0:1], s[2:3], s[0:1]
	v_cndmask_b32_e64 v6, 0, 1, s[0:1]
	v_or_b32_e32 v2, 0xa00, v0
	v_lshlrev_b32_e32 v6, 16, v6
	s_movk_i32 s0, 0x1ff
	v_and_or_b32 v6, v1, s0, v6
	v_cmp_gt_i32_e64 s[0:1], s8, v2
	v_cndmask_b32_e64 v1, v1, v6, s[0:1]
	v_cmp_ne_u16_sdwa s[0:1], v16, s5 src0_sel:BYTE_0 src1_sel:DWORD
	s_xor_b64 s[0:1], s[2:3], s[0:1]
	v_cndmask_b32_e64 v7, 0, 1, s[0:1]
	v_and_b32_sdwa v2, v1, s4 dst_sel:DWORD dst_unused:UNUSED_PAD src0_sel:WORD_1 src1_sel:DWORD
	v_lshlrev_b16_e32 v7, 8, v7
	v_or_b32_e32 v6, 0xb00, v0
	v_or_b32_sdwa v2, v2, v7 dst_sel:WORD_1 dst_unused:UNUSED_PAD src0_sel:DWORD src1_sel:DWORD
	v_and_or_b32 v2, v1, s6, v2
	v_cmp_gt_i32_e64 s[0:1], s8, v6
	v_cndmask_b32_e64 v2, v1, v2, s[0:1]
	v_cmp_ne_u16_sdwa s[0:1], v17, s5 src0_sel:BYTE_0 src1_sel:DWORD
	v_or_b32_e32 v1, 0xc00, v0
	s_xor_b64 s[0:1], s[2:3], s[0:1]
	v_cndmask_b32_e64 v6, 0, 1, s[0:1]
	v_cmp_gt_i32_e64 s[0:1], s8, v1
	v_cndmask_b32_e64 v1, 0, v6, s[0:1]
	v_cmp_ne_u16_sdwa s[0:1], v18, s5 src0_sel:BYTE_0 src1_sel:DWORD
	s_xor_b64 s[0:1], s[2:3], s[0:1]
	v_cndmask_b32_e64 v7, 0, 1, s[0:1]
	v_lshlrev_b16_e32 v7, 8, v7
	v_or_b32_e32 v6, 0xd00, v0
	v_or_b32_sdwa v7, v1, v7 dst_sel:DWORD dst_unused:UNUSED_PAD src0_sel:BYTE_0 src1_sel:DWORD
	v_and_b32_e32 v7, 0xffff, v7
	v_cmp_gt_i32_e64 s[0:1], s8, v6
	v_cndmask_b32_e64 v1, v1, v7, s[0:1]
	v_cmp_ne_u16_sdwa s[0:1], v19, s5 src0_sel:BYTE_0 src1_sel:DWORD
	s_xor_b64 s[0:1], s[2:3], s[0:1]
	v_and_b32_sdwa v6, v1, s7 dst_sel:DWORD dst_unused:UNUSED_PAD src0_sel:WORD_1 src1_sel:DWORD
	v_cndmask_b32_e64 v7, 0, 1, s[0:1]
	v_or_b32_sdwa v6, v7, v6 dst_sel:WORD_1 dst_unused:UNUSED_PAD src0_sel:DWORD src1_sel:DWORD
	v_or_b32_e32 v7, 0xe00, v0
	v_and_or_b32 v6, v1, s6, v6
	v_cmp_gt_i32_e64 s[0:1], s8, v7
	v_cndmask_b32_e64 v1, v1, v6, s[0:1]
	v_cmp_ne_u16_sdwa s[0:1], v20, s5 src0_sel:BYTE_0 src1_sel:DWORD
	s_xor_b64 s[0:1], s[2:3], s[0:1]
	v_cndmask_b32_e64 v8, 0, 1, s[0:1]
	v_and_b32_sdwa v6, v1, s4 dst_sel:DWORD dst_unused:UNUSED_PAD src0_sel:WORD_1 src1_sel:DWORD
	v_lshlrev_b16_e32 v8, 8, v8
	v_or_b32_e32 v7, 0xf00, v0
	v_or_b32_sdwa v6, v6, v8 dst_sel:WORD_1 dst_unused:UNUSED_PAD src0_sel:DWORD src1_sel:DWORD
	v_and_or_b32 v6, v1, s6, v6
	v_cmp_gt_i32_e64 s[0:1], s8, v7
	v_cndmask_b32_e64 v1, v1, v6, s[0:1]
	s_and_saveexec_b64 s[0:1], vcc
	s_cbranch_execnz .LBB24_53
; %bb.36:
	s_or_b64 exec, exec, s[0:1]
	v_cmp_gt_i32_e32 vcc, s8, v0
	s_and_saveexec_b64 s[0:1], vcc
	s_cbranch_execnz .LBB24_54
.LBB24_37:
	s_or_b64 exec, exec, s[0:1]
	v_cmp_gt_i32_e32 vcc, s8, v0
	s_and_saveexec_b64 s[0:1], vcc
	s_cbranch_execnz .LBB24_55
.LBB24_38:
	s_or_b64 exec, exec, s[0:1]
	v_cmp_gt_i32_e32 vcc, s8, v0
	s_and_saveexec_b64 s[0:1], vcc
	s_cbranch_execnz .LBB24_56
.LBB24_39:
	s_or_b64 exec, exec, s[0:1]
	v_cmp_gt_i32_e32 vcc, s8, v0
	s_and_saveexec_b64 s[0:1], vcc
	s_cbranch_execnz .LBB24_57
.LBB24_40:
	s_or_b64 exec, exec, s[0:1]
	v_cmp_gt_i32_e32 vcc, s8, v0
	s_and_saveexec_b64 s[0:1], vcc
	s_cbranch_execnz .LBB24_58
.LBB24_41:
	s_or_b64 exec, exec, s[0:1]
	v_cmp_gt_i32_e32 vcc, s8, v0
	s_and_saveexec_b64 s[0:1], vcc
	s_cbranch_execnz .LBB24_59
.LBB24_42:
	s_or_b64 exec, exec, s[0:1]
	v_cmp_gt_i32_e32 vcc, s8, v0
	s_and_saveexec_b64 s[0:1], vcc
	s_cbranch_execnz .LBB24_60
.LBB24_43:
	s_or_b64 exec, exec, s[0:1]
	v_cmp_gt_i32_e32 vcc, s8, v0
	s_and_saveexec_b64 s[0:1], vcc
	s_cbranch_execnz .LBB24_61
.LBB24_44:
	s_or_b64 exec, exec, s[0:1]
	v_cmp_gt_i32_e32 vcc, s8, v0
	s_and_saveexec_b64 s[0:1], vcc
	s_cbranch_execnz .LBB24_62
.LBB24_45:
	s_or_b64 exec, exec, s[0:1]
	v_cmp_gt_i32_e32 vcc, s8, v0
	s_and_saveexec_b64 s[0:1], vcc
	s_cbranch_execnz .LBB24_63
.LBB24_46:
	s_or_b64 exec, exec, s[0:1]
	v_cmp_gt_i32_e32 vcc, s8, v0
	s_and_saveexec_b64 s[0:1], vcc
	s_cbranch_execnz .LBB24_64
.LBB24_47:
	s_or_b64 exec, exec, s[0:1]
	v_cmp_gt_i32_e32 vcc, s8, v0
	s_and_saveexec_b64 s[0:1], vcc
	s_cbranch_execnz .LBB24_65
.LBB24_48:
	s_or_b64 exec, exec, s[0:1]
	v_cmp_gt_i32_e32 vcc, s8, v0
	s_and_saveexec_b64 s[0:1], vcc
	s_cbranch_execnz .LBB24_66
.LBB24_49:
	s_or_b64 exec, exec, s[0:1]
	v_cmp_gt_i32_e32 vcc, s8, v0
	s_and_saveexec_b64 s[0:1], vcc
	s_cbranch_execnz .LBB24_67
.LBB24_50:
	s_or_b64 exec, exec, s[0:1]
	v_cmp_gt_i32_e32 vcc, s8, v0
	s_and_saveexec_b64 s[0:1], vcc
	s_cbranch_execz .LBB24_52
.LBB24_51:
	v_lshrrev_b32_e32 v1, 24, v1
	v_add_u32_e32 v0, s11, v0
	global_store_byte v0, v1, s[12:13]
.LBB24_52:
	s_endpgm
.LBB24_53:
	v_mov_b32_e32 v0, v3
	global_store_byte v4, v9, s[12:13]
	s_or_b64 exec, exec, s[0:1]
	v_cmp_gt_i32_e32 vcc, s8, v0
	s_and_saveexec_b64 s[0:1], vcc
	s_cbranch_execz .LBB24_37
.LBB24_54:
	v_lshrrev_b32_e32 v3, 8, v9
	v_add_u32_e32 v4, s11, v0
	v_add_u32_e32 v0, 0x100, v0
	global_store_byte v4, v3, s[12:13]
	s_or_b64 exec, exec, s[0:1]
	v_cmp_gt_i32_e32 vcc, s8, v0
	s_and_saveexec_b64 s[0:1], vcc
	s_cbranch_execz .LBB24_38
.LBB24_55:
	v_add_u32_e32 v3, s11, v0
	v_add_u32_e32 v0, 0x100, v0
	global_store_byte_d16_hi v3, v9, s[12:13]
	s_or_b64 exec, exec, s[0:1]
	v_cmp_gt_i32_e32 vcc, s8, v0
	s_and_saveexec_b64 s[0:1], vcc
	s_cbranch_execz .LBB24_39
.LBB24_56:
	v_lshrrev_b32_e32 v3, 24, v9
	v_add_u32_e32 v4, s11, v0
	v_add_u32_e32 v0, 0x100, v0
	global_store_byte v4, v3, s[12:13]
	s_or_b64 exec, exec, s[0:1]
	v_cmp_gt_i32_e32 vcc, s8, v0
	s_and_saveexec_b64 s[0:1], vcc
	s_cbranch_execz .LBB24_40
.LBB24_57:
	v_add_u32_e32 v3, s11, v0
	v_add_u32_e32 v0, 0x100, v0
	global_store_byte v3, v5, s[12:13]
	s_or_b64 exec, exec, s[0:1]
	v_cmp_gt_i32_e32 vcc, s8, v0
	s_and_saveexec_b64 s[0:1], vcc
	s_cbranch_execz .LBB24_41
.LBB24_58:
	v_lshrrev_b32_e32 v3, 8, v5
	v_add_u32_e32 v4, s11, v0
	v_add_u32_e32 v0, 0x100, v0
	global_store_byte v4, v3, s[12:13]
	s_or_b64 exec, exec, s[0:1]
	v_cmp_gt_i32_e32 vcc, s8, v0
	s_and_saveexec_b64 s[0:1], vcc
	s_cbranch_execz .LBB24_42
.LBB24_59:
	v_add_u32_e32 v3, s11, v0
	v_add_u32_e32 v0, 0x100, v0
	global_store_byte_d16_hi v3, v5, s[12:13]
	s_or_b64 exec, exec, s[0:1]
	v_cmp_gt_i32_e32 vcc, s8, v0
	s_and_saveexec_b64 s[0:1], vcc
	s_cbranch_execz .LBB24_43
.LBB24_60:
	v_lshrrev_b32_e32 v3, 24, v5
	v_add_u32_e32 v4, s11, v0
	v_add_u32_e32 v0, 0x100, v0
	global_store_byte v4, v3, s[12:13]
	s_or_b64 exec, exec, s[0:1]
	v_cmp_gt_i32_e32 vcc, s8, v0
	s_and_saveexec_b64 s[0:1], vcc
	s_cbranch_execz .LBB24_44
.LBB24_61:
	v_add_u32_e32 v3, s11, v0
	v_add_u32_e32 v0, 0x100, v0
	global_store_byte v3, v2, s[12:13]
	s_or_b64 exec, exec, s[0:1]
	v_cmp_gt_i32_e32 vcc, s8, v0
	s_and_saveexec_b64 s[0:1], vcc
	s_cbranch_execz .LBB24_45
.LBB24_62:
	v_lshrrev_b32_e32 v3, 8, v2
	v_add_u32_e32 v4, s11, v0
	v_add_u32_e32 v0, 0x100, v0
	global_store_byte v4, v3, s[12:13]
	s_or_b64 exec, exec, s[0:1]
	v_cmp_gt_i32_e32 vcc, s8, v0
	s_and_saveexec_b64 s[0:1], vcc
	s_cbranch_execz .LBB24_46
.LBB24_63:
	v_add_u32_e32 v3, s11, v0
	v_add_u32_e32 v0, 0x100, v0
	global_store_byte_d16_hi v3, v2, s[12:13]
	s_or_b64 exec, exec, s[0:1]
	v_cmp_gt_i32_e32 vcc, s8, v0
	s_and_saveexec_b64 s[0:1], vcc
	s_cbranch_execz .LBB24_47
.LBB24_64:
	v_lshrrev_b32_e32 v2, 24, v2
	v_add_u32_e32 v3, s11, v0
	v_add_u32_e32 v0, 0x100, v0
	global_store_byte v3, v2, s[12:13]
	s_or_b64 exec, exec, s[0:1]
	v_cmp_gt_i32_e32 vcc, s8, v0
	s_and_saveexec_b64 s[0:1], vcc
	s_cbranch_execz .LBB24_48
.LBB24_65:
	v_add_u32_e32 v2, s11, v0
	v_add_u32_e32 v0, 0x100, v0
	global_store_byte v2, v1, s[12:13]
	s_or_b64 exec, exec, s[0:1]
	v_cmp_gt_i32_e32 vcc, s8, v0
	s_and_saveexec_b64 s[0:1], vcc
	s_cbranch_execz .LBB24_49
.LBB24_66:
	v_lshrrev_b32_e32 v2, 8, v1
	v_add_u32_e32 v3, s11, v0
	v_add_u32_e32 v0, 0x100, v0
	global_store_byte v3, v2, s[12:13]
	s_or_b64 exec, exec, s[0:1]
	v_cmp_gt_i32_e32 vcc, s8, v0
	s_and_saveexec_b64 s[0:1], vcc
	s_cbranch_execz .LBB24_50
.LBB24_67:
	v_add_u32_e32 v2, s11, v0
	v_add_u32_e32 v0, 0x100, v0
	global_store_byte_d16_hi v2, v1, s[12:13]
	s_or_b64 exec, exec, s[0:1]
	v_cmp_gt_i32_e32 vcc, s8, v0
	s_and_saveexec_b64 s[0:1], vcc
	s_cbranch_execnz .LBB24_51
	s_branch .LBB24_52
	.section	.rodata,"a",@progbits
	.p2align	6, 0x0
	.amdhsa_kernel _ZN2at6native29vectorized_elementwise_kernelILi16ENS0_13AUnaryFunctorIaabNS0_12_GLOBAL__N_116CompareEqFunctorIaEEEESt5arrayIPcLm2EEEEviT0_T1_
		.amdhsa_group_segment_fixed_size 0
		.amdhsa_private_segment_fixed_size 0
		.amdhsa_kernarg_size 32
		.amdhsa_user_sgpr_count 6
		.amdhsa_user_sgpr_private_segment_buffer 1
		.amdhsa_user_sgpr_dispatch_ptr 0
		.amdhsa_user_sgpr_queue_ptr 0
		.amdhsa_user_sgpr_kernarg_segment_ptr 1
		.amdhsa_user_sgpr_dispatch_id 0
		.amdhsa_user_sgpr_flat_scratch_init 0
		.amdhsa_user_sgpr_private_segment_size 0
		.amdhsa_uses_dynamic_stack 0
		.amdhsa_system_sgpr_private_segment_wavefront_offset 0
		.amdhsa_system_sgpr_workgroup_id_x 1
		.amdhsa_system_sgpr_workgroup_id_y 0
		.amdhsa_system_sgpr_workgroup_id_z 0
		.amdhsa_system_sgpr_workgroup_info 0
		.amdhsa_system_vgpr_workitem_id 0
		.amdhsa_next_free_vgpr 21
		.amdhsa_next_free_sgpr 42
		.amdhsa_reserve_vcc 1
		.amdhsa_reserve_flat_scratch 0
		.amdhsa_float_round_mode_32 0
		.amdhsa_float_round_mode_16_64 0
		.amdhsa_float_denorm_mode_32 3
		.amdhsa_float_denorm_mode_16_64 3
		.amdhsa_dx10_clamp 1
		.amdhsa_ieee_mode 1
		.amdhsa_fp16_overflow 0
		.amdhsa_exception_fp_ieee_invalid_op 0
		.amdhsa_exception_fp_denorm_src 0
		.amdhsa_exception_fp_ieee_div_zero 0
		.amdhsa_exception_fp_ieee_overflow 0
		.amdhsa_exception_fp_ieee_underflow 0
		.amdhsa_exception_fp_ieee_inexact 0
		.amdhsa_exception_int_div_zero 0
	.end_amdhsa_kernel
	.section	.text._ZN2at6native29vectorized_elementwise_kernelILi16ENS0_13AUnaryFunctorIaabNS0_12_GLOBAL__N_116CompareEqFunctorIaEEEESt5arrayIPcLm2EEEEviT0_T1_,"axG",@progbits,_ZN2at6native29vectorized_elementwise_kernelILi16ENS0_13AUnaryFunctorIaabNS0_12_GLOBAL__N_116CompareEqFunctorIaEEEESt5arrayIPcLm2EEEEviT0_T1_,comdat
.Lfunc_end24:
	.size	_ZN2at6native29vectorized_elementwise_kernelILi16ENS0_13AUnaryFunctorIaabNS0_12_GLOBAL__N_116CompareEqFunctorIaEEEESt5arrayIPcLm2EEEEviT0_T1_, .Lfunc_end24-_ZN2at6native29vectorized_elementwise_kernelILi16ENS0_13AUnaryFunctorIaabNS0_12_GLOBAL__N_116CompareEqFunctorIaEEEESt5arrayIPcLm2EEEEviT0_T1_
                                        ; -- End function
	.set _ZN2at6native29vectorized_elementwise_kernelILi16ENS0_13AUnaryFunctorIaabNS0_12_GLOBAL__N_116CompareEqFunctorIaEEEESt5arrayIPcLm2EEEEviT0_T1_.num_vgpr, 21
	.set _ZN2at6native29vectorized_elementwise_kernelILi16ENS0_13AUnaryFunctorIaabNS0_12_GLOBAL__N_116CompareEqFunctorIaEEEESt5arrayIPcLm2EEEEviT0_T1_.num_agpr, 0
	.set _ZN2at6native29vectorized_elementwise_kernelILi16ENS0_13AUnaryFunctorIaabNS0_12_GLOBAL__N_116CompareEqFunctorIaEEEESt5arrayIPcLm2EEEEviT0_T1_.numbered_sgpr, 42
	.set _ZN2at6native29vectorized_elementwise_kernelILi16ENS0_13AUnaryFunctorIaabNS0_12_GLOBAL__N_116CompareEqFunctorIaEEEESt5arrayIPcLm2EEEEviT0_T1_.num_named_barrier, 0
	.set _ZN2at6native29vectorized_elementwise_kernelILi16ENS0_13AUnaryFunctorIaabNS0_12_GLOBAL__N_116CompareEqFunctorIaEEEESt5arrayIPcLm2EEEEviT0_T1_.private_seg_size, 0
	.set _ZN2at6native29vectorized_elementwise_kernelILi16ENS0_13AUnaryFunctorIaabNS0_12_GLOBAL__N_116CompareEqFunctorIaEEEESt5arrayIPcLm2EEEEviT0_T1_.uses_vcc, 1
	.set _ZN2at6native29vectorized_elementwise_kernelILi16ENS0_13AUnaryFunctorIaabNS0_12_GLOBAL__N_116CompareEqFunctorIaEEEESt5arrayIPcLm2EEEEviT0_T1_.uses_flat_scratch, 0
	.set _ZN2at6native29vectorized_elementwise_kernelILi16ENS0_13AUnaryFunctorIaabNS0_12_GLOBAL__N_116CompareEqFunctorIaEEEESt5arrayIPcLm2EEEEviT0_T1_.has_dyn_sized_stack, 0
	.set _ZN2at6native29vectorized_elementwise_kernelILi16ENS0_13AUnaryFunctorIaabNS0_12_GLOBAL__N_116CompareEqFunctorIaEEEESt5arrayIPcLm2EEEEviT0_T1_.has_recursion, 0
	.set _ZN2at6native29vectorized_elementwise_kernelILi16ENS0_13AUnaryFunctorIaabNS0_12_GLOBAL__N_116CompareEqFunctorIaEEEESt5arrayIPcLm2EEEEviT0_T1_.has_indirect_call, 0
	.section	.AMDGPU.csdata,"",@progbits
; Kernel info:
; codeLenInByte = 3528
; TotalNumSgprs: 46
; NumVgprs: 21
; ScratchSize: 0
; MemoryBound: 0
; FloatMode: 240
; IeeeMode: 1
; LDSByteSize: 0 bytes/workgroup (compile time only)
; SGPRBlocks: 5
; VGPRBlocks: 5
; NumSGPRsForWavesPerEU: 46
; NumVGPRsForWavesPerEU: 21
; Occupancy: 10
; WaveLimiterHint : 0
; COMPUTE_PGM_RSRC2:SCRATCH_EN: 0
; COMPUTE_PGM_RSRC2:USER_SGPR: 6
; COMPUTE_PGM_RSRC2:TRAP_HANDLER: 0
; COMPUTE_PGM_RSRC2:TGID_X_EN: 1
; COMPUTE_PGM_RSRC2:TGID_Y_EN: 0
; COMPUTE_PGM_RSRC2:TGID_Z_EN: 0
; COMPUTE_PGM_RSRC2:TIDIG_COMP_CNT: 0
	.section	.text._ZN2at6native29vectorized_elementwise_kernelILi8ENS0_13AUnaryFunctorIaabNS0_12_GLOBAL__N_116CompareEqFunctorIaEEEESt5arrayIPcLm2EEEEviT0_T1_,"axG",@progbits,_ZN2at6native29vectorized_elementwise_kernelILi8ENS0_13AUnaryFunctorIaabNS0_12_GLOBAL__N_116CompareEqFunctorIaEEEESt5arrayIPcLm2EEEEviT0_T1_,comdat
	.globl	_ZN2at6native29vectorized_elementwise_kernelILi8ENS0_13AUnaryFunctorIaabNS0_12_GLOBAL__N_116CompareEqFunctorIaEEEESt5arrayIPcLm2EEEEviT0_T1_ ; -- Begin function _ZN2at6native29vectorized_elementwise_kernelILi8ENS0_13AUnaryFunctorIaabNS0_12_GLOBAL__N_116CompareEqFunctorIaEEEESt5arrayIPcLm2EEEEviT0_T1_
	.p2align	8
	.type	_ZN2at6native29vectorized_elementwise_kernelILi8ENS0_13AUnaryFunctorIaabNS0_12_GLOBAL__N_116CompareEqFunctorIaEEEESt5arrayIPcLm2EEEEviT0_T1_,@function
_ZN2at6native29vectorized_elementwise_kernelILi8ENS0_13AUnaryFunctorIaabNS0_12_GLOBAL__N_116CompareEqFunctorIaEEEESt5arrayIPcLm2EEEEviT0_T1_: ; @_ZN2at6native29vectorized_elementwise_kernelILi8ENS0_13AUnaryFunctorIaabNS0_12_GLOBAL__N_116CompareEqFunctorIaEEEESt5arrayIPcLm2EEEEviT0_T1_
; %bb.0:
	s_load_dwordx8 s[8:15], s[4:5], 0x0
	s_waitcnt lgkmcnt(0)
	s_lshl_b32 s11, s6, 12
	s_mov_b64 s[0:1], -1
	s_sub_i32 s8, s8, s11
	s_cmpk_gt_i32 s8, 0xfff
	s_cbranch_scc0 .LBB25_2
; %bb.1:
	s_ashr_i32 s30, s11, 31
	s_add_u32 s0, s14, s11
	s_addc_u32 s1, s15, s30
	v_lshlrev_b32_e32 v5, 3, v0
	global_load_dwordx2 v[1:2], v5, s[0:1]
	global_load_dwordx2 v[3:4], v5, s[0:1] offset:2048
	s_cmp_eq_u32 s9, 0
	s_cselect_b64 s[6:7], -1, 0
	s_and_b32 s31, s10, 0xff
	s_movk_i32 s24, 0xff
	s_waitcnt vmcnt(1)
	v_cmp_ne_u16_sdwa s[0:1], v1, s31 src0_sel:BYTE_0 src1_sel:DWORD
	v_cmp_ne_u16_sdwa s[2:3], v1, s31 src0_sel:BYTE_3 src1_sel:DWORD
	s_xor_b64 s[0:1], s[6:7], s[0:1]
	v_lshrrev_b32_e32 v6, 8, v1
	v_and_b32_sdwa v7, v1, s24 dst_sel:DWORD dst_unused:UNUSED_PAD src0_sel:WORD_1 src1_sel:DWORD
	v_cmp_ne_u16_sdwa s[4:5], v2, s31 src0_sel:BYTE_0 src1_sel:DWORD
	v_lshrrev_b32_e32 v1, 8, v2
	v_and_b32_sdwa v8, v2, s24 dst_sel:DWORD dst_unused:UNUSED_PAD src0_sel:WORD_1 src1_sel:DWORD
	v_cmp_ne_u16_sdwa s[16:17], v2, s31 src0_sel:BYTE_3 src1_sel:DWORD
	s_waitcnt vmcnt(0)
	v_cmp_ne_u16_sdwa s[18:19], v3, s31 src0_sel:BYTE_0 src1_sel:DWORD
	v_lshrrev_b32_e32 v2, 8, v3
	v_and_b32_sdwa v9, v3, s24 dst_sel:DWORD dst_unused:UNUSED_PAD src0_sel:WORD_1 src1_sel:DWORD
	v_cmp_ne_u16_sdwa s[20:21], v3, s31 src0_sel:BYTE_3 src1_sel:DWORD
	v_cmp_ne_u16_sdwa s[22:23], v4, s31 src0_sel:BYTE_0 src1_sel:DWORD
	v_lshrrev_b32_e32 v3, 8, v4
	v_and_b32_sdwa v10, v4, s24 dst_sel:DWORD dst_unused:UNUSED_PAD src0_sel:WORD_1 src1_sel:DWORD
	v_cmp_ne_u16_sdwa s[24:25], v4, s31 src0_sel:BYTE_3 src1_sel:DWORD
	v_cndmask_b32_e64 v4, 0, 1, s[0:1]
	s_xor_b64 s[0:1], s[6:7], s[2:3]
	v_cmp_ne_u16_sdwa s[26:27], v6, s31 src0_sel:BYTE_0 src1_sel:DWORD
	v_cndmask_b32_e64 v6, 0, 1, s[0:1]
	s_xor_b64 s[0:1], s[6:7], s[4:5]
	v_cmp_ne_u16_e32 vcc, s31, v7
	v_cndmask_b32_e64 v7, 0, 1, s[0:1]
	v_cmp_ne_u16_e64 s[0:1], s31, v8
	s_xor_b64 s[2:3], s[6:7], s[16:17]
	v_cmp_ne_u16_sdwa s[28:29], v1, s31 src0_sel:BYTE_0 src1_sel:DWORD
	v_cndmask_b32_e64 v1, 0, 1, s[2:3]
	s_xor_b64 s[2:3], s[6:7], s[18:19]
	v_cmp_ne_u16_sdwa s[16:17], v2, s31 src0_sel:BYTE_0 src1_sel:DWORD
	s_xor_b64 s[4:5], s[6:7], s[20:21]
	s_xor_b64 s[20:21], s[6:7], s[24:25]
	;; [unrolled: 1-line block ×3, first 2 shown]
	v_cndmask_b32_e64 v8, 0, 1, s[2:3]
	v_cmp_ne_u16_e64 s[2:3], s31, v9
	v_cndmask_b32_e64 v2, 0, 1, s[4:5]
	s_xor_b64 s[4:5], s[6:7], s[22:23]
	v_cmp_ne_u16_sdwa s[18:19], v3, s31 src0_sel:BYTE_0 src1_sel:DWORD
	v_cndmask_b32_e64 v3, 0, 1, s[20:21]
	s_xor_b64 s[20:21], s[6:7], s[26:27]
	v_cndmask_b32_e64 v13, 0, 1, s[0:1]
	s_xor_b64 s[0:1], s[6:7], s[16:17]
	v_cndmask_b32_e64 v9, 0, 1, s[4:5]
	v_cmp_ne_u16_e64 s[4:5], s31, v10
	v_cndmask_b32_e64 v10, 0, 1, s[20:21]
	s_xor_b64 s[20:21], s[6:7], vcc
	v_cndmask_b32_e64 v14, 0, 1, s[0:1]
	s_xor_b64 s[0:1], s[6:7], s[2:3]
	v_cndmask_b32_e64 v11, 0, 1, s[20:21]
	s_xor_b64 s[20:21], s[6:7], s[28:29]
	v_cndmask_b32_e64 v15, 0, 1, s[0:1]
	s_xor_b64 s[0:1], s[6:7], s[18:19]
	v_cndmask_b32_e64 v12, 0, 1, s[20:21]
	v_cndmask_b32_e64 v16, 0, 1, s[0:1]
	s_xor_b64 s[0:1], s[6:7], s[4:5]
	v_lshlrev_b16_e32 v2, 8, v2
	v_lshlrev_b16_e32 v1, 8, v1
	v_cndmask_b32_e64 v17, 0, 1, s[0:1]
	v_lshlrev_b16_e32 v3, 8, v3
	v_lshlrev_b16_e32 v6, 8, v6
	;; [unrolled: 1-line block ×3, first 2 shown]
	v_or_b32_sdwa v15, v15, v2 dst_sel:WORD_1 dst_unused:UNUSED_PAD src0_sel:DWORD src1_sel:DWORD
	v_lshlrev_b16_e32 v2, 8, v12
	v_or_b32_sdwa v12, v13, v1 dst_sel:WORD_1 dst_unused:UNUSED_PAD src0_sel:DWORD src1_sel:DWORD
	v_lshlrev_b16_e32 v1, 8, v10
	;; [unrolled: 2-line block ×3, first 2 shown]
	v_or_b32_sdwa v6, v11, v6 dst_sel:WORD_1 dst_unused:UNUSED_PAD src0_sel:DWORD src1_sel:DWORD
	s_add_u32 s0, s12, s11
	v_or_b32_e32 v9, v9, v16
	v_or_b32_e32 v7, v7, v2
	;; [unrolled: 1-line block ×4, first 2 shown]
	s_addc_u32 s1, s13, s30
	v_or_b32_sdwa v2, v9, v3 dst_sel:DWORD dst_unused:UNUSED_PAD src0_sel:WORD_0 src1_sel:DWORD
	v_or_b32_sdwa v4, v7, v12 dst_sel:DWORD dst_unused:UNUSED_PAD src0_sel:WORD_0 src1_sel:DWORD
	v_or_b32_sdwa v3, v10, v6 dst_sel:DWORD dst_unused:UNUSED_PAD src0_sel:WORD_0 src1_sel:DWORD
	v_or_b32_sdwa v1, v8, v15 dst_sel:DWORD dst_unused:UNUSED_PAD src0_sel:WORD_0 src1_sel:DWORD
	global_store_dwordx2 v5, v[3:4], s[0:1]
	global_store_dwordx2 v5, v[1:2], s[0:1] offset:2048
	s_mov_b64 s[0:1], 0
.LBB25_2:
	s_andn2_b64 vcc, exec, s[0:1]
	s_cbranch_vccnz .LBB25_52
; %bb.3:
	v_cmp_gt_i32_e32 vcc, s8, v0
	v_or_b32_e32 v3, 0x100, v0
	v_mov_b32_e32 v20, 0
	v_or_b32_e32 v4, s11, v0
	v_mov_b32_e32 v19, 0
	v_mov_b32_e32 v18, 0
	;; [unrolled: 1-line block ×15, first 2 shown]
	s_and_saveexec_b64 s[2:3], vcc
	s_cbranch_execz .LBB25_35
; %bb.4:
	global_load_ubyte v11, v4, s[14:15]
	v_cmp_gt_u32_e64 s[0:1], s8, v3
	v_mov_b32_e32 v12, 0
	v_mov_b32_e32 v13, 0
	;; [unrolled: 1-line block ×15, first 2 shown]
	s_and_saveexec_b64 s[4:5], s[0:1]
	s_cbranch_execz .LBB25_34
; %bb.5:
	v_add_u32_e32 v1, s11, v0
	global_load_ubyte v12, v1, s[14:15] offset:256
	v_or_b32_e32 v2, 0x200, v0
	v_mov_b32_e32 v13, 0
	v_cmp_gt_u32_e64 s[0:1], s8, v2
	v_mov_b32_e32 v9, 0
	v_mov_b32_e32 v7, 0
	;; [unrolled: 1-line block ×13, first 2 shown]
	s_and_saveexec_b64 s[6:7], s[0:1]
	s_cbranch_execz .LBB25_33
; %bb.6:
	v_mov_b32_e32 v2, s15
	v_add_co_u32_e64 v1, s[0:1], s14, v1
	v_addc_co_u32_e64 v2, s[0:1], 0, v2, s[0:1]
	global_load_ubyte v13, v[1:2], off offset:512
	v_or_b32_e32 v5, 0x300, v0
	v_cmp_gt_u32_e64 s[0:1], s8, v5
	v_mov_b32_e32 v9, 0
	v_mov_b32_e32 v7, 0
	;; [unrolled: 1-line block ×13, first 2 shown]
	s_and_saveexec_b64 s[14:15], s[0:1]
	s_cbranch_execz .LBB25_32
; %bb.7:
	global_load_ubyte v9, v[1:2], off offset:768
	v_or_b32_e32 v5, 0x400, v0
	v_cmp_gt_u32_e64 s[0:1], s8, v5
	v_mov_b32_e32 v7, 0
	v_mov_b32_e32 v5, 0
	;; [unrolled: 1-line block ×12, first 2 shown]
	s_and_saveexec_b64 s[16:17], s[0:1]
	s_cbranch_execz .LBB25_31
; %bb.8:
	global_load_ubyte v7, v[1:2], off offset:1024
	v_or_b32_e32 v5, 0x500, v0
	v_cmp_gt_u32_e64 s[0:1], s8, v5
	v_mov_b32_e32 v5, 0
	v_mov_b32_e32 v8, 0
	;; [unrolled: 1-line block ×11, first 2 shown]
	s_and_saveexec_b64 s[18:19], s[0:1]
	s_cbranch_execz .LBB25_30
; %bb.9:
	global_load_ubyte v5, v[1:2], off offset:1280
	v_or_b32_e32 v6, 0x600, v0
	v_cmp_gt_u32_e64 s[0:1], s8, v6
	v_mov_b32_e32 v8, 0
	v_mov_b32_e32 v6, 0
	;; [unrolled: 1-line block ×10, first 2 shown]
	s_and_saveexec_b64 s[20:21], s[0:1]
	s_cbranch_execz .LBB25_29
; %bb.10:
	global_load_ubyte v8, v[1:2], off offset:1536
	v_or_b32_e32 v6, 0x700, v0
	v_cmp_gt_u32_e64 s[0:1], s8, v6
	v_mov_b32_e32 v6, 0
	v_mov_b32_e32 v10, 0
	;; [unrolled: 1-line block ×9, first 2 shown]
	s_and_saveexec_b64 s[22:23], s[0:1]
	s_cbranch_execz .LBB25_28
; %bb.11:
	global_load_ubyte v6, v[1:2], off offset:1792
	v_or_b32_e32 v10, 0x800, v0
	v_cmp_gt_u32_e64 s[0:1], s8, v10
	v_mov_b32_e32 v10, 0
	v_mov_b32_e32 v14, 0
	;; [unrolled: 1-line block ×8, first 2 shown]
	s_and_saveexec_b64 s[24:25], s[0:1]
	s_cbranch_execz .LBB25_27
; %bb.12:
	global_load_ubyte v10, v[1:2], off offset:2048
	v_or_b32_e32 v14, 0x900, v0
	v_cmp_gt_u32_e64 s[0:1], s8, v14
	v_mov_b32_e32 v14, 0
	v_mov_b32_e32 v15, 0
	;; [unrolled: 1-line block ×7, first 2 shown]
	s_and_saveexec_b64 s[26:27], s[0:1]
	s_cbranch_execz .LBB25_26
; %bb.13:
	global_load_ubyte v14, v[1:2], off offset:2304
	v_or_b32_e32 v15, 0xa00, v0
	v_cmp_gt_u32_e64 s[0:1], s8, v15
	v_mov_b32_e32 v15, 0
	v_mov_b32_e32 v16, 0
	;; [unrolled: 1-line block ×6, first 2 shown]
	s_and_saveexec_b64 s[28:29], s[0:1]
	s_cbranch_execz .LBB25_25
; %bb.14:
	global_load_ubyte v15, v[1:2], off offset:2560
	v_or_b32_e32 v16, 0xb00, v0
	v_cmp_gt_u32_e64 s[0:1], s8, v16
	v_mov_b32_e32 v16, 0
	v_mov_b32_e32 v17, 0
	;; [unrolled: 1-line block ×5, first 2 shown]
	s_and_saveexec_b64 s[30:31], s[0:1]
	s_cbranch_execz .LBB25_24
; %bb.15:
	global_load_ubyte v16, v[1:2], off offset:2816
	v_or_b32_e32 v17, 0xc00, v0
	v_cmp_gt_u32_e64 s[0:1], s8, v17
	v_mov_b32_e32 v17, 0
	v_mov_b32_e32 v18, 0
	;; [unrolled: 1-line block ×4, first 2 shown]
	s_and_saveexec_b64 s[34:35], s[0:1]
	s_cbranch_execz .LBB25_23
; %bb.16:
	global_load_ubyte v17, v[1:2], off offset:3072
	v_or_b32_e32 v18, 0xd00, v0
	v_cmp_gt_u32_e64 s[0:1], s8, v18
	v_mov_b32_e32 v18, 0
	v_mov_b32_e32 v19, 0
	;; [unrolled: 1-line block ×3, first 2 shown]
	s_and_saveexec_b64 s[36:37], s[0:1]
	s_cbranch_execz .LBB25_22
; %bb.17:
	global_load_ubyte v18, v[1:2], off offset:3328
	v_or_b32_e32 v19, 0xe00, v0
	v_cmp_gt_u32_e64 s[0:1], s8, v19
	v_mov_b32_e32 v19, 0
	v_mov_b32_e32 v20, 0
	s_and_saveexec_b64 s[38:39], s[0:1]
	s_cbranch_execz .LBB25_21
; %bb.18:
	global_load_ubyte v19, v[1:2], off offset:3584
	v_or_b32_e32 v20, 0xf00, v0
	v_cmp_gt_u32_e64 s[0:1], s8, v20
	v_mov_b32_e32 v20, 0
	s_and_saveexec_b64 s[40:41], s[0:1]
	s_cbranch_execz .LBB25_20
; %bb.19:
	global_load_ubyte v20, v[1:2], off offset:3840
.LBB25_20:
	s_or_b64 exec, exec, s[40:41]
.LBB25_21:
	s_or_b64 exec, exec, s[38:39]
.LBB25_22:
	s_or_b64 exec, exec, s[36:37]
.LBB25_23:
	s_or_b64 exec, exec, s[34:35]
.LBB25_24:
	s_or_b64 exec, exec, s[30:31]
.LBB25_25:
	s_or_b64 exec, exec, s[28:29]
.LBB25_26:
	s_or_b64 exec, exec, s[26:27]
.LBB25_27:
	s_or_b64 exec, exec, s[24:25]
.LBB25_28:
	s_or_b64 exec, exec, s[22:23]
.LBB25_29:
	s_or_b64 exec, exec, s[20:21]
.LBB25_30:
	s_or_b64 exec, exec, s[18:19]
.LBB25_31:
	s_or_b64 exec, exec, s[16:17]
.LBB25_32:
	s_or_b64 exec, exec, s[14:15]
.LBB25_33:
	s_or_b64 exec, exec, s[6:7]
.LBB25_34:
	s_or_b64 exec, exec, s[4:5]
.LBB25_35:
	s_or_b64 exec, exec, s[2:3]
	s_cmp_eq_u32 s9, 0
	s_cselect_b64 s[2:3], -1, 0
	s_and_b32 s5, s10, 0xff
	s_waitcnt vmcnt(0)
	v_cmp_ne_u16_sdwa s[0:1], v11, s5 src0_sel:BYTE_0 src1_sel:DWORD
	s_xor_b64 s[0:1], s[2:3], s[0:1]
	v_cndmask_b32_e64 v1, 0, 1, s[0:1]
	v_cmp_ne_u16_sdwa s[0:1], v12, s5 src0_sel:BYTE_0 src1_sel:DWORD
	s_xor_b64 s[0:1], s[2:3], s[0:1]
	v_cndmask_b32_e64 v2, 0, 1, s[0:1]
	v_cndmask_b32_e32 v1, 0, v1, vcc
	v_lshlrev_b16_e32 v2, 8, v2
	v_or_b32_e32 v2, v1, v2
	v_and_b32_e32 v2, 0xffff, v2
	v_cmp_gt_i32_e64 s[0:1], s8, v3
	v_cndmask_b32_e64 v1, v1, v2, s[0:1]
	v_cmp_ne_u16_sdwa s[0:1], v13, s5 src0_sel:BYTE_0 src1_sel:DWORD
	s_xor_b64 s[0:1], s[2:3], s[0:1]
	v_or_b32_e32 v2, 0x200, v0
	v_cndmask_b32_e64 v11, 0, 1, s[0:1]
	v_lshl_or_b32 v11, v11, 16, v1
	v_cmp_gt_i32_e64 s[0:1], s8, v2
	v_cndmask_b32_e64 v1, v1, v11, s[0:1]
	v_cmp_ne_u16_sdwa s[0:1], v9, s5 src0_sel:BYTE_0 src1_sel:DWORD
	s_xor_b64 s[0:1], s[2:3], s[0:1]
	s_movk_i32 s4, 0xff
	v_cndmask_b32_e64 v9, 0, 1, s[0:1]
	v_and_b32_sdwa v2, v1, s4 dst_sel:DWORD dst_unused:UNUSED_PAD src0_sel:WORD_1 src1_sel:DWORD
	v_lshlrev_b16_e32 v9, 8, v9
	s_mov_b32 s6, 0xffff
	v_or_b32_e32 v11, 0x300, v0
	v_or_b32_sdwa v2, v2, v9 dst_sel:WORD_1 dst_unused:UNUSED_PAD src0_sel:DWORD src1_sel:DWORD
	v_and_or_b32 v2, v1, s6, v2
	v_cmp_gt_i32_e64 s[0:1], s8, v11
	v_cndmask_b32_e64 v9, v1, v2, s[0:1]
	v_cmp_ne_u16_sdwa s[0:1], v7, s5 src0_sel:BYTE_0 src1_sel:DWORD
	s_xor_b64 s[0:1], s[2:3], s[0:1]
	v_cndmask_b32_e64 v1, 0, 1, s[0:1]
	v_or_b32_e32 v2, 0x400, v0
	v_and_b32_e32 v1, 0xffff, v1
	v_cmp_gt_i32_e64 s[0:1], s8, v2
	v_cndmask_b32_e64 v1, 0, v1, s[0:1]
	v_cmp_ne_u16_sdwa s[0:1], v5, s5 src0_sel:BYTE_0 src1_sel:DWORD
	s_xor_b64 s[0:1], s[2:3], s[0:1]
	v_cndmask_b32_e64 v5, 0, 1, s[0:1]
	v_lshlrev_b16_e32 v5, 8, v5
	v_or_b32_e32 v2, 0x500, v0
	v_or_b32_sdwa v5, v1, v5 dst_sel:DWORD dst_unused:UNUSED_PAD src0_sel:BYTE_0 src1_sel:DWORD
	v_and_b32_e32 v5, 0xffff, v5
	v_cmp_gt_i32_e64 s[0:1], s8, v2
	v_cndmask_b32_e64 v1, v1, v5, s[0:1]
	v_cmp_ne_u16_sdwa s[0:1], v8, s5 src0_sel:BYTE_0 src1_sel:DWORD
	s_movk_i32 s7, 0xff00
	s_xor_b64 s[0:1], s[2:3], s[0:1]
	v_and_b32_sdwa v2, v1, s7 dst_sel:DWORD dst_unused:UNUSED_PAD src0_sel:WORD_1 src1_sel:DWORD
	v_cndmask_b32_e64 v5, 0, 1, s[0:1]
	v_or_b32_sdwa v2, v5, v2 dst_sel:WORD_1 dst_unused:UNUSED_PAD src0_sel:DWORD src1_sel:DWORD
	v_or_b32_e32 v5, 0x600, v0
	v_and_or_b32 v2, v1, s6, v2
	v_cmp_gt_i32_e64 s[0:1], s8, v5
	v_cndmask_b32_e64 v1, v1, v2, s[0:1]
	v_cmp_ne_u16_sdwa s[0:1], v6, s5 src0_sel:BYTE_0 src1_sel:DWORD
	s_xor_b64 s[0:1], s[2:3], s[0:1]
	v_cndmask_b32_e64 v6, 0, 1, s[0:1]
	v_and_b32_sdwa v2, v1, s4 dst_sel:DWORD dst_unused:UNUSED_PAD src0_sel:WORD_1 src1_sel:DWORD
	v_lshlrev_b16_e32 v6, 8, v6
	v_or_b32_e32 v5, 0x700, v0
	v_or_b32_sdwa v2, v2, v6 dst_sel:WORD_1 dst_unused:UNUSED_PAD src0_sel:DWORD src1_sel:DWORD
	v_and_or_b32 v2, v1, s6, v2
	v_cmp_gt_i32_e64 s[0:1], s8, v5
	v_cndmask_b32_e64 v5, v1, v2, s[0:1]
	v_cmp_ne_u16_sdwa s[0:1], v10, s5 src0_sel:BYTE_0 src1_sel:DWORD
	v_or_b32_e32 v1, 0x800, v0
	s_xor_b64 s[0:1], s[2:3], s[0:1]
	v_cndmask_b32_e64 v2, 0, 1, s[0:1]
	v_cmp_gt_i32_e64 s[0:1], s8, v1
	v_cndmask_b32_e64 v1, 0, v2, s[0:1]
	v_cmp_ne_u16_sdwa s[0:1], v14, s5 src0_sel:BYTE_0 src1_sel:DWORD
	s_xor_b64 s[0:1], s[2:3], s[0:1]
	v_cndmask_b32_e64 v6, 0, 1, s[0:1]
	v_lshlrev_b16_e32 v6, 8, v6
	v_or_b32_e32 v2, 0x900, v0
	v_or_b32_e32 v6, v1, v6
	v_and_b32_e32 v6, 0xffff, v6
	v_cmp_gt_i32_e64 s[0:1], s8, v2
	v_cndmask_b32_e64 v1, v1, v6, s[0:1]
	v_cmp_ne_u16_sdwa s[0:1], v15, s5 src0_sel:BYTE_0 src1_sel:DWORD
	s_xor_b64 s[0:1], s[2:3], s[0:1]
	v_cndmask_b32_e64 v6, 0, 1, s[0:1]
	v_or_b32_e32 v2, 0xa00, v0
	v_lshlrev_b32_e32 v6, 16, v6
	s_movk_i32 s0, 0x1ff
	v_and_or_b32 v6, v1, s0, v6
	v_cmp_gt_i32_e64 s[0:1], s8, v2
	v_cndmask_b32_e64 v1, v1, v6, s[0:1]
	v_cmp_ne_u16_sdwa s[0:1], v16, s5 src0_sel:BYTE_0 src1_sel:DWORD
	s_xor_b64 s[0:1], s[2:3], s[0:1]
	v_cndmask_b32_e64 v7, 0, 1, s[0:1]
	v_and_b32_sdwa v2, v1, s4 dst_sel:DWORD dst_unused:UNUSED_PAD src0_sel:WORD_1 src1_sel:DWORD
	v_lshlrev_b16_e32 v7, 8, v7
	v_or_b32_e32 v6, 0xb00, v0
	v_or_b32_sdwa v2, v2, v7 dst_sel:WORD_1 dst_unused:UNUSED_PAD src0_sel:DWORD src1_sel:DWORD
	v_and_or_b32 v2, v1, s6, v2
	v_cmp_gt_i32_e64 s[0:1], s8, v6
	v_cndmask_b32_e64 v2, v1, v2, s[0:1]
	v_cmp_ne_u16_sdwa s[0:1], v17, s5 src0_sel:BYTE_0 src1_sel:DWORD
	v_or_b32_e32 v1, 0xc00, v0
	s_xor_b64 s[0:1], s[2:3], s[0:1]
	v_cndmask_b32_e64 v6, 0, 1, s[0:1]
	v_cmp_gt_i32_e64 s[0:1], s8, v1
	v_cndmask_b32_e64 v1, 0, v6, s[0:1]
	v_cmp_ne_u16_sdwa s[0:1], v18, s5 src0_sel:BYTE_0 src1_sel:DWORD
	s_xor_b64 s[0:1], s[2:3], s[0:1]
	v_cndmask_b32_e64 v7, 0, 1, s[0:1]
	v_lshlrev_b16_e32 v7, 8, v7
	v_or_b32_e32 v6, 0xd00, v0
	v_or_b32_sdwa v7, v1, v7 dst_sel:DWORD dst_unused:UNUSED_PAD src0_sel:BYTE_0 src1_sel:DWORD
	v_and_b32_e32 v7, 0xffff, v7
	v_cmp_gt_i32_e64 s[0:1], s8, v6
	v_cndmask_b32_e64 v1, v1, v7, s[0:1]
	v_cmp_ne_u16_sdwa s[0:1], v19, s5 src0_sel:BYTE_0 src1_sel:DWORD
	s_xor_b64 s[0:1], s[2:3], s[0:1]
	v_and_b32_sdwa v6, v1, s7 dst_sel:DWORD dst_unused:UNUSED_PAD src0_sel:WORD_1 src1_sel:DWORD
	v_cndmask_b32_e64 v7, 0, 1, s[0:1]
	v_or_b32_sdwa v6, v7, v6 dst_sel:WORD_1 dst_unused:UNUSED_PAD src0_sel:DWORD src1_sel:DWORD
	v_or_b32_e32 v7, 0xe00, v0
	v_and_or_b32 v6, v1, s6, v6
	v_cmp_gt_i32_e64 s[0:1], s8, v7
	v_cndmask_b32_e64 v1, v1, v6, s[0:1]
	v_cmp_ne_u16_sdwa s[0:1], v20, s5 src0_sel:BYTE_0 src1_sel:DWORD
	s_xor_b64 s[0:1], s[2:3], s[0:1]
	v_cndmask_b32_e64 v8, 0, 1, s[0:1]
	v_and_b32_sdwa v6, v1, s4 dst_sel:DWORD dst_unused:UNUSED_PAD src0_sel:WORD_1 src1_sel:DWORD
	v_lshlrev_b16_e32 v8, 8, v8
	v_or_b32_e32 v7, 0xf00, v0
	v_or_b32_sdwa v6, v6, v8 dst_sel:WORD_1 dst_unused:UNUSED_PAD src0_sel:DWORD src1_sel:DWORD
	v_and_or_b32 v6, v1, s6, v6
	v_cmp_gt_i32_e64 s[0:1], s8, v7
	v_cndmask_b32_e64 v1, v1, v6, s[0:1]
	s_and_saveexec_b64 s[0:1], vcc
	s_cbranch_execnz .LBB25_53
; %bb.36:
	s_or_b64 exec, exec, s[0:1]
	v_cmp_gt_i32_e32 vcc, s8, v0
	s_and_saveexec_b64 s[0:1], vcc
	s_cbranch_execnz .LBB25_54
.LBB25_37:
	s_or_b64 exec, exec, s[0:1]
	v_cmp_gt_i32_e32 vcc, s8, v0
	s_and_saveexec_b64 s[0:1], vcc
	s_cbranch_execnz .LBB25_55
.LBB25_38:
	s_or_b64 exec, exec, s[0:1]
	v_cmp_gt_i32_e32 vcc, s8, v0
	s_and_saveexec_b64 s[0:1], vcc
	s_cbranch_execnz .LBB25_56
.LBB25_39:
	s_or_b64 exec, exec, s[0:1]
	v_cmp_gt_i32_e32 vcc, s8, v0
	s_and_saveexec_b64 s[0:1], vcc
	s_cbranch_execnz .LBB25_57
.LBB25_40:
	s_or_b64 exec, exec, s[0:1]
	v_cmp_gt_i32_e32 vcc, s8, v0
	s_and_saveexec_b64 s[0:1], vcc
	s_cbranch_execnz .LBB25_58
.LBB25_41:
	s_or_b64 exec, exec, s[0:1]
	v_cmp_gt_i32_e32 vcc, s8, v0
	s_and_saveexec_b64 s[0:1], vcc
	s_cbranch_execnz .LBB25_59
.LBB25_42:
	s_or_b64 exec, exec, s[0:1]
	v_cmp_gt_i32_e32 vcc, s8, v0
	s_and_saveexec_b64 s[0:1], vcc
	s_cbranch_execnz .LBB25_60
.LBB25_43:
	s_or_b64 exec, exec, s[0:1]
	v_cmp_gt_i32_e32 vcc, s8, v0
	s_and_saveexec_b64 s[0:1], vcc
	s_cbranch_execnz .LBB25_61
.LBB25_44:
	s_or_b64 exec, exec, s[0:1]
	v_cmp_gt_i32_e32 vcc, s8, v0
	s_and_saveexec_b64 s[0:1], vcc
	s_cbranch_execnz .LBB25_62
.LBB25_45:
	s_or_b64 exec, exec, s[0:1]
	v_cmp_gt_i32_e32 vcc, s8, v0
	s_and_saveexec_b64 s[0:1], vcc
	s_cbranch_execnz .LBB25_63
.LBB25_46:
	s_or_b64 exec, exec, s[0:1]
	v_cmp_gt_i32_e32 vcc, s8, v0
	s_and_saveexec_b64 s[0:1], vcc
	s_cbranch_execnz .LBB25_64
.LBB25_47:
	s_or_b64 exec, exec, s[0:1]
	v_cmp_gt_i32_e32 vcc, s8, v0
	s_and_saveexec_b64 s[0:1], vcc
	s_cbranch_execnz .LBB25_65
.LBB25_48:
	s_or_b64 exec, exec, s[0:1]
	v_cmp_gt_i32_e32 vcc, s8, v0
	s_and_saveexec_b64 s[0:1], vcc
	s_cbranch_execnz .LBB25_66
.LBB25_49:
	s_or_b64 exec, exec, s[0:1]
	v_cmp_gt_i32_e32 vcc, s8, v0
	s_and_saveexec_b64 s[0:1], vcc
	s_cbranch_execnz .LBB25_67
.LBB25_50:
	s_or_b64 exec, exec, s[0:1]
	v_cmp_gt_i32_e32 vcc, s8, v0
	s_and_saveexec_b64 s[0:1], vcc
	s_cbranch_execz .LBB25_52
.LBB25_51:
	v_lshrrev_b32_e32 v1, 24, v1
	v_add_u32_e32 v0, s11, v0
	global_store_byte v0, v1, s[12:13]
.LBB25_52:
	s_endpgm
.LBB25_53:
	v_mov_b32_e32 v0, v3
	global_store_byte v4, v9, s[12:13]
	s_or_b64 exec, exec, s[0:1]
	v_cmp_gt_i32_e32 vcc, s8, v0
	s_and_saveexec_b64 s[0:1], vcc
	s_cbranch_execz .LBB25_37
.LBB25_54:
	v_lshrrev_b32_e32 v3, 8, v9
	v_add_u32_e32 v4, s11, v0
	v_add_u32_e32 v0, 0x100, v0
	global_store_byte v4, v3, s[12:13]
	s_or_b64 exec, exec, s[0:1]
	v_cmp_gt_i32_e32 vcc, s8, v0
	s_and_saveexec_b64 s[0:1], vcc
	s_cbranch_execz .LBB25_38
.LBB25_55:
	v_add_u32_e32 v3, s11, v0
	v_add_u32_e32 v0, 0x100, v0
	global_store_byte_d16_hi v3, v9, s[12:13]
	s_or_b64 exec, exec, s[0:1]
	v_cmp_gt_i32_e32 vcc, s8, v0
	s_and_saveexec_b64 s[0:1], vcc
	s_cbranch_execz .LBB25_39
.LBB25_56:
	v_lshrrev_b32_e32 v3, 24, v9
	v_add_u32_e32 v4, s11, v0
	v_add_u32_e32 v0, 0x100, v0
	global_store_byte v4, v3, s[12:13]
	s_or_b64 exec, exec, s[0:1]
	v_cmp_gt_i32_e32 vcc, s8, v0
	s_and_saveexec_b64 s[0:1], vcc
	s_cbranch_execz .LBB25_40
.LBB25_57:
	v_add_u32_e32 v3, s11, v0
	v_add_u32_e32 v0, 0x100, v0
	global_store_byte v3, v5, s[12:13]
	s_or_b64 exec, exec, s[0:1]
	v_cmp_gt_i32_e32 vcc, s8, v0
	s_and_saveexec_b64 s[0:1], vcc
	s_cbranch_execz .LBB25_41
.LBB25_58:
	v_lshrrev_b32_e32 v3, 8, v5
	v_add_u32_e32 v4, s11, v0
	v_add_u32_e32 v0, 0x100, v0
	global_store_byte v4, v3, s[12:13]
	s_or_b64 exec, exec, s[0:1]
	v_cmp_gt_i32_e32 vcc, s8, v0
	s_and_saveexec_b64 s[0:1], vcc
	s_cbranch_execz .LBB25_42
.LBB25_59:
	v_add_u32_e32 v3, s11, v0
	v_add_u32_e32 v0, 0x100, v0
	global_store_byte_d16_hi v3, v5, s[12:13]
	s_or_b64 exec, exec, s[0:1]
	v_cmp_gt_i32_e32 vcc, s8, v0
	s_and_saveexec_b64 s[0:1], vcc
	s_cbranch_execz .LBB25_43
.LBB25_60:
	v_lshrrev_b32_e32 v3, 24, v5
	v_add_u32_e32 v4, s11, v0
	v_add_u32_e32 v0, 0x100, v0
	global_store_byte v4, v3, s[12:13]
	s_or_b64 exec, exec, s[0:1]
	v_cmp_gt_i32_e32 vcc, s8, v0
	s_and_saveexec_b64 s[0:1], vcc
	s_cbranch_execz .LBB25_44
.LBB25_61:
	v_add_u32_e32 v3, s11, v0
	v_add_u32_e32 v0, 0x100, v0
	global_store_byte v3, v2, s[12:13]
	s_or_b64 exec, exec, s[0:1]
	v_cmp_gt_i32_e32 vcc, s8, v0
	s_and_saveexec_b64 s[0:1], vcc
	s_cbranch_execz .LBB25_45
.LBB25_62:
	v_lshrrev_b32_e32 v3, 8, v2
	v_add_u32_e32 v4, s11, v0
	v_add_u32_e32 v0, 0x100, v0
	global_store_byte v4, v3, s[12:13]
	s_or_b64 exec, exec, s[0:1]
	v_cmp_gt_i32_e32 vcc, s8, v0
	s_and_saveexec_b64 s[0:1], vcc
	s_cbranch_execz .LBB25_46
.LBB25_63:
	v_add_u32_e32 v3, s11, v0
	v_add_u32_e32 v0, 0x100, v0
	global_store_byte_d16_hi v3, v2, s[12:13]
	s_or_b64 exec, exec, s[0:1]
	v_cmp_gt_i32_e32 vcc, s8, v0
	s_and_saveexec_b64 s[0:1], vcc
	s_cbranch_execz .LBB25_47
.LBB25_64:
	v_lshrrev_b32_e32 v2, 24, v2
	v_add_u32_e32 v3, s11, v0
	v_add_u32_e32 v0, 0x100, v0
	global_store_byte v3, v2, s[12:13]
	s_or_b64 exec, exec, s[0:1]
	v_cmp_gt_i32_e32 vcc, s8, v0
	s_and_saveexec_b64 s[0:1], vcc
	s_cbranch_execz .LBB25_48
.LBB25_65:
	v_add_u32_e32 v2, s11, v0
	v_add_u32_e32 v0, 0x100, v0
	global_store_byte v2, v1, s[12:13]
	s_or_b64 exec, exec, s[0:1]
	v_cmp_gt_i32_e32 vcc, s8, v0
	s_and_saveexec_b64 s[0:1], vcc
	s_cbranch_execz .LBB25_49
.LBB25_66:
	v_lshrrev_b32_e32 v2, 8, v1
	v_add_u32_e32 v3, s11, v0
	v_add_u32_e32 v0, 0x100, v0
	global_store_byte v3, v2, s[12:13]
	s_or_b64 exec, exec, s[0:1]
	v_cmp_gt_i32_e32 vcc, s8, v0
	s_and_saveexec_b64 s[0:1], vcc
	s_cbranch_execz .LBB25_50
.LBB25_67:
	v_add_u32_e32 v2, s11, v0
	v_add_u32_e32 v0, 0x100, v0
	global_store_byte_d16_hi v2, v1, s[12:13]
	s_or_b64 exec, exec, s[0:1]
	v_cmp_gt_i32_e32 vcc, s8, v0
	s_and_saveexec_b64 s[0:1], vcc
	s_cbranch_execnz .LBB25_51
	s_branch .LBB25_52
	.section	.rodata,"a",@progbits
	.p2align	6, 0x0
	.amdhsa_kernel _ZN2at6native29vectorized_elementwise_kernelILi8ENS0_13AUnaryFunctorIaabNS0_12_GLOBAL__N_116CompareEqFunctorIaEEEESt5arrayIPcLm2EEEEviT0_T1_
		.amdhsa_group_segment_fixed_size 0
		.amdhsa_private_segment_fixed_size 0
		.amdhsa_kernarg_size 32
		.amdhsa_user_sgpr_count 6
		.amdhsa_user_sgpr_private_segment_buffer 1
		.amdhsa_user_sgpr_dispatch_ptr 0
		.amdhsa_user_sgpr_queue_ptr 0
		.amdhsa_user_sgpr_kernarg_segment_ptr 1
		.amdhsa_user_sgpr_dispatch_id 0
		.amdhsa_user_sgpr_flat_scratch_init 0
		.amdhsa_user_sgpr_private_segment_size 0
		.amdhsa_uses_dynamic_stack 0
		.amdhsa_system_sgpr_private_segment_wavefront_offset 0
		.amdhsa_system_sgpr_workgroup_id_x 1
		.amdhsa_system_sgpr_workgroup_id_y 0
		.amdhsa_system_sgpr_workgroup_id_z 0
		.amdhsa_system_sgpr_workgroup_info 0
		.amdhsa_system_vgpr_workitem_id 0
		.amdhsa_next_free_vgpr 21
		.amdhsa_next_free_sgpr 42
		.amdhsa_reserve_vcc 1
		.amdhsa_reserve_flat_scratch 0
		.amdhsa_float_round_mode_32 0
		.amdhsa_float_round_mode_16_64 0
		.amdhsa_float_denorm_mode_32 3
		.amdhsa_float_denorm_mode_16_64 3
		.amdhsa_dx10_clamp 1
		.amdhsa_ieee_mode 1
		.amdhsa_fp16_overflow 0
		.amdhsa_exception_fp_ieee_invalid_op 0
		.amdhsa_exception_fp_denorm_src 0
		.amdhsa_exception_fp_ieee_div_zero 0
		.amdhsa_exception_fp_ieee_overflow 0
		.amdhsa_exception_fp_ieee_underflow 0
		.amdhsa_exception_fp_ieee_inexact 0
		.amdhsa_exception_int_div_zero 0
	.end_amdhsa_kernel
	.section	.text._ZN2at6native29vectorized_elementwise_kernelILi8ENS0_13AUnaryFunctorIaabNS0_12_GLOBAL__N_116CompareEqFunctorIaEEEESt5arrayIPcLm2EEEEviT0_T1_,"axG",@progbits,_ZN2at6native29vectorized_elementwise_kernelILi8ENS0_13AUnaryFunctorIaabNS0_12_GLOBAL__N_116CompareEqFunctorIaEEEESt5arrayIPcLm2EEEEviT0_T1_,comdat
.Lfunc_end25:
	.size	_ZN2at6native29vectorized_elementwise_kernelILi8ENS0_13AUnaryFunctorIaabNS0_12_GLOBAL__N_116CompareEqFunctorIaEEEESt5arrayIPcLm2EEEEviT0_T1_, .Lfunc_end25-_ZN2at6native29vectorized_elementwise_kernelILi8ENS0_13AUnaryFunctorIaabNS0_12_GLOBAL__N_116CompareEqFunctorIaEEEESt5arrayIPcLm2EEEEviT0_T1_
                                        ; -- End function
	.set _ZN2at6native29vectorized_elementwise_kernelILi8ENS0_13AUnaryFunctorIaabNS0_12_GLOBAL__N_116CompareEqFunctorIaEEEESt5arrayIPcLm2EEEEviT0_T1_.num_vgpr, 21
	.set _ZN2at6native29vectorized_elementwise_kernelILi8ENS0_13AUnaryFunctorIaabNS0_12_GLOBAL__N_116CompareEqFunctorIaEEEESt5arrayIPcLm2EEEEviT0_T1_.num_agpr, 0
	.set _ZN2at6native29vectorized_elementwise_kernelILi8ENS0_13AUnaryFunctorIaabNS0_12_GLOBAL__N_116CompareEqFunctorIaEEEESt5arrayIPcLm2EEEEviT0_T1_.numbered_sgpr, 42
	.set _ZN2at6native29vectorized_elementwise_kernelILi8ENS0_13AUnaryFunctorIaabNS0_12_GLOBAL__N_116CompareEqFunctorIaEEEESt5arrayIPcLm2EEEEviT0_T1_.num_named_barrier, 0
	.set _ZN2at6native29vectorized_elementwise_kernelILi8ENS0_13AUnaryFunctorIaabNS0_12_GLOBAL__N_116CompareEqFunctorIaEEEESt5arrayIPcLm2EEEEviT0_T1_.private_seg_size, 0
	.set _ZN2at6native29vectorized_elementwise_kernelILi8ENS0_13AUnaryFunctorIaabNS0_12_GLOBAL__N_116CompareEqFunctorIaEEEESt5arrayIPcLm2EEEEviT0_T1_.uses_vcc, 1
	.set _ZN2at6native29vectorized_elementwise_kernelILi8ENS0_13AUnaryFunctorIaabNS0_12_GLOBAL__N_116CompareEqFunctorIaEEEESt5arrayIPcLm2EEEEviT0_T1_.uses_flat_scratch, 0
	.set _ZN2at6native29vectorized_elementwise_kernelILi8ENS0_13AUnaryFunctorIaabNS0_12_GLOBAL__N_116CompareEqFunctorIaEEEESt5arrayIPcLm2EEEEviT0_T1_.has_dyn_sized_stack, 0
	.set _ZN2at6native29vectorized_elementwise_kernelILi8ENS0_13AUnaryFunctorIaabNS0_12_GLOBAL__N_116CompareEqFunctorIaEEEESt5arrayIPcLm2EEEEviT0_T1_.has_recursion, 0
	.set _ZN2at6native29vectorized_elementwise_kernelILi8ENS0_13AUnaryFunctorIaabNS0_12_GLOBAL__N_116CompareEqFunctorIaEEEESt5arrayIPcLm2EEEEviT0_T1_.has_indirect_call, 0
	.section	.AMDGPU.csdata,"",@progbits
; Kernel info:
; codeLenInByte = 3548
; TotalNumSgprs: 46
; NumVgprs: 21
; ScratchSize: 0
; MemoryBound: 0
; FloatMode: 240
; IeeeMode: 1
; LDSByteSize: 0 bytes/workgroup (compile time only)
; SGPRBlocks: 5
; VGPRBlocks: 5
; NumSGPRsForWavesPerEU: 46
; NumVGPRsForWavesPerEU: 21
; Occupancy: 10
; WaveLimiterHint : 1
; COMPUTE_PGM_RSRC2:SCRATCH_EN: 0
; COMPUTE_PGM_RSRC2:USER_SGPR: 6
; COMPUTE_PGM_RSRC2:TRAP_HANDLER: 0
; COMPUTE_PGM_RSRC2:TGID_X_EN: 1
; COMPUTE_PGM_RSRC2:TGID_Y_EN: 0
; COMPUTE_PGM_RSRC2:TGID_Z_EN: 0
; COMPUTE_PGM_RSRC2:TIDIG_COMP_CNT: 0
	.section	.text._ZN2at6native29vectorized_elementwise_kernelILi4ENS0_13AUnaryFunctorIaabNS0_12_GLOBAL__N_116CompareEqFunctorIaEEEESt5arrayIPcLm2EEEEviT0_T1_,"axG",@progbits,_ZN2at6native29vectorized_elementwise_kernelILi4ENS0_13AUnaryFunctorIaabNS0_12_GLOBAL__N_116CompareEqFunctorIaEEEESt5arrayIPcLm2EEEEviT0_T1_,comdat
	.globl	_ZN2at6native29vectorized_elementwise_kernelILi4ENS0_13AUnaryFunctorIaabNS0_12_GLOBAL__N_116CompareEqFunctorIaEEEESt5arrayIPcLm2EEEEviT0_T1_ ; -- Begin function _ZN2at6native29vectorized_elementwise_kernelILi4ENS0_13AUnaryFunctorIaabNS0_12_GLOBAL__N_116CompareEqFunctorIaEEEESt5arrayIPcLm2EEEEviT0_T1_
	.p2align	8
	.type	_ZN2at6native29vectorized_elementwise_kernelILi4ENS0_13AUnaryFunctorIaabNS0_12_GLOBAL__N_116CompareEqFunctorIaEEEESt5arrayIPcLm2EEEEviT0_T1_,@function
_ZN2at6native29vectorized_elementwise_kernelILi4ENS0_13AUnaryFunctorIaabNS0_12_GLOBAL__N_116CompareEqFunctorIaEEEESt5arrayIPcLm2EEEEviT0_T1_: ; @_ZN2at6native29vectorized_elementwise_kernelILi4ENS0_13AUnaryFunctorIaabNS0_12_GLOBAL__N_116CompareEqFunctorIaEEEESt5arrayIPcLm2EEEEviT0_T1_
; %bb.0:
	s_load_dwordx8 s[8:15], s[4:5], 0x0
	s_waitcnt lgkmcnt(0)
	s_lshl_b32 s11, s6, 12
	s_mov_b64 s[0:1], -1
	s_sub_i32 s8, s8, s11
	s_cmpk_gt_i32 s8, 0xfff
	s_cbranch_scc0 .LBB26_2
; %bb.1:
	s_ashr_i32 s30, s11, 31
	s_add_u32 s0, s14, s11
	s_addc_u32 s1, s15, s30
	v_lshlrev_b32_e32 v1, 2, v0
	global_load_dword v2, v1, s[0:1]
	global_load_dword v3, v1, s[0:1] offset:1024
	global_load_dword v4, v1, s[0:1] offset:2048
	;; [unrolled: 1-line block ×3, first 2 shown]
	s_cmp_eq_u32 s9, 0
	s_cselect_b64 s[6:7], -1, 0
	s_and_b32 s31, s10, 0xff
	s_movk_i32 s24, 0xff
	s_waitcnt vmcnt(3)
	v_cmp_ne_u16_sdwa s[0:1], v2, s31 src0_sel:BYTE_0 src1_sel:DWORD
	v_cmp_ne_u16_sdwa s[2:3], v2, s31 src0_sel:BYTE_3 src1_sel:DWORD
	s_xor_b64 s[0:1], s[6:7], s[0:1]
	v_lshrrev_b32_e32 v6, 8, v2
	v_and_b32_sdwa v7, v2, s24 dst_sel:DWORD dst_unused:UNUSED_PAD src0_sel:WORD_1 src1_sel:DWORD
	s_waitcnt vmcnt(2)
	v_cmp_ne_u16_sdwa s[4:5], v3, s31 src0_sel:BYTE_0 src1_sel:DWORD
	v_lshrrev_b32_e32 v2, 8, v3
	v_and_b32_sdwa v8, v3, s24 dst_sel:DWORD dst_unused:UNUSED_PAD src0_sel:WORD_1 src1_sel:DWORD
	v_cmp_ne_u16_sdwa s[16:17], v3, s31 src0_sel:BYTE_3 src1_sel:DWORD
	s_waitcnt vmcnt(1)
	v_cmp_ne_u16_sdwa s[18:19], v4, s31 src0_sel:BYTE_0 src1_sel:DWORD
	v_lshrrev_b32_e32 v3, 8, v4
	v_and_b32_sdwa v9, v4, s24 dst_sel:DWORD dst_unused:UNUSED_PAD src0_sel:WORD_1 src1_sel:DWORD
	v_cmp_ne_u16_sdwa s[20:21], v4, s31 src0_sel:BYTE_3 src1_sel:DWORD
	;; [unrolled: 5-line block ×3, first 2 shown]
	v_cndmask_b32_e64 v5, 0, 1, s[0:1]
	s_xor_b64 s[0:1], s[6:7], s[2:3]
	v_cmp_ne_u16_sdwa s[26:27], v6, s31 src0_sel:BYTE_0 src1_sel:DWORD
	v_cndmask_b32_e64 v6, 0, 1, s[0:1]
	s_xor_b64 s[0:1], s[6:7], s[4:5]
	v_cmp_ne_u16_e32 vcc, s31, v7
	v_cndmask_b32_e64 v7, 0, 1, s[0:1]
	v_cmp_ne_u16_e64 s[0:1], s31, v8
	s_xor_b64 s[2:3], s[6:7], s[16:17]
	v_cmp_ne_u16_sdwa s[28:29], v2, s31 src0_sel:BYTE_0 src1_sel:DWORD
	v_cndmask_b32_e64 v2, 0, 1, s[2:3]
	s_xor_b64 s[2:3], s[6:7], s[18:19]
	v_cmp_ne_u16_sdwa s[16:17], v3, s31 src0_sel:BYTE_0 src1_sel:DWORD
	s_xor_b64 s[4:5], s[6:7], s[20:21]
	s_xor_b64 s[20:21], s[6:7], s[24:25]
	;; [unrolled: 1-line block ×3, first 2 shown]
	v_cndmask_b32_e64 v8, 0, 1, s[2:3]
	v_cmp_ne_u16_e64 s[2:3], s31, v9
	v_cndmask_b32_e64 v3, 0, 1, s[4:5]
	s_xor_b64 s[4:5], s[6:7], s[22:23]
	v_cmp_ne_u16_sdwa s[18:19], v4, s31 src0_sel:BYTE_0 src1_sel:DWORD
	v_cndmask_b32_e64 v4, 0, 1, s[20:21]
	s_xor_b64 s[20:21], s[6:7], s[26:27]
	v_cndmask_b32_e64 v13, 0, 1, s[0:1]
	s_xor_b64 s[0:1], s[6:7], s[16:17]
	v_cndmask_b32_e64 v9, 0, 1, s[4:5]
	v_cmp_ne_u16_e64 s[4:5], s31, v10
	v_cndmask_b32_e64 v10, 0, 1, s[20:21]
	s_xor_b64 s[20:21], s[6:7], vcc
	v_cndmask_b32_e64 v14, 0, 1, s[0:1]
	s_xor_b64 s[0:1], s[6:7], s[2:3]
	v_cndmask_b32_e64 v11, 0, 1, s[20:21]
	s_xor_b64 s[20:21], s[6:7], s[28:29]
	;; [unrolled: 2-line block ×3, first 2 shown]
	v_cndmask_b32_e64 v12, 0, 1, s[20:21]
	v_cndmask_b32_e64 v16, 0, 1, s[0:1]
	s_xor_b64 s[0:1], s[6:7], s[4:5]
	v_lshlrev_b16_e32 v6, 8, v6
	v_lshlrev_b16_e32 v10, 8, v10
	v_cndmask_b32_e64 v17, 0, 1, s[0:1]
	v_lshlrev_b16_e32 v4, 8, v4
	v_lshlrev_b16_e32 v3, 8, v3
	;; [unrolled: 1-line block ×6, first 2 shown]
	v_or_b32_sdwa v6, v11, v6 dst_sel:WORD_1 dst_unused:UNUSED_PAD src0_sel:DWORD src1_sel:DWORD
	s_add_u32 s0, s12, s11
	v_or_b32_e32 v5, v5, v10
	v_or_b32_sdwa v4, v17, v4 dst_sel:WORD_1 dst_unused:UNUSED_PAD src0_sel:DWORD src1_sel:DWORD
	v_or_b32_sdwa v3, v15, v3 dst_sel:WORD_1 dst_unused:UNUSED_PAD src0_sel:DWORD src1_sel:DWORD
	;; [unrolled: 1-line block ×3, first 2 shown]
	v_or_b32_e32 v9, v9, v16
	v_or_b32_e32 v8, v8, v14
	v_or_b32_e32 v7, v7, v12
	v_or_b32_sdwa v5, v5, v6 dst_sel:DWORD dst_unused:UNUSED_PAD src0_sel:WORD_0 src1_sel:DWORD
	s_addc_u32 s1, s13, s30
	v_or_b32_sdwa v4, v9, v4 dst_sel:DWORD dst_unused:UNUSED_PAD src0_sel:WORD_0 src1_sel:DWORD
	v_or_b32_sdwa v3, v8, v3 dst_sel:DWORD dst_unused:UNUSED_PAD src0_sel:WORD_0 src1_sel:DWORD
	;; [unrolled: 1-line block ×3, first 2 shown]
	global_store_dword v1, v5, s[0:1]
	global_store_dword v1, v2, s[0:1] offset:1024
	global_store_dword v1, v3, s[0:1] offset:2048
	;; [unrolled: 1-line block ×3, first 2 shown]
	s_mov_b64 s[0:1], 0
.LBB26_2:
	s_andn2_b64 vcc, exec, s[0:1]
	s_cbranch_vccnz .LBB26_52
; %bb.3:
	v_cmp_gt_i32_e32 vcc, s8, v0
	v_or_b32_e32 v3, 0x100, v0
	v_mov_b32_e32 v20, 0
	v_or_b32_e32 v4, s11, v0
	v_mov_b32_e32 v19, 0
	v_mov_b32_e32 v18, 0
	;; [unrolled: 1-line block ×15, first 2 shown]
	s_and_saveexec_b64 s[2:3], vcc
	s_cbranch_execz .LBB26_35
; %bb.4:
	global_load_ubyte v11, v4, s[14:15]
	v_cmp_gt_u32_e64 s[0:1], s8, v3
	v_mov_b32_e32 v12, 0
	v_mov_b32_e32 v13, 0
	;; [unrolled: 1-line block ×15, first 2 shown]
	s_and_saveexec_b64 s[4:5], s[0:1]
	s_cbranch_execz .LBB26_34
; %bb.5:
	v_add_u32_e32 v1, s11, v0
	global_load_ubyte v12, v1, s[14:15] offset:256
	v_or_b32_e32 v2, 0x200, v0
	v_mov_b32_e32 v13, 0
	v_cmp_gt_u32_e64 s[0:1], s8, v2
	v_mov_b32_e32 v9, 0
	v_mov_b32_e32 v7, 0
	;; [unrolled: 1-line block ×13, first 2 shown]
	s_and_saveexec_b64 s[6:7], s[0:1]
	s_cbranch_execz .LBB26_33
; %bb.6:
	v_mov_b32_e32 v2, s15
	v_add_co_u32_e64 v1, s[0:1], s14, v1
	v_addc_co_u32_e64 v2, s[0:1], 0, v2, s[0:1]
	global_load_ubyte v13, v[1:2], off offset:512
	v_or_b32_e32 v5, 0x300, v0
	v_cmp_gt_u32_e64 s[0:1], s8, v5
	v_mov_b32_e32 v9, 0
	v_mov_b32_e32 v7, 0
	;; [unrolled: 1-line block ×13, first 2 shown]
	s_and_saveexec_b64 s[14:15], s[0:1]
	s_cbranch_execz .LBB26_32
; %bb.7:
	global_load_ubyte v9, v[1:2], off offset:768
	v_or_b32_e32 v5, 0x400, v0
	v_cmp_gt_u32_e64 s[0:1], s8, v5
	v_mov_b32_e32 v7, 0
	v_mov_b32_e32 v5, 0
	;; [unrolled: 1-line block ×12, first 2 shown]
	s_and_saveexec_b64 s[16:17], s[0:1]
	s_cbranch_execz .LBB26_31
; %bb.8:
	global_load_ubyte v7, v[1:2], off offset:1024
	v_or_b32_e32 v5, 0x500, v0
	v_cmp_gt_u32_e64 s[0:1], s8, v5
	v_mov_b32_e32 v5, 0
	v_mov_b32_e32 v8, 0
	;; [unrolled: 1-line block ×11, first 2 shown]
	s_and_saveexec_b64 s[18:19], s[0:1]
	s_cbranch_execz .LBB26_30
; %bb.9:
	global_load_ubyte v5, v[1:2], off offset:1280
	v_or_b32_e32 v6, 0x600, v0
	v_cmp_gt_u32_e64 s[0:1], s8, v6
	v_mov_b32_e32 v8, 0
	v_mov_b32_e32 v6, 0
	;; [unrolled: 1-line block ×10, first 2 shown]
	s_and_saveexec_b64 s[20:21], s[0:1]
	s_cbranch_execz .LBB26_29
; %bb.10:
	global_load_ubyte v8, v[1:2], off offset:1536
	v_or_b32_e32 v6, 0x700, v0
	v_cmp_gt_u32_e64 s[0:1], s8, v6
	v_mov_b32_e32 v6, 0
	v_mov_b32_e32 v10, 0
	;; [unrolled: 1-line block ×9, first 2 shown]
	s_and_saveexec_b64 s[22:23], s[0:1]
	s_cbranch_execz .LBB26_28
; %bb.11:
	global_load_ubyte v6, v[1:2], off offset:1792
	v_or_b32_e32 v10, 0x800, v0
	v_cmp_gt_u32_e64 s[0:1], s8, v10
	v_mov_b32_e32 v10, 0
	v_mov_b32_e32 v14, 0
	;; [unrolled: 1-line block ×8, first 2 shown]
	s_and_saveexec_b64 s[24:25], s[0:1]
	s_cbranch_execz .LBB26_27
; %bb.12:
	global_load_ubyte v10, v[1:2], off offset:2048
	v_or_b32_e32 v14, 0x900, v0
	v_cmp_gt_u32_e64 s[0:1], s8, v14
	v_mov_b32_e32 v14, 0
	v_mov_b32_e32 v15, 0
	;; [unrolled: 1-line block ×7, first 2 shown]
	s_and_saveexec_b64 s[26:27], s[0:1]
	s_cbranch_execz .LBB26_26
; %bb.13:
	global_load_ubyte v14, v[1:2], off offset:2304
	v_or_b32_e32 v15, 0xa00, v0
	v_cmp_gt_u32_e64 s[0:1], s8, v15
	v_mov_b32_e32 v15, 0
	v_mov_b32_e32 v16, 0
	;; [unrolled: 1-line block ×6, first 2 shown]
	s_and_saveexec_b64 s[28:29], s[0:1]
	s_cbranch_execz .LBB26_25
; %bb.14:
	global_load_ubyte v15, v[1:2], off offset:2560
	v_or_b32_e32 v16, 0xb00, v0
	v_cmp_gt_u32_e64 s[0:1], s8, v16
	v_mov_b32_e32 v16, 0
	v_mov_b32_e32 v17, 0
	;; [unrolled: 1-line block ×5, first 2 shown]
	s_and_saveexec_b64 s[30:31], s[0:1]
	s_cbranch_execz .LBB26_24
; %bb.15:
	global_load_ubyte v16, v[1:2], off offset:2816
	v_or_b32_e32 v17, 0xc00, v0
	v_cmp_gt_u32_e64 s[0:1], s8, v17
	v_mov_b32_e32 v17, 0
	v_mov_b32_e32 v18, 0
	v_mov_b32_e32 v19, 0
	v_mov_b32_e32 v20, 0
	s_and_saveexec_b64 s[34:35], s[0:1]
	s_cbranch_execz .LBB26_23
; %bb.16:
	global_load_ubyte v17, v[1:2], off offset:3072
	v_or_b32_e32 v18, 0xd00, v0
	v_cmp_gt_u32_e64 s[0:1], s8, v18
	v_mov_b32_e32 v18, 0
	v_mov_b32_e32 v19, 0
	;; [unrolled: 1-line block ×3, first 2 shown]
	s_and_saveexec_b64 s[36:37], s[0:1]
	s_cbranch_execz .LBB26_22
; %bb.17:
	global_load_ubyte v18, v[1:2], off offset:3328
	v_or_b32_e32 v19, 0xe00, v0
	v_cmp_gt_u32_e64 s[0:1], s8, v19
	v_mov_b32_e32 v19, 0
	v_mov_b32_e32 v20, 0
	s_and_saveexec_b64 s[38:39], s[0:1]
	s_cbranch_execz .LBB26_21
; %bb.18:
	global_load_ubyte v19, v[1:2], off offset:3584
	v_or_b32_e32 v20, 0xf00, v0
	v_cmp_gt_u32_e64 s[0:1], s8, v20
	v_mov_b32_e32 v20, 0
	s_and_saveexec_b64 s[40:41], s[0:1]
	s_cbranch_execz .LBB26_20
; %bb.19:
	global_load_ubyte v20, v[1:2], off offset:3840
.LBB26_20:
	s_or_b64 exec, exec, s[40:41]
.LBB26_21:
	s_or_b64 exec, exec, s[38:39]
.LBB26_22:
	s_or_b64 exec, exec, s[36:37]
.LBB26_23:
	s_or_b64 exec, exec, s[34:35]
.LBB26_24:
	s_or_b64 exec, exec, s[30:31]
.LBB26_25:
	s_or_b64 exec, exec, s[28:29]
.LBB26_26:
	s_or_b64 exec, exec, s[26:27]
.LBB26_27:
	s_or_b64 exec, exec, s[24:25]
.LBB26_28:
	s_or_b64 exec, exec, s[22:23]
.LBB26_29:
	s_or_b64 exec, exec, s[20:21]
.LBB26_30:
	s_or_b64 exec, exec, s[18:19]
.LBB26_31:
	s_or_b64 exec, exec, s[16:17]
.LBB26_32:
	s_or_b64 exec, exec, s[14:15]
.LBB26_33:
	s_or_b64 exec, exec, s[6:7]
.LBB26_34:
	s_or_b64 exec, exec, s[4:5]
.LBB26_35:
	s_or_b64 exec, exec, s[2:3]
	s_cmp_eq_u32 s9, 0
	s_cselect_b64 s[2:3], -1, 0
	s_and_b32 s5, s10, 0xff
	s_waitcnt vmcnt(0)
	v_cmp_ne_u16_sdwa s[0:1], v11, s5 src0_sel:BYTE_0 src1_sel:DWORD
	s_xor_b64 s[0:1], s[2:3], s[0:1]
	v_cndmask_b32_e64 v1, 0, 1, s[0:1]
	v_cmp_ne_u16_sdwa s[0:1], v12, s5 src0_sel:BYTE_0 src1_sel:DWORD
	s_xor_b64 s[0:1], s[2:3], s[0:1]
	v_cndmask_b32_e64 v2, 0, 1, s[0:1]
	v_cndmask_b32_e32 v1, 0, v1, vcc
	v_lshlrev_b16_e32 v2, 8, v2
	v_or_b32_e32 v2, v1, v2
	v_and_b32_e32 v2, 0xffff, v2
	v_cmp_gt_i32_e64 s[0:1], s8, v3
	v_cndmask_b32_e64 v1, v1, v2, s[0:1]
	v_cmp_ne_u16_sdwa s[0:1], v13, s5 src0_sel:BYTE_0 src1_sel:DWORD
	s_xor_b64 s[0:1], s[2:3], s[0:1]
	v_or_b32_e32 v2, 0x200, v0
	v_cndmask_b32_e64 v11, 0, 1, s[0:1]
	v_lshl_or_b32 v11, v11, 16, v1
	v_cmp_gt_i32_e64 s[0:1], s8, v2
	v_cndmask_b32_e64 v1, v1, v11, s[0:1]
	v_cmp_ne_u16_sdwa s[0:1], v9, s5 src0_sel:BYTE_0 src1_sel:DWORD
	s_xor_b64 s[0:1], s[2:3], s[0:1]
	s_movk_i32 s4, 0xff
	v_cndmask_b32_e64 v9, 0, 1, s[0:1]
	v_and_b32_sdwa v2, v1, s4 dst_sel:DWORD dst_unused:UNUSED_PAD src0_sel:WORD_1 src1_sel:DWORD
	v_lshlrev_b16_e32 v9, 8, v9
	s_mov_b32 s6, 0xffff
	v_or_b32_e32 v11, 0x300, v0
	v_or_b32_sdwa v2, v2, v9 dst_sel:WORD_1 dst_unused:UNUSED_PAD src0_sel:DWORD src1_sel:DWORD
	v_and_or_b32 v2, v1, s6, v2
	v_cmp_gt_i32_e64 s[0:1], s8, v11
	v_cndmask_b32_e64 v9, v1, v2, s[0:1]
	v_cmp_ne_u16_sdwa s[0:1], v7, s5 src0_sel:BYTE_0 src1_sel:DWORD
	s_xor_b64 s[0:1], s[2:3], s[0:1]
	v_cndmask_b32_e64 v1, 0, 1, s[0:1]
	v_or_b32_e32 v2, 0x400, v0
	v_and_b32_e32 v1, 0xffff, v1
	v_cmp_gt_i32_e64 s[0:1], s8, v2
	v_cndmask_b32_e64 v1, 0, v1, s[0:1]
	v_cmp_ne_u16_sdwa s[0:1], v5, s5 src0_sel:BYTE_0 src1_sel:DWORD
	s_xor_b64 s[0:1], s[2:3], s[0:1]
	v_cndmask_b32_e64 v5, 0, 1, s[0:1]
	v_lshlrev_b16_e32 v5, 8, v5
	v_or_b32_e32 v2, 0x500, v0
	v_or_b32_sdwa v5, v1, v5 dst_sel:DWORD dst_unused:UNUSED_PAD src0_sel:BYTE_0 src1_sel:DWORD
	v_and_b32_e32 v5, 0xffff, v5
	v_cmp_gt_i32_e64 s[0:1], s8, v2
	v_cndmask_b32_e64 v1, v1, v5, s[0:1]
	v_cmp_ne_u16_sdwa s[0:1], v8, s5 src0_sel:BYTE_0 src1_sel:DWORD
	s_movk_i32 s7, 0xff00
	s_xor_b64 s[0:1], s[2:3], s[0:1]
	v_and_b32_sdwa v2, v1, s7 dst_sel:DWORD dst_unused:UNUSED_PAD src0_sel:WORD_1 src1_sel:DWORD
	v_cndmask_b32_e64 v5, 0, 1, s[0:1]
	v_or_b32_sdwa v2, v5, v2 dst_sel:WORD_1 dst_unused:UNUSED_PAD src0_sel:DWORD src1_sel:DWORD
	v_or_b32_e32 v5, 0x600, v0
	v_and_or_b32 v2, v1, s6, v2
	v_cmp_gt_i32_e64 s[0:1], s8, v5
	v_cndmask_b32_e64 v1, v1, v2, s[0:1]
	v_cmp_ne_u16_sdwa s[0:1], v6, s5 src0_sel:BYTE_0 src1_sel:DWORD
	s_xor_b64 s[0:1], s[2:3], s[0:1]
	v_cndmask_b32_e64 v6, 0, 1, s[0:1]
	v_and_b32_sdwa v2, v1, s4 dst_sel:DWORD dst_unused:UNUSED_PAD src0_sel:WORD_1 src1_sel:DWORD
	v_lshlrev_b16_e32 v6, 8, v6
	v_or_b32_e32 v5, 0x700, v0
	v_or_b32_sdwa v2, v2, v6 dst_sel:WORD_1 dst_unused:UNUSED_PAD src0_sel:DWORD src1_sel:DWORD
	v_and_or_b32 v2, v1, s6, v2
	v_cmp_gt_i32_e64 s[0:1], s8, v5
	v_cndmask_b32_e64 v5, v1, v2, s[0:1]
	v_cmp_ne_u16_sdwa s[0:1], v10, s5 src0_sel:BYTE_0 src1_sel:DWORD
	v_or_b32_e32 v1, 0x800, v0
	s_xor_b64 s[0:1], s[2:3], s[0:1]
	v_cndmask_b32_e64 v2, 0, 1, s[0:1]
	v_cmp_gt_i32_e64 s[0:1], s8, v1
	v_cndmask_b32_e64 v1, 0, v2, s[0:1]
	v_cmp_ne_u16_sdwa s[0:1], v14, s5 src0_sel:BYTE_0 src1_sel:DWORD
	s_xor_b64 s[0:1], s[2:3], s[0:1]
	v_cndmask_b32_e64 v6, 0, 1, s[0:1]
	v_lshlrev_b16_e32 v6, 8, v6
	v_or_b32_e32 v2, 0x900, v0
	v_or_b32_e32 v6, v1, v6
	v_and_b32_e32 v6, 0xffff, v6
	v_cmp_gt_i32_e64 s[0:1], s8, v2
	v_cndmask_b32_e64 v1, v1, v6, s[0:1]
	v_cmp_ne_u16_sdwa s[0:1], v15, s5 src0_sel:BYTE_0 src1_sel:DWORD
	s_xor_b64 s[0:1], s[2:3], s[0:1]
	v_cndmask_b32_e64 v6, 0, 1, s[0:1]
	v_or_b32_e32 v2, 0xa00, v0
	v_lshlrev_b32_e32 v6, 16, v6
	s_movk_i32 s0, 0x1ff
	v_and_or_b32 v6, v1, s0, v6
	v_cmp_gt_i32_e64 s[0:1], s8, v2
	v_cndmask_b32_e64 v1, v1, v6, s[0:1]
	v_cmp_ne_u16_sdwa s[0:1], v16, s5 src0_sel:BYTE_0 src1_sel:DWORD
	s_xor_b64 s[0:1], s[2:3], s[0:1]
	v_cndmask_b32_e64 v7, 0, 1, s[0:1]
	v_and_b32_sdwa v2, v1, s4 dst_sel:DWORD dst_unused:UNUSED_PAD src0_sel:WORD_1 src1_sel:DWORD
	v_lshlrev_b16_e32 v7, 8, v7
	v_or_b32_e32 v6, 0xb00, v0
	v_or_b32_sdwa v2, v2, v7 dst_sel:WORD_1 dst_unused:UNUSED_PAD src0_sel:DWORD src1_sel:DWORD
	v_and_or_b32 v2, v1, s6, v2
	v_cmp_gt_i32_e64 s[0:1], s8, v6
	v_cndmask_b32_e64 v2, v1, v2, s[0:1]
	v_cmp_ne_u16_sdwa s[0:1], v17, s5 src0_sel:BYTE_0 src1_sel:DWORD
	v_or_b32_e32 v1, 0xc00, v0
	s_xor_b64 s[0:1], s[2:3], s[0:1]
	v_cndmask_b32_e64 v6, 0, 1, s[0:1]
	v_cmp_gt_i32_e64 s[0:1], s8, v1
	v_cndmask_b32_e64 v1, 0, v6, s[0:1]
	v_cmp_ne_u16_sdwa s[0:1], v18, s5 src0_sel:BYTE_0 src1_sel:DWORD
	s_xor_b64 s[0:1], s[2:3], s[0:1]
	v_cndmask_b32_e64 v7, 0, 1, s[0:1]
	v_lshlrev_b16_e32 v7, 8, v7
	v_or_b32_e32 v6, 0xd00, v0
	v_or_b32_sdwa v7, v1, v7 dst_sel:DWORD dst_unused:UNUSED_PAD src0_sel:BYTE_0 src1_sel:DWORD
	v_and_b32_e32 v7, 0xffff, v7
	v_cmp_gt_i32_e64 s[0:1], s8, v6
	v_cndmask_b32_e64 v1, v1, v7, s[0:1]
	v_cmp_ne_u16_sdwa s[0:1], v19, s5 src0_sel:BYTE_0 src1_sel:DWORD
	s_xor_b64 s[0:1], s[2:3], s[0:1]
	v_and_b32_sdwa v6, v1, s7 dst_sel:DWORD dst_unused:UNUSED_PAD src0_sel:WORD_1 src1_sel:DWORD
	v_cndmask_b32_e64 v7, 0, 1, s[0:1]
	v_or_b32_sdwa v6, v7, v6 dst_sel:WORD_1 dst_unused:UNUSED_PAD src0_sel:DWORD src1_sel:DWORD
	v_or_b32_e32 v7, 0xe00, v0
	v_and_or_b32 v6, v1, s6, v6
	v_cmp_gt_i32_e64 s[0:1], s8, v7
	v_cndmask_b32_e64 v1, v1, v6, s[0:1]
	v_cmp_ne_u16_sdwa s[0:1], v20, s5 src0_sel:BYTE_0 src1_sel:DWORD
	s_xor_b64 s[0:1], s[2:3], s[0:1]
	v_cndmask_b32_e64 v8, 0, 1, s[0:1]
	v_and_b32_sdwa v6, v1, s4 dst_sel:DWORD dst_unused:UNUSED_PAD src0_sel:WORD_1 src1_sel:DWORD
	v_lshlrev_b16_e32 v8, 8, v8
	v_or_b32_e32 v7, 0xf00, v0
	v_or_b32_sdwa v6, v6, v8 dst_sel:WORD_1 dst_unused:UNUSED_PAD src0_sel:DWORD src1_sel:DWORD
	v_and_or_b32 v6, v1, s6, v6
	v_cmp_gt_i32_e64 s[0:1], s8, v7
	v_cndmask_b32_e64 v1, v1, v6, s[0:1]
	s_and_saveexec_b64 s[0:1], vcc
	s_cbranch_execnz .LBB26_53
; %bb.36:
	s_or_b64 exec, exec, s[0:1]
	v_cmp_gt_i32_e32 vcc, s8, v0
	s_and_saveexec_b64 s[0:1], vcc
	s_cbranch_execnz .LBB26_54
.LBB26_37:
	s_or_b64 exec, exec, s[0:1]
	v_cmp_gt_i32_e32 vcc, s8, v0
	s_and_saveexec_b64 s[0:1], vcc
	s_cbranch_execnz .LBB26_55
.LBB26_38:
	s_or_b64 exec, exec, s[0:1]
	v_cmp_gt_i32_e32 vcc, s8, v0
	s_and_saveexec_b64 s[0:1], vcc
	s_cbranch_execnz .LBB26_56
.LBB26_39:
	s_or_b64 exec, exec, s[0:1]
	v_cmp_gt_i32_e32 vcc, s8, v0
	s_and_saveexec_b64 s[0:1], vcc
	s_cbranch_execnz .LBB26_57
.LBB26_40:
	s_or_b64 exec, exec, s[0:1]
	v_cmp_gt_i32_e32 vcc, s8, v0
	s_and_saveexec_b64 s[0:1], vcc
	s_cbranch_execnz .LBB26_58
.LBB26_41:
	s_or_b64 exec, exec, s[0:1]
	v_cmp_gt_i32_e32 vcc, s8, v0
	s_and_saveexec_b64 s[0:1], vcc
	s_cbranch_execnz .LBB26_59
.LBB26_42:
	s_or_b64 exec, exec, s[0:1]
	v_cmp_gt_i32_e32 vcc, s8, v0
	s_and_saveexec_b64 s[0:1], vcc
	s_cbranch_execnz .LBB26_60
.LBB26_43:
	s_or_b64 exec, exec, s[0:1]
	v_cmp_gt_i32_e32 vcc, s8, v0
	s_and_saveexec_b64 s[0:1], vcc
	s_cbranch_execnz .LBB26_61
.LBB26_44:
	s_or_b64 exec, exec, s[0:1]
	v_cmp_gt_i32_e32 vcc, s8, v0
	s_and_saveexec_b64 s[0:1], vcc
	s_cbranch_execnz .LBB26_62
.LBB26_45:
	s_or_b64 exec, exec, s[0:1]
	v_cmp_gt_i32_e32 vcc, s8, v0
	s_and_saveexec_b64 s[0:1], vcc
	s_cbranch_execnz .LBB26_63
.LBB26_46:
	s_or_b64 exec, exec, s[0:1]
	v_cmp_gt_i32_e32 vcc, s8, v0
	s_and_saveexec_b64 s[0:1], vcc
	s_cbranch_execnz .LBB26_64
.LBB26_47:
	s_or_b64 exec, exec, s[0:1]
	v_cmp_gt_i32_e32 vcc, s8, v0
	s_and_saveexec_b64 s[0:1], vcc
	s_cbranch_execnz .LBB26_65
.LBB26_48:
	s_or_b64 exec, exec, s[0:1]
	v_cmp_gt_i32_e32 vcc, s8, v0
	s_and_saveexec_b64 s[0:1], vcc
	s_cbranch_execnz .LBB26_66
.LBB26_49:
	s_or_b64 exec, exec, s[0:1]
	v_cmp_gt_i32_e32 vcc, s8, v0
	s_and_saveexec_b64 s[0:1], vcc
	s_cbranch_execnz .LBB26_67
.LBB26_50:
	s_or_b64 exec, exec, s[0:1]
	v_cmp_gt_i32_e32 vcc, s8, v0
	s_and_saveexec_b64 s[0:1], vcc
	s_cbranch_execz .LBB26_52
.LBB26_51:
	v_lshrrev_b32_e32 v1, 24, v1
	v_add_u32_e32 v0, s11, v0
	global_store_byte v0, v1, s[12:13]
.LBB26_52:
	s_endpgm
.LBB26_53:
	v_mov_b32_e32 v0, v3
	global_store_byte v4, v9, s[12:13]
	s_or_b64 exec, exec, s[0:1]
	v_cmp_gt_i32_e32 vcc, s8, v0
	s_and_saveexec_b64 s[0:1], vcc
	s_cbranch_execz .LBB26_37
.LBB26_54:
	v_lshrrev_b32_e32 v3, 8, v9
	v_add_u32_e32 v4, s11, v0
	v_add_u32_e32 v0, 0x100, v0
	global_store_byte v4, v3, s[12:13]
	s_or_b64 exec, exec, s[0:1]
	v_cmp_gt_i32_e32 vcc, s8, v0
	s_and_saveexec_b64 s[0:1], vcc
	s_cbranch_execz .LBB26_38
.LBB26_55:
	v_add_u32_e32 v3, s11, v0
	v_add_u32_e32 v0, 0x100, v0
	global_store_byte_d16_hi v3, v9, s[12:13]
	s_or_b64 exec, exec, s[0:1]
	v_cmp_gt_i32_e32 vcc, s8, v0
	s_and_saveexec_b64 s[0:1], vcc
	s_cbranch_execz .LBB26_39
.LBB26_56:
	v_lshrrev_b32_e32 v3, 24, v9
	v_add_u32_e32 v4, s11, v0
	v_add_u32_e32 v0, 0x100, v0
	global_store_byte v4, v3, s[12:13]
	s_or_b64 exec, exec, s[0:1]
	v_cmp_gt_i32_e32 vcc, s8, v0
	s_and_saveexec_b64 s[0:1], vcc
	s_cbranch_execz .LBB26_40
.LBB26_57:
	v_add_u32_e32 v3, s11, v0
	v_add_u32_e32 v0, 0x100, v0
	global_store_byte v3, v5, s[12:13]
	s_or_b64 exec, exec, s[0:1]
	v_cmp_gt_i32_e32 vcc, s8, v0
	s_and_saveexec_b64 s[0:1], vcc
	s_cbranch_execz .LBB26_41
.LBB26_58:
	v_lshrrev_b32_e32 v3, 8, v5
	v_add_u32_e32 v4, s11, v0
	v_add_u32_e32 v0, 0x100, v0
	global_store_byte v4, v3, s[12:13]
	s_or_b64 exec, exec, s[0:1]
	v_cmp_gt_i32_e32 vcc, s8, v0
	s_and_saveexec_b64 s[0:1], vcc
	s_cbranch_execz .LBB26_42
.LBB26_59:
	v_add_u32_e32 v3, s11, v0
	v_add_u32_e32 v0, 0x100, v0
	global_store_byte_d16_hi v3, v5, s[12:13]
	s_or_b64 exec, exec, s[0:1]
	v_cmp_gt_i32_e32 vcc, s8, v0
	s_and_saveexec_b64 s[0:1], vcc
	s_cbranch_execz .LBB26_43
.LBB26_60:
	v_lshrrev_b32_e32 v3, 24, v5
	v_add_u32_e32 v4, s11, v0
	v_add_u32_e32 v0, 0x100, v0
	global_store_byte v4, v3, s[12:13]
	s_or_b64 exec, exec, s[0:1]
	v_cmp_gt_i32_e32 vcc, s8, v0
	s_and_saveexec_b64 s[0:1], vcc
	s_cbranch_execz .LBB26_44
.LBB26_61:
	v_add_u32_e32 v3, s11, v0
	v_add_u32_e32 v0, 0x100, v0
	global_store_byte v3, v2, s[12:13]
	s_or_b64 exec, exec, s[0:1]
	v_cmp_gt_i32_e32 vcc, s8, v0
	s_and_saveexec_b64 s[0:1], vcc
	s_cbranch_execz .LBB26_45
.LBB26_62:
	v_lshrrev_b32_e32 v3, 8, v2
	v_add_u32_e32 v4, s11, v0
	v_add_u32_e32 v0, 0x100, v0
	global_store_byte v4, v3, s[12:13]
	s_or_b64 exec, exec, s[0:1]
	v_cmp_gt_i32_e32 vcc, s8, v0
	s_and_saveexec_b64 s[0:1], vcc
	s_cbranch_execz .LBB26_46
.LBB26_63:
	v_add_u32_e32 v3, s11, v0
	v_add_u32_e32 v0, 0x100, v0
	global_store_byte_d16_hi v3, v2, s[12:13]
	s_or_b64 exec, exec, s[0:1]
	v_cmp_gt_i32_e32 vcc, s8, v0
	s_and_saveexec_b64 s[0:1], vcc
	s_cbranch_execz .LBB26_47
.LBB26_64:
	v_lshrrev_b32_e32 v2, 24, v2
	v_add_u32_e32 v3, s11, v0
	v_add_u32_e32 v0, 0x100, v0
	global_store_byte v3, v2, s[12:13]
	s_or_b64 exec, exec, s[0:1]
	v_cmp_gt_i32_e32 vcc, s8, v0
	s_and_saveexec_b64 s[0:1], vcc
	s_cbranch_execz .LBB26_48
.LBB26_65:
	v_add_u32_e32 v2, s11, v0
	v_add_u32_e32 v0, 0x100, v0
	global_store_byte v2, v1, s[12:13]
	s_or_b64 exec, exec, s[0:1]
	v_cmp_gt_i32_e32 vcc, s8, v0
	s_and_saveexec_b64 s[0:1], vcc
	s_cbranch_execz .LBB26_49
.LBB26_66:
	v_lshrrev_b32_e32 v2, 8, v1
	v_add_u32_e32 v3, s11, v0
	v_add_u32_e32 v0, 0x100, v0
	global_store_byte v3, v2, s[12:13]
	s_or_b64 exec, exec, s[0:1]
	v_cmp_gt_i32_e32 vcc, s8, v0
	s_and_saveexec_b64 s[0:1], vcc
	s_cbranch_execz .LBB26_50
.LBB26_67:
	v_add_u32_e32 v2, s11, v0
	v_add_u32_e32 v0, 0x100, v0
	global_store_byte_d16_hi v2, v1, s[12:13]
	s_or_b64 exec, exec, s[0:1]
	v_cmp_gt_i32_e32 vcc, s8, v0
	s_and_saveexec_b64 s[0:1], vcc
	s_cbranch_execnz .LBB26_51
	s_branch .LBB26_52
	.section	.rodata,"a",@progbits
	.p2align	6, 0x0
	.amdhsa_kernel _ZN2at6native29vectorized_elementwise_kernelILi4ENS0_13AUnaryFunctorIaabNS0_12_GLOBAL__N_116CompareEqFunctorIaEEEESt5arrayIPcLm2EEEEviT0_T1_
		.amdhsa_group_segment_fixed_size 0
		.amdhsa_private_segment_fixed_size 0
		.amdhsa_kernarg_size 32
		.amdhsa_user_sgpr_count 6
		.amdhsa_user_sgpr_private_segment_buffer 1
		.amdhsa_user_sgpr_dispatch_ptr 0
		.amdhsa_user_sgpr_queue_ptr 0
		.amdhsa_user_sgpr_kernarg_segment_ptr 1
		.amdhsa_user_sgpr_dispatch_id 0
		.amdhsa_user_sgpr_flat_scratch_init 0
		.amdhsa_user_sgpr_private_segment_size 0
		.amdhsa_uses_dynamic_stack 0
		.amdhsa_system_sgpr_private_segment_wavefront_offset 0
		.amdhsa_system_sgpr_workgroup_id_x 1
		.amdhsa_system_sgpr_workgroup_id_y 0
		.amdhsa_system_sgpr_workgroup_id_z 0
		.amdhsa_system_sgpr_workgroup_info 0
		.amdhsa_system_vgpr_workitem_id 0
		.amdhsa_next_free_vgpr 21
		.amdhsa_next_free_sgpr 42
		.amdhsa_reserve_vcc 1
		.amdhsa_reserve_flat_scratch 0
		.amdhsa_float_round_mode_32 0
		.amdhsa_float_round_mode_16_64 0
		.amdhsa_float_denorm_mode_32 3
		.amdhsa_float_denorm_mode_16_64 3
		.amdhsa_dx10_clamp 1
		.amdhsa_ieee_mode 1
		.amdhsa_fp16_overflow 0
		.amdhsa_exception_fp_ieee_invalid_op 0
		.amdhsa_exception_fp_denorm_src 0
		.amdhsa_exception_fp_ieee_div_zero 0
		.amdhsa_exception_fp_ieee_overflow 0
		.amdhsa_exception_fp_ieee_underflow 0
		.amdhsa_exception_fp_ieee_inexact 0
		.amdhsa_exception_int_div_zero 0
	.end_amdhsa_kernel
	.section	.text._ZN2at6native29vectorized_elementwise_kernelILi4ENS0_13AUnaryFunctorIaabNS0_12_GLOBAL__N_116CompareEqFunctorIaEEEESt5arrayIPcLm2EEEEviT0_T1_,"axG",@progbits,_ZN2at6native29vectorized_elementwise_kernelILi4ENS0_13AUnaryFunctorIaabNS0_12_GLOBAL__N_116CompareEqFunctorIaEEEESt5arrayIPcLm2EEEEviT0_T1_,comdat
.Lfunc_end26:
	.size	_ZN2at6native29vectorized_elementwise_kernelILi4ENS0_13AUnaryFunctorIaabNS0_12_GLOBAL__N_116CompareEqFunctorIaEEEESt5arrayIPcLm2EEEEviT0_T1_, .Lfunc_end26-_ZN2at6native29vectorized_elementwise_kernelILi4ENS0_13AUnaryFunctorIaabNS0_12_GLOBAL__N_116CompareEqFunctorIaEEEESt5arrayIPcLm2EEEEviT0_T1_
                                        ; -- End function
	.set _ZN2at6native29vectorized_elementwise_kernelILi4ENS0_13AUnaryFunctorIaabNS0_12_GLOBAL__N_116CompareEqFunctorIaEEEESt5arrayIPcLm2EEEEviT0_T1_.num_vgpr, 21
	.set _ZN2at6native29vectorized_elementwise_kernelILi4ENS0_13AUnaryFunctorIaabNS0_12_GLOBAL__N_116CompareEqFunctorIaEEEESt5arrayIPcLm2EEEEviT0_T1_.num_agpr, 0
	.set _ZN2at6native29vectorized_elementwise_kernelILi4ENS0_13AUnaryFunctorIaabNS0_12_GLOBAL__N_116CompareEqFunctorIaEEEESt5arrayIPcLm2EEEEviT0_T1_.numbered_sgpr, 42
	.set _ZN2at6native29vectorized_elementwise_kernelILi4ENS0_13AUnaryFunctorIaabNS0_12_GLOBAL__N_116CompareEqFunctorIaEEEESt5arrayIPcLm2EEEEviT0_T1_.num_named_barrier, 0
	.set _ZN2at6native29vectorized_elementwise_kernelILi4ENS0_13AUnaryFunctorIaabNS0_12_GLOBAL__N_116CompareEqFunctorIaEEEESt5arrayIPcLm2EEEEviT0_T1_.private_seg_size, 0
	.set _ZN2at6native29vectorized_elementwise_kernelILi4ENS0_13AUnaryFunctorIaabNS0_12_GLOBAL__N_116CompareEqFunctorIaEEEESt5arrayIPcLm2EEEEviT0_T1_.uses_vcc, 1
	.set _ZN2at6native29vectorized_elementwise_kernelILi4ENS0_13AUnaryFunctorIaabNS0_12_GLOBAL__N_116CompareEqFunctorIaEEEESt5arrayIPcLm2EEEEviT0_T1_.uses_flat_scratch, 0
	.set _ZN2at6native29vectorized_elementwise_kernelILi4ENS0_13AUnaryFunctorIaabNS0_12_GLOBAL__N_116CompareEqFunctorIaEEEESt5arrayIPcLm2EEEEviT0_T1_.has_dyn_sized_stack, 0
	.set _ZN2at6native29vectorized_elementwise_kernelILi4ENS0_13AUnaryFunctorIaabNS0_12_GLOBAL__N_116CompareEqFunctorIaEEEESt5arrayIPcLm2EEEEviT0_T1_.has_recursion, 0
	.set _ZN2at6native29vectorized_elementwise_kernelILi4ENS0_13AUnaryFunctorIaabNS0_12_GLOBAL__N_116CompareEqFunctorIaEEEESt5arrayIPcLm2EEEEviT0_T1_.has_indirect_call, 0
	.section	.AMDGPU.csdata,"",@progbits
; Kernel info:
; codeLenInByte = 3588
; TotalNumSgprs: 46
; NumVgprs: 21
; ScratchSize: 0
; MemoryBound: 0
; FloatMode: 240
; IeeeMode: 1
; LDSByteSize: 0 bytes/workgroup (compile time only)
; SGPRBlocks: 5
; VGPRBlocks: 5
; NumSGPRsForWavesPerEU: 46
; NumVGPRsForWavesPerEU: 21
; Occupancy: 10
; WaveLimiterHint : 1
; COMPUTE_PGM_RSRC2:SCRATCH_EN: 0
; COMPUTE_PGM_RSRC2:USER_SGPR: 6
; COMPUTE_PGM_RSRC2:TRAP_HANDLER: 0
; COMPUTE_PGM_RSRC2:TGID_X_EN: 1
; COMPUTE_PGM_RSRC2:TGID_Y_EN: 0
; COMPUTE_PGM_RSRC2:TGID_Z_EN: 0
; COMPUTE_PGM_RSRC2:TIDIG_COMP_CNT: 0
	.section	.text._ZN2at6native29vectorized_elementwise_kernelILi2ENS0_13AUnaryFunctorIaabNS0_12_GLOBAL__N_116CompareEqFunctorIaEEEESt5arrayIPcLm2EEEEviT0_T1_,"axG",@progbits,_ZN2at6native29vectorized_elementwise_kernelILi2ENS0_13AUnaryFunctorIaabNS0_12_GLOBAL__N_116CompareEqFunctorIaEEEESt5arrayIPcLm2EEEEviT0_T1_,comdat
	.globl	_ZN2at6native29vectorized_elementwise_kernelILi2ENS0_13AUnaryFunctorIaabNS0_12_GLOBAL__N_116CompareEqFunctorIaEEEESt5arrayIPcLm2EEEEviT0_T1_ ; -- Begin function _ZN2at6native29vectorized_elementwise_kernelILi2ENS0_13AUnaryFunctorIaabNS0_12_GLOBAL__N_116CompareEqFunctorIaEEEESt5arrayIPcLm2EEEEviT0_T1_
	.p2align	8
	.type	_ZN2at6native29vectorized_elementwise_kernelILi2ENS0_13AUnaryFunctorIaabNS0_12_GLOBAL__N_116CompareEqFunctorIaEEEESt5arrayIPcLm2EEEEviT0_T1_,@function
_ZN2at6native29vectorized_elementwise_kernelILi2ENS0_13AUnaryFunctorIaabNS0_12_GLOBAL__N_116CompareEqFunctorIaEEEESt5arrayIPcLm2EEEEviT0_T1_: ; @_ZN2at6native29vectorized_elementwise_kernelILi2ENS0_13AUnaryFunctorIaabNS0_12_GLOBAL__N_116CompareEqFunctorIaEEEESt5arrayIPcLm2EEEEviT0_T1_
; %bb.0:
	s_load_dwordx8 s[8:15], s[4:5], 0x0
	s_waitcnt lgkmcnt(0)
	s_lshl_b32 s11, s6, 12
	s_mov_b64 s[0:1], -1
	s_sub_i32 s8, s8, s11
	s_cmpk_gt_i32 s8, 0xfff
	s_cbranch_scc0 .LBB27_2
; %bb.1:
	s_ashr_i32 s33, s11, 31
	s_add_u32 s0, s14, s11
	s_addc_u32 s1, s15, s33
	v_lshlrev_b32_e32 v1, 1, v0
	global_load_ushort v2, v1, s[0:1]
	global_load_ushort v3, v1, s[0:1] offset:512
	global_load_ushort v4, v1, s[0:1] offset:1024
	;; [unrolled: 1-line block ×7, first 2 shown]
	s_cmp_eq_u32 s9, 0
	s_cselect_b64 s[0:1], -1, 0
	s_and_b32 s42, s10, 0xff
	s_waitcnt vmcnt(7)
	v_cmp_ne_u16_sdwa s[2:3], v2, s42 src0_sel:BYTE_0 src1_sel:DWORD
	v_cmp_ne_u16_sdwa s[4:5], v2, s42 src0_sel:BYTE_1 src1_sel:DWORD
	s_xor_b64 s[2:3], s[0:1], s[2:3]
	s_waitcnt vmcnt(6)
	v_cmp_ne_u16_sdwa s[6:7], v3, s42 src0_sel:BYTE_0 src1_sel:DWORD
	v_cndmask_b32_e64 v2, 0, 1, s[2:3]
	s_xor_b64 s[2:3], s[0:1], s[4:5]
	v_cmp_ne_u16_sdwa s[16:17], v3, s42 src0_sel:BYTE_1 src1_sel:DWORD
	v_cndmask_b32_e64 v3, 0, 1, s[2:3]
	s_xor_b64 s[2:3], s[0:1], s[6:7]
	s_waitcnt vmcnt(5)
	v_cmp_ne_u16_sdwa s[18:19], v4, s42 src0_sel:BYTE_0 src1_sel:DWORD
	v_cmp_ne_u16_sdwa s[20:21], v4, s42 src0_sel:BYTE_1 src1_sel:DWORD
	v_cndmask_b32_e64 v4, 0, 1, s[2:3]
	s_xor_b64 s[2:3], s[0:1], s[16:17]
	s_waitcnt vmcnt(4)
	v_cmp_ne_u16_sdwa s[22:23], v5, s42 src0_sel:BYTE_0 src1_sel:DWORD
	;; [unrolled: 5-line block ×6, first 2 shown]
	v_cmp_ne_u16_sdwa s[42:43], v9, s42 src0_sel:BYTE_1 src1_sel:DWORD
	v_cndmask_b32_e64 v9, 0, 1, s[2:3]
	s_xor_b64 s[2:3], s[0:1], s[26:27]
	v_cndmask_b32_e64 v10, 0, 1, s[2:3]
	s_xor_b64 s[2:3], s[0:1], s[28:29]
	;; [unrolled: 2-line block ×7, first 2 shown]
	s_xor_b64 s[0:1], s[0:1], s[42:43]
	v_cndmask_b32_e64 v17, 0, 1, s[0:1]
	v_lshlrev_b16_e32 v3, 8, v3
	s_add_u32 s0, s12, s11
	v_cndmask_b32_e64 v16, 0, 1, s[2:3]
	v_lshlrev_b16_e32 v17, 8, v17
	v_lshlrev_b16_e32 v15, 8, v15
	;; [unrolled: 1-line block ×7, first 2 shown]
	v_or_b32_e32 v2, v2, v3
	s_addc_u32 s1, s13, s33
	v_or_b32_e32 v16, v16, v17
	v_or_b32_e32 v14, v14, v15
	v_or_b32_e32 v12, v12, v13
	v_or_b32_e32 v10, v10, v11
	v_or_b32_e32 v8, v8, v9
	v_or_b32_e32 v6, v6, v7
	v_or_b32_e32 v4, v4, v5
	global_store_short v1, v2, s[0:1]
	global_store_short v1, v4, s[0:1] offset:512
	global_store_short v1, v6, s[0:1] offset:1024
	;; [unrolled: 1-line block ×7, first 2 shown]
	s_mov_b64 s[0:1], 0
.LBB27_2:
	s_andn2_b64 vcc, exec, s[0:1]
	s_cbranch_vccnz .LBB27_52
; %bb.3:
	v_cmp_gt_i32_e32 vcc, s8, v0
	v_or_b32_e32 v3, 0x100, v0
	v_mov_b32_e32 v20, 0
	v_or_b32_e32 v4, s11, v0
	v_mov_b32_e32 v19, 0
	v_mov_b32_e32 v18, 0
	v_mov_b32_e32 v17, 0
	v_mov_b32_e32 v16, 0
	v_mov_b32_e32 v15, 0
	v_mov_b32_e32 v14, 0
	v_mov_b32_e32 v10, 0
	v_mov_b32_e32 v6, 0
	v_mov_b32_e32 v8, 0
	v_mov_b32_e32 v5, 0
	v_mov_b32_e32 v7, 0
	v_mov_b32_e32 v9, 0
	v_mov_b32_e32 v13, 0
	v_mov_b32_e32 v12, 0
	v_mov_b32_e32 v11, 0
	s_and_saveexec_b64 s[2:3], vcc
	s_cbranch_execz .LBB27_35
; %bb.4:
	global_load_ubyte v11, v4, s[14:15]
	v_cmp_gt_u32_e64 s[0:1], s8, v3
	v_mov_b32_e32 v12, 0
	v_mov_b32_e32 v13, 0
	;; [unrolled: 1-line block ×15, first 2 shown]
	s_and_saveexec_b64 s[4:5], s[0:1]
	s_cbranch_execz .LBB27_34
; %bb.5:
	v_add_u32_e32 v1, s11, v0
	global_load_ubyte v12, v1, s[14:15] offset:256
	v_or_b32_e32 v2, 0x200, v0
	v_mov_b32_e32 v13, 0
	v_cmp_gt_u32_e64 s[0:1], s8, v2
	v_mov_b32_e32 v9, 0
	v_mov_b32_e32 v7, 0
	;; [unrolled: 1-line block ×13, first 2 shown]
	s_and_saveexec_b64 s[6:7], s[0:1]
	s_cbranch_execz .LBB27_33
; %bb.6:
	v_mov_b32_e32 v2, s15
	v_add_co_u32_e64 v1, s[0:1], s14, v1
	v_addc_co_u32_e64 v2, s[0:1], 0, v2, s[0:1]
	global_load_ubyte v13, v[1:2], off offset:512
	v_or_b32_e32 v5, 0x300, v0
	v_cmp_gt_u32_e64 s[0:1], s8, v5
	v_mov_b32_e32 v9, 0
	v_mov_b32_e32 v7, 0
	;; [unrolled: 1-line block ×13, first 2 shown]
	s_and_saveexec_b64 s[14:15], s[0:1]
	s_cbranch_execz .LBB27_32
; %bb.7:
	global_load_ubyte v9, v[1:2], off offset:768
	v_or_b32_e32 v5, 0x400, v0
	v_cmp_gt_u32_e64 s[0:1], s8, v5
	v_mov_b32_e32 v7, 0
	v_mov_b32_e32 v5, 0
	;; [unrolled: 1-line block ×12, first 2 shown]
	s_and_saveexec_b64 s[16:17], s[0:1]
	s_cbranch_execz .LBB27_31
; %bb.8:
	global_load_ubyte v7, v[1:2], off offset:1024
	v_or_b32_e32 v5, 0x500, v0
	v_cmp_gt_u32_e64 s[0:1], s8, v5
	v_mov_b32_e32 v5, 0
	v_mov_b32_e32 v8, 0
	;; [unrolled: 1-line block ×11, first 2 shown]
	s_and_saveexec_b64 s[18:19], s[0:1]
	s_cbranch_execz .LBB27_30
; %bb.9:
	global_load_ubyte v5, v[1:2], off offset:1280
	v_or_b32_e32 v6, 0x600, v0
	v_cmp_gt_u32_e64 s[0:1], s8, v6
	v_mov_b32_e32 v8, 0
	v_mov_b32_e32 v6, 0
	;; [unrolled: 1-line block ×10, first 2 shown]
	s_and_saveexec_b64 s[20:21], s[0:1]
	s_cbranch_execz .LBB27_29
; %bb.10:
	global_load_ubyte v8, v[1:2], off offset:1536
	v_or_b32_e32 v6, 0x700, v0
	v_cmp_gt_u32_e64 s[0:1], s8, v6
	v_mov_b32_e32 v6, 0
	v_mov_b32_e32 v10, 0
	;; [unrolled: 1-line block ×9, first 2 shown]
	s_and_saveexec_b64 s[22:23], s[0:1]
	s_cbranch_execz .LBB27_28
; %bb.11:
	global_load_ubyte v6, v[1:2], off offset:1792
	v_or_b32_e32 v10, 0x800, v0
	v_cmp_gt_u32_e64 s[0:1], s8, v10
	v_mov_b32_e32 v10, 0
	v_mov_b32_e32 v14, 0
	;; [unrolled: 1-line block ×8, first 2 shown]
	s_and_saveexec_b64 s[24:25], s[0:1]
	s_cbranch_execz .LBB27_27
; %bb.12:
	global_load_ubyte v10, v[1:2], off offset:2048
	v_or_b32_e32 v14, 0x900, v0
	v_cmp_gt_u32_e64 s[0:1], s8, v14
	v_mov_b32_e32 v14, 0
	v_mov_b32_e32 v15, 0
	v_mov_b32_e32 v16, 0
	v_mov_b32_e32 v17, 0
	v_mov_b32_e32 v18, 0
	v_mov_b32_e32 v19, 0
	v_mov_b32_e32 v20, 0
	s_and_saveexec_b64 s[26:27], s[0:1]
	s_cbranch_execz .LBB27_26
; %bb.13:
	global_load_ubyte v14, v[1:2], off offset:2304
	v_or_b32_e32 v15, 0xa00, v0
	v_cmp_gt_u32_e64 s[0:1], s8, v15
	v_mov_b32_e32 v15, 0
	v_mov_b32_e32 v16, 0
	;; [unrolled: 1-line block ×6, first 2 shown]
	s_and_saveexec_b64 s[28:29], s[0:1]
	s_cbranch_execz .LBB27_25
; %bb.14:
	global_load_ubyte v15, v[1:2], off offset:2560
	v_or_b32_e32 v16, 0xb00, v0
	v_cmp_gt_u32_e64 s[0:1], s8, v16
	v_mov_b32_e32 v16, 0
	v_mov_b32_e32 v17, 0
	;; [unrolled: 1-line block ×5, first 2 shown]
	s_and_saveexec_b64 s[30:31], s[0:1]
	s_cbranch_execz .LBB27_24
; %bb.15:
	global_load_ubyte v16, v[1:2], off offset:2816
	v_or_b32_e32 v17, 0xc00, v0
	v_cmp_gt_u32_e64 s[0:1], s8, v17
	v_mov_b32_e32 v17, 0
	v_mov_b32_e32 v18, 0
	;; [unrolled: 1-line block ×4, first 2 shown]
	s_and_saveexec_b64 s[34:35], s[0:1]
	s_cbranch_execz .LBB27_23
; %bb.16:
	global_load_ubyte v17, v[1:2], off offset:3072
	v_or_b32_e32 v18, 0xd00, v0
	v_cmp_gt_u32_e64 s[0:1], s8, v18
	v_mov_b32_e32 v18, 0
	v_mov_b32_e32 v19, 0
	;; [unrolled: 1-line block ×3, first 2 shown]
	s_and_saveexec_b64 s[36:37], s[0:1]
	s_cbranch_execz .LBB27_22
; %bb.17:
	global_load_ubyte v18, v[1:2], off offset:3328
	v_or_b32_e32 v19, 0xe00, v0
	v_cmp_gt_u32_e64 s[0:1], s8, v19
	v_mov_b32_e32 v19, 0
	v_mov_b32_e32 v20, 0
	s_and_saveexec_b64 s[38:39], s[0:1]
	s_cbranch_execz .LBB27_21
; %bb.18:
	global_load_ubyte v19, v[1:2], off offset:3584
	v_or_b32_e32 v20, 0xf00, v0
	v_cmp_gt_u32_e64 s[0:1], s8, v20
	v_mov_b32_e32 v20, 0
	s_and_saveexec_b64 s[40:41], s[0:1]
	s_cbranch_execz .LBB27_20
; %bb.19:
	global_load_ubyte v20, v[1:2], off offset:3840
.LBB27_20:
	s_or_b64 exec, exec, s[40:41]
.LBB27_21:
	s_or_b64 exec, exec, s[38:39]
.LBB27_22:
	s_or_b64 exec, exec, s[36:37]
.LBB27_23:
	s_or_b64 exec, exec, s[34:35]
.LBB27_24:
	s_or_b64 exec, exec, s[30:31]
.LBB27_25:
	s_or_b64 exec, exec, s[28:29]
.LBB27_26:
	s_or_b64 exec, exec, s[26:27]
.LBB27_27:
	s_or_b64 exec, exec, s[24:25]
.LBB27_28:
	s_or_b64 exec, exec, s[22:23]
.LBB27_29:
	s_or_b64 exec, exec, s[20:21]
.LBB27_30:
	s_or_b64 exec, exec, s[18:19]
.LBB27_31:
	s_or_b64 exec, exec, s[16:17]
.LBB27_32:
	s_or_b64 exec, exec, s[14:15]
.LBB27_33:
	s_or_b64 exec, exec, s[6:7]
.LBB27_34:
	s_or_b64 exec, exec, s[4:5]
.LBB27_35:
	s_or_b64 exec, exec, s[2:3]
	s_cmp_eq_u32 s9, 0
	s_cselect_b64 s[2:3], -1, 0
	s_and_b32 s5, s10, 0xff
	s_waitcnt vmcnt(0)
	v_cmp_ne_u16_sdwa s[0:1], v11, s5 src0_sel:BYTE_0 src1_sel:DWORD
	s_xor_b64 s[0:1], s[2:3], s[0:1]
	v_cndmask_b32_e64 v1, 0, 1, s[0:1]
	v_cmp_ne_u16_sdwa s[0:1], v12, s5 src0_sel:BYTE_0 src1_sel:DWORD
	s_xor_b64 s[0:1], s[2:3], s[0:1]
	v_cndmask_b32_e64 v2, 0, 1, s[0:1]
	v_cndmask_b32_e32 v1, 0, v1, vcc
	v_lshlrev_b16_e32 v2, 8, v2
	v_or_b32_e32 v2, v1, v2
	v_and_b32_e32 v2, 0xffff, v2
	v_cmp_gt_i32_e64 s[0:1], s8, v3
	v_cndmask_b32_e64 v1, v1, v2, s[0:1]
	v_cmp_ne_u16_sdwa s[0:1], v13, s5 src0_sel:BYTE_0 src1_sel:DWORD
	s_xor_b64 s[0:1], s[2:3], s[0:1]
	v_or_b32_e32 v2, 0x200, v0
	v_cndmask_b32_e64 v11, 0, 1, s[0:1]
	v_lshl_or_b32 v11, v11, 16, v1
	v_cmp_gt_i32_e64 s[0:1], s8, v2
	v_cndmask_b32_e64 v1, v1, v11, s[0:1]
	v_cmp_ne_u16_sdwa s[0:1], v9, s5 src0_sel:BYTE_0 src1_sel:DWORD
	s_xor_b64 s[0:1], s[2:3], s[0:1]
	s_movk_i32 s4, 0xff
	v_cndmask_b32_e64 v9, 0, 1, s[0:1]
	v_and_b32_sdwa v2, v1, s4 dst_sel:DWORD dst_unused:UNUSED_PAD src0_sel:WORD_1 src1_sel:DWORD
	v_lshlrev_b16_e32 v9, 8, v9
	s_mov_b32 s6, 0xffff
	v_or_b32_e32 v11, 0x300, v0
	v_or_b32_sdwa v2, v2, v9 dst_sel:WORD_1 dst_unused:UNUSED_PAD src0_sel:DWORD src1_sel:DWORD
	v_and_or_b32 v2, v1, s6, v2
	v_cmp_gt_i32_e64 s[0:1], s8, v11
	v_cndmask_b32_e64 v9, v1, v2, s[0:1]
	v_cmp_ne_u16_sdwa s[0:1], v7, s5 src0_sel:BYTE_0 src1_sel:DWORD
	s_xor_b64 s[0:1], s[2:3], s[0:1]
	v_cndmask_b32_e64 v1, 0, 1, s[0:1]
	v_or_b32_e32 v2, 0x400, v0
	v_and_b32_e32 v1, 0xffff, v1
	v_cmp_gt_i32_e64 s[0:1], s8, v2
	v_cndmask_b32_e64 v1, 0, v1, s[0:1]
	v_cmp_ne_u16_sdwa s[0:1], v5, s5 src0_sel:BYTE_0 src1_sel:DWORD
	s_xor_b64 s[0:1], s[2:3], s[0:1]
	v_cndmask_b32_e64 v5, 0, 1, s[0:1]
	v_lshlrev_b16_e32 v5, 8, v5
	v_or_b32_e32 v2, 0x500, v0
	v_or_b32_sdwa v5, v1, v5 dst_sel:DWORD dst_unused:UNUSED_PAD src0_sel:BYTE_0 src1_sel:DWORD
	v_and_b32_e32 v5, 0xffff, v5
	v_cmp_gt_i32_e64 s[0:1], s8, v2
	v_cndmask_b32_e64 v1, v1, v5, s[0:1]
	v_cmp_ne_u16_sdwa s[0:1], v8, s5 src0_sel:BYTE_0 src1_sel:DWORD
	s_movk_i32 s7, 0xff00
	s_xor_b64 s[0:1], s[2:3], s[0:1]
	v_and_b32_sdwa v2, v1, s7 dst_sel:DWORD dst_unused:UNUSED_PAD src0_sel:WORD_1 src1_sel:DWORD
	v_cndmask_b32_e64 v5, 0, 1, s[0:1]
	v_or_b32_sdwa v2, v5, v2 dst_sel:WORD_1 dst_unused:UNUSED_PAD src0_sel:DWORD src1_sel:DWORD
	v_or_b32_e32 v5, 0x600, v0
	v_and_or_b32 v2, v1, s6, v2
	v_cmp_gt_i32_e64 s[0:1], s8, v5
	v_cndmask_b32_e64 v1, v1, v2, s[0:1]
	v_cmp_ne_u16_sdwa s[0:1], v6, s5 src0_sel:BYTE_0 src1_sel:DWORD
	s_xor_b64 s[0:1], s[2:3], s[0:1]
	v_cndmask_b32_e64 v6, 0, 1, s[0:1]
	v_and_b32_sdwa v2, v1, s4 dst_sel:DWORD dst_unused:UNUSED_PAD src0_sel:WORD_1 src1_sel:DWORD
	v_lshlrev_b16_e32 v6, 8, v6
	v_or_b32_e32 v5, 0x700, v0
	v_or_b32_sdwa v2, v2, v6 dst_sel:WORD_1 dst_unused:UNUSED_PAD src0_sel:DWORD src1_sel:DWORD
	v_and_or_b32 v2, v1, s6, v2
	v_cmp_gt_i32_e64 s[0:1], s8, v5
	v_cndmask_b32_e64 v5, v1, v2, s[0:1]
	v_cmp_ne_u16_sdwa s[0:1], v10, s5 src0_sel:BYTE_0 src1_sel:DWORD
	v_or_b32_e32 v1, 0x800, v0
	s_xor_b64 s[0:1], s[2:3], s[0:1]
	v_cndmask_b32_e64 v2, 0, 1, s[0:1]
	v_cmp_gt_i32_e64 s[0:1], s8, v1
	v_cndmask_b32_e64 v1, 0, v2, s[0:1]
	v_cmp_ne_u16_sdwa s[0:1], v14, s5 src0_sel:BYTE_0 src1_sel:DWORD
	s_xor_b64 s[0:1], s[2:3], s[0:1]
	v_cndmask_b32_e64 v6, 0, 1, s[0:1]
	v_lshlrev_b16_e32 v6, 8, v6
	v_or_b32_e32 v2, 0x900, v0
	v_or_b32_e32 v6, v1, v6
	v_and_b32_e32 v6, 0xffff, v6
	v_cmp_gt_i32_e64 s[0:1], s8, v2
	v_cndmask_b32_e64 v1, v1, v6, s[0:1]
	v_cmp_ne_u16_sdwa s[0:1], v15, s5 src0_sel:BYTE_0 src1_sel:DWORD
	s_xor_b64 s[0:1], s[2:3], s[0:1]
	v_cndmask_b32_e64 v6, 0, 1, s[0:1]
	v_or_b32_e32 v2, 0xa00, v0
	v_lshlrev_b32_e32 v6, 16, v6
	s_movk_i32 s0, 0x1ff
	v_and_or_b32 v6, v1, s0, v6
	v_cmp_gt_i32_e64 s[0:1], s8, v2
	v_cndmask_b32_e64 v1, v1, v6, s[0:1]
	v_cmp_ne_u16_sdwa s[0:1], v16, s5 src0_sel:BYTE_0 src1_sel:DWORD
	s_xor_b64 s[0:1], s[2:3], s[0:1]
	v_cndmask_b32_e64 v7, 0, 1, s[0:1]
	v_and_b32_sdwa v2, v1, s4 dst_sel:DWORD dst_unused:UNUSED_PAD src0_sel:WORD_1 src1_sel:DWORD
	v_lshlrev_b16_e32 v7, 8, v7
	v_or_b32_e32 v6, 0xb00, v0
	v_or_b32_sdwa v2, v2, v7 dst_sel:WORD_1 dst_unused:UNUSED_PAD src0_sel:DWORD src1_sel:DWORD
	v_and_or_b32 v2, v1, s6, v2
	v_cmp_gt_i32_e64 s[0:1], s8, v6
	v_cndmask_b32_e64 v2, v1, v2, s[0:1]
	v_cmp_ne_u16_sdwa s[0:1], v17, s5 src0_sel:BYTE_0 src1_sel:DWORD
	v_or_b32_e32 v1, 0xc00, v0
	s_xor_b64 s[0:1], s[2:3], s[0:1]
	v_cndmask_b32_e64 v6, 0, 1, s[0:1]
	v_cmp_gt_i32_e64 s[0:1], s8, v1
	v_cndmask_b32_e64 v1, 0, v6, s[0:1]
	v_cmp_ne_u16_sdwa s[0:1], v18, s5 src0_sel:BYTE_0 src1_sel:DWORD
	s_xor_b64 s[0:1], s[2:3], s[0:1]
	v_cndmask_b32_e64 v7, 0, 1, s[0:1]
	v_lshlrev_b16_e32 v7, 8, v7
	v_or_b32_e32 v6, 0xd00, v0
	v_or_b32_sdwa v7, v1, v7 dst_sel:DWORD dst_unused:UNUSED_PAD src0_sel:BYTE_0 src1_sel:DWORD
	v_and_b32_e32 v7, 0xffff, v7
	v_cmp_gt_i32_e64 s[0:1], s8, v6
	v_cndmask_b32_e64 v1, v1, v7, s[0:1]
	v_cmp_ne_u16_sdwa s[0:1], v19, s5 src0_sel:BYTE_0 src1_sel:DWORD
	s_xor_b64 s[0:1], s[2:3], s[0:1]
	v_and_b32_sdwa v6, v1, s7 dst_sel:DWORD dst_unused:UNUSED_PAD src0_sel:WORD_1 src1_sel:DWORD
	v_cndmask_b32_e64 v7, 0, 1, s[0:1]
	v_or_b32_sdwa v6, v7, v6 dst_sel:WORD_1 dst_unused:UNUSED_PAD src0_sel:DWORD src1_sel:DWORD
	v_or_b32_e32 v7, 0xe00, v0
	v_and_or_b32 v6, v1, s6, v6
	v_cmp_gt_i32_e64 s[0:1], s8, v7
	v_cndmask_b32_e64 v1, v1, v6, s[0:1]
	v_cmp_ne_u16_sdwa s[0:1], v20, s5 src0_sel:BYTE_0 src1_sel:DWORD
	s_xor_b64 s[0:1], s[2:3], s[0:1]
	v_cndmask_b32_e64 v8, 0, 1, s[0:1]
	v_and_b32_sdwa v6, v1, s4 dst_sel:DWORD dst_unused:UNUSED_PAD src0_sel:WORD_1 src1_sel:DWORD
	v_lshlrev_b16_e32 v8, 8, v8
	v_or_b32_e32 v7, 0xf00, v0
	v_or_b32_sdwa v6, v6, v8 dst_sel:WORD_1 dst_unused:UNUSED_PAD src0_sel:DWORD src1_sel:DWORD
	v_and_or_b32 v6, v1, s6, v6
	v_cmp_gt_i32_e64 s[0:1], s8, v7
	v_cndmask_b32_e64 v1, v1, v6, s[0:1]
	s_and_saveexec_b64 s[0:1], vcc
	s_cbranch_execnz .LBB27_53
; %bb.36:
	s_or_b64 exec, exec, s[0:1]
	v_cmp_gt_i32_e32 vcc, s8, v0
	s_and_saveexec_b64 s[0:1], vcc
	s_cbranch_execnz .LBB27_54
.LBB27_37:
	s_or_b64 exec, exec, s[0:1]
	v_cmp_gt_i32_e32 vcc, s8, v0
	s_and_saveexec_b64 s[0:1], vcc
	s_cbranch_execnz .LBB27_55
.LBB27_38:
	s_or_b64 exec, exec, s[0:1]
	v_cmp_gt_i32_e32 vcc, s8, v0
	s_and_saveexec_b64 s[0:1], vcc
	s_cbranch_execnz .LBB27_56
.LBB27_39:
	s_or_b64 exec, exec, s[0:1]
	v_cmp_gt_i32_e32 vcc, s8, v0
	s_and_saveexec_b64 s[0:1], vcc
	s_cbranch_execnz .LBB27_57
.LBB27_40:
	s_or_b64 exec, exec, s[0:1]
	v_cmp_gt_i32_e32 vcc, s8, v0
	s_and_saveexec_b64 s[0:1], vcc
	s_cbranch_execnz .LBB27_58
.LBB27_41:
	s_or_b64 exec, exec, s[0:1]
	v_cmp_gt_i32_e32 vcc, s8, v0
	s_and_saveexec_b64 s[0:1], vcc
	s_cbranch_execnz .LBB27_59
.LBB27_42:
	s_or_b64 exec, exec, s[0:1]
	v_cmp_gt_i32_e32 vcc, s8, v0
	s_and_saveexec_b64 s[0:1], vcc
	s_cbranch_execnz .LBB27_60
.LBB27_43:
	s_or_b64 exec, exec, s[0:1]
	v_cmp_gt_i32_e32 vcc, s8, v0
	s_and_saveexec_b64 s[0:1], vcc
	s_cbranch_execnz .LBB27_61
.LBB27_44:
	s_or_b64 exec, exec, s[0:1]
	v_cmp_gt_i32_e32 vcc, s8, v0
	s_and_saveexec_b64 s[0:1], vcc
	s_cbranch_execnz .LBB27_62
.LBB27_45:
	s_or_b64 exec, exec, s[0:1]
	v_cmp_gt_i32_e32 vcc, s8, v0
	s_and_saveexec_b64 s[0:1], vcc
	s_cbranch_execnz .LBB27_63
.LBB27_46:
	s_or_b64 exec, exec, s[0:1]
	v_cmp_gt_i32_e32 vcc, s8, v0
	s_and_saveexec_b64 s[0:1], vcc
	s_cbranch_execnz .LBB27_64
.LBB27_47:
	s_or_b64 exec, exec, s[0:1]
	v_cmp_gt_i32_e32 vcc, s8, v0
	s_and_saveexec_b64 s[0:1], vcc
	s_cbranch_execnz .LBB27_65
.LBB27_48:
	s_or_b64 exec, exec, s[0:1]
	v_cmp_gt_i32_e32 vcc, s8, v0
	s_and_saveexec_b64 s[0:1], vcc
	s_cbranch_execnz .LBB27_66
.LBB27_49:
	s_or_b64 exec, exec, s[0:1]
	v_cmp_gt_i32_e32 vcc, s8, v0
	s_and_saveexec_b64 s[0:1], vcc
	s_cbranch_execnz .LBB27_67
.LBB27_50:
	s_or_b64 exec, exec, s[0:1]
	v_cmp_gt_i32_e32 vcc, s8, v0
	s_and_saveexec_b64 s[0:1], vcc
	s_cbranch_execz .LBB27_52
.LBB27_51:
	v_lshrrev_b32_e32 v1, 24, v1
	v_add_u32_e32 v0, s11, v0
	global_store_byte v0, v1, s[12:13]
.LBB27_52:
	s_endpgm
.LBB27_53:
	v_mov_b32_e32 v0, v3
	global_store_byte v4, v9, s[12:13]
	s_or_b64 exec, exec, s[0:1]
	v_cmp_gt_i32_e32 vcc, s8, v0
	s_and_saveexec_b64 s[0:1], vcc
	s_cbranch_execz .LBB27_37
.LBB27_54:
	v_lshrrev_b32_e32 v3, 8, v9
	v_add_u32_e32 v4, s11, v0
	v_add_u32_e32 v0, 0x100, v0
	global_store_byte v4, v3, s[12:13]
	s_or_b64 exec, exec, s[0:1]
	v_cmp_gt_i32_e32 vcc, s8, v0
	s_and_saveexec_b64 s[0:1], vcc
	s_cbranch_execz .LBB27_38
.LBB27_55:
	v_add_u32_e32 v3, s11, v0
	v_add_u32_e32 v0, 0x100, v0
	global_store_byte_d16_hi v3, v9, s[12:13]
	s_or_b64 exec, exec, s[0:1]
	v_cmp_gt_i32_e32 vcc, s8, v0
	s_and_saveexec_b64 s[0:1], vcc
	s_cbranch_execz .LBB27_39
.LBB27_56:
	v_lshrrev_b32_e32 v3, 24, v9
	v_add_u32_e32 v4, s11, v0
	v_add_u32_e32 v0, 0x100, v0
	global_store_byte v4, v3, s[12:13]
	s_or_b64 exec, exec, s[0:1]
	v_cmp_gt_i32_e32 vcc, s8, v0
	s_and_saveexec_b64 s[0:1], vcc
	s_cbranch_execz .LBB27_40
.LBB27_57:
	v_add_u32_e32 v3, s11, v0
	v_add_u32_e32 v0, 0x100, v0
	global_store_byte v3, v5, s[12:13]
	s_or_b64 exec, exec, s[0:1]
	v_cmp_gt_i32_e32 vcc, s8, v0
	s_and_saveexec_b64 s[0:1], vcc
	s_cbranch_execz .LBB27_41
.LBB27_58:
	v_lshrrev_b32_e32 v3, 8, v5
	v_add_u32_e32 v4, s11, v0
	v_add_u32_e32 v0, 0x100, v0
	global_store_byte v4, v3, s[12:13]
	s_or_b64 exec, exec, s[0:1]
	v_cmp_gt_i32_e32 vcc, s8, v0
	s_and_saveexec_b64 s[0:1], vcc
	s_cbranch_execz .LBB27_42
.LBB27_59:
	v_add_u32_e32 v3, s11, v0
	v_add_u32_e32 v0, 0x100, v0
	global_store_byte_d16_hi v3, v5, s[12:13]
	s_or_b64 exec, exec, s[0:1]
	v_cmp_gt_i32_e32 vcc, s8, v0
	s_and_saveexec_b64 s[0:1], vcc
	s_cbranch_execz .LBB27_43
.LBB27_60:
	v_lshrrev_b32_e32 v3, 24, v5
	v_add_u32_e32 v4, s11, v0
	v_add_u32_e32 v0, 0x100, v0
	global_store_byte v4, v3, s[12:13]
	s_or_b64 exec, exec, s[0:1]
	v_cmp_gt_i32_e32 vcc, s8, v0
	s_and_saveexec_b64 s[0:1], vcc
	s_cbranch_execz .LBB27_44
.LBB27_61:
	v_add_u32_e32 v3, s11, v0
	v_add_u32_e32 v0, 0x100, v0
	global_store_byte v3, v2, s[12:13]
	s_or_b64 exec, exec, s[0:1]
	v_cmp_gt_i32_e32 vcc, s8, v0
	s_and_saveexec_b64 s[0:1], vcc
	s_cbranch_execz .LBB27_45
.LBB27_62:
	v_lshrrev_b32_e32 v3, 8, v2
	v_add_u32_e32 v4, s11, v0
	v_add_u32_e32 v0, 0x100, v0
	global_store_byte v4, v3, s[12:13]
	s_or_b64 exec, exec, s[0:1]
	v_cmp_gt_i32_e32 vcc, s8, v0
	s_and_saveexec_b64 s[0:1], vcc
	s_cbranch_execz .LBB27_46
.LBB27_63:
	v_add_u32_e32 v3, s11, v0
	v_add_u32_e32 v0, 0x100, v0
	global_store_byte_d16_hi v3, v2, s[12:13]
	s_or_b64 exec, exec, s[0:1]
	v_cmp_gt_i32_e32 vcc, s8, v0
	s_and_saveexec_b64 s[0:1], vcc
	s_cbranch_execz .LBB27_47
.LBB27_64:
	v_lshrrev_b32_e32 v2, 24, v2
	v_add_u32_e32 v3, s11, v0
	v_add_u32_e32 v0, 0x100, v0
	global_store_byte v3, v2, s[12:13]
	s_or_b64 exec, exec, s[0:1]
	v_cmp_gt_i32_e32 vcc, s8, v0
	s_and_saveexec_b64 s[0:1], vcc
	s_cbranch_execz .LBB27_48
.LBB27_65:
	v_add_u32_e32 v2, s11, v0
	v_add_u32_e32 v0, 0x100, v0
	global_store_byte v2, v1, s[12:13]
	s_or_b64 exec, exec, s[0:1]
	v_cmp_gt_i32_e32 vcc, s8, v0
	s_and_saveexec_b64 s[0:1], vcc
	s_cbranch_execz .LBB27_49
.LBB27_66:
	v_lshrrev_b32_e32 v2, 8, v1
	v_add_u32_e32 v3, s11, v0
	v_add_u32_e32 v0, 0x100, v0
	global_store_byte v3, v2, s[12:13]
	s_or_b64 exec, exec, s[0:1]
	v_cmp_gt_i32_e32 vcc, s8, v0
	s_and_saveexec_b64 s[0:1], vcc
	s_cbranch_execz .LBB27_50
.LBB27_67:
	v_add_u32_e32 v2, s11, v0
	v_add_u32_e32 v0, 0x100, v0
	global_store_byte_d16_hi v2, v1, s[12:13]
	s_or_b64 exec, exec, s[0:1]
	v_cmp_gt_i32_e32 vcc, s8, v0
	s_and_saveexec_b64 s[0:1], vcc
	s_cbranch_execnz .LBB27_51
	s_branch .LBB27_52
	.section	.rodata,"a",@progbits
	.p2align	6, 0x0
	.amdhsa_kernel _ZN2at6native29vectorized_elementwise_kernelILi2ENS0_13AUnaryFunctorIaabNS0_12_GLOBAL__N_116CompareEqFunctorIaEEEESt5arrayIPcLm2EEEEviT0_T1_
		.amdhsa_group_segment_fixed_size 0
		.amdhsa_private_segment_fixed_size 0
		.amdhsa_kernarg_size 32
		.amdhsa_user_sgpr_count 6
		.amdhsa_user_sgpr_private_segment_buffer 1
		.amdhsa_user_sgpr_dispatch_ptr 0
		.amdhsa_user_sgpr_queue_ptr 0
		.amdhsa_user_sgpr_kernarg_segment_ptr 1
		.amdhsa_user_sgpr_dispatch_id 0
		.amdhsa_user_sgpr_flat_scratch_init 0
		.amdhsa_user_sgpr_private_segment_size 0
		.amdhsa_uses_dynamic_stack 0
		.amdhsa_system_sgpr_private_segment_wavefront_offset 0
		.amdhsa_system_sgpr_workgroup_id_x 1
		.amdhsa_system_sgpr_workgroup_id_y 0
		.amdhsa_system_sgpr_workgroup_id_z 0
		.amdhsa_system_sgpr_workgroup_info 0
		.amdhsa_system_vgpr_workitem_id 0
		.amdhsa_next_free_vgpr 21
		.amdhsa_next_free_sgpr 44
		.amdhsa_reserve_vcc 1
		.amdhsa_reserve_flat_scratch 0
		.amdhsa_float_round_mode_32 0
		.amdhsa_float_round_mode_16_64 0
		.amdhsa_float_denorm_mode_32 3
		.amdhsa_float_denorm_mode_16_64 3
		.amdhsa_dx10_clamp 1
		.amdhsa_ieee_mode 1
		.amdhsa_fp16_overflow 0
		.amdhsa_exception_fp_ieee_invalid_op 0
		.amdhsa_exception_fp_denorm_src 0
		.amdhsa_exception_fp_ieee_div_zero 0
		.amdhsa_exception_fp_ieee_overflow 0
		.amdhsa_exception_fp_ieee_underflow 0
		.amdhsa_exception_fp_ieee_inexact 0
		.amdhsa_exception_int_div_zero 0
	.end_amdhsa_kernel
	.section	.text._ZN2at6native29vectorized_elementwise_kernelILi2ENS0_13AUnaryFunctorIaabNS0_12_GLOBAL__N_116CompareEqFunctorIaEEEESt5arrayIPcLm2EEEEviT0_T1_,"axG",@progbits,_ZN2at6native29vectorized_elementwise_kernelILi2ENS0_13AUnaryFunctorIaabNS0_12_GLOBAL__N_116CompareEqFunctorIaEEEESt5arrayIPcLm2EEEEviT0_T1_,comdat
.Lfunc_end27:
	.size	_ZN2at6native29vectorized_elementwise_kernelILi2ENS0_13AUnaryFunctorIaabNS0_12_GLOBAL__N_116CompareEqFunctorIaEEEESt5arrayIPcLm2EEEEviT0_T1_, .Lfunc_end27-_ZN2at6native29vectorized_elementwise_kernelILi2ENS0_13AUnaryFunctorIaabNS0_12_GLOBAL__N_116CompareEqFunctorIaEEEESt5arrayIPcLm2EEEEviT0_T1_
                                        ; -- End function
	.set _ZN2at6native29vectorized_elementwise_kernelILi2ENS0_13AUnaryFunctorIaabNS0_12_GLOBAL__N_116CompareEqFunctorIaEEEESt5arrayIPcLm2EEEEviT0_T1_.num_vgpr, 21
	.set _ZN2at6native29vectorized_elementwise_kernelILi2ENS0_13AUnaryFunctorIaabNS0_12_GLOBAL__N_116CompareEqFunctorIaEEEESt5arrayIPcLm2EEEEviT0_T1_.num_agpr, 0
	.set _ZN2at6native29vectorized_elementwise_kernelILi2ENS0_13AUnaryFunctorIaabNS0_12_GLOBAL__N_116CompareEqFunctorIaEEEESt5arrayIPcLm2EEEEviT0_T1_.numbered_sgpr, 44
	.set _ZN2at6native29vectorized_elementwise_kernelILi2ENS0_13AUnaryFunctorIaabNS0_12_GLOBAL__N_116CompareEqFunctorIaEEEESt5arrayIPcLm2EEEEviT0_T1_.num_named_barrier, 0
	.set _ZN2at6native29vectorized_elementwise_kernelILi2ENS0_13AUnaryFunctorIaabNS0_12_GLOBAL__N_116CompareEqFunctorIaEEEESt5arrayIPcLm2EEEEviT0_T1_.private_seg_size, 0
	.set _ZN2at6native29vectorized_elementwise_kernelILi2ENS0_13AUnaryFunctorIaabNS0_12_GLOBAL__N_116CompareEqFunctorIaEEEESt5arrayIPcLm2EEEEviT0_T1_.uses_vcc, 1
	.set _ZN2at6native29vectorized_elementwise_kernelILi2ENS0_13AUnaryFunctorIaabNS0_12_GLOBAL__N_116CompareEqFunctorIaEEEESt5arrayIPcLm2EEEEviT0_T1_.uses_flat_scratch, 0
	.set _ZN2at6native29vectorized_elementwise_kernelILi2ENS0_13AUnaryFunctorIaabNS0_12_GLOBAL__N_116CompareEqFunctorIaEEEESt5arrayIPcLm2EEEEviT0_T1_.has_dyn_sized_stack, 0
	.set _ZN2at6native29vectorized_elementwise_kernelILi2ENS0_13AUnaryFunctorIaabNS0_12_GLOBAL__N_116CompareEqFunctorIaEEEESt5arrayIPcLm2EEEEviT0_T1_.has_recursion, 0
	.set _ZN2at6native29vectorized_elementwise_kernelILi2ENS0_13AUnaryFunctorIaabNS0_12_GLOBAL__N_116CompareEqFunctorIaEEEESt5arrayIPcLm2EEEEviT0_T1_.has_indirect_call, 0
	.section	.AMDGPU.csdata,"",@progbits
; Kernel info:
; codeLenInByte = 3572
; TotalNumSgprs: 48
; NumVgprs: 21
; ScratchSize: 0
; MemoryBound: 0
; FloatMode: 240
; IeeeMode: 1
; LDSByteSize: 0 bytes/workgroup (compile time only)
; SGPRBlocks: 5
; VGPRBlocks: 5
; NumSGPRsForWavesPerEU: 48
; NumVGPRsForWavesPerEU: 21
; Occupancy: 10
; WaveLimiterHint : 1
; COMPUTE_PGM_RSRC2:SCRATCH_EN: 0
; COMPUTE_PGM_RSRC2:USER_SGPR: 6
; COMPUTE_PGM_RSRC2:TRAP_HANDLER: 0
; COMPUTE_PGM_RSRC2:TGID_X_EN: 1
; COMPUTE_PGM_RSRC2:TGID_Y_EN: 0
; COMPUTE_PGM_RSRC2:TGID_Z_EN: 0
; COMPUTE_PGM_RSRC2:TIDIG_COMP_CNT: 0
	.section	.text._ZN2at6native27unrolled_elementwise_kernelINS0_13AUnaryFunctorIaabNS0_12_GLOBAL__N_116CompareEqFunctorIaEEEESt5arrayIPcLm2EELi4E23TrivialOffsetCalculatorILi1EjESB_NS0_6memory15LoadWithoutCastENSC_16StoreWithoutCastEEEviT_T0_T2_T3_T4_T5_,"axG",@progbits,_ZN2at6native27unrolled_elementwise_kernelINS0_13AUnaryFunctorIaabNS0_12_GLOBAL__N_116CompareEqFunctorIaEEEESt5arrayIPcLm2EELi4E23TrivialOffsetCalculatorILi1EjESB_NS0_6memory15LoadWithoutCastENSC_16StoreWithoutCastEEEviT_T0_T2_T3_T4_T5_,comdat
	.globl	_ZN2at6native27unrolled_elementwise_kernelINS0_13AUnaryFunctorIaabNS0_12_GLOBAL__N_116CompareEqFunctorIaEEEESt5arrayIPcLm2EELi4E23TrivialOffsetCalculatorILi1EjESB_NS0_6memory15LoadWithoutCastENSC_16StoreWithoutCastEEEviT_T0_T2_T3_T4_T5_ ; -- Begin function _ZN2at6native27unrolled_elementwise_kernelINS0_13AUnaryFunctorIaabNS0_12_GLOBAL__N_116CompareEqFunctorIaEEEESt5arrayIPcLm2EELi4E23TrivialOffsetCalculatorILi1EjESB_NS0_6memory15LoadWithoutCastENSC_16StoreWithoutCastEEEviT_T0_T2_T3_T4_T5_
	.p2align	8
	.type	_ZN2at6native27unrolled_elementwise_kernelINS0_13AUnaryFunctorIaabNS0_12_GLOBAL__N_116CompareEqFunctorIaEEEESt5arrayIPcLm2EELi4E23TrivialOffsetCalculatorILi1EjESB_NS0_6memory15LoadWithoutCastENSC_16StoreWithoutCastEEEviT_T0_T2_T3_T4_T5_,@function
_ZN2at6native27unrolled_elementwise_kernelINS0_13AUnaryFunctorIaabNS0_12_GLOBAL__N_116CompareEqFunctorIaEEEESt5arrayIPcLm2EELi4E23TrivialOffsetCalculatorILi1EjESB_NS0_6memory15LoadWithoutCastENSC_16StoreWithoutCastEEEviT_T0_T2_T3_T4_T5_: ; @_ZN2at6native27unrolled_elementwise_kernelINS0_13AUnaryFunctorIaabNS0_12_GLOBAL__N_116CompareEqFunctorIaEEEESt5arrayIPcLm2EELi4E23TrivialOffsetCalculatorILi1EjESB_NS0_6memory15LoadWithoutCastENSC_16StoreWithoutCastEEEviT_T0_T2_T3_T4_T5_
; %bb.0:
	s_load_dwordx8 s[8:15], s[4:5], 0x0
	s_waitcnt lgkmcnt(0)
	s_lshl_b32 s11, s6, 10
	v_or_b32_e32 v1, 0x100, v0
	v_mov_b32_e32 v3, 0
	v_or_b32_e32 v2, s11, v0
	s_sub_i32 s8, s8, s11
	v_cmp_gt_i32_e32 vcc, s8, v0
	v_mov_b32_e32 v4, 0
	v_mov_b32_e32 v5, 0
	;; [unrolled: 1-line block ×3, first 2 shown]
	s_and_saveexec_b64 s[2:3], vcc
	s_cbranch_execz .LBB28_8
; %bb.1:
	global_load_ubyte v6, v2, s[14:15]
	v_cmp_gt_u32_e64 s[0:1], s8, v1
	v_mov_b32_e32 v5, 0
	v_mov_b32_e32 v4, 0
	;; [unrolled: 1-line block ×3, first 2 shown]
	s_and_saveexec_b64 s[4:5], s[0:1]
	s_cbranch_execz .LBB28_7
; %bb.2:
	v_add_u32_e32 v3, s11, v1
	global_load_ubyte v5, v3, s[14:15]
	v_or_b32_e32 v7, 0x200, v0
	v_cmp_gt_u32_e64 s[0:1], s8, v7
	v_mov_b32_e32 v4, 0
	v_mov_b32_e32 v3, 0
	s_and_saveexec_b64 s[6:7], s[0:1]
	s_cbranch_execz .LBB28_6
; %bb.3:
	v_add_u32_e32 v3, s11, v7
	global_load_ubyte v4, v3, s[14:15]
	v_or_b32_e32 v7, 0x300, v0
	v_cmp_gt_u32_e64 s[0:1], s8, v7
	v_mov_b32_e32 v3, 0
	s_and_saveexec_b64 s[16:17], s[0:1]
	s_cbranch_execz .LBB28_5
; %bb.4:
	v_add_u32_e32 v3, s11, v7
	global_load_ubyte v3, v3, s[14:15]
.LBB28_5:
	s_or_b64 exec, exec, s[16:17]
.LBB28_6:
	s_or_b64 exec, exec, s[6:7]
.LBB28_7:
	s_or_b64 exec, exec, s[4:5]
.LBB28_8:
	s_or_b64 exec, exec, s[2:3]
	s_and_b32 s5, s10, 0xff
	s_cmp_eq_u32 s9, 0
	s_cselect_b64 s[2:3], -1, 0
	s_waitcnt vmcnt(0)
	v_cmp_ne_u16_sdwa s[0:1], v6, s5 src0_sel:BYTE_0 src1_sel:DWORD
	s_xor_b64 s[0:1], s[2:3], s[0:1]
	v_cndmask_b32_e64 v6, 0, 1, s[0:1]
	v_cmp_ne_u16_sdwa s[0:1], v5, s5 src0_sel:BYTE_0 src1_sel:DWORD
	s_xor_b64 s[0:1], s[2:3], s[0:1]
	v_cndmask_b32_e64 v5, 0, 1, s[0:1]
	v_cndmask_b32_e32 v6, 0, v6, vcc
	v_lshlrev_b16_e32 v5, 8, v5
	v_or_b32_e32 v5, v6, v5
	v_and_b32_e32 v5, 0xffff, v5
	v_cmp_gt_i32_e64 s[0:1], s8, v1
	v_cndmask_b32_e64 v5, v6, v5, s[0:1]
	v_cmp_ne_u16_sdwa s[0:1], v4, s5 src0_sel:BYTE_0 src1_sel:DWORD
	s_xor_b64 s[0:1], s[2:3], s[0:1]
	v_cndmask_b32_e64 v4, 0, 1, s[0:1]
	v_or_b32_e32 v6, 0x200, v0
	v_lshlrev_b32_e32 v4, 16, v4
	v_or_b32_e32 v4, v5, v4
	v_cmp_gt_i32_e64 s[0:1], s8, v6
	v_cndmask_b32_e64 v4, v5, v4, s[0:1]
	v_cmp_ne_u16_sdwa s[0:1], v3, s5 src0_sel:BYTE_0 src1_sel:DWORD
	s_xor_b64 s[0:1], s[2:3], s[0:1]
	s_movk_i32 s4, 0xff
	v_cndmask_b32_e64 v3, 0, 1, s[0:1]
	v_and_b32_sdwa v5, v4, s4 dst_sel:DWORD dst_unused:UNUSED_PAD src0_sel:WORD_1 src1_sel:DWORD
	v_lshlrev_b16_e32 v3, 8, v3
	s_mov_b32 s6, 0xffff
	v_or_b32_e32 v6, 0x300, v0
	v_or_b32_sdwa v3, v5, v3 dst_sel:WORD_1 dst_unused:UNUSED_PAD src0_sel:DWORD src1_sel:DWORD
	v_and_or_b32 v3, v4, s6, v3
	v_cmp_gt_i32_e64 s[0:1], s8, v6
	v_cndmask_b32_e64 v3, v4, v3, s[0:1]
	s_and_saveexec_b64 s[0:1], vcc
	s_cbranch_execnz .LBB28_13
; %bb.9:
	s_or_b64 exec, exec, s[0:1]
	v_cmp_gt_i32_e32 vcc, s8, v0
	s_and_saveexec_b64 s[0:1], vcc
	s_cbranch_execnz .LBB28_14
.LBB28_10:
	s_or_b64 exec, exec, s[0:1]
	v_cmp_gt_i32_e32 vcc, s8, v0
	s_and_saveexec_b64 s[0:1], vcc
	s_cbranch_execnz .LBB28_15
.LBB28_11:
	s_or_b64 exec, exec, s[0:1]
	v_cmp_gt_i32_e32 vcc, s8, v0
	s_and_saveexec_b64 s[0:1], vcc
	s_cbranch_execnz .LBB28_16
.LBB28_12:
	s_endpgm
.LBB28_13:
	v_mov_b32_e32 v0, v1
	global_store_byte v2, v3, s[12:13]
	s_or_b64 exec, exec, s[0:1]
	v_cmp_gt_i32_e32 vcc, s8, v0
	s_and_saveexec_b64 s[0:1], vcc
	s_cbranch_execz .LBB28_10
.LBB28_14:
	v_add_u32_e32 v1, 0x100, v0
	v_add_u32_e32 v0, s11, v0
	v_lshrrev_b32_e32 v2, 8, v3
	global_store_byte v0, v2, s[12:13]
	v_mov_b32_e32 v0, v1
	s_or_b64 exec, exec, s[0:1]
	v_cmp_gt_i32_e32 vcc, s8, v0
	s_and_saveexec_b64 s[0:1], vcc
	s_cbranch_execz .LBB28_11
.LBB28_15:
	v_add_u32_e32 v1, 0x100, v0
	v_add_u32_e32 v0, s11, v0
	global_store_byte_d16_hi v0, v3, s[12:13]
	v_mov_b32_e32 v0, v1
	s_or_b64 exec, exec, s[0:1]
	v_cmp_gt_i32_e32 vcc, s8, v0
	s_and_saveexec_b64 s[0:1], vcc
	s_cbranch_execz .LBB28_12
.LBB28_16:
	v_add_u32_e32 v0, s11, v0
	v_lshrrev_b32_e32 v1, 24, v3
	global_store_byte v0, v1, s[12:13]
	s_endpgm
	.section	.rodata,"a",@progbits
	.p2align	6, 0x0
	.amdhsa_kernel _ZN2at6native27unrolled_elementwise_kernelINS0_13AUnaryFunctorIaabNS0_12_GLOBAL__N_116CompareEqFunctorIaEEEESt5arrayIPcLm2EELi4E23TrivialOffsetCalculatorILi1EjESB_NS0_6memory15LoadWithoutCastENSC_16StoreWithoutCastEEEviT_T0_T2_T3_T4_T5_
		.amdhsa_group_segment_fixed_size 0
		.amdhsa_private_segment_fixed_size 0
		.amdhsa_kernarg_size 36
		.amdhsa_user_sgpr_count 6
		.amdhsa_user_sgpr_private_segment_buffer 1
		.amdhsa_user_sgpr_dispatch_ptr 0
		.amdhsa_user_sgpr_queue_ptr 0
		.amdhsa_user_sgpr_kernarg_segment_ptr 1
		.amdhsa_user_sgpr_dispatch_id 0
		.amdhsa_user_sgpr_flat_scratch_init 0
		.amdhsa_user_sgpr_private_segment_size 0
		.amdhsa_uses_dynamic_stack 0
		.amdhsa_system_sgpr_private_segment_wavefront_offset 0
		.amdhsa_system_sgpr_workgroup_id_x 1
		.amdhsa_system_sgpr_workgroup_id_y 0
		.amdhsa_system_sgpr_workgroup_id_z 0
		.amdhsa_system_sgpr_workgroup_info 0
		.amdhsa_system_vgpr_workitem_id 0
		.amdhsa_next_free_vgpr 8
		.amdhsa_next_free_sgpr 18
		.amdhsa_reserve_vcc 1
		.amdhsa_reserve_flat_scratch 0
		.amdhsa_float_round_mode_32 0
		.amdhsa_float_round_mode_16_64 0
		.amdhsa_float_denorm_mode_32 3
		.amdhsa_float_denorm_mode_16_64 3
		.amdhsa_dx10_clamp 1
		.amdhsa_ieee_mode 1
		.amdhsa_fp16_overflow 0
		.amdhsa_exception_fp_ieee_invalid_op 0
		.amdhsa_exception_fp_denorm_src 0
		.amdhsa_exception_fp_ieee_div_zero 0
		.amdhsa_exception_fp_ieee_overflow 0
		.amdhsa_exception_fp_ieee_underflow 0
		.amdhsa_exception_fp_ieee_inexact 0
		.amdhsa_exception_int_div_zero 0
	.end_amdhsa_kernel
	.section	.text._ZN2at6native27unrolled_elementwise_kernelINS0_13AUnaryFunctorIaabNS0_12_GLOBAL__N_116CompareEqFunctorIaEEEESt5arrayIPcLm2EELi4E23TrivialOffsetCalculatorILi1EjESB_NS0_6memory15LoadWithoutCastENSC_16StoreWithoutCastEEEviT_T0_T2_T3_T4_T5_,"axG",@progbits,_ZN2at6native27unrolled_elementwise_kernelINS0_13AUnaryFunctorIaabNS0_12_GLOBAL__N_116CompareEqFunctorIaEEEESt5arrayIPcLm2EELi4E23TrivialOffsetCalculatorILi1EjESB_NS0_6memory15LoadWithoutCastENSC_16StoreWithoutCastEEEviT_T0_T2_T3_T4_T5_,comdat
.Lfunc_end28:
	.size	_ZN2at6native27unrolled_elementwise_kernelINS0_13AUnaryFunctorIaabNS0_12_GLOBAL__N_116CompareEqFunctorIaEEEESt5arrayIPcLm2EELi4E23TrivialOffsetCalculatorILi1EjESB_NS0_6memory15LoadWithoutCastENSC_16StoreWithoutCastEEEviT_T0_T2_T3_T4_T5_, .Lfunc_end28-_ZN2at6native27unrolled_elementwise_kernelINS0_13AUnaryFunctorIaabNS0_12_GLOBAL__N_116CompareEqFunctorIaEEEESt5arrayIPcLm2EELi4E23TrivialOffsetCalculatorILi1EjESB_NS0_6memory15LoadWithoutCastENSC_16StoreWithoutCastEEEviT_T0_T2_T3_T4_T5_
                                        ; -- End function
	.set _ZN2at6native27unrolled_elementwise_kernelINS0_13AUnaryFunctorIaabNS0_12_GLOBAL__N_116CompareEqFunctorIaEEEESt5arrayIPcLm2EELi4E23TrivialOffsetCalculatorILi1EjESB_NS0_6memory15LoadWithoutCastENSC_16StoreWithoutCastEEEviT_T0_T2_T3_T4_T5_.num_vgpr, 8
	.set _ZN2at6native27unrolled_elementwise_kernelINS0_13AUnaryFunctorIaabNS0_12_GLOBAL__N_116CompareEqFunctorIaEEEESt5arrayIPcLm2EELi4E23TrivialOffsetCalculatorILi1EjESB_NS0_6memory15LoadWithoutCastENSC_16StoreWithoutCastEEEviT_T0_T2_T3_T4_T5_.num_agpr, 0
	.set _ZN2at6native27unrolled_elementwise_kernelINS0_13AUnaryFunctorIaabNS0_12_GLOBAL__N_116CompareEqFunctorIaEEEESt5arrayIPcLm2EELi4E23TrivialOffsetCalculatorILi1EjESB_NS0_6memory15LoadWithoutCastENSC_16StoreWithoutCastEEEviT_T0_T2_T3_T4_T5_.numbered_sgpr, 18
	.set _ZN2at6native27unrolled_elementwise_kernelINS0_13AUnaryFunctorIaabNS0_12_GLOBAL__N_116CompareEqFunctorIaEEEESt5arrayIPcLm2EELi4E23TrivialOffsetCalculatorILi1EjESB_NS0_6memory15LoadWithoutCastENSC_16StoreWithoutCastEEEviT_T0_T2_T3_T4_T5_.num_named_barrier, 0
	.set _ZN2at6native27unrolled_elementwise_kernelINS0_13AUnaryFunctorIaabNS0_12_GLOBAL__N_116CompareEqFunctorIaEEEESt5arrayIPcLm2EELi4E23TrivialOffsetCalculatorILi1EjESB_NS0_6memory15LoadWithoutCastENSC_16StoreWithoutCastEEEviT_T0_T2_T3_T4_T5_.private_seg_size, 0
	.set _ZN2at6native27unrolled_elementwise_kernelINS0_13AUnaryFunctorIaabNS0_12_GLOBAL__N_116CompareEqFunctorIaEEEESt5arrayIPcLm2EELi4E23TrivialOffsetCalculatorILi1EjESB_NS0_6memory15LoadWithoutCastENSC_16StoreWithoutCastEEEviT_T0_T2_T3_T4_T5_.uses_vcc, 1
	.set _ZN2at6native27unrolled_elementwise_kernelINS0_13AUnaryFunctorIaabNS0_12_GLOBAL__N_116CompareEqFunctorIaEEEESt5arrayIPcLm2EELi4E23TrivialOffsetCalculatorILi1EjESB_NS0_6memory15LoadWithoutCastENSC_16StoreWithoutCastEEEviT_T0_T2_T3_T4_T5_.uses_flat_scratch, 0
	.set _ZN2at6native27unrolled_elementwise_kernelINS0_13AUnaryFunctorIaabNS0_12_GLOBAL__N_116CompareEqFunctorIaEEEESt5arrayIPcLm2EELi4E23TrivialOffsetCalculatorILi1EjESB_NS0_6memory15LoadWithoutCastENSC_16StoreWithoutCastEEEviT_T0_T2_T3_T4_T5_.has_dyn_sized_stack, 0
	.set _ZN2at6native27unrolled_elementwise_kernelINS0_13AUnaryFunctorIaabNS0_12_GLOBAL__N_116CompareEqFunctorIaEEEESt5arrayIPcLm2EELi4E23TrivialOffsetCalculatorILi1EjESB_NS0_6memory15LoadWithoutCastENSC_16StoreWithoutCastEEEviT_T0_T2_T3_T4_T5_.has_recursion, 0
	.set _ZN2at6native27unrolled_elementwise_kernelINS0_13AUnaryFunctorIaabNS0_12_GLOBAL__N_116CompareEqFunctorIaEEEESt5arrayIPcLm2EELi4E23TrivialOffsetCalculatorILi1EjESB_NS0_6memory15LoadWithoutCastENSC_16StoreWithoutCastEEEviT_T0_T2_T3_T4_T5_.has_indirect_call, 0
	.section	.AMDGPU.csdata,"",@progbits
; Kernel info:
; codeLenInByte = 632
; TotalNumSgprs: 22
; NumVgprs: 8
; ScratchSize: 0
; MemoryBound: 0
; FloatMode: 240
; IeeeMode: 1
; LDSByteSize: 0 bytes/workgroup (compile time only)
; SGPRBlocks: 2
; VGPRBlocks: 1
; NumSGPRsForWavesPerEU: 22
; NumVGPRsForWavesPerEU: 8
; Occupancy: 10
; WaveLimiterHint : 0
; COMPUTE_PGM_RSRC2:SCRATCH_EN: 0
; COMPUTE_PGM_RSRC2:USER_SGPR: 6
; COMPUTE_PGM_RSRC2:TRAP_HANDLER: 0
; COMPUTE_PGM_RSRC2:TGID_X_EN: 1
; COMPUTE_PGM_RSRC2:TGID_Y_EN: 0
; COMPUTE_PGM_RSRC2:TGID_Z_EN: 0
; COMPUTE_PGM_RSRC2:TIDIG_COMP_CNT: 0
	.section	.text._ZN2at6native32elementwise_kernel_manual_unrollILi128ELi8EZNS0_22gpu_kernel_impl_nocastINS0_13AUnaryFunctorIaabNS0_12_GLOBAL__N_116CompareEqFunctorIaEEEEEEvRNS_18TensorIteratorBaseERKT_EUlibE_EEviT1_,"axG",@progbits,_ZN2at6native32elementwise_kernel_manual_unrollILi128ELi8EZNS0_22gpu_kernel_impl_nocastINS0_13AUnaryFunctorIaabNS0_12_GLOBAL__N_116CompareEqFunctorIaEEEEEEvRNS_18TensorIteratorBaseERKT_EUlibE_EEviT1_,comdat
	.globl	_ZN2at6native32elementwise_kernel_manual_unrollILi128ELi8EZNS0_22gpu_kernel_impl_nocastINS0_13AUnaryFunctorIaabNS0_12_GLOBAL__N_116CompareEqFunctorIaEEEEEEvRNS_18TensorIteratorBaseERKT_EUlibE_EEviT1_ ; -- Begin function _ZN2at6native32elementwise_kernel_manual_unrollILi128ELi8EZNS0_22gpu_kernel_impl_nocastINS0_13AUnaryFunctorIaabNS0_12_GLOBAL__N_116CompareEqFunctorIaEEEEEEvRNS_18TensorIteratorBaseERKT_EUlibE_EEviT1_
	.p2align	8
	.type	_ZN2at6native32elementwise_kernel_manual_unrollILi128ELi8EZNS0_22gpu_kernel_impl_nocastINS0_13AUnaryFunctorIaabNS0_12_GLOBAL__N_116CompareEqFunctorIaEEEEEEvRNS_18TensorIteratorBaseERKT_EUlibE_EEviT1_,@function
_ZN2at6native32elementwise_kernel_manual_unrollILi128ELi8EZNS0_22gpu_kernel_impl_nocastINS0_13AUnaryFunctorIaabNS0_12_GLOBAL__N_116CompareEqFunctorIaEEEEEEvRNS_18TensorIteratorBaseERKT_EUlibE_EEviT1_: ; @_ZN2at6native32elementwise_kernel_manual_unrollILi128ELi8EZNS0_22gpu_kernel_impl_nocastINS0_13AUnaryFunctorIaabNS0_12_GLOBAL__N_116CompareEqFunctorIaEEEEEEvRNS_18TensorIteratorBaseERKT_EUlibE_EEviT1_
; %bb.0:
	s_load_dword s59, s[4:5], 0x0
	s_load_dword s33, s[4:5], 0x8
	s_add_u32 s34, s4, 8
	s_addc_u32 s35, s5, 0
	v_lshl_or_b32 v19, s6, 10, v0
	v_or_b32_e32 v25, 0x380, v19
	s_waitcnt lgkmcnt(0)
	s_add_i32 s58, s33, -1
	s_cmp_gt_u32 s58, 1
	v_cmp_le_i32_e32 vcc, s59, v25
	s_cselect_b64 s[36:37], -1, 0
	s_and_saveexec_b64 s[0:1], vcc
	s_xor_b64 s[38:39], exec, s[0:1]
	s_cbranch_execz .LBB29_7
; %bb.1:
	s_load_dwordx4 s[20:23], s[34:35], 0x4
	s_load_dwordx2 s[44:45], s[34:35], 0x14
	s_load_dwordx2 s[40:41], s[34:35], 0x158
	s_cmp_lg_u32 s33, 0
	s_cselect_b64 s[50:51], -1, 0
	s_add_u32 s48, s34, 0xc4
	s_load_dwordx4 s[24:27], s[34:35], 0xc4
	s_load_dwordx4 s[16:19], s[34:35], 0x148
	s_addc_u32 s49, s35, 0
	s_min_u32 s60, s58, 15
	s_cmp_gt_u32 s33, 1
	s_cselect_b64 s[46:47], -1, 0
	s_waitcnt lgkmcnt(0)
	s_cmp_eq_u32 s40, 0
	s_cselect_b64 s[42:43], -1, 0
	v_cmp_gt_i32_e32 vcc, s59, v19
	s_and_saveexec_b64 s[52:53], vcc
	s_cbranch_execz .LBB29_14
; %bb.2:
	s_andn2_b64 vcc, exec, s[36:37]
	s_cbranch_vccnz .LBB29_21
; %bb.3:
	s_andn2_b64 vcc, exec, s[50:51]
	s_cbranch_vccnz .LBB29_129
; %bb.4:
	s_add_i32 s61, s60, 1
	s_cmp_eq_u32 s58, 2
	s_cbranch_scc1 .LBB29_131
; %bb.5:
	s_and_b32 s40, s61, 28
	v_mov_b32_e32 v2, 0
	s_mov_b32 s62, 0
	s_mov_b64 s[54:55], s[34:35]
	s_mov_b64 s[56:57], s[48:49]
	v_mov_b32_e32 v0, 0
	v_mov_b32_e32 v1, v19
.LBB29_6:                               ; =>This Inner Loop Header: Depth=1
	s_load_dwordx8 s[8:15], s[54:55], 0x4
	s_load_dwordx4 s[28:31], s[54:55], 0x24
	s_load_dwordx8 s[0:7], s[56:57], 0x0
	s_add_u32 s54, s54, 48
	s_addc_u32 s55, s55, 0
	s_waitcnt lgkmcnt(0)
	v_mul_hi_u32 v3, s9, v1
	s_add_i32 s62, s62, 4
	s_add_u32 s56, s56, 32
	s_addc_u32 s57, s57, 0
	v_add_u32_e32 v3, v1, v3
	v_lshrrev_b32_e32 v3, s10, v3
	v_mul_lo_u32 v4, v3, s8
	v_mul_hi_u32 v5, s12, v3
	s_cmp_lg_u32 s40, s62
	v_sub_u32_e32 v1, v1, v4
	v_add_u32_e32 v4, v3, v5
	v_mul_lo_u32 v5, v1, s0
	v_mul_lo_u32 v6, v1, s1
	v_lshrrev_b32_e32 v1, s13, v4
	v_mul_lo_u32 v4, v1, s11
	v_mul_hi_u32 v7, s15, v1
	v_sub_u32_e32 v3, v3, v4
	v_add_u32_e32 v4, v1, v7
	v_lshrrev_b32_e32 v4, s28, v4
	v_mul_hi_u32 v8, s30, v4
	v_mul_lo_u32 v9, v4, s14
	v_mul_lo_u32 v7, v3, s2
	;; [unrolled: 1-line block ×3, first 2 shown]
	v_sub_u32_e32 v9, v1, v9
	v_add_u32_e32 v1, v4, v8
	v_lshrrev_b32_e32 v1, s31, v1
	v_mul_lo_u32 v8, v1, s29
	v_mul_lo_u32 v10, v9, s4
	;; [unrolled: 1-line block ×3, first 2 shown]
	v_add3_u32 v0, v5, v0, v7
	v_sub_u32_e32 v4, v4, v8
	v_mul_lo_u32 v8, v4, s6
	v_mul_lo_u32 v4, v4, s7
	v_add3_u32 v2, v6, v2, v3
	v_add3_u32 v0, v10, v0, v8
	;; [unrolled: 1-line block ×3, first 2 shown]
	s_cbranch_scc1 .LBB29_6
	s_branch .LBB29_132
.LBB29_7:
	s_andn2_saveexec_b64 s[0:1], s[38:39]
	s_cbranch_execz .LBB29_221
.LBB29_8:
	v_cndmask_b32_e64 v0, 0, 1, s[36:37]
	v_cmp_ne_u32_e64 s[0:1], 1, v0
	s_andn2_b64 vcc, exec, s[36:37]
	s_cbranch_vccnz .LBB29_20
; %bb.9:
	s_cmp_lg_u32 s33, 0
	s_mov_b32 s26, 0
	s_cbranch_scc0 .LBB29_23
; %bb.10:
	s_min_u32 s27, s58, 15
	s_add_i32 s27, s27, 1
	s_cmp_eq_u32 s58, 2
	s_cbranch_scc1 .LBB29_24
; %bb.11:
	s_and_b32 s26, s27, 28
	s_add_u32 s2, s34, 0xc4
	s_addc_u32 s3, s35, 0
	v_mov_b32_e32 v2, 0
	s_mov_b32 s28, 0
	s_mov_b64 s[24:25], s[34:35]
	v_mov_b32_e32 v0, 0
	v_mov_b32_e32 v1, v19
.LBB29_12:                              ; =>This Inner Loop Header: Depth=1
	s_load_dwordx8 s[12:19], s[24:25], 0x4
	s_load_dwordx4 s[20:23], s[24:25], 0x24
	s_load_dwordx8 s[4:11], s[2:3], 0x0
	s_add_u32 s24, s24, 48
	s_addc_u32 s25, s25, 0
	s_waitcnt lgkmcnt(0)
	v_mul_hi_u32 v3, s13, v1
	s_add_i32 s28, s28, 4
	s_add_u32 s2, s2, 32
	s_addc_u32 s3, s3, 0
	v_add_u32_e32 v3, v1, v3
	v_lshrrev_b32_e32 v3, s14, v3
	v_mul_lo_u32 v4, v3, s12
	v_mul_hi_u32 v5, s16, v3
	s_cmp_lg_u32 s26, s28
	v_sub_u32_e32 v1, v1, v4
	v_add_u32_e32 v4, v3, v5
	v_mul_lo_u32 v5, v1, s4
	v_mul_lo_u32 v6, v1, s5
	v_lshrrev_b32_e32 v1, s17, v4
	v_mul_lo_u32 v4, v1, s15
	v_mul_hi_u32 v7, s19, v1
	v_sub_u32_e32 v3, v3, v4
	v_add_u32_e32 v4, v1, v7
	v_lshrrev_b32_e32 v4, s20, v4
	v_mul_hi_u32 v8, s22, v4
	v_mul_lo_u32 v9, v4, s18
	v_mul_lo_u32 v7, v3, s6
	;; [unrolled: 1-line block ×3, first 2 shown]
	v_sub_u32_e32 v9, v1, v9
	v_add_u32_e32 v1, v4, v8
	v_lshrrev_b32_e32 v1, s23, v1
	v_mul_lo_u32 v8, v1, s21
	v_mul_lo_u32 v10, v9, s8
	;; [unrolled: 1-line block ×3, first 2 shown]
	v_add3_u32 v0, v5, v0, v7
	v_sub_u32_e32 v4, v4, v8
	v_mul_lo_u32 v8, v4, s10
	v_mul_lo_u32 v4, v4, s11
	v_add3_u32 v2, v6, v2, v3
	v_add3_u32 v0, v10, v0, v8
	;; [unrolled: 1-line block ×3, first 2 shown]
	s_cbranch_scc1 .LBB29_12
; %bb.13:
	s_and_b32 s6, s27, 3
	s_cmp_eq_u32 s6, 0
	s_cbranch_scc0 .LBB29_25
	s_branch .LBB29_27
.LBB29_14:
	s_or_b64 exec, exec, s[52:53]
	v_cmp_gt_i32_e32 vcc, s59, v19
	s_and_saveexec_b64 s[52:53], vcc
	s_cbranch_execz .LBB29_139
.LBB29_15:
	s_andn2_b64 vcc, exec, s[36:37]
	s_cbranch_vccnz .LBB29_22
; %bb.16:
	s_andn2_b64 vcc, exec, s[50:51]
	s_cbranch_vccnz .LBB29_130
; %bb.17:
	s_add_i32 s61, s60, 1
	s_cmp_eq_u32 s58, 2
	s_cbranch_scc1 .LBB29_147
; %bb.18:
	s_and_b32 s40, s61, 28
	v_mov_b32_e32 v2, 0
	s_mov_b32 s62, 0
	s_mov_b64 s[54:55], s[34:35]
	s_mov_b64 s[56:57], s[48:49]
	v_mov_b32_e32 v0, 0
	v_mov_b32_e32 v1, v19
.LBB29_19:                              ; =>This Inner Loop Header: Depth=1
	s_load_dwordx8 s[8:15], s[54:55], 0x4
	s_load_dwordx4 s[28:31], s[54:55], 0x24
	s_load_dwordx8 s[0:7], s[56:57], 0x0
	s_add_u32 s54, s54, 48
	s_addc_u32 s55, s55, 0
	s_waitcnt lgkmcnt(0)
	v_mul_hi_u32 v3, s9, v1
	s_add_i32 s62, s62, 4
	s_add_u32 s56, s56, 32
	s_addc_u32 s57, s57, 0
	v_add_u32_e32 v3, v1, v3
	v_lshrrev_b32_e32 v3, s10, v3
	v_mul_lo_u32 v4, v3, s8
	v_mul_hi_u32 v5, s12, v3
	s_cmp_eq_u32 s40, s62
	v_sub_u32_e32 v1, v1, v4
	v_add_u32_e32 v4, v3, v5
	v_mul_lo_u32 v5, v1, s0
	v_mul_lo_u32 v6, v1, s1
	v_lshrrev_b32_e32 v1, s13, v4
	v_mul_lo_u32 v4, v1, s11
	v_mul_hi_u32 v7, s15, v1
	v_sub_u32_e32 v3, v3, v4
	v_add_u32_e32 v4, v1, v7
	v_lshrrev_b32_e32 v4, s28, v4
	v_mul_hi_u32 v8, s30, v4
	v_mul_lo_u32 v9, v4, s14
	v_mul_lo_u32 v7, v3, s2
	;; [unrolled: 1-line block ×3, first 2 shown]
	v_sub_u32_e32 v9, v1, v9
	v_add_u32_e32 v1, v4, v8
	v_lshrrev_b32_e32 v1, s31, v1
	v_mul_lo_u32 v8, v1, s29
	v_mul_lo_u32 v10, v9, s4
	;; [unrolled: 1-line block ×3, first 2 shown]
	v_add3_u32 v0, v5, v0, v7
	v_sub_u32_e32 v4, v4, v8
	v_mul_lo_u32 v8, v4, s6
	v_mul_lo_u32 v4, v4, s7
	v_add3_u32 v2, v6, v2, v3
	v_add3_u32 v0, v10, v0, v8
	;; [unrolled: 1-line block ×3, first 2 shown]
	s_cbranch_scc0 .LBB29_19
	s_branch .LBB29_148
.LBB29_20:
                                        ; implicit-def: $vgpr0
                                        ; implicit-def: $vgpr2
	s_branch .LBB29_28
.LBB29_21:
                                        ; implicit-def: $vgpr0
                                        ; implicit-def: $vgpr2
	s_branch .LBB29_136
.LBB29_22:
                                        ; implicit-def: $vgpr0
                                        ; implicit-def: $vgpr2
	s_branch .LBB29_152
.LBB29_23:
	v_mov_b32_e32 v0, 0
	v_mov_b32_e32 v2, 0
	s_branch .LBB29_27
.LBB29_24:
	v_mov_b32_e32 v0, 0
	v_mov_b32_e32 v2, 0
	;; [unrolled: 1-line block ×3, first 2 shown]
	s_and_b32 s6, s27, 3
	s_cmp_eq_u32 s6, 0
	s_cbranch_scc1 .LBB29_27
.LBB29_25:
	s_lshl_b32 s2, s26, 3
	s_add_u32 s2, s34, s2
	s_addc_u32 s3, s35, 0
	s_add_u32 s2, s2, 0xc4
	s_addc_u32 s3, s3, 0
	s_mul_i32 s4, s26, 12
	s_add_u32 s4, s34, s4
	s_addc_u32 s5, s35, 0
.LBB29_26:                              ; =>This Inner Loop Header: Depth=1
	s_load_dwordx2 s[8:9], s[4:5], 0x4
	s_load_dword s7, s[4:5], 0xc
	s_load_dwordx2 s[10:11], s[2:3], 0x0
	s_add_u32 s4, s4, 12
	s_addc_u32 s5, s5, 0
	s_waitcnt lgkmcnt(0)
	v_mul_hi_u32 v4, s9, v1
	s_add_u32 s2, s2, 8
	s_addc_u32 s3, s3, 0
	s_add_i32 s6, s6, -1
	v_add_u32_e32 v4, v1, v4
	v_lshrrev_b32_e32 v4, s7, v4
	v_mul_lo_u32 v5, v4, s8
	s_cmp_lg_u32 s6, 0
	v_sub_u32_e32 v5, v1, v5
	v_mad_u64_u32 v[0:1], s[8:9], v5, s10, v[0:1]
	v_mad_u64_u32 v[2:3], s[8:9], v5, s11, v[2:3]
	v_mov_b32_e32 v1, v4
	s_cbranch_scc1 .LBB29_26
.LBB29_27:
	s_cbranch_execnz .LBB29_30
.LBB29_28:
	s_load_dwordx4 s[4:7], s[34:35], 0x4
	s_load_dwordx2 s[2:3], s[34:35], 0xc4
	s_cmp_lt_u32 s33, 2
	s_waitcnt lgkmcnt(0)
	v_mul_hi_u32 v0, s5, v19
	v_add_u32_e32 v0, v19, v0
	v_lshrrev_b32_e32 v1, s6, v0
	v_mul_lo_u32 v0, v1, s4
	v_sub_u32_e32 v2, v19, v0
	v_mul_lo_u32 v0, v2, s2
	v_mul_lo_u32 v2, v2, s3
	s_cbranch_scc1 .LBB29_30
; %bb.29:
	s_load_dwordx4 s[4:7], s[34:35], 0x10
	s_load_dwordx2 s[2:3], s[34:35], 0xcc
	s_waitcnt lgkmcnt(0)
	v_mul_hi_u32 v3, s5, v1
	v_add_u32_e32 v3, v1, v3
	v_lshrrev_b32_e32 v3, s6, v3
	v_mul_lo_u32 v3, v3, s4
	v_sub_u32_e32 v3, v1, v3
	v_mad_u64_u32 v[0:1], s[4:5], v3, s2, v[0:1]
	v_mad_u64_u32 v[2:3], s[2:3], v3, s3, v[2:3]
.LBB29_30:
	s_and_b64 vcc, exec, s[0:1]
	v_add_u32_e32 v1, 0x80, v19
	s_cbranch_vccnz .LBB29_36
; %bb.31:
	s_cmp_lg_u32 s33, 0
	s_mov_b32 s26, 0
	s_cbranch_scc0 .LBB29_37
; %bb.32:
	s_min_u32 s27, s58, 15
	s_add_i32 s27, s27, 1
	s_cmp_eq_u32 s58, 2
	s_cbranch_scc1 .LBB29_38
; %bb.33:
	s_and_b32 s26, s27, 28
	s_add_u32 s2, s34, 0xc4
	s_addc_u32 s3, s35, 0
	v_mov_b32_e32 v5, 0
	s_mov_b32 s28, 0
	s_mov_b64 s[24:25], s[34:35]
	v_mov_b32_e32 v3, 0
	v_mov_b32_e32 v4, v1
.LBB29_34:                              ; =>This Inner Loop Header: Depth=1
	s_load_dwordx8 s[12:19], s[24:25], 0x4
	s_load_dwordx4 s[20:23], s[24:25], 0x24
	s_load_dwordx8 s[4:11], s[2:3], 0x0
	s_add_u32 s24, s24, 48
	s_addc_u32 s25, s25, 0
	s_waitcnt lgkmcnt(0)
	v_mul_hi_u32 v6, s13, v4
	s_add_i32 s28, s28, 4
	s_add_u32 s2, s2, 32
	s_addc_u32 s3, s3, 0
	v_add_u32_e32 v6, v4, v6
	v_lshrrev_b32_e32 v6, s14, v6
	v_mul_lo_u32 v7, v6, s12
	v_mul_hi_u32 v8, s16, v6
	s_cmp_lg_u32 s26, s28
	v_sub_u32_e32 v4, v4, v7
	v_add_u32_e32 v7, v6, v8
	v_mul_lo_u32 v8, v4, s4
	v_mul_lo_u32 v9, v4, s5
	v_lshrrev_b32_e32 v4, s17, v7
	v_mul_lo_u32 v7, v4, s15
	v_mul_hi_u32 v10, s19, v4
	v_sub_u32_e32 v6, v6, v7
	v_add_u32_e32 v7, v4, v10
	v_lshrrev_b32_e32 v7, s20, v7
	v_mul_hi_u32 v11, s22, v7
	v_mul_lo_u32 v12, v7, s18
	v_mul_lo_u32 v10, v6, s6
	;; [unrolled: 1-line block ×3, first 2 shown]
	v_sub_u32_e32 v12, v4, v12
	v_add_u32_e32 v4, v7, v11
	v_lshrrev_b32_e32 v4, s23, v4
	v_mul_lo_u32 v11, v4, s21
	v_mul_lo_u32 v13, v12, s8
	;; [unrolled: 1-line block ×3, first 2 shown]
	v_add3_u32 v3, v8, v3, v10
	v_sub_u32_e32 v7, v7, v11
	v_mul_lo_u32 v11, v7, s10
	v_mul_lo_u32 v7, v7, s11
	v_add3_u32 v5, v9, v5, v6
	v_add3_u32 v3, v13, v3, v11
	;; [unrolled: 1-line block ×3, first 2 shown]
	s_cbranch_scc1 .LBB29_34
; %bb.35:
	s_and_b32 s6, s27, 3
	s_cmp_eq_u32 s6, 0
	s_cbranch_scc0 .LBB29_39
	s_branch .LBB29_41
.LBB29_36:
                                        ; implicit-def: $vgpr3
                                        ; implicit-def: $vgpr5
	s_branch .LBB29_42
.LBB29_37:
	v_mov_b32_e32 v3, 0
	v_mov_b32_e32 v5, 0
	s_branch .LBB29_41
.LBB29_38:
	v_mov_b32_e32 v3, 0
	v_mov_b32_e32 v5, 0
	;; [unrolled: 1-line block ×3, first 2 shown]
	s_and_b32 s6, s27, 3
	s_cmp_eq_u32 s6, 0
	s_cbranch_scc1 .LBB29_41
.LBB29_39:
	s_lshl_b32 s2, s26, 3
	s_add_u32 s2, s34, s2
	s_addc_u32 s3, s35, 0
	s_add_u32 s2, s2, 0xc4
	s_addc_u32 s3, s3, 0
	s_mul_i32 s4, s26, 12
	s_add_u32 s4, s34, s4
	s_addc_u32 s5, s35, 0
.LBB29_40:                              ; =>This Inner Loop Header: Depth=1
	s_load_dwordx2 s[8:9], s[4:5], 0x4
	s_load_dword s7, s[4:5], 0xc
	s_load_dwordx2 s[10:11], s[2:3], 0x0
	s_add_u32 s4, s4, 12
	s_addc_u32 s5, s5, 0
	s_waitcnt lgkmcnt(0)
	v_mul_hi_u32 v7, s9, v4
	s_add_u32 s2, s2, 8
	s_addc_u32 s3, s3, 0
	s_add_i32 s6, s6, -1
	v_add_u32_e32 v7, v4, v7
	v_lshrrev_b32_e32 v7, s7, v7
	v_mul_lo_u32 v8, v7, s8
	s_cmp_lg_u32 s6, 0
	v_sub_u32_e32 v8, v4, v8
	v_mad_u64_u32 v[3:4], s[8:9], v8, s10, v[3:4]
	v_mad_u64_u32 v[5:6], s[8:9], v8, s11, v[5:6]
	v_mov_b32_e32 v4, v7
	s_cbranch_scc1 .LBB29_40
.LBB29_41:
	s_cbranch_execnz .LBB29_44
.LBB29_42:
	s_load_dwordx4 s[4:7], s[34:35], 0x4
	s_load_dwordx2 s[2:3], s[34:35], 0xc4
	s_cmp_lt_u32 s33, 2
	s_waitcnt lgkmcnt(0)
	v_mul_hi_u32 v3, s5, v1
	v_add_u32_e32 v3, v1, v3
	v_lshrrev_b32_e32 v4, s6, v3
	v_mul_lo_u32 v3, v4, s4
	v_sub_u32_e32 v1, v1, v3
	v_mul_lo_u32 v3, v1, s2
	v_mul_lo_u32 v5, v1, s3
	s_cbranch_scc1 .LBB29_44
; %bb.43:
	s_load_dwordx4 s[4:7], s[34:35], 0x10
	s_load_dwordx2 s[2:3], s[34:35], 0xcc
	s_waitcnt lgkmcnt(0)
	v_mul_hi_u32 v1, s5, v4
	v_add_u32_e32 v1, v4, v1
	v_lshrrev_b32_e32 v1, s6, v1
	v_mul_lo_u32 v1, v1, s4
	v_sub_u32_e32 v1, v4, v1
	v_mad_u64_u32 v[3:4], s[4:5], v1, s2, v[3:4]
	v_mad_u64_u32 v[5:6], s[2:3], v1, s3, v[5:6]
.LBB29_44:
	s_and_b64 vcc, exec, s[0:1]
	v_add_u32_e32 v1, 0x100, v19
	s_cbranch_vccnz .LBB29_50
; %bb.45:
	s_cmp_lg_u32 s33, 0
	s_mov_b32 s26, 0
	s_cbranch_scc0 .LBB29_51
; %bb.46:
	s_min_u32 s27, s58, 15
	s_add_i32 s27, s27, 1
	s_cmp_eq_u32 s58, 2
	s_cbranch_scc1 .LBB29_52
; %bb.47:
	s_and_b32 s26, s27, 28
	s_add_u32 s2, s34, 0xc4
	s_addc_u32 s3, s35, 0
	v_mov_b32_e32 v8, 0
	s_mov_b32 s28, 0
	s_mov_b64 s[24:25], s[34:35]
	v_mov_b32_e32 v6, 0
	v_mov_b32_e32 v4, v1
.LBB29_48:                              ; =>This Inner Loop Header: Depth=1
	s_load_dwordx8 s[12:19], s[24:25], 0x4
	s_load_dwordx4 s[20:23], s[24:25], 0x24
	s_load_dwordx8 s[4:11], s[2:3], 0x0
	s_add_u32 s24, s24, 48
	s_addc_u32 s25, s25, 0
	s_waitcnt lgkmcnt(0)
	v_mul_hi_u32 v7, s13, v4
	s_add_i32 s28, s28, 4
	s_add_u32 s2, s2, 32
	s_addc_u32 s3, s3, 0
	v_add_u32_e32 v7, v4, v7
	v_lshrrev_b32_e32 v7, s14, v7
	v_mul_lo_u32 v9, v7, s12
	v_mul_hi_u32 v10, s16, v7
	s_cmp_lg_u32 s26, s28
	v_sub_u32_e32 v4, v4, v9
	v_add_u32_e32 v9, v7, v10
	v_mul_lo_u32 v10, v4, s4
	v_mul_lo_u32 v11, v4, s5
	v_lshrrev_b32_e32 v4, s17, v9
	v_mul_lo_u32 v9, v4, s15
	v_mul_hi_u32 v12, s19, v4
	v_sub_u32_e32 v7, v7, v9
	v_add_u32_e32 v9, v4, v12
	v_lshrrev_b32_e32 v9, s20, v9
	v_mul_hi_u32 v13, s22, v9
	v_mul_lo_u32 v14, v9, s18
	v_mul_lo_u32 v12, v7, s6
	;; [unrolled: 1-line block ×3, first 2 shown]
	v_sub_u32_e32 v14, v4, v14
	v_add_u32_e32 v4, v9, v13
	v_lshrrev_b32_e32 v4, s23, v4
	v_mul_lo_u32 v13, v4, s21
	v_mul_lo_u32 v15, v14, s8
	;; [unrolled: 1-line block ×3, first 2 shown]
	v_add3_u32 v6, v10, v6, v12
	v_sub_u32_e32 v9, v9, v13
	v_mul_lo_u32 v13, v9, s10
	v_mul_lo_u32 v9, v9, s11
	v_add3_u32 v7, v11, v8, v7
	v_add3_u32 v6, v15, v6, v13
	v_add3_u32 v8, v14, v7, v9
	s_cbranch_scc1 .LBB29_48
; %bb.49:
	s_and_b32 s6, s27, 3
	s_cmp_eq_u32 s6, 0
	s_cbranch_scc0 .LBB29_53
	s_branch .LBB29_55
.LBB29_50:
                                        ; implicit-def: $vgpr6
                                        ; implicit-def: $vgpr8
	s_branch .LBB29_56
.LBB29_51:
	v_mov_b32_e32 v6, 0
	v_mov_b32_e32 v8, 0
	s_branch .LBB29_55
.LBB29_52:
	v_mov_b32_e32 v6, 0
	v_mov_b32_e32 v8, 0
	;; [unrolled: 1-line block ×3, first 2 shown]
	s_and_b32 s6, s27, 3
	s_cmp_eq_u32 s6, 0
	s_cbranch_scc1 .LBB29_55
.LBB29_53:
	s_lshl_b32 s2, s26, 3
	s_add_u32 s2, s34, s2
	s_addc_u32 s3, s35, 0
	s_add_u32 s2, s2, 0xc4
	s_addc_u32 s3, s3, 0
	s_mul_i32 s4, s26, 12
	s_add_u32 s4, s34, s4
	s_addc_u32 s5, s35, 0
.LBB29_54:                              ; =>This Inner Loop Header: Depth=1
	s_load_dwordx2 s[8:9], s[4:5], 0x4
	s_load_dword s7, s[4:5], 0xc
	s_load_dwordx2 s[10:11], s[2:3], 0x0
	s_add_u32 s4, s4, 12
	s_addc_u32 s5, s5, 0
	s_waitcnt lgkmcnt(0)
	v_mul_hi_u32 v7, s9, v4
	s_add_u32 s2, s2, 8
	s_addc_u32 s3, s3, 0
	s_add_i32 s6, s6, -1
	v_add_u32_e32 v7, v4, v7
	v_lshrrev_b32_e32 v10, s7, v7
	v_mul_lo_u32 v7, v10, s8
	s_cmp_lg_u32 s6, 0
	v_sub_u32_e32 v4, v4, v7
	v_mad_u64_u32 v[6:7], s[8:9], v4, s10, v[6:7]
	v_mad_u64_u32 v[8:9], s[8:9], v4, s11, v[8:9]
	v_mov_b32_e32 v4, v10
	s_cbranch_scc1 .LBB29_54
.LBB29_55:
	s_cbranch_execnz .LBB29_58
.LBB29_56:
	s_load_dwordx4 s[4:7], s[34:35], 0x4
	s_load_dwordx2 s[2:3], s[34:35], 0xc4
	s_cmp_lt_u32 s33, 2
	s_waitcnt lgkmcnt(0)
	v_mul_hi_u32 v4, s5, v1
	v_add_u32_e32 v4, v1, v4
	v_lshrrev_b32_e32 v4, s6, v4
	v_mul_lo_u32 v6, v4, s4
	v_sub_u32_e32 v1, v1, v6
	v_mul_lo_u32 v6, v1, s2
	v_mul_lo_u32 v8, v1, s3
	s_cbranch_scc1 .LBB29_58
; %bb.57:
	s_load_dwordx4 s[4:7], s[34:35], 0x10
	s_load_dwordx2 s[2:3], s[34:35], 0xcc
	s_waitcnt lgkmcnt(0)
	v_mul_hi_u32 v1, s5, v4
	v_add_u32_e32 v1, v4, v1
	v_lshrrev_b32_e32 v1, s6, v1
	v_mul_lo_u32 v1, v1, s4
	v_sub_u32_e32 v1, v4, v1
	v_mad_u64_u32 v[6:7], s[4:5], v1, s2, v[6:7]
	v_mad_u64_u32 v[8:9], s[2:3], v1, s3, v[8:9]
.LBB29_58:
	s_and_b64 vcc, exec, s[0:1]
	v_add_u32_e32 v1, 0x180, v19
	s_cbranch_vccnz .LBB29_64
; %bb.59:
	s_cmp_lg_u32 s33, 0
	s_mov_b32 s26, 0
	s_cbranch_scc0 .LBB29_65
; %bb.60:
	s_min_u32 s27, s58, 15
	s_add_i32 s27, s27, 1
	s_cmp_eq_u32 s58, 2
	s_cbranch_scc1 .LBB29_66
; %bb.61:
	s_and_b32 s26, s27, 28
	s_add_u32 s2, s34, 0xc4
	s_addc_u32 s3, s35, 0
	v_mov_b32_e32 v11, 0
	s_mov_b32 s28, 0
	s_mov_b64 s[24:25], s[34:35]
	v_mov_b32_e32 v9, 0
	v_mov_b32_e32 v4, v1
.LBB29_62:                              ; =>This Inner Loop Header: Depth=1
	s_load_dwordx8 s[12:19], s[24:25], 0x4
	s_load_dwordx4 s[20:23], s[24:25], 0x24
	s_load_dwordx8 s[4:11], s[2:3], 0x0
	s_add_u32 s24, s24, 48
	s_addc_u32 s25, s25, 0
	s_waitcnt lgkmcnt(0)
	v_mul_hi_u32 v7, s13, v4
	s_add_i32 s28, s28, 4
	s_add_u32 s2, s2, 32
	s_addc_u32 s3, s3, 0
	v_add_u32_e32 v7, v4, v7
	v_lshrrev_b32_e32 v7, s14, v7
	v_mul_lo_u32 v10, v7, s12
	v_mul_hi_u32 v12, s16, v7
	s_cmp_lg_u32 s26, s28
	v_sub_u32_e32 v4, v4, v10
	v_add_u32_e32 v10, v7, v12
	v_mul_lo_u32 v12, v4, s4
	v_mul_lo_u32 v13, v4, s5
	v_lshrrev_b32_e32 v4, s17, v10
	v_mul_lo_u32 v10, v4, s15
	v_mul_hi_u32 v14, s19, v4
	v_sub_u32_e32 v7, v7, v10
	v_add_u32_e32 v10, v4, v14
	v_lshrrev_b32_e32 v10, s20, v10
	v_mul_hi_u32 v15, s22, v10
	v_mul_lo_u32 v16, v10, s18
	v_mul_lo_u32 v14, v7, s6
	;; [unrolled: 1-line block ×3, first 2 shown]
	v_sub_u32_e32 v16, v4, v16
	v_add_u32_e32 v4, v10, v15
	v_lshrrev_b32_e32 v4, s23, v4
	v_mul_lo_u32 v15, v4, s21
	v_mul_lo_u32 v17, v16, s8
	;; [unrolled: 1-line block ×3, first 2 shown]
	v_add3_u32 v9, v12, v9, v14
	v_sub_u32_e32 v10, v10, v15
	v_mul_lo_u32 v15, v10, s10
	v_mul_lo_u32 v10, v10, s11
	v_add3_u32 v7, v13, v11, v7
	v_add3_u32 v9, v17, v9, v15
	;; [unrolled: 1-line block ×3, first 2 shown]
	s_cbranch_scc1 .LBB29_62
; %bb.63:
	s_and_b32 s6, s27, 3
	s_cmp_eq_u32 s6, 0
	s_cbranch_scc0 .LBB29_67
	s_branch .LBB29_69
.LBB29_64:
                                        ; implicit-def: $vgpr9
                                        ; implicit-def: $vgpr11
	s_branch .LBB29_70
.LBB29_65:
	v_mov_b32_e32 v9, 0
	v_mov_b32_e32 v11, 0
	s_branch .LBB29_69
.LBB29_66:
	v_mov_b32_e32 v9, 0
	v_mov_b32_e32 v11, 0
	;; [unrolled: 1-line block ×3, first 2 shown]
	s_and_b32 s6, s27, 3
	s_cmp_eq_u32 s6, 0
	s_cbranch_scc1 .LBB29_69
.LBB29_67:
	s_lshl_b32 s2, s26, 3
	s_add_u32 s2, s34, s2
	s_addc_u32 s3, s35, 0
	s_add_u32 s2, s2, 0xc4
	s_addc_u32 s3, s3, 0
	s_mul_i32 s4, s26, 12
	s_add_u32 s4, s34, s4
	s_addc_u32 s5, s35, 0
.LBB29_68:                              ; =>This Inner Loop Header: Depth=1
	s_load_dwordx2 s[8:9], s[4:5], 0x4
	s_load_dword s7, s[4:5], 0xc
	s_load_dwordx2 s[10:11], s[2:3], 0x0
	s_add_u32 s4, s4, 12
	s_addc_u32 s5, s5, 0
	s_waitcnt lgkmcnt(0)
	v_mul_hi_u32 v7, s9, v4
	s_add_u32 s2, s2, 8
	s_addc_u32 s3, s3, 0
	s_add_i32 s6, s6, -1
	v_add_u32_e32 v7, v4, v7
	v_lshrrev_b32_e32 v7, s7, v7
	v_mul_lo_u32 v10, v7, s8
	s_cmp_lg_u32 s6, 0
	v_sub_u32_e32 v4, v4, v10
	v_mad_u64_u32 v[9:10], s[8:9], v4, s10, v[9:10]
	v_mad_u64_u32 v[11:12], s[8:9], v4, s11, v[11:12]
	v_mov_b32_e32 v4, v7
	s_cbranch_scc1 .LBB29_68
.LBB29_69:
	s_cbranch_execnz .LBB29_72
.LBB29_70:
	s_load_dwordx4 s[4:7], s[34:35], 0x4
	s_load_dwordx2 s[2:3], s[34:35], 0xc4
	s_cmp_lt_u32 s33, 2
	s_waitcnt lgkmcnt(0)
	v_mul_hi_u32 v4, s5, v1
	v_add_u32_e32 v4, v1, v4
	v_lshrrev_b32_e32 v4, s6, v4
	v_mul_lo_u32 v7, v4, s4
	v_sub_u32_e32 v1, v1, v7
	v_mul_lo_u32 v9, v1, s2
	v_mul_lo_u32 v11, v1, s3
	s_cbranch_scc1 .LBB29_72
; %bb.71:
	s_load_dwordx4 s[4:7], s[34:35], 0x10
	s_load_dwordx2 s[2:3], s[34:35], 0xcc
	s_waitcnt lgkmcnt(0)
	v_mul_hi_u32 v1, s5, v4
	v_add_u32_e32 v1, v4, v1
	v_lshrrev_b32_e32 v1, s6, v1
	v_mul_lo_u32 v1, v1, s4
	v_sub_u32_e32 v1, v4, v1
	v_mad_u64_u32 v[9:10], s[4:5], v1, s2, v[9:10]
	v_mad_u64_u32 v[11:12], s[2:3], v1, s3, v[11:12]
.LBB29_72:
	s_and_b64 vcc, exec, s[0:1]
	v_add_u32_e32 v1, 0x200, v19
	s_cbranch_vccnz .LBB29_78
; %bb.73:
	s_cmp_lg_u32 s33, 0
	s_mov_b32 s26, 0
	s_cbranch_scc0 .LBB29_79
; %bb.74:
	s_min_u32 s27, s58, 15
	s_add_i32 s27, s27, 1
	s_cmp_eq_u32 s58, 2
	s_cbranch_scc1 .LBB29_80
; %bb.75:
	s_and_b32 s26, s27, 28
	s_add_u32 s2, s34, 0xc4
	s_addc_u32 s3, s35, 0
	v_mov_b32_e32 v14, 0
	s_mov_b32 s28, 0
	s_mov_b64 s[24:25], s[34:35]
	v_mov_b32_e32 v12, 0
	v_mov_b32_e32 v4, v1
.LBB29_76:                              ; =>This Inner Loop Header: Depth=1
	s_load_dwordx8 s[12:19], s[24:25], 0x4
	s_load_dwordx4 s[20:23], s[24:25], 0x24
	s_load_dwordx8 s[4:11], s[2:3], 0x0
	s_add_u32 s24, s24, 48
	s_addc_u32 s25, s25, 0
	s_waitcnt lgkmcnt(0)
	v_mul_hi_u32 v7, s13, v4
	s_add_i32 s28, s28, 4
	s_add_u32 s2, s2, 32
	s_addc_u32 s3, s3, 0
	v_add_u32_e32 v7, v4, v7
	v_lshrrev_b32_e32 v7, s14, v7
	v_mul_lo_u32 v10, v7, s12
	v_mul_hi_u32 v13, s16, v7
	s_cmp_lg_u32 s26, s28
	v_sub_u32_e32 v4, v4, v10
	v_add_u32_e32 v10, v7, v13
	v_mul_lo_u32 v13, v4, s4
	v_mul_lo_u32 v15, v4, s5
	v_lshrrev_b32_e32 v4, s17, v10
	v_mul_lo_u32 v10, v4, s15
	v_mul_hi_u32 v16, s19, v4
	v_sub_u32_e32 v7, v7, v10
	v_add_u32_e32 v10, v4, v16
	v_lshrrev_b32_e32 v10, s20, v10
	v_mul_hi_u32 v17, s22, v10
	v_mul_lo_u32 v18, v10, s18
	v_mul_lo_u32 v16, v7, s6
	;; [unrolled: 1-line block ×3, first 2 shown]
	v_sub_u32_e32 v18, v4, v18
	v_add_u32_e32 v4, v10, v17
	v_lshrrev_b32_e32 v4, s23, v4
	v_mul_lo_u32 v17, v4, s21
	v_mul_lo_u32 v20, v18, s8
	;; [unrolled: 1-line block ×3, first 2 shown]
	v_add3_u32 v12, v13, v12, v16
	v_sub_u32_e32 v10, v10, v17
	v_mul_lo_u32 v17, v10, s10
	v_mul_lo_u32 v10, v10, s11
	v_add3_u32 v7, v15, v14, v7
	v_add3_u32 v12, v20, v12, v17
	;; [unrolled: 1-line block ×3, first 2 shown]
	s_cbranch_scc1 .LBB29_76
; %bb.77:
	s_and_b32 s6, s27, 3
	s_cmp_eq_u32 s6, 0
	s_cbranch_scc0 .LBB29_81
	s_branch .LBB29_83
.LBB29_78:
                                        ; implicit-def: $vgpr12
                                        ; implicit-def: $vgpr14
	s_branch .LBB29_84
.LBB29_79:
	v_mov_b32_e32 v12, 0
	v_mov_b32_e32 v14, 0
	s_branch .LBB29_83
.LBB29_80:
	v_mov_b32_e32 v12, 0
	v_mov_b32_e32 v14, 0
	;; [unrolled: 1-line block ×3, first 2 shown]
	s_and_b32 s6, s27, 3
	s_cmp_eq_u32 s6, 0
	s_cbranch_scc1 .LBB29_83
.LBB29_81:
	s_lshl_b32 s2, s26, 3
	s_add_u32 s2, s34, s2
	s_addc_u32 s3, s35, 0
	s_add_u32 s2, s2, 0xc4
	s_addc_u32 s3, s3, 0
	s_mul_i32 s4, s26, 12
	s_add_u32 s4, s34, s4
	s_addc_u32 s5, s35, 0
.LBB29_82:                              ; =>This Inner Loop Header: Depth=1
	s_load_dwordx2 s[8:9], s[4:5], 0x4
	s_load_dword s7, s[4:5], 0xc
	s_load_dwordx2 s[10:11], s[2:3], 0x0
	s_add_u32 s4, s4, 12
	s_addc_u32 s5, s5, 0
	s_waitcnt lgkmcnt(0)
	v_mul_hi_u32 v7, s9, v4
	s_add_u32 s2, s2, 8
	s_addc_u32 s3, s3, 0
	s_add_i32 s6, s6, -1
	v_add_u32_e32 v7, v4, v7
	v_lshrrev_b32_e32 v7, s7, v7
	v_mul_lo_u32 v10, v7, s8
	s_cmp_lg_u32 s6, 0
	v_sub_u32_e32 v4, v4, v10
	v_mad_u64_u32 v[12:13], s[8:9], v4, s10, v[12:13]
	v_mad_u64_u32 v[14:15], s[8:9], v4, s11, v[14:15]
	v_mov_b32_e32 v4, v7
	s_cbranch_scc1 .LBB29_82
.LBB29_83:
	s_cbranch_execnz .LBB29_86
.LBB29_84:
	s_load_dwordx4 s[4:7], s[34:35], 0x4
	s_load_dwordx2 s[2:3], s[34:35], 0xc4
	s_cmp_lt_u32 s33, 2
	s_waitcnt lgkmcnt(0)
	v_mul_hi_u32 v4, s5, v1
	v_add_u32_e32 v4, v1, v4
	v_lshrrev_b32_e32 v4, s6, v4
	v_mul_lo_u32 v7, v4, s4
	v_sub_u32_e32 v1, v1, v7
	v_mul_lo_u32 v12, v1, s2
	v_mul_lo_u32 v14, v1, s3
	s_cbranch_scc1 .LBB29_86
; %bb.85:
	s_load_dwordx4 s[4:7], s[34:35], 0x10
	s_load_dwordx2 s[2:3], s[34:35], 0xcc
	s_waitcnt lgkmcnt(0)
	v_mul_hi_u32 v1, s5, v4
	v_add_u32_e32 v1, v4, v1
	v_lshrrev_b32_e32 v1, s6, v1
	v_mul_lo_u32 v1, v1, s4
	v_sub_u32_e32 v1, v4, v1
	v_mad_u64_u32 v[12:13], s[4:5], v1, s2, v[12:13]
	v_mad_u64_u32 v[14:15], s[2:3], v1, s3, v[14:15]
.LBB29_86:
	s_and_b64 vcc, exec, s[0:1]
	v_add_u32_e32 v1, 0x280, v19
	s_cbranch_vccnz .LBB29_92
; %bb.87:
	s_cmp_lg_u32 s33, 0
	s_mov_b32 s26, 0
	s_cbranch_scc0 .LBB29_93
; %bb.88:
	s_min_u32 s27, s58, 15
	s_add_i32 s27, s27, 1
	s_cmp_eq_u32 s58, 2
	s_cbranch_scc1 .LBB29_94
; %bb.89:
	s_and_b32 s26, s27, 28
	s_add_u32 s2, s34, 0xc4
	s_addc_u32 s3, s35, 0
	v_mov_b32_e32 v17, 0
	s_mov_b32 s28, 0
	s_mov_b64 s[24:25], s[34:35]
	v_mov_b32_e32 v15, 0
	v_mov_b32_e32 v4, v1
.LBB29_90:                              ; =>This Inner Loop Header: Depth=1
	s_load_dwordx8 s[12:19], s[24:25], 0x4
	s_load_dwordx4 s[20:23], s[24:25], 0x24
	s_load_dwordx8 s[4:11], s[2:3], 0x0
	s_add_u32 s24, s24, 48
	s_addc_u32 s25, s25, 0
	s_waitcnt lgkmcnt(0)
	v_mul_hi_u32 v7, s13, v4
	s_add_i32 s28, s28, 4
	s_add_u32 s2, s2, 32
	s_addc_u32 s3, s3, 0
	v_add_u32_e32 v7, v4, v7
	v_lshrrev_b32_e32 v7, s14, v7
	v_mul_lo_u32 v10, v7, s12
	v_mul_hi_u32 v13, s16, v7
	s_cmp_lg_u32 s26, s28
	v_sub_u32_e32 v4, v4, v10
	v_add_u32_e32 v10, v7, v13
	v_mul_lo_u32 v13, v4, s4
	v_mul_lo_u32 v16, v4, s5
	v_lshrrev_b32_e32 v4, s17, v10
	v_mul_lo_u32 v10, v4, s15
	v_mul_hi_u32 v18, s19, v4
	v_sub_u32_e32 v7, v7, v10
	v_add_u32_e32 v10, v4, v18
	v_lshrrev_b32_e32 v10, s20, v10
	v_mul_hi_u32 v20, s22, v10
	v_mul_lo_u32 v21, v10, s18
	v_mul_lo_u32 v18, v7, s6
	v_mul_lo_u32 v7, v7, s7
	v_sub_u32_e32 v21, v4, v21
	v_add_u32_e32 v4, v10, v20
	v_lshrrev_b32_e32 v4, s23, v4
	v_mul_lo_u32 v20, v4, s21
	v_mul_lo_u32 v22, v21, s8
	;; [unrolled: 1-line block ×3, first 2 shown]
	v_add3_u32 v13, v13, v15, v18
	v_sub_u32_e32 v10, v10, v20
	v_mul_lo_u32 v20, v10, s10
	v_mul_lo_u32 v10, v10, s11
	v_add3_u32 v7, v16, v17, v7
	v_add3_u32 v15, v22, v13, v20
	v_add3_u32 v17, v21, v7, v10
	s_cbranch_scc1 .LBB29_90
; %bb.91:
	s_and_b32 s6, s27, 3
	s_cmp_eq_u32 s6, 0
	s_cbranch_scc0 .LBB29_95
	s_branch .LBB29_97
.LBB29_92:
                                        ; implicit-def: $vgpr15
                                        ; implicit-def: $vgpr17
	s_branch .LBB29_98
.LBB29_93:
	v_mov_b32_e32 v15, 0
	v_mov_b32_e32 v17, 0
	s_branch .LBB29_97
.LBB29_94:
	v_mov_b32_e32 v15, 0
	v_mov_b32_e32 v17, 0
	v_mov_b32_e32 v4, v1
	s_and_b32 s6, s27, 3
	s_cmp_eq_u32 s6, 0
	s_cbranch_scc1 .LBB29_97
.LBB29_95:
	s_lshl_b32 s2, s26, 3
	s_add_u32 s2, s34, s2
	s_addc_u32 s3, s35, 0
	s_add_u32 s2, s2, 0xc4
	s_addc_u32 s3, s3, 0
	s_mul_i32 s4, s26, 12
	s_add_u32 s4, s34, s4
	s_addc_u32 s5, s35, 0
.LBB29_96:                              ; =>This Inner Loop Header: Depth=1
	s_load_dwordx2 s[8:9], s[4:5], 0x4
	s_load_dword s7, s[4:5], 0xc
	s_load_dwordx2 s[10:11], s[2:3], 0x0
	s_add_u32 s4, s4, 12
	s_addc_u32 s5, s5, 0
	s_waitcnt lgkmcnt(0)
	v_mul_hi_u32 v7, s9, v4
	s_add_u32 s2, s2, 8
	s_addc_u32 s3, s3, 0
	s_add_i32 s6, s6, -1
	v_add_u32_e32 v7, v4, v7
	v_lshrrev_b32_e32 v7, s7, v7
	v_mul_lo_u32 v10, v7, s8
	s_cmp_lg_u32 s6, 0
	v_sub_u32_e32 v4, v4, v10
	v_mad_u64_u32 v[15:16], s[8:9], v4, s10, v[15:16]
	v_mad_u64_u32 v[17:18], s[8:9], v4, s11, v[17:18]
	v_mov_b32_e32 v4, v7
	s_cbranch_scc1 .LBB29_96
.LBB29_97:
	s_cbranch_execnz .LBB29_100
.LBB29_98:
	s_load_dwordx4 s[4:7], s[34:35], 0x4
	s_load_dwordx2 s[2:3], s[34:35], 0xc4
	s_cmp_lt_u32 s33, 2
	s_waitcnt lgkmcnt(0)
	v_mul_hi_u32 v4, s5, v1
	v_add_u32_e32 v4, v1, v4
	v_lshrrev_b32_e32 v4, s6, v4
	v_mul_lo_u32 v7, v4, s4
	v_sub_u32_e32 v1, v1, v7
	v_mul_lo_u32 v15, v1, s2
	v_mul_lo_u32 v17, v1, s3
	s_cbranch_scc1 .LBB29_100
; %bb.99:
	s_load_dwordx4 s[4:7], s[34:35], 0x10
	s_load_dwordx2 s[2:3], s[34:35], 0xcc
	s_waitcnt lgkmcnt(0)
	v_mul_hi_u32 v1, s5, v4
	v_add_u32_e32 v1, v4, v1
	v_lshrrev_b32_e32 v1, s6, v1
	v_mul_lo_u32 v1, v1, s4
	v_sub_u32_e32 v1, v4, v1
	v_mad_u64_u32 v[15:16], s[4:5], v1, s2, v[15:16]
	v_mad_u64_u32 v[17:18], s[2:3], v1, s3, v[17:18]
.LBB29_100:
	s_and_b64 vcc, exec, s[0:1]
	v_add_u32_e32 v1, 0x300, v19
	s_cbranch_vccnz .LBB29_106
; %bb.101:
	s_cmp_lg_u32 s33, 0
	s_mov_b32 s26, 0
	s_cbranch_scc0 .LBB29_107
; %bb.102:
	s_min_u32 s27, s58, 15
	s_add_i32 s27, s27, 1
	s_cmp_eq_u32 s58, 2
	s_cbranch_scc1 .LBB29_108
; %bb.103:
	s_and_b32 s26, s27, 28
	s_add_u32 s2, s34, 0xc4
	s_addc_u32 s3, s35, 0
	v_mov_b32_e32 v20, 0
	s_mov_b32 s28, 0
	s_mov_b64 s[24:25], s[34:35]
	v_mov_b32_e32 v18, 0
	v_mov_b32_e32 v4, v1
.LBB29_104:                             ; =>This Inner Loop Header: Depth=1
	s_load_dwordx8 s[12:19], s[24:25], 0x4
	s_load_dwordx4 s[20:23], s[24:25], 0x24
	s_load_dwordx8 s[4:11], s[2:3], 0x0
	s_add_u32 s24, s24, 48
	s_addc_u32 s25, s25, 0
	s_waitcnt lgkmcnt(0)
	v_mul_hi_u32 v7, s13, v4
	s_add_i32 s28, s28, 4
	s_add_u32 s2, s2, 32
	s_addc_u32 s3, s3, 0
	v_add_u32_e32 v7, v4, v7
	v_lshrrev_b32_e32 v7, s14, v7
	v_mul_lo_u32 v10, v7, s12
	v_mul_hi_u32 v13, s16, v7
	s_cmp_lg_u32 s26, s28
	v_sub_u32_e32 v4, v4, v10
	v_add_u32_e32 v10, v7, v13
	v_mul_lo_u32 v13, v4, s4
	v_mul_lo_u32 v16, v4, s5
	v_lshrrev_b32_e32 v4, s17, v10
	v_mul_lo_u32 v10, v4, s15
	v_mul_hi_u32 v19, s19, v4
	v_sub_u32_e32 v7, v7, v10
	v_add_u32_e32 v10, v4, v19
	v_lshrrev_b32_e32 v10, s20, v10
	v_mul_hi_u32 v21, s22, v10
	v_mul_lo_u32 v22, v10, s18
	v_mul_lo_u32 v19, v7, s6
	;; [unrolled: 1-line block ×3, first 2 shown]
	v_sub_u32_e32 v22, v4, v22
	v_add_u32_e32 v4, v10, v21
	v_lshrrev_b32_e32 v4, s23, v4
	v_mul_lo_u32 v21, v4, s21
	v_mul_lo_u32 v23, v22, s8
	;; [unrolled: 1-line block ×3, first 2 shown]
	v_add3_u32 v13, v13, v18, v19
	v_sub_u32_e32 v10, v10, v21
	v_mul_lo_u32 v21, v10, s10
	v_mul_lo_u32 v10, v10, s11
	v_add3_u32 v7, v16, v20, v7
	v_add3_u32 v18, v23, v13, v21
	;; [unrolled: 1-line block ×3, first 2 shown]
	s_cbranch_scc1 .LBB29_104
; %bb.105:
	s_and_b32 s6, s27, 3
	s_cmp_eq_u32 s6, 0
	s_cbranch_scc0 .LBB29_109
	s_branch .LBB29_111
.LBB29_106:
                                        ; implicit-def: $vgpr18
                                        ; implicit-def: $vgpr20
	s_branch .LBB29_112
.LBB29_107:
	v_mov_b32_e32 v18, 0
	v_mov_b32_e32 v20, 0
	s_branch .LBB29_111
.LBB29_108:
	v_mov_b32_e32 v18, 0
	v_mov_b32_e32 v20, 0
	;; [unrolled: 1-line block ×3, first 2 shown]
	s_and_b32 s6, s27, 3
	s_cmp_eq_u32 s6, 0
	s_cbranch_scc1 .LBB29_111
.LBB29_109:
	s_lshl_b32 s2, s26, 3
	s_add_u32 s2, s34, s2
	s_addc_u32 s3, s35, 0
	s_add_u32 s2, s2, 0xc4
	s_addc_u32 s3, s3, 0
	s_mul_i32 s4, s26, 12
	s_add_u32 s4, s34, s4
	s_addc_u32 s5, s35, 0
.LBB29_110:                             ; =>This Inner Loop Header: Depth=1
	s_load_dwordx2 s[8:9], s[4:5], 0x4
	s_load_dword s7, s[4:5], 0xc
	s_load_dwordx2 s[10:11], s[2:3], 0x0
	s_add_u32 s4, s4, 12
	s_addc_u32 s5, s5, 0
	s_waitcnt lgkmcnt(0)
	v_mul_hi_u32 v7, s9, v4
	s_add_u32 s2, s2, 8
	s_addc_u32 s3, s3, 0
	s_add_i32 s6, s6, -1
	v_add_u32_e32 v7, v4, v7
	v_lshrrev_b32_e32 v7, s7, v7
	v_mul_lo_u32 v10, v7, s8
	s_cmp_lg_u32 s6, 0
	v_sub_u32_e32 v4, v4, v10
	v_mad_u64_u32 v[18:19], s[8:9], v4, s10, v[18:19]
	v_mad_u64_u32 v[20:21], s[8:9], v4, s11, v[20:21]
	v_mov_b32_e32 v4, v7
	s_cbranch_scc1 .LBB29_110
.LBB29_111:
	s_cbranch_execnz .LBB29_114
.LBB29_112:
	s_load_dwordx4 s[4:7], s[34:35], 0x4
	s_load_dwordx2 s[2:3], s[34:35], 0xc4
	s_cmp_lt_u32 s33, 2
	s_waitcnt lgkmcnt(0)
	v_mul_hi_u32 v4, s5, v1
	v_add_u32_e32 v4, v1, v4
	v_lshrrev_b32_e32 v4, s6, v4
	v_mul_lo_u32 v7, v4, s4
	v_sub_u32_e32 v1, v1, v7
	v_mul_lo_u32 v18, v1, s2
	v_mul_lo_u32 v20, v1, s3
	s_cbranch_scc1 .LBB29_114
; %bb.113:
	s_load_dwordx4 s[4:7], s[34:35], 0x10
	s_load_dwordx2 s[2:3], s[34:35], 0xcc
	s_waitcnt lgkmcnt(0)
	v_mul_hi_u32 v1, s5, v4
	v_add_u32_e32 v1, v4, v1
	v_lshrrev_b32_e32 v1, s6, v1
	v_mul_lo_u32 v1, v1, s4
	v_sub_u32_e32 v1, v4, v1
	v_mad_u64_u32 v[18:19], s[4:5], v1, s2, v[18:19]
	v_mad_u64_u32 v[20:21], s[2:3], v1, s3, v[20:21]
.LBB29_114:
	s_and_b64 vcc, exec, s[0:1]
	s_cbranch_vccnz .LBB29_120
; %bb.115:
	s_cmp_lg_u32 s33, 0
	s_mov_b32 s24, 0
	s_cbranch_scc0 .LBB29_121
; %bb.116:
	s_min_u32 s25, s58, 15
	s_add_i32 s25, s25, 1
	s_cmp_eq_u32 s58, 2
	s_cbranch_scc1 .LBB29_122
; %bb.117:
	s_and_b32 s24, s25, 28
	s_add_u32 s20, s34, 0xc4
	s_addc_u32 s21, s35, 0
	v_mov_b32_e32 v23, 0
	s_mov_b32 s26, 0
	s_mov_b64 s[22:23], s[34:35]
	v_mov_b32_e32 v21, 0
	v_mov_b32_e32 v1, v25
.LBB29_118:                             ; =>This Inner Loop Header: Depth=1
	s_load_dwordx8 s[8:15], s[22:23], 0x4
	s_load_dwordx4 s[16:19], s[22:23], 0x24
	s_load_dwordx8 s[0:7], s[20:21], 0x0
	s_add_u32 s22, s22, 48
	s_addc_u32 s23, s23, 0
	s_waitcnt lgkmcnt(0)
	v_mul_hi_u32 v4, s9, v1
	s_add_i32 s26, s26, 4
	s_add_u32 s20, s20, 32
	s_addc_u32 s21, s21, 0
	v_add_u32_e32 v4, v1, v4
	v_lshrrev_b32_e32 v4, s10, v4
	v_mul_lo_u32 v7, v4, s8
	v_mul_hi_u32 v10, s12, v4
	s_cmp_lg_u32 s24, s26
	v_sub_u32_e32 v1, v1, v7
	v_add_u32_e32 v7, v4, v10
	v_mul_lo_u32 v10, v1, s0
	v_mul_lo_u32 v13, v1, s1
	v_lshrrev_b32_e32 v1, s13, v7
	v_mul_lo_u32 v7, v1, s11
	v_mul_hi_u32 v16, s15, v1
	v_sub_u32_e32 v4, v4, v7
	v_add_u32_e32 v7, v1, v16
	v_lshrrev_b32_e32 v7, s16, v7
	v_mul_hi_u32 v19, s18, v7
	v_mul_lo_u32 v22, v7, s14
	v_mul_lo_u32 v16, v4, s2
	;; [unrolled: 1-line block ×3, first 2 shown]
	v_sub_u32_e32 v22, v1, v22
	v_add_u32_e32 v1, v7, v19
	v_lshrrev_b32_e32 v1, s19, v1
	v_mul_lo_u32 v19, v1, s17
	v_mul_lo_u32 v24, v22, s4
	;; [unrolled: 1-line block ×3, first 2 shown]
	v_add3_u32 v10, v10, v21, v16
	v_sub_u32_e32 v7, v7, v19
	v_mul_lo_u32 v19, v7, s6
	v_mul_lo_u32 v7, v7, s7
	v_add3_u32 v4, v13, v23, v4
	v_add3_u32 v21, v24, v10, v19
	;; [unrolled: 1-line block ×3, first 2 shown]
	s_cbranch_scc1 .LBB29_118
; %bb.119:
	s_and_b32 s4, s25, 3
	s_cmp_eq_u32 s4, 0
	s_cbranch_scc0 .LBB29_123
	s_branch .LBB29_125
.LBB29_120:
                                        ; implicit-def: $vgpr21
                                        ; implicit-def: $vgpr23
	s_branch .LBB29_126
.LBB29_121:
	v_mov_b32_e32 v21, 0
	v_mov_b32_e32 v23, 0
	s_branch .LBB29_125
.LBB29_122:
	v_mov_b32_e32 v21, 0
	v_mov_b32_e32 v23, 0
	;; [unrolled: 1-line block ×3, first 2 shown]
	s_and_b32 s4, s25, 3
	s_cmp_eq_u32 s4, 0
	s_cbranch_scc1 .LBB29_125
.LBB29_123:
	s_lshl_b32 s0, s24, 3
	s_add_u32 s0, s34, s0
	s_addc_u32 s1, s35, 0
	s_add_u32 s0, s0, 0xc4
	s_addc_u32 s1, s1, 0
	s_mul_i32 s2, s24, 12
	s_add_u32 s2, s34, s2
	s_addc_u32 s3, s35, 0
.LBB29_124:                             ; =>This Inner Loop Header: Depth=1
	s_load_dwordx2 s[6:7], s[2:3], 0x4
	s_load_dword s5, s[2:3], 0xc
	s_load_dwordx2 s[8:9], s[0:1], 0x0
	s_add_u32 s2, s2, 12
	s_addc_u32 s3, s3, 0
	s_waitcnt lgkmcnt(0)
	v_mul_hi_u32 v4, s7, v1
	s_add_u32 s0, s0, 8
	s_addc_u32 s1, s1, 0
	s_add_i32 s4, s4, -1
	v_add_u32_e32 v4, v1, v4
	v_lshrrev_b32_e32 v4, s5, v4
	v_mul_lo_u32 v7, v4, s6
	s_cmp_lg_u32 s4, 0
	v_sub_u32_e32 v1, v1, v7
	v_mad_u64_u32 v[21:22], s[6:7], v1, s8, v[21:22]
	v_mad_u64_u32 v[23:24], s[6:7], v1, s9, v[23:24]
	v_mov_b32_e32 v1, v4
	s_cbranch_scc1 .LBB29_124
.LBB29_125:
	s_cbranch_execnz .LBB29_128
.LBB29_126:
	s_load_dwordx4 s[0:3], s[34:35], 0x4
	s_load_dwordx2 s[4:5], s[34:35], 0xc4
	s_cmp_lt_u32 s33, 2
	s_waitcnt lgkmcnt(0)
	v_mul_hi_u32 v1, s1, v25
	v_add_u32_e32 v1, v25, v1
	v_lshrrev_b32_e32 v1, s2, v1
	v_mul_lo_u32 v4, v1, s0
	v_sub_u32_e32 v4, v25, v4
	v_mul_lo_u32 v21, v4, s4
	v_mul_lo_u32 v23, v4, s5
	s_cbranch_scc1 .LBB29_128
; %bb.127:
	s_load_dwordx4 s[0:3], s[34:35], 0x10
	s_load_dwordx2 s[4:5], s[34:35], 0xcc
	s_waitcnt lgkmcnt(0)
	v_mul_hi_u32 v4, s1, v1
	v_add_u32_e32 v4, v1, v4
	v_lshrrev_b32_e32 v4, s2, v4
	v_mul_lo_u32 v4, v4, s0
	v_sub_u32_e32 v1, v1, v4
	v_mad_u64_u32 v[21:22], s[0:1], v1, s4, v[21:22]
	v_mad_u64_u32 v[23:24], s[0:1], v1, s5, v[23:24]
.LBB29_128:
	s_load_dwordx4 s[16:19], s[34:35], 0x148
	s_load_dwordx2 s[0:1], s[34:35], 0x158
	s_waitcnt lgkmcnt(0)
	global_load_ubyte v1, v2, s[18:19]
	global_load_ubyte v4, v5, s[18:19]
	;; [unrolled: 1-line block ×8, first 2 shown]
	s_and_b32 s12, s1, 0xff
	s_cmp_eq_u32 s0, 0
	s_cselect_b64 s[14:15], -1, 0
	s_waitcnt vmcnt(7)
	v_cmp_ne_u16_e32 vcc, s12, v1
	s_waitcnt vmcnt(6)
	v_cmp_ne_u16_e64 s[0:1], s12, v4
	s_waitcnt vmcnt(5)
	v_cmp_ne_u16_e64 s[2:3], s12, v7
	s_xor_b64 s[0:1], s[14:15], s[0:1]
	s_waitcnt vmcnt(4)
	v_cmp_ne_u16_e64 s[4:5], s12, v10
	v_cndmask_b32_e64 v2, 0, 1, s[0:1]
	s_xor_b64 s[0:1], s[14:15], s[2:3]
	s_waitcnt vmcnt(3)
	v_cmp_ne_u16_e64 s[6:7], s12, v13
	v_cndmask_b32_e64 v4, 0, 1, s[0:1]
	;; [unrolled: 4-line block ×4, first 2 shown]
	s_xor_b64 s[0:1], s[14:15], s[8:9]
	s_waitcnt vmcnt(0)
	v_cmp_ne_u16_e64 s[12:13], s12, v22
	s_xor_b64 s[18:19], s[14:15], vcc
	v_cndmask_b32_e64 v8, 0, 1, s[0:1]
	s_xor_b64 s[0:1], s[14:15], s[10:11]
	v_cndmask_b32_e64 v1, 0, 1, s[18:19]
	v_cndmask_b32_e64 v10, 0, 1, s[0:1]
	s_xor_b64 s[0:1], s[14:15], s[12:13]
	v_cndmask_b32_e64 v11, 0, 1, s[0:1]
	global_store_byte v0, v1, s[16:17]
	global_store_byte v3, v2, s[16:17]
	;; [unrolled: 1-line block ×8, first 2 shown]
	s_endpgm
.LBB29_129:
	v_mov_b32_e32 v0, 0
	v_mov_b32_e32 v2, 0
	s_branch .LBB29_135
.LBB29_130:
	v_mov_b32_e32 v0, 0
	v_mov_b32_e32 v2, 0
	s_branch .LBB29_151
.LBB29_131:
	s_mov_b32 s40, 0
	v_mov_b32_e32 v0, 0
	v_mov_b32_e32 v2, 0
	;; [unrolled: 1-line block ×3, first 2 shown]
.LBB29_132:
	s_and_b32 s4, s61, 3
	s_cmp_eq_u32 s4, 0
	s_cbranch_scc1 .LBB29_135
; %bb.133:
	s_lshl_b32 s0, s40, 3
	s_add_u32 s0, s34, s0
	s_addc_u32 s1, s35, 0
	s_add_u32 s0, s0, 0xc4
	s_addc_u32 s1, s1, 0
	s_mul_i32 s2, s40, 12
	s_add_u32 s2, s34, s2
	s_addc_u32 s3, s35, 0
.LBB29_134:                             ; =>This Inner Loop Header: Depth=1
	s_load_dwordx2 s[6:7], s[2:3], 0x4
	s_load_dword s5, s[2:3], 0xc
	s_load_dwordx2 s[8:9], s[0:1], 0x0
	s_add_u32 s2, s2, 12
	s_addc_u32 s3, s3, 0
	s_waitcnt lgkmcnt(0)
	v_mul_hi_u32 v3, s7, v1
	s_add_u32 s0, s0, 8
	s_addc_u32 s1, s1, 0
	s_add_i32 s4, s4, -1
	v_add_u32_e32 v3, v1, v3
	v_lshrrev_b32_e32 v4, s5, v3
	v_mul_lo_u32 v3, v4, s6
	s_cmp_lg_u32 s4, 0
	v_sub_u32_e32 v3, v1, v3
	v_mad_u64_u32 v[0:1], s[6:7], v3, s8, v[0:1]
	v_mad_u64_u32 v[2:3], s[6:7], v3, s9, v[2:3]
	v_mov_b32_e32 v1, v4
	s_cbranch_scc1 .LBB29_134
.LBB29_135:
	s_cbranch_execnz .LBB29_138
.LBB29_136:
	v_mul_hi_u32 v0, s21, v19
	s_andn2_b64 vcc, exec, s[46:47]
	v_add_u32_e32 v0, v19, v0
	v_lshrrev_b32_e32 v1, s22, v0
	v_mul_lo_u32 v0, v1, s20
	v_sub_u32_e32 v2, v19, v0
	v_mul_lo_u32 v0, v2, s24
	v_mul_lo_u32 v2, v2, s25
	s_cbranch_vccnz .LBB29_138
; %bb.137:
	v_mul_hi_u32 v3, s44, v1
	v_add_u32_e32 v3, v1, v3
	v_lshrrev_b32_e32 v3, s45, v3
	v_mul_lo_u32 v3, v3, s23
	v_sub_u32_e32 v3, v1, v3
	v_mad_u64_u32 v[0:1], s[0:1], v3, s26, v[0:1]
	v_mad_u64_u32 v[2:3], s[0:1], v3, s27, v[2:3]
.LBB29_138:
	global_load_ubyte v1, v2, s[18:19]
	s_and_b32 s0, s41, 0xff
	v_add_u32_e32 v19, 0x80, v19
	s_waitcnt vmcnt(0)
	v_cmp_ne_u16_e32 vcc, s0, v1
	s_xor_b64 s[0:1], s[42:43], vcc
	v_cndmask_b32_e64 v1, 0, 1, s[0:1]
	global_store_byte v0, v1, s[16:17]
	s_or_b64 exec, exec, s[52:53]
	v_cmp_gt_i32_e32 vcc, s59, v19
	s_and_saveexec_b64 s[52:53], vcc
	s_cbranch_execnz .LBB29_15
.LBB29_139:
	s_or_b64 exec, exec, s[52:53]
	v_cmp_gt_i32_e32 vcc, s59, v19
	s_and_saveexec_b64 s[52:53], vcc
	s_cbranch_execz .LBB29_155
.LBB29_140:
	s_andn2_b64 vcc, exec, s[36:37]
	s_cbranch_vccnz .LBB29_145
; %bb.141:
	s_andn2_b64 vcc, exec, s[50:51]
	s_cbranch_vccnz .LBB29_146
; %bb.142:
	s_add_i32 s61, s60, 1
	s_cmp_eq_u32 s58, 2
	s_cbranch_scc1 .LBB29_163
; %bb.143:
	s_and_b32 s40, s61, 28
	v_mov_b32_e32 v2, 0
	s_mov_b32 s62, 0
	s_mov_b64 s[54:55], s[34:35]
	s_mov_b64 s[56:57], s[48:49]
	v_mov_b32_e32 v0, 0
	v_mov_b32_e32 v1, v19
.LBB29_144:                             ; =>This Inner Loop Header: Depth=1
	s_load_dwordx8 s[8:15], s[54:55], 0x4
	s_load_dwordx4 s[28:31], s[54:55], 0x24
	s_load_dwordx8 s[0:7], s[56:57], 0x0
	s_add_u32 s54, s54, 48
	s_addc_u32 s55, s55, 0
	s_waitcnt lgkmcnt(0)
	v_mul_hi_u32 v3, s9, v1
	s_add_i32 s62, s62, 4
	s_add_u32 s56, s56, 32
	s_addc_u32 s57, s57, 0
	v_add_u32_e32 v3, v1, v3
	v_lshrrev_b32_e32 v3, s10, v3
	v_mul_lo_u32 v4, v3, s8
	v_mul_hi_u32 v5, s12, v3
	s_cmp_eq_u32 s40, s62
	v_sub_u32_e32 v1, v1, v4
	v_add_u32_e32 v4, v3, v5
	v_mul_lo_u32 v5, v1, s0
	v_mul_lo_u32 v6, v1, s1
	v_lshrrev_b32_e32 v1, s13, v4
	v_mul_lo_u32 v4, v1, s11
	v_mul_hi_u32 v7, s15, v1
	v_sub_u32_e32 v3, v3, v4
	v_add_u32_e32 v4, v1, v7
	v_lshrrev_b32_e32 v4, s28, v4
	v_mul_hi_u32 v8, s30, v4
	v_mul_lo_u32 v9, v4, s14
	v_mul_lo_u32 v7, v3, s2
	;; [unrolled: 1-line block ×3, first 2 shown]
	v_sub_u32_e32 v9, v1, v9
	v_add_u32_e32 v1, v4, v8
	v_lshrrev_b32_e32 v1, s31, v1
	v_mul_lo_u32 v8, v1, s29
	v_mul_lo_u32 v10, v9, s4
	;; [unrolled: 1-line block ×3, first 2 shown]
	v_add3_u32 v0, v5, v0, v7
	v_sub_u32_e32 v4, v4, v8
	v_mul_lo_u32 v8, v4, s6
	v_mul_lo_u32 v4, v4, s7
	v_add3_u32 v2, v6, v2, v3
	v_add3_u32 v0, v10, v0, v8
	v_add3_u32 v2, v9, v2, v4
	s_cbranch_scc0 .LBB29_144
	s_branch .LBB29_164
.LBB29_145:
                                        ; implicit-def: $vgpr0
                                        ; implicit-def: $vgpr2
	s_branch .LBB29_168
.LBB29_146:
	v_mov_b32_e32 v0, 0
	v_mov_b32_e32 v2, 0
	s_branch .LBB29_167
.LBB29_147:
	s_mov_b32 s40, 0
	v_mov_b32_e32 v0, 0
	v_mov_b32_e32 v2, 0
	;; [unrolled: 1-line block ×3, first 2 shown]
.LBB29_148:
	s_and_b32 s4, s61, 3
	s_cmp_eq_u32 s4, 0
	s_cbranch_scc1 .LBB29_151
; %bb.149:
	s_lshl_b32 s0, s40, 3
	s_add_u32 s0, s34, s0
	s_addc_u32 s1, s35, 0
	s_add_u32 s0, s0, 0xc4
	s_addc_u32 s1, s1, 0
	s_mul_i32 s2, s40, 12
	s_add_u32 s2, s34, s2
	s_addc_u32 s3, s35, 0
.LBB29_150:                             ; =>This Inner Loop Header: Depth=1
	s_load_dwordx2 s[6:7], s[2:3], 0x4
	s_load_dword s5, s[2:3], 0xc
	s_load_dwordx2 s[8:9], s[0:1], 0x0
	s_add_u32 s2, s2, 12
	s_addc_u32 s3, s3, 0
	s_waitcnt lgkmcnt(0)
	v_mul_hi_u32 v3, s7, v1
	s_add_u32 s0, s0, 8
	s_addc_u32 s1, s1, 0
	s_add_i32 s4, s4, -1
	v_add_u32_e32 v3, v1, v3
	v_lshrrev_b32_e32 v4, s5, v3
	v_mul_lo_u32 v3, v4, s6
	s_cmp_lg_u32 s4, 0
	v_sub_u32_e32 v3, v1, v3
	v_mad_u64_u32 v[0:1], s[6:7], v3, s8, v[0:1]
	v_mad_u64_u32 v[2:3], s[6:7], v3, s9, v[2:3]
	v_mov_b32_e32 v1, v4
	s_cbranch_scc1 .LBB29_150
.LBB29_151:
	s_cbranch_execnz .LBB29_154
.LBB29_152:
	v_mul_hi_u32 v0, s21, v19
	s_andn2_b64 vcc, exec, s[46:47]
	v_add_u32_e32 v0, v19, v0
	v_lshrrev_b32_e32 v1, s22, v0
	v_mul_lo_u32 v0, v1, s20
	v_sub_u32_e32 v2, v19, v0
	v_mul_lo_u32 v0, v2, s24
	v_mul_lo_u32 v2, v2, s25
	s_cbranch_vccnz .LBB29_154
; %bb.153:
	v_mul_hi_u32 v3, s44, v1
	v_add_u32_e32 v3, v1, v3
	v_lshrrev_b32_e32 v3, s45, v3
	v_mul_lo_u32 v3, v3, s23
	v_sub_u32_e32 v3, v1, v3
	v_mad_u64_u32 v[0:1], s[0:1], v3, s26, v[0:1]
	v_mad_u64_u32 v[2:3], s[0:1], v3, s27, v[2:3]
.LBB29_154:
	global_load_ubyte v1, v2, s[18:19]
	s_and_b32 s0, s41, 0xff
	v_add_u32_e32 v19, 0x80, v19
	s_waitcnt vmcnt(0)
	v_cmp_ne_u16_e32 vcc, s0, v1
	s_xor_b64 s[0:1], s[42:43], vcc
	v_cndmask_b32_e64 v1, 0, 1, s[0:1]
	global_store_byte v0, v1, s[16:17]
	s_or_b64 exec, exec, s[52:53]
	v_cmp_gt_i32_e32 vcc, s59, v19
	s_and_saveexec_b64 s[52:53], vcc
	s_cbranch_execnz .LBB29_140
.LBB29_155:
	s_or_b64 exec, exec, s[52:53]
	v_cmp_gt_i32_e32 vcc, s59, v19
	s_and_saveexec_b64 s[52:53], vcc
	s_cbranch_execz .LBB29_171
.LBB29_156:
	s_andn2_b64 vcc, exec, s[36:37]
	s_cbranch_vccnz .LBB29_161
; %bb.157:
	s_andn2_b64 vcc, exec, s[50:51]
	s_cbranch_vccnz .LBB29_162
; %bb.158:
	s_add_i32 s61, s60, 1
	s_cmp_eq_u32 s58, 2
	s_cbranch_scc1 .LBB29_179
; %bb.159:
	s_and_b32 s40, s61, 28
	v_mov_b32_e32 v2, 0
	s_mov_b32 s62, 0
	s_mov_b64 s[54:55], s[34:35]
	s_mov_b64 s[56:57], s[48:49]
	v_mov_b32_e32 v0, 0
	v_mov_b32_e32 v1, v19
.LBB29_160:                             ; =>This Inner Loop Header: Depth=1
	s_load_dwordx8 s[8:15], s[54:55], 0x4
	s_load_dwordx4 s[28:31], s[54:55], 0x24
	s_load_dwordx8 s[0:7], s[56:57], 0x0
	s_add_u32 s54, s54, 48
	s_addc_u32 s55, s55, 0
	s_waitcnt lgkmcnt(0)
	v_mul_hi_u32 v3, s9, v1
	s_add_i32 s62, s62, 4
	s_add_u32 s56, s56, 32
	s_addc_u32 s57, s57, 0
	v_add_u32_e32 v3, v1, v3
	v_lshrrev_b32_e32 v3, s10, v3
	v_mul_lo_u32 v4, v3, s8
	v_mul_hi_u32 v5, s12, v3
	s_cmp_eq_u32 s40, s62
	v_sub_u32_e32 v1, v1, v4
	v_add_u32_e32 v4, v3, v5
	v_mul_lo_u32 v5, v1, s0
	v_mul_lo_u32 v6, v1, s1
	v_lshrrev_b32_e32 v1, s13, v4
	v_mul_lo_u32 v4, v1, s11
	v_mul_hi_u32 v7, s15, v1
	v_sub_u32_e32 v3, v3, v4
	v_add_u32_e32 v4, v1, v7
	v_lshrrev_b32_e32 v4, s28, v4
	v_mul_hi_u32 v8, s30, v4
	v_mul_lo_u32 v9, v4, s14
	v_mul_lo_u32 v7, v3, s2
	;; [unrolled: 1-line block ×3, first 2 shown]
	v_sub_u32_e32 v9, v1, v9
	v_add_u32_e32 v1, v4, v8
	v_lshrrev_b32_e32 v1, s31, v1
	v_mul_lo_u32 v8, v1, s29
	v_mul_lo_u32 v10, v9, s4
	;; [unrolled: 1-line block ×3, first 2 shown]
	v_add3_u32 v0, v5, v0, v7
	v_sub_u32_e32 v4, v4, v8
	v_mul_lo_u32 v8, v4, s6
	v_mul_lo_u32 v4, v4, s7
	v_add3_u32 v2, v6, v2, v3
	v_add3_u32 v0, v10, v0, v8
	;; [unrolled: 1-line block ×3, first 2 shown]
	s_cbranch_scc0 .LBB29_160
	s_branch .LBB29_180
.LBB29_161:
                                        ; implicit-def: $vgpr0
                                        ; implicit-def: $vgpr2
	s_branch .LBB29_184
.LBB29_162:
	v_mov_b32_e32 v0, 0
	v_mov_b32_e32 v2, 0
	s_branch .LBB29_183
.LBB29_163:
	s_mov_b32 s40, 0
	v_mov_b32_e32 v0, 0
	v_mov_b32_e32 v2, 0
	;; [unrolled: 1-line block ×3, first 2 shown]
.LBB29_164:
	s_and_b32 s4, s61, 3
	s_cmp_eq_u32 s4, 0
	s_cbranch_scc1 .LBB29_167
; %bb.165:
	s_lshl_b32 s0, s40, 3
	s_add_u32 s0, s34, s0
	s_addc_u32 s1, s35, 0
	s_add_u32 s0, s0, 0xc4
	s_addc_u32 s1, s1, 0
	s_mul_i32 s2, s40, 12
	s_add_u32 s2, s34, s2
	s_addc_u32 s3, s35, 0
.LBB29_166:                             ; =>This Inner Loop Header: Depth=1
	s_load_dwordx2 s[6:7], s[2:3], 0x4
	s_load_dword s5, s[2:3], 0xc
	s_load_dwordx2 s[8:9], s[0:1], 0x0
	s_add_u32 s2, s2, 12
	s_addc_u32 s3, s3, 0
	s_waitcnt lgkmcnt(0)
	v_mul_hi_u32 v3, s7, v1
	s_add_u32 s0, s0, 8
	s_addc_u32 s1, s1, 0
	s_add_i32 s4, s4, -1
	v_add_u32_e32 v3, v1, v3
	v_lshrrev_b32_e32 v4, s5, v3
	v_mul_lo_u32 v3, v4, s6
	s_cmp_lg_u32 s4, 0
	v_sub_u32_e32 v3, v1, v3
	v_mad_u64_u32 v[0:1], s[6:7], v3, s8, v[0:1]
	v_mad_u64_u32 v[2:3], s[6:7], v3, s9, v[2:3]
	v_mov_b32_e32 v1, v4
	s_cbranch_scc1 .LBB29_166
.LBB29_167:
	s_cbranch_execnz .LBB29_170
.LBB29_168:
	v_mul_hi_u32 v0, s21, v19
	s_andn2_b64 vcc, exec, s[46:47]
	v_add_u32_e32 v0, v19, v0
	v_lshrrev_b32_e32 v1, s22, v0
	v_mul_lo_u32 v0, v1, s20
	v_sub_u32_e32 v2, v19, v0
	v_mul_lo_u32 v0, v2, s24
	v_mul_lo_u32 v2, v2, s25
	s_cbranch_vccnz .LBB29_170
; %bb.169:
	v_mul_hi_u32 v3, s44, v1
	v_add_u32_e32 v3, v1, v3
	v_lshrrev_b32_e32 v3, s45, v3
	v_mul_lo_u32 v3, v3, s23
	v_sub_u32_e32 v3, v1, v3
	v_mad_u64_u32 v[0:1], s[0:1], v3, s26, v[0:1]
	v_mad_u64_u32 v[2:3], s[0:1], v3, s27, v[2:3]
.LBB29_170:
	global_load_ubyte v1, v2, s[18:19]
	s_and_b32 s0, s41, 0xff
	v_add_u32_e32 v19, 0x80, v19
	s_waitcnt vmcnt(0)
	v_cmp_ne_u16_e32 vcc, s0, v1
	s_xor_b64 s[0:1], s[42:43], vcc
	v_cndmask_b32_e64 v1, 0, 1, s[0:1]
	global_store_byte v0, v1, s[16:17]
	s_or_b64 exec, exec, s[52:53]
	v_cmp_gt_i32_e32 vcc, s59, v19
	s_and_saveexec_b64 s[52:53], vcc
	s_cbranch_execnz .LBB29_156
.LBB29_171:
	s_or_b64 exec, exec, s[52:53]
	v_cmp_gt_i32_e32 vcc, s59, v19
	s_and_saveexec_b64 s[52:53], vcc
	s_cbranch_execz .LBB29_187
.LBB29_172:
	s_andn2_b64 vcc, exec, s[36:37]
	s_cbranch_vccnz .LBB29_177
; %bb.173:
	s_andn2_b64 vcc, exec, s[50:51]
	s_cbranch_vccnz .LBB29_178
; %bb.174:
	s_add_i32 s61, s60, 1
	s_cmp_eq_u32 s58, 2
	s_cbranch_scc1 .LBB29_195
; %bb.175:
	s_and_b32 s40, s61, 28
	v_mov_b32_e32 v2, 0
	s_mov_b32 s62, 0
	s_mov_b64 s[54:55], s[34:35]
	s_mov_b64 s[56:57], s[48:49]
	v_mov_b32_e32 v0, 0
	v_mov_b32_e32 v1, v19
.LBB29_176:                             ; =>This Inner Loop Header: Depth=1
	s_load_dwordx8 s[8:15], s[54:55], 0x4
	s_load_dwordx4 s[28:31], s[54:55], 0x24
	s_load_dwordx8 s[0:7], s[56:57], 0x0
	s_add_u32 s54, s54, 48
	s_addc_u32 s55, s55, 0
	s_waitcnt lgkmcnt(0)
	v_mul_hi_u32 v3, s9, v1
	s_add_i32 s62, s62, 4
	s_add_u32 s56, s56, 32
	s_addc_u32 s57, s57, 0
	v_add_u32_e32 v3, v1, v3
	v_lshrrev_b32_e32 v3, s10, v3
	v_mul_lo_u32 v4, v3, s8
	v_mul_hi_u32 v5, s12, v3
	s_cmp_eq_u32 s40, s62
	v_sub_u32_e32 v1, v1, v4
	v_add_u32_e32 v4, v3, v5
	v_mul_lo_u32 v5, v1, s0
	v_mul_lo_u32 v6, v1, s1
	v_lshrrev_b32_e32 v1, s13, v4
	v_mul_lo_u32 v4, v1, s11
	v_mul_hi_u32 v7, s15, v1
	v_sub_u32_e32 v3, v3, v4
	v_add_u32_e32 v4, v1, v7
	v_lshrrev_b32_e32 v4, s28, v4
	v_mul_hi_u32 v8, s30, v4
	v_mul_lo_u32 v9, v4, s14
	v_mul_lo_u32 v7, v3, s2
	;; [unrolled: 1-line block ×3, first 2 shown]
	v_sub_u32_e32 v9, v1, v9
	v_add_u32_e32 v1, v4, v8
	v_lshrrev_b32_e32 v1, s31, v1
	v_mul_lo_u32 v8, v1, s29
	v_mul_lo_u32 v10, v9, s4
	;; [unrolled: 1-line block ×3, first 2 shown]
	v_add3_u32 v0, v5, v0, v7
	v_sub_u32_e32 v4, v4, v8
	v_mul_lo_u32 v8, v4, s6
	v_mul_lo_u32 v4, v4, s7
	v_add3_u32 v2, v6, v2, v3
	v_add3_u32 v0, v10, v0, v8
	;; [unrolled: 1-line block ×3, first 2 shown]
	s_cbranch_scc0 .LBB29_176
	s_branch .LBB29_196
.LBB29_177:
                                        ; implicit-def: $vgpr0
                                        ; implicit-def: $vgpr2
	s_branch .LBB29_200
.LBB29_178:
	v_mov_b32_e32 v0, 0
	v_mov_b32_e32 v2, 0
	s_branch .LBB29_199
.LBB29_179:
	s_mov_b32 s40, 0
	v_mov_b32_e32 v0, 0
	v_mov_b32_e32 v2, 0
	;; [unrolled: 1-line block ×3, first 2 shown]
.LBB29_180:
	s_and_b32 s4, s61, 3
	s_cmp_eq_u32 s4, 0
	s_cbranch_scc1 .LBB29_183
; %bb.181:
	s_lshl_b32 s0, s40, 3
	s_add_u32 s0, s34, s0
	s_addc_u32 s1, s35, 0
	s_add_u32 s0, s0, 0xc4
	s_addc_u32 s1, s1, 0
	s_mul_i32 s2, s40, 12
	s_add_u32 s2, s34, s2
	s_addc_u32 s3, s35, 0
.LBB29_182:                             ; =>This Inner Loop Header: Depth=1
	s_load_dwordx2 s[6:7], s[2:3], 0x4
	s_load_dword s5, s[2:3], 0xc
	s_load_dwordx2 s[8:9], s[0:1], 0x0
	s_add_u32 s2, s2, 12
	s_addc_u32 s3, s3, 0
	s_waitcnt lgkmcnt(0)
	v_mul_hi_u32 v3, s7, v1
	s_add_u32 s0, s0, 8
	s_addc_u32 s1, s1, 0
	s_add_i32 s4, s4, -1
	v_add_u32_e32 v3, v1, v3
	v_lshrrev_b32_e32 v4, s5, v3
	v_mul_lo_u32 v3, v4, s6
	s_cmp_lg_u32 s4, 0
	v_sub_u32_e32 v3, v1, v3
	v_mad_u64_u32 v[0:1], s[6:7], v3, s8, v[0:1]
	v_mad_u64_u32 v[2:3], s[6:7], v3, s9, v[2:3]
	v_mov_b32_e32 v1, v4
	s_cbranch_scc1 .LBB29_182
.LBB29_183:
	s_cbranch_execnz .LBB29_186
.LBB29_184:
	v_mul_hi_u32 v0, s21, v19
	s_andn2_b64 vcc, exec, s[46:47]
	v_add_u32_e32 v0, v19, v0
	v_lshrrev_b32_e32 v1, s22, v0
	v_mul_lo_u32 v0, v1, s20
	v_sub_u32_e32 v2, v19, v0
	v_mul_lo_u32 v0, v2, s24
	v_mul_lo_u32 v2, v2, s25
	s_cbranch_vccnz .LBB29_186
; %bb.185:
	v_mul_hi_u32 v3, s44, v1
	v_add_u32_e32 v3, v1, v3
	v_lshrrev_b32_e32 v3, s45, v3
	v_mul_lo_u32 v3, v3, s23
	v_sub_u32_e32 v3, v1, v3
	v_mad_u64_u32 v[0:1], s[0:1], v3, s26, v[0:1]
	v_mad_u64_u32 v[2:3], s[0:1], v3, s27, v[2:3]
.LBB29_186:
	global_load_ubyte v1, v2, s[18:19]
	s_and_b32 s0, s41, 0xff
	v_add_u32_e32 v19, 0x80, v19
	s_waitcnt vmcnt(0)
	v_cmp_ne_u16_e32 vcc, s0, v1
	s_xor_b64 s[0:1], s[42:43], vcc
	v_cndmask_b32_e64 v1, 0, 1, s[0:1]
	global_store_byte v0, v1, s[16:17]
	s_or_b64 exec, exec, s[52:53]
	v_cmp_gt_i32_e32 vcc, s59, v19
	s_and_saveexec_b64 s[52:53], vcc
	s_cbranch_execnz .LBB29_172
.LBB29_187:
	s_or_b64 exec, exec, s[52:53]
	v_cmp_gt_i32_e32 vcc, s59, v19
	s_and_saveexec_b64 s[52:53], vcc
	s_cbranch_execz .LBB29_203
.LBB29_188:
	s_andn2_b64 vcc, exec, s[36:37]
	s_cbranch_vccnz .LBB29_193
; %bb.189:
	s_andn2_b64 vcc, exec, s[50:51]
	s_cbranch_vccnz .LBB29_194
; %bb.190:
	s_add_i32 s61, s60, 1
	s_cmp_eq_u32 s58, 2
	s_cbranch_scc1 .LBB29_211
; %bb.191:
	s_and_b32 s40, s61, 28
	v_mov_b32_e32 v2, 0
	s_mov_b32 s62, 0
	s_mov_b64 s[54:55], s[34:35]
	s_mov_b64 s[56:57], s[48:49]
	v_mov_b32_e32 v0, 0
	v_mov_b32_e32 v1, v19
.LBB29_192:                             ; =>This Inner Loop Header: Depth=1
	s_load_dwordx8 s[8:15], s[54:55], 0x4
	s_load_dwordx4 s[28:31], s[54:55], 0x24
	s_load_dwordx8 s[0:7], s[56:57], 0x0
	s_add_u32 s54, s54, 48
	s_addc_u32 s55, s55, 0
	s_waitcnt lgkmcnt(0)
	v_mul_hi_u32 v3, s9, v1
	s_add_i32 s62, s62, 4
	s_add_u32 s56, s56, 32
	s_addc_u32 s57, s57, 0
	v_add_u32_e32 v3, v1, v3
	v_lshrrev_b32_e32 v3, s10, v3
	v_mul_lo_u32 v4, v3, s8
	v_mul_hi_u32 v5, s12, v3
	s_cmp_eq_u32 s40, s62
	v_sub_u32_e32 v1, v1, v4
	v_add_u32_e32 v4, v3, v5
	v_mul_lo_u32 v5, v1, s0
	v_mul_lo_u32 v6, v1, s1
	v_lshrrev_b32_e32 v1, s13, v4
	v_mul_lo_u32 v4, v1, s11
	v_mul_hi_u32 v7, s15, v1
	v_sub_u32_e32 v3, v3, v4
	v_add_u32_e32 v4, v1, v7
	v_lshrrev_b32_e32 v4, s28, v4
	v_mul_hi_u32 v8, s30, v4
	v_mul_lo_u32 v9, v4, s14
	v_mul_lo_u32 v7, v3, s2
	;; [unrolled: 1-line block ×3, first 2 shown]
	v_sub_u32_e32 v9, v1, v9
	v_add_u32_e32 v1, v4, v8
	v_lshrrev_b32_e32 v1, s31, v1
	v_mul_lo_u32 v8, v1, s29
	v_mul_lo_u32 v10, v9, s4
	;; [unrolled: 1-line block ×3, first 2 shown]
	v_add3_u32 v0, v5, v0, v7
	v_sub_u32_e32 v4, v4, v8
	v_mul_lo_u32 v8, v4, s6
	v_mul_lo_u32 v4, v4, s7
	v_add3_u32 v2, v6, v2, v3
	v_add3_u32 v0, v10, v0, v8
	;; [unrolled: 1-line block ×3, first 2 shown]
	s_cbranch_scc0 .LBB29_192
	s_branch .LBB29_212
.LBB29_193:
                                        ; implicit-def: $vgpr0
                                        ; implicit-def: $vgpr2
	s_branch .LBB29_216
.LBB29_194:
	v_mov_b32_e32 v0, 0
	v_mov_b32_e32 v2, 0
	s_branch .LBB29_215
.LBB29_195:
	s_mov_b32 s40, 0
	v_mov_b32_e32 v0, 0
	v_mov_b32_e32 v2, 0
	;; [unrolled: 1-line block ×3, first 2 shown]
.LBB29_196:
	s_and_b32 s4, s61, 3
	s_cmp_eq_u32 s4, 0
	s_cbranch_scc1 .LBB29_199
; %bb.197:
	s_lshl_b32 s0, s40, 3
	s_add_u32 s0, s34, s0
	s_addc_u32 s1, s35, 0
	s_add_u32 s0, s0, 0xc4
	s_addc_u32 s1, s1, 0
	s_mul_i32 s2, s40, 12
	s_add_u32 s2, s34, s2
	s_addc_u32 s3, s35, 0
.LBB29_198:                             ; =>This Inner Loop Header: Depth=1
	s_load_dwordx2 s[6:7], s[2:3], 0x4
	s_load_dword s5, s[2:3], 0xc
	s_load_dwordx2 s[8:9], s[0:1], 0x0
	s_add_u32 s2, s2, 12
	s_addc_u32 s3, s3, 0
	s_waitcnt lgkmcnt(0)
	v_mul_hi_u32 v3, s7, v1
	s_add_u32 s0, s0, 8
	s_addc_u32 s1, s1, 0
	s_add_i32 s4, s4, -1
	v_add_u32_e32 v3, v1, v3
	v_lshrrev_b32_e32 v4, s5, v3
	v_mul_lo_u32 v3, v4, s6
	s_cmp_lg_u32 s4, 0
	v_sub_u32_e32 v3, v1, v3
	v_mad_u64_u32 v[0:1], s[6:7], v3, s8, v[0:1]
	v_mad_u64_u32 v[2:3], s[6:7], v3, s9, v[2:3]
	v_mov_b32_e32 v1, v4
	s_cbranch_scc1 .LBB29_198
.LBB29_199:
	s_cbranch_execnz .LBB29_202
.LBB29_200:
	v_mul_hi_u32 v0, s21, v19
	s_andn2_b64 vcc, exec, s[46:47]
	v_add_u32_e32 v0, v19, v0
	v_lshrrev_b32_e32 v1, s22, v0
	v_mul_lo_u32 v0, v1, s20
	v_sub_u32_e32 v2, v19, v0
	v_mul_lo_u32 v0, v2, s24
	v_mul_lo_u32 v2, v2, s25
	s_cbranch_vccnz .LBB29_202
; %bb.201:
	v_mul_hi_u32 v3, s44, v1
	v_add_u32_e32 v3, v1, v3
	v_lshrrev_b32_e32 v3, s45, v3
	v_mul_lo_u32 v3, v3, s23
	v_sub_u32_e32 v3, v1, v3
	v_mad_u64_u32 v[0:1], s[0:1], v3, s26, v[0:1]
	v_mad_u64_u32 v[2:3], s[0:1], v3, s27, v[2:3]
.LBB29_202:
	global_load_ubyte v1, v2, s[18:19]
	s_and_b32 s0, s41, 0xff
	v_add_u32_e32 v19, 0x80, v19
	s_waitcnt vmcnt(0)
	v_cmp_ne_u16_e32 vcc, s0, v1
	s_xor_b64 s[0:1], s[42:43], vcc
	v_cndmask_b32_e64 v1, 0, 1, s[0:1]
	global_store_byte v0, v1, s[16:17]
	s_or_b64 exec, exec, s[52:53]
	v_cmp_gt_i32_e32 vcc, s59, v19
	s_and_saveexec_b64 s[52:53], vcc
	s_cbranch_execnz .LBB29_188
.LBB29_203:
	s_or_b64 exec, exec, s[52:53]
	v_cmp_gt_i32_e32 vcc, s59, v19
	s_and_saveexec_b64 s[52:53], vcc
	s_cbranch_execz .LBB29_219
.LBB29_204:
	s_andn2_b64 vcc, exec, s[36:37]
	s_cbranch_vccnz .LBB29_209
; %bb.205:
	s_andn2_b64 vcc, exec, s[50:51]
	s_cbranch_vccnz .LBB29_210
; %bb.206:
	s_add_i32 s61, s60, 1
	s_cmp_eq_u32 s58, 2
	s_cbranch_scc1 .LBB29_222
; %bb.207:
	s_and_b32 s40, s61, 28
	v_mov_b32_e32 v2, 0
	s_mov_b32 s62, 0
	s_mov_b64 s[54:55], s[34:35]
	s_mov_b64 s[56:57], s[48:49]
	v_mov_b32_e32 v0, 0
	v_mov_b32_e32 v1, v19
.LBB29_208:                             ; =>This Inner Loop Header: Depth=1
	s_load_dwordx8 s[8:15], s[54:55], 0x4
	s_load_dwordx4 s[28:31], s[54:55], 0x24
	s_load_dwordx8 s[0:7], s[56:57], 0x0
	s_add_u32 s54, s54, 48
	s_addc_u32 s55, s55, 0
	s_waitcnt lgkmcnt(0)
	v_mul_hi_u32 v3, s9, v1
	s_add_i32 s62, s62, 4
	s_add_u32 s56, s56, 32
	s_addc_u32 s57, s57, 0
	v_add_u32_e32 v3, v1, v3
	v_lshrrev_b32_e32 v3, s10, v3
	v_mul_lo_u32 v4, v3, s8
	v_mul_hi_u32 v5, s12, v3
	s_cmp_eq_u32 s40, s62
	v_sub_u32_e32 v1, v1, v4
	v_add_u32_e32 v4, v3, v5
	v_mul_lo_u32 v5, v1, s0
	v_mul_lo_u32 v6, v1, s1
	v_lshrrev_b32_e32 v1, s13, v4
	v_mul_lo_u32 v4, v1, s11
	v_mul_hi_u32 v7, s15, v1
	v_sub_u32_e32 v3, v3, v4
	v_add_u32_e32 v4, v1, v7
	v_lshrrev_b32_e32 v4, s28, v4
	v_mul_hi_u32 v8, s30, v4
	v_mul_lo_u32 v9, v4, s14
	v_mul_lo_u32 v7, v3, s2
	;; [unrolled: 1-line block ×3, first 2 shown]
	v_sub_u32_e32 v9, v1, v9
	v_add_u32_e32 v1, v4, v8
	v_lshrrev_b32_e32 v1, s31, v1
	v_mul_lo_u32 v8, v1, s29
	v_mul_lo_u32 v10, v9, s4
	;; [unrolled: 1-line block ×3, first 2 shown]
	v_add3_u32 v0, v5, v0, v7
	v_sub_u32_e32 v4, v4, v8
	v_mul_lo_u32 v8, v4, s6
	v_mul_lo_u32 v4, v4, s7
	v_add3_u32 v2, v6, v2, v3
	v_add3_u32 v0, v10, v0, v8
	;; [unrolled: 1-line block ×3, first 2 shown]
	s_cbranch_scc0 .LBB29_208
	s_branch .LBB29_223
.LBB29_209:
                                        ; implicit-def: $vgpr0
                                        ; implicit-def: $vgpr2
	s_branch .LBB29_227
.LBB29_210:
	v_mov_b32_e32 v0, 0
	v_mov_b32_e32 v2, 0
	s_branch .LBB29_226
.LBB29_211:
	s_mov_b32 s40, 0
	v_mov_b32_e32 v0, 0
	v_mov_b32_e32 v2, 0
	;; [unrolled: 1-line block ×3, first 2 shown]
.LBB29_212:
	s_and_b32 s4, s61, 3
	s_cmp_eq_u32 s4, 0
	s_cbranch_scc1 .LBB29_215
; %bb.213:
	s_lshl_b32 s0, s40, 3
	s_add_u32 s0, s34, s0
	s_addc_u32 s1, s35, 0
	s_add_u32 s0, s0, 0xc4
	s_addc_u32 s1, s1, 0
	s_mul_i32 s2, s40, 12
	s_add_u32 s2, s34, s2
	s_addc_u32 s3, s35, 0
.LBB29_214:                             ; =>This Inner Loop Header: Depth=1
	s_load_dwordx2 s[6:7], s[2:3], 0x4
	s_load_dword s5, s[2:3], 0xc
	s_load_dwordx2 s[8:9], s[0:1], 0x0
	s_add_u32 s2, s2, 12
	s_addc_u32 s3, s3, 0
	s_waitcnt lgkmcnt(0)
	v_mul_hi_u32 v3, s7, v1
	s_add_u32 s0, s0, 8
	s_addc_u32 s1, s1, 0
	s_add_i32 s4, s4, -1
	v_add_u32_e32 v3, v1, v3
	v_lshrrev_b32_e32 v4, s5, v3
	v_mul_lo_u32 v3, v4, s6
	s_cmp_lg_u32 s4, 0
	v_sub_u32_e32 v3, v1, v3
	v_mad_u64_u32 v[0:1], s[6:7], v3, s8, v[0:1]
	v_mad_u64_u32 v[2:3], s[6:7], v3, s9, v[2:3]
	v_mov_b32_e32 v1, v4
	s_cbranch_scc1 .LBB29_214
.LBB29_215:
	s_cbranch_execnz .LBB29_218
.LBB29_216:
	v_mul_hi_u32 v0, s21, v19
	s_andn2_b64 vcc, exec, s[46:47]
	v_add_u32_e32 v0, v19, v0
	v_lshrrev_b32_e32 v1, s22, v0
	v_mul_lo_u32 v0, v1, s20
	v_sub_u32_e32 v2, v19, v0
	v_mul_lo_u32 v0, v2, s24
	v_mul_lo_u32 v2, v2, s25
	s_cbranch_vccnz .LBB29_218
; %bb.217:
	v_mul_hi_u32 v3, s44, v1
	v_add_u32_e32 v3, v1, v3
	v_lshrrev_b32_e32 v3, s45, v3
	v_mul_lo_u32 v3, v3, s23
	v_sub_u32_e32 v3, v1, v3
	v_mad_u64_u32 v[0:1], s[0:1], v3, s26, v[0:1]
	v_mad_u64_u32 v[2:3], s[0:1], v3, s27, v[2:3]
.LBB29_218:
	global_load_ubyte v1, v2, s[18:19]
	s_and_b32 s0, s41, 0xff
	v_add_u32_e32 v19, 0x80, v19
	s_waitcnt vmcnt(0)
	v_cmp_ne_u16_e32 vcc, s0, v1
	s_xor_b64 s[0:1], s[42:43], vcc
	v_cndmask_b32_e64 v1, 0, 1, s[0:1]
	global_store_byte v0, v1, s[16:17]
	s_or_b64 exec, exec, s[52:53]
	v_cmp_gt_i32_e32 vcc, s59, v19
	s_and_saveexec_b64 s[52:53], vcc
	s_cbranch_execnz .LBB29_204
.LBB29_219:
	s_or_b64 exec, exec, s[52:53]
	v_cmp_gt_i32_e32 vcc, s59, v19
	s_and_saveexec_b64 s[52:53], vcc
	s_cbranch_execnz .LBB29_230
.LBB29_220:
	s_or_b64 exec, exec, s[52:53]
                                        ; implicit-def: $vgpr25
                                        ; implicit-def: $vgpr19
	s_andn2_saveexec_b64 s[0:1], s[38:39]
	s_cbranch_execnz .LBB29_8
.LBB29_221:
	s_endpgm
.LBB29_222:
	s_mov_b32 s40, 0
	v_mov_b32_e32 v0, 0
	v_mov_b32_e32 v2, 0
	;; [unrolled: 1-line block ×3, first 2 shown]
.LBB29_223:
	s_and_b32 s4, s61, 3
	s_cmp_eq_u32 s4, 0
	s_cbranch_scc1 .LBB29_226
; %bb.224:
	s_lshl_b32 s0, s40, 3
	s_add_u32 s0, s34, s0
	s_addc_u32 s1, s35, 0
	s_add_u32 s0, s0, 0xc4
	s_addc_u32 s1, s1, 0
	s_mul_i32 s2, s40, 12
	s_add_u32 s2, s34, s2
	s_addc_u32 s3, s35, 0
.LBB29_225:                             ; =>This Inner Loop Header: Depth=1
	s_load_dwordx2 s[6:7], s[2:3], 0x4
	s_load_dword s5, s[2:3], 0xc
	s_load_dwordx2 s[8:9], s[0:1], 0x0
	s_add_u32 s2, s2, 12
	s_addc_u32 s3, s3, 0
	s_waitcnt lgkmcnt(0)
	v_mul_hi_u32 v3, s7, v1
	s_add_u32 s0, s0, 8
	s_addc_u32 s1, s1, 0
	s_add_i32 s4, s4, -1
	v_add_u32_e32 v3, v1, v3
	v_lshrrev_b32_e32 v4, s5, v3
	v_mul_lo_u32 v3, v4, s6
	s_cmp_lg_u32 s4, 0
	v_sub_u32_e32 v3, v1, v3
	v_mad_u64_u32 v[0:1], s[6:7], v3, s8, v[0:1]
	v_mad_u64_u32 v[2:3], s[6:7], v3, s9, v[2:3]
	v_mov_b32_e32 v1, v4
	s_cbranch_scc1 .LBB29_225
.LBB29_226:
	s_cbranch_execnz .LBB29_229
.LBB29_227:
	v_mul_hi_u32 v0, s21, v19
	s_andn2_b64 vcc, exec, s[46:47]
	v_add_u32_e32 v0, v19, v0
	v_lshrrev_b32_e32 v1, s22, v0
	v_mul_lo_u32 v0, v1, s20
	v_sub_u32_e32 v2, v19, v0
	v_mul_lo_u32 v0, v2, s24
	v_mul_lo_u32 v2, v2, s25
	s_cbranch_vccnz .LBB29_229
; %bb.228:
	v_mul_hi_u32 v3, s44, v1
	v_add_u32_e32 v3, v1, v3
	v_lshrrev_b32_e32 v3, s45, v3
	v_mul_lo_u32 v3, v3, s23
	v_sub_u32_e32 v3, v1, v3
	v_mad_u64_u32 v[0:1], s[0:1], v3, s26, v[0:1]
	v_mad_u64_u32 v[2:3], s[0:1], v3, s27, v[2:3]
.LBB29_229:
	global_load_ubyte v1, v2, s[18:19]
	s_and_b32 s0, s41, 0xff
	v_add_u32_e32 v19, 0x80, v19
	s_waitcnt vmcnt(0)
	v_cmp_ne_u16_e32 vcc, s0, v1
	s_xor_b64 s[0:1], s[42:43], vcc
	v_cndmask_b32_e64 v1, 0, 1, s[0:1]
	global_store_byte v0, v1, s[16:17]
	s_or_b64 exec, exec, s[52:53]
	v_cmp_gt_i32_e32 vcc, s59, v19
	s_and_saveexec_b64 s[52:53], vcc
	s_cbranch_execz .LBB29_220
.LBB29_230:
	s_andn2_b64 vcc, exec, s[36:37]
	s_cbranch_vccnz .LBB29_235
; %bb.231:
	s_andn2_b64 vcc, exec, s[50:51]
	s_cbranch_vccnz .LBB29_236
; %bb.232:
	s_add_i32 s60, s60, 1
	s_cmp_eq_u32 s58, 2
	s_cbranch_scc1 .LBB29_237
; %bb.233:
	s_and_b32 s40, s60, 28
	v_mov_b32_e32 v2, 0
	s_mov_b32 s54, 0
	s_mov_b64 s[50:51], s[34:35]
	v_mov_b32_e32 v0, 0
	v_mov_b32_e32 v1, v19
.LBB29_234:                             ; =>This Inner Loop Header: Depth=1
	s_load_dwordx8 s[8:15], s[50:51], 0x4
	s_load_dwordx4 s[28:31], s[50:51], 0x24
	s_load_dwordx8 s[0:7], s[48:49], 0x0
	s_add_u32 s50, s50, 48
	s_addc_u32 s51, s51, 0
	s_waitcnt lgkmcnt(0)
	v_mul_hi_u32 v3, s9, v1
	s_add_i32 s54, s54, 4
	s_add_u32 s48, s48, 32
	s_addc_u32 s49, s49, 0
	v_add_u32_e32 v3, v1, v3
	v_lshrrev_b32_e32 v3, s10, v3
	v_mul_lo_u32 v4, v3, s8
	v_mul_hi_u32 v5, s12, v3
	s_cmp_eq_u32 s40, s54
	v_sub_u32_e32 v1, v1, v4
	v_add_u32_e32 v4, v3, v5
	v_mul_lo_u32 v5, v1, s0
	v_mul_lo_u32 v6, v1, s1
	v_lshrrev_b32_e32 v1, s13, v4
	v_mul_lo_u32 v4, v1, s11
	v_mul_hi_u32 v7, s15, v1
	v_sub_u32_e32 v3, v3, v4
	v_add_u32_e32 v4, v1, v7
	v_lshrrev_b32_e32 v4, s28, v4
	v_mul_hi_u32 v8, s30, v4
	v_mul_lo_u32 v9, v4, s14
	v_mul_lo_u32 v7, v3, s2
	;; [unrolled: 1-line block ×3, first 2 shown]
	v_sub_u32_e32 v9, v1, v9
	v_add_u32_e32 v1, v4, v8
	v_lshrrev_b32_e32 v1, s31, v1
	v_mul_lo_u32 v8, v1, s29
	v_mul_lo_u32 v10, v9, s4
	;; [unrolled: 1-line block ×3, first 2 shown]
	v_add3_u32 v0, v5, v0, v7
	v_sub_u32_e32 v4, v4, v8
	v_mul_lo_u32 v8, v4, s6
	v_mul_lo_u32 v4, v4, s7
	v_add3_u32 v2, v6, v2, v3
	v_add3_u32 v0, v10, v0, v8
	;; [unrolled: 1-line block ×3, first 2 shown]
	s_cbranch_scc0 .LBB29_234
	s_branch .LBB29_238
.LBB29_235:
                                        ; implicit-def: $vgpr0
                                        ; implicit-def: $vgpr2
	s_branch .LBB29_242
.LBB29_236:
	v_mov_b32_e32 v0, 0
	v_mov_b32_e32 v2, 0
	s_branch .LBB29_241
.LBB29_237:
	s_mov_b32 s40, 0
	v_mov_b32_e32 v0, 0
	v_mov_b32_e32 v2, 0
	;; [unrolled: 1-line block ×3, first 2 shown]
.LBB29_238:
	s_and_b32 s4, s60, 3
	s_cmp_eq_u32 s4, 0
	s_cbranch_scc1 .LBB29_241
; %bb.239:
	s_lshl_b32 s0, s40, 3
	s_add_u32 s0, s34, s0
	s_addc_u32 s1, s35, 0
	s_add_u32 s0, s0, 0xc4
	s_addc_u32 s1, s1, 0
	s_mul_i32 s2, s40, 12
	s_add_u32 s2, s34, s2
	s_addc_u32 s3, s35, 0
.LBB29_240:                             ; =>This Inner Loop Header: Depth=1
	s_load_dwordx2 s[6:7], s[2:3], 0x4
	s_load_dword s5, s[2:3], 0xc
	s_load_dwordx2 s[8:9], s[0:1], 0x0
	s_add_u32 s2, s2, 12
	s_addc_u32 s3, s3, 0
	s_waitcnt lgkmcnt(0)
	v_mul_hi_u32 v3, s7, v1
	s_add_u32 s0, s0, 8
	s_addc_u32 s1, s1, 0
	s_add_i32 s4, s4, -1
	v_add_u32_e32 v3, v1, v3
	v_lshrrev_b32_e32 v4, s5, v3
	v_mul_lo_u32 v3, v4, s6
	s_cmp_lg_u32 s4, 0
	v_sub_u32_e32 v3, v1, v3
	v_mad_u64_u32 v[0:1], s[6:7], v3, s8, v[0:1]
	v_mad_u64_u32 v[2:3], s[6:7], v3, s9, v[2:3]
	v_mov_b32_e32 v1, v4
	s_cbranch_scc1 .LBB29_240
.LBB29_241:
	s_cbranch_execnz .LBB29_244
.LBB29_242:
	v_mul_hi_u32 v0, s21, v19
	s_andn2_b64 vcc, exec, s[46:47]
	v_add_u32_e32 v0, v19, v0
	v_lshrrev_b32_e32 v1, s22, v0
	v_mul_lo_u32 v0, v1, s20
	v_sub_u32_e32 v2, v19, v0
	v_mul_lo_u32 v0, v2, s24
	v_mul_lo_u32 v2, v2, s25
	s_cbranch_vccnz .LBB29_244
; %bb.243:
	v_mul_hi_u32 v3, s44, v1
	v_add_u32_e32 v3, v1, v3
	v_lshrrev_b32_e32 v3, s45, v3
	v_mul_lo_u32 v3, v3, s23
	v_sub_u32_e32 v3, v1, v3
	v_mad_u64_u32 v[0:1], s[0:1], v3, s26, v[0:1]
	v_mad_u64_u32 v[2:3], s[0:1], v3, s27, v[2:3]
.LBB29_244:
	global_load_ubyte v1, v2, s[18:19]
	s_and_b32 s0, s41, 0xff
	s_waitcnt vmcnt(0)
	v_cmp_ne_u16_e32 vcc, s0, v1
	s_xor_b64 s[0:1], s[42:43], vcc
	v_cndmask_b32_e64 v1, 0, 1, s[0:1]
	global_store_byte v0, v1, s[16:17]
	s_or_b64 exec, exec, s[52:53]
                                        ; implicit-def: $vgpr25
                                        ; implicit-def: $vgpr19
	s_andn2_saveexec_b64 s[0:1], s[38:39]
	s_cbranch_execz .LBB29_221
	s_branch .LBB29_8
	.section	.rodata,"a",@progbits
	.p2align	6, 0x0
	.amdhsa_kernel _ZN2at6native32elementwise_kernel_manual_unrollILi128ELi8EZNS0_22gpu_kernel_impl_nocastINS0_13AUnaryFunctorIaabNS0_12_GLOBAL__N_116CompareEqFunctorIaEEEEEEvRNS_18TensorIteratorBaseERKT_EUlibE_EEviT1_
		.amdhsa_group_segment_fixed_size 0
		.amdhsa_private_segment_fixed_size 0
		.amdhsa_kernarg_size 360
		.amdhsa_user_sgpr_count 6
		.amdhsa_user_sgpr_private_segment_buffer 1
		.amdhsa_user_sgpr_dispatch_ptr 0
		.amdhsa_user_sgpr_queue_ptr 0
		.amdhsa_user_sgpr_kernarg_segment_ptr 1
		.amdhsa_user_sgpr_dispatch_id 0
		.amdhsa_user_sgpr_flat_scratch_init 0
		.amdhsa_user_sgpr_private_segment_size 0
		.amdhsa_uses_dynamic_stack 0
		.amdhsa_system_sgpr_private_segment_wavefront_offset 0
		.amdhsa_system_sgpr_workgroup_id_x 1
		.amdhsa_system_sgpr_workgroup_id_y 0
		.amdhsa_system_sgpr_workgroup_id_z 0
		.amdhsa_system_sgpr_workgroup_info 0
		.amdhsa_system_vgpr_workitem_id 0
		.amdhsa_next_free_vgpr 26
		.amdhsa_next_free_sgpr 63
		.amdhsa_reserve_vcc 1
		.amdhsa_reserve_flat_scratch 0
		.amdhsa_float_round_mode_32 0
		.amdhsa_float_round_mode_16_64 0
		.amdhsa_float_denorm_mode_32 3
		.amdhsa_float_denorm_mode_16_64 3
		.amdhsa_dx10_clamp 1
		.amdhsa_ieee_mode 1
		.amdhsa_fp16_overflow 0
		.amdhsa_exception_fp_ieee_invalid_op 0
		.amdhsa_exception_fp_denorm_src 0
		.amdhsa_exception_fp_ieee_div_zero 0
		.amdhsa_exception_fp_ieee_overflow 0
		.amdhsa_exception_fp_ieee_underflow 0
		.amdhsa_exception_fp_ieee_inexact 0
		.amdhsa_exception_int_div_zero 0
	.end_amdhsa_kernel
	.section	.text._ZN2at6native32elementwise_kernel_manual_unrollILi128ELi8EZNS0_22gpu_kernel_impl_nocastINS0_13AUnaryFunctorIaabNS0_12_GLOBAL__N_116CompareEqFunctorIaEEEEEEvRNS_18TensorIteratorBaseERKT_EUlibE_EEviT1_,"axG",@progbits,_ZN2at6native32elementwise_kernel_manual_unrollILi128ELi8EZNS0_22gpu_kernel_impl_nocastINS0_13AUnaryFunctorIaabNS0_12_GLOBAL__N_116CompareEqFunctorIaEEEEEEvRNS_18TensorIteratorBaseERKT_EUlibE_EEviT1_,comdat
.Lfunc_end29:
	.size	_ZN2at6native32elementwise_kernel_manual_unrollILi128ELi8EZNS0_22gpu_kernel_impl_nocastINS0_13AUnaryFunctorIaabNS0_12_GLOBAL__N_116CompareEqFunctorIaEEEEEEvRNS_18TensorIteratorBaseERKT_EUlibE_EEviT1_, .Lfunc_end29-_ZN2at6native32elementwise_kernel_manual_unrollILi128ELi8EZNS0_22gpu_kernel_impl_nocastINS0_13AUnaryFunctorIaabNS0_12_GLOBAL__N_116CompareEqFunctorIaEEEEEEvRNS_18TensorIteratorBaseERKT_EUlibE_EEviT1_
                                        ; -- End function
	.set _ZN2at6native32elementwise_kernel_manual_unrollILi128ELi8EZNS0_22gpu_kernel_impl_nocastINS0_13AUnaryFunctorIaabNS0_12_GLOBAL__N_116CompareEqFunctorIaEEEEEEvRNS_18TensorIteratorBaseERKT_EUlibE_EEviT1_.num_vgpr, 26
	.set _ZN2at6native32elementwise_kernel_manual_unrollILi128ELi8EZNS0_22gpu_kernel_impl_nocastINS0_13AUnaryFunctorIaabNS0_12_GLOBAL__N_116CompareEqFunctorIaEEEEEEvRNS_18TensorIteratorBaseERKT_EUlibE_EEviT1_.num_agpr, 0
	.set _ZN2at6native32elementwise_kernel_manual_unrollILi128ELi8EZNS0_22gpu_kernel_impl_nocastINS0_13AUnaryFunctorIaabNS0_12_GLOBAL__N_116CompareEqFunctorIaEEEEEEvRNS_18TensorIteratorBaseERKT_EUlibE_EEviT1_.numbered_sgpr, 63
	.set _ZN2at6native32elementwise_kernel_manual_unrollILi128ELi8EZNS0_22gpu_kernel_impl_nocastINS0_13AUnaryFunctorIaabNS0_12_GLOBAL__N_116CompareEqFunctorIaEEEEEEvRNS_18TensorIteratorBaseERKT_EUlibE_EEviT1_.num_named_barrier, 0
	.set _ZN2at6native32elementwise_kernel_manual_unrollILi128ELi8EZNS0_22gpu_kernel_impl_nocastINS0_13AUnaryFunctorIaabNS0_12_GLOBAL__N_116CompareEqFunctorIaEEEEEEvRNS_18TensorIteratorBaseERKT_EUlibE_EEviT1_.private_seg_size, 0
	.set _ZN2at6native32elementwise_kernel_manual_unrollILi128ELi8EZNS0_22gpu_kernel_impl_nocastINS0_13AUnaryFunctorIaabNS0_12_GLOBAL__N_116CompareEqFunctorIaEEEEEEvRNS_18TensorIteratorBaseERKT_EUlibE_EEviT1_.uses_vcc, 1
	.set _ZN2at6native32elementwise_kernel_manual_unrollILi128ELi8EZNS0_22gpu_kernel_impl_nocastINS0_13AUnaryFunctorIaabNS0_12_GLOBAL__N_116CompareEqFunctorIaEEEEEEvRNS_18TensorIteratorBaseERKT_EUlibE_EEviT1_.uses_flat_scratch, 0
	.set _ZN2at6native32elementwise_kernel_manual_unrollILi128ELi8EZNS0_22gpu_kernel_impl_nocastINS0_13AUnaryFunctorIaabNS0_12_GLOBAL__N_116CompareEqFunctorIaEEEEEEvRNS_18TensorIteratorBaseERKT_EUlibE_EEviT1_.has_dyn_sized_stack, 0
	.set _ZN2at6native32elementwise_kernel_manual_unrollILi128ELi8EZNS0_22gpu_kernel_impl_nocastINS0_13AUnaryFunctorIaabNS0_12_GLOBAL__N_116CompareEqFunctorIaEEEEEEvRNS_18TensorIteratorBaseERKT_EUlibE_EEviT1_.has_recursion, 0
	.set _ZN2at6native32elementwise_kernel_manual_unrollILi128ELi8EZNS0_22gpu_kernel_impl_nocastINS0_13AUnaryFunctorIaabNS0_12_GLOBAL__N_116CompareEqFunctorIaEEEEEEvRNS_18TensorIteratorBaseERKT_EUlibE_EEviT1_.has_indirect_call, 0
	.section	.AMDGPU.csdata,"",@progbits
; Kernel info:
; codeLenInByte = 11496
; TotalNumSgprs: 67
; NumVgprs: 26
; ScratchSize: 0
; MemoryBound: 0
; FloatMode: 240
; IeeeMode: 1
; LDSByteSize: 0 bytes/workgroup (compile time only)
; SGPRBlocks: 8
; VGPRBlocks: 6
; NumSGPRsForWavesPerEU: 67
; NumVGPRsForWavesPerEU: 26
; Occupancy: 9
; WaveLimiterHint : 1
; COMPUTE_PGM_RSRC2:SCRATCH_EN: 0
; COMPUTE_PGM_RSRC2:USER_SGPR: 6
; COMPUTE_PGM_RSRC2:TRAP_HANDLER: 0
; COMPUTE_PGM_RSRC2:TGID_X_EN: 1
; COMPUTE_PGM_RSRC2:TGID_Y_EN: 0
; COMPUTE_PGM_RSRC2:TGID_Z_EN: 0
; COMPUTE_PGM_RSRC2:TIDIG_COMP_CNT: 0
	.section	.text._ZN2at6native32elementwise_kernel_manual_unrollILi128ELi4EZNS0_15gpu_kernel_implINS0_13AUnaryFunctorIaabNS0_12_GLOBAL__N_116CompareEqFunctorIaEEEEEEvRNS_18TensorIteratorBaseERKT_EUlibE_EEviT1_,"axG",@progbits,_ZN2at6native32elementwise_kernel_manual_unrollILi128ELi4EZNS0_15gpu_kernel_implINS0_13AUnaryFunctorIaabNS0_12_GLOBAL__N_116CompareEqFunctorIaEEEEEEvRNS_18TensorIteratorBaseERKT_EUlibE_EEviT1_,comdat
	.globl	_ZN2at6native32elementwise_kernel_manual_unrollILi128ELi4EZNS0_15gpu_kernel_implINS0_13AUnaryFunctorIaabNS0_12_GLOBAL__N_116CompareEqFunctorIaEEEEEEvRNS_18TensorIteratorBaseERKT_EUlibE_EEviT1_ ; -- Begin function _ZN2at6native32elementwise_kernel_manual_unrollILi128ELi4EZNS0_15gpu_kernel_implINS0_13AUnaryFunctorIaabNS0_12_GLOBAL__N_116CompareEqFunctorIaEEEEEEvRNS_18TensorIteratorBaseERKT_EUlibE_EEviT1_
	.p2align	8
	.type	_ZN2at6native32elementwise_kernel_manual_unrollILi128ELi4EZNS0_15gpu_kernel_implINS0_13AUnaryFunctorIaabNS0_12_GLOBAL__N_116CompareEqFunctorIaEEEEEEvRNS_18TensorIteratorBaseERKT_EUlibE_EEviT1_,@function
_ZN2at6native32elementwise_kernel_manual_unrollILi128ELi4EZNS0_15gpu_kernel_implINS0_13AUnaryFunctorIaabNS0_12_GLOBAL__N_116CompareEqFunctorIaEEEEEEvRNS_18TensorIteratorBaseERKT_EUlibE_EEviT1_: ; @_ZN2at6native32elementwise_kernel_manual_unrollILi128ELi4EZNS0_15gpu_kernel_implINS0_13AUnaryFunctorIaabNS0_12_GLOBAL__N_116CompareEqFunctorIaEEEEEEvRNS_18TensorIteratorBaseERKT_EUlibE_EEviT1_
; %bb.0:
	s_load_dwordx2 s[2:3], s[4:5], 0x24
	s_load_dword s33, s[4:5], 0x0
	s_load_dwordx8 s[8:15], s[4:5], 0x8
	v_lshl_or_b32 v9, s6, 9, v0
	v_or_b32_e32 v0, 0x180, v9
	s_waitcnt lgkmcnt(0)
	s_bfe_u32 s15, s3, 0x80008
	v_cmp_le_i32_e32 vcc, s33, v0
	s_mov_b64 s[4:5], 0
	s_mov_b64 s[16:17], 0
	s_and_saveexec_b64 s[0:1], vcc
	s_xor_b64 s[6:7], exec, s[0:1]
	s_cbranch_execz .LBB30_1011
; %bb.1:
	s_cmp_eq_u32 s14, 0
	s_cselect_b64 s[16:17], -1, 0
	v_cmp_gt_i32_e32 vcc, s33, v9
	s_mov_b64 s[24:25], -1
	s_mov_b64 s[26:27], 0
	s_mov_b64 s[20:21], 0
	;; [unrolled: 1-line block ×3, first 2 shown]
	s_and_saveexec_b64 s[22:23], vcc
	s_cbranch_execz .LBB30_248
; %bb.2:
	v_mul_lo_u32 v0, v9, s13
	v_mov_b32_e32 v1, s11
	s_and_b32 s24, 0xffff, s15
	s_cmp_lt_i32 s24, 11
	v_ashrrev_i32_e32 v2, 31, v0
	v_add_co_u32_e32 v0, vcc, s10, v0
	v_addc_co_u32_e32 v1, vcc, v1, v2, vcc
	s_cbranch_scc1 .LBB30_9
; %bb.3:
	s_cmp_gt_i32 s24, 25
	s_cbranch_scc0 .LBB30_18
; %bb.4:
	s_cmp_gt_i32 s24, 28
	s_cbranch_scc0 .LBB30_22
	;; [unrolled: 3-line block ×4, first 2 shown]
; %bb.7:
	s_cmp_eq_u32 s24, 46
	s_cbranch_scc0 .LBB30_28
; %bb.8:
	global_load_dword v2, v[0:1], off
	s_mov_b64 s[0:1], -1
	s_waitcnt vmcnt(0)
	v_lshlrev_b32_e32 v2, 16, v2
	v_cvt_i32_f32_e32 v2, v2
	s_branch .LBB30_30
.LBB30_9:
                                        ; implicit-def: $vgpr2
	s_mov_b64 s[0:1], 0
	s_cbranch_execnz .LBB30_199
.LBB30_10:
	s_andn2_b64 vcc, exec, s[0:1]
	s_cbranch_vccnz .LBB30_246
.LBB30_11:
	v_mul_lo_u32 v0, v9, s12
	s_and_b32 s0, s2, 0xff
	s_waitcnt vmcnt(0)
	v_cmp_ne_u16_sdwa s[0:1], s0, v2 src0_sel:DWORD src1_sel:BYTE_0
	s_xor_b64 s[18:19], s[16:17], s[0:1]
	v_ashrrev_i32_e32 v1, 31, v0
	v_mov_b32_e32 v2, s9
	s_and_b32 s34, s3, 0xff
	v_add_co_u32_e32 v0, vcc, s8, v0
	s_cmp_lt_i32 s34, 11
	v_addc_co_u32_e32 v1, vcc, v2, v1, vcc
	s_cbranch_scc1 .LBB30_19
; %bb.12:
	s_and_b32 s35, 0xffff, s34
	s_cmp_gt_i32 s35, 25
	s_cbranch_scc0 .LBB30_23
; %bb.13:
	s_cmp_gt_i32 s35, 28
	s_cbranch_scc0 .LBB30_25
; %bb.14:
	;; [unrolled: 3-line block ×4, first 2 shown]
	s_mov_b64 s[28:29], 0
	s_mov_b64 s[0:1], -1
	s_cmp_eq_u32 s35, 46
	s_mov_b64 s[24:25], 0
	s_cbranch_scc0 .LBB30_34
; %bb.17:
	v_cndmask_b32_e64 v2, 0, 1.0, s[18:19]
	v_bfe_u32 v3, v2, 16, 1
	s_movk_i32 s0, 0x7fff
	v_add3_u32 v2, v2, v3, s0
	v_lshrrev_b32_e32 v2, 16, v2
	global_store_dword v[0:1], v2, off
	s_mov_b64 s[24:25], -1
	s_mov_b64 s[0:1], 0
	s_branch .LBB30_34
.LBB30_18:
	s_mov_b64 s[0:1], 0
                                        ; implicit-def: $vgpr2
	s_cbranch_execnz .LBB30_166
	s_branch .LBB30_198
.LBB30_19:
	s_mov_b64 s[0:1], 0
	s_mov_b64 s[24:25], 0
	s_cbranch_execnz .LBB30_103
.LBB30_20:
	s_andn2_b64 vcc, exec, s[24:25]
	s_cbranch_vccnz .LBB30_141
.LBB30_21:
	v_add_u32_e32 v9, 0x80, v9
	s_mov_b64 s[24:25], -1
	s_branch .LBB30_247
.LBB30_22:
	s_mov_b64 s[18:19], -1
	s_mov_b64 s[0:1], 0
                                        ; implicit-def: $vgpr2
	s_branch .LBB30_149
.LBB30_23:
	s_mov_b64 s[28:29], -1
	s_mov_b64 s[0:1], 0
	s_mov_b64 s[24:25], 0
	s_branch .LBB30_61
.LBB30_24:
	s_mov_b64 s[18:19], -1
	s_mov_b64 s[0:1], 0
                                        ; implicit-def: $vgpr2
	s_branch .LBB30_144
.LBB30_25:
	s_mov_b64 s[28:29], -1
	s_mov_b64 s[0:1], 0
	s_mov_b64 s[24:25], 0
	s_branch .LBB30_44
.LBB30_26:
	s_mov_b64 s[18:19], -1
	s_branch .LBB30_29
.LBB30_27:
	s_mov_b64 s[28:29], -1
	s_mov_b64 s[0:1], 0
	s_mov_b64 s[24:25], 0
	s_branch .LBB30_40
.LBB30_28:
	s_mov_b64 s[20:21], -1
.LBB30_29:
	s_mov_b64 s[0:1], 0
                                        ; implicit-def: $vgpr2
.LBB30_30:
	s_and_b64 vcc, exec, s[18:19]
	s_cbranch_vccz .LBB30_143
; %bb.31:
	s_cmp_eq_u32 s24, 44
	s_cbranch_scc0 .LBB30_142
; %bb.32:
	global_load_ubyte v2, v[0:1], off
	s_mov_b64 s[0:1], -1
	s_mov_b64 s[20:21], 0
	s_waitcnt vmcnt(0)
	v_lshlrev_b32_e32 v3, 23, v2
	v_cvt_i32_f32_e32 v3, v3
	v_cmp_ne_u32_e32 vcc, 0, v2
	v_cndmask_b32_e32 v2, 0, v3, vcc
	s_branch .LBB30_143
.LBB30_33:
	s_mov_b64 s[28:29], -1
	s_mov_b64 s[0:1], 0
	s_mov_b64 s[24:25], 0
.LBB30_34:
	s_and_b64 vcc, exec, s[28:29]
	s_cbranch_vccz .LBB30_39
; %bb.35:
	s_cmp_eq_u32 s35, 44
	s_mov_b64 s[0:1], -1
	s_cbranch_scc0 .LBB30_39
; %bb.36:
	v_cndmask_b32_e64 v3, 0, 1.0, s[18:19]
	v_lshrrev_b32_e32 v2, 23, v3
	s_movk_i32 s0, 0xff
	v_cmp_ne_u32_e32 vcc, s0, v2
	v_mov_b32_e32 v4, 0xff
	s_and_saveexec_b64 s[24:25], vcc
; %bb.37:
	s_mov_b32 s0, 0x3fffff
	v_and_b32_e32 v4, 0x400000, v3
	v_and_or_b32 v3, v3, s0, v2
	v_cmp_ne_u32_e32 vcc, 0, v4
	v_cmp_ne_u32_e64 s[0:1], 0, v3
	s_and_b64 s[0:1], vcc, s[0:1]
	v_cndmask_b32_e64 v3, 0, 1, s[0:1]
	v_add_u32_e32 v4, v2, v3
; %bb.38:
	s_or_b64 exec, exec, s[24:25]
	s_mov_b64 s[24:25], -1
	s_mov_b64 s[0:1], 0
	global_store_byte v[0:1], v4, off
.LBB30_39:
	s_mov_b64 s[28:29], 0
.LBB30_40:
	s_and_b64 vcc, exec, s[28:29]
	s_cbranch_vccz .LBB30_43
; %bb.41:
	s_cmp_eq_u32 s35, 29
	s_mov_b64 s[0:1], -1
	s_cbranch_scc0 .LBB30_43
; %bb.42:
	s_mov_b32 s0, 0
	v_cndmask_b32_e64 v2, 0, 1, s[18:19]
	v_mov_b32_e32 v3, s0
	global_store_dwordx2 v[0:1], v[2:3], off
	s_mov_b64 s[24:25], -1
	s_mov_b64 s[0:1], 0
.LBB30_43:
	s_mov_b64 s[28:29], 0
.LBB30_44:
	s_and_b64 vcc, exec, s[28:29]
	s_cbranch_vccz .LBB30_60
; %bb.45:
	s_cmp_lt_i32 s35, 27
	s_mov_b64 s[24:25], -1
	s_cbranch_scc1 .LBB30_51
; %bb.46:
	s_cmp_gt_i32 s35, 27
	s_cbranch_scc0 .LBB30_48
; %bb.47:
	v_cndmask_b32_e64 v2, 0, 1, s[18:19]
	s_mov_b64 s[24:25], 0
	global_store_dword v[0:1], v2, off
.LBB30_48:
	s_andn2_b64 vcc, exec, s[24:25]
	s_cbranch_vccnz .LBB30_50
; %bb.49:
	v_cndmask_b32_e64 v2, 0, 1, s[18:19]
	global_store_short v[0:1], v2, off
.LBB30_50:
	s_mov_b64 s[24:25], 0
.LBB30_51:
	s_andn2_b64 vcc, exec, s[24:25]
	s_cbranch_vccnz .LBB30_59
; %bb.52:
	v_cndmask_b32_e64 v3, 0, 1.0, s[18:19]
	s_mov_b32 s24, 0x43800000
	v_cmp_gt_u32_e32 vcc, s24, v3
	v_mov_b32_e32 v4, 0x80
	s_and_saveexec_b64 s[24:25], vcc
	s_cbranch_execz .LBB30_58
; %bb.53:
	s_mov_b32 s28, 0x3bffffff
	v_cmp_lt_u32_e32 vcc, s28, v3
	s_mov_b64 s[28:29], 0
                                        ; implicit-def: $vgpr2
	s_and_saveexec_b64 s[30:31], vcc
	s_xor_b64 s[30:31], exec, s[30:31]
	s_cbranch_execz .LBB30_275
; %bb.54:
	v_bfe_u32 v2, v3, 20, 1
	s_mov_b32 s36, 0x487ffff
	v_add3_u32 v2, v3, v2, s36
	s_mov_b64 s[28:29], exec
	v_lshrrev_b32_e32 v2, 20, v2
                                        ; implicit-def: $vgpr3
	s_andn2_saveexec_b64 s[30:31], s[30:31]
	s_cbranch_execnz .LBB30_276
.LBB30_55:
	s_or_b64 exec, exec, s[30:31]
	v_mov_b32_e32 v4, 0
	s_and_saveexec_b64 s[30:31], s[28:29]
.LBB30_56:
	v_mov_b32_e32 v4, v2
.LBB30_57:
	s_or_b64 exec, exec, s[30:31]
.LBB30_58:
	s_or_b64 exec, exec, s[24:25]
	global_store_byte v[0:1], v4, off
.LBB30_59:
	s_mov_b64 s[24:25], -1
.LBB30_60:
	s_mov_b64 s[28:29], 0
.LBB30_61:
	s_and_b64 vcc, exec, s[28:29]
	s_cbranch_vccz .LBB30_102
; %bb.62:
	s_cmp_gt_i32 s35, 22
	s_mov_b64 s[28:29], -1
	s_cbranch_scc0 .LBB30_94
; %bb.63:
	s_cmp_lt_i32 s35, 24
	s_mov_b64 s[24:25], -1
	s_cbranch_scc1 .LBB30_83
; %bb.64:
	s_cmp_gt_i32 s35, 24
	s_cbranch_scc0 .LBB30_72
; %bb.65:
	v_cndmask_b32_e64 v3, 0, 1.0, s[18:19]
	s_mov_b32 s24, 0x47800000
	v_cmp_gt_u32_e32 vcc, s24, v3
	v_mov_b32_e32 v4, 0x80
	s_and_saveexec_b64 s[24:25], vcc
	s_cbranch_execz .LBB30_71
; %bb.66:
	s_mov_b32 s28, 0x37ffffff
	v_cmp_lt_u32_e32 vcc, s28, v3
	s_mov_b64 s[28:29], 0
                                        ; implicit-def: $vgpr2
	s_and_saveexec_b64 s[30:31], vcc
	s_xor_b64 s[30:31], exec, s[30:31]
	s_cbranch_execz .LBB30_279
; %bb.67:
	v_bfe_u32 v2, v3, 21, 1
	s_mov_b32 s36, 0x88fffff
	v_add3_u32 v2, v3, v2, s36
	s_mov_b64 s[28:29], exec
	v_lshrrev_b32_e32 v2, 21, v2
                                        ; implicit-def: $vgpr3
	s_andn2_saveexec_b64 s[30:31], s[30:31]
	s_cbranch_execnz .LBB30_280
.LBB30_68:
	s_or_b64 exec, exec, s[30:31]
	v_mov_b32_e32 v4, 0
	s_and_saveexec_b64 s[30:31], s[28:29]
.LBB30_69:
	v_mov_b32_e32 v4, v2
.LBB30_70:
	s_or_b64 exec, exec, s[30:31]
.LBB30_71:
	s_or_b64 exec, exec, s[24:25]
	s_mov_b64 s[24:25], 0
	global_store_byte v[0:1], v4, off
.LBB30_72:
	s_and_b64 vcc, exec, s[24:25]
	s_cbranch_vccz .LBB30_82
; %bb.73:
	v_cndmask_b32_e64 v2, 0, 1.0, s[18:19]
	s_mov_b32 s24, 0x43f00000
	v_cmp_gt_u32_e32 vcc, s24, v2
                                        ; implicit-def: $vgpr3
	s_and_saveexec_b64 s[24:25], vcc
	s_xor_b64 s[24:25], exec, s[24:25]
	s_cbranch_execz .LBB30_79
; %bb.74:
	s_mov_b32 s28, 0x3c7fffff
	v_cmp_lt_u32_e32 vcc, s28, v2
                                        ; implicit-def: $vgpr3
	s_and_saveexec_b64 s[28:29], vcc
	s_xor_b64 s[28:29], exec, s[28:29]
; %bb.75:
	v_bfe_u32 v3, v2, 20, 1
	s_mov_b32 s30, 0x407ffff
	v_add3_u32 v2, v2, v3, s30
	v_lshrrev_b32_e32 v3, 20, v2
	v_and_b32_e32 v2, 0xff00000, v2
	s_mov_b32 s30, 0x7f00000
	v_mov_b32_e32 v4, 0x7e
	v_cmp_ne_u32_e32 vcc, s30, v2
	v_cndmask_b32_e32 v3, v4, v3, vcc
                                        ; implicit-def: $vgpr2
; %bb.76:
	s_andn2_saveexec_b64 s[28:29], s[28:29]
; %bb.77:
	v_add_f32_e32 v3, 0x46800000, v2
; %bb.78:
	s_or_b64 exec, exec, s[28:29]
                                        ; implicit-def: $vgpr2
.LBB30_79:
	s_andn2_saveexec_b64 s[24:25], s[24:25]
; %bb.80:
	s_mov_b32 s28, 0x7f800000
	v_mov_b32_e32 v3, 0x7e
	v_mov_b32_e32 v4, 0x7f
	v_cmp_lt_u32_e32 vcc, s28, v2
	v_cndmask_b32_e32 v3, v3, v4, vcc
; %bb.81:
	s_or_b64 exec, exec, s[24:25]
	global_store_byte v[0:1], v3, off
.LBB30_82:
	s_mov_b64 s[24:25], 0
.LBB30_83:
	s_andn2_b64 vcc, exec, s[24:25]
	s_cbranch_vccnz .LBB30_93
; %bb.84:
	v_cndmask_b32_e64 v2, 0, 1.0, s[18:19]
	s_mov_b32 s24, 0x47800000
	v_cmp_gt_u32_e32 vcc, s24, v2
                                        ; implicit-def: $vgpr3
	s_and_saveexec_b64 s[24:25], vcc
	s_xor_b64 s[24:25], exec, s[24:25]
	s_cbranch_execz .LBB30_90
; %bb.85:
	s_mov_b32 s28, 0x387fffff
	v_cmp_lt_u32_e32 vcc, s28, v2
                                        ; implicit-def: $vgpr3
	s_and_saveexec_b64 s[28:29], vcc
	s_xor_b64 s[28:29], exec, s[28:29]
; %bb.86:
	v_bfe_u32 v3, v2, 21, 1
	s_mov_b32 s30, 0x80fffff
	v_add3_u32 v2, v2, v3, s30
	v_lshrrev_b32_e32 v3, 21, v2
                                        ; implicit-def: $vgpr2
; %bb.87:
	s_andn2_saveexec_b64 s[28:29], s[28:29]
; %bb.88:
	v_add_f32_e32 v3, 0x43000000, v2
; %bb.89:
	s_or_b64 exec, exec, s[28:29]
                                        ; implicit-def: $vgpr2
.LBB30_90:
	s_andn2_saveexec_b64 s[24:25], s[24:25]
; %bb.91:
	s_mov_b32 s28, 0x7f800000
	v_mov_b32_e32 v3, 0x7c
	v_mov_b32_e32 v4, 0x7f
	v_cmp_lt_u32_e32 vcc, s28, v2
	v_cndmask_b32_e32 v3, v3, v4, vcc
; %bb.92:
	s_or_b64 exec, exec, s[24:25]
	global_store_byte v[0:1], v3, off
.LBB30_93:
	s_mov_b64 s[28:29], 0
	s_mov_b64 s[24:25], -1
.LBB30_94:
	s_andn2_b64 vcc, exec, s[28:29]
	s_cbranch_vccnz .LBB30_102
; %bb.95:
	s_cmp_gt_i32 s35, 14
	s_mov_b64 s[28:29], -1
	s_cbranch_scc0 .LBB30_99
; %bb.96:
	s_cmp_eq_u32 s35, 15
	s_mov_b64 s[0:1], -1
	s_cbranch_scc0 .LBB30_98
; %bb.97:
	v_cndmask_b32_e64 v2, 0, 1.0, s[18:19]
	v_bfe_u32 v3, v2, 16, 1
	s_movk_i32 s0, 0x7fff
	v_add3_u32 v2, v2, v3, s0
	global_store_short_d16_hi v[0:1], v2, off
	s_mov_b64 s[24:25], -1
	s_mov_b64 s[0:1], 0
.LBB30_98:
	s_mov_b64 s[28:29], 0
.LBB30_99:
	s_and_b64 vcc, exec, s[28:29]
	s_cbranch_vccz .LBB30_102
; %bb.100:
	s_cmp_eq_u32 s35, 11
	s_mov_b64 s[0:1], -1
	s_cbranch_scc0 .LBB30_102
; %bb.101:
	v_cndmask_b32_e64 v2, 0, 1, s[18:19]
	s_mov_b64 s[24:25], -1
	s_mov_b64 s[0:1], 0
	global_store_byte v[0:1], v2, off
.LBB30_102:
	s_branch .LBB30_20
.LBB30_103:
	s_and_b32 s28, 0xffff, s34
	s_cmp_lt_i32 s28, 5
	s_mov_b64 s[24:25], -1
	s_cbranch_scc1 .LBB30_124
; %bb.104:
	s_cmp_lt_i32 s28, 8
	s_cbranch_scc1 .LBB30_114
; %bb.105:
	s_cmp_lt_i32 s28, 9
	s_cbranch_scc1 .LBB30_111
; %bb.106:
	s_cmp_gt_i32 s28, 9
	s_cbranch_scc0 .LBB30_108
; %bb.107:
	v_cndmask_b32_e64 v2, 0, 1, s[18:19]
	v_cvt_f64_u32_e32 v[2:3], v2
	v_mov_b32_e32 v4, 0
	v_mov_b32_e32 v5, v4
	s_mov_b64 s[24:25], 0
	global_store_dwordx4 v[0:1], v[2:5], off
.LBB30_108:
	s_andn2_b64 vcc, exec, s[24:25]
	s_cbranch_vccnz .LBB30_110
; %bb.109:
	v_cndmask_b32_e64 v2, 0, 1.0, s[18:19]
	v_mov_b32_e32 v3, 0
	global_store_dwordx2 v[0:1], v[2:3], off
.LBB30_110:
	s_mov_b64 s[24:25], 0
.LBB30_111:
	s_andn2_b64 vcc, exec, s[24:25]
	s_cbranch_vccnz .LBB30_113
; %bb.112:
	v_cndmask_b32_e64 v2, 0, 1.0, s[18:19]
	v_cvt_f16_f32_e32 v2, v2
	global_store_dword v[0:1], v2, off
.LBB30_113:
	s_mov_b64 s[24:25], 0
.LBB30_114:
	s_andn2_b64 vcc, exec, s[24:25]
	s_cbranch_vccnz .LBB30_123
; %bb.115:
	s_cmp_lt_i32 s28, 6
	s_mov_b64 s[24:25], -1
	s_cbranch_scc1 .LBB30_121
; %bb.116:
	s_cmp_gt_i32 s28, 6
	s_cbranch_scc0 .LBB30_118
; %bb.117:
	v_cndmask_b32_e64 v2, 0, 1, s[18:19]
	v_cvt_f64_u32_e32 v[2:3], v2
	s_mov_b64 s[24:25], 0
	global_store_dwordx2 v[0:1], v[2:3], off
.LBB30_118:
	s_andn2_b64 vcc, exec, s[24:25]
	s_cbranch_vccnz .LBB30_120
; %bb.119:
	v_cndmask_b32_e64 v2, 0, 1.0, s[18:19]
	global_store_dword v[0:1], v2, off
.LBB30_120:
	s_mov_b64 s[24:25], 0
.LBB30_121:
	s_andn2_b64 vcc, exec, s[24:25]
	s_cbranch_vccnz .LBB30_123
; %bb.122:
	v_cndmask_b32_e64 v2, 0, 1.0, s[18:19]
	v_cvt_f16_f32_e32 v2, v2
	global_store_short v[0:1], v2, off
.LBB30_123:
	s_mov_b64 s[24:25], 0
.LBB30_124:
	s_andn2_b64 vcc, exec, s[24:25]
	s_cbranch_vccnz .LBB30_140
; %bb.125:
	s_cmp_lt_i32 s28, 2
	s_mov_b64 s[24:25], -1
	s_cbranch_scc1 .LBB30_135
; %bb.126:
	s_cmp_lt_i32 s28, 3
	s_cbranch_scc1 .LBB30_132
; %bb.127:
	s_cmp_gt_i32 s28, 3
	s_cbranch_scc0 .LBB30_129
; %bb.128:
	s_mov_b32 s24, 0
	v_cndmask_b32_e64 v2, 0, 1, s[18:19]
	v_mov_b32_e32 v3, s24
	global_store_dwordx2 v[0:1], v[2:3], off
	s_mov_b64 s[24:25], 0
.LBB30_129:
	s_andn2_b64 vcc, exec, s[24:25]
	s_cbranch_vccnz .LBB30_131
; %bb.130:
	v_cndmask_b32_e64 v2, 0, 1, s[18:19]
	global_store_dword v[0:1], v2, off
.LBB30_131:
	s_mov_b64 s[24:25], 0
.LBB30_132:
	s_andn2_b64 vcc, exec, s[24:25]
	s_cbranch_vccnz .LBB30_134
; %bb.133:
	v_cndmask_b32_e64 v2, 0, 1, s[18:19]
	global_store_short v[0:1], v2, off
.LBB30_134:
	s_mov_b64 s[24:25], 0
.LBB30_135:
	s_andn2_b64 vcc, exec, s[24:25]
	s_cbranch_vccnz .LBB30_140
; %bb.136:
	s_mov_b64 s[24:25], -1
	s_cmp_gt_i32 s28, 0
	v_cndmask_b32_e64 v2, 0, 1, s[18:19]
	s_cbranch_scc0 .LBB30_138
; %bb.137:
	global_store_byte v[0:1], v2, off
	s_mov_b64 s[24:25], 0
.LBB30_138:
	s_andn2_b64 vcc, exec, s[24:25]
	s_cbranch_vccnz .LBB30_140
; %bb.139:
	global_store_byte v[0:1], v2, off
.LBB30_140:
	s_branch .LBB30_21
.LBB30_141:
	s_mov_b64 s[24:25], 0
                                        ; implicit-def: $vgpr9
	s_branch .LBB30_247
.LBB30_142:
	s_mov_b64 s[20:21], -1
                                        ; implicit-def: $vgpr2
.LBB30_143:
	s_mov_b64 s[18:19], 0
.LBB30_144:
	s_and_b64 vcc, exec, s[18:19]
	s_cbranch_vccz .LBB30_148
; %bb.145:
	s_cmp_eq_u32 s24, 29
	s_cbranch_scc0 .LBB30_147
; %bb.146:
	global_load_dwordx2 v[2:3], v[0:1], off
	s_mov_b64 s[0:1], -1
	s_mov_b64 s[20:21], 0
	s_branch .LBB30_148
.LBB30_147:
	s_mov_b64 s[20:21], -1
                                        ; implicit-def: $vgpr2
.LBB30_148:
	s_mov_b64 s[18:19], 0
.LBB30_149:
	s_and_b64 vcc, exec, s[18:19]
	s_cbranch_vccz .LBB30_165
; %bb.150:
	s_cmp_lt_i32 s24, 27
	s_cbranch_scc1 .LBB30_153
; %bb.151:
	s_cmp_gt_i32 s24, 27
	s_cbranch_scc0 .LBB30_154
; %bb.152:
	global_load_dword v2, v[0:1], off
	s_mov_b64 s[0:1], 0
	s_branch .LBB30_155
.LBB30_153:
	s_mov_b64 s[0:1], -1
                                        ; implicit-def: $vgpr2
	s_branch .LBB30_158
.LBB30_154:
	s_mov_b64 s[0:1], -1
                                        ; implicit-def: $vgpr2
.LBB30_155:
	s_andn2_b64 vcc, exec, s[0:1]
	s_cbranch_vccnz .LBB30_157
; %bb.156:
	global_load_ushort v2, v[0:1], off
.LBB30_157:
	s_mov_b64 s[0:1], 0
.LBB30_158:
	s_andn2_b64 vcc, exec, s[0:1]
	s_cbranch_vccnz .LBB30_164
; %bb.159:
	global_load_ubyte v3, v[0:1], off
	s_movk_i32 s0, 0x7f
	s_mov_b64 s[18:19], 0
	s_waitcnt vmcnt(0)
	v_cmp_lt_i16_e32 vcc, s0, v3
	s_and_saveexec_b64 s[0:1], vcc
	s_xor_b64 s[0:1], exec, s[0:1]
	s_cbranch_execz .LBB30_175
; %bb.160:
	s_movk_i32 s18, 0x80
	v_cmp_ne_u16_e32 vcc, s18, v3
	s_and_b64 s[18:19], vcc, exec
	s_andn2_saveexec_b64 s[0:1], s[0:1]
	s_cbranch_execnz .LBB30_176
.LBB30_161:
	s_or_b64 exec, exec, s[0:1]
	v_mov_b32_e32 v2, 0
	s_and_saveexec_b64 s[0:1], s[18:19]
	s_cbranch_execz .LBB30_163
.LBB30_162:
	v_lshlrev_b32_e32 v2, 24, v3
	v_and_b32_e32 v3, 0xffff, v3
	v_and_b32_e32 v4, 7, v3
	v_ffbh_u32_e32 v6, v4
	v_min_u32_e32 v6, 32, v6
	v_subrev_u32_e32 v7, 28, v6
	v_bfe_u32 v5, v3, 3, 4
	v_lshlrev_b32_e32 v3, v7, v3
	v_sub_u32_e32 v6, 29, v6
	v_and_b32_e32 v3, 7, v3
	v_cmp_eq_u32_e32 vcc, 0, v5
	v_cndmask_b32_e32 v5, v5, v6, vcc
	v_cndmask_b32_e32 v3, v4, v3, vcc
	v_mov_b32_e32 v4, 0x3b800000
	v_lshlrev_b32_e32 v3, 20, v3
	v_and_b32_e32 v2, 0x80000000, v2
	v_lshl_add_u32 v4, v5, 23, v4
	v_or3_b32 v2, v2, v4, v3
	v_cvt_i32_f32_e32 v2, v2
.LBB30_163:
	s_or_b64 exec, exec, s[0:1]
.LBB30_164:
	s_mov_b64 s[0:1], -1
.LBB30_165:
	s_branch .LBB30_198
.LBB30_166:
	s_cmp_gt_i32 s24, 22
	s_cbranch_scc0 .LBB30_174
; %bb.167:
	s_cmp_lt_i32 s24, 24
	s_cbranch_scc1 .LBB30_177
; %bb.168:
	s_cmp_gt_i32 s24, 24
	s_cbranch_scc0 .LBB30_178
; %bb.169:
	global_load_ubyte v3, v[0:1], off
	s_movk_i32 s0, 0x7f
	s_mov_b64 s[18:19], 0
	s_waitcnt vmcnt(0)
	v_cmp_lt_i16_e32 vcc, s0, v3
	s_and_saveexec_b64 s[0:1], vcc
	s_xor_b64 s[0:1], exec, s[0:1]
	s_cbranch_execz .LBB30_190
; %bb.170:
	s_movk_i32 s18, 0x80
	v_cmp_ne_u16_e32 vcc, s18, v3
	s_and_b64 s[18:19], vcc, exec
	s_andn2_saveexec_b64 s[0:1], s[0:1]
	s_cbranch_execnz .LBB30_191
.LBB30_171:
	s_or_b64 exec, exec, s[0:1]
	v_mov_b32_e32 v2, 0
	s_and_saveexec_b64 s[0:1], s[18:19]
	s_cbranch_execz .LBB30_173
.LBB30_172:
	v_lshlrev_b32_e32 v2, 24, v3
	v_and_b32_e32 v3, 0xffff, v3
	v_and_b32_e32 v4, 3, v3
	v_ffbh_u32_e32 v6, v4
	v_min_u32_e32 v6, 32, v6
	v_subrev_u32_e32 v7, 29, v6
	v_bfe_u32 v5, v3, 2, 5
	v_lshlrev_b32_e32 v3, v7, v3
	v_sub_u32_e32 v6, 30, v6
	v_and_b32_e32 v3, 3, v3
	v_cmp_eq_u32_e32 vcc, 0, v5
	v_cndmask_b32_e32 v5, v5, v6, vcc
	v_cndmask_b32_e32 v3, v4, v3, vcc
	v_mov_b32_e32 v4, 0x37800000
	v_lshlrev_b32_e32 v3, 21, v3
	v_and_b32_e32 v2, 0x80000000, v2
	v_lshl_add_u32 v4, v5, 23, v4
	v_or3_b32 v2, v2, v4, v3
	v_cvt_i32_f32_e32 v2, v2
.LBB30_173:
	s_or_b64 exec, exec, s[0:1]
	s_mov_b64 s[0:1], 0
	s_branch .LBB30_179
.LBB30_174:
	s_mov_b64 s[18:19], -1
                                        ; implicit-def: $vgpr2
	s_branch .LBB30_185
.LBB30_175:
	s_andn2_saveexec_b64 s[0:1], s[0:1]
	s_cbranch_execz .LBB30_161
.LBB30_176:
	v_cmp_ne_u16_e32 vcc, 0, v3
	s_andn2_b64 s[18:19], s[18:19], exec
	s_and_b64 s[28:29], vcc, exec
	s_or_b64 s[18:19], s[18:19], s[28:29]
	s_or_b64 exec, exec, s[0:1]
	v_mov_b32_e32 v2, 0
	s_and_saveexec_b64 s[0:1], s[18:19]
	s_cbranch_execnz .LBB30_162
	s_branch .LBB30_163
.LBB30_177:
	s_mov_b64 s[0:1], -1
                                        ; implicit-def: $vgpr2
	s_branch .LBB30_182
.LBB30_178:
	s_mov_b64 s[0:1], -1
                                        ; implicit-def: $vgpr2
.LBB30_179:
	s_and_b64 vcc, exec, s[0:1]
	s_cbranch_vccz .LBB30_181
; %bb.180:
	global_load_ubyte v2, v[0:1], off
	s_mov_b32 s0, 0x7f800000
	s_waitcnt vmcnt(0)
	v_lshlrev_b32_e32 v2, 24, v2
	v_and_b32_e32 v3, 0x7f000000, v2
	v_ffbh_u32_e32 v4, v3
	v_min_u32_e32 v4, 32, v4
	v_sub_u32_e64 v4, v4, 4 clamp
	v_lshlrev_b32_e32 v6, v4, v3
	v_lshlrev_b32_e32 v4, 23, v4
	v_lshrrev_b32_e32 v6, 4, v6
	v_add_u32_e32 v5, 0x1000000, v3
	v_sub_u32_e32 v4, v6, v4
	v_ashrrev_i32_e32 v5, 8, v5
	v_add_u32_e32 v4, 0x3c000000, v4
	v_and_or_b32 v4, v5, s0, v4
	v_cmp_ne_u32_e32 vcc, 0, v3
	v_cndmask_b32_e32 v3, 0, v4, vcc
	s_brev_b32 s0, 1
	v_and_or_b32 v2, v2, s0, v3
	v_cvt_i32_f32_e32 v2, v2
.LBB30_181:
	s_mov_b64 s[0:1], 0
.LBB30_182:
	s_andn2_b64 vcc, exec, s[0:1]
	s_cbranch_vccnz .LBB30_184
; %bb.183:
	global_load_ubyte v2, v[0:1], off
	s_movk_i32 s0, 0x7f00
	s_brev_b32 s1, 16
	s_waitcnt vmcnt(0)
	v_lshlrev_b16_e32 v3, 8, v2
	v_lshlrev_b32_e32 v2, 25, v2
	v_lshrrev_b32_e32 v4, 4, v2
	v_and_or_b32 v5, v3, s0, 0.5
	v_or_b32_e32 v4, 0x70000000, v4
	v_add_f32_e32 v5, -0.5, v5
	v_mul_f32_e32 v4, 0x7800000, v4
	v_cmp_gt_u32_e32 vcc, s1, v2
	v_bfe_i32 v3, v3, 0, 16
	v_cndmask_b32_e32 v2, v4, v5, vcc
	s_brev_b32 s0, 1
	v_and_or_b32 v2, v3, s0, v2
	v_cvt_i32_f32_e32 v2, v2
.LBB30_184:
	s_mov_b64 s[18:19], 0
	s_mov_b64 s[0:1], -1
.LBB30_185:
	s_andn2_b64 vcc, exec, s[18:19]
	s_cbranch_vccnz .LBB30_198
; %bb.186:
	s_cmp_gt_i32 s24, 14
	s_cbranch_scc0 .LBB30_189
; %bb.187:
	s_cmp_eq_u32 s24, 15
	s_cbranch_scc0 .LBB30_192
; %bb.188:
	global_load_ushort v2, v[0:1], off
	s_mov_b64 s[0:1], -1
	s_mov_b64 s[20:21], 0
	s_waitcnt vmcnt(0)
	v_lshlrev_b32_e32 v2, 16, v2
	v_cvt_i32_f32_e32 v2, v2
	s_branch .LBB30_193
.LBB30_189:
	s_mov_b64 s[18:19], -1
                                        ; implicit-def: $vgpr2
	s_branch .LBB30_194
.LBB30_190:
	s_andn2_saveexec_b64 s[0:1], s[0:1]
	s_cbranch_execz .LBB30_171
.LBB30_191:
	v_cmp_ne_u16_e32 vcc, 0, v3
	s_andn2_b64 s[18:19], s[18:19], exec
	s_and_b64 s[28:29], vcc, exec
	s_or_b64 s[18:19], s[18:19], s[28:29]
	s_or_b64 exec, exec, s[0:1]
	v_mov_b32_e32 v2, 0
	s_and_saveexec_b64 s[0:1], s[18:19]
	s_cbranch_execnz .LBB30_172
	s_branch .LBB30_173
.LBB30_192:
	s_mov_b64 s[20:21], -1
                                        ; implicit-def: $vgpr2
.LBB30_193:
	s_mov_b64 s[18:19], 0
.LBB30_194:
	s_and_b64 vcc, exec, s[18:19]
	s_cbranch_vccz .LBB30_198
; %bb.195:
	s_cmp_eq_u32 s24, 11
	s_cbranch_scc0 .LBB30_197
; %bb.196:
	global_load_ubyte v2, v[0:1], off
	s_mov_b64 s[0:1], -1
	s_mov_b64 s[20:21], 0
	s_waitcnt vmcnt(0)
	v_cmp_ne_u16_e32 vcc, 0, v2
	v_cndmask_b32_e64 v2, 0, 1, vcc
	s_branch .LBB30_198
.LBB30_197:
	s_mov_b64 s[20:21], -1
                                        ; implicit-def: $vgpr2
.LBB30_198:
	s_branch .LBB30_10
.LBB30_199:
	s_cmp_lt_i32 s24, 5
	s_cbranch_scc1 .LBB30_204
; %bb.200:
	s_cmp_lt_i32 s24, 8
	s_cbranch_scc1 .LBB30_205
; %bb.201:
	;; [unrolled: 3-line block ×3, first 2 shown]
	s_cmp_gt_i32 s24, 9
	s_cbranch_scc0 .LBB30_207
; %bb.203:
	global_load_dwordx2 v[2:3], v[0:1], off
	s_mov_b64 s[0:1], 0
	s_waitcnt vmcnt(0)
	v_cvt_i32_f64_e32 v2, v[2:3]
	s_branch .LBB30_208
.LBB30_204:
                                        ; implicit-def: $vgpr2
	s_branch .LBB30_226
.LBB30_205:
	s_mov_b64 s[0:1], -1
                                        ; implicit-def: $vgpr2
	s_branch .LBB30_214
.LBB30_206:
	s_mov_b64 s[0:1], -1
                                        ; implicit-def: $vgpr2
	s_branch .LBB30_211
.LBB30_207:
	s_mov_b64 s[0:1], -1
                                        ; implicit-def: $vgpr2
.LBB30_208:
	s_andn2_b64 vcc, exec, s[0:1]
	s_cbranch_vccnz .LBB30_210
; %bb.209:
	global_load_dword v2, v[0:1], off
	s_waitcnt vmcnt(0)
	v_cvt_i32_f32_e32 v2, v2
.LBB30_210:
	s_mov_b64 s[0:1], 0
.LBB30_211:
	s_andn2_b64 vcc, exec, s[0:1]
	s_cbranch_vccnz .LBB30_213
; %bb.212:
	global_load_dword v2, v[0:1], off
	s_waitcnt vmcnt(0)
	v_cvt_i16_f16_e32 v2, v2
.LBB30_213:
	s_mov_b64 s[0:1], 0
.LBB30_214:
	s_andn2_b64 vcc, exec, s[0:1]
	s_cbranch_vccnz .LBB30_225
; %bb.215:
	s_cmp_lt_i32 s24, 6
	s_cbranch_scc1 .LBB30_218
; %bb.216:
	s_cmp_gt_i32 s24, 6
	s_cbranch_scc0 .LBB30_219
; %bb.217:
	global_load_dwordx2 v[2:3], v[0:1], off
	s_mov_b64 s[0:1], 0
	s_waitcnt vmcnt(0)
	v_cvt_i32_f64_e32 v2, v[2:3]
	s_branch .LBB30_220
.LBB30_218:
	s_mov_b64 s[0:1], -1
                                        ; implicit-def: $vgpr2
	s_branch .LBB30_223
.LBB30_219:
	s_mov_b64 s[0:1], -1
                                        ; implicit-def: $vgpr2
.LBB30_220:
	s_andn2_b64 vcc, exec, s[0:1]
	s_cbranch_vccnz .LBB30_222
; %bb.221:
	global_load_dword v2, v[0:1], off
	s_waitcnt vmcnt(0)
	v_cvt_i32_f32_e32 v2, v2
.LBB30_222:
	s_mov_b64 s[0:1], 0
.LBB30_223:
	s_andn2_b64 vcc, exec, s[0:1]
	s_cbranch_vccnz .LBB30_225
; %bb.224:
	global_load_ushort v2, v[0:1], off
	s_waitcnt vmcnt(0)
	v_cvt_i16_f16_e32 v2, v2
.LBB30_225:
	s_cbranch_execnz .LBB30_245
.LBB30_226:
	s_cmp_lt_i32 s24, 2
	s_cbranch_scc1 .LBB30_230
; %bb.227:
	s_cmp_lt_i32 s24, 3
	s_cbranch_scc1 .LBB30_231
; %bb.228:
	s_cmp_gt_i32 s24, 3
	s_cbranch_scc0 .LBB30_232
; %bb.229:
	global_load_dwordx2 v[2:3], v[0:1], off
	s_mov_b64 s[0:1], 0
	s_branch .LBB30_233
.LBB30_230:
	s_mov_b64 s[0:1], -1
                                        ; implicit-def: $vgpr2
	s_branch .LBB30_239
.LBB30_231:
	s_mov_b64 s[0:1], -1
                                        ; implicit-def: $vgpr2
	s_branch .LBB30_236
.LBB30_232:
	s_mov_b64 s[0:1], -1
                                        ; implicit-def: $vgpr2
.LBB30_233:
	s_andn2_b64 vcc, exec, s[0:1]
	s_cbranch_vccnz .LBB30_235
; %bb.234:
	global_load_dword v2, v[0:1], off
.LBB30_235:
	s_mov_b64 s[0:1], 0
.LBB30_236:
	s_andn2_b64 vcc, exec, s[0:1]
	s_cbranch_vccnz .LBB30_238
; %bb.237:
	global_load_ushort v2, v[0:1], off
.LBB30_238:
	s_mov_b64 s[0:1], 0
.LBB30_239:
	s_andn2_b64 vcc, exec, s[0:1]
	s_cbranch_vccnz .LBB30_245
; %bb.240:
	s_cmp_gt_i32 s24, 0
	s_cbranch_scc0 .LBB30_242
; %bb.241:
	global_load_ubyte v2, v[0:1], off
	s_mov_b64 s[0:1], 0
	s_branch .LBB30_243
.LBB30_242:
	s_mov_b64 s[0:1], -1
                                        ; implicit-def: $vgpr2
.LBB30_243:
	s_andn2_b64 vcc, exec, s[0:1]
	s_cbranch_vccnz .LBB30_245
; %bb.244:
	global_load_ubyte v2, v[0:1], off
.LBB30_245:
	s_branch .LBB30_11
.LBB30_246:
	s_mov_b64 s[0:1], 0
                                        ; implicit-def: $vgpr9
	s_mov_b64 s[24:25], 0
.LBB30_247:
	s_and_b64 s[18:19], s[0:1], exec
	s_and_b64 s[20:21], s[20:21], exec
	s_orn2_b64 s[24:25], s[24:25], exec
.LBB30_248:
	s_or_b64 exec, exec, s[22:23]
	s_mov_b64 s[28:29], 0
	s_mov_b64 s[0:1], 0
                                        ; implicit-def: $vgpr0_vgpr1
                                        ; implicit-def: $vgpr2
	s_and_saveexec_b64 s[22:23], s[24:25]
	s_cbranch_execz .LBB30_257
; %bb.249:
	v_cmp_gt_i32_e32 vcc, s33, v9
	s_mov_b64 s[0:1], -1
	s_mov_b64 s[24:25], s[20:21]
	s_mov_b64 s[26:27], s[18:19]
	s_and_saveexec_b64 s[28:29], vcc
	s_cbranch_execz .LBB30_505
; %bb.250:
	v_mul_lo_u32 v0, v9, s13
	v_mov_b32_e32 v1, s11
	s_and_b32 s30, 0xffff, s15
	s_cmp_lt_i32 s30, 11
	s_waitcnt vmcnt(0)
	v_ashrrev_i32_e32 v2, 31, v0
	v_add_co_u32_e32 v0, vcc, s10, v0
	v_addc_co_u32_e32 v1, vcc, v1, v2, vcc
	s_cbranch_scc1 .LBB30_260
; %bb.251:
	s_cmp_gt_i32 s30, 25
	s_cbranch_scc0 .LBB30_269
; %bb.252:
	s_cmp_gt_i32 s30, 28
	s_cbranch_scc0 .LBB30_271
; %bb.253:
	s_cmp_gt_i32 s30, 43
	s_cbranch_scc0 .LBB30_273
; %bb.254:
	s_cmp_gt_i32 s30, 45
	s_cbranch_scc0 .LBB30_277
; %bb.255:
	s_cmp_eq_u32 s30, 46
	s_mov_b64 s[26:27], 0
	s_cbranch_scc0 .LBB30_281
; %bb.256:
	global_load_dword v2, v[0:1], off
	s_mov_b64 s[24:25], 0
	s_waitcnt vmcnt(0)
	v_lshlrev_b32_e32 v2, 16, v2
	v_cvt_i32_f32_e32 v2, v2
	s_branch .LBB30_282
.LBB30_257:
	s_or_b64 exec, exec, s[22:23]
	s_mov_b64 s[22:23], 0
	s_and_saveexec_b64 s[24:25], s[20:21]
	s_cbranch_execnz .LBB30_843
.LBB30_258:
	s_or_b64 exec, exec, s[24:25]
	s_and_saveexec_b64 s[20:21], s[26:27]
	s_xor_b64 s[20:21], exec, s[20:21]
	s_cbranch_execz .LBB30_844
.LBB30_259:
	global_load_ubyte v2, v[0:1], off
	s_or_b64 s[0:1], s[0:1], exec
	s_waitcnt vmcnt(0)
	v_cmp_ne_u16_e32 vcc, 0, v2
	v_cndmask_b32_e64 v2, 0, 1, vcc
	s_or_b64 exec, exec, s[20:21]
	s_and_saveexec_b64 s[20:21], s[28:29]
	s_cbranch_execz .LBB30_890
	s_branch .LBB30_845
.LBB30_260:
	s_mov_b64 s[0:1], 0
                                        ; implicit-def: $vgpr2
	s_mov_b64 s[24:25], s[20:21]
	s_cbranch_execnz .LBB30_455
.LBB30_261:
	s_andn2_b64 vcc, exec, s[0:1]
	s_cbranch_vccnz .LBB30_503
.LBB30_262:
	v_mul_lo_u32 v0, v9, s12
	s_and_b32 s0, s2, 0xff
	s_waitcnt vmcnt(0)
	v_cmp_ne_u16_sdwa s[0:1], s0, v2 src0_sel:DWORD src1_sel:BYTE_0
	s_xor_b64 s[26:27], s[16:17], s[0:1]
	v_ashrrev_i32_e32 v1, 31, v0
	v_mov_b32_e32 v2, s9
	s_and_b32 s38, s3, 0xff
	v_add_co_u32_e32 v0, vcc, s8, v0
	s_cmp_lt_i32 s38, 11
	v_addc_co_u32_e32 v1, vcc, v2, v1, vcc
	s_cbranch_scc1 .LBB30_270
; %bb.263:
	s_and_b32 s39, 0xffff, s38
	s_cmp_gt_i32 s39, 25
	s_cbranch_scc0 .LBB30_272
; %bb.264:
	s_cmp_gt_i32 s39, 28
	s_cbranch_scc0 .LBB30_274
; %bb.265:
	;; [unrolled: 3-line block ×4, first 2 shown]
	s_mov_b64 s[34:35], 0
	s_mov_b64 s[0:1], -1
	s_cmp_eq_u32 s39, 46
	s_mov_b64 s[30:31], 0
	s_cbranch_scc0 .LBB30_286
; %bb.268:
	v_cndmask_b32_e64 v2, 0, 1.0, s[26:27]
	v_bfe_u32 v3, v2, 16, 1
	s_movk_i32 s0, 0x7fff
	v_add3_u32 v2, v2, v3, s0
	v_lshrrev_b32_e32 v2, 16, v2
	global_store_dword v[0:1], v2, off
	s_mov_b64 s[30:31], -1
	s_mov_b64 s[0:1], 0
	s_branch .LBB30_286
.LBB30_269:
	s_mov_b64 s[26:27], -1
	s_mov_b64 s[0:1], 0
	s_mov_b64 s[24:25], s[20:21]
                                        ; implicit-def: $vgpr2
	s_branch .LBB30_421
.LBB30_270:
	s_mov_b64 s[34:35], -1
	s_mov_b64 s[30:31], 0
	s_mov_b64 s[0:1], s[18:19]
	s_branch .LBB30_355
.LBB30_271:
	s_mov_b64 s[26:27], -1
	s_mov_b64 s[0:1], 0
	s_mov_b64 s[24:25], s[20:21]
                                        ; implicit-def: $vgpr2
	s_branch .LBB30_404
.LBB30_272:
	s_mov_b64 s[34:35], -1
	s_mov_b64 s[30:31], 0
	s_mov_b64 s[0:1], s[18:19]
	s_branch .LBB30_313
.LBB30_273:
	s_mov_b64 s[26:27], -1
	s_mov_b64 s[0:1], 0
	s_mov_b64 s[24:25], s[20:21]
                                        ; implicit-def: $vgpr2
	s_branch .LBB30_399
.LBB30_274:
	s_mov_b64 s[34:35], -1
	s_mov_b64 s[30:31], 0
	s_mov_b64 s[0:1], s[18:19]
	s_branch .LBB30_296
.LBB30_275:
	s_andn2_saveexec_b64 s[30:31], s[30:31]
	s_cbranch_execz .LBB30_55
.LBB30_276:
	v_add_f32_e32 v2, 0x46000000, v3
	v_and_b32_e32 v2, 0xff, v2
	v_cmp_ne_u32_e32 vcc, 0, v2
	s_andn2_b64 s[28:29], s[28:29], exec
	s_and_b64 s[36:37], vcc, exec
	s_or_b64 s[28:29], s[28:29], s[36:37]
	s_or_b64 exec, exec, s[30:31]
	v_mov_b32_e32 v4, 0
	s_and_saveexec_b64 s[30:31], s[28:29]
	s_cbranch_execnz .LBB30_56
	s_branch .LBB30_57
.LBB30_277:
	s_mov_b64 s[26:27], -1
	s_mov_b64 s[0:1], 0
	s_mov_b64 s[24:25], s[20:21]
                                        ; implicit-def: $vgpr2
	s_branch .LBB30_282
.LBB30_278:
	s_mov_b64 s[34:35], -1
	s_mov_b64 s[30:31], 0
	s_mov_b64 s[0:1], s[18:19]
	s_branch .LBB30_292
.LBB30_279:
	s_andn2_saveexec_b64 s[30:31], s[30:31]
	s_cbranch_execz .LBB30_68
.LBB30_280:
	v_add_f32_e32 v2, 0x42800000, v3
	v_and_b32_e32 v2, 0xff, v2
	v_cmp_ne_u32_e32 vcc, 0, v2
	s_andn2_b64 s[28:29], s[28:29], exec
	s_and_b64 s[36:37], vcc, exec
	s_or_b64 s[28:29], s[28:29], s[36:37]
	s_or_b64 exec, exec, s[30:31]
	v_mov_b32_e32 v4, 0
	s_and_saveexec_b64 s[30:31], s[28:29]
	s_cbranch_execnz .LBB30_69
	s_branch .LBB30_70
.LBB30_281:
	s_mov_b64 s[24:25], -1
                                        ; implicit-def: $vgpr2
	s_mov_b64 s[0:1], 0
.LBB30_282:
	s_and_b64 vcc, exec, s[26:27]
	s_cbranch_vccz .LBB30_398
; %bb.283:
	s_cmp_eq_u32 s30, 44
	s_cbranch_scc0 .LBB30_397
; %bb.284:
	global_load_ubyte v2, v[0:1], off
	s_mov_b64 s[0:1], -1
	s_mov_b64 s[24:25], 0
	s_waitcnt vmcnt(0)
	v_lshlrev_b32_e32 v3, 23, v2
	v_cvt_i32_f32_e32 v3, v3
	v_cmp_ne_u32_e32 vcc, 0, v2
	v_cndmask_b32_e32 v2, 0, v3, vcc
	s_branch .LBB30_398
.LBB30_285:
	s_mov_b64 s[34:35], -1
	s_mov_b64 s[30:31], 0
	s_mov_b64 s[0:1], s[18:19]
.LBB30_286:
	s_and_b64 vcc, exec, s[34:35]
	s_cbranch_vccz .LBB30_291
; %bb.287:
	s_cmp_eq_u32 s39, 44
	s_mov_b64 s[0:1], -1
	s_cbranch_scc0 .LBB30_291
; %bb.288:
	v_cndmask_b32_e64 v3, 0, 1.0, s[26:27]
	v_lshrrev_b32_e32 v2, 23, v3
	s_movk_i32 s0, 0xff
	v_cmp_ne_u32_e32 vcc, s0, v2
	v_mov_b32_e32 v4, 0xff
	s_and_saveexec_b64 s[30:31], vcc
; %bb.289:
	s_mov_b32 s0, 0x3fffff
	v_and_b32_e32 v4, 0x400000, v3
	v_and_or_b32 v3, v3, s0, v2
	v_cmp_ne_u32_e32 vcc, 0, v4
	v_cmp_ne_u32_e64 s[0:1], 0, v3
	s_and_b64 s[0:1], vcc, s[0:1]
	v_cndmask_b32_e64 v3, 0, 1, s[0:1]
	v_add_u32_e32 v4, v2, v3
; %bb.290:
	s_or_b64 exec, exec, s[30:31]
	s_mov_b64 s[30:31], -1
	s_mov_b64 s[0:1], 0
	global_store_byte v[0:1], v4, off
.LBB30_291:
	s_mov_b64 s[34:35], 0
.LBB30_292:
	s_and_b64 vcc, exec, s[34:35]
	s_cbranch_vccz .LBB30_295
; %bb.293:
	s_cmp_eq_u32 s39, 29
	s_mov_b64 s[0:1], -1
	s_cbranch_scc0 .LBB30_295
; %bb.294:
	s_mov_b32 s0, 0
	v_cndmask_b32_e64 v2, 0, 1, s[26:27]
	v_mov_b32_e32 v3, s0
	global_store_dwordx2 v[0:1], v[2:3], off
	s_mov_b64 s[30:31], -1
	s_mov_b64 s[0:1], 0
.LBB30_295:
	s_mov_b64 s[34:35], 0
.LBB30_296:
	s_and_b64 vcc, exec, s[34:35]
	s_cbranch_vccz .LBB30_312
; %bb.297:
	s_cmp_lt_i32 s39, 27
	s_mov_b64 s[30:31], -1
	s_cbranch_scc1 .LBB30_303
; %bb.298:
	s_cmp_gt_i32 s39, 27
	s_cbranch_scc0 .LBB30_300
; %bb.299:
	v_cndmask_b32_e64 v2, 0, 1, s[26:27]
	s_mov_b64 s[30:31], 0
	global_store_dword v[0:1], v2, off
.LBB30_300:
	s_andn2_b64 vcc, exec, s[30:31]
	s_cbranch_vccnz .LBB30_302
; %bb.301:
	v_cndmask_b32_e64 v2, 0, 1, s[26:27]
	global_store_short v[0:1], v2, off
.LBB30_302:
	s_mov_b64 s[30:31], 0
.LBB30_303:
	s_andn2_b64 vcc, exec, s[30:31]
	s_cbranch_vccnz .LBB30_311
; %bb.304:
	v_cndmask_b32_e64 v3, 0, 1.0, s[26:27]
	s_mov_b32 s30, 0x43800000
	v_cmp_gt_u32_e32 vcc, s30, v3
	v_mov_b32_e32 v4, 0x80
	s_and_saveexec_b64 s[30:31], vcc
	s_cbranch_execz .LBB30_310
; %bb.305:
	s_mov_b32 s34, 0x3bffffff
	v_cmp_lt_u32_e32 vcc, s34, v3
	s_mov_b64 s[34:35], 0
                                        ; implicit-def: $vgpr2
	s_and_saveexec_b64 s[36:37], vcc
	s_xor_b64 s[36:37], exec, s[36:37]
	s_cbranch_execz .LBB30_518
; %bb.306:
	v_bfe_u32 v2, v3, 20, 1
	s_mov_b32 s40, 0x487ffff
	v_add3_u32 v2, v3, v2, s40
	s_mov_b64 s[34:35], exec
	v_lshrrev_b32_e32 v2, 20, v2
                                        ; implicit-def: $vgpr3
	s_andn2_saveexec_b64 s[36:37], s[36:37]
	s_cbranch_execnz .LBB30_519
.LBB30_307:
	s_or_b64 exec, exec, s[36:37]
	v_mov_b32_e32 v4, 0
	s_and_saveexec_b64 s[36:37], s[34:35]
.LBB30_308:
	v_mov_b32_e32 v4, v2
.LBB30_309:
	s_or_b64 exec, exec, s[36:37]
.LBB30_310:
	s_or_b64 exec, exec, s[30:31]
	global_store_byte v[0:1], v4, off
.LBB30_311:
	s_mov_b64 s[30:31], -1
.LBB30_312:
	s_mov_b64 s[34:35], 0
.LBB30_313:
	s_and_b64 vcc, exec, s[34:35]
	s_cbranch_vccz .LBB30_354
; %bb.314:
	s_cmp_gt_i32 s39, 22
	s_mov_b64 s[34:35], -1
	s_cbranch_scc0 .LBB30_346
; %bb.315:
	s_cmp_lt_i32 s39, 24
	s_mov_b64 s[30:31], -1
	s_cbranch_scc1 .LBB30_335
; %bb.316:
	s_cmp_gt_i32 s39, 24
	s_cbranch_scc0 .LBB30_324
; %bb.317:
	v_cndmask_b32_e64 v3, 0, 1.0, s[26:27]
	s_mov_b32 s30, 0x47800000
	v_cmp_gt_u32_e32 vcc, s30, v3
	v_mov_b32_e32 v4, 0x80
	s_and_saveexec_b64 s[30:31], vcc
	s_cbranch_execz .LBB30_323
; %bb.318:
	s_mov_b32 s34, 0x37ffffff
	v_cmp_lt_u32_e32 vcc, s34, v3
	s_mov_b64 s[34:35], 0
                                        ; implicit-def: $vgpr2
	s_and_saveexec_b64 s[36:37], vcc
	s_xor_b64 s[36:37], exec, s[36:37]
	s_cbranch_execz .LBB30_521
; %bb.319:
	v_bfe_u32 v2, v3, 21, 1
	s_mov_b32 s40, 0x88fffff
	v_add3_u32 v2, v3, v2, s40
	s_mov_b64 s[34:35], exec
	v_lshrrev_b32_e32 v2, 21, v2
                                        ; implicit-def: $vgpr3
	s_andn2_saveexec_b64 s[36:37], s[36:37]
	s_cbranch_execnz .LBB30_522
.LBB30_320:
	s_or_b64 exec, exec, s[36:37]
	v_mov_b32_e32 v4, 0
	s_and_saveexec_b64 s[36:37], s[34:35]
.LBB30_321:
	v_mov_b32_e32 v4, v2
.LBB30_322:
	s_or_b64 exec, exec, s[36:37]
.LBB30_323:
	s_or_b64 exec, exec, s[30:31]
	s_mov_b64 s[30:31], 0
	global_store_byte v[0:1], v4, off
.LBB30_324:
	s_and_b64 vcc, exec, s[30:31]
	s_cbranch_vccz .LBB30_334
; %bb.325:
	v_cndmask_b32_e64 v2, 0, 1.0, s[26:27]
	s_mov_b32 s30, 0x43f00000
	v_cmp_gt_u32_e32 vcc, s30, v2
                                        ; implicit-def: $vgpr3
	s_and_saveexec_b64 s[30:31], vcc
	s_xor_b64 s[30:31], exec, s[30:31]
	s_cbranch_execz .LBB30_331
; %bb.326:
	s_mov_b32 s34, 0x3c7fffff
	v_cmp_lt_u32_e32 vcc, s34, v2
                                        ; implicit-def: $vgpr3
	s_and_saveexec_b64 s[34:35], vcc
	s_xor_b64 s[34:35], exec, s[34:35]
; %bb.327:
	v_bfe_u32 v3, v2, 20, 1
	s_mov_b32 s36, 0x407ffff
	v_add3_u32 v2, v2, v3, s36
	v_lshrrev_b32_e32 v3, 20, v2
	v_and_b32_e32 v2, 0xff00000, v2
	s_mov_b32 s36, 0x7f00000
	v_mov_b32_e32 v4, 0x7e
	v_cmp_ne_u32_e32 vcc, s36, v2
	v_cndmask_b32_e32 v3, v4, v3, vcc
                                        ; implicit-def: $vgpr2
; %bb.328:
	s_andn2_saveexec_b64 s[34:35], s[34:35]
; %bb.329:
	v_add_f32_e32 v3, 0x46800000, v2
; %bb.330:
	s_or_b64 exec, exec, s[34:35]
                                        ; implicit-def: $vgpr2
.LBB30_331:
	s_andn2_saveexec_b64 s[30:31], s[30:31]
; %bb.332:
	s_mov_b32 s34, 0x7f800000
	v_mov_b32_e32 v3, 0x7e
	v_mov_b32_e32 v4, 0x7f
	v_cmp_lt_u32_e32 vcc, s34, v2
	v_cndmask_b32_e32 v3, v3, v4, vcc
; %bb.333:
	s_or_b64 exec, exec, s[30:31]
	global_store_byte v[0:1], v3, off
.LBB30_334:
	s_mov_b64 s[30:31], 0
.LBB30_335:
	s_andn2_b64 vcc, exec, s[30:31]
	s_cbranch_vccnz .LBB30_345
; %bb.336:
	v_cndmask_b32_e64 v2, 0, 1.0, s[26:27]
	s_mov_b32 s30, 0x47800000
	v_cmp_gt_u32_e32 vcc, s30, v2
                                        ; implicit-def: $vgpr3
	s_and_saveexec_b64 s[30:31], vcc
	s_xor_b64 s[30:31], exec, s[30:31]
	s_cbranch_execz .LBB30_342
; %bb.337:
	s_mov_b32 s34, 0x387fffff
	v_cmp_lt_u32_e32 vcc, s34, v2
                                        ; implicit-def: $vgpr3
	s_and_saveexec_b64 s[34:35], vcc
	s_xor_b64 s[34:35], exec, s[34:35]
; %bb.338:
	v_bfe_u32 v3, v2, 21, 1
	s_mov_b32 s36, 0x80fffff
	v_add3_u32 v2, v2, v3, s36
	v_lshrrev_b32_e32 v3, 21, v2
                                        ; implicit-def: $vgpr2
; %bb.339:
	s_andn2_saveexec_b64 s[34:35], s[34:35]
; %bb.340:
	v_add_f32_e32 v3, 0x43000000, v2
; %bb.341:
	s_or_b64 exec, exec, s[34:35]
                                        ; implicit-def: $vgpr2
.LBB30_342:
	s_andn2_saveexec_b64 s[30:31], s[30:31]
; %bb.343:
	s_mov_b32 s34, 0x7f800000
	v_mov_b32_e32 v3, 0x7c
	v_mov_b32_e32 v4, 0x7f
	v_cmp_lt_u32_e32 vcc, s34, v2
	v_cndmask_b32_e32 v3, v3, v4, vcc
; %bb.344:
	s_or_b64 exec, exec, s[30:31]
	global_store_byte v[0:1], v3, off
.LBB30_345:
	s_mov_b64 s[34:35], 0
	s_mov_b64 s[30:31], -1
.LBB30_346:
	s_andn2_b64 vcc, exec, s[34:35]
	s_cbranch_vccnz .LBB30_354
; %bb.347:
	s_cmp_gt_i32 s39, 14
	s_mov_b64 s[34:35], -1
	s_cbranch_scc0 .LBB30_351
; %bb.348:
	s_cmp_eq_u32 s39, 15
	s_mov_b64 s[0:1], -1
	s_cbranch_scc0 .LBB30_350
; %bb.349:
	v_cndmask_b32_e64 v2, 0, 1.0, s[26:27]
	v_bfe_u32 v3, v2, 16, 1
	s_movk_i32 s0, 0x7fff
	v_add3_u32 v2, v2, v3, s0
	global_store_short_d16_hi v[0:1], v2, off
	s_mov_b64 s[30:31], -1
	s_mov_b64 s[0:1], 0
.LBB30_350:
	s_mov_b64 s[34:35], 0
.LBB30_351:
	s_and_b64 vcc, exec, s[34:35]
	s_cbranch_vccz .LBB30_354
; %bb.352:
	s_cmp_eq_u32 s39, 11
	s_mov_b64 s[0:1], -1
	s_cbranch_scc0 .LBB30_354
; %bb.353:
	v_cndmask_b32_e64 v2, 0, 1, s[26:27]
	s_mov_b64 s[30:31], -1
	s_mov_b64 s[0:1], 0
	global_store_byte v[0:1], v2, off
.LBB30_354:
	s_mov_b64 s[34:35], 0
.LBB30_355:
	s_and_b64 vcc, exec, s[34:35]
	s_cbranch_vccz .LBB30_394
; %bb.356:
	s_and_b32 s34, 0xffff, s38
	s_cmp_lt_i32 s34, 5
	s_mov_b64 s[30:31], -1
	s_cbranch_scc1 .LBB30_377
; %bb.357:
	s_cmp_lt_i32 s34, 8
	s_cbranch_scc1 .LBB30_367
; %bb.358:
	s_cmp_lt_i32 s34, 9
	s_cbranch_scc1 .LBB30_364
; %bb.359:
	s_cmp_gt_i32 s34, 9
	s_cbranch_scc0 .LBB30_361
; %bb.360:
	v_cndmask_b32_e64 v2, 0, 1, s[26:27]
	v_cvt_f64_u32_e32 v[2:3], v2
	v_mov_b32_e32 v4, 0
	v_mov_b32_e32 v5, v4
	s_mov_b64 s[30:31], 0
	global_store_dwordx4 v[0:1], v[2:5], off
.LBB30_361:
	s_andn2_b64 vcc, exec, s[30:31]
	s_cbranch_vccnz .LBB30_363
; %bb.362:
	v_cndmask_b32_e64 v2, 0, 1.0, s[26:27]
	v_mov_b32_e32 v3, 0
	global_store_dwordx2 v[0:1], v[2:3], off
.LBB30_363:
	s_mov_b64 s[30:31], 0
.LBB30_364:
	s_andn2_b64 vcc, exec, s[30:31]
	s_cbranch_vccnz .LBB30_366
; %bb.365:
	v_cndmask_b32_e64 v2, 0, 1.0, s[26:27]
	v_cvt_f16_f32_e32 v2, v2
	global_store_dword v[0:1], v2, off
.LBB30_366:
	s_mov_b64 s[30:31], 0
.LBB30_367:
	s_andn2_b64 vcc, exec, s[30:31]
	s_cbranch_vccnz .LBB30_376
; %bb.368:
	s_cmp_lt_i32 s34, 6
	s_mov_b64 s[30:31], -1
	s_cbranch_scc1 .LBB30_374
; %bb.369:
	s_cmp_gt_i32 s34, 6
	s_cbranch_scc0 .LBB30_371
; %bb.370:
	v_cndmask_b32_e64 v2, 0, 1, s[26:27]
	v_cvt_f64_u32_e32 v[2:3], v2
	s_mov_b64 s[30:31], 0
	global_store_dwordx2 v[0:1], v[2:3], off
.LBB30_371:
	s_andn2_b64 vcc, exec, s[30:31]
	s_cbranch_vccnz .LBB30_373
; %bb.372:
	v_cndmask_b32_e64 v2, 0, 1.0, s[26:27]
	global_store_dword v[0:1], v2, off
.LBB30_373:
	s_mov_b64 s[30:31], 0
.LBB30_374:
	s_andn2_b64 vcc, exec, s[30:31]
	s_cbranch_vccnz .LBB30_376
; %bb.375:
	v_cndmask_b32_e64 v2, 0, 1.0, s[26:27]
	v_cvt_f16_f32_e32 v2, v2
	global_store_short v[0:1], v2, off
.LBB30_376:
	s_mov_b64 s[30:31], 0
.LBB30_377:
	s_andn2_b64 vcc, exec, s[30:31]
	s_cbranch_vccnz .LBB30_393
; %bb.378:
	s_cmp_lt_i32 s34, 2
	s_mov_b64 s[30:31], -1
	s_cbranch_scc1 .LBB30_388
; %bb.379:
	s_cmp_lt_i32 s34, 3
	s_cbranch_scc1 .LBB30_385
; %bb.380:
	s_cmp_gt_i32 s34, 3
	s_cbranch_scc0 .LBB30_382
; %bb.381:
	s_mov_b32 s30, 0
	v_cndmask_b32_e64 v2, 0, 1, s[26:27]
	v_mov_b32_e32 v3, s30
	s_mov_b64 s[30:31], 0
	global_store_dwordx2 v[0:1], v[2:3], off
.LBB30_382:
	s_andn2_b64 vcc, exec, s[30:31]
	s_cbranch_vccnz .LBB30_384
; %bb.383:
	v_cndmask_b32_e64 v2, 0, 1, s[26:27]
	global_store_dword v[0:1], v2, off
.LBB30_384:
	s_mov_b64 s[30:31], 0
.LBB30_385:
	s_andn2_b64 vcc, exec, s[30:31]
	s_cbranch_vccnz .LBB30_387
; %bb.386:
	v_cndmask_b32_e64 v2, 0, 1, s[26:27]
	global_store_short v[0:1], v2, off
.LBB30_387:
	s_mov_b64 s[30:31], 0
.LBB30_388:
	s_andn2_b64 vcc, exec, s[30:31]
	s_cbranch_vccnz .LBB30_393
; %bb.389:
	s_mov_b64 s[30:31], -1
	s_cmp_gt_i32 s34, 0
	v_cndmask_b32_e64 v2, 0, 1, s[26:27]
	s_cbranch_scc0 .LBB30_391
; %bb.390:
	s_mov_b64 s[30:31], 0
	global_store_byte v[0:1], v2, off
.LBB30_391:
	s_andn2_b64 vcc, exec, s[30:31]
	s_cbranch_vccnz .LBB30_393
; %bb.392:
	global_store_byte v[0:1], v2, off
.LBB30_393:
	s_mov_b64 s[30:31], -1
.LBB30_394:
	s_andn2_b64 vcc, exec, s[30:31]
	s_cbranch_vccnz .LBB30_396
; %bb.395:
	v_add_u32_e32 v9, 0x80, v9
	s_mov_b64 s[30:31], -1
	s_branch .LBB30_504
.LBB30_396:
	s_mov_b64 s[30:31], 0
                                        ; implicit-def: $vgpr9
	s_branch .LBB30_504
.LBB30_397:
	s_mov_b64 s[24:25], -1
                                        ; implicit-def: $vgpr2
.LBB30_398:
	s_mov_b64 s[26:27], 0
.LBB30_399:
	s_and_b64 vcc, exec, s[26:27]
	s_cbranch_vccz .LBB30_403
; %bb.400:
	s_cmp_eq_u32 s30, 29
	s_cbranch_scc0 .LBB30_402
; %bb.401:
	global_load_dwordx2 v[2:3], v[0:1], off
	s_mov_b64 s[0:1], -1
	s_mov_b64 s[24:25], 0
	s_branch .LBB30_403
.LBB30_402:
	s_mov_b64 s[24:25], -1
                                        ; implicit-def: $vgpr2
.LBB30_403:
	s_mov_b64 s[26:27], 0
.LBB30_404:
	s_and_b64 vcc, exec, s[26:27]
	s_cbranch_vccz .LBB30_420
; %bb.405:
	s_cmp_lt_i32 s30, 27
	s_cbranch_scc1 .LBB30_408
; %bb.406:
	s_cmp_gt_i32 s30, 27
	s_cbranch_scc0 .LBB30_409
; %bb.407:
	global_load_dword v2, v[0:1], off
	s_mov_b64 s[0:1], 0
	s_branch .LBB30_410
.LBB30_408:
	s_mov_b64 s[0:1], -1
                                        ; implicit-def: $vgpr2
	s_branch .LBB30_413
.LBB30_409:
	s_mov_b64 s[0:1], -1
                                        ; implicit-def: $vgpr2
.LBB30_410:
	s_andn2_b64 vcc, exec, s[0:1]
	s_cbranch_vccnz .LBB30_412
; %bb.411:
	global_load_ushort v2, v[0:1], off
.LBB30_412:
	s_mov_b64 s[0:1], 0
.LBB30_413:
	s_andn2_b64 vcc, exec, s[0:1]
	s_cbranch_vccnz .LBB30_419
; %bb.414:
	global_load_ubyte v3, v[0:1], off
	s_movk_i32 s0, 0x7f
	s_mov_b64 s[26:27], 0
	s_waitcnt vmcnt(0)
	v_cmp_lt_i16_e32 vcc, s0, v3
	s_and_saveexec_b64 s[0:1], vcc
	s_xor_b64 s[0:1], exec, s[0:1]
	s_cbranch_execz .LBB30_431
; %bb.415:
	s_movk_i32 s26, 0x80
	v_cmp_ne_u16_e32 vcc, s26, v3
	s_and_b64 s[26:27], vcc, exec
	s_andn2_saveexec_b64 s[0:1], s[0:1]
	s_cbranch_execnz .LBB30_432
.LBB30_416:
	s_or_b64 exec, exec, s[0:1]
	v_mov_b32_e32 v2, 0
	s_and_saveexec_b64 s[0:1], s[26:27]
	s_cbranch_execz .LBB30_418
.LBB30_417:
	v_lshlrev_b32_e32 v2, 24, v3
	v_and_b32_e32 v3, 0xffff, v3
	v_and_b32_e32 v4, 7, v3
	v_ffbh_u32_e32 v6, v4
	v_min_u32_e32 v6, 32, v6
	v_subrev_u32_e32 v7, 28, v6
	v_bfe_u32 v5, v3, 3, 4
	v_lshlrev_b32_e32 v3, v7, v3
	v_sub_u32_e32 v6, 29, v6
	v_and_b32_e32 v3, 7, v3
	v_cmp_eq_u32_e32 vcc, 0, v5
	v_cndmask_b32_e32 v5, v5, v6, vcc
	v_cndmask_b32_e32 v3, v4, v3, vcc
	v_mov_b32_e32 v4, 0x3b800000
	v_lshlrev_b32_e32 v3, 20, v3
	v_and_b32_e32 v2, 0x80000000, v2
	v_lshl_add_u32 v4, v5, 23, v4
	v_or3_b32 v2, v2, v4, v3
	v_cvt_i32_f32_e32 v2, v2
.LBB30_418:
	s_or_b64 exec, exec, s[0:1]
.LBB30_419:
	s_mov_b64 s[0:1], -1
.LBB30_420:
	s_mov_b64 s[26:27], 0
.LBB30_421:
	s_and_b64 vcc, exec, s[26:27]
	s_cbranch_vccz .LBB30_454
; %bb.422:
	s_cmp_gt_i32 s30, 22
	s_cbranch_scc0 .LBB30_430
; %bb.423:
	s_cmp_lt_i32 s30, 24
	s_cbranch_scc1 .LBB30_433
; %bb.424:
	s_cmp_gt_i32 s30, 24
	s_cbranch_scc0 .LBB30_434
; %bb.425:
	global_load_ubyte v3, v[0:1], off
	s_movk_i32 s0, 0x7f
	s_mov_b64 s[26:27], 0
	s_waitcnt vmcnt(0)
	v_cmp_lt_i16_e32 vcc, s0, v3
	s_and_saveexec_b64 s[0:1], vcc
	s_xor_b64 s[0:1], exec, s[0:1]
	s_cbranch_execz .LBB30_446
; %bb.426:
	s_movk_i32 s26, 0x80
	v_cmp_ne_u16_e32 vcc, s26, v3
	s_and_b64 s[26:27], vcc, exec
	s_andn2_saveexec_b64 s[0:1], s[0:1]
	s_cbranch_execnz .LBB30_447
.LBB30_427:
	s_or_b64 exec, exec, s[0:1]
	v_mov_b32_e32 v2, 0
	s_and_saveexec_b64 s[0:1], s[26:27]
	s_cbranch_execz .LBB30_429
.LBB30_428:
	v_lshlrev_b32_e32 v2, 24, v3
	v_and_b32_e32 v3, 0xffff, v3
	v_and_b32_e32 v4, 3, v3
	v_ffbh_u32_e32 v6, v4
	v_min_u32_e32 v6, 32, v6
	v_subrev_u32_e32 v7, 29, v6
	v_bfe_u32 v5, v3, 2, 5
	v_lshlrev_b32_e32 v3, v7, v3
	v_sub_u32_e32 v6, 30, v6
	v_and_b32_e32 v3, 3, v3
	v_cmp_eq_u32_e32 vcc, 0, v5
	v_cndmask_b32_e32 v5, v5, v6, vcc
	v_cndmask_b32_e32 v3, v4, v3, vcc
	v_mov_b32_e32 v4, 0x37800000
	v_lshlrev_b32_e32 v3, 21, v3
	v_and_b32_e32 v2, 0x80000000, v2
	v_lshl_add_u32 v4, v5, 23, v4
	v_or3_b32 v2, v2, v4, v3
	v_cvt_i32_f32_e32 v2, v2
.LBB30_429:
	s_or_b64 exec, exec, s[0:1]
	s_mov_b64 s[0:1], 0
	s_branch .LBB30_435
.LBB30_430:
	s_mov_b64 s[26:27], -1
                                        ; implicit-def: $vgpr2
	s_branch .LBB30_441
.LBB30_431:
	s_andn2_saveexec_b64 s[0:1], s[0:1]
	s_cbranch_execz .LBB30_416
.LBB30_432:
	v_cmp_ne_u16_e32 vcc, 0, v3
	s_andn2_b64 s[26:27], s[26:27], exec
	s_and_b64 s[34:35], vcc, exec
	s_or_b64 s[26:27], s[26:27], s[34:35]
	s_or_b64 exec, exec, s[0:1]
	v_mov_b32_e32 v2, 0
	s_and_saveexec_b64 s[0:1], s[26:27]
	s_cbranch_execnz .LBB30_417
	s_branch .LBB30_418
.LBB30_433:
	s_mov_b64 s[0:1], -1
                                        ; implicit-def: $vgpr2
	s_branch .LBB30_438
.LBB30_434:
	s_mov_b64 s[0:1], -1
                                        ; implicit-def: $vgpr2
.LBB30_435:
	s_and_b64 vcc, exec, s[0:1]
	s_cbranch_vccz .LBB30_437
; %bb.436:
	global_load_ubyte v2, v[0:1], off
	s_mov_b32 s0, 0x7f800000
	s_waitcnt vmcnt(0)
	v_lshlrev_b32_e32 v2, 24, v2
	v_and_b32_e32 v3, 0x7f000000, v2
	v_ffbh_u32_e32 v4, v3
	v_min_u32_e32 v4, 32, v4
	v_sub_u32_e64 v4, v4, 4 clamp
	v_lshlrev_b32_e32 v6, v4, v3
	v_lshlrev_b32_e32 v4, 23, v4
	v_lshrrev_b32_e32 v6, 4, v6
	v_add_u32_e32 v5, 0x1000000, v3
	v_sub_u32_e32 v4, v6, v4
	v_ashrrev_i32_e32 v5, 8, v5
	v_add_u32_e32 v4, 0x3c000000, v4
	v_and_or_b32 v4, v5, s0, v4
	v_cmp_ne_u32_e32 vcc, 0, v3
	v_cndmask_b32_e32 v3, 0, v4, vcc
	s_brev_b32 s0, 1
	v_and_or_b32 v2, v2, s0, v3
	v_cvt_i32_f32_e32 v2, v2
.LBB30_437:
	s_mov_b64 s[0:1], 0
.LBB30_438:
	s_andn2_b64 vcc, exec, s[0:1]
	s_cbranch_vccnz .LBB30_440
; %bb.439:
	global_load_ubyte v2, v[0:1], off
	s_movk_i32 s0, 0x7f00
	s_brev_b32 s1, 16
	s_waitcnt vmcnt(0)
	v_lshlrev_b16_e32 v3, 8, v2
	v_lshlrev_b32_e32 v2, 25, v2
	v_lshrrev_b32_e32 v4, 4, v2
	v_and_or_b32 v5, v3, s0, 0.5
	v_or_b32_e32 v4, 0x70000000, v4
	v_add_f32_e32 v5, -0.5, v5
	v_mul_f32_e32 v4, 0x7800000, v4
	v_cmp_gt_u32_e32 vcc, s1, v2
	v_bfe_i32 v3, v3, 0, 16
	v_cndmask_b32_e32 v2, v4, v5, vcc
	s_brev_b32 s0, 1
	v_and_or_b32 v2, v3, s0, v2
	v_cvt_i32_f32_e32 v2, v2
.LBB30_440:
	s_mov_b64 s[26:27], 0
	s_mov_b64 s[0:1], -1
.LBB30_441:
	s_andn2_b64 vcc, exec, s[26:27]
	s_cbranch_vccnz .LBB30_454
; %bb.442:
	s_cmp_gt_i32 s30, 14
	s_cbranch_scc0 .LBB30_445
; %bb.443:
	s_cmp_eq_u32 s30, 15
	s_cbranch_scc0 .LBB30_448
; %bb.444:
	global_load_ushort v2, v[0:1], off
	s_mov_b64 s[0:1], -1
	s_mov_b64 s[24:25], 0
	s_waitcnt vmcnt(0)
	v_lshlrev_b32_e32 v2, 16, v2
	v_cvt_i32_f32_e32 v2, v2
	s_branch .LBB30_449
.LBB30_445:
	s_mov_b64 s[26:27], -1
                                        ; implicit-def: $vgpr2
	s_branch .LBB30_450
.LBB30_446:
	s_andn2_saveexec_b64 s[0:1], s[0:1]
	s_cbranch_execz .LBB30_427
.LBB30_447:
	v_cmp_ne_u16_e32 vcc, 0, v3
	s_andn2_b64 s[26:27], s[26:27], exec
	s_and_b64 s[34:35], vcc, exec
	s_or_b64 s[26:27], s[26:27], s[34:35]
	s_or_b64 exec, exec, s[0:1]
	v_mov_b32_e32 v2, 0
	s_and_saveexec_b64 s[0:1], s[26:27]
	s_cbranch_execnz .LBB30_428
	s_branch .LBB30_429
.LBB30_448:
	s_mov_b64 s[24:25], -1
                                        ; implicit-def: $vgpr2
.LBB30_449:
	s_mov_b64 s[26:27], 0
.LBB30_450:
	s_and_b64 vcc, exec, s[26:27]
	s_cbranch_vccz .LBB30_454
; %bb.451:
	s_cmp_eq_u32 s30, 11
	s_cbranch_scc0 .LBB30_453
; %bb.452:
	global_load_ubyte v2, v[0:1], off
	s_mov_b64 s[0:1], -1
	s_mov_b64 s[24:25], 0
	s_waitcnt vmcnt(0)
	v_cmp_ne_u16_e32 vcc, 0, v2
	v_cndmask_b32_e64 v2, 0, 1, vcc
	s_branch .LBB30_454
.LBB30_453:
	s_mov_b64 s[24:25], -1
                                        ; implicit-def: $vgpr2
.LBB30_454:
	s_branch .LBB30_261
.LBB30_455:
	s_cmp_lt_i32 s30, 5
	s_cbranch_scc1 .LBB30_460
; %bb.456:
	s_cmp_lt_i32 s30, 8
	s_cbranch_scc1 .LBB30_461
; %bb.457:
	;; [unrolled: 3-line block ×3, first 2 shown]
	s_cmp_gt_i32 s30, 9
	s_cbranch_scc0 .LBB30_463
; %bb.459:
	global_load_dwordx2 v[2:3], v[0:1], off
	s_mov_b64 s[0:1], 0
	s_waitcnt vmcnt(0)
	v_cvt_i32_f64_e32 v2, v[2:3]
	s_branch .LBB30_464
.LBB30_460:
	s_mov_b64 s[0:1], -1
                                        ; implicit-def: $vgpr2
	s_branch .LBB30_482
.LBB30_461:
	s_mov_b64 s[0:1], -1
                                        ; implicit-def: $vgpr2
	s_branch .LBB30_470
.LBB30_462:
	s_mov_b64 s[0:1], -1
                                        ; implicit-def: $vgpr2
	s_branch .LBB30_467
.LBB30_463:
	s_mov_b64 s[0:1], -1
                                        ; implicit-def: $vgpr2
.LBB30_464:
	s_andn2_b64 vcc, exec, s[0:1]
	s_cbranch_vccnz .LBB30_466
; %bb.465:
	global_load_dword v2, v[0:1], off
	s_waitcnt vmcnt(0)
	v_cvt_i32_f32_e32 v2, v2
.LBB30_466:
	s_mov_b64 s[0:1], 0
.LBB30_467:
	s_andn2_b64 vcc, exec, s[0:1]
	s_cbranch_vccnz .LBB30_469
; %bb.468:
	global_load_dword v2, v[0:1], off
	s_waitcnt vmcnt(0)
	v_cvt_i16_f16_e32 v2, v2
.LBB30_469:
	s_mov_b64 s[0:1], 0
.LBB30_470:
	s_andn2_b64 vcc, exec, s[0:1]
	s_cbranch_vccnz .LBB30_481
; %bb.471:
	s_cmp_lt_i32 s30, 6
	s_cbranch_scc1 .LBB30_474
; %bb.472:
	s_cmp_gt_i32 s30, 6
	s_cbranch_scc0 .LBB30_475
; %bb.473:
	global_load_dwordx2 v[2:3], v[0:1], off
	s_mov_b64 s[0:1], 0
	s_waitcnt vmcnt(0)
	v_cvt_i32_f64_e32 v2, v[2:3]
	s_branch .LBB30_476
.LBB30_474:
	s_mov_b64 s[0:1], -1
                                        ; implicit-def: $vgpr2
	s_branch .LBB30_479
.LBB30_475:
	s_mov_b64 s[0:1], -1
                                        ; implicit-def: $vgpr2
.LBB30_476:
	s_andn2_b64 vcc, exec, s[0:1]
	s_cbranch_vccnz .LBB30_478
; %bb.477:
	global_load_dword v2, v[0:1], off
	s_waitcnt vmcnt(0)
	v_cvt_i32_f32_e32 v2, v2
.LBB30_478:
	s_mov_b64 s[0:1], 0
.LBB30_479:
	s_andn2_b64 vcc, exec, s[0:1]
	s_cbranch_vccnz .LBB30_481
; %bb.480:
	global_load_ushort v2, v[0:1], off
	s_waitcnt vmcnt(0)
	v_cvt_i16_f16_e32 v2, v2
.LBB30_481:
	s_mov_b64 s[0:1], 0
.LBB30_482:
	s_andn2_b64 vcc, exec, s[0:1]
	s_cbranch_vccnz .LBB30_502
; %bb.483:
	s_cmp_lt_i32 s30, 2
	s_cbranch_scc1 .LBB30_487
; %bb.484:
	s_cmp_lt_i32 s30, 3
	s_cbranch_scc1 .LBB30_488
; %bb.485:
	s_cmp_gt_i32 s30, 3
	s_cbranch_scc0 .LBB30_489
; %bb.486:
	global_load_dwordx2 v[2:3], v[0:1], off
	s_mov_b64 s[0:1], 0
	s_branch .LBB30_490
.LBB30_487:
	s_mov_b64 s[0:1], -1
                                        ; implicit-def: $vgpr2
	s_branch .LBB30_496
.LBB30_488:
	s_mov_b64 s[0:1], -1
                                        ; implicit-def: $vgpr2
	s_branch .LBB30_493
.LBB30_489:
	s_mov_b64 s[0:1], -1
                                        ; implicit-def: $vgpr2
.LBB30_490:
	s_andn2_b64 vcc, exec, s[0:1]
	s_cbranch_vccnz .LBB30_492
; %bb.491:
	global_load_dword v2, v[0:1], off
.LBB30_492:
	s_mov_b64 s[0:1], 0
.LBB30_493:
	s_andn2_b64 vcc, exec, s[0:1]
	s_cbranch_vccnz .LBB30_495
; %bb.494:
	global_load_ushort v2, v[0:1], off
.LBB30_495:
	s_mov_b64 s[0:1], 0
.LBB30_496:
	s_andn2_b64 vcc, exec, s[0:1]
	s_cbranch_vccnz .LBB30_502
; %bb.497:
	s_cmp_gt_i32 s30, 0
	s_cbranch_scc0 .LBB30_499
; %bb.498:
	global_load_ubyte v2, v[0:1], off
	s_mov_b64 s[0:1], 0
	s_branch .LBB30_500
.LBB30_499:
	s_mov_b64 s[0:1], -1
                                        ; implicit-def: $vgpr2
.LBB30_500:
	s_andn2_b64 vcc, exec, s[0:1]
	s_cbranch_vccnz .LBB30_502
; %bb.501:
	global_load_ubyte v2, v[0:1], off
.LBB30_502:
	s_branch .LBB30_262
.LBB30_503:
	s_mov_b64 s[30:31], 0
                                        ; implicit-def: $vgpr9
	s_mov_b64 s[0:1], s[18:19]
.LBB30_504:
	s_andn2_b64 s[26:27], s[18:19], exec
	s_and_b64 s[0:1], s[0:1], exec
	s_or_b64 s[26:27], s[26:27], s[0:1]
	s_andn2_b64 s[0:1], s[20:21], exec
	s_and_b64 s[24:25], s[24:25], exec
	s_or_b64 s[24:25], s[0:1], s[24:25]
	s_orn2_b64 s[0:1], s[30:31], exec
.LBB30_505:
	s_or_b64 exec, exec, s[28:29]
	s_mov_b64 s[30:31], 0
	s_mov_b64 s[34:35], 0
	;; [unrolled: 1-line block ×3, first 2 shown]
                                        ; implicit-def: $vgpr0_vgpr1
                                        ; implicit-def: $vgpr2
	s_and_saveexec_b64 s[28:29], s[0:1]
	s_cbranch_execz .LBB30_842
; %bb.506:
	v_cmp_gt_i32_e32 vcc, s33, v9
	s_mov_b64 s[40:41], -1
	s_mov_b64 s[0:1], s[24:25]
	s_mov_b64 s[36:37], s[26:27]
	s_and_saveexec_b64 s[30:31], vcc
	s_cbranch_execz .LBB30_760
; %bb.507:
	v_mul_lo_u32 v0, v9, s13
	v_mov_b32_e32 v1, s11
	s_and_b32 s38, 0xffff, s15
	s_cmp_lt_i32 s38, 11
	s_waitcnt vmcnt(0)
	v_ashrrev_i32_e32 v2, 31, v0
	v_add_co_u32_e32 v0, vcc, s10, v0
	v_addc_co_u32_e32 v1, vcc, v1, v2, vcc
	s_cbranch_scc1 .LBB30_514
; %bb.508:
	s_cmp_gt_i32 s38, 25
	s_cbranch_scc0 .LBB30_515
; %bb.509:
	s_cmp_gt_i32 s38, 28
	s_cbranch_scc0 .LBB30_516
	;; [unrolled: 3-line block ×4, first 2 shown]
; %bb.512:
	s_cmp_eq_u32 s38, 46
	s_mov_b64 s[36:37], 0
	s_cbranch_scc0 .LBB30_523
; %bb.513:
	global_load_dword v2, v[0:1], off
	s_mov_b64 s[0:1], -1
	s_waitcnt vmcnt(0)
	v_lshlrev_b32_e32 v2, 16, v2
	v_cvt_i32_f32_e32 v2, v2
	s_branch .LBB30_524
.LBB30_514:
	s_mov_b64 s[36:37], -1
	s_mov_b64 s[0:1], 0
                                        ; implicit-def: $vgpr2
	s_mov_b64 s[34:35], s[24:25]
	s_branch .LBB30_585
.LBB30_515:
	s_mov_b64 s[36:37], -1
	s_mov_b64 s[0:1], 0
	s_mov_b64 s[34:35], s[24:25]
                                        ; implicit-def: $vgpr2
	s_branch .LBB30_551
.LBB30_516:
	s_mov_b64 s[36:37], -1
	s_mov_b64 s[0:1], 0
	s_mov_b64 s[34:35], s[24:25]
                                        ; implicit-def: $vgpr2
	s_branch .LBB30_534
.LBB30_517:
	s_mov_b64 s[36:37], -1
	s_mov_b64 s[0:1], 0
	s_mov_b64 s[34:35], s[24:25]
                                        ; implicit-def: $vgpr2
	s_branch .LBB30_529
.LBB30_518:
	s_andn2_saveexec_b64 s[36:37], s[36:37]
	s_cbranch_execz .LBB30_307
.LBB30_519:
	v_add_f32_e32 v2, 0x46000000, v3
	v_and_b32_e32 v2, 0xff, v2
	v_cmp_ne_u32_e32 vcc, 0, v2
	s_andn2_b64 s[34:35], s[34:35], exec
	s_and_b64 s[40:41], vcc, exec
	s_or_b64 s[34:35], s[34:35], s[40:41]
	s_or_b64 exec, exec, s[36:37]
	v_mov_b32_e32 v4, 0
	s_and_saveexec_b64 s[36:37], s[34:35]
	s_cbranch_execnz .LBB30_308
	s_branch .LBB30_309
.LBB30_520:
	s_mov_b64 s[36:37], -1
	s_mov_b64 s[0:1], 0
	s_mov_b64 s[34:35], s[24:25]
                                        ; implicit-def: $vgpr2
	s_branch .LBB30_524
.LBB30_521:
	s_andn2_saveexec_b64 s[36:37], s[36:37]
	s_cbranch_execz .LBB30_320
.LBB30_522:
	v_add_f32_e32 v2, 0x42800000, v3
	v_and_b32_e32 v2, 0xff, v2
	v_cmp_ne_u32_e32 vcc, 0, v2
	s_andn2_b64 s[34:35], s[34:35], exec
	s_and_b64 s[40:41], vcc, exec
	s_or_b64 s[34:35], s[34:35], s[40:41]
	s_or_b64 exec, exec, s[36:37]
	v_mov_b32_e32 v4, 0
	s_and_saveexec_b64 s[36:37], s[34:35]
	s_cbranch_execnz .LBB30_321
	s_branch .LBB30_322
.LBB30_523:
	s_mov_b64 s[34:35], -1
                                        ; implicit-def: $vgpr2
	s_mov_b64 s[0:1], 0
.LBB30_524:
	s_and_b64 vcc, exec, s[36:37]
	s_cbranch_vccz .LBB30_528
; %bb.525:
	s_cmp_eq_u32 s38, 44
	s_cbranch_scc0 .LBB30_527
; %bb.526:
	global_load_ubyte v2, v[0:1], off
	s_mov_b64 s[0:1], -1
	s_mov_b64 s[34:35], 0
	s_waitcnt vmcnt(0)
	v_lshlrev_b32_e32 v3, 23, v2
	v_cvt_i32_f32_e32 v3, v3
	v_cmp_ne_u32_e32 vcc, 0, v2
	v_cndmask_b32_e32 v2, 0, v3, vcc
	s_branch .LBB30_528
.LBB30_527:
	s_mov_b64 s[34:35], -1
                                        ; implicit-def: $vgpr2
.LBB30_528:
	s_mov_b64 s[36:37], 0
.LBB30_529:
	s_and_b64 vcc, exec, s[36:37]
	s_cbranch_vccz .LBB30_533
; %bb.530:
	s_cmp_eq_u32 s38, 29
	s_cbranch_scc0 .LBB30_532
; %bb.531:
	global_load_dwordx2 v[2:3], v[0:1], off
	s_mov_b64 s[0:1], -1
	s_mov_b64 s[34:35], 0
	s_branch .LBB30_533
.LBB30_532:
	s_mov_b64 s[34:35], -1
                                        ; implicit-def: $vgpr2
.LBB30_533:
	s_mov_b64 s[36:37], 0
.LBB30_534:
	s_and_b64 vcc, exec, s[36:37]
	s_cbranch_vccz .LBB30_550
; %bb.535:
	s_cmp_lt_i32 s38, 27
	s_cbranch_scc1 .LBB30_538
; %bb.536:
	s_cmp_gt_i32 s38, 27
	s_cbranch_scc0 .LBB30_539
; %bb.537:
	global_load_dword v2, v[0:1], off
	s_mov_b64 s[0:1], 0
	s_branch .LBB30_540
.LBB30_538:
	s_mov_b64 s[0:1], -1
                                        ; implicit-def: $vgpr2
	s_branch .LBB30_543
.LBB30_539:
	s_mov_b64 s[0:1], -1
                                        ; implicit-def: $vgpr2
.LBB30_540:
	s_andn2_b64 vcc, exec, s[0:1]
	s_cbranch_vccnz .LBB30_542
; %bb.541:
	global_load_ushort v2, v[0:1], off
.LBB30_542:
	s_mov_b64 s[0:1], 0
.LBB30_543:
	s_andn2_b64 vcc, exec, s[0:1]
	s_cbranch_vccnz .LBB30_549
; %bb.544:
	global_load_ubyte v3, v[0:1], off
	s_movk_i32 s0, 0x7f
	s_mov_b64 s[36:37], 0
	s_waitcnt vmcnt(0)
	v_cmp_lt_i16_e32 vcc, s0, v3
	s_and_saveexec_b64 s[0:1], vcc
	s_xor_b64 s[0:1], exec, s[0:1]
	s_cbranch_execz .LBB30_561
; %bb.545:
	s_movk_i32 s36, 0x80
	v_cmp_ne_u16_e32 vcc, s36, v3
	s_and_b64 s[36:37], vcc, exec
	s_andn2_saveexec_b64 s[0:1], s[0:1]
	s_cbranch_execnz .LBB30_562
.LBB30_546:
	s_or_b64 exec, exec, s[0:1]
	v_mov_b32_e32 v2, 0
	s_and_saveexec_b64 s[0:1], s[36:37]
	s_cbranch_execz .LBB30_548
.LBB30_547:
	v_lshlrev_b32_e32 v2, 24, v3
	v_and_b32_e32 v3, 0xffff, v3
	v_and_b32_e32 v4, 7, v3
	v_ffbh_u32_e32 v6, v4
	v_min_u32_e32 v6, 32, v6
	v_subrev_u32_e32 v7, 28, v6
	v_bfe_u32 v5, v3, 3, 4
	v_lshlrev_b32_e32 v3, v7, v3
	v_sub_u32_e32 v6, 29, v6
	v_and_b32_e32 v3, 7, v3
	v_cmp_eq_u32_e32 vcc, 0, v5
	v_cndmask_b32_e32 v5, v5, v6, vcc
	v_cndmask_b32_e32 v3, v4, v3, vcc
	v_mov_b32_e32 v4, 0x3b800000
	v_lshlrev_b32_e32 v3, 20, v3
	v_and_b32_e32 v2, 0x80000000, v2
	v_lshl_add_u32 v4, v5, 23, v4
	v_or3_b32 v2, v2, v4, v3
	v_cvt_i32_f32_e32 v2, v2
.LBB30_548:
	s_or_b64 exec, exec, s[0:1]
.LBB30_549:
	s_mov_b64 s[0:1], -1
.LBB30_550:
	s_mov_b64 s[36:37], 0
.LBB30_551:
	s_and_b64 vcc, exec, s[36:37]
	s_cbranch_vccz .LBB30_584
; %bb.552:
	s_cmp_gt_i32 s38, 22
	s_cbranch_scc0 .LBB30_560
; %bb.553:
	s_cmp_lt_i32 s38, 24
	s_cbranch_scc1 .LBB30_563
; %bb.554:
	s_cmp_gt_i32 s38, 24
	s_cbranch_scc0 .LBB30_564
; %bb.555:
	global_load_ubyte v3, v[0:1], off
	s_movk_i32 s0, 0x7f
	s_mov_b64 s[36:37], 0
	s_waitcnt vmcnt(0)
	v_cmp_lt_i16_e32 vcc, s0, v3
	s_and_saveexec_b64 s[0:1], vcc
	s_xor_b64 s[0:1], exec, s[0:1]
	s_cbranch_execz .LBB30_576
; %bb.556:
	s_movk_i32 s36, 0x80
	v_cmp_ne_u16_e32 vcc, s36, v3
	s_and_b64 s[36:37], vcc, exec
	s_andn2_saveexec_b64 s[0:1], s[0:1]
	s_cbranch_execnz .LBB30_577
.LBB30_557:
	s_or_b64 exec, exec, s[0:1]
	v_mov_b32_e32 v2, 0
	s_and_saveexec_b64 s[0:1], s[36:37]
	s_cbranch_execz .LBB30_559
.LBB30_558:
	v_lshlrev_b32_e32 v2, 24, v3
	v_and_b32_e32 v3, 0xffff, v3
	v_and_b32_e32 v4, 3, v3
	v_ffbh_u32_e32 v6, v4
	v_min_u32_e32 v6, 32, v6
	v_subrev_u32_e32 v7, 29, v6
	v_bfe_u32 v5, v3, 2, 5
	v_lshlrev_b32_e32 v3, v7, v3
	v_sub_u32_e32 v6, 30, v6
	v_and_b32_e32 v3, 3, v3
	v_cmp_eq_u32_e32 vcc, 0, v5
	v_cndmask_b32_e32 v5, v5, v6, vcc
	v_cndmask_b32_e32 v3, v4, v3, vcc
	v_mov_b32_e32 v4, 0x37800000
	v_lshlrev_b32_e32 v3, 21, v3
	v_and_b32_e32 v2, 0x80000000, v2
	v_lshl_add_u32 v4, v5, 23, v4
	v_or3_b32 v2, v2, v4, v3
	v_cvt_i32_f32_e32 v2, v2
.LBB30_559:
	s_or_b64 exec, exec, s[0:1]
	s_mov_b64 s[0:1], 0
	s_branch .LBB30_565
.LBB30_560:
	s_mov_b64 s[36:37], -1
                                        ; implicit-def: $vgpr2
	s_branch .LBB30_571
.LBB30_561:
	s_andn2_saveexec_b64 s[0:1], s[0:1]
	s_cbranch_execz .LBB30_546
.LBB30_562:
	v_cmp_ne_u16_e32 vcc, 0, v3
	s_andn2_b64 s[36:37], s[36:37], exec
	s_and_b64 s[40:41], vcc, exec
	s_or_b64 s[36:37], s[36:37], s[40:41]
	s_or_b64 exec, exec, s[0:1]
	v_mov_b32_e32 v2, 0
	s_and_saveexec_b64 s[0:1], s[36:37]
	s_cbranch_execnz .LBB30_547
	s_branch .LBB30_548
.LBB30_563:
	s_mov_b64 s[0:1], -1
                                        ; implicit-def: $vgpr2
	s_branch .LBB30_568
.LBB30_564:
	s_mov_b64 s[0:1], -1
                                        ; implicit-def: $vgpr2
.LBB30_565:
	s_and_b64 vcc, exec, s[0:1]
	s_cbranch_vccz .LBB30_567
; %bb.566:
	global_load_ubyte v2, v[0:1], off
	s_mov_b32 s0, 0x7f800000
	s_waitcnt vmcnt(0)
	v_lshlrev_b32_e32 v2, 24, v2
	v_and_b32_e32 v3, 0x7f000000, v2
	v_ffbh_u32_e32 v4, v3
	v_min_u32_e32 v4, 32, v4
	v_sub_u32_e64 v4, v4, 4 clamp
	v_lshlrev_b32_e32 v6, v4, v3
	v_lshlrev_b32_e32 v4, 23, v4
	v_lshrrev_b32_e32 v6, 4, v6
	v_add_u32_e32 v5, 0x1000000, v3
	v_sub_u32_e32 v4, v6, v4
	v_ashrrev_i32_e32 v5, 8, v5
	v_add_u32_e32 v4, 0x3c000000, v4
	v_and_or_b32 v4, v5, s0, v4
	v_cmp_ne_u32_e32 vcc, 0, v3
	v_cndmask_b32_e32 v3, 0, v4, vcc
	s_brev_b32 s0, 1
	v_and_or_b32 v2, v2, s0, v3
	v_cvt_i32_f32_e32 v2, v2
.LBB30_567:
	s_mov_b64 s[0:1], 0
.LBB30_568:
	s_andn2_b64 vcc, exec, s[0:1]
	s_cbranch_vccnz .LBB30_570
; %bb.569:
	global_load_ubyte v2, v[0:1], off
	s_movk_i32 s0, 0x7f00
	s_brev_b32 s1, 16
	s_waitcnt vmcnt(0)
	v_lshlrev_b16_e32 v3, 8, v2
	v_lshlrev_b32_e32 v2, 25, v2
	v_lshrrev_b32_e32 v4, 4, v2
	v_and_or_b32 v5, v3, s0, 0.5
	v_or_b32_e32 v4, 0x70000000, v4
	v_add_f32_e32 v5, -0.5, v5
	v_mul_f32_e32 v4, 0x7800000, v4
	v_cmp_gt_u32_e32 vcc, s1, v2
	v_bfe_i32 v3, v3, 0, 16
	v_cndmask_b32_e32 v2, v4, v5, vcc
	s_brev_b32 s0, 1
	v_and_or_b32 v2, v3, s0, v2
	v_cvt_i32_f32_e32 v2, v2
.LBB30_570:
	s_mov_b64 s[36:37], 0
	s_mov_b64 s[0:1], -1
.LBB30_571:
	s_andn2_b64 vcc, exec, s[36:37]
	s_cbranch_vccnz .LBB30_584
; %bb.572:
	s_cmp_gt_i32 s38, 14
	s_cbranch_scc0 .LBB30_575
; %bb.573:
	s_cmp_eq_u32 s38, 15
	s_cbranch_scc0 .LBB30_578
; %bb.574:
	global_load_ushort v2, v[0:1], off
	s_mov_b64 s[0:1], -1
	s_mov_b64 s[34:35], 0
	s_waitcnt vmcnt(0)
	v_lshlrev_b32_e32 v2, 16, v2
	v_cvt_i32_f32_e32 v2, v2
	s_branch .LBB30_579
.LBB30_575:
	s_mov_b64 s[36:37], -1
                                        ; implicit-def: $vgpr2
	s_branch .LBB30_580
.LBB30_576:
	s_andn2_saveexec_b64 s[0:1], s[0:1]
	s_cbranch_execz .LBB30_557
.LBB30_577:
	v_cmp_ne_u16_e32 vcc, 0, v3
	s_andn2_b64 s[36:37], s[36:37], exec
	s_and_b64 s[40:41], vcc, exec
	s_or_b64 s[36:37], s[36:37], s[40:41]
	s_or_b64 exec, exec, s[0:1]
	v_mov_b32_e32 v2, 0
	s_and_saveexec_b64 s[0:1], s[36:37]
	s_cbranch_execnz .LBB30_558
	s_branch .LBB30_559
.LBB30_578:
	s_mov_b64 s[34:35], -1
                                        ; implicit-def: $vgpr2
.LBB30_579:
	s_mov_b64 s[36:37], 0
.LBB30_580:
	s_and_b64 vcc, exec, s[36:37]
	s_cbranch_vccz .LBB30_584
; %bb.581:
	s_cmp_eq_u32 s38, 11
	s_cbranch_scc0 .LBB30_583
; %bb.582:
	global_load_ubyte v2, v[0:1], off
	s_mov_b64 s[0:1], -1
	s_mov_b64 s[34:35], 0
	s_waitcnt vmcnt(0)
	v_cmp_ne_u16_e32 vcc, 0, v2
	v_cndmask_b32_e64 v2, 0, 1, vcc
	s_branch .LBB30_584
.LBB30_583:
	s_mov_b64 s[34:35], -1
                                        ; implicit-def: $vgpr2
.LBB30_584:
	s_mov_b64 s[36:37], 0
.LBB30_585:
	s_and_b64 vcc, exec, s[36:37]
	s_cbranch_vccz .LBB30_634
; %bb.586:
	s_cmp_lt_i32 s38, 5
	s_cbranch_scc1 .LBB30_591
; %bb.587:
	s_cmp_lt_i32 s38, 8
	s_cbranch_scc1 .LBB30_592
	;; [unrolled: 3-line block ×3, first 2 shown]
; %bb.589:
	s_cmp_gt_i32 s38, 9
	s_cbranch_scc0 .LBB30_594
; %bb.590:
	global_load_dwordx2 v[2:3], v[0:1], off
	s_mov_b64 s[0:1], 0
	s_waitcnt vmcnt(0)
	v_cvt_i32_f64_e32 v2, v[2:3]
	s_branch .LBB30_595
.LBB30_591:
	s_mov_b64 s[0:1], -1
                                        ; implicit-def: $vgpr2
	s_branch .LBB30_613
.LBB30_592:
	s_mov_b64 s[0:1], -1
                                        ; implicit-def: $vgpr2
	s_branch .LBB30_601
.LBB30_593:
	s_mov_b64 s[0:1], -1
                                        ; implicit-def: $vgpr2
	s_branch .LBB30_598
.LBB30_594:
	s_mov_b64 s[0:1], -1
                                        ; implicit-def: $vgpr2
.LBB30_595:
	s_andn2_b64 vcc, exec, s[0:1]
	s_cbranch_vccnz .LBB30_597
; %bb.596:
	global_load_dword v2, v[0:1], off
	s_waitcnt vmcnt(0)
	v_cvt_i32_f32_e32 v2, v2
.LBB30_597:
	s_mov_b64 s[0:1], 0
.LBB30_598:
	s_andn2_b64 vcc, exec, s[0:1]
	s_cbranch_vccnz .LBB30_600
; %bb.599:
	global_load_dword v2, v[0:1], off
	s_waitcnt vmcnt(0)
	v_cvt_i16_f16_e32 v2, v2
.LBB30_600:
	s_mov_b64 s[0:1], 0
.LBB30_601:
	s_andn2_b64 vcc, exec, s[0:1]
	s_cbranch_vccnz .LBB30_612
; %bb.602:
	s_cmp_lt_i32 s38, 6
	s_cbranch_scc1 .LBB30_605
; %bb.603:
	s_cmp_gt_i32 s38, 6
	s_cbranch_scc0 .LBB30_606
; %bb.604:
	global_load_dwordx2 v[2:3], v[0:1], off
	s_mov_b64 s[0:1], 0
	s_waitcnt vmcnt(0)
	v_cvt_i32_f64_e32 v2, v[2:3]
	s_branch .LBB30_607
.LBB30_605:
	s_mov_b64 s[0:1], -1
                                        ; implicit-def: $vgpr2
	s_branch .LBB30_610
.LBB30_606:
	s_mov_b64 s[0:1], -1
                                        ; implicit-def: $vgpr2
.LBB30_607:
	s_andn2_b64 vcc, exec, s[0:1]
	s_cbranch_vccnz .LBB30_609
; %bb.608:
	global_load_dword v2, v[0:1], off
	s_waitcnt vmcnt(0)
	v_cvt_i32_f32_e32 v2, v2
.LBB30_609:
	s_mov_b64 s[0:1], 0
.LBB30_610:
	s_andn2_b64 vcc, exec, s[0:1]
	s_cbranch_vccnz .LBB30_612
; %bb.611:
	global_load_ushort v2, v[0:1], off
	s_waitcnt vmcnt(0)
	v_cvt_i16_f16_e32 v2, v2
.LBB30_612:
	s_mov_b64 s[0:1], 0
.LBB30_613:
	s_andn2_b64 vcc, exec, s[0:1]
	s_cbranch_vccnz .LBB30_633
; %bb.614:
	s_cmp_lt_i32 s38, 2
	s_cbranch_scc1 .LBB30_618
; %bb.615:
	s_cmp_lt_i32 s38, 3
	s_cbranch_scc1 .LBB30_619
; %bb.616:
	s_cmp_gt_i32 s38, 3
	s_cbranch_scc0 .LBB30_620
; %bb.617:
	global_load_dwordx2 v[2:3], v[0:1], off
	s_mov_b64 s[0:1], 0
	s_branch .LBB30_621
.LBB30_618:
	s_mov_b64 s[0:1], -1
                                        ; implicit-def: $vgpr2
	s_branch .LBB30_627
.LBB30_619:
	s_mov_b64 s[0:1], -1
                                        ; implicit-def: $vgpr2
	s_branch .LBB30_624
.LBB30_620:
	s_mov_b64 s[0:1], -1
                                        ; implicit-def: $vgpr2
.LBB30_621:
	s_andn2_b64 vcc, exec, s[0:1]
	s_cbranch_vccnz .LBB30_623
; %bb.622:
	global_load_dword v2, v[0:1], off
.LBB30_623:
	s_mov_b64 s[0:1], 0
.LBB30_624:
	s_andn2_b64 vcc, exec, s[0:1]
	s_cbranch_vccnz .LBB30_626
; %bb.625:
	global_load_ushort v2, v[0:1], off
.LBB30_626:
	s_mov_b64 s[0:1], 0
.LBB30_627:
	s_andn2_b64 vcc, exec, s[0:1]
	s_cbranch_vccnz .LBB30_633
; %bb.628:
	s_cmp_gt_i32 s38, 0
	s_cbranch_scc0 .LBB30_630
; %bb.629:
	global_load_ubyte v2, v[0:1], off
	s_mov_b64 s[0:1], 0
	s_branch .LBB30_631
.LBB30_630:
	s_mov_b64 s[0:1], -1
                                        ; implicit-def: $vgpr2
.LBB30_631:
	s_andn2_b64 vcc, exec, s[0:1]
	s_cbranch_vccnz .LBB30_633
; %bb.632:
	global_load_ubyte v2, v[0:1], off
.LBB30_633:
	s_mov_b64 s[0:1], -1
.LBB30_634:
	s_andn2_b64 vcc, exec, s[0:1]
	s_cbranch_vccnz .LBB30_642
; %bb.635:
	v_mul_lo_u32 v0, v9, s12
	s_and_b32 s0, s2, 0xff
	s_waitcnt vmcnt(0)
	v_cmp_ne_u16_sdwa s[0:1], s0, v2 src0_sel:DWORD src1_sel:BYTE_0
	s_xor_b64 s[36:37], s[16:17], s[0:1]
	v_ashrrev_i32_e32 v1, 31, v0
	v_mov_b32_e32 v2, s9
	s_and_b32 s44, s3, 0xff
	v_add_co_u32_e32 v0, vcc, s8, v0
	s_cmp_lt_i32 s44, 11
	v_addc_co_u32_e32 v1, vcc, v2, v1, vcc
	s_cbranch_scc1 .LBB30_643
; %bb.636:
	s_and_b32 s45, 0xffff, s44
	s_cmp_gt_i32 s45, 25
	s_cbranch_scc0 .LBB30_644
; %bb.637:
	s_cmp_gt_i32 s45, 28
	s_cbranch_scc0 .LBB30_645
; %bb.638:
	s_cmp_gt_i32 s45, 43
	s_cbranch_scc0 .LBB30_646
; %bb.639:
	s_cmp_gt_i32 s45, 45
	s_cbranch_scc0 .LBB30_647
; %bb.640:
	s_mov_b64 s[40:41], 0
	s_mov_b64 s[0:1], -1
	s_cmp_eq_u32 s45, 46
	s_mov_b64 s[38:39], 0
	s_cbranch_scc0 .LBB30_648
; %bb.641:
	v_cndmask_b32_e64 v2, 0, 1.0, s[36:37]
	v_bfe_u32 v3, v2, 16, 1
	s_movk_i32 s0, 0x7fff
	v_add3_u32 v2, v2, v3, s0
	v_lshrrev_b32_e32 v2, 16, v2
	global_store_dword v[0:1], v2, off
	s_mov_b64 s[38:39], -1
	s_mov_b64 s[0:1], 0
	s_branch .LBB30_648
.LBB30_642:
	s_mov_b64 s[38:39], 0
                                        ; implicit-def: $vgpr9
	s_mov_b64 s[0:1], s[26:27]
	s_branch .LBB30_759
.LBB30_643:
	s_mov_b64 s[40:41], -1
	s_mov_b64 s[38:39], 0
	s_mov_b64 s[0:1], s[26:27]
	s_branch .LBB30_717
.LBB30_644:
	s_mov_b64 s[40:41], -1
	s_mov_b64 s[38:39], 0
	s_mov_b64 s[0:1], s[26:27]
	s_branch .LBB30_675
.LBB30_645:
	s_mov_b64 s[40:41], -1
	s_mov_b64 s[38:39], 0
	s_mov_b64 s[0:1], s[26:27]
	s_branch .LBB30_658
.LBB30_646:
	s_mov_b64 s[40:41], -1
	s_mov_b64 s[38:39], 0
	s_mov_b64 s[0:1], s[26:27]
	s_branch .LBB30_654
.LBB30_647:
	s_mov_b64 s[40:41], -1
	s_mov_b64 s[38:39], 0
	s_mov_b64 s[0:1], s[26:27]
.LBB30_648:
	s_and_b64 vcc, exec, s[40:41]
	s_cbranch_vccz .LBB30_653
; %bb.649:
	s_cmp_eq_u32 s45, 44
	s_mov_b64 s[0:1], -1
	s_cbranch_scc0 .LBB30_653
; %bb.650:
	v_cndmask_b32_e64 v3, 0, 1.0, s[36:37]
	v_lshrrev_b32_e32 v2, 23, v3
	s_movk_i32 s0, 0xff
	v_cmp_ne_u32_e32 vcc, s0, v2
	v_mov_b32_e32 v4, 0xff
	s_and_saveexec_b64 s[38:39], vcc
; %bb.651:
	s_mov_b32 s0, 0x3fffff
	v_and_b32_e32 v4, 0x400000, v3
	v_and_or_b32 v3, v3, s0, v2
	v_cmp_ne_u32_e32 vcc, 0, v4
	v_cmp_ne_u32_e64 s[0:1], 0, v3
	s_and_b64 s[0:1], vcc, s[0:1]
	v_cndmask_b32_e64 v3, 0, 1, s[0:1]
	v_add_u32_e32 v4, v2, v3
; %bb.652:
	s_or_b64 exec, exec, s[38:39]
	s_mov_b64 s[38:39], -1
	s_mov_b64 s[0:1], 0
	global_store_byte v[0:1], v4, off
.LBB30_653:
	s_mov_b64 s[40:41], 0
.LBB30_654:
	s_and_b64 vcc, exec, s[40:41]
	s_cbranch_vccz .LBB30_657
; %bb.655:
	s_cmp_eq_u32 s45, 29
	s_mov_b64 s[0:1], -1
	s_cbranch_scc0 .LBB30_657
; %bb.656:
	s_mov_b32 s0, 0
	v_cndmask_b32_e64 v2, 0, 1, s[36:37]
	v_mov_b32_e32 v3, s0
	global_store_dwordx2 v[0:1], v[2:3], off
	s_mov_b64 s[38:39], -1
	s_mov_b64 s[0:1], 0
.LBB30_657:
	s_mov_b64 s[40:41], 0
.LBB30_658:
	s_and_b64 vcc, exec, s[40:41]
	s_cbranch_vccz .LBB30_674
; %bb.659:
	s_cmp_lt_i32 s45, 27
	s_mov_b64 s[38:39], -1
	s_cbranch_scc1 .LBB30_665
; %bb.660:
	s_cmp_gt_i32 s45, 27
	s_cbranch_scc0 .LBB30_662
; %bb.661:
	v_cndmask_b32_e64 v2, 0, 1, s[36:37]
	s_mov_b64 s[38:39], 0
	global_store_dword v[0:1], v2, off
.LBB30_662:
	s_andn2_b64 vcc, exec, s[38:39]
	s_cbranch_vccnz .LBB30_664
; %bb.663:
	v_cndmask_b32_e64 v2, 0, 1, s[36:37]
	global_store_short v[0:1], v2, off
.LBB30_664:
	s_mov_b64 s[38:39], 0
.LBB30_665:
	s_andn2_b64 vcc, exec, s[38:39]
	s_cbranch_vccnz .LBB30_673
; %bb.666:
	v_cndmask_b32_e64 v3, 0, 1.0, s[36:37]
	s_mov_b32 s38, 0x43800000
	v_cmp_gt_u32_e32 vcc, s38, v3
	v_mov_b32_e32 v4, 0x80
	s_and_saveexec_b64 s[38:39], vcc
	s_cbranch_execz .LBB30_672
; %bb.667:
	s_mov_b32 s40, 0x3bffffff
	v_cmp_lt_u32_e32 vcc, s40, v3
	s_mov_b64 s[40:41], 0
                                        ; implicit-def: $vgpr2
	s_and_saveexec_b64 s[42:43], vcc
	s_xor_b64 s[42:43], exec, s[42:43]
	s_cbranch_execz .LBB30_773
; %bb.668:
	v_bfe_u32 v2, v3, 20, 1
	s_mov_b32 s46, 0x487ffff
	v_add3_u32 v2, v3, v2, s46
	s_mov_b64 s[40:41], exec
	v_lshrrev_b32_e32 v2, 20, v2
                                        ; implicit-def: $vgpr3
	s_andn2_saveexec_b64 s[42:43], s[42:43]
	s_cbranch_execnz .LBB30_774
.LBB30_669:
	s_or_b64 exec, exec, s[42:43]
	v_mov_b32_e32 v4, 0
	s_and_saveexec_b64 s[42:43], s[40:41]
.LBB30_670:
	v_mov_b32_e32 v4, v2
.LBB30_671:
	s_or_b64 exec, exec, s[42:43]
.LBB30_672:
	s_or_b64 exec, exec, s[38:39]
	global_store_byte v[0:1], v4, off
.LBB30_673:
	s_mov_b64 s[38:39], -1
.LBB30_674:
	s_mov_b64 s[40:41], 0
.LBB30_675:
	s_and_b64 vcc, exec, s[40:41]
	s_cbranch_vccz .LBB30_716
; %bb.676:
	s_cmp_gt_i32 s45, 22
	s_mov_b64 s[40:41], -1
	s_cbranch_scc0 .LBB30_708
; %bb.677:
	s_cmp_lt_i32 s45, 24
	s_mov_b64 s[38:39], -1
	s_cbranch_scc1 .LBB30_697
; %bb.678:
	s_cmp_gt_i32 s45, 24
	s_cbranch_scc0 .LBB30_686
; %bb.679:
	v_cndmask_b32_e64 v3, 0, 1.0, s[36:37]
	s_mov_b32 s38, 0x47800000
	v_cmp_gt_u32_e32 vcc, s38, v3
	v_mov_b32_e32 v4, 0x80
	s_and_saveexec_b64 s[38:39], vcc
	s_cbranch_execz .LBB30_685
; %bb.680:
	s_mov_b32 s40, 0x37ffffff
	v_cmp_lt_u32_e32 vcc, s40, v3
	s_mov_b64 s[40:41], 0
                                        ; implicit-def: $vgpr2
	s_and_saveexec_b64 s[42:43], vcc
	s_xor_b64 s[42:43], exec, s[42:43]
	s_cbranch_execz .LBB30_776
; %bb.681:
	v_bfe_u32 v2, v3, 21, 1
	s_mov_b32 s46, 0x88fffff
	v_add3_u32 v2, v3, v2, s46
	s_mov_b64 s[40:41], exec
	v_lshrrev_b32_e32 v2, 21, v2
                                        ; implicit-def: $vgpr3
	s_andn2_saveexec_b64 s[42:43], s[42:43]
	s_cbranch_execnz .LBB30_777
.LBB30_682:
	s_or_b64 exec, exec, s[42:43]
	v_mov_b32_e32 v4, 0
	s_and_saveexec_b64 s[42:43], s[40:41]
.LBB30_683:
	v_mov_b32_e32 v4, v2
.LBB30_684:
	s_or_b64 exec, exec, s[42:43]
.LBB30_685:
	s_or_b64 exec, exec, s[38:39]
	s_mov_b64 s[38:39], 0
	global_store_byte v[0:1], v4, off
.LBB30_686:
	s_and_b64 vcc, exec, s[38:39]
	s_cbranch_vccz .LBB30_696
; %bb.687:
	v_cndmask_b32_e64 v2, 0, 1.0, s[36:37]
	s_mov_b32 s38, 0x43f00000
	v_cmp_gt_u32_e32 vcc, s38, v2
                                        ; implicit-def: $vgpr3
	s_and_saveexec_b64 s[38:39], vcc
	s_xor_b64 s[38:39], exec, s[38:39]
	s_cbranch_execz .LBB30_693
; %bb.688:
	s_mov_b32 s40, 0x3c7fffff
	v_cmp_lt_u32_e32 vcc, s40, v2
                                        ; implicit-def: $vgpr3
	s_and_saveexec_b64 s[40:41], vcc
	s_xor_b64 s[40:41], exec, s[40:41]
; %bb.689:
	v_bfe_u32 v3, v2, 20, 1
	s_mov_b32 s42, 0x407ffff
	v_add3_u32 v2, v2, v3, s42
	v_lshrrev_b32_e32 v3, 20, v2
	v_and_b32_e32 v2, 0xff00000, v2
	s_mov_b32 s42, 0x7f00000
	v_mov_b32_e32 v4, 0x7e
	v_cmp_ne_u32_e32 vcc, s42, v2
	v_cndmask_b32_e32 v3, v4, v3, vcc
                                        ; implicit-def: $vgpr2
; %bb.690:
	s_andn2_saveexec_b64 s[40:41], s[40:41]
; %bb.691:
	v_add_f32_e32 v3, 0x46800000, v2
; %bb.692:
	s_or_b64 exec, exec, s[40:41]
                                        ; implicit-def: $vgpr2
.LBB30_693:
	s_andn2_saveexec_b64 s[38:39], s[38:39]
; %bb.694:
	s_mov_b32 s40, 0x7f800000
	v_mov_b32_e32 v3, 0x7e
	v_mov_b32_e32 v4, 0x7f
	v_cmp_lt_u32_e32 vcc, s40, v2
	v_cndmask_b32_e32 v3, v3, v4, vcc
; %bb.695:
	s_or_b64 exec, exec, s[38:39]
	global_store_byte v[0:1], v3, off
.LBB30_696:
	s_mov_b64 s[38:39], 0
.LBB30_697:
	s_andn2_b64 vcc, exec, s[38:39]
	s_cbranch_vccnz .LBB30_707
; %bb.698:
	v_cndmask_b32_e64 v2, 0, 1.0, s[36:37]
	s_mov_b32 s38, 0x47800000
	v_cmp_gt_u32_e32 vcc, s38, v2
                                        ; implicit-def: $vgpr3
	s_and_saveexec_b64 s[38:39], vcc
	s_xor_b64 s[38:39], exec, s[38:39]
	s_cbranch_execz .LBB30_704
; %bb.699:
	s_mov_b32 s40, 0x387fffff
	v_cmp_lt_u32_e32 vcc, s40, v2
                                        ; implicit-def: $vgpr3
	s_and_saveexec_b64 s[40:41], vcc
	s_xor_b64 s[40:41], exec, s[40:41]
; %bb.700:
	v_bfe_u32 v3, v2, 21, 1
	s_mov_b32 s42, 0x80fffff
	v_add3_u32 v2, v2, v3, s42
	v_lshrrev_b32_e32 v3, 21, v2
                                        ; implicit-def: $vgpr2
; %bb.701:
	s_andn2_saveexec_b64 s[40:41], s[40:41]
; %bb.702:
	v_add_f32_e32 v3, 0x43000000, v2
; %bb.703:
	s_or_b64 exec, exec, s[40:41]
                                        ; implicit-def: $vgpr2
.LBB30_704:
	s_andn2_saveexec_b64 s[38:39], s[38:39]
; %bb.705:
	s_mov_b32 s40, 0x7f800000
	v_mov_b32_e32 v3, 0x7c
	v_mov_b32_e32 v4, 0x7f
	v_cmp_lt_u32_e32 vcc, s40, v2
	v_cndmask_b32_e32 v3, v3, v4, vcc
; %bb.706:
	s_or_b64 exec, exec, s[38:39]
	global_store_byte v[0:1], v3, off
.LBB30_707:
	s_mov_b64 s[40:41], 0
	s_mov_b64 s[38:39], -1
.LBB30_708:
	s_andn2_b64 vcc, exec, s[40:41]
	s_cbranch_vccnz .LBB30_716
; %bb.709:
	s_cmp_gt_i32 s45, 14
	s_mov_b64 s[40:41], -1
	s_cbranch_scc0 .LBB30_713
; %bb.710:
	s_cmp_eq_u32 s45, 15
	s_mov_b64 s[0:1], -1
	s_cbranch_scc0 .LBB30_712
; %bb.711:
	v_cndmask_b32_e64 v2, 0, 1.0, s[36:37]
	v_bfe_u32 v3, v2, 16, 1
	s_movk_i32 s0, 0x7fff
	v_add3_u32 v2, v2, v3, s0
	global_store_short_d16_hi v[0:1], v2, off
	s_mov_b64 s[38:39], -1
	s_mov_b64 s[0:1], 0
.LBB30_712:
	s_mov_b64 s[40:41], 0
.LBB30_713:
	s_and_b64 vcc, exec, s[40:41]
	s_cbranch_vccz .LBB30_716
; %bb.714:
	s_cmp_eq_u32 s45, 11
	s_mov_b64 s[0:1], -1
	s_cbranch_scc0 .LBB30_716
; %bb.715:
	v_cndmask_b32_e64 v2, 0, 1, s[36:37]
	s_mov_b64 s[38:39], -1
	s_mov_b64 s[0:1], 0
	global_store_byte v[0:1], v2, off
.LBB30_716:
	s_mov_b64 s[40:41], 0
.LBB30_717:
	s_and_b64 vcc, exec, s[40:41]
	s_cbranch_vccz .LBB30_756
; %bb.718:
	s_and_b32 s40, 0xffff, s44
	s_cmp_lt_i32 s40, 5
	s_mov_b64 s[38:39], -1
	s_cbranch_scc1 .LBB30_739
; %bb.719:
	s_cmp_lt_i32 s40, 8
	s_cbranch_scc1 .LBB30_729
; %bb.720:
	s_cmp_lt_i32 s40, 9
	s_cbranch_scc1 .LBB30_726
; %bb.721:
	s_cmp_gt_i32 s40, 9
	s_cbranch_scc0 .LBB30_723
; %bb.722:
	v_cndmask_b32_e64 v2, 0, 1, s[36:37]
	v_cvt_f64_u32_e32 v[2:3], v2
	v_mov_b32_e32 v4, 0
	v_mov_b32_e32 v5, v4
	s_mov_b64 s[38:39], 0
	global_store_dwordx4 v[0:1], v[2:5], off
.LBB30_723:
	s_andn2_b64 vcc, exec, s[38:39]
	s_cbranch_vccnz .LBB30_725
; %bb.724:
	v_cndmask_b32_e64 v2, 0, 1.0, s[36:37]
	v_mov_b32_e32 v3, 0
	global_store_dwordx2 v[0:1], v[2:3], off
.LBB30_725:
	s_mov_b64 s[38:39], 0
.LBB30_726:
	s_andn2_b64 vcc, exec, s[38:39]
	s_cbranch_vccnz .LBB30_728
; %bb.727:
	v_cndmask_b32_e64 v2, 0, 1.0, s[36:37]
	v_cvt_f16_f32_e32 v2, v2
	global_store_dword v[0:1], v2, off
.LBB30_728:
	s_mov_b64 s[38:39], 0
.LBB30_729:
	s_andn2_b64 vcc, exec, s[38:39]
	s_cbranch_vccnz .LBB30_738
; %bb.730:
	s_cmp_lt_i32 s40, 6
	s_mov_b64 s[38:39], -1
	s_cbranch_scc1 .LBB30_736
; %bb.731:
	s_cmp_gt_i32 s40, 6
	s_cbranch_scc0 .LBB30_733
; %bb.732:
	v_cndmask_b32_e64 v2, 0, 1, s[36:37]
	v_cvt_f64_u32_e32 v[2:3], v2
	s_mov_b64 s[38:39], 0
	global_store_dwordx2 v[0:1], v[2:3], off
.LBB30_733:
	s_andn2_b64 vcc, exec, s[38:39]
	s_cbranch_vccnz .LBB30_735
; %bb.734:
	v_cndmask_b32_e64 v2, 0, 1.0, s[36:37]
	global_store_dword v[0:1], v2, off
.LBB30_735:
	s_mov_b64 s[38:39], 0
.LBB30_736:
	s_andn2_b64 vcc, exec, s[38:39]
	s_cbranch_vccnz .LBB30_738
; %bb.737:
	v_cndmask_b32_e64 v2, 0, 1.0, s[36:37]
	v_cvt_f16_f32_e32 v2, v2
	global_store_short v[0:1], v2, off
.LBB30_738:
	s_mov_b64 s[38:39], 0
.LBB30_739:
	s_andn2_b64 vcc, exec, s[38:39]
	s_cbranch_vccnz .LBB30_755
; %bb.740:
	s_cmp_lt_i32 s40, 2
	s_mov_b64 s[38:39], -1
	s_cbranch_scc1 .LBB30_750
; %bb.741:
	s_cmp_lt_i32 s40, 3
	s_cbranch_scc1 .LBB30_747
; %bb.742:
	s_cmp_gt_i32 s40, 3
	s_cbranch_scc0 .LBB30_744
; %bb.743:
	s_mov_b32 s38, 0
	v_cndmask_b32_e64 v2, 0, 1, s[36:37]
	v_mov_b32_e32 v3, s38
	s_mov_b64 s[38:39], 0
	global_store_dwordx2 v[0:1], v[2:3], off
.LBB30_744:
	s_andn2_b64 vcc, exec, s[38:39]
	s_cbranch_vccnz .LBB30_746
; %bb.745:
	v_cndmask_b32_e64 v2, 0, 1, s[36:37]
	global_store_dword v[0:1], v2, off
.LBB30_746:
	s_mov_b64 s[38:39], 0
.LBB30_747:
	s_andn2_b64 vcc, exec, s[38:39]
	s_cbranch_vccnz .LBB30_749
; %bb.748:
	v_cndmask_b32_e64 v2, 0, 1, s[36:37]
	global_store_short v[0:1], v2, off
.LBB30_749:
	s_mov_b64 s[38:39], 0
.LBB30_750:
	s_andn2_b64 vcc, exec, s[38:39]
	s_cbranch_vccnz .LBB30_755
; %bb.751:
	s_mov_b64 s[38:39], -1
	s_cmp_gt_i32 s40, 0
	v_cndmask_b32_e64 v2, 0, 1, s[36:37]
	s_cbranch_scc0 .LBB30_753
; %bb.752:
	s_mov_b64 s[38:39], 0
	global_store_byte v[0:1], v2, off
.LBB30_753:
	s_andn2_b64 vcc, exec, s[38:39]
	s_cbranch_vccnz .LBB30_755
; %bb.754:
	global_store_byte v[0:1], v2, off
.LBB30_755:
	s_mov_b64 s[38:39], -1
.LBB30_756:
	s_andn2_b64 vcc, exec, s[38:39]
	s_cbranch_vccnz .LBB30_758
; %bb.757:
	v_add_u32_e32 v9, 0x80, v9
	s_mov_b64 s[38:39], -1
	s_branch .LBB30_759
.LBB30_758:
	s_mov_b64 s[38:39], 0
                                        ; implicit-def: $vgpr9
.LBB30_759:
	s_andn2_b64 s[36:37], s[26:27], exec
	s_and_b64 s[0:1], s[0:1], exec
	s_or_b64 s[36:37], s[36:37], s[0:1]
	s_andn2_b64 s[0:1], s[24:25], exec
	s_and_b64 s[34:35], s[34:35], exec
	s_or_b64 s[0:1], s[0:1], s[34:35]
	s_orn2_b64 s[40:41], s[38:39], exec
.LBB30_760:
	s_or_b64 exec, exec, s[30:31]
	s_mov_b64 s[38:39], 0
	s_mov_b64 s[34:35], 0
	;; [unrolled: 1-line block ×3, first 2 shown]
                                        ; implicit-def: $vgpr0_vgpr1
                                        ; implicit-def: $vgpr2
	s_and_saveexec_b64 s[30:31], s[40:41]
	s_cbranch_execz .LBB30_841
; %bb.761:
	v_cmp_gt_i32_e32 vcc, s33, v9
	s_mov_b64 s[40:41], 0
	s_mov_b64 s[44:45], s[0:1]
	;; [unrolled: 1-line block ×3, first 2 shown]
                                        ; implicit-def: $vgpr0_vgpr1
                                        ; implicit-def: $vgpr2
	s_and_saveexec_b64 s[34:35], vcc
	s_cbranch_execz .LBB30_840
; %bb.762:
	v_mul_lo_u32 v0, v9, s13
	v_mov_b32_e32 v1, s11
	s_and_b32 s33, 0xffff, s15
	s_cmp_lt_i32 s33, 11
	s_waitcnt vmcnt(0)
	v_ashrrev_i32_e32 v2, 31, v0
	v_add_co_u32_e32 v0, vcc, s10, v0
	v_addc_co_u32_e32 v1, vcc, v1, v2, vcc
	s_cbranch_scc1 .LBB30_769
; %bb.763:
	s_cmp_gt_i32 s33, 25
	s_cbranch_scc0 .LBB30_770
; %bb.764:
	s_cmp_gt_i32 s33, 28
	s_cbranch_scc0 .LBB30_771
; %bb.765:
	s_cmp_gt_i32 s33, 43
	s_cbranch_scc0 .LBB30_772
; %bb.766:
	s_cmp_gt_i32 s33, 45
	s_cbranch_scc0 .LBB30_775
; %bb.767:
	s_cmp_eq_u32 s33, 46
	s_mov_b64 s[44:45], 0
	s_cbranch_scc0 .LBB30_778
; %bb.768:
	global_load_dword v2, v[0:1], off
	s_mov_b64 s[42:43], -1
	s_waitcnt vmcnt(0)
	v_lshlrev_b32_e32 v2, 16, v2
	v_cvt_i32_f32_e32 v2, v2
	s_branch .LBB30_780
.LBB30_769:
	s_mov_b64 s[44:45], -1
                                        ; implicit-def: $vgpr2
	s_mov_b64 s[38:39], s[0:1]
	s_branch .LBB30_839
.LBB30_770:
	s_mov_b64 s[44:45], -1
	s_mov_b64 s[38:39], s[0:1]
                                        ; implicit-def: $vgpr2
	s_branch .LBB30_807
.LBB30_771:
	s_mov_b64 s[44:45], -1
	s_mov_b64 s[38:39], s[0:1]
                                        ; implicit-def: $vgpr2
	s_branch .LBB30_790
.LBB30_772:
	s_mov_b64 s[44:45], -1
	s_mov_b64 s[38:39], s[0:1]
                                        ; implicit-def: $vgpr2
	s_branch .LBB30_785
.LBB30_773:
	s_andn2_saveexec_b64 s[42:43], s[42:43]
	s_cbranch_execz .LBB30_669
.LBB30_774:
	v_add_f32_e32 v2, 0x46000000, v3
	v_and_b32_e32 v2, 0xff, v2
	v_cmp_ne_u32_e32 vcc, 0, v2
	s_andn2_b64 s[40:41], s[40:41], exec
	s_and_b64 s[46:47], vcc, exec
	s_or_b64 s[40:41], s[40:41], s[46:47]
	s_or_b64 exec, exec, s[42:43]
	v_mov_b32_e32 v4, 0
	s_and_saveexec_b64 s[42:43], s[40:41]
	s_cbranch_execnz .LBB30_670
	s_branch .LBB30_671
.LBB30_775:
	s_mov_b64 s[44:45], -1
	s_mov_b64 s[38:39], s[0:1]
	s_branch .LBB30_779
.LBB30_776:
	s_andn2_saveexec_b64 s[42:43], s[42:43]
	s_cbranch_execz .LBB30_682
.LBB30_777:
	v_add_f32_e32 v2, 0x42800000, v3
	v_and_b32_e32 v2, 0xff, v2
	v_cmp_ne_u32_e32 vcc, 0, v2
	s_andn2_b64 s[40:41], s[40:41], exec
	s_and_b64 s[46:47], vcc, exec
	s_or_b64 s[40:41], s[40:41], s[46:47]
	s_or_b64 exec, exec, s[42:43]
	v_mov_b32_e32 v4, 0
	s_and_saveexec_b64 s[42:43], s[40:41]
	s_cbranch_execnz .LBB30_683
	s_branch .LBB30_684
.LBB30_778:
	s_mov_b64 s[38:39], -1
.LBB30_779:
                                        ; implicit-def: $vgpr2
.LBB30_780:
	s_and_b64 vcc, exec, s[44:45]
	s_cbranch_vccz .LBB30_784
; %bb.781:
	s_cmp_eq_u32 s33, 44
	s_cbranch_scc0 .LBB30_783
; %bb.782:
	global_load_ubyte v2, v[0:1], off
	s_mov_b64 s[38:39], 0
	s_mov_b64 s[42:43], -1
	s_waitcnt vmcnt(0)
	v_lshlrev_b32_e32 v3, 23, v2
	v_cvt_i32_f32_e32 v3, v3
	v_cmp_ne_u32_e32 vcc, 0, v2
	v_cndmask_b32_e32 v2, 0, v3, vcc
	s_branch .LBB30_784
.LBB30_783:
	s_mov_b64 s[38:39], -1
                                        ; implicit-def: $vgpr2
.LBB30_784:
	s_mov_b64 s[44:45], 0
.LBB30_785:
	s_and_b64 vcc, exec, s[44:45]
	s_cbranch_vccz .LBB30_789
; %bb.786:
	s_cmp_eq_u32 s33, 29
	s_cbranch_scc0 .LBB30_788
; %bb.787:
	global_load_dwordx2 v[2:3], v[0:1], off
	s_mov_b64 s[38:39], 0
	s_mov_b64 s[42:43], -1
	s_branch .LBB30_789
.LBB30_788:
	s_mov_b64 s[38:39], -1
                                        ; implicit-def: $vgpr2
.LBB30_789:
	s_mov_b64 s[44:45], 0
.LBB30_790:
	s_and_b64 vcc, exec, s[44:45]
	s_cbranch_vccz .LBB30_806
; %bb.791:
	s_cmp_lt_i32 s33, 27
	s_cbranch_scc1 .LBB30_794
; %bb.792:
	s_cmp_gt_i32 s33, 27
	s_cbranch_scc0 .LBB30_795
; %bb.793:
	global_load_dword v2, v[0:1], off
	s_mov_b64 s[42:43], 0
	s_branch .LBB30_796
.LBB30_794:
	s_mov_b64 s[42:43], -1
                                        ; implicit-def: $vgpr2
	s_branch .LBB30_799
.LBB30_795:
	s_mov_b64 s[42:43], -1
                                        ; implicit-def: $vgpr2
.LBB30_796:
	s_andn2_b64 vcc, exec, s[42:43]
	s_cbranch_vccnz .LBB30_798
; %bb.797:
	global_load_ushort v2, v[0:1], off
.LBB30_798:
	s_mov_b64 s[42:43], 0
.LBB30_799:
	s_andn2_b64 vcc, exec, s[42:43]
	s_cbranch_vccnz .LBB30_805
; %bb.800:
	global_load_ubyte v3, v[0:1], off
	s_movk_i32 s42, 0x7f
	s_mov_b64 s[44:45], 0
	s_waitcnt vmcnt(0)
	v_cmp_lt_i16_e32 vcc, s42, v3
	s_and_saveexec_b64 s[42:43], vcc
	s_xor_b64 s[42:43], exec, s[42:43]
	s_cbranch_execz .LBB30_817
; %bb.801:
	s_movk_i32 s44, 0x80
	v_cmp_ne_u16_e32 vcc, s44, v3
	s_and_b64 s[44:45], vcc, exec
	s_andn2_saveexec_b64 s[42:43], s[42:43]
	s_cbranch_execnz .LBB30_818
.LBB30_802:
	s_or_b64 exec, exec, s[42:43]
	v_mov_b32_e32 v2, 0
	s_and_saveexec_b64 s[42:43], s[44:45]
	s_cbranch_execz .LBB30_804
.LBB30_803:
	v_lshlrev_b32_e32 v2, 24, v3
	v_and_b32_e32 v3, 0xffff, v3
	v_and_b32_e32 v4, 7, v3
	v_ffbh_u32_e32 v6, v4
	v_min_u32_e32 v6, 32, v6
	v_subrev_u32_e32 v7, 28, v6
	v_bfe_u32 v5, v3, 3, 4
	v_lshlrev_b32_e32 v3, v7, v3
	v_sub_u32_e32 v6, 29, v6
	v_and_b32_e32 v3, 7, v3
	v_cmp_eq_u32_e32 vcc, 0, v5
	v_cndmask_b32_e32 v5, v5, v6, vcc
	v_cndmask_b32_e32 v3, v4, v3, vcc
	v_mov_b32_e32 v4, 0x3b800000
	v_lshlrev_b32_e32 v3, 20, v3
	v_and_b32_e32 v2, 0x80000000, v2
	v_lshl_add_u32 v4, v5, 23, v4
	v_or3_b32 v2, v2, v4, v3
	v_cvt_i32_f32_e32 v2, v2
.LBB30_804:
	s_or_b64 exec, exec, s[42:43]
.LBB30_805:
	s_mov_b64 s[42:43], -1
.LBB30_806:
	s_mov_b64 s[44:45], 0
.LBB30_807:
	s_and_b64 vcc, exec, s[44:45]
	s_cbranch_vccz .LBB30_838
; %bb.808:
	s_cmp_gt_i32 s33, 22
	s_cbranch_scc0 .LBB30_816
; %bb.809:
	s_cmp_lt_i32 s33, 24
	s_cbranch_scc1 .LBB30_819
; %bb.810:
	s_cmp_gt_i32 s33, 24
	s_cbranch_scc0 .LBB30_820
; %bb.811:
	global_load_ubyte v3, v[0:1], off
	s_movk_i32 s40, 0x7f
	s_mov_b64 s[42:43], 0
	s_waitcnt vmcnt(0)
	v_cmp_lt_i16_e32 vcc, s40, v3
	s_and_saveexec_b64 s[40:41], vcc
	s_xor_b64 s[40:41], exec, s[40:41]
	s_cbranch_execz .LBB30_832
; %bb.812:
	s_movk_i32 s42, 0x80
	v_cmp_ne_u16_e32 vcc, s42, v3
	s_and_b64 s[42:43], vcc, exec
	s_andn2_saveexec_b64 s[40:41], s[40:41]
	s_cbranch_execnz .LBB30_833
.LBB30_813:
	s_or_b64 exec, exec, s[40:41]
	v_mov_b32_e32 v2, 0
	s_and_saveexec_b64 s[40:41], s[42:43]
	s_cbranch_execz .LBB30_815
.LBB30_814:
	v_lshlrev_b32_e32 v2, 24, v3
	v_and_b32_e32 v3, 0xffff, v3
	v_and_b32_e32 v4, 3, v3
	v_ffbh_u32_e32 v6, v4
	v_min_u32_e32 v6, 32, v6
	v_subrev_u32_e32 v7, 29, v6
	v_bfe_u32 v5, v3, 2, 5
	v_lshlrev_b32_e32 v3, v7, v3
	v_sub_u32_e32 v6, 30, v6
	v_and_b32_e32 v3, 3, v3
	v_cmp_eq_u32_e32 vcc, 0, v5
	v_cndmask_b32_e32 v5, v5, v6, vcc
	v_cndmask_b32_e32 v3, v4, v3, vcc
	v_mov_b32_e32 v4, 0x37800000
	v_lshlrev_b32_e32 v3, 21, v3
	v_and_b32_e32 v2, 0x80000000, v2
	v_lshl_add_u32 v4, v5, 23, v4
	v_or3_b32 v2, v2, v4, v3
	v_cvt_i32_f32_e32 v2, v2
.LBB30_815:
	s_or_b64 exec, exec, s[40:41]
	s_mov_b64 s[40:41], 0
	s_branch .LBB30_821
.LBB30_816:
	s_mov_b64 s[40:41], -1
                                        ; implicit-def: $vgpr2
	s_branch .LBB30_827
.LBB30_817:
	s_andn2_saveexec_b64 s[42:43], s[42:43]
	s_cbranch_execz .LBB30_802
.LBB30_818:
	v_cmp_ne_u16_e32 vcc, 0, v3
	s_andn2_b64 s[44:45], s[44:45], exec
	s_and_b64 s[46:47], vcc, exec
	s_or_b64 s[44:45], s[44:45], s[46:47]
	s_or_b64 exec, exec, s[42:43]
	v_mov_b32_e32 v2, 0
	s_and_saveexec_b64 s[42:43], s[44:45]
	s_cbranch_execnz .LBB30_803
	s_branch .LBB30_804
.LBB30_819:
	s_mov_b64 s[40:41], -1
                                        ; implicit-def: $vgpr2
	s_branch .LBB30_824
.LBB30_820:
	s_mov_b64 s[40:41], -1
                                        ; implicit-def: $vgpr2
.LBB30_821:
	s_and_b64 vcc, exec, s[40:41]
	s_cbranch_vccz .LBB30_823
; %bb.822:
	global_load_ubyte v2, v[0:1], off
	s_mov_b32 s40, 0x7f800000
	s_waitcnt vmcnt(0)
	v_lshlrev_b32_e32 v2, 24, v2
	v_and_b32_e32 v3, 0x7f000000, v2
	v_ffbh_u32_e32 v4, v3
	v_min_u32_e32 v4, 32, v4
	v_sub_u32_e64 v4, v4, 4 clamp
	v_lshlrev_b32_e32 v6, v4, v3
	v_lshlrev_b32_e32 v4, 23, v4
	v_lshrrev_b32_e32 v6, 4, v6
	v_add_u32_e32 v5, 0x1000000, v3
	v_sub_u32_e32 v4, v6, v4
	v_ashrrev_i32_e32 v5, 8, v5
	v_add_u32_e32 v4, 0x3c000000, v4
	v_and_or_b32 v4, v5, s40, v4
	v_cmp_ne_u32_e32 vcc, 0, v3
	v_cndmask_b32_e32 v3, 0, v4, vcc
	s_brev_b32 s40, 1
	v_and_or_b32 v2, v2, s40, v3
	v_cvt_i32_f32_e32 v2, v2
.LBB30_823:
	s_mov_b64 s[40:41], 0
.LBB30_824:
	s_andn2_b64 vcc, exec, s[40:41]
	s_cbranch_vccnz .LBB30_826
; %bb.825:
	global_load_ubyte v2, v[0:1], off
	s_movk_i32 s40, 0x7f00
	s_brev_b32 s41, 16
	s_waitcnt vmcnt(0)
	v_lshlrev_b16_e32 v3, 8, v2
	v_lshlrev_b32_e32 v2, 25, v2
	v_lshrrev_b32_e32 v4, 4, v2
	v_and_or_b32 v5, v3, s40, 0.5
	v_or_b32_e32 v4, 0x70000000, v4
	v_add_f32_e32 v5, -0.5, v5
	v_mul_f32_e32 v4, 0x7800000, v4
	v_cmp_gt_u32_e32 vcc, s41, v2
	v_bfe_i32 v3, v3, 0, 16
	v_cndmask_b32_e32 v2, v4, v5, vcc
	s_brev_b32 s40, 1
	v_and_or_b32 v2, v3, s40, v2
	v_cvt_i32_f32_e32 v2, v2
.LBB30_826:
	s_mov_b64 s[40:41], 0
	s_mov_b64 s[42:43], -1
.LBB30_827:
	s_andn2_b64 vcc, exec, s[40:41]
	s_mov_b64 s[40:41], 0
	s_cbranch_vccnz .LBB30_838
; %bb.828:
	s_cmp_gt_i32 s33, 14
	s_cbranch_scc0 .LBB30_831
; %bb.829:
	s_cmp_eq_u32 s33, 15
	s_cbranch_scc0 .LBB30_834
; %bb.830:
	global_load_ushort v2, v[0:1], off
	s_mov_b64 s[38:39], 0
	s_mov_b64 s[42:43], -1
	s_waitcnt vmcnt(0)
	v_lshlrev_b32_e32 v2, 16, v2
	v_cvt_i32_f32_e32 v2, v2
	s_branch .LBB30_835
.LBB30_831:
	s_mov_b64 s[44:45], -1
                                        ; implicit-def: $vgpr2
	s_branch .LBB30_836
.LBB30_832:
	s_andn2_saveexec_b64 s[40:41], s[40:41]
	s_cbranch_execz .LBB30_813
.LBB30_833:
	v_cmp_ne_u16_e32 vcc, 0, v3
	s_andn2_b64 s[42:43], s[42:43], exec
	s_and_b64 s[44:45], vcc, exec
	s_or_b64 s[42:43], s[42:43], s[44:45]
	s_or_b64 exec, exec, s[40:41]
	v_mov_b32_e32 v2, 0
	s_and_saveexec_b64 s[40:41], s[42:43]
	s_cbranch_execnz .LBB30_814
	s_branch .LBB30_815
.LBB30_834:
	s_mov_b64 s[38:39], -1
                                        ; implicit-def: $vgpr2
.LBB30_835:
	s_mov_b64 s[44:45], 0
.LBB30_836:
	s_and_b64 vcc, exec, s[44:45]
	s_cbranch_vccz .LBB30_838
; %bb.837:
	s_cmp_lg_u32 s33, 11
	s_cselect_b64 s[44:45], -1, 0
	s_andn2_b64 s[38:39], s[38:39], exec
	s_and_b64 s[44:45], s[44:45], exec
	s_mov_b64 s[40:41], -1
	s_or_b64 s[38:39], s[38:39], s[44:45]
.LBB30_838:
	s_mov_b64 s[44:45], 0
.LBB30_839:
	s_and_b64 s[46:47], s[44:45], exec
	s_andn2_b64 s[44:45], s[0:1], exec
	s_and_b64 s[38:39], s[38:39], exec
	s_and_b64 s[42:43], s[42:43], exec
	;; [unrolled: 1-line block ×3, first 2 shown]
	s_or_b64 s[44:45], s[44:45], s[38:39]
.LBB30_840:
	s_or_b64 exec, exec, s[34:35]
	s_and_b64 s[38:39], s[40:41], exec
	s_andn2_b64 s[0:1], s[0:1], exec
	s_and_b64 s[40:41], s[44:45], exec
	s_and_b64 s[42:43], s[42:43], exec
	;; [unrolled: 1-line block ×3, first 2 shown]
	s_or_b64 s[0:1], s[0:1], s[40:41]
.LBB30_841:
	s_or_b64 exec, exec, s[30:31]
	s_andn2_b64 s[26:27], s[26:27], exec
	s_and_b64 s[30:31], s[36:37], exec
	s_andn2_b64 s[24:25], s[24:25], exec
	s_and_b64 s[0:1], s[0:1], exec
	s_or_b64 s[26:27], s[26:27], s[30:31]
	s_and_b64 s[36:37], s[42:43], exec
	s_and_b64 s[34:35], s[34:35], exec
	;; [unrolled: 1-line block ×3, first 2 shown]
	s_or_b64 s[24:25], s[24:25], s[0:1]
.LBB30_842:
	s_or_b64 exec, exec, s[28:29]
	s_andn2_b64 s[0:1], s[18:19], exec
	s_and_b64 s[18:19], s[26:27], exec
	s_andn2_b64 s[20:21], s[20:21], exec
	s_and_b64 s[24:25], s[24:25], exec
	s_or_b64 s[18:19], s[0:1], s[18:19]
	s_and_b64 s[0:1], s[36:37], exec
	s_and_b64 s[28:29], s[34:35], exec
	s_and_b64 s[26:27], s[30:31], exec
	s_or_b64 s[20:21], s[20:21], s[24:25]
	s_or_b64 exec, exec, s[22:23]
	s_mov_b64 s[22:23], 0
	s_and_saveexec_b64 s[24:25], s[20:21]
	s_cbranch_execz .LBB30_258
.LBB30_843:
	s_mov_b64 s[22:23], exec
	s_andn2_b64 s[26:27], s[26:27], exec
	s_trap 2
	s_or_b64 exec, exec, s[24:25]
	s_and_saveexec_b64 s[20:21], s[26:27]
	s_xor_b64 s[20:21], exec, s[20:21]
	s_cbranch_execnz .LBB30_259
.LBB30_844:
	s_or_b64 exec, exec, s[20:21]
	s_and_saveexec_b64 s[20:21], s[28:29]
	s_cbranch_execz .LBB30_890
.LBB30_845:
	s_sext_i32_i16 s24, s15
	s_cmp_lt_i32 s24, 5
	s_cbranch_scc1 .LBB30_850
; %bb.846:
	s_cmp_lt_i32 s24, 8
	s_cbranch_scc1 .LBB30_851
; %bb.847:
	;; [unrolled: 3-line block ×3, first 2 shown]
	s_cmp_gt_i32 s24, 9
	s_cbranch_scc0 .LBB30_853
; %bb.849:
	global_load_dwordx2 v[2:3], v[0:1], off
	s_mov_b64 s[24:25], 0
	s_waitcnt vmcnt(0)
	v_cvt_i32_f64_e32 v2, v[2:3]
	s_branch .LBB30_854
.LBB30_850:
                                        ; implicit-def: $vgpr2
	s_branch .LBB30_871
.LBB30_851:
                                        ; implicit-def: $vgpr2
	s_branch .LBB30_860
.LBB30_852:
	s_mov_b64 s[24:25], -1
                                        ; implicit-def: $vgpr2
	s_branch .LBB30_857
.LBB30_853:
	s_mov_b64 s[24:25], -1
                                        ; implicit-def: $vgpr2
.LBB30_854:
	s_andn2_b64 vcc, exec, s[24:25]
	s_cbranch_vccnz .LBB30_856
; %bb.855:
	global_load_dword v2, v[0:1], off
	s_waitcnt vmcnt(0)
	v_cvt_i32_f32_e32 v2, v2
.LBB30_856:
	s_mov_b64 s[24:25], 0
.LBB30_857:
	s_andn2_b64 vcc, exec, s[24:25]
	s_cbranch_vccnz .LBB30_859
; %bb.858:
	global_load_dword v2, v[0:1], off
	s_waitcnt vmcnt(0)
	v_cvt_i16_f16_e32 v2, v2
.LBB30_859:
	s_cbranch_execnz .LBB30_870
.LBB30_860:
	s_sext_i32_i16 s24, s15
	s_cmp_lt_i32 s24, 6
	s_cbranch_scc1 .LBB30_863
; %bb.861:
	s_cmp_gt_i32 s24, 6
	s_cbranch_scc0 .LBB30_864
; %bb.862:
	global_load_dwordx2 v[2:3], v[0:1], off
	s_mov_b64 s[24:25], 0
	s_waitcnt vmcnt(0)
	v_cvt_i32_f64_e32 v2, v[2:3]
	s_branch .LBB30_865
.LBB30_863:
	s_mov_b64 s[24:25], -1
                                        ; implicit-def: $vgpr2
	s_branch .LBB30_868
.LBB30_864:
	s_mov_b64 s[24:25], -1
                                        ; implicit-def: $vgpr2
.LBB30_865:
	s_andn2_b64 vcc, exec, s[24:25]
	s_cbranch_vccnz .LBB30_867
; %bb.866:
	global_load_dword v2, v[0:1], off
	s_waitcnt vmcnt(0)
	v_cvt_i32_f32_e32 v2, v2
.LBB30_867:
	s_mov_b64 s[24:25], 0
.LBB30_868:
	s_andn2_b64 vcc, exec, s[24:25]
	s_cbranch_vccnz .LBB30_870
; %bb.869:
	global_load_ushort v2, v[0:1], off
	s_waitcnt vmcnt(0)
	v_cvt_i16_f16_e32 v2, v2
.LBB30_870:
	s_cbranch_execnz .LBB30_889
.LBB30_871:
	s_sext_i32_i16 s24, s15
	s_cmp_lt_i32 s24, 2
	s_cbranch_scc1 .LBB30_875
; %bb.872:
	s_cmp_lt_i32 s24, 3
	s_cbranch_scc1 .LBB30_876
; %bb.873:
	s_cmp_gt_i32 s24, 3
	s_cbranch_scc0 .LBB30_877
; %bb.874:
	global_load_dwordx2 v[2:3], v[0:1], off
	s_mov_b64 s[24:25], 0
	s_branch .LBB30_878
.LBB30_875:
                                        ; implicit-def: $vgpr2
	s_branch .LBB30_884
.LBB30_876:
	s_mov_b64 s[24:25], -1
                                        ; implicit-def: $vgpr2
	s_branch .LBB30_881
.LBB30_877:
	s_mov_b64 s[24:25], -1
                                        ; implicit-def: $vgpr2
.LBB30_878:
	s_andn2_b64 vcc, exec, s[24:25]
	s_cbranch_vccnz .LBB30_880
; %bb.879:
	global_load_dword v2, v[0:1], off
.LBB30_880:
	s_mov_b64 s[24:25], 0
.LBB30_881:
	s_andn2_b64 vcc, exec, s[24:25]
	s_cbranch_vccnz .LBB30_883
; %bb.882:
	global_load_ushort v2, v[0:1], off
.LBB30_883:
	s_cbranch_execnz .LBB30_889
.LBB30_884:
	s_sext_i32_i16 s24, s15
	s_cmp_gt_i32 s24, 0
	s_cbranch_scc0 .LBB30_886
; %bb.885:
	global_load_ubyte v2, v[0:1], off
	s_mov_b64 s[24:25], 0
	s_branch .LBB30_887
.LBB30_886:
	s_mov_b64 s[24:25], -1
                                        ; implicit-def: $vgpr2
.LBB30_887:
	s_andn2_b64 vcc, exec, s[24:25]
	s_cbranch_vccnz .LBB30_889
; %bb.888:
	global_load_ubyte v2, v[0:1], off
.LBB30_889:
	s_or_b64 s[0:1], s[0:1], exec
.LBB30_890:
	s_or_b64 exec, exec, s[20:21]
	s_mov_b64 s[28:29], 0
	s_mov_b64 s[26:27], 0
                                        ; implicit-def: $sgpr20_sgpr21
                                        ; implicit-def: $sgpr33
                                        ; implicit-def: $vgpr0_vgpr1
	s_and_saveexec_b64 s[24:25], s[0:1]
	s_cbranch_execz .LBB30_965
; %bb.891:
	v_mul_lo_u32 v0, v9, s12
	s_and_b32 s0, s2, 0xff
	s_waitcnt vmcnt(0)
	v_cmp_ne_u16_sdwa s[0:1], s0, v2 src0_sel:DWORD src1_sel:BYTE_0
	s_xor_b64 s[20:21], s[16:17], s[0:1]
	v_ashrrev_i32_e32 v1, 31, v0
	v_mov_b32_e32 v2, s9
	s_and_b32 s33, s3, 0xff
	v_add_co_u32_e32 v0, vcc, s8, v0
	s_cmp_lt_i32 s33, 11
	v_addc_co_u32_e32 v1, vcc, v2, v1, vcc
	s_cbranch_scc1 .LBB30_968
; %bb.892:
	s_and_b32 s34, 0xffff, s33
	s_mov_b64 s[26:27], -1
	s_cmp_gt_i32 s34, 25
	s_mov_b64 s[0:1], s[18:19]
	s_cbranch_scc0 .LBB30_925
; %bb.893:
	s_mov_b64 s[16:17], -1
	s_cmp_gt_i32 s34, 28
	s_mov_b64 s[0:1], s[18:19]
	s_cbranch_scc0 .LBB30_909
; %bb.894:
	s_cmp_gt_i32 s34, 43
	s_mov_b64 s[0:1], s[18:19]
	s_cbranch_scc0 .LBB30_905
; %bb.895:
	s_cmp_gt_i32 s34, 45
	s_mov_b64 s[0:1], s[18:19]
	s_cbranch_scc0 .LBB30_899
; %bb.896:
	s_cmp_eq_u32 s34, 46
	s_mov_b64 s[0:1], -1
	s_cbranch_scc0 .LBB30_898
; %bb.897:
	v_cndmask_b32_e64 v2, 0, 1.0, s[20:21]
	v_bfe_u32 v3, v2, 16, 1
	s_movk_i32 s0, 0x7fff
	v_add3_u32 v2, v2, v3, s0
	v_lshrrev_b32_e32 v2, 16, v2
	global_store_dword v[0:1], v2, off
	s_mov_b64 s[0:1], 0
.LBB30_898:
	s_mov_b64 s[16:17], 0
.LBB30_899:
	s_and_b64 vcc, exec, s[16:17]
	s_cbranch_vccz .LBB30_904
; %bb.900:
	s_cmp_eq_u32 s34, 44
	s_mov_b64 s[0:1], -1
	s_cbranch_scc0 .LBB30_904
; %bb.901:
	v_cndmask_b32_e64 v3, 0, 1.0, s[20:21]
	v_lshrrev_b32_e32 v2, 23, v3
	s_movk_i32 s0, 0xff
	v_cmp_ne_u32_e32 vcc, s0, v2
	v_mov_b32_e32 v4, 0xff
	s_and_saveexec_b64 s[16:17], vcc
; %bb.902:
	s_mov_b32 s0, 0x3fffff
	v_and_b32_e32 v4, 0x400000, v3
	v_and_or_b32 v3, v3, s0, v2
	v_cmp_ne_u32_e32 vcc, 0, v4
	v_cmp_ne_u32_e64 s[0:1], 0, v3
	s_and_b64 s[0:1], vcc, s[0:1]
	v_cndmask_b32_e64 v3, 0, 1, s[0:1]
	v_add_u32_e32 v4, v2, v3
; %bb.903:
	s_or_b64 exec, exec, s[16:17]
	s_mov_b64 s[0:1], 0
	global_store_byte v[0:1], v4, off
.LBB30_904:
	s_mov_b64 s[16:17], 0
.LBB30_905:
	s_and_b64 vcc, exec, s[16:17]
	s_cbranch_vccz .LBB30_908
; %bb.906:
	s_cmp_eq_u32 s34, 29
	s_mov_b64 s[0:1], -1
	s_cbranch_scc0 .LBB30_908
; %bb.907:
	s_mov_b32 s0, 0
	v_cndmask_b32_e64 v2, 0, 1, s[20:21]
	v_mov_b32_e32 v3, s0
	global_store_dwordx2 v[0:1], v[2:3], off
	s_mov_b64 s[0:1], 0
.LBB30_908:
	s_mov_b64 s[16:17], 0
.LBB30_909:
	s_and_b64 vcc, exec, s[16:17]
	s_cbranch_vccz .LBB30_924
; %bb.910:
	s_cmp_lt_i32 s34, 27
	s_mov_b64 s[16:17], -1
	s_cbranch_scc1 .LBB30_916
; %bb.911:
	s_cmp_gt_i32 s34, 27
	v_cndmask_b32_e64 v2, 0, 1, s[20:21]
	s_cbranch_scc0 .LBB30_913
; %bb.912:
	s_mov_b64 s[16:17], 0
	global_store_dword v[0:1], v2, off
.LBB30_913:
	s_andn2_b64 vcc, exec, s[16:17]
	s_cbranch_vccnz .LBB30_915
; %bb.914:
	global_store_short v[0:1], v2, off
.LBB30_915:
	s_mov_b64 s[16:17], 0
.LBB30_916:
	s_andn2_b64 vcc, exec, s[16:17]
	s_cbranch_vccnz .LBB30_924
; %bb.917:
	v_cndmask_b32_e64 v3, 0, 1.0, s[20:21]
	s_mov_b32 s16, 0x43800000
	v_cmp_gt_u32_e32 vcc, s16, v3
	v_mov_b32_e32 v4, 0x80
	s_and_saveexec_b64 s[16:17], vcc
	s_cbranch_execz .LBB30_923
; %bb.918:
	s_mov_b32 s26, 0x3bffffff
	v_cmp_lt_u32_e32 vcc, s26, v3
	s_mov_b64 s[26:27], 0
                                        ; implicit-def: $vgpr2
	s_and_saveexec_b64 s[28:29], vcc
	s_xor_b64 s[28:29], exec, s[28:29]
	s_cbranch_execz .LBB30_1025
; %bb.919:
	v_bfe_u32 v2, v3, 20, 1
	s_mov_b32 s30, 0x487ffff
	v_add3_u32 v2, v3, v2, s30
	s_mov_b64 s[26:27], exec
	v_lshrrev_b32_e32 v2, 20, v2
                                        ; implicit-def: $vgpr3
	s_andn2_saveexec_b64 s[28:29], s[28:29]
	s_cbranch_execnz .LBB30_1026
.LBB30_920:
	s_or_b64 exec, exec, s[28:29]
	v_mov_b32_e32 v4, 0
	s_and_saveexec_b64 s[28:29], s[26:27]
.LBB30_921:
	v_mov_b32_e32 v4, v2
.LBB30_922:
	s_or_b64 exec, exec, s[28:29]
.LBB30_923:
	s_or_b64 exec, exec, s[16:17]
	global_store_byte v[0:1], v4, off
.LBB30_924:
	s_mov_b64 s[26:27], 0
.LBB30_925:
	s_mov_b64 s[16:17], 0
	s_and_b64 vcc, exec, s[26:27]
	s_cbranch_vccz .LBB30_969
; %bb.926:
	s_cmp_gt_i32 s34, 22
	s_mov_b64 s[26:27], -1
	s_cbranch_scc0 .LBB30_958
; %bb.927:
	s_cmp_lt_i32 s34, 24
	s_cbranch_scc1 .LBB30_947
; %bb.928:
	s_cmp_gt_i32 s34, 24
	s_cbranch_scc0 .LBB30_936
; %bb.929:
	v_cndmask_b32_e64 v3, 0, 1.0, s[20:21]
	s_mov_b32 s26, 0x47800000
	v_cmp_gt_u32_e32 vcc, s26, v3
	v_mov_b32_e32 v4, 0x80
	s_and_saveexec_b64 s[26:27], vcc
	s_cbranch_execz .LBB30_935
; %bb.930:
	s_mov_b32 s28, 0x37ffffff
	v_cmp_lt_u32_e32 vcc, s28, v3
	s_mov_b64 s[28:29], 0
                                        ; implicit-def: $vgpr2
	s_and_saveexec_b64 s[30:31], vcc
	s_xor_b64 s[30:31], exec, s[30:31]
	s_cbranch_execz .LBB30_1145
; %bb.931:
	v_bfe_u32 v2, v3, 21, 1
	s_mov_b32 s35, 0x88fffff
	v_add3_u32 v2, v3, v2, s35
	s_mov_b64 s[28:29], exec
	v_lshrrev_b32_e32 v2, 21, v2
                                        ; implicit-def: $vgpr3
	s_andn2_saveexec_b64 s[30:31], s[30:31]
	s_cbranch_execnz .LBB30_1146
.LBB30_932:
	s_or_b64 exec, exec, s[30:31]
	v_mov_b32_e32 v4, 0
	s_and_saveexec_b64 s[30:31], s[28:29]
.LBB30_933:
	v_mov_b32_e32 v4, v2
.LBB30_934:
	s_or_b64 exec, exec, s[30:31]
.LBB30_935:
	s_or_b64 exec, exec, s[26:27]
	s_mov_b64 s[26:27], 0
	global_store_byte v[0:1], v4, off
.LBB30_936:
	s_and_b64 vcc, exec, s[26:27]
	s_cbranch_vccz .LBB30_946
; %bb.937:
	v_cndmask_b32_e64 v2, 0, 1.0, s[20:21]
	s_mov_b32 s26, 0x43f00000
	v_cmp_gt_u32_e32 vcc, s26, v2
                                        ; implicit-def: $vgpr3
	s_and_saveexec_b64 s[26:27], vcc
	s_xor_b64 s[26:27], exec, s[26:27]
	s_cbranch_execz .LBB30_943
; %bb.938:
	s_mov_b32 s28, 0x3c7fffff
	v_cmp_lt_u32_e32 vcc, s28, v2
                                        ; implicit-def: $vgpr3
	s_and_saveexec_b64 s[28:29], vcc
	s_xor_b64 s[28:29], exec, s[28:29]
; %bb.939:
	v_bfe_u32 v3, v2, 20, 1
	s_mov_b32 s30, 0x407ffff
	v_add3_u32 v2, v2, v3, s30
	v_lshrrev_b32_e32 v3, 20, v2
	v_and_b32_e32 v2, 0xff00000, v2
	s_mov_b32 s30, 0x7f00000
	v_mov_b32_e32 v4, 0x7e
	v_cmp_ne_u32_e32 vcc, s30, v2
	v_cndmask_b32_e32 v3, v4, v3, vcc
                                        ; implicit-def: $vgpr2
; %bb.940:
	s_andn2_saveexec_b64 s[28:29], s[28:29]
; %bb.941:
	v_add_f32_e32 v3, 0x46800000, v2
; %bb.942:
	s_or_b64 exec, exec, s[28:29]
                                        ; implicit-def: $vgpr2
.LBB30_943:
	s_andn2_saveexec_b64 s[26:27], s[26:27]
; %bb.944:
	s_mov_b32 s28, 0x7f800000
	v_mov_b32_e32 v3, 0x7e
	v_mov_b32_e32 v4, 0x7f
	v_cmp_lt_u32_e32 vcc, s28, v2
	v_cndmask_b32_e32 v3, v3, v4, vcc
; %bb.945:
	s_or_b64 exec, exec, s[26:27]
	global_store_byte v[0:1], v3, off
.LBB30_946:
	s_mov_b64 s[26:27], 0
.LBB30_947:
	s_andn2_b64 vcc, exec, s[26:27]
	s_cbranch_vccnz .LBB30_957
; %bb.948:
	v_cndmask_b32_e64 v2, 0, 1.0, s[20:21]
	s_mov_b32 s26, 0x47800000
	v_cmp_gt_u32_e32 vcc, s26, v2
                                        ; implicit-def: $vgpr3
	s_and_saveexec_b64 s[26:27], vcc
	s_xor_b64 s[26:27], exec, s[26:27]
	s_cbranch_execz .LBB30_954
; %bb.949:
	s_mov_b32 s28, 0x387fffff
	v_cmp_lt_u32_e32 vcc, s28, v2
                                        ; implicit-def: $vgpr3
	s_and_saveexec_b64 s[28:29], vcc
	s_xor_b64 s[28:29], exec, s[28:29]
; %bb.950:
	v_bfe_u32 v3, v2, 21, 1
	s_mov_b32 s30, 0x80fffff
	v_add3_u32 v2, v2, v3, s30
	v_lshrrev_b32_e32 v3, 21, v2
                                        ; implicit-def: $vgpr2
; %bb.951:
	s_andn2_saveexec_b64 s[28:29], s[28:29]
; %bb.952:
	v_add_f32_e32 v3, 0x43000000, v2
; %bb.953:
	s_or_b64 exec, exec, s[28:29]
                                        ; implicit-def: $vgpr2
.LBB30_954:
	s_andn2_saveexec_b64 s[26:27], s[26:27]
; %bb.955:
	s_mov_b32 s28, 0x7f800000
	v_mov_b32_e32 v3, 0x7c
	v_mov_b32_e32 v4, 0x7f
	v_cmp_lt_u32_e32 vcc, s28, v2
	v_cndmask_b32_e32 v3, v3, v4, vcc
; %bb.956:
	s_or_b64 exec, exec, s[26:27]
	global_store_byte v[0:1], v3, off
.LBB30_957:
	s_mov_b64 s[26:27], 0
.LBB30_958:
	s_andn2_b64 vcc, exec, s[26:27]
	s_mov_b64 s[28:29], 0
	s_cbranch_vccnz .LBB30_970
; %bb.959:
	s_cmp_gt_i32 s34, 14
	s_mov_b64 s[26:27], -1
	s_cbranch_scc0 .LBB30_963
; %bb.960:
	s_cmp_eq_u32 s34, 15
	s_mov_b64 s[0:1], -1
	s_cbranch_scc0 .LBB30_962
; %bb.961:
	v_cndmask_b32_e64 v2, 0, 1.0, s[20:21]
	v_bfe_u32 v3, v2, 16, 1
	s_movk_i32 s0, 0x7fff
	v_add3_u32 v2, v2, v3, s0
	global_store_short_d16_hi v[0:1], v2, off
	s_mov_b64 s[0:1], 0
.LBB30_962:
	s_mov_b64 s[26:27], 0
.LBB30_963:
	s_and_b64 vcc, exec, s[26:27]
	s_cbranch_vccz .LBB30_970
; %bb.964:
	s_cmp_lg_u32 s34, 11
	s_cselect_b64 s[26:27], -1, 0
	s_andn2_b64 s[0:1], s[0:1], exec
	s_and_b64 s[26:27], s[26:27], exec
	s_mov_b64 s[28:29], -1
	s_or_b64 s[0:1], s[0:1], s[26:27]
	s_branch .LBB30_970
.LBB30_965:
	s_or_b64 exec, exec, s[24:25]
	s_and_saveexec_b64 s[0:1], s[18:19]
	s_cbranch_execnz .LBB30_971
.LBB30_966:
	s_or_b64 exec, exec, s[0:1]
	s_and_saveexec_b64 s[0:1], s[28:29]
	s_xor_b64 s[0:1], exec, s[0:1]
	s_cbranch_execz .LBB30_972
.LBB30_967:
	s_waitcnt vmcnt(0)
	v_cndmask_b32_e64 v2, 0, 1, s[20:21]
	global_store_byte v[0:1], v2, off
	s_or_b64 exec, exec, s[0:1]
	s_and_saveexec_b64 s[0:1], s[26:27]
	s_xor_b64 s[0:1], exec, s[0:1]
	s_cbranch_execz .LBB30_1010
	s_branch .LBB30_973
.LBB30_968:
	s_mov_b64 s[16:17], -1
	s_mov_b64 s[0:1], s[18:19]
	s_branch .LBB30_970
.LBB30_969:
	s_mov_b64 s[28:29], 0
.LBB30_970:
	s_and_b64 s[26:27], s[16:17], exec
	s_andn2_b64 s[16:17], s[18:19], exec
	s_and_b64 s[0:1], s[0:1], exec
	s_and_b64 s[28:29], s[28:29], exec
	s_or_b64 s[18:19], s[16:17], s[0:1]
	s_or_b64 exec, exec, s[24:25]
	s_and_saveexec_b64 s[0:1], s[18:19]
	s_cbranch_execz .LBB30_966
.LBB30_971:
	s_or_b64 s[22:23], s[22:23], exec
	s_andn2_b64 s[28:29], s[28:29], exec
	s_trap 2
	s_or_b64 exec, exec, s[0:1]
	s_and_saveexec_b64 s[0:1], s[28:29]
	s_xor_b64 s[0:1], exec, s[0:1]
	s_cbranch_execnz .LBB30_967
.LBB30_972:
	s_or_b64 exec, exec, s[0:1]
	s_and_saveexec_b64 s[0:1], s[26:27]
	s_xor_b64 s[0:1], exec, s[0:1]
	s_cbranch_execz .LBB30_1010
.LBB30_973:
	s_sext_i32_i16 s18, s33
	s_cmp_lt_i32 s18, 5
	s_mov_b64 s[16:17], -1
	s_cbranch_scc1 .LBB30_994
; %bb.974:
	s_cmp_lt_i32 s18, 8
	s_cbranch_scc1 .LBB30_984
; %bb.975:
	s_cmp_lt_i32 s18, 9
	s_cbranch_scc1 .LBB30_981
; %bb.976:
	s_cmp_gt_i32 s18, 9
	s_cbranch_scc0 .LBB30_978
; %bb.977:
	s_waitcnt vmcnt(0)
	v_cndmask_b32_e64 v2, 0, 1, s[20:21]
	v_cvt_f64_u32_e32 v[2:3], v2
	v_mov_b32_e32 v4, 0
	v_mov_b32_e32 v5, v4
	s_mov_b64 s[16:17], 0
	global_store_dwordx4 v[0:1], v[2:5], off
.LBB30_978:
	s_andn2_b64 vcc, exec, s[16:17]
	s_cbranch_vccnz .LBB30_980
; %bb.979:
	s_waitcnt vmcnt(0)
	v_cndmask_b32_e64 v2, 0, 1.0, s[20:21]
	v_mov_b32_e32 v3, 0
	global_store_dwordx2 v[0:1], v[2:3], off
.LBB30_980:
	s_mov_b64 s[16:17], 0
.LBB30_981:
	s_andn2_b64 vcc, exec, s[16:17]
	s_cbranch_vccnz .LBB30_983
; %bb.982:
	s_waitcnt vmcnt(0)
	v_cndmask_b32_e64 v2, 0, 1.0, s[20:21]
	v_cvt_f16_f32_e32 v2, v2
	global_store_dword v[0:1], v2, off
.LBB30_983:
	s_mov_b64 s[16:17], 0
.LBB30_984:
	s_andn2_b64 vcc, exec, s[16:17]
	s_cbranch_vccnz .LBB30_993
; %bb.985:
	s_sext_i32_i16 s18, s33
	s_cmp_lt_i32 s18, 6
	s_mov_b64 s[16:17], -1
	s_cbranch_scc1 .LBB30_991
; %bb.986:
	s_cmp_gt_i32 s18, 6
	s_cbranch_scc0 .LBB30_988
; %bb.987:
	s_waitcnt vmcnt(0)
	v_cndmask_b32_e64 v2, 0, 1, s[20:21]
	v_cvt_f64_u32_e32 v[2:3], v2
	s_mov_b64 s[16:17], 0
	global_store_dwordx2 v[0:1], v[2:3], off
.LBB30_988:
	s_andn2_b64 vcc, exec, s[16:17]
	s_cbranch_vccnz .LBB30_990
; %bb.989:
	s_waitcnt vmcnt(0)
	v_cndmask_b32_e64 v2, 0, 1.0, s[20:21]
	global_store_dword v[0:1], v2, off
.LBB30_990:
	s_mov_b64 s[16:17], 0
.LBB30_991:
	s_andn2_b64 vcc, exec, s[16:17]
	s_cbranch_vccnz .LBB30_993
; %bb.992:
	s_waitcnt vmcnt(0)
	v_cndmask_b32_e64 v2, 0, 1.0, s[20:21]
	v_cvt_f16_f32_e32 v2, v2
	global_store_short v[0:1], v2, off
.LBB30_993:
	s_mov_b64 s[16:17], 0
.LBB30_994:
	s_andn2_b64 vcc, exec, s[16:17]
	s_cbranch_vccnz .LBB30_1010
; %bb.995:
	s_sext_i32_i16 s18, s33
	s_cmp_lt_i32 s18, 2
	s_mov_b64 s[16:17], -1
	s_cbranch_scc1 .LBB30_1005
; %bb.996:
	s_cmp_lt_i32 s18, 3
	s_cbranch_scc1 .LBB30_1002
; %bb.997:
	s_cmp_gt_i32 s18, 3
	s_cbranch_scc0 .LBB30_999
; %bb.998:
	s_mov_b32 s16, 0
	s_waitcnt vmcnt(0)
	v_cndmask_b32_e64 v2, 0, 1, s[20:21]
	v_mov_b32_e32 v3, s16
	s_mov_b64 s[16:17], 0
	global_store_dwordx2 v[0:1], v[2:3], off
.LBB30_999:
	s_andn2_b64 vcc, exec, s[16:17]
	s_cbranch_vccnz .LBB30_1001
; %bb.1000:
	s_waitcnt vmcnt(0)
	v_cndmask_b32_e64 v2, 0, 1, s[20:21]
	global_store_dword v[0:1], v2, off
.LBB30_1001:
	s_mov_b64 s[16:17], 0
.LBB30_1002:
	s_andn2_b64 vcc, exec, s[16:17]
	s_cbranch_vccnz .LBB30_1004
; %bb.1003:
	s_waitcnt vmcnt(0)
	v_cndmask_b32_e64 v2, 0, 1, s[20:21]
	global_store_short v[0:1], v2, off
.LBB30_1004:
	s_mov_b64 s[16:17], 0
.LBB30_1005:
	s_andn2_b64 vcc, exec, s[16:17]
	s_cbranch_vccnz .LBB30_1010
; %bb.1006:
	s_sext_i32_i16 s18, s33
	s_mov_b64 s[16:17], -1
	s_cmp_gt_i32 s18, 0
	s_waitcnt vmcnt(0)
	v_cndmask_b32_e64 v2, 0, 1, s[20:21]
	s_cbranch_scc0 .LBB30_1008
; %bb.1007:
	s_mov_b64 s[16:17], 0
	global_store_byte v[0:1], v2, off
.LBB30_1008:
	s_andn2_b64 vcc, exec, s[16:17]
	s_cbranch_vccnz .LBB30_1010
; %bb.1009:
	global_store_byte v[0:1], v2, off
.LBB30_1010:
	s_or_b64 exec, exec, s[0:1]
	s_and_b64 s[16:17], s[22:23], exec
                                        ; implicit-def: $vgpr9
.LBB30_1011:
	s_or_saveexec_b64 s[6:7], s[6:7]
	s_mov_b64 s[0:1], 0
                                        ; implicit-def: $sgpr20_sgpr21
                                        ; implicit-def: $sgpr24
                                        ; implicit-def: $vgpr0_vgpr1
	s_xor_b64 exec, exec, s[6:7]
	s_cbranch_execz .LBB30_1942
; %bb.1012:
	s_waitcnt vmcnt(0)
	v_mul_lo_u32 v2, s13, v9
	v_mov_b32_e32 v1, s11
	s_and_b32 s15, 0xffff, s15
	s_cmp_lt_i32 s15, 11
	v_ashrrev_i32_e32 v3, 31, v2
	v_add_co_u32_e32 v0, vcc, s10, v2
	v_addc_co_u32_e32 v1, vcc, v1, v3, vcc
	s_cbranch_scc1 .LBB30_1019
; %bb.1013:
	s_cmp_gt_i32 s15, 25
	s_cbranch_scc0 .LBB30_1021
; %bb.1014:
	s_cmp_gt_i32 s15, 28
	s_cbranch_scc0 .LBB30_1022
	;; [unrolled: 3-line block ×4, first 2 shown]
; %bb.1017:
	s_cmp_eq_u32 s15, 46
	s_mov_b64 s[18:19], 0
	s_cbranch_scc0 .LBB30_1027
; %bb.1018:
	global_load_dword v3, v[0:1], off
	s_mov_b64 s[20:21], -1
	s_waitcnt vmcnt(0)
	v_lshlrev_b32_e32 v3, 16, v3
	v_cvt_i32_f32_e32 v6, v3
	s_branch .LBB30_1028
.LBB30_1019:
	s_mov_b64 s[20:21], 0
                                        ; implicit-def: $vgpr6
	s_mov_b64 s[18:19], s[16:17]
	s_cbranch_execnz .LBB30_1086
.LBB30_1020:
	s_andn2_b64 vcc, exec, s[20:21]
	s_cbranch_vccz .LBB30_1131
	s_branch .LBB30_1940
.LBB30_1021:
	s_mov_b64 s[20:21], 0
                                        ; implicit-def: $vgpr6
	s_cbranch_execnz .LBB30_1053
	s_branch .LBB30_1082
.LBB30_1022:
	s_mov_b64 s[20:21], 0
                                        ; implicit-def: $vgpr6
	s_cbranch_execz .LBB30_1052
	s_branch .LBB30_1037
.LBB30_1023:
	s_mov_b64 s[20:21], 0
                                        ; implicit-def: $vgpr6
	s_cbranch_execnz .LBB30_1033
	s_branch .LBB30_1036
.LBB30_1024:
	s_mov_b64 s[18:19], -1
	s_mov_b64 s[20:21], 0
                                        ; implicit-def: $vgpr6
	s_branch .LBB30_1028
.LBB30_1025:
	s_andn2_saveexec_b64 s[28:29], s[28:29]
	s_cbranch_execz .LBB30_920
.LBB30_1026:
	v_add_f32_e32 v2, 0x46000000, v3
	v_and_b32_e32 v2, 0xff, v2
	v_cmp_ne_u32_e32 vcc, 0, v2
	s_andn2_b64 s[26:27], s[26:27], exec
	s_and_b64 s[30:31], vcc, exec
	s_or_b64 s[26:27], s[26:27], s[30:31]
	s_or_b64 exec, exec, s[28:29]
	v_mov_b32_e32 v4, 0
	s_and_saveexec_b64 s[28:29], s[26:27]
	s_cbranch_execnz .LBB30_921
	s_branch .LBB30_922
.LBB30_1027:
	s_mov_b64 s[0:1], -1
                                        ; implicit-def: $vgpr6
	s_mov_b64 s[20:21], 0
.LBB30_1028:
	s_and_b64 vcc, exec, s[18:19]
	s_cbranch_vccz .LBB30_1031
; %bb.1029:
	s_cmp_eq_u32 s15, 44
	s_cbranch_scc0 .LBB30_1032
; %bb.1030:
	global_load_ubyte v3, v[0:1], off
	s_mov_b64 s[0:1], 0
	s_mov_b64 s[20:21], -1
	s_waitcnt vmcnt(0)
	v_lshlrev_b32_e32 v4, 23, v3
	v_cvt_i32_f32_e32 v4, v4
	v_cmp_ne_u32_e32 vcc, 0, v3
	v_cndmask_b32_e32 v6, 0, v4, vcc
.LBB30_1031:
	s_branch .LBB30_1036
.LBB30_1032:
	s_mov_b64 s[0:1], -1
                                        ; implicit-def: $vgpr6
	s_branch .LBB30_1036
.LBB30_1033:
	s_cmp_eq_u32 s15, 29
	s_cbranch_scc0 .LBB30_1035
; %bb.1034:
	global_load_dwordx2 v[6:7], v[0:1], off
	s_mov_b64 s[0:1], 0
	s_mov_b64 s[20:21], -1
	s_branch .LBB30_1036
.LBB30_1035:
	s_mov_b64 s[0:1], -1
                                        ; implicit-def: $vgpr6
.LBB30_1036:
	s_branch .LBB30_1052
.LBB30_1037:
	s_cmp_lt_i32 s15, 27
	s_cbranch_scc1 .LBB30_1040
; %bb.1038:
	s_cmp_gt_i32 s15, 27
	s_cbranch_scc0 .LBB30_1041
; %bb.1039:
	global_load_dword v6, v[0:1], off
	s_mov_b64 s[18:19], 0
	s_branch .LBB30_1042
.LBB30_1040:
	s_mov_b64 s[18:19], -1
                                        ; implicit-def: $vgpr6
	s_branch .LBB30_1045
.LBB30_1041:
	s_mov_b64 s[18:19], -1
                                        ; implicit-def: $vgpr6
.LBB30_1042:
	s_andn2_b64 vcc, exec, s[18:19]
	s_cbranch_vccnz .LBB30_1044
; %bb.1043:
	global_load_ushort v6, v[0:1], off
.LBB30_1044:
	s_mov_b64 s[18:19], 0
.LBB30_1045:
	s_andn2_b64 vcc, exec, s[18:19]
	s_cbranch_vccnz .LBB30_1051
; %bb.1046:
	global_load_ubyte v3, v[0:1], off
	s_movk_i32 s18, 0x7f
	s_mov_b64 s[20:21], 0
	s_waitcnt vmcnt(0)
	v_cmp_lt_i16_e32 vcc, s18, v3
	s_and_saveexec_b64 s[18:19], vcc
	s_xor_b64 s[18:19], exec, s[18:19]
	s_cbranch_execz .LBB30_1062
; %bb.1047:
	s_movk_i32 s20, 0x80
	v_cmp_ne_u16_e32 vcc, s20, v3
	s_and_b64 s[20:21], vcc, exec
	s_andn2_saveexec_b64 s[18:19], s[18:19]
	s_cbranch_execnz .LBB30_1063
.LBB30_1048:
	s_or_b64 exec, exec, s[18:19]
	v_mov_b32_e32 v6, 0
	s_and_saveexec_b64 s[18:19], s[20:21]
	s_cbranch_execz .LBB30_1050
.LBB30_1049:
	v_lshlrev_b32_e32 v4, 24, v3
	v_and_b32_e32 v3, 0xffff, v3
	v_and_b32_e32 v5, 7, v3
	v_ffbh_u32_e32 v7, v5
	v_min_u32_e32 v7, 32, v7
	v_subrev_u32_e32 v8, 28, v7
	v_bfe_u32 v6, v3, 3, 4
	v_lshlrev_b32_e32 v3, v8, v3
	v_sub_u32_e32 v7, 29, v7
	v_and_b32_e32 v3, 7, v3
	v_cmp_eq_u32_e32 vcc, 0, v6
	v_cndmask_b32_e32 v6, v6, v7, vcc
	v_cndmask_b32_e32 v3, v5, v3, vcc
	v_mov_b32_e32 v5, 0x3b800000
	v_lshlrev_b32_e32 v3, 20, v3
	v_and_b32_e32 v4, 0x80000000, v4
	v_lshl_add_u32 v5, v6, 23, v5
	v_or3_b32 v3, v4, v5, v3
	v_cvt_i32_f32_e32 v6, v3
.LBB30_1050:
	s_or_b64 exec, exec, s[18:19]
.LBB30_1051:
	s_mov_b64 s[20:21], -1
.LBB30_1052:
	s_branch .LBB30_1082
.LBB30_1053:
	s_cmp_gt_i32 s15, 22
	s_cbranch_scc0 .LBB30_1061
; %bb.1054:
	s_cmp_lt_i32 s15, 24
	s_cbranch_scc1 .LBB30_1064
; %bb.1055:
	s_cmp_gt_i32 s15, 24
	s_cbranch_scc0 .LBB30_1065
; %bb.1056:
	global_load_ubyte v3, v[0:1], off
	s_movk_i32 s4, 0x7f
	s_mov_b64 s[18:19], 0
	s_waitcnt vmcnt(0)
	v_cmp_lt_i16_e32 vcc, s4, v3
	s_and_saveexec_b64 s[4:5], vcc
	s_xor_b64 s[4:5], exec, s[4:5]
	s_cbranch_execz .LBB30_1076
; %bb.1057:
	s_movk_i32 s18, 0x80
	v_cmp_ne_u16_e32 vcc, s18, v3
	s_and_b64 s[18:19], vcc, exec
	s_andn2_saveexec_b64 s[4:5], s[4:5]
	s_cbranch_execnz .LBB30_1077
.LBB30_1058:
	s_or_b64 exec, exec, s[4:5]
	v_mov_b32_e32 v6, 0
	s_and_saveexec_b64 s[4:5], s[18:19]
	s_cbranch_execz .LBB30_1060
.LBB30_1059:
	v_lshlrev_b32_e32 v4, 24, v3
	v_and_b32_e32 v3, 0xffff, v3
	v_and_b32_e32 v5, 3, v3
	v_ffbh_u32_e32 v7, v5
	v_min_u32_e32 v7, 32, v7
	v_subrev_u32_e32 v8, 29, v7
	v_bfe_u32 v6, v3, 2, 5
	v_lshlrev_b32_e32 v3, v8, v3
	v_sub_u32_e32 v7, 30, v7
	v_and_b32_e32 v3, 3, v3
	v_cmp_eq_u32_e32 vcc, 0, v6
	v_cndmask_b32_e32 v6, v6, v7, vcc
	v_cndmask_b32_e32 v3, v5, v3, vcc
	v_mov_b32_e32 v5, 0x37800000
	v_lshlrev_b32_e32 v3, 21, v3
	v_and_b32_e32 v4, 0x80000000, v4
	v_lshl_add_u32 v5, v6, 23, v5
	v_or3_b32 v3, v4, v5, v3
	v_cvt_i32_f32_e32 v6, v3
.LBB30_1060:
	s_or_b64 exec, exec, s[4:5]
	s_mov_b64 s[4:5], 0
	s_branch .LBB30_1066
.LBB30_1061:
                                        ; implicit-def: $vgpr6
	s_mov_b64 s[4:5], 0
	s_branch .LBB30_1072
.LBB30_1062:
	s_andn2_saveexec_b64 s[18:19], s[18:19]
	s_cbranch_execz .LBB30_1048
.LBB30_1063:
	v_cmp_ne_u16_e32 vcc, 0, v3
	s_andn2_b64 s[20:21], s[20:21], exec
	s_and_b64 s[22:23], vcc, exec
	s_or_b64 s[20:21], s[20:21], s[22:23]
	s_or_b64 exec, exec, s[18:19]
	v_mov_b32_e32 v6, 0
	s_and_saveexec_b64 s[18:19], s[20:21]
	s_cbranch_execnz .LBB30_1049
	s_branch .LBB30_1050
.LBB30_1064:
	s_mov_b64 s[4:5], -1
                                        ; implicit-def: $vgpr6
	s_branch .LBB30_1069
.LBB30_1065:
	s_mov_b64 s[4:5], -1
                                        ; implicit-def: $vgpr6
.LBB30_1066:
	s_and_b64 vcc, exec, s[4:5]
	s_cbranch_vccz .LBB30_1068
; %bb.1067:
	global_load_ubyte v3, v[0:1], off
	s_mov_b32 s4, 0x7f800000
	s_waitcnt vmcnt(0)
	v_lshlrev_b32_e32 v3, 24, v3
	v_and_b32_e32 v4, 0x7f000000, v3
	v_ffbh_u32_e32 v5, v4
	v_min_u32_e32 v5, 32, v5
	v_sub_u32_e64 v5, v5, 4 clamp
	v_lshlrev_b32_e32 v7, v5, v4
	v_lshlrev_b32_e32 v5, 23, v5
	v_lshrrev_b32_e32 v7, 4, v7
	v_add_u32_e32 v6, 0x1000000, v4
	v_sub_u32_e32 v5, v7, v5
	v_ashrrev_i32_e32 v6, 8, v6
	v_add_u32_e32 v5, 0x3c000000, v5
	v_and_or_b32 v5, v6, s4, v5
	v_cmp_ne_u32_e32 vcc, 0, v4
	v_cndmask_b32_e32 v4, 0, v5, vcc
	s_brev_b32 s4, 1
	v_and_or_b32 v3, v3, s4, v4
	v_cvt_i32_f32_e32 v6, v3
.LBB30_1068:
	s_mov_b64 s[4:5], 0
.LBB30_1069:
	s_andn2_b64 vcc, exec, s[4:5]
	s_cbranch_vccnz .LBB30_1071
; %bb.1070:
	global_load_ubyte v3, v[0:1], off
	s_movk_i32 s4, 0x7f00
	s_brev_b32 s5, 16
	s_waitcnt vmcnt(0)
	v_lshlrev_b16_e32 v4, 8, v3
	v_lshlrev_b32_e32 v3, 25, v3
	v_lshrrev_b32_e32 v5, 4, v3
	v_and_or_b32 v6, v4, s4, 0.5
	v_or_b32_e32 v5, 0x70000000, v5
	v_add_f32_e32 v6, -0.5, v6
	v_mul_f32_e32 v5, 0x7800000, v5
	v_cmp_gt_u32_e32 vcc, s5, v3
	v_bfe_i32 v4, v4, 0, 16
	v_cndmask_b32_e32 v3, v5, v6, vcc
	s_brev_b32 s4, 1
	v_and_or_b32 v3, v4, s4, v3
	v_cvt_i32_f32_e32 v6, v3
.LBB30_1071:
	s_mov_b64 s[20:21], -1
	s_mov_b64 s[4:5], 0
	s_cbranch_execnz .LBB30_1082
.LBB30_1072:
	s_cmp_gt_i32 s15, 14
	s_cbranch_scc0 .LBB30_1075
; %bb.1073:
	s_cmp_eq_u32 s15, 15
	s_cbranch_scc0 .LBB30_1078
; %bb.1074:
	global_load_ushort v3, v[0:1], off
	s_mov_b64 s[0:1], 0
	s_mov_b64 s[20:21], -1
	s_waitcnt vmcnt(0)
	v_lshlrev_b32_e32 v3, 16, v3
	v_cvt_i32_f32_e32 v6, v3
	s_branch .LBB30_1079
.LBB30_1075:
	s_mov_b64 s[18:19], -1
                                        ; implicit-def: $vgpr6
	s_branch .LBB30_1080
.LBB30_1076:
	s_andn2_saveexec_b64 s[4:5], s[4:5]
	s_cbranch_execz .LBB30_1058
.LBB30_1077:
	v_cmp_ne_u16_e32 vcc, 0, v3
	s_andn2_b64 s[18:19], s[18:19], exec
	s_and_b64 s[20:21], vcc, exec
	s_or_b64 s[18:19], s[18:19], s[20:21]
	s_or_b64 exec, exec, s[4:5]
	v_mov_b32_e32 v6, 0
	s_and_saveexec_b64 s[4:5], s[18:19]
	s_cbranch_execnz .LBB30_1059
	s_branch .LBB30_1060
.LBB30_1078:
	s_mov_b64 s[0:1], -1
                                        ; implicit-def: $vgpr6
.LBB30_1079:
	s_mov_b64 s[18:19], 0
.LBB30_1080:
	s_and_b64 vcc, exec, s[18:19]
	s_cbranch_vccz .LBB30_1082
; %bb.1081:
	s_cmp_lg_u32 s15, 11
	s_mov_b64 s[4:5], -1
	s_cselect_b64 s[0:1], -1, 0
.LBB30_1082:
	s_and_b64 vcc, exec, s[0:1]
	s_mov_b64 s[18:19], s[16:17]
	s_cbranch_vccnz .LBB30_1143
; %bb.1083:
	s_andn2_b64 vcc, exec, s[4:5]
	s_cbranch_vccnz .LBB30_1085
.LBB30_1084:
	global_load_ubyte v3, v[0:1], off
	s_mov_b64 s[20:21], -1
	s_waitcnt vmcnt(0)
	v_cmp_ne_u16_e32 vcc, 0, v3
	v_cndmask_b32_e64 v6, 0, 1, vcc
.LBB30_1085:
	s_branch .LBB30_1020
.LBB30_1086:
	s_cmp_lt_i32 s15, 5
	s_cbranch_scc1 .LBB30_1091
; %bb.1087:
	s_cmp_lt_i32 s15, 8
	s_cbranch_scc1 .LBB30_1092
; %bb.1088:
	;; [unrolled: 3-line block ×3, first 2 shown]
	s_cmp_gt_i32 s15, 9
	s_cbranch_scc0 .LBB30_1094
; %bb.1090:
	global_load_dwordx2 v[3:4], v[0:1], off
	s_mov_b64 s[0:1], 0
	s_waitcnt vmcnt(0)
	v_cvt_i32_f64_e32 v6, v[3:4]
	s_branch .LBB30_1095
.LBB30_1091:
                                        ; implicit-def: $vgpr6
	s_branch .LBB30_1112
.LBB30_1092:
                                        ; implicit-def: $vgpr6
	s_branch .LBB30_1101
.LBB30_1093:
	s_mov_b64 s[0:1], -1
                                        ; implicit-def: $vgpr6
	s_branch .LBB30_1098
.LBB30_1094:
	s_mov_b64 s[0:1], -1
                                        ; implicit-def: $vgpr6
.LBB30_1095:
	s_andn2_b64 vcc, exec, s[0:1]
	s_cbranch_vccnz .LBB30_1097
; %bb.1096:
	global_load_dword v3, v[0:1], off
	s_waitcnt vmcnt(0)
	v_cvt_i32_f32_e32 v6, v3
.LBB30_1097:
	s_mov_b64 s[0:1], 0
.LBB30_1098:
	s_andn2_b64 vcc, exec, s[0:1]
	s_cbranch_vccnz .LBB30_1100
; %bb.1099:
	global_load_dword v3, v[0:1], off
	s_waitcnt vmcnt(0)
	v_cvt_i16_f16_e32 v6, v3
.LBB30_1100:
	s_cbranch_execnz .LBB30_1111
.LBB30_1101:
	s_cmp_lt_i32 s15, 6
	s_cbranch_scc1 .LBB30_1104
; %bb.1102:
	s_cmp_gt_i32 s15, 6
	s_cbranch_scc0 .LBB30_1105
; %bb.1103:
	global_load_dwordx2 v[3:4], v[0:1], off
	s_mov_b64 s[0:1], 0
	s_waitcnt vmcnt(0)
	v_cvt_i32_f64_e32 v6, v[3:4]
	s_branch .LBB30_1106
.LBB30_1104:
	s_mov_b64 s[0:1], -1
                                        ; implicit-def: $vgpr6
	s_branch .LBB30_1109
.LBB30_1105:
	s_mov_b64 s[0:1], -1
                                        ; implicit-def: $vgpr6
.LBB30_1106:
	s_andn2_b64 vcc, exec, s[0:1]
	s_cbranch_vccnz .LBB30_1108
; %bb.1107:
	global_load_dword v3, v[0:1], off
	s_waitcnt vmcnt(0)
	v_cvt_i32_f32_e32 v6, v3
.LBB30_1108:
	s_mov_b64 s[0:1], 0
.LBB30_1109:
	s_andn2_b64 vcc, exec, s[0:1]
	s_cbranch_vccnz .LBB30_1111
; %bb.1110:
	global_load_ushort v3, v[0:1], off
	s_waitcnt vmcnt(0)
	v_cvt_i16_f16_e32 v6, v3
.LBB30_1111:
	s_cbranch_execnz .LBB30_1130
.LBB30_1112:
	s_cmp_lt_i32 s15, 2
	s_cbranch_scc1 .LBB30_1116
; %bb.1113:
	s_cmp_lt_i32 s15, 3
	s_cbranch_scc1 .LBB30_1117
; %bb.1114:
	s_cmp_gt_i32 s15, 3
	s_cbranch_scc0 .LBB30_1118
; %bb.1115:
	global_load_dwordx2 v[6:7], v[0:1], off
	s_mov_b64 s[0:1], 0
	s_branch .LBB30_1119
.LBB30_1116:
                                        ; implicit-def: $vgpr6
	s_branch .LBB30_1125
.LBB30_1117:
	s_mov_b64 s[0:1], -1
                                        ; implicit-def: $vgpr6
	s_branch .LBB30_1122
.LBB30_1118:
	s_mov_b64 s[0:1], -1
                                        ; implicit-def: $vgpr6
.LBB30_1119:
	s_andn2_b64 vcc, exec, s[0:1]
	s_cbranch_vccnz .LBB30_1121
; %bb.1120:
	global_load_dword v6, v[0:1], off
.LBB30_1121:
	s_mov_b64 s[0:1], 0
.LBB30_1122:
	s_andn2_b64 vcc, exec, s[0:1]
	s_cbranch_vccnz .LBB30_1124
; %bb.1123:
	global_load_ushort v6, v[0:1], off
.LBB30_1124:
	s_cbranch_execnz .LBB30_1130
.LBB30_1125:
	s_cmp_gt_i32 s15, 0
	s_cbranch_scc0 .LBB30_1127
; %bb.1126:
	global_load_ubyte v6, v[0:1], off
	s_mov_b64 s[0:1], 0
	s_branch .LBB30_1128
.LBB30_1127:
	s_mov_b64 s[0:1], -1
                                        ; implicit-def: $vgpr6
.LBB30_1128:
	s_andn2_b64 vcc, exec, s[0:1]
	s_cbranch_vccnz .LBB30_1130
; %bb.1129:
	global_load_ubyte v6, v[0:1], off
.LBB30_1130:
.LBB30_1131:
	s_lshl_b32 s13, s13, 7
	v_add_u32_e32 v2, s13, v2
	v_ashrrev_i32_e32 v1, 31, v2
	v_mov_b32_e32 v3, s11
	v_add_co_u32_e32 v0, vcc, s10, v2
	s_cmp_lt_i32 s15, 11
	v_addc_co_u32_e32 v1, vcc, v3, v1, vcc
	s_cbranch_scc1 .LBB30_1138
; %bb.1132:
	s_cmp_gt_i32 s15, 25
	s_mov_b64 s[4:5], 0
	s_cbranch_scc0 .LBB30_1140
; %bb.1133:
	s_cmp_gt_i32 s15, 28
	s_cbranch_scc0 .LBB30_1141
; %bb.1134:
	s_cmp_gt_i32 s15, 43
	;; [unrolled: 3-line block ×3, first 2 shown]
	s_cbranch_scc0 .LBB30_1144
; %bb.1136:
	s_cmp_eq_u32 s15, 46
	s_mov_b64 s[22:23], 0
	s_cbranch_scc0 .LBB30_1147
; %bb.1137:
	global_load_dword v3, v[0:1], off
	s_mov_b64 s[0:1], 0
	s_mov_b64 s[20:21], -1
	s_waitcnt vmcnt(0)
	v_lshlrev_b32_e32 v3, 16, v3
	v_cvt_i32_f32_e32 v4, v3
	s_branch .LBB30_1148
.LBB30_1138:
	s_mov_b64 s[20:21], 0
                                        ; implicit-def: $vgpr4
	s_cbranch_execnz .LBB30_1209
.LBB30_1139:
	s_andn2_b64 vcc, exec, s[20:21]
	s_cbranch_vccnz .LBB30_1940
	s_branch .LBB30_1256
.LBB30_1140:
	s_mov_b64 s[20:21], 0
	s_mov_b64 s[0:1], 0
                                        ; implicit-def: $vgpr4
	s_cbranch_execnz .LBB30_1175
	s_branch .LBB30_1205
.LBB30_1141:
	s_mov_b64 s[22:23], -1
	s_mov_b64 s[20:21], 0
	s_mov_b64 s[0:1], 0
                                        ; implicit-def: $vgpr4
	s_branch .LBB30_1158
.LBB30_1142:
	s_mov_b64 s[22:23], -1
	s_mov_b64 s[20:21], 0
	s_mov_b64 s[0:1], 0
                                        ; implicit-def: $vgpr4
	s_branch .LBB30_1153
.LBB30_1143:
	s_or_b64 s[18:19], s[16:17], exec
	s_trap 2
	s_cbranch_execz .LBB30_1084
	s_branch .LBB30_1085
.LBB30_1144:
	s_mov_b64 s[22:23], -1
	s_mov_b64 s[20:21], 0
	s_mov_b64 s[0:1], 0
                                        ; implicit-def: $vgpr4
	s_branch .LBB30_1148
.LBB30_1145:
	s_andn2_saveexec_b64 s[30:31], s[30:31]
	s_cbranch_execz .LBB30_932
.LBB30_1146:
	v_add_f32_e32 v2, 0x42800000, v3
	v_and_b32_e32 v2, 0xff, v2
	v_cmp_ne_u32_e32 vcc, 0, v2
	s_andn2_b64 s[28:29], s[28:29], exec
	s_and_b64 s[36:37], vcc, exec
	s_or_b64 s[28:29], s[28:29], s[36:37]
	s_or_b64 exec, exec, s[30:31]
	v_mov_b32_e32 v4, 0
	s_and_saveexec_b64 s[30:31], s[28:29]
	s_cbranch_execnz .LBB30_933
	s_branch .LBB30_934
.LBB30_1147:
	s_mov_b64 s[0:1], -1
                                        ; implicit-def: $vgpr4
	s_mov_b64 s[20:21], 0
.LBB30_1148:
	s_and_b64 vcc, exec, s[22:23]
	s_cbranch_vccz .LBB30_1152
; %bb.1149:
	s_cmp_eq_u32 s15, 44
	s_cbranch_scc0 .LBB30_1151
; %bb.1150:
	global_load_ubyte v3, v[0:1], off
	s_mov_b64 s[0:1], 0
	s_mov_b64 s[20:21], -1
	s_waitcnt vmcnt(0)
	v_lshlrev_b32_e32 v4, 23, v3
	v_cvt_i32_f32_e32 v4, v4
	v_cmp_ne_u32_e32 vcc, 0, v3
	v_cndmask_b32_e32 v4, 0, v4, vcc
	s_branch .LBB30_1152
.LBB30_1151:
	s_mov_b64 s[0:1], -1
                                        ; implicit-def: $vgpr4
.LBB30_1152:
	s_mov_b64 s[22:23], 0
.LBB30_1153:
	s_and_b64 vcc, exec, s[22:23]
	s_cbranch_vccz .LBB30_1157
; %bb.1154:
	s_cmp_eq_u32 s15, 29
	s_cbranch_scc0 .LBB30_1156
; %bb.1155:
	global_load_dwordx2 v[4:5], v[0:1], off
	s_mov_b64 s[0:1], 0
	s_mov_b64 s[20:21], -1
	s_branch .LBB30_1157
.LBB30_1156:
	s_mov_b64 s[0:1], -1
                                        ; implicit-def: $vgpr4
.LBB30_1157:
	s_mov_b64 s[22:23], 0
.LBB30_1158:
	s_and_b64 vcc, exec, s[22:23]
	s_cbranch_vccz .LBB30_1174
; %bb.1159:
	s_cmp_lt_i32 s15, 27
	s_cbranch_scc1 .LBB30_1162
; %bb.1160:
	s_cmp_gt_i32 s15, 27
	s_cbranch_scc0 .LBB30_1163
; %bb.1161:
	global_load_dword v4, v[0:1], off
	s_mov_b64 s[20:21], 0
	s_branch .LBB30_1164
.LBB30_1162:
	s_mov_b64 s[20:21], -1
                                        ; implicit-def: $vgpr4
	s_branch .LBB30_1167
.LBB30_1163:
	s_mov_b64 s[20:21], -1
                                        ; implicit-def: $vgpr4
.LBB30_1164:
	s_andn2_b64 vcc, exec, s[20:21]
	s_cbranch_vccnz .LBB30_1166
; %bb.1165:
	global_load_ushort v4, v[0:1], off
.LBB30_1166:
	s_mov_b64 s[20:21], 0
.LBB30_1167:
	s_andn2_b64 vcc, exec, s[20:21]
	s_cbranch_vccnz .LBB30_1173
; %bb.1168:
	global_load_ubyte v3, v[0:1], off
	s_movk_i32 s20, 0x7f
	s_mov_b64 s[22:23], 0
	s_waitcnt vmcnt(0)
	v_cmp_lt_i16_e32 vcc, s20, v3
	s_and_saveexec_b64 s[20:21], vcc
	s_xor_b64 s[20:21], exec, s[20:21]
	s_cbranch_execz .LBB30_1184
; %bb.1169:
	s_movk_i32 s22, 0x80
	v_cmp_ne_u16_e32 vcc, s22, v3
	s_and_b64 s[22:23], vcc, exec
	s_andn2_saveexec_b64 s[20:21], s[20:21]
	s_cbranch_execnz .LBB30_1185
.LBB30_1170:
	s_or_b64 exec, exec, s[20:21]
	v_mov_b32_e32 v4, 0
	s_and_saveexec_b64 s[20:21], s[22:23]
	s_cbranch_execz .LBB30_1172
.LBB30_1171:
	v_lshlrev_b32_e32 v4, 24, v3
	v_and_b32_e32 v3, 0xffff, v3
	v_and_b32_e32 v5, 7, v3
	v_ffbh_u32_e32 v8, v5
	v_min_u32_e32 v8, 32, v8
	v_subrev_u32_e32 v10, 28, v8
	v_bfe_u32 v7, v3, 3, 4
	v_lshlrev_b32_e32 v3, v10, v3
	v_sub_u32_e32 v8, 29, v8
	v_and_b32_e32 v3, 7, v3
	v_cmp_eq_u32_e32 vcc, 0, v7
	v_cndmask_b32_e32 v7, v7, v8, vcc
	v_cndmask_b32_e32 v3, v5, v3, vcc
	v_mov_b32_e32 v5, 0x3b800000
	v_lshlrev_b32_e32 v3, 20, v3
	v_and_b32_e32 v4, 0x80000000, v4
	v_lshl_add_u32 v5, v7, 23, v5
	v_or3_b32 v3, v4, v5, v3
	v_cvt_i32_f32_e32 v4, v3
.LBB30_1172:
	s_or_b64 exec, exec, s[20:21]
.LBB30_1173:
	s_mov_b64 s[20:21], -1
.LBB30_1174:
	s_branch .LBB30_1205
.LBB30_1175:
	s_cmp_gt_i32 s15, 22
	s_cbranch_scc0 .LBB30_1183
; %bb.1176:
	s_cmp_lt_i32 s15, 24
	s_cbranch_scc1 .LBB30_1186
; %bb.1177:
	s_cmp_gt_i32 s15, 24
	s_cbranch_scc0 .LBB30_1187
; %bb.1178:
	global_load_ubyte v3, v[0:1], off
	s_movk_i32 s4, 0x7f
	s_mov_b64 s[20:21], 0
	s_waitcnt vmcnt(0)
	v_cmp_lt_i16_e32 vcc, s4, v3
	s_and_saveexec_b64 s[4:5], vcc
	s_xor_b64 s[4:5], exec, s[4:5]
	s_cbranch_execz .LBB30_1199
; %bb.1179:
	s_movk_i32 s20, 0x80
	v_cmp_ne_u16_e32 vcc, s20, v3
	s_and_b64 s[20:21], vcc, exec
	s_andn2_saveexec_b64 s[4:5], s[4:5]
	s_cbranch_execnz .LBB30_1200
.LBB30_1180:
	s_or_b64 exec, exec, s[4:5]
	v_mov_b32_e32 v4, 0
	s_and_saveexec_b64 s[4:5], s[20:21]
	s_cbranch_execz .LBB30_1182
.LBB30_1181:
	v_lshlrev_b32_e32 v4, 24, v3
	v_and_b32_e32 v3, 0xffff, v3
	v_and_b32_e32 v5, 3, v3
	v_ffbh_u32_e32 v8, v5
	v_min_u32_e32 v8, 32, v8
	v_subrev_u32_e32 v10, 29, v8
	v_bfe_u32 v7, v3, 2, 5
	v_lshlrev_b32_e32 v3, v10, v3
	v_sub_u32_e32 v8, 30, v8
	v_and_b32_e32 v3, 3, v3
	v_cmp_eq_u32_e32 vcc, 0, v7
	v_cndmask_b32_e32 v7, v7, v8, vcc
	v_cndmask_b32_e32 v3, v5, v3, vcc
	v_mov_b32_e32 v5, 0x37800000
	v_lshlrev_b32_e32 v3, 21, v3
	v_and_b32_e32 v4, 0x80000000, v4
	v_lshl_add_u32 v5, v7, 23, v5
	v_or3_b32 v3, v4, v5, v3
	v_cvt_i32_f32_e32 v4, v3
.LBB30_1182:
	s_or_b64 exec, exec, s[4:5]
	s_mov_b64 s[4:5], 0
	s_branch .LBB30_1188
.LBB30_1183:
	s_mov_b64 s[4:5], -1
                                        ; implicit-def: $vgpr4
	s_branch .LBB30_1194
.LBB30_1184:
	s_andn2_saveexec_b64 s[20:21], s[20:21]
	s_cbranch_execz .LBB30_1170
.LBB30_1185:
	v_cmp_ne_u16_e32 vcc, 0, v3
	s_andn2_b64 s[22:23], s[22:23], exec
	s_and_b64 s[24:25], vcc, exec
	s_or_b64 s[22:23], s[22:23], s[24:25]
	s_or_b64 exec, exec, s[20:21]
	v_mov_b32_e32 v4, 0
	s_and_saveexec_b64 s[20:21], s[22:23]
	s_cbranch_execnz .LBB30_1171
	s_branch .LBB30_1172
.LBB30_1186:
	s_mov_b64 s[4:5], -1
                                        ; implicit-def: $vgpr4
	s_branch .LBB30_1191
.LBB30_1187:
	s_mov_b64 s[4:5], -1
                                        ; implicit-def: $vgpr4
.LBB30_1188:
	s_and_b64 vcc, exec, s[4:5]
	s_cbranch_vccz .LBB30_1190
; %bb.1189:
	global_load_ubyte v3, v[0:1], off
	s_mov_b32 s4, 0x7f800000
	s_waitcnt vmcnt(0)
	v_lshlrev_b32_e32 v3, 24, v3
	v_and_b32_e32 v4, 0x7f000000, v3
	v_ffbh_u32_e32 v5, v4
	v_min_u32_e32 v5, 32, v5
	v_sub_u32_e64 v5, v5, 4 clamp
	v_lshlrev_b32_e32 v8, v5, v4
	v_lshlrev_b32_e32 v5, 23, v5
	v_lshrrev_b32_e32 v8, 4, v8
	v_add_u32_e32 v7, 0x1000000, v4
	v_sub_u32_e32 v5, v8, v5
	v_ashrrev_i32_e32 v7, 8, v7
	v_add_u32_e32 v5, 0x3c000000, v5
	v_and_or_b32 v5, v7, s4, v5
	v_cmp_ne_u32_e32 vcc, 0, v4
	v_cndmask_b32_e32 v4, 0, v5, vcc
	s_brev_b32 s4, 1
	v_and_or_b32 v3, v3, s4, v4
	v_cvt_i32_f32_e32 v4, v3
.LBB30_1190:
	s_mov_b64 s[4:5], 0
.LBB30_1191:
	s_andn2_b64 vcc, exec, s[4:5]
	s_cbranch_vccnz .LBB30_1193
; %bb.1192:
	global_load_ubyte v3, v[0:1], off
	s_movk_i32 s4, 0x7f00
	s_brev_b32 s5, 16
	s_waitcnt vmcnt(0)
	v_lshlrev_b16_e32 v4, 8, v3
	v_lshlrev_b32_e32 v3, 25, v3
	v_lshrrev_b32_e32 v5, 4, v3
	v_and_or_b32 v7, v4, s4, 0.5
	v_or_b32_e32 v5, 0x70000000, v5
	v_add_f32_e32 v7, -0.5, v7
	v_mul_f32_e32 v5, 0x7800000, v5
	v_cmp_gt_u32_e32 vcc, s5, v3
	v_bfe_i32 v4, v4, 0, 16
	v_cndmask_b32_e32 v3, v5, v7, vcc
	s_brev_b32 s4, 1
	v_and_or_b32 v3, v4, s4, v3
	v_cvt_i32_f32_e32 v4, v3
.LBB30_1193:
	s_mov_b64 s[4:5], 0
	s_mov_b64 s[20:21], -1
.LBB30_1194:
	s_andn2_b64 vcc, exec, s[4:5]
	s_mov_b64 s[4:5], 0
	s_cbranch_vccnz .LBB30_1205
; %bb.1195:
	s_cmp_gt_i32 s15, 14
	s_cbranch_scc0 .LBB30_1198
; %bb.1196:
	s_cmp_eq_u32 s15, 15
	s_cbranch_scc0 .LBB30_1201
; %bb.1197:
	global_load_ushort v3, v[0:1], off
	s_mov_b64 s[0:1], 0
	s_mov_b64 s[20:21], -1
	s_waitcnt vmcnt(0)
	v_lshlrev_b32_e32 v3, 16, v3
	v_cvt_i32_f32_e32 v4, v3
	s_branch .LBB30_1202
.LBB30_1198:
	s_mov_b64 s[22:23], -1
                                        ; implicit-def: $vgpr4
	s_branch .LBB30_1203
.LBB30_1199:
	s_andn2_saveexec_b64 s[4:5], s[4:5]
	s_cbranch_execz .LBB30_1180
.LBB30_1200:
	v_cmp_ne_u16_e32 vcc, 0, v3
	s_andn2_b64 s[20:21], s[20:21], exec
	s_and_b64 s[22:23], vcc, exec
	s_or_b64 s[20:21], s[20:21], s[22:23]
	s_or_b64 exec, exec, s[4:5]
	v_mov_b32_e32 v4, 0
	s_and_saveexec_b64 s[4:5], s[20:21]
	s_cbranch_execnz .LBB30_1181
	s_branch .LBB30_1182
.LBB30_1201:
	s_mov_b64 s[0:1], -1
                                        ; implicit-def: $vgpr4
.LBB30_1202:
	s_mov_b64 s[22:23], 0
.LBB30_1203:
	s_and_b64 vcc, exec, s[22:23]
	s_cbranch_vccz .LBB30_1205
; %bb.1204:
	s_cmp_lg_u32 s15, 11
	s_mov_b64 s[4:5], -1
	s_cselect_b64 s[0:1], -1, 0
.LBB30_1205:
	s_and_b64 vcc, exec, s[0:1]
	s_cbranch_vccnz .LBB30_1268
; %bb.1206:
	s_andn2_b64 vcc, exec, s[4:5]
	s_cbranch_vccnz .LBB30_1208
.LBB30_1207:
	global_load_ubyte v3, v[0:1], off
	s_mov_b64 s[20:21], -1
	s_waitcnt vmcnt(0)
	v_cmp_ne_u16_e32 vcc, 0, v3
	v_cndmask_b32_e64 v4, 0, 1, vcc
.LBB30_1208:
	s_branch .LBB30_1139
.LBB30_1209:
	s_cmp_lt_i32 s15, 5
	s_cbranch_scc1 .LBB30_1214
; %bb.1210:
	s_cmp_lt_i32 s15, 8
	s_cbranch_scc1 .LBB30_1215
; %bb.1211:
	s_cmp_lt_i32 s15, 9
	s_cbranch_scc1 .LBB30_1216
; %bb.1212:
	s_cmp_gt_i32 s15, 9
	s_cbranch_scc0 .LBB30_1217
; %bb.1213:
	global_load_dwordx2 v[3:4], v[0:1], off
	s_mov_b64 s[0:1], 0
	s_waitcnt vmcnt(0)
	v_cvt_i32_f64_e32 v4, v[3:4]
	s_branch .LBB30_1218
.LBB30_1214:
                                        ; implicit-def: $vgpr4
	s_branch .LBB30_1236
.LBB30_1215:
	s_mov_b64 s[0:1], -1
                                        ; implicit-def: $vgpr4
	s_branch .LBB30_1224
.LBB30_1216:
	s_mov_b64 s[0:1], -1
                                        ; implicit-def: $vgpr4
	s_branch .LBB30_1221
.LBB30_1217:
	s_mov_b64 s[0:1], -1
                                        ; implicit-def: $vgpr4
.LBB30_1218:
	s_andn2_b64 vcc, exec, s[0:1]
	s_cbranch_vccnz .LBB30_1220
; %bb.1219:
	global_load_dword v3, v[0:1], off
	s_waitcnt vmcnt(0)
	v_cvt_i32_f32_e32 v4, v3
.LBB30_1220:
	s_mov_b64 s[0:1], 0
.LBB30_1221:
	s_andn2_b64 vcc, exec, s[0:1]
	s_cbranch_vccnz .LBB30_1223
; %bb.1222:
	global_load_dword v3, v[0:1], off
	s_waitcnt vmcnt(0)
	v_cvt_i16_f16_e32 v4, v3
.LBB30_1223:
	s_mov_b64 s[0:1], 0
.LBB30_1224:
	s_andn2_b64 vcc, exec, s[0:1]
	s_cbranch_vccnz .LBB30_1235
; %bb.1225:
	s_cmp_lt_i32 s15, 6
	s_cbranch_scc1 .LBB30_1228
; %bb.1226:
	s_cmp_gt_i32 s15, 6
	s_cbranch_scc0 .LBB30_1229
; %bb.1227:
	global_load_dwordx2 v[3:4], v[0:1], off
	s_mov_b64 s[0:1], 0
	s_waitcnt vmcnt(0)
	v_cvt_i32_f64_e32 v4, v[3:4]
	s_branch .LBB30_1230
.LBB30_1228:
	s_mov_b64 s[0:1], -1
                                        ; implicit-def: $vgpr4
	s_branch .LBB30_1233
.LBB30_1229:
	s_mov_b64 s[0:1], -1
                                        ; implicit-def: $vgpr4
.LBB30_1230:
	s_andn2_b64 vcc, exec, s[0:1]
	s_cbranch_vccnz .LBB30_1232
; %bb.1231:
	global_load_dword v3, v[0:1], off
	s_waitcnt vmcnt(0)
	v_cvt_i32_f32_e32 v4, v3
.LBB30_1232:
	s_mov_b64 s[0:1], 0
.LBB30_1233:
	s_andn2_b64 vcc, exec, s[0:1]
	s_cbranch_vccnz .LBB30_1235
; %bb.1234:
	global_load_ushort v3, v[0:1], off
	s_waitcnt vmcnt(0)
	v_cvt_i16_f16_e32 v4, v3
.LBB30_1235:
	s_cbranch_execnz .LBB30_1255
.LBB30_1236:
	s_cmp_lt_i32 s15, 2
	s_cbranch_scc1 .LBB30_1240
; %bb.1237:
	s_cmp_lt_i32 s15, 3
	s_cbranch_scc1 .LBB30_1241
; %bb.1238:
	s_cmp_gt_i32 s15, 3
	s_cbranch_scc0 .LBB30_1242
; %bb.1239:
	global_load_dwordx2 v[4:5], v[0:1], off
	s_mov_b64 s[0:1], 0
	s_branch .LBB30_1243
.LBB30_1240:
	s_mov_b64 s[0:1], -1
                                        ; implicit-def: $vgpr4
	s_branch .LBB30_1249
.LBB30_1241:
	s_mov_b64 s[0:1], -1
                                        ; implicit-def: $vgpr4
	s_branch .LBB30_1246
.LBB30_1242:
	s_mov_b64 s[0:1], -1
                                        ; implicit-def: $vgpr4
.LBB30_1243:
	s_andn2_b64 vcc, exec, s[0:1]
	s_cbranch_vccnz .LBB30_1245
; %bb.1244:
	global_load_dword v4, v[0:1], off
.LBB30_1245:
	s_mov_b64 s[0:1], 0
.LBB30_1246:
	s_andn2_b64 vcc, exec, s[0:1]
	s_cbranch_vccnz .LBB30_1248
; %bb.1247:
	global_load_ushort v4, v[0:1], off
.LBB30_1248:
	s_mov_b64 s[0:1], 0
.LBB30_1249:
	s_andn2_b64 vcc, exec, s[0:1]
	s_cbranch_vccnz .LBB30_1255
; %bb.1250:
	s_cmp_gt_i32 s15, 0
	s_cbranch_scc0 .LBB30_1252
; %bb.1251:
	global_load_ubyte v4, v[0:1], off
	s_mov_b64 s[0:1], 0
	s_branch .LBB30_1253
.LBB30_1252:
	s_mov_b64 s[0:1], -1
                                        ; implicit-def: $vgpr4
.LBB30_1253:
	s_andn2_b64 vcc, exec, s[0:1]
	s_cbranch_vccnz .LBB30_1255
; %bb.1254:
	global_load_ubyte v4, v[0:1], off
.LBB30_1255:
.LBB30_1256:
	s_waitcnt vmcnt(0)
	v_add_u32_e32 v5, s13, v2
	v_ashrrev_i32_e32 v1, 31, v5
	v_mov_b32_e32 v2, s11
	v_add_co_u32_e32 v0, vcc, s10, v5
	s_cmp_lt_i32 s15, 11
	v_addc_co_u32_e32 v1, vcc, v2, v1, vcc
	s_cbranch_scc1 .LBB30_1263
; %bb.1257:
	s_cmp_gt_i32 s15, 25
	s_mov_b64 s[4:5], 0
	s_cbranch_scc0 .LBB30_1265
; %bb.1258:
	s_cmp_gt_i32 s15, 28
	s_cbranch_scc0 .LBB30_1266
; %bb.1259:
	s_cmp_gt_i32 s15, 43
	;; [unrolled: 3-line block ×3, first 2 shown]
	s_cbranch_scc0 .LBB30_1269
; %bb.1261:
	s_cmp_eq_u32 s15, 46
	s_mov_b64 s[22:23], 0
	s_cbranch_scc0 .LBB30_1270
; %bb.1262:
	global_load_dword v2, v[0:1], off
	s_mov_b64 s[0:1], 0
	s_mov_b64 s[20:21], -1
	s_waitcnt vmcnt(0)
	v_lshlrev_b32_e32 v2, 16, v2
	v_cvt_i32_f32_e32 v2, v2
	s_branch .LBB30_1271
.LBB30_1263:
	s_mov_b64 s[20:21], 0
                                        ; implicit-def: $vgpr2
	s_cbranch_execnz .LBB30_1333
.LBB30_1264:
	s_andn2_b64 vcc, exec, s[20:21]
	s_cbranch_vccnz .LBB30_1940
	s_branch .LBB30_1381
.LBB30_1265:
	s_mov_b64 s[22:23], -1
	s_mov_b64 s[20:21], 0
	s_mov_b64 s[0:1], 0
                                        ; implicit-def: $vgpr2
	s_branch .LBB30_1298
.LBB30_1266:
	s_mov_b64 s[22:23], -1
	s_mov_b64 s[20:21], 0
	s_mov_b64 s[0:1], 0
                                        ; implicit-def: $vgpr2
	s_branch .LBB30_1281
.LBB30_1267:
	s_mov_b64 s[22:23], -1
	s_mov_b64 s[20:21], 0
	s_mov_b64 s[0:1], 0
                                        ; implicit-def: $vgpr2
	s_branch .LBB30_1276
.LBB30_1268:
	s_trap 2
	s_or_b64 s[18:19], s[18:19], exec
	s_cbranch_execz .LBB30_1207
	s_branch .LBB30_1208
.LBB30_1269:
	s_mov_b64 s[22:23], -1
	s_mov_b64 s[20:21], 0
	s_mov_b64 s[0:1], 0
                                        ; implicit-def: $vgpr2
	s_branch .LBB30_1271
.LBB30_1270:
	s_mov_b64 s[0:1], -1
                                        ; implicit-def: $vgpr2
	s_mov_b64 s[20:21], 0
.LBB30_1271:
	s_and_b64 vcc, exec, s[22:23]
	s_cbranch_vccz .LBB30_1275
; %bb.1272:
	s_cmp_eq_u32 s15, 44
	s_cbranch_scc0 .LBB30_1274
; %bb.1273:
	global_load_ubyte v2, v[0:1], off
	s_mov_b64 s[0:1], 0
	s_mov_b64 s[20:21], -1
	s_waitcnt vmcnt(0)
	v_lshlrev_b32_e32 v3, 23, v2
	v_cvt_i32_f32_e32 v3, v3
	v_cmp_ne_u32_e32 vcc, 0, v2
	v_cndmask_b32_e32 v2, 0, v3, vcc
	s_branch .LBB30_1275
.LBB30_1274:
	s_mov_b64 s[0:1], -1
                                        ; implicit-def: $vgpr2
.LBB30_1275:
	s_mov_b64 s[22:23], 0
.LBB30_1276:
	s_and_b64 vcc, exec, s[22:23]
	s_cbranch_vccz .LBB30_1280
; %bb.1277:
	s_cmp_eq_u32 s15, 29
	s_cbranch_scc0 .LBB30_1279
; %bb.1278:
	global_load_dwordx2 v[2:3], v[0:1], off
	s_mov_b64 s[0:1], 0
	s_mov_b64 s[20:21], -1
	s_branch .LBB30_1280
.LBB30_1279:
	s_mov_b64 s[0:1], -1
                                        ; implicit-def: $vgpr2
.LBB30_1280:
	s_mov_b64 s[22:23], 0
.LBB30_1281:
	s_and_b64 vcc, exec, s[22:23]
	s_cbranch_vccz .LBB30_1297
; %bb.1282:
	s_cmp_lt_i32 s15, 27
	s_cbranch_scc1 .LBB30_1285
; %bb.1283:
	s_cmp_gt_i32 s15, 27
	s_cbranch_scc0 .LBB30_1286
; %bb.1284:
	global_load_dword v2, v[0:1], off
	s_mov_b64 s[20:21], 0
	s_branch .LBB30_1287
.LBB30_1285:
	s_mov_b64 s[20:21], -1
                                        ; implicit-def: $vgpr2
	s_branch .LBB30_1290
.LBB30_1286:
	s_mov_b64 s[20:21], -1
                                        ; implicit-def: $vgpr2
.LBB30_1287:
	s_andn2_b64 vcc, exec, s[20:21]
	s_cbranch_vccnz .LBB30_1289
; %bb.1288:
	global_load_ushort v2, v[0:1], off
.LBB30_1289:
	s_mov_b64 s[20:21], 0
.LBB30_1290:
	s_andn2_b64 vcc, exec, s[20:21]
	s_cbranch_vccnz .LBB30_1296
; %bb.1291:
	global_load_ubyte v3, v[0:1], off
	s_movk_i32 s20, 0x7f
	s_mov_b64 s[22:23], 0
	s_waitcnt vmcnt(0)
	v_cmp_lt_i16_e32 vcc, s20, v3
	s_and_saveexec_b64 s[20:21], vcc
	s_xor_b64 s[20:21], exec, s[20:21]
	s_cbranch_execz .LBB30_1308
; %bb.1292:
	s_movk_i32 s22, 0x80
	v_cmp_ne_u16_e32 vcc, s22, v3
	s_and_b64 s[22:23], vcc, exec
	s_andn2_saveexec_b64 s[20:21], s[20:21]
	s_cbranch_execnz .LBB30_1309
.LBB30_1293:
	s_or_b64 exec, exec, s[20:21]
	v_mov_b32_e32 v2, 0
	s_and_saveexec_b64 s[20:21], s[22:23]
	s_cbranch_execz .LBB30_1295
.LBB30_1294:
	v_lshlrev_b32_e32 v2, 24, v3
	v_and_b32_e32 v3, 0xffff, v3
	v_and_b32_e32 v7, 7, v3
	v_ffbh_u32_e32 v10, v7
	v_min_u32_e32 v10, 32, v10
	v_subrev_u32_e32 v11, 28, v10
	v_bfe_u32 v8, v3, 3, 4
	v_lshlrev_b32_e32 v3, v11, v3
	v_sub_u32_e32 v10, 29, v10
	v_and_b32_e32 v3, 7, v3
	v_cmp_eq_u32_e32 vcc, 0, v8
	v_cndmask_b32_e32 v8, v8, v10, vcc
	v_cndmask_b32_e32 v3, v7, v3, vcc
	v_mov_b32_e32 v7, 0x3b800000
	v_lshlrev_b32_e32 v3, 20, v3
	v_and_b32_e32 v2, 0x80000000, v2
	v_lshl_add_u32 v7, v8, 23, v7
	v_or3_b32 v2, v2, v7, v3
	v_cvt_i32_f32_e32 v2, v2
.LBB30_1295:
	s_or_b64 exec, exec, s[20:21]
.LBB30_1296:
	s_mov_b64 s[20:21], -1
.LBB30_1297:
	s_mov_b64 s[22:23], 0
.LBB30_1298:
	s_and_b64 vcc, exec, s[22:23]
	s_cbranch_vccz .LBB30_1329
; %bb.1299:
	s_cmp_gt_i32 s15, 22
	s_cbranch_scc0 .LBB30_1307
; %bb.1300:
	s_cmp_lt_i32 s15, 24
	s_cbranch_scc1 .LBB30_1310
; %bb.1301:
	s_cmp_gt_i32 s15, 24
	s_cbranch_scc0 .LBB30_1311
; %bb.1302:
	global_load_ubyte v3, v[0:1], off
	s_movk_i32 s4, 0x7f
	s_mov_b64 s[20:21], 0
	s_waitcnt vmcnt(0)
	v_cmp_lt_i16_e32 vcc, s4, v3
	s_and_saveexec_b64 s[4:5], vcc
	s_xor_b64 s[4:5], exec, s[4:5]
	s_cbranch_execz .LBB30_1323
; %bb.1303:
	s_movk_i32 s20, 0x80
	v_cmp_ne_u16_e32 vcc, s20, v3
	s_and_b64 s[20:21], vcc, exec
	s_andn2_saveexec_b64 s[4:5], s[4:5]
	s_cbranch_execnz .LBB30_1324
.LBB30_1304:
	s_or_b64 exec, exec, s[4:5]
	v_mov_b32_e32 v2, 0
	s_and_saveexec_b64 s[4:5], s[20:21]
	s_cbranch_execz .LBB30_1306
.LBB30_1305:
	v_lshlrev_b32_e32 v2, 24, v3
	v_and_b32_e32 v3, 0xffff, v3
	v_and_b32_e32 v7, 3, v3
	v_ffbh_u32_e32 v10, v7
	v_min_u32_e32 v10, 32, v10
	v_subrev_u32_e32 v11, 29, v10
	v_bfe_u32 v8, v3, 2, 5
	v_lshlrev_b32_e32 v3, v11, v3
	v_sub_u32_e32 v10, 30, v10
	v_and_b32_e32 v3, 3, v3
	v_cmp_eq_u32_e32 vcc, 0, v8
	v_cndmask_b32_e32 v8, v8, v10, vcc
	v_cndmask_b32_e32 v3, v7, v3, vcc
	v_mov_b32_e32 v7, 0x37800000
	v_lshlrev_b32_e32 v3, 21, v3
	v_and_b32_e32 v2, 0x80000000, v2
	v_lshl_add_u32 v7, v8, 23, v7
	v_or3_b32 v2, v2, v7, v3
	v_cvt_i32_f32_e32 v2, v2
.LBB30_1306:
	s_or_b64 exec, exec, s[4:5]
	s_mov_b64 s[4:5], 0
	s_branch .LBB30_1312
.LBB30_1307:
	s_mov_b64 s[4:5], -1
                                        ; implicit-def: $vgpr2
	s_branch .LBB30_1318
.LBB30_1308:
	s_andn2_saveexec_b64 s[20:21], s[20:21]
	s_cbranch_execz .LBB30_1293
.LBB30_1309:
	v_cmp_ne_u16_e32 vcc, 0, v3
	s_andn2_b64 s[22:23], s[22:23], exec
	s_and_b64 s[24:25], vcc, exec
	s_or_b64 s[22:23], s[22:23], s[24:25]
	s_or_b64 exec, exec, s[20:21]
	v_mov_b32_e32 v2, 0
	s_and_saveexec_b64 s[20:21], s[22:23]
	s_cbranch_execnz .LBB30_1294
	s_branch .LBB30_1295
.LBB30_1310:
	s_mov_b64 s[4:5], -1
                                        ; implicit-def: $vgpr2
	s_branch .LBB30_1315
.LBB30_1311:
	s_mov_b64 s[4:5], -1
                                        ; implicit-def: $vgpr2
.LBB30_1312:
	s_and_b64 vcc, exec, s[4:5]
	s_cbranch_vccz .LBB30_1314
; %bb.1313:
	global_load_ubyte v2, v[0:1], off
	s_mov_b32 s4, 0x7f800000
	s_waitcnt vmcnt(0)
	v_lshlrev_b32_e32 v2, 24, v2
	v_and_b32_e32 v3, 0x7f000000, v2
	v_ffbh_u32_e32 v7, v3
	v_min_u32_e32 v7, 32, v7
	v_sub_u32_e64 v7, v7, 4 clamp
	v_lshlrev_b32_e32 v10, v7, v3
	v_lshlrev_b32_e32 v7, 23, v7
	v_lshrrev_b32_e32 v10, 4, v10
	v_add_u32_e32 v8, 0x1000000, v3
	v_sub_u32_e32 v7, v10, v7
	v_ashrrev_i32_e32 v8, 8, v8
	v_add_u32_e32 v7, 0x3c000000, v7
	v_and_or_b32 v7, v8, s4, v7
	v_cmp_ne_u32_e32 vcc, 0, v3
	v_cndmask_b32_e32 v3, 0, v7, vcc
	s_brev_b32 s4, 1
	v_and_or_b32 v2, v2, s4, v3
	v_cvt_i32_f32_e32 v2, v2
.LBB30_1314:
	s_mov_b64 s[4:5], 0
.LBB30_1315:
	s_andn2_b64 vcc, exec, s[4:5]
	s_cbranch_vccnz .LBB30_1317
; %bb.1316:
	global_load_ubyte v2, v[0:1], off
	s_movk_i32 s4, 0x7f00
	s_brev_b32 s5, 16
	s_waitcnt vmcnt(0)
	v_lshlrev_b16_e32 v3, 8, v2
	v_lshlrev_b32_e32 v2, 25, v2
	v_lshrrev_b32_e32 v7, 4, v2
	v_and_or_b32 v8, v3, s4, 0.5
	v_or_b32_e32 v7, 0x70000000, v7
	v_add_f32_e32 v8, -0.5, v8
	v_mul_f32_e32 v7, 0x7800000, v7
	v_cmp_gt_u32_e32 vcc, s5, v2
	v_bfe_i32 v3, v3, 0, 16
	v_cndmask_b32_e32 v2, v7, v8, vcc
	s_brev_b32 s4, 1
	v_and_or_b32 v2, v3, s4, v2
	v_cvt_i32_f32_e32 v2, v2
.LBB30_1317:
	s_mov_b64 s[4:5], 0
	s_mov_b64 s[20:21], -1
.LBB30_1318:
	s_andn2_b64 vcc, exec, s[4:5]
	s_mov_b64 s[4:5], 0
	s_cbranch_vccnz .LBB30_1329
; %bb.1319:
	s_cmp_gt_i32 s15, 14
	s_cbranch_scc0 .LBB30_1322
; %bb.1320:
	s_cmp_eq_u32 s15, 15
	s_cbranch_scc0 .LBB30_1325
; %bb.1321:
	global_load_ushort v2, v[0:1], off
	s_mov_b64 s[0:1], 0
	s_mov_b64 s[20:21], -1
	s_waitcnt vmcnt(0)
	v_lshlrev_b32_e32 v2, 16, v2
	v_cvt_i32_f32_e32 v2, v2
	s_branch .LBB30_1326
.LBB30_1322:
	s_mov_b64 s[22:23], -1
                                        ; implicit-def: $vgpr2
	s_branch .LBB30_1327
.LBB30_1323:
	s_andn2_saveexec_b64 s[4:5], s[4:5]
	s_cbranch_execz .LBB30_1304
.LBB30_1324:
	v_cmp_ne_u16_e32 vcc, 0, v3
	s_andn2_b64 s[20:21], s[20:21], exec
	s_and_b64 s[22:23], vcc, exec
	s_or_b64 s[20:21], s[20:21], s[22:23]
	s_or_b64 exec, exec, s[4:5]
	v_mov_b32_e32 v2, 0
	s_and_saveexec_b64 s[4:5], s[20:21]
	s_cbranch_execnz .LBB30_1305
	s_branch .LBB30_1306
.LBB30_1325:
	s_mov_b64 s[0:1], -1
                                        ; implicit-def: $vgpr2
.LBB30_1326:
	s_mov_b64 s[22:23], 0
.LBB30_1327:
	s_and_b64 vcc, exec, s[22:23]
	s_cbranch_vccz .LBB30_1329
; %bb.1328:
	s_cmp_lg_u32 s15, 11
	s_mov_b64 s[4:5], -1
	s_cselect_b64 s[0:1], -1, 0
.LBB30_1329:
	s_and_b64 vcc, exec, s[0:1]
	s_cbranch_vccnz .LBB30_1392
; %bb.1330:
	s_andn2_b64 vcc, exec, s[4:5]
	s_cbranch_vccnz .LBB30_1332
.LBB30_1331:
	global_load_ubyte v2, v[0:1], off
	s_mov_b64 s[20:21], -1
	s_waitcnt vmcnt(0)
	v_cmp_ne_u16_e32 vcc, 0, v2
	v_cndmask_b32_e64 v2, 0, 1, vcc
.LBB30_1332:
	s_branch .LBB30_1264
.LBB30_1333:
	s_cmp_lt_i32 s15, 5
	s_cbranch_scc1 .LBB30_1338
; %bb.1334:
	s_cmp_lt_i32 s15, 8
	s_cbranch_scc1 .LBB30_1339
; %bb.1335:
	;; [unrolled: 3-line block ×3, first 2 shown]
	s_cmp_gt_i32 s15, 9
	s_cbranch_scc0 .LBB30_1341
; %bb.1337:
	global_load_dwordx2 v[2:3], v[0:1], off
	s_mov_b64 s[0:1], 0
	s_waitcnt vmcnt(0)
	v_cvt_i32_f64_e32 v2, v[2:3]
	s_branch .LBB30_1342
.LBB30_1338:
	s_mov_b64 s[0:1], -1
                                        ; implicit-def: $vgpr2
	s_branch .LBB30_1360
.LBB30_1339:
	s_mov_b64 s[0:1], -1
                                        ; implicit-def: $vgpr2
	s_branch .LBB30_1348
.LBB30_1340:
	s_mov_b64 s[0:1], -1
                                        ; implicit-def: $vgpr2
	s_branch .LBB30_1345
.LBB30_1341:
	s_mov_b64 s[0:1], -1
                                        ; implicit-def: $vgpr2
.LBB30_1342:
	s_andn2_b64 vcc, exec, s[0:1]
	s_cbranch_vccnz .LBB30_1344
; %bb.1343:
	global_load_dword v2, v[0:1], off
	s_waitcnt vmcnt(0)
	v_cvt_i32_f32_e32 v2, v2
.LBB30_1344:
	s_mov_b64 s[0:1], 0
.LBB30_1345:
	s_andn2_b64 vcc, exec, s[0:1]
	s_cbranch_vccnz .LBB30_1347
; %bb.1346:
	global_load_dword v2, v[0:1], off
	s_waitcnt vmcnt(0)
	v_cvt_i16_f16_e32 v2, v2
.LBB30_1347:
	s_mov_b64 s[0:1], 0
.LBB30_1348:
	s_andn2_b64 vcc, exec, s[0:1]
	s_cbranch_vccnz .LBB30_1359
; %bb.1349:
	s_cmp_lt_i32 s15, 6
	s_cbranch_scc1 .LBB30_1352
; %bb.1350:
	s_cmp_gt_i32 s15, 6
	s_cbranch_scc0 .LBB30_1353
; %bb.1351:
	global_load_dwordx2 v[2:3], v[0:1], off
	s_mov_b64 s[0:1], 0
	s_waitcnt vmcnt(0)
	v_cvt_i32_f64_e32 v2, v[2:3]
	s_branch .LBB30_1354
.LBB30_1352:
	s_mov_b64 s[0:1], -1
                                        ; implicit-def: $vgpr2
	s_branch .LBB30_1357
.LBB30_1353:
	s_mov_b64 s[0:1], -1
                                        ; implicit-def: $vgpr2
.LBB30_1354:
	s_andn2_b64 vcc, exec, s[0:1]
	s_cbranch_vccnz .LBB30_1356
; %bb.1355:
	global_load_dword v2, v[0:1], off
	s_waitcnt vmcnt(0)
	v_cvt_i32_f32_e32 v2, v2
.LBB30_1356:
	s_mov_b64 s[0:1], 0
.LBB30_1357:
	s_andn2_b64 vcc, exec, s[0:1]
	s_cbranch_vccnz .LBB30_1359
; %bb.1358:
	global_load_ushort v2, v[0:1], off
	s_waitcnt vmcnt(0)
	v_cvt_i16_f16_e32 v2, v2
.LBB30_1359:
	s_mov_b64 s[0:1], 0
.LBB30_1360:
	s_andn2_b64 vcc, exec, s[0:1]
	s_cbranch_vccnz .LBB30_1380
; %bb.1361:
	s_cmp_lt_i32 s15, 2
	s_cbranch_scc1 .LBB30_1365
; %bb.1362:
	s_cmp_lt_i32 s15, 3
	s_cbranch_scc1 .LBB30_1366
; %bb.1363:
	s_cmp_gt_i32 s15, 3
	s_cbranch_scc0 .LBB30_1367
; %bb.1364:
	global_load_dwordx2 v[2:3], v[0:1], off
	s_mov_b64 s[0:1], 0
	s_branch .LBB30_1368
.LBB30_1365:
	s_mov_b64 s[0:1], -1
                                        ; implicit-def: $vgpr2
	s_branch .LBB30_1374
.LBB30_1366:
	s_mov_b64 s[0:1], -1
                                        ; implicit-def: $vgpr2
	s_branch .LBB30_1371
.LBB30_1367:
	s_mov_b64 s[0:1], -1
                                        ; implicit-def: $vgpr2
.LBB30_1368:
	s_andn2_b64 vcc, exec, s[0:1]
	s_cbranch_vccnz .LBB30_1370
; %bb.1369:
	global_load_dword v2, v[0:1], off
.LBB30_1370:
	s_mov_b64 s[0:1], 0
.LBB30_1371:
	s_andn2_b64 vcc, exec, s[0:1]
	s_cbranch_vccnz .LBB30_1373
; %bb.1372:
	global_load_ushort v2, v[0:1], off
.LBB30_1373:
	s_mov_b64 s[0:1], 0
.LBB30_1374:
	s_andn2_b64 vcc, exec, s[0:1]
	s_cbranch_vccnz .LBB30_1380
; %bb.1375:
	s_cmp_gt_i32 s15, 0
	s_cbranch_scc0 .LBB30_1377
; %bb.1376:
	global_load_ubyte v2, v[0:1], off
	s_mov_b64 s[0:1], 0
	s_branch .LBB30_1378
.LBB30_1377:
	s_mov_b64 s[0:1], -1
                                        ; implicit-def: $vgpr2
.LBB30_1378:
	s_andn2_b64 vcc, exec, s[0:1]
	s_cbranch_vccnz .LBB30_1380
; %bb.1379:
	global_load_ubyte v2, v[0:1], off
.LBB30_1380:
.LBB30_1381:
	v_add_u32_e32 v0, s13, v5
	v_ashrrev_i32_e32 v1, 31, v0
	s_waitcnt vmcnt(0)
	v_mov_b32_e32 v3, s11
	v_add_co_u32_e32 v7, vcc, s10, v0
	s_cmp_lt_i32 s15, 11
	v_addc_co_u32_e32 v8, vcc, v3, v1, vcc
	s_cbranch_scc1 .LBB30_1388
; %bb.1382:
	s_cmp_gt_i32 s15, 25
	s_mov_b64 s[4:5], 0
	s_cbranch_scc0 .LBB30_1389
; %bb.1383:
	s_cmp_gt_i32 s15, 28
	s_cbranch_scc0 .LBB30_1390
; %bb.1384:
	s_cmp_gt_i32 s15, 43
	;; [unrolled: 3-line block ×3, first 2 shown]
	s_cbranch_scc0 .LBB30_1393
; %bb.1386:
	s_cmp_eq_u32 s15, 46
	s_mov_b64 s[20:21], 0
	s_cbranch_scc0 .LBB30_1394
; %bb.1387:
	global_load_dword v0, v[7:8], off
	s_mov_b64 s[0:1], 0
	s_mov_b64 s[10:11], -1
	s_waitcnt vmcnt(0)
	v_lshlrev_b32_e32 v0, 16, v0
	v_cvt_i32_f32_e32 v0, v0
	s_branch .LBB30_1395
.LBB30_1388:
	s_mov_b64 s[0:1], -1
	s_mov_b64 s[10:11], 0
                                        ; implicit-def: $vgpr0
	s_branch .LBB30_1457
.LBB30_1389:
	s_mov_b64 s[20:21], -1
	s_mov_b64 s[10:11], 0
	s_mov_b64 s[0:1], 0
                                        ; implicit-def: $vgpr0
	s_branch .LBB30_1422
.LBB30_1390:
	s_mov_b64 s[20:21], -1
	s_mov_b64 s[10:11], 0
	s_mov_b64 s[0:1], 0
                                        ; implicit-def: $vgpr0
	s_branch .LBB30_1405
.LBB30_1391:
	s_mov_b64 s[20:21], -1
	s_mov_b64 s[10:11], 0
	s_mov_b64 s[0:1], 0
                                        ; implicit-def: $vgpr0
	s_branch .LBB30_1400
.LBB30_1392:
	s_trap 2
	s_or_b64 s[18:19], s[18:19], exec
	s_cbranch_execz .LBB30_1331
	s_branch .LBB30_1332
.LBB30_1393:
	s_mov_b64 s[20:21], -1
	s_mov_b64 s[10:11], 0
	s_mov_b64 s[0:1], 0
                                        ; implicit-def: $vgpr0
	s_branch .LBB30_1395
.LBB30_1394:
	s_mov_b64 s[0:1], -1
                                        ; implicit-def: $vgpr0
	s_mov_b64 s[10:11], 0
.LBB30_1395:
	s_and_b64 vcc, exec, s[20:21]
	s_cbranch_vccz .LBB30_1399
; %bb.1396:
	s_cmp_eq_u32 s15, 44
	s_cbranch_scc0 .LBB30_1398
; %bb.1397:
	global_load_ubyte v0, v[7:8], off
	s_mov_b64 s[0:1], 0
	s_mov_b64 s[10:11], -1
	s_waitcnt vmcnt(0)
	v_lshlrev_b32_e32 v1, 23, v0
	v_cvt_i32_f32_e32 v1, v1
	v_cmp_ne_u32_e32 vcc, 0, v0
	v_cndmask_b32_e32 v0, 0, v1, vcc
	s_branch .LBB30_1399
.LBB30_1398:
	s_mov_b64 s[0:1], -1
                                        ; implicit-def: $vgpr0
.LBB30_1399:
	s_mov_b64 s[20:21], 0
.LBB30_1400:
	s_and_b64 vcc, exec, s[20:21]
	s_cbranch_vccz .LBB30_1404
; %bb.1401:
	s_cmp_eq_u32 s15, 29
	s_cbranch_scc0 .LBB30_1403
; %bb.1402:
	global_load_dwordx2 v[0:1], v[7:8], off
	s_mov_b64 s[0:1], 0
	s_mov_b64 s[10:11], -1
	s_branch .LBB30_1404
.LBB30_1403:
	s_mov_b64 s[0:1], -1
                                        ; implicit-def: $vgpr0
.LBB30_1404:
	s_mov_b64 s[20:21], 0
.LBB30_1405:
	s_and_b64 vcc, exec, s[20:21]
	s_cbranch_vccz .LBB30_1421
; %bb.1406:
	s_cmp_lt_i32 s15, 27
	s_cbranch_scc1 .LBB30_1409
; %bb.1407:
	s_cmp_gt_i32 s15, 27
	s_cbranch_scc0 .LBB30_1410
; %bb.1408:
	global_load_dword v0, v[7:8], off
	s_mov_b64 s[10:11], 0
	s_branch .LBB30_1411
.LBB30_1409:
	s_mov_b64 s[10:11], -1
                                        ; implicit-def: $vgpr0
	s_branch .LBB30_1414
.LBB30_1410:
	s_mov_b64 s[10:11], -1
                                        ; implicit-def: $vgpr0
.LBB30_1411:
	s_andn2_b64 vcc, exec, s[10:11]
	s_cbranch_vccnz .LBB30_1413
; %bb.1412:
	global_load_ushort v0, v[7:8], off
.LBB30_1413:
	s_mov_b64 s[10:11], 0
.LBB30_1414:
	s_andn2_b64 vcc, exec, s[10:11]
	s_cbranch_vccnz .LBB30_1420
; %bb.1415:
	global_load_ubyte v1, v[7:8], off
	s_movk_i32 s10, 0x7f
	s_mov_b64 s[20:21], 0
	s_waitcnt vmcnt(0)
	v_cmp_lt_i16_e32 vcc, s10, v1
	s_and_saveexec_b64 s[10:11], vcc
	s_xor_b64 s[10:11], exec, s[10:11]
	s_cbranch_execz .LBB30_1432
; %bb.1416:
	s_movk_i32 s13, 0x80
	v_cmp_ne_u16_e32 vcc, s13, v1
	s_and_b64 s[20:21], vcc, exec
	s_andn2_saveexec_b64 s[10:11], s[10:11]
	s_cbranch_execnz .LBB30_1433
.LBB30_1417:
	s_or_b64 exec, exec, s[10:11]
	v_mov_b32_e32 v0, 0
	s_and_saveexec_b64 s[10:11], s[20:21]
	s_cbranch_execz .LBB30_1419
.LBB30_1418:
	v_lshlrev_b32_e32 v0, 24, v1
	v_and_b32_e32 v1, 0xffff, v1
	v_and_b32_e32 v3, 7, v1
	v_ffbh_u32_e32 v10, v3
	v_min_u32_e32 v10, 32, v10
	v_subrev_u32_e32 v11, 28, v10
	v_bfe_u32 v5, v1, 3, 4
	v_lshlrev_b32_e32 v1, v11, v1
	v_sub_u32_e32 v10, 29, v10
	v_and_b32_e32 v1, 7, v1
	v_cmp_eq_u32_e32 vcc, 0, v5
	v_cndmask_b32_e32 v5, v5, v10, vcc
	v_cndmask_b32_e32 v1, v3, v1, vcc
	v_mov_b32_e32 v3, 0x3b800000
	v_lshlrev_b32_e32 v1, 20, v1
	v_and_b32_e32 v0, 0x80000000, v0
	v_lshl_add_u32 v3, v5, 23, v3
	v_or3_b32 v0, v0, v3, v1
	v_cvt_i32_f32_e32 v0, v0
.LBB30_1419:
	s_or_b64 exec, exec, s[10:11]
.LBB30_1420:
	s_mov_b64 s[10:11], -1
.LBB30_1421:
	s_mov_b64 s[20:21], 0
.LBB30_1422:
	s_and_b64 vcc, exec, s[20:21]
	s_cbranch_vccz .LBB30_1453
; %bb.1423:
	s_cmp_gt_i32 s15, 22
	s_cbranch_scc0 .LBB30_1431
; %bb.1424:
	s_cmp_lt_i32 s15, 24
	s_cbranch_scc1 .LBB30_1434
; %bb.1425:
	s_cmp_gt_i32 s15, 24
	s_cbranch_scc0 .LBB30_1435
; %bb.1426:
	global_load_ubyte v1, v[7:8], off
	s_movk_i32 s4, 0x7f
	s_mov_b64 s[10:11], 0
	s_waitcnt vmcnt(0)
	v_cmp_lt_i16_e32 vcc, s4, v1
	s_and_saveexec_b64 s[4:5], vcc
	s_xor_b64 s[4:5], exec, s[4:5]
	s_cbranch_execz .LBB30_1447
; %bb.1427:
	s_movk_i32 s10, 0x80
	v_cmp_ne_u16_e32 vcc, s10, v1
	s_and_b64 s[10:11], vcc, exec
	s_andn2_saveexec_b64 s[4:5], s[4:5]
	s_cbranch_execnz .LBB30_1448
.LBB30_1428:
	s_or_b64 exec, exec, s[4:5]
	v_mov_b32_e32 v0, 0
	s_and_saveexec_b64 s[4:5], s[10:11]
	s_cbranch_execz .LBB30_1430
.LBB30_1429:
	v_lshlrev_b32_e32 v0, 24, v1
	v_and_b32_e32 v1, 0xffff, v1
	v_and_b32_e32 v3, 3, v1
	v_ffbh_u32_e32 v10, v3
	v_min_u32_e32 v10, 32, v10
	v_subrev_u32_e32 v11, 29, v10
	v_bfe_u32 v5, v1, 2, 5
	v_lshlrev_b32_e32 v1, v11, v1
	v_sub_u32_e32 v10, 30, v10
	v_and_b32_e32 v1, 3, v1
	v_cmp_eq_u32_e32 vcc, 0, v5
	v_cndmask_b32_e32 v5, v5, v10, vcc
	v_cndmask_b32_e32 v1, v3, v1, vcc
	v_mov_b32_e32 v3, 0x37800000
	v_lshlrev_b32_e32 v1, 21, v1
	v_and_b32_e32 v0, 0x80000000, v0
	v_lshl_add_u32 v3, v5, 23, v3
	v_or3_b32 v0, v0, v3, v1
	v_cvt_i32_f32_e32 v0, v0
.LBB30_1430:
	s_or_b64 exec, exec, s[4:5]
	s_mov_b64 s[4:5], 0
	s_branch .LBB30_1436
.LBB30_1431:
	s_mov_b64 s[4:5], -1
                                        ; implicit-def: $vgpr0
	s_branch .LBB30_1442
.LBB30_1432:
	s_andn2_saveexec_b64 s[10:11], s[10:11]
	s_cbranch_execz .LBB30_1417
.LBB30_1433:
	v_cmp_ne_u16_e32 vcc, 0, v1
	s_andn2_b64 s[20:21], s[20:21], exec
	s_and_b64 s[22:23], vcc, exec
	s_or_b64 s[20:21], s[20:21], s[22:23]
	s_or_b64 exec, exec, s[10:11]
	v_mov_b32_e32 v0, 0
	s_and_saveexec_b64 s[10:11], s[20:21]
	s_cbranch_execnz .LBB30_1418
	s_branch .LBB30_1419
.LBB30_1434:
	s_mov_b64 s[4:5], -1
                                        ; implicit-def: $vgpr0
	s_branch .LBB30_1439
.LBB30_1435:
	s_mov_b64 s[4:5], -1
                                        ; implicit-def: $vgpr0
.LBB30_1436:
	s_and_b64 vcc, exec, s[4:5]
	s_cbranch_vccz .LBB30_1438
; %bb.1437:
	global_load_ubyte v0, v[7:8], off
	s_mov_b32 s4, 0x7f800000
	s_waitcnt vmcnt(0)
	v_lshlrev_b32_e32 v0, 24, v0
	v_and_b32_e32 v1, 0x7f000000, v0
	v_ffbh_u32_e32 v3, v1
	v_min_u32_e32 v3, 32, v3
	v_sub_u32_e64 v3, v3, 4 clamp
	v_lshlrev_b32_e32 v10, v3, v1
	v_lshlrev_b32_e32 v3, 23, v3
	v_lshrrev_b32_e32 v10, 4, v10
	v_add_u32_e32 v5, 0x1000000, v1
	v_sub_u32_e32 v3, v10, v3
	v_ashrrev_i32_e32 v5, 8, v5
	v_add_u32_e32 v3, 0x3c000000, v3
	v_and_or_b32 v3, v5, s4, v3
	v_cmp_ne_u32_e32 vcc, 0, v1
	v_cndmask_b32_e32 v1, 0, v3, vcc
	s_brev_b32 s4, 1
	v_and_or_b32 v0, v0, s4, v1
	v_cvt_i32_f32_e32 v0, v0
.LBB30_1438:
	s_mov_b64 s[4:5], 0
.LBB30_1439:
	s_andn2_b64 vcc, exec, s[4:5]
	s_cbranch_vccnz .LBB30_1441
; %bb.1440:
	global_load_ubyte v0, v[7:8], off
	s_movk_i32 s4, 0x7f00
	s_brev_b32 s5, 16
	s_waitcnt vmcnt(0)
	v_lshlrev_b16_e32 v1, 8, v0
	v_lshlrev_b32_e32 v0, 25, v0
	v_lshrrev_b32_e32 v3, 4, v0
	v_and_or_b32 v5, v1, s4, 0.5
	v_or_b32_e32 v3, 0x70000000, v3
	v_add_f32_e32 v5, -0.5, v5
	v_mul_f32_e32 v3, 0x7800000, v3
	v_cmp_gt_u32_e32 vcc, s5, v0
	v_bfe_i32 v1, v1, 0, 16
	v_cndmask_b32_e32 v0, v3, v5, vcc
	s_brev_b32 s4, 1
	v_and_or_b32 v0, v1, s4, v0
	v_cvt_i32_f32_e32 v0, v0
.LBB30_1441:
	s_mov_b64 s[4:5], 0
	s_mov_b64 s[10:11], -1
.LBB30_1442:
	s_andn2_b64 vcc, exec, s[4:5]
	s_mov_b64 s[4:5], 0
	s_cbranch_vccnz .LBB30_1453
; %bb.1443:
	s_cmp_gt_i32 s15, 14
	s_cbranch_scc0 .LBB30_1446
; %bb.1444:
	s_cmp_eq_u32 s15, 15
	s_cbranch_scc0 .LBB30_1449
; %bb.1445:
	global_load_ushort v0, v[7:8], off
	s_mov_b64 s[0:1], 0
	s_mov_b64 s[10:11], -1
	s_waitcnt vmcnt(0)
	v_lshlrev_b32_e32 v0, 16, v0
	v_cvt_i32_f32_e32 v0, v0
	s_branch .LBB30_1450
.LBB30_1446:
	s_mov_b64 s[20:21], -1
                                        ; implicit-def: $vgpr0
	s_branch .LBB30_1451
.LBB30_1447:
	s_andn2_saveexec_b64 s[4:5], s[4:5]
	s_cbranch_execz .LBB30_1428
.LBB30_1448:
	v_cmp_ne_u16_e32 vcc, 0, v1
	s_andn2_b64 s[10:11], s[10:11], exec
	s_and_b64 s[20:21], vcc, exec
	s_or_b64 s[10:11], s[10:11], s[20:21]
	s_or_b64 exec, exec, s[4:5]
	v_mov_b32_e32 v0, 0
	s_and_saveexec_b64 s[4:5], s[10:11]
	s_cbranch_execnz .LBB30_1429
	s_branch .LBB30_1430
.LBB30_1449:
	s_mov_b64 s[0:1], -1
                                        ; implicit-def: $vgpr0
.LBB30_1450:
	s_mov_b64 s[20:21], 0
.LBB30_1451:
	s_and_b64 vcc, exec, s[20:21]
	s_cbranch_vccz .LBB30_1453
; %bb.1452:
	s_cmp_lg_u32 s15, 11
	s_mov_b64 s[4:5], -1
	s_cselect_b64 s[0:1], -1, 0
.LBB30_1453:
	s_and_b64 vcc, exec, s[0:1]
	s_cbranch_vccnz .LBB30_1986
; %bb.1454:
	s_andn2_b64 vcc, exec, s[4:5]
	s_cbranch_vccnz .LBB30_1456
.LBB30_1455:
	global_load_ubyte v0, v[7:8], off
	s_mov_b64 s[10:11], -1
	s_waitcnt vmcnt(0)
	v_cmp_ne_u16_e32 vcc, 0, v0
	v_cndmask_b32_e64 v0, 0, 1, vcc
.LBB30_1456:
	s_mov_b64 s[0:1], 0
.LBB30_1457:
	s_and_b64 vcc, exec, s[0:1]
	s_cbranch_vccz .LBB30_1506
; %bb.1458:
	s_cmp_lt_i32 s15, 5
	s_cbranch_scc1 .LBB30_1463
; %bb.1459:
	s_cmp_lt_i32 s15, 8
	s_cbranch_scc1 .LBB30_1464
	;; [unrolled: 3-line block ×3, first 2 shown]
; %bb.1461:
	s_cmp_gt_i32 s15, 9
	s_cbranch_scc0 .LBB30_1466
; %bb.1462:
	global_load_dwordx2 v[0:1], v[7:8], off
	s_mov_b64 s[0:1], 0
	s_waitcnt vmcnt(0)
	v_cvt_i32_f64_e32 v0, v[0:1]
	s_branch .LBB30_1467
.LBB30_1463:
	s_mov_b64 s[0:1], -1
                                        ; implicit-def: $vgpr0
	s_branch .LBB30_1485
.LBB30_1464:
	s_mov_b64 s[0:1], -1
                                        ; implicit-def: $vgpr0
	s_branch .LBB30_1473
.LBB30_1465:
	s_mov_b64 s[0:1], -1
                                        ; implicit-def: $vgpr0
	s_branch .LBB30_1470
.LBB30_1466:
	s_mov_b64 s[0:1], -1
                                        ; implicit-def: $vgpr0
.LBB30_1467:
	s_andn2_b64 vcc, exec, s[0:1]
	s_cbranch_vccnz .LBB30_1469
; %bb.1468:
	global_load_dword v0, v[7:8], off
	s_waitcnt vmcnt(0)
	v_cvt_i32_f32_e32 v0, v0
.LBB30_1469:
	s_mov_b64 s[0:1], 0
.LBB30_1470:
	s_andn2_b64 vcc, exec, s[0:1]
	s_cbranch_vccnz .LBB30_1472
; %bb.1471:
	global_load_dword v0, v[7:8], off
	s_waitcnt vmcnt(0)
	v_cvt_i16_f16_e32 v0, v0
.LBB30_1472:
	s_mov_b64 s[0:1], 0
.LBB30_1473:
	s_andn2_b64 vcc, exec, s[0:1]
	s_cbranch_vccnz .LBB30_1484
; %bb.1474:
	s_cmp_lt_i32 s15, 6
	s_cbranch_scc1 .LBB30_1477
; %bb.1475:
	s_cmp_gt_i32 s15, 6
	s_cbranch_scc0 .LBB30_1478
; %bb.1476:
	global_load_dwordx2 v[0:1], v[7:8], off
	s_mov_b64 s[0:1], 0
	s_waitcnt vmcnt(0)
	v_cvt_i32_f64_e32 v0, v[0:1]
	s_branch .LBB30_1479
.LBB30_1477:
	s_mov_b64 s[0:1], -1
                                        ; implicit-def: $vgpr0
	s_branch .LBB30_1482
.LBB30_1478:
	s_mov_b64 s[0:1], -1
                                        ; implicit-def: $vgpr0
.LBB30_1479:
	s_andn2_b64 vcc, exec, s[0:1]
	s_cbranch_vccnz .LBB30_1481
; %bb.1480:
	global_load_dword v0, v[7:8], off
	s_waitcnt vmcnt(0)
	v_cvt_i32_f32_e32 v0, v0
.LBB30_1481:
	s_mov_b64 s[0:1], 0
.LBB30_1482:
	s_andn2_b64 vcc, exec, s[0:1]
	s_cbranch_vccnz .LBB30_1484
; %bb.1483:
	global_load_ushort v0, v[7:8], off
	s_waitcnt vmcnt(0)
	v_cvt_i16_f16_e32 v0, v0
.LBB30_1484:
	s_mov_b64 s[0:1], 0
.LBB30_1485:
	s_andn2_b64 vcc, exec, s[0:1]
	s_cbranch_vccnz .LBB30_1505
; %bb.1486:
	s_cmp_lt_i32 s15, 2
	s_cbranch_scc1 .LBB30_1490
; %bb.1487:
	s_cmp_lt_i32 s15, 3
	s_cbranch_scc1 .LBB30_1491
; %bb.1488:
	s_cmp_gt_i32 s15, 3
	s_cbranch_scc0 .LBB30_1492
; %bb.1489:
	global_load_dwordx2 v[0:1], v[7:8], off
	s_mov_b64 s[0:1], 0
	s_branch .LBB30_1493
.LBB30_1490:
	s_mov_b64 s[0:1], -1
                                        ; implicit-def: $vgpr0
	s_branch .LBB30_1499
.LBB30_1491:
	s_mov_b64 s[0:1], -1
                                        ; implicit-def: $vgpr0
	s_branch .LBB30_1496
.LBB30_1492:
	s_mov_b64 s[0:1], -1
                                        ; implicit-def: $vgpr0
.LBB30_1493:
	s_andn2_b64 vcc, exec, s[0:1]
	s_cbranch_vccnz .LBB30_1495
; %bb.1494:
	global_load_dword v0, v[7:8], off
.LBB30_1495:
	s_mov_b64 s[0:1], 0
.LBB30_1496:
	s_andn2_b64 vcc, exec, s[0:1]
	s_cbranch_vccnz .LBB30_1498
; %bb.1497:
	global_load_ushort v0, v[7:8], off
.LBB30_1498:
	s_mov_b64 s[0:1], 0
.LBB30_1499:
	s_andn2_b64 vcc, exec, s[0:1]
	s_cbranch_vccnz .LBB30_1505
; %bb.1500:
	s_cmp_gt_i32 s15, 0
	s_cbranch_scc0 .LBB30_1502
; %bb.1501:
	global_load_ubyte v0, v[7:8], off
	s_mov_b64 s[0:1], 0
	s_branch .LBB30_1503
.LBB30_1502:
	s_mov_b64 s[0:1], -1
                                        ; implicit-def: $vgpr0
.LBB30_1503:
	s_andn2_b64 vcc, exec, s[0:1]
	s_cbranch_vccnz .LBB30_1505
; %bb.1504:
	global_load_ubyte v0, v[7:8], off
.LBB30_1505:
	s_mov_b64 s[10:11], -1
.LBB30_1506:
	s_andn2_b64 vcc, exec, s[10:11]
	s_cbranch_vccnz .LBB30_1940
; %bb.1507:
	s_waitcnt vmcnt(0)
	v_mul_lo_u32 v1, s12, v9
	s_cmp_eq_u32 s14, 0
	s_cselect_b64 s[4:5], -1, 0
	s_and_b32 s25, s2, 0xff
	v_cmp_ne_u16_sdwa s[0:1], s25, v6 src0_sel:DWORD src1_sel:BYTE_0
	s_xor_b64 s[10:11], s[4:5], s[0:1]
	v_ashrrev_i32_e32 v3, 31, v1
	v_mov_b32_e32 v6, s9
	s_and_b32 s24, s3, 0xff
	v_add_co_u32_e32 v5, vcc, s8, v1
	s_cmp_lt_i32 s24, 11
	v_addc_co_u32_e32 v6, vcc, v6, v3, vcc
	s_cbranch_scc1 .LBB30_1585
; %bb.1508:
	s_and_b32 s13, 0xffff, s24
	s_mov_b64 s[20:21], -1
	s_mov_b64 s[2:3], 0
	s_cmp_gt_i32 s13, 25
	s_mov_b64 s[14:15], 0
	s_mov_b64 s[0:1], 0
	s_cbranch_scc0 .LBB30_1541
; %bb.1509:
	s_cmp_gt_i32 s13, 28
	s_cbranch_scc0 .LBB30_1524
; %bb.1510:
	s_cmp_gt_i32 s13, 43
	;; [unrolled: 3-line block ×3, first 2 shown]
	s_cbranch_scc0 .LBB30_1514
; %bb.1512:
	s_mov_b64 s[0:1], -1
	s_mov_b64 s[20:21], 0
	s_cmp_eq_u32 s13, 46
	s_cbranch_scc0 .LBB30_1514
; %bb.1513:
	v_cndmask_b32_e64 v3, 0, 1.0, s[10:11]
	v_bfe_u32 v7, v3, 16, 1
	s_movk_i32 s0, 0x7fff
	v_add3_u32 v3, v3, v7, s0
	v_lshrrev_b32_e32 v3, 16, v3
	global_store_dword v[5:6], v3, off
	s_mov_b64 s[0:1], 0
	s_mov_b64 s[14:15], -1
.LBB30_1514:
	s_and_b64 vcc, exec, s[20:21]
	s_cbranch_vccz .LBB30_1519
; %bb.1515:
	s_cmp_eq_u32 s13, 44
	s_mov_b64 s[0:1], -1
	s_cbranch_scc0 .LBB30_1519
; %bb.1516:
	v_cndmask_b32_e64 v7, 0, 1.0, s[10:11]
	v_lshrrev_b32_e32 v3, 23, v7
	s_movk_i32 s0, 0xff
	v_cmp_ne_u32_e32 vcc, s0, v3
	v_mov_b32_e32 v8, 0xff
	s_and_saveexec_b64 s[14:15], vcc
; %bb.1517:
	s_mov_b32 s0, 0x3fffff
	v_and_b32_e32 v8, 0x400000, v7
	v_and_or_b32 v7, v7, s0, v3
	v_cmp_ne_u32_e32 vcc, 0, v8
	v_cmp_ne_u32_e64 s[0:1], 0, v7
	s_and_b64 s[0:1], vcc, s[0:1]
	v_cndmask_b32_e64 v7, 0, 1, s[0:1]
	v_add_u32_e32 v8, v3, v7
; %bb.1518:
	s_or_b64 exec, exec, s[14:15]
	s_mov_b64 s[0:1], 0
	s_mov_b64 s[14:15], -1
	global_store_byte v[5:6], v8, off
.LBB30_1519:
	s_mov_b64 s[20:21], 0
.LBB30_1520:
	s_and_b64 vcc, exec, s[20:21]
	s_cbranch_vccz .LBB30_1523
; %bb.1521:
	s_cmp_eq_u32 s13, 29
	s_mov_b64 s[0:1], -1
	s_cbranch_scc0 .LBB30_1523
; %bb.1522:
	s_mov_b32 s0, 0
	v_cndmask_b32_e64 v7, 0, 1, s[10:11]
	v_mov_b32_e32 v8, s0
	global_store_dwordx2 v[5:6], v[7:8], off
	s_mov_b64 s[0:1], 0
	s_mov_b64 s[14:15], -1
.LBB30_1523:
	s_mov_b64 s[20:21], 0
.LBB30_1524:
	s_and_b64 vcc, exec, s[20:21]
	s_cbranch_vccz .LBB30_1540
; %bb.1525:
	s_cmp_lt_i32 s13, 27
	s_mov_b64 s[14:15], -1
	s_cbranch_scc1 .LBB30_1531
; %bb.1526:
	s_cmp_gt_i32 s13, 27
	s_cbranch_scc0 .LBB30_1528
; %bb.1527:
	v_cndmask_b32_e64 v3, 0, 1, s[10:11]
	s_mov_b64 s[14:15], 0
	global_store_dword v[5:6], v3, off
.LBB30_1528:
	s_andn2_b64 vcc, exec, s[14:15]
	s_cbranch_vccnz .LBB30_1530
; %bb.1529:
	v_cndmask_b32_e64 v3, 0, 1, s[10:11]
	global_store_short v[5:6], v3, off
.LBB30_1530:
	s_mov_b64 s[14:15], 0
.LBB30_1531:
	s_andn2_b64 vcc, exec, s[14:15]
	s_cbranch_vccnz .LBB30_1539
; %bb.1532:
	v_cndmask_b32_e64 v7, 0, 1.0, s[10:11]
	s_mov_b32 s14, 0x43800000
	v_cmp_gt_u32_e32 vcc, s14, v7
	v_mov_b32_e32 v8, 0x80
	s_and_saveexec_b64 s[14:15], vcc
	s_cbranch_execz .LBB30_1538
; %bb.1533:
	s_mov_b32 s20, 0x3bffffff
	v_cmp_lt_u32_e32 vcc, s20, v7
	s_mov_b64 s[20:21], 0
                                        ; implicit-def: $vgpr3
	s_and_saveexec_b64 s[22:23], vcc
	s_xor_b64 s[22:23], exec, s[22:23]
	s_cbranch_execz .LBB30_1987
; %bb.1534:
	v_bfe_u32 v3, v7, 20, 1
	s_mov_b32 s26, 0x487ffff
	v_add3_u32 v3, v7, v3, s26
	s_mov_b64 s[20:21], exec
	v_lshrrev_b32_e32 v3, 20, v3
                                        ; implicit-def: $vgpr7
	s_andn2_saveexec_b64 s[22:23], s[22:23]
	s_cbranch_execnz .LBB30_1988
.LBB30_1535:
	s_or_b64 exec, exec, s[22:23]
	v_mov_b32_e32 v8, 0
	s_and_saveexec_b64 s[22:23], s[20:21]
.LBB30_1536:
	v_mov_b32_e32 v8, v3
.LBB30_1537:
	s_or_b64 exec, exec, s[22:23]
.LBB30_1538:
	s_or_b64 exec, exec, s[14:15]
	global_store_byte v[5:6], v8, off
.LBB30_1539:
	s_mov_b64 s[14:15], -1
.LBB30_1540:
	s_mov_b64 s[20:21], 0
.LBB30_1541:
	s_and_b64 vcc, exec, s[20:21]
	s_cbranch_vccz .LBB30_1581
; %bb.1542:
	s_cmp_gt_i32 s13, 22
	s_mov_b64 s[2:3], -1
	s_cbranch_scc0 .LBB30_1574
; %bb.1543:
	s_cmp_lt_i32 s13, 24
	s_cbranch_scc1 .LBB30_1563
; %bb.1544:
	s_cmp_gt_i32 s13, 24
	s_cbranch_scc0 .LBB30_1552
; %bb.1545:
	v_cndmask_b32_e64 v7, 0, 1.0, s[10:11]
	s_mov_b32 s2, 0x47800000
	v_cmp_gt_u32_e32 vcc, s2, v7
	v_mov_b32_e32 v8, 0x80
	s_and_saveexec_b64 s[2:3], vcc
	s_cbranch_execz .LBB30_1551
; %bb.1546:
	s_mov_b32 s14, 0x37ffffff
	v_cmp_lt_u32_e32 vcc, s14, v7
	s_mov_b64 s[14:15], 0
                                        ; implicit-def: $vgpr3
	s_and_saveexec_b64 s[20:21], vcc
	s_xor_b64 s[20:21], exec, s[20:21]
	s_cbranch_execz .LBB30_1990
; %bb.1547:
	v_bfe_u32 v3, v7, 21, 1
	s_mov_b32 s22, 0x88fffff
	v_add3_u32 v3, v7, v3, s22
	s_mov_b64 s[14:15], exec
	v_lshrrev_b32_e32 v3, 21, v3
                                        ; implicit-def: $vgpr7
	s_andn2_saveexec_b64 s[20:21], s[20:21]
	s_cbranch_execnz .LBB30_1991
.LBB30_1548:
	s_or_b64 exec, exec, s[20:21]
	v_mov_b32_e32 v8, 0
	s_and_saveexec_b64 s[20:21], s[14:15]
.LBB30_1549:
	v_mov_b32_e32 v8, v3
.LBB30_1550:
	s_or_b64 exec, exec, s[20:21]
.LBB30_1551:
	s_or_b64 exec, exec, s[2:3]
	s_mov_b64 s[2:3], 0
	global_store_byte v[5:6], v8, off
.LBB30_1552:
	s_and_b64 vcc, exec, s[2:3]
	s_cbranch_vccz .LBB30_1562
; %bb.1553:
	v_cndmask_b32_e64 v3, 0, 1.0, s[10:11]
	s_mov_b32 s2, 0x43f00000
	v_cmp_gt_u32_e32 vcc, s2, v3
                                        ; implicit-def: $vgpr7
	s_and_saveexec_b64 s[2:3], vcc
	s_xor_b64 s[2:3], exec, s[2:3]
	s_cbranch_execz .LBB30_1559
; %bb.1554:
	s_mov_b32 s14, 0x3c7fffff
	v_cmp_lt_u32_e32 vcc, s14, v3
                                        ; implicit-def: $vgpr7
	s_and_saveexec_b64 s[14:15], vcc
	s_xor_b64 s[14:15], exec, s[14:15]
; %bb.1555:
	v_bfe_u32 v7, v3, 20, 1
	s_mov_b32 s20, 0x407ffff
	v_add3_u32 v3, v3, v7, s20
	v_lshrrev_b32_e32 v7, 20, v3
	v_and_b32_e32 v3, 0xff00000, v3
	s_mov_b32 s20, 0x7f00000
	v_mov_b32_e32 v8, 0x7e
	v_cmp_ne_u32_e32 vcc, s20, v3
	v_cndmask_b32_e32 v7, v8, v7, vcc
                                        ; implicit-def: $vgpr3
; %bb.1556:
	s_andn2_saveexec_b64 s[14:15], s[14:15]
; %bb.1557:
	v_add_f32_e32 v7, 0x46800000, v3
; %bb.1558:
	s_or_b64 exec, exec, s[14:15]
                                        ; implicit-def: $vgpr3
.LBB30_1559:
	s_andn2_saveexec_b64 s[2:3], s[2:3]
; %bb.1560:
	s_mov_b32 s14, 0x7f800000
	v_mov_b32_e32 v7, 0x7e
	v_mov_b32_e32 v8, 0x7f
	v_cmp_lt_u32_e32 vcc, s14, v3
	v_cndmask_b32_e32 v7, v7, v8, vcc
; %bb.1561:
	s_or_b64 exec, exec, s[2:3]
	global_store_byte v[5:6], v7, off
.LBB30_1562:
	s_mov_b64 s[2:3], 0
.LBB30_1563:
	s_andn2_b64 vcc, exec, s[2:3]
	s_cbranch_vccnz .LBB30_1573
; %bb.1564:
	v_cndmask_b32_e64 v3, 0, 1.0, s[10:11]
	s_mov_b32 s2, 0x47800000
	v_cmp_gt_u32_e32 vcc, s2, v3
                                        ; implicit-def: $vgpr7
	s_and_saveexec_b64 s[2:3], vcc
	s_xor_b64 s[2:3], exec, s[2:3]
	s_cbranch_execz .LBB30_1570
; %bb.1565:
	s_mov_b32 s14, 0x387fffff
	v_cmp_lt_u32_e32 vcc, s14, v3
                                        ; implicit-def: $vgpr7
	s_and_saveexec_b64 s[14:15], vcc
	s_xor_b64 s[14:15], exec, s[14:15]
; %bb.1566:
	v_bfe_u32 v7, v3, 21, 1
	s_mov_b32 s20, 0x80fffff
	v_add3_u32 v3, v3, v7, s20
	v_lshrrev_b32_e32 v7, 21, v3
                                        ; implicit-def: $vgpr3
; %bb.1567:
	s_andn2_saveexec_b64 s[14:15], s[14:15]
; %bb.1568:
	v_add_f32_e32 v7, 0x43000000, v3
; %bb.1569:
	s_or_b64 exec, exec, s[14:15]
                                        ; implicit-def: $vgpr3
.LBB30_1570:
	s_andn2_saveexec_b64 s[2:3], s[2:3]
; %bb.1571:
	s_mov_b32 s14, 0x7f800000
	v_mov_b32_e32 v7, 0x7c
	v_mov_b32_e32 v8, 0x7f
	v_cmp_lt_u32_e32 vcc, s14, v3
	v_cndmask_b32_e32 v7, v7, v8, vcc
; %bb.1572:
	s_or_b64 exec, exec, s[2:3]
	global_store_byte v[5:6], v7, off
.LBB30_1573:
	s_mov_b64 s[2:3], 0
	s_mov_b64 s[14:15], -1
.LBB30_1574:
	s_andn2_b64 vcc, exec, s[2:3]
	s_mov_b64 s[2:3], 0
	s_cbranch_vccnz .LBB30_1581
; %bb.1575:
	s_cmp_gt_i32 s13, 14
	s_mov_b64 s[20:21], -1
	s_cbranch_scc0 .LBB30_1579
; %bb.1576:
	s_cmp_eq_u32 s13, 15
	s_mov_b64 s[0:1], -1
	s_cbranch_scc0 .LBB30_1578
; %bb.1577:
	v_cndmask_b32_e64 v3, 0, 1.0, s[10:11]
	v_bfe_u32 v7, v3, 16, 1
	s_movk_i32 s0, 0x7fff
	v_add3_u32 v3, v3, v7, s0
	global_store_short_d16_hi v[5:6], v3, off
	s_mov_b64 s[0:1], 0
	s_mov_b64 s[14:15], -1
.LBB30_1578:
	s_mov_b64 s[20:21], 0
.LBB30_1579:
	s_and_b64 vcc, exec, s[20:21]
	s_cbranch_vccz .LBB30_1581
; %bb.1580:
	s_cmp_lg_u32 s13, 11
	s_mov_b64 s[2:3], -1
	s_cselect_b64 s[0:1], -1, 0
.LBB30_1581:
	s_and_b64 vcc, exec, s[0:1]
	s_cbranch_vccnz .LBB30_1989
; %bb.1582:
	s_andn2_b64 vcc, exec, s[2:3]
	s_cbranch_vccnz .LBB30_1584
.LBB30_1583:
	v_cndmask_b32_e64 v3, 0, 1, s[10:11]
	s_mov_b64 s[14:15], -1
	global_store_byte v[5:6], v3, off
.LBB30_1584:
	s_mov_b64 s[0:1], 0
	s_branch .LBB30_1586
.LBB30_1585:
	s_mov_b64 s[0:1], -1
	s_mov_b64 s[14:15], 0
.LBB30_1586:
	s_and_b64 vcc, exec, s[0:1]
	s_cbranch_vccz .LBB30_1625
; %bb.1587:
	s_and_b32 s2, 0xffff, s24
	s_cmp_lt_i32 s2, 5
	s_mov_b64 s[0:1], -1
	s_cbranch_scc1 .LBB30_1608
; %bb.1588:
	s_cmp_lt_i32 s2, 8
	s_cbranch_scc1 .LBB30_1598
; %bb.1589:
	s_cmp_lt_i32 s2, 9
	s_cbranch_scc1 .LBB30_1595
; %bb.1590:
	s_cmp_gt_i32 s2, 9
	s_cbranch_scc0 .LBB30_1592
; %bb.1591:
	v_cndmask_b32_e64 v3, 0, 1, s[10:11]
	v_cvt_f64_u32_e32 v[7:8], v3
	v_mov_b32_e32 v9, 0
	v_mov_b32_e32 v10, v9
	s_mov_b64 s[0:1], 0
	global_store_dwordx4 v[5:6], v[7:10], off
.LBB30_1592:
	s_andn2_b64 vcc, exec, s[0:1]
	s_cbranch_vccnz .LBB30_1594
; %bb.1593:
	v_cndmask_b32_e64 v7, 0, 1.0, s[10:11]
	v_mov_b32_e32 v8, 0
	global_store_dwordx2 v[5:6], v[7:8], off
.LBB30_1594:
	s_mov_b64 s[0:1], 0
.LBB30_1595:
	s_andn2_b64 vcc, exec, s[0:1]
	s_cbranch_vccnz .LBB30_1597
; %bb.1596:
	v_cndmask_b32_e64 v3, 0, 1.0, s[10:11]
	v_cvt_f16_f32_e32 v3, v3
	global_store_dword v[5:6], v3, off
.LBB30_1597:
	s_mov_b64 s[0:1], 0
.LBB30_1598:
	s_andn2_b64 vcc, exec, s[0:1]
	s_cbranch_vccnz .LBB30_1607
; %bb.1599:
	s_cmp_lt_i32 s2, 6
	s_mov_b64 s[0:1], -1
	s_cbranch_scc1 .LBB30_1605
; %bb.1600:
	s_cmp_gt_i32 s2, 6
	s_cbranch_scc0 .LBB30_1602
; %bb.1601:
	v_cndmask_b32_e64 v3, 0, 1, s[10:11]
	v_cvt_f64_u32_e32 v[7:8], v3
	s_mov_b64 s[0:1], 0
	global_store_dwordx2 v[5:6], v[7:8], off
.LBB30_1602:
	s_andn2_b64 vcc, exec, s[0:1]
	s_cbranch_vccnz .LBB30_1604
; %bb.1603:
	v_cndmask_b32_e64 v3, 0, 1.0, s[10:11]
	global_store_dword v[5:6], v3, off
.LBB30_1604:
	s_mov_b64 s[0:1], 0
.LBB30_1605:
	s_andn2_b64 vcc, exec, s[0:1]
	s_cbranch_vccnz .LBB30_1607
; %bb.1606:
	v_cndmask_b32_e64 v3, 0, 1.0, s[10:11]
	v_cvt_f16_f32_e32 v3, v3
	global_store_short v[5:6], v3, off
.LBB30_1607:
	s_mov_b64 s[0:1], 0
.LBB30_1608:
	s_andn2_b64 vcc, exec, s[0:1]
	s_cbranch_vccnz .LBB30_1624
; %bb.1609:
	s_cmp_lt_i32 s2, 2
	s_mov_b64 s[0:1], -1
	s_cbranch_scc1 .LBB30_1619
; %bb.1610:
	s_cmp_lt_i32 s2, 3
	s_cbranch_scc1 .LBB30_1616
; %bb.1611:
	s_cmp_gt_i32 s2, 3
	s_cbranch_scc0 .LBB30_1613
; %bb.1612:
	s_mov_b32 s0, 0
	v_cndmask_b32_e64 v7, 0, 1, s[10:11]
	v_mov_b32_e32 v8, s0
	global_store_dwordx2 v[5:6], v[7:8], off
	s_mov_b64 s[0:1], 0
.LBB30_1613:
	s_andn2_b64 vcc, exec, s[0:1]
	s_cbranch_vccnz .LBB30_1615
; %bb.1614:
	v_cndmask_b32_e64 v3, 0, 1, s[10:11]
	global_store_dword v[5:6], v3, off
.LBB30_1615:
	s_mov_b64 s[0:1], 0
.LBB30_1616:
	s_andn2_b64 vcc, exec, s[0:1]
	s_cbranch_vccnz .LBB30_1618
; %bb.1617:
	v_cndmask_b32_e64 v3, 0, 1, s[10:11]
	global_store_short v[5:6], v3, off
.LBB30_1618:
	s_mov_b64 s[0:1], 0
.LBB30_1619:
	s_andn2_b64 vcc, exec, s[0:1]
	s_cbranch_vccnz .LBB30_1624
; %bb.1620:
	s_mov_b64 s[0:1], -1
	s_cmp_gt_i32 s2, 0
	v_cndmask_b32_e64 v3, 0, 1, s[10:11]
	s_cbranch_scc0 .LBB30_1622
; %bb.1621:
	global_store_byte v[5:6], v3, off
	s_mov_b64 s[0:1], 0
.LBB30_1622:
	s_andn2_b64 vcc, exec, s[0:1]
	s_cbranch_vccnz .LBB30_1624
; %bb.1623:
	global_store_byte v[5:6], v3, off
.LBB30_1624:
	s_mov_b64 s[14:15], -1
.LBB30_1625:
	s_andn2_b64 vcc, exec, s[14:15]
	s_cbranch_vccnz .LBB30_1940
; %bb.1626:
	s_lshl_b32 s22, s12, 7
	v_cmp_ne_u16_sdwa s[0:1], s25, v4 src0_sel:DWORD src1_sel:BYTE_0
	v_add_u32_e32 v1, s22, v1
	s_xor_b64 s[2:3], s[4:5], s[0:1]
	v_ashrrev_i32_e32 v4, 31, v1
	v_mov_b32_e32 v5, s9
	v_add_co_u32_e32 v3, vcc, s8, v1
	s_cmp_lt_i32 s24, 11
	v_addc_co_u32_e32 v4, vcc, v5, v4, vcc
	s_cbranch_scc1 .LBB30_1704
; %bb.1627:
	s_and_b32 s23, 0xffff, s24
	s_mov_b64 s[14:15], -1
	s_mov_b64 s[10:11], 0
	s_cmp_gt_i32 s23, 25
	s_mov_b64 s[12:13], 0
	s_mov_b64 s[0:1], 0
	s_cbranch_scc0 .LBB30_1660
; %bb.1628:
	s_cmp_gt_i32 s23, 28
	s_cbranch_scc0 .LBB30_1643
; %bb.1629:
	s_cmp_gt_i32 s23, 43
	;; [unrolled: 3-line block ×3, first 2 shown]
	s_cbranch_scc0 .LBB30_1633
; %bb.1631:
	s_mov_b64 s[0:1], -1
	s_mov_b64 s[14:15], 0
	s_cmp_eq_u32 s23, 46
	s_cbranch_scc0 .LBB30_1633
; %bb.1632:
	v_cndmask_b32_e64 v5, 0, 1.0, s[2:3]
	v_bfe_u32 v6, v5, 16, 1
	s_movk_i32 s0, 0x7fff
	v_add3_u32 v5, v5, v6, s0
	v_lshrrev_b32_e32 v5, 16, v5
	global_store_dword v[3:4], v5, off
	s_mov_b64 s[0:1], 0
	s_mov_b64 s[12:13], -1
.LBB30_1633:
	s_and_b64 vcc, exec, s[14:15]
	s_cbranch_vccz .LBB30_1638
; %bb.1634:
	s_cmp_eq_u32 s23, 44
	s_mov_b64 s[0:1], -1
	s_cbranch_scc0 .LBB30_1638
; %bb.1635:
	v_cndmask_b32_e64 v6, 0, 1.0, s[2:3]
	v_lshrrev_b32_e32 v5, 23, v6
	s_movk_i32 s0, 0xff
	v_cmp_ne_u32_e32 vcc, s0, v5
	v_mov_b32_e32 v7, 0xff
	s_and_saveexec_b64 s[12:13], vcc
; %bb.1636:
	s_mov_b32 s0, 0x3fffff
	v_and_b32_e32 v7, 0x400000, v6
	v_and_or_b32 v6, v6, s0, v5
	v_cmp_ne_u32_e32 vcc, 0, v7
	v_cmp_ne_u32_e64 s[0:1], 0, v6
	s_and_b64 s[0:1], vcc, s[0:1]
	v_cndmask_b32_e64 v6, 0, 1, s[0:1]
	v_add_u32_e32 v7, v5, v6
; %bb.1637:
	s_or_b64 exec, exec, s[12:13]
	s_mov_b64 s[0:1], 0
	s_mov_b64 s[12:13], -1
	global_store_byte v[3:4], v7, off
.LBB30_1638:
	s_mov_b64 s[14:15], 0
.LBB30_1639:
	s_and_b64 vcc, exec, s[14:15]
	s_cbranch_vccz .LBB30_1642
; %bb.1640:
	s_cmp_eq_u32 s23, 29
	s_mov_b64 s[0:1], -1
	s_cbranch_scc0 .LBB30_1642
; %bb.1641:
	s_mov_b32 s0, 0
	v_cndmask_b32_e64 v5, 0, 1, s[2:3]
	v_mov_b32_e32 v6, s0
	global_store_dwordx2 v[3:4], v[5:6], off
	s_mov_b64 s[0:1], 0
	s_mov_b64 s[12:13], -1
.LBB30_1642:
	s_mov_b64 s[14:15], 0
.LBB30_1643:
	s_and_b64 vcc, exec, s[14:15]
	s_cbranch_vccz .LBB30_1659
; %bb.1644:
	s_cmp_lt_i32 s23, 27
	s_mov_b64 s[12:13], -1
	s_cbranch_scc1 .LBB30_1650
; %bb.1645:
	s_cmp_gt_i32 s23, 27
	s_cbranch_scc0 .LBB30_1647
; %bb.1646:
	v_cndmask_b32_e64 v5, 0, 1, s[2:3]
	s_mov_b64 s[12:13], 0
	global_store_dword v[3:4], v5, off
.LBB30_1647:
	s_andn2_b64 vcc, exec, s[12:13]
	s_cbranch_vccnz .LBB30_1649
; %bb.1648:
	v_cndmask_b32_e64 v5, 0, 1, s[2:3]
	global_store_short v[3:4], v5, off
.LBB30_1649:
	s_mov_b64 s[12:13], 0
.LBB30_1650:
	s_andn2_b64 vcc, exec, s[12:13]
	s_cbranch_vccnz .LBB30_1658
; %bb.1651:
	v_cndmask_b32_e64 v6, 0, 1.0, s[2:3]
	s_mov_b32 s12, 0x43800000
	v_cmp_gt_u32_e32 vcc, s12, v6
	v_mov_b32_e32 v7, 0x80
	s_and_saveexec_b64 s[12:13], vcc
	s_cbranch_execz .LBB30_1657
; %bb.1652:
	s_mov_b32 s14, 0x3bffffff
	v_cmp_lt_u32_e32 vcc, s14, v6
	s_mov_b64 s[14:15], 0
                                        ; implicit-def: $vgpr5
	s_and_saveexec_b64 s[20:21], vcc
	s_xor_b64 s[20:21], exec, s[20:21]
	s_cbranch_execz .LBB30_1992
; %bb.1653:
	v_bfe_u32 v5, v6, 20, 1
	s_mov_b32 s26, 0x487ffff
	v_add3_u32 v5, v6, v5, s26
	s_mov_b64 s[14:15], exec
	v_lshrrev_b32_e32 v5, 20, v5
                                        ; implicit-def: $vgpr6
	s_andn2_saveexec_b64 s[20:21], s[20:21]
	s_cbranch_execnz .LBB30_1993
.LBB30_1654:
	s_or_b64 exec, exec, s[20:21]
	v_mov_b32_e32 v7, 0
	s_and_saveexec_b64 s[20:21], s[14:15]
.LBB30_1655:
	v_mov_b32_e32 v7, v5
.LBB30_1656:
	s_or_b64 exec, exec, s[20:21]
.LBB30_1657:
	s_or_b64 exec, exec, s[12:13]
	global_store_byte v[3:4], v7, off
.LBB30_1658:
	s_mov_b64 s[12:13], -1
.LBB30_1659:
	s_mov_b64 s[14:15], 0
.LBB30_1660:
	s_and_b64 vcc, exec, s[14:15]
	s_cbranch_vccz .LBB30_1700
; %bb.1661:
	s_cmp_gt_i32 s23, 22
	s_mov_b64 s[10:11], -1
	s_cbranch_scc0 .LBB30_1693
; %bb.1662:
	s_cmp_lt_i32 s23, 24
	s_cbranch_scc1 .LBB30_1682
; %bb.1663:
	s_cmp_gt_i32 s23, 24
	s_cbranch_scc0 .LBB30_1671
; %bb.1664:
	v_cndmask_b32_e64 v6, 0, 1.0, s[2:3]
	s_mov_b32 s10, 0x47800000
	v_cmp_gt_u32_e32 vcc, s10, v6
	v_mov_b32_e32 v7, 0x80
	s_and_saveexec_b64 s[10:11], vcc
	s_cbranch_execz .LBB30_1670
; %bb.1665:
	s_mov_b32 s12, 0x37ffffff
	v_cmp_lt_u32_e32 vcc, s12, v6
	s_mov_b64 s[12:13], 0
                                        ; implicit-def: $vgpr5
	s_and_saveexec_b64 s[14:15], vcc
	s_xor_b64 s[14:15], exec, s[14:15]
	s_cbranch_execz .LBB30_1995
; %bb.1666:
	v_bfe_u32 v5, v6, 21, 1
	s_mov_b32 s20, 0x88fffff
	v_add3_u32 v5, v6, v5, s20
	s_mov_b64 s[12:13], exec
	v_lshrrev_b32_e32 v5, 21, v5
                                        ; implicit-def: $vgpr6
	s_andn2_saveexec_b64 s[14:15], s[14:15]
	s_cbranch_execnz .LBB30_1996
.LBB30_1667:
	s_or_b64 exec, exec, s[14:15]
	v_mov_b32_e32 v7, 0
	s_and_saveexec_b64 s[14:15], s[12:13]
.LBB30_1668:
	v_mov_b32_e32 v7, v5
.LBB30_1669:
	s_or_b64 exec, exec, s[14:15]
.LBB30_1670:
	s_or_b64 exec, exec, s[10:11]
	s_mov_b64 s[10:11], 0
	global_store_byte v[3:4], v7, off
.LBB30_1671:
	s_and_b64 vcc, exec, s[10:11]
	s_cbranch_vccz .LBB30_1681
; %bb.1672:
	v_cndmask_b32_e64 v5, 0, 1.0, s[2:3]
	s_mov_b32 s10, 0x43f00000
	v_cmp_gt_u32_e32 vcc, s10, v5
                                        ; implicit-def: $vgpr6
	s_and_saveexec_b64 s[10:11], vcc
	s_xor_b64 s[10:11], exec, s[10:11]
	s_cbranch_execz .LBB30_1678
; %bb.1673:
	s_mov_b32 s12, 0x3c7fffff
	v_cmp_lt_u32_e32 vcc, s12, v5
                                        ; implicit-def: $vgpr6
	s_and_saveexec_b64 s[12:13], vcc
	s_xor_b64 s[12:13], exec, s[12:13]
; %bb.1674:
	v_bfe_u32 v6, v5, 20, 1
	s_mov_b32 s14, 0x407ffff
	v_add3_u32 v5, v5, v6, s14
	v_lshrrev_b32_e32 v6, 20, v5
	v_and_b32_e32 v5, 0xff00000, v5
	s_mov_b32 s14, 0x7f00000
	v_mov_b32_e32 v7, 0x7e
	v_cmp_ne_u32_e32 vcc, s14, v5
	v_cndmask_b32_e32 v6, v7, v6, vcc
                                        ; implicit-def: $vgpr5
; %bb.1675:
	s_andn2_saveexec_b64 s[12:13], s[12:13]
; %bb.1676:
	v_add_f32_e32 v6, 0x46800000, v5
; %bb.1677:
	s_or_b64 exec, exec, s[12:13]
                                        ; implicit-def: $vgpr5
.LBB30_1678:
	s_andn2_saveexec_b64 s[10:11], s[10:11]
; %bb.1679:
	s_mov_b32 s12, 0x7f800000
	v_mov_b32_e32 v6, 0x7e
	v_mov_b32_e32 v7, 0x7f
	v_cmp_lt_u32_e32 vcc, s12, v5
	v_cndmask_b32_e32 v6, v6, v7, vcc
; %bb.1680:
	s_or_b64 exec, exec, s[10:11]
	global_store_byte v[3:4], v6, off
.LBB30_1681:
	s_mov_b64 s[10:11], 0
.LBB30_1682:
	s_andn2_b64 vcc, exec, s[10:11]
	s_cbranch_vccnz .LBB30_1692
; %bb.1683:
	v_cndmask_b32_e64 v5, 0, 1.0, s[2:3]
	s_mov_b32 s10, 0x47800000
	v_cmp_gt_u32_e32 vcc, s10, v5
                                        ; implicit-def: $vgpr6
	s_and_saveexec_b64 s[10:11], vcc
	s_xor_b64 s[10:11], exec, s[10:11]
	s_cbranch_execz .LBB30_1689
; %bb.1684:
	s_mov_b32 s12, 0x387fffff
	v_cmp_lt_u32_e32 vcc, s12, v5
                                        ; implicit-def: $vgpr6
	s_and_saveexec_b64 s[12:13], vcc
	s_xor_b64 s[12:13], exec, s[12:13]
; %bb.1685:
	v_bfe_u32 v6, v5, 21, 1
	s_mov_b32 s14, 0x80fffff
	v_add3_u32 v5, v5, v6, s14
	v_lshrrev_b32_e32 v6, 21, v5
                                        ; implicit-def: $vgpr5
; %bb.1686:
	s_andn2_saveexec_b64 s[12:13], s[12:13]
; %bb.1687:
	v_add_f32_e32 v6, 0x43000000, v5
; %bb.1688:
	s_or_b64 exec, exec, s[12:13]
                                        ; implicit-def: $vgpr5
.LBB30_1689:
	s_andn2_saveexec_b64 s[10:11], s[10:11]
; %bb.1690:
	s_mov_b32 s12, 0x7f800000
	v_mov_b32_e32 v6, 0x7c
	v_mov_b32_e32 v7, 0x7f
	v_cmp_lt_u32_e32 vcc, s12, v5
	v_cndmask_b32_e32 v6, v6, v7, vcc
; %bb.1691:
	s_or_b64 exec, exec, s[10:11]
	global_store_byte v[3:4], v6, off
.LBB30_1692:
	s_mov_b64 s[10:11], 0
	s_mov_b64 s[12:13], -1
.LBB30_1693:
	s_andn2_b64 vcc, exec, s[10:11]
	s_mov_b64 s[10:11], 0
	s_cbranch_vccnz .LBB30_1700
; %bb.1694:
	s_cmp_gt_i32 s23, 14
	s_mov_b64 s[14:15], -1
	s_cbranch_scc0 .LBB30_1698
; %bb.1695:
	s_cmp_eq_u32 s23, 15
	s_mov_b64 s[0:1], -1
	s_cbranch_scc0 .LBB30_1697
; %bb.1696:
	v_cndmask_b32_e64 v5, 0, 1.0, s[2:3]
	v_bfe_u32 v6, v5, 16, 1
	s_movk_i32 s0, 0x7fff
	v_add3_u32 v5, v5, v6, s0
	global_store_short_d16_hi v[3:4], v5, off
	s_mov_b64 s[0:1], 0
	s_mov_b64 s[12:13], -1
.LBB30_1697:
	s_mov_b64 s[14:15], 0
.LBB30_1698:
	s_and_b64 vcc, exec, s[14:15]
	s_cbranch_vccz .LBB30_1700
; %bb.1699:
	s_cmp_lg_u32 s23, 11
	s_mov_b64 s[10:11], -1
	s_cselect_b64 s[0:1], -1, 0
.LBB30_1700:
	s_and_b64 vcc, exec, s[0:1]
	s_cbranch_vccnz .LBB30_1994
; %bb.1701:
	s_andn2_b64 vcc, exec, s[10:11]
	s_cbranch_vccnz .LBB30_1703
.LBB30_1702:
	v_cndmask_b32_e64 v5, 0, 1, s[2:3]
	s_mov_b64 s[12:13], -1
	global_store_byte v[3:4], v5, off
.LBB30_1703:
	s_mov_b64 s[0:1], 0
	s_branch .LBB30_1705
.LBB30_1704:
	s_mov_b64 s[0:1], -1
	s_mov_b64 s[12:13], 0
.LBB30_1705:
	s_and_b64 vcc, exec, s[0:1]
	s_cbranch_vccz .LBB30_1744
; %bb.1706:
	s_and_b32 s10, 0xffff, s24
	s_cmp_lt_i32 s10, 5
	s_mov_b64 s[0:1], -1
	s_cbranch_scc1 .LBB30_1727
; %bb.1707:
	s_cmp_lt_i32 s10, 8
	s_cbranch_scc1 .LBB30_1717
; %bb.1708:
	s_cmp_lt_i32 s10, 9
	s_cbranch_scc1 .LBB30_1714
; %bb.1709:
	s_cmp_gt_i32 s10, 9
	s_cbranch_scc0 .LBB30_1711
; %bb.1710:
	v_cndmask_b32_e64 v5, 0, 1, s[2:3]
	v_cvt_f64_u32_e32 v[5:6], v5
	v_mov_b32_e32 v7, 0
	v_mov_b32_e32 v8, v7
	s_mov_b64 s[0:1], 0
	global_store_dwordx4 v[3:4], v[5:8], off
.LBB30_1711:
	s_andn2_b64 vcc, exec, s[0:1]
	s_cbranch_vccnz .LBB30_1713
; %bb.1712:
	v_cndmask_b32_e64 v5, 0, 1.0, s[2:3]
	v_mov_b32_e32 v6, 0
	global_store_dwordx2 v[3:4], v[5:6], off
.LBB30_1713:
	s_mov_b64 s[0:1], 0
.LBB30_1714:
	s_andn2_b64 vcc, exec, s[0:1]
	s_cbranch_vccnz .LBB30_1716
; %bb.1715:
	v_cndmask_b32_e64 v5, 0, 1.0, s[2:3]
	v_cvt_f16_f32_e32 v5, v5
	global_store_dword v[3:4], v5, off
.LBB30_1716:
	s_mov_b64 s[0:1], 0
.LBB30_1717:
	s_andn2_b64 vcc, exec, s[0:1]
	s_cbranch_vccnz .LBB30_1726
; %bb.1718:
	s_cmp_lt_i32 s10, 6
	s_mov_b64 s[0:1], -1
	s_cbranch_scc1 .LBB30_1724
; %bb.1719:
	s_cmp_gt_i32 s10, 6
	s_cbranch_scc0 .LBB30_1721
; %bb.1720:
	v_cndmask_b32_e64 v5, 0, 1, s[2:3]
	v_cvt_f64_u32_e32 v[5:6], v5
	s_mov_b64 s[0:1], 0
	global_store_dwordx2 v[3:4], v[5:6], off
.LBB30_1721:
	s_andn2_b64 vcc, exec, s[0:1]
	s_cbranch_vccnz .LBB30_1723
; %bb.1722:
	v_cndmask_b32_e64 v5, 0, 1.0, s[2:3]
	global_store_dword v[3:4], v5, off
.LBB30_1723:
	s_mov_b64 s[0:1], 0
.LBB30_1724:
	s_andn2_b64 vcc, exec, s[0:1]
	s_cbranch_vccnz .LBB30_1726
; %bb.1725:
	v_cndmask_b32_e64 v5, 0, 1.0, s[2:3]
	v_cvt_f16_f32_e32 v5, v5
	global_store_short v[3:4], v5, off
.LBB30_1726:
	s_mov_b64 s[0:1], 0
.LBB30_1727:
	s_andn2_b64 vcc, exec, s[0:1]
	s_cbranch_vccnz .LBB30_1743
; %bb.1728:
	s_cmp_lt_i32 s10, 2
	s_mov_b64 s[0:1], -1
	s_cbranch_scc1 .LBB30_1738
; %bb.1729:
	s_cmp_lt_i32 s10, 3
	s_cbranch_scc1 .LBB30_1735
; %bb.1730:
	s_cmp_gt_i32 s10, 3
	s_cbranch_scc0 .LBB30_1732
; %bb.1731:
	s_mov_b32 s0, 0
	v_cndmask_b32_e64 v5, 0, 1, s[2:3]
	v_mov_b32_e32 v6, s0
	global_store_dwordx2 v[3:4], v[5:6], off
	s_mov_b64 s[0:1], 0
.LBB30_1732:
	s_andn2_b64 vcc, exec, s[0:1]
	s_cbranch_vccnz .LBB30_1734
; %bb.1733:
	v_cndmask_b32_e64 v5, 0, 1, s[2:3]
	global_store_dword v[3:4], v5, off
.LBB30_1734:
	s_mov_b64 s[0:1], 0
.LBB30_1735:
	s_andn2_b64 vcc, exec, s[0:1]
	s_cbranch_vccnz .LBB30_1737
; %bb.1736:
	v_cndmask_b32_e64 v5, 0, 1, s[2:3]
	global_store_short v[3:4], v5, off
.LBB30_1737:
	s_mov_b64 s[0:1], 0
.LBB30_1738:
	s_andn2_b64 vcc, exec, s[0:1]
	s_cbranch_vccnz .LBB30_1743
; %bb.1739:
	s_mov_b64 s[0:1], -1
	s_cmp_gt_i32 s10, 0
	v_cndmask_b32_e64 v5, 0, 1, s[2:3]
	s_cbranch_scc0 .LBB30_1741
; %bb.1740:
	global_store_byte v[3:4], v5, off
	s_mov_b64 s[0:1], 0
.LBB30_1741:
	s_andn2_b64 vcc, exec, s[0:1]
	s_cbranch_vccnz .LBB30_1743
; %bb.1742:
	global_store_byte v[3:4], v5, off
.LBB30_1743:
	s_mov_b64 s[12:13], -1
.LBB30_1744:
	s_andn2_b64 vcc, exec, s[12:13]
	s_cbranch_vccnz .LBB30_1940
; %bb.1745:
	v_cmp_ne_u16_sdwa s[0:1], s25, v2 src0_sel:DWORD src1_sel:BYTE_0
	v_add_u32_e32 v3, s22, v1
	s_xor_b64 s[2:3], s[4:5], s[0:1]
	v_ashrrev_i32_e32 v2, 31, v3
	v_mov_b32_e32 v4, s9
	v_add_co_u32_e32 v1, vcc, s8, v3
	s_cmp_lt_i32 s24, 11
	v_addc_co_u32_e32 v2, vcc, v4, v2, vcc
	s_cbranch_scc1 .LBB30_1823
; %bb.1746:
	s_and_b32 s23, 0xffff, s24
	s_mov_b64 s[14:15], -1
	s_mov_b64 s[10:11], 0
	s_cmp_gt_i32 s23, 25
	s_mov_b64 s[12:13], 0
	s_mov_b64 s[0:1], 0
	s_cbranch_scc0 .LBB30_1779
; %bb.1747:
	s_cmp_gt_i32 s23, 28
	s_cbranch_scc0 .LBB30_1762
; %bb.1748:
	s_cmp_gt_i32 s23, 43
	;; [unrolled: 3-line block ×3, first 2 shown]
	s_cbranch_scc0 .LBB30_1752
; %bb.1750:
	s_mov_b64 s[0:1], -1
	s_mov_b64 s[14:15], 0
	s_cmp_eq_u32 s23, 46
	s_cbranch_scc0 .LBB30_1752
; %bb.1751:
	v_cndmask_b32_e64 v4, 0, 1.0, s[2:3]
	v_bfe_u32 v5, v4, 16, 1
	s_movk_i32 s0, 0x7fff
	v_add3_u32 v4, v4, v5, s0
	v_lshrrev_b32_e32 v4, 16, v4
	global_store_dword v[1:2], v4, off
	s_mov_b64 s[0:1], 0
	s_mov_b64 s[12:13], -1
.LBB30_1752:
	s_and_b64 vcc, exec, s[14:15]
	s_cbranch_vccz .LBB30_1757
; %bb.1753:
	s_cmp_eq_u32 s23, 44
	s_mov_b64 s[0:1], -1
	s_cbranch_scc0 .LBB30_1757
; %bb.1754:
	v_cndmask_b32_e64 v5, 0, 1.0, s[2:3]
	v_lshrrev_b32_e32 v4, 23, v5
	s_movk_i32 s0, 0xff
	v_cmp_ne_u32_e32 vcc, s0, v4
	v_mov_b32_e32 v6, 0xff
	s_and_saveexec_b64 s[12:13], vcc
; %bb.1755:
	s_mov_b32 s0, 0x3fffff
	v_and_b32_e32 v6, 0x400000, v5
	v_and_or_b32 v5, v5, s0, v4
	v_cmp_ne_u32_e32 vcc, 0, v6
	v_cmp_ne_u32_e64 s[0:1], 0, v5
	s_and_b64 s[0:1], vcc, s[0:1]
	v_cndmask_b32_e64 v5, 0, 1, s[0:1]
	v_add_u32_e32 v6, v4, v5
; %bb.1756:
	s_or_b64 exec, exec, s[12:13]
	s_mov_b64 s[0:1], 0
	s_mov_b64 s[12:13], -1
	global_store_byte v[1:2], v6, off
.LBB30_1757:
	s_mov_b64 s[14:15], 0
.LBB30_1758:
	s_and_b64 vcc, exec, s[14:15]
	s_cbranch_vccz .LBB30_1761
; %bb.1759:
	s_cmp_eq_u32 s23, 29
	s_mov_b64 s[0:1], -1
	s_cbranch_scc0 .LBB30_1761
; %bb.1760:
	s_mov_b32 s0, 0
	v_cndmask_b32_e64 v4, 0, 1, s[2:3]
	v_mov_b32_e32 v5, s0
	global_store_dwordx2 v[1:2], v[4:5], off
	s_mov_b64 s[0:1], 0
	s_mov_b64 s[12:13], -1
.LBB30_1761:
	s_mov_b64 s[14:15], 0
.LBB30_1762:
	s_and_b64 vcc, exec, s[14:15]
	s_cbranch_vccz .LBB30_1778
; %bb.1763:
	s_cmp_lt_i32 s23, 27
	s_mov_b64 s[12:13], -1
	s_cbranch_scc1 .LBB30_1769
; %bb.1764:
	s_cmp_gt_i32 s23, 27
	s_cbranch_scc0 .LBB30_1766
; %bb.1765:
	v_cndmask_b32_e64 v4, 0, 1, s[2:3]
	s_mov_b64 s[12:13], 0
	global_store_dword v[1:2], v4, off
.LBB30_1766:
	s_andn2_b64 vcc, exec, s[12:13]
	s_cbranch_vccnz .LBB30_1768
; %bb.1767:
	v_cndmask_b32_e64 v4, 0, 1, s[2:3]
	global_store_short v[1:2], v4, off
.LBB30_1768:
	s_mov_b64 s[12:13], 0
.LBB30_1769:
	s_andn2_b64 vcc, exec, s[12:13]
	s_cbranch_vccnz .LBB30_1777
; %bb.1770:
	v_cndmask_b32_e64 v5, 0, 1.0, s[2:3]
	s_mov_b32 s12, 0x43800000
	v_cmp_gt_u32_e32 vcc, s12, v5
	v_mov_b32_e32 v6, 0x80
	s_and_saveexec_b64 s[12:13], vcc
	s_cbranch_execz .LBB30_1776
; %bb.1771:
	s_mov_b32 s14, 0x3bffffff
	v_cmp_lt_u32_e32 vcc, s14, v5
	s_mov_b64 s[14:15], 0
                                        ; implicit-def: $vgpr4
	s_and_saveexec_b64 s[20:21], vcc
	s_xor_b64 s[20:21], exec, s[20:21]
	s_cbranch_execz .LBB30_1997
; %bb.1772:
	v_bfe_u32 v4, v5, 20, 1
	s_mov_b32 s26, 0x487ffff
	v_add3_u32 v4, v5, v4, s26
	s_mov_b64 s[14:15], exec
	v_lshrrev_b32_e32 v4, 20, v4
                                        ; implicit-def: $vgpr5
	s_andn2_saveexec_b64 s[20:21], s[20:21]
	s_cbranch_execnz .LBB30_1998
.LBB30_1773:
	s_or_b64 exec, exec, s[20:21]
	v_mov_b32_e32 v6, 0
	s_and_saveexec_b64 s[20:21], s[14:15]
.LBB30_1774:
	v_mov_b32_e32 v6, v4
.LBB30_1775:
	s_or_b64 exec, exec, s[20:21]
.LBB30_1776:
	s_or_b64 exec, exec, s[12:13]
	global_store_byte v[1:2], v6, off
.LBB30_1777:
	s_mov_b64 s[12:13], -1
.LBB30_1778:
	s_mov_b64 s[14:15], 0
.LBB30_1779:
	s_and_b64 vcc, exec, s[14:15]
	s_cbranch_vccz .LBB30_1819
; %bb.1780:
	s_cmp_gt_i32 s23, 22
	s_mov_b64 s[10:11], -1
	s_cbranch_scc0 .LBB30_1812
; %bb.1781:
	s_cmp_lt_i32 s23, 24
	s_cbranch_scc1 .LBB30_1801
; %bb.1782:
	s_cmp_gt_i32 s23, 24
	s_cbranch_scc0 .LBB30_1790
; %bb.1783:
	v_cndmask_b32_e64 v5, 0, 1.0, s[2:3]
	s_mov_b32 s10, 0x47800000
	v_cmp_gt_u32_e32 vcc, s10, v5
	v_mov_b32_e32 v6, 0x80
	s_and_saveexec_b64 s[10:11], vcc
	s_cbranch_execz .LBB30_1789
; %bb.1784:
	s_mov_b32 s12, 0x37ffffff
	v_cmp_lt_u32_e32 vcc, s12, v5
	s_mov_b64 s[12:13], 0
                                        ; implicit-def: $vgpr4
	s_and_saveexec_b64 s[14:15], vcc
	s_xor_b64 s[14:15], exec, s[14:15]
	s_cbranch_execz .LBB30_2000
; %bb.1785:
	v_bfe_u32 v4, v5, 21, 1
	s_mov_b32 s20, 0x88fffff
	v_add3_u32 v4, v5, v4, s20
	s_mov_b64 s[12:13], exec
	v_lshrrev_b32_e32 v4, 21, v4
                                        ; implicit-def: $vgpr5
	s_andn2_saveexec_b64 s[14:15], s[14:15]
	s_cbranch_execnz .LBB30_2001
.LBB30_1786:
	s_or_b64 exec, exec, s[14:15]
	v_mov_b32_e32 v6, 0
	s_and_saveexec_b64 s[14:15], s[12:13]
.LBB30_1787:
	v_mov_b32_e32 v6, v4
.LBB30_1788:
	s_or_b64 exec, exec, s[14:15]
.LBB30_1789:
	s_or_b64 exec, exec, s[10:11]
	s_mov_b64 s[10:11], 0
	global_store_byte v[1:2], v6, off
.LBB30_1790:
	s_and_b64 vcc, exec, s[10:11]
	s_cbranch_vccz .LBB30_1800
; %bb.1791:
	v_cndmask_b32_e64 v4, 0, 1.0, s[2:3]
	s_mov_b32 s10, 0x43f00000
	v_cmp_gt_u32_e32 vcc, s10, v4
                                        ; implicit-def: $vgpr5
	s_and_saveexec_b64 s[10:11], vcc
	s_xor_b64 s[10:11], exec, s[10:11]
	s_cbranch_execz .LBB30_1797
; %bb.1792:
	s_mov_b32 s12, 0x3c7fffff
	v_cmp_lt_u32_e32 vcc, s12, v4
                                        ; implicit-def: $vgpr5
	s_and_saveexec_b64 s[12:13], vcc
	s_xor_b64 s[12:13], exec, s[12:13]
; %bb.1793:
	v_bfe_u32 v5, v4, 20, 1
	s_mov_b32 s14, 0x407ffff
	v_add3_u32 v4, v4, v5, s14
	v_lshrrev_b32_e32 v5, 20, v4
	v_and_b32_e32 v4, 0xff00000, v4
	s_mov_b32 s14, 0x7f00000
	v_mov_b32_e32 v6, 0x7e
	v_cmp_ne_u32_e32 vcc, s14, v4
	v_cndmask_b32_e32 v5, v6, v5, vcc
                                        ; implicit-def: $vgpr4
; %bb.1794:
	s_andn2_saveexec_b64 s[12:13], s[12:13]
; %bb.1795:
	v_add_f32_e32 v5, 0x46800000, v4
; %bb.1796:
	s_or_b64 exec, exec, s[12:13]
                                        ; implicit-def: $vgpr4
.LBB30_1797:
	s_andn2_saveexec_b64 s[10:11], s[10:11]
; %bb.1798:
	s_mov_b32 s12, 0x7f800000
	v_mov_b32_e32 v5, 0x7e
	v_mov_b32_e32 v6, 0x7f
	v_cmp_lt_u32_e32 vcc, s12, v4
	v_cndmask_b32_e32 v5, v5, v6, vcc
; %bb.1799:
	s_or_b64 exec, exec, s[10:11]
	global_store_byte v[1:2], v5, off
.LBB30_1800:
	s_mov_b64 s[10:11], 0
.LBB30_1801:
	s_andn2_b64 vcc, exec, s[10:11]
	s_cbranch_vccnz .LBB30_1811
; %bb.1802:
	v_cndmask_b32_e64 v4, 0, 1.0, s[2:3]
	s_mov_b32 s10, 0x47800000
	v_cmp_gt_u32_e32 vcc, s10, v4
                                        ; implicit-def: $vgpr5
	s_and_saveexec_b64 s[10:11], vcc
	s_xor_b64 s[10:11], exec, s[10:11]
	s_cbranch_execz .LBB30_1808
; %bb.1803:
	s_mov_b32 s12, 0x387fffff
	v_cmp_lt_u32_e32 vcc, s12, v4
                                        ; implicit-def: $vgpr5
	s_and_saveexec_b64 s[12:13], vcc
	s_xor_b64 s[12:13], exec, s[12:13]
; %bb.1804:
	v_bfe_u32 v5, v4, 21, 1
	s_mov_b32 s14, 0x80fffff
	v_add3_u32 v4, v4, v5, s14
	v_lshrrev_b32_e32 v5, 21, v4
                                        ; implicit-def: $vgpr4
; %bb.1805:
	s_andn2_saveexec_b64 s[12:13], s[12:13]
; %bb.1806:
	v_add_f32_e32 v5, 0x43000000, v4
; %bb.1807:
	s_or_b64 exec, exec, s[12:13]
                                        ; implicit-def: $vgpr4
.LBB30_1808:
	s_andn2_saveexec_b64 s[10:11], s[10:11]
; %bb.1809:
	s_mov_b32 s12, 0x7f800000
	v_mov_b32_e32 v5, 0x7c
	v_mov_b32_e32 v6, 0x7f
	v_cmp_lt_u32_e32 vcc, s12, v4
	v_cndmask_b32_e32 v5, v5, v6, vcc
; %bb.1810:
	s_or_b64 exec, exec, s[10:11]
	global_store_byte v[1:2], v5, off
.LBB30_1811:
	s_mov_b64 s[10:11], 0
	s_mov_b64 s[12:13], -1
.LBB30_1812:
	s_andn2_b64 vcc, exec, s[10:11]
	s_mov_b64 s[10:11], 0
	s_cbranch_vccnz .LBB30_1819
; %bb.1813:
	s_cmp_gt_i32 s23, 14
	s_mov_b64 s[14:15], -1
	s_cbranch_scc0 .LBB30_1817
; %bb.1814:
	s_cmp_eq_u32 s23, 15
	s_mov_b64 s[0:1], -1
	s_cbranch_scc0 .LBB30_1816
; %bb.1815:
	v_cndmask_b32_e64 v4, 0, 1.0, s[2:3]
	v_bfe_u32 v5, v4, 16, 1
	s_movk_i32 s0, 0x7fff
	v_add3_u32 v4, v4, v5, s0
	global_store_short_d16_hi v[1:2], v4, off
	s_mov_b64 s[0:1], 0
	s_mov_b64 s[12:13], -1
.LBB30_1816:
	s_mov_b64 s[14:15], 0
.LBB30_1817:
	s_and_b64 vcc, exec, s[14:15]
	s_cbranch_vccz .LBB30_1819
; %bb.1818:
	s_cmp_lg_u32 s23, 11
	s_mov_b64 s[10:11], -1
	s_cselect_b64 s[0:1], -1, 0
.LBB30_1819:
	s_and_b64 vcc, exec, s[0:1]
	s_cbranch_vccnz .LBB30_1999
; %bb.1820:
	s_andn2_b64 vcc, exec, s[10:11]
	s_cbranch_vccnz .LBB30_1822
.LBB30_1821:
	v_cndmask_b32_e64 v4, 0, 1, s[2:3]
	s_mov_b64 s[12:13], -1
	global_store_byte v[1:2], v4, off
.LBB30_1822:
	s_mov_b64 s[0:1], 0
	s_branch .LBB30_1824
.LBB30_1823:
	s_mov_b64 s[0:1], -1
	s_mov_b64 s[12:13], 0
.LBB30_1824:
	s_and_b64 vcc, exec, s[0:1]
	s_cbranch_vccz .LBB30_1863
; %bb.1825:
	s_and_b32 s10, 0xffff, s24
	s_cmp_lt_i32 s10, 5
	s_mov_b64 s[0:1], -1
	s_cbranch_scc1 .LBB30_1846
; %bb.1826:
	s_cmp_lt_i32 s10, 8
	s_cbranch_scc1 .LBB30_1836
; %bb.1827:
	s_cmp_lt_i32 s10, 9
	s_cbranch_scc1 .LBB30_1833
; %bb.1828:
	s_cmp_gt_i32 s10, 9
	s_cbranch_scc0 .LBB30_1830
; %bb.1829:
	v_cndmask_b32_e64 v4, 0, 1, s[2:3]
	v_cvt_f64_u32_e32 v[4:5], v4
	v_mov_b32_e32 v6, 0
	v_mov_b32_e32 v7, v6
	s_mov_b64 s[0:1], 0
	global_store_dwordx4 v[1:2], v[4:7], off
.LBB30_1830:
	s_andn2_b64 vcc, exec, s[0:1]
	s_cbranch_vccnz .LBB30_1832
; %bb.1831:
	v_cndmask_b32_e64 v4, 0, 1.0, s[2:3]
	v_mov_b32_e32 v5, 0
	global_store_dwordx2 v[1:2], v[4:5], off
.LBB30_1832:
	s_mov_b64 s[0:1], 0
.LBB30_1833:
	s_andn2_b64 vcc, exec, s[0:1]
	s_cbranch_vccnz .LBB30_1835
; %bb.1834:
	v_cndmask_b32_e64 v4, 0, 1.0, s[2:3]
	v_cvt_f16_f32_e32 v4, v4
	global_store_dword v[1:2], v4, off
.LBB30_1835:
	s_mov_b64 s[0:1], 0
.LBB30_1836:
	s_andn2_b64 vcc, exec, s[0:1]
	s_cbranch_vccnz .LBB30_1845
; %bb.1837:
	s_cmp_lt_i32 s10, 6
	s_mov_b64 s[0:1], -1
	s_cbranch_scc1 .LBB30_1843
; %bb.1838:
	s_cmp_gt_i32 s10, 6
	s_cbranch_scc0 .LBB30_1840
; %bb.1839:
	v_cndmask_b32_e64 v4, 0, 1, s[2:3]
	v_cvt_f64_u32_e32 v[4:5], v4
	s_mov_b64 s[0:1], 0
	global_store_dwordx2 v[1:2], v[4:5], off
.LBB30_1840:
	s_andn2_b64 vcc, exec, s[0:1]
	s_cbranch_vccnz .LBB30_1842
; %bb.1841:
	v_cndmask_b32_e64 v4, 0, 1.0, s[2:3]
	global_store_dword v[1:2], v4, off
.LBB30_1842:
	s_mov_b64 s[0:1], 0
.LBB30_1843:
	s_andn2_b64 vcc, exec, s[0:1]
	s_cbranch_vccnz .LBB30_1845
; %bb.1844:
	v_cndmask_b32_e64 v4, 0, 1.0, s[2:3]
	v_cvt_f16_f32_e32 v4, v4
	global_store_short v[1:2], v4, off
.LBB30_1845:
	s_mov_b64 s[0:1], 0
.LBB30_1846:
	s_andn2_b64 vcc, exec, s[0:1]
	s_cbranch_vccnz .LBB30_1862
; %bb.1847:
	s_cmp_lt_i32 s10, 2
	s_mov_b64 s[0:1], -1
	s_cbranch_scc1 .LBB30_1857
; %bb.1848:
	s_cmp_lt_i32 s10, 3
	s_cbranch_scc1 .LBB30_1854
; %bb.1849:
	s_cmp_gt_i32 s10, 3
	s_cbranch_scc0 .LBB30_1851
; %bb.1850:
	s_mov_b32 s0, 0
	v_cndmask_b32_e64 v4, 0, 1, s[2:3]
	v_mov_b32_e32 v5, s0
	global_store_dwordx2 v[1:2], v[4:5], off
	s_mov_b64 s[0:1], 0
.LBB30_1851:
	s_andn2_b64 vcc, exec, s[0:1]
	s_cbranch_vccnz .LBB30_1853
; %bb.1852:
	v_cndmask_b32_e64 v4, 0, 1, s[2:3]
	global_store_dword v[1:2], v4, off
.LBB30_1853:
	s_mov_b64 s[0:1], 0
.LBB30_1854:
	s_andn2_b64 vcc, exec, s[0:1]
	s_cbranch_vccnz .LBB30_1856
; %bb.1855:
	v_cndmask_b32_e64 v4, 0, 1, s[2:3]
	global_store_short v[1:2], v4, off
.LBB30_1856:
	s_mov_b64 s[0:1], 0
.LBB30_1857:
	s_andn2_b64 vcc, exec, s[0:1]
	s_cbranch_vccnz .LBB30_1862
; %bb.1858:
	s_mov_b64 s[0:1], -1
	s_cmp_gt_i32 s10, 0
	v_cndmask_b32_e64 v4, 0, 1, s[2:3]
	s_cbranch_scc0 .LBB30_1860
; %bb.1859:
	global_store_byte v[1:2], v4, off
	s_mov_b64 s[0:1], 0
.LBB30_1860:
	s_andn2_b64 vcc, exec, s[0:1]
	s_cbranch_vccnz .LBB30_1862
; %bb.1861:
	global_store_byte v[1:2], v4, off
.LBB30_1862:
	s_mov_b64 s[12:13], -1
.LBB30_1863:
	s_andn2_b64 vcc, exec, s[12:13]
	s_cbranch_vccnz .LBB30_1940
; %bb.1864:
	v_cmp_ne_u16_sdwa s[0:1], s25, v0 src0_sel:DWORD src1_sel:BYTE_0
	v_add_u32_e32 v0, s22, v3
	s_xor_b64 s[20:21], s[4:5], s[0:1]
	v_ashrrev_i32_e32 v1, 31, v0
	v_mov_b32_e32 v2, s9
	v_add_co_u32_e32 v0, vcc, s8, v0
	s_cmp_lt_i32 s24, 11
	v_addc_co_u32_e32 v1, vcc, v2, v1, vcc
	s_cbranch_scc1 .LBB30_1985
; %bb.1865:
	s_and_b32 s12, 0xffff, s24
	s_mov_b64 s[4:5], -1
	s_mov_b64 s[2:3], 0
	s_cmp_gt_i32 s12, 25
	s_mov_b64 s[0:1], 0
	s_cbranch_scc0 .LBB30_1898
; %bb.1866:
	s_cmp_gt_i32 s12, 28
	s_cbranch_scc0 .LBB30_1882
; %bb.1867:
	s_cmp_gt_i32 s12, 43
	;; [unrolled: 3-line block ×3, first 2 shown]
	s_cbranch_scc0 .LBB30_1872
; %bb.1869:
	s_cmp_eq_u32 s12, 46
	s_mov_b64 s[0:1], -1
	s_cbranch_scc0 .LBB30_1871
; %bb.1870:
	v_cndmask_b32_e64 v2, 0, 1.0, s[20:21]
	v_bfe_u32 v3, v2, 16, 1
	s_movk_i32 s0, 0x7fff
	v_add3_u32 v2, v2, v3, s0
	v_lshrrev_b32_e32 v2, 16, v2
	global_store_dword v[0:1], v2, off
	s_mov_b64 s[0:1], 0
.LBB30_1871:
	s_mov_b64 s[4:5], 0
.LBB30_1872:
	s_and_b64 vcc, exec, s[4:5]
	s_cbranch_vccz .LBB30_1877
; %bb.1873:
	s_cmp_eq_u32 s12, 44
	s_mov_b64 s[0:1], -1
	s_cbranch_scc0 .LBB30_1877
; %bb.1874:
	v_cndmask_b32_e64 v3, 0, 1.0, s[20:21]
	v_lshrrev_b32_e32 v2, 23, v3
	s_movk_i32 s0, 0xff
	v_cmp_ne_u32_e32 vcc, s0, v2
	v_mov_b32_e32 v4, 0xff
	s_and_saveexec_b64 s[4:5], vcc
; %bb.1875:
	s_mov_b32 s0, 0x3fffff
	v_and_b32_e32 v4, 0x400000, v3
	v_and_or_b32 v3, v3, s0, v2
	v_cmp_ne_u32_e32 vcc, 0, v4
	v_cmp_ne_u32_e64 s[0:1], 0, v3
	s_and_b64 s[0:1], vcc, s[0:1]
	v_cndmask_b32_e64 v3, 0, 1, s[0:1]
	v_add_u32_e32 v4, v2, v3
; %bb.1876:
	s_or_b64 exec, exec, s[4:5]
	s_mov_b64 s[0:1], 0
	global_store_byte v[0:1], v4, off
.LBB30_1877:
	s_mov_b64 s[4:5], 0
.LBB30_1878:
	s_and_b64 vcc, exec, s[4:5]
	s_cbranch_vccz .LBB30_1881
; %bb.1879:
	s_cmp_eq_u32 s12, 29
	s_mov_b64 s[0:1], -1
	s_cbranch_scc0 .LBB30_1881
; %bb.1880:
	s_mov_b32 s0, 0
	v_cndmask_b32_e64 v2, 0, 1, s[20:21]
	v_mov_b32_e32 v3, s0
	global_store_dwordx2 v[0:1], v[2:3], off
	s_mov_b64 s[0:1], 0
.LBB30_1881:
	s_mov_b64 s[4:5], 0
.LBB30_1882:
	s_and_b64 vcc, exec, s[4:5]
	s_cbranch_vccz .LBB30_1897
; %bb.1883:
	s_cmp_lt_i32 s12, 27
	s_mov_b64 s[4:5], -1
	s_cbranch_scc1 .LBB30_1889
; %bb.1884:
	s_cmp_gt_i32 s12, 27
	v_cndmask_b32_e64 v2, 0, 1, s[20:21]
	s_cbranch_scc0 .LBB30_1886
; %bb.1885:
	global_store_dword v[0:1], v2, off
	s_mov_b64 s[4:5], 0
.LBB30_1886:
	s_andn2_b64 vcc, exec, s[4:5]
	s_cbranch_vccnz .LBB30_1888
; %bb.1887:
	global_store_short v[0:1], v2, off
.LBB30_1888:
	s_mov_b64 s[4:5], 0
.LBB30_1889:
	s_andn2_b64 vcc, exec, s[4:5]
	s_cbranch_vccnz .LBB30_1897
; %bb.1890:
	v_cndmask_b32_e64 v3, 0, 1.0, s[20:21]
	s_mov_b32 s4, 0x43800000
	v_cmp_gt_u32_e32 vcc, s4, v3
	v_mov_b32_e32 v4, 0x80
	s_and_saveexec_b64 s[4:5], vcc
	s_cbranch_execz .LBB30_1896
; %bb.1891:
	s_mov_b32 s8, 0x3bffffff
	v_cmp_lt_u32_e32 vcc, s8, v3
	s_mov_b64 s[8:9], 0
                                        ; implicit-def: $vgpr2
	s_and_saveexec_b64 s[10:11], vcc
	s_xor_b64 s[10:11], exec, s[10:11]
	s_cbranch_execz .LBB30_2002
; %bb.1892:
	v_bfe_u32 v2, v3, 20, 1
	s_mov_b32 s13, 0x487ffff
	v_add3_u32 v2, v3, v2, s13
	s_mov_b64 s[8:9], exec
	v_lshrrev_b32_e32 v2, 20, v2
                                        ; implicit-def: $vgpr3
	s_andn2_saveexec_b64 s[10:11], s[10:11]
	s_cbranch_execnz .LBB30_2003
.LBB30_1893:
	s_or_b64 exec, exec, s[10:11]
	v_mov_b32_e32 v4, 0
	s_and_saveexec_b64 s[10:11], s[8:9]
.LBB30_1894:
	v_mov_b32_e32 v4, v2
.LBB30_1895:
	s_or_b64 exec, exec, s[10:11]
.LBB30_1896:
	s_or_b64 exec, exec, s[4:5]
	global_store_byte v[0:1], v4, off
.LBB30_1897:
	s_mov_b64 s[4:5], 0
.LBB30_1898:
	s_and_b64 vcc, exec, s[4:5]
	s_cbranch_vccz .LBB30_1938
; %bb.1899:
	s_cmp_gt_i32 s12, 22
	s_mov_b64 s[2:3], -1
	s_cbranch_scc0 .LBB30_1931
; %bb.1900:
	s_cmp_lt_i32 s12, 24
	s_cbranch_scc1 .LBB30_1920
; %bb.1901:
	s_cmp_gt_i32 s12, 24
	s_cbranch_scc0 .LBB30_1909
; %bb.1902:
	v_cndmask_b32_e64 v3, 0, 1.0, s[20:21]
	s_mov_b32 s2, 0x47800000
	v_cmp_gt_u32_e32 vcc, s2, v3
	v_mov_b32_e32 v4, 0x80
	s_and_saveexec_b64 s[2:3], vcc
	s_cbranch_execz .LBB30_1908
; %bb.1903:
	s_mov_b32 s4, 0x37ffffff
	v_cmp_lt_u32_e32 vcc, s4, v3
	s_mov_b64 s[4:5], 0
                                        ; implicit-def: $vgpr2
	s_and_saveexec_b64 s[8:9], vcc
	s_xor_b64 s[8:9], exec, s[8:9]
	s_cbranch_execz .LBB30_2005
; %bb.1904:
	v_bfe_u32 v2, v3, 21, 1
	s_mov_b32 s10, 0x88fffff
	v_add3_u32 v2, v3, v2, s10
	s_mov_b64 s[4:5], exec
	v_lshrrev_b32_e32 v2, 21, v2
                                        ; implicit-def: $vgpr3
	s_andn2_saveexec_b64 s[8:9], s[8:9]
	s_cbranch_execnz .LBB30_2006
.LBB30_1905:
	s_or_b64 exec, exec, s[8:9]
	v_mov_b32_e32 v4, 0
	s_and_saveexec_b64 s[8:9], s[4:5]
.LBB30_1906:
	v_mov_b32_e32 v4, v2
.LBB30_1907:
	s_or_b64 exec, exec, s[8:9]
.LBB30_1908:
	s_or_b64 exec, exec, s[2:3]
	s_mov_b64 s[2:3], 0
	global_store_byte v[0:1], v4, off
.LBB30_1909:
	s_and_b64 vcc, exec, s[2:3]
	s_cbranch_vccz .LBB30_1919
; %bb.1910:
	v_cndmask_b32_e64 v2, 0, 1.0, s[20:21]
	s_mov_b32 s2, 0x43f00000
	v_cmp_gt_u32_e32 vcc, s2, v2
                                        ; implicit-def: $vgpr3
	s_and_saveexec_b64 s[2:3], vcc
	s_xor_b64 s[2:3], exec, s[2:3]
	s_cbranch_execz .LBB30_1916
; %bb.1911:
	s_mov_b32 s4, 0x3c7fffff
	v_cmp_lt_u32_e32 vcc, s4, v2
                                        ; implicit-def: $vgpr3
	s_and_saveexec_b64 s[4:5], vcc
	s_xor_b64 s[4:5], exec, s[4:5]
; %bb.1912:
	v_bfe_u32 v3, v2, 20, 1
	s_mov_b32 s8, 0x407ffff
	v_add3_u32 v2, v2, v3, s8
	v_lshrrev_b32_e32 v3, 20, v2
	v_and_b32_e32 v2, 0xff00000, v2
	s_mov_b32 s8, 0x7f00000
	v_mov_b32_e32 v4, 0x7e
	v_cmp_ne_u32_e32 vcc, s8, v2
	v_cndmask_b32_e32 v3, v4, v3, vcc
                                        ; implicit-def: $vgpr2
; %bb.1913:
	s_andn2_saveexec_b64 s[4:5], s[4:5]
; %bb.1914:
	v_add_f32_e32 v3, 0x46800000, v2
; %bb.1915:
	s_or_b64 exec, exec, s[4:5]
                                        ; implicit-def: $vgpr2
.LBB30_1916:
	s_andn2_saveexec_b64 s[2:3], s[2:3]
; %bb.1917:
	s_mov_b32 s4, 0x7f800000
	v_mov_b32_e32 v3, 0x7e
	v_mov_b32_e32 v4, 0x7f
	v_cmp_lt_u32_e32 vcc, s4, v2
	v_cndmask_b32_e32 v3, v3, v4, vcc
; %bb.1918:
	s_or_b64 exec, exec, s[2:3]
	global_store_byte v[0:1], v3, off
.LBB30_1919:
	s_mov_b64 s[2:3], 0
.LBB30_1920:
	s_andn2_b64 vcc, exec, s[2:3]
	s_cbranch_vccnz .LBB30_1930
; %bb.1921:
	v_cndmask_b32_e64 v2, 0, 1.0, s[20:21]
	s_mov_b32 s2, 0x47800000
	v_cmp_gt_u32_e32 vcc, s2, v2
                                        ; implicit-def: $vgpr3
	s_and_saveexec_b64 s[2:3], vcc
	s_xor_b64 s[2:3], exec, s[2:3]
	s_cbranch_execz .LBB30_1927
; %bb.1922:
	s_mov_b32 s4, 0x387fffff
	v_cmp_lt_u32_e32 vcc, s4, v2
                                        ; implicit-def: $vgpr3
	s_and_saveexec_b64 s[4:5], vcc
	s_xor_b64 s[4:5], exec, s[4:5]
; %bb.1923:
	v_bfe_u32 v3, v2, 21, 1
	s_mov_b32 s8, 0x80fffff
	v_add3_u32 v2, v2, v3, s8
	v_lshrrev_b32_e32 v3, 21, v2
                                        ; implicit-def: $vgpr2
; %bb.1924:
	s_andn2_saveexec_b64 s[4:5], s[4:5]
; %bb.1925:
	v_add_f32_e32 v3, 0x43000000, v2
; %bb.1926:
	s_or_b64 exec, exec, s[4:5]
                                        ; implicit-def: $vgpr2
.LBB30_1927:
	s_andn2_saveexec_b64 s[2:3], s[2:3]
; %bb.1928:
	s_mov_b32 s4, 0x7f800000
	v_mov_b32_e32 v3, 0x7c
	v_mov_b32_e32 v4, 0x7f
	v_cmp_lt_u32_e32 vcc, s4, v2
	v_cndmask_b32_e32 v3, v3, v4, vcc
; %bb.1929:
	s_or_b64 exec, exec, s[2:3]
	global_store_byte v[0:1], v3, off
.LBB30_1930:
	s_mov_b64 s[2:3], 0
.LBB30_1931:
	s_andn2_b64 vcc, exec, s[2:3]
	s_mov_b64 s[2:3], 0
	s_cbranch_vccnz .LBB30_1938
; %bb.1932:
	s_cmp_gt_i32 s12, 14
	s_mov_b64 s[4:5], -1
	s_cbranch_scc0 .LBB30_1936
; %bb.1933:
	s_cmp_eq_u32 s12, 15
	s_mov_b64 s[0:1], -1
	s_cbranch_scc0 .LBB30_1935
; %bb.1934:
	v_cndmask_b32_e64 v2, 0, 1.0, s[20:21]
	v_bfe_u32 v3, v2, 16, 1
	s_movk_i32 s0, 0x7fff
	v_add3_u32 v2, v2, v3, s0
	global_store_short_d16_hi v[0:1], v2, off
	s_mov_b64 s[0:1], 0
.LBB30_1935:
	s_mov_b64 s[4:5], 0
.LBB30_1936:
	s_and_b64 vcc, exec, s[4:5]
	s_cbranch_vccz .LBB30_1938
; %bb.1937:
	s_cmp_lg_u32 s12, 11
	s_mov_b64 s[2:3], -1
	s_cselect_b64 s[0:1], -1, 0
.LBB30_1938:
	s_and_b64 vcc, exec, s[0:1]
	s_cbranch_vccnz .LBB30_2004
.LBB30_1939:
	s_mov_b64 s[0:1], 0
	s_branch .LBB30_1941
.LBB30_1940:
	s_mov_b64 s[0:1], 0
	s_mov_b64 s[2:3], 0
                                        ; implicit-def: $sgpr20_sgpr21
                                        ; implicit-def: $sgpr24
                                        ; implicit-def: $vgpr0_vgpr1
.LBB30_1941:
	s_and_b64 s[4:5], s[2:3], exec
	s_andn2_b64 s[2:3], s[16:17], exec
	s_and_b64 s[8:9], s[18:19], exec
	s_and_b64 s[0:1], s[0:1], exec
	s_or_b64 s[16:17], s[2:3], s[8:9]
.LBB30_1942:
	s_or_b64 exec, exec, s[6:7]
	s_and_saveexec_b64 s[2:3], s[16:17]
	s_cbranch_execz .LBB30_1945
; %bb.1943:
	; divergent unreachable
	s_or_b64 exec, exec, s[2:3]
	s_and_saveexec_b64 s[2:3], s[4:5]
	s_xor_b64 s[2:3], exec, s[2:3]
	s_cbranch_execnz .LBB30_1946
.LBB30_1944:
	s_or_b64 exec, exec, s[2:3]
	s_and_saveexec_b64 s[2:3], s[0:1]
	s_cbranch_execnz .LBB30_1947
	s_branch .LBB30_1984
.LBB30_1945:
	s_or_b64 exec, exec, s[2:3]
	s_and_saveexec_b64 s[2:3], s[4:5]
	s_xor_b64 s[2:3], exec, s[2:3]
	s_cbranch_execz .LBB30_1944
.LBB30_1946:
	s_waitcnt vmcnt(0)
	v_cndmask_b32_e64 v2, 0, 1, s[20:21]
	global_store_byte v[0:1], v2, off
	s_or_b64 exec, exec, s[2:3]
	s_and_saveexec_b64 s[2:3], s[0:1]
	s_cbranch_execz .LBB30_1984
.LBB30_1947:
	s_sext_i32_i16 s2, s24
	s_cmp_lt_i32 s2, 5
	s_mov_b64 s[0:1], -1
	s_cbranch_scc1 .LBB30_1968
; %bb.1948:
	s_cmp_lt_i32 s2, 8
	s_cbranch_scc1 .LBB30_1958
; %bb.1949:
	s_cmp_lt_i32 s2, 9
	s_cbranch_scc1 .LBB30_1955
; %bb.1950:
	s_cmp_gt_i32 s2, 9
	s_cbranch_scc0 .LBB30_1952
; %bb.1951:
	s_waitcnt vmcnt(0)
	v_cndmask_b32_e64 v2, 0, 1, s[20:21]
	v_cvt_f64_u32_e32 v[2:3], v2
	v_mov_b32_e32 v4, 0
	v_mov_b32_e32 v5, v4
	s_mov_b64 s[0:1], 0
	global_store_dwordx4 v[0:1], v[2:5], off
.LBB30_1952:
	s_andn2_b64 vcc, exec, s[0:1]
	s_cbranch_vccnz .LBB30_1954
; %bb.1953:
	s_waitcnt vmcnt(0)
	v_cndmask_b32_e64 v2, 0, 1.0, s[20:21]
	v_mov_b32_e32 v3, 0
	global_store_dwordx2 v[0:1], v[2:3], off
.LBB30_1954:
	s_mov_b64 s[0:1], 0
.LBB30_1955:
	s_andn2_b64 vcc, exec, s[0:1]
	s_cbranch_vccnz .LBB30_1957
; %bb.1956:
	s_waitcnt vmcnt(0)
	v_cndmask_b32_e64 v2, 0, 1.0, s[20:21]
	v_cvt_f16_f32_e32 v2, v2
	global_store_dword v[0:1], v2, off
.LBB30_1957:
	s_mov_b64 s[0:1], 0
.LBB30_1958:
	s_andn2_b64 vcc, exec, s[0:1]
	s_cbranch_vccnz .LBB30_1967
; %bb.1959:
	s_sext_i32_i16 s2, s24
	s_cmp_lt_i32 s2, 6
	s_mov_b64 s[0:1], -1
	s_cbranch_scc1 .LBB30_1965
; %bb.1960:
	s_cmp_gt_i32 s2, 6
	s_cbranch_scc0 .LBB30_1962
; %bb.1961:
	s_waitcnt vmcnt(0)
	v_cndmask_b32_e64 v2, 0, 1, s[20:21]
	v_cvt_f64_u32_e32 v[2:3], v2
	s_mov_b64 s[0:1], 0
	global_store_dwordx2 v[0:1], v[2:3], off
.LBB30_1962:
	s_andn2_b64 vcc, exec, s[0:1]
	s_cbranch_vccnz .LBB30_1964
; %bb.1963:
	s_waitcnt vmcnt(0)
	v_cndmask_b32_e64 v2, 0, 1.0, s[20:21]
	global_store_dword v[0:1], v2, off
.LBB30_1964:
	s_mov_b64 s[0:1], 0
.LBB30_1965:
	s_andn2_b64 vcc, exec, s[0:1]
	s_cbranch_vccnz .LBB30_1967
; %bb.1966:
	s_waitcnt vmcnt(0)
	v_cndmask_b32_e64 v2, 0, 1.0, s[20:21]
	v_cvt_f16_f32_e32 v2, v2
	global_store_short v[0:1], v2, off
.LBB30_1967:
	s_mov_b64 s[0:1], 0
.LBB30_1968:
	s_andn2_b64 vcc, exec, s[0:1]
	s_cbranch_vccnz .LBB30_1984
; %bb.1969:
	s_sext_i32_i16 s2, s24
	s_cmp_lt_i32 s2, 2
	s_mov_b64 s[0:1], -1
	s_cbranch_scc1 .LBB30_1979
; %bb.1970:
	s_cmp_lt_i32 s2, 3
	s_cbranch_scc1 .LBB30_1976
; %bb.1971:
	s_cmp_gt_i32 s2, 3
	s_cbranch_scc0 .LBB30_1973
; %bb.1972:
	s_mov_b32 s0, 0
	s_waitcnt vmcnt(0)
	v_cndmask_b32_e64 v2, 0, 1, s[20:21]
	v_mov_b32_e32 v3, s0
	global_store_dwordx2 v[0:1], v[2:3], off
	s_mov_b64 s[0:1], 0
.LBB30_1973:
	s_andn2_b64 vcc, exec, s[0:1]
	s_cbranch_vccnz .LBB30_1975
; %bb.1974:
	s_waitcnt vmcnt(0)
	v_cndmask_b32_e64 v2, 0, 1, s[20:21]
	global_store_dword v[0:1], v2, off
.LBB30_1975:
	s_mov_b64 s[0:1], 0
.LBB30_1976:
	s_andn2_b64 vcc, exec, s[0:1]
	s_cbranch_vccnz .LBB30_1978
; %bb.1977:
	s_waitcnt vmcnt(0)
	v_cndmask_b32_e64 v2, 0, 1, s[20:21]
	global_store_short v[0:1], v2, off
.LBB30_1978:
	s_mov_b64 s[0:1], 0
.LBB30_1979:
	s_andn2_b64 vcc, exec, s[0:1]
	s_cbranch_vccnz .LBB30_1984
; %bb.1980:
	s_sext_i32_i16 s2, s24
	s_mov_b64 s[0:1], -1
	s_cmp_gt_i32 s2, 0
	s_waitcnt vmcnt(0)
	v_cndmask_b32_e64 v2, 0, 1, s[20:21]
	s_cbranch_scc0 .LBB30_1982
; %bb.1981:
	global_store_byte v[0:1], v2, off
	s_mov_b64 s[0:1], 0
.LBB30_1982:
	s_andn2_b64 vcc, exec, s[0:1]
	s_cbranch_vccnz .LBB30_1984
; %bb.1983:
	global_store_byte v[0:1], v2, off
	s_endpgm
.LBB30_1984:
	s_endpgm
.LBB30_1985:
	s_mov_b64 s[2:3], 0
	s_mov_b64 s[0:1], -1
	s_branch .LBB30_1941
.LBB30_1986:
	s_trap 2
	s_or_b64 s[18:19], s[18:19], exec
	s_cbranch_execz .LBB30_1455
	s_branch .LBB30_1456
.LBB30_1987:
	s_andn2_saveexec_b64 s[22:23], s[22:23]
	s_cbranch_execz .LBB30_1535
.LBB30_1988:
	v_add_f32_e32 v3, 0x46000000, v7
	v_and_b32_e32 v3, 0xff, v3
	v_cmp_ne_u32_e32 vcc, 0, v3
	s_andn2_b64 s[20:21], s[20:21], exec
	s_and_b64 s[26:27], vcc, exec
	s_or_b64 s[20:21], s[20:21], s[26:27]
	s_or_b64 exec, exec, s[22:23]
	v_mov_b32_e32 v8, 0
	s_and_saveexec_b64 s[22:23], s[20:21]
	s_cbranch_execnz .LBB30_1536
	s_branch .LBB30_1537
.LBB30_1989:
	s_trap 2
	s_or_b64 s[18:19], s[18:19], exec
	s_cbranch_execz .LBB30_1583
	s_branch .LBB30_1584
.LBB30_1990:
	s_andn2_saveexec_b64 s[20:21], s[20:21]
	s_cbranch_execz .LBB30_1548
.LBB30_1991:
	v_add_f32_e32 v3, 0x42800000, v7
	v_and_b32_e32 v3, 0xff, v3
	v_cmp_ne_u32_e32 vcc, 0, v3
	s_andn2_b64 s[14:15], s[14:15], exec
	s_and_b64 s[22:23], vcc, exec
	s_or_b64 s[14:15], s[14:15], s[22:23]
	s_or_b64 exec, exec, s[20:21]
	v_mov_b32_e32 v8, 0
	s_and_saveexec_b64 s[20:21], s[14:15]
	s_cbranch_execnz .LBB30_1549
	s_branch .LBB30_1550
.LBB30_1992:
	s_andn2_saveexec_b64 s[20:21], s[20:21]
	s_cbranch_execz .LBB30_1654
.LBB30_1993:
	v_add_f32_e32 v5, 0x46000000, v6
	v_and_b32_e32 v5, 0xff, v5
	v_cmp_ne_u32_e32 vcc, 0, v5
	s_andn2_b64 s[14:15], s[14:15], exec
	s_and_b64 s[26:27], vcc, exec
	s_or_b64 s[14:15], s[14:15], s[26:27]
	s_or_b64 exec, exec, s[20:21]
	v_mov_b32_e32 v7, 0
	s_and_saveexec_b64 s[20:21], s[14:15]
	s_cbranch_execnz .LBB30_1655
	s_branch .LBB30_1656
.LBB30_1994:
	s_trap 2
	s_or_b64 s[18:19], s[18:19], exec
	s_cbranch_execz .LBB30_1702
	s_branch .LBB30_1703
.LBB30_1995:
	s_andn2_saveexec_b64 s[14:15], s[14:15]
	s_cbranch_execz .LBB30_1667
.LBB30_1996:
	v_add_f32_e32 v5, 0x42800000, v6
	v_and_b32_e32 v5, 0xff, v5
	v_cmp_ne_u32_e32 vcc, 0, v5
	s_andn2_b64 s[12:13], s[12:13], exec
	s_and_b64 s[20:21], vcc, exec
	s_or_b64 s[12:13], s[12:13], s[20:21]
	s_or_b64 exec, exec, s[14:15]
	v_mov_b32_e32 v7, 0
	s_and_saveexec_b64 s[14:15], s[12:13]
	s_cbranch_execnz .LBB30_1668
	s_branch .LBB30_1669
.LBB30_1997:
	s_andn2_saveexec_b64 s[20:21], s[20:21]
	s_cbranch_execz .LBB30_1773
.LBB30_1998:
	v_add_f32_e32 v4, 0x46000000, v5
	v_and_b32_e32 v4, 0xff, v4
	v_cmp_ne_u32_e32 vcc, 0, v4
	s_andn2_b64 s[14:15], s[14:15], exec
	s_and_b64 s[26:27], vcc, exec
	s_or_b64 s[14:15], s[14:15], s[26:27]
	s_or_b64 exec, exec, s[20:21]
	v_mov_b32_e32 v6, 0
	s_and_saveexec_b64 s[20:21], s[14:15]
	s_cbranch_execnz .LBB30_1774
	s_branch .LBB30_1775
.LBB30_1999:
	s_trap 2
	s_or_b64 s[18:19], s[18:19], exec
	s_cbranch_execz .LBB30_1821
	s_branch .LBB30_1822
.LBB30_2000:
	s_andn2_saveexec_b64 s[14:15], s[14:15]
	s_cbranch_execz .LBB30_1786
.LBB30_2001:
	v_add_f32_e32 v4, 0x42800000, v5
	v_and_b32_e32 v4, 0xff, v4
	v_cmp_ne_u32_e32 vcc, 0, v4
	s_andn2_b64 s[12:13], s[12:13], exec
	s_and_b64 s[20:21], vcc, exec
	s_or_b64 s[12:13], s[12:13], s[20:21]
	s_or_b64 exec, exec, s[14:15]
	v_mov_b32_e32 v6, 0
	s_and_saveexec_b64 s[14:15], s[12:13]
	s_cbranch_execnz .LBB30_1787
	s_branch .LBB30_1788
.LBB30_2002:
	s_andn2_saveexec_b64 s[10:11], s[10:11]
	s_cbranch_execz .LBB30_1893
.LBB30_2003:
	v_add_f32_e32 v2, 0x46000000, v3
	v_and_b32_e32 v2, 0xff, v2
	v_cmp_ne_u32_e32 vcc, 0, v2
	s_andn2_b64 s[8:9], s[8:9], exec
	s_and_b64 s[14:15], vcc, exec
	s_or_b64 s[8:9], s[8:9], s[14:15]
	s_or_b64 exec, exec, s[10:11]
	v_mov_b32_e32 v4, 0
	s_and_saveexec_b64 s[10:11], s[8:9]
	s_cbranch_execnz .LBB30_1894
	s_branch .LBB30_1895
.LBB30_2004:
	s_mov_b64 s[2:3], 0
	s_or_b64 s[18:19], s[18:19], exec
	s_trap 2
	s_branch .LBB30_1939
.LBB30_2005:
	s_andn2_saveexec_b64 s[8:9], s[8:9]
	s_cbranch_execz .LBB30_1905
.LBB30_2006:
	v_add_f32_e32 v2, 0x42800000, v3
	v_and_b32_e32 v2, 0xff, v2
	v_cmp_ne_u32_e32 vcc, 0, v2
	s_andn2_b64 s[4:5], s[4:5], exec
	s_and_b64 s[10:11], vcc, exec
	s_or_b64 s[4:5], s[4:5], s[10:11]
	s_or_b64 exec, exec, s[8:9]
	v_mov_b32_e32 v4, 0
	s_and_saveexec_b64 s[8:9], s[4:5]
	s_cbranch_execnz .LBB30_1906
	s_branch .LBB30_1907
	.section	.rodata,"a",@progbits
	.p2align	6, 0x0
	.amdhsa_kernel _ZN2at6native32elementwise_kernel_manual_unrollILi128ELi4EZNS0_15gpu_kernel_implINS0_13AUnaryFunctorIaabNS0_12_GLOBAL__N_116CompareEqFunctorIaEEEEEEvRNS_18TensorIteratorBaseERKT_EUlibE_EEviT1_
		.amdhsa_group_segment_fixed_size 0
		.amdhsa_private_segment_fixed_size 0
		.amdhsa_kernarg_size 48
		.amdhsa_user_sgpr_count 6
		.amdhsa_user_sgpr_private_segment_buffer 1
		.amdhsa_user_sgpr_dispatch_ptr 0
		.amdhsa_user_sgpr_queue_ptr 0
		.amdhsa_user_sgpr_kernarg_segment_ptr 1
		.amdhsa_user_sgpr_dispatch_id 0
		.amdhsa_user_sgpr_flat_scratch_init 0
		.amdhsa_user_sgpr_private_segment_size 0
		.amdhsa_uses_dynamic_stack 0
		.amdhsa_system_sgpr_private_segment_wavefront_offset 0
		.amdhsa_system_sgpr_workgroup_id_x 1
		.amdhsa_system_sgpr_workgroup_id_y 0
		.amdhsa_system_sgpr_workgroup_id_z 0
		.amdhsa_system_sgpr_workgroup_info 0
		.amdhsa_system_vgpr_workitem_id 0
		.amdhsa_next_free_vgpr 12
		.amdhsa_next_free_sgpr 48
		.amdhsa_reserve_vcc 1
		.amdhsa_reserve_flat_scratch 0
		.amdhsa_float_round_mode_32 0
		.amdhsa_float_round_mode_16_64 0
		.amdhsa_float_denorm_mode_32 3
		.amdhsa_float_denorm_mode_16_64 3
		.amdhsa_dx10_clamp 1
		.amdhsa_ieee_mode 1
		.amdhsa_fp16_overflow 0
		.amdhsa_exception_fp_ieee_invalid_op 0
		.amdhsa_exception_fp_denorm_src 0
		.amdhsa_exception_fp_ieee_div_zero 0
		.amdhsa_exception_fp_ieee_overflow 0
		.amdhsa_exception_fp_ieee_underflow 0
		.amdhsa_exception_fp_ieee_inexact 0
		.amdhsa_exception_int_div_zero 0
	.end_amdhsa_kernel
	.section	.text._ZN2at6native32elementwise_kernel_manual_unrollILi128ELi4EZNS0_15gpu_kernel_implINS0_13AUnaryFunctorIaabNS0_12_GLOBAL__N_116CompareEqFunctorIaEEEEEEvRNS_18TensorIteratorBaseERKT_EUlibE_EEviT1_,"axG",@progbits,_ZN2at6native32elementwise_kernel_manual_unrollILi128ELi4EZNS0_15gpu_kernel_implINS0_13AUnaryFunctorIaabNS0_12_GLOBAL__N_116CompareEqFunctorIaEEEEEEvRNS_18TensorIteratorBaseERKT_EUlibE_EEviT1_,comdat
.Lfunc_end30:
	.size	_ZN2at6native32elementwise_kernel_manual_unrollILi128ELi4EZNS0_15gpu_kernel_implINS0_13AUnaryFunctorIaabNS0_12_GLOBAL__N_116CompareEqFunctorIaEEEEEEvRNS_18TensorIteratorBaseERKT_EUlibE_EEviT1_, .Lfunc_end30-_ZN2at6native32elementwise_kernel_manual_unrollILi128ELi4EZNS0_15gpu_kernel_implINS0_13AUnaryFunctorIaabNS0_12_GLOBAL__N_116CompareEqFunctorIaEEEEEEvRNS_18TensorIteratorBaseERKT_EUlibE_EEviT1_
                                        ; -- End function
	.set _ZN2at6native32elementwise_kernel_manual_unrollILi128ELi4EZNS0_15gpu_kernel_implINS0_13AUnaryFunctorIaabNS0_12_GLOBAL__N_116CompareEqFunctorIaEEEEEEvRNS_18TensorIteratorBaseERKT_EUlibE_EEviT1_.num_vgpr, 12
	.set _ZN2at6native32elementwise_kernel_manual_unrollILi128ELi4EZNS0_15gpu_kernel_implINS0_13AUnaryFunctorIaabNS0_12_GLOBAL__N_116CompareEqFunctorIaEEEEEEvRNS_18TensorIteratorBaseERKT_EUlibE_EEviT1_.num_agpr, 0
	.set _ZN2at6native32elementwise_kernel_manual_unrollILi128ELi4EZNS0_15gpu_kernel_implINS0_13AUnaryFunctorIaabNS0_12_GLOBAL__N_116CompareEqFunctorIaEEEEEEvRNS_18TensorIteratorBaseERKT_EUlibE_EEviT1_.numbered_sgpr, 48
	.set _ZN2at6native32elementwise_kernel_manual_unrollILi128ELi4EZNS0_15gpu_kernel_implINS0_13AUnaryFunctorIaabNS0_12_GLOBAL__N_116CompareEqFunctorIaEEEEEEvRNS_18TensorIteratorBaseERKT_EUlibE_EEviT1_.num_named_barrier, 0
	.set _ZN2at6native32elementwise_kernel_manual_unrollILi128ELi4EZNS0_15gpu_kernel_implINS0_13AUnaryFunctorIaabNS0_12_GLOBAL__N_116CompareEqFunctorIaEEEEEEvRNS_18TensorIteratorBaseERKT_EUlibE_EEviT1_.private_seg_size, 0
	.set _ZN2at6native32elementwise_kernel_manual_unrollILi128ELi4EZNS0_15gpu_kernel_implINS0_13AUnaryFunctorIaabNS0_12_GLOBAL__N_116CompareEqFunctorIaEEEEEEvRNS_18TensorIteratorBaseERKT_EUlibE_EEviT1_.uses_vcc, 1
	.set _ZN2at6native32elementwise_kernel_manual_unrollILi128ELi4EZNS0_15gpu_kernel_implINS0_13AUnaryFunctorIaabNS0_12_GLOBAL__N_116CompareEqFunctorIaEEEEEEvRNS_18TensorIteratorBaseERKT_EUlibE_EEviT1_.uses_flat_scratch, 0
	.set _ZN2at6native32elementwise_kernel_manual_unrollILi128ELi4EZNS0_15gpu_kernel_implINS0_13AUnaryFunctorIaabNS0_12_GLOBAL__N_116CompareEqFunctorIaEEEEEEvRNS_18TensorIteratorBaseERKT_EUlibE_EEviT1_.has_dyn_sized_stack, 0
	.set _ZN2at6native32elementwise_kernel_manual_unrollILi128ELi4EZNS0_15gpu_kernel_implINS0_13AUnaryFunctorIaabNS0_12_GLOBAL__N_116CompareEqFunctorIaEEEEEEvRNS_18TensorIteratorBaseERKT_EUlibE_EEviT1_.has_recursion, 0
	.set _ZN2at6native32elementwise_kernel_manual_unrollILi128ELi4EZNS0_15gpu_kernel_implINS0_13AUnaryFunctorIaabNS0_12_GLOBAL__N_116CompareEqFunctorIaEEEEEEvRNS_18TensorIteratorBaseERKT_EUlibE_EEviT1_.has_indirect_call, 0
	.section	.AMDGPU.csdata,"",@progbits
; Kernel info:
; codeLenInByte = 29256
; TotalNumSgprs: 52
; NumVgprs: 12
; ScratchSize: 0
; MemoryBound: 1
; FloatMode: 240
; IeeeMode: 1
; LDSByteSize: 0 bytes/workgroup (compile time only)
; SGPRBlocks: 6
; VGPRBlocks: 2
; NumSGPRsForWavesPerEU: 52
; NumVGPRsForWavesPerEU: 12
; Occupancy: 10
; WaveLimiterHint : 0
; COMPUTE_PGM_RSRC2:SCRATCH_EN: 0
; COMPUTE_PGM_RSRC2:USER_SGPR: 6
; COMPUTE_PGM_RSRC2:TRAP_HANDLER: 0
; COMPUTE_PGM_RSRC2:TGID_X_EN: 1
; COMPUTE_PGM_RSRC2:TGID_Y_EN: 0
; COMPUTE_PGM_RSRC2:TGID_Z_EN: 0
; COMPUTE_PGM_RSRC2:TIDIG_COMP_CNT: 0
	.section	.text._ZN2at6native32elementwise_kernel_manual_unrollILi128ELi4EZNS0_15gpu_kernel_implINS0_13AUnaryFunctorIaabNS0_12_GLOBAL__N_116CompareEqFunctorIaEEEEEEvRNS_18TensorIteratorBaseERKT_EUlibE0_EEviT1_,"axG",@progbits,_ZN2at6native32elementwise_kernel_manual_unrollILi128ELi4EZNS0_15gpu_kernel_implINS0_13AUnaryFunctorIaabNS0_12_GLOBAL__N_116CompareEqFunctorIaEEEEEEvRNS_18TensorIteratorBaseERKT_EUlibE0_EEviT1_,comdat
	.globl	_ZN2at6native32elementwise_kernel_manual_unrollILi128ELi4EZNS0_15gpu_kernel_implINS0_13AUnaryFunctorIaabNS0_12_GLOBAL__N_116CompareEqFunctorIaEEEEEEvRNS_18TensorIteratorBaseERKT_EUlibE0_EEviT1_ ; -- Begin function _ZN2at6native32elementwise_kernel_manual_unrollILi128ELi4EZNS0_15gpu_kernel_implINS0_13AUnaryFunctorIaabNS0_12_GLOBAL__N_116CompareEqFunctorIaEEEEEEvRNS_18TensorIteratorBaseERKT_EUlibE0_EEviT1_
	.p2align	8
	.type	_ZN2at6native32elementwise_kernel_manual_unrollILi128ELi4EZNS0_15gpu_kernel_implINS0_13AUnaryFunctorIaabNS0_12_GLOBAL__N_116CompareEqFunctorIaEEEEEEvRNS_18TensorIteratorBaseERKT_EUlibE0_EEviT1_,@function
_ZN2at6native32elementwise_kernel_manual_unrollILi128ELi4EZNS0_15gpu_kernel_implINS0_13AUnaryFunctorIaabNS0_12_GLOBAL__N_116CompareEqFunctorIaEEEEEEvRNS_18TensorIteratorBaseERKT_EUlibE0_EEviT1_: ; @_ZN2at6native32elementwise_kernel_manual_unrollILi128ELi4EZNS0_15gpu_kernel_implINS0_13AUnaryFunctorIaabNS0_12_GLOBAL__N_116CompareEqFunctorIaEEEEEEvRNS_18TensorIteratorBaseERKT_EUlibE0_EEviT1_
; %bb.0:
	s_load_dword s74, s[4:5], 0x0
	s_load_dword s33, s[4:5], 0x8
	s_add_u32 s34, s4, 8
	s_addc_u32 s35, s5, 0
	v_lshl_or_b32 v8, s6, 9, v0
	v_or_b32_e32 v15, 0x180, v8
	s_waitcnt lgkmcnt(0)
	s_add_i32 s76, s33, -1
	s_cmp_gt_u32 s76, 1
	v_cmp_le_i32_e32 vcc, s74, v15
	s_cselect_b64 s[40:41], -1, 0
	s_mov_b64 s[6:7], 0
	s_mov_b64 s[28:29], 0
	s_and_saveexec_b64 s[0:1], vcc
	s_xor_b64 s[42:43], exec, s[0:1]
	s_cbranch_execz .LBB31_1070
; %bb.1:
	s_load_dwordx4 s[28:31], s[34:35], 0x4
	s_load_dwordx2 s[48:49], s[34:35], 0x14
	s_load_dwordx2 s[44:45], s[34:35], 0x158
	s_load_dword s77, s[34:35], 0x160
	s_cmp_lg_u32 s33, 0
	s_cselect_b64 s[54:55], -1, 0
	s_add_u32 s52, s34, 0xc4
	s_addc_u32 s53, s35, 0
	s_min_u32 s79, s76, 15
	s_load_dwordx4 s[36:39], s[34:35], 0xc4
	s_load_dwordx4 s[24:27], s[34:35], 0x148
	s_cmp_gt_u32 s33, 1
	s_cselect_b64 s[50:51], -1, 0
	s_waitcnt lgkmcnt(0)
	s_bfe_u32 s78, s77, 0x80008
	s_cmp_eq_u32 s44, 0
	s_cselect_b64 s[46:47], -1, 0
	v_cmp_gt_i32_e32 vcc, s74, v8
	s_mov_b64 s[2:3], -1
	s_mov_b64 s[64:65], 0
	s_mov_b64 s[58:59], 0
	s_mov_b64 s[56:57], 0
	s_and_saveexec_b64 s[60:61], vcc
	s_cbranch_execz .LBB31_262
; %bb.2:
	s_andn2_b64 vcc, exec, s[40:41]
	s_cbranch_vccnz .LBB31_7
; %bb.3:
	s_andn2_b64 vcc, exec, s[54:55]
	s_cbranch_vccnz .LBB31_8
; %bb.4:
	s_add_i32 s62, s79, 1
	s_cmp_eq_u32 s76, 2
	s_cbranch_scc1 .LBB31_9
; %bb.5:
	s_and_b32 s44, s62, 28
	v_mov_b32_e32 v2, 0
	s_mov_b32 s63, 0
	s_mov_b64 s[56:57], s[34:35]
	s_mov_b64 s[58:59], s[52:53]
	v_mov_b32_e32 v0, 0
	v_mov_b32_e32 v1, v8
.LBB31_6:                               ; =>This Inner Loop Header: Depth=1
	s_load_dwordx8 s[16:23], s[56:57], 0x4
	s_load_dwordx4 s[0:3], s[56:57], 0x24
	s_load_dwordx8 s[8:15], s[58:59], 0x0
	s_add_u32 s56, s56, 48
	s_addc_u32 s57, s57, 0
	s_waitcnt lgkmcnt(0)
	v_mul_hi_u32 v3, s17, v1
	s_add_i32 s63, s63, 4
	s_add_u32 s58, s58, 32
	s_addc_u32 s59, s59, 0
	v_add_u32_e32 v3, v1, v3
	v_lshrrev_b32_e32 v3, s18, v3
	v_mul_lo_u32 v4, v3, s16
	v_mul_hi_u32 v5, s20, v3
	s_cmp_lg_u32 s44, s63
	v_sub_u32_e32 v1, v1, v4
	v_add_u32_e32 v4, v3, v5
	v_mul_lo_u32 v5, v1, s8
	v_mul_lo_u32 v6, v1, s9
	v_lshrrev_b32_e32 v1, s21, v4
	v_mul_lo_u32 v4, v1, s19
	v_mul_hi_u32 v7, s23, v1
	v_sub_u32_e32 v3, v3, v4
	v_add_u32_e32 v4, v1, v7
	v_lshrrev_b32_e32 v4, s0, v4
	v_mul_hi_u32 v9, s2, v4
	v_mul_lo_u32 v10, v4, s22
	v_mul_lo_u32 v7, v3, s10
	;; [unrolled: 1-line block ×3, first 2 shown]
	v_sub_u32_e32 v10, v1, v10
	v_add_u32_e32 v1, v4, v9
	v_lshrrev_b32_e32 v1, s3, v1
	v_mul_lo_u32 v9, v1, s1
	v_mul_lo_u32 v11, v10, s12
	;; [unrolled: 1-line block ×3, first 2 shown]
	v_add3_u32 v0, v5, v0, v7
	v_sub_u32_e32 v4, v4, v9
	v_mul_lo_u32 v9, v4, s14
	v_mul_lo_u32 v4, v4, s15
	v_add3_u32 v2, v6, v2, v3
	v_add3_u32 v0, v11, v0, v9
	;; [unrolled: 1-line block ×3, first 2 shown]
	s_cbranch_scc1 .LBB31_6
	s_branch .LBB31_10
.LBB31_7:
                                        ; implicit-def: $vgpr0
                                        ; implicit-def: $vgpr2
	s_branch .LBB31_14
.LBB31_8:
	v_mov_b32_e32 v0, 0
	v_mov_b32_e32 v2, 0
	s_branch .LBB31_13
.LBB31_9:
	s_mov_b32 s44, 0
	v_mov_b32_e32 v0, 0
	v_mov_b32_e32 v2, 0
	;; [unrolled: 1-line block ×3, first 2 shown]
.LBB31_10:
	s_and_b32 s8, s62, 3
	s_cmp_eq_u32 s8, 0
	s_cbranch_scc1 .LBB31_13
; %bb.11:
	s_lshl_b32 s0, s44, 3
	s_add_u32 s0, s34, s0
	s_addc_u32 s1, s35, 0
	s_add_u32 s0, s0, 0xc4
	s_addc_u32 s1, s1, 0
	s_mul_i32 s2, s44, 12
	s_add_u32 s2, s34, s2
	s_addc_u32 s3, s35, 0
.LBB31_12:                              ; =>This Inner Loop Header: Depth=1
	s_load_dwordx2 s[10:11], s[2:3], 0x4
	s_load_dword s9, s[2:3], 0xc
	s_load_dwordx2 s[12:13], s[0:1], 0x0
	s_add_u32 s2, s2, 12
	s_addc_u32 s3, s3, 0
	s_waitcnt lgkmcnt(0)
	v_mul_hi_u32 v3, s11, v1
	s_add_u32 s0, s0, 8
	s_addc_u32 s1, s1, 0
	s_add_i32 s8, s8, -1
	v_add_u32_e32 v3, v1, v3
	v_lshrrev_b32_e32 v4, s9, v3
	v_mul_lo_u32 v3, v4, s10
	s_cmp_lg_u32 s8, 0
	v_sub_u32_e32 v3, v1, v3
	v_mad_u64_u32 v[0:1], s[10:11], v3, s12, v[0:1]
	v_mad_u64_u32 v[2:3], s[10:11], v3, s13, v[2:3]
	v_mov_b32_e32 v1, v4
	s_cbranch_scc1 .LBB31_12
.LBB31_13:
	s_cbranch_execnz .LBB31_16
.LBB31_14:
	v_mul_hi_u32 v0, s29, v8
	s_andn2_b64 vcc, exec, s[50:51]
	v_add_u32_e32 v0, v8, v0
	v_lshrrev_b32_e32 v1, s30, v0
	v_mul_lo_u32 v0, v1, s28
	v_sub_u32_e32 v2, v8, v0
	v_mul_lo_u32 v0, v2, s36
	v_mul_lo_u32 v2, v2, s37
	s_cbranch_vccnz .LBB31_16
; %bb.15:
	v_mul_hi_u32 v3, s48, v1
	v_add_u32_e32 v3, v1, v3
	v_lshrrev_b32_e32 v3, s49, v3
	v_mul_lo_u32 v3, v3, s31
	v_sub_u32_e32 v3, v1, v3
	v_mad_u64_u32 v[0:1], s[0:1], v3, s38, v[0:1]
	v_mad_u64_u32 v[2:3], s[0:1], v3, s39, v[2:3]
.LBB31_16:
	v_mov_b32_e32 v3, s27
	s_and_b32 s10, 0xffff, s78
	v_add_co_u32_e32 v1, vcc, s26, v2
	s_cmp_lt_i32 s10, 11
	v_addc_co_u32_e32 v2, vcc, 0, v3, vcc
	s_cbranch_scc1 .LBB31_23
; %bb.17:
	s_cmp_gt_i32 s10, 25
	s_cbranch_scc0 .LBB31_32
; %bb.18:
	s_cmp_gt_i32 s10, 28
	s_cbranch_scc0 .LBB31_35
	;; [unrolled: 3-line block ×4, first 2 shown]
; %bb.21:
	s_cmp_eq_u32 s10, 46
	s_mov_b64 s[8:9], 0
	s_cbranch_scc0 .LBB31_41
; %bb.22:
	global_load_dword v3, v[1:2], off
	s_mov_b64 s[0:1], -1
	s_mov_b64 s[2:3], 0
	s_waitcnt vmcnt(0)
	v_lshlrev_b32_e32 v3, 16, v3
	v_cvt_i32_f32_e32 v3, v3
	s_branch .LBB31_43
.LBB31_23:
	s_mov_b64 s[2:3], 0
                                        ; implicit-def: $vgpr3
	s_mov_b64 s[0:1], 0
	s_cbranch_execnz .LBB31_212
.LBB31_24:
	s_andn2_b64 vcc, exec, s[0:1]
	s_cbranch_vccnz .LBB31_259
.LBB31_25:
	s_and_b32 s0, s45, 0xff
	s_waitcnt vmcnt(0)
	v_cmp_ne_u16_sdwa s[0:1], s0, v3 src0_sel:DWORD src1_sel:BYTE_0
	s_xor_b64 s[8:9], s[46:47], s[0:1]
	v_mov_b32_e32 v1, s25
	s_and_b32 s16, s77, 0xff
	v_add_co_u32_e32 v0, vcc, s24, v0
	s_cmp_lt_i32 s16, 11
	v_addc_co_u32_e32 v1, vcc, 0, v1, vcc
	s_cbranch_scc1 .LBB31_33
; %bb.26:
	s_and_b32 s17, 0xffff, s16
	s_cmp_gt_i32 s17, 25
	s_cbranch_scc0 .LBB31_36
; %bb.27:
	s_cmp_gt_i32 s17, 28
	s_cbranch_scc0 .LBB31_38
; %bb.28:
	;; [unrolled: 3-line block ×4, first 2 shown]
	s_mov_b64 s[12:13], 0
	s_mov_b64 s[0:1], -1
	s_cmp_eq_u32 s17, 46
	s_mov_b64 s[10:11], 0
	s_cbranch_scc0 .LBB31_47
; %bb.31:
	v_cndmask_b32_e64 v2, 0, 1.0, s[8:9]
	v_bfe_u32 v3, v2, 16, 1
	s_movk_i32 s0, 0x7fff
	v_add3_u32 v2, v2, v3, s0
	v_lshrrev_b32_e32 v2, 16, v2
	global_store_dword v[0:1], v2, off
	s_mov_b64 s[10:11], -1
	s_mov_b64 s[0:1], 0
	s_branch .LBB31_47
.LBB31_32:
	s_mov_b64 s[2:3], 0
	s_mov_b64 s[0:1], 0
                                        ; implicit-def: $vgpr3
	s_cbranch_execnz .LBB31_179
	s_branch .LBB31_211
.LBB31_33:
	s_mov_b64 s[0:1], 0
	s_mov_b64 s[10:11], 0
	s_cbranch_execnz .LBB31_116
.LBB31_34:
	s_andn2_b64 vcc, exec, s[10:11]
	s_cbranch_vccnz .LBB31_260
	s_branch .LBB31_154
.LBB31_35:
	s_mov_b64 s[8:9], -1
	s_mov_b64 s[2:3], 0
	s_mov_b64 s[0:1], 0
                                        ; implicit-def: $vgpr3
	s_branch .LBB31_162
.LBB31_36:
	s_mov_b64 s[12:13], -1
	s_mov_b64 s[0:1], 0
	s_mov_b64 s[10:11], 0
	s_branch .LBB31_74
.LBB31_37:
	s_mov_b64 s[8:9], -1
	s_mov_b64 s[2:3], 0
	s_mov_b64 s[0:1], 0
                                        ; implicit-def: $vgpr3
	s_branch .LBB31_157
.LBB31_38:
	s_mov_b64 s[12:13], -1
	s_mov_b64 s[0:1], 0
	s_mov_b64 s[10:11], 0
	s_branch .LBB31_57
.LBB31_39:
	s_mov_b64 s[8:9], -1
	s_mov_b64 s[2:3], 0
	s_branch .LBB31_42
.LBB31_40:
	s_mov_b64 s[12:13], -1
	s_mov_b64 s[0:1], 0
	s_mov_b64 s[10:11], 0
	s_branch .LBB31_53
.LBB31_41:
	s_mov_b64 s[2:3], -1
.LBB31_42:
	s_mov_b64 s[0:1], 0
                                        ; implicit-def: $vgpr3
.LBB31_43:
	s_and_b64 vcc, exec, s[8:9]
	s_cbranch_vccz .LBB31_156
; %bb.44:
	s_cmp_eq_u32 s10, 44
	s_cbranch_scc0 .LBB31_155
; %bb.45:
	global_load_ubyte v3, v[1:2], off
	s_mov_b64 s[0:1], -1
	s_mov_b64 s[2:3], 0
	s_waitcnt vmcnt(0)
	v_lshlrev_b32_e32 v4, 23, v3
	v_cvt_i32_f32_e32 v4, v4
	v_cmp_ne_u32_e32 vcc, 0, v3
	v_cndmask_b32_e32 v3, 0, v4, vcc
	s_branch .LBB31_156
.LBB31_46:
	s_mov_b64 s[12:13], -1
	s_mov_b64 s[0:1], 0
	s_mov_b64 s[10:11], 0
.LBB31_47:
	s_and_b64 vcc, exec, s[12:13]
	s_cbranch_vccz .LBB31_52
; %bb.48:
	s_cmp_eq_u32 s17, 44
	s_mov_b64 s[0:1], -1
	s_cbranch_scc0 .LBB31_52
; %bb.49:
	v_cndmask_b32_e64 v3, 0, 1.0, s[8:9]
	v_lshrrev_b32_e32 v2, 23, v3
	s_movk_i32 s0, 0xff
	v_cmp_ne_u32_e32 vcc, s0, v2
	v_mov_b32_e32 v4, 0xff
	s_and_saveexec_b64 s[10:11], vcc
; %bb.50:
	s_mov_b32 s0, 0x3fffff
	v_and_b32_e32 v4, 0x400000, v3
	v_and_or_b32 v3, v3, s0, v2
	v_cmp_ne_u32_e32 vcc, 0, v4
	v_cmp_ne_u32_e64 s[0:1], 0, v3
	s_and_b64 s[0:1], vcc, s[0:1]
	v_cndmask_b32_e64 v3, 0, 1, s[0:1]
	v_add_u32_e32 v4, v2, v3
; %bb.51:
	s_or_b64 exec, exec, s[10:11]
	s_mov_b64 s[10:11], -1
	s_mov_b64 s[0:1], 0
	global_store_byte v[0:1], v4, off
.LBB31_52:
	s_mov_b64 s[12:13], 0
.LBB31_53:
	s_and_b64 vcc, exec, s[12:13]
	s_cbranch_vccz .LBB31_56
; %bb.54:
	s_cmp_eq_u32 s17, 29
	s_mov_b64 s[0:1], -1
	s_cbranch_scc0 .LBB31_56
; %bb.55:
	s_mov_b32 s0, 0
	v_cndmask_b32_e64 v2, 0, 1, s[8:9]
	v_mov_b32_e32 v3, s0
	global_store_dwordx2 v[0:1], v[2:3], off
	s_mov_b64 s[10:11], -1
	s_mov_b64 s[0:1], 0
.LBB31_56:
	s_mov_b64 s[12:13], 0
.LBB31_57:
	s_and_b64 vcc, exec, s[12:13]
	s_cbranch_vccz .LBB31_73
; %bb.58:
	s_cmp_lt_i32 s17, 27
	s_mov_b64 s[10:11], -1
	s_cbranch_scc1 .LBB31_64
; %bb.59:
	s_cmp_gt_i32 s17, 27
	s_cbranch_scc0 .LBB31_61
; %bb.60:
	v_cndmask_b32_e64 v2, 0, 1, s[8:9]
	s_mov_b64 s[10:11], 0
	global_store_dword v[0:1], v2, off
.LBB31_61:
	s_andn2_b64 vcc, exec, s[10:11]
	s_cbranch_vccnz .LBB31_63
; %bb.62:
	v_cndmask_b32_e64 v2, 0, 1, s[8:9]
	global_store_short v[0:1], v2, off
.LBB31_63:
	s_mov_b64 s[10:11], 0
.LBB31_64:
	s_andn2_b64 vcc, exec, s[10:11]
	s_cbranch_vccnz .LBB31_72
; %bb.65:
	v_cndmask_b32_e64 v3, 0, 1.0, s[8:9]
	s_mov_b32 s10, 0x43800000
	v_cmp_gt_u32_e32 vcc, s10, v3
	v_mov_b32_e32 v4, 0x80
	s_and_saveexec_b64 s[10:11], vcc
	s_cbranch_execz .LBB31_71
; %bb.66:
	s_mov_b32 s12, 0x3bffffff
	v_cmp_lt_u32_e32 vcc, s12, v3
	s_mov_b64 s[12:13], 0
                                        ; implicit-def: $vgpr2
	s_and_saveexec_b64 s[14:15], vcc
	s_xor_b64 s[14:15], exec, s[14:15]
	s_cbranch_execz .LBB31_303
; %bb.67:
	v_bfe_u32 v2, v3, 20, 1
	s_mov_b32 s18, 0x487ffff
	v_add3_u32 v2, v3, v2, s18
	s_mov_b64 s[12:13], exec
	v_lshrrev_b32_e32 v2, 20, v2
                                        ; implicit-def: $vgpr3
	s_andn2_saveexec_b64 s[14:15], s[14:15]
	s_cbranch_execnz .LBB31_304
.LBB31_68:
	s_or_b64 exec, exec, s[14:15]
	v_mov_b32_e32 v4, 0
	s_and_saveexec_b64 s[14:15], s[12:13]
.LBB31_69:
	v_mov_b32_e32 v4, v2
.LBB31_70:
	s_or_b64 exec, exec, s[14:15]
.LBB31_71:
	s_or_b64 exec, exec, s[10:11]
	global_store_byte v[0:1], v4, off
.LBB31_72:
	s_mov_b64 s[10:11], -1
.LBB31_73:
	s_mov_b64 s[12:13], 0
.LBB31_74:
	s_and_b64 vcc, exec, s[12:13]
	s_cbranch_vccz .LBB31_115
; %bb.75:
	s_cmp_gt_i32 s17, 22
	s_mov_b64 s[12:13], -1
	s_cbranch_scc0 .LBB31_107
; %bb.76:
	s_cmp_lt_i32 s17, 24
	s_mov_b64 s[10:11], -1
	s_cbranch_scc1 .LBB31_96
; %bb.77:
	s_cmp_gt_i32 s17, 24
	s_cbranch_scc0 .LBB31_85
; %bb.78:
	v_cndmask_b32_e64 v3, 0, 1.0, s[8:9]
	s_mov_b32 s10, 0x47800000
	v_cmp_gt_u32_e32 vcc, s10, v3
	v_mov_b32_e32 v4, 0x80
	s_and_saveexec_b64 s[10:11], vcc
	s_cbranch_execz .LBB31_84
; %bb.79:
	s_mov_b32 s12, 0x37ffffff
	v_cmp_lt_u32_e32 vcc, s12, v3
	s_mov_b64 s[12:13], 0
                                        ; implicit-def: $vgpr2
	s_and_saveexec_b64 s[14:15], vcc
	s_xor_b64 s[14:15], exec, s[14:15]
	s_cbranch_execz .LBB31_307
; %bb.80:
	v_bfe_u32 v2, v3, 21, 1
	s_mov_b32 s18, 0x88fffff
	v_add3_u32 v2, v3, v2, s18
	s_mov_b64 s[12:13], exec
	v_lshrrev_b32_e32 v2, 21, v2
                                        ; implicit-def: $vgpr3
	s_andn2_saveexec_b64 s[14:15], s[14:15]
	s_cbranch_execnz .LBB31_308
.LBB31_81:
	s_or_b64 exec, exec, s[14:15]
	v_mov_b32_e32 v4, 0
	s_and_saveexec_b64 s[14:15], s[12:13]
.LBB31_82:
	v_mov_b32_e32 v4, v2
.LBB31_83:
	s_or_b64 exec, exec, s[14:15]
.LBB31_84:
	s_or_b64 exec, exec, s[10:11]
	s_mov_b64 s[10:11], 0
	global_store_byte v[0:1], v4, off
.LBB31_85:
	s_and_b64 vcc, exec, s[10:11]
	s_cbranch_vccz .LBB31_95
; %bb.86:
	v_cndmask_b32_e64 v2, 0, 1.0, s[8:9]
	s_mov_b32 s10, 0x43f00000
	v_cmp_gt_u32_e32 vcc, s10, v2
                                        ; implicit-def: $vgpr3
	s_and_saveexec_b64 s[10:11], vcc
	s_xor_b64 s[10:11], exec, s[10:11]
	s_cbranch_execz .LBB31_92
; %bb.87:
	s_mov_b32 s12, 0x3c7fffff
	v_cmp_lt_u32_e32 vcc, s12, v2
                                        ; implicit-def: $vgpr3
	s_and_saveexec_b64 s[12:13], vcc
	s_xor_b64 s[12:13], exec, s[12:13]
; %bb.88:
	v_bfe_u32 v3, v2, 20, 1
	s_mov_b32 s14, 0x407ffff
	v_add3_u32 v2, v2, v3, s14
	v_lshrrev_b32_e32 v3, 20, v2
	v_and_b32_e32 v2, 0xff00000, v2
	s_mov_b32 s14, 0x7f00000
	v_mov_b32_e32 v4, 0x7e
	v_cmp_ne_u32_e32 vcc, s14, v2
	v_cndmask_b32_e32 v3, v4, v3, vcc
                                        ; implicit-def: $vgpr2
; %bb.89:
	s_andn2_saveexec_b64 s[12:13], s[12:13]
; %bb.90:
	v_add_f32_e32 v3, 0x46800000, v2
; %bb.91:
	s_or_b64 exec, exec, s[12:13]
                                        ; implicit-def: $vgpr2
.LBB31_92:
	s_andn2_saveexec_b64 s[10:11], s[10:11]
; %bb.93:
	s_mov_b32 s12, 0x7f800000
	v_mov_b32_e32 v3, 0x7e
	v_mov_b32_e32 v4, 0x7f
	v_cmp_lt_u32_e32 vcc, s12, v2
	v_cndmask_b32_e32 v3, v3, v4, vcc
; %bb.94:
	s_or_b64 exec, exec, s[10:11]
	global_store_byte v[0:1], v3, off
.LBB31_95:
	s_mov_b64 s[10:11], 0
.LBB31_96:
	s_andn2_b64 vcc, exec, s[10:11]
	s_cbranch_vccnz .LBB31_106
; %bb.97:
	v_cndmask_b32_e64 v2, 0, 1.0, s[8:9]
	s_mov_b32 s10, 0x47800000
	v_cmp_gt_u32_e32 vcc, s10, v2
                                        ; implicit-def: $vgpr3
	s_and_saveexec_b64 s[10:11], vcc
	s_xor_b64 s[10:11], exec, s[10:11]
	s_cbranch_execz .LBB31_103
; %bb.98:
	s_mov_b32 s12, 0x387fffff
	v_cmp_lt_u32_e32 vcc, s12, v2
                                        ; implicit-def: $vgpr3
	s_and_saveexec_b64 s[12:13], vcc
	s_xor_b64 s[12:13], exec, s[12:13]
; %bb.99:
	v_bfe_u32 v3, v2, 21, 1
	s_mov_b32 s14, 0x80fffff
	v_add3_u32 v2, v2, v3, s14
	v_lshrrev_b32_e32 v3, 21, v2
                                        ; implicit-def: $vgpr2
; %bb.100:
	s_andn2_saveexec_b64 s[12:13], s[12:13]
; %bb.101:
	v_add_f32_e32 v3, 0x43000000, v2
; %bb.102:
	s_or_b64 exec, exec, s[12:13]
                                        ; implicit-def: $vgpr2
.LBB31_103:
	s_andn2_saveexec_b64 s[10:11], s[10:11]
; %bb.104:
	s_mov_b32 s12, 0x7f800000
	v_mov_b32_e32 v3, 0x7c
	v_mov_b32_e32 v4, 0x7f
	v_cmp_lt_u32_e32 vcc, s12, v2
	v_cndmask_b32_e32 v3, v3, v4, vcc
; %bb.105:
	s_or_b64 exec, exec, s[10:11]
	global_store_byte v[0:1], v3, off
.LBB31_106:
	s_mov_b64 s[12:13], 0
	s_mov_b64 s[10:11], -1
.LBB31_107:
	s_andn2_b64 vcc, exec, s[12:13]
	s_cbranch_vccnz .LBB31_115
; %bb.108:
	s_cmp_gt_i32 s17, 14
	s_mov_b64 s[12:13], -1
	s_cbranch_scc0 .LBB31_112
; %bb.109:
	s_cmp_eq_u32 s17, 15
	s_mov_b64 s[0:1], -1
	s_cbranch_scc0 .LBB31_111
; %bb.110:
	v_cndmask_b32_e64 v2, 0, 1.0, s[8:9]
	v_bfe_u32 v3, v2, 16, 1
	s_movk_i32 s0, 0x7fff
	v_add3_u32 v2, v2, v3, s0
	global_store_short_d16_hi v[0:1], v2, off
	s_mov_b64 s[10:11], -1
	s_mov_b64 s[0:1], 0
.LBB31_111:
	s_mov_b64 s[12:13], 0
.LBB31_112:
	s_and_b64 vcc, exec, s[12:13]
	s_cbranch_vccz .LBB31_115
; %bb.113:
	s_cmp_eq_u32 s17, 11
	s_mov_b64 s[0:1], -1
	s_cbranch_scc0 .LBB31_115
; %bb.114:
	v_cndmask_b32_e64 v2, 0, 1, s[8:9]
	s_mov_b64 s[10:11], -1
	s_mov_b64 s[0:1], 0
	global_store_byte v[0:1], v2, off
.LBB31_115:
	s_branch .LBB31_34
.LBB31_116:
	s_and_b32 s12, 0xffff, s16
	s_cmp_lt_i32 s12, 5
	s_mov_b64 s[10:11], -1
	s_cbranch_scc1 .LBB31_137
; %bb.117:
	s_cmp_lt_i32 s12, 8
	s_cbranch_scc1 .LBB31_127
; %bb.118:
	s_cmp_lt_i32 s12, 9
	s_cbranch_scc1 .LBB31_124
; %bb.119:
	s_cmp_gt_i32 s12, 9
	s_cbranch_scc0 .LBB31_121
; %bb.120:
	v_cndmask_b32_e64 v2, 0, 1, s[8:9]
	v_cvt_f64_u32_e32 v[2:3], v2
	v_mov_b32_e32 v4, 0
	v_mov_b32_e32 v5, v4
	s_mov_b64 s[10:11], 0
	global_store_dwordx4 v[0:1], v[2:5], off
.LBB31_121:
	s_andn2_b64 vcc, exec, s[10:11]
	s_cbranch_vccnz .LBB31_123
; %bb.122:
	v_cndmask_b32_e64 v2, 0, 1.0, s[8:9]
	v_mov_b32_e32 v3, 0
	global_store_dwordx2 v[0:1], v[2:3], off
.LBB31_123:
	s_mov_b64 s[10:11], 0
.LBB31_124:
	s_andn2_b64 vcc, exec, s[10:11]
	s_cbranch_vccnz .LBB31_126
; %bb.125:
	v_cndmask_b32_e64 v2, 0, 1.0, s[8:9]
	v_cvt_f16_f32_e32 v2, v2
	global_store_dword v[0:1], v2, off
.LBB31_126:
	s_mov_b64 s[10:11], 0
.LBB31_127:
	s_andn2_b64 vcc, exec, s[10:11]
	s_cbranch_vccnz .LBB31_136
; %bb.128:
	s_cmp_lt_i32 s12, 6
	s_mov_b64 s[10:11], -1
	s_cbranch_scc1 .LBB31_134
; %bb.129:
	s_cmp_gt_i32 s12, 6
	s_cbranch_scc0 .LBB31_131
; %bb.130:
	v_cndmask_b32_e64 v2, 0, 1, s[8:9]
	v_cvt_f64_u32_e32 v[2:3], v2
	s_mov_b64 s[10:11], 0
	global_store_dwordx2 v[0:1], v[2:3], off
.LBB31_131:
	s_andn2_b64 vcc, exec, s[10:11]
	s_cbranch_vccnz .LBB31_133
; %bb.132:
	v_cndmask_b32_e64 v2, 0, 1.0, s[8:9]
	global_store_dword v[0:1], v2, off
.LBB31_133:
	s_mov_b64 s[10:11], 0
.LBB31_134:
	s_andn2_b64 vcc, exec, s[10:11]
	s_cbranch_vccnz .LBB31_136
; %bb.135:
	v_cndmask_b32_e64 v2, 0, 1.0, s[8:9]
	v_cvt_f16_f32_e32 v2, v2
	global_store_short v[0:1], v2, off
.LBB31_136:
	s_mov_b64 s[10:11], 0
.LBB31_137:
	s_andn2_b64 vcc, exec, s[10:11]
	s_cbranch_vccnz .LBB31_153
; %bb.138:
	s_cmp_lt_i32 s12, 2
	s_mov_b64 s[10:11], -1
	s_cbranch_scc1 .LBB31_148
; %bb.139:
	s_cmp_lt_i32 s12, 3
	s_cbranch_scc1 .LBB31_145
; %bb.140:
	s_cmp_gt_i32 s12, 3
	s_cbranch_scc0 .LBB31_142
; %bb.141:
	s_mov_b32 s10, 0
	v_cndmask_b32_e64 v2, 0, 1, s[8:9]
	v_mov_b32_e32 v3, s10
	global_store_dwordx2 v[0:1], v[2:3], off
	s_mov_b64 s[10:11], 0
.LBB31_142:
	s_andn2_b64 vcc, exec, s[10:11]
	s_cbranch_vccnz .LBB31_144
; %bb.143:
	v_cndmask_b32_e64 v2, 0, 1, s[8:9]
	global_store_dword v[0:1], v2, off
.LBB31_144:
	s_mov_b64 s[10:11], 0
.LBB31_145:
	s_andn2_b64 vcc, exec, s[10:11]
	s_cbranch_vccnz .LBB31_147
; %bb.146:
	v_cndmask_b32_e64 v2, 0, 1, s[8:9]
	global_store_short v[0:1], v2, off
.LBB31_147:
	s_mov_b64 s[10:11], 0
.LBB31_148:
	s_andn2_b64 vcc, exec, s[10:11]
	s_cbranch_vccnz .LBB31_153
; %bb.149:
	s_cmp_gt_i32 s12, 0
	s_mov_b64 s[10:11], -1
	s_cbranch_scc0 .LBB31_151
; %bb.150:
	v_cndmask_b32_e64 v2, 0, 1, s[8:9]
	global_store_byte v[0:1], v2, off
	s_mov_b64 s[10:11], 0
.LBB31_151:
	s_andn2_b64 vcc, exec, s[10:11]
	s_cbranch_vccnz .LBB31_153
; %bb.152:
	v_cndmask_b32_e64 v2, 0, 1, s[8:9]
	global_store_byte v[0:1], v2, off
.LBB31_153:
.LBB31_154:
	v_add_u32_e32 v8, 0x80, v8
	s_mov_b64 s[8:9], -1
	s_branch .LBB31_261
.LBB31_155:
	s_mov_b64 s[2:3], -1
                                        ; implicit-def: $vgpr3
.LBB31_156:
	s_mov_b64 s[8:9], 0
.LBB31_157:
	s_and_b64 vcc, exec, s[8:9]
	s_cbranch_vccz .LBB31_161
; %bb.158:
	s_cmp_eq_u32 s10, 29
	s_cbranch_scc0 .LBB31_160
; %bb.159:
	global_load_dwordx2 v[3:4], v[1:2], off
	s_mov_b64 s[0:1], -1
	s_mov_b64 s[2:3], 0
	s_branch .LBB31_161
.LBB31_160:
	s_mov_b64 s[2:3], -1
                                        ; implicit-def: $vgpr3
.LBB31_161:
	s_mov_b64 s[8:9], 0
.LBB31_162:
	s_and_b64 vcc, exec, s[8:9]
	s_cbranch_vccz .LBB31_178
; %bb.163:
	s_cmp_lt_i32 s10, 27
	s_cbranch_scc1 .LBB31_166
; %bb.164:
	s_cmp_gt_i32 s10, 27
	s_cbranch_scc0 .LBB31_167
; %bb.165:
	global_load_dword v3, v[1:2], off
	s_mov_b64 s[0:1], 0
	s_branch .LBB31_168
.LBB31_166:
	s_mov_b64 s[0:1], -1
                                        ; implicit-def: $vgpr3
	s_branch .LBB31_171
.LBB31_167:
	s_mov_b64 s[0:1], -1
                                        ; implicit-def: $vgpr3
.LBB31_168:
	s_andn2_b64 vcc, exec, s[0:1]
	s_cbranch_vccnz .LBB31_170
; %bb.169:
	global_load_ushort v3, v[1:2], off
.LBB31_170:
	s_mov_b64 s[0:1], 0
.LBB31_171:
	s_andn2_b64 vcc, exec, s[0:1]
	s_cbranch_vccnz .LBB31_177
; %bb.172:
	global_load_ubyte v4, v[1:2], off
	s_movk_i32 s0, 0x7f
	s_mov_b64 s[8:9], 0
	s_waitcnt vmcnt(0)
	v_cmp_lt_i16_e32 vcc, s0, v4
	s_and_saveexec_b64 s[0:1], vcc
	s_xor_b64 s[0:1], exec, s[0:1]
	s_cbranch_execz .LBB31_188
; %bb.173:
	s_movk_i32 s8, 0x80
	v_cmp_ne_u16_e32 vcc, s8, v4
	s_and_b64 s[8:9], vcc, exec
	s_andn2_saveexec_b64 s[0:1], s[0:1]
	s_cbranch_execnz .LBB31_189
.LBB31_174:
	s_or_b64 exec, exec, s[0:1]
	v_mov_b32_e32 v3, 0
	s_and_saveexec_b64 s[0:1], s[8:9]
	s_cbranch_execz .LBB31_176
.LBB31_175:
	v_lshlrev_b32_e32 v3, 24, v4
	v_and_b32_e32 v4, 0xffff, v4
	v_and_b32_e32 v5, 7, v4
	v_ffbh_u32_e32 v7, v5
	v_min_u32_e32 v7, 32, v7
	v_subrev_u32_e32 v9, 28, v7
	v_bfe_u32 v6, v4, 3, 4
	v_lshlrev_b32_e32 v4, v9, v4
	v_sub_u32_e32 v7, 29, v7
	v_and_b32_e32 v4, 7, v4
	v_cmp_eq_u32_e32 vcc, 0, v6
	v_cndmask_b32_e32 v6, v6, v7, vcc
	v_cndmask_b32_e32 v4, v5, v4, vcc
	v_mov_b32_e32 v5, 0x3b800000
	v_lshlrev_b32_e32 v4, 20, v4
	v_and_b32_e32 v3, 0x80000000, v3
	v_lshl_add_u32 v5, v6, 23, v5
	v_or3_b32 v3, v3, v5, v4
	v_cvt_i32_f32_e32 v3, v3
.LBB31_176:
	s_or_b64 exec, exec, s[0:1]
.LBB31_177:
	s_mov_b64 s[0:1], -1
.LBB31_178:
	s_branch .LBB31_211
.LBB31_179:
	s_cmp_gt_i32 s10, 22
	s_cbranch_scc0 .LBB31_187
; %bb.180:
	s_cmp_lt_i32 s10, 24
	s_cbranch_scc1 .LBB31_190
; %bb.181:
	s_cmp_gt_i32 s10, 24
	s_cbranch_scc0 .LBB31_191
; %bb.182:
	global_load_ubyte v4, v[1:2], off
	s_movk_i32 s0, 0x7f
	s_mov_b64 s[8:9], 0
	s_waitcnt vmcnt(0)
	v_cmp_lt_i16_e32 vcc, s0, v4
	s_and_saveexec_b64 s[0:1], vcc
	s_xor_b64 s[0:1], exec, s[0:1]
	s_cbranch_execz .LBB31_203
; %bb.183:
	s_movk_i32 s8, 0x80
	v_cmp_ne_u16_e32 vcc, s8, v4
	s_and_b64 s[8:9], vcc, exec
	s_andn2_saveexec_b64 s[0:1], s[0:1]
	s_cbranch_execnz .LBB31_204
.LBB31_184:
	s_or_b64 exec, exec, s[0:1]
	v_mov_b32_e32 v3, 0
	s_and_saveexec_b64 s[0:1], s[8:9]
	s_cbranch_execz .LBB31_186
.LBB31_185:
	v_lshlrev_b32_e32 v3, 24, v4
	v_and_b32_e32 v4, 0xffff, v4
	v_and_b32_e32 v5, 3, v4
	v_ffbh_u32_e32 v7, v5
	v_min_u32_e32 v7, 32, v7
	v_subrev_u32_e32 v9, 29, v7
	v_bfe_u32 v6, v4, 2, 5
	v_lshlrev_b32_e32 v4, v9, v4
	v_sub_u32_e32 v7, 30, v7
	v_and_b32_e32 v4, 3, v4
	v_cmp_eq_u32_e32 vcc, 0, v6
	v_cndmask_b32_e32 v6, v6, v7, vcc
	v_cndmask_b32_e32 v4, v5, v4, vcc
	v_mov_b32_e32 v5, 0x37800000
	v_lshlrev_b32_e32 v4, 21, v4
	v_and_b32_e32 v3, 0x80000000, v3
	v_lshl_add_u32 v5, v6, 23, v5
	v_or3_b32 v3, v3, v5, v4
	v_cvt_i32_f32_e32 v3, v3
.LBB31_186:
	s_or_b64 exec, exec, s[0:1]
	s_mov_b64 s[0:1], 0
	s_branch .LBB31_192
.LBB31_187:
	s_mov_b64 s[8:9], -1
                                        ; implicit-def: $vgpr3
	s_branch .LBB31_198
.LBB31_188:
	s_andn2_saveexec_b64 s[0:1], s[0:1]
	s_cbranch_execz .LBB31_174
.LBB31_189:
	v_cmp_ne_u16_e32 vcc, 0, v4
	s_andn2_b64 s[8:9], s[8:9], exec
	s_and_b64 s[12:13], vcc, exec
	s_or_b64 s[8:9], s[8:9], s[12:13]
	s_or_b64 exec, exec, s[0:1]
	v_mov_b32_e32 v3, 0
	s_and_saveexec_b64 s[0:1], s[8:9]
	s_cbranch_execnz .LBB31_175
	s_branch .LBB31_176
.LBB31_190:
	s_mov_b64 s[0:1], -1
                                        ; implicit-def: $vgpr3
	s_branch .LBB31_195
.LBB31_191:
	s_mov_b64 s[0:1], -1
                                        ; implicit-def: $vgpr3
.LBB31_192:
	s_and_b64 vcc, exec, s[0:1]
	s_cbranch_vccz .LBB31_194
; %bb.193:
	global_load_ubyte v3, v[1:2], off
	s_mov_b32 s0, 0x7f800000
	s_waitcnt vmcnt(0)
	v_lshlrev_b32_e32 v3, 24, v3
	v_and_b32_e32 v4, 0x7f000000, v3
	v_ffbh_u32_e32 v5, v4
	v_min_u32_e32 v5, 32, v5
	v_sub_u32_e64 v5, v5, 4 clamp
	v_lshlrev_b32_e32 v7, v5, v4
	v_lshlrev_b32_e32 v5, 23, v5
	v_lshrrev_b32_e32 v7, 4, v7
	v_add_u32_e32 v6, 0x1000000, v4
	v_sub_u32_e32 v5, v7, v5
	v_ashrrev_i32_e32 v6, 8, v6
	v_add_u32_e32 v5, 0x3c000000, v5
	v_and_or_b32 v5, v6, s0, v5
	v_cmp_ne_u32_e32 vcc, 0, v4
	v_cndmask_b32_e32 v4, 0, v5, vcc
	s_brev_b32 s0, 1
	v_and_or_b32 v3, v3, s0, v4
	v_cvt_i32_f32_e32 v3, v3
.LBB31_194:
	s_mov_b64 s[0:1], 0
.LBB31_195:
	s_andn2_b64 vcc, exec, s[0:1]
	s_cbranch_vccnz .LBB31_197
; %bb.196:
	global_load_ubyte v3, v[1:2], off
	s_movk_i32 s0, 0x7f00
	s_brev_b32 s1, 16
	s_waitcnt vmcnt(0)
	v_lshlrev_b16_e32 v4, 8, v3
	v_lshlrev_b32_e32 v3, 25, v3
	v_lshrrev_b32_e32 v5, 4, v3
	v_and_or_b32 v6, v4, s0, 0.5
	v_or_b32_e32 v5, 0x70000000, v5
	v_add_f32_e32 v6, -0.5, v6
	v_mul_f32_e32 v5, 0x7800000, v5
	v_cmp_gt_u32_e32 vcc, s1, v3
	v_bfe_i32 v4, v4, 0, 16
	v_cndmask_b32_e32 v3, v5, v6, vcc
	s_brev_b32 s0, 1
	v_and_or_b32 v3, v4, s0, v3
	v_cvt_i32_f32_e32 v3, v3
.LBB31_197:
	s_mov_b64 s[8:9], 0
	s_mov_b64 s[0:1], -1
.LBB31_198:
	s_andn2_b64 vcc, exec, s[8:9]
	s_cbranch_vccnz .LBB31_211
; %bb.199:
	s_cmp_gt_i32 s10, 14
	s_cbranch_scc0 .LBB31_202
; %bb.200:
	s_cmp_eq_u32 s10, 15
	s_cbranch_scc0 .LBB31_205
; %bb.201:
	global_load_ushort v3, v[1:2], off
	s_mov_b64 s[0:1], -1
	s_mov_b64 s[2:3], 0
	s_waitcnt vmcnt(0)
	v_lshlrev_b32_e32 v3, 16, v3
	v_cvt_i32_f32_e32 v3, v3
	s_branch .LBB31_206
.LBB31_202:
	s_mov_b64 s[8:9], -1
                                        ; implicit-def: $vgpr3
	s_branch .LBB31_207
.LBB31_203:
	s_andn2_saveexec_b64 s[0:1], s[0:1]
	s_cbranch_execz .LBB31_184
.LBB31_204:
	v_cmp_ne_u16_e32 vcc, 0, v4
	s_andn2_b64 s[8:9], s[8:9], exec
	s_and_b64 s[12:13], vcc, exec
	s_or_b64 s[8:9], s[8:9], s[12:13]
	s_or_b64 exec, exec, s[0:1]
	v_mov_b32_e32 v3, 0
	s_and_saveexec_b64 s[0:1], s[8:9]
	s_cbranch_execnz .LBB31_185
	s_branch .LBB31_186
.LBB31_205:
	s_mov_b64 s[2:3], -1
                                        ; implicit-def: $vgpr3
.LBB31_206:
	s_mov_b64 s[8:9], 0
.LBB31_207:
	s_and_b64 vcc, exec, s[8:9]
	s_cbranch_vccz .LBB31_211
; %bb.208:
	s_cmp_eq_u32 s10, 11
	s_cbranch_scc0 .LBB31_210
; %bb.209:
	global_load_ubyte v3, v[1:2], off
	s_mov_b64 s[0:1], -1
	s_mov_b64 s[2:3], 0
	s_waitcnt vmcnt(0)
	v_cmp_ne_u16_e32 vcc, 0, v3
	v_cndmask_b32_e64 v3, 0, 1, vcc
	s_branch .LBB31_211
.LBB31_210:
	s_mov_b64 s[2:3], -1
                                        ; implicit-def: $vgpr3
.LBB31_211:
	s_branch .LBB31_24
.LBB31_212:
	s_cmp_lt_i32 s10, 5
	s_cbranch_scc1 .LBB31_217
; %bb.213:
	s_cmp_lt_i32 s10, 8
	s_cbranch_scc1 .LBB31_218
; %bb.214:
	;; [unrolled: 3-line block ×3, first 2 shown]
	s_cmp_gt_i32 s10, 9
	s_cbranch_scc0 .LBB31_220
; %bb.216:
	global_load_dwordx2 v[3:4], v[1:2], off
	s_mov_b64 s[0:1], 0
	s_waitcnt vmcnt(0)
	v_cvt_i32_f64_e32 v3, v[3:4]
	s_branch .LBB31_221
.LBB31_217:
                                        ; implicit-def: $vgpr3
	s_branch .LBB31_239
.LBB31_218:
	s_mov_b64 s[0:1], -1
                                        ; implicit-def: $vgpr3
	s_branch .LBB31_227
.LBB31_219:
	s_mov_b64 s[0:1], -1
                                        ; implicit-def: $vgpr3
	s_branch .LBB31_224
.LBB31_220:
	s_mov_b64 s[0:1], -1
                                        ; implicit-def: $vgpr3
.LBB31_221:
	s_andn2_b64 vcc, exec, s[0:1]
	s_cbranch_vccnz .LBB31_223
; %bb.222:
	global_load_dword v3, v[1:2], off
	s_waitcnt vmcnt(0)
	v_cvt_i32_f32_e32 v3, v3
.LBB31_223:
	s_mov_b64 s[0:1], 0
.LBB31_224:
	s_andn2_b64 vcc, exec, s[0:1]
	s_cbranch_vccnz .LBB31_226
; %bb.225:
	global_load_dword v3, v[1:2], off
	s_waitcnt vmcnt(0)
	v_cvt_i16_f16_e32 v3, v3
.LBB31_226:
	s_mov_b64 s[0:1], 0
.LBB31_227:
	s_andn2_b64 vcc, exec, s[0:1]
	s_cbranch_vccnz .LBB31_238
; %bb.228:
	s_cmp_lt_i32 s10, 6
	s_cbranch_scc1 .LBB31_231
; %bb.229:
	s_cmp_gt_i32 s10, 6
	s_cbranch_scc0 .LBB31_232
; %bb.230:
	global_load_dwordx2 v[3:4], v[1:2], off
	s_mov_b64 s[0:1], 0
	s_waitcnt vmcnt(0)
	v_cvt_i32_f64_e32 v3, v[3:4]
	s_branch .LBB31_233
.LBB31_231:
	s_mov_b64 s[0:1], -1
                                        ; implicit-def: $vgpr3
	s_branch .LBB31_236
.LBB31_232:
	s_mov_b64 s[0:1], -1
                                        ; implicit-def: $vgpr3
.LBB31_233:
	s_andn2_b64 vcc, exec, s[0:1]
	s_cbranch_vccnz .LBB31_235
; %bb.234:
	global_load_dword v3, v[1:2], off
	s_waitcnt vmcnt(0)
	v_cvt_i32_f32_e32 v3, v3
.LBB31_235:
	s_mov_b64 s[0:1], 0
.LBB31_236:
	s_andn2_b64 vcc, exec, s[0:1]
	s_cbranch_vccnz .LBB31_238
; %bb.237:
	global_load_ushort v3, v[1:2], off
	s_waitcnt vmcnt(0)
	v_cvt_i16_f16_e32 v3, v3
.LBB31_238:
	s_cbranch_execnz .LBB31_258
.LBB31_239:
	s_cmp_lt_i32 s10, 2
	s_cbranch_scc1 .LBB31_243
; %bb.240:
	s_cmp_lt_i32 s10, 3
	s_cbranch_scc1 .LBB31_244
; %bb.241:
	s_cmp_gt_i32 s10, 3
	s_cbranch_scc0 .LBB31_245
; %bb.242:
	global_load_dwordx2 v[3:4], v[1:2], off
	s_mov_b64 s[0:1], 0
	s_branch .LBB31_246
.LBB31_243:
	s_mov_b64 s[0:1], -1
                                        ; implicit-def: $vgpr3
	s_branch .LBB31_252
.LBB31_244:
	s_mov_b64 s[0:1], -1
                                        ; implicit-def: $vgpr3
	s_branch .LBB31_249
.LBB31_245:
	s_mov_b64 s[0:1], -1
                                        ; implicit-def: $vgpr3
.LBB31_246:
	s_andn2_b64 vcc, exec, s[0:1]
	s_cbranch_vccnz .LBB31_248
; %bb.247:
	global_load_dword v3, v[1:2], off
.LBB31_248:
	s_mov_b64 s[0:1], 0
.LBB31_249:
	s_andn2_b64 vcc, exec, s[0:1]
	s_cbranch_vccnz .LBB31_251
; %bb.250:
	global_load_ushort v3, v[1:2], off
.LBB31_251:
	s_mov_b64 s[0:1], 0
.LBB31_252:
	s_andn2_b64 vcc, exec, s[0:1]
	s_cbranch_vccnz .LBB31_258
; %bb.253:
	s_cmp_gt_i32 s10, 0
	s_cbranch_scc0 .LBB31_255
; %bb.254:
	global_load_ubyte v3, v[1:2], off
	s_mov_b64 s[0:1], 0
	s_branch .LBB31_256
.LBB31_255:
	s_mov_b64 s[0:1], -1
                                        ; implicit-def: $vgpr3
.LBB31_256:
	s_andn2_b64 vcc, exec, s[0:1]
	s_cbranch_vccnz .LBB31_258
; %bb.257:
	global_load_ubyte v3, v[1:2], off
.LBB31_258:
	s_branch .LBB31_25
.LBB31_259:
	s_mov_b64 s[0:1], 0
.LBB31_260:
	s_mov_b64 s[8:9], 0
                                        ; implicit-def: $vgpr8
.LBB31_261:
	s_and_b64 s[56:57], s[0:1], exec
	s_and_b64 s[58:59], s[2:3], exec
	s_orn2_b64 s[2:3], s[8:9], exec
.LBB31_262:
	s_or_b64 exec, exec, s[60:61]
	s_mov_b64 s[10:11], 0
	s_mov_b64 s[0:1], 0
                                        ; implicit-def: $vgpr1_vgpr2
                                        ; implicit-def: $vgpr0
                                        ; implicit-def: $vgpr3
	s_and_saveexec_b64 s[60:61], s[2:3]
	s_cbranch_execz .LBB31_269
; %bb.263:
	v_cmp_gt_i32_e32 vcc, s74, v8
	s_mov_b64 s[0:1], -1
	s_mov_b64 s[62:63], s[58:59]
	s_mov_b64 s[64:65], s[56:57]
	s_and_saveexec_b64 s[66:67], vcc
	s_cbranch_execz .LBB31_534
; %bb.264:
	s_andn2_b64 vcc, exec, s[40:41]
	s_cbranch_vccnz .LBB31_272
; %bb.265:
	s_andn2_b64 vcc, exec, s[54:55]
	s_cbranch_vccnz .LBB31_273
; %bb.266:
	s_add_i32 s68, s79, 1
	s_cmp_eq_u32 s76, 2
	s_cbranch_scc1 .LBB31_274
; %bb.267:
	s_and_b32 s44, s68, 28
	v_mov_b32_e32 v2, 0
	s_mov_b32 s69, 0
	s_mov_b64 s[62:63], s[34:35]
	s_mov_b64 s[64:65], s[52:53]
	v_mov_b32_e32 v0, 0
	v_mov_b32_e32 v1, v8
.LBB31_268:                             ; =>This Inner Loop Header: Depth=1
	s_load_dwordx8 s[16:23], s[62:63], 0x4
	s_load_dwordx4 s[0:3], s[62:63], 0x24
	s_load_dwordx8 s[8:15], s[64:65], 0x0
	s_add_u32 s62, s62, 48
	s_addc_u32 s63, s63, 0
	s_waitcnt vmcnt(0) lgkmcnt(0)
	v_mul_hi_u32 v3, s17, v1
	s_add_i32 s69, s69, 4
	s_add_u32 s64, s64, 32
	s_addc_u32 s65, s65, 0
	v_add_u32_e32 v3, v1, v3
	v_lshrrev_b32_e32 v3, s18, v3
	v_mul_lo_u32 v4, v3, s16
	v_mul_hi_u32 v5, s20, v3
	s_cmp_eq_u32 s44, s69
	v_sub_u32_e32 v1, v1, v4
	v_add_u32_e32 v4, v3, v5
	v_mul_lo_u32 v5, v1, s8
	v_mul_lo_u32 v6, v1, s9
	v_lshrrev_b32_e32 v1, s21, v4
	v_mul_lo_u32 v4, v1, s19
	v_mul_hi_u32 v7, s23, v1
	v_sub_u32_e32 v3, v3, v4
	v_add_u32_e32 v4, v1, v7
	v_lshrrev_b32_e32 v4, s0, v4
	v_mul_hi_u32 v9, s2, v4
	v_mul_lo_u32 v10, v4, s22
	v_mul_lo_u32 v7, v3, s10
	;; [unrolled: 1-line block ×3, first 2 shown]
	v_sub_u32_e32 v10, v1, v10
	v_add_u32_e32 v1, v4, v9
	v_lshrrev_b32_e32 v1, s3, v1
	v_mul_lo_u32 v9, v1, s1
	v_mul_lo_u32 v11, v10, s12
	;; [unrolled: 1-line block ×3, first 2 shown]
	v_add3_u32 v0, v5, v0, v7
	v_sub_u32_e32 v4, v4, v9
	v_mul_lo_u32 v9, v4, s14
	v_mul_lo_u32 v4, v4, s15
	v_add3_u32 v2, v6, v2, v3
	v_add3_u32 v0, v11, v0, v9
	;; [unrolled: 1-line block ×3, first 2 shown]
	s_cbranch_scc0 .LBB31_268
	s_branch .LBB31_275
.LBB31_269:
	s_or_b64 exec, exec, s[60:61]
	s_mov_b64 s[2:3], 0
	s_and_saveexec_b64 s[8:9], s[58:59]
	s_cbranch_execnz .LBB31_902
.LBB31_270:
	s_or_b64 exec, exec, s[8:9]
	s_and_saveexec_b64 s[8:9], s[64:65]
	s_xor_b64 s[8:9], exec, s[8:9]
	s_cbranch_execz .LBB31_903
.LBB31_271:
	global_load_ubyte v3, v[1:2], off
	s_or_b64 s[0:1], s[0:1], exec
	s_waitcnt vmcnt(0)
	v_cmp_ne_u16_e32 vcc, 0, v3
	v_cndmask_b32_e64 v3, 0, 1, vcc
	s_or_b64 exec, exec, s[8:9]
	s_and_saveexec_b64 s[8:9], s[10:11]
	s_cbranch_execz .LBB31_949
	s_branch .LBB31_904
.LBB31_272:
                                        ; implicit-def: $vgpr0
                                        ; implicit-def: $vgpr2
	s_andn2_b64 vcc, exec, s[0:1]
	s_cbranch_vccz .LBB31_279
	s_branch .LBB31_281
.LBB31_273:
	v_mov_b32_e32 v0, 0
	v_mov_b32_e32 v2, 0
	s_branch .LBB31_278
.LBB31_274:
	s_mov_b32 s44, 0
	v_mov_b32_e32 v0, 0
	v_mov_b32_e32 v2, 0
	;; [unrolled: 1-line block ×3, first 2 shown]
.LBB31_275:
	s_and_b32 s8, s68, 3
	s_cmp_eq_u32 s8, 0
	s_cbranch_scc1 .LBB31_278
; %bb.276:
	s_lshl_b32 s0, s44, 3
	s_add_u32 s0, s34, s0
	s_addc_u32 s1, s35, 0
	s_add_u32 s0, s0, 0xc4
	s_addc_u32 s1, s1, 0
	s_mul_i32 s2, s44, 12
	s_add_u32 s2, s34, s2
	s_addc_u32 s3, s35, 0
.LBB31_277:                             ; =>This Inner Loop Header: Depth=1
	s_load_dwordx2 s[10:11], s[2:3], 0x4
	s_load_dword s9, s[2:3], 0xc
	s_load_dwordx2 s[12:13], s[0:1], 0x0
	s_add_u32 s2, s2, 12
	s_addc_u32 s3, s3, 0
	s_waitcnt vmcnt(0) lgkmcnt(0)
	v_mul_hi_u32 v3, s11, v1
	s_add_u32 s0, s0, 8
	s_addc_u32 s1, s1, 0
	s_add_i32 s8, s8, -1
	v_add_u32_e32 v3, v1, v3
	v_lshrrev_b32_e32 v4, s9, v3
	v_mul_lo_u32 v3, v4, s10
	s_cmp_lg_u32 s8, 0
	v_sub_u32_e32 v3, v1, v3
	v_mad_u64_u32 v[0:1], s[10:11], v3, s12, v[0:1]
	v_mad_u64_u32 v[2:3], s[10:11], v3, s13, v[2:3]
	v_mov_b32_e32 v1, v4
	s_cbranch_scc1 .LBB31_277
.LBB31_278:
	s_cbranch_execnz .LBB31_281
.LBB31_279:
	v_mul_hi_u32 v0, s29, v8
	s_andn2_b64 vcc, exec, s[50:51]
	v_add_u32_e32 v0, v8, v0
	v_lshrrev_b32_e32 v1, s30, v0
	v_mul_lo_u32 v0, v1, s28
	v_sub_u32_e32 v2, v8, v0
	v_mul_lo_u32 v0, v2, s36
	v_mul_lo_u32 v2, v2, s37
	s_cbranch_vccnz .LBB31_281
; %bb.280:
	s_waitcnt vmcnt(0)
	v_mul_hi_u32 v3, s48, v1
	v_add_u32_e32 v3, v1, v3
	v_lshrrev_b32_e32 v3, s49, v3
	v_mul_lo_u32 v3, v3, s31
	v_sub_u32_e32 v3, v1, v3
	v_mad_u64_u32 v[0:1], s[0:1], v3, s38, v[0:1]
	v_mad_u64_u32 v[2:3], s[0:1], v3, s39, v[2:3]
.LBB31_281:
	s_waitcnt vmcnt(0)
	v_mov_b32_e32 v3, s27
	s_and_b32 s10, 0xffff, s78
	v_add_co_u32_e32 v1, vcc, s26, v2
	s_cmp_lt_i32 s10, 11
	v_addc_co_u32_e32 v2, vcc, 0, v3, vcc
	s_cbranch_scc1 .LBB31_288
; %bb.282:
	s_cmp_gt_i32 s10, 25
	s_cbranch_scc0 .LBB31_297
; %bb.283:
	s_cmp_gt_i32 s10, 28
	s_cbranch_scc0 .LBB31_299
	;; [unrolled: 3-line block ×4, first 2 shown]
; %bb.286:
	s_cmp_eq_u32 s10, 46
	s_mov_b64 s[8:9], 0
	s_cbranch_scc0 .LBB31_309
; %bb.287:
	global_load_dword v3, v[1:2], off
	s_mov_b64 s[0:1], -1
	s_mov_b64 s[2:3], 0
	s_waitcnt vmcnt(0)
	v_lshlrev_b32_e32 v3, 16, v3
	v_cvt_i32_f32_e32 v3, v3
	s_branch .LBB31_310
.LBB31_288:
	s_mov_b64 s[0:1], 0
                                        ; implicit-def: $vgpr3
	s_mov_b64 s[2:3], s[58:59]
	s_cbranch_execnz .LBB31_483
.LBB31_289:
	s_andn2_b64 vcc, exec, s[0:1]
	s_cbranch_vccnz .LBB31_531
.LBB31_290:
	s_and_b32 s0, s45, 0xff
	s_waitcnt vmcnt(0)
	v_cmp_ne_u16_sdwa s[0:1], s0, v3 src0_sel:DWORD src1_sel:BYTE_0
	s_xor_b64 s[8:9], s[46:47], s[0:1]
	v_mov_b32_e32 v1, s25
	s_and_b32 s16, s77, 0xff
	v_add_co_u32_e32 v0, vcc, s24, v0
	s_cmp_lt_i32 s16, 11
	v_addc_co_u32_e32 v1, vcc, 0, v1, vcc
	s_cbranch_scc1 .LBB31_298
; %bb.291:
	s_and_b32 s17, 0xffff, s16
	s_cmp_gt_i32 s17, 25
	s_cbranch_scc0 .LBB31_300
; %bb.292:
	s_cmp_gt_i32 s17, 28
	s_cbranch_scc0 .LBB31_302
; %bb.293:
	;; [unrolled: 3-line block ×4, first 2 shown]
	s_mov_b64 s[12:13], 0
	s_mov_b64 s[0:1], -1
	s_cmp_eq_u32 s17, 46
	s_mov_b64 s[10:11], 0
	s_cbranch_scc0 .LBB31_314
; %bb.296:
	v_cndmask_b32_e64 v2, 0, 1.0, s[8:9]
	v_bfe_u32 v3, v2, 16, 1
	s_movk_i32 s0, 0x7fff
	v_add3_u32 v2, v2, v3, s0
	v_lshrrev_b32_e32 v2, 16, v2
	global_store_dword v[0:1], v2, off
	s_mov_b64 s[10:11], -1
	s_mov_b64 s[0:1], 0
	s_branch .LBB31_314
.LBB31_297:
	s_mov_b64 s[8:9], -1
	s_mov_b64 s[0:1], 0
	s_mov_b64 s[2:3], s[58:59]
                                        ; implicit-def: $vgpr3
	s_branch .LBB31_449
.LBB31_298:
	s_mov_b64 s[12:13], -1
	s_mov_b64 s[10:11], 0
	s_mov_b64 s[0:1], s[56:57]
	s_branch .LBB31_383
.LBB31_299:
	s_mov_b64 s[8:9], -1
	s_mov_b64 s[0:1], 0
	s_mov_b64 s[2:3], s[58:59]
                                        ; implicit-def: $vgpr3
	s_branch .LBB31_432
.LBB31_300:
	s_mov_b64 s[12:13], -1
	s_mov_b64 s[10:11], 0
	s_mov_b64 s[0:1], s[56:57]
	s_branch .LBB31_341
.LBB31_301:
	s_mov_b64 s[8:9], -1
	s_mov_b64 s[0:1], 0
	s_mov_b64 s[2:3], s[58:59]
                                        ; implicit-def: $vgpr3
	s_branch .LBB31_427
.LBB31_302:
	s_mov_b64 s[12:13], -1
	s_mov_b64 s[10:11], 0
	s_mov_b64 s[0:1], s[56:57]
	s_branch .LBB31_324
.LBB31_303:
	s_andn2_saveexec_b64 s[14:15], s[14:15]
	s_cbranch_execz .LBB31_68
.LBB31_304:
	v_add_f32_e32 v2, 0x46000000, v3
	v_and_b32_e32 v2, 0xff, v2
	v_cmp_ne_u32_e32 vcc, 0, v2
	s_andn2_b64 s[12:13], s[12:13], exec
	s_and_b64 s[18:19], vcc, exec
	s_or_b64 s[12:13], s[12:13], s[18:19]
	s_or_b64 exec, exec, s[14:15]
	v_mov_b32_e32 v4, 0
	s_and_saveexec_b64 s[14:15], s[12:13]
	s_cbranch_execnz .LBB31_69
	s_branch .LBB31_70
.LBB31_305:
	s_mov_b64 s[8:9], -1
	s_mov_b64 s[0:1], 0
	s_mov_b64 s[2:3], s[58:59]
                                        ; implicit-def: $vgpr3
	s_branch .LBB31_310
.LBB31_306:
	s_mov_b64 s[12:13], -1
	s_mov_b64 s[10:11], 0
	s_mov_b64 s[0:1], s[56:57]
	s_branch .LBB31_320
.LBB31_307:
	s_andn2_saveexec_b64 s[14:15], s[14:15]
	s_cbranch_execz .LBB31_81
.LBB31_308:
	v_add_f32_e32 v2, 0x42800000, v3
	v_and_b32_e32 v2, 0xff, v2
	v_cmp_ne_u32_e32 vcc, 0, v2
	s_andn2_b64 s[12:13], s[12:13], exec
	s_and_b64 s[18:19], vcc, exec
	s_or_b64 s[12:13], s[12:13], s[18:19]
	s_or_b64 exec, exec, s[14:15]
	v_mov_b32_e32 v4, 0
	s_and_saveexec_b64 s[14:15], s[12:13]
	s_cbranch_execnz .LBB31_82
	s_branch .LBB31_83
.LBB31_309:
	s_mov_b64 s[2:3], -1
                                        ; implicit-def: $vgpr3
	s_mov_b64 s[0:1], 0
.LBB31_310:
	s_and_b64 vcc, exec, s[8:9]
	s_cbranch_vccz .LBB31_426
; %bb.311:
	s_cmp_eq_u32 s10, 44
	s_cbranch_scc0 .LBB31_425
; %bb.312:
	global_load_ubyte v3, v[1:2], off
	s_mov_b64 s[0:1], -1
	s_mov_b64 s[2:3], 0
	s_waitcnt vmcnt(0)
	v_lshlrev_b32_e32 v4, 23, v3
	v_cvt_i32_f32_e32 v4, v4
	v_cmp_ne_u32_e32 vcc, 0, v3
	v_cndmask_b32_e32 v3, 0, v4, vcc
	s_branch .LBB31_426
.LBB31_313:
	s_mov_b64 s[12:13], -1
	s_mov_b64 s[10:11], 0
	s_mov_b64 s[0:1], s[56:57]
.LBB31_314:
	s_and_b64 vcc, exec, s[12:13]
	s_cbranch_vccz .LBB31_319
; %bb.315:
	s_cmp_eq_u32 s17, 44
	s_mov_b64 s[0:1], -1
	s_cbranch_scc0 .LBB31_319
; %bb.316:
	v_cndmask_b32_e64 v3, 0, 1.0, s[8:9]
	v_lshrrev_b32_e32 v2, 23, v3
	s_movk_i32 s0, 0xff
	v_cmp_ne_u32_e32 vcc, s0, v2
	v_mov_b32_e32 v4, 0xff
	s_and_saveexec_b64 s[10:11], vcc
; %bb.317:
	s_mov_b32 s0, 0x3fffff
	v_and_b32_e32 v4, 0x400000, v3
	v_and_or_b32 v3, v3, s0, v2
	v_cmp_ne_u32_e32 vcc, 0, v4
	v_cmp_ne_u32_e64 s[0:1], 0, v3
	s_and_b64 s[0:1], vcc, s[0:1]
	v_cndmask_b32_e64 v3, 0, 1, s[0:1]
	v_add_u32_e32 v4, v2, v3
; %bb.318:
	s_or_b64 exec, exec, s[10:11]
	s_mov_b64 s[10:11], -1
	s_mov_b64 s[0:1], 0
	global_store_byte v[0:1], v4, off
.LBB31_319:
	s_mov_b64 s[12:13], 0
.LBB31_320:
	s_and_b64 vcc, exec, s[12:13]
	s_cbranch_vccz .LBB31_323
; %bb.321:
	s_cmp_eq_u32 s17, 29
	s_mov_b64 s[0:1], -1
	s_cbranch_scc0 .LBB31_323
; %bb.322:
	s_mov_b32 s0, 0
	v_cndmask_b32_e64 v2, 0, 1, s[8:9]
	v_mov_b32_e32 v3, s0
	global_store_dwordx2 v[0:1], v[2:3], off
	s_mov_b64 s[10:11], -1
	s_mov_b64 s[0:1], 0
.LBB31_323:
	s_mov_b64 s[12:13], 0
.LBB31_324:
	s_and_b64 vcc, exec, s[12:13]
	s_cbranch_vccz .LBB31_340
; %bb.325:
	s_cmp_lt_i32 s17, 27
	s_mov_b64 s[10:11], -1
	s_cbranch_scc1 .LBB31_331
; %bb.326:
	s_cmp_gt_i32 s17, 27
	s_cbranch_scc0 .LBB31_328
; %bb.327:
	v_cndmask_b32_e64 v2, 0, 1, s[8:9]
	s_mov_b64 s[10:11], 0
	global_store_dword v[0:1], v2, off
.LBB31_328:
	s_andn2_b64 vcc, exec, s[10:11]
	s_cbranch_vccnz .LBB31_330
; %bb.329:
	v_cndmask_b32_e64 v2, 0, 1, s[8:9]
	global_store_short v[0:1], v2, off
.LBB31_330:
	s_mov_b64 s[10:11], 0
.LBB31_331:
	s_andn2_b64 vcc, exec, s[10:11]
	s_cbranch_vccnz .LBB31_339
; %bb.332:
	v_cndmask_b32_e64 v3, 0, 1.0, s[8:9]
	s_mov_b32 s10, 0x43800000
	v_cmp_gt_u32_e32 vcc, s10, v3
	v_mov_b32_e32 v4, 0x80
	s_and_saveexec_b64 s[10:11], vcc
	s_cbranch_execz .LBB31_338
; %bb.333:
	s_mov_b32 s12, 0x3bffffff
	v_cmp_lt_u32_e32 vcc, s12, v3
	s_mov_b64 s[12:13], 0
                                        ; implicit-def: $vgpr2
	s_and_saveexec_b64 s[14:15], vcc
	s_xor_b64 s[14:15], exec, s[14:15]
	s_cbranch_execz .LBB31_562
; %bb.334:
	v_bfe_u32 v2, v3, 20, 1
	s_mov_b32 s18, 0x487ffff
	v_add3_u32 v2, v3, v2, s18
	s_mov_b64 s[12:13], exec
	v_lshrrev_b32_e32 v2, 20, v2
                                        ; implicit-def: $vgpr3
	s_andn2_saveexec_b64 s[14:15], s[14:15]
	s_cbranch_execnz .LBB31_563
.LBB31_335:
	s_or_b64 exec, exec, s[14:15]
	v_mov_b32_e32 v4, 0
	s_and_saveexec_b64 s[14:15], s[12:13]
.LBB31_336:
	v_mov_b32_e32 v4, v2
.LBB31_337:
	s_or_b64 exec, exec, s[14:15]
.LBB31_338:
	s_or_b64 exec, exec, s[10:11]
	global_store_byte v[0:1], v4, off
.LBB31_339:
	s_mov_b64 s[10:11], -1
.LBB31_340:
	s_mov_b64 s[12:13], 0
.LBB31_341:
	s_and_b64 vcc, exec, s[12:13]
	s_cbranch_vccz .LBB31_382
; %bb.342:
	s_cmp_gt_i32 s17, 22
	s_mov_b64 s[12:13], -1
	s_cbranch_scc0 .LBB31_374
; %bb.343:
	s_cmp_lt_i32 s17, 24
	s_mov_b64 s[10:11], -1
	s_cbranch_scc1 .LBB31_363
; %bb.344:
	s_cmp_gt_i32 s17, 24
	s_cbranch_scc0 .LBB31_352
; %bb.345:
	v_cndmask_b32_e64 v3, 0, 1.0, s[8:9]
	s_mov_b32 s10, 0x47800000
	v_cmp_gt_u32_e32 vcc, s10, v3
	v_mov_b32_e32 v4, 0x80
	s_and_saveexec_b64 s[10:11], vcc
	s_cbranch_execz .LBB31_351
; %bb.346:
	s_mov_b32 s12, 0x37ffffff
	v_cmp_lt_u32_e32 vcc, s12, v3
	s_mov_b64 s[12:13], 0
                                        ; implicit-def: $vgpr2
	s_and_saveexec_b64 s[14:15], vcc
	s_xor_b64 s[14:15], exec, s[14:15]
	s_cbranch_execz .LBB31_565
; %bb.347:
	v_bfe_u32 v2, v3, 21, 1
	s_mov_b32 s18, 0x88fffff
	v_add3_u32 v2, v3, v2, s18
	s_mov_b64 s[12:13], exec
	v_lshrrev_b32_e32 v2, 21, v2
                                        ; implicit-def: $vgpr3
	s_andn2_saveexec_b64 s[14:15], s[14:15]
	s_cbranch_execnz .LBB31_566
.LBB31_348:
	s_or_b64 exec, exec, s[14:15]
	v_mov_b32_e32 v4, 0
	s_and_saveexec_b64 s[14:15], s[12:13]
.LBB31_349:
	v_mov_b32_e32 v4, v2
.LBB31_350:
	s_or_b64 exec, exec, s[14:15]
.LBB31_351:
	s_or_b64 exec, exec, s[10:11]
	s_mov_b64 s[10:11], 0
	global_store_byte v[0:1], v4, off
.LBB31_352:
	s_and_b64 vcc, exec, s[10:11]
	s_cbranch_vccz .LBB31_362
; %bb.353:
	v_cndmask_b32_e64 v2, 0, 1.0, s[8:9]
	s_mov_b32 s10, 0x43f00000
	v_cmp_gt_u32_e32 vcc, s10, v2
                                        ; implicit-def: $vgpr3
	s_and_saveexec_b64 s[10:11], vcc
	s_xor_b64 s[10:11], exec, s[10:11]
	s_cbranch_execz .LBB31_359
; %bb.354:
	s_mov_b32 s12, 0x3c7fffff
	v_cmp_lt_u32_e32 vcc, s12, v2
                                        ; implicit-def: $vgpr3
	s_and_saveexec_b64 s[12:13], vcc
	s_xor_b64 s[12:13], exec, s[12:13]
; %bb.355:
	v_bfe_u32 v3, v2, 20, 1
	s_mov_b32 s14, 0x407ffff
	v_add3_u32 v2, v2, v3, s14
	v_lshrrev_b32_e32 v3, 20, v2
	v_and_b32_e32 v2, 0xff00000, v2
	s_mov_b32 s14, 0x7f00000
	v_mov_b32_e32 v4, 0x7e
	v_cmp_ne_u32_e32 vcc, s14, v2
	v_cndmask_b32_e32 v3, v4, v3, vcc
                                        ; implicit-def: $vgpr2
; %bb.356:
	s_andn2_saveexec_b64 s[12:13], s[12:13]
; %bb.357:
	v_add_f32_e32 v3, 0x46800000, v2
; %bb.358:
	s_or_b64 exec, exec, s[12:13]
                                        ; implicit-def: $vgpr2
.LBB31_359:
	s_andn2_saveexec_b64 s[10:11], s[10:11]
; %bb.360:
	s_mov_b32 s12, 0x7f800000
	v_mov_b32_e32 v3, 0x7e
	v_mov_b32_e32 v4, 0x7f
	v_cmp_lt_u32_e32 vcc, s12, v2
	v_cndmask_b32_e32 v3, v3, v4, vcc
; %bb.361:
	s_or_b64 exec, exec, s[10:11]
	global_store_byte v[0:1], v3, off
.LBB31_362:
	s_mov_b64 s[10:11], 0
.LBB31_363:
	s_andn2_b64 vcc, exec, s[10:11]
	s_cbranch_vccnz .LBB31_373
; %bb.364:
	v_cndmask_b32_e64 v2, 0, 1.0, s[8:9]
	s_mov_b32 s10, 0x47800000
	v_cmp_gt_u32_e32 vcc, s10, v2
                                        ; implicit-def: $vgpr3
	s_and_saveexec_b64 s[10:11], vcc
	s_xor_b64 s[10:11], exec, s[10:11]
	s_cbranch_execz .LBB31_370
; %bb.365:
	s_mov_b32 s12, 0x387fffff
	v_cmp_lt_u32_e32 vcc, s12, v2
                                        ; implicit-def: $vgpr3
	s_and_saveexec_b64 s[12:13], vcc
	s_xor_b64 s[12:13], exec, s[12:13]
; %bb.366:
	v_bfe_u32 v3, v2, 21, 1
	s_mov_b32 s14, 0x80fffff
	v_add3_u32 v2, v2, v3, s14
	v_lshrrev_b32_e32 v3, 21, v2
                                        ; implicit-def: $vgpr2
; %bb.367:
	s_andn2_saveexec_b64 s[12:13], s[12:13]
; %bb.368:
	v_add_f32_e32 v3, 0x43000000, v2
; %bb.369:
	s_or_b64 exec, exec, s[12:13]
                                        ; implicit-def: $vgpr2
.LBB31_370:
	s_andn2_saveexec_b64 s[10:11], s[10:11]
; %bb.371:
	s_mov_b32 s12, 0x7f800000
	v_mov_b32_e32 v3, 0x7c
	v_mov_b32_e32 v4, 0x7f
	v_cmp_lt_u32_e32 vcc, s12, v2
	v_cndmask_b32_e32 v3, v3, v4, vcc
; %bb.372:
	s_or_b64 exec, exec, s[10:11]
	global_store_byte v[0:1], v3, off
.LBB31_373:
	s_mov_b64 s[12:13], 0
	s_mov_b64 s[10:11], -1
.LBB31_374:
	s_andn2_b64 vcc, exec, s[12:13]
	s_cbranch_vccnz .LBB31_382
; %bb.375:
	s_cmp_gt_i32 s17, 14
	s_mov_b64 s[12:13], -1
	s_cbranch_scc0 .LBB31_379
; %bb.376:
	s_cmp_eq_u32 s17, 15
	s_mov_b64 s[0:1], -1
	s_cbranch_scc0 .LBB31_378
; %bb.377:
	v_cndmask_b32_e64 v2, 0, 1.0, s[8:9]
	v_bfe_u32 v3, v2, 16, 1
	s_movk_i32 s0, 0x7fff
	v_add3_u32 v2, v2, v3, s0
	global_store_short_d16_hi v[0:1], v2, off
	s_mov_b64 s[10:11], -1
	s_mov_b64 s[0:1], 0
.LBB31_378:
	s_mov_b64 s[12:13], 0
.LBB31_379:
	s_and_b64 vcc, exec, s[12:13]
	s_cbranch_vccz .LBB31_382
; %bb.380:
	s_cmp_eq_u32 s17, 11
	s_mov_b64 s[0:1], -1
	s_cbranch_scc0 .LBB31_382
; %bb.381:
	v_cndmask_b32_e64 v2, 0, 1, s[8:9]
	s_mov_b64 s[10:11], -1
	s_mov_b64 s[0:1], 0
	global_store_byte v[0:1], v2, off
.LBB31_382:
	s_mov_b64 s[12:13], 0
.LBB31_383:
	s_and_b64 vcc, exec, s[12:13]
	s_cbranch_vccz .LBB31_422
; %bb.384:
	s_and_b32 s12, 0xffff, s16
	s_cmp_lt_i32 s12, 5
	s_mov_b64 s[10:11], -1
	s_cbranch_scc1 .LBB31_405
; %bb.385:
	s_cmp_lt_i32 s12, 8
	s_cbranch_scc1 .LBB31_395
; %bb.386:
	s_cmp_lt_i32 s12, 9
	s_cbranch_scc1 .LBB31_392
; %bb.387:
	s_cmp_gt_i32 s12, 9
	s_cbranch_scc0 .LBB31_389
; %bb.388:
	v_cndmask_b32_e64 v2, 0, 1, s[8:9]
	v_cvt_f64_u32_e32 v[2:3], v2
	v_mov_b32_e32 v4, 0
	v_mov_b32_e32 v5, v4
	s_mov_b64 s[10:11], 0
	global_store_dwordx4 v[0:1], v[2:5], off
.LBB31_389:
	s_andn2_b64 vcc, exec, s[10:11]
	s_cbranch_vccnz .LBB31_391
; %bb.390:
	v_cndmask_b32_e64 v2, 0, 1.0, s[8:9]
	v_mov_b32_e32 v3, 0
	global_store_dwordx2 v[0:1], v[2:3], off
.LBB31_391:
	s_mov_b64 s[10:11], 0
.LBB31_392:
	s_andn2_b64 vcc, exec, s[10:11]
	s_cbranch_vccnz .LBB31_394
; %bb.393:
	v_cndmask_b32_e64 v2, 0, 1.0, s[8:9]
	v_cvt_f16_f32_e32 v2, v2
	global_store_dword v[0:1], v2, off
.LBB31_394:
	s_mov_b64 s[10:11], 0
.LBB31_395:
	s_andn2_b64 vcc, exec, s[10:11]
	s_cbranch_vccnz .LBB31_404
; %bb.396:
	s_cmp_lt_i32 s12, 6
	s_mov_b64 s[10:11], -1
	s_cbranch_scc1 .LBB31_402
; %bb.397:
	s_cmp_gt_i32 s12, 6
	s_cbranch_scc0 .LBB31_399
; %bb.398:
	v_cndmask_b32_e64 v2, 0, 1, s[8:9]
	v_cvt_f64_u32_e32 v[2:3], v2
	s_mov_b64 s[10:11], 0
	global_store_dwordx2 v[0:1], v[2:3], off
.LBB31_399:
	s_andn2_b64 vcc, exec, s[10:11]
	s_cbranch_vccnz .LBB31_401
; %bb.400:
	v_cndmask_b32_e64 v2, 0, 1.0, s[8:9]
	global_store_dword v[0:1], v2, off
.LBB31_401:
	s_mov_b64 s[10:11], 0
.LBB31_402:
	s_andn2_b64 vcc, exec, s[10:11]
	s_cbranch_vccnz .LBB31_404
; %bb.403:
	v_cndmask_b32_e64 v2, 0, 1.0, s[8:9]
	v_cvt_f16_f32_e32 v2, v2
	global_store_short v[0:1], v2, off
.LBB31_404:
	s_mov_b64 s[10:11], 0
.LBB31_405:
	s_andn2_b64 vcc, exec, s[10:11]
	s_cbranch_vccnz .LBB31_421
; %bb.406:
	s_cmp_lt_i32 s12, 2
	s_mov_b64 s[10:11], -1
	s_cbranch_scc1 .LBB31_416
; %bb.407:
	s_cmp_lt_i32 s12, 3
	s_cbranch_scc1 .LBB31_413
; %bb.408:
	s_cmp_gt_i32 s12, 3
	s_cbranch_scc0 .LBB31_410
; %bb.409:
	s_mov_b32 s10, 0
	v_cndmask_b32_e64 v2, 0, 1, s[8:9]
	v_mov_b32_e32 v3, s10
	s_mov_b64 s[10:11], 0
	global_store_dwordx2 v[0:1], v[2:3], off
.LBB31_410:
	s_andn2_b64 vcc, exec, s[10:11]
	s_cbranch_vccnz .LBB31_412
; %bb.411:
	v_cndmask_b32_e64 v2, 0, 1, s[8:9]
	global_store_dword v[0:1], v2, off
.LBB31_412:
	s_mov_b64 s[10:11], 0
.LBB31_413:
	s_andn2_b64 vcc, exec, s[10:11]
	s_cbranch_vccnz .LBB31_415
; %bb.414:
	v_cndmask_b32_e64 v2, 0, 1, s[8:9]
	global_store_short v[0:1], v2, off
.LBB31_415:
	s_mov_b64 s[10:11], 0
.LBB31_416:
	s_andn2_b64 vcc, exec, s[10:11]
	s_cbranch_vccnz .LBB31_421
; %bb.417:
	s_mov_b64 s[10:11], -1
	s_cmp_gt_i32 s12, 0
	v_cndmask_b32_e64 v2, 0, 1, s[8:9]
	s_cbranch_scc0 .LBB31_419
; %bb.418:
	s_mov_b64 s[10:11], 0
	global_store_byte v[0:1], v2, off
.LBB31_419:
	s_andn2_b64 vcc, exec, s[10:11]
	s_cbranch_vccnz .LBB31_421
; %bb.420:
	global_store_byte v[0:1], v2, off
.LBB31_421:
	s_mov_b64 s[10:11], -1
.LBB31_422:
	s_andn2_b64 vcc, exec, s[10:11]
	s_cbranch_vccnz .LBB31_424
; %bb.423:
	v_add_u32_e32 v8, 0x80, v8
	s_mov_b64 s[8:9], -1
	s_branch .LBB31_533
.LBB31_424:
	s_mov_b64 s[8:9], 0
	s_branch .LBB31_532
.LBB31_425:
	s_mov_b64 s[2:3], -1
                                        ; implicit-def: $vgpr3
.LBB31_426:
	s_mov_b64 s[8:9], 0
.LBB31_427:
	s_and_b64 vcc, exec, s[8:9]
	s_cbranch_vccz .LBB31_431
; %bb.428:
	s_cmp_eq_u32 s10, 29
	s_cbranch_scc0 .LBB31_430
; %bb.429:
	global_load_dwordx2 v[3:4], v[1:2], off
	s_mov_b64 s[0:1], -1
	s_mov_b64 s[2:3], 0
	s_branch .LBB31_431
.LBB31_430:
	s_mov_b64 s[2:3], -1
                                        ; implicit-def: $vgpr3
.LBB31_431:
	s_mov_b64 s[8:9], 0
.LBB31_432:
	s_and_b64 vcc, exec, s[8:9]
	s_cbranch_vccz .LBB31_448
; %bb.433:
	s_cmp_lt_i32 s10, 27
	s_cbranch_scc1 .LBB31_436
; %bb.434:
	s_cmp_gt_i32 s10, 27
	s_cbranch_scc0 .LBB31_437
; %bb.435:
	global_load_dword v3, v[1:2], off
	s_mov_b64 s[0:1], 0
	s_branch .LBB31_438
.LBB31_436:
	s_mov_b64 s[0:1], -1
                                        ; implicit-def: $vgpr3
	s_branch .LBB31_441
.LBB31_437:
	s_mov_b64 s[0:1], -1
                                        ; implicit-def: $vgpr3
.LBB31_438:
	s_andn2_b64 vcc, exec, s[0:1]
	s_cbranch_vccnz .LBB31_440
; %bb.439:
	global_load_ushort v3, v[1:2], off
.LBB31_440:
	s_mov_b64 s[0:1], 0
.LBB31_441:
	s_andn2_b64 vcc, exec, s[0:1]
	s_cbranch_vccnz .LBB31_447
; %bb.442:
	global_load_ubyte v4, v[1:2], off
	s_movk_i32 s0, 0x7f
	s_mov_b64 s[8:9], 0
	s_waitcnt vmcnt(0)
	v_cmp_lt_i16_e32 vcc, s0, v4
	s_and_saveexec_b64 s[0:1], vcc
	s_xor_b64 s[0:1], exec, s[0:1]
	s_cbranch_execz .LBB31_459
; %bb.443:
	s_movk_i32 s8, 0x80
	v_cmp_ne_u16_e32 vcc, s8, v4
	s_and_b64 s[8:9], vcc, exec
	s_andn2_saveexec_b64 s[0:1], s[0:1]
	s_cbranch_execnz .LBB31_460
.LBB31_444:
	s_or_b64 exec, exec, s[0:1]
	v_mov_b32_e32 v3, 0
	s_and_saveexec_b64 s[0:1], s[8:9]
	s_cbranch_execz .LBB31_446
.LBB31_445:
	v_lshlrev_b32_e32 v3, 24, v4
	v_and_b32_e32 v4, 0xffff, v4
	v_and_b32_e32 v5, 7, v4
	v_ffbh_u32_e32 v7, v5
	v_min_u32_e32 v7, 32, v7
	v_subrev_u32_e32 v9, 28, v7
	v_bfe_u32 v6, v4, 3, 4
	v_lshlrev_b32_e32 v4, v9, v4
	v_sub_u32_e32 v7, 29, v7
	v_and_b32_e32 v4, 7, v4
	v_cmp_eq_u32_e32 vcc, 0, v6
	v_cndmask_b32_e32 v6, v6, v7, vcc
	v_cndmask_b32_e32 v4, v5, v4, vcc
	v_mov_b32_e32 v5, 0x3b800000
	v_lshlrev_b32_e32 v4, 20, v4
	v_and_b32_e32 v3, 0x80000000, v3
	v_lshl_add_u32 v5, v6, 23, v5
	v_or3_b32 v3, v3, v5, v4
	v_cvt_i32_f32_e32 v3, v3
.LBB31_446:
	s_or_b64 exec, exec, s[0:1]
.LBB31_447:
	s_mov_b64 s[0:1], -1
.LBB31_448:
	s_mov_b64 s[8:9], 0
.LBB31_449:
	s_and_b64 vcc, exec, s[8:9]
	s_cbranch_vccz .LBB31_482
; %bb.450:
	s_cmp_gt_i32 s10, 22
	s_cbranch_scc0 .LBB31_458
; %bb.451:
	s_cmp_lt_i32 s10, 24
	s_cbranch_scc1 .LBB31_461
; %bb.452:
	s_cmp_gt_i32 s10, 24
	s_cbranch_scc0 .LBB31_462
; %bb.453:
	global_load_ubyte v4, v[1:2], off
	s_movk_i32 s0, 0x7f
	s_mov_b64 s[8:9], 0
	s_waitcnt vmcnt(0)
	v_cmp_lt_i16_e32 vcc, s0, v4
	s_and_saveexec_b64 s[0:1], vcc
	s_xor_b64 s[0:1], exec, s[0:1]
	s_cbranch_execz .LBB31_474
; %bb.454:
	s_movk_i32 s8, 0x80
	v_cmp_ne_u16_e32 vcc, s8, v4
	s_and_b64 s[8:9], vcc, exec
	s_andn2_saveexec_b64 s[0:1], s[0:1]
	s_cbranch_execnz .LBB31_475
.LBB31_455:
	s_or_b64 exec, exec, s[0:1]
	v_mov_b32_e32 v3, 0
	s_and_saveexec_b64 s[0:1], s[8:9]
	s_cbranch_execz .LBB31_457
.LBB31_456:
	v_lshlrev_b32_e32 v3, 24, v4
	v_and_b32_e32 v4, 0xffff, v4
	v_and_b32_e32 v5, 3, v4
	v_ffbh_u32_e32 v7, v5
	v_min_u32_e32 v7, 32, v7
	v_subrev_u32_e32 v9, 29, v7
	v_bfe_u32 v6, v4, 2, 5
	v_lshlrev_b32_e32 v4, v9, v4
	v_sub_u32_e32 v7, 30, v7
	v_and_b32_e32 v4, 3, v4
	v_cmp_eq_u32_e32 vcc, 0, v6
	v_cndmask_b32_e32 v6, v6, v7, vcc
	v_cndmask_b32_e32 v4, v5, v4, vcc
	v_mov_b32_e32 v5, 0x37800000
	v_lshlrev_b32_e32 v4, 21, v4
	v_and_b32_e32 v3, 0x80000000, v3
	v_lshl_add_u32 v5, v6, 23, v5
	v_or3_b32 v3, v3, v5, v4
	v_cvt_i32_f32_e32 v3, v3
.LBB31_457:
	s_or_b64 exec, exec, s[0:1]
	s_mov_b64 s[0:1], 0
	s_branch .LBB31_463
.LBB31_458:
	s_mov_b64 s[8:9], -1
                                        ; implicit-def: $vgpr3
	s_branch .LBB31_469
.LBB31_459:
	s_andn2_saveexec_b64 s[0:1], s[0:1]
	s_cbranch_execz .LBB31_444
.LBB31_460:
	v_cmp_ne_u16_e32 vcc, 0, v4
	s_andn2_b64 s[8:9], s[8:9], exec
	s_and_b64 s[12:13], vcc, exec
	s_or_b64 s[8:9], s[8:9], s[12:13]
	s_or_b64 exec, exec, s[0:1]
	v_mov_b32_e32 v3, 0
	s_and_saveexec_b64 s[0:1], s[8:9]
	s_cbranch_execnz .LBB31_445
	s_branch .LBB31_446
.LBB31_461:
	s_mov_b64 s[0:1], -1
                                        ; implicit-def: $vgpr3
	s_branch .LBB31_466
.LBB31_462:
	s_mov_b64 s[0:1], -1
                                        ; implicit-def: $vgpr3
.LBB31_463:
	s_and_b64 vcc, exec, s[0:1]
	s_cbranch_vccz .LBB31_465
; %bb.464:
	global_load_ubyte v3, v[1:2], off
	s_mov_b32 s0, 0x7f800000
	s_waitcnt vmcnt(0)
	v_lshlrev_b32_e32 v3, 24, v3
	v_and_b32_e32 v4, 0x7f000000, v3
	v_ffbh_u32_e32 v5, v4
	v_min_u32_e32 v5, 32, v5
	v_sub_u32_e64 v5, v5, 4 clamp
	v_lshlrev_b32_e32 v7, v5, v4
	v_lshlrev_b32_e32 v5, 23, v5
	v_lshrrev_b32_e32 v7, 4, v7
	v_add_u32_e32 v6, 0x1000000, v4
	v_sub_u32_e32 v5, v7, v5
	v_ashrrev_i32_e32 v6, 8, v6
	v_add_u32_e32 v5, 0x3c000000, v5
	v_and_or_b32 v5, v6, s0, v5
	v_cmp_ne_u32_e32 vcc, 0, v4
	v_cndmask_b32_e32 v4, 0, v5, vcc
	s_brev_b32 s0, 1
	v_and_or_b32 v3, v3, s0, v4
	v_cvt_i32_f32_e32 v3, v3
.LBB31_465:
	s_mov_b64 s[0:1], 0
.LBB31_466:
	s_andn2_b64 vcc, exec, s[0:1]
	s_cbranch_vccnz .LBB31_468
; %bb.467:
	global_load_ubyte v3, v[1:2], off
	s_movk_i32 s0, 0x7f00
	s_brev_b32 s1, 16
	s_waitcnt vmcnt(0)
	v_lshlrev_b16_e32 v4, 8, v3
	v_lshlrev_b32_e32 v3, 25, v3
	v_lshrrev_b32_e32 v5, 4, v3
	v_and_or_b32 v6, v4, s0, 0.5
	v_or_b32_e32 v5, 0x70000000, v5
	v_add_f32_e32 v6, -0.5, v6
	v_mul_f32_e32 v5, 0x7800000, v5
	v_cmp_gt_u32_e32 vcc, s1, v3
	v_bfe_i32 v4, v4, 0, 16
	v_cndmask_b32_e32 v3, v5, v6, vcc
	s_brev_b32 s0, 1
	v_and_or_b32 v3, v4, s0, v3
	v_cvt_i32_f32_e32 v3, v3
.LBB31_468:
	s_mov_b64 s[8:9], 0
	s_mov_b64 s[0:1], -1
.LBB31_469:
	s_andn2_b64 vcc, exec, s[8:9]
	s_cbranch_vccnz .LBB31_482
; %bb.470:
	s_cmp_gt_i32 s10, 14
	s_cbranch_scc0 .LBB31_473
; %bb.471:
	s_cmp_eq_u32 s10, 15
	s_cbranch_scc0 .LBB31_476
; %bb.472:
	global_load_ushort v3, v[1:2], off
	s_mov_b64 s[0:1], -1
	s_mov_b64 s[2:3], 0
	s_waitcnt vmcnt(0)
	v_lshlrev_b32_e32 v3, 16, v3
	v_cvt_i32_f32_e32 v3, v3
	s_branch .LBB31_477
.LBB31_473:
	s_mov_b64 s[8:9], -1
                                        ; implicit-def: $vgpr3
	s_branch .LBB31_478
.LBB31_474:
	s_andn2_saveexec_b64 s[0:1], s[0:1]
	s_cbranch_execz .LBB31_455
.LBB31_475:
	v_cmp_ne_u16_e32 vcc, 0, v4
	s_andn2_b64 s[8:9], s[8:9], exec
	s_and_b64 s[12:13], vcc, exec
	s_or_b64 s[8:9], s[8:9], s[12:13]
	s_or_b64 exec, exec, s[0:1]
	v_mov_b32_e32 v3, 0
	s_and_saveexec_b64 s[0:1], s[8:9]
	s_cbranch_execnz .LBB31_456
	s_branch .LBB31_457
.LBB31_476:
	s_mov_b64 s[2:3], -1
                                        ; implicit-def: $vgpr3
.LBB31_477:
	s_mov_b64 s[8:9], 0
.LBB31_478:
	s_and_b64 vcc, exec, s[8:9]
	s_cbranch_vccz .LBB31_482
; %bb.479:
	s_cmp_eq_u32 s10, 11
	s_cbranch_scc0 .LBB31_481
; %bb.480:
	global_load_ubyte v3, v[1:2], off
	s_mov_b64 s[0:1], -1
	s_mov_b64 s[2:3], 0
	s_waitcnt vmcnt(0)
	v_cmp_ne_u16_e32 vcc, 0, v3
	v_cndmask_b32_e64 v3, 0, 1, vcc
	s_branch .LBB31_482
.LBB31_481:
	s_mov_b64 s[2:3], -1
                                        ; implicit-def: $vgpr3
.LBB31_482:
	s_branch .LBB31_289
.LBB31_483:
	s_cmp_lt_i32 s10, 5
	s_cbranch_scc1 .LBB31_488
; %bb.484:
	s_cmp_lt_i32 s10, 8
	s_cbranch_scc1 .LBB31_489
; %bb.485:
	;; [unrolled: 3-line block ×3, first 2 shown]
	s_cmp_gt_i32 s10, 9
	s_cbranch_scc0 .LBB31_491
; %bb.487:
	global_load_dwordx2 v[3:4], v[1:2], off
	s_mov_b64 s[0:1], 0
	s_waitcnt vmcnt(0)
	v_cvt_i32_f64_e32 v3, v[3:4]
	s_branch .LBB31_492
.LBB31_488:
	s_mov_b64 s[0:1], -1
                                        ; implicit-def: $vgpr3
	s_branch .LBB31_510
.LBB31_489:
	s_mov_b64 s[0:1], -1
                                        ; implicit-def: $vgpr3
	s_branch .LBB31_498
.LBB31_490:
	s_mov_b64 s[0:1], -1
                                        ; implicit-def: $vgpr3
	s_branch .LBB31_495
.LBB31_491:
	s_mov_b64 s[0:1], -1
                                        ; implicit-def: $vgpr3
.LBB31_492:
	s_andn2_b64 vcc, exec, s[0:1]
	s_cbranch_vccnz .LBB31_494
; %bb.493:
	global_load_dword v3, v[1:2], off
	s_waitcnt vmcnt(0)
	v_cvt_i32_f32_e32 v3, v3
.LBB31_494:
	s_mov_b64 s[0:1], 0
.LBB31_495:
	s_andn2_b64 vcc, exec, s[0:1]
	s_cbranch_vccnz .LBB31_497
; %bb.496:
	global_load_dword v3, v[1:2], off
	s_waitcnt vmcnt(0)
	v_cvt_i16_f16_e32 v3, v3
.LBB31_497:
	s_mov_b64 s[0:1], 0
.LBB31_498:
	s_andn2_b64 vcc, exec, s[0:1]
	s_cbranch_vccnz .LBB31_509
; %bb.499:
	s_cmp_lt_i32 s10, 6
	s_cbranch_scc1 .LBB31_502
; %bb.500:
	s_cmp_gt_i32 s10, 6
	s_cbranch_scc0 .LBB31_503
; %bb.501:
	global_load_dwordx2 v[3:4], v[1:2], off
	s_mov_b64 s[0:1], 0
	s_waitcnt vmcnt(0)
	v_cvt_i32_f64_e32 v3, v[3:4]
	s_branch .LBB31_504
.LBB31_502:
	s_mov_b64 s[0:1], -1
                                        ; implicit-def: $vgpr3
	s_branch .LBB31_507
.LBB31_503:
	s_mov_b64 s[0:1], -1
                                        ; implicit-def: $vgpr3
.LBB31_504:
	s_andn2_b64 vcc, exec, s[0:1]
	s_cbranch_vccnz .LBB31_506
; %bb.505:
	global_load_dword v3, v[1:2], off
	s_waitcnt vmcnt(0)
	v_cvt_i32_f32_e32 v3, v3
.LBB31_506:
	s_mov_b64 s[0:1], 0
.LBB31_507:
	s_andn2_b64 vcc, exec, s[0:1]
	s_cbranch_vccnz .LBB31_509
; %bb.508:
	global_load_ushort v3, v[1:2], off
	s_waitcnt vmcnt(0)
	v_cvt_i16_f16_e32 v3, v3
.LBB31_509:
	s_mov_b64 s[0:1], 0
.LBB31_510:
	s_andn2_b64 vcc, exec, s[0:1]
	s_cbranch_vccnz .LBB31_530
; %bb.511:
	s_cmp_lt_i32 s10, 2
	s_cbranch_scc1 .LBB31_515
; %bb.512:
	s_cmp_lt_i32 s10, 3
	s_cbranch_scc1 .LBB31_516
; %bb.513:
	s_cmp_gt_i32 s10, 3
	s_cbranch_scc0 .LBB31_517
; %bb.514:
	global_load_dwordx2 v[3:4], v[1:2], off
	s_mov_b64 s[0:1], 0
	s_branch .LBB31_518
.LBB31_515:
	s_mov_b64 s[0:1], -1
                                        ; implicit-def: $vgpr3
	s_branch .LBB31_524
.LBB31_516:
	s_mov_b64 s[0:1], -1
                                        ; implicit-def: $vgpr3
	s_branch .LBB31_521
.LBB31_517:
	s_mov_b64 s[0:1], -1
                                        ; implicit-def: $vgpr3
.LBB31_518:
	s_andn2_b64 vcc, exec, s[0:1]
	s_cbranch_vccnz .LBB31_520
; %bb.519:
	global_load_dword v3, v[1:2], off
.LBB31_520:
	s_mov_b64 s[0:1], 0
.LBB31_521:
	s_andn2_b64 vcc, exec, s[0:1]
	s_cbranch_vccnz .LBB31_523
; %bb.522:
	global_load_ushort v3, v[1:2], off
.LBB31_523:
	s_mov_b64 s[0:1], 0
.LBB31_524:
	s_andn2_b64 vcc, exec, s[0:1]
	s_cbranch_vccnz .LBB31_530
; %bb.525:
	s_cmp_gt_i32 s10, 0
	s_cbranch_scc0 .LBB31_527
; %bb.526:
	global_load_ubyte v3, v[1:2], off
	s_mov_b64 s[0:1], 0
	s_branch .LBB31_528
.LBB31_527:
	s_mov_b64 s[0:1], -1
                                        ; implicit-def: $vgpr3
.LBB31_528:
	s_andn2_b64 vcc, exec, s[0:1]
	s_cbranch_vccnz .LBB31_530
; %bb.529:
	global_load_ubyte v3, v[1:2], off
.LBB31_530:
	s_branch .LBB31_290
.LBB31_531:
	s_mov_b64 s[8:9], 0
	s_mov_b64 s[0:1], s[56:57]
.LBB31_532:
                                        ; implicit-def: $vgpr8
.LBB31_533:
	s_andn2_b64 s[10:11], s[56:57], exec
	s_and_b64 s[0:1], s[0:1], exec
	s_or_b64 s[64:65], s[10:11], s[0:1]
	s_andn2_b64 s[0:1], s[58:59], exec
	s_and_b64 s[2:3], s[2:3], exec
	s_or_b64 s[62:63], s[0:1], s[2:3]
	s_orn2_b64 s[0:1], s[8:9], exec
.LBB31_534:
	s_or_b64 exec, exec, s[66:67]
	s_mov_b64 s[2:3], 0
	s_mov_b64 s[8:9], 0
	;; [unrolled: 1-line block ×3, first 2 shown]
                                        ; implicit-def: $vgpr1_vgpr2
                                        ; implicit-def: $vgpr0
                                        ; implicit-def: $vgpr3
	s_and_saveexec_b64 s[66:67], s[0:1]
	s_cbranch_execz .LBB31_901
; %bb.535:
	v_cmp_gt_i32_e32 vcc, s74, v8
	s_mov_b64 s[2:3], -1
	s_mov_b64 s[70:71], s[62:63]
	s_mov_b64 s[72:73], s[64:65]
	s_and_saveexec_b64 s[68:69], vcc
	s_cbranch_execz .LBB31_805
; %bb.536:
	s_andn2_b64 vcc, exec, s[40:41]
	s_cbranch_vccnz .LBB31_541
; %bb.537:
	s_andn2_b64 vcc, exec, s[54:55]
	s_cbranch_vccnz .LBB31_542
; %bb.538:
	s_add_i32 s75, s79, 1
	s_cmp_eq_u32 s76, 2
	s_cbranch_scc1 .LBB31_543
; %bb.539:
	s_and_b32 s44, s75, 28
	v_mov_b32_e32 v2, 0
	s_mov_b32 s80, 0
	s_mov_b64 s[70:71], s[34:35]
	s_mov_b64 s[72:73], s[52:53]
	v_mov_b32_e32 v0, 0
	v_mov_b32_e32 v1, v8
.LBB31_540:                             ; =>This Inner Loop Header: Depth=1
	s_load_dwordx8 s[16:23], s[70:71], 0x4
	s_load_dwordx4 s[0:3], s[70:71], 0x24
	s_load_dwordx8 s[8:15], s[72:73], 0x0
	s_add_u32 s70, s70, 48
	s_addc_u32 s71, s71, 0
	s_waitcnt vmcnt(0) lgkmcnt(0)
	v_mul_hi_u32 v3, s17, v1
	s_add_i32 s80, s80, 4
	s_add_u32 s72, s72, 32
	s_addc_u32 s73, s73, 0
	v_add_u32_e32 v3, v1, v3
	v_lshrrev_b32_e32 v3, s18, v3
	v_mul_lo_u32 v4, v3, s16
	v_mul_hi_u32 v5, s20, v3
	s_cmp_eq_u32 s44, s80
	v_sub_u32_e32 v1, v1, v4
	v_add_u32_e32 v4, v3, v5
	v_mul_lo_u32 v5, v1, s8
	v_mul_lo_u32 v6, v1, s9
	v_lshrrev_b32_e32 v1, s21, v4
	v_mul_lo_u32 v4, v1, s19
	v_mul_hi_u32 v7, s23, v1
	v_sub_u32_e32 v3, v3, v4
	v_add_u32_e32 v4, v1, v7
	v_lshrrev_b32_e32 v4, s0, v4
	v_mul_hi_u32 v9, s2, v4
	v_mul_lo_u32 v10, v4, s22
	v_mul_lo_u32 v7, v3, s10
	;; [unrolled: 1-line block ×3, first 2 shown]
	v_sub_u32_e32 v10, v1, v10
	v_add_u32_e32 v1, v4, v9
	v_lshrrev_b32_e32 v1, s3, v1
	v_mul_lo_u32 v9, v1, s1
	v_mul_lo_u32 v11, v10, s12
	v_mul_lo_u32 v10, v10, s13
	v_add3_u32 v0, v5, v0, v7
	v_sub_u32_e32 v4, v4, v9
	v_mul_lo_u32 v9, v4, s14
	v_mul_lo_u32 v4, v4, s15
	v_add3_u32 v2, v6, v2, v3
	v_add3_u32 v0, v11, v0, v9
	;; [unrolled: 1-line block ×3, first 2 shown]
	s_cbranch_scc0 .LBB31_540
	s_branch .LBB31_544
.LBB31_541:
	s_mov_b64 s[0:1], -1
                                        ; implicit-def: $vgpr0
                                        ; implicit-def: $vgpr2
	s_branch .LBB31_548
.LBB31_542:
	v_mov_b32_e32 v0, 0
	v_mov_b32_e32 v2, 0
	s_branch .LBB31_547
.LBB31_543:
	s_mov_b32 s44, 0
	v_mov_b32_e32 v0, 0
	v_mov_b32_e32 v2, 0
	;; [unrolled: 1-line block ×3, first 2 shown]
.LBB31_544:
	s_and_b32 s8, s75, 3
	s_cmp_eq_u32 s8, 0
	s_cbranch_scc1 .LBB31_547
; %bb.545:
	s_lshl_b32 s0, s44, 3
	s_add_u32 s0, s34, s0
	s_addc_u32 s1, s35, 0
	s_add_u32 s0, s0, 0xc4
	s_addc_u32 s1, s1, 0
	s_mul_i32 s2, s44, 12
	s_add_u32 s2, s34, s2
	s_addc_u32 s3, s35, 0
.LBB31_546:                             ; =>This Inner Loop Header: Depth=1
	s_load_dwordx2 s[10:11], s[2:3], 0x4
	s_load_dword s9, s[2:3], 0xc
	s_load_dwordx2 s[12:13], s[0:1], 0x0
	s_add_u32 s2, s2, 12
	s_addc_u32 s3, s3, 0
	s_waitcnt vmcnt(0) lgkmcnt(0)
	v_mul_hi_u32 v3, s11, v1
	s_add_u32 s0, s0, 8
	s_addc_u32 s1, s1, 0
	s_add_i32 s8, s8, -1
	v_add_u32_e32 v3, v1, v3
	v_lshrrev_b32_e32 v4, s9, v3
	v_mul_lo_u32 v3, v4, s10
	s_cmp_lg_u32 s8, 0
	v_sub_u32_e32 v3, v1, v3
	v_mad_u64_u32 v[0:1], s[10:11], v3, s12, v[0:1]
	v_mad_u64_u32 v[2:3], s[10:11], v3, s13, v[2:3]
	v_mov_b32_e32 v1, v4
	s_cbranch_scc1 .LBB31_546
.LBB31_547:
	s_mov_b64 s[0:1], 0
.LBB31_548:
	s_andn2_b64 vcc, exec, s[0:1]
	s_cbranch_vccnz .LBB31_551
; %bb.549:
	v_mul_hi_u32 v0, s29, v8
	s_andn2_b64 vcc, exec, s[50:51]
	v_add_u32_e32 v0, v8, v0
	v_lshrrev_b32_e32 v1, s30, v0
	v_mul_lo_u32 v0, v1, s28
	v_sub_u32_e32 v2, v8, v0
	v_mul_lo_u32 v0, v2, s36
	v_mul_lo_u32 v2, v2, s37
	s_cbranch_vccnz .LBB31_551
; %bb.550:
	s_waitcnt vmcnt(0)
	v_mul_hi_u32 v3, s48, v1
	v_add_u32_e32 v3, v1, v3
	v_lshrrev_b32_e32 v3, s49, v3
	v_mul_lo_u32 v3, v3, s31
	v_sub_u32_e32 v3, v1, v3
	v_mad_u64_u32 v[0:1], s[0:1], v3, s38, v[0:1]
	v_mad_u64_u32 v[2:3], s[0:1], v3, s39, v[2:3]
.LBB31_551:
	s_waitcnt vmcnt(0)
	v_mov_b32_e32 v3, s27
	s_and_b32 s10, 0xffff, s78
	v_add_co_u32_e32 v1, vcc, s26, v2
	s_cmp_lt_i32 s10, 11
	v_addc_co_u32_e32 v2, vcc, 0, v3, vcc
	s_cbranch_scc1 .LBB31_558
; %bb.552:
	s_cmp_gt_i32 s10, 25
	s_cbranch_scc0 .LBB31_559
; %bb.553:
	s_cmp_gt_i32 s10, 28
	s_cbranch_scc0 .LBB31_560
	;; [unrolled: 3-line block ×4, first 2 shown]
; %bb.556:
	s_cmp_eq_u32 s10, 46
	s_mov_b64 s[8:9], 0
	s_cbranch_scc0 .LBB31_567
; %bb.557:
	global_load_dword v3, v[1:2], off
	s_mov_b64 s[0:1], -1
	s_mov_b64 s[2:3], 0
	s_waitcnt vmcnt(0)
	v_lshlrev_b32_e32 v3, 16, v3
	v_cvt_i32_f32_e32 v3, v3
	s_branch .LBB31_568
.LBB31_558:
	s_mov_b64 s[8:9], -1
	s_mov_b64 s[0:1], 0
                                        ; implicit-def: $vgpr3
	s_mov_b64 s[2:3], s[62:63]
	s_branch .LBB31_629
.LBB31_559:
	s_mov_b64 s[8:9], -1
	s_mov_b64 s[0:1], 0
	s_mov_b64 s[2:3], s[62:63]
                                        ; implicit-def: $vgpr3
	s_branch .LBB31_595
.LBB31_560:
	s_mov_b64 s[8:9], -1
	s_mov_b64 s[0:1], 0
	s_mov_b64 s[2:3], s[62:63]
                                        ; implicit-def: $vgpr3
	s_branch .LBB31_578
.LBB31_561:
	s_mov_b64 s[8:9], -1
	s_mov_b64 s[0:1], 0
	s_mov_b64 s[2:3], s[62:63]
                                        ; implicit-def: $vgpr3
	s_branch .LBB31_573
.LBB31_562:
	s_andn2_saveexec_b64 s[14:15], s[14:15]
	s_cbranch_execz .LBB31_335
.LBB31_563:
	v_add_f32_e32 v2, 0x46000000, v3
	v_and_b32_e32 v2, 0xff, v2
	v_cmp_ne_u32_e32 vcc, 0, v2
	s_andn2_b64 s[12:13], s[12:13], exec
	s_and_b64 s[18:19], vcc, exec
	s_or_b64 s[12:13], s[12:13], s[18:19]
	s_or_b64 exec, exec, s[14:15]
	v_mov_b32_e32 v4, 0
	s_and_saveexec_b64 s[14:15], s[12:13]
	s_cbranch_execnz .LBB31_336
	s_branch .LBB31_337
.LBB31_564:
	s_mov_b64 s[8:9], -1
	s_mov_b64 s[0:1], 0
	s_mov_b64 s[2:3], s[62:63]
                                        ; implicit-def: $vgpr3
	s_branch .LBB31_568
.LBB31_565:
	s_andn2_saveexec_b64 s[14:15], s[14:15]
	s_cbranch_execz .LBB31_348
.LBB31_566:
	v_add_f32_e32 v2, 0x42800000, v3
	v_and_b32_e32 v2, 0xff, v2
	v_cmp_ne_u32_e32 vcc, 0, v2
	s_andn2_b64 s[12:13], s[12:13], exec
	s_and_b64 s[18:19], vcc, exec
	s_or_b64 s[12:13], s[12:13], s[18:19]
	s_or_b64 exec, exec, s[14:15]
	v_mov_b32_e32 v4, 0
	s_and_saveexec_b64 s[14:15], s[12:13]
	s_cbranch_execnz .LBB31_349
	s_branch .LBB31_350
.LBB31_567:
	s_mov_b64 s[2:3], -1
                                        ; implicit-def: $vgpr3
	s_mov_b64 s[0:1], 0
.LBB31_568:
	s_and_b64 vcc, exec, s[8:9]
	s_cbranch_vccz .LBB31_572
; %bb.569:
	s_cmp_eq_u32 s10, 44
	s_cbranch_scc0 .LBB31_571
; %bb.570:
	global_load_ubyte v3, v[1:2], off
	s_mov_b64 s[0:1], -1
	s_mov_b64 s[2:3], 0
	s_waitcnt vmcnt(0)
	v_lshlrev_b32_e32 v4, 23, v3
	v_cvt_i32_f32_e32 v4, v4
	v_cmp_ne_u32_e32 vcc, 0, v3
	v_cndmask_b32_e32 v3, 0, v4, vcc
	s_branch .LBB31_572
.LBB31_571:
	s_mov_b64 s[2:3], -1
                                        ; implicit-def: $vgpr3
.LBB31_572:
	s_mov_b64 s[8:9], 0
.LBB31_573:
	s_and_b64 vcc, exec, s[8:9]
	s_cbranch_vccz .LBB31_577
; %bb.574:
	s_cmp_eq_u32 s10, 29
	s_cbranch_scc0 .LBB31_576
; %bb.575:
	global_load_dwordx2 v[3:4], v[1:2], off
	s_mov_b64 s[0:1], -1
	s_mov_b64 s[2:3], 0
	s_branch .LBB31_577
.LBB31_576:
	s_mov_b64 s[2:3], -1
                                        ; implicit-def: $vgpr3
.LBB31_577:
	s_mov_b64 s[8:9], 0
.LBB31_578:
	s_and_b64 vcc, exec, s[8:9]
	s_cbranch_vccz .LBB31_594
; %bb.579:
	s_cmp_lt_i32 s10, 27
	s_cbranch_scc1 .LBB31_582
; %bb.580:
	s_cmp_gt_i32 s10, 27
	s_cbranch_scc0 .LBB31_583
; %bb.581:
	global_load_dword v3, v[1:2], off
	s_mov_b64 s[0:1], 0
	s_branch .LBB31_584
.LBB31_582:
	s_mov_b64 s[0:1], -1
                                        ; implicit-def: $vgpr3
	s_branch .LBB31_587
.LBB31_583:
	s_mov_b64 s[0:1], -1
                                        ; implicit-def: $vgpr3
.LBB31_584:
	s_andn2_b64 vcc, exec, s[0:1]
	s_cbranch_vccnz .LBB31_586
; %bb.585:
	global_load_ushort v3, v[1:2], off
.LBB31_586:
	s_mov_b64 s[0:1], 0
.LBB31_587:
	s_andn2_b64 vcc, exec, s[0:1]
	s_cbranch_vccnz .LBB31_593
; %bb.588:
	global_load_ubyte v4, v[1:2], off
	s_movk_i32 s0, 0x7f
	s_mov_b64 s[8:9], 0
	s_waitcnt vmcnt(0)
	v_cmp_lt_i16_e32 vcc, s0, v4
	s_and_saveexec_b64 s[0:1], vcc
	s_xor_b64 s[0:1], exec, s[0:1]
	s_cbranch_execz .LBB31_605
; %bb.589:
	s_movk_i32 s8, 0x80
	v_cmp_ne_u16_e32 vcc, s8, v4
	s_and_b64 s[8:9], vcc, exec
	s_andn2_saveexec_b64 s[0:1], s[0:1]
	s_cbranch_execnz .LBB31_606
.LBB31_590:
	s_or_b64 exec, exec, s[0:1]
	v_mov_b32_e32 v3, 0
	s_and_saveexec_b64 s[0:1], s[8:9]
	s_cbranch_execz .LBB31_592
.LBB31_591:
	v_lshlrev_b32_e32 v3, 24, v4
	v_and_b32_e32 v4, 0xffff, v4
	v_and_b32_e32 v5, 7, v4
	v_ffbh_u32_e32 v7, v5
	v_min_u32_e32 v7, 32, v7
	v_subrev_u32_e32 v9, 28, v7
	v_bfe_u32 v6, v4, 3, 4
	v_lshlrev_b32_e32 v4, v9, v4
	v_sub_u32_e32 v7, 29, v7
	v_and_b32_e32 v4, 7, v4
	v_cmp_eq_u32_e32 vcc, 0, v6
	v_cndmask_b32_e32 v6, v6, v7, vcc
	v_cndmask_b32_e32 v4, v5, v4, vcc
	v_mov_b32_e32 v5, 0x3b800000
	v_lshlrev_b32_e32 v4, 20, v4
	v_and_b32_e32 v3, 0x80000000, v3
	v_lshl_add_u32 v5, v6, 23, v5
	v_or3_b32 v3, v3, v5, v4
	v_cvt_i32_f32_e32 v3, v3
.LBB31_592:
	s_or_b64 exec, exec, s[0:1]
.LBB31_593:
	s_mov_b64 s[0:1], -1
.LBB31_594:
	s_mov_b64 s[8:9], 0
.LBB31_595:
	s_and_b64 vcc, exec, s[8:9]
	s_cbranch_vccz .LBB31_628
; %bb.596:
	s_cmp_gt_i32 s10, 22
	s_cbranch_scc0 .LBB31_604
; %bb.597:
	s_cmp_lt_i32 s10, 24
	s_cbranch_scc1 .LBB31_607
; %bb.598:
	s_cmp_gt_i32 s10, 24
	s_cbranch_scc0 .LBB31_608
; %bb.599:
	global_load_ubyte v4, v[1:2], off
	s_movk_i32 s0, 0x7f
	s_mov_b64 s[8:9], 0
	s_waitcnt vmcnt(0)
	v_cmp_lt_i16_e32 vcc, s0, v4
	s_and_saveexec_b64 s[0:1], vcc
	s_xor_b64 s[0:1], exec, s[0:1]
	s_cbranch_execz .LBB31_620
; %bb.600:
	s_movk_i32 s8, 0x80
	v_cmp_ne_u16_e32 vcc, s8, v4
	s_and_b64 s[8:9], vcc, exec
	s_andn2_saveexec_b64 s[0:1], s[0:1]
	s_cbranch_execnz .LBB31_621
.LBB31_601:
	s_or_b64 exec, exec, s[0:1]
	v_mov_b32_e32 v3, 0
	s_and_saveexec_b64 s[0:1], s[8:9]
	s_cbranch_execz .LBB31_603
.LBB31_602:
	v_lshlrev_b32_e32 v3, 24, v4
	v_and_b32_e32 v4, 0xffff, v4
	v_and_b32_e32 v5, 3, v4
	v_ffbh_u32_e32 v7, v5
	v_min_u32_e32 v7, 32, v7
	v_subrev_u32_e32 v9, 29, v7
	v_bfe_u32 v6, v4, 2, 5
	v_lshlrev_b32_e32 v4, v9, v4
	v_sub_u32_e32 v7, 30, v7
	v_and_b32_e32 v4, 3, v4
	v_cmp_eq_u32_e32 vcc, 0, v6
	v_cndmask_b32_e32 v6, v6, v7, vcc
	v_cndmask_b32_e32 v4, v5, v4, vcc
	v_mov_b32_e32 v5, 0x37800000
	v_lshlrev_b32_e32 v4, 21, v4
	v_and_b32_e32 v3, 0x80000000, v3
	v_lshl_add_u32 v5, v6, 23, v5
	v_or3_b32 v3, v3, v5, v4
	v_cvt_i32_f32_e32 v3, v3
.LBB31_603:
	s_or_b64 exec, exec, s[0:1]
	s_mov_b64 s[0:1], 0
	s_branch .LBB31_609
.LBB31_604:
	s_mov_b64 s[8:9], -1
                                        ; implicit-def: $vgpr3
	s_branch .LBB31_615
.LBB31_605:
	s_andn2_saveexec_b64 s[0:1], s[0:1]
	s_cbranch_execz .LBB31_590
.LBB31_606:
	v_cmp_ne_u16_e32 vcc, 0, v4
	s_andn2_b64 s[8:9], s[8:9], exec
	s_and_b64 s[12:13], vcc, exec
	s_or_b64 s[8:9], s[8:9], s[12:13]
	s_or_b64 exec, exec, s[0:1]
	v_mov_b32_e32 v3, 0
	s_and_saveexec_b64 s[0:1], s[8:9]
	s_cbranch_execnz .LBB31_591
	s_branch .LBB31_592
.LBB31_607:
	s_mov_b64 s[0:1], -1
                                        ; implicit-def: $vgpr3
	s_branch .LBB31_612
.LBB31_608:
	s_mov_b64 s[0:1], -1
                                        ; implicit-def: $vgpr3
.LBB31_609:
	s_and_b64 vcc, exec, s[0:1]
	s_cbranch_vccz .LBB31_611
; %bb.610:
	global_load_ubyte v3, v[1:2], off
	s_mov_b32 s0, 0x7f800000
	s_waitcnt vmcnt(0)
	v_lshlrev_b32_e32 v3, 24, v3
	v_and_b32_e32 v4, 0x7f000000, v3
	v_ffbh_u32_e32 v5, v4
	v_min_u32_e32 v5, 32, v5
	v_sub_u32_e64 v5, v5, 4 clamp
	v_lshlrev_b32_e32 v7, v5, v4
	v_lshlrev_b32_e32 v5, 23, v5
	v_lshrrev_b32_e32 v7, 4, v7
	v_add_u32_e32 v6, 0x1000000, v4
	v_sub_u32_e32 v5, v7, v5
	v_ashrrev_i32_e32 v6, 8, v6
	v_add_u32_e32 v5, 0x3c000000, v5
	v_and_or_b32 v5, v6, s0, v5
	v_cmp_ne_u32_e32 vcc, 0, v4
	v_cndmask_b32_e32 v4, 0, v5, vcc
	s_brev_b32 s0, 1
	v_and_or_b32 v3, v3, s0, v4
	v_cvt_i32_f32_e32 v3, v3
.LBB31_611:
	s_mov_b64 s[0:1], 0
.LBB31_612:
	s_andn2_b64 vcc, exec, s[0:1]
	s_cbranch_vccnz .LBB31_614
; %bb.613:
	global_load_ubyte v3, v[1:2], off
	s_movk_i32 s0, 0x7f00
	s_brev_b32 s1, 16
	s_waitcnt vmcnt(0)
	v_lshlrev_b16_e32 v4, 8, v3
	v_lshlrev_b32_e32 v3, 25, v3
	v_lshrrev_b32_e32 v5, 4, v3
	v_and_or_b32 v6, v4, s0, 0.5
	v_or_b32_e32 v5, 0x70000000, v5
	v_add_f32_e32 v6, -0.5, v6
	v_mul_f32_e32 v5, 0x7800000, v5
	v_cmp_gt_u32_e32 vcc, s1, v3
	v_bfe_i32 v4, v4, 0, 16
	v_cndmask_b32_e32 v3, v5, v6, vcc
	s_brev_b32 s0, 1
	v_and_or_b32 v3, v4, s0, v3
	v_cvt_i32_f32_e32 v3, v3
.LBB31_614:
	s_mov_b64 s[8:9], 0
	s_mov_b64 s[0:1], -1
.LBB31_615:
	s_andn2_b64 vcc, exec, s[8:9]
	s_cbranch_vccnz .LBB31_628
; %bb.616:
	s_cmp_gt_i32 s10, 14
	s_cbranch_scc0 .LBB31_619
; %bb.617:
	s_cmp_eq_u32 s10, 15
	s_cbranch_scc0 .LBB31_622
; %bb.618:
	global_load_ushort v3, v[1:2], off
	s_mov_b64 s[0:1], -1
	s_mov_b64 s[2:3], 0
	s_waitcnt vmcnt(0)
	v_lshlrev_b32_e32 v3, 16, v3
	v_cvt_i32_f32_e32 v3, v3
	s_branch .LBB31_623
.LBB31_619:
	s_mov_b64 s[8:9], -1
                                        ; implicit-def: $vgpr3
	s_branch .LBB31_624
.LBB31_620:
	s_andn2_saveexec_b64 s[0:1], s[0:1]
	s_cbranch_execz .LBB31_601
.LBB31_621:
	v_cmp_ne_u16_e32 vcc, 0, v4
	s_andn2_b64 s[8:9], s[8:9], exec
	s_and_b64 s[12:13], vcc, exec
	s_or_b64 s[8:9], s[8:9], s[12:13]
	s_or_b64 exec, exec, s[0:1]
	v_mov_b32_e32 v3, 0
	s_and_saveexec_b64 s[0:1], s[8:9]
	s_cbranch_execnz .LBB31_602
	s_branch .LBB31_603
.LBB31_622:
	s_mov_b64 s[2:3], -1
                                        ; implicit-def: $vgpr3
.LBB31_623:
	s_mov_b64 s[8:9], 0
.LBB31_624:
	s_and_b64 vcc, exec, s[8:9]
	s_cbranch_vccz .LBB31_628
; %bb.625:
	s_cmp_eq_u32 s10, 11
	s_cbranch_scc0 .LBB31_627
; %bb.626:
	global_load_ubyte v3, v[1:2], off
	s_mov_b64 s[0:1], -1
	s_mov_b64 s[2:3], 0
	s_waitcnt vmcnt(0)
	v_cmp_ne_u16_e32 vcc, 0, v3
	v_cndmask_b32_e64 v3, 0, 1, vcc
	s_branch .LBB31_628
.LBB31_627:
	s_mov_b64 s[2:3], -1
                                        ; implicit-def: $vgpr3
.LBB31_628:
	s_mov_b64 s[8:9], 0
.LBB31_629:
	s_and_b64 vcc, exec, s[8:9]
	s_cbranch_vccz .LBB31_678
; %bb.630:
	s_cmp_lt_i32 s10, 5
	s_cbranch_scc1 .LBB31_635
; %bb.631:
	s_cmp_lt_i32 s10, 8
	s_cbranch_scc1 .LBB31_636
; %bb.632:
	s_cmp_lt_i32 s10, 9
	s_cbranch_scc1 .LBB31_637
; %bb.633:
	s_cmp_gt_i32 s10, 9
	s_cbranch_scc0 .LBB31_638
; %bb.634:
	global_load_dwordx2 v[3:4], v[1:2], off
	s_mov_b64 s[0:1], 0
	s_waitcnt vmcnt(0)
	v_cvt_i32_f64_e32 v3, v[3:4]
	s_branch .LBB31_639
.LBB31_635:
	s_mov_b64 s[0:1], -1
                                        ; implicit-def: $vgpr3
	s_branch .LBB31_657
.LBB31_636:
	s_mov_b64 s[0:1], -1
                                        ; implicit-def: $vgpr3
	s_branch .LBB31_645
.LBB31_637:
	s_mov_b64 s[0:1], -1
                                        ; implicit-def: $vgpr3
	s_branch .LBB31_642
.LBB31_638:
	s_mov_b64 s[0:1], -1
                                        ; implicit-def: $vgpr3
.LBB31_639:
	s_andn2_b64 vcc, exec, s[0:1]
	s_cbranch_vccnz .LBB31_641
; %bb.640:
	global_load_dword v3, v[1:2], off
	s_waitcnt vmcnt(0)
	v_cvt_i32_f32_e32 v3, v3
.LBB31_641:
	s_mov_b64 s[0:1], 0
.LBB31_642:
	s_andn2_b64 vcc, exec, s[0:1]
	s_cbranch_vccnz .LBB31_644
; %bb.643:
	global_load_dword v3, v[1:2], off
	s_waitcnt vmcnt(0)
	v_cvt_i16_f16_e32 v3, v3
.LBB31_644:
	s_mov_b64 s[0:1], 0
.LBB31_645:
	s_andn2_b64 vcc, exec, s[0:1]
	s_cbranch_vccnz .LBB31_656
; %bb.646:
	s_cmp_lt_i32 s10, 6
	s_cbranch_scc1 .LBB31_649
; %bb.647:
	s_cmp_gt_i32 s10, 6
	s_cbranch_scc0 .LBB31_650
; %bb.648:
	global_load_dwordx2 v[3:4], v[1:2], off
	s_mov_b64 s[0:1], 0
	s_waitcnt vmcnt(0)
	v_cvt_i32_f64_e32 v3, v[3:4]
	s_branch .LBB31_651
.LBB31_649:
	s_mov_b64 s[0:1], -1
                                        ; implicit-def: $vgpr3
	s_branch .LBB31_654
.LBB31_650:
	s_mov_b64 s[0:1], -1
                                        ; implicit-def: $vgpr3
.LBB31_651:
	s_andn2_b64 vcc, exec, s[0:1]
	s_cbranch_vccnz .LBB31_653
; %bb.652:
	global_load_dword v3, v[1:2], off
	s_waitcnt vmcnt(0)
	v_cvt_i32_f32_e32 v3, v3
.LBB31_653:
	s_mov_b64 s[0:1], 0
.LBB31_654:
	s_andn2_b64 vcc, exec, s[0:1]
	s_cbranch_vccnz .LBB31_656
; %bb.655:
	global_load_ushort v3, v[1:2], off
	s_waitcnt vmcnt(0)
	v_cvt_i16_f16_e32 v3, v3
.LBB31_656:
	s_mov_b64 s[0:1], 0
.LBB31_657:
	s_andn2_b64 vcc, exec, s[0:1]
	s_cbranch_vccnz .LBB31_677
; %bb.658:
	s_cmp_lt_i32 s10, 2
	s_cbranch_scc1 .LBB31_662
; %bb.659:
	s_cmp_lt_i32 s10, 3
	s_cbranch_scc1 .LBB31_663
; %bb.660:
	s_cmp_gt_i32 s10, 3
	s_cbranch_scc0 .LBB31_664
; %bb.661:
	global_load_dwordx2 v[3:4], v[1:2], off
	s_mov_b64 s[0:1], 0
	s_branch .LBB31_665
.LBB31_662:
	s_mov_b64 s[0:1], -1
                                        ; implicit-def: $vgpr3
	s_branch .LBB31_671
.LBB31_663:
	s_mov_b64 s[0:1], -1
                                        ; implicit-def: $vgpr3
	s_branch .LBB31_668
.LBB31_664:
	s_mov_b64 s[0:1], -1
                                        ; implicit-def: $vgpr3
.LBB31_665:
	s_andn2_b64 vcc, exec, s[0:1]
	s_cbranch_vccnz .LBB31_667
; %bb.666:
	global_load_dword v3, v[1:2], off
.LBB31_667:
	s_mov_b64 s[0:1], 0
.LBB31_668:
	s_andn2_b64 vcc, exec, s[0:1]
	s_cbranch_vccnz .LBB31_670
; %bb.669:
	global_load_ushort v3, v[1:2], off
.LBB31_670:
	s_mov_b64 s[0:1], 0
.LBB31_671:
	s_andn2_b64 vcc, exec, s[0:1]
	s_cbranch_vccnz .LBB31_677
; %bb.672:
	s_cmp_gt_i32 s10, 0
	s_cbranch_scc0 .LBB31_674
; %bb.673:
	global_load_ubyte v3, v[1:2], off
	s_mov_b64 s[0:1], 0
	s_branch .LBB31_675
.LBB31_674:
	s_mov_b64 s[0:1], -1
                                        ; implicit-def: $vgpr3
.LBB31_675:
	s_andn2_b64 vcc, exec, s[0:1]
	s_cbranch_vccnz .LBB31_677
; %bb.676:
	global_load_ubyte v3, v[1:2], off
.LBB31_677:
	s_mov_b64 s[0:1], -1
.LBB31_678:
	s_andn2_b64 vcc, exec, s[0:1]
	s_cbranch_vccnz .LBB31_686
; %bb.679:
	s_and_b32 s0, s45, 0xff
	s_waitcnt vmcnt(0)
	v_cmp_ne_u16_sdwa s[0:1], s0, v3 src0_sel:DWORD src1_sel:BYTE_0
	s_xor_b64 s[8:9], s[46:47], s[0:1]
	v_mov_b32_e32 v1, s25
	s_and_b32 s16, s77, 0xff
	v_add_co_u32_e32 v0, vcc, s24, v0
	s_cmp_lt_i32 s16, 11
	v_addc_co_u32_e32 v1, vcc, 0, v1, vcc
	s_cbranch_scc1 .LBB31_687
; %bb.680:
	s_and_b32 s17, 0xffff, s16
	s_cmp_gt_i32 s17, 25
	s_cbranch_scc0 .LBB31_688
; %bb.681:
	s_cmp_gt_i32 s17, 28
	s_cbranch_scc0 .LBB31_689
; %bb.682:
	;; [unrolled: 3-line block ×4, first 2 shown]
	s_mov_b64 s[12:13], 0
	s_mov_b64 s[0:1], -1
	s_cmp_eq_u32 s17, 46
	s_mov_b64 s[10:11], 0
	s_cbranch_scc0 .LBB31_692
; %bb.685:
	v_cndmask_b32_e64 v2, 0, 1.0, s[8:9]
	v_bfe_u32 v3, v2, 16, 1
	s_movk_i32 s0, 0x7fff
	v_add3_u32 v2, v2, v3, s0
	v_lshrrev_b32_e32 v2, 16, v2
	global_store_dword v[0:1], v2, off
	s_mov_b64 s[10:11], -1
	s_mov_b64 s[0:1], 0
	s_branch .LBB31_692
.LBB31_686:
	s_mov_b64 s[8:9], 0
	s_mov_b64 s[0:1], s[64:65]
	s_branch .LBB31_803
.LBB31_687:
	s_mov_b64 s[12:13], -1
	s_mov_b64 s[10:11], 0
	s_mov_b64 s[0:1], s[64:65]
	s_branch .LBB31_761
.LBB31_688:
	s_mov_b64 s[12:13], -1
	s_mov_b64 s[10:11], 0
	s_mov_b64 s[0:1], s[64:65]
	s_branch .LBB31_719
.LBB31_689:
	s_mov_b64 s[12:13], -1
	s_mov_b64 s[10:11], 0
	s_mov_b64 s[0:1], s[64:65]
	s_branch .LBB31_702
.LBB31_690:
	s_mov_b64 s[12:13], -1
	s_mov_b64 s[10:11], 0
	s_mov_b64 s[0:1], s[64:65]
	s_branch .LBB31_698
.LBB31_691:
	s_mov_b64 s[12:13], -1
	s_mov_b64 s[10:11], 0
	s_mov_b64 s[0:1], s[64:65]
.LBB31_692:
	s_and_b64 vcc, exec, s[12:13]
	s_cbranch_vccz .LBB31_697
; %bb.693:
	s_cmp_eq_u32 s17, 44
	s_mov_b64 s[0:1], -1
	s_cbranch_scc0 .LBB31_697
; %bb.694:
	v_cndmask_b32_e64 v3, 0, 1.0, s[8:9]
	v_lshrrev_b32_e32 v2, 23, v3
	s_movk_i32 s0, 0xff
	v_cmp_ne_u32_e32 vcc, s0, v2
	v_mov_b32_e32 v4, 0xff
	s_and_saveexec_b64 s[10:11], vcc
; %bb.695:
	s_mov_b32 s0, 0x3fffff
	v_and_b32_e32 v4, 0x400000, v3
	v_and_or_b32 v3, v3, s0, v2
	v_cmp_ne_u32_e32 vcc, 0, v4
	v_cmp_ne_u32_e64 s[0:1], 0, v3
	s_and_b64 s[0:1], vcc, s[0:1]
	v_cndmask_b32_e64 v3, 0, 1, s[0:1]
	v_add_u32_e32 v4, v2, v3
; %bb.696:
	s_or_b64 exec, exec, s[10:11]
	s_mov_b64 s[10:11], -1
	s_mov_b64 s[0:1], 0
	global_store_byte v[0:1], v4, off
.LBB31_697:
	s_mov_b64 s[12:13], 0
.LBB31_698:
	s_and_b64 vcc, exec, s[12:13]
	s_cbranch_vccz .LBB31_701
; %bb.699:
	s_cmp_eq_u32 s17, 29
	s_mov_b64 s[0:1], -1
	s_cbranch_scc0 .LBB31_701
; %bb.700:
	s_mov_b32 s0, 0
	v_cndmask_b32_e64 v2, 0, 1, s[8:9]
	v_mov_b32_e32 v3, s0
	global_store_dwordx2 v[0:1], v[2:3], off
	s_mov_b64 s[10:11], -1
	s_mov_b64 s[0:1], 0
.LBB31_701:
	s_mov_b64 s[12:13], 0
.LBB31_702:
	s_and_b64 vcc, exec, s[12:13]
	s_cbranch_vccz .LBB31_718
; %bb.703:
	s_cmp_lt_i32 s17, 27
	s_mov_b64 s[10:11], -1
	s_cbranch_scc1 .LBB31_709
; %bb.704:
	s_cmp_gt_i32 s17, 27
	s_cbranch_scc0 .LBB31_706
; %bb.705:
	v_cndmask_b32_e64 v2, 0, 1, s[8:9]
	s_mov_b64 s[10:11], 0
	global_store_dword v[0:1], v2, off
.LBB31_706:
	s_andn2_b64 vcc, exec, s[10:11]
	s_cbranch_vccnz .LBB31_708
; %bb.707:
	v_cndmask_b32_e64 v2, 0, 1, s[8:9]
	global_store_short v[0:1], v2, off
.LBB31_708:
	s_mov_b64 s[10:11], 0
.LBB31_709:
	s_andn2_b64 vcc, exec, s[10:11]
	s_cbranch_vccnz .LBB31_717
; %bb.710:
	v_cndmask_b32_e64 v3, 0, 1.0, s[8:9]
	s_mov_b32 s10, 0x43800000
	v_cmp_gt_u32_e32 vcc, s10, v3
	v_mov_b32_e32 v4, 0x80
	s_and_saveexec_b64 s[10:11], vcc
	s_cbranch_execz .LBB31_716
; %bb.711:
	s_mov_b32 s12, 0x3bffffff
	v_cmp_lt_u32_e32 vcc, s12, v3
	s_mov_b64 s[12:13], 0
                                        ; implicit-def: $vgpr2
	s_and_saveexec_b64 s[14:15], vcc
	s_xor_b64 s[14:15], exec, s[14:15]
	s_cbranch_execz .LBB31_833
; %bb.712:
	v_bfe_u32 v2, v3, 20, 1
	s_mov_b32 s18, 0x487ffff
	v_add3_u32 v2, v3, v2, s18
	s_mov_b64 s[12:13], exec
	v_lshrrev_b32_e32 v2, 20, v2
                                        ; implicit-def: $vgpr3
	s_andn2_saveexec_b64 s[14:15], s[14:15]
	s_cbranch_execnz .LBB31_834
.LBB31_713:
	s_or_b64 exec, exec, s[14:15]
	v_mov_b32_e32 v4, 0
	s_and_saveexec_b64 s[14:15], s[12:13]
.LBB31_714:
	v_mov_b32_e32 v4, v2
.LBB31_715:
	s_or_b64 exec, exec, s[14:15]
.LBB31_716:
	s_or_b64 exec, exec, s[10:11]
	global_store_byte v[0:1], v4, off
.LBB31_717:
	s_mov_b64 s[10:11], -1
.LBB31_718:
	s_mov_b64 s[12:13], 0
.LBB31_719:
	s_and_b64 vcc, exec, s[12:13]
	s_cbranch_vccz .LBB31_760
; %bb.720:
	s_cmp_gt_i32 s17, 22
	s_mov_b64 s[12:13], -1
	s_cbranch_scc0 .LBB31_752
; %bb.721:
	s_cmp_lt_i32 s17, 24
	s_mov_b64 s[10:11], -1
	s_cbranch_scc1 .LBB31_741
; %bb.722:
	s_cmp_gt_i32 s17, 24
	s_cbranch_scc0 .LBB31_730
; %bb.723:
	v_cndmask_b32_e64 v3, 0, 1.0, s[8:9]
	s_mov_b32 s10, 0x47800000
	v_cmp_gt_u32_e32 vcc, s10, v3
	v_mov_b32_e32 v4, 0x80
	s_and_saveexec_b64 s[10:11], vcc
	s_cbranch_execz .LBB31_729
; %bb.724:
	s_mov_b32 s12, 0x37ffffff
	v_cmp_lt_u32_e32 vcc, s12, v3
	s_mov_b64 s[12:13], 0
                                        ; implicit-def: $vgpr2
	s_and_saveexec_b64 s[14:15], vcc
	s_xor_b64 s[14:15], exec, s[14:15]
	s_cbranch_execz .LBB31_836
; %bb.725:
	v_bfe_u32 v2, v3, 21, 1
	s_mov_b32 s18, 0x88fffff
	v_add3_u32 v2, v3, v2, s18
	s_mov_b64 s[12:13], exec
	v_lshrrev_b32_e32 v2, 21, v2
                                        ; implicit-def: $vgpr3
	s_andn2_saveexec_b64 s[14:15], s[14:15]
	s_cbranch_execnz .LBB31_837
.LBB31_726:
	s_or_b64 exec, exec, s[14:15]
	v_mov_b32_e32 v4, 0
	s_and_saveexec_b64 s[14:15], s[12:13]
.LBB31_727:
	v_mov_b32_e32 v4, v2
.LBB31_728:
	s_or_b64 exec, exec, s[14:15]
.LBB31_729:
	s_or_b64 exec, exec, s[10:11]
	s_mov_b64 s[10:11], 0
	global_store_byte v[0:1], v4, off
.LBB31_730:
	s_and_b64 vcc, exec, s[10:11]
	s_cbranch_vccz .LBB31_740
; %bb.731:
	v_cndmask_b32_e64 v2, 0, 1.0, s[8:9]
	s_mov_b32 s10, 0x43f00000
	v_cmp_gt_u32_e32 vcc, s10, v2
                                        ; implicit-def: $vgpr3
	s_and_saveexec_b64 s[10:11], vcc
	s_xor_b64 s[10:11], exec, s[10:11]
	s_cbranch_execz .LBB31_737
; %bb.732:
	s_mov_b32 s12, 0x3c7fffff
	v_cmp_lt_u32_e32 vcc, s12, v2
                                        ; implicit-def: $vgpr3
	s_and_saveexec_b64 s[12:13], vcc
	s_xor_b64 s[12:13], exec, s[12:13]
; %bb.733:
	v_bfe_u32 v3, v2, 20, 1
	s_mov_b32 s14, 0x407ffff
	v_add3_u32 v2, v2, v3, s14
	v_lshrrev_b32_e32 v3, 20, v2
	v_and_b32_e32 v2, 0xff00000, v2
	s_mov_b32 s14, 0x7f00000
	v_mov_b32_e32 v4, 0x7e
	v_cmp_ne_u32_e32 vcc, s14, v2
	v_cndmask_b32_e32 v3, v4, v3, vcc
                                        ; implicit-def: $vgpr2
; %bb.734:
	s_andn2_saveexec_b64 s[12:13], s[12:13]
; %bb.735:
	v_add_f32_e32 v3, 0x46800000, v2
; %bb.736:
	s_or_b64 exec, exec, s[12:13]
                                        ; implicit-def: $vgpr2
.LBB31_737:
	s_andn2_saveexec_b64 s[10:11], s[10:11]
; %bb.738:
	s_mov_b32 s12, 0x7f800000
	v_mov_b32_e32 v3, 0x7e
	v_mov_b32_e32 v4, 0x7f
	v_cmp_lt_u32_e32 vcc, s12, v2
	v_cndmask_b32_e32 v3, v3, v4, vcc
; %bb.739:
	s_or_b64 exec, exec, s[10:11]
	global_store_byte v[0:1], v3, off
.LBB31_740:
	s_mov_b64 s[10:11], 0
.LBB31_741:
	s_andn2_b64 vcc, exec, s[10:11]
	s_cbranch_vccnz .LBB31_751
; %bb.742:
	v_cndmask_b32_e64 v2, 0, 1.0, s[8:9]
	s_mov_b32 s10, 0x47800000
	v_cmp_gt_u32_e32 vcc, s10, v2
                                        ; implicit-def: $vgpr3
	s_and_saveexec_b64 s[10:11], vcc
	s_xor_b64 s[10:11], exec, s[10:11]
	s_cbranch_execz .LBB31_748
; %bb.743:
	s_mov_b32 s12, 0x387fffff
	v_cmp_lt_u32_e32 vcc, s12, v2
                                        ; implicit-def: $vgpr3
	s_and_saveexec_b64 s[12:13], vcc
	s_xor_b64 s[12:13], exec, s[12:13]
; %bb.744:
	v_bfe_u32 v3, v2, 21, 1
	s_mov_b32 s14, 0x80fffff
	v_add3_u32 v2, v2, v3, s14
	v_lshrrev_b32_e32 v3, 21, v2
                                        ; implicit-def: $vgpr2
; %bb.745:
	s_andn2_saveexec_b64 s[12:13], s[12:13]
; %bb.746:
	v_add_f32_e32 v3, 0x43000000, v2
; %bb.747:
	s_or_b64 exec, exec, s[12:13]
                                        ; implicit-def: $vgpr2
.LBB31_748:
	s_andn2_saveexec_b64 s[10:11], s[10:11]
; %bb.749:
	s_mov_b32 s12, 0x7f800000
	v_mov_b32_e32 v3, 0x7c
	v_mov_b32_e32 v4, 0x7f
	v_cmp_lt_u32_e32 vcc, s12, v2
	v_cndmask_b32_e32 v3, v3, v4, vcc
; %bb.750:
	s_or_b64 exec, exec, s[10:11]
	global_store_byte v[0:1], v3, off
.LBB31_751:
	s_mov_b64 s[12:13], 0
	s_mov_b64 s[10:11], -1
.LBB31_752:
	s_andn2_b64 vcc, exec, s[12:13]
	s_cbranch_vccnz .LBB31_760
; %bb.753:
	s_cmp_gt_i32 s17, 14
	s_mov_b64 s[12:13], -1
	s_cbranch_scc0 .LBB31_757
; %bb.754:
	s_cmp_eq_u32 s17, 15
	s_mov_b64 s[0:1], -1
	s_cbranch_scc0 .LBB31_756
; %bb.755:
	v_cndmask_b32_e64 v2, 0, 1.0, s[8:9]
	v_bfe_u32 v3, v2, 16, 1
	s_movk_i32 s0, 0x7fff
	v_add3_u32 v2, v2, v3, s0
	global_store_short_d16_hi v[0:1], v2, off
	s_mov_b64 s[10:11], -1
	s_mov_b64 s[0:1], 0
.LBB31_756:
	s_mov_b64 s[12:13], 0
.LBB31_757:
	s_and_b64 vcc, exec, s[12:13]
	s_cbranch_vccz .LBB31_760
; %bb.758:
	s_cmp_eq_u32 s17, 11
	s_mov_b64 s[0:1], -1
	s_cbranch_scc0 .LBB31_760
; %bb.759:
	v_cndmask_b32_e64 v2, 0, 1, s[8:9]
	s_mov_b64 s[10:11], -1
	s_mov_b64 s[0:1], 0
	global_store_byte v[0:1], v2, off
.LBB31_760:
	s_mov_b64 s[12:13], 0
.LBB31_761:
	s_and_b64 vcc, exec, s[12:13]
	s_cbranch_vccz .LBB31_800
; %bb.762:
	s_and_b32 s12, 0xffff, s16
	s_cmp_lt_i32 s12, 5
	s_mov_b64 s[10:11], -1
	s_cbranch_scc1 .LBB31_783
; %bb.763:
	s_cmp_lt_i32 s12, 8
	s_cbranch_scc1 .LBB31_773
; %bb.764:
	s_cmp_lt_i32 s12, 9
	s_cbranch_scc1 .LBB31_770
; %bb.765:
	s_cmp_gt_i32 s12, 9
	s_cbranch_scc0 .LBB31_767
; %bb.766:
	v_cndmask_b32_e64 v2, 0, 1, s[8:9]
	v_cvt_f64_u32_e32 v[2:3], v2
	v_mov_b32_e32 v4, 0
	v_mov_b32_e32 v5, v4
	s_mov_b64 s[10:11], 0
	global_store_dwordx4 v[0:1], v[2:5], off
.LBB31_767:
	s_andn2_b64 vcc, exec, s[10:11]
	s_cbranch_vccnz .LBB31_769
; %bb.768:
	v_cndmask_b32_e64 v2, 0, 1.0, s[8:9]
	v_mov_b32_e32 v3, 0
	global_store_dwordx2 v[0:1], v[2:3], off
.LBB31_769:
	s_mov_b64 s[10:11], 0
.LBB31_770:
	s_andn2_b64 vcc, exec, s[10:11]
	s_cbranch_vccnz .LBB31_772
; %bb.771:
	v_cndmask_b32_e64 v2, 0, 1.0, s[8:9]
	v_cvt_f16_f32_e32 v2, v2
	global_store_dword v[0:1], v2, off
.LBB31_772:
	s_mov_b64 s[10:11], 0
.LBB31_773:
	s_andn2_b64 vcc, exec, s[10:11]
	s_cbranch_vccnz .LBB31_782
; %bb.774:
	s_cmp_lt_i32 s12, 6
	s_mov_b64 s[10:11], -1
	s_cbranch_scc1 .LBB31_780
; %bb.775:
	s_cmp_gt_i32 s12, 6
	s_cbranch_scc0 .LBB31_777
; %bb.776:
	v_cndmask_b32_e64 v2, 0, 1, s[8:9]
	v_cvt_f64_u32_e32 v[2:3], v2
	s_mov_b64 s[10:11], 0
	global_store_dwordx2 v[0:1], v[2:3], off
.LBB31_777:
	s_andn2_b64 vcc, exec, s[10:11]
	s_cbranch_vccnz .LBB31_779
; %bb.778:
	v_cndmask_b32_e64 v2, 0, 1.0, s[8:9]
	global_store_dword v[0:1], v2, off
.LBB31_779:
	s_mov_b64 s[10:11], 0
.LBB31_780:
	s_andn2_b64 vcc, exec, s[10:11]
	s_cbranch_vccnz .LBB31_782
; %bb.781:
	v_cndmask_b32_e64 v2, 0, 1.0, s[8:9]
	v_cvt_f16_f32_e32 v2, v2
	global_store_short v[0:1], v2, off
.LBB31_782:
	s_mov_b64 s[10:11], 0
.LBB31_783:
	s_andn2_b64 vcc, exec, s[10:11]
	s_cbranch_vccnz .LBB31_799
; %bb.784:
	s_cmp_lt_i32 s12, 2
	s_mov_b64 s[10:11], -1
	s_cbranch_scc1 .LBB31_794
; %bb.785:
	s_cmp_lt_i32 s12, 3
	s_cbranch_scc1 .LBB31_791
; %bb.786:
	s_cmp_gt_i32 s12, 3
	s_cbranch_scc0 .LBB31_788
; %bb.787:
	s_mov_b32 s10, 0
	v_cndmask_b32_e64 v2, 0, 1, s[8:9]
	v_mov_b32_e32 v3, s10
	s_mov_b64 s[10:11], 0
	global_store_dwordx2 v[0:1], v[2:3], off
.LBB31_788:
	s_andn2_b64 vcc, exec, s[10:11]
	s_cbranch_vccnz .LBB31_790
; %bb.789:
	v_cndmask_b32_e64 v2, 0, 1, s[8:9]
	global_store_dword v[0:1], v2, off
.LBB31_790:
	s_mov_b64 s[10:11], 0
.LBB31_791:
	s_andn2_b64 vcc, exec, s[10:11]
	s_cbranch_vccnz .LBB31_793
; %bb.792:
	v_cndmask_b32_e64 v2, 0, 1, s[8:9]
	global_store_short v[0:1], v2, off
.LBB31_793:
	s_mov_b64 s[10:11], 0
.LBB31_794:
	s_andn2_b64 vcc, exec, s[10:11]
	s_cbranch_vccnz .LBB31_799
; %bb.795:
	s_mov_b64 s[10:11], -1
	s_cmp_gt_i32 s12, 0
	v_cndmask_b32_e64 v2, 0, 1, s[8:9]
	s_cbranch_scc0 .LBB31_797
; %bb.796:
	s_mov_b64 s[10:11], 0
	global_store_byte v[0:1], v2, off
.LBB31_797:
	s_andn2_b64 vcc, exec, s[10:11]
	s_cbranch_vccnz .LBB31_799
; %bb.798:
	global_store_byte v[0:1], v2, off
.LBB31_799:
	s_mov_b64 s[10:11], -1
.LBB31_800:
	s_andn2_b64 vcc, exec, s[10:11]
	s_cbranch_vccnz .LBB31_802
; %bb.801:
	v_add_u32_e32 v8, 0x80, v8
	s_mov_b64 s[8:9], -1
	s_branch .LBB31_804
.LBB31_802:
	s_mov_b64 s[8:9], 0
.LBB31_803:
                                        ; implicit-def: $vgpr8
.LBB31_804:
	s_andn2_b64 s[10:11], s[64:65], exec
	s_and_b64 s[0:1], s[0:1], exec
	s_or_b64 s[72:73], s[10:11], s[0:1]
	s_andn2_b64 s[0:1], s[62:63], exec
	s_and_b64 s[2:3], s[2:3], exec
	s_or_b64 s[70:71], s[0:1], s[2:3]
	s_orn2_b64 s[2:3], s[8:9], exec
.LBB31_805:
	s_or_b64 exec, exec, s[68:69]
	s_mov_b64 s[0:1], 0
	s_mov_b64 s[8:9], 0
	;; [unrolled: 1-line block ×3, first 2 shown]
                                        ; implicit-def: $vgpr1_vgpr2
                                        ; implicit-def: $vgpr0
                                        ; implicit-def: $vgpr3
	s_and_saveexec_b64 s[68:69], s[2:3]
	s_cbranch_execz .LBB31_900
; %bb.806:
	v_cmp_gt_i32_e32 vcc, s74, v8
	s_mov_b64 s[2:3], 0
	s_mov_b64 s[12:13], s[70:71]
                                        ; implicit-def: $vgpr1_vgpr2
                                        ; implicit-def: $vgpr0
                                        ; implicit-def: $vgpr3
	s_and_saveexec_b64 s[74:75], vcc
	s_cbranch_execz .LBB31_899
; %bb.807:
	s_andn2_b64 vcc, exec, s[40:41]
	s_cbranch_vccnz .LBB31_812
; %bb.808:
	s_andn2_b64 vcc, exec, s[54:55]
	s_cbranch_vccnz .LBB31_813
; %bb.809:
	s_add_i32 s79, s79, 1
	s_cmp_eq_u32 s76, 2
	s_cbranch_scc1 .LBB31_814
; %bb.810:
	s_and_b32 s44, s79, 28
	v_mov_b32_e32 v2, 0
	s_mov_b32 s80, 0
	s_mov_b64 s[54:55], s[34:35]
	v_mov_b32_e32 v0, 0
	v_mov_b32_e32 v1, v8
.LBB31_811:                             ; =>This Inner Loop Header: Depth=1
	s_load_dwordx8 s[16:23], s[54:55], 0x4
	s_load_dwordx4 s[0:3], s[54:55], 0x24
	s_load_dwordx8 s[8:15], s[52:53], 0x0
	s_add_u32 s54, s54, 48
	s_addc_u32 s55, s55, 0
	s_waitcnt vmcnt(0) lgkmcnt(0)
	v_mul_hi_u32 v3, s17, v1
	s_add_i32 s80, s80, 4
	s_add_u32 s52, s52, 32
	s_addc_u32 s53, s53, 0
	v_add_u32_e32 v3, v1, v3
	v_lshrrev_b32_e32 v3, s18, v3
	v_mul_lo_u32 v4, v3, s16
	v_mul_hi_u32 v5, s20, v3
	s_cmp_eq_u32 s44, s80
	v_sub_u32_e32 v1, v1, v4
	v_add_u32_e32 v4, v3, v5
	v_mul_lo_u32 v5, v1, s8
	v_mul_lo_u32 v6, v1, s9
	v_lshrrev_b32_e32 v1, s21, v4
	v_mul_lo_u32 v4, v1, s19
	v_mul_hi_u32 v7, s23, v1
	v_sub_u32_e32 v3, v3, v4
	v_add_u32_e32 v4, v1, v7
	v_lshrrev_b32_e32 v4, s0, v4
	v_mul_hi_u32 v9, s2, v4
	v_mul_lo_u32 v10, v4, s22
	v_mul_lo_u32 v7, v3, s10
	;; [unrolled: 1-line block ×3, first 2 shown]
	v_sub_u32_e32 v10, v1, v10
	v_add_u32_e32 v1, v4, v9
	v_lshrrev_b32_e32 v1, s3, v1
	v_mul_lo_u32 v9, v1, s1
	v_mul_lo_u32 v11, v10, s12
	;; [unrolled: 1-line block ×3, first 2 shown]
	v_add3_u32 v0, v5, v0, v7
	v_sub_u32_e32 v4, v4, v9
	v_mul_lo_u32 v9, v4, s14
	v_mul_lo_u32 v4, v4, s15
	v_add3_u32 v2, v6, v2, v3
	v_add3_u32 v0, v11, v0, v9
	;; [unrolled: 1-line block ×3, first 2 shown]
	s_cbranch_scc0 .LBB31_811
	s_branch .LBB31_815
.LBB31_812:
	s_mov_b64 s[0:1], -1
                                        ; implicit-def: $vgpr0
                                        ; implicit-def: $vgpr2
	s_branch .LBB31_819
.LBB31_813:
	v_mov_b32_e32 v0, 0
	v_mov_b32_e32 v2, 0
	s_branch .LBB31_818
.LBB31_814:
	s_mov_b32 s44, 0
	v_mov_b32_e32 v0, 0
	v_mov_b32_e32 v2, 0
	;; [unrolled: 1-line block ×3, first 2 shown]
.LBB31_815:
	s_and_b32 s8, s79, 3
	s_cmp_eq_u32 s8, 0
	s_cbranch_scc1 .LBB31_818
; %bb.816:
	s_lshl_b32 s0, s44, 3
	s_add_u32 s0, s34, s0
	s_addc_u32 s1, s35, 0
	s_add_u32 s0, s0, 0xc4
	s_addc_u32 s1, s1, 0
	s_mul_i32 s2, s44, 12
	s_add_u32 s2, s34, s2
	s_addc_u32 s3, s35, 0
.LBB31_817:                             ; =>This Inner Loop Header: Depth=1
	s_load_dwordx2 s[10:11], s[2:3], 0x4
	s_load_dword s9, s[2:3], 0xc
	s_load_dwordx2 s[12:13], s[0:1], 0x0
	s_add_u32 s2, s2, 12
	s_addc_u32 s3, s3, 0
	s_waitcnt vmcnt(0) lgkmcnt(0)
	v_mul_hi_u32 v3, s11, v1
	s_add_u32 s0, s0, 8
	s_addc_u32 s1, s1, 0
	s_add_i32 s8, s8, -1
	v_add_u32_e32 v3, v1, v3
	v_lshrrev_b32_e32 v4, s9, v3
	v_mul_lo_u32 v3, v4, s10
	s_cmp_lg_u32 s8, 0
	v_sub_u32_e32 v3, v1, v3
	v_mad_u64_u32 v[0:1], s[10:11], v3, s12, v[0:1]
	v_mad_u64_u32 v[2:3], s[10:11], v3, s13, v[2:3]
	v_mov_b32_e32 v1, v4
	s_cbranch_scc1 .LBB31_817
.LBB31_818:
	s_mov_b64 s[0:1], 0
.LBB31_819:
	s_andn2_b64 vcc, exec, s[0:1]
	s_cbranch_vccnz .LBB31_822
; %bb.820:
	v_mul_hi_u32 v0, s29, v8
	s_andn2_b64 vcc, exec, s[50:51]
	v_add_u32_e32 v0, v8, v0
	v_lshrrev_b32_e32 v1, s30, v0
	v_mul_lo_u32 v0, v1, s28
	v_sub_u32_e32 v2, v8, v0
	v_mul_lo_u32 v0, v2, s36
	v_mul_lo_u32 v2, v2, s37
	s_cbranch_vccnz .LBB31_822
; %bb.821:
	s_waitcnt vmcnt(0)
	v_mul_hi_u32 v3, s48, v1
	v_add_u32_e32 v3, v1, v3
	v_lshrrev_b32_e32 v3, s49, v3
	v_mul_lo_u32 v3, v3, s31
	v_sub_u32_e32 v3, v1, v3
	v_mad_u64_u32 v[0:1], s[0:1], v3, s38, v[0:1]
	v_mad_u64_u32 v[2:3], s[0:1], v3, s39, v[2:3]
.LBB31_822:
	s_waitcnt vmcnt(0)
	v_mov_b32_e32 v3, s27
	s_and_b32 s12, 0xffff, s78
	v_add_co_u32_e32 v1, vcc, s26, v2
	s_cmp_lt_i32 s12, 11
	v_addc_co_u32_e32 v2, vcc, 0, v3, vcc
	s_cbranch_scc1 .LBB31_829
; %bb.823:
	s_cmp_gt_i32 s12, 25
	s_mov_b64 s[2:3], 0
	s_cbranch_scc0 .LBB31_830
; %bb.824:
	s_cmp_gt_i32 s12, 28
	s_cbranch_scc0 .LBB31_831
; %bb.825:
	s_cmp_gt_i32 s12, 43
	;; [unrolled: 3-line block ×3, first 2 shown]
	s_cbranch_scc0 .LBB31_835
; %bb.827:
	s_cmp_eq_u32 s12, 46
	s_mov_b64 s[10:11], 0
	s_cbranch_scc0 .LBB31_838
; %bb.828:
	global_load_dword v3, v[1:2], off
	s_mov_b64 s[0:1], 0
	s_mov_b64 s[8:9], -1
	s_waitcnt vmcnt(0)
	v_lshlrev_b32_e32 v3, 16, v3
	v_cvt_i32_f32_e32 v3, v3
	s_branch .LBB31_839
.LBB31_829:
	s_mov_b64 s[12:13], -1
	s_mov_b64 s[8:9], 0
	s_mov_b64 s[2:3], 0
	;; [unrolled: 1-line block ×3, first 2 shown]
                                        ; implicit-def: $vgpr3
	s_branch .LBB31_898
.LBB31_830:
	s_mov_b64 s[10:11], -1
	s_mov_b64 s[8:9], 0
	s_mov_b64 s[0:1], s[70:71]
                                        ; implicit-def: $vgpr3
	s_branch .LBB31_866
.LBB31_831:
	s_mov_b64 s[10:11], -1
	s_mov_b64 s[8:9], 0
	s_mov_b64 s[0:1], s[70:71]
                                        ; implicit-def: $vgpr3
	s_branch .LBB31_849
.LBB31_832:
	s_mov_b64 s[10:11], -1
	s_mov_b64 s[8:9], 0
	s_mov_b64 s[0:1], s[70:71]
                                        ; implicit-def: $vgpr3
	s_branch .LBB31_844
.LBB31_833:
	s_andn2_saveexec_b64 s[14:15], s[14:15]
	s_cbranch_execz .LBB31_713
.LBB31_834:
	v_add_f32_e32 v2, 0x46000000, v3
	v_and_b32_e32 v2, 0xff, v2
	v_cmp_ne_u32_e32 vcc, 0, v2
	s_andn2_b64 s[12:13], s[12:13], exec
	s_and_b64 s[18:19], vcc, exec
	s_or_b64 s[12:13], s[12:13], s[18:19]
	s_or_b64 exec, exec, s[14:15]
	v_mov_b32_e32 v4, 0
	s_and_saveexec_b64 s[14:15], s[12:13]
	s_cbranch_execnz .LBB31_714
	s_branch .LBB31_715
.LBB31_835:
	s_mov_b64 s[10:11], -1
	s_mov_b64 s[8:9], 0
	s_mov_b64 s[0:1], s[70:71]
                                        ; implicit-def: $vgpr3
	s_branch .LBB31_839
.LBB31_836:
	s_andn2_saveexec_b64 s[14:15], s[14:15]
	s_cbranch_execz .LBB31_726
.LBB31_837:
	v_add_f32_e32 v2, 0x42800000, v3
	v_and_b32_e32 v2, 0xff, v2
	v_cmp_ne_u32_e32 vcc, 0, v2
	s_andn2_b64 s[12:13], s[12:13], exec
	s_and_b64 s[18:19], vcc, exec
	s_or_b64 s[12:13], s[12:13], s[18:19]
	s_or_b64 exec, exec, s[14:15]
	v_mov_b32_e32 v4, 0
	s_and_saveexec_b64 s[14:15], s[12:13]
	s_cbranch_execnz .LBB31_727
	s_branch .LBB31_728
.LBB31_838:
	s_mov_b64 s[0:1], -1
                                        ; implicit-def: $vgpr3
	s_mov_b64 s[8:9], 0
.LBB31_839:
	s_and_b64 vcc, exec, s[10:11]
	s_cbranch_vccz .LBB31_843
; %bb.840:
	s_cmp_eq_u32 s12, 44
	s_cbranch_scc0 .LBB31_842
; %bb.841:
	global_load_ubyte v3, v[1:2], off
	s_mov_b64 s[0:1], 0
	s_mov_b64 s[8:9], -1
	s_waitcnt vmcnt(0)
	v_lshlrev_b32_e32 v4, 23, v3
	v_cvt_i32_f32_e32 v4, v4
	v_cmp_ne_u32_e32 vcc, 0, v3
	v_cndmask_b32_e32 v3, 0, v4, vcc
	s_branch .LBB31_843
.LBB31_842:
	s_mov_b64 s[0:1], -1
                                        ; implicit-def: $vgpr3
.LBB31_843:
	s_mov_b64 s[10:11], 0
.LBB31_844:
	s_and_b64 vcc, exec, s[10:11]
	s_cbranch_vccz .LBB31_848
; %bb.845:
	s_cmp_eq_u32 s12, 29
	s_cbranch_scc0 .LBB31_847
; %bb.846:
	global_load_dwordx2 v[3:4], v[1:2], off
	s_mov_b64 s[0:1], 0
	s_mov_b64 s[8:9], -1
	s_branch .LBB31_848
.LBB31_847:
	s_mov_b64 s[0:1], -1
                                        ; implicit-def: $vgpr3
.LBB31_848:
	s_mov_b64 s[10:11], 0
.LBB31_849:
	s_and_b64 vcc, exec, s[10:11]
	s_cbranch_vccz .LBB31_865
; %bb.850:
	s_cmp_lt_i32 s12, 27
	s_cbranch_scc1 .LBB31_853
; %bb.851:
	s_cmp_gt_i32 s12, 27
	s_cbranch_scc0 .LBB31_854
; %bb.852:
	global_load_dword v3, v[1:2], off
	s_mov_b64 s[8:9], 0
	s_branch .LBB31_855
.LBB31_853:
	s_mov_b64 s[8:9], -1
                                        ; implicit-def: $vgpr3
	s_branch .LBB31_858
.LBB31_854:
	s_mov_b64 s[8:9], -1
                                        ; implicit-def: $vgpr3
.LBB31_855:
	s_andn2_b64 vcc, exec, s[8:9]
	s_cbranch_vccnz .LBB31_857
; %bb.856:
	global_load_ushort v3, v[1:2], off
.LBB31_857:
	s_mov_b64 s[8:9], 0
.LBB31_858:
	s_andn2_b64 vcc, exec, s[8:9]
	s_cbranch_vccnz .LBB31_864
; %bb.859:
	global_load_ubyte v4, v[1:2], off
	s_movk_i32 s8, 0x7f
	s_mov_b64 s[10:11], 0
	s_waitcnt vmcnt(0)
	v_cmp_lt_i16_e32 vcc, s8, v4
	s_and_saveexec_b64 s[8:9], vcc
	s_xor_b64 s[8:9], exec, s[8:9]
	s_cbranch_execz .LBB31_876
; %bb.860:
	s_movk_i32 s10, 0x80
	v_cmp_ne_u16_e32 vcc, s10, v4
	s_and_b64 s[10:11], vcc, exec
	s_andn2_saveexec_b64 s[8:9], s[8:9]
	s_cbranch_execnz .LBB31_877
.LBB31_861:
	s_or_b64 exec, exec, s[8:9]
	v_mov_b32_e32 v3, 0
	s_and_saveexec_b64 s[8:9], s[10:11]
	s_cbranch_execz .LBB31_863
.LBB31_862:
	v_lshlrev_b32_e32 v3, 24, v4
	v_and_b32_e32 v4, 0xffff, v4
	v_and_b32_e32 v5, 7, v4
	v_ffbh_u32_e32 v7, v5
	v_min_u32_e32 v7, 32, v7
	v_subrev_u32_e32 v8, 28, v7
	v_bfe_u32 v6, v4, 3, 4
	v_lshlrev_b32_e32 v4, v8, v4
	v_sub_u32_e32 v7, 29, v7
	v_and_b32_e32 v4, 7, v4
	v_cmp_eq_u32_e32 vcc, 0, v6
	v_cndmask_b32_e32 v6, v6, v7, vcc
	v_cndmask_b32_e32 v4, v5, v4, vcc
	v_mov_b32_e32 v5, 0x3b800000
	v_lshlrev_b32_e32 v4, 20, v4
	v_and_b32_e32 v3, 0x80000000, v3
	v_lshl_add_u32 v5, v6, 23, v5
	v_or3_b32 v3, v3, v5, v4
	v_cvt_i32_f32_e32 v3, v3
.LBB31_863:
	s_or_b64 exec, exec, s[8:9]
.LBB31_864:
	s_mov_b64 s[8:9], -1
.LBB31_865:
	s_mov_b64 s[10:11], 0
.LBB31_866:
	s_and_b64 vcc, exec, s[10:11]
	s_cbranch_vccz .LBB31_897
; %bb.867:
	s_cmp_gt_i32 s12, 22
	s_cbranch_scc0 .LBB31_875
; %bb.868:
	s_cmp_lt_i32 s12, 24
	s_cbranch_scc1 .LBB31_878
; %bb.869:
	s_cmp_gt_i32 s12, 24
	s_cbranch_scc0 .LBB31_879
; %bb.870:
	global_load_ubyte v4, v[1:2], off
	s_movk_i32 s2, 0x7f
	s_mov_b64 s[8:9], 0
	s_waitcnt vmcnt(0)
	v_cmp_lt_i16_e32 vcc, s2, v4
	s_and_saveexec_b64 s[2:3], vcc
	s_xor_b64 s[2:3], exec, s[2:3]
	s_cbranch_execz .LBB31_891
; %bb.871:
	s_movk_i32 s8, 0x80
	v_cmp_ne_u16_e32 vcc, s8, v4
	s_and_b64 s[8:9], vcc, exec
	s_andn2_saveexec_b64 s[2:3], s[2:3]
	s_cbranch_execnz .LBB31_892
.LBB31_872:
	s_or_b64 exec, exec, s[2:3]
	v_mov_b32_e32 v3, 0
	s_and_saveexec_b64 s[2:3], s[8:9]
	s_cbranch_execz .LBB31_874
.LBB31_873:
	v_lshlrev_b32_e32 v3, 24, v4
	v_and_b32_e32 v4, 0xffff, v4
	v_and_b32_e32 v5, 3, v4
	v_ffbh_u32_e32 v7, v5
	v_min_u32_e32 v7, 32, v7
	v_subrev_u32_e32 v8, 29, v7
	v_bfe_u32 v6, v4, 2, 5
	v_lshlrev_b32_e32 v4, v8, v4
	v_sub_u32_e32 v7, 30, v7
	v_and_b32_e32 v4, 3, v4
	v_cmp_eq_u32_e32 vcc, 0, v6
	v_cndmask_b32_e32 v6, v6, v7, vcc
	v_cndmask_b32_e32 v4, v5, v4, vcc
	v_mov_b32_e32 v5, 0x37800000
	v_lshlrev_b32_e32 v4, 21, v4
	v_and_b32_e32 v3, 0x80000000, v3
	v_lshl_add_u32 v5, v6, 23, v5
	v_or3_b32 v3, v3, v5, v4
	v_cvt_i32_f32_e32 v3, v3
.LBB31_874:
	s_or_b64 exec, exec, s[2:3]
	s_mov_b64 s[2:3], 0
	s_branch .LBB31_880
.LBB31_875:
	s_mov_b64 s[2:3], -1
                                        ; implicit-def: $vgpr3
	s_branch .LBB31_886
.LBB31_876:
	s_andn2_saveexec_b64 s[8:9], s[8:9]
	s_cbranch_execz .LBB31_861
.LBB31_877:
	v_cmp_ne_u16_e32 vcc, 0, v4
	s_andn2_b64 s[10:11], s[10:11], exec
	s_and_b64 s[14:15], vcc, exec
	s_or_b64 s[10:11], s[10:11], s[14:15]
	s_or_b64 exec, exec, s[8:9]
	v_mov_b32_e32 v3, 0
	s_and_saveexec_b64 s[8:9], s[10:11]
	s_cbranch_execnz .LBB31_862
	s_branch .LBB31_863
.LBB31_878:
	s_mov_b64 s[2:3], -1
                                        ; implicit-def: $vgpr3
	s_branch .LBB31_883
.LBB31_879:
	s_mov_b64 s[2:3], -1
                                        ; implicit-def: $vgpr3
.LBB31_880:
	s_and_b64 vcc, exec, s[2:3]
	s_cbranch_vccz .LBB31_882
; %bb.881:
	global_load_ubyte v3, v[1:2], off
	s_mov_b32 s2, 0x7f800000
	s_waitcnt vmcnt(0)
	v_lshlrev_b32_e32 v3, 24, v3
	v_and_b32_e32 v4, 0x7f000000, v3
	v_ffbh_u32_e32 v5, v4
	v_min_u32_e32 v5, 32, v5
	v_sub_u32_e64 v5, v5, 4 clamp
	v_lshlrev_b32_e32 v7, v5, v4
	v_lshlrev_b32_e32 v5, 23, v5
	v_lshrrev_b32_e32 v7, 4, v7
	v_add_u32_e32 v6, 0x1000000, v4
	v_sub_u32_e32 v5, v7, v5
	v_ashrrev_i32_e32 v6, 8, v6
	v_add_u32_e32 v5, 0x3c000000, v5
	v_and_or_b32 v5, v6, s2, v5
	v_cmp_ne_u32_e32 vcc, 0, v4
	v_cndmask_b32_e32 v4, 0, v5, vcc
	s_brev_b32 s2, 1
	v_and_or_b32 v3, v3, s2, v4
	v_cvt_i32_f32_e32 v3, v3
.LBB31_882:
	s_mov_b64 s[2:3], 0
.LBB31_883:
	s_andn2_b64 vcc, exec, s[2:3]
	s_cbranch_vccnz .LBB31_885
; %bb.884:
	global_load_ubyte v3, v[1:2], off
	s_movk_i32 s2, 0x7f00
	s_brev_b32 s3, 16
	s_waitcnt vmcnt(0)
	v_lshlrev_b16_e32 v4, 8, v3
	v_lshlrev_b32_e32 v3, 25, v3
	v_lshrrev_b32_e32 v5, 4, v3
	v_and_or_b32 v6, v4, s2, 0.5
	v_or_b32_e32 v5, 0x70000000, v5
	v_add_f32_e32 v6, -0.5, v6
	v_mul_f32_e32 v5, 0x7800000, v5
	v_cmp_gt_u32_e32 vcc, s3, v3
	v_bfe_i32 v4, v4, 0, 16
	v_cndmask_b32_e32 v3, v5, v6, vcc
	s_brev_b32 s2, 1
	v_and_or_b32 v3, v4, s2, v3
	v_cvt_i32_f32_e32 v3, v3
.LBB31_885:
	s_mov_b64 s[2:3], 0
	s_mov_b64 s[8:9], -1
.LBB31_886:
	s_andn2_b64 vcc, exec, s[2:3]
	s_mov_b64 s[2:3], 0
	s_cbranch_vccnz .LBB31_897
; %bb.887:
	s_cmp_gt_i32 s12, 14
	s_cbranch_scc0 .LBB31_890
; %bb.888:
	s_cmp_eq_u32 s12, 15
	s_cbranch_scc0 .LBB31_893
; %bb.889:
	global_load_ushort v3, v[1:2], off
	s_mov_b64 s[0:1], 0
	s_mov_b64 s[8:9], -1
	s_waitcnt vmcnt(0)
	v_lshlrev_b32_e32 v3, 16, v3
	v_cvt_i32_f32_e32 v3, v3
	s_branch .LBB31_894
.LBB31_890:
	s_mov_b64 s[10:11], -1
                                        ; implicit-def: $vgpr3
	s_branch .LBB31_895
.LBB31_891:
	s_andn2_saveexec_b64 s[2:3], s[2:3]
	s_cbranch_execz .LBB31_872
.LBB31_892:
	v_cmp_ne_u16_e32 vcc, 0, v4
	s_andn2_b64 s[8:9], s[8:9], exec
	s_and_b64 s[10:11], vcc, exec
	s_or_b64 s[8:9], s[8:9], s[10:11]
	s_or_b64 exec, exec, s[2:3]
	v_mov_b32_e32 v3, 0
	s_and_saveexec_b64 s[2:3], s[8:9]
	s_cbranch_execnz .LBB31_873
	s_branch .LBB31_874
.LBB31_893:
	s_mov_b64 s[0:1], -1
                                        ; implicit-def: $vgpr3
.LBB31_894:
	s_mov_b64 s[10:11], 0
.LBB31_895:
	s_and_b64 vcc, exec, s[10:11]
	s_cbranch_vccz .LBB31_897
; %bb.896:
	s_cmp_lg_u32 s12, 11
	s_cselect_b64 s[10:11], -1, 0
	s_andn2_b64 s[0:1], s[0:1], exec
	s_and_b64 s[10:11], s[10:11], exec
	s_mov_b64 s[2:3], -1
	s_or_b64 s[0:1], s[0:1], s[10:11]
.LBB31_897:
	s_mov_b64 s[12:13], 0
.LBB31_898:
	s_and_b64 s[10:11], s[8:9], exec
	s_and_b64 s[8:9], s[12:13], exec
	s_andn2_b64 s[12:13], s[70:71], exec
	s_and_b64 s[0:1], s[0:1], exec
	s_and_b64 s[2:3], s[2:3], exec
	s_or_b64 s[12:13], s[12:13], s[0:1]
.LBB31_899:
	s_or_b64 exec, exec, s[74:75]
	s_and_b64 s[0:1], s[2:3], exec
	s_andn2_b64 s[2:3], s[70:71], exec
	s_and_b64 s[12:13], s[12:13], exec
	s_and_b64 s[10:11], s[10:11], exec
	;; [unrolled: 1-line block ×3, first 2 shown]
	s_or_b64 s[70:71], s[2:3], s[12:13]
.LBB31_900:
	s_or_b64 exec, exec, s[68:69]
	s_andn2_b64 s[2:3], s[64:65], exec
	s_and_b64 s[12:13], s[72:73], exec
	s_or_b64 s[64:65], s[2:3], s[12:13]
	s_and_b64 s[2:3], s[0:1], exec
	s_andn2_b64 s[0:1], s[62:63], exec
	s_and_b64 s[12:13], s[70:71], exec
	s_and_b64 s[10:11], s[10:11], exec
	;; [unrolled: 1-line block ×3, first 2 shown]
	s_or_b64 s[62:63], s[0:1], s[12:13]
.LBB31_901:
	s_or_b64 exec, exec, s[66:67]
	s_andn2_b64 s[0:1], s[56:57], exec
	s_and_b64 s[12:13], s[64:65], exec
	s_or_b64 s[56:57], s[0:1], s[12:13]
	s_and_b64 s[0:1], s[10:11], exec
	s_and_b64 s[10:11], s[8:9], exec
	;; [unrolled: 1-line block ×3, first 2 shown]
	s_andn2_b64 s[2:3], s[58:59], exec
	s_and_b64 s[8:9], s[62:63], exec
	s_or_b64 s[58:59], s[2:3], s[8:9]
	s_or_b64 exec, exec, s[60:61]
	s_mov_b64 s[2:3], 0
	s_and_saveexec_b64 s[8:9], s[58:59]
	s_cbranch_execz .LBB31_270
.LBB31_902:
	s_mov_b64 s[2:3], exec
	s_andn2_b64 s[64:65], s[64:65], exec
	s_trap 2
	s_or_b64 exec, exec, s[8:9]
	s_and_saveexec_b64 s[8:9], s[64:65]
	s_xor_b64 s[8:9], exec, s[8:9]
	s_cbranch_execnz .LBB31_271
.LBB31_903:
	s_or_b64 exec, exec, s[8:9]
	s_and_saveexec_b64 s[8:9], s[10:11]
	s_cbranch_execz .LBB31_949
.LBB31_904:
	s_sext_i32_i16 s10, s78
	s_cmp_lt_i32 s10, 5
	s_cbranch_scc1 .LBB31_909
; %bb.905:
	s_cmp_lt_i32 s10, 8
	s_cbranch_scc1 .LBB31_910
; %bb.906:
	;; [unrolled: 3-line block ×3, first 2 shown]
	s_cmp_gt_i32 s10, 9
	s_cbranch_scc0 .LBB31_912
; %bb.908:
	global_load_dwordx2 v[3:4], v[1:2], off
	s_mov_b64 s[10:11], 0
	s_waitcnt vmcnt(0)
	v_cvt_i32_f64_e32 v3, v[3:4]
	s_branch .LBB31_913
.LBB31_909:
                                        ; implicit-def: $vgpr3
	s_branch .LBB31_930
.LBB31_910:
                                        ; implicit-def: $vgpr3
	s_branch .LBB31_919
.LBB31_911:
	s_mov_b64 s[10:11], -1
                                        ; implicit-def: $vgpr3
	s_branch .LBB31_916
.LBB31_912:
	s_mov_b64 s[10:11], -1
                                        ; implicit-def: $vgpr3
.LBB31_913:
	s_andn2_b64 vcc, exec, s[10:11]
	s_cbranch_vccnz .LBB31_915
; %bb.914:
	global_load_dword v3, v[1:2], off
	s_waitcnt vmcnt(0)
	v_cvt_i32_f32_e32 v3, v3
.LBB31_915:
	s_mov_b64 s[10:11], 0
.LBB31_916:
	s_andn2_b64 vcc, exec, s[10:11]
	s_cbranch_vccnz .LBB31_918
; %bb.917:
	global_load_dword v3, v[1:2], off
	s_waitcnt vmcnt(0)
	v_cvt_i16_f16_e32 v3, v3
.LBB31_918:
	s_cbranch_execnz .LBB31_929
.LBB31_919:
	s_sext_i32_i16 s10, s78
	s_cmp_lt_i32 s10, 6
	s_cbranch_scc1 .LBB31_922
; %bb.920:
	s_cmp_gt_i32 s10, 6
	s_cbranch_scc0 .LBB31_923
; %bb.921:
	global_load_dwordx2 v[3:4], v[1:2], off
	s_mov_b64 s[10:11], 0
	s_waitcnt vmcnt(0)
	v_cvt_i32_f64_e32 v3, v[3:4]
	s_branch .LBB31_924
.LBB31_922:
	s_mov_b64 s[10:11], -1
                                        ; implicit-def: $vgpr3
	s_branch .LBB31_927
.LBB31_923:
	s_mov_b64 s[10:11], -1
                                        ; implicit-def: $vgpr3
.LBB31_924:
	s_andn2_b64 vcc, exec, s[10:11]
	s_cbranch_vccnz .LBB31_926
; %bb.925:
	global_load_dword v3, v[1:2], off
	s_waitcnt vmcnt(0)
	v_cvt_i32_f32_e32 v3, v3
.LBB31_926:
	s_mov_b64 s[10:11], 0
.LBB31_927:
	s_andn2_b64 vcc, exec, s[10:11]
	s_cbranch_vccnz .LBB31_929
; %bb.928:
	global_load_ushort v3, v[1:2], off
	s_waitcnt vmcnt(0)
	v_cvt_i16_f16_e32 v3, v3
.LBB31_929:
	s_cbranch_execnz .LBB31_948
.LBB31_930:
	s_sext_i32_i16 s10, s78
	s_cmp_lt_i32 s10, 2
	s_cbranch_scc1 .LBB31_934
; %bb.931:
	s_cmp_lt_i32 s10, 3
	s_cbranch_scc1 .LBB31_935
; %bb.932:
	s_cmp_gt_i32 s10, 3
	s_cbranch_scc0 .LBB31_936
; %bb.933:
	global_load_dwordx2 v[3:4], v[1:2], off
	s_mov_b64 s[10:11], 0
	s_branch .LBB31_937
.LBB31_934:
                                        ; implicit-def: $vgpr3
	s_branch .LBB31_943
.LBB31_935:
	s_mov_b64 s[10:11], -1
                                        ; implicit-def: $vgpr3
	s_branch .LBB31_940
.LBB31_936:
	s_mov_b64 s[10:11], -1
                                        ; implicit-def: $vgpr3
.LBB31_937:
	s_andn2_b64 vcc, exec, s[10:11]
	s_cbranch_vccnz .LBB31_939
; %bb.938:
	global_load_dword v3, v[1:2], off
.LBB31_939:
	s_mov_b64 s[10:11], 0
.LBB31_940:
	s_andn2_b64 vcc, exec, s[10:11]
	s_cbranch_vccnz .LBB31_942
; %bb.941:
	global_load_ushort v3, v[1:2], off
.LBB31_942:
	s_cbranch_execnz .LBB31_948
.LBB31_943:
	s_sext_i32_i16 s10, s78
	s_cmp_gt_i32 s10, 0
	s_cbranch_scc0 .LBB31_945
; %bb.944:
	global_load_ubyte v3, v[1:2], off
	s_mov_b64 s[10:11], 0
	s_branch .LBB31_946
.LBB31_945:
	s_mov_b64 s[10:11], -1
                                        ; implicit-def: $vgpr3
.LBB31_946:
	s_andn2_b64 vcc, exec, s[10:11]
	s_cbranch_vccnz .LBB31_948
; %bb.947:
	global_load_ubyte v3, v[1:2], off
.LBB31_948:
	s_or_b64 s[0:1], s[0:1], exec
.LBB31_949:
	s_or_b64 exec, exec, s[8:9]
	s_mov_b64 s[14:15], 0
	s_mov_b64 s[12:13], 0
                                        ; implicit-def: $sgpr8_sgpr9
                                        ; implicit-def: $sgpr20
                                        ; implicit-def: $vgpr1_vgpr2
	s_and_saveexec_b64 s[10:11], s[0:1]
	s_cbranch_execz .LBB31_1024
; %bb.950:
	s_and_b32 s0, s45, 0xff
	s_waitcnt vmcnt(0)
	v_cmp_ne_u16_sdwa s[0:1], s0, v3 src0_sel:DWORD src1_sel:BYTE_0
	s_xor_b64 s[8:9], s[46:47], s[0:1]
	v_mov_b32_e32 v2, s25
	s_and_b32 s20, s77, 0xff
	v_add_co_u32_e32 v1, vcc, s24, v0
	s_cmp_lt_i32 s20, 11
	v_addc_co_u32_e32 v2, vcc, 0, v2, vcc
	s_cbranch_scc1 .LBB31_1027
; %bb.951:
	s_and_b32 s21, 0xffff, s20
	s_mov_b64 s[14:15], -1
	s_cmp_gt_i32 s21, 25
	s_mov_b64 s[0:1], s[56:57]
	s_cbranch_scc0 .LBB31_984
; %bb.952:
	s_mov_b64 s[12:13], -1
	s_cmp_gt_i32 s21, 28
	s_mov_b64 s[0:1], s[56:57]
	s_cbranch_scc0 .LBB31_968
; %bb.953:
	s_cmp_gt_i32 s21, 43
	s_mov_b64 s[0:1], s[56:57]
	s_cbranch_scc0 .LBB31_964
; %bb.954:
	;; [unrolled: 4-line block ×3, first 2 shown]
	s_cmp_eq_u32 s21, 46
	s_mov_b64 s[0:1], -1
	s_cbranch_scc0 .LBB31_957
; %bb.956:
	v_cndmask_b32_e64 v0, 0, 1.0, s[8:9]
	v_bfe_u32 v3, v0, 16, 1
	s_movk_i32 s0, 0x7fff
	v_add3_u32 v0, v0, v3, s0
	v_lshrrev_b32_e32 v0, 16, v0
	global_store_dword v[1:2], v0, off
	s_mov_b64 s[0:1], 0
.LBB31_957:
	s_mov_b64 s[12:13], 0
.LBB31_958:
	s_and_b64 vcc, exec, s[12:13]
	s_cbranch_vccz .LBB31_963
; %bb.959:
	s_cmp_eq_u32 s21, 44
	s_mov_b64 s[0:1], -1
	s_cbranch_scc0 .LBB31_963
; %bb.960:
	v_cndmask_b32_e64 v3, 0, 1.0, s[8:9]
	v_lshrrev_b32_e32 v0, 23, v3
	s_movk_i32 s0, 0xff
	v_cmp_ne_u32_e32 vcc, s0, v0
	v_mov_b32_e32 v4, 0xff
	s_and_saveexec_b64 s[12:13], vcc
; %bb.961:
	s_mov_b32 s0, 0x3fffff
	v_and_b32_e32 v4, 0x400000, v3
	v_and_or_b32 v3, v3, s0, v0
	v_cmp_ne_u32_e32 vcc, 0, v4
	v_cmp_ne_u32_e64 s[0:1], 0, v3
	s_and_b64 s[0:1], vcc, s[0:1]
	v_cndmask_b32_e64 v3, 0, 1, s[0:1]
	v_add_u32_e32 v4, v0, v3
; %bb.962:
	s_or_b64 exec, exec, s[12:13]
	s_mov_b64 s[0:1], 0
	global_store_byte v[1:2], v4, off
.LBB31_963:
	s_mov_b64 s[12:13], 0
.LBB31_964:
	s_and_b64 vcc, exec, s[12:13]
	s_cbranch_vccz .LBB31_967
; %bb.965:
	s_cmp_eq_u32 s21, 29
	s_mov_b64 s[0:1], -1
	s_cbranch_scc0 .LBB31_967
; %bb.966:
	s_mov_b32 s0, 0
	v_cndmask_b32_e64 v3, 0, 1, s[8:9]
	v_mov_b32_e32 v4, s0
	global_store_dwordx2 v[1:2], v[3:4], off
	s_mov_b64 s[0:1], 0
.LBB31_967:
	s_mov_b64 s[12:13], 0
.LBB31_968:
	s_and_b64 vcc, exec, s[12:13]
	s_cbranch_vccz .LBB31_983
; %bb.969:
	s_cmp_lt_i32 s21, 27
	s_mov_b64 s[12:13], -1
	s_cbranch_scc1 .LBB31_975
; %bb.970:
	s_cmp_gt_i32 s21, 27
	s_cbranch_scc0 .LBB31_972
; %bb.971:
	v_cndmask_b32_e64 v0, 0, 1, s[8:9]
	s_mov_b64 s[12:13], 0
	global_store_dword v[1:2], v0, off
.LBB31_972:
	s_andn2_b64 vcc, exec, s[12:13]
	s_cbranch_vccnz .LBB31_974
; %bb.973:
	v_cndmask_b32_e64 v0, 0, 1, s[8:9]
	global_store_short v[1:2], v0, off
.LBB31_974:
	s_mov_b64 s[12:13], 0
.LBB31_975:
	s_andn2_b64 vcc, exec, s[12:13]
	s_cbranch_vccnz .LBB31_983
; %bb.976:
	v_cndmask_b32_e64 v3, 0, 1.0, s[8:9]
	s_mov_b32 s12, 0x43800000
	v_cmp_gt_u32_e32 vcc, s12, v3
	v_mov_b32_e32 v4, 0x80
	s_and_saveexec_b64 s[12:13], vcc
	s_cbranch_execz .LBB31_982
; %bb.977:
	s_mov_b32 s14, 0x3bffffff
	v_cmp_lt_u32_e32 vcc, s14, v3
	s_mov_b64 s[14:15], 0
                                        ; implicit-def: $vgpr0
	s_and_saveexec_b64 s[16:17], vcc
	s_xor_b64 s[16:17], exec, s[16:17]
	s_cbranch_execz .LBB31_1140
; %bb.978:
	v_bfe_u32 v0, v3, 20, 1
	s_mov_b32 s18, 0x487ffff
	v_add3_u32 v0, v3, v0, s18
	s_mov_b64 s[14:15], exec
	v_lshrrev_b32_e32 v0, 20, v0
                                        ; implicit-def: $vgpr3
	s_andn2_saveexec_b64 s[16:17], s[16:17]
	s_cbranch_execnz .LBB31_1141
.LBB31_979:
	s_or_b64 exec, exec, s[16:17]
	v_mov_b32_e32 v4, 0
	s_and_saveexec_b64 s[16:17], s[14:15]
.LBB31_980:
	v_mov_b32_e32 v4, v0
.LBB31_981:
	s_or_b64 exec, exec, s[16:17]
.LBB31_982:
	s_or_b64 exec, exec, s[12:13]
	global_store_byte v[1:2], v4, off
.LBB31_983:
	s_mov_b64 s[14:15], 0
.LBB31_984:
	s_mov_b64 s[12:13], 0
	s_and_b64 vcc, exec, s[14:15]
	s_cbranch_vccz .LBB31_1028
; %bb.985:
	s_cmp_gt_i32 s21, 22
	s_mov_b64 s[14:15], -1
	s_cbranch_scc0 .LBB31_1017
; %bb.986:
	s_cmp_lt_i32 s21, 24
	s_cbranch_scc1 .LBB31_1006
; %bb.987:
	s_cmp_gt_i32 s21, 24
	s_cbranch_scc0 .LBB31_995
; %bb.988:
	v_cndmask_b32_e64 v3, 0, 1.0, s[8:9]
	s_mov_b32 s14, 0x47800000
	v_cmp_gt_u32_e32 vcc, s14, v3
	v_mov_b32_e32 v4, 0x80
	s_and_saveexec_b64 s[14:15], vcc
	s_cbranch_execz .LBB31_994
; %bb.989:
	s_mov_b32 s16, 0x37ffffff
	v_cmp_lt_u32_e32 vcc, s16, v3
	s_mov_b64 s[16:17], 0
                                        ; implicit-def: $vgpr0
	s_and_saveexec_b64 s[18:19], vcc
	s_xor_b64 s[18:19], exec, s[18:19]
	s_cbranch_execz .LBB31_1260
; %bb.990:
	v_bfe_u32 v0, v3, 21, 1
	s_mov_b32 s22, 0x88fffff
	v_add3_u32 v0, v3, v0, s22
	s_mov_b64 s[16:17], exec
	v_lshrrev_b32_e32 v0, 21, v0
                                        ; implicit-def: $vgpr3
	s_andn2_saveexec_b64 s[18:19], s[18:19]
	s_cbranch_execnz .LBB31_1261
.LBB31_991:
	s_or_b64 exec, exec, s[18:19]
	v_mov_b32_e32 v4, 0
	s_and_saveexec_b64 s[18:19], s[16:17]
.LBB31_992:
	v_mov_b32_e32 v4, v0
.LBB31_993:
	s_or_b64 exec, exec, s[18:19]
.LBB31_994:
	s_or_b64 exec, exec, s[14:15]
	s_mov_b64 s[14:15], 0
	global_store_byte v[1:2], v4, off
.LBB31_995:
	s_and_b64 vcc, exec, s[14:15]
	s_cbranch_vccz .LBB31_1005
; %bb.996:
	v_cndmask_b32_e64 v0, 0, 1.0, s[8:9]
	s_mov_b32 s14, 0x43f00000
	v_cmp_gt_u32_e32 vcc, s14, v0
                                        ; implicit-def: $vgpr3
	s_and_saveexec_b64 s[14:15], vcc
	s_xor_b64 s[14:15], exec, s[14:15]
	s_cbranch_execz .LBB31_1002
; %bb.997:
	s_mov_b32 s16, 0x3c7fffff
	v_cmp_lt_u32_e32 vcc, s16, v0
                                        ; implicit-def: $vgpr3
	s_and_saveexec_b64 s[16:17], vcc
	s_xor_b64 s[16:17], exec, s[16:17]
; %bb.998:
	v_bfe_u32 v3, v0, 20, 1
	s_mov_b32 s18, 0x407ffff
	v_add3_u32 v0, v0, v3, s18
	v_lshrrev_b32_e32 v3, 20, v0
	v_and_b32_e32 v0, 0xff00000, v0
	s_mov_b32 s18, 0x7f00000
	v_mov_b32_e32 v4, 0x7e
	v_cmp_ne_u32_e32 vcc, s18, v0
	v_cndmask_b32_e32 v3, v4, v3, vcc
                                        ; implicit-def: $vgpr0
; %bb.999:
	s_andn2_saveexec_b64 s[16:17], s[16:17]
; %bb.1000:
	v_add_f32_e32 v3, 0x46800000, v0
; %bb.1001:
	s_or_b64 exec, exec, s[16:17]
                                        ; implicit-def: $vgpr0
.LBB31_1002:
	s_andn2_saveexec_b64 s[14:15], s[14:15]
; %bb.1003:
	s_mov_b32 s16, 0x7f800000
	v_mov_b32_e32 v3, 0x7e
	v_mov_b32_e32 v4, 0x7f
	v_cmp_lt_u32_e32 vcc, s16, v0
	v_cndmask_b32_e32 v3, v3, v4, vcc
; %bb.1004:
	s_or_b64 exec, exec, s[14:15]
	global_store_byte v[1:2], v3, off
.LBB31_1005:
	s_mov_b64 s[14:15], 0
.LBB31_1006:
	s_andn2_b64 vcc, exec, s[14:15]
	s_cbranch_vccnz .LBB31_1016
; %bb.1007:
	v_cndmask_b32_e64 v0, 0, 1.0, s[8:9]
	s_mov_b32 s14, 0x47800000
	v_cmp_gt_u32_e32 vcc, s14, v0
                                        ; implicit-def: $vgpr3
	s_and_saveexec_b64 s[14:15], vcc
	s_xor_b64 s[14:15], exec, s[14:15]
	s_cbranch_execz .LBB31_1013
; %bb.1008:
	s_mov_b32 s16, 0x387fffff
	v_cmp_lt_u32_e32 vcc, s16, v0
                                        ; implicit-def: $vgpr3
	s_and_saveexec_b64 s[16:17], vcc
	s_xor_b64 s[16:17], exec, s[16:17]
; %bb.1009:
	v_bfe_u32 v3, v0, 21, 1
	s_mov_b32 s18, 0x80fffff
	v_add3_u32 v0, v0, v3, s18
	v_lshrrev_b32_e32 v3, 21, v0
                                        ; implicit-def: $vgpr0
; %bb.1010:
	s_andn2_saveexec_b64 s[16:17], s[16:17]
; %bb.1011:
	v_add_f32_e32 v3, 0x43000000, v0
; %bb.1012:
	s_or_b64 exec, exec, s[16:17]
                                        ; implicit-def: $vgpr0
.LBB31_1013:
	s_andn2_saveexec_b64 s[14:15], s[14:15]
; %bb.1014:
	s_mov_b32 s16, 0x7f800000
	v_mov_b32_e32 v3, 0x7c
	v_mov_b32_e32 v4, 0x7f
	v_cmp_lt_u32_e32 vcc, s16, v0
	v_cndmask_b32_e32 v3, v3, v4, vcc
; %bb.1015:
	s_or_b64 exec, exec, s[14:15]
	global_store_byte v[1:2], v3, off
.LBB31_1016:
	s_mov_b64 s[14:15], 0
.LBB31_1017:
	s_andn2_b64 vcc, exec, s[14:15]
	s_mov_b64 s[14:15], 0
	s_cbranch_vccnz .LBB31_1029
; %bb.1018:
	s_cmp_gt_i32 s21, 14
	s_mov_b64 s[16:17], -1
	s_cbranch_scc0 .LBB31_1022
; %bb.1019:
	s_cmp_eq_u32 s21, 15
	s_mov_b64 s[0:1], -1
	s_cbranch_scc0 .LBB31_1021
; %bb.1020:
	v_cndmask_b32_e64 v0, 0, 1.0, s[8:9]
	v_bfe_u32 v3, v0, 16, 1
	s_movk_i32 s0, 0x7fff
	v_add3_u32 v0, v0, v3, s0
	global_store_short_d16_hi v[1:2], v0, off
	s_mov_b64 s[0:1], 0
.LBB31_1021:
	s_mov_b64 s[16:17], 0
.LBB31_1022:
	s_and_b64 vcc, exec, s[16:17]
	s_cbranch_vccz .LBB31_1029
; %bb.1023:
	s_cmp_lg_u32 s21, 11
	s_cselect_b64 s[16:17], -1, 0
	s_andn2_b64 s[0:1], s[0:1], exec
	s_and_b64 s[16:17], s[16:17], exec
	s_mov_b64 s[14:15], -1
	s_or_b64 s[0:1], s[0:1], s[16:17]
	s_branch .LBB31_1029
.LBB31_1024:
	s_or_b64 exec, exec, s[10:11]
	s_and_saveexec_b64 s[0:1], s[56:57]
	s_cbranch_execnz .LBB31_1030
.LBB31_1025:
	s_or_b64 exec, exec, s[0:1]
	s_and_saveexec_b64 s[0:1], s[14:15]
	s_xor_b64 s[0:1], exec, s[0:1]
	s_cbranch_execz .LBB31_1031
.LBB31_1026:
	v_cndmask_b32_e64 v0, 0, 1, s[8:9]
	global_store_byte v[1:2], v0, off
	s_or_b64 exec, exec, s[0:1]
	s_and_saveexec_b64 s[0:1], s[12:13]
	s_xor_b64 s[0:1], exec, s[0:1]
	s_cbranch_execz .LBB31_1069
	s_branch .LBB31_1032
.LBB31_1027:
	s_mov_b64 s[12:13], -1
	s_mov_b64 s[0:1], s[56:57]
	s_branch .LBB31_1029
.LBB31_1028:
	s_mov_b64 s[14:15], 0
.LBB31_1029:
	s_andn2_b64 s[16:17], s[56:57], exec
	s_and_b64 s[0:1], s[0:1], exec
	s_and_b64 s[12:13], s[12:13], exec
	;; [unrolled: 1-line block ×3, first 2 shown]
	s_or_b64 s[56:57], s[16:17], s[0:1]
	s_or_b64 exec, exec, s[10:11]
	s_and_saveexec_b64 s[0:1], s[56:57]
	s_cbranch_execz .LBB31_1025
.LBB31_1030:
	s_or_b64 s[2:3], s[2:3], exec
	s_andn2_b64 s[14:15], s[14:15], exec
	s_trap 2
	s_or_b64 exec, exec, s[0:1]
	s_and_saveexec_b64 s[0:1], s[14:15]
	s_xor_b64 s[0:1], exec, s[0:1]
	s_cbranch_execnz .LBB31_1026
.LBB31_1031:
	s_or_b64 exec, exec, s[0:1]
	s_and_saveexec_b64 s[0:1], s[12:13]
	s_xor_b64 s[0:1], exec, s[0:1]
	s_cbranch_execz .LBB31_1069
.LBB31_1032:
	s_sext_i32_i16 s12, s20
	s_cmp_lt_i32 s12, 5
	s_mov_b64 s[10:11], -1
	s_cbranch_scc1 .LBB31_1053
; %bb.1033:
	s_cmp_lt_i32 s12, 8
	s_cbranch_scc1 .LBB31_1043
; %bb.1034:
	s_cmp_lt_i32 s12, 9
	s_cbranch_scc1 .LBB31_1040
; %bb.1035:
	s_cmp_gt_i32 s12, 9
	s_cbranch_scc0 .LBB31_1037
; %bb.1036:
	v_cndmask_b32_e64 v0, 0, 1, s[8:9]
	s_waitcnt vmcnt(0)
	v_cvt_f64_u32_e32 v[3:4], v0
	v_mov_b32_e32 v5, 0
	v_mov_b32_e32 v6, v5
	s_mov_b64 s[10:11], 0
	global_store_dwordx4 v[1:2], v[3:6], off
.LBB31_1037:
	s_andn2_b64 vcc, exec, s[10:11]
	s_cbranch_vccnz .LBB31_1039
; %bb.1038:
	s_waitcnt vmcnt(0)
	v_cndmask_b32_e64 v3, 0, 1.0, s[8:9]
	v_mov_b32_e32 v4, 0
	global_store_dwordx2 v[1:2], v[3:4], off
.LBB31_1039:
	s_mov_b64 s[10:11], 0
.LBB31_1040:
	s_andn2_b64 vcc, exec, s[10:11]
	s_cbranch_vccnz .LBB31_1042
; %bb.1041:
	v_cndmask_b32_e64 v0, 0, 1.0, s[8:9]
	v_cvt_f16_f32_e32 v0, v0
	global_store_dword v[1:2], v0, off
.LBB31_1042:
	s_mov_b64 s[10:11], 0
.LBB31_1043:
	s_andn2_b64 vcc, exec, s[10:11]
	s_cbranch_vccnz .LBB31_1052
; %bb.1044:
	s_sext_i32_i16 s12, s20
	s_cmp_lt_i32 s12, 6
	s_mov_b64 s[10:11], -1
	s_cbranch_scc1 .LBB31_1050
; %bb.1045:
	s_cmp_gt_i32 s12, 6
	s_cbranch_scc0 .LBB31_1047
; %bb.1046:
	v_cndmask_b32_e64 v0, 0, 1, s[8:9]
	s_waitcnt vmcnt(0)
	v_cvt_f64_u32_e32 v[3:4], v0
	s_mov_b64 s[10:11], 0
	global_store_dwordx2 v[1:2], v[3:4], off
.LBB31_1047:
	s_andn2_b64 vcc, exec, s[10:11]
	s_cbranch_vccnz .LBB31_1049
; %bb.1048:
	v_cndmask_b32_e64 v0, 0, 1.0, s[8:9]
	global_store_dword v[1:2], v0, off
.LBB31_1049:
	s_mov_b64 s[10:11], 0
.LBB31_1050:
	s_andn2_b64 vcc, exec, s[10:11]
	s_cbranch_vccnz .LBB31_1052
; %bb.1051:
	v_cndmask_b32_e64 v0, 0, 1.0, s[8:9]
	v_cvt_f16_f32_e32 v0, v0
	global_store_short v[1:2], v0, off
.LBB31_1052:
	s_mov_b64 s[10:11], 0
.LBB31_1053:
	s_andn2_b64 vcc, exec, s[10:11]
	s_cbranch_vccnz .LBB31_1069
; %bb.1054:
	s_sext_i32_i16 s12, s20
	s_cmp_lt_i32 s12, 2
	s_mov_b64 s[10:11], -1
	s_cbranch_scc1 .LBB31_1064
; %bb.1055:
	s_cmp_lt_i32 s12, 3
	s_cbranch_scc1 .LBB31_1061
; %bb.1056:
	s_cmp_gt_i32 s12, 3
	s_cbranch_scc0 .LBB31_1058
; %bb.1057:
	s_mov_b32 s10, 0
	s_waitcnt vmcnt(0)
	v_cndmask_b32_e64 v3, 0, 1, s[8:9]
	v_mov_b32_e32 v4, s10
	s_mov_b64 s[10:11], 0
	global_store_dwordx2 v[1:2], v[3:4], off
.LBB31_1058:
	s_andn2_b64 vcc, exec, s[10:11]
	s_cbranch_vccnz .LBB31_1060
; %bb.1059:
	v_cndmask_b32_e64 v0, 0, 1, s[8:9]
	global_store_dword v[1:2], v0, off
.LBB31_1060:
	s_mov_b64 s[10:11], 0
.LBB31_1061:
	s_andn2_b64 vcc, exec, s[10:11]
	s_cbranch_vccnz .LBB31_1063
; %bb.1062:
	v_cndmask_b32_e64 v0, 0, 1, s[8:9]
	global_store_short v[1:2], v0, off
.LBB31_1063:
	s_mov_b64 s[10:11], 0
.LBB31_1064:
	s_andn2_b64 vcc, exec, s[10:11]
	s_cbranch_vccnz .LBB31_1069
; %bb.1065:
	s_sext_i32_i16 s10, s20
	s_cmp_gt_i32 s10, 0
	s_mov_b64 s[10:11], -1
	s_cbranch_scc0 .LBB31_1067
; %bb.1066:
	v_cndmask_b32_e64 v0, 0, 1, s[8:9]
	s_mov_b64 s[10:11], 0
	global_store_byte v[1:2], v0, off
.LBB31_1067:
	s_andn2_b64 vcc, exec, s[10:11]
	s_cbranch_vccnz .LBB31_1069
; %bb.1068:
	v_cndmask_b32_e64 v0, 0, 1, s[8:9]
	global_store_byte v[1:2], v0, off
.LBB31_1069:
	s_or_b64 exec, exec, s[0:1]
	s_and_b64 s[28:29], s[2:3], exec
                                        ; implicit-def: $vgpr15
                                        ; implicit-def: $vgpr8
.LBB31_1070:
	s_or_saveexec_b64 s[30:31], s[42:43]
	s_mov_b64 s[0:1], 0
                                        ; implicit-def: $sgpr10_sgpr11
                                        ; implicit-def: $vgpr0_vgpr1
                                        ; implicit-def: $sgpr18
	s_xor_b64 exec, exec, s[30:31]
	s_cbranch_execz .LBB31_2057
; %bb.1071:
	v_cndmask_b32_e64 v0, 0, 1, s[40:41]
	v_cmp_ne_u32_e64 s[0:1], 1, v0
	s_andn2_b64 vcc, exec, s[40:41]
	s_cbranch_vccnz .LBB31_1077
; %bb.1072:
	s_cmp_lg_u32 s33, 0
	s_mov_b32 s36, 0
	s_cbranch_scc0 .LBB31_1078
; %bb.1073:
	s_min_u32 s37, s76, 15
	s_add_i32 s37, s37, 1
	s_cmp_eq_u32 s76, 2
	s_cbranch_scc1 .LBB31_1079
; %bb.1074:
	s_and_b32 s36, s37, 28
	s_add_u32 s2, s34, 0xc4
	s_addc_u32 s3, s35, 0
	v_mov_b32_e32 v13, 0
	s_mov_b32 s38, 0
	s_mov_b64 s[6:7], s[34:35]
	v_mov_b32_e32 v6, 0
	v_mov_b32_e32 v0, v8
.LBB31_1075:                            ; =>This Inner Loop Header: Depth=1
	s_load_dwordx8 s[16:23], s[6:7], 0x4
	s_load_dwordx4 s[24:27], s[6:7], 0x24
	s_load_dwordx8 s[8:15], s[2:3], 0x0
	s_add_u32 s6, s6, 48
	s_addc_u32 s7, s7, 0
	s_waitcnt lgkmcnt(0)
	v_mul_hi_u32 v1, s17, v0
	s_add_i32 s38, s38, 4
	s_add_u32 s2, s2, 32
	s_addc_u32 s3, s3, 0
	v_add_u32_e32 v1, v0, v1
	v_lshrrev_b32_e32 v1, s18, v1
	v_mul_lo_u32 v2, v1, s16
	s_waitcnt vmcnt(0)
	v_mul_hi_u32 v3, s20, v1
	s_cmp_lg_u32 s36, s38
	v_sub_u32_e32 v0, v0, v2
	v_add_u32_e32 v2, v1, v3
	v_mul_lo_u32 v3, v0, s8
	v_mul_lo_u32 v4, v0, s9
	v_lshrrev_b32_e32 v0, s21, v2
	v_mul_lo_u32 v2, v0, s19
	v_mul_hi_u32 v5, s23, v0
	v_sub_u32_e32 v1, v1, v2
	v_add_u32_e32 v2, v0, v5
	v_lshrrev_b32_e32 v2, s24, v2
	v_mul_hi_u32 v7, s26, v2
	v_mul_lo_u32 v9, v2, s22
	v_mul_lo_u32 v5, v1, s10
	;; [unrolled: 1-line block ×3, first 2 shown]
	v_sub_u32_e32 v9, v0, v9
	v_add_u32_e32 v0, v2, v7
	v_lshrrev_b32_e32 v0, s27, v0
	v_mul_lo_u32 v7, v0, s25
	v_mul_lo_u32 v10, v9, s12
	;; [unrolled: 1-line block ×3, first 2 shown]
	v_add3_u32 v3, v3, v6, v5
	v_sub_u32_e32 v2, v2, v7
	v_mul_lo_u32 v7, v2, s14
	v_mul_lo_u32 v2, v2, s15
	v_add3_u32 v1, v4, v13, v1
	v_add3_u32 v6, v10, v3, v7
	;; [unrolled: 1-line block ×3, first 2 shown]
	s_cbranch_scc1 .LBB31_1075
; %bb.1076:
	s_and_b32 s8, s37, 3
	s_cmp_eq_u32 s8, 0
	s_cbranch_scc0 .LBB31_1080
	s_branch .LBB31_1082
.LBB31_1077:
                                        ; implicit-def: $vgpr6
                                        ; implicit-def: $vgpr13
	s_branch .LBB31_1083
.LBB31_1078:
	v_mov_b32_e32 v6, 0
	v_mov_b32_e32 v13, 0
	s_branch .LBB31_1082
.LBB31_1079:
	v_mov_b32_e32 v6, 0
	v_mov_b32_e32 v13, 0
	;; [unrolled: 1-line block ×3, first 2 shown]
	s_and_b32 s8, s37, 3
	s_cmp_eq_u32 s8, 0
	s_cbranch_scc1 .LBB31_1082
.LBB31_1080:
	s_lshl_b32 s2, s36, 3
	s_add_u32 s2, s34, s2
	s_addc_u32 s3, s35, 0
	s_add_u32 s2, s2, 0xc4
	s_addc_u32 s3, s3, 0
	s_mul_i32 s6, s36, 12
	s_add_u32 s6, s34, s6
	s_addc_u32 s7, s35, 0
.LBB31_1081:                            ; =>This Inner Loop Header: Depth=1
	s_load_dwordx2 s[10:11], s[6:7], 0x4
	s_load_dword s9, s[6:7], 0xc
	s_load_dwordx2 s[12:13], s[2:3], 0x0
	s_add_u32 s6, s6, 12
	s_addc_u32 s7, s7, 0
	s_waitcnt lgkmcnt(0)
	v_mul_hi_u32 v1, s11, v0
	s_add_u32 s2, s2, 8
	s_addc_u32 s3, s3, 0
	s_add_i32 s8, s8, -1
	v_add_u32_e32 v1, v0, v1
	v_lshrrev_b32_e32 v1, s9, v1
	v_mul_lo_u32 v2, v1, s10
	s_cmp_lg_u32 s8, 0
	v_sub_u32_e32 v0, v0, v2
	v_mad_u64_u32 v[6:7], s[10:11], v0, s12, v[6:7]
	v_mad_u64_u32 v[13:14], s[10:11], v0, s13, v[13:14]
	v_mov_b32_e32 v0, v1
	s_cbranch_scc1 .LBB31_1081
.LBB31_1082:
	s_cbranch_execnz .LBB31_1085
.LBB31_1083:
	s_load_dwordx4 s[8:11], s[34:35], 0x4
	s_load_dwordx2 s[2:3], s[34:35], 0xc4
	s_cmp_lt_u32 s33, 2
	s_waitcnt lgkmcnt(0)
	v_mul_hi_u32 v0, s9, v8
	v_add_u32_e32 v0, v8, v0
	v_lshrrev_b32_e32 v0, s10, v0
	v_mul_lo_u32 v1, v0, s8
	v_sub_u32_e32 v1, v8, v1
	v_mul_lo_u32 v6, v1, s2
	v_mul_lo_u32 v13, v1, s3
	s_cbranch_scc1 .LBB31_1085
; %bb.1084:
	s_load_dwordx4 s[8:11], s[34:35], 0x10
	s_load_dwordx2 s[2:3], s[34:35], 0xcc
	s_waitcnt lgkmcnt(0)
	v_mul_hi_u32 v1, s9, v0
	v_add_u32_e32 v1, v0, v1
	v_lshrrev_b32_e32 v1, s10, v1
	v_mul_lo_u32 v1, v1, s8
	v_sub_u32_e32 v0, v0, v1
	v_mad_u64_u32 v[6:7], s[6:7], v0, s2, v[6:7]
	v_mad_u64_u32 v[13:14], s[2:3], v0, s3, v[13:14]
.LBB31_1085:
	s_and_b64 vcc, exec, s[0:1]
	v_add_u32_e32 v0, 0x80, v8
	s_cbranch_vccnz .LBB31_1091
; %bb.1086:
	s_cmp_lg_u32 s33, 0
	s_mov_b32 s36, 0
	s_cbranch_scc0 .LBB31_1092
; %bb.1087:
	s_min_u32 s37, s76, 15
	s_add_i32 s37, s37, 1
	s_cmp_eq_u32 s76, 2
	s_cbranch_scc1 .LBB31_1093
; %bb.1088:
	s_and_b32 s36, s37, 28
	s_add_u32 s2, s34, 0xc4
	s_addc_u32 s3, s35, 0
	v_mov_b32_e32 v11, 0
	s_mov_b32 s38, 0
	s_mov_b64 s[6:7], s[34:35]
	s_waitcnt vmcnt(0)
	v_mov_b32_e32 v4, 0
	v_mov_b32_e32 v1, v0
.LBB31_1089:                            ; =>This Inner Loop Header: Depth=1
	s_load_dwordx8 s[16:23], s[6:7], 0x4
	s_load_dwordx4 s[24:27], s[6:7], 0x24
	s_load_dwordx8 s[8:15], s[2:3], 0x0
	s_add_u32 s6, s6, 48
	s_addc_u32 s7, s7, 0
	s_waitcnt lgkmcnt(0)
	v_mul_hi_u32 v2, s17, v1
	s_add_i32 s38, s38, 4
	s_add_u32 s2, s2, 32
	s_addc_u32 s3, s3, 0
	v_add_u32_e32 v2, v1, v2
	v_lshrrev_b32_e32 v2, s18, v2
	v_mul_lo_u32 v3, v2, s16
	v_mul_hi_u32 v5, s20, v2
	s_cmp_lg_u32 s36, s38
	v_sub_u32_e32 v1, v1, v3
	v_add_u32_e32 v3, v2, v5
	v_mul_lo_u32 v5, v1, s8
	v_mul_lo_u32 v7, v1, s9
	v_lshrrev_b32_e32 v1, s21, v3
	v_mul_lo_u32 v3, v1, s19
	v_mul_hi_u32 v9, s23, v1
	v_sub_u32_e32 v2, v2, v3
	v_add_u32_e32 v3, v1, v9
	v_lshrrev_b32_e32 v3, s24, v3
	v_mul_hi_u32 v10, s26, v3
	v_mul_lo_u32 v12, v3, s22
	v_mul_lo_u32 v9, v2, s10
	;; [unrolled: 1-line block ×3, first 2 shown]
	v_sub_u32_e32 v12, v1, v12
	v_add_u32_e32 v1, v3, v10
	v_lshrrev_b32_e32 v1, s27, v1
	v_mul_lo_u32 v10, v1, s25
	v_mul_lo_u32 v14, v12, s12
	;; [unrolled: 1-line block ×3, first 2 shown]
	v_add3_u32 v4, v5, v4, v9
	v_sub_u32_e32 v3, v3, v10
	v_mul_lo_u32 v10, v3, s14
	v_mul_lo_u32 v3, v3, s15
	v_add3_u32 v2, v7, v11, v2
	v_add3_u32 v4, v14, v4, v10
	;; [unrolled: 1-line block ×3, first 2 shown]
	s_cbranch_scc1 .LBB31_1089
; %bb.1090:
	s_and_b32 s8, s37, 3
	s_cmp_eq_u32 s8, 0
	s_cbranch_scc0 .LBB31_1094
	s_branch .LBB31_1096
.LBB31_1091:
                                        ; implicit-def: $vgpr4
                                        ; implicit-def: $vgpr11
	s_branch .LBB31_1097
.LBB31_1092:
	s_waitcnt vmcnt(0)
	v_mov_b32_e32 v4, 0
	v_mov_b32_e32 v11, 0
	s_branch .LBB31_1096
.LBB31_1093:
	s_waitcnt vmcnt(0)
	v_mov_b32_e32 v4, 0
	v_mov_b32_e32 v11, 0
	;; [unrolled: 1-line block ×3, first 2 shown]
	s_and_b32 s8, s37, 3
	s_cmp_eq_u32 s8, 0
	s_cbranch_scc1 .LBB31_1096
.LBB31_1094:
	s_lshl_b32 s2, s36, 3
	s_add_u32 s2, s34, s2
	s_addc_u32 s3, s35, 0
	s_add_u32 s2, s2, 0xc4
	s_addc_u32 s3, s3, 0
	s_mul_i32 s6, s36, 12
	s_add_u32 s6, s34, s6
	s_addc_u32 s7, s35, 0
.LBB31_1095:                            ; =>This Inner Loop Header: Depth=1
	s_load_dwordx2 s[10:11], s[6:7], 0x4
	s_load_dword s9, s[6:7], 0xc
	s_load_dwordx2 s[12:13], s[2:3], 0x0
	s_add_u32 s6, s6, 12
	s_addc_u32 s7, s7, 0
	s_waitcnt lgkmcnt(0)
	v_mul_hi_u32 v2, s11, v1
	s_add_u32 s2, s2, 8
	s_addc_u32 s3, s3, 0
	s_add_i32 s8, s8, -1
	v_add_u32_e32 v2, v1, v2
	v_lshrrev_b32_e32 v2, s9, v2
	v_mul_lo_u32 v3, v2, s10
	s_cmp_lg_u32 s8, 0
	v_sub_u32_e32 v1, v1, v3
	v_mad_u64_u32 v[4:5], s[10:11], v1, s12, v[4:5]
	v_mad_u64_u32 v[11:12], s[10:11], v1, s13, v[11:12]
	v_mov_b32_e32 v1, v2
	s_cbranch_scc1 .LBB31_1095
.LBB31_1096:
	s_cbranch_execnz .LBB31_1099
.LBB31_1097:
	s_load_dwordx4 s[8:11], s[34:35], 0x4
	s_load_dwordx2 s[2:3], s[34:35], 0xc4
	s_cmp_lt_u32 s33, 2
	s_waitcnt lgkmcnt(0)
	v_mul_hi_u32 v1, s9, v0
	v_add_u32_e32 v1, v0, v1
	v_lshrrev_b32_e32 v1, s10, v1
	v_mul_lo_u32 v2, v1, s8
	v_sub_u32_e32 v0, v0, v2
	s_waitcnt vmcnt(0)
	v_mul_lo_u32 v4, v0, s2
	v_mul_lo_u32 v11, v0, s3
	s_cbranch_scc1 .LBB31_1099
; %bb.1098:
	s_load_dwordx4 s[8:11], s[34:35], 0x10
	s_load_dwordx2 s[2:3], s[34:35], 0xcc
	s_waitcnt lgkmcnt(0)
	v_mul_hi_u32 v0, s9, v1
	v_add_u32_e32 v0, v1, v0
	v_lshrrev_b32_e32 v0, s10, v0
	v_mul_lo_u32 v0, v0, s8
	v_sub_u32_e32 v0, v1, v0
	v_mad_u64_u32 v[4:5], s[6:7], v0, s2, v[4:5]
	v_mad_u64_u32 v[11:12], s[2:3], v0, s3, v[11:12]
.LBB31_1099:
	s_and_b64 vcc, exec, s[0:1]
	v_add_u32_e32 v0, 0x100, v8
	s_cbranch_vccnz .LBB31_1105
; %bb.1100:
	s_cmp_lg_u32 s33, 0
	s_mov_b32 s36, 0
	s_cbranch_scc0 .LBB31_1106
; %bb.1101:
	s_min_u32 s37, s76, 15
	s_add_i32 s37, s37, 1
	s_cmp_eq_u32 s76, 2
	s_cbranch_scc1 .LBB31_1107
; %bb.1102:
	s_and_b32 s36, s37, 28
	s_add_u32 s2, s34, 0xc4
	s_addc_u32 s3, s35, 0
	v_mov_b32_e32 v9, 0
	s_mov_b32 s38, 0
	s_mov_b64 s[6:7], s[34:35]
	v_mov_b32_e32 v2, 0
	v_mov_b32_e32 v1, v0
.LBB31_1103:                            ; =>This Inner Loop Header: Depth=1
	s_load_dwordx8 s[16:23], s[6:7], 0x4
	s_load_dwordx4 s[24:27], s[6:7], 0x24
	s_load_dwordx8 s[8:15], s[2:3], 0x0
	s_add_u32 s6, s6, 48
	s_addc_u32 s7, s7, 0
	s_waitcnt vmcnt(0) lgkmcnt(0)
	v_mul_hi_u32 v3, s17, v1
	s_add_i32 s38, s38, 4
	s_add_u32 s2, s2, 32
	s_addc_u32 s3, s3, 0
	v_add_u32_e32 v3, v1, v3
	v_lshrrev_b32_e32 v3, s18, v3
	v_mul_lo_u32 v5, v3, s16
	v_mul_hi_u32 v7, s20, v3
	s_cmp_lg_u32 s36, s38
	v_sub_u32_e32 v1, v1, v5
	v_add_u32_e32 v5, v3, v7
	v_mul_lo_u32 v7, v1, s8
	v_mul_lo_u32 v8, v1, s9
	v_lshrrev_b32_e32 v1, s21, v5
	v_mul_lo_u32 v5, v1, s19
	v_mul_hi_u32 v10, s23, v1
	v_sub_u32_e32 v3, v3, v5
	v_add_u32_e32 v5, v1, v10
	v_lshrrev_b32_e32 v5, s24, v5
	v_mul_hi_u32 v12, s26, v5
	v_mul_lo_u32 v14, v5, s22
	v_mul_lo_u32 v10, v3, s10
	;; [unrolled: 1-line block ×3, first 2 shown]
	v_sub_u32_e32 v14, v1, v14
	v_add_u32_e32 v1, v5, v12
	v_lshrrev_b32_e32 v1, s27, v1
	v_mul_lo_u32 v12, v1, s25
	v_mul_lo_u32 v16, v14, s12
	;; [unrolled: 1-line block ×3, first 2 shown]
	v_add3_u32 v2, v7, v2, v10
	v_sub_u32_e32 v5, v5, v12
	v_mul_lo_u32 v12, v5, s14
	v_mul_lo_u32 v5, v5, s15
	v_add3_u32 v3, v8, v9, v3
	v_add3_u32 v2, v16, v2, v12
	;; [unrolled: 1-line block ×3, first 2 shown]
	s_cbranch_scc1 .LBB31_1103
; %bb.1104:
	s_and_b32 s8, s37, 3
	s_cmp_eq_u32 s8, 0
	s_cbranch_scc0 .LBB31_1108
	s_branch .LBB31_1110
.LBB31_1105:
                                        ; implicit-def: $vgpr2
                                        ; implicit-def: $vgpr9
	s_branch .LBB31_1111
.LBB31_1106:
	v_mov_b32_e32 v2, 0
	v_mov_b32_e32 v9, 0
	s_branch .LBB31_1110
.LBB31_1107:
	v_mov_b32_e32 v2, 0
	v_mov_b32_e32 v9, 0
	v_mov_b32_e32 v1, v0
	s_and_b32 s8, s37, 3
	s_cmp_eq_u32 s8, 0
	s_cbranch_scc1 .LBB31_1110
.LBB31_1108:
	s_lshl_b32 s2, s36, 3
	s_add_u32 s2, s34, s2
	s_addc_u32 s3, s35, 0
	s_add_u32 s2, s2, 0xc4
	s_addc_u32 s3, s3, 0
	s_mul_i32 s6, s36, 12
	s_add_u32 s6, s34, s6
	s_addc_u32 s7, s35, 0
.LBB31_1109:                            ; =>This Inner Loop Header: Depth=1
	s_load_dwordx2 s[10:11], s[6:7], 0x4
	s_load_dword s9, s[6:7], 0xc
	s_load_dwordx2 s[12:13], s[2:3], 0x0
	s_add_u32 s6, s6, 12
	s_addc_u32 s7, s7, 0
	s_waitcnt vmcnt(0) lgkmcnt(0)
	v_mul_hi_u32 v3, s11, v1
	s_add_u32 s2, s2, 8
	s_addc_u32 s3, s3, 0
	s_add_i32 s8, s8, -1
	v_add_u32_e32 v3, v1, v3
	v_lshrrev_b32_e32 v5, s9, v3
	v_mul_lo_u32 v3, v5, s10
	s_cmp_lg_u32 s8, 0
	v_sub_u32_e32 v1, v1, v3
	v_mad_u64_u32 v[2:3], s[10:11], v1, s12, v[2:3]
	v_mad_u64_u32 v[9:10], s[10:11], v1, s13, v[9:10]
	v_mov_b32_e32 v1, v5
	s_cbranch_scc1 .LBB31_1109
.LBB31_1110:
	s_cbranch_execnz .LBB31_1113
.LBB31_1111:
	s_load_dwordx4 s[8:11], s[34:35], 0x4
	s_load_dwordx2 s[2:3], s[34:35], 0xc4
	s_cmp_lt_u32 s33, 2
	s_waitcnt lgkmcnt(0)
	v_mul_hi_u32 v1, s9, v0
	v_add_u32_e32 v1, v0, v1
	v_lshrrev_b32_e32 v1, s10, v1
	v_mul_lo_u32 v2, v1, s8
	v_sub_u32_e32 v0, v0, v2
	v_mul_lo_u32 v2, v0, s2
	v_mul_lo_u32 v9, v0, s3
	s_cbranch_scc1 .LBB31_1113
; %bb.1112:
	s_load_dwordx4 s[8:11], s[34:35], 0x10
	s_load_dwordx2 s[2:3], s[34:35], 0xcc
	s_waitcnt lgkmcnt(0)
	v_mul_hi_u32 v0, s9, v1
	v_add_u32_e32 v0, v1, v0
	v_lshrrev_b32_e32 v0, s10, v0
	v_mul_lo_u32 v0, v0, s8
	v_sub_u32_e32 v0, v1, v0
	s_waitcnt vmcnt(0)
	v_mad_u64_u32 v[2:3], s[6:7], v0, s2, v[2:3]
	v_mad_u64_u32 v[9:10], s[2:3], v0, s3, v[9:10]
.LBB31_1113:
	s_and_b64 vcc, exec, s[0:1]
	s_cbranch_vccnz .LBB31_1119
; %bb.1114:
	s_cmp_lg_u32 s33, 0
	s_mov_b32 s26, 0
	s_cbranch_scc0 .LBB31_1120
; %bb.1115:
	s_min_u32 s27, s76, 15
	s_add_i32 s27, s27, 1
	s_cmp_eq_u32 s76, 2
	s_cbranch_scc1 .LBB31_1121
; %bb.1116:
	s_and_b32 s26, s27, 28
	s_add_u32 s6, s34, 0xc4
	s_addc_u32 s7, s35, 0
	v_mov_b32_e32 v7, 0
	s_mov_b32 s36, 0
	s_mov_b64 s[24:25], s[34:35]
	v_mov_b32_e32 v0, 0
	v_mov_b32_e32 v1, v15
.LBB31_1117:                            ; =>This Inner Loop Header: Depth=1
	s_load_dwordx8 s[16:23], s[24:25], 0x4
	s_load_dwordx4 s[0:3], s[24:25], 0x24
	s_load_dwordx8 s[8:15], s[6:7], 0x0
	s_add_u32 s24, s24, 48
	s_addc_u32 s25, s25, 0
	s_waitcnt vmcnt(0) lgkmcnt(0)
	v_mul_hi_u32 v3, s17, v1
	s_add_i32 s36, s36, 4
	s_add_u32 s6, s6, 32
	s_addc_u32 s7, s7, 0
	v_add_u32_e32 v3, v1, v3
	v_lshrrev_b32_e32 v3, s18, v3
	v_mul_lo_u32 v5, v3, s16
	v_mul_hi_u32 v8, s20, v3
	s_cmp_lg_u32 s26, s36
	v_sub_u32_e32 v1, v1, v5
	v_add_u32_e32 v5, v3, v8
	v_mul_lo_u32 v8, v1, s8
	v_mul_lo_u32 v10, v1, s9
	v_lshrrev_b32_e32 v1, s21, v5
	v_mul_lo_u32 v5, v1, s19
	v_mul_hi_u32 v12, s23, v1
	v_sub_u32_e32 v3, v3, v5
	v_add_u32_e32 v5, v1, v12
	v_lshrrev_b32_e32 v5, s0, v5
	v_mul_hi_u32 v14, s2, v5
	v_mul_lo_u32 v16, v5, s22
	v_mul_lo_u32 v12, v3, s10
	;; [unrolled: 1-line block ×3, first 2 shown]
	v_sub_u32_e32 v16, v1, v16
	v_add_u32_e32 v1, v5, v14
	v_lshrrev_b32_e32 v1, s3, v1
	v_mul_lo_u32 v14, v1, s1
	v_mul_lo_u32 v17, v16, s12
	;; [unrolled: 1-line block ×3, first 2 shown]
	v_add3_u32 v0, v8, v0, v12
	v_sub_u32_e32 v5, v5, v14
	v_mul_lo_u32 v14, v5, s14
	v_mul_lo_u32 v5, v5, s15
	v_add3_u32 v3, v10, v7, v3
	v_add3_u32 v0, v17, v0, v14
	;; [unrolled: 1-line block ×3, first 2 shown]
	s_cbranch_scc1 .LBB31_1117
; %bb.1118:
	s_and_b32 s6, s27, 3
	s_cmp_eq_u32 s6, 0
	s_cbranch_scc0 .LBB31_1122
	s_branch .LBB31_1124
.LBB31_1119:
                                        ; implicit-def: $vgpr0
                                        ; implicit-def: $vgpr7
	s_branch .LBB31_1125
.LBB31_1120:
	v_mov_b32_e32 v0, 0
	v_mov_b32_e32 v7, 0
	s_branch .LBB31_1124
.LBB31_1121:
	v_mov_b32_e32 v0, 0
	v_mov_b32_e32 v7, 0
	;; [unrolled: 1-line block ×3, first 2 shown]
	s_and_b32 s6, s27, 3
	s_cmp_eq_u32 s6, 0
	s_cbranch_scc1 .LBB31_1124
.LBB31_1122:
	s_lshl_b32 s0, s26, 3
	s_add_u32 s0, s34, s0
	s_addc_u32 s1, s35, 0
	s_add_u32 s0, s0, 0xc4
	s_addc_u32 s1, s1, 0
	s_mul_i32 s2, s26, 12
	s_add_u32 s2, s34, s2
	s_addc_u32 s3, s35, 0
.LBB31_1123:                            ; =>This Inner Loop Header: Depth=1
	s_load_dwordx2 s[8:9], s[2:3], 0x4
	s_load_dword s7, s[2:3], 0xc
	s_load_dwordx2 s[10:11], s[0:1], 0x0
	s_add_u32 s2, s2, 12
	s_addc_u32 s3, s3, 0
	s_waitcnt vmcnt(0) lgkmcnt(0)
	v_mul_hi_u32 v3, s9, v1
	s_add_u32 s0, s0, 8
	s_addc_u32 s1, s1, 0
	s_add_i32 s6, s6, -1
	v_add_u32_e32 v3, v1, v3
	v_lshrrev_b32_e32 v3, s7, v3
	v_mul_lo_u32 v5, v3, s8
	s_cmp_lg_u32 s6, 0
	v_sub_u32_e32 v5, v1, v5
	v_mad_u64_u32 v[0:1], s[8:9], v5, s10, v[0:1]
	v_mad_u64_u32 v[7:8], s[8:9], v5, s11, v[7:8]
	v_mov_b32_e32 v1, v3
	s_cbranch_scc1 .LBB31_1123
.LBB31_1124:
	s_cbranch_execnz .LBB31_1127
.LBB31_1125:
	s_load_dwordx4 s[0:3], s[34:35], 0x4
	s_load_dwordx2 s[6:7], s[34:35], 0xc4
	s_cmp_lt_u32 s33, 2
	s_waitcnt lgkmcnt(0)
	v_mul_hi_u32 v0, s1, v15
	v_add_u32_e32 v0, v15, v0
	v_lshrrev_b32_e32 v1, s2, v0
	v_mul_lo_u32 v0, v1, s0
	s_waitcnt vmcnt(0)
	v_sub_u32_e32 v3, v15, v0
	v_mul_lo_u32 v0, v3, s6
	v_mul_lo_u32 v7, v3, s7
	s_cbranch_scc1 .LBB31_1127
; %bb.1126:
	s_load_dwordx4 s[0:3], s[34:35], 0x10
	s_load_dwordx2 s[6:7], s[34:35], 0xcc
	s_waitcnt lgkmcnt(0)
	v_mul_hi_u32 v3, s1, v1
	v_add_u32_e32 v3, v1, v3
	v_lshrrev_b32_e32 v3, s2, v3
	v_mul_lo_u32 v3, v3, s0
	v_sub_u32_e32 v3, v1, v3
	v_mad_u64_u32 v[0:1], s[0:1], v3, s6, v[0:1]
	v_mad_u64_u32 v[7:8], s[0:1], v3, s7, v[7:8]
.LBB31_1127:
	s_load_dwordx4 s[8:11], s[34:35], 0x148
	s_load_dword s12, s[4:5], 0x168
	s_waitcnt lgkmcnt(0)
	v_mov_b32_e32 v1, s11
	s_bfe_u32 s13, s12, 0x80008
	v_add_co_u32_e32 v15, vcc, s10, v13
	s_cmp_lt_i32 s13, 11
	v_addc_co_u32_e32 v16, vcc, 0, v1, vcc
	s_cbranch_scc1 .LBB31_1134
; %bb.1128:
	s_and_b32 s14, 0xffff, s13
	s_cmp_gt_i32 s14, 25
	s_mov_b64 s[4:5], 0
	s_cbranch_scc0 .LBB31_1136
; %bb.1129:
	s_cmp_gt_i32 s14, 28
	s_cbranch_scc0 .LBB31_1137
; %bb.1130:
	s_cmp_gt_i32 s14, 43
	s_cbranch_scc0 .LBB31_1138
; %bb.1131:
	s_cmp_gt_i32 s14, 45
	s_cbranch_scc0 .LBB31_1139
; %bb.1132:
	s_cmp_eq_u32 s14, 46
	s_mov_b64 s[2:3], 0
	s_cbranch_scc0 .LBB31_1142
; %bb.1133:
	global_load_dword v1, v[15:16], off
	s_mov_b64 s[0:1], 0
	s_mov_b64 s[6:7], -1
	s_waitcnt vmcnt(0)
	v_lshlrev_b32_e32 v1, 16, v1
	v_cvt_i32_f32_e32 v13, v1
	s_branch .LBB31_1143
.LBB31_1134:
	s_mov_b64 s[6:7], 0
                                        ; implicit-def: $vgpr13
	s_mov_b64 s[2:3], s[28:29]
	s_cbranch_execnz .LBB31_1201
.LBB31_1135:
	s_andn2_b64 vcc, exec, s[6:7]
	s_cbranch_vccz .LBB31_1246
	s_branch .LBB31_2055
.LBB31_1136:
	s_mov_b64 s[6:7], 0
	s_mov_b64 s[0:1], 0
                                        ; implicit-def: $vgpr13
	s_cbranch_execnz .LBB31_1168
	s_branch .LBB31_1197
.LBB31_1137:
	s_mov_b64 s[6:7], 0
	s_mov_b64 s[0:1], 0
                                        ; implicit-def: $vgpr13
	s_cbranch_execz .LBB31_1167
	s_branch .LBB31_1152
.LBB31_1138:
	s_mov_b64 s[6:7], 0
	s_mov_b64 s[0:1], 0
                                        ; implicit-def: $vgpr13
	s_cbranch_execnz .LBB31_1148
	s_branch .LBB31_1151
.LBB31_1139:
	s_mov_b64 s[2:3], -1
	s_mov_b64 s[6:7], 0
	s_mov_b64 s[0:1], 0
                                        ; implicit-def: $vgpr13
	s_branch .LBB31_1143
.LBB31_1140:
	s_andn2_saveexec_b64 s[16:17], s[16:17]
	s_cbranch_execz .LBB31_979
.LBB31_1141:
	v_add_f32_e32 v0, 0x46000000, v3
	v_and_b32_e32 v0, 0xff, v0
	v_cmp_ne_u32_e32 vcc, 0, v0
	s_andn2_b64 s[14:15], s[14:15], exec
	s_and_b64 s[18:19], vcc, exec
	s_or_b64 s[14:15], s[14:15], s[18:19]
	s_or_b64 exec, exec, s[16:17]
	v_mov_b32_e32 v4, 0
	s_and_saveexec_b64 s[16:17], s[14:15]
	s_cbranch_execnz .LBB31_980
	s_branch .LBB31_981
.LBB31_1142:
	s_mov_b64 s[0:1], -1
                                        ; implicit-def: $vgpr13
	s_mov_b64 s[6:7], 0
.LBB31_1143:
	s_and_b64 vcc, exec, s[2:3]
	s_cbranch_vccz .LBB31_1146
; %bb.1144:
	s_cmp_eq_u32 s14, 44
	s_cbranch_scc0 .LBB31_1147
; %bb.1145:
	global_load_ubyte v1, v[15:16], off
	s_mov_b64 s[0:1], 0
	s_mov_b64 s[6:7], -1
	s_waitcnt vmcnt(0)
	v_lshlrev_b32_e32 v3, 23, v1
	v_cvt_i32_f32_e32 v3, v3
	v_cmp_ne_u32_e32 vcc, 0, v1
	v_cndmask_b32_e32 v13, 0, v3, vcc
.LBB31_1146:
	s_branch .LBB31_1151
.LBB31_1147:
	s_mov_b64 s[0:1], -1
                                        ; implicit-def: $vgpr13
	s_branch .LBB31_1151
.LBB31_1148:
	s_cmp_eq_u32 s14, 29
	s_cbranch_scc0 .LBB31_1150
; %bb.1149:
	global_load_dwordx2 v[13:14], v[15:16], off
	s_mov_b64 s[0:1], 0
	s_mov_b64 s[6:7], -1
	s_branch .LBB31_1151
.LBB31_1150:
	s_mov_b64 s[0:1], -1
                                        ; implicit-def: $vgpr13
.LBB31_1151:
	s_branch .LBB31_1167
.LBB31_1152:
	s_cmp_lt_i32 s14, 27
	s_cbranch_scc1 .LBB31_1155
; %bb.1153:
	s_cmp_gt_i32 s14, 27
	s_cbranch_scc0 .LBB31_1156
; %bb.1154:
	global_load_dword v13, v[15:16], off
	s_mov_b64 s[2:3], 0
	s_branch .LBB31_1157
.LBB31_1155:
	s_mov_b64 s[2:3], -1
                                        ; implicit-def: $vgpr13
	s_branch .LBB31_1160
.LBB31_1156:
	s_mov_b64 s[2:3], -1
                                        ; implicit-def: $vgpr13
.LBB31_1157:
	s_andn2_b64 vcc, exec, s[2:3]
	s_cbranch_vccnz .LBB31_1159
; %bb.1158:
	global_load_ushort v13, v[15:16], off
.LBB31_1159:
	s_mov_b64 s[2:3], 0
.LBB31_1160:
	s_andn2_b64 vcc, exec, s[2:3]
	s_cbranch_vccnz .LBB31_1166
; %bb.1161:
	global_load_ubyte v1, v[15:16], off
	s_movk_i32 s2, 0x7f
	s_mov_b64 s[6:7], 0
	s_waitcnt vmcnt(0)
	v_cmp_lt_i16_e32 vcc, s2, v1
	s_and_saveexec_b64 s[2:3], vcc
	s_xor_b64 s[2:3], exec, s[2:3]
	s_cbranch_execz .LBB31_1177
; %bb.1162:
	s_movk_i32 s6, 0x80
	v_cmp_ne_u16_e32 vcc, s6, v1
	s_and_b64 s[6:7], vcc, exec
	s_andn2_saveexec_b64 s[2:3], s[2:3]
	s_cbranch_execnz .LBB31_1178
.LBB31_1163:
	s_or_b64 exec, exec, s[2:3]
	v_mov_b32_e32 v13, 0
	s_and_saveexec_b64 s[2:3], s[6:7]
	s_cbranch_execz .LBB31_1165
.LBB31_1164:
	v_lshlrev_b32_e32 v3, 24, v1
	v_and_b32_e32 v1, 0xffff, v1
	v_and_b32_e32 v5, 7, v1
	v_ffbh_u32_e32 v10, v5
	v_min_u32_e32 v10, 32, v10
	v_subrev_u32_e32 v12, 28, v10
	v_bfe_u32 v8, v1, 3, 4
	v_lshlrev_b32_e32 v1, v12, v1
	v_sub_u32_e32 v10, 29, v10
	v_and_b32_e32 v1, 7, v1
	v_cmp_eq_u32_e32 vcc, 0, v8
	v_cndmask_b32_e32 v8, v8, v10, vcc
	v_cndmask_b32_e32 v1, v5, v1, vcc
	v_mov_b32_e32 v5, 0x3b800000
	v_lshlrev_b32_e32 v1, 20, v1
	v_and_b32_e32 v3, 0x80000000, v3
	v_lshl_add_u32 v5, v8, 23, v5
	v_or3_b32 v1, v3, v5, v1
	v_cvt_i32_f32_e32 v13, v1
.LBB31_1165:
	s_or_b64 exec, exec, s[2:3]
.LBB31_1166:
	s_mov_b64 s[6:7], -1
.LBB31_1167:
	s_branch .LBB31_1197
.LBB31_1168:
	s_cmp_gt_i32 s14, 22
	s_cbranch_scc0 .LBB31_1176
; %bb.1169:
	s_cmp_lt_i32 s14, 24
	s_cbranch_scc1 .LBB31_1179
; %bb.1170:
	s_cmp_gt_i32 s14, 24
	s_cbranch_scc0 .LBB31_1180
; %bb.1171:
	global_load_ubyte v1, v[15:16], off
	s_movk_i32 s2, 0x7f
	s_waitcnt vmcnt(0)
	v_cmp_lt_i16_e32 vcc, s2, v1
	s_and_saveexec_b64 s[2:3], vcc
	s_xor_b64 s[2:3], exec, s[2:3]
	s_cbranch_execz .LBB31_1191
; %bb.1172:
	s_movk_i32 s4, 0x80
	v_cmp_ne_u16_e32 vcc, s4, v1
	s_and_b64 s[4:5], vcc, exec
	s_andn2_saveexec_b64 s[2:3], s[2:3]
	s_cbranch_execnz .LBB31_1192
.LBB31_1173:
	s_or_b64 exec, exec, s[2:3]
	v_mov_b32_e32 v13, 0
	s_and_saveexec_b64 s[2:3], s[4:5]
	s_cbranch_execz .LBB31_1175
.LBB31_1174:
	v_lshlrev_b32_e32 v3, 24, v1
	v_and_b32_e32 v1, 0xffff, v1
	v_and_b32_e32 v5, 3, v1
	v_ffbh_u32_e32 v10, v5
	v_min_u32_e32 v10, 32, v10
	v_subrev_u32_e32 v12, 29, v10
	v_bfe_u32 v8, v1, 2, 5
	v_lshlrev_b32_e32 v1, v12, v1
	v_sub_u32_e32 v10, 30, v10
	v_and_b32_e32 v1, 3, v1
	v_cmp_eq_u32_e32 vcc, 0, v8
	v_cndmask_b32_e32 v8, v8, v10, vcc
	v_cndmask_b32_e32 v1, v5, v1, vcc
	v_mov_b32_e32 v5, 0x37800000
	v_lshlrev_b32_e32 v1, 21, v1
	v_and_b32_e32 v3, 0x80000000, v3
	v_lshl_add_u32 v5, v8, 23, v5
	v_or3_b32 v1, v3, v5, v1
	v_cvt_i32_f32_e32 v13, v1
.LBB31_1175:
	s_or_b64 exec, exec, s[2:3]
	s_mov_b64 s[2:3], 0
	s_branch .LBB31_1181
.LBB31_1176:
                                        ; implicit-def: $vgpr13
	s_mov_b64 s[4:5], 0
	s_branch .LBB31_1187
.LBB31_1177:
	s_andn2_saveexec_b64 s[2:3], s[2:3]
	s_cbranch_execz .LBB31_1163
.LBB31_1178:
	v_cmp_ne_u16_e32 vcc, 0, v1
	s_andn2_b64 s[6:7], s[6:7], exec
	s_and_b64 s[16:17], vcc, exec
	s_or_b64 s[6:7], s[6:7], s[16:17]
	s_or_b64 exec, exec, s[2:3]
	v_mov_b32_e32 v13, 0
	s_and_saveexec_b64 s[2:3], s[6:7]
	s_cbranch_execnz .LBB31_1164
	s_branch .LBB31_1165
.LBB31_1179:
	s_mov_b64 s[2:3], -1
                                        ; implicit-def: $vgpr13
	s_branch .LBB31_1184
.LBB31_1180:
	s_mov_b64 s[2:3], -1
                                        ; implicit-def: $vgpr13
.LBB31_1181:
	s_and_b64 vcc, exec, s[2:3]
	s_cbranch_vccz .LBB31_1183
; %bb.1182:
	global_load_ubyte v1, v[15:16], off
	s_mov_b32 s2, 0x7f800000
	s_waitcnt vmcnt(0)
	v_lshlrev_b32_e32 v1, 24, v1
	v_and_b32_e32 v3, 0x7f000000, v1
	v_ffbh_u32_e32 v5, v3
	v_min_u32_e32 v5, 32, v5
	v_sub_u32_e64 v5, v5, 4 clamp
	v_lshlrev_b32_e32 v10, v5, v3
	v_lshlrev_b32_e32 v5, 23, v5
	v_lshrrev_b32_e32 v10, 4, v10
	v_add_u32_e32 v8, 0x1000000, v3
	v_sub_u32_e32 v5, v10, v5
	v_ashrrev_i32_e32 v8, 8, v8
	v_add_u32_e32 v5, 0x3c000000, v5
	v_and_or_b32 v5, v8, s2, v5
	v_cmp_ne_u32_e32 vcc, 0, v3
	v_cndmask_b32_e32 v3, 0, v5, vcc
	s_brev_b32 s2, 1
	v_and_or_b32 v1, v1, s2, v3
	v_cvt_i32_f32_e32 v13, v1
.LBB31_1183:
	s_mov_b64 s[2:3], 0
.LBB31_1184:
	s_andn2_b64 vcc, exec, s[2:3]
	s_cbranch_vccnz .LBB31_1186
; %bb.1185:
	global_load_ubyte v1, v[15:16], off
	s_movk_i32 s2, 0x7f00
	s_brev_b32 s3, 16
	s_waitcnt vmcnt(0)
	v_lshlrev_b16_e32 v3, 8, v1
	v_lshlrev_b32_e32 v1, 25, v1
	v_lshrrev_b32_e32 v5, 4, v1
	v_and_or_b32 v8, v3, s2, 0.5
	v_or_b32_e32 v5, 0x70000000, v5
	v_add_f32_e32 v8, -0.5, v8
	v_mul_f32_e32 v5, 0x7800000, v5
	v_cmp_gt_u32_e32 vcc, s3, v1
	v_bfe_i32 v3, v3, 0, 16
	v_cndmask_b32_e32 v1, v5, v8, vcc
	s_brev_b32 s2, 1
	v_and_or_b32 v1, v3, s2, v1
	v_cvt_i32_f32_e32 v13, v1
.LBB31_1186:
	s_mov_b64 s[6:7], -1
	s_mov_b64 s[4:5], 0
	s_cbranch_execnz .LBB31_1197
.LBB31_1187:
	s_cmp_gt_i32 s14, 14
	s_cbranch_scc0 .LBB31_1190
; %bb.1188:
	s_cmp_eq_u32 s14, 15
	s_cbranch_scc0 .LBB31_1193
; %bb.1189:
	global_load_ushort v1, v[15:16], off
	s_mov_b64 s[0:1], 0
	s_mov_b64 s[6:7], -1
	s_waitcnt vmcnt(0)
	v_lshlrev_b32_e32 v1, 16, v1
	v_cvt_i32_f32_e32 v13, v1
	s_branch .LBB31_1194
.LBB31_1190:
	s_mov_b64 s[2:3], -1
                                        ; implicit-def: $vgpr13
	s_branch .LBB31_1195
.LBB31_1191:
	s_andn2_saveexec_b64 s[2:3], s[2:3]
	s_cbranch_execz .LBB31_1173
.LBB31_1192:
	v_cmp_ne_u16_e32 vcc, 0, v1
	s_andn2_b64 s[4:5], s[4:5], exec
	s_and_b64 s[6:7], vcc, exec
	s_or_b64 s[4:5], s[4:5], s[6:7]
	s_or_b64 exec, exec, s[2:3]
	v_mov_b32_e32 v13, 0
	s_and_saveexec_b64 s[2:3], s[4:5]
	s_cbranch_execnz .LBB31_1174
	s_branch .LBB31_1175
.LBB31_1193:
	s_mov_b64 s[0:1], -1
                                        ; implicit-def: $vgpr13
.LBB31_1194:
	s_mov_b64 s[2:3], 0
.LBB31_1195:
	s_and_b64 vcc, exec, s[2:3]
	s_cbranch_vccz .LBB31_1197
; %bb.1196:
	s_cmp_lg_u32 s14, 11
	s_mov_b64 s[4:5], -1
	s_cselect_b64 s[0:1], -1, 0
.LBB31_1197:
	s_and_b64 vcc, exec, s[0:1]
	s_mov_b64 s[2:3], s[28:29]
	s_cbranch_vccnz .LBB31_1258
; %bb.1198:
	s_andn2_b64 vcc, exec, s[4:5]
	s_cbranch_vccnz .LBB31_1200
.LBB31_1199:
	global_load_ubyte v1, v[15:16], off
	s_mov_b64 s[6:7], -1
	s_waitcnt vmcnt(0)
	v_cmp_ne_u16_e32 vcc, 0, v1
	v_cndmask_b32_e64 v13, 0, 1, vcc
.LBB31_1200:
	s_branch .LBB31_1135
.LBB31_1201:
	s_and_b32 s4, 0xffff, s13
	s_cmp_lt_i32 s4, 5
	s_cbranch_scc1 .LBB31_1206
; %bb.1202:
	s_cmp_lt_i32 s4, 8
	s_cbranch_scc1 .LBB31_1207
; %bb.1203:
	;; [unrolled: 3-line block ×3, first 2 shown]
	s_cmp_gt_i32 s4, 9
	s_cbranch_scc0 .LBB31_1209
; %bb.1205:
	global_load_dwordx2 v[12:13], v[15:16], off
	s_mov_b64 s[0:1], 0
	s_waitcnt vmcnt(0)
	v_cvt_i32_f64_e32 v13, v[12:13]
	s_branch .LBB31_1210
.LBB31_1206:
                                        ; implicit-def: $vgpr13
	s_branch .LBB31_1227
.LBB31_1207:
                                        ; implicit-def: $vgpr13
	s_branch .LBB31_1216
.LBB31_1208:
	s_mov_b64 s[0:1], -1
                                        ; implicit-def: $vgpr13
	s_branch .LBB31_1213
.LBB31_1209:
	s_mov_b64 s[0:1], -1
                                        ; implicit-def: $vgpr13
.LBB31_1210:
	s_andn2_b64 vcc, exec, s[0:1]
	s_cbranch_vccnz .LBB31_1212
; %bb.1211:
	global_load_dword v1, v[15:16], off
	s_waitcnt vmcnt(0)
	v_cvt_i32_f32_e32 v13, v1
.LBB31_1212:
	s_mov_b64 s[0:1], 0
.LBB31_1213:
	s_andn2_b64 vcc, exec, s[0:1]
	s_cbranch_vccnz .LBB31_1215
; %bb.1214:
	global_load_dword v1, v[15:16], off
	s_waitcnt vmcnt(0)
	v_cvt_i16_f16_e32 v13, v1
.LBB31_1215:
	s_cbranch_execnz .LBB31_1226
.LBB31_1216:
	s_cmp_lt_i32 s4, 6
	s_cbranch_scc1 .LBB31_1219
; %bb.1217:
	s_cmp_gt_i32 s4, 6
	s_cbranch_scc0 .LBB31_1220
; %bb.1218:
	global_load_dwordx2 v[12:13], v[15:16], off
	s_mov_b64 s[0:1], 0
	s_waitcnt vmcnt(0)
	v_cvt_i32_f64_e32 v13, v[12:13]
	s_branch .LBB31_1221
.LBB31_1219:
	s_mov_b64 s[0:1], -1
                                        ; implicit-def: $vgpr13
	s_branch .LBB31_1224
.LBB31_1220:
	s_mov_b64 s[0:1], -1
                                        ; implicit-def: $vgpr13
.LBB31_1221:
	s_andn2_b64 vcc, exec, s[0:1]
	s_cbranch_vccnz .LBB31_1223
; %bb.1222:
	global_load_dword v1, v[15:16], off
	s_waitcnt vmcnt(0)
	v_cvt_i32_f32_e32 v13, v1
.LBB31_1223:
	s_mov_b64 s[0:1], 0
.LBB31_1224:
	s_andn2_b64 vcc, exec, s[0:1]
	s_cbranch_vccnz .LBB31_1226
; %bb.1225:
	global_load_ushort v1, v[15:16], off
	s_waitcnt vmcnt(0)
	v_cvt_i16_f16_e32 v13, v1
.LBB31_1226:
	s_cbranch_execnz .LBB31_1245
.LBB31_1227:
	s_cmp_lt_i32 s4, 2
	s_cbranch_scc1 .LBB31_1231
; %bb.1228:
	s_cmp_lt_i32 s4, 3
	s_cbranch_scc1 .LBB31_1232
; %bb.1229:
	s_cmp_gt_i32 s4, 3
	s_cbranch_scc0 .LBB31_1233
; %bb.1230:
	global_load_dwordx2 v[13:14], v[15:16], off
	s_mov_b64 s[0:1], 0
	s_branch .LBB31_1234
.LBB31_1231:
                                        ; implicit-def: $vgpr13
	s_branch .LBB31_1240
.LBB31_1232:
	s_mov_b64 s[0:1], -1
                                        ; implicit-def: $vgpr13
	s_branch .LBB31_1237
.LBB31_1233:
	s_mov_b64 s[0:1], -1
                                        ; implicit-def: $vgpr13
.LBB31_1234:
	s_andn2_b64 vcc, exec, s[0:1]
	s_cbranch_vccnz .LBB31_1236
; %bb.1235:
	global_load_dword v13, v[15:16], off
.LBB31_1236:
	s_mov_b64 s[0:1], 0
.LBB31_1237:
	s_andn2_b64 vcc, exec, s[0:1]
	s_cbranch_vccnz .LBB31_1239
; %bb.1238:
	global_load_ushort v13, v[15:16], off
.LBB31_1239:
	s_cbranch_execnz .LBB31_1245
.LBB31_1240:
	s_cmp_gt_i32 s4, 0
	s_cbranch_scc0 .LBB31_1242
; %bb.1241:
	global_load_ubyte v13, v[15:16], off
	s_mov_b64 s[0:1], 0
	s_branch .LBB31_1243
.LBB31_1242:
	s_mov_b64 s[0:1], -1
                                        ; implicit-def: $vgpr13
.LBB31_1243:
	s_andn2_b64 vcc, exec, s[0:1]
	s_cbranch_vccnz .LBB31_1245
; %bb.1244:
	global_load_ubyte v13, v[15:16], off
.LBB31_1245:
.LBB31_1246:
	s_lshr_b32 s0, s12, 8
	v_mov_b32_e32 v1, s11
	s_and_b32 s14, s0, 0xff
	s_waitcnt vmcnt(0)
	v_add_co_u32_e32 v14, vcc, s10, v11
	s_cmp_lt_i32 s14, 11
	v_addc_co_u32_e32 v15, vcc, 0, v1, vcc
	s_cbranch_scc1 .LBB31_1253
; %bb.1247:
	s_and_b32 s15, 0xffff, s14
	s_cmp_gt_i32 s15, 25
	s_mov_b64 s[4:5], 0
	s_cbranch_scc0 .LBB31_1255
; %bb.1248:
	s_cmp_gt_i32 s15, 28
	s_cbranch_scc0 .LBB31_1256
; %bb.1249:
	s_cmp_gt_i32 s15, 43
	;; [unrolled: 3-line block ×3, first 2 shown]
	s_cbranch_scc0 .LBB31_1259
; %bb.1251:
	s_cmp_eq_u32 s15, 46
	s_mov_b64 s[12:13], 0
	s_cbranch_scc0 .LBB31_1262
; %bb.1252:
	global_load_dword v1, v[14:15], off
	s_mov_b64 s[0:1], 0
	s_mov_b64 s[6:7], -1
	s_waitcnt vmcnt(0)
	v_lshlrev_b32_e32 v1, 16, v1
	v_cvt_i32_f32_e32 v11, v1
	s_branch .LBB31_1263
.LBB31_1253:
	s_mov_b64 s[6:7], 0
                                        ; implicit-def: $vgpr11
	s_cbranch_execnz .LBB31_1324
.LBB31_1254:
	s_andn2_b64 vcc, exec, s[6:7]
	s_cbranch_vccnz .LBB31_2055
	s_branch .LBB31_1371
.LBB31_1255:
	s_mov_b64 s[6:7], 0
	s_mov_b64 s[0:1], 0
                                        ; implicit-def: $vgpr11
	s_cbranch_execnz .LBB31_1290
	s_branch .LBB31_1320
.LBB31_1256:
	s_mov_b64 s[12:13], -1
	s_mov_b64 s[6:7], 0
	s_mov_b64 s[0:1], 0
                                        ; implicit-def: $vgpr11
	s_branch .LBB31_1273
.LBB31_1257:
	s_mov_b64 s[12:13], -1
	s_mov_b64 s[6:7], 0
	s_mov_b64 s[0:1], 0
                                        ; implicit-def: $vgpr11
	s_branch .LBB31_1268
.LBB31_1258:
	s_or_b64 s[2:3], s[28:29], exec
	s_trap 2
	s_cbranch_execz .LBB31_1199
	s_branch .LBB31_1200
.LBB31_1259:
	s_mov_b64 s[12:13], -1
	s_mov_b64 s[6:7], 0
	s_mov_b64 s[0:1], 0
                                        ; implicit-def: $vgpr11
	s_branch .LBB31_1263
.LBB31_1260:
	s_andn2_saveexec_b64 s[18:19], s[18:19]
	s_cbranch_execz .LBB31_991
.LBB31_1261:
	v_add_f32_e32 v0, 0x42800000, v3
	v_and_b32_e32 v0, 0xff, v0
	v_cmp_ne_u32_e32 vcc, 0, v0
	s_andn2_b64 s[16:17], s[16:17], exec
	s_and_b64 s[22:23], vcc, exec
	s_or_b64 s[16:17], s[16:17], s[22:23]
	s_or_b64 exec, exec, s[18:19]
	v_mov_b32_e32 v4, 0
	s_and_saveexec_b64 s[18:19], s[16:17]
	s_cbranch_execnz .LBB31_992
	s_branch .LBB31_993
.LBB31_1262:
	s_mov_b64 s[0:1], -1
                                        ; implicit-def: $vgpr11
	s_mov_b64 s[6:7], 0
.LBB31_1263:
	s_and_b64 vcc, exec, s[12:13]
	s_cbranch_vccz .LBB31_1267
; %bb.1264:
	s_cmp_eq_u32 s15, 44
	s_cbranch_scc0 .LBB31_1266
; %bb.1265:
	global_load_ubyte v1, v[14:15], off
	s_mov_b64 s[0:1], 0
	s_mov_b64 s[6:7], -1
	s_waitcnt vmcnt(0)
	v_lshlrev_b32_e32 v3, 23, v1
	v_cvt_i32_f32_e32 v3, v3
	v_cmp_ne_u32_e32 vcc, 0, v1
	v_cndmask_b32_e32 v11, 0, v3, vcc
	s_branch .LBB31_1267
.LBB31_1266:
	s_mov_b64 s[0:1], -1
                                        ; implicit-def: $vgpr11
.LBB31_1267:
	s_mov_b64 s[12:13], 0
.LBB31_1268:
	s_and_b64 vcc, exec, s[12:13]
	s_cbranch_vccz .LBB31_1272
; %bb.1269:
	s_cmp_eq_u32 s15, 29
	s_cbranch_scc0 .LBB31_1271
; %bb.1270:
	global_load_dwordx2 v[11:12], v[14:15], off
	s_mov_b64 s[0:1], 0
	s_mov_b64 s[6:7], -1
	s_branch .LBB31_1272
.LBB31_1271:
	s_mov_b64 s[0:1], -1
                                        ; implicit-def: $vgpr11
.LBB31_1272:
	s_mov_b64 s[12:13], 0
.LBB31_1273:
	s_and_b64 vcc, exec, s[12:13]
	s_cbranch_vccz .LBB31_1289
; %bb.1274:
	s_cmp_lt_i32 s15, 27
	s_cbranch_scc1 .LBB31_1277
; %bb.1275:
	s_cmp_gt_i32 s15, 27
	s_cbranch_scc0 .LBB31_1278
; %bb.1276:
	global_load_dword v11, v[14:15], off
	s_mov_b64 s[6:7], 0
	s_branch .LBB31_1279
.LBB31_1277:
	s_mov_b64 s[6:7], -1
                                        ; implicit-def: $vgpr11
	s_branch .LBB31_1282
.LBB31_1278:
	s_mov_b64 s[6:7], -1
                                        ; implicit-def: $vgpr11
.LBB31_1279:
	s_andn2_b64 vcc, exec, s[6:7]
	s_cbranch_vccnz .LBB31_1281
; %bb.1280:
	global_load_ushort v11, v[14:15], off
.LBB31_1281:
	s_mov_b64 s[6:7], 0
.LBB31_1282:
	s_andn2_b64 vcc, exec, s[6:7]
	s_cbranch_vccnz .LBB31_1288
; %bb.1283:
	global_load_ubyte v1, v[14:15], off
	s_movk_i32 s6, 0x7f
	s_mov_b64 s[12:13], 0
	s_waitcnt vmcnt(0)
	v_cmp_lt_i16_e32 vcc, s6, v1
	s_and_saveexec_b64 s[6:7], vcc
	s_xor_b64 s[6:7], exec, s[6:7]
	s_cbranch_execz .LBB31_1299
; %bb.1284:
	s_movk_i32 s12, 0x80
	v_cmp_ne_u16_e32 vcc, s12, v1
	s_and_b64 s[12:13], vcc, exec
	s_andn2_saveexec_b64 s[6:7], s[6:7]
	s_cbranch_execnz .LBB31_1300
.LBB31_1285:
	s_or_b64 exec, exec, s[6:7]
	v_mov_b32_e32 v11, 0
	s_and_saveexec_b64 s[6:7], s[12:13]
	s_cbranch_execz .LBB31_1287
.LBB31_1286:
	v_lshlrev_b32_e32 v3, 24, v1
	v_and_b32_e32 v1, 0xffff, v1
	v_and_b32_e32 v5, 7, v1
	v_ffbh_u32_e32 v10, v5
	v_min_u32_e32 v10, 32, v10
	v_subrev_u32_e32 v11, 28, v10
	v_bfe_u32 v8, v1, 3, 4
	v_lshlrev_b32_e32 v1, v11, v1
	v_sub_u32_e32 v10, 29, v10
	v_and_b32_e32 v1, 7, v1
	v_cmp_eq_u32_e32 vcc, 0, v8
	v_cndmask_b32_e32 v8, v8, v10, vcc
	v_cndmask_b32_e32 v1, v5, v1, vcc
	v_mov_b32_e32 v5, 0x3b800000
	v_lshlrev_b32_e32 v1, 20, v1
	v_and_b32_e32 v3, 0x80000000, v3
	v_lshl_add_u32 v5, v8, 23, v5
	v_or3_b32 v1, v3, v5, v1
	v_cvt_i32_f32_e32 v11, v1
.LBB31_1287:
	s_or_b64 exec, exec, s[6:7]
.LBB31_1288:
	s_mov_b64 s[6:7], -1
.LBB31_1289:
	s_branch .LBB31_1320
.LBB31_1290:
	s_cmp_gt_i32 s15, 22
	s_cbranch_scc0 .LBB31_1298
; %bb.1291:
	s_cmp_lt_i32 s15, 24
	s_cbranch_scc1 .LBB31_1301
; %bb.1292:
	s_cmp_gt_i32 s15, 24
	s_cbranch_scc0 .LBB31_1302
; %bb.1293:
	global_load_ubyte v1, v[14:15], off
	s_movk_i32 s4, 0x7f
	s_mov_b64 s[6:7], 0
	s_waitcnt vmcnt(0)
	v_cmp_lt_i16_e32 vcc, s4, v1
	s_and_saveexec_b64 s[4:5], vcc
	s_xor_b64 s[4:5], exec, s[4:5]
	s_cbranch_execz .LBB31_1314
; %bb.1294:
	s_movk_i32 s6, 0x80
	v_cmp_ne_u16_e32 vcc, s6, v1
	s_and_b64 s[6:7], vcc, exec
	s_andn2_saveexec_b64 s[4:5], s[4:5]
	s_cbranch_execnz .LBB31_1315
.LBB31_1295:
	s_or_b64 exec, exec, s[4:5]
	v_mov_b32_e32 v11, 0
	s_and_saveexec_b64 s[4:5], s[6:7]
	s_cbranch_execz .LBB31_1297
.LBB31_1296:
	v_lshlrev_b32_e32 v3, 24, v1
	v_and_b32_e32 v1, 0xffff, v1
	v_and_b32_e32 v5, 3, v1
	v_ffbh_u32_e32 v10, v5
	v_min_u32_e32 v10, 32, v10
	v_subrev_u32_e32 v11, 29, v10
	v_bfe_u32 v8, v1, 2, 5
	v_lshlrev_b32_e32 v1, v11, v1
	v_sub_u32_e32 v10, 30, v10
	v_and_b32_e32 v1, 3, v1
	v_cmp_eq_u32_e32 vcc, 0, v8
	v_cndmask_b32_e32 v8, v8, v10, vcc
	v_cndmask_b32_e32 v1, v5, v1, vcc
	v_mov_b32_e32 v5, 0x37800000
	v_lshlrev_b32_e32 v1, 21, v1
	v_and_b32_e32 v3, 0x80000000, v3
	v_lshl_add_u32 v5, v8, 23, v5
	v_or3_b32 v1, v3, v5, v1
	v_cvt_i32_f32_e32 v11, v1
.LBB31_1297:
	s_or_b64 exec, exec, s[4:5]
	s_mov_b64 s[4:5], 0
	s_branch .LBB31_1303
.LBB31_1298:
	s_mov_b64 s[4:5], -1
                                        ; implicit-def: $vgpr11
	s_branch .LBB31_1309
.LBB31_1299:
	s_andn2_saveexec_b64 s[6:7], s[6:7]
	s_cbranch_execz .LBB31_1285
.LBB31_1300:
	v_cmp_ne_u16_e32 vcc, 0, v1
	s_andn2_b64 s[12:13], s[12:13], exec
	s_and_b64 s[16:17], vcc, exec
	s_or_b64 s[12:13], s[12:13], s[16:17]
	s_or_b64 exec, exec, s[6:7]
	v_mov_b32_e32 v11, 0
	s_and_saveexec_b64 s[6:7], s[12:13]
	s_cbranch_execnz .LBB31_1286
	s_branch .LBB31_1287
.LBB31_1301:
	s_mov_b64 s[4:5], -1
                                        ; implicit-def: $vgpr11
	s_branch .LBB31_1306
.LBB31_1302:
	s_mov_b64 s[4:5], -1
                                        ; implicit-def: $vgpr11
.LBB31_1303:
	s_and_b64 vcc, exec, s[4:5]
	s_cbranch_vccz .LBB31_1305
; %bb.1304:
	global_load_ubyte v1, v[14:15], off
	s_mov_b32 s4, 0x7f800000
	s_waitcnt vmcnt(0)
	v_lshlrev_b32_e32 v1, 24, v1
	v_and_b32_e32 v3, 0x7f000000, v1
	v_ffbh_u32_e32 v5, v3
	v_min_u32_e32 v5, 32, v5
	v_sub_u32_e64 v5, v5, 4 clamp
	v_lshlrev_b32_e32 v10, v5, v3
	v_lshlrev_b32_e32 v5, 23, v5
	v_lshrrev_b32_e32 v10, 4, v10
	v_add_u32_e32 v8, 0x1000000, v3
	v_sub_u32_e32 v5, v10, v5
	v_ashrrev_i32_e32 v8, 8, v8
	v_add_u32_e32 v5, 0x3c000000, v5
	v_and_or_b32 v5, v8, s4, v5
	v_cmp_ne_u32_e32 vcc, 0, v3
	v_cndmask_b32_e32 v3, 0, v5, vcc
	s_brev_b32 s4, 1
	v_and_or_b32 v1, v1, s4, v3
	v_cvt_i32_f32_e32 v11, v1
.LBB31_1305:
	s_mov_b64 s[4:5], 0
.LBB31_1306:
	s_andn2_b64 vcc, exec, s[4:5]
	s_cbranch_vccnz .LBB31_1308
; %bb.1307:
	global_load_ubyte v1, v[14:15], off
	s_movk_i32 s4, 0x7f00
	s_brev_b32 s5, 16
	s_waitcnt vmcnt(0)
	v_lshlrev_b16_e32 v3, 8, v1
	v_lshlrev_b32_e32 v1, 25, v1
	v_lshrrev_b32_e32 v5, 4, v1
	v_and_or_b32 v8, v3, s4, 0.5
	v_or_b32_e32 v5, 0x70000000, v5
	v_add_f32_e32 v8, -0.5, v8
	v_mul_f32_e32 v5, 0x7800000, v5
	v_cmp_gt_u32_e32 vcc, s5, v1
	v_bfe_i32 v3, v3, 0, 16
	v_cndmask_b32_e32 v1, v5, v8, vcc
	s_brev_b32 s4, 1
	v_and_or_b32 v1, v3, s4, v1
	v_cvt_i32_f32_e32 v11, v1
.LBB31_1308:
	s_mov_b64 s[4:5], 0
	s_mov_b64 s[6:7], -1
.LBB31_1309:
	s_andn2_b64 vcc, exec, s[4:5]
	s_mov_b64 s[4:5], 0
	s_cbranch_vccnz .LBB31_1320
; %bb.1310:
	s_cmp_gt_i32 s15, 14
	s_cbranch_scc0 .LBB31_1313
; %bb.1311:
	s_cmp_eq_u32 s15, 15
	s_cbranch_scc0 .LBB31_1316
; %bb.1312:
	global_load_ushort v1, v[14:15], off
	s_mov_b64 s[0:1], 0
	s_mov_b64 s[6:7], -1
	s_waitcnt vmcnt(0)
	v_lshlrev_b32_e32 v1, 16, v1
	v_cvt_i32_f32_e32 v11, v1
	s_branch .LBB31_1317
.LBB31_1313:
	s_mov_b64 s[12:13], -1
                                        ; implicit-def: $vgpr11
	s_branch .LBB31_1318
.LBB31_1314:
	s_andn2_saveexec_b64 s[4:5], s[4:5]
	s_cbranch_execz .LBB31_1295
.LBB31_1315:
	v_cmp_ne_u16_e32 vcc, 0, v1
	s_andn2_b64 s[6:7], s[6:7], exec
	s_and_b64 s[12:13], vcc, exec
	s_or_b64 s[6:7], s[6:7], s[12:13]
	s_or_b64 exec, exec, s[4:5]
	v_mov_b32_e32 v11, 0
	s_and_saveexec_b64 s[4:5], s[6:7]
	s_cbranch_execnz .LBB31_1296
	s_branch .LBB31_1297
.LBB31_1316:
	s_mov_b64 s[0:1], -1
                                        ; implicit-def: $vgpr11
.LBB31_1317:
	s_mov_b64 s[12:13], 0
.LBB31_1318:
	s_and_b64 vcc, exec, s[12:13]
	s_cbranch_vccz .LBB31_1320
; %bb.1319:
	s_cmp_lg_u32 s15, 11
	s_mov_b64 s[4:5], -1
	s_cselect_b64 s[0:1], -1, 0
.LBB31_1320:
	s_and_b64 vcc, exec, s[0:1]
	s_cbranch_vccnz .LBB31_1383
; %bb.1321:
	s_andn2_b64 vcc, exec, s[4:5]
	s_cbranch_vccnz .LBB31_1323
.LBB31_1322:
	global_load_ubyte v1, v[14:15], off
	s_mov_b64 s[6:7], -1
	s_waitcnt vmcnt(0)
	v_cmp_ne_u16_e32 vcc, 0, v1
	v_cndmask_b32_e64 v11, 0, 1, vcc
.LBB31_1323:
	s_branch .LBB31_1254
.LBB31_1324:
	s_and_b32 s4, 0xffff, s14
	s_cmp_lt_i32 s4, 5
	s_cbranch_scc1 .LBB31_1329
; %bb.1325:
	s_cmp_lt_i32 s4, 8
	s_cbranch_scc1 .LBB31_1330
; %bb.1326:
	;; [unrolled: 3-line block ×3, first 2 shown]
	s_cmp_gt_i32 s4, 9
	s_cbranch_scc0 .LBB31_1332
; %bb.1328:
	global_load_dwordx2 v[10:11], v[14:15], off
	s_mov_b64 s[0:1], 0
	s_waitcnt vmcnt(0)
	v_cvt_i32_f64_e32 v11, v[10:11]
	s_branch .LBB31_1333
.LBB31_1329:
                                        ; implicit-def: $vgpr11
	s_branch .LBB31_1351
.LBB31_1330:
	s_mov_b64 s[0:1], -1
                                        ; implicit-def: $vgpr11
	s_branch .LBB31_1339
.LBB31_1331:
	s_mov_b64 s[0:1], -1
                                        ; implicit-def: $vgpr11
	s_branch .LBB31_1336
.LBB31_1332:
	s_mov_b64 s[0:1], -1
                                        ; implicit-def: $vgpr11
.LBB31_1333:
	s_andn2_b64 vcc, exec, s[0:1]
	s_cbranch_vccnz .LBB31_1335
; %bb.1334:
	global_load_dword v1, v[14:15], off
	s_waitcnt vmcnt(0)
	v_cvt_i32_f32_e32 v11, v1
.LBB31_1335:
	s_mov_b64 s[0:1], 0
.LBB31_1336:
	s_andn2_b64 vcc, exec, s[0:1]
	s_cbranch_vccnz .LBB31_1338
; %bb.1337:
	global_load_dword v1, v[14:15], off
	s_waitcnt vmcnt(0)
	v_cvt_i16_f16_e32 v11, v1
.LBB31_1338:
	s_mov_b64 s[0:1], 0
.LBB31_1339:
	s_andn2_b64 vcc, exec, s[0:1]
	s_cbranch_vccnz .LBB31_1350
; %bb.1340:
	s_cmp_lt_i32 s4, 6
	s_cbranch_scc1 .LBB31_1343
; %bb.1341:
	s_cmp_gt_i32 s4, 6
	s_cbranch_scc0 .LBB31_1344
; %bb.1342:
	global_load_dwordx2 v[10:11], v[14:15], off
	s_mov_b64 s[0:1], 0
	s_waitcnt vmcnt(0)
	v_cvt_i32_f64_e32 v11, v[10:11]
	s_branch .LBB31_1345
.LBB31_1343:
	s_mov_b64 s[0:1], -1
                                        ; implicit-def: $vgpr11
	s_branch .LBB31_1348
.LBB31_1344:
	s_mov_b64 s[0:1], -1
                                        ; implicit-def: $vgpr11
.LBB31_1345:
	s_andn2_b64 vcc, exec, s[0:1]
	s_cbranch_vccnz .LBB31_1347
; %bb.1346:
	global_load_dword v1, v[14:15], off
	s_waitcnt vmcnt(0)
	v_cvt_i32_f32_e32 v11, v1
.LBB31_1347:
	s_mov_b64 s[0:1], 0
.LBB31_1348:
	s_andn2_b64 vcc, exec, s[0:1]
	s_cbranch_vccnz .LBB31_1350
; %bb.1349:
	global_load_ushort v1, v[14:15], off
	s_waitcnt vmcnt(0)
	v_cvt_i16_f16_e32 v11, v1
.LBB31_1350:
	s_cbranch_execnz .LBB31_1370
.LBB31_1351:
	s_cmp_lt_i32 s4, 2
	s_cbranch_scc1 .LBB31_1355
; %bb.1352:
	s_cmp_lt_i32 s4, 3
	s_cbranch_scc1 .LBB31_1356
; %bb.1353:
	s_cmp_gt_i32 s4, 3
	s_cbranch_scc0 .LBB31_1357
; %bb.1354:
	global_load_dwordx2 v[11:12], v[14:15], off
	s_mov_b64 s[0:1], 0
	s_branch .LBB31_1358
.LBB31_1355:
	s_mov_b64 s[0:1], -1
                                        ; implicit-def: $vgpr11
	s_branch .LBB31_1364
.LBB31_1356:
	s_mov_b64 s[0:1], -1
                                        ; implicit-def: $vgpr11
	s_branch .LBB31_1361
.LBB31_1357:
	s_mov_b64 s[0:1], -1
                                        ; implicit-def: $vgpr11
.LBB31_1358:
	s_andn2_b64 vcc, exec, s[0:1]
	s_cbranch_vccnz .LBB31_1360
; %bb.1359:
	global_load_dword v11, v[14:15], off
.LBB31_1360:
	s_mov_b64 s[0:1], 0
.LBB31_1361:
	s_andn2_b64 vcc, exec, s[0:1]
	s_cbranch_vccnz .LBB31_1363
; %bb.1362:
	global_load_ushort v11, v[14:15], off
.LBB31_1363:
	s_mov_b64 s[0:1], 0
.LBB31_1364:
	s_andn2_b64 vcc, exec, s[0:1]
	s_cbranch_vccnz .LBB31_1370
; %bb.1365:
	s_cmp_gt_i32 s4, 0
	s_cbranch_scc0 .LBB31_1367
; %bb.1366:
	global_load_ubyte v11, v[14:15], off
	s_mov_b64 s[0:1], 0
	s_branch .LBB31_1368
.LBB31_1367:
	s_mov_b64 s[0:1], -1
                                        ; implicit-def: $vgpr11
.LBB31_1368:
	s_andn2_b64 vcc, exec, s[0:1]
	s_cbranch_vccnz .LBB31_1370
; %bb.1369:
	global_load_ubyte v11, v[14:15], off
.LBB31_1370:
.LBB31_1371:
	v_mov_b32_e32 v1, s11
	v_add_co_u32_e32 v14, vcc, s10, v9
	s_cmp_lt_i32 s14, 11
	v_addc_co_u32_e32 v15, vcc, 0, v1, vcc
	s_cbranch_scc1 .LBB31_1378
; %bb.1372:
	s_and_b32 s15, 0xffff, s14
	s_cmp_gt_i32 s15, 25
	s_mov_b64 s[4:5], 0
	s_cbranch_scc0 .LBB31_1380
; %bb.1373:
	s_cmp_gt_i32 s15, 28
	s_cbranch_scc0 .LBB31_1381
; %bb.1374:
	s_cmp_gt_i32 s15, 43
	;; [unrolled: 3-line block ×3, first 2 shown]
	s_cbranch_scc0 .LBB31_1384
; %bb.1376:
	s_cmp_eq_u32 s15, 46
	s_mov_b64 s[12:13], 0
	s_cbranch_scc0 .LBB31_1385
; %bb.1377:
	global_load_dword v1, v[14:15], off
	s_mov_b64 s[0:1], 0
	s_mov_b64 s[6:7], -1
	s_waitcnt vmcnt(0)
	v_lshlrev_b32_e32 v1, 16, v1
	v_cvt_i32_f32_e32 v9, v1
	s_branch .LBB31_1386
.LBB31_1378:
	s_mov_b64 s[6:7], 0
                                        ; implicit-def: $vgpr9
	s_cbranch_execnz .LBB31_1448
.LBB31_1379:
	s_andn2_b64 vcc, exec, s[6:7]
	s_cbranch_vccnz .LBB31_2055
	s_branch .LBB31_1496
.LBB31_1380:
	s_mov_b64 s[12:13], -1
	s_mov_b64 s[6:7], 0
	s_mov_b64 s[0:1], 0
                                        ; implicit-def: $vgpr9
	s_branch .LBB31_1413
.LBB31_1381:
	s_mov_b64 s[12:13], -1
	s_mov_b64 s[6:7], 0
	s_mov_b64 s[0:1], 0
                                        ; implicit-def: $vgpr9
	s_branch .LBB31_1396
.LBB31_1382:
	s_mov_b64 s[12:13], -1
	s_mov_b64 s[6:7], 0
	s_mov_b64 s[0:1], 0
                                        ; implicit-def: $vgpr9
	s_branch .LBB31_1391
.LBB31_1383:
	s_trap 2
	s_or_b64 s[2:3], s[2:3], exec
	s_cbranch_execz .LBB31_1322
	s_branch .LBB31_1323
.LBB31_1384:
	s_mov_b64 s[12:13], -1
	s_mov_b64 s[6:7], 0
	s_mov_b64 s[0:1], 0
                                        ; implicit-def: $vgpr9
	s_branch .LBB31_1386
.LBB31_1385:
	s_mov_b64 s[0:1], -1
                                        ; implicit-def: $vgpr9
	s_mov_b64 s[6:7], 0
.LBB31_1386:
	s_and_b64 vcc, exec, s[12:13]
	s_cbranch_vccz .LBB31_1390
; %bb.1387:
	s_cmp_eq_u32 s15, 44
	s_cbranch_scc0 .LBB31_1389
; %bb.1388:
	global_load_ubyte v1, v[14:15], off
	s_mov_b64 s[0:1], 0
	s_mov_b64 s[6:7], -1
	s_waitcnt vmcnt(0)
	v_lshlrev_b32_e32 v3, 23, v1
	v_cvt_i32_f32_e32 v3, v3
	v_cmp_ne_u32_e32 vcc, 0, v1
	v_cndmask_b32_e32 v9, 0, v3, vcc
	s_branch .LBB31_1390
.LBB31_1389:
	s_mov_b64 s[0:1], -1
                                        ; implicit-def: $vgpr9
.LBB31_1390:
	s_mov_b64 s[12:13], 0
.LBB31_1391:
	s_and_b64 vcc, exec, s[12:13]
	s_cbranch_vccz .LBB31_1395
; %bb.1392:
	s_cmp_eq_u32 s15, 29
	s_cbranch_scc0 .LBB31_1394
; %bb.1393:
	global_load_dwordx2 v[9:10], v[14:15], off
	s_mov_b64 s[0:1], 0
	s_mov_b64 s[6:7], -1
	s_branch .LBB31_1395
.LBB31_1394:
	s_mov_b64 s[0:1], -1
                                        ; implicit-def: $vgpr9
.LBB31_1395:
	s_mov_b64 s[12:13], 0
.LBB31_1396:
	s_and_b64 vcc, exec, s[12:13]
	s_cbranch_vccz .LBB31_1412
; %bb.1397:
	s_cmp_lt_i32 s15, 27
	s_cbranch_scc1 .LBB31_1400
; %bb.1398:
	s_cmp_gt_i32 s15, 27
	s_cbranch_scc0 .LBB31_1401
; %bb.1399:
	global_load_dword v9, v[14:15], off
	s_mov_b64 s[6:7], 0
	s_branch .LBB31_1402
.LBB31_1400:
	s_mov_b64 s[6:7], -1
                                        ; implicit-def: $vgpr9
	s_branch .LBB31_1405
.LBB31_1401:
	s_mov_b64 s[6:7], -1
                                        ; implicit-def: $vgpr9
.LBB31_1402:
	s_andn2_b64 vcc, exec, s[6:7]
	s_cbranch_vccnz .LBB31_1404
; %bb.1403:
	global_load_ushort v9, v[14:15], off
.LBB31_1404:
	s_mov_b64 s[6:7], 0
.LBB31_1405:
	s_andn2_b64 vcc, exec, s[6:7]
	s_cbranch_vccnz .LBB31_1411
; %bb.1406:
	global_load_ubyte v1, v[14:15], off
	s_movk_i32 s6, 0x7f
	s_mov_b64 s[12:13], 0
	s_waitcnt vmcnt(0)
	v_cmp_lt_i16_e32 vcc, s6, v1
	s_and_saveexec_b64 s[6:7], vcc
	s_xor_b64 s[6:7], exec, s[6:7]
	s_cbranch_execz .LBB31_1423
; %bb.1407:
	s_movk_i32 s12, 0x80
	v_cmp_ne_u16_e32 vcc, s12, v1
	s_and_b64 s[12:13], vcc, exec
	s_andn2_saveexec_b64 s[6:7], s[6:7]
	s_cbranch_execnz .LBB31_1424
.LBB31_1408:
	s_or_b64 exec, exec, s[6:7]
	v_mov_b32_e32 v9, 0
	s_and_saveexec_b64 s[6:7], s[12:13]
	s_cbranch_execz .LBB31_1410
.LBB31_1409:
	v_lshlrev_b32_e32 v3, 24, v1
	v_and_b32_e32 v1, 0xffff, v1
	v_and_b32_e32 v5, 7, v1
	v_ffbh_u32_e32 v9, v5
	v_min_u32_e32 v9, 32, v9
	v_subrev_u32_e32 v10, 28, v9
	v_bfe_u32 v8, v1, 3, 4
	v_lshlrev_b32_e32 v1, v10, v1
	v_sub_u32_e32 v9, 29, v9
	v_and_b32_e32 v1, 7, v1
	v_cmp_eq_u32_e32 vcc, 0, v8
	v_cndmask_b32_e32 v8, v8, v9, vcc
	v_cndmask_b32_e32 v1, v5, v1, vcc
	v_mov_b32_e32 v5, 0x3b800000
	v_lshlrev_b32_e32 v1, 20, v1
	v_and_b32_e32 v3, 0x80000000, v3
	v_lshl_add_u32 v5, v8, 23, v5
	v_or3_b32 v1, v3, v5, v1
	v_cvt_i32_f32_e32 v9, v1
.LBB31_1410:
	s_or_b64 exec, exec, s[6:7]
.LBB31_1411:
	s_mov_b64 s[6:7], -1
.LBB31_1412:
	s_mov_b64 s[12:13], 0
.LBB31_1413:
	s_and_b64 vcc, exec, s[12:13]
	s_cbranch_vccz .LBB31_1444
; %bb.1414:
	s_cmp_gt_i32 s15, 22
	s_cbranch_scc0 .LBB31_1422
; %bb.1415:
	s_cmp_lt_i32 s15, 24
	s_cbranch_scc1 .LBB31_1425
; %bb.1416:
	s_cmp_gt_i32 s15, 24
	s_cbranch_scc0 .LBB31_1426
; %bb.1417:
	global_load_ubyte v1, v[14:15], off
	s_movk_i32 s4, 0x7f
	s_mov_b64 s[6:7], 0
	s_waitcnt vmcnt(0)
	v_cmp_lt_i16_e32 vcc, s4, v1
	s_and_saveexec_b64 s[4:5], vcc
	s_xor_b64 s[4:5], exec, s[4:5]
	s_cbranch_execz .LBB31_1438
; %bb.1418:
	s_movk_i32 s6, 0x80
	v_cmp_ne_u16_e32 vcc, s6, v1
	s_and_b64 s[6:7], vcc, exec
	s_andn2_saveexec_b64 s[4:5], s[4:5]
	s_cbranch_execnz .LBB31_1439
.LBB31_1419:
	s_or_b64 exec, exec, s[4:5]
	v_mov_b32_e32 v9, 0
	s_and_saveexec_b64 s[4:5], s[6:7]
	s_cbranch_execz .LBB31_1421
.LBB31_1420:
	v_lshlrev_b32_e32 v3, 24, v1
	v_and_b32_e32 v1, 0xffff, v1
	v_and_b32_e32 v5, 3, v1
	v_ffbh_u32_e32 v9, v5
	v_min_u32_e32 v9, 32, v9
	v_subrev_u32_e32 v10, 29, v9
	v_bfe_u32 v8, v1, 2, 5
	v_lshlrev_b32_e32 v1, v10, v1
	v_sub_u32_e32 v9, 30, v9
	v_and_b32_e32 v1, 3, v1
	v_cmp_eq_u32_e32 vcc, 0, v8
	v_cndmask_b32_e32 v8, v8, v9, vcc
	v_cndmask_b32_e32 v1, v5, v1, vcc
	v_mov_b32_e32 v5, 0x37800000
	v_lshlrev_b32_e32 v1, 21, v1
	v_and_b32_e32 v3, 0x80000000, v3
	v_lshl_add_u32 v5, v8, 23, v5
	v_or3_b32 v1, v3, v5, v1
	v_cvt_i32_f32_e32 v9, v1
.LBB31_1421:
	s_or_b64 exec, exec, s[4:5]
	s_mov_b64 s[4:5], 0
	s_branch .LBB31_1427
.LBB31_1422:
	s_mov_b64 s[4:5], -1
                                        ; implicit-def: $vgpr9
	s_branch .LBB31_1433
.LBB31_1423:
	s_andn2_saveexec_b64 s[6:7], s[6:7]
	s_cbranch_execz .LBB31_1408
.LBB31_1424:
	v_cmp_ne_u16_e32 vcc, 0, v1
	s_andn2_b64 s[12:13], s[12:13], exec
	s_and_b64 s[16:17], vcc, exec
	s_or_b64 s[12:13], s[12:13], s[16:17]
	s_or_b64 exec, exec, s[6:7]
	v_mov_b32_e32 v9, 0
	s_and_saveexec_b64 s[6:7], s[12:13]
	s_cbranch_execnz .LBB31_1409
	s_branch .LBB31_1410
.LBB31_1425:
	s_mov_b64 s[4:5], -1
                                        ; implicit-def: $vgpr9
	s_branch .LBB31_1430
.LBB31_1426:
	s_mov_b64 s[4:5], -1
                                        ; implicit-def: $vgpr9
.LBB31_1427:
	s_and_b64 vcc, exec, s[4:5]
	s_cbranch_vccz .LBB31_1429
; %bb.1428:
	global_load_ubyte v1, v[14:15], off
	s_mov_b32 s4, 0x7f800000
	s_waitcnt vmcnt(0)
	v_lshlrev_b32_e32 v1, 24, v1
	v_and_b32_e32 v3, 0x7f000000, v1
	v_ffbh_u32_e32 v5, v3
	v_min_u32_e32 v5, 32, v5
	v_sub_u32_e64 v5, v5, 4 clamp
	v_lshlrev_b32_e32 v9, v5, v3
	v_lshlrev_b32_e32 v5, 23, v5
	v_lshrrev_b32_e32 v9, 4, v9
	v_add_u32_e32 v8, 0x1000000, v3
	v_sub_u32_e32 v5, v9, v5
	v_ashrrev_i32_e32 v8, 8, v8
	v_add_u32_e32 v5, 0x3c000000, v5
	v_and_or_b32 v5, v8, s4, v5
	v_cmp_ne_u32_e32 vcc, 0, v3
	v_cndmask_b32_e32 v3, 0, v5, vcc
	s_brev_b32 s4, 1
	v_and_or_b32 v1, v1, s4, v3
	v_cvt_i32_f32_e32 v9, v1
.LBB31_1429:
	s_mov_b64 s[4:5], 0
.LBB31_1430:
	s_andn2_b64 vcc, exec, s[4:5]
	s_cbranch_vccnz .LBB31_1432
; %bb.1431:
	global_load_ubyte v1, v[14:15], off
	s_movk_i32 s4, 0x7f00
	s_brev_b32 s5, 16
	s_waitcnt vmcnt(0)
	v_lshlrev_b16_e32 v3, 8, v1
	v_lshlrev_b32_e32 v1, 25, v1
	v_lshrrev_b32_e32 v5, 4, v1
	v_and_or_b32 v8, v3, s4, 0.5
	v_or_b32_e32 v5, 0x70000000, v5
	v_add_f32_e32 v8, -0.5, v8
	v_mul_f32_e32 v5, 0x7800000, v5
	v_cmp_gt_u32_e32 vcc, s5, v1
	v_bfe_i32 v3, v3, 0, 16
	v_cndmask_b32_e32 v1, v5, v8, vcc
	s_brev_b32 s4, 1
	v_and_or_b32 v1, v3, s4, v1
	v_cvt_i32_f32_e32 v9, v1
.LBB31_1432:
	s_mov_b64 s[4:5], 0
	s_mov_b64 s[6:7], -1
.LBB31_1433:
	s_andn2_b64 vcc, exec, s[4:5]
	s_mov_b64 s[4:5], 0
	s_cbranch_vccnz .LBB31_1444
; %bb.1434:
	s_cmp_gt_i32 s15, 14
	s_cbranch_scc0 .LBB31_1437
; %bb.1435:
	s_cmp_eq_u32 s15, 15
	s_cbranch_scc0 .LBB31_1440
; %bb.1436:
	global_load_ushort v1, v[14:15], off
	s_mov_b64 s[0:1], 0
	s_mov_b64 s[6:7], -1
	s_waitcnt vmcnt(0)
	v_lshlrev_b32_e32 v1, 16, v1
	v_cvt_i32_f32_e32 v9, v1
	s_branch .LBB31_1441
.LBB31_1437:
	s_mov_b64 s[12:13], -1
                                        ; implicit-def: $vgpr9
	s_branch .LBB31_1442
.LBB31_1438:
	s_andn2_saveexec_b64 s[4:5], s[4:5]
	s_cbranch_execz .LBB31_1419
.LBB31_1439:
	v_cmp_ne_u16_e32 vcc, 0, v1
	s_andn2_b64 s[6:7], s[6:7], exec
	s_and_b64 s[12:13], vcc, exec
	s_or_b64 s[6:7], s[6:7], s[12:13]
	s_or_b64 exec, exec, s[4:5]
	v_mov_b32_e32 v9, 0
	s_and_saveexec_b64 s[4:5], s[6:7]
	s_cbranch_execnz .LBB31_1420
	s_branch .LBB31_1421
.LBB31_1440:
	s_mov_b64 s[0:1], -1
                                        ; implicit-def: $vgpr9
.LBB31_1441:
	s_mov_b64 s[12:13], 0
.LBB31_1442:
	s_and_b64 vcc, exec, s[12:13]
	s_cbranch_vccz .LBB31_1444
; %bb.1443:
	s_cmp_lg_u32 s15, 11
	s_mov_b64 s[4:5], -1
	s_cselect_b64 s[0:1], -1, 0
.LBB31_1444:
	s_and_b64 vcc, exec, s[0:1]
	s_cbranch_vccnz .LBB31_1507
; %bb.1445:
	s_andn2_b64 vcc, exec, s[4:5]
	s_cbranch_vccnz .LBB31_1447
.LBB31_1446:
	global_load_ubyte v1, v[14:15], off
	s_mov_b64 s[6:7], -1
	s_waitcnt vmcnt(0)
	v_cmp_ne_u16_e32 vcc, 0, v1
	v_cndmask_b32_e64 v9, 0, 1, vcc
.LBB31_1447:
	s_branch .LBB31_1379
.LBB31_1448:
	s_and_b32 s4, 0xffff, s14
	s_cmp_lt_i32 s4, 5
	s_cbranch_scc1 .LBB31_1453
; %bb.1449:
	s_cmp_lt_i32 s4, 8
	s_cbranch_scc1 .LBB31_1454
; %bb.1450:
	;; [unrolled: 3-line block ×3, first 2 shown]
	s_cmp_gt_i32 s4, 9
	s_cbranch_scc0 .LBB31_1456
; %bb.1452:
	global_load_dwordx2 v[8:9], v[14:15], off
	s_mov_b64 s[0:1], 0
	s_waitcnt vmcnt(0)
	v_cvt_i32_f64_e32 v9, v[8:9]
	s_branch .LBB31_1457
.LBB31_1453:
	s_mov_b64 s[0:1], -1
                                        ; implicit-def: $vgpr9
	s_branch .LBB31_1475
.LBB31_1454:
	s_mov_b64 s[0:1], -1
                                        ; implicit-def: $vgpr9
	s_branch .LBB31_1463
.LBB31_1455:
	s_mov_b64 s[0:1], -1
                                        ; implicit-def: $vgpr9
	s_branch .LBB31_1460
.LBB31_1456:
	s_mov_b64 s[0:1], -1
                                        ; implicit-def: $vgpr9
.LBB31_1457:
	s_andn2_b64 vcc, exec, s[0:1]
	s_cbranch_vccnz .LBB31_1459
; %bb.1458:
	global_load_dword v1, v[14:15], off
	s_waitcnt vmcnt(0)
	v_cvt_i32_f32_e32 v9, v1
.LBB31_1459:
	s_mov_b64 s[0:1], 0
.LBB31_1460:
	s_andn2_b64 vcc, exec, s[0:1]
	s_cbranch_vccnz .LBB31_1462
; %bb.1461:
	global_load_dword v1, v[14:15], off
	s_waitcnt vmcnt(0)
	v_cvt_i16_f16_e32 v9, v1
.LBB31_1462:
	s_mov_b64 s[0:1], 0
.LBB31_1463:
	s_andn2_b64 vcc, exec, s[0:1]
	s_cbranch_vccnz .LBB31_1474
; %bb.1464:
	s_cmp_lt_i32 s4, 6
	s_cbranch_scc1 .LBB31_1467
; %bb.1465:
	s_cmp_gt_i32 s4, 6
	s_cbranch_scc0 .LBB31_1468
; %bb.1466:
	global_load_dwordx2 v[8:9], v[14:15], off
	s_mov_b64 s[0:1], 0
	s_waitcnt vmcnt(0)
	v_cvt_i32_f64_e32 v9, v[8:9]
	s_branch .LBB31_1469
.LBB31_1467:
	s_mov_b64 s[0:1], -1
                                        ; implicit-def: $vgpr9
	s_branch .LBB31_1472
.LBB31_1468:
	s_mov_b64 s[0:1], -1
                                        ; implicit-def: $vgpr9
.LBB31_1469:
	s_andn2_b64 vcc, exec, s[0:1]
	s_cbranch_vccnz .LBB31_1471
; %bb.1470:
	global_load_dword v1, v[14:15], off
	s_waitcnt vmcnt(0)
	v_cvt_i32_f32_e32 v9, v1
.LBB31_1471:
	s_mov_b64 s[0:1], 0
.LBB31_1472:
	s_andn2_b64 vcc, exec, s[0:1]
	s_cbranch_vccnz .LBB31_1474
; %bb.1473:
	global_load_ushort v1, v[14:15], off
	s_waitcnt vmcnt(0)
	v_cvt_i16_f16_e32 v9, v1
.LBB31_1474:
	s_mov_b64 s[0:1], 0
.LBB31_1475:
	s_andn2_b64 vcc, exec, s[0:1]
	s_cbranch_vccnz .LBB31_1495
; %bb.1476:
	s_cmp_lt_i32 s4, 2
	s_cbranch_scc1 .LBB31_1480
; %bb.1477:
	s_cmp_lt_i32 s4, 3
	s_cbranch_scc1 .LBB31_1481
; %bb.1478:
	s_cmp_gt_i32 s4, 3
	s_cbranch_scc0 .LBB31_1482
; %bb.1479:
	global_load_dwordx2 v[9:10], v[14:15], off
	s_mov_b64 s[0:1], 0
	s_branch .LBB31_1483
.LBB31_1480:
	s_mov_b64 s[0:1], -1
                                        ; implicit-def: $vgpr9
	s_branch .LBB31_1489
.LBB31_1481:
	s_mov_b64 s[0:1], -1
                                        ; implicit-def: $vgpr9
	s_branch .LBB31_1486
.LBB31_1482:
	s_mov_b64 s[0:1], -1
                                        ; implicit-def: $vgpr9
.LBB31_1483:
	s_andn2_b64 vcc, exec, s[0:1]
	s_cbranch_vccnz .LBB31_1485
; %bb.1484:
	global_load_dword v9, v[14:15], off
.LBB31_1485:
	s_mov_b64 s[0:1], 0
.LBB31_1486:
	s_andn2_b64 vcc, exec, s[0:1]
	s_cbranch_vccnz .LBB31_1488
; %bb.1487:
	global_load_ushort v9, v[14:15], off
.LBB31_1488:
	s_mov_b64 s[0:1], 0
.LBB31_1489:
	s_andn2_b64 vcc, exec, s[0:1]
	s_cbranch_vccnz .LBB31_1495
; %bb.1490:
	s_cmp_gt_i32 s4, 0
	s_cbranch_scc0 .LBB31_1492
; %bb.1491:
	global_load_ubyte v9, v[14:15], off
	s_mov_b64 s[0:1], 0
	s_branch .LBB31_1493
.LBB31_1492:
	s_mov_b64 s[0:1], -1
                                        ; implicit-def: $vgpr9
.LBB31_1493:
	s_andn2_b64 vcc, exec, s[0:1]
	s_cbranch_vccnz .LBB31_1495
; %bb.1494:
	global_load_ubyte v9, v[14:15], off
.LBB31_1495:
.LBB31_1496:
	v_mov_b32_e32 v1, s11
	v_add_co_u32_e32 v14, vcc, s10, v7
	s_cmp_lt_i32 s14, 11
	v_addc_co_u32_e32 v15, vcc, 0, v1, vcc
	s_cbranch_scc1 .LBB31_1503
; %bb.1497:
	s_and_b32 s12, 0xffff, s14
	s_cmp_gt_i32 s12, 25
	s_mov_b64 s[4:5], 0
	s_cbranch_scc0 .LBB31_1504
; %bb.1498:
	s_cmp_gt_i32 s12, 28
	s_cbranch_scc0 .LBB31_1505
; %bb.1499:
	s_cmp_gt_i32 s12, 43
	;; [unrolled: 3-line block ×3, first 2 shown]
	s_cbranch_scc0 .LBB31_1508
; %bb.1501:
	s_cmp_eq_u32 s12, 46
	s_mov_b64 s[10:11], 0
	s_cbranch_scc0 .LBB31_1509
; %bb.1502:
	global_load_dword v1, v[14:15], off
	s_mov_b64 s[0:1], 0
	s_mov_b64 s[6:7], -1
	s_waitcnt vmcnt(0)
	v_lshlrev_b32_e32 v1, 16, v1
	v_cvt_i32_f32_e32 v7, v1
	s_branch .LBB31_1510
.LBB31_1503:
	s_mov_b64 s[0:1], -1
	s_mov_b64 s[6:7], 0
                                        ; implicit-def: $vgpr7
	s_branch .LBB31_1572
.LBB31_1504:
	s_mov_b64 s[10:11], -1
	s_mov_b64 s[6:7], 0
	s_mov_b64 s[0:1], 0
                                        ; implicit-def: $vgpr7
	s_branch .LBB31_1537
.LBB31_1505:
	s_mov_b64 s[10:11], -1
	s_mov_b64 s[6:7], 0
	s_mov_b64 s[0:1], 0
                                        ; implicit-def: $vgpr7
	s_branch .LBB31_1520
.LBB31_1506:
	s_mov_b64 s[10:11], -1
	s_mov_b64 s[6:7], 0
	s_mov_b64 s[0:1], 0
                                        ; implicit-def: $vgpr7
	s_branch .LBB31_1515
.LBB31_1507:
	s_trap 2
	s_or_b64 s[2:3], s[2:3], exec
	s_cbranch_execz .LBB31_1446
	s_branch .LBB31_1447
.LBB31_1508:
	s_mov_b64 s[10:11], -1
	s_mov_b64 s[6:7], 0
	s_mov_b64 s[0:1], 0
                                        ; implicit-def: $vgpr7
	s_branch .LBB31_1510
.LBB31_1509:
	s_mov_b64 s[0:1], -1
                                        ; implicit-def: $vgpr7
	s_mov_b64 s[6:7], 0
.LBB31_1510:
	s_and_b64 vcc, exec, s[10:11]
	s_cbranch_vccz .LBB31_1514
; %bb.1511:
	s_cmp_eq_u32 s12, 44
	s_cbranch_scc0 .LBB31_1513
; %bb.1512:
	global_load_ubyte v1, v[14:15], off
	s_mov_b64 s[0:1], 0
	s_mov_b64 s[6:7], -1
	s_waitcnt vmcnt(0)
	v_lshlrev_b32_e32 v3, 23, v1
	v_cvt_i32_f32_e32 v3, v3
	v_cmp_ne_u32_e32 vcc, 0, v1
	v_cndmask_b32_e32 v7, 0, v3, vcc
	s_branch .LBB31_1514
.LBB31_1513:
	s_mov_b64 s[0:1], -1
                                        ; implicit-def: $vgpr7
.LBB31_1514:
	s_mov_b64 s[10:11], 0
.LBB31_1515:
	s_and_b64 vcc, exec, s[10:11]
	s_cbranch_vccz .LBB31_1519
; %bb.1516:
	s_cmp_eq_u32 s12, 29
	s_cbranch_scc0 .LBB31_1518
; %bb.1517:
	global_load_dwordx2 v[7:8], v[14:15], off
	s_mov_b64 s[0:1], 0
	s_mov_b64 s[6:7], -1
	s_branch .LBB31_1519
.LBB31_1518:
	s_mov_b64 s[0:1], -1
                                        ; implicit-def: $vgpr7
.LBB31_1519:
	s_mov_b64 s[10:11], 0
.LBB31_1520:
	s_and_b64 vcc, exec, s[10:11]
	s_cbranch_vccz .LBB31_1536
; %bb.1521:
	s_cmp_lt_i32 s12, 27
	s_cbranch_scc1 .LBB31_1524
; %bb.1522:
	s_cmp_gt_i32 s12, 27
	s_cbranch_scc0 .LBB31_1525
; %bb.1523:
	global_load_dword v7, v[14:15], off
	s_mov_b64 s[6:7], 0
	s_branch .LBB31_1526
.LBB31_1524:
	s_mov_b64 s[6:7], -1
                                        ; implicit-def: $vgpr7
	s_branch .LBB31_1529
.LBB31_1525:
	s_mov_b64 s[6:7], -1
                                        ; implicit-def: $vgpr7
.LBB31_1526:
	s_andn2_b64 vcc, exec, s[6:7]
	s_cbranch_vccnz .LBB31_1528
; %bb.1527:
	global_load_ushort v7, v[14:15], off
.LBB31_1528:
	s_mov_b64 s[6:7], 0
.LBB31_1529:
	s_andn2_b64 vcc, exec, s[6:7]
	s_cbranch_vccnz .LBB31_1535
; %bb.1530:
	global_load_ubyte v1, v[14:15], off
	s_movk_i32 s6, 0x7f
	s_mov_b64 s[10:11], 0
	s_waitcnt vmcnt(0)
	v_cmp_lt_i16_e32 vcc, s6, v1
	s_and_saveexec_b64 s[6:7], vcc
	s_xor_b64 s[6:7], exec, s[6:7]
	s_cbranch_execz .LBB31_1547
; %bb.1531:
	s_movk_i32 s10, 0x80
	v_cmp_ne_u16_e32 vcc, s10, v1
	s_and_b64 s[10:11], vcc, exec
	s_andn2_saveexec_b64 s[6:7], s[6:7]
	s_cbranch_execnz .LBB31_1548
.LBB31_1532:
	s_or_b64 exec, exec, s[6:7]
	v_mov_b32_e32 v7, 0
	s_and_saveexec_b64 s[6:7], s[10:11]
	s_cbranch_execz .LBB31_1534
.LBB31_1533:
	v_lshlrev_b32_e32 v3, 24, v1
	v_and_b32_e32 v1, 0xffff, v1
	v_and_b32_e32 v5, 7, v1
	v_ffbh_u32_e32 v8, v5
	v_min_u32_e32 v8, 32, v8
	v_subrev_u32_e32 v10, 28, v8
	v_bfe_u32 v7, v1, 3, 4
	v_lshlrev_b32_e32 v1, v10, v1
	v_sub_u32_e32 v8, 29, v8
	v_and_b32_e32 v1, 7, v1
	v_cmp_eq_u32_e32 vcc, 0, v7
	v_cndmask_b32_e32 v7, v7, v8, vcc
	v_cndmask_b32_e32 v1, v5, v1, vcc
	v_mov_b32_e32 v5, 0x3b800000
	v_lshlrev_b32_e32 v1, 20, v1
	v_and_b32_e32 v3, 0x80000000, v3
	v_lshl_add_u32 v5, v7, 23, v5
	v_or3_b32 v1, v3, v5, v1
	v_cvt_i32_f32_e32 v7, v1
.LBB31_1534:
	s_or_b64 exec, exec, s[6:7]
.LBB31_1535:
	s_mov_b64 s[6:7], -1
.LBB31_1536:
	s_mov_b64 s[10:11], 0
.LBB31_1537:
	s_and_b64 vcc, exec, s[10:11]
	s_cbranch_vccz .LBB31_1568
; %bb.1538:
	s_cmp_gt_i32 s12, 22
	s_cbranch_scc0 .LBB31_1546
; %bb.1539:
	s_cmp_lt_i32 s12, 24
	s_cbranch_scc1 .LBB31_1549
; %bb.1540:
	s_cmp_gt_i32 s12, 24
	s_cbranch_scc0 .LBB31_1550
; %bb.1541:
	global_load_ubyte v1, v[14:15], off
	s_movk_i32 s4, 0x7f
	s_mov_b64 s[6:7], 0
	s_waitcnt vmcnt(0)
	v_cmp_lt_i16_e32 vcc, s4, v1
	s_and_saveexec_b64 s[4:5], vcc
	s_xor_b64 s[4:5], exec, s[4:5]
	s_cbranch_execz .LBB31_1562
; %bb.1542:
	s_movk_i32 s6, 0x80
	v_cmp_ne_u16_e32 vcc, s6, v1
	s_and_b64 s[6:7], vcc, exec
	s_andn2_saveexec_b64 s[4:5], s[4:5]
	s_cbranch_execnz .LBB31_1563
.LBB31_1543:
	s_or_b64 exec, exec, s[4:5]
	v_mov_b32_e32 v7, 0
	s_and_saveexec_b64 s[4:5], s[6:7]
	s_cbranch_execz .LBB31_1545
.LBB31_1544:
	v_lshlrev_b32_e32 v3, 24, v1
	v_and_b32_e32 v1, 0xffff, v1
	v_and_b32_e32 v5, 3, v1
	v_ffbh_u32_e32 v8, v5
	v_min_u32_e32 v8, 32, v8
	v_subrev_u32_e32 v10, 29, v8
	v_bfe_u32 v7, v1, 2, 5
	v_lshlrev_b32_e32 v1, v10, v1
	v_sub_u32_e32 v8, 30, v8
	v_and_b32_e32 v1, 3, v1
	v_cmp_eq_u32_e32 vcc, 0, v7
	v_cndmask_b32_e32 v7, v7, v8, vcc
	v_cndmask_b32_e32 v1, v5, v1, vcc
	v_mov_b32_e32 v5, 0x37800000
	v_lshlrev_b32_e32 v1, 21, v1
	v_and_b32_e32 v3, 0x80000000, v3
	v_lshl_add_u32 v5, v7, 23, v5
	v_or3_b32 v1, v3, v5, v1
	v_cvt_i32_f32_e32 v7, v1
.LBB31_1545:
	s_or_b64 exec, exec, s[4:5]
	s_mov_b64 s[4:5], 0
	s_branch .LBB31_1551
.LBB31_1546:
	s_mov_b64 s[4:5], -1
                                        ; implicit-def: $vgpr7
	s_branch .LBB31_1557
.LBB31_1547:
	s_andn2_saveexec_b64 s[6:7], s[6:7]
	s_cbranch_execz .LBB31_1532
.LBB31_1548:
	v_cmp_ne_u16_e32 vcc, 0, v1
	s_andn2_b64 s[10:11], s[10:11], exec
	s_and_b64 s[16:17], vcc, exec
	s_or_b64 s[10:11], s[10:11], s[16:17]
	s_or_b64 exec, exec, s[6:7]
	v_mov_b32_e32 v7, 0
	s_and_saveexec_b64 s[6:7], s[10:11]
	s_cbranch_execnz .LBB31_1533
	s_branch .LBB31_1534
.LBB31_1549:
	s_mov_b64 s[4:5], -1
                                        ; implicit-def: $vgpr7
	s_branch .LBB31_1554
.LBB31_1550:
	s_mov_b64 s[4:5], -1
                                        ; implicit-def: $vgpr7
.LBB31_1551:
	s_and_b64 vcc, exec, s[4:5]
	s_cbranch_vccz .LBB31_1553
; %bb.1552:
	global_load_ubyte v1, v[14:15], off
	s_mov_b32 s4, 0x7f800000
	s_waitcnt vmcnt(0)
	v_lshlrev_b32_e32 v1, 24, v1
	v_and_b32_e32 v3, 0x7f000000, v1
	v_ffbh_u32_e32 v5, v3
	v_min_u32_e32 v5, 32, v5
	v_sub_u32_e64 v5, v5, 4 clamp
	v_lshlrev_b32_e32 v8, v5, v3
	v_lshlrev_b32_e32 v5, 23, v5
	v_lshrrev_b32_e32 v8, 4, v8
	v_add_u32_e32 v7, 0x1000000, v3
	v_sub_u32_e32 v5, v8, v5
	v_ashrrev_i32_e32 v7, 8, v7
	v_add_u32_e32 v5, 0x3c000000, v5
	v_and_or_b32 v5, v7, s4, v5
	v_cmp_ne_u32_e32 vcc, 0, v3
	v_cndmask_b32_e32 v3, 0, v5, vcc
	s_brev_b32 s4, 1
	v_and_or_b32 v1, v1, s4, v3
	v_cvt_i32_f32_e32 v7, v1
.LBB31_1553:
	s_mov_b64 s[4:5], 0
.LBB31_1554:
	s_andn2_b64 vcc, exec, s[4:5]
	s_cbranch_vccnz .LBB31_1556
; %bb.1555:
	global_load_ubyte v1, v[14:15], off
	s_movk_i32 s4, 0x7f00
	s_brev_b32 s5, 16
	s_waitcnt vmcnt(0)
	v_lshlrev_b16_e32 v3, 8, v1
	v_lshlrev_b32_e32 v1, 25, v1
	v_lshrrev_b32_e32 v5, 4, v1
	v_and_or_b32 v7, v3, s4, 0.5
	v_or_b32_e32 v5, 0x70000000, v5
	v_add_f32_e32 v7, -0.5, v7
	v_mul_f32_e32 v5, 0x7800000, v5
	v_cmp_gt_u32_e32 vcc, s5, v1
	v_bfe_i32 v3, v3, 0, 16
	v_cndmask_b32_e32 v1, v5, v7, vcc
	s_brev_b32 s4, 1
	v_and_or_b32 v1, v3, s4, v1
	v_cvt_i32_f32_e32 v7, v1
.LBB31_1556:
	s_mov_b64 s[4:5], 0
	s_mov_b64 s[6:7], -1
.LBB31_1557:
	s_andn2_b64 vcc, exec, s[4:5]
	s_mov_b64 s[4:5], 0
	s_cbranch_vccnz .LBB31_1568
; %bb.1558:
	s_cmp_gt_i32 s12, 14
	s_cbranch_scc0 .LBB31_1561
; %bb.1559:
	s_cmp_eq_u32 s12, 15
	s_cbranch_scc0 .LBB31_1564
; %bb.1560:
	global_load_ushort v1, v[14:15], off
	s_mov_b64 s[0:1], 0
	s_mov_b64 s[6:7], -1
	s_waitcnt vmcnt(0)
	v_lshlrev_b32_e32 v1, 16, v1
	v_cvt_i32_f32_e32 v7, v1
	s_branch .LBB31_1565
.LBB31_1561:
	s_mov_b64 s[10:11], -1
                                        ; implicit-def: $vgpr7
	s_branch .LBB31_1566
.LBB31_1562:
	s_andn2_saveexec_b64 s[4:5], s[4:5]
	s_cbranch_execz .LBB31_1543
.LBB31_1563:
	v_cmp_ne_u16_e32 vcc, 0, v1
	s_andn2_b64 s[6:7], s[6:7], exec
	s_and_b64 s[10:11], vcc, exec
	s_or_b64 s[6:7], s[6:7], s[10:11]
	s_or_b64 exec, exec, s[4:5]
	v_mov_b32_e32 v7, 0
	s_and_saveexec_b64 s[4:5], s[6:7]
	s_cbranch_execnz .LBB31_1544
	s_branch .LBB31_1545
.LBB31_1564:
	s_mov_b64 s[0:1], -1
                                        ; implicit-def: $vgpr7
.LBB31_1565:
	s_mov_b64 s[10:11], 0
.LBB31_1566:
	s_and_b64 vcc, exec, s[10:11]
	s_cbranch_vccz .LBB31_1568
; %bb.1567:
	s_cmp_lg_u32 s12, 11
	s_mov_b64 s[4:5], -1
	s_cselect_b64 s[0:1], -1, 0
.LBB31_1568:
	s_and_b64 vcc, exec, s[0:1]
	s_cbranch_vccnz .LBB31_2101
; %bb.1569:
	s_andn2_b64 vcc, exec, s[4:5]
	s_cbranch_vccnz .LBB31_1571
.LBB31_1570:
	global_load_ubyte v1, v[14:15], off
	s_mov_b64 s[6:7], -1
	s_waitcnt vmcnt(0)
	v_cmp_ne_u16_e32 vcc, 0, v1
	v_cndmask_b32_e64 v7, 0, 1, vcc
.LBB31_1571:
	s_mov_b64 s[0:1], 0
.LBB31_1572:
	s_and_b64 vcc, exec, s[0:1]
	s_cbranch_vccz .LBB31_1621
; %bb.1573:
	s_and_b32 s4, 0xffff, s14
	s_cmp_lt_i32 s4, 5
	s_cbranch_scc1 .LBB31_1578
; %bb.1574:
	s_cmp_lt_i32 s4, 8
	s_cbranch_scc1 .LBB31_1579
; %bb.1575:
	;; [unrolled: 3-line block ×3, first 2 shown]
	s_cmp_gt_i32 s4, 9
	s_cbranch_scc0 .LBB31_1581
; %bb.1577:
	global_load_dwordx2 v[7:8], v[14:15], off
	s_mov_b64 s[0:1], 0
	s_waitcnt vmcnt(0)
	v_cvt_i32_f64_e32 v7, v[7:8]
	s_branch .LBB31_1582
.LBB31_1578:
	s_mov_b64 s[0:1], -1
                                        ; implicit-def: $vgpr7
	s_branch .LBB31_1600
.LBB31_1579:
	s_mov_b64 s[0:1], -1
                                        ; implicit-def: $vgpr7
	s_branch .LBB31_1588
.LBB31_1580:
	s_mov_b64 s[0:1], -1
                                        ; implicit-def: $vgpr7
	s_branch .LBB31_1585
.LBB31_1581:
	s_mov_b64 s[0:1], -1
                                        ; implicit-def: $vgpr7
.LBB31_1582:
	s_andn2_b64 vcc, exec, s[0:1]
	s_cbranch_vccnz .LBB31_1584
; %bb.1583:
	global_load_dword v1, v[14:15], off
	s_waitcnt vmcnt(0)
	v_cvt_i32_f32_e32 v7, v1
.LBB31_1584:
	s_mov_b64 s[0:1], 0
.LBB31_1585:
	s_andn2_b64 vcc, exec, s[0:1]
	s_cbranch_vccnz .LBB31_1587
; %bb.1586:
	global_load_dword v1, v[14:15], off
	s_waitcnt vmcnt(0)
	v_cvt_i16_f16_e32 v7, v1
.LBB31_1587:
	s_mov_b64 s[0:1], 0
.LBB31_1588:
	s_andn2_b64 vcc, exec, s[0:1]
	s_cbranch_vccnz .LBB31_1599
; %bb.1589:
	s_cmp_lt_i32 s4, 6
	s_cbranch_scc1 .LBB31_1592
; %bb.1590:
	s_cmp_gt_i32 s4, 6
	s_cbranch_scc0 .LBB31_1593
; %bb.1591:
	global_load_dwordx2 v[7:8], v[14:15], off
	s_mov_b64 s[0:1], 0
	s_waitcnt vmcnt(0)
	v_cvt_i32_f64_e32 v7, v[7:8]
	s_branch .LBB31_1594
.LBB31_1592:
	s_mov_b64 s[0:1], -1
                                        ; implicit-def: $vgpr7
	s_branch .LBB31_1597
.LBB31_1593:
	s_mov_b64 s[0:1], -1
                                        ; implicit-def: $vgpr7
.LBB31_1594:
	s_andn2_b64 vcc, exec, s[0:1]
	s_cbranch_vccnz .LBB31_1596
; %bb.1595:
	global_load_dword v1, v[14:15], off
	s_waitcnt vmcnt(0)
	v_cvt_i32_f32_e32 v7, v1
.LBB31_1596:
	s_mov_b64 s[0:1], 0
.LBB31_1597:
	s_andn2_b64 vcc, exec, s[0:1]
	s_cbranch_vccnz .LBB31_1599
; %bb.1598:
	global_load_ushort v1, v[14:15], off
	s_waitcnt vmcnt(0)
	v_cvt_i16_f16_e32 v7, v1
.LBB31_1599:
	s_mov_b64 s[0:1], 0
.LBB31_1600:
	s_andn2_b64 vcc, exec, s[0:1]
	s_cbranch_vccnz .LBB31_1620
; %bb.1601:
	s_cmp_lt_i32 s4, 2
	s_cbranch_scc1 .LBB31_1605
; %bb.1602:
	s_cmp_lt_i32 s4, 3
	s_cbranch_scc1 .LBB31_1606
; %bb.1603:
	s_cmp_gt_i32 s4, 3
	s_cbranch_scc0 .LBB31_1607
; %bb.1604:
	global_load_dwordx2 v[7:8], v[14:15], off
	s_mov_b64 s[0:1], 0
	s_branch .LBB31_1608
.LBB31_1605:
	s_mov_b64 s[0:1], -1
                                        ; implicit-def: $vgpr7
	s_branch .LBB31_1614
.LBB31_1606:
	s_mov_b64 s[0:1], -1
                                        ; implicit-def: $vgpr7
	s_branch .LBB31_1611
.LBB31_1607:
	s_mov_b64 s[0:1], -1
                                        ; implicit-def: $vgpr7
.LBB31_1608:
	s_andn2_b64 vcc, exec, s[0:1]
	s_cbranch_vccnz .LBB31_1610
; %bb.1609:
	global_load_dword v7, v[14:15], off
.LBB31_1610:
	s_mov_b64 s[0:1], 0
.LBB31_1611:
	s_andn2_b64 vcc, exec, s[0:1]
	s_cbranch_vccnz .LBB31_1613
; %bb.1612:
	global_load_ushort v7, v[14:15], off
.LBB31_1613:
	s_mov_b64 s[0:1], 0
.LBB31_1614:
	s_andn2_b64 vcc, exec, s[0:1]
	s_cbranch_vccnz .LBB31_1620
; %bb.1615:
	s_cmp_gt_i32 s4, 0
	s_cbranch_scc0 .LBB31_1617
; %bb.1616:
	global_load_ubyte v7, v[14:15], off
	s_mov_b64 s[0:1], 0
	s_branch .LBB31_1618
.LBB31_1617:
	s_mov_b64 s[0:1], -1
                                        ; implicit-def: $vgpr7
.LBB31_1618:
	s_andn2_b64 vcc, exec, s[0:1]
	s_cbranch_vccnz .LBB31_1620
; %bb.1619:
	global_load_ubyte v7, v[14:15], off
.LBB31_1620:
	s_mov_b64 s[6:7], -1
.LBB31_1621:
	s_andn2_b64 vcc, exec, s[6:7]
	s_cbranch_vccnz .LBB31_2055
; %bb.1622:
	s_load_dwordx2 s[0:1], s[34:35], 0x158
	s_load_dword s6, s[34:35], 0x160
	v_mov_b32_e32 v1, s9
	v_add_co_u32_e32 v5, vcc, s8, v6
	s_waitcnt lgkmcnt(0)
	s_cmp_eq_u32 s0, 0
	s_cselect_b64 s[4:5], -1, 0
	s_and_b32 s19, s1, 0xff
	v_cmp_ne_u16_sdwa s[0:1], s19, v13 src0_sel:DWORD src1_sel:BYTE_0
	s_and_b32 s18, s6, 0xff
	s_xor_b64 s[6:7], s[4:5], s[0:1]
	s_cmp_lt_i32 s18, 11
	v_addc_co_u32_e32 v6, vcc, 0, v1, vcc
	s_cbranch_scc1 .LBB31_1700
; %bb.1623:
	s_and_b32 s20, 0xffff, s18
	s_mov_b64 s[14:15], -1
	s_mov_b64 s[10:11], 0
	s_cmp_gt_i32 s20, 25
	s_mov_b64 s[12:13], 0
	s_mov_b64 s[0:1], 0
	s_cbranch_scc0 .LBB31_1656
; %bb.1624:
	s_cmp_gt_i32 s20, 28
	s_cbranch_scc0 .LBB31_1639
; %bb.1625:
	s_cmp_gt_i32 s20, 43
	;; [unrolled: 3-line block ×3, first 2 shown]
	s_cbranch_scc0 .LBB31_1629
; %bb.1627:
	s_mov_b64 s[0:1], -1
	s_mov_b64 s[14:15], 0
	s_cmp_eq_u32 s20, 46
	s_cbranch_scc0 .LBB31_1629
; %bb.1628:
	v_cndmask_b32_e64 v1, 0, 1.0, s[6:7]
	v_bfe_u32 v3, v1, 16, 1
	s_movk_i32 s0, 0x7fff
	v_add3_u32 v1, v1, v3, s0
	v_lshrrev_b32_e32 v1, 16, v1
	global_store_dword v[5:6], v1, off
	s_mov_b64 s[0:1], 0
	s_mov_b64 s[12:13], -1
.LBB31_1629:
	s_and_b64 vcc, exec, s[14:15]
	s_cbranch_vccz .LBB31_1634
; %bb.1630:
	s_cmp_eq_u32 s20, 44
	s_mov_b64 s[0:1], -1
	s_cbranch_scc0 .LBB31_1634
; %bb.1631:
	v_cndmask_b32_e64 v3, 0, 1.0, s[6:7]
	v_lshrrev_b32_e32 v1, 23, v3
	s_movk_i32 s0, 0xff
	v_cmp_ne_u32_e32 vcc, s0, v1
	s_waitcnt vmcnt(0)
	v_mov_b32_e32 v8, 0xff
	s_and_saveexec_b64 s[12:13], vcc
; %bb.1632:
	s_mov_b32 s0, 0x3fffff
	v_and_b32_e32 v8, 0x400000, v3
	v_and_or_b32 v3, v3, s0, v1
	v_cmp_ne_u32_e32 vcc, 0, v8
	v_cmp_ne_u32_e64 s[0:1], 0, v3
	s_and_b64 s[0:1], vcc, s[0:1]
	v_cndmask_b32_e64 v3, 0, 1, s[0:1]
	v_add_u32_e32 v8, v1, v3
; %bb.1633:
	s_or_b64 exec, exec, s[12:13]
	s_mov_b64 s[0:1], 0
	s_mov_b64 s[12:13], -1
	global_store_byte v[5:6], v8, off
.LBB31_1634:
	s_mov_b64 s[14:15], 0
.LBB31_1635:
	s_and_b64 vcc, exec, s[14:15]
	s_cbranch_vccz .LBB31_1638
; %bb.1636:
	s_cmp_eq_u32 s20, 29
	s_mov_b64 s[0:1], -1
	s_cbranch_scc0 .LBB31_1638
; %bb.1637:
	s_mov_b32 s0, 0
	s_waitcnt vmcnt(0)
	v_cndmask_b32_e64 v12, 0, 1, s[6:7]
	v_mov_b32_e32 v13, s0
	global_store_dwordx2 v[5:6], v[12:13], off
	s_mov_b64 s[0:1], 0
	s_mov_b64 s[12:13], -1
.LBB31_1638:
	s_mov_b64 s[14:15], 0
.LBB31_1639:
	s_and_b64 vcc, exec, s[14:15]
	s_cbranch_vccz .LBB31_1655
; %bb.1640:
	s_cmp_lt_i32 s20, 27
	s_mov_b64 s[12:13], -1
	s_cbranch_scc1 .LBB31_1646
; %bb.1641:
	s_cmp_gt_i32 s20, 27
	s_cbranch_scc0 .LBB31_1643
; %bb.1642:
	v_cndmask_b32_e64 v1, 0, 1, s[6:7]
	s_mov_b64 s[12:13], 0
	global_store_dword v[5:6], v1, off
.LBB31_1643:
	s_andn2_b64 vcc, exec, s[12:13]
	s_cbranch_vccnz .LBB31_1645
; %bb.1644:
	v_cndmask_b32_e64 v1, 0, 1, s[6:7]
	global_store_short v[5:6], v1, off
.LBB31_1645:
	s_mov_b64 s[12:13], 0
.LBB31_1646:
	s_andn2_b64 vcc, exec, s[12:13]
	s_cbranch_vccnz .LBB31_1654
; %bb.1647:
	v_cndmask_b32_e64 v3, 0, 1.0, s[6:7]
	s_mov_b32 s12, 0x43800000
	v_cmp_gt_u32_e32 vcc, s12, v3
	s_waitcnt vmcnt(0)
	v_mov_b32_e32 v8, 0x80
	s_and_saveexec_b64 s[12:13], vcc
	s_cbranch_execz .LBB31_1653
; %bb.1648:
	s_mov_b32 s14, 0x3bffffff
	v_cmp_lt_u32_e32 vcc, s14, v3
	s_mov_b64 s[14:15], 0
                                        ; implicit-def: $vgpr1
	s_and_saveexec_b64 s[16:17], vcc
	s_xor_b64 s[16:17], exec, s[16:17]
	s_cbranch_execz .LBB31_2102
; %bb.1649:
	v_bfe_u32 v1, v3, 20, 1
	s_mov_b32 s21, 0x487ffff
	v_add3_u32 v1, v3, v1, s21
	s_mov_b64 s[14:15], exec
	v_lshrrev_b32_e32 v1, 20, v1
                                        ; implicit-def: $vgpr3
	s_andn2_saveexec_b64 s[16:17], s[16:17]
	s_cbranch_execnz .LBB31_2103
.LBB31_1650:
	s_or_b64 exec, exec, s[16:17]
	v_mov_b32_e32 v8, 0
	s_and_saveexec_b64 s[16:17], s[14:15]
.LBB31_1651:
	v_mov_b32_e32 v8, v1
.LBB31_1652:
	s_or_b64 exec, exec, s[16:17]
.LBB31_1653:
	s_or_b64 exec, exec, s[12:13]
	global_store_byte v[5:6], v8, off
.LBB31_1654:
	s_mov_b64 s[12:13], -1
.LBB31_1655:
	s_mov_b64 s[14:15], 0
.LBB31_1656:
	s_and_b64 vcc, exec, s[14:15]
	s_cbranch_vccz .LBB31_1696
; %bb.1657:
	s_cmp_gt_i32 s20, 22
	s_mov_b64 s[10:11], -1
	s_cbranch_scc0 .LBB31_1689
; %bb.1658:
	s_cmp_lt_i32 s20, 24
	s_cbranch_scc1 .LBB31_1678
; %bb.1659:
	s_cmp_gt_i32 s20, 24
	s_cbranch_scc0 .LBB31_1667
; %bb.1660:
	v_cndmask_b32_e64 v3, 0, 1.0, s[6:7]
	s_mov_b32 s10, 0x47800000
	v_cmp_gt_u32_e32 vcc, s10, v3
	s_waitcnt vmcnt(0)
	v_mov_b32_e32 v8, 0x80
	s_and_saveexec_b64 s[10:11], vcc
	s_cbranch_execz .LBB31_1666
; %bb.1661:
	s_mov_b32 s12, 0x37ffffff
	v_cmp_lt_u32_e32 vcc, s12, v3
	s_mov_b64 s[12:13], 0
                                        ; implicit-def: $vgpr1
	s_and_saveexec_b64 s[14:15], vcc
	s_xor_b64 s[14:15], exec, s[14:15]
	s_cbranch_execz .LBB31_2105
; %bb.1662:
	v_bfe_u32 v1, v3, 21, 1
	s_mov_b32 s16, 0x88fffff
	v_add3_u32 v1, v3, v1, s16
	s_mov_b64 s[12:13], exec
	v_lshrrev_b32_e32 v1, 21, v1
                                        ; implicit-def: $vgpr3
	s_andn2_saveexec_b64 s[14:15], s[14:15]
	s_cbranch_execnz .LBB31_2106
.LBB31_1663:
	s_or_b64 exec, exec, s[14:15]
	v_mov_b32_e32 v8, 0
	s_and_saveexec_b64 s[14:15], s[12:13]
.LBB31_1664:
	v_mov_b32_e32 v8, v1
.LBB31_1665:
	s_or_b64 exec, exec, s[14:15]
.LBB31_1666:
	s_or_b64 exec, exec, s[10:11]
	s_mov_b64 s[10:11], 0
	global_store_byte v[5:6], v8, off
.LBB31_1667:
	s_and_b64 vcc, exec, s[10:11]
	s_cbranch_vccz .LBB31_1677
; %bb.1668:
	v_cndmask_b32_e64 v1, 0, 1.0, s[6:7]
	s_mov_b32 s10, 0x43f00000
	v_cmp_gt_u32_e32 vcc, s10, v1
                                        ; implicit-def: $vgpr3
	s_and_saveexec_b64 s[10:11], vcc
	s_xor_b64 s[10:11], exec, s[10:11]
	s_cbranch_execz .LBB31_1674
; %bb.1669:
	s_mov_b32 s12, 0x3c7fffff
	v_cmp_lt_u32_e32 vcc, s12, v1
                                        ; implicit-def: $vgpr3
	s_and_saveexec_b64 s[12:13], vcc
	s_xor_b64 s[12:13], exec, s[12:13]
	s_cbranch_execz .LBB31_1671
; %bb.1670:
	v_bfe_u32 v3, v1, 20, 1
	s_mov_b32 s14, 0x407ffff
	v_add3_u32 v1, v1, v3, s14
	v_lshrrev_b32_e32 v3, 20, v1
	v_and_b32_e32 v1, 0xff00000, v1
	s_mov_b32 s14, 0x7f00000
	s_waitcnt vmcnt(0)
	v_mov_b32_e32 v8, 0x7e
	v_cmp_ne_u32_e32 vcc, s14, v1
	v_cndmask_b32_e32 v3, v8, v3, vcc
                                        ; implicit-def: $vgpr1
.LBB31_1671:
	s_andn2_saveexec_b64 s[12:13], s[12:13]
; %bb.1672:
	v_add_f32_e32 v3, 0x46800000, v1
; %bb.1673:
	s_or_b64 exec, exec, s[12:13]
                                        ; implicit-def: $vgpr1
.LBB31_1674:
	s_andn2_saveexec_b64 s[10:11], s[10:11]
	s_cbranch_execz .LBB31_1676
; %bb.1675:
	s_mov_b32 s12, 0x7f800000
	v_mov_b32_e32 v3, 0x7e
	s_waitcnt vmcnt(0)
	v_mov_b32_e32 v8, 0x7f
	v_cmp_lt_u32_e32 vcc, s12, v1
	v_cndmask_b32_e32 v3, v3, v8, vcc
.LBB31_1676:
	s_or_b64 exec, exec, s[10:11]
	global_store_byte v[5:6], v3, off
.LBB31_1677:
	s_mov_b64 s[10:11], 0
.LBB31_1678:
	s_andn2_b64 vcc, exec, s[10:11]
	s_cbranch_vccnz .LBB31_1688
; %bb.1679:
	v_cndmask_b32_e64 v1, 0, 1.0, s[6:7]
	s_mov_b32 s10, 0x47800000
	v_cmp_gt_u32_e32 vcc, s10, v1
                                        ; implicit-def: $vgpr3
	s_and_saveexec_b64 s[10:11], vcc
	s_xor_b64 s[10:11], exec, s[10:11]
	s_cbranch_execz .LBB31_1685
; %bb.1680:
	s_mov_b32 s12, 0x387fffff
	v_cmp_lt_u32_e32 vcc, s12, v1
                                        ; implicit-def: $vgpr3
	s_and_saveexec_b64 s[12:13], vcc
	s_xor_b64 s[12:13], exec, s[12:13]
; %bb.1681:
	v_bfe_u32 v3, v1, 21, 1
	s_mov_b32 s14, 0x80fffff
	v_add3_u32 v1, v1, v3, s14
	v_lshrrev_b32_e32 v3, 21, v1
                                        ; implicit-def: $vgpr1
; %bb.1682:
	s_andn2_saveexec_b64 s[12:13], s[12:13]
; %bb.1683:
	v_add_f32_e32 v3, 0x43000000, v1
; %bb.1684:
	s_or_b64 exec, exec, s[12:13]
                                        ; implicit-def: $vgpr1
.LBB31_1685:
	s_andn2_saveexec_b64 s[10:11], s[10:11]
	s_cbranch_execz .LBB31_1687
; %bb.1686:
	s_mov_b32 s12, 0x7f800000
	v_mov_b32_e32 v3, 0x7c
	s_waitcnt vmcnt(0)
	v_mov_b32_e32 v8, 0x7f
	v_cmp_lt_u32_e32 vcc, s12, v1
	v_cndmask_b32_e32 v3, v3, v8, vcc
.LBB31_1687:
	s_or_b64 exec, exec, s[10:11]
	global_store_byte v[5:6], v3, off
.LBB31_1688:
	s_mov_b64 s[10:11], 0
	s_mov_b64 s[12:13], -1
.LBB31_1689:
	s_andn2_b64 vcc, exec, s[10:11]
	s_mov_b64 s[10:11], 0
	s_cbranch_vccnz .LBB31_1696
; %bb.1690:
	s_cmp_gt_i32 s20, 14
	s_mov_b64 s[14:15], -1
	s_cbranch_scc0 .LBB31_1694
; %bb.1691:
	s_cmp_eq_u32 s20, 15
	s_mov_b64 s[0:1], -1
	s_cbranch_scc0 .LBB31_1693
; %bb.1692:
	v_cndmask_b32_e64 v1, 0, 1.0, s[6:7]
	v_bfe_u32 v3, v1, 16, 1
	s_movk_i32 s0, 0x7fff
	v_add3_u32 v1, v1, v3, s0
	global_store_short_d16_hi v[5:6], v1, off
	s_mov_b64 s[0:1], 0
	s_mov_b64 s[12:13], -1
.LBB31_1693:
	s_mov_b64 s[14:15], 0
.LBB31_1694:
	s_and_b64 vcc, exec, s[14:15]
	s_cbranch_vccz .LBB31_1696
; %bb.1695:
	s_cmp_lg_u32 s20, 11
	s_mov_b64 s[10:11], -1
	s_cselect_b64 s[0:1], -1, 0
.LBB31_1696:
	s_and_b64 vcc, exec, s[0:1]
	s_cbranch_vccnz .LBB31_2104
; %bb.1697:
	s_andn2_b64 vcc, exec, s[10:11]
	s_cbranch_vccnz .LBB31_1699
.LBB31_1698:
	v_cndmask_b32_e64 v1, 0, 1, s[6:7]
	s_mov_b64 s[12:13], -1
	global_store_byte v[5:6], v1, off
.LBB31_1699:
	s_mov_b64 s[0:1], 0
	s_branch .LBB31_1701
.LBB31_1700:
	s_mov_b64 s[0:1], -1
	s_mov_b64 s[12:13], 0
.LBB31_1701:
	s_and_b64 vcc, exec, s[0:1]
	s_cbranch_vccz .LBB31_1740
; %bb.1702:
	s_and_b32 s10, 0xffff, s18
	s_cmp_lt_i32 s10, 5
	s_mov_b64 s[0:1], -1
	s_cbranch_scc1 .LBB31_1723
; %bb.1703:
	s_cmp_lt_i32 s10, 8
	s_cbranch_scc1 .LBB31_1713
; %bb.1704:
	s_cmp_lt_i32 s10, 9
	s_cbranch_scc1 .LBB31_1710
; %bb.1705:
	s_cmp_gt_i32 s10, 9
	s_cbranch_scc0 .LBB31_1707
; %bb.1706:
	v_cndmask_b32_e64 v1, 0, 1, s[6:7]
	s_waitcnt vmcnt(0)
	v_cvt_f64_u32_e32 v[12:13], v1
	v_mov_b32_e32 v14, 0
	v_mov_b32_e32 v15, v14
	s_mov_b64 s[0:1], 0
	global_store_dwordx4 v[5:6], v[12:15], off
.LBB31_1707:
	s_andn2_b64 vcc, exec, s[0:1]
	s_cbranch_vccnz .LBB31_1709
; %bb.1708:
	s_waitcnt vmcnt(0)
	v_cndmask_b32_e64 v12, 0, 1.0, s[6:7]
	v_mov_b32_e32 v13, 0
	global_store_dwordx2 v[5:6], v[12:13], off
.LBB31_1709:
	s_mov_b64 s[0:1], 0
.LBB31_1710:
	s_andn2_b64 vcc, exec, s[0:1]
	s_cbranch_vccnz .LBB31_1712
; %bb.1711:
	v_cndmask_b32_e64 v1, 0, 1.0, s[6:7]
	v_cvt_f16_f32_e32 v1, v1
	global_store_dword v[5:6], v1, off
.LBB31_1712:
	s_mov_b64 s[0:1], 0
.LBB31_1713:
	s_andn2_b64 vcc, exec, s[0:1]
	s_cbranch_vccnz .LBB31_1722
; %bb.1714:
	s_cmp_lt_i32 s10, 6
	s_mov_b64 s[0:1], -1
	s_cbranch_scc1 .LBB31_1720
; %bb.1715:
	s_cmp_gt_i32 s10, 6
	s_cbranch_scc0 .LBB31_1717
; %bb.1716:
	v_cndmask_b32_e64 v1, 0, 1, s[6:7]
	s_waitcnt vmcnt(0)
	v_cvt_f64_u32_e32 v[12:13], v1
	s_mov_b64 s[0:1], 0
	global_store_dwordx2 v[5:6], v[12:13], off
.LBB31_1717:
	s_andn2_b64 vcc, exec, s[0:1]
	s_cbranch_vccnz .LBB31_1719
; %bb.1718:
	v_cndmask_b32_e64 v1, 0, 1.0, s[6:7]
	global_store_dword v[5:6], v1, off
.LBB31_1719:
	s_mov_b64 s[0:1], 0
.LBB31_1720:
	s_andn2_b64 vcc, exec, s[0:1]
	s_cbranch_vccnz .LBB31_1722
; %bb.1721:
	v_cndmask_b32_e64 v1, 0, 1.0, s[6:7]
	v_cvt_f16_f32_e32 v1, v1
	global_store_short v[5:6], v1, off
.LBB31_1722:
	s_mov_b64 s[0:1], 0
.LBB31_1723:
	s_andn2_b64 vcc, exec, s[0:1]
	s_cbranch_vccnz .LBB31_1739
; %bb.1724:
	s_cmp_lt_i32 s10, 2
	s_mov_b64 s[0:1], -1
	s_cbranch_scc1 .LBB31_1734
; %bb.1725:
	s_cmp_lt_i32 s10, 3
	s_cbranch_scc1 .LBB31_1731
; %bb.1726:
	s_cmp_gt_i32 s10, 3
	s_cbranch_scc0 .LBB31_1728
; %bb.1727:
	s_mov_b32 s0, 0
	s_waitcnt vmcnt(0)
	v_cndmask_b32_e64 v12, 0, 1, s[6:7]
	v_mov_b32_e32 v13, s0
	global_store_dwordx2 v[5:6], v[12:13], off
	s_mov_b64 s[0:1], 0
.LBB31_1728:
	s_andn2_b64 vcc, exec, s[0:1]
	s_cbranch_vccnz .LBB31_1730
; %bb.1729:
	v_cndmask_b32_e64 v1, 0, 1, s[6:7]
	global_store_dword v[5:6], v1, off
.LBB31_1730:
	s_mov_b64 s[0:1], 0
.LBB31_1731:
	s_andn2_b64 vcc, exec, s[0:1]
	s_cbranch_vccnz .LBB31_1733
; %bb.1732:
	v_cndmask_b32_e64 v1, 0, 1, s[6:7]
	global_store_short v[5:6], v1, off
.LBB31_1733:
	s_mov_b64 s[0:1], 0
.LBB31_1734:
	s_andn2_b64 vcc, exec, s[0:1]
	s_cbranch_vccnz .LBB31_1739
; %bb.1735:
	s_mov_b64 s[0:1], -1
	s_cmp_gt_i32 s10, 0
	v_cndmask_b32_e64 v1, 0, 1, s[6:7]
	s_cbranch_scc0 .LBB31_1737
; %bb.1736:
	global_store_byte v[5:6], v1, off
	s_mov_b64 s[0:1], 0
.LBB31_1737:
	s_andn2_b64 vcc, exec, s[0:1]
	s_cbranch_vccnz .LBB31_1739
; %bb.1738:
	global_store_byte v[5:6], v1, off
.LBB31_1739:
	s_mov_b64 s[12:13], -1
.LBB31_1740:
	s_andn2_b64 vcc, exec, s[12:13]
	s_cbranch_vccnz .LBB31_2055
; %bb.1741:
	s_waitcnt vmcnt(0)
	v_cmp_ne_u16_sdwa s[0:1], s19, v11 src0_sel:DWORD src1_sel:BYTE_0
	s_xor_b64 s[6:7], s[4:5], s[0:1]
	v_mov_b32_e32 v1, s9
	s_and_b32 s20, 0xffff, s18
	v_add_co_u32_e32 v3, vcc, s8, v4
	s_cmp_lt_i32 s20, 11
	v_addc_co_u32_e32 v4, vcc, 0, v1, vcc
	s_cbranch_scc1 .LBB31_1819
; %bb.1742:
	s_mov_b64 s[14:15], -1
	s_mov_b64 s[10:11], 0
	s_cmp_gt_i32 s20, 25
	s_mov_b64 s[12:13], 0
	s_mov_b64 s[0:1], 0
	s_cbranch_scc0 .LBB31_1775
; %bb.1743:
	s_cmp_gt_i32 s20, 28
	s_cbranch_scc0 .LBB31_1758
; %bb.1744:
	s_cmp_gt_i32 s20, 43
	;; [unrolled: 3-line block ×3, first 2 shown]
	s_cbranch_scc0 .LBB31_1748
; %bb.1746:
	s_mov_b64 s[0:1], -1
	s_mov_b64 s[14:15], 0
	s_cmp_eq_u32 s20, 46
	s_cbranch_scc0 .LBB31_1748
; %bb.1747:
	v_cndmask_b32_e64 v1, 0, 1.0, s[6:7]
	v_bfe_u32 v5, v1, 16, 1
	s_movk_i32 s0, 0x7fff
	v_add3_u32 v1, v1, v5, s0
	v_lshrrev_b32_e32 v1, 16, v1
	global_store_dword v[3:4], v1, off
	s_mov_b64 s[0:1], 0
	s_mov_b64 s[12:13], -1
.LBB31_1748:
	s_and_b64 vcc, exec, s[14:15]
	s_cbranch_vccz .LBB31_1753
; %bb.1749:
	s_cmp_eq_u32 s20, 44
	s_mov_b64 s[0:1], -1
	s_cbranch_scc0 .LBB31_1753
; %bb.1750:
	v_cndmask_b32_e64 v5, 0, 1.0, s[6:7]
	v_lshrrev_b32_e32 v1, 23, v5
	s_movk_i32 s0, 0xff
	v_cmp_ne_u32_e32 vcc, s0, v1
	v_mov_b32_e32 v6, 0xff
	s_and_saveexec_b64 s[12:13], vcc
; %bb.1751:
	s_mov_b32 s0, 0x3fffff
	v_and_b32_e32 v6, 0x400000, v5
	v_and_or_b32 v5, v5, s0, v1
	v_cmp_ne_u32_e32 vcc, 0, v6
	v_cmp_ne_u32_e64 s[0:1], 0, v5
	s_and_b64 s[0:1], vcc, s[0:1]
	v_cndmask_b32_e64 v5, 0, 1, s[0:1]
	v_add_u32_e32 v6, v1, v5
; %bb.1752:
	s_or_b64 exec, exec, s[12:13]
	s_mov_b64 s[0:1], 0
	s_mov_b64 s[12:13], -1
	global_store_byte v[3:4], v6, off
.LBB31_1753:
	s_mov_b64 s[14:15], 0
.LBB31_1754:
	s_and_b64 vcc, exec, s[14:15]
	s_cbranch_vccz .LBB31_1757
; %bb.1755:
	s_cmp_eq_u32 s20, 29
	s_mov_b64 s[0:1], -1
	s_cbranch_scc0 .LBB31_1757
; %bb.1756:
	s_mov_b32 s0, 0
	v_cndmask_b32_e64 v5, 0, 1, s[6:7]
	v_mov_b32_e32 v6, s0
	global_store_dwordx2 v[3:4], v[5:6], off
	s_mov_b64 s[0:1], 0
	s_mov_b64 s[12:13], -1
.LBB31_1757:
	s_mov_b64 s[14:15], 0
.LBB31_1758:
	s_and_b64 vcc, exec, s[14:15]
	s_cbranch_vccz .LBB31_1774
; %bb.1759:
	s_cmp_lt_i32 s20, 27
	s_mov_b64 s[12:13], -1
	s_cbranch_scc1 .LBB31_1765
; %bb.1760:
	s_cmp_gt_i32 s20, 27
	s_cbranch_scc0 .LBB31_1762
; %bb.1761:
	v_cndmask_b32_e64 v1, 0, 1, s[6:7]
	s_mov_b64 s[12:13], 0
	global_store_dword v[3:4], v1, off
.LBB31_1762:
	s_andn2_b64 vcc, exec, s[12:13]
	s_cbranch_vccnz .LBB31_1764
; %bb.1763:
	v_cndmask_b32_e64 v1, 0, 1, s[6:7]
	global_store_short v[3:4], v1, off
.LBB31_1764:
	s_mov_b64 s[12:13], 0
.LBB31_1765:
	s_andn2_b64 vcc, exec, s[12:13]
	s_cbranch_vccnz .LBB31_1773
; %bb.1766:
	v_cndmask_b32_e64 v5, 0, 1.0, s[6:7]
	s_mov_b32 s12, 0x43800000
	v_cmp_gt_u32_e32 vcc, s12, v5
	v_mov_b32_e32 v6, 0x80
	s_and_saveexec_b64 s[12:13], vcc
	s_cbranch_execz .LBB31_1772
; %bb.1767:
	s_mov_b32 s14, 0x3bffffff
	v_cmp_lt_u32_e32 vcc, s14, v5
	s_mov_b64 s[14:15], 0
                                        ; implicit-def: $vgpr1
	s_and_saveexec_b64 s[16:17], vcc
	s_xor_b64 s[16:17], exec, s[16:17]
	s_cbranch_execz .LBB31_2107
; %bb.1768:
	v_bfe_u32 v1, v5, 20, 1
	s_mov_b32 s21, 0x487ffff
	v_add3_u32 v1, v5, v1, s21
	s_mov_b64 s[14:15], exec
	v_lshrrev_b32_e32 v1, 20, v1
                                        ; implicit-def: $vgpr5
	s_andn2_saveexec_b64 s[16:17], s[16:17]
	s_cbranch_execnz .LBB31_2108
.LBB31_1769:
	s_or_b64 exec, exec, s[16:17]
	v_mov_b32_e32 v6, 0
	s_and_saveexec_b64 s[16:17], s[14:15]
.LBB31_1770:
	v_mov_b32_e32 v6, v1
.LBB31_1771:
	s_or_b64 exec, exec, s[16:17]
.LBB31_1772:
	s_or_b64 exec, exec, s[12:13]
	global_store_byte v[3:4], v6, off
.LBB31_1773:
	s_mov_b64 s[12:13], -1
.LBB31_1774:
	s_mov_b64 s[14:15], 0
.LBB31_1775:
	s_and_b64 vcc, exec, s[14:15]
	s_cbranch_vccz .LBB31_1815
; %bb.1776:
	s_cmp_gt_i32 s20, 22
	s_mov_b64 s[10:11], -1
	s_cbranch_scc0 .LBB31_1808
; %bb.1777:
	s_cmp_lt_i32 s20, 24
	s_cbranch_scc1 .LBB31_1797
; %bb.1778:
	s_cmp_gt_i32 s20, 24
	s_cbranch_scc0 .LBB31_1786
; %bb.1779:
	v_cndmask_b32_e64 v5, 0, 1.0, s[6:7]
	s_mov_b32 s10, 0x47800000
	v_cmp_gt_u32_e32 vcc, s10, v5
	v_mov_b32_e32 v6, 0x80
	s_and_saveexec_b64 s[10:11], vcc
	s_cbranch_execz .LBB31_1785
; %bb.1780:
	s_mov_b32 s12, 0x37ffffff
	v_cmp_lt_u32_e32 vcc, s12, v5
	s_mov_b64 s[12:13], 0
                                        ; implicit-def: $vgpr1
	s_and_saveexec_b64 s[14:15], vcc
	s_xor_b64 s[14:15], exec, s[14:15]
	s_cbranch_execz .LBB31_2110
; %bb.1781:
	v_bfe_u32 v1, v5, 21, 1
	s_mov_b32 s16, 0x88fffff
	v_add3_u32 v1, v5, v1, s16
	s_mov_b64 s[12:13], exec
	v_lshrrev_b32_e32 v1, 21, v1
                                        ; implicit-def: $vgpr5
	s_andn2_saveexec_b64 s[14:15], s[14:15]
	s_cbranch_execnz .LBB31_2111
.LBB31_1782:
	s_or_b64 exec, exec, s[14:15]
	v_mov_b32_e32 v6, 0
	s_and_saveexec_b64 s[14:15], s[12:13]
.LBB31_1783:
	v_mov_b32_e32 v6, v1
.LBB31_1784:
	s_or_b64 exec, exec, s[14:15]
.LBB31_1785:
	s_or_b64 exec, exec, s[10:11]
	s_mov_b64 s[10:11], 0
	global_store_byte v[3:4], v6, off
.LBB31_1786:
	s_and_b64 vcc, exec, s[10:11]
	s_cbranch_vccz .LBB31_1796
; %bb.1787:
	v_cndmask_b32_e64 v1, 0, 1.0, s[6:7]
	s_mov_b32 s10, 0x43f00000
	v_cmp_gt_u32_e32 vcc, s10, v1
                                        ; implicit-def: $vgpr5
	s_and_saveexec_b64 s[10:11], vcc
	s_xor_b64 s[10:11], exec, s[10:11]
	s_cbranch_execz .LBB31_1793
; %bb.1788:
	s_mov_b32 s12, 0x3c7fffff
	v_cmp_lt_u32_e32 vcc, s12, v1
                                        ; implicit-def: $vgpr5
	s_and_saveexec_b64 s[12:13], vcc
	s_xor_b64 s[12:13], exec, s[12:13]
; %bb.1789:
	v_bfe_u32 v5, v1, 20, 1
	s_mov_b32 s14, 0x407ffff
	v_add3_u32 v1, v1, v5, s14
	v_lshrrev_b32_e32 v5, 20, v1
	v_and_b32_e32 v1, 0xff00000, v1
	s_mov_b32 s14, 0x7f00000
	v_mov_b32_e32 v6, 0x7e
	v_cmp_ne_u32_e32 vcc, s14, v1
	v_cndmask_b32_e32 v5, v6, v5, vcc
                                        ; implicit-def: $vgpr1
; %bb.1790:
	s_andn2_saveexec_b64 s[12:13], s[12:13]
; %bb.1791:
	v_add_f32_e32 v5, 0x46800000, v1
; %bb.1792:
	s_or_b64 exec, exec, s[12:13]
                                        ; implicit-def: $vgpr1
.LBB31_1793:
	s_andn2_saveexec_b64 s[10:11], s[10:11]
; %bb.1794:
	s_mov_b32 s12, 0x7f800000
	v_mov_b32_e32 v5, 0x7e
	v_mov_b32_e32 v6, 0x7f
	v_cmp_lt_u32_e32 vcc, s12, v1
	v_cndmask_b32_e32 v5, v5, v6, vcc
; %bb.1795:
	s_or_b64 exec, exec, s[10:11]
	global_store_byte v[3:4], v5, off
.LBB31_1796:
	s_mov_b64 s[10:11], 0
.LBB31_1797:
	s_andn2_b64 vcc, exec, s[10:11]
	s_cbranch_vccnz .LBB31_1807
; %bb.1798:
	v_cndmask_b32_e64 v1, 0, 1.0, s[6:7]
	s_mov_b32 s10, 0x47800000
	v_cmp_gt_u32_e32 vcc, s10, v1
                                        ; implicit-def: $vgpr5
	s_and_saveexec_b64 s[10:11], vcc
	s_xor_b64 s[10:11], exec, s[10:11]
	s_cbranch_execz .LBB31_1804
; %bb.1799:
	s_mov_b32 s12, 0x387fffff
	v_cmp_lt_u32_e32 vcc, s12, v1
                                        ; implicit-def: $vgpr5
	s_and_saveexec_b64 s[12:13], vcc
	s_xor_b64 s[12:13], exec, s[12:13]
; %bb.1800:
	v_bfe_u32 v5, v1, 21, 1
	s_mov_b32 s14, 0x80fffff
	v_add3_u32 v1, v1, v5, s14
	v_lshrrev_b32_e32 v5, 21, v1
                                        ; implicit-def: $vgpr1
; %bb.1801:
	s_andn2_saveexec_b64 s[12:13], s[12:13]
; %bb.1802:
	v_add_f32_e32 v5, 0x43000000, v1
; %bb.1803:
	s_or_b64 exec, exec, s[12:13]
                                        ; implicit-def: $vgpr1
.LBB31_1804:
	s_andn2_saveexec_b64 s[10:11], s[10:11]
; %bb.1805:
	s_mov_b32 s12, 0x7f800000
	v_mov_b32_e32 v5, 0x7c
	v_mov_b32_e32 v6, 0x7f
	v_cmp_lt_u32_e32 vcc, s12, v1
	v_cndmask_b32_e32 v5, v5, v6, vcc
; %bb.1806:
	s_or_b64 exec, exec, s[10:11]
	global_store_byte v[3:4], v5, off
.LBB31_1807:
	s_mov_b64 s[10:11], 0
	s_mov_b64 s[12:13], -1
.LBB31_1808:
	s_andn2_b64 vcc, exec, s[10:11]
	s_mov_b64 s[10:11], 0
	s_cbranch_vccnz .LBB31_1815
; %bb.1809:
	s_cmp_gt_i32 s20, 14
	s_mov_b64 s[14:15], -1
	s_cbranch_scc0 .LBB31_1813
; %bb.1810:
	s_cmp_eq_u32 s20, 15
	s_mov_b64 s[0:1], -1
	s_cbranch_scc0 .LBB31_1812
; %bb.1811:
	v_cndmask_b32_e64 v1, 0, 1.0, s[6:7]
	v_bfe_u32 v5, v1, 16, 1
	s_movk_i32 s0, 0x7fff
	v_add3_u32 v1, v1, v5, s0
	global_store_short_d16_hi v[3:4], v1, off
	s_mov_b64 s[0:1], 0
	s_mov_b64 s[12:13], -1
.LBB31_1812:
	s_mov_b64 s[14:15], 0
.LBB31_1813:
	s_and_b64 vcc, exec, s[14:15]
	s_cbranch_vccz .LBB31_1815
; %bb.1814:
	s_cmp_lg_u32 s20, 11
	s_mov_b64 s[10:11], -1
	s_cselect_b64 s[0:1], -1, 0
.LBB31_1815:
	s_and_b64 vcc, exec, s[0:1]
	s_cbranch_vccnz .LBB31_2109
; %bb.1816:
	s_andn2_b64 vcc, exec, s[10:11]
	s_cbranch_vccnz .LBB31_1818
.LBB31_1817:
	v_cndmask_b32_e64 v1, 0, 1, s[6:7]
	s_mov_b64 s[12:13], -1
	global_store_byte v[3:4], v1, off
.LBB31_1818:
	s_mov_b64 s[0:1], 0
	s_branch .LBB31_1820
.LBB31_1819:
	s_mov_b64 s[0:1], -1
	s_mov_b64 s[12:13], 0
.LBB31_1820:
	s_and_b64 vcc, exec, s[0:1]
	s_cbranch_vccz .LBB31_1859
; %bb.1821:
	s_cmp_lt_i32 s20, 5
	s_mov_b64 s[0:1], -1
	s_cbranch_scc1 .LBB31_1842
; %bb.1822:
	s_cmp_lt_i32 s20, 8
	s_cbranch_scc1 .LBB31_1832
; %bb.1823:
	s_cmp_lt_i32 s20, 9
	s_cbranch_scc1 .LBB31_1829
; %bb.1824:
	s_cmp_gt_i32 s20, 9
	s_cbranch_scc0 .LBB31_1826
; %bb.1825:
	v_cndmask_b32_e64 v1, 0, 1, s[6:7]
	v_cvt_f64_u32_e32 v[10:11], v1
	v_mov_b32_e32 v12, 0
	v_mov_b32_e32 v13, v12
	s_mov_b64 s[0:1], 0
	global_store_dwordx4 v[3:4], v[10:13], off
.LBB31_1826:
	s_andn2_b64 vcc, exec, s[0:1]
	s_cbranch_vccnz .LBB31_1828
; %bb.1827:
	v_cndmask_b32_e64 v5, 0, 1.0, s[6:7]
	v_mov_b32_e32 v6, 0
	global_store_dwordx2 v[3:4], v[5:6], off
.LBB31_1828:
	s_mov_b64 s[0:1], 0
.LBB31_1829:
	s_andn2_b64 vcc, exec, s[0:1]
	s_cbranch_vccnz .LBB31_1831
; %bb.1830:
	v_cndmask_b32_e64 v1, 0, 1.0, s[6:7]
	v_cvt_f16_f32_e32 v1, v1
	global_store_dword v[3:4], v1, off
.LBB31_1831:
	s_mov_b64 s[0:1], 0
.LBB31_1832:
	s_andn2_b64 vcc, exec, s[0:1]
	s_cbranch_vccnz .LBB31_1841
; %bb.1833:
	s_cmp_lt_i32 s20, 6
	s_mov_b64 s[0:1], -1
	s_cbranch_scc1 .LBB31_1839
; %bb.1834:
	s_cmp_gt_i32 s20, 6
	s_cbranch_scc0 .LBB31_1836
; %bb.1835:
	v_cndmask_b32_e64 v1, 0, 1, s[6:7]
	v_cvt_f64_u32_e32 v[5:6], v1
	s_mov_b64 s[0:1], 0
	global_store_dwordx2 v[3:4], v[5:6], off
.LBB31_1836:
	s_andn2_b64 vcc, exec, s[0:1]
	s_cbranch_vccnz .LBB31_1838
; %bb.1837:
	v_cndmask_b32_e64 v1, 0, 1.0, s[6:7]
	global_store_dword v[3:4], v1, off
.LBB31_1838:
	s_mov_b64 s[0:1], 0
.LBB31_1839:
	s_andn2_b64 vcc, exec, s[0:1]
	s_cbranch_vccnz .LBB31_1841
; %bb.1840:
	v_cndmask_b32_e64 v1, 0, 1.0, s[6:7]
	v_cvt_f16_f32_e32 v1, v1
	global_store_short v[3:4], v1, off
.LBB31_1841:
	s_mov_b64 s[0:1], 0
.LBB31_1842:
	s_andn2_b64 vcc, exec, s[0:1]
	s_cbranch_vccnz .LBB31_1858
; %bb.1843:
	s_cmp_lt_i32 s20, 2
	s_mov_b64 s[0:1], -1
	s_cbranch_scc1 .LBB31_1853
; %bb.1844:
	s_cmp_lt_i32 s20, 3
	s_cbranch_scc1 .LBB31_1850
; %bb.1845:
	s_cmp_gt_i32 s20, 3
	s_cbranch_scc0 .LBB31_1847
; %bb.1846:
	s_mov_b32 s0, 0
	v_cndmask_b32_e64 v5, 0, 1, s[6:7]
	v_mov_b32_e32 v6, s0
	global_store_dwordx2 v[3:4], v[5:6], off
	s_mov_b64 s[0:1], 0
.LBB31_1847:
	s_andn2_b64 vcc, exec, s[0:1]
	s_cbranch_vccnz .LBB31_1849
; %bb.1848:
	v_cndmask_b32_e64 v1, 0, 1, s[6:7]
	global_store_dword v[3:4], v1, off
.LBB31_1849:
	s_mov_b64 s[0:1], 0
.LBB31_1850:
	s_andn2_b64 vcc, exec, s[0:1]
	s_cbranch_vccnz .LBB31_1852
; %bb.1851:
	v_cndmask_b32_e64 v1, 0, 1, s[6:7]
	global_store_short v[3:4], v1, off
.LBB31_1852:
	s_mov_b64 s[0:1], 0
.LBB31_1853:
	s_andn2_b64 vcc, exec, s[0:1]
	s_cbranch_vccnz .LBB31_1858
; %bb.1854:
	s_mov_b64 s[0:1], -1
	s_cmp_gt_i32 s20, 0
	v_cndmask_b32_e64 v1, 0, 1, s[6:7]
	s_cbranch_scc0 .LBB31_1856
; %bb.1855:
	global_store_byte v[3:4], v1, off
	s_mov_b64 s[0:1], 0
.LBB31_1856:
	s_andn2_b64 vcc, exec, s[0:1]
	s_cbranch_vccnz .LBB31_1858
; %bb.1857:
	global_store_byte v[3:4], v1, off
.LBB31_1858:
	s_mov_b64 s[12:13], -1
.LBB31_1859:
	s_andn2_b64 vcc, exec, s[12:13]
	s_cbranch_vccnz .LBB31_2055
; %bb.1860:
	v_cmp_ne_u16_sdwa s[0:1], s19, v9 src0_sel:DWORD src1_sel:BYTE_0
	s_xor_b64 s[6:7], s[4:5], s[0:1]
	v_mov_b32_e32 v3, s9
	v_add_co_u32_e32 v1, vcc, s8, v2
	s_cmp_lt_i32 s20, 11
	v_addc_co_u32_e32 v2, vcc, 0, v3, vcc
	s_cbranch_scc1 .LBB31_1938
; %bb.1861:
	s_mov_b64 s[14:15], -1
	s_mov_b64 s[10:11], 0
	s_cmp_gt_i32 s20, 25
	s_mov_b64 s[12:13], 0
	s_mov_b64 s[0:1], 0
	s_cbranch_scc0 .LBB31_1894
; %bb.1862:
	s_cmp_gt_i32 s20, 28
	s_cbranch_scc0 .LBB31_1877
; %bb.1863:
	s_cmp_gt_i32 s20, 43
	;; [unrolled: 3-line block ×3, first 2 shown]
	s_cbranch_scc0 .LBB31_1867
; %bb.1865:
	s_mov_b64 s[0:1], -1
	s_mov_b64 s[14:15], 0
	s_cmp_eq_u32 s20, 46
	s_cbranch_scc0 .LBB31_1867
; %bb.1866:
	v_cndmask_b32_e64 v3, 0, 1.0, s[6:7]
	v_bfe_u32 v4, v3, 16, 1
	s_movk_i32 s0, 0x7fff
	v_add3_u32 v3, v3, v4, s0
	v_lshrrev_b32_e32 v3, 16, v3
	global_store_dword v[1:2], v3, off
	s_mov_b64 s[0:1], 0
	s_mov_b64 s[12:13], -1
.LBB31_1867:
	s_and_b64 vcc, exec, s[14:15]
	s_cbranch_vccz .LBB31_1872
; %bb.1868:
	s_cmp_eq_u32 s20, 44
	s_mov_b64 s[0:1], -1
	s_cbranch_scc0 .LBB31_1872
; %bb.1869:
	v_cndmask_b32_e64 v4, 0, 1.0, s[6:7]
	v_lshrrev_b32_e32 v3, 23, v4
	s_movk_i32 s0, 0xff
	v_cmp_ne_u32_e32 vcc, s0, v3
	v_mov_b32_e32 v5, 0xff
	s_and_saveexec_b64 s[12:13], vcc
; %bb.1870:
	s_mov_b32 s0, 0x3fffff
	v_and_b32_e32 v5, 0x400000, v4
	v_and_or_b32 v4, v4, s0, v3
	v_cmp_ne_u32_e32 vcc, 0, v5
	v_cmp_ne_u32_e64 s[0:1], 0, v4
	s_and_b64 s[0:1], vcc, s[0:1]
	v_cndmask_b32_e64 v4, 0, 1, s[0:1]
	v_add_u32_e32 v5, v3, v4
; %bb.1871:
	s_or_b64 exec, exec, s[12:13]
	s_mov_b64 s[0:1], 0
	s_mov_b64 s[12:13], -1
	global_store_byte v[1:2], v5, off
.LBB31_1872:
	s_mov_b64 s[14:15], 0
.LBB31_1873:
	s_and_b64 vcc, exec, s[14:15]
	s_cbranch_vccz .LBB31_1876
; %bb.1874:
	s_cmp_eq_u32 s20, 29
	s_mov_b64 s[0:1], -1
	s_cbranch_scc0 .LBB31_1876
; %bb.1875:
	s_mov_b32 s0, 0
	v_cndmask_b32_e64 v3, 0, 1, s[6:7]
	v_mov_b32_e32 v4, s0
	global_store_dwordx2 v[1:2], v[3:4], off
	s_mov_b64 s[0:1], 0
	s_mov_b64 s[12:13], -1
.LBB31_1876:
	s_mov_b64 s[14:15], 0
.LBB31_1877:
	s_and_b64 vcc, exec, s[14:15]
	s_cbranch_vccz .LBB31_1893
; %bb.1878:
	s_cmp_lt_i32 s20, 27
	s_mov_b64 s[12:13], -1
	s_cbranch_scc1 .LBB31_1884
; %bb.1879:
	s_cmp_gt_i32 s20, 27
	s_cbranch_scc0 .LBB31_1881
; %bb.1880:
	v_cndmask_b32_e64 v3, 0, 1, s[6:7]
	s_mov_b64 s[12:13], 0
	global_store_dword v[1:2], v3, off
.LBB31_1881:
	s_andn2_b64 vcc, exec, s[12:13]
	s_cbranch_vccnz .LBB31_1883
; %bb.1882:
	v_cndmask_b32_e64 v3, 0, 1, s[6:7]
	global_store_short v[1:2], v3, off
.LBB31_1883:
	s_mov_b64 s[12:13], 0
.LBB31_1884:
	s_andn2_b64 vcc, exec, s[12:13]
	s_cbranch_vccnz .LBB31_1892
; %bb.1885:
	v_cndmask_b32_e64 v4, 0, 1.0, s[6:7]
	s_mov_b32 s12, 0x43800000
	v_cmp_gt_u32_e32 vcc, s12, v4
	v_mov_b32_e32 v5, 0x80
	s_and_saveexec_b64 s[12:13], vcc
	s_cbranch_execz .LBB31_1891
; %bb.1886:
	s_mov_b32 s14, 0x3bffffff
	v_cmp_lt_u32_e32 vcc, s14, v4
	s_mov_b64 s[14:15], 0
                                        ; implicit-def: $vgpr3
	s_and_saveexec_b64 s[16:17], vcc
	s_xor_b64 s[16:17], exec, s[16:17]
	s_cbranch_execz .LBB31_2112
; %bb.1887:
	v_bfe_u32 v3, v4, 20, 1
	s_mov_b32 s21, 0x487ffff
	v_add3_u32 v3, v4, v3, s21
	s_mov_b64 s[14:15], exec
	v_lshrrev_b32_e32 v3, 20, v3
                                        ; implicit-def: $vgpr4
	s_andn2_saveexec_b64 s[16:17], s[16:17]
	s_cbranch_execnz .LBB31_2113
.LBB31_1888:
	s_or_b64 exec, exec, s[16:17]
	v_mov_b32_e32 v5, 0
	s_and_saveexec_b64 s[16:17], s[14:15]
.LBB31_1889:
	v_mov_b32_e32 v5, v3
.LBB31_1890:
	s_or_b64 exec, exec, s[16:17]
.LBB31_1891:
	s_or_b64 exec, exec, s[12:13]
	global_store_byte v[1:2], v5, off
.LBB31_1892:
	s_mov_b64 s[12:13], -1
.LBB31_1893:
	s_mov_b64 s[14:15], 0
.LBB31_1894:
	s_and_b64 vcc, exec, s[14:15]
	s_cbranch_vccz .LBB31_1934
; %bb.1895:
	s_cmp_gt_i32 s20, 22
	s_mov_b64 s[10:11], -1
	s_cbranch_scc0 .LBB31_1927
; %bb.1896:
	s_cmp_lt_i32 s20, 24
	s_cbranch_scc1 .LBB31_1916
; %bb.1897:
	s_cmp_gt_i32 s20, 24
	s_cbranch_scc0 .LBB31_1905
; %bb.1898:
	v_cndmask_b32_e64 v4, 0, 1.0, s[6:7]
	s_mov_b32 s10, 0x47800000
	v_cmp_gt_u32_e32 vcc, s10, v4
	v_mov_b32_e32 v5, 0x80
	s_and_saveexec_b64 s[10:11], vcc
	s_cbranch_execz .LBB31_1904
; %bb.1899:
	s_mov_b32 s12, 0x37ffffff
	v_cmp_lt_u32_e32 vcc, s12, v4
	s_mov_b64 s[12:13], 0
                                        ; implicit-def: $vgpr3
	s_and_saveexec_b64 s[14:15], vcc
	s_xor_b64 s[14:15], exec, s[14:15]
	s_cbranch_execz .LBB31_2115
; %bb.1900:
	v_bfe_u32 v3, v4, 21, 1
	s_mov_b32 s16, 0x88fffff
	v_add3_u32 v3, v4, v3, s16
	s_mov_b64 s[12:13], exec
	v_lshrrev_b32_e32 v3, 21, v3
                                        ; implicit-def: $vgpr4
	s_andn2_saveexec_b64 s[14:15], s[14:15]
	s_cbranch_execnz .LBB31_2116
.LBB31_1901:
	s_or_b64 exec, exec, s[14:15]
	v_mov_b32_e32 v5, 0
	s_and_saveexec_b64 s[14:15], s[12:13]
.LBB31_1902:
	v_mov_b32_e32 v5, v3
.LBB31_1903:
	s_or_b64 exec, exec, s[14:15]
.LBB31_1904:
	s_or_b64 exec, exec, s[10:11]
	s_mov_b64 s[10:11], 0
	global_store_byte v[1:2], v5, off
.LBB31_1905:
	s_and_b64 vcc, exec, s[10:11]
	s_cbranch_vccz .LBB31_1915
; %bb.1906:
	v_cndmask_b32_e64 v3, 0, 1.0, s[6:7]
	s_mov_b32 s10, 0x43f00000
	v_cmp_gt_u32_e32 vcc, s10, v3
                                        ; implicit-def: $vgpr4
	s_and_saveexec_b64 s[10:11], vcc
	s_xor_b64 s[10:11], exec, s[10:11]
	s_cbranch_execz .LBB31_1912
; %bb.1907:
	s_mov_b32 s12, 0x3c7fffff
	v_cmp_lt_u32_e32 vcc, s12, v3
                                        ; implicit-def: $vgpr4
	s_and_saveexec_b64 s[12:13], vcc
	s_xor_b64 s[12:13], exec, s[12:13]
; %bb.1908:
	v_bfe_u32 v4, v3, 20, 1
	s_mov_b32 s14, 0x407ffff
	v_add3_u32 v3, v3, v4, s14
	v_lshrrev_b32_e32 v4, 20, v3
	v_and_b32_e32 v3, 0xff00000, v3
	s_mov_b32 s14, 0x7f00000
	v_mov_b32_e32 v5, 0x7e
	v_cmp_ne_u32_e32 vcc, s14, v3
	v_cndmask_b32_e32 v4, v5, v4, vcc
                                        ; implicit-def: $vgpr3
; %bb.1909:
	s_andn2_saveexec_b64 s[12:13], s[12:13]
; %bb.1910:
	v_add_f32_e32 v4, 0x46800000, v3
; %bb.1911:
	s_or_b64 exec, exec, s[12:13]
                                        ; implicit-def: $vgpr3
.LBB31_1912:
	s_andn2_saveexec_b64 s[10:11], s[10:11]
; %bb.1913:
	s_mov_b32 s12, 0x7f800000
	v_mov_b32_e32 v4, 0x7e
	v_mov_b32_e32 v5, 0x7f
	v_cmp_lt_u32_e32 vcc, s12, v3
	v_cndmask_b32_e32 v4, v4, v5, vcc
; %bb.1914:
	s_or_b64 exec, exec, s[10:11]
	global_store_byte v[1:2], v4, off
.LBB31_1915:
	s_mov_b64 s[10:11], 0
.LBB31_1916:
	s_andn2_b64 vcc, exec, s[10:11]
	s_cbranch_vccnz .LBB31_1926
; %bb.1917:
	v_cndmask_b32_e64 v3, 0, 1.0, s[6:7]
	s_mov_b32 s10, 0x47800000
	v_cmp_gt_u32_e32 vcc, s10, v3
                                        ; implicit-def: $vgpr4
	s_and_saveexec_b64 s[10:11], vcc
	s_xor_b64 s[10:11], exec, s[10:11]
	s_cbranch_execz .LBB31_1923
; %bb.1918:
	s_mov_b32 s12, 0x387fffff
	v_cmp_lt_u32_e32 vcc, s12, v3
                                        ; implicit-def: $vgpr4
	s_and_saveexec_b64 s[12:13], vcc
	s_xor_b64 s[12:13], exec, s[12:13]
; %bb.1919:
	v_bfe_u32 v4, v3, 21, 1
	s_mov_b32 s14, 0x80fffff
	v_add3_u32 v3, v3, v4, s14
	v_lshrrev_b32_e32 v4, 21, v3
                                        ; implicit-def: $vgpr3
; %bb.1920:
	s_andn2_saveexec_b64 s[12:13], s[12:13]
; %bb.1921:
	v_add_f32_e32 v4, 0x43000000, v3
; %bb.1922:
	s_or_b64 exec, exec, s[12:13]
                                        ; implicit-def: $vgpr3
.LBB31_1923:
	s_andn2_saveexec_b64 s[10:11], s[10:11]
; %bb.1924:
	s_mov_b32 s12, 0x7f800000
	v_mov_b32_e32 v4, 0x7c
	v_mov_b32_e32 v5, 0x7f
	v_cmp_lt_u32_e32 vcc, s12, v3
	v_cndmask_b32_e32 v4, v4, v5, vcc
; %bb.1925:
	s_or_b64 exec, exec, s[10:11]
	global_store_byte v[1:2], v4, off
.LBB31_1926:
	s_mov_b64 s[10:11], 0
	s_mov_b64 s[12:13], -1
.LBB31_1927:
	s_andn2_b64 vcc, exec, s[10:11]
	s_mov_b64 s[10:11], 0
	s_cbranch_vccnz .LBB31_1934
; %bb.1928:
	s_cmp_gt_i32 s20, 14
	s_mov_b64 s[14:15], -1
	s_cbranch_scc0 .LBB31_1932
; %bb.1929:
	s_cmp_eq_u32 s20, 15
	s_mov_b64 s[0:1], -1
	s_cbranch_scc0 .LBB31_1931
; %bb.1930:
	v_cndmask_b32_e64 v3, 0, 1.0, s[6:7]
	v_bfe_u32 v4, v3, 16, 1
	s_movk_i32 s0, 0x7fff
	v_add3_u32 v3, v3, v4, s0
	global_store_short_d16_hi v[1:2], v3, off
	s_mov_b64 s[0:1], 0
	s_mov_b64 s[12:13], -1
.LBB31_1931:
	s_mov_b64 s[14:15], 0
.LBB31_1932:
	s_and_b64 vcc, exec, s[14:15]
	s_cbranch_vccz .LBB31_1934
; %bb.1933:
	s_cmp_lg_u32 s20, 11
	s_mov_b64 s[10:11], -1
	s_cselect_b64 s[0:1], -1, 0
.LBB31_1934:
	s_and_b64 vcc, exec, s[0:1]
	s_cbranch_vccnz .LBB31_2114
; %bb.1935:
	s_andn2_b64 vcc, exec, s[10:11]
	s_cbranch_vccnz .LBB31_1937
.LBB31_1936:
	v_cndmask_b32_e64 v3, 0, 1, s[6:7]
	s_mov_b64 s[12:13], -1
	global_store_byte v[1:2], v3, off
.LBB31_1937:
	s_mov_b64 s[0:1], 0
	s_branch .LBB31_1939
.LBB31_1938:
	s_mov_b64 s[0:1], -1
	s_mov_b64 s[12:13], 0
.LBB31_1939:
	s_and_b64 vcc, exec, s[0:1]
	s_cbranch_vccz .LBB31_1978
; %bb.1940:
	s_cmp_lt_i32 s20, 5
	s_mov_b64 s[0:1], -1
	s_cbranch_scc1 .LBB31_1961
; %bb.1941:
	s_cmp_lt_i32 s20, 8
	s_cbranch_scc1 .LBB31_1951
; %bb.1942:
	s_cmp_lt_i32 s20, 9
	s_cbranch_scc1 .LBB31_1948
; %bb.1943:
	s_cmp_gt_i32 s20, 9
	s_cbranch_scc0 .LBB31_1945
; %bb.1944:
	v_cndmask_b32_e64 v3, 0, 1, s[6:7]
	v_cvt_f64_u32_e32 v[3:4], v3
	v_mov_b32_e32 v5, 0
	v_mov_b32_e32 v6, v5
	s_mov_b64 s[0:1], 0
	global_store_dwordx4 v[1:2], v[3:6], off
.LBB31_1945:
	s_andn2_b64 vcc, exec, s[0:1]
	s_cbranch_vccnz .LBB31_1947
; %bb.1946:
	v_cndmask_b32_e64 v3, 0, 1.0, s[6:7]
	v_mov_b32_e32 v4, 0
	global_store_dwordx2 v[1:2], v[3:4], off
.LBB31_1947:
	s_mov_b64 s[0:1], 0
.LBB31_1948:
	s_andn2_b64 vcc, exec, s[0:1]
	s_cbranch_vccnz .LBB31_1950
; %bb.1949:
	v_cndmask_b32_e64 v3, 0, 1.0, s[6:7]
	v_cvt_f16_f32_e32 v3, v3
	global_store_dword v[1:2], v3, off
.LBB31_1950:
	s_mov_b64 s[0:1], 0
.LBB31_1951:
	s_andn2_b64 vcc, exec, s[0:1]
	s_cbranch_vccnz .LBB31_1960
; %bb.1952:
	s_cmp_lt_i32 s20, 6
	s_mov_b64 s[0:1], -1
	s_cbranch_scc1 .LBB31_1958
; %bb.1953:
	s_cmp_gt_i32 s20, 6
	s_cbranch_scc0 .LBB31_1955
; %bb.1954:
	v_cndmask_b32_e64 v3, 0, 1, s[6:7]
	v_cvt_f64_u32_e32 v[3:4], v3
	s_mov_b64 s[0:1], 0
	global_store_dwordx2 v[1:2], v[3:4], off
.LBB31_1955:
	s_andn2_b64 vcc, exec, s[0:1]
	s_cbranch_vccnz .LBB31_1957
; %bb.1956:
	v_cndmask_b32_e64 v3, 0, 1.0, s[6:7]
	global_store_dword v[1:2], v3, off
.LBB31_1957:
	s_mov_b64 s[0:1], 0
.LBB31_1958:
	s_andn2_b64 vcc, exec, s[0:1]
	s_cbranch_vccnz .LBB31_1960
; %bb.1959:
	v_cndmask_b32_e64 v3, 0, 1.0, s[6:7]
	v_cvt_f16_f32_e32 v3, v3
	global_store_short v[1:2], v3, off
.LBB31_1960:
	s_mov_b64 s[0:1], 0
.LBB31_1961:
	s_andn2_b64 vcc, exec, s[0:1]
	s_cbranch_vccnz .LBB31_1977
; %bb.1962:
	s_cmp_lt_i32 s20, 2
	s_mov_b64 s[0:1], -1
	s_cbranch_scc1 .LBB31_1972
; %bb.1963:
	s_cmp_lt_i32 s20, 3
	s_cbranch_scc1 .LBB31_1969
; %bb.1964:
	s_cmp_gt_i32 s20, 3
	s_cbranch_scc0 .LBB31_1966
; %bb.1965:
	s_mov_b32 s0, 0
	v_cndmask_b32_e64 v3, 0, 1, s[6:7]
	v_mov_b32_e32 v4, s0
	global_store_dwordx2 v[1:2], v[3:4], off
	s_mov_b64 s[0:1], 0
.LBB31_1966:
	s_andn2_b64 vcc, exec, s[0:1]
	s_cbranch_vccnz .LBB31_1968
; %bb.1967:
	v_cndmask_b32_e64 v3, 0, 1, s[6:7]
	global_store_dword v[1:2], v3, off
.LBB31_1968:
	s_mov_b64 s[0:1], 0
.LBB31_1969:
	s_andn2_b64 vcc, exec, s[0:1]
	s_cbranch_vccnz .LBB31_1971
; %bb.1970:
	v_cndmask_b32_e64 v3, 0, 1, s[6:7]
	global_store_short v[1:2], v3, off
.LBB31_1971:
	s_mov_b64 s[0:1], 0
.LBB31_1972:
	s_andn2_b64 vcc, exec, s[0:1]
	s_cbranch_vccnz .LBB31_1977
; %bb.1973:
	s_cmp_gt_i32 s20, 0
	s_mov_b64 s[0:1], -1
	s_cbranch_scc0 .LBB31_1975
; %bb.1974:
	v_cndmask_b32_e64 v3, 0, 1, s[6:7]
	global_store_byte v[1:2], v3, off
	s_mov_b64 s[0:1], 0
.LBB31_1975:
	s_andn2_b64 vcc, exec, s[0:1]
	s_cbranch_vccnz .LBB31_1977
; %bb.1976:
	v_cndmask_b32_e64 v3, 0, 1, s[6:7]
	global_store_byte v[1:2], v3, off
.LBB31_1977:
	s_mov_b64 s[12:13], -1
.LBB31_1978:
	s_andn2_b64 vcc, exec, s[12:13]
	s_cbranch_vccnz .LBB31_2055
; %bb.1979:
	v_cmp_ne_u16_sdwa s[0:1], s19, v7 src0_sel:DWORD src1_sel:BYTE_0
	s_xor_b64 s[10:11], s[4:5], s[0:1]
	v_mov_b32_e32 v1, s9
	v_add_co_u32_e32 v0, vcc, s8, v0
	s_cmp_lt_i32 s20, 11
	v_addc_co_u32_e32 v1, vcc, 0, v1, vcc
	s_cbranch_scc1 .LBB31_2100
; %bb.1980:
	s_mov_b64 s[6:7], -1
	s_mov_b64 s[4:5], 0
	s_cmp_gt_i32 s20, 25
	s_mov_b64 s[0:1], 0
	s_cbranch_scc0 .LBB31_2013
; %bb.1981:
	s_cmp_gt_i32 s20, 28
	s_cbranch_scc0 .LBB31_1997
; %bb.1982:
	s_cmp_gt_i32 s20, 43
	;; [unrolled: 3-line block ×3, first 2 shown]
	s_cbranch_scc0 .LBB31_1987
; %bb.1984:
	s_cmp_eq_u32 s20, 46
	s_mov_b64 s[0:1], -1
	s_cbranch_scc0 .LBB31_1986
; %bb.1985:
	v_cndmask_b32_e64 v2, 0, 1.0, s[10:11]
	v_bfe_u32 v3, v2, 16, 1
	s_movk_i32 s0, 0x7fff
	v_add3_u32 v2, v2, v3, s0
	v_lshrrev_b32_e32 v2, 16, v2
	global_store_dword v[0:1], v2, off
	s_mov_b64 s[0:1], 0
.LBB31_1986:
	s_mov_b64 s[6:7], 0
.LBB31_1987:
	s_and_b64 vcc, exec, s[6:7]
	s_cbranch_vccz .LBB31_1992
; %bb.1988:
	s_cmp_eq_u32 s20, 44
	s_mov_b64 s[0:1], -1
	s_cbranch_scc0 .LBB31_1992
; %bb.1989:
	v_cndmask_b32_e64 v3, 0, 1.0, s[10:11]
	v_lshrrev_b32_e32 v2, 23, v3
	s_movk_i32 s0, 0xff
	v_cmp_ne_u32_e32 vcc, s0, v2
	v_mov_b32_e32 v4, 0xff
	s_and_saveexec_b64 s[6:7], vcc
; %bb.1990:
	s_mov_b32 s0, 0x3fffff
	v_and_b32_e32 v4, 0x400000, v3
	v_and_or_b32 v3, v3, s0, v2
	v_cmp_ne_u32_e32 vcc, 0, v4
	v_cmp_ne_u32_e64 s[0:1], 0, v3
	s_and_b64 s[0:1], vcc, s[0:1]
	v_cndmask_b32_e64 v3, 0, 1, s[0:1]
	v_add_u32_e32 v4, v2, v3
; %bb.1991:
	s_or_b64 exec, exec, s[6:7]
	s_mov_b64 s[0:1], 0
	global_store_byte v[0:1], v4, off
.LBB31_1992:
	s_mov_b64 s[6:7], 0
.LBB31_1993:
	s_and_b64 vcc, exec, s[6:7]
	s_cbranch_vccz .LBB31_1996
; %bb.1994:
	s_cmp_eq_u32 s20, 29
	s_mov_b64 s[0:1], -1
	s_cbranch_scc0 .LBB31_1996
; %bb.1995:
	s_mov_b32 s0, 0
	v_cndmask_b32_e64 v2, 0, 1, s[10:11]
	v_mov_b32_e32 v3, s0
	global_store_dwordx2 v[0:1], v[2:3], off
	s_mov_b64 s[0:1], 0
.LBB31_1996:
	s_mov_b64 s[6:7], 0
.LBB31_1997:
	s_and_b64 vcc, exec, s[6:7]
	s_cbranch_vccz .LBB31_2012
; %bb.1998:
	s_cmp_lt_i32 s20, 27
	s_mov_b64 s[6:7], -1
	s_cbranch_scc1 .LBB31_2004
; %bb.1999:
	s_cmp_gt_i32 s20, 27
	s_cbranch_scc0 .LBB31_2001
; %bb.2000:
	v_cndmask_b32_e64 v2, 0, 1, s[10:11]
	global_store_dword v[0:1], v2, off
	s_mov_b64 s[6:7], 0
.LBB31_2001:
	s_andn2_b64 vcc, exec, s[6:7]
	s_cbranch_vccnz .LBB31_2003
; %bb.2002:
	v_cndmask_b32_e64 v2, 0, 1, s[10:11]
	global_store_short v[0:1], v2, off
.LBB31_2003:
	s_mov_b64 s[6:7], 0
.LBB31_2004:
	s_andn2_b64 vcc, exec, s[6:7]
	s_cbranch_vccnz .LBB31_2012
; %bb.2005:
	v_cndmask_b32_e64 v3, 0, 1.0, s[10:11]
	s_mov_b32 s6, 0x43800000
	v_cmp_gt_u32_e32 vcc, s6, v3
	v_mov_b32_e32 v4, 0x80
	s_and_saveexec_b64 s[6:7], vcc
	s_cbranch_execz .LBB31_2011
; %bb.2006:
	s_mov_b32 s8, 0x3bffffff
	v_cmp_lt_u32_e32 vcc, s8, v3
	s_mov_b64 s[8:9], 0
                                        ; implicit-def: $vgpr2
	s_and_saveexec_b64 s[12:13], vcc
	s_xor_b64 s[12:13], exec, s[12:13]
	s_cbranch_execz .LBB31_2117
; %bb.2007:
	v_bfe_u32 v2, v3, 20, 1
	s_mov_b32 s14, 0x487ffff
	v_add3_u32 v2, v3, v2, s14
	s_mov_b64 s[8:9], exec
	v_lshrrev_b32_e32 v2, 20, v2
                                        ; implicit-def: $vgpr3
	s_andn2_saveexec_b64 s[12:13], s[12:13]
	s_cbranch_execnz .LBB31_2118
.LBB31_2008:
	s_or_b64 exec, exec, s[12:13]
	v_mov_b32_e32 v4, 0
	s_and_saveexec_b64 s[12:13], s[8:9]
.LBB31_2009:
	v_mov_b32_e32 v4, v2
.LBB31_2010:
	s_or_b64 exec, exec, s[12:13]
.LBB31_2011:
	s_or_b64 exec, exec, s[6:7]
	global_store_byte v[0:1], v4, off
.LBB31_2012:
	s_mov_b64 s[6:7], 0
.LBB31_2013:
	s_and_b64 vcc, exec, s[6:7]
	s_cbranch_vccz .LBB31_2053
; %bb.2014:
	s_cmp_gt_i32 s20, 22
	s_mov_b64 s[4:5], -1
	s_cbranch_scc0 .LBB31_2046
; %bb.2015:
	s_cmp_lt_i32 s20, 24
	s_cbranch_scc1 .LBB31_2035
; %bb.2016:
	s_cmp_gt_i32 s20, 24
	s_cbranch_scc0 .LBB31_2024
; %bb.2017:
	v_cndmask_b32_e64 v3, 0, 1.0, s[10:11]
	s_mov_b32 s4, 0x47800000
	v_cmp_gt_u32_e32 vcc, s4, v3
	v_mov_b32_e32 v4, 0x80
	s_and_saveexec_b64 s[4:5], vcc
	s_cbranch_execz .LBB31_2023
; %bb.2018:
	s_mov_b32 s6, 0x37ffffff
	v_cmp_lt_u32_e32 vcc, s6, v3
	s_mov_b64 s[6:7], 0
                                        ; implicit-def: $vgpr2
	s_and_saveexec_b64 s[8:9], vcc
	s_xor_b64 s[8:9], exec, s[8:9]
	s_cbranch_execz .LBB31_2120
; %bb.2019:
	v_bfe_u32 v2, v3, 21, 1
	s_mov_b32 s12, 0x88fffff
	v_add3_u32 v2, v3, v2, s12
	s_mov_b64 s[6:7], exec
	v_lshrrev_b32_e32 v2, 21, v2
                                        ; implicit-def: $vgpr3
	s_andn2_saveexec_b64 s[8:9], s[8:9]
	s_cbranch_execnz .LBB31_2121
.LBB31_2020:
	s_or_b64 exec, exec, s[8:9]
	v_mov_b32_e32 v4, 0
	s_and_saveexec_b64 s[8:9], s[6:7]
.LBB31_2021:
	v_mov_b32_e32 v4, v2
.LBB31_2022:
	s_or_b64 exec, exec, s[8:9]
.LBB31_2023:
	s_or_b64 exec, exec, s[4:5]
	s_mov_b64 s[4:5], 0
	global_store_byte v[0:1], v4, off
.LBB31_2024:
	s_and_b64 vcc, exec, s[4:5]
	s_cbranch_vccz .LBB31_2034
; %bb.2025:
	v_cndmask_b32_e64 v2, 0, 1.0, s[10:11]
	s_mov_b32 s4, 0x43f00000
	v_cmp_gt_u32_e32 vcc, s4, v2
                                        ; implicit-def: $vgpr3
	s_and_saveexec_b64 s[4:5], vcc
	s_xor_b64 s[4:5], exec, s[4:5]
	s_cbranch_execz .LBB31_2031
; %bb.2026:
	s_mov_b32 s6, 0x3c7fffff
	v_cmp_lt_u32_e32 vcc, s6, v2
                                        ; implicit-def: $vgpr3
	s_and_saveexec_b64 s[6:7], vcc
	s_xor_b64 s[6:7], exec, s[6:7]
; %bb.2027:
	v_bfe_u32 v3, v2, 20, 1
	s_mov_b32 s8, 0x407ffff
	v_add3_u32 v2, v2, v3, s8
	v_lshrrev_b32_e32 v3, 20, v2
	v_and_b32_e32 v2, 0xff00000, v2
	s_mov_b32 s8, 0x7f00000
	v_mov_b32_e32 v4, 0x7e
	v_cmp_ne_u32_e32 vcc, s8, v2
	v_cndmask_b32_e32 v3, v4, v3, vcc
                                        ; implicit-def: $vgpr2
; %bb.2028:
	s_andn2_saveexec_b64 s[6:7], s[6:7]
; %bb.2029:
	v_add_f32_e32 v3, 0x46800000, v2
; %bb.2030:
	s_or_b64 exec, exec, s[6:7]
                                        ; implicit-def: $vgpr2
.LBB31_2031:
	s_andn2_saveexec_b64 s[4:5], s[4:5]
; %bb.2032:
	s_mov_b32 s6, 0x7f800000
	v_mov_b32_e32 v3, 0x7e
	v_mov_b32_e32 v4, 0x7f
	v_cmp_lt_u32_e32 vcc, s6, v2
	v_cndmask_b32_e32 v3, v3, v4, vcc
; %bb.2033:
	s_or_b64 exec, exec, s[4:5]
	global_store_byte v[0:1], v3, off
.LBB31_2034:
	s_mov_b64 s[4:5], 0
.LBB31_2035:
	s_andn2_b64 vcc, exec, s[4:5]
	s_cbranch_vccnz .LBB31_2045
; %bb.2036:
	v_cndmask_b32_e64 v2, 0, 1.0, s[10:11]
	s_mov_b32 s4, 0x47800000
	v_cmp_gt_u32_e32 vcc, s4, v2
                                        ; implicit-def: $vgpr3
	s_and_saveexec_b64 s[4:5], vcc
	s_xor_b64 s[4:5], exec, s[4:5]
	s_cbranch_execz .LBB31_2042
; %bb.2037:
	s_mov_b32 s6, 0x387fffff
	v_cmp_lt_u32_e32 vcc, s6, v2
                                        ; implicit-def: $vgpr3
	s_and_saveexec_b64 s[6:7], vcc
	s_xor_b64 s[6:7], exec, s[6:7]
; %bb.2038:
	v_bfe_u32 v3, v2, 21, 1
	s_mov_b32 s8, 0x80fffff
	v_add3_u32 v2, v2, v3, s8
	v_lshrrev_b32_e32 v3, 21, v2
                                        ; implicit-def: $vgpr2
; %bb.2039:
	s_andn2_saveexec_b64 s[6:7], s[6:7]
; %bb.2040:
	v_add_f32_e32 v3, 0x43000000, v2
; %bb.2041:
	s_or_b64 exec, exec, s[6:7]
                                        ; implicit-def: $vgpr2
.LBB31_2042:
	s_andn2_saveexec_b64 s[4:5], s[4:5]
; %bb.2043:
	s_mov_b32 s6, 0x7f800000
	v_mov_b32_e32 v3, 0x7c
	v_mov_b32_e32 v4, 0x7f
	v_cmp_lt_u32_e32 vcc, s6, v2
	v_cndmask_b32_e32 v3, v3, v4, vcc
; %bb.2044:
	s_or_b64 exec, exec, s[4:5]
	global_store_byte v[0:1], v3, off
.LBB31_2045:
	s_mov_b64 s[4:5], 0
.LBB31_2046:
	s_andn2_b64 vcc, exec, s[4:5]
	s_mov_b64 s[4:5], 0
	s_cbranch_vccnz .LBB31_2053
; %bb.2047:
	s_cmp_gt_i32 s20, 14
	s_mov_b64 s[6:7], -1
	s_cbranch_scc0 .LBB31_2051
; %bb.2048:
	s_cmp_eq_u32 s20, 15
	s_mov_b64 s[0:1], -1
	s_cbranch_scc0 .LBB31_2050
; %bb.2049:
	v_cndmask_b32_e64 v2, 0, 1.0, s[10:11]
	v_bfe_u32 v3, v2, 16, 1
	s_movk_i32 s0, 0x7fff
	v_add3_u32 v2, v2, v3, s0
	global_store_short_d16_hi v[0:1], v2, off
	s_mov_b64 s[0:1], 0
.LBB31_2050:
	s_mov_b64 s[6:7], 0
.LBB31_2051:
	s_and_b64 vcc, exec, s[6:7]
	s_cbranch_vccz .LBB31_2053
; %bb.2052:
	s_cmp_lg_u32 s20, 11
	s_mov_b64 s[4:5], -1
	s_cselect_b64 s[0:1], -1, 0
.LBB31_2053:
	s_and_b64 vcc, exec, s[0:1]
	s_cbranch_vccnz .LBB31_2119
.LBB31_2054:
	s_mov_b64 s[0:1], 0
	s_branch .LBB31_2056
.LBB31_2055:
	s_mov_b64 s[0:1], 0
	s_mov_b64 s[4:5], 0
                                        ; implicit-def: $sgpr10_sgpr11
                                        ; implicit-def: $vgpr0_vgpr1
                                        ; implicit-def: $sgpr18
.LBB31_2056:
	s_and_b64 s[6:7], s[4:5], exec
	s_andn2_b64 s[4:5], s[28:29], exec
	s_and_b64 s[2:3], s[2:3], exec
	s_and_b64 s[0:1], s[0:1], exec
	s_or_b64 s[28:29], s[4:5], s[2:3]
.LBB31_2057:
	s_or_b64 exec, exec, s[30:31]
	s_and_saveexec_b64 s[2:3], s[28:29]
	s_cbranch_execz .LBB31_2060
; %bb.2058:
	; divergent unreachable
	s_or_b64 exec, exec, s[2:3]
	s_and_saveexec_b64 s[2:3], s[6:7]
	s_xor_b64 s[2:3], exec, s[2:3]
	s_cbranch_execnz .LBB31_2061
.LBB31_2059:
	s_or_b64 exec, exec, s[2:3]
	s_and_saveexec_b64 s[2:3], s[0:1]
	s_cbranch_execnz .LBB31_2062
	s_branch .LBB31_2099
.LBB31_2060:
	s_or_b64 exec, exec, s[2:3]
	s_and_saveexec_b64 s[2:3], s[6:7]
	s_xor_b64 s[2:3], exec, s[2:3]
	s_cbranch_execz .LBB31_2059
.LBB31_2061:
	v_cndmask_b32_e64 v2, 0, 1, s[10:11]
	global_store_byte v[0:1], v2, off
	s_or_b64 exec, exec, s[2:3]
	s_and_saveexec_b64 s[2:3], s[0:1]
	s_cbranch_execz .LBB31_2099
.LBB31_2062:
	s_sext_i32_i16 s2, s18
	s_cmp_lt_i32 s2, 5
	s_mov_b64 s[0:1], -1
	s_cbranch_scc1 .LBB31_2083
; %bb.2063:
	s_cmp_lt_i32 s2, 8
	s_cbranch_scc1 .LBB31_2073
; %bb.2064:
	s_cmp_lt_i32 s2, 9
	s_cbranch_scc1 .LBB31_2070
; %bb.2065:
	s_cmp_gt_i32 s2, 9
	s_cbranch_scc0 .LBB31_2067
; %bb.2066:
	v_cndmask_b32_e64 v2, 0, 1, s[10:11]
	s_waitcnt vmcnt(0)
	v_cvt_f64_u32_e32 v[2:3], v2
	v_mov_b32_e32 v4, 0
	v_mov_b32_e32 v5, v4
	s_mov_b64 s[0:1], 0
	global_store_dwordx4 v[0:1], v[2:5], off
.LBB31_2067:
	s_andn2_b64 vcc, exec, s[0:1]
	s_cbranch_vccnz .LBB31_2069
; %bb.2068:
	v_cndmask_b32_e64 v2, 0, 1.0, s[10:11]
	s_waitcnt vmcnt(0)
	v_mov_b32_e32 v3, 0
	global_store_dwordx2 v[0:1], v[2:3], off
.LBB31_2069:
	s_mov_b64 s[0:1], 0
.LBB31_2070:
	s_andn2_b64 vcc, exec, s[0:1]
	s_cbranch_vccnz .LBB31_2072
; %bb.2071:
	v_cndmask_b32_e64 v2, 0, 1.0, s[10:11]
	v_cvt_f16_f32_e32 v2, v2
	global_store_dword v[0:1], v2, off
.LBB31_2072:
	s_mov_b64 s[0:1], 0
.LBB31_2073:
	s_andn2_b64 vcc, exec, s[0:1]
	s_cbranch_vccnz .LBB31_2082
; %bb.2074:
	s_sext_i32_i16 s2, s18
	s_cmp_lt_i32 s2, 6
	s_mov_b64 s[0:1], -1
	s_cbranch_scc1 .LBB31_2080
; %bb.2075:
	s_cmp_gt_i32 s2, 6
	s_cbranch_scc0 .LBB31_2077
; %bb.2076:
	v_cndmask_b32_e64 v2, 0, 1, s[10:11]
	s_waitcnt vmcnt(0)
	v_cvt_f64_u32_e32 v[2:3], v2
	s_mov_b64 s[0:1], 0
	global_store_dwordx2 v[0:1], v[2:3], off
.LBB31_2077:
	s_andn2_b64 vcc, exec, s[0:1]
	s_cbranch_vccnz .LBB31_2079
; %bb.2078:
	v_cndmask_b32_e64 v2, 0, 1.0, s[10:11]
	global_store_dword v[0:1], v2, off
.LBB31_2079:
	s_mov_b64 s[0:1], 0
.LBB31_2080:
	s_andn2_b64 vcc, exec, s[0:1]
	s_cbranch_vccnz .LBB31_2082
; %bb.2081:
	v_cndmask_b32_e64 v2, 0, 1.0, s[10:11]
	v_cvt_f16_f32_e32 v2, v2
	global_store_short v[0:1], v2, off
.LBB31_2082:
	s_mov_b64 s[0:1], 0
.LBB31_2083:
	s_andn2_b64 vcc, exec, s[0:1]
	s_cbranch_vccnz .LBB31_2099
; %bb.2084:
	s_sext_i32_i16 s2, s18
	s_cmp_lt_i32 s2, 2
	s_mov_b64 s[0:1], -1
	s_cbranch_scc1 .LBB31_2094
; %bb.2085:
	s_cmp_lt_i32 s2, 3
	s_cbranch_scc1 .LBB31_2091
; %bb.2086:
	s_cmp_gt_i32 s2, 3
	s_cbranch_scc0 .LBB31_2088
; %bb.2087:
	s_mov_b32 s0, 0
	v_cndmask_b32_e64 v2, 0, 1, s[10:11]
	s_waitcnt vmcnt(0)
	v_mov_b32_e32 v3, s0
	global_store_dwordx2 v[0:1], v[2:3], off
	s_mov_b64 s[0:1], 0
.LBB31_2088:
	s_andn2_b64 vcc, exec, s[0:1]
	s_cbranch_vccnz .LBB31_2090
; %bb.2089:
	v_cndmask_b32_e64 v2, 0, 1, s[10:11]
	global_store_dword v[0:1], v2, off
.LBB31_2090:
	s_mov_b64 s[0:1], 0
.LBB31_2091:
	s_andn2_b64 vcc, exec, s[0:1]
	s_cbranch_vccnz .LBB31_2093
; %bb.2092:
	v_cndmask_b32_e64 v2, 0, 1, s[10:11]
	global_store_short v[0:1], v2, off
.LBB31_2093:
	s_mov_b64 s[0:1], 0
.LBB31_2094:
	s_andn2_b64 vcc, exec, s[0:1]
	s_cbranch_vccnz .LBB31_2099
; %bb.2095:
	s_sext_i32_i16 s0, s18
	s_cmp_gt_i32 s0, 0
	s_mov_b64 s[0:1], -1
	s_cbranch_scc0 .LBB31_2097
; %bb.2096:
	v_cndmask_b32_e64 v2, 0, 1, s[10:11]
	global_store_byte v[0:1], v2, off
	s_mov_b64 s[0:1], 0
.LBB31_2097:
	s_andn2_b64 vcc, exec, s[0:1]
	s_cbranch_vccnz .LBB31_2099
; %bb.2098:
	v_cndmask_b32_e64 v2, 0, 1, s[10:11]
	global_store_byte v[0:1], v2, off
	s_endpgm
.LBB31_2099:
	s_endpgm
.LBB31_2100:
	s_mov_b64 s[4:5], 0
	s_mov_b64 s[0:1], -1
	s_branch .LBB31_2056
.LBB31_2101:
	s_trap 2
	s_or_b64 s[2:3], s[2:3], exec
	s_cbranch_execz .LBB31_1570
	s_branch .LBB31_1571
.LBB31_2102:
	s_andn2_saveexec_b64 s[16:17], s[16:17]
	s_cbranch_execz .LBB31_1650
.LBB31_2103:
	v_add_f32_e32 v1, 0x46000000, v3
	v_and_b32_e32 v1, 0xff, v1
	v_cmp_ne_u32_e32 vcc, 0, v1
	s_andn2_b64 s[14:15], s[14:15], exec
	s_and_b64 s[22:23], vcc, exec
	s_or_b64 s[14:15], s[14:15], s[22:23]
	s_or_b64 exec, exec, s[16:17]
	v_mov_b32_e32 v8, 0
	s_and_saveexec_b64 s[16:17], s[14:15]
	s_cbranch_execnz .LBB31_1651
	s_branch .LBB31_1652
.LBB31_2104:
	s_trap 2
	s_or_b64 s[2:3], s[2:3], exec
	s_cbranch_execz .LBB31_1698
	s_branch .LBB31_1699
.LBB31_2105:
	s_andn2_saveexec_b64 s[14:15], s[14:15]
	s_cbranch_execz .LBB31_1663
.LBB31_2106:
	v_add_f32_e32 v1, 0x42800000, v3
	v_and_b32_e32 v1, 0xff, v1
	v_cmp_ne_u32_e32 vcc, 0, v1
	s_andn2_b64 s[12:13], s[12:13], exec
	s_and_b64 s[16:17], vcc, exec
	s_or_b64 s[12:13], s[12:13], s[16:17]
	s_or_b64 exec, exec, s[14:15]
	v_mov_b32_e32 v8, 0
	s_and_saveexec_b64 s[14:15], s[12:13]
	s_cbranch_execnz .LBB31_1664
	s_branch .LBB31_1665
.LBB31_2107:
	s_andn2_saveexec_b64 s[16:17], s[16:17]
	s_cbranch_execz .LBB31_1769
.LBB31_2108:
	v_add_f32_e32 v1, 0x46000000, v5
	v_and_b32_e32 v1, 0xff, v1
	v_cmp_ne_u32_e32 vcc, 0, v1
	s_andn2_b64 s[14:15], s[14:15], exec
	s_and_b64 s[22:23], vcc, exec
	s_or_b64 s[14:15], s[14:15], s[22:23]
	s_or_b64 exec, exec, s[16:17]
	v_mov_b32_e32 v6, 0
	s_and_saveexec_b64 s[16:17], s[14:15]
	s_cbranch_execnz .LBB31_1770
	s_branch .LBB31_1771
.LBB31_2109:
	s_trap 2
	s_or_b64 s[2:3], s[2:3], exec
	s_cbranch_execz .LBB31_1817
	s_branch .LBB31_1818
.LBB31_2110:
	s_andn2_saveexec_b64 s[14:15], s[14:15]
	s_cbranch_execz .LBB31_1782
.LBB31_2111:
	v_add_f32_e32 v1, 0x42800000, v5
	v_and_b32_e32 v1, 0xff, v1
	v_cmp_ne_u32_e32 vcc, 0, v1
	s_andn2_b64 s[12:13], s[12:13], exec
	s_and_b64 s[16:17], vcc, exec
	s_or_b64 s[12:13], s[12:13], s[16:17]
	s_or_b64 exec, exec, s[14:15]
	v_mov_b32_e32 v6, 0
	s_and_saveexec_b64 s[14:15], s[12:13]
	s_cbranch_execnz .LBB31_1783
	s_branch .LBB31_1784
.LBB31_2112:
	s_andn2_saveexec_b64 s[16:17], s[16:17]
	s_cbranch_execz .LBB31_1888
.LBB31_2113:
	v_add_f32_e32 v3, 0x46000000, v4
	v_and_b32_e32 v3, 0xff, v3
	v_cmp_ne_u32_e32 vcc, 0, v3
	s_andn2_b64 s[14:15], s[14:15], exec
	s_and_b64 s[22:23], vcc, exec
	s_or_b64 s[14:15], s[14:15], s[22:23]
	s_or_b64 exec, exec, s[16:17]
	v_mov_b32_e32 v5, 0
	s_and_saveexec_b64 s[16:17], s[14:15]
	s_cbranch_execnz .LBB31_1889
	s_branch .LBB31_1890
.LBB31_2114:
	s_trap 2
	s_or_b64 s[2:3], s[2:3], exec
	s_cbranch_execz .LBB31_1936
	s_branch .LBB31_1937
.LBB31_2115:
	s_andn2_saveexec_b64 s[14:15], s[14:15]
	s_cbranch_execz .LBB31_1901
.LBB31_2116:
	v_add_f32_e32 v3, 0x42800000, v4
	v_and_b32_e32 v3, 0xff, v3
	v_cmp_ne_u32_e32 vcc, 0, v3
	s_andn2_b64 s[12:13], s[12:13], exec
	s_and_b64 s[16:17], vcc, exec
	s_or_b64 s[12:13], s[12:13], s[16:17]
	s_or_b64 exec, exec, s[14:15]
	v_mov_b32_e32 v5, 0
	s_and_saveexec_b64 s[14:15], s[12:13]
	s_cbranch_execnz .LBB31_1902
	s_branch .LBB31_1903
.LBB31_2117:
	s_andn2_saveexec_b64 s[12:13], s[12:13]
	s_cbranch_execz .LBB31_2008
.LBB31_2118:
	v_add_f32_e32 v2, 0x46000000, v3
	v_and_b32_e32 v2, 0xff, v2
	v_cmp_ne_u32_e32 vcc, 0, v2
	s_andn2_b64 s[8:9], s[8:9], exec
	s_and_b64 s[14:15], vcc, exec
	s_or_b64 s[8:9], s[8:9], s[14:15]
	s_or_b64 exec, exec, s[12:13]
	v_mov_b32_e32 v4, 0
	s_and_saveexec_b64 s[12:13], s[8:9]
	s_cbranch_execnz .LBB31_2009
	s_branch .LBB31_2010
.LBB31_2119:
	s_mov_b64 s[4:5], 0
	s_or_b64 s[2:3], s[2:3], exec
	s_trap 2
	s_branch .LBB31_2054
.LBB31_2120:
	s_andn2_saveexec_b64 s[8:9], s[8:9]
	s_cbranch_execz .LBB31_2020
.LBB31_2121:
	v_add_f32_e32 v2, 0x42800000, v3
	v_and_b32_e32 v2, 0xff, v2
	v_cmp_ne_u32_e32 vcc, 0, v2
	s_andn2_b64 s[6:7], s[6:7], exec
	s_and_b64 s[12:13], vcc, exec
	s_or_b64 s[6:7], s[6:7], s[12:13]
	s_or_b64 exec, exec, s[8:9]
	v_mov_b32_e32 v4, 0
	s_and_saveexec_b64 s[8:9], s[6:7]
	s_cbranch_execnz .LBB31_2021
	s_branch .LBB31_2022
	.section	.rodata,"a",@progbits
	.p2align	6, 0x0
	.amdhsa_kernel _ZN2at6native32elementwise_kernel_manual_unrollILi128ELi4EZNS0_15gpu_kernel_implINS0_13AUnaryFunctorIaabNS0_12_GLOBAL__N_116CompareEqFunctorIaEEEEEEvRNS_18TensorIteratorBaseERKT_EUlibE0_EEviT1_
		.amdhsa_group_segment_fixed_size 0
		.amdhsa_private_segment_fixed_size 0
		.amdhsa_kernarg_size 368
		.amdhsa_user_sgpr_count 6
		.amdhsa_user_sgpr_private_segment_buffer 1
		.amdhsa_user_sgpr_dispatch_ptr 0
		.amdhsa_user_sgpr_queue_ptr 0
		.amdhsa_user_sgpr_kernarg_segment_ptr 1
		.amdhsa_user_sgpr_dispatch_id 0
		.amdhsa_user_sgpr_flat_scratch_init 0
		.amdhsa_user_sgpr_private_segment_size 0
		.amdhsa_uses_dynamic_stack 0
		.amdhsa_system_sgpr_private_segment_wavefront_offset 0
		.amdhsa_system_sgpr_workgroup_id_x 1
		.amdhsa_system_sgpr_workgroup_id_y 0
		.amdhsa_system_sgpr_workgroup_id_z 0
		.amdhsa_system_sgpr_workgroup_info 0
		.amdhsa_system_vgpr_workitem_id 0
		.amdhsa_next_free_vgpr 18
		.amdhsa_next_free_sgpr 81
		.amdhsa_reserve_vcc 1
		.amdhsa_reserve_flat_scratch 0
		.amdhsa_float_round_mode_32 0
		.amdhsa_float_round_mode_16_64 0
		.amdhsa_float_denorm_mode_32 3
		.amdhsa_float_denorm_mode_16_64 3
		.amdhsa_dx10_clamp 1
		.amdhsa_ieee_mode 1
		.amdhsa_fp16_overflow 0
		.amdhsa_exception_fp_ieee_invalid_op 0
		.amdhsa_exception_fp_denorm_src 0
		.amdhsa_exception_fp_ieee_div_zero 0
		.amdhsa_exception_fp_ieee_overflow 0
		.amdhsa_exception_fp_ieee_underflow 0
		.amdhsa_exception_fp_ieee_inexact 0
		.amdhsa_exception_int_div_zero 0
	.end_amdhsa_kernel
	.section	.text._ZN2at6native32elementwise_kernel_manual_unrollILi128ELi4EZNS0_15gpu_kernel_implINS0_13AUnaryFunctorIaabNS0_12_GLOBAL__N_116CompareEqFunctorIaEEEEEEvRNS_18TensorIteratorBaseERKT_EUlibE0_EEviT1_,"axG",@progbits,_ZN2at6native32elementwise_kernel_manual_unrollILi128ELi4EZNS0_15gpu_kernel_implINS0_13AUnaryFunctorIaabNS0_12_GLOBAL__N_116CompareEqFunctorIaEEEEEEvRNS_18TensorIteratorBaseERKT_EUlibE0_EEviT1_,comdat
.Lfunc_end31:
	.size	_ZN2at6native32elementwise_kernel_manual_unrollILi128ELi4EZNS0_15gpu_kernel_implINS0_13AUnaryFunctorIaabNS0_12_GLOBAL__N_116CompareEqFunctorIaEEEEEEvRNS_18TensorIteratorBaseERKT_EUlibE0_EEviT1_, .Lfunc_end31-_ZN2at6native32elementwise_kernel_manual_unrollILi128ELi4EZNS0_15gpu_kernel_implINS0_13AUnaryFunctorIaabNS0_12_GLOBAL__N_116CompareEqFunctorIaEEEEEEvRNS_18TensorIteratorBaseERKT_EUlibE0_EEviT1_
                                        ; -- End function
	.set _ZN2at6native32elementwise_kernel_manual_unrollILi128ELi4EZNS0_15gpu_kernel_implINS0_13AUnaryFunctorIaabNS0_12_GLOBAL__N_116CompareEqFunctorIaEEEEEEvRNS_18TensorIteratorBaseERKT_EUlibE0_EEviT1_.num_vgpr, 18
	.set _ZN2at6native32elementwise_kernel_manual_unrollILi128ELi4EZNS0_15gpu_kernel_implINS0_13AUnaryFunctorIaabNS0_12_GLOBAL__N_116CompareEqFunctorIaEEEEEEvRNS_18TensorIteratorBaseERKT_EUlibE0_EEviT1_.num_agpr, 0
	.set _ZN2at6native32elementwise_kernel_manual_unrollILi128ELi4EZNS0_15gpu_kernel_implINS0_13AUnaryFunctorIaabNS0_12_GLOBAL__N_116CompareEqFunctorIaEEEEEEvRNS_18TensorIteratorBaseERKT_EUlibE0_EEviT1_.numbered_sgpr, 81
	.set _ZN2at6native32elementwise_kernel_manual_unrollILi128ELi4EZNS0_15gpu_kernel_implINS0_13AUnaryFunctorIaabNS0_12_GLOBAL__N_116CompareEqFunctorIaEEEEEEvRNS_18TensorIteratorBaseERKT_EUlibE0_EEviT1_.num_named_barrier, 0
	.set _ZN2at6native32elementwise_kernel_manual_unrollILi128ELi4EZNS0_15gpu_kernel_implINS0_13AUnaryFunctorIaabNS0_12_GLOBAL__N_116CompareEqFunctorIaEEEEEEvRNS_18TensorIteratorBaseERKT_EUlibE0_EEviT1_.private_seg_size, 0
	.set _ZN2at6native32elementwise_kernel_manual_unrollILi128ELi4EZNS0_15gpu_kernel_implINS0_13AUnaryFunctorIaabNS0_12_GLOBAL__N_116CompareEqFunctorIaEEEEEEvRNS_18TensorIteratorBaseERKT_EUlibE0_EEviT1_.uses_vcc, 1
	.set _ZN2at6native32elementwise_kernel_manual_unrollILi128ELi4EZNS0_15gpu_kernel_implINS0_13AUnaryFunctorIaabNS0_12_GLOBAL__N_116CompareEqFunctorIaEEEEEEvRNS_18TensorIteratorBaseERKT_EUlibE0_EEviT1_.uses_flat_scratch, 0
	.set _ZN2at6native32elementwise_kernel_manual_unrollILi128ELi4EZNS0_15gpu_kernel_implINS0_13AUnaryFunctorIaabNS0_12_GLOBAL__N_116CompareEqFunctorIaEEEEEEvRNS_18TensorIteratorBaseERKT_EUlibE0_EEviT1_.has_dyn_sized_stack, 0
	.set _ZN2at6native32elementwise_kernel_manual_unrollILi128ELi4EZNS0_15gpu_kernel_implINS0_13AUnaryFunctorIaabNS0_12_GLOBAL__N_116CompareEqFunctorIaEEEEEEvRNS_18TensorIteratorBaseERKT_EUlibE0_EEviT1_.has_recursion, 0
	.set _ZN2at6native32elementwise_kernel_manual_unrollILi128ELi4EZNS0_15gpu_kernel_implINS0_13AUnaryFunctorIaabNS0_12_GLOBAL__N_116CompareEqFunctorIaEEEEEEvRNS_18TensorIteratorBaseERKT_EUlibE0_EEviT1_.has_indirect_call, 0
	.section	.AMDGPU.csdata,"",@progbits
; Kernel info:
; codeLenInByte = 34600
; TotalNumSgprs: 85
; NumVgprs: 18
; ScratchSize: 0
; MemoryBound: 1
; FloatMode: 240
; IeeeMode: 1
; LDSByteSize: 0 bytes/workgroup (compile time only)
; SGPRBlocks: 10
; VGPRBlocks: 4
; NumSGPRsForWavesPerEU: 85
; NumVGPRsForWavesPerEU: 18
; Occupancy: 9
; WaveLimiterHint : 1
; COMPUTE_PGM_RSRC2:SCRATCH_EN: 0
; COMPUTE_PGM_RSRC2:USER_SGPR: 6
; COMPUTE_PGM_RSRC2:TRAP_HANDLER: 0
; COMPUTE_PGM_RSRC2:TGID_X_EN: 1
; COMPUTE_PGM_RSRC2:TGID_Y_EN: 0
; COMPUTE_PGM_RSRC2:TGID_Z_EN: 0
; COMPUTE_PGM_RSRC2:TIDIG_COMP_CNT: 0
	.section	.text._ZN2at6native29vectorized_elementwise_kernelILi16ENS0_13BinaryFunctorIiibNS0_12_GLOBAL__N_116CompareEqFunctorIiEEEESt5arrayIPcLm3EEEEviT0_T1_,"axG",@progbits,_ZN2at6native29vectorized_elementwise_kernelILi16ENS0_13BinaryFunctorIiibNS0_12_GLOBAL__N_116CompareEqFunctorIiEEEESt5arrayIPcLm3EEEEviT0_T1_,comdat
	.globl	_ZN2at6native29vectorized_elementwise_kernelILi16ENS0_13BinaryFunctorIiibNS0_12_GLOBAL__N_116CompareEqFunctorIiEEEESt5arrayIPcLm3EEEEviT0_T1_ ; -- Begin function _ZN2at6native29vectorized_elementwise_kernelILi16ENS0_13BinaryFunctorIiibNS0_12_GLOBAL__N_116CompareEqFunctorIiEEEESt5arrayIPcLm3EEEEviT0_T1_
	.p2align	8
	.type	_ZN2at6native29vectorized_elementwise_kernelILi16ENS0_13BinaryFunctorIiibNS0_12_GLOBAL__N_116CompareEqFunctorIiEEEESt5arrayIPcLm3EEEEviT0_T1_,@function
_ZN2at6native29vectorized_elementwise_kernelILi16ENS0_13BinaryFunctorIiibNS0_12_GLOBAL__N_116CompareEqFunctorIiEEEESt5arrayIPcLm3EEEEviT0_T1_: ; @_ZN2at6native29vectorized_elementwise_kernelILi16ENS0_13BinaryFunctorIiibNS0_12_GLOBAL__N_116CompareEqFunctorIiEEEESt5arrayIPcLm3EEEEviT0_T1_
; %bb.0:
	s_load_dwordx2 s[34:35], s[4:5], 0x0
	s_load_dwordx4 s[36:39], s[4:5], 0x8
	s_load_dwordx2 s[40:41], s[4:5], 0x18
	s_lshl_b32 s30, s6, 12
	s_mov_b64 s[0:1], -1
	s_waitcnt lgkmcnt(0)
	s_sub_i32 s33, s34, s30
	s_cmpk_gt_i32 s33, 0xfff
	s_cbranch_scc0 .LBB32_2
; %bb.1:
	s_ashr_i32 s31, s30, 31
	s_lshl_b64 s[0:1], s[30:31], 2
	s_add_u32 s2, s38, s0
	s_addc_u32 s3, s39, s1
	s_add_u32 s0, s40, s0
	v_lshlrev_b32_e32 v33, 6, v0
	s_addc_u32 s1, s41, s1
	global_load_dwordx4 v[1:4], v33, s[0:1]
	global_load_dwordx4 v[5:8], v33, s[2:3]
	global_load_dwordx4 v[9:12], v33, s[2:3] offset:16
	global_load_dwordx4 v[13:16], v33, s[0:1] offset:16
	;; [unrolled: 1-line block ×6, first 2 shown]
	s_cmp_eq_u32 s35, 0
	s_cselect_b64 s[44:45], -1, 0
	s_add_u32 s42, s36, s30
	s_addc_u32 s43, s37, s31
	v_lshlrev_b32_e32 v33, 4, v0
	s_waitcnt vmcnt(6)
	v_cmp_ne_u32_e64 s[0:1], v5, v1
	v_cmp_ne_u32_e64 s[2:3], v8, v4
	s_xor_b64 s[0:1], s[44:45], s[0:1]
	v_cmp_ne_u32_e32 vcc, v6, v2
	v_cmp_ne_u32_e64 s[4:5], v7, v3
	v_cndmask_b32_e64 v2, 0, 1, s[0:1]
	s_xor_b64 s[0:1], s[44:45], s[2:3]
	s_waitcnt vmcnt(4)
	v_cmp_ne_u32_e64 s[6:7], v10, v14
	v_cndmask_b32_e64 v3, 0, 1, s[0:1]
	s_xor_b64 s[0:1], s[44:45], s[4:5]
	v_cmp_ne_u32_e64 s[8:9], v9, v13
	v_cndmask_b32_e64 v4, 0, 1, s[0:1]
	s_xor_b64 s[0:1], s[44:45], s[6:7]
	v_cmp_ne_u32_e64 s[10:11], v12, v16
	v_cndmask_b32_e64 v5, 0, 1, s[0:1]
	s_xor_b64 s[0:1], s[44:45], s[8:9]
	v_cmp_ne_u32_e64 s[12:13], v11, v15
	v_cndmask_b32_e64 v6, 0, 1, s[0:1]
	s_xor_b64 s[0:1], s[44:45], s[10:11]
	s_waitcnt vmcnt(2)
	v_cmp_ne_u32_e64 s[14:15], v22, v18
	v_cndmask_b32_e64 v7, 0, 1, s[0:1]
	s_xor_b64 s[0:1], s[44:45], s[12:13]
	v_cmp_ne_u32_e64 s[16:17], v21, v17
	v_cndmask_b32_e64 v8, 0, 1, s[0:1]
	s_xor_b64 s[0:1], s[44:45], s[14:15]
	v_cmp_ne_u32_e64 s[18:19], v24, v20
	v_cndmask_b32_e64 v9, 0, 1, s[0:1]
	s_xor_b64 s[0:1], s[44:45], s[16:17]
	;; [unrolled: 13-line block ×3, first 2 shown]
	v_cmp_ne_u32_e64 s[28:29], v27, v31
	s_xor_b64 s[46:47], s[44:45], vcc
	v_cndmask_b32_e64 v14, 0, 1, s[0:1]
	s_xor_b64 s[0:1], s[44:45], s[26:27]
	v_cndmask_b32_e64 v1, 0, 1, s[46:47]
	v_cndmask_b32_e64 v15, 0, 1, s[0:1]
	s_xor_b64 s[0:1], s[44:45], s[28:29]
	v_cndmask_b32_e64 v16, 0, 1, s[0:1]
	v_lshlrev_b16_e32 v1, 8, v1
	v_lshlrev_b16_e32 v3, 8, v3
	v_lshlrev_b16_e32 v5, 8, v5
	v_lshlrev_b16_e32 v7, 8, v7
	v_lshlrev_b16_e32 v9, 8, v9
	v_lshlrev_b16_e32 v11, 8, v11
	v_lshlrev_b16_e32 v13, 8, v13
	v_lshlrev_b16_e32 v15, 8, v15
	v_or_b32_e32 v1, v2, v1
	v_or_b32_sdwa v2, v4, v3 dst_sel:WORD_1 dst_unused:UNUSED_PAD src0_sel:DWORD src1_sel:DWORD
	v_or_b32_e32 v3, v6, v5
	v_or_b32_sdwa v4, v8, v7 dst_sel:WORD_1 dst_unused:UNUSED_PAD src0_sel:DWORD src1_sel:DWORD
	;; [unrolled: 2-line block ×4, first 2 shown]
	v_or_b32_sdwa v1, v1, v2 dst_sel:DWORD dst_unused:UNUSED_PAD src0_sel:WORD_0 src1_sel:DWORD
	v_or_b32_sdwa v2, v3, v4 dst_sel:DWORD dst_unused:UNUSED_PAD src0_sel:WORD_0 src1_sel:DWORD
	;; [unrolled: 1-line block ×4, first 2 shown]
	global_store_dwordx4 v33, v[1:4], s[42:43]
	s_mov_b64 s[0:1], 0
.LBB32_2:
	s_andn2_b64 vcc, exec, s[0:1]
	s_cbranch_vccnz .LBB32_54
; %bb.3:
	v_cmp_gt_i32_e32 vcc, s33, v0
	v_cmp_le_i32_e64 s[0:1], s33, v0
                                        ; implicit-def: $vgpr19
	s_and_saveexec_b64 s[2:3], s[0:1]
	s_xor_b64 s[0:1], exec, s[2:3]
; %bb.4:
	v_or_b32_e32 v19, 0x100, v0
; %bb.5:
	s_or_saveexec_b64 s[2:3], s[0:1]
	v_mov_b32_e32 v36, 0
	s_mov_b64 s[0:1], 0
	v_or_b32_e32 v1, s30, v0
	v_mov_b32_e32 v35, 0
	v_mov_b32_e32 v34, 0
	;; [unrolled: 1-line block ×29, first 2 shown]
	s_xor_b64 exec, exec, s[2:3]
	s_cbranch_execz .LBB32_37
; %bb.6:
	v_mov_b32_e32 v2, 0
	v_lshlrev_b64 v[3:4], 2, v[1:2]
	v_mov_b32_e32 v6, s39
	v_add_co_u32_e64 v5, s[0:1], s38, v3
	v_addc_co_u32_e64 v6, s[0:1], v6, v4, s[0:1]
	global_load_dword v22, v[5:6], off
	v_mov_b32_e32 v5, s41
	v_add_co_u32_e64 v3, s[0:1], s40, v3
	v_addc_co_u32_e64 v4, s[0:1], v5, v4, s[0:1]
	global_load_dword v26, v[3:4], off
	v_or_b32_e32 v19, 0x100, v0
	v_cmp_gt_u32_e64 s[0:1], s33, v19
	s_mov_b64 s[6:7], 0
	v_mov_b32_e32 v25, v2
	v_mov_b32_e32 v3, v2
	v_mov_b32_e32 v23, v2
	v_mov_b32_e32 v20, v2
	v_mov_b32_e32 v21, v2
	v_mov_b32_e32 v24, v2
	v_mov_b32_e32 v4, v2
	v_mov_b32_e32 v5, v2
	v_mov_b32_e32 v27, v2
	v_mov_b32_e32 v6, v2
	v_mov_b32_e32 v28, v2
	v_mov_b32_e32 v7, v2
	v_mov_b32_e32 v29, v2
	v_mov_b32_e32 v8, v2
	v_mov_b32_e32 v30, v2
	v_mov_b32_e32 v31, v2
	v_mov_b32_e32 v32, v2
	v_mov_b32_e32 v33, v2
	v_mov_b32_e32 v34, v2
	v_mov_b32_e32 v35, v2
	v_mov_b32_e32 v36, v2
	v_mov_b32_e32 v9, v2
	v_mov_b32_e32 v10, v2
	v_mov_b32_e32 v11, v2
	v_mov_b32_e32 v12, v2
	v_mov_b32_e32 v13, v2
	v_mov_b32_e32 v14, v2
	s_and_saveexec_b64 s[4:5], s[0:1]
	s_cbranch_execz .LBB32_36
; %bb.7:
	v_add_u32_e32 v2, s30, v0
	v_mov_b32_e32 v3, 0
	v_lshlrev_b64 v[4:5], 2, v[2:3]
	v_mov_b32_e32 v2, s39
	v_add_co_u32_e64 v15, s[0:1], s38, v4
	v_addc_co_u32_e64 v16, s[0:1], v2, v5, s[0:1]
	v_mov_b32_e32 v2, s41
	v_add_co_u32_e64 v17, s[0:1], s40, v4
	v_addc_co_u32_e64 v18, s[0:1], v2, v5, s[0:1]
	global_load_dword v25, v[15:16], off offset:1024
	global_load_dword v2, v[17:18], off offset:1024
	v_or_b32_e32 v4, 0x200, v0
	v_cmp_gt_u32_e64 s[0:1], s33, v4
	s_mov_b64 s[8:9], 0
	v_mov_b32_e32 v23, v3
	v_mov_b32_e32 v20, v3
	;; [unrolled: 1-line block ×25, first 2 shown]
	s_and_saveexec_b64 s[6:7], s[0:1]
	s_cbranch_execz .LBB32_35
; %bb.8:
	global_load_dword v23, v[15:16], off offset:2048
	global_load_dword v3, v[17:18], off offset:2048
	v_or_b32_e32 v4, 0x300, v0
	v_cmp_gt_u32_e64 s[0:1], s33, v4
	s_mov_b64 s[10:11], 0
	v_mov_b32_e32 v20, 0
	v_mov_b32_e32 v21, 0
	v_mov_b32_e32 v24, 0
	v_mov_b32_e32 v4, 0
	v_mov_b32_e32 v5, 0
	v_mov_b32_e32 v27, 0
	v_mov_b32_e32 v6, 0
	v_mov_b32_e32 v28, 0
	v_mov_b32_e32 v7, 0
	v_mov_b32_e32 v29, 0
	v_mov_b32_e32 v8, 0
	v_mov_b32_e32 v30, 0
	v_mov_b32_e32 v9, 0
	v_mov_b32_e32 v31, 0
	v_mov_b32_e32 v10, 0
	v_mov_b32_e32 v32, 0
	v_mov_b32_e32 v11, 0
	v_mov_b32_e32 v33, 0
	v_mov_b32_e32 v34, 0
	v_mov_b32_e32 v35, 0
	v_mov_b32_e32 v36, 0
	v_mov_b32_e32 v12, 0
	v_mov_b32_e32 v13, 0
	v_mov_b32_e32 v14, 0
	s_and_saveexec_b64 s[8:9], s[0:1]
	s_cbranch_execz .LBB32_34
; %bb.9:
	global_load_dword v21, v[15:16], off offset:3072
	global_load_dword v20, v[17:18], off offset:3072
	v_or_b32_e32 v15, 0x400, v0
	v_cmp_gt_u32_e64 s[0:1], s33, v15
	s_mov_b64 s[12:13], 0
	v_mov_b32_e32 v24, 0
	v_mov_b32_e32 v4, 0
	;; [unrolled: 1-line block ×22, first 2 shown]
	s_and_saveexec_b64 s[10:11], s[0:1]
	s_cbranch_execz .LBB32_33
; %bb.10:
	v_or_b32_e32 v4, s30, v15
	v_mov_b32_e32 v5, 0
	v_lshlrev_b64 v[6:7], 2, v[4:5]
	v_mov_b32_e32 v4, s39
	v_add_co_u32_e64 v8, s[0:1], s38, v6
	v_addc_co_u32_e64 v9, s[0:1], v4, v7, s[0:1]
	global_load_dword v4, v[8:9], off
	v_mov_b32_e32 v8, s41
	v_add_co_u32_e64 v6, s[0:1], s40, v6
	v_addc_co_u32_e64 v7, s[0:1], v8, v7, s[0:1]
	global_load_dword v24, v[6:7], off
	v_or_b32_e32 v15, 0x500, v0
	v_cmp_gt_u32_e64 s[0:1], s33, v15
	s_mov_b64 s[14:15], 0
	v_mov_b32_e32 v27, v5
	v_mov_b32_e32 v6, v5
	;; [unrolled: 1-line block ×19, first 2 shown]
	s_and_saveexec_b64 s[12:13], s[0:1]
	s_cbranch_execz .LBB32_32
; %bb.11:
	v_or_b32_e32 v5, s30, v15
	v_mov_b32_e32 v6, 0
	v_lshlrev_b64 v[7:8], 2, v[5:6]
	v_mov_b32_e32 v5, s39
	v_add_co_u32_e64 v9, s[0:1], s38, v7
	v_addc_co_u32_e64 v10, s[0:1], v5, v8, s[0:1]
	v_mov_b32_e32 v5, s41
	v_add_co_u32_e64 v7, s[0:1], s40, v7
	v_addc_co_u32_e64 v8, s[0:1], v5, v8, s[0:1]
	global_load_dword v27, v[9:10], off
	global_load_dword v5, v[7:8], off
	v_or_b32_e32 v15, 0x600, v0
	v_cmp_gt_u32_e64 s[0:1], s33, v15
	s_mov_b64 s[16:17], 0
	v_mov_b32_e32 v28, v6
	v_mov_b32_e32 v7, v6
	;; [unrolled: 1-line block ×17, first 2 shown]
	s_and_saveexec_b64 s[14:15], s[0:1]
	s_cbranch_execz .LBB32_31
; %bb.12:
	v_or_b32_e32 v6, s30, v15
	v_mov_b32_e32 v7, 0
	v_lshlrev_b64 v[8:9], 2, v[6:7]
	v_mov_b32_e32 v6, s39
	v_add_co_u32_e64 v10, s[0:1], s38, v8
	v_addc_co_u32_e64 v11, s[0:1], v6, v9, s[0:1]
	v_mov_b32_e32 v6, s41
	v_add_co_u32_e64 v8, s[0:1], s40, v8
	v_addc_co_u32_e64 v9, s[0:1], v6, v9, s[0:1]
	global_load_dword v28, v[10:11], off
	global_load_dword v6, v[8:9], off
	v_or_b32_e32 v15, 0x700, v0
	v_cmp_gt_u32_e64 s[0:1], s33, v15
	s_mov_b64 s[18:19], 0
	v_mov_b32_e32 v29, v7
	v_mov_b32_e32 v8, v7
	;; [unrolled: 1-line block ×15, first 2 shown]
	s_and_saveexec_b64 s[16:17], s[0:1]
	s_cbranch_execz .LBB32_30
; %bb.13:
	v_or_b32_e32 v7, s30, v15
	v_mov_b32_e32 v8, 0
	v_lshlrev_b64 v[9:10], 2, v[7:8]
	v_mov_b32_e32 v7, s39
	v_add_co_u32_e64 v11, s[0:1], s38, v9
	v_addc_co_u32_e64 v12, s[0:1], v7, v10, s[0:1]
	v_mov_b32_e32 v7, s41
	v_add_co_u32_e64 v9, s[0:1], s40, v9
	v_addc_co_u32_e64 v10, s[0:1], v7, v10, s[0:1]
	global_load_dword v29, v[11:12], off
	global_load_dword v7, v[9:10], off
	v_or_b32_e32 v15, 0x800, v0
	v_cmp_gt_u32_e64 s[0:1], s33, v15
	s_mov_b64 s[20:21], 0
	v_mov_b32_e32 v30, v8
	v_mov_b32_e32 v9, v8
	;; [unrolled: 1-line block ×13, first 2 shown]
	s_and_saveexec_b64 s[18:19], s[0:1]
	s_cbranch_execz .LBB32_29
; %bb.14:
	v_or_b32_e32 v8, s30, v15
	v_mov_b32_e32 v9, 0
	v_lshlrev_b64 v[10:11], 2, v[8:9]
	v_mov_b32_e32 v8, s39
	v_add_co_u32_e64 v12, s[0:1], s38, v10
	v_addc_co_u32_e64 v13, s[0:1], v8, v11, s[0:1]
	v_mov_b32_e32 v8, s41
	v_add_co_u32_e64 v10, s[0:1], s40, v10
	v_addc_co_u32_e64 v11, s[0:1], v8, v11, s[0:1]
	global_load_dword v30, v[12:13], off
	global_load_dword v8, v[10:11], off
	v_or_b32_e32 v15, 0x900, v0
	v_cmp_gt_u32_e64 s[0:1], s33, v15
	s_mov_b64 s[22:23], 0
	v_mov_b32_e32 v31, v9
	v_mov_b32_e32 v10, v9
	;; [unrolled: 1-line block ×11, first 2 shown]
	s_and_saveexec_b64 s[20:21], s[0:1]
	s_cbranch_execz .LBB32_28
; %bb.15:
	v_or_b32_e32 v9, s30, v15
	v_mov_b32_e32 v10, 0
	v_lshlrev_b64 v[11:12], 2, v[9:10]
	v_mov_b32_e32 v9, s39
	v_add_co_u32_e64 v13, s[0:1], s38, v11
	v_addc_co_u32_e64 v14, s[0:1], v9, v12, s[0:1]
	v_mov_b32_e32 v9, s41
	v_add_co_u32_e64 v11, s[0:1], s40, v11
	v_addc_co_u32_e64 v12, s[0:1], v9, v12, s[0:1]
	global_load_dword v31, v[13:14], off
	global_load_dword v9, v[11:12], off
	v_or_b32_e32 v15, 0xa00, v0
	v_cmp_gt_u32_e64 s[0:1], s33, v15
	s_mov_b64 s[24:25], 0
	v_mov_b32_e32 v32, v10
	v_mov_b32_e32 v11, v10
	;; [unrolled: 1-line block ×9, first 2 shown]
	s_and_saveexec_b64 s[22:23], s[0:1]
	s_cbranch_execz .LBB32_27
; %bb.16:
	v_or_b32_e32 v10, s30, v15
	v_mov_b32_e32 v11, 0
	v_lshlrev_b64 v[12:13], 2, v[10:11]
	v_mov_b32_e32 v10, s39
	v_add_co_u32_e64 v14, s[0:1], s38, v12
	v_addc_co_u32_e64 v15, s[0:1], v10, v13, s[0:1]
	v_mov_b32_e32 v10, s41
	v_add_co_u32_e64 v12, s[0:1], s40, v12
	v_addc_co_u32_e64 v13, s[0:1], v10, v13, s[0:1]
	global_load_dword v32, v[14:15], off
	global_load_dword v10, v[12:13], off
	v_or_b32_e32 v15, 0xb00, v0
	v_cmp_gt_u32_e64 s[0:1], s33, v15
	s_mov_b64 s[26:27], 0
	v_mov_b32_e32 v33, v11
	v_mov_b32_e32 v12, v11
	v_mov_b32_e32 v34, v11
	v_mov_b32_e32 v13, v11
	v_mov_b32_e32 v35, v11
	v_mov_b32_e32 v14, v11
	v_mov_b32_e32 v36, v11
	s_and_saveexec_b64 s[24:25], s[0:1]
	s_cbranch_execz .LBB32_26
; %bb.17:
	v_or_b32_e32 v11, s30, v15
	v_mov_b32_e32 v12, 0
	v_lshlrev_b64 v[13:14], 2, v[11:12]
	v_mov_b32_e32 v11, s39
	v_add_co_u32_e64 v15, s[0:1], s38, v13
	v_addc_co_u32_e64 v16, s[0:1], v11, v14, s[0:1]
	v_mov_b32_e32 v11, s41
	v_add_co_u32_e64 v13, s[0:1], s40, v13
	v_addc_co_u32_e64 v14, s[0:1], v11, v14, s[0:1]
	global_load_dword v33, v[15:16], off
	global_load_dword v11, v[13:14], off
	v_or_b32_e32 v15, 0xc00, v0
	v_cmp_gt_u32_e64 s[0:1], s33, v15
	s_mov_b64 s[28:29], 0
	v_mov_b32_e32 v34, v12
	v_mov_b32_e32 v13, v12
	;; [unrolled: 1-line block ×5, first 2 shown]
	s_and_saveexec_b64 s[26:27], s[0:1]
	s_cbranch_execz .LBB32_25
; %bb.18:
	v_or_b32_e32 v12, s30, v15
	v_mov_b32_e32 v13, 0
	v_lshlrev_b64 v[14:15], 2, v[12:13]
	v_mov_b32_e32 v12, s39
	v_add_co_u32_e64 v16, s[0:1], s38, v14
	v_addc_co_u32_e64 v17, s[0:1], v12, v15, s[0:1]
	v_mov_b32_e32 v12, s41
	v_add_co_u32_e64 v14, s[0:1], s40, v14
	v_addc_co_u32_e64 v15, s[0:1], v12, v15, s[0:1]
	global_load_dword v34, v[16:17], off
	global_load_dword v12, v[14:15], off
	v_or_b32_e32 v15, 0xd00, v0
	v_cmp_gt_u32_e64 s[0:1], s33, v15
	s_mov_b64 s[42:43], 0
	v_mov_b32_e32 v35, v13
	v_mov_b32_e32 v14, v13
	v_mov_b32_e32 v36, v13
	s_and_saveexec_b64 s[28:29], s[0:1]
	s_cbranch_execz .LBB32_24
; %bb.19:
	v_add_u32_e32 v13, s30, v15
	v_mov_b32_e32 v14, 0
	v_lshlrev_b64 v[15:16], 2, v[13:14]
	v_mov_b32_e32 v13, s39
	v_add_co_u32_e64 v17, s[0:1], s38, v15
	v_addc_co_u32_e64 v18, s[0:1], v13, v16, s[0:1]
	v_mov_b32_e32 v13, s41
	v_add_co_u32_e64 v15, s[0:1], s40, v15
	v_addc_co_u32_e64 v16, s[0:1], v13, v16, s[0:1]
	global_load_dword v35, v[17:18], off
	global_load_dword v13, v[15:16], off
	v_or_b32_e32 v15, 0xe00, v0
	v_cmp_gt_u32_e64 s[0:1], s33, v15
	s_mov_b64 s[44:45], 0
	v_mov_b32_e32 v36, v14
	s_and_saveexec_b64 s[42:43], s[0:1]
	s_cbranch_execz .LBB32_23
; %bb.20:
	v_add_u32_e32 v15, s30, v15
	v_mov_b32_e32 v16, 0
	v_lshlrev_b64 v[14:15], 2, v[15:16]
	v_mov_b32_e32 v18, s39
	v_add_co_u32_e64 v17, s[0:1], s38, v14
	v_addc_co_u32_e64 v18, s[0:1], v18, v15, s[0:1]
	global_load_dword v36, v[17:18], off
	v_mov_b32_e32 v17, s41
	v_add_co_u32_e64 v14, s[0:1], s40, v14
	v_addc_co_u32_e64 v15, s[0:1], v17, v15, s[0:1]
	global_load_dword v14, v[14:15], off
	v_or_b32_e32 v15, 0xf00, v0
	v_cmp_gt_u32_e64 s[0:1], s33, v15
	s_mov_b64 s[46:47], 0
	s_and_saveexec_b64 s[44:45], s[0:1]
	s_cbranch_execz .LBB32_22
; %bb.21:
	v_add_u32_e32 v15, s30, v15
	v_lshlrev_b64 v[15:16], 2, v[15:16]
	v_mov_b32_e32 v18, s41
	v_add_co_u32_e64 v17, s[0:1], s40, v15
	v_addc_co_u32_e64 v18, s[0:1], v18, v16, s[0:1]
	v_mov_b32_e32 v37, s39
	v_add_co_u32_e64 v15, s[0:1], s38, v15
	v_addc_co_u32_e64 v16, s[0:1], v37, v16, s[0:1]
	global_load_dword v37, v[15:16], off
	global_load_dword v38, v[17:18], off
	s_waitcnt vmcnt(0)
	v_cmp_ne_u32_e64 s[0:1], v37, v38
	s_and_b64 s[46:47], s[0:1], exec
.LBB32_22:
	s_or_b64 exec, exec, s[44:45]
	s_and_b64 s[44:45], s[46:47], exec
.LBB32_23:
	s_or_b64 exec, exec, s[42:43]
	s_and_b64 s[42:43], s[44:45], exec
.LBB32_24:
	s_or_b64 exec, exec, s[28:29]
	s_and_b64 s[28:29], s[42:43], exec
.LBB32_25:
	s_or_b64 exec, exec, s[26:27]
	s_and_b64 s[26:27], s[28:29], exec
.LBB32_26:
	s_or_b64 exec, exec, s[24:25]
	s_and_b64 s[24:25], s[26:27], exec
.LBB32_27:
	s_or_b64 exec, exec, s[22:23]
	s_and_b64 s[22:23], s[24:25], exec
.LBB32_28:
	s_or_b64 exec, exec, s[20:21]
	s_and_b64 s[20:21], s[22:23], exec
.LBB32_29:
	s_or_b64 exec, exec, s[18:19]
	s_and_b64 s[18:19], s[20:21], exec
.LBB32_30:
	s_or_b64 exec, exec, s[16:17]
	s_and_b64 s[16:17], s[18:19], exec
.LBB32_31:
	s_or_b64 exec, exec, s[14:15]
	s_and_b64 s[14:15], s[16:17], exec
.LBB32_32:
	s_or_b64 exec, exec, s[12:13]
	s_and_b64 s[12:13], s[14:15], exec
.LBB32_33:
	s_or_b64 exec, exec, s[10:11]
	s_and_b64 s[10:11], s[12:13], exec
.LBB32_34:
	s_or_b64 exec, exec, s[8:9]
	s_and_b64 s[8:9], s[10:11], exec
.LBB32_35:
	s_or_b64 exec, exec, s[6:7]
	s_and_b64 s[6:7], s[8:9], exec
.LBB32_36:
	s_or_b64 exec, exec, s[4:5]
	s_and_b64 s[0:1], s[6:7], exec
.LBB32_37:
	s_or_b64 exec, exec, s[2:3]
	s_cmp_eq_u32 s35, 0
	s_cselect_b64 s[2:3], -1, 0
	s_and_saveexec_b64 s[4:5], vcc
	s_cbranch_execnz .LBB32_55
; %bb.38:
	s_or_b64 exec, exec, s[4:5]
	v_cmp_gt_i32_e32 vcc, s33, v0
	s_and_saveexec_b64 s[4:5], vcc
	s_cbranch_execnz .LBB32_56
.LBB32_39:
	s_or_b64 exec, exec, s[4:5]
	v_cmp_gt_i32_e32 vcc, s33, v0
	s_and_saveexec_b64 s[4:5], vcc
	s_cbranch_execnz .LBB32_57
.LBB32_40:
	s_or_b64 exec, exec, s[4:5]
	v_cmp_gt_i32_e32 vcc, s33, v0
	s_and_saveexec_b64 s[4:5], vcc
	s_cbranch_execnz .LBB32_58
.LBB32_41:
	s_or_b64 exec, exec, s[4:5]
	v_cmp_gt_i32_e32 vcc, s33, v0
	s_and_saveexec_b64 s[4:5], vcc
	s_cbranch_execnz .LBB32_59
.LBB32_42:
	s_or_b64 exec, exec, s[4:5]
	v_cmp_gt_i32_e32 vcc, s33, v0
	s_and_saveexec_b64 s[4:5], vcc
	s_cbranch_execnz .LBB32_60
.LBB32_43:
	s_or_b64 exec, exec, s[4:5]
	v_cmp_gt_i32_e32 vcc, s33, v0
	s_and_saveexec_b64 s[4:5], vcc
	s_cbranch_execnz .LBB32_61
.LBB32_44:
	s_or_b64 exec, exec, s[4:5]
	v_cmp_gt_i32_e32 vcc, s33, v0
	s_and_saveexec_b64 s[4:5], vcc
	s_cbranch_execnz .LBB32_62
.LBB32_45:
	s_or_b64 exec, exec, s[4:5]
	v_cmp_gt_i32_e32 vcc, s33, v0
	s_and_saveexec_b64 s[4:5], vcc
	s_cbranch_execnz .LBB32_63
.LBB32_46:
	s_or_b64 exec, exec, s[4:5]
	v_cmp_gt_i32_e32 vcc, s33, v0
	s_and_saveexec_b64 s[4:5], vcc
	s_cbranch_execnz .LBB32_64
.LBB32_47:
	s_or_b64 exec, exec, s[4:5]
	v_cmp_gt_i32_e32 vcc, s33, v0
	s_and_saveexec_b64 s[4:5], vcc
	s_cbranch_execnz .LBB32_65
.LBB32_48:
	s_or_b64 exec, exec, s[4:5]
	v_cmp_gt_i32_e32 vcc, s33, v0
	s_and_saveexec_b64 s[4:5], vcc
	s_cbranch_execnz .LBB32_66
.LBB32_49:
	s_or_b64 exec, exec, s[4:5]
	v_cmp_gt_i32_e32 vcc, s33, v0
	s_and_saveexec_b64 s[4:5], vcc
	s_cbranch_execnz .LBB32_67
.LBB32_50:
	s_or_b64 exec, exec, s[4:5]
	v_cmp_gt_i32_e32 vcc, s33, v0
	s_and_saveexec_b64 s[4:5], vcc
	s_cbranch_execnz .LBB32_68
.LBB32_51:
	s_or_b64 exec, exec, s[4:5]
	v_cmp_gt_i32_e32 vcc, s33, v0
	s_and_saveexec_b64 s[4:5], vcc
	s_cbranch_execnz .LBB32_69
.LBB32_52:
	s_or_b64 exec, exec, s[4:5]
	v_cmp_gt_i32_e32 vcc, s33, v0
	s_and_saveexec_b64 s[4:5], vcc
	s_cbranch_execz .LBB32_54
.LBB32_53:
	s_xor_b64 s[0:1], s[2:3], s[0:1]
	v_cndmask_b32_e64 v1, 0, 1, s[0:1]
	v_add_u32_e32 v0, s30, v0
	global_store_byte v0, v1, s[36:37]
.LBB32_54:
	s_endpgm
.LBB32_55:
	s_waitcnt vmcnt(0)
	v_cmp_ne_u32_e32 vcc, v22, v26
	s_xor_b64 s[6:7], s[2:3], vcc
	v_cndmask_b32_e64 v0, 0, 1, s[6:7]
	global_store_byte v1, v0, s[36:37]
	v_mov_b32_e32 v0, v19
	s_or_b64 exec, exec, s[4:5]
	v_cmp_gt_i32_e32 vcc, s33, v0
	s_and_saveexec_b64 s[4:5], vcc
	s_cbranch_execz .LBB32_39
.LBB32_56:
	s_waitcnt vmcnt(0)
	v_cmp_ne_u32_e32 vcc, v25, v2
	s_xor_b64 s[6:7], s[2:3], vcc
	v_cndmask_b32_e64 v1, 0, 1, s[6:7]
	v_add_u32_e32 v2, s30, v0
	v_add_u32_e32 v0, 0x100, v0
	global_store_byte v2, v1, s[36:37]
	s_or_b64 exec, exec, s[4:5]
	v_cmp_gt_i32_e32 vcc, s33, v0
	s_and_saveexec_b64 s[4:5], vcc
	s_cbranch_execz .LBB32_40
.LBB32_57:
	s_waitcnt vmcnt(0)
	v_cmp_ne_u32_e32 vcc, v23, v3
	s_xor_b64 s[6:7], s[2:3], vcc
	v_cndmask_b32_e64 v1, 0, 1, s[6:7]
	v_add_u32_e32 v2, s30, v0
	v_add_u32_e32 v0, 0x100, v0
	global_store_byte v2, v1, s[36:37]
	s_or_b64 exec, exec, s[4:5]
	v_cmp_gt_i32_e32 vcc, s33, v0
	s_and_saveexec_b64 s[4:5], vcc
	s_cbranch_execz .LBB32_41
.LBB32_58:
	s_waitcnt vmcnt(0)
	v_cmp_ne_u32_e32 vcc, v21, v20
	s_xor_b64 s[6:7], s[2:3], vcc
	v_cndmask_b32_e64 v1, 0, 1, s[6:7]
	v_add_u32_e32 v2, s30, v0
	v_add_u32_e32 v0, 0x100, v0
	global_store_byte v2, v1, s[36:37]
	s_or_b64 exec, exec, s[4:5]
	v_cmp_gt_i32_e32 vcc, s33, v0
	s_and_saveexec_b64 s[4:5], vcc
	s_cbranch_execz .LBB32_42
.LBB32_59:
	s_waitcnt vmcnt(0)
	v_cmp_ne_u32_e32 vcc, v4, v24
	s_xor_b64 s[6:7], s[2:3], vcc
	v_cndmask_b32_e64 v1, 0, 1, s[6:7]
	v_add_u32_e32 v2, s30, v0
	v_add_u32_e32 v0, 0x100, v0
	global_store_byte v2, v1, s[36:37]
	s_or_b64 exec, exec, s[4:5]
	v_cmp_gt_i32_e32 vcc, s33, v0
	s_and_saveexec_b64 s[4:5], vcc
	s_cbranch_execz .LBB32_43
.LBB32_60:
	s_waitcnt vmcnt(0)
	v_cmp_ne_u32_e32 vcc, v27, v5
	s_xor_b64 s[6:7], s[2:3], vcc
	v_cndmask_b32_e64 v1, 0, 1, s[6:7]
	v_add_u32_e32 v2, s30, v0
	v_add_u32_e32 v0, 0x100, v0
	global_store_byte v2, v1, s[36:37]
	s_or_b64 exec, exec, s[4:5]
	v_cmp_gt_i32_e32 vcc, s33, v0
	s_and_saveexec_b64 s[4:5], vcc
	s_cbranch_execz .LBB32_44
.LBB32_61:
	s_waitcnt vmcnt(0)
	v_cmp_ne_u32_e32 vcc, v28, v6
	s_xor_b64 s[6:7], s[2:3], vcc
	v_cndmask_b32_e64 v1, 0, 1, s[6:7]
	v_add_u32_e32 v2, s30, v0
	v_add_u32_e32 v0, 0x100, v0
	global_store_byte v2, v1, s[36:37]
	s_or_b64 exec, exec, s[4:5]
	v_cmp_gt_i32_e32 vcc, s33, v0
	s_and_saveexec_b64 s[4:5], vcc
	s_cbranch_execz .LBB32_45
.LBB32_62:
	s_waitcnt vmcnt(0)
	v_cmp_ne_u32_e32 vcc, v29, v7
	s_xor_b64 s[6:7], s[2:3], vcc
	v_cndmask_b32_e64 v1, 0, 1, s[6:7]
	v_add_u32_e32 v2, s30, v0
	v_add_u32_e32 v0, 0x100, v0
	global_store_byte v2, v1, s[36:37]
	s_or_b64 exec, exec, s[4:5]
	v_cmp_gt_i32_e32 vcc, s33, v0
	s_and_saveexec_b64 s[4:5], vcc
	s_cbranch_execz .LBB32_46
.LBB32_63:
	s_waitcnt vmcnt(0)
	v_cmp_ne_u32_e32 vcc, v30, v8
	s_xor_b64 s[6:7], s[2:3], vcc
	v_cndmask_b32_e64 v1, 0, 1, s[6:7]
	v_add_u32_e32 v2, s30, v0
	v_add_u32_e32 v0, 0x100, v0
	global_store_byte v2, v1, s[36:37]
	s_or_b64 exec, exec, s[4:5]
	v_cmp_gt_i32_e32 vcc, s33, v0
	s_and_saveexec_b64 s[4:5], vcc
	s_cbranch_execz .LBB32_47
.LBB32_64:
	s_waitcnt vmcnt(0)
	v_cmp_ne_u32_e32 vcc, v31, v9
	s_xor_b64 s[6:7], s[2:3], vcc
	v_cndmask_b32_e64 v1, 0, 1, s[6:7]
	v_add_u32_e32 v2, s30, v0
	v_add_u32_e32 v0, 0x100, v0
	global_store_byte v2, v1, s[36:37]
	s_or_b64 exec, exec, s[4:5]
	v_cmp_gt_i32_e32 vcc, s33, v0
	s_and_saveexec_b64 s[4:5], vcc
	s_cbranch_execz .LBB32_48
.LBB32_65:
	s_waitcnt vmcnt(0)
	v_cmp_ne_u32_e32 vcc, v32, v10
	s_xor_b64 s[6:7], s[2:3], vcc
	v_cndmask_b32_e64 v1, 0, 1, s[6:7]
	v_add_u32_e32 v2, s30, v0
	v_add_u32_e32 v0, 0x100, v0
	global_store_byte v2, v1, s[36:37]
	s_or_b64 exec, exec, s[4:5]
	v_cmp_gt_i32_e32 vcc, s33, v0
	s_and_saveexec_b64 s[4:5], vcc
	s_cbranch_execz .LBB32_49
.LBB32_66:
	s_waitcnt vmcnt(0)
	v_cmp_ne_u32_e32 vcc, v33, v11
	s_xor_b64 s[6:7], s[2:3], vcc
	v_cndmask_b32_e64 v1, 0, 1, s[6:7]
	v_add_u32_e32 v2, s30, v0
	v_add_u32_e32 v0, 0x100, v0
	global_store_byte v2, v1, s[36:37]
	s_or_b64 exec, exec, s[4:5]
	v_cmp_gt_i32_e32 vcc, s33, v0
	s_and_saveexec_b64 s[4:5], vcc
	s_cbranch_execz .LBB32_50
.LBB32_67:
	s_waitcnt vmcnt(0)
	v_cmp_ne_u32_e32 vcc, v34, v12
	s_xor_b64 s[6:7], s[2:3], vcc
	v_cndmask_b32_e64 v1, 0, 1, s[6:7]
	v_add_u32_e32 v2, s30, v0
	v_add_u32_e32 v0, 0x100, v0
	global_store_byte v2, v1, s[36:37]
	s_or_b64 exec, exec, s[4:5]
	v_cmp_gt_i32_e32 vcc, s33, v0
	s_and_saveexec_b64 s[4:5], vcc
	s_cbranch_execz .LBB32_51
.LBB32_68:
	s_waitcnt vmcnt(0)
	v_cmp_ne_u32_e32 vcc, v35, v13
	s_xor_b64 s[6:7], s[2:3], vcc
	v_cndmask_b32_e64 v1, 0, 1, s[6:7]
	v_add_u32_e32 v2, s30, v0
	v_add_u32_e32 v0, 0x100, v0
	global_store_byte v2, v1, s[36:37]
	s_or_b64 exec, exec, s[4:5]
	v_cmp_gt_i32_e32 vcc, s33, v0
	s_and_saveexec_b64 s[4:5], vcc
	s_cbranch_execz .LBB32_52
.LBB32_69:
	s_waitcnt vmcnt(0)
	v_cmp_ne_u32_e32 vcc, v36, v14
	s_xor_b64 s[6:7], s[2:3], vcc
	v_cndmask_b32_e64 v1, 0, 1, s[6:7]
	v_add_u32_e32 v2, s30, v0
	v_add_u32_e32 v0, 0x100, v0
	global_store_byte v2, v1, s[36:37]
	s_or_b64 exec, exec, s[4:5]
	v_cmp_gt_i32_e32 vcc, s33, v0
	s_and_saveexec_b64 s[4:5], vcc
	s_cbranch_execnz .LBB32_53
	s_branch .LBB32_54
	.section	.rodata,"a",@progbits
	.p2align	6, 0x0
	.amdhsa_kernel _ZN2at6native29vectorized_elementwise_kernelILi16ENS0_13BinaryFunctorIiibNS0_12_GLOBAL__N_116CompareEqFunctorIiEEEESt5arrayIPcLm3EEEEviT0_T1_
		.amdhsa_group_segment_fixed_size 0
		.amdhsa_private_segment_fixed_size 0
		.amdhsa_kernarg_size 32
		.amdhsa_user_sgpr_count 6
		.amdhsa_user_sgpr_private_segment_buffer 1
		.amdhsa_user_sgpr_dispatch_ptr 0
		.amdhsa_user_sgpr_queue_ptr 0
		.amdhsa_user_sgpr_kernarg_segment_ptr 1
		.amdhsa_user_sgpr_dispatch_id 0
		.amdhsa_user_sgpr_flat_scratch_init 0
		.amdhsa_user_sgpr_private_segment_size 0
		.amdhsa_uses_dynamic_stack 0
		.amdhsa_system_sgpr_private_segment_wavefront_offset 0
		.amdhsa_system_sgpr_workgroup_id_x 1
		.amdhsa_system_sgpr_workgroup_id_y 0
		.amdhsa_system_sgpr_workgroup_id_z 0
		.amdhsa_system_sgpr_workgroup_info 0
		.amdhsa_system_vgpr_workitem_id 0
		.amdhsa_next_free_vgpr 39
		.amdhsa_next_free_sgpr 48
		.amdhsa_reserve_vcc 1
		.amdhsa_reserve_flat_scratch 0
		.amdhsa_float_round_mode_32 0
		.amdhsa_float_round_mode_16_64 0
		.amdhsa_float_denorm_mode_32 3
		.amdhsa_float_denorm_mode_16_64 3
		.amdhsa_dx10_clamp 1
		.amdhsa_ieee_mode 1
		.amdhsa_fp16_overflow 0
		.amdhsa_exception_fp_ieee_invalid_op 0
		.amdhsa_exception_fp_denorm_src 0
		.amdhsa_exception_fp_ieee_div_zero 0
		.amdhsa_exception_fp_ieee_overflow 0
		.amdhsa_exception_fp_ieee_underflow 0
		.amdhsa_exception_fp_ieee_inexact 0
		.amdhsa_exception_int_div_zero 0
	.end_amdhsa_kernel
	.section	.text._ZN2at6native29vectorized_elementwise_kernelILi16ENS0_13BinaryFunctorIiibNS0_12_GLOBAL__N_116CompareEqFunctorIiEEEESt5arrayIPcLm3EEEEviT0_T1_,"axG",@progbits,_ZN2at6native29vectorized_elementwise_kernelILi16ENS0_13BinaryFunctorIiibNS0_12_GLOBAL__N_116CompareEqFunctorIiEEEESt5arrayIPcLm3EEEEviT0_T1_,comdat
.Lfunc_end32:
	.size	_ZN2at6native29vectorized_elementwise_kernelILi16ENS0_13BinaryFunctorIiibNS0_12_GLOBAL__N_116CompareEqFunctorIiEEEESt5arrayIPcLm3EEEEviT0_T1_, .Lfunc_end32-_ZN2at6native29vectorized_elementwise_kernelILi16ENS0_13BinaryFunctorIiibNS0_12_GLOBAL__N_116CompareEqFunctorIiEEEESt5arrayIPcLm3EEEEviT0_T1_
                                        ; -- End function
	.set _ZN2at6native29vectorized_elementwise_kernelILi16ENS0_13BinaryFunctorIiibNS0_12_GLOBAL__N_116CompareEqFunctorIiEEEESt5arrayIPcLm3EEEEviT0_T1_.num_vgpr, 39
	.set _ZN2at6native29vectorized_elementwise_kernelILi16ENS0_13BinaryFunctorIiibNS0_12_GLOBAL__N_116CompareEqFunctorIiEEEESt5arrayIPcLm3EEEEviT0_T1_.num_agpr, 0
	.set _ZN2at6native29vectorized_elementwise_kernelILi16ENS0_13BinaryFunctorIiibNS0_12_GLOBAL__N_116CompareEqFunctorIiEEEESt5arrayIPcLm3EEEEviT0_T1_.numbered_sgpr, 48
	.set _ZN2at6native29vectorized_elementwise_kernelILi16ENS0_13BinaryFunctorIiibNS0_12_GLOBAL__N_116CompareEqFunctorIiEEEESt5arrayIPcLm3EEEEviT0_T1_.num_named_barrier, 0
	.set _ZN2at6native29vectorized_elementwise_kernelILi16ENS0_13BinaryFunctorIiibNS0_12_GLOBAL__N_116CompareEqFunctorIiEEEESt5arrayIPcLm3EEEEviT0_T1_.private_seg_size, 0
	.set _ZN2at6native29vectorized_elementwise_kernelILi16ENS0_13BinaryFunctorIiibNS0_12_GLOBAL__N_116CompareEqFunctorIiEEEESt5arrayIPcLm3EEEEviT0_T1_.uses_vcc, 1
	.set _ZN2at6native29vectorized_elementwise_kernelILi16ENS0_13BinaryFunctorIiibNS0_12_GLOBAL__N_116CompareEqFunctorIiEEEESt5arrayIPcLm3EEEEviT0_T1_.uses_flat_scratch, 0
	.set _ZN2at6native29vectorized_elementwise_kernelILi16ENS0_13BinaryFunctorIiibNS0_12_GLOBAL__N_116CompareEqFunctorIiEEEESt5arrayIPcLm3EEEEviT0_T1_.has_dyn_sized_stack, 0
	.set _ZN2at6native29vectorized_elementwise_kernelILi16ENS0_13BinaryFunctorIiibNS0_12_GLOBAL__N_116CompareEqFunctorIiEEEESt5arrayIPcLm3EEEEviT0_T1_.has_recursion, 0
	.set _ZN2at6native29vectorized_elementwise_kernelILi16ENS0_13BinaryFunctorIiibNS0_12_GLOBAL__N_116CompareEqFunctorIiEEEESt5arrayIPcLm3EEEEviT0_T1_.has_indirect_call, 0
	.section	.AMDGPU.csdata,"",@progbits
; Kernel info:
; codeLenInByte = 4296
; TotalNumSgprs: 52
; NumVgprs: 39
; ScratchSize: 0
; MemoryBound: 0
; FloatMode: 240
; IeeeMode: 1
; LDSByteSize: 0 bytes/workgroup (compile time only)
; SGPRBlocks: 6
; VGPRBlocks: 9
; NumSGPRsForWavesPerEU: 52
; NumVGPRsForWavesPerEU: 39
; Occupancy: 6
; WaveLimiterHint : 0
; COMPUTE_PGM_RSRC2:SCRATCH_EN: 0
; COMPUTE_PGM_RSRC2:USER_SGPR: 6
; COMPUTE_PGM_RSRC2:TRAP_HANDLER: 0
; COMPUTE_PGM_RSRC2:TGID_X_EN: 1
; COMPUTE_PGM_RSRC2:TGID_Y_EN: 0
; COMPUTE_PGM_RSRC2:TGID_Z_EN: 0
; COMPUTE_PGM_RSRC2:TIDIG_COMP_CNT: 0
	.section	.text._ZN2at6native29vectorized_elementwise_kernelILi8ENS0_13BinaryFunctorIiibNS0_12_GLOBAL__N_116CompareEqFunctorIiEEEESt5arrayIPcLm3EEEEviT0_T1_,"axG",@progbits,_ZN2at6native29vectorized_elementwise_kernelILi8ENS0_13BinaryFunctorIiibNS0_12_GLOBAL__N_116CompareEqFunctorIiEEEESt5arrayIPcLm3EEEEviT0_T1_,comdat
	.globl	_ZN2at6native29vectorized_elementwise_kernelILi8ENS0_13BinaryFunctorIiibNS0_12_GLOBAL__N_116CompareEqFunctorIiEEEESt5arrayIPcLm3EEEEviT0_T1_ ; -- Begin function _ZN2at6native29vectorized_elementwise_kernelILi8ENS0_13BinaryFunctorIiibNS0_12_GLOBAL__N_116CompareEqFunctorIiEEEESt5arrayIPcLm3EEEEviT0_T1_
	.p2align	8
	.type	_ZN2at6native29vectorized_elementwise_kernelILi8ENS0_13BinaryFunctorIiibNS0_12_GLOBAL__N_116CompareEqFunctorIiEEEESt5arrayIPcLm3EEEEviT0_T1_,@function
_ZN2at6native29vectorized_elementwise_kernelILi8ENS0_13BinaryFunctorIiibNS0_12_GLOBAL__N_116CompareEqFunctorIiEEEESt5arrayIPcLm3EEEEviT0_T1_: ; @_ZN2at6native29vectorized_elementwise_kernelILi8ENS0_13BinaryFunctorIiibNS0_12_GLOBAL__N_116CompareEqFunctorIiEEEESt5arrayIPcLm3EEEEviT0_T1_
; %bb.0:
	s_load_dwordx2 s[20:21], s[4:5], 0x0
	s_load_dwordx4 s[16:19], s[4:5], 0x8
	s_load_dwordx2 s[22:23], s[4:5], 0x18
	s_lshl_b32 s14, s6, 12
	s_mov_b64 s[0:1], -1
	s_waitcnt lgkmcnt(0)
	s_sub_i32 s20, s20, s14
	s_cmpk_gt_i32 s20, 0xfff
	s_cbranch_scc0 .LBB33_2
; %bb.1:
	s_ashr_i32 s15, s14, 31
	s_lshl_b64 s[0:1], s[14:15], 2
	s_add_u32 s2, s18, s0
	s_addc_u32 s3, s19, s1
	v_lshlrev_b32_e32 v21, 5, v0
	s_add_u32 s4, s22, s0
	v_mov_b32_e32 v17, s3
	v_add_co_u32_e32 v18, vcc, s2, v21
	s_addc_u32 s5, s23, s1
	global_load_dwordx4 v[1:4], v21, s[2:3]
	global_load_dwordx4 v[5:8], v21, s[4:5]
	v_addc_co_u32_e32 v25, vcc, 0, v17, vcc
	v_add_co_u32_e32 v33, vcc, 0x2000, v18
	v_addc_co_u32_e64 v18, s[0:1], 0, v25, vcc
	global_load_dwordx4 v[9:12], v21, s[2:3] offset:16
	global_load_dwordx4 v[13:16], v21, s[4:5] offset:16
	v_mov_b32_e32 v22, s5
	v_add_co_u32_e64 v21, s[0:1], s4, v21
	s_movk_i32 s6, 0x2000
	v_addc_co_u32_e64 v22, s[0:1], 0, v22, s[0:1]
	s_mov_b64 s[0:1], vcc
	v_add_co_u32_e32 v35, vcc, s6, v21
	v_mov_b32_e32 v17, v33
	v_addc_co_u32_e32 v36, vcc, 0, v22, vcc
	global_load_dwordx4 v[17:20], v[17:18], off
	v_addc_co_u32_e64 v34, vcc, 0, v25, s[0:1]
	global_load_dwordx4 v[21:24], v[35:36], off
	global_load_dwordx4 v[25:28], v[33:34], off offset:16
	global_load_dwordx4 v[29:32], v[35:36], off offset:16
	s_cmp_eq_u32 s21, 0
	s_cselect_b64 s[24:25], -1, 0
	v_mov_b32_e32 v33, 0x100
	v_mov_b32_e32 v34, 0x10000
	;; [unrolled: 1-line block ×3, first 2 shown]
	s_waitcnt vmcnt(6)
	v_cmp_ne_u32_e32 vcc, v1, v5
	v_cmp_ne_u32_e64 s[0:1], v2, v6
	v_cmp_ne_u32_e64 s[2:3], v3, v7
	s_xor_b64 s[26:27], s[24:25], vcc
	s_xor_b64 vcc, s[24:25], s[0:1]
	v_cmp_ne_u32_e64 s[4:5], v4, v8
	v_cndmask_b32_e32 v2, 0, v33, vcc
	s_xor_b64 vcc, s[24:25], s[2:3]
	s_waitcnt vmcnt(4)
	v_cmp_ne_u32_e64 s[8:9], v10, v14
	v_cndmask_b32_e32 v4, 0, v34, vcc
	s_xor_b64 vcc, s[24:25], s[4:5]
	v_cmp_ne_u32_e64 s[10:11], v11, v15
	v_cndmask_b32_e32 v5, 0, v35, vcc
	s_xor_b64 vcc, s[24:25], s[8:9]
	v_cmp_ne_u32_e64 s[6:7], v9, v13
	v_cmp_ne_u32_e64 s[12:13], v12, v16
	v_cndmask_b32_e32 v7, 0, v33, vcc
	s_xor_b64 vcc, s[24:25], s[10:11]
	s_xor_b64 s[0:1], s[24:25], s[6:7]
	v_cndmask_b32_e32 v8, 0, v34, vcc
	s_xor_b64 vcc, s[24:25], s[12:13]
	v_cndmask_b32_e64 v1, 0, 1, s[26:27]
	v_cndmask_b32_e64 v6, 0, 1, s[0:1]
	v_cndmask_b32_e32 v9, 0, v35, vcc
	s_waitcnt vmcnt(2)
	v_cmp_ne_u32_e32 vcc, v17, v21
	v_cmp_ne_u32_e64 s[0:1], v18, v22
	v_or_b32_e32 v1, v2, v1
	v_cmp_ne_u32_e64 s[2:3], v19, v23
	s_xor_b64 s[8:9], s[24:25], vcc
	s_xor_b64 vcc, s[24:25], s[0:1]
	v_or3_b32 v3, 0, 0, 0
	v_or3_b32 v1, v1, v4, v5
	v_cmp_ne_u32_e64 s[4:5], v20, v24
	v_cndmask_b32_e32 v5, 0, v33, vcc
	s_xor_b64 vcc, s[24:25], s[2:3]
	v_or3_b32 v2, v3, v6, v7
	v_cndmask_b32_e32 v6, 0, v34, vcc
	s_xor_b64 vcc, s[24:25], s[4:5]
	v_cndmask_b32_e32 v7, 0, v35, vcc
	s_waitcnt vmcnt(0)
	v_cmp_ne_u32_e32 vcc, v26, v30
	v_cndmask_b32_e64 v4, 0, 1, s[8:9]
	s_xor_b64 vcc, s[24:25], vcc
	v_or_b32_e32 v4, v5, v4
	v_cndmask_b32_e32 v5, 0, v33, vcc
	v_cmp_ne_u32_e32 vcc, v27, v31
	v_cmp_ne_u32_e64 s[6:7], v25, v29
	s_xor_b64 vcc, s[24:25], vcc
	s_xor_b64 s[0:1], s[24:25], s[6:7]
	v_or3_b32 v4, v4, v6, v7
	v_cndmask_b32_e32 v6, 0, v34, vcc
	v_cmp_ne_u32_e32 vcc, v28, v32
	v_or3_b32 v2, v2, v8, v9
	v_cndmask_b32_e64 v8, 0, 1, s[0:1]
	s_xor_b64 vcc, s[24:25], vcc
	v_or3_b32 v1, v1, 0, 0
	v_or3_b32 v3, v3, v8, v5
	;; [unrolled: 1-line block ×3, first 2 shown]
	v_cndmask_b32_e32 v4, 0, v35, vcc
	s_add_u32 s0, s16, s14
	v_or3_b32 v1, v1, 0, 0
	v_or3_b32 v4, v3, v6, v4
	;; [unrolled: 1-line block ×3, first 2 shown]
	s_addc_u32 s1, s17, s15
	v_lshlrev_b32_e32 v5, 3, v0
	global_store_dwordx2 v5, v[1:2], s[0:1]
	global_store_dwordx2 v5, v[3:4], s[0:1] offset:2048
	s_mov_b64 s[0:1], 0
.LBB33_2:
	s_andn2_b64 vcc, exec, s[0:1]
	s_cbranch_vccnz .LBB33_54
; %bb.3:
	v_cmp_gt_i32_e32 vcc, s20, v0
	v_cmp_le_i32_e64 s[0:1], s20, v0
                                        ; implicit-def: $vgpr19
	s_and_saveexec_b64 s[2:3], s[0:1]
	s_xor_b64 s[0:1], exec, s[2:3]
; %bb.4:
	v_or_b32_e32 v19, 0x100, v0
; %bb.5:
	s_or_saveexec_b64 s[2:3], s[0:1]
	v_mov_b32_e32 v36, 0
	s_mov_b64 s[0:1], 0
	v_or_b32_e32 v1, s14, v0
	v_mov_b32_e32 v35, 0
	v_mov_b32_e32 v34, 0
	;; [unrolled: 1-line block ×29, first 2 shown]
	s_xor_b64 exec, exec, s[2:3]
	s_cbranch_execz .LBB33_37
; %bb.6:
	v_mov_b32_e32 v2, 0
	v_lshlrev_b64 v[3:4], 2, v[1:2]
	v_mov_b32_e32 v6, s19
	v_add_co_u32_e64 v5, s[0:1], s18, v3
	v_addc_co_u32_e64 v6, s[0:1], v6, v4, s[0:1]
	global_load_dword v22, v[5:6], off
	v_mov_b32_e32 v5, s23
	v_add_co_u32_e64 v3, s[0:1], s22, v3
	v_addc_co_u32_e64 v4, s[0:1], v5, v4, s[0:1]
	global_load_dword v26, v[3:4], off
	v_or_b32_e32 v19, 0x100, v0
	v_cmp_gt_u32_e64 s[0:1], s20, v19
	s_mov_b64 s[6:7], 0
	v_mov_b32_e32 v25, v2
	v_mov_b32_e32 v3, v2
	;; [unrolled: 1-line block ×27, first 2 shown]
	s_and_saveexec_b64 s[4:5], s[0:1]
	s_cbranch_execz .LBB33_36
; %bb.7:
	v_add_u32_e32 v2, s14, v0
	v_mov_b32_e32 v3, 0
	v_lshlrev_b64 v[4:5], 2, v[2:3]
	v_mov_b32_e32 v2, s19
	v_add_co_u32_e64 v15, s[0:1], s18, v4
	v_addc_co_u32_e64 v16, s[0:1], v2, v5, s[0:1]
	v_mov_b32_e32 v2, s23
	v_add_co_u32_e64 v17, s[0:1], s22, v4
	v_addc_co_u32_e64 v18, s[0:1], v2, v5, s[0:1]
	global_load_dword v25, v[15:16], off offset:1024
	global_load_dword v2, v[17:18], off offset:1024
	v_or_b32_e32 v4, 0x200, v0
	v_cmp_gt_u32_e64 s[0:1], s20, v4
	s_mov_b64 s[8:9], 0
	v_mov_b32_e32 v23, v3
	v_mov_b32_e32 v20, v3
	;; [unrolled: 1-line block ×25, first 2 shown]
	s_and_saveexec_b64 s[6:7], s[0:1]
	s_cbranch_execz .LBB33_35
; %bb.8:
	global_load_dword v23, v[15:16], off offset:2048
	global_load_dword v3, v[17:18], off offset:2048
	v_or_b32_e32 v4, 0x300, v0
	v_cmp_gt_u32_e64 s[0:1], s20, v4
	s_mov_b64 s[10:11], 0
	v_mov_b32_e32 v20, 0
	v_mov_b32_e32 v21, 0
	;; [unrolled: 1-line block ×24, first 2 shown]
	s_and_saveexec_b64 s[8:9], s[0:1]
	s_cbranch_execz .LBB33_34
; %bb.9:
	global_load_dword v21, v[15:16], off offset:3072
	global_load_dword v20, v[17:18], off offset:3072
	v_or_b32_e32 v15, 0x400, v0
	v_cmp_gt_u32_e64 s[0:1], s20, v15
	s_mov_b64 s[12:13], 0
	v_mov_b32_e32 v24, 0
	v_mov_b32_e32 v4, 0
	;; [unrolled: 1-line block ×22, first 2 shown]
	s_and_saveexec_b64 s[10:11], s[0:1]
	s_cbranch_execz .LBB33_33
; %bb.10:
	v_or_b32_e32 v4, s14, v15
	v_mov_b32_e32 v5, 0
	v_lshlrev_b64 v[6:7], 2, v[4:5]
	v_mov_b32_e32 v4, s19
	v_add_co_u32_e64 v8, s[0:1], s18, v6
	v_addc_co_u32_e64 v9, s[0:1], v4, v7, s[0:1]
	global_load_dword v4, v[8:9], off
	v_mov_b32_e32 v8, s23
	v_add_co_u32_e64 v6, s[0:1], s22, v6
	v_addc_co_u32_e64 v7, s[0:1], v8, v7, s[0:1]
	global_load_dword v24, v[6:7], off
	v_or_b32_e32 v15, 0x500, v0
	v_cmp_gt_u32_e64 s[0:1], s20, v15
	s_mov_b64 s[24:25], 0
	v_mov_b32_e32 v27, v5
	v_mov_b32_e32 v6, v5
	;; [unrolled: 1-line block ×19, first 2 shown]
	s_and_saveexec_b64 s[12:13], s[0:1]
	s_cbranch_execz .LBB33_32
; %bb.11:
	v_or_b32_e32 v5, s14, v15
	v_mov_b32_e32 v6, 0
	v_lshlrev_b64 v[7:8], 2, v[5:6]
	v_mov_b32_e32 v5, s19
	v_add_co_u32_e64 v9, s[0:1], s18, v7
	v_addc_co_u32_e64 v10, s[0:1], v5, v8, s[0:1]
	v_mov_b32_e32 v5, s23
	v_add_co_u32_e64 v7, s[0:1], s22, v7
	v_addc_co_u32_e64 v8, s[0:1], v5, v8, s[0:1]
	global_load_dword v27, v[9:10], off
	global_load_dword v5, v[7:8], off
	v_or_b32_e32 v15, 0x600, v0
	v_cmp_gt_u32_e64 s[0:1], s20, v15
	s_mov_b64 s[26:27], 0
	v_mov_b32_e32 v28, v6
	v_mov_b32_e32 v7, v6
	;; [unrolled: 1-line block ×17, first 2 shown]
	s_and_saveexec_b64 s[24:25], s[0:1]
	s_cbranch_execz .LBB33_31
; %bb.12:
	v_or_b32_e32 v6, s14, v15
	v_mov_b32_e32 v7, 0
	v_lshlrev_b64 v[8:9], 2, v[6:7]
	v_mov_b32_e32 v6, s19
	v_add_co_u32_e64 v10, s[0:1], s18, v8
	v_addc_co_u32_e64 v11, s[0:1], v6, v9, s[0:1]
	v_mov_b32_e32 v6, s23
	v_add_co_u32_e64 v8, s[0:1], s22, v8
	v_addc_co_u32_e64 v9, s[0:1], v6, v9, s[0:1]
	global_load_dword v28, v[10:11], off
	global_load_dword v6, v[8:9], off
	v_or_b32_e32 v15, 0x700, v0
	v_cmp_gt_u32_e64 s[0:1], s20, v15
	s_mov_b64 s[28:29], 0
	v_mov_b32_e32 v29, v7
	v_mov_b32_e32 v8, v7
	;; [unrolled: 1-line block ×15, first 2 shown]
	s_and_saveexec_b64 s[26:27], s[0:1]
	s_cbranch_execz .LBB33_30
; %bb.13:
	v_or_b32_e32 v7, s14, v15
	v_mov_b32_e32 v8, 0
	v_lshlrev_b64 v[9:10], 2, v[7:8]
	v_mov_b32_e32 v7, s19
	v_add_co_u32_e64 v11, s[0:1], s18, v9
	v_addc_co_u32_e64 v12, s[0:1], v7, v10, s[0:1]
	v_mov_b32_e32 v7, s23
	v_add_co_u32_e64 v9, s[0:1], s22, v9
	v_addc_co_u32_e64 v10, s[0:1], v7, v10, s[0:1]
	global_load_dword v29, v[11:12], off
	global_load_dword v7, v[9:10], off
	v_or_b32_e32 v15, 0x800, v0
	v_cmp_gt_u32_e64 s[0:1], s20, v15
	s_mov_b64 s[30:31], 0
	v_mov_b32_e32 v30, v8
	v_mov_b32_e32 v9, v8
	;; [unrolled: 1-line block ×13, first 2 shown]
	s_and_saveexec_b64 s[28:29], s[0:1]
	s_cbranch_execz .LBB33_29
; %bb.14:
	v_or_b32_e32 v8, s14, v15
	v_mov_b32_e32 v9, 0
	v_lshlrev_b64 v[10:11], 2, v[8:9]
	v_mov_b32_e32 v8, s19
	v_add_co_u32_e64 v12, s[0:1], s18, v10
	v_addc_co_u32_e64 v13, s[0:1], v8, v11, s[0:1]
	v_mov_b32_e32 v8, s23
	v_add_co_u32_e64 v10, s[0:1], s22, v10
	v_addc_co_u32_e64 v11, s[0:1], v8, v11, s[0:1]
	global_load_dword v30, v[12:13], off
	global_load_dword v8, v[10:11], off
	v_or_b32_e32 v15, 0x900, v0
	v_cmp_gt_u32_e64 s[0:1], s20, v15
	s_mov_b64 s[34:35], 0
	v_mov_b32_e32 v31, v9
	v_mov_b32_e32 v10, v9
	;; [unrolled: 1-line block ×11, first 2 shown]
	s_and_saveexec_b64 s[30:31], s[0:1]
	s_cbranch_execz .LBB33_28
; %bb.15:
	v_or_b32_e32 v9, s14, v15
	v_mov_b32_e32 v10, 0
	v_lshlrev_b64 v[11:12], 2, v[9:10]
	v_mov_b32_e32 v9, s19
	v_add_co_u32_e64 v13, s[0:1], s18, v11
	v_addc_co_u32_e64 v14, s[0:1], v9, v12, s[0:1]
	v_mov_b32_e32 v9, s23
	v_add_co_u32_e64 v11, s[0:1], s22, v11
	v_addc_co_u32_e64 v12, s[0:1], v9, v12, s[0:1]
	global_load_dword v31, v[13:14], off
	global_load_dword v9, v[11:12], off
	v_or_b32_e32 v15, 0xa00, v0
	v_cmp_gt_u32_e64 s[0:1], s20, v15
	s_mov_b64 s[36:37], 0
	v_mov_b32_e32 v32, v10
	v_mov_b32_e32 v11, v10
	;; [unrolled: 1-line block ×9, first 2 shown]
	s_and_saveexec_b64 s[34:35], s[0:1]
	s_cbranch_execz .LBB33_27
; %bb.16:
	v_or_b32_e32 v10, s14, v15
	v_mov_b32_e32 v11, 0
	v_lshlrev_b64 v[12:13], 2, v[10:11]
	v_mov_b32_e32 v10, s19
	v_add_co_u32_e64 v14, s[0:1], s18, v12
	v_addc_co_u32_e64 v15, s[0:1], v10, v13, s[0:1]
	v_mov_b32_e32 v10, s23
	v_add_co_u32_e64 v12, s[0:1], s22, v12
	v_addc_co_u32_e64 v13, s[0:1], v10, v13, s[0:1]
	global_load_dword v32, v[14:15], off
	global_load_dword v10, v[12:13], off
	v_or_b32_e32 v15, 0xb00, v0
	v_cmp_gt_u32_e64 s[0:1], s20, v15
	s_mov_b64 s[38:39], 0
	v_mov_b32_e32 v33, v11
	v_mov_b32_e32 v12, v11
	v_mov_b32_e32 v34, v11
	v_mov_b32_e32 v13, v11
	v_mov_b32_e32 v35, v11
	v_mov_b32_e32 v14, v11
	v_mov_b32_e32 v36, v11
	s_and_saveexec_b64 s[36:37], s[0:1]
	s_cbranch_execz .LBB33_26
; %bb.17:
	v_or_b32_e32 v11, s14, v15
	v_mov_b32_e32 v12, 0
	v_lshlrev_b64 v[13:14], 2, v[11:12]
	v_mov_b32_e32 v11, s19
	v_add_co_u32_e64 v15, s[0:1], s18, v13
	v_addc_co_u32_e64 v16, s[0:1], v11, v14, s[0:1]
	v_mov_b32_e32 v11, s23
	v_add_co_u32_e64 v13, s[0:1], s22, v13
	v_addc_co_u32_e64 v14, s[0:1], v11, v14, s[0:1]
	global_load_dword v33, v[15:16], off
	global_load_dword v11, v[13:14], off
	v_or_b32_e32 v15, 0xc00, v0
	v_cmp_gt_u32_e64 s[0:1], s20, v15
	s_mov_b64 s[40:41], 0
	v_mov_b32_e32 v34, v12
	v_mov_b32_e32 v13, v12
	;; [unrolled: 1-line block ×5, first 2 shown]
	s_and_saveexec_b64 s[38:39], s[0:1]
	s_cbranch_execz .LBB33_25
; %bb.18:
	v_or_b32_e32 v12, s14, v15
	v_mov_b32_e32 v13, 0
	v_lshlrev_b64 v[14:15], 2, v[12:13]
	v_mov_b32_e32 v12, s19
	v_add_co_u32_e64 v16, s[0:1], s18, v14
	v_addc_co_u32_e64 v17, s[0:1], v12, v15, s[0:1]
	v_mov_b32_e32 v12, s23
	v_add_co_u32_e64 v14, s[0:1], s22, v14
	v_addc_co_u32_e64 v15, s[0:1], v12, v15, s[0:1]
	global_load_dword v34, v[16:17], off
	global_load_dword v12, v[14:15], off
	v_or_b32_e32 v15, 0xd00, v0
	v_cmp_gt_u32_e64 s[0:1], s20, v15
	s_mov_b64 s[42:43], 0
	v_mov_b32_e32 v35, v13
	v_mov_b32_e32 v14, v13
	;; [unrolled: 1-line block ×3, first 2 shown]
	s_and_saveexec_b64 s[40:41], s[0:1]
	s_cbranch_execz .LBB33_24
; %bb.19:
	v_add_u32_e32 v13, s14, v15
	v_mov_b32_e32 v14, 0
	v_lshlrev_b64 v[15:16], 2, v[13:14]
	v_mov_b32_e32 v13, s19
	v_add_co_u32_e64 v17, s[0:1], s18, v15
	v_addc_co_u32_e64 v18, s[0:1], v13, v16, s[0:1]
	v_mov_b32_e32 v13, s23
	v_add_co_u32_e64 v15, s[0:1], s22, v15
	v_addc_co_u32_e64 v16, s[0:1], v13, v16, s[0:1]
	global_load_dword v35, v[17:18], off
	global_load_dword v13, v[15:16], off
	v_or_b32_e32 v15, 0xe00, v0
	v_cmp_gt_u32_e64 s[0:1], s20, v15
	s_mov_b64 s[44:45], 0
	v_mov_b32_e32 v36, v14
	s_and_saveexec_b64 s[42:43], s[0:1]
	s_cbranch_execz .LBB33_23
; %bb.20:
	v_add_u32_e32 v15, s14, v15
	v_mov_b32_e32 v16, 0
	v_lshlrev_b64 v[14:15], 2, v[15:16]
	v_mov_b32_e32 v18, s19
	v_add_co_u32_e64 v17, s[0:1], s18, v14
	v_addc_co_u32_e64 v18, s[0:1], v18, v15, s[0:1]
	global_load_dword v36, v[17:18], off
	v_mov_b32_e32 v17, s23
	v_add_co_u32_e64 v14, s[0:1], s22, v14
	v_addc_co_u32_e64 v15, s[0:1], v17, v15, s[0:1]
	global_load_dword v14, v[14:15], off
	v_or_b32_e32 v15, 0xf00, v0
	v_cmp_gt_u32_e64 s[0:1], s20, v15
	s_mov_b64 s[46:47], 0
	s_and_saveexec_b64 s[44:45], s[0:1]
	s_cbranch_execz .LBB33_22
; %bb.21:
	v_add_u32_e32 v15, s14, v15
	v_lshlrev_b64 v[15:16], 2, v[15:16]
	v_mov_b32_e32 v18, s23
	v_add_co_u32_e64 v17, s[0:1], s22, v15
	v_addc_co_u32_e64 v18, s[0:1], v18, v16, s[0:1]
	v_mov_b32_e32 v37, s19
	v_add_co_u32_e64 v15, s[0:1], s18, v15
	v_addc_co_u32_e64 v16, s[0:1], v37, v16, s[0:1]
	global_load_dword v37, v[15:16], off
	global_load_dword v38, v[17:18], off
	s_waitcnt vmcnt(0)
	v_cmp_ne_u32_e64 s[0:1], v37, v38
	s_and_b64 s[46:47], s[0:1], exec
.LBB33_22:
	s_or_b64 exec, exec, s[44:45]
	s_and_b64 s[44:45], s[46:47], exec
.LBB33_23:
	s_or_b64 exec, exec, s[42:43]
	s_and_b64 s[42:43], s[44:45], exec
.LBB33_24:
	s_or_b64 exec, exec, s[40:41]
	s_and_b64 s[40:41], s[42:43], exec
.LBB33_25:
	s_or_b64 exec, exec, s[38:39]
	s_and_b64 s[38:39], s[40:41], exec
.LBB33_26:
	s_or_b64 exec, exec, s[36:37]
	s_and_b64 s[36:37], s[38:39], exec
.LBB33_27:
	s_or_b64 exec, exec, s[34:35]
	s_and_b64 s[34:35], s[36:37], exec
.LBB33_28:
	s_or_b64 exec, exec, s[30:31]
	s_and_b64 s[30:31], s[34:35], exec
.LBB33_29:
	s_or_b64 exec, exec, s[28:29]
	s_and_b64 s[28:29], s[30:31], exec
.LBB33_30:
	s_or_b64 exec, exec, s[26:27]
	s_and_b64 s[26:27], s[28:29], exec
.LBB33_31:
	s_or_b64 exec, exec, s[24:25]
	s_and_b64 s[24:25], s[26:27], exec
.LBB33_32:
	s_or_b64 exec, exec, s[12:13]
	s_and_b64 s[12:13], s[24:25], exec
.LBB33_33:
	s_or_b64 exec, exec, s[10:11]
	s_and_b64 s[10:11], s[12:13], exec
.LBB33_34:
	s_or_b64 exec, exec, s[8:9]
	s_and_b64 s[8:9], s[10:11], exec
.LBB33_35:
	s_or_b64 exec, exec, s[6:7]
	s_and_b64 s[6:7], s[8:9], exec
.LBB33_36:
	s_or_b64 exec, exec, s[4:5]
	s_and_b64 s[0:1], s[6:7], exec
.LBB33_37:
	s_or_b64 exec, exec, s[2:3]
	s_cmp_eq_u32 s21, 0
	s_cselect_b64 s[2:3], -1, 0
	s_and_saveexec_b64 s[4:5], vcc
	s_cbranch_execnz .LBB33_55
; %bb.38:
	s_or_b64 exec, exec, s[4:5]
	v_cmp_gt_i32_e32 vcc, s20, v0
	s_and_saveexec_b64 s[4:5], vcc
	s_cbranch_execnz .LBB33_56
.LBB33_39:
	s_or_b64 exec, exec, s[4:5]
	v_cmp_gt_i32_e32 vcc, s20, v0
	s_and_saveexec_b64 s[4:5], vcc
	s_cbranch_execnz .LBB33_57
.LBB33_40:
	s_or_b64 exec, exec, s[4:5]
	v_cmp_gt_i32_e32 vcc, s20, v0
	s_and_saveexec_b64 s[4:5], vcc
	s_cbranch_execnz .LBB33_58
.LBB33_41:
	s_or_b64 exec, exec, s[4:5]
	v_cmp_gt_i32_e32 vcc, s20, v0
	s_and_saveexec_b64 s[4:5], vcc
	s_cbranch_execnz .LBB33_59
.LBB33_42:
	s_or_b64 exec, exec, s[4:5]
	v_cmp_gt_i32_e32 vcc, s20, v0
	s_and_saveexec_b64 s[4:5], vcc
	s_cbranch_execnz .LBB33_60
.LBB33_43:
	s_or_b64 exec, exec, s[4:5]
	v_cmp_gt_i32_e32 vcc, s20, v0
	s_and_saveexec_b64 s[4:5], vcc
	s_cbranch_execnz .LBB33_61
.LBB33_44:
	s_or_b64 exec, exec, s[4:5]
	v_cmp_gt_i32_e32 vcc, s20, v0
	s_and_saveexec_b64 s[4:5], vcc
	s_cbranch_execnz .LBB33_62
.LBB33_45:
	s_or_b64 exec, exec, s[4:5]
	v_cmp_gt_i32_e32 vcc, s20, v0
	s_and_saveexec_b64 s[4:5], vcc
	s_cbranch_execnz .LBB33_63
.LBB33_46:
	s_or_b64 exec, exec, s[4:5]
	v_cmp_gt_i32_e32 vcc, s20, v0
	s_and_saveexec_b64 s[4:5], vcc
	s_cbranch_execnz .LBB33_64
.LBB33_47:
	s_or_b64 exec, exec, s[4:5]
	v_cmp_gt_i32_e32 vcc, s20, v0
	s_and_saveexec_b64 s[4:5], vcc
	s_cbranch_execnz .LBB33_65
.LBB33_48:
	s_or_b64 exec, exec, s[4:5]
	v_cmp_gt_i32_e32 vcc, s20, v0
	s_and_saveexec_b64 s[4:5], vcc
	s_cbranch_execnz .LBB33_66
.LBB33_49:
	s_or_b64 exec, exec, s[4:5]
	v_cmp_gt_i32_e32 vcc, s20, v0
	s_and_saveexec_b64 s[4:5], vcc
	s_cbranch_execnz .LBB33_67
.LBB33_50:
	s_or_b64 exec, exec, s[4:5]
	v_cmp_gt_i32_e32 vcc, s20, v0
	s_and_saveexec_b64 s[4:5], vcc
	s_cbranch_execnz .LBB33_68
.LBB33_51:
	s_or_b64 exec, exec, s[4:5]
	v_cmp_gt_i32_e32 vcc, s20, v0
	s_and_saveexec_b64 s[4:5], vcc
	s_cbranch_execnz .LBB33_69
.LBB33_52:
	s_or_b64 exec, exec, s[4:5]
	v_cmp_gt_i32_e32 vcc, s20, v0
	s_and_saveexec_b64 s[4:5], vcc
	s_cbranch_execz .LBB33_54
.LBB33_53:
	s_xor_b64 s[0:1], s[2:3], s[0:1]
	v_cndmask_b32_e64 v1, 0, 1, s[0:1]
	v_add_u32_e32 v0, s14, v0
	global_store_byte v0, v1, s[16:17]
.LBB33_54:
	s_endpgm
.LBB33_55:
	s_waitcnt vmcnt(0)
	v_cmp_ne_u32_e32 vcc, v22, v26
	s_xor_b64 s[6:7], s[2:3], vcc
	v_cndmask_b32_e64 v0, 0, 1, s[6:7]
	global_store_byte v1, v0, s[16:17]
	v_mov_b32_e32 v0, v19
	s_or_b64 exec, exec, s[4:5]
	v_cmp_gt_i32_e32 vcc, s20, v0
	s_and_saveexec_b64 s[4:5], vcc
	s_cbranch_execz .LBB33_39
.LBB33_56:
	s_waitcnt vmcnt(0)
	v_cmp_ne_u32_e32 vcc, v25, v2
	s_xor_b64 s[6:7], s[2:3], vcc
	v_cndmask_b32_e64 v1, 0, 1, s[6:7]
	v_add_u32_e32 v2, s14, v0
	v_add_u32_e32 v0, 0x100, v0
	global_store_byte v2, v1, s[16:17]
	s_or_b64 exec, exec, s[4:5]
	v_cmp_gt_i32_e32 vcc, s20, v0
	s_and_saveexec_b64 s[4:5], vcc
	s_cbranch_execz .LBB33_40
.LBB33_57:
	s_waitcnt vmcnt(0)
	v_cmp_ne_u32_e32 vcc, v23, v3
	s_xor_b64 s[6:7], s[2:3], vcc
	v_cndmask_b32_e64 v1, 0, 1, s[6:7]
	v_add_u32_e32 v2, s14, v0
	v_add_u32_e32 v0, 0x100, v0
	global_store_byte v2, v1, s[16:17]
	s_or_b64 exec, exec, s[4:5]
	v_cmp_gt_i32_e32 vcc, s20, v0
	s_and_saveexec_b64 s[4:5], vcc
	s_cbranch_execz .LBB33_41
.LBB33_58:
	s_waitcnt vmcnt(0)
	v_cmp_ne_u32_e32 vcc, v21, v20
	s_xor_b64 s[6:7], s[2:3], vcc
	v_cndmask_b32_e64 v1, 0, 1, s[6:7]
	v_add_u32_e32 v2, s14, v0
	v_add_u32_e32 v0, 0x100, v0
	global_store_byte v2, v1, s[16:17]
	s_or_b64 exec, exec, s[4:5]
	v_cmp_gt_i32_e32 vcc, s20, v0
	s_and_saveexec_b64 s[4:5], vcc
	s_cbranch_execz .LBB33_42
.LBB33_59:
	s_waitcnt vmcnt(0)
	v_cmp_ne_u32_e32 vcc, v4, v24
	s_xor_b64 s[6:7], s[2:3], vcc
	v_cndmask_b32_e64 v1, 0, 1, s[6:7]
	v_add_u32_e32 v2, s14, v0
	v_add_u32_e32 v0, 0x100, v0
	global_store_byte v2, v1, s[16:17]
	s_or_b64 exec, exec, s[4:5]
	v_cmp_gt_i32_e32 vcc, s20, v0
	s_and_saveexec_b64 s[4:5], vcc
	s_cbranch_execz .LBB33_43
.LBB33_60:
	s_waitcnt vmcnt(0)
	v_cmp_ne_u32_e32 vcc, v27, v5
	s_xor_b64 s[6:7], s[2:3], vcc
	v_cndmask_b32_e64 v1, 0, 1, s[6:7]
	v_add_u32_e32 v2, s14, v0
	v_add_u32_e32 v0, 0x100, v0
	global_store_byte v2, v1, s[16:17]
	s_or_b64 exec, exec, s[4:5]
	v_cmp_gt_i32_e32 vcc, s20, v0
	s_and_saveexec_b64 s[4:5], vcc
	s_cbranch_execz .LBB33_44
.LBB33_61:
	s_waitcnt vmcnt(0)
	v_cmp_ne_u32_e32 vcc, v28, v6
	s_xor_b64 s[6:7], s[2:3], vcc
	v_cndmask_b32_e64 v1, 0, 1, s[6:7]
	v_add_u32_e32 v2, s14, v0
	v_add_u32_e32 v0, 0x100, v0
	global_store_byte v2, v1, s[16:17]
	s_or_b64 exec, exec, s[4:5]
	v_cmp_gt_i32_e32 vcc, s20, v0
	s_and_saveexec_b64 s[4:5], vcc
	s_cbranch_execz .LBB33_45
.LBB33_62:
	s_waitcnt vmcnt(0)
	v_cmp_ne_u32_e32 vcc, v29, v7
	s_xor_b64 s[6:7], s[2:3], vcc
	v_cndmask_b32_e64 v1, 0, 1, s[6:7]
	v_add_u32_e32 v2, s14, v0
	v_add_u32_e32 v0, 0x100, v0
	global_store_byte v2, v1, s[16:17]
	s_or_b64 exec, exec, s[4:5]
	v_cmp_gt_i32_e32 vcc, s20, v0
	s_and_saveexec_b64 s[4:5], vcc
	s_cbranch_execz .LBB33_46
.LBB33_63:
	s_waitcnt vmcnt(0)
	v_cmp_ne_u32_e32 vcc, v30, v8
	s_xor_b64 s[6:7], s[2:3], vcc
	v_cndmask_b32_e64 v1, 0, 1, s[6:7]
	v_add_u32_e32 v2, s14, v0
	v_add_u32_e32 v0, 0x100, v0
	global_store_byte v2, v1, s[16:17]
	s_or_b64 exec, exec, s[4:5]
	v_cmp_gt_i32_e32 vcc, s20, v0
	s_and_saveexec_b64 s[4:5], vcc
	s_cbranch_execz .LBB33_47
.LBB33_64:
	s_waitcnt vmcnt(0)
	v_cmp_ne_u32_e32 vcc, v31, v9
	s_xor_b64 s[6:7], s[2:3], vcc
	v_cndmask_b32_e64 v1, 0, 1, s[6:7]
	v_add_u32_e32 v2, s14, v0
	v_add_u32_e32 v0, 0x100, v0
	global_store_byte v2, v1, s[16:17]
	s_or_b64 exec, exec, s[4:5]
	v_cmp_gt_i32_e32 vcc, s20, v0
	s_and_saveexec_b64 s[4:5], vcc
	s_cbranch_execz .LBB33_48
.LBB33_65:
	s_waitcnt vmcnt(0)
	v_cmp_ne_u32_e32 vcc, v32, v10
	s_xor_b64 s[6:7], s[2:3], vcc
	v_cndmask_b32_e64 v1, 0, 1, s[6:7]
	v_add_u32_e32 v2, s14, v0
	v_add_u32_e32 v0, 0x100, v0
	global_store_byte v2, v1, s[16:17]
	s_or_b64 exec, exec, s[4:5]
	v_cmp_gt_i32_e32 vcc, s20, v0
	s_and_saveexec_b64 s[4:5], vcc
	s_cbranch_execz .LBB33_49
.LBB33_66:
	s_waitcnt vmcnt(0)
	v_cmp_ne_u32_e32 vcc, v33, v11
	s_xor_b64 s[6:7], s[2:3], vcc
	v_cndmask_b32_e64 v1, 0, 1, s[6:7]
	v_add_u32_e32 v2, s14, v0
	v_add_u32_e32 v0, 0x100, v0
	global_store_byte v2, v1, s[16:17]
	s_or_b64 exec, exec, s[4:5]
	v_cmp_gt_i32_e32 vcc, s20, v0
	s_and_saveexec_b64 s[4:5], vcc
	s_cbranch_execz .LBB33_50
.LBB33_67:
	s_waitcnt vmcnt(0)
	v_cmp_ne_u32_e32 vcc, v34, v12
	s_xor_b64 s[6:7], s[2:3], vcc
	v_cndmask_b32_e64 v1, 0, 1, s[6:7]
	v_add_u32_e32 v2, s14, v0
	v_add_u32_e32 v0, 0x100, v0
	global_store_byte v2, v1, s[16:17]
	s_or_b64 exec, exec, s[4:5]
	v_cmp_gt_i32_e32 vcc, s20, v0
	s_and_saveexec_b64 s[4:5], vcc
	s_cbranch_execz .LBB33_51
.LBB33_68:
	s_waitcnt vmcnt(0)
	v_cmp_ne_u32_e32 vcc, v35, v13
	s_xor_b64 s[6:7], s[2:3], vcc
	v_cndmask_b32_e64 v1, 0, 1, s[6:7]
	v_add_u32_e32 v2, s14, v0
	v_add_u32_e32 v0, 0x100, v0
	global_store_byte v2, v1, s[16:17]
	s_or_b64 exec, exec, s[4:5]
	v_cmp_gt_i32_e32 vcc, s20, v0
	s_and_saveexec_b64 s[4:5], vcc
	s_cbranch_execz .LBB33_52
.LBB33_69:
	s_waitcnt vmcnt(0)
	v_cmp_ne_u32_e32 vcc, v36, v14
	s_xor_b64 s[6:7], s[2:3], vcc
	v_cndmask_b32_e64 v1, 0, 1, s[6:7]
	v_add_u32_e32 v2, s14, v0
	v_add_u32_e32 v0, 0x100, v0
	global_store_byte v2, v1, s[16:17]
	s_or_b64 exec, exec, s[4:5]
	v_cmp_gt_i32_e32 vcc, s20, v0
	s_and_saveexec_b64 s[4:5], vcc
	s_cbranch_execnz .LBB33_53
	s_branch .LBB33_54
	.section	.rodata,"a",@progbits
	.p2align	6, 0x0
	.amdhsa_kernel _ZN2at6native29vectorized_elementwise_kernelILi8ENS0_13BinaryFunctorIiibNS0_12_GLOBAL__N_116CompareEqFunctorIiEEEESt5arrayIPcLm3EEEEviT0_T1_
		.amdhsa_group_segment_fixed_size 0
		.amdhsa_private_segment_fixed_size 0
		.amdhsa_kernarg_size 32
		.amdhsa_user_sgpr_count 6
		.amdhsa_user_sgpr_private_segment_buffer 1
		.amdhsa_user_sgpr_dispatch_ptr 0
		.amdhsa_user_sgpr_queue_ptr 0
		.amdhsa_user_sgpr_kernarg_segment_ptr 1
		.amdhsa_user_sgpr_dispatch_id 0
		.amdhsa_user_sgpr_flat_scratch_init 0
		.amdhsa_user_sgpr_private_segment_size 0
		.amdhsa_uses_dynamic_stack 0
		.amdhsa_system_sgpr_private_segment_wavefront_offset 0
		.amdhsa_system_sgpr_workgroup_id_x 1
		.amdhsa_system_sgpr_workgroup_id_y 0
		.amdhsa_system_sgpr_workgroup_id_z 0
		.amdhsa_system_sgpr_workgroup_info 0
		.amdhsa_system_vgpr_workitem_id 0
		.amdhsa_next_free_vgpr 39
		.amdhsa_next_free_sgpr 48
		.amdhsa_reserve_vcc 1
		.amdhsa_reserve_flat_scratch 0
		.amdhsa_float_round_mode_32 0
		.amdhsa_float_round_mode_16_64 0
		.amdhsa_float_denorm_mode_32 3
		.amdhsa_float_denorm_mode_16_64 3
		.amdhsa_dx10_clamp 1
		.amdhsa_ieee_mode 1
		.amdhsa_fp16_overflow 0
		.amdhsa_exception_fp_ieee_invalid_op 0
		.amdhsa_exception_fp_denorm_src 0
		.amdhsa_exception_fp_ieee_div_zero 0
		.amdhsa_exception_fp_ieee_overflow 0
		.amdhsa_exception_fp_ieee_underflow 0
		.amdhsa_exception_fp_ieee_inexact 0
		.amdhsa_exception_int_div_zero 0
	.end_amdhsa_kernel
	.section	.text._ZN2at6native29vectorized_elementwise_kernelILi8ENS0_13BinaryFunctorIiibNS0_12_GLOBAL__N_116CompareEqFunctorIiEEEESt5arrayIPcLm3EEEEviT0_T1_,"axG",@progbits,_ZN2at6native29vectorized_elementwise_kernelILi8ENS0_13BinaryFunctorIiibNS0_12_GLOBAL__N_116CompareEqFunctorIiEEEESt5arrayIPcLm3EEEEviT0_T1_,comdat
.Lfunc_end33:
	.size	_ZN2at6native29vectorized_elementwise_kernelILi8ENS0_13BinaryFunctorIiibNS0_12_GLOBAL__N_116CompareEqFunctorIiEEEESt5arrayIPcLm3EEEEviT0_T1_, .Lfunc_end33-_ZN2at6native29vectorized_elementwise_kernelILi8ENS0_13BinaryFunctorIiibNS0_12_GLOBAL__N_116CompareEqFunctorIiEEEESt5arrayIPcLm3EEEEviT0_T1_
                                        ; -- End function
	.set _ZN2at6native29vectorized_elementwise_kernelILi8ENS0_13BinaryFunctorIiibNS0_12_GLOBAL__N_116CompareEqFunctorIiEEEESt5arrayIPcLm3EEEEviT0_T1_.num_vgpr, 39
	.set _ZN2at6native29vectorized_elementwise_kernelILi8ENS0_13BinaryFunctorIiibNS0_12_GLOBAL__N_116CompareEqFunctorIiEEEESt5arrayIPcLm3EEEEviT0_T1_.num_agpr, 0
	.set _ZN2at6native29vectorized_elementwise_kernelILi8ENS0_13BinaryFunctorIiibNS0_12_GLOBAL__N_116CompareEqFunctorIiEEEESt5arrayIPcLm3EEEEviT0_T1_.numbered_sgpr, 48
	.set _ZN2at6native29vectorized_elementwise_kernelILi8ENS0_13BinaryFunctorIiibNS0_12_GLOBAL__N_116CompareEqFunctorIiEEEESt5arrayIPcLm3EEEEviT0_T1_.num_named_barrier, 0
	.set _ZN2at6native29vectorized_elementwise_kernelILi8ENS0_13BinaryFunctorIiibNS0_12_GLOBAL__N_116CompareEqFunctorIiEEEESt5arrayIPcLm3EEEEviT0_T1_.private_seg_size, 0
	.set _ZN2at6native29vectorized_elementwise_kernelILi8ENS0_13BinaryFunctorIiibNS0_12_GLOBAL__N_116CompareEqFunctorIiEEEESt5arrayIPcLm3EEEEviT0_T1_.uses_vcc, 1
	.set _ZN2at6native29vectorized_elementwise_kernelILi8ENS0_13BinaryFunctorIiibNS0_12_GLOBAL__N_116CompareEqFunctorIiEEEESt5arrayIPcLm3EEEEviT0_T1_.uses_flat_scratch, 0
	.set _ZN2at6native29vectorized_elementwise_kernelILi8ENS0_13BinaryFunctorIiibNS0_12_GLOBAL__N_116CompareEqFunctorIiEEEESt5arrayIPcLm3EEEEviT0_T1_.has_dyn_sized_stack, 0
	.set _ZN2at6native29vectorized_elementwise_kernelILi8ENS0_13BinaryFunctorIiibNS0_12_GLOBAL__N_116CompareEqFunctorIiEEEESt5arrayIPcLm3EEEEviT0_T1_.has_recursion, 0
	.set _ZN2at6native29vectorized_elementwise_kernelILi8ENS0_13BinaryFunctorIiibNS0_12_GLOBAL__N_116CompareEqFunctorIiEEEESt5arrayIPcLm3EEEEviT0_T1_.has_indirect_call, 0
	.section	.AMDGPU.csdata,"",@progbits
; Kernel info:
; codeLenInByte = 4324
; TotalNumSgprs: 52
; NumVgprs: 39
; ScratchSize: 0
; MemoryBound: 0
; FloatMode: 240
; IeeeMode: 1
; LDSByteSize: 0 bytes/workgroup (compile time only)
; SGPRBlocks: 6
; VGPRBlocks: 9
; NumSGPRsForWavesPerEU: 52
; NumVGPRsForWavesPerEU: 39
; Occupancy: 6
; WaveLimiterHint : 1
; COMPUTE_PGM_RSRC2:SCRATCH_EN: 0
; COMPUTE_PGM_RSRC2:USER_SGPR: 6
; COMPUTE_PGM_RSRC2:TRAP_HANDLER: 0
; COMPUTE_PGM_RSRC2:TGID_X_EN: 1
; COMPUTE_PGM_RSRC2:TGID_Y_EN: 0
; COMPUTE_PGM_RSRC2:TGID_Z_EN: 0
; COMPUTE_PGM_RSRC2:TIDIG_COMP_CNT: 0
	.section	.text._ZN2at6native29vectorized_elementwise_kernelILi4ENS0_13BinaryFunctorIiibNS0_12_GLOBAL__N_116CompareEqFunctorIiEEEESt5arrayIPcLm3EEEEviT0_T1_,"axG",@progbits,_ZN2at6native29vectorized_elementwise_kernelILi4ENS0_13BinaryFunctorIiibNS0_12_GLOBAL__N_116CompareEqFunctorIiEEEESt5arrayIPcLm3EEEEviT0_T1_,comdat
	.globl	_ZN2at6native29vectorized_elementwise_kernelILi4ENS0_13BinaryFunctorIiibNS0_12_GLOBAL__N_116CompareEqFunctorIiEEEESt5arrayIPcLm3EEEEviT0_T1_ ; -- Begin function _ZN2at6native29vectorized_elementwise_kernelILi4ENS0_13BinaryFunctorIiibNS0_12_GLOBAL__N_116CompareEqFunctorIiEEEESt5arrayIPcLm3EEEEviT0_T1_
	.p2align	8
	.type	_ZN2at6native29vectorized_elementwise_kernelILi4ENS0_13BinaryFunctorIiibNS0_12_GLOBAL__N_116CompareEqFunctorIiEEEESt5arrayIPcLm3EEEEviT0_T1_,@function
_ZN2at6native29vectorized_elementwise_kernelILi4ENS0_13BinaryFunctorIiibNS0_12_GLOBAL__N_116CompareEqFunctorIiEEEESt5arrayIPcLm3EEEEviT0_T1_: ; @_ZN2at6native29vectorized_elementwise_kernelILi4ENS0_13BinaryFunctorIiibNS0_12_GLOBAL__N_116CompareEqFunctorIiEEEESt5arrayIPcLm3EEEEviT0_T1_
; %bb.0:
	s_load_dwordx2 s[18:19], s[4:5], 0x0
	s_load_dwordx4 s[12:15], s[4:5], 0x8
	s_load_dwordx2 s[20:21], s[4:5], 0x18
	s_lshl_b32 s16, s6, 12
	s_mov_b64 s[0:1], -1
	s_waitcnt lgkmcnt(0)
	s_sub_i32 s18, s18, s16
	s_cmpk_gt_i32 s18, 0xfff
	s_cbranch_scc0 .LBB34_2
; %bb.1:
	s_ashr_i32 s17, s16, 31
	s_lshl_b64 s[0:1], s[16:17], 2
	s_add_u32 s2, s14, s0
	s_addc_u32 s3, s15, s1
	v_lshlrev_b32_e32 v13, 4, v0
	v_mov_b32_e32 v1, s3
	v_add_co_u32_e32 v14, vcc, s2, v13
	v_addc_co_u32_e32 v30, vcc, 0, v1, vcc
	v_add_co_u32_e32 v1, vcc, 0x1000, v14
	v_addc_co_u32_e32 v2, vcc, 0, v30, vcc
	s_add_u32 s4, s20, s0
	v_add_co_u32_e32 v25, vcc, 0x2000, v14
	s_addc_u32 s5, s21, s1
	global_load_dwordx4 v[1:4], v[1:2], off
	s_nop 0
	global_load_dwordx4 v[5:8], v13, s[2:3]
	global_load_dwordx4 v[9:12], v13, s[4:5]
	s_mov_b64 s[0:1], vcc
	v_add_co_u32_e32 v27, vcc, 0x3000, v14
	v_mov_b32_e32 v14, s5
	v_add_co_u32_e64 v31, s[2:3], s4, v13
	s_movk_i32 s6, 0x2000
	v_addc_co_u32_e64 v32, s[2:3], 0, v14, s[2:3]
	s_mov_b64 s[2:3], vcc
	v_add_co_u32_e32 v28, vcc, s6, v31
	v_addc_co_u32_e32 v29, vcc, 0, v32, vcc
	global_load_dwordx4 v[13:16], v[28:29], off offset:-4096
	v_addc_co_u32_e64 v26, vcc, 0, v30, s[0:1]
	global_load_dwordx4 v[17:20], v[25:26], off
	global_load_dwordx4 v[21:24], v[28:29], off
	s_movk_i32 s0, 0x3000
	v_addc_co_u32_e64 v28, vcc, 0, v30, s[2:3]
	v_add_co_u32_e32 v29, vcc, s0, v31
	v_addc_co_u32_e32 v30, vcc, 0, v32, vcc
	global_load_dwordx4 v[25:28], v[27:28], off
	s_cmp_eq_u32 s19, 0
	global_load_dwordx4 v[29:32], v[29:30], off
	s_cselect_b64 s[22:23], -1, 0
	v_mov_b32_e32 v33, 0x100
	v_mov_b32_e32 v34, 0x10000
	v_mov_b32_e32 v35, 0x1000000
	s_waitcnt vmcnt(5)
	v_cmp_ne_u32_e32 vcc, v5, v9
	v_cmp_ne_u32_e64 s[0:1], v6, v10
	v_cmp_ne_u32_e64 s[2:3], v7, v11
	s_xor_b64 s[6:7], s[22:23], vcc
	s_xor_b64 vcc, s[22:23], s[0:1]
	v_cmp_ne_u32_e64 s[4:5], v8, v12
	v_cndmask_b32_e32 v6, 0, v33, vcc
	s_xor_b64 vcc, s[22:23], s[2:3]
	v_cndmask_b32_e32 v7, 0, v34, vcc
	s_xor_b64 vcc, s[22:23], s[4:5]
	v_cndmask_b32_e32 v8, 0, v35, vcc
	v_cndmask_b32_e64 v5, 0, 1, s[6:7]
	v_or_b32_e32 v5, v6, v5
	v_or3_b32 v5, v5, v7, v8
	s_waitcnt vmcnt(4)
	v_cmp_ne_u32_e32 vcc, v1, v13
	v_cmp_ne_u32_e64 s[0:1], v2, v14
	v_cmp_ne_u32_e64 s[2:3], v3, v15
	s_xor_b64 s[24:25], s[22:23], vcc
	s_xor_b64 vcc, s[22:23], s[0:1]
	v_cmp_ne_u32_e64 s[4:5], v4, v16
	v_cndmask_b32_e32 v2, 0, v33, vcc
	s_xor_b64 vcc, s[22:23], s[2:3]
	s_waitcnt vmcnt(2)
	v_cmp_ne_u32_e64 s[8:9], v18, v22
	v_cndmask_b32_e32 v3, 0, v34, vcc
	s_xor_b64 vcc, s[22:23], s[4:5]
	v_cmp_ne_u32_e64 s[10:11], v19, v23
	v_cndmask_b32_e64 v1, 0, 1, s[24:25]
	v_cndmask_b32_e32 v4, 0, v35, vcc
	s_xor_b64 vcc, s[22:23], s[8:9]
	v_cndmask_b32_e32 v7, 0, v33, vcc
	v_or_b32_e32 v1, v2, v1
	s_xor_b64 vcc, s[22:23], s[10:11]
	v_or3_b32 v1, v1, v3, v4
	v_cndmask_b32_e32 v3, 0, v34, vcc
	v_cmp_ne_u32_e32 vcc, v20, v24
	v_cmp_ne_u32_e64 s[6:7], v17, v21
	s_xor_b64 vcc, s[22:23], vcc
	s_xor_b64 s[0:1], s[22:23], s[6:7]
	v_cndmask_b32_e32 v4, 0, v35, vcc
	s_waitcnt vmcnt(0)
	v_cmp_ne_u32_e32 vcc, v25, v29
	v_cndmask_b32_e64 v6, 0, 1, s[0:1]
	s_xor_b64 s[0:1], s[22:23], vcc
	v_cmp_ne_u32_e32 vcc, v26, v30
	v_or_b32_e32 v2, v7, v6
	s_xor_b64 vcc, s[22:23], vcc
	v_or3_b32 v2, v2, v3, v4
	v_cndmask_b32_e32 v4, 0, v33, vcc
	v_cmp_ne_u32_e32 vcc, v27, v31
	v_cndmask_b32_e64 v3, 0, 1, s[0:1]
	s_xor_b64 vcc, s[22:23], vcc
	v_or_b32_e32 v3, v4, v3
	v_cndmask_b32_e32 v4, 0, v34, vcc
	v_cmp_ne_u32_e32 vcc, v28, v32
	s_xor_b64 vcc, s[22:23], vcc
	v_cndmask_b32_e32 v6, 0, v35, vcc
	s_add_u32 s0, s12, s16
	v_or3_b32 v3, v3, v4, v6
	s_addc_u32 s1, s13, s17
	v_lshlrev_b32_e32 v4, 2, v0
	global_store_dword v4, v5, s[0:1]
	global_store_dword v4, v1, s[0:1] offset:1024
	global_store_dword v4, v2, s[0:1] offset:2048
	;; [unrolled: 1-line block ×3, first 2 shown]
	s_mov_b64 s[0:1], 0
.LBB34_2:
	s_andn2_b64 vcc, exec, s[0:1]
	s_cbranch_vccnz .LBB34_54
; %bb.3:
	v_cmp_gt_i32_e32 vcc, s18, v0
	v_cmp_le_i32_e64 s[0:1], s18, v0
                                        ; implicit-def: $vgpr19
	s_and_saveexec_b64 s[2:3], s[0:1]
	s_xor_b64 s[0:1], exec, s[2:3]
; %bb.4:
	v_or_b32_e32 v19, 0x100, v0
; %bb.5:
	s_or_saveexec_b64 s[2:3], s[0:1]
	v_mov_b32_e32 v36, 0
	s_mov_b64 s[0:1], 0
	v_or_b32_e32 v1, s16, v0
	v_mov_b32_e32 v35, 0
	v_mov_b32_e32 v34, 0
	;; [unrolled: 1-line block ×29, first 2 shown]
	s_xor_b64 exec, exec, s[2:3]
	s_cbranch_execz .LBB34_37
; %bb.6:
	v_mov_b32_e32 v2, 0
	v_lshlrev_b64 v[3:4], 2, v[1:2]
	v_mov_b32_e32 v6, s15
	v_add_co_u32_e64 v5, s[0:1], s14, v3
	v_addc_co_u32_e64 v6, s[0:1], v6, v4, s[0:1]
	global_load_dword v22, v[5:6], off
	v_mov_b32_e32 v5, s21
	v_add_co_u32_e64 v3, s[0:1], s20, v3
	v_addc_co_u32_e64 v4, s[0:1], v5, v4, s[0:1]
	global_load_dword v26, v[3:4], off
	v_or_b32_e32 v19, 0x100, v0
	v_cmp_gt_u32_e64 s[0:1], s18, v19
	s_mov_b64 s[6:7], 0
	v_mov_b32_e32 v25, v2
	v_mov_b32_e32 v3, v2
	;; [unrolled: 1-line block ×27, first 2 shown]
	s_and_saveexec_b64 s[4:5], s[0:1]
	s_cbranch_execz .LBB34_36
; %bb.7:
	v_add_u32_e32 v2, s16, v0
	v_mov_b32_e32 v3, 0
	v_lshlrev_b64 v[4:5], 2, v[2:3]
	v_mov_b32_e32 v2, s15
	v_add_co_u32_e64 v15, s[0:1], s14, v4
	v_addc_co_u32_e64 v16, s[0:1], v2, v5, s[0:1]
	v_mov_b32_e32 v2, s21
	v_add_co_u32_e64 v17, s[0:1], s20, v4
	v_addc_co_u32_e64 v18, s[0:1], v2, v5, s[0:1]
	global_load_dword v25, v[15:16], off offset:1024
	global_load_dword v2, v[17:18], off offset:1024
	v_or_b32_e32 v4, 0x200, v0
	v_cmp_gt_u32_e64 s[0:1], s18, v4
	s_mov_b64 s[8:9], 0
	v_mov_b32_e32 v23, v3
	v_mov_b32_e32 v20, v3
	;; [unrolled: 1-line block ×25, first 2 shown]
	s_and_saveexec_b64 s[6:7], s[0:1]
	s_cbranch_execz .LBB34_35
; %bb.8:
	global_load_dword v23, v[15:16], off offset:2048
	global_load_dword v3, v[17:18], off offset:2048
	v_or_b32_e32 v4, 0x300, v0
	v_cmp_gt_u32_e64 s[0:1], s18, v4
	s_mov_b64 s[10:11], 0
	v_mov_b32_e32 v20, 0
	v_mov_b32_e32 v21, 0
	;; [unrolled: 1-line block ×24, first 2 shown]
	s_and_saveexec_b64 s[8:9], s[0:1]
	s_cbranch_execz .LBB34_34
; %bb.9:
	global_load_dword v21, v[15:16], off offset:3072
	global_load_dword v20, v[17:18], off offset:3072
	v_or_b32_e32 v15, 0x400, v0
	v_cmp_gt_u32_e64 s[0:1], s18, v15
	s_mov_b64 s[22:23], 0
	v_mov_b32_e32 v24, 0
	v_mov_b32_e32 v4, 0
	;; [unrolled: 1-line block ×22, first 2 shown]
	s_and_saveexec_b64 s[10:11], s[0:1]
	s_cbranch_execz .LBB34_33
; %bb.10:
	v_or_b32_e32 v4, s16, v15
	v_mov_b32_e32 v5, 0
	v_lshlrev_b64 v[6:7], 2, v[4:5]
	v_mov_b32_e32 v4, s15
	v_add_co_u32_e64 v8, s[0:1], s14, v6
	v_addc_co_u32_e64 v9, s[0:1], v4, v7, s[0:1]
	global_load_dword v4, v[8:9], off
	v_mov_b32_e32 v8, s21
	v_add_co_u32_e64 v6, s[0:1], s20, v6
	v_addc_co_u32_e64 v7, s[0:1], v8, v7, s[0:1]
	global_load_dword v24, v[6:7], off
	v_or_b32_e32 v15, 0x500, v0
	v_cmp_gt_u32_e64 s[0:1], s18, v15
	s_mov_b64 s[24:25], 0
	v_mov_b32_e32 v27, v5
	v_mov_b32_e32 v6, v5
	;; [unrolled: 1-line block ×19, first 2 shown]
	s_and_saveexec_b64 s[22:23], s[0:1]
	s_cbranch_execz .LBB34_32
; %bb.11:
	v_or_b32_e32 v5, s16, v15
	v_mov_b32_e32 v6, 0
	v_lshlrev_b64 v[7:8], 2, v[5:6]
	v_mov_b32_e32 v5, s15
	v_add_co_u32_e64 v9, s[0:1], s14, v7
	v_addc_co_u32_e64 v10, s[0:1], v5, v8, s[0:1]
	v_mov_b32_e32 v5, s21
	v_add_co_u32_e64 v7, s[0:1], s20, v7
	v_addc_co_u32_e64 v8, s[0:1], v5, v8, s[0:1]
	global_load_dword v27, v[9:10], off
	global_load_dword v5, v[7:8], off
	v_or_b32_e32 v15, 0x600, v0
	v_cmp_gt_u32_e64 s[0:1], s18, v15
	s_mov_b64 s[26:27], 0
	v_mov_b32_e32 v28, v6
	v_mov_b32_e32 v7, v6
	;; [unrolled: 1-line block ×17, first 2 shown]
	s_and_saveexec_b64 s[24:25], s[0:1]
	s_cbranch_execz .LBB34_31
; %bb.12:
	v_or_b32_e32 v6, s16, v15
	v_mov_b32_e32 v7, 0
	v_lshlrev_b64 v[8:9], 2, v[6:7]
	v_mov_b32_e32 v6, s15
	v_add_co_u32_e64 v10, s[0:1], s14, v8
	v_addc_co_u32_e64 v11, s[0:1], v6, v9, s[0:1]
	v_mov_b32_e32 v6, s21
	v_add_co_u32_e64 v8, s[0:1], s20, v8
	v_addc_co_u32_e64 v9, s[0:1], v6, v9, s[0:1]
	global_load_dword v28, v[10:11], off
	global_load_dword v6, v[8:9], off
	v_or_b32_e32 v15, 0x700, v0
	v_cmp_gt_u32_e64 s[0:1], s18, v15
	s_mov_b64 s[28:29], 0
	v_mov_b32_e32 v29, v7
	v_mov_b32_e32 v8, v7
	;; [unrolled: 1-line block ×15, first 2 shown]
	s_and_saveexec_b64 s[26:27], s[0:1]
	s_cbranch_execz .LBB34_30
; %bb.13:
	v_or_b32_e32 v7, s16, v15
	v_mov_b32_e32 v8, 0
	v_lshlrev_b64 v[9:10], 2, v[7:8]
	v_mov_b32_e32 v7, s15
	v_add_co_u32_e64 v11, s[0:1], s14, v9
	v_addc_co_u32_e64 v12, s[0:1], v7, v10, s[0:1]
	v_mov_b32_e32 v7, s21
	v_add_co_u32_e64 v9, s[0:1], s20, v9
	v_addc_co_u32_e64 v10, s[0:1], v7, v10, s[0:1]
	global_load_dword v29, v[11:12], off
	global_load_dword v7, v[9:10], off
	v_or_b32_e32 v15, 0x800, v0
	v_cmp_gt_u32_e64 s[0:1], s18, v15
	s_mov_b64 s[30:31], 0
	v_mov_b32_e32 v30, v8
	v_mov_b32_e32 v9, v8
	v_mov_b32_e32 v31, v8
	v_mov_b32_e32 v10, v8
	v_mov_b32_e32 v32, v8
	v_mov_b32_e32 v11, v8
	v_mov_b32_e32 v33, v8
	v_mov_b32_e32 v12, v8
	v_mov_b32_e32 v34, v8
	v_mov_b32_e32 v13, v8
	v_mov_b32_e32 v35, v8
	v_mov_b32_e32 v14, v8
	v_mov_b32_e32 v36, v8
	s_and_saveexec_b64 s[28:29], s[0:1]
	s_cbranch_execz .LBB34_29
; %bb.14:
	v_or_b32_e32 v8, s16, v15
	v_mov_b32_e32 v9, 0
	v_lshlrev_b64 v[10:11], 2, v[8:9]
	v_mov_b32_e32 v8, s15
	v_add_co_u32_e64 v12, s[0:1], s14, v10
	v_addc_co_u32_e64 v13, s[0:1], v8, v11, s[0:1]
	v_mov_b32_e32 v8, s21
	v_add_co_u32_e64 v10, s[0:1], s20, v10
	v_addc_co_u32_e64 v11, s[0:1], v8, v11, s[0:1]
	global_load_dword v30, v[12:13], off
	global_load_dword v8, v[10:11], off
	v_or_b32_e32 v15, 0x900, v0
	v_cmp_gt_u32_e64 s[0:1], s18, v15
	s_mov_b64 s[34:35], 0
	v_mov_b32_e32 v31, v9
	v_mov_b32_e32 v10, v9
	;; [unrolled: 1-line block ×11, first 2 shown]
	s_and_saveexec_b64 s[30:31], s[0:1]
	s_cbranch_execz .LBB34_28
; %bb.15:
	v_or_b32_e32 v9, s16, v15
	v_mov_b32_e32 v10, 0
	v_lshlrev_b64 v[11:12], 2, v[9:10]
	v_mov_b32_e32 v9, s15
	v_add_co_u32_e64 v13, s[0:1], s14, v11
	v_addc_co_u32_e64 v14, s[0:1], v9, v12, s[0:1]
	v_mov_b32_e32 v9, s21
	v_add_co_u32_e64 v11, s[0:1], s20, v11
	v_addc_co_u32_e64 v12, s[0:1], v9, v12, s[0:1]
	global_load_dword v31, v[13:14], off
	global_load_dword v9, v[11:12], off
	v_or_b32_e32 v15, 0xa00, v0
	v_cmp_gt_u32_e64 s[0:1], s18, v15
	s_mov_b64 s[36:37], 0
	v_mov_b32_e32 v32, v10
	v_mov_b32_e32 v11, v10
	;; [unrolled: 1-line block ×9, first 2 shown]
	s_and_saveexec_b64 s[34:35], s[0:1]
	s_cbranch_execz .LBB34_27
; %bb.16:
	v_or_b32_e32 v10, s16, v15
	v_mov_b32_e32 v11, 0
	v_lshlrev_b64 v[12:13], 2, v[10:11]
	v_mov_b32_e32 v10, s15
	v_add_co_u32_e64 v14, s[0:1], s14, v12
	v_addc_co_u32_e64 v15, s[0:1], v10, v13, s[0:1]
	v_mov_b32_e32 v10, s21
	v_add_co_u32_e64 v12, s[0:1], s20, v12
	v_addc_co_u32_e64 v13, s[0:1], v10, v13, s[0:1]
	global_load_dword v32, v[14:15], off
	global_load_dword v10, v[12:13], off
	v_or_b32_e32 v15, 0xb00, v0
	v_cmp_gt_u32_e64 s[0:1], s18, v15
	s_mov_b64 s[38:39], 0
	v_mov_b32_e32 v33, v11
	v_mov_b32_e32 v12, v11
	;; [unrolled: 1-line block ×7, first 2 shown]
	s_and_saveexec_b64 s[36:37], s[0:1]
	s_cbranch_execz .LBB34_26
; %bb.17:
	v_or_b32_e32 v11, s16, v15
	v_mov_b32_e32 v12, 0
	v_lshlrev_b64 v[13:14], 2, v[11:12]
	v_mov_b32_e32 v11, s15
	v_add_co_u32_e64 v15, s[0:1], s14, v13
	v_addc_co_u32_e64 v16, s[0:1], v11, v14, s[0:1]
	v_mov_b32_e32 v11, s21
	v_add_co_u32_e64 v13, s[0:1], s20, v13
	v_addc_co_u32_e64 v14, s[0:1], v11, v14, s[0:1]
	global_load_dword v33, v[15:16], off
	global_load_dword v11, v[13:14], off
	v_or_b32_e32 v15, 0xc00, v0
	v_cmp_gt_u32_e64 s[0:1], s18, v15
	s_mov_b64 s[40:41], 0
	v_mov_b32_e32 v34, v12
	v_mov_b32_e32 v13, v12
	;; [unrolled: 1-line block ×5, first 2 shown]
	s_and_saveexec_b64 s[38:39], s[0:1]
	s_cbranch_execz .LBB34_25
; %bb.18:
	v_or_b32_e32 v12, s16, v15
	v_mov_b32_e32 v13, 0
	v_lshlrev_b64 v[14:15], 2, v[12:13]
	v_mov_b32_e32 v12, s15
	v_add_co_u32_e64 v16, s[0:1], s14, v14
	v_addc_co_u32_e64 v17, s[0:1], v12, v15, s[0:1]
	v_mov_b32_e32 v12, s21
	v_add_co_u32_e64 v14, s[0:1], s20, v14
	v_addc_co_u32_e64 v15, s[0:1], v12, v15, s[0:1]
	global_load_dword v34, v[16:17], off
	global_load_dword v12, v[14:15], off
	v_or_b32_e32 v15, 0xd00, v0
	v_cmp_gt_u32_e64 s[0:1], s18, v15
	s_mov_b64 s[42:43], 0
	v_mov_b32_e32 v35, v13
	v_mov_b32_e32 v14, v13
	;; [unrolled: 1-line block ×3, first 2 shown]
	s_and_saveexec_b64 s[40:41], s[0:1]
	s_cbranch_execz .LBB34_24
; %bb.19:
	v_add_u32_e32 v13, s16, v15
	v_mov_b32_e32 v14, 0
	v_lshlrev_b64 v[15:16], 2, v[13:14]
	v_mov_b32_e32 v13, s15
	v_add_co_u32_e64 v17, s[0:1], s14, v15
	v_addc_co_u32_e64 v18, s[0:1], v13, v16, s[0:1]
	v_mov_b32_e32 v13, s21
	v_add_co_u32_e64 v15, s[0:1], s20, v15
	v_addc_co_u32_e64 v16, s[0:1], v13, v16, s[0:1]
	global_load_dword v35, v[17:18], off
	global_load_dword v13, v[15:16], off
	v_or_b32_e32 v15, 0xe00, v0
	v_cmp_gt_u32_e64 s[0:1], s18, v15
	s_mov_b64 s[44:45], 0
	v_mov_b32_e32 v36, v14
	s_and_saveexec_b64 s[42:43], s[0:1]
	s_cbranch_execz .LBB34_23
; %bb.20:
	v_add_u32_e32 v15, s16, v15
	v_mov_b32_e32 v16, 0
	v_lshlrev_b64 v[14:15], 2, v[15:16]
	v_mov_b32_e32 v18, s15
	v_add_co_u32_e64 v17, s[0:1], s14, v14
	v_addc_co_u32_e64 v18, s[0:1], v18, v15, s[0:1]
	global_load_dword v36, v[17:18], off
	v_mov_b32_e32 v17, s21
	v_add_co_u32_e64 v14, s[0:1], s20, v14
	v_addc_co_u32_e64 v15, s[0:1], v17, v15, s[0:1]
	global_load_dword v14, v[14:15], off
	v_or_b32_e32 v15, 0xf00, v0
	v_cmp_gt_u32_e64 s[0:1], s18, v15
	s_mov_b64 s[46:47], 0
	s_and_saveexec_b64 s[44:45], s[0:1]
	s_cbranch_execz .LBB34_22
; %bb.21:
	v_add_u32_e32 v15, s16, v15
	v_lshlrev_b64 v[15:16], 2, v[15:16]
	v_mov_b32_e32 v18, s21
	v_add_co_u32_e64 v17, s[0:1], s20, v15
	v_addc_co_u32_e64 v18, s[0:1], v18, v16, s[0:1]
	v_mov_b32_e32 v37, s15
	v_add_co_u32_e64 v15, s[0:1], s14, v15
	v_addc_co_u32_e64 v16, s[0:1], v37, v16, s[0:1]
	global_load_dword v37, v[15:16], off
	global_load_dword v38, v[17:18], off
	s_waitcnt vmcnt(0)
	v_cmp_ne_u32_e64 s[0:1], v37, v38
	s_and_b64 s[46:47], s[0:1], exec
.LBB34_22:
	s_or_b64 exec, exec, s[44:45]
	s_and_b64 s[44:45], s[46:47], exec
.LBB34_23:
	s_or_b64 exec, exec, s[42:43]
	s_and_b64 s[42:43], s[44:45], exec
.LBB34_24:
	s_or_b64 exec, exec, s[40:41]
	s_and_b64 s[40:41], s[42:43], exec
.LBB34_25:
	s_or_b64 exec, exec, s[38:39]
	s_and_b64 s[38:39], s[40:41], exec
.LBB34_26:
	s_or_b64 exec, exec, s[36:37]
	s_and_b64 s[36:37], s[38:39], exec
.LBB34_27:
	s_or_b64 exec, exec, s[34:35]
	s_and_b64 s[34:35], s[36:37], exec
.LBB34_28:
	s_or_b64 exec, exec, s[30:31]
	s_and_b64 s[30:31], s[34:35], exec
.LBB34_29:
	s_or_b64 exec, exec, s[28:29]
	s_and_b64 s[28:29], s[30:31], exec
.LBB34_30:
	s_or_b64 exec, exec, s[26:27]
	s_and_b64 s[26:27], s[28:29], exec
.LBB34_31:
	s_or_b64 exec, exec, s[24:25]
	s_and_b64 s[24:25], s[26:27], exec
.LBB34_32:
	s_or_b64 exec, exec, s[22:23]
	s_and_b64 s[22:23], s[24:25], exec
.LBB34_33:
	s_or_b64 exec, exec, s[10:11]
	s_and_b64 s[10:11], s[22:23], exec
.LBB34_34:
	s_or_b64 exec, exec, s[8:9]
	s_and_b64 s[8:9], s[10:11], exec
.LBB34_35:
	s_or_b64 exec, exec, s[6:7]
	s_and_b64 s[6:7], s[8:9], exec
.LBB34_36:
	s_or_b64 exec, exec, s[4:5]
	s_and_b64 s[0:1], s[6:7], exec
.LBB34_37:
	s_or_b64 exec, exec, s[2:3]
	s_cmp_eq_u32 s19, 0
	s_cselect_b64 s[2:3], -1, 0
	s_and_saveexec_b64 s[4:5], vcc
	s_cbranch_execnz .LBB34_55
; %bb.38:
	s_or_b64 exec, exec, s[4:5]
	v_cmp_gt_i32_e32 vcc, s18, v0
	s_and_saveexec_b64 s[4:5], vcc
	s_cbranch_execnz .LBB34_56
.LBB34_39:
	s_or_b64 exec, exec, s[4:5]
	v_cmp_gt_i32_e32 vcc, s18, v0
	s_and_saveexec_b64 s[4:5], vcc
	s_cbranch_execnz .LBB34_57
.LBB34_40:
	s_or_b64 exec, exec, s[4:5]
	v_cmp_gt_i32_e32 vcc, s18, v0
	s_and_saveexec_b64 s[4:5], vcc
	s_cbranch_execnz .LBB34_58
.LBB34_41:
	s_or_b64 exec, exec, s[4:5]
	v_cmp_gt_i32_e32 vcc, s18, v0
	s_and_saveexec_b64 s[4:5], vcc
	s_cbranch_execnz .LBB34_59
.LBB34_42:
	s_or_b64 exec, exec, s[4:5]
	v_cmp_gt_i32_e32 vcc, s18, v0
	s_and_saveexec_b64 s[4:5], vcc
	s_cbranch_execnz .LBB34_60
.LBB34_43:
	s_or_b64 exec, exec, s[4:5]
	v_cmp_gt_i32_e32 vcc, s18, v0
	s_and_saveexec_b64 s[4:5], vcc
	s_cbranch_execnz .LBB34_61
.LBB34_44:
	s_or_b64 exec, exec, s[4:5]
	v_cmp_gt_i32_e32 vcc, s18, v0
	s_and_saveexec_b64 s[4:5], vcc
	s_cbranch_execnz .LBB34_62
.LBB34_45:
	s_or_b64 exec, exec, s[4:5]
	v_cmp_gt_i32_e32 vcc, s18, v0
	s_and_saveexec_b64 s[4:5], vcc
	s_cbranch_execnz .LBB34_63
.LBB34_46:
	s_or_b64 exec, exec, s[4:5]
	v_cmp_gt_i32_e32 vcc, s18, v0
	s_and_saveexec_b64 s[4:5], vcc
	s_cbranch_execnz .LBB34_64
.LBB34_47:
	s_or_b64 exec, exec, s[4:5]
	v_cmp_gt_i32_e32 vcc, s18, v0
	s_and_saveexec_b64 s[4:5], vcc
	s_cbranch_execnz .LBB34_65
.LBB34_48:
	s_or_b64 exec, exec, s[4:5]
	v_cmp_gt_i32_e32 vcc, s18, v0
	s_and_saveexec_b64 s[4:5], vcc
	s_cbranch_execnz .LBB34_66
.LBB34_49:
	s_or_b64 exec, exec, s[4:5]
	v_cmp_gt_i32_e32 vcc, s18, v0
	s_and_saveexec_b64 s[4:5], vcc
	s_cbranch_execnz .LBB34_67
.LBB34_50:
	s_or_b64 exec, exec, s[4:5]
	v_cmp_gt_i32_e32 vcc, s18, v0
	s_and_saveexec_b64 s[4:5], vcc
	s_cbranch_execnz .LBB34_68
.LBB34_51:
	s_or_b64 exec, exec, s[4:5]
	v_cmp_gt_i32_e32 vcc, s18, v0
	s_and_saveexec_b64 s[4:5], vcc
	s_cbranch_execnz .LBB34_69
.LBB34_52:
	s_or_b64 exec, exec, s[4:5]
	v_cmp_gt_i32_e32 vcc, s18, v0
	s_and_saveexec_b64 s[4:5], vcc
	s_cbranch_execz .LBB34_54
.LBB34_53:
	s_xor_b64 s[0:1], s[2:3], s[0:1]
	v_cndmask_b32_e64 v1, 0, 1, s[0:1]
	v_add_u32_e32 v0, s16, v0
	global_store_byte v0, v1, s[12:13]
.LBB34_54:
	s_endpgm
.LBB34_55:
	s_waitcnt vmcnt(0)
	v_cmp_ne_u32_e32 vcc, v22, v26
	s_xor_b64 s[6:7], s[2:3], vcc
	v_cndmask_b32_e64 v0, 0, 1, s[6:7]
	global_store_byte v1, v0, s[12:13]
	v_mov_b32_e32 v0, v19
	s_or_b64 exec, exec, s[4:5]
	v_cmp_gt_i32_e32 vcc, s18, v0
	s_and_saveexec_b64 s[4:5], vcc
	s_cbranch_execz .LBB34_39
.LBB34_56:
	s_waitcnt vmcnt(0)
	v_cmp_ne_u32_e32 vcc, v25, v2
	s_xor_b64 s[6:7], s[2:3], vcc
	v_cndmask_b32_e64 v1, 0, 1, s[6:7]
	v_add_u32_e32 v2, s16, v0
	v_add_u32_e32 v0, 0x100, v0
	global_store_byte v2, v1, s[12:13]
	s_or_b64 exec, exec, s[4:5]
	v_cmp_gt_i32_e32 vcc, s18, v0
	s_and_saveexec_b64 s[4:5], vcc
	s_cbranch_execz .LBB34_40
.LBB34_57:
	s_waitcnt vmcnt(0)
	v_cmp_ne_u32_e32 vcc, v23, v3
	s_xor_b64 s[6:7], s[2:3], vcc
	v_cndmask_b32_e64 v1, 0, 1, s[6:7]
	v_add_u32_e32 v2, s16, v0
	v_add_u32_e32 v0, 0x100, v0
	global_store_byte v2, v1, s[12:13]
	s_or_b64 exec, exec, s[4:5]
	v_cmp_gt_i32_e32 vcc, s18, v0
	s_and_saveexec_b64 s[4:5], vcc
	s_cbranch_execz .LBB34_41
.LBB34_58:
	s_waitcnt vmcnt(0)
	v_cmp_ne_u32_e32 vcc, v21, v20
	s_xor_b64 s[6:7], s[2:3], vcc
	v_cndmask_b32_e64 v1, 0, 1, s[6:7]
	v_add_u32_e32 v2, s16, v0
	v_add_u32_e32 v0, 0x100, v0
	global_store_byte v2, v1, s[12:13]
	s_or_b64 exec, exec, s[4:5]
	v_cmp_gt_i32_e32 vcc, s18, v0
	s_and_saveexec_b64 s[4:5], vcc
	s_cbranch_execz .LBB34_42
.LBB34_59:
	s_waitcnt vmcnt(0)
	v_cmp_ne_u32_e32 vcc, v4, v24
	s_xor_b64 s[6:7], s[2:3], vcc
	v_cndmask_b32_e64 v1, 0, 1, s[6:7]
	v_add_u32_e32 v2, s16, v0
	v_add_u32_e32 v0, 0x100, v0
	global_store_byte v2, v1, s[12:13]
	s_or_b64 exec, exec, s[4:5]
	v_cmp_gt_i32_e32 vcc, s18, v0
	s_and_saveexec_b64 s[4:5], vcc
	s_cbranch_execz .LBB34_43
.LBB34_60:
	s_waitcnt vmcnt(0)
	v_cmp_ne_u32_e32 vcc, v27, v5
	s_xor_b64 s[6:7], s[2:3], vcc
	v_cndmask_b32_e64 v1, 0, 1, s[6:7]
	v_add_u32_e32 v2, s16, v0
	v_add_u32_e32 v0, 0x100, v0
	global_store_byte v2, v1, s[12:13]
	s_or_b64 exec, exec, s[4:5]
	v_cmp_gt_i32_e32 vcc, s18, v0
	s_and_saveexec_b64 s[4:5], vcc
	s_cbranch_execz .LBB34_44
.LBB34_61:
	s_waitcnt vmcnt(0)
	v_cmp_ne_u32_e32 vcc, v28, v6
	s_xor_b64 s[6:7], s[2:3], vcc
	v_cndmask_b32_e64 v1, 0, 1, s[6:7]
	v_add_u32_e32 v2, s16, v0
	v_add_u32_e32 v0, 0x100, v0
	global_store_byte v2, v1, s[12:13]
	s_or_b64 exec, exec, s[4:5]
	v_cmp_gt_i32_e32 vcc, s18, v0
	s_and_saveexec_b64 s[4:5], vcc
	s_cbranch_execz .LBB34_45
.LBB34_62:
	s_waitcnt vmcnt(0)
	v_cmp_ne_u32_e32 vcc, v29, v7
	s_xor_b64 s[6:7], s[2:3], vcc
	v_cndmask_b32_e64 v1, 0, 1, s[6:7]
	v_add_u32_e32 v2, s16, v0
	v_add_u32_e32 v0, 0x100, v0
	global_store_byte v2, v1, s[12:13]
	s_or_b64 exec, exec, s[4:5]
	v_cmp_gt_i32_e32 vcc, s18, v0
	s_and_saveexec_b64 s[4:5], vcc
	s_cbranch_execz .LBB34_46
.LBB34_63:
	s_waitcnt vmcnt(0)
	v_cmp_ne_u32_e32 vcc, v30, v8
	s_xor_b64 s[6:7], s[2:3], vcc
	v_cndmask_b32_e64 v1, 0, 1, s[6:7]
	v_add_u32_e32 v2, s16, v0
	v_add_u32_e32 v0, 0x100, v0
	global_store_byte v2, v1, s[12:13]
	s_or_b64 exec, exec, s[4:5]
	v_cmp_gt_i32_e32 vcc, s18, v0
	s_and_saveexec_b64 s[4:5], vcc
	s_cbranch_execz .LBB34_47
.LBB34_64:
	s_waitcnt vmcnt(0)
	v_cmp_ne_u32_e32 vcc, v31, v9
	s_xor_b64 s[6:7], s[2:3], vcc
	v_cndmask_b32_e64 v1, 0, 1, s[6:7]
	v_add_u32_e32 v2, s16, v0
	v_add_u32_e32 v0, 0x100, v0
	global_store_byte v2, v1, s[12:13]
	s_or_b64 exec, exec, s[4:5]
	v_cmp_gt_i32_e32 vcc, s18, v0
	s_and_saveexec_b64 s[4:5], vcc
	s_cbranch_execz .LBB34_48
.LBB34_65:
	s_waitcnt vmcnt(0)
	v_cmp_ne_u32_e32 vcc, v32, v10
	s_xor_b64 s[6:7], s[2:3], vcc
	v_cndmask_b32_e64 v1, 0, 1, s[6:7]
	v_add_u32_e32 v2, s16, v0
	v_add_u32_e32 v0, 0x100, v0
	global_store_byte v2, v1, s[12:13]
	s_or_b64 exec, exec, s[4:5]
	v_cmp_gt_i32_e32 vcc, s18, v0
	s_and_saveexec_b64 s[4:5], vcc
	s_cbranch_execz .LBB34_49
.LBB34_66:
	s_waitcnt vmcnt(0)
	v_cmp_ne_u32_e32 vcc, v33, v11
	s_xor_b64 s[6:7], s[2:3], vcc
	v_cndmask_b32_e64 v1, 0, 1, s[6:7]
	v_add_u32_e32 v2, s16, v0
	v_add_u32_e32 v0, 0x100, v0
	global_store_byte v2, v1, s[12:13]
	s_or_b64 exec, exec, s[4:5]
	v_cmp_gt_i32_e32 vcc, s18, v0
	s_and_saveexec_b64 s[4:5], vcc
	s_cbranch_execz .LBB34_50
.LBB34_67:
	s_waitcnt vmcnt(0)
	v_cmp_ne_u32_e32 vcc, v34, v12
	s_xor_b64 s[6:7], s[2:3], vcc
	v_cndmask_b32_e64 v1, 0, 1, s[6:7]
	v_add_u32_e32 v2, s16, v0
	v_add_u32_e32 v0, 0x100, v0
	global_store_byte v2, v1, s[12:13]
	s_or_b64 exec, exec, s[4:5]
	v_cmp_gt_i32_e32 vcc, s18, v0
	s_and_saveexec_b64 s[4:5], vcc
	s_cbranch_execz .LBB34_51
.LBB34_68:
	s_waitcnt vmcnt(0)
	v_cmp_ne_u32_e32 vcc, v35, v13
	s_xor_b64 s[6:7], s[2:3], vcc
	v_cndmask_b32_e64 v1, 0, 1, s[6:7]
	v_add_u32_e32 v2, s16, v0
	v_add_u32_e32 v0, 0x100, v0
	global_store_byte v2, v1, s[12:13]
	s_or_b64 exec, exec, s[4:5]
	v_cmp_gt_i32_e32 vcc, s18, v0
	s_and_saveexec_b64 s[4:5], vcc
	s_cbranch_execz .LBB34_52
.LBB34_69:
	s_waitcnt vmcnt(0)
	v_cmp_ne_u32_e32 vcc, v36, v14
	s_xor_b64 s[6:7], s[2:3], vcc
	v_cndmask_b32_e64 v1, 0, 1, s[6:7]
	v_add_u32_e32 v2, s16, v0
	v_add_u32_e32 v0, 0x100, v0
	global_store_byte v2, v1, s[12:13]
	s_or_b64 exec, exec, s[4:5]
	v_cmp_gt_i32_e32 vcc, s18, v0
	s_and_saveexec_b64 s[4:5], vcc
	s_cbranch_execnz .LBB34_53
	s_branch .LBB34_54
	.section	.rodata,"a",@progbits
	.p2align	6, 0x0
	.amdhsa_kernel _ZN2at6native29vectorized_elementwise_kernelILi4ENS0_13BinaryFunctorIiibNS0_12_GLOBAL__N_116CompareEqFunctorIiEEEESt5arrayIPcLm3EEEEviT0_T1_
		.amdhsa_group_segment_fixed_size 0
		.amdhsa_private_segment_fixed_size 0
		.amdhsa_kernarg_size 32
		.amdhsa_user_sgpr_count 6
		.amdhsa_user_sgpr_private_segment_buffer 1
		.amdhsa_user_sgpr_dispatch_ptr 0
		.amdhsa_user_sgpr_queue_ptr 0
		.amdhsa_user_sgpr_kernarg_segment_ptr 1
		.amdhsa_user_sgpr_dispatch_id 0
		.amdhsa_user_sgpr_flat_scratch_init 0
		.amdhsa_user_sgpr_private_segment_size 0
		.amdhsa_uses_dynamic_stack 0
		.amdhsa_system_sgpr_private_segment_wavefront_offset 0
		.amdhsa_system_sgpr_workgroup_id_x 1
		.amdhsa_system_sgpr_workgroup_id_y 0
		.amdhsa_system_sgpr_workgroup_id_z 0
		.amdhsa_system_sgpr_workgroup_info 0
		.amdhsa_system_vgpr_workitem_id 0
		.amdhsa_next_free_vgpr 39
		.amdhsa_next_free_sgpr 48
		.amdhsa_reserve_vcc 1
		.amdhsa_reserve_flat_scratch 0
		.amdhsa_float_round_mode_32 0
		.amdhsa_float_round_mode_16_64 0
		.amdhsa_float_denorm_mode_32 3
		.amdhsa_float_denorm_mode_16_64 3
		.amdhsa_dx10_clamp 1
		.amdhsa_ieee_mode 1
		.amdhsa_fp16_overflow 0
		.amdhsa_exception_fp_ieee_invalid_op 0
		.amdhsa_exception_fp_denorm_src 0
		.amdhsa_exception_fp_ieee_div_zero 0
		.amdhsa_exception_fp_ieee_overflow 0
		.amdhsa_exception_fp_ieee_underflow 0
		.amdhsa_exception_fp_ieee_inexact 0
		.amdhsa_exception_int_div_zero 0
	.end_amdhsa_kernel
	.section	.text._ZN2at6native29vectorized_elementwise_kernelILi4ENS0_13BinaryFunctorIiibNS0_12_GLOBAL__N_116CompareEqFunctorIiEEEESt5arrayIPcLm3EEEEviT0_T1_,"axG",@progbits,_ZN2at6native29vectorized_elementwise_kernelILi4ENS0_13BinaryFunctorIiibNS0_12_GLOBAL__N_116CompareEqFunctorIiEEEESt5arrayIPcLm3EEEEviT0_T1_,comdat
.Lfunc_end34:
	.size	_ZN2at6native29vectorized_elementwise_kernelILi4ENS0_13BinaryFunctorIiibNS0_12_GLOBAL__N_116CompareEqFunctorIiEEEESt5arrayIPcLm3EEEEviT0_T1_, .Lfunc_end34-_ZN2at6native29vectorized_elementwise_kernelILi4ENS0_13BinaryFunctorIiibNS0_12_GLOBAL__N_116CompareEqFunctorIiEEEESt5arrayIPcLm3EEEEviT0_T1_
                                        ; -- End function
	.set _ZN2at6native29vectorized_elementwise_kernelILi4ENS0_13BinaryFunctorIiibNS0_12_GLOBAL__N_116CompareEqFunctorIiEEEESt5arrayIPcLm3EEEEviT0_T1_.num_vgpr, 39
	.set _ZN2at6native29vectorized_elementwise_kernelILi4ENS0_13BinaryFunctorIiibNS0_12_GLOBAL__N_116CompareEqFunctorIiEEEESt5arrayIPcLm3EEEEviT0_T1_.num_agpr, 0
	.set _ZN2at6native29vectorized_elementwise_kernelILi4ENS0_13BinaryFunctorIiibNS0_12_GLOBAL__N_116CompareEqFunctorIiEEEESt5arrayIPcLm3EEEEviT0_T1_.numbered_sgpr, 48
	.set _ZN2at6native29vectorized_elementwise_kernelILi4ENS0_13BinaryFunctorIiibNS0_12_GLOBAL__N_116CompareEqFunctorIiEEEESt5arrayIPcLm3EEEEviT0_T1_.num_named_barrier, 0
	.set _ZN2at6native29vectorized_elementwise_kernelILi4ENS0_13BinaryFunctorIiibNS0_12_GLOBAL__N_116CompareEqFunctorIiEEEESt5arrayIPcLm3EEEEviT0_T1_.private_seg_size, 0
	.set _ZN2at6native29vectorized_elementwise_kernelILi4ENS0_13BinaryFunctorIiibNS0_12_GLOBAL__N_116CompareEqFunctorIiEEEESt5arrayIPcLm3EEEEviT0_T1_.uses_vcc, 1
	.set _ZN2at6native29vectorized_elementwise_kernelILi4ENS0_13BinaryFunctorIiibNS0_12_GLOBAL__N_116CompareEqFunctorIiEEEESt5arrayIPcLm3EEEEviT0_T1_.uses_flat_scratch, 0
	.set _ZN2at6native29vectorized_elementwise_kernelILi4ENS0_13BinaryFunctorIiibNS0_12_GLOBAL__N_116CompareEqFunctorIiEEEESt5arrayIPcLm3EEEEviT0_T1_.has_dyn_sized_stack, 0
	.set _ZN2at6native29vectorized_elementwise_kernelILi4ENS0_13BinaryFunctorIiibNS0_12_GLOBAL__N_116CompareEqFunctorIiEEEESt5arrayIPcLm3EEEEviT0_T1_.has_recursion, 0
	.set _ZN2at6native29vectorized_elementwise_kernelILi4ENS0_13BinaryFunctorIiibNS0_12_GLOBAL__N_116CompareEqFunctorIiEEEESt5arrayIPcLm3EEEEviT0_T1_.has_indirect_call, 0
	.section	.AMDGPU.csdata,"",@progbits
; Kernel info:
; codeLenInByte = 4320
; TotalNumSgprs: 52
; NumVgprs: 39
; ScratchSize: 0
; MemoryBound: 0
; FloatMode: 240
; IeeeMode: 1
; LDSByteSize: 0 bytes/workgroup (compile time only)
; SGPRBlocks: 6
; VGPRBlocks: 9
; NumSGPRsForWavesPerEU: 52
; NumVGPRsForWavesPerEU: 39
; Occupancy: 6
; WaveLimiterHint : 1
; COMPUTE_PGM_RSRC2:SCRATCH_EN: 0
; COMPUTE_PGM_RSRC2:USER_SGPR: 6
; COMPUTE_PGM_RSRC2:TRAP_HANDLER: 0
; COMPUTE_PGM_RSRC2:TGID_X_EN: 1
; COMPUTE_PGM_RSRC2:TGID_Y_EN: 0
; COMPUTE_PGM_RSRC2:TGID_Z_EN: 0
; COMPUTE_PGM_RSRC2:TIDIG_COMP_CNT: 0
	.section	.text._ZN2at6native29vectorized_elementwise_kernelILi2ENS0_13BinaryFunctorIiibNS0_12_GLOBAL__N_116CompareEqFunctorIiEEEESt5arrayIPcLm3EEEEviT0_T1_,"axG",@progbits,_ZN2at6native29vectorized_elementwise_kernelILi2ENS0_13BinaryFunctorIiibNS0_12_GLOBAL__N_116CompareEqFunctorIiEEEESt5arrayIPcLm3EEEEviT0_T1_,comdat
	.globl	_ZN2at6native29vectorized_elementwise_kernelILi2ENS0_13BinaryFunctorIiibNS0_12_GLOBAL__N_116CompareEqFunctorIiEEEESt5arrayIPcLm3EEEEviT0_T1_ ; -- Begin function _ZN2at6native29vectorized_elementwise_kernelILi2ENS0_13BinaryFunctorIiibNS0_12_GLOBAL__N_116CompareEqFunctorIiEEEESt5arrayIPcLm3EEEEviT0_T1_
	.p2align	8
	.type	_ZN2at6native29vectorized_elementwise_kernelILi2ENS0_13BinaryFunctorIiibNS0_12_GLOBAL__N_116CompareEqFunctorIiEEEESt5arrayIPcLm3EEEEviT0_T1_,@function
_ZN2at6native29vectorized_elementwise_kernelILi2ENS0_13BinaryFunctorIiibNS0_12_GLOBAL__N_116CompareEqFunctorIiEEEESt5arrayIPcLm3EEEEviT0_T1_: ; @_ZN2at6native29vectorized_elementwise_kernelILi2ENS0_13BinaryFunctorIiibNS0_12_GLOBAL__N_116CompareEqFunctorIiEEEESt5arrayIPcLm3EEEEviT0_T1_
; %bb.0:
	s_load_dwordx2 s[12:13], s[4:5], 0x0
	s_load_dwordx4 s[8:11], s[4:5], 0x8
	s_load_dwordx2 s[16:17], s[4:5], 0x18
	s_lshl_b32 s6, s6, 12
	s_mov_b64 s[0:1], -1
	s_waitcnt lgkmcnt(0)
	s_sub_i32 s12, s12, s6
	s_cmpk_gt_i32 s12, 0xfff
	s_cbranch_scc0 .LBB35_2
; %bb.1:
	s_ashr_i32 s7, s6, 31
	s_lshl_b64 s[2:3], s[6:7], 2
	s_add_u32 s4, s10, s2
	s_addc_u32 s5, s11, s3
	v_lshlrev_b32_e32 v8, 3, v0
	v_mov_b32_e32 v1, s5
	v_add_co_u32_e32 v7, vcc, s4, v8
	v_addc_co_u32_e32 v29, vcc, 0, v1, vcc
	v_add_co_u32_e32 v1, vcc, 0x1000, v7
	s_add_u32 s2, s16, s2
	v_addc_co_u32_e32 v2, vcc, 0, v29, vcc
	s_addc_u32 s3, s17, s3
	global_load_dwordx2 v[3:4], v[1:2], off
	global_load_dwordx2 v[5:6], v[1:2], off offset:2048
	v_add_co_u32_e32 v1, vcc, 0x2000, v7
	v_mov_b32_e32 v2, s3
	global_load_dwordx2 v[9:10], v8, s[4:5]
	global_load_dwordx2 v[11:12], v8, s[4:5] offset:2048
	global_load_dwordx2 v[13:14], v8, s[2:3]
	global_load_dwordx2 v[15:16], v8, s[2:3] offset:2048
	v_add_co_u32_e64 v30, s[2:3], s2, v8
	s_movk_i32 s14, 0x1000
	s_mov_b64 s[0:1], vcc
	v_add_co_u32_e32 v7, vcc, 0x3000, v7
	v_addc_co_u32_e64 v31, s[2:3], 0, v2, s[2:3]
	s_mov_b64 s[2:3], vcc
	v_add_co_u32_e32 v17, vcc, s14, v30
	s_movk_i32 s15, 0x2000
	v_addc_co_u32_e32 v18, vcc, 0, v31, vcc
	v_add_co_u32_e32 v19, vcc, s15, v30
	v_addc_co_u32_e32 v20, vcc, 0, v31, vcc
	global_load_dwordx2 v[17:18], v[17:18], off offset:2048
	v_addc_co_u32_e64 v2, vcc, 0, v29, s[0:1]
	global_load_dwordx2 v[21:22], v[19:20], off offset:-4096
	global_load_dwordx2 v[23:24], v[19:20], off
	global_load_dwordx2 v[25:26], v[1:2], off
	global_load_dwordx2 v[27:28], v[1:2], off offset:2048
	s_movk_i32 s0, 0x3000
	global_load_dwordx2 v[1:2], v[19:20], off offset:2048
	v_addc_co_u32_e64 v8, vcc, 0, v29, s[2:3]
	v_add_co_u32_e32 v19, vcc, s0, v30
	v_addc_co_u32_e32 v20, vcc, 0, v31, vcc
	global_load_dwordx2 v[29:30], v[19:20], off
	global_load_dwordx2 v[31:32], v[7:8], off
	global_load_dwordx2 v[33:34], v[7:8], off offset:2048
	global_load_dwordx2 v[35:36], v[19:20], off offset:2048
	s_cmp_eq_u32 s13, 0
	s_cselect_b64 s[14:15], -1, 0
	v_mov_b32_e32 v7, 0x100
	s_waitcnt vmcnt(11)
	v_cmp_ne_u32_e32 vcc, v9, v13
	v_cmp_ne_u32_e64 s[0:1], v10, v14
	s_waitcnt vmcnt(10)
	v_cmp_ne_u32_e64 s[4:5], v12, v16
	s_xor_b64 s[18:19], s[14:15], vcc
	s_xor_b64 vcc, s[14:15], s[0:1]
	v_cmp_ne_u32_e64 s[2:3], v11, v15
	v_cndmask_b32_e32 v9, 0, v7, vcc
	s_xor_b64 vcc, s[14:15], s[4:5]
	s_xor_b64 s[0:1], s[14:15], s[2:3]
	v_cndmask_b32_e32 v11, 0, v7, vcc
	v_cndmask_b32_e64 v8, 0, 1, s[18:19]
	v_cndmask_b32_e64 v10, 0, 1, s[0:1]
	v_or_b32_e32 v8, v9, v8
	v_or_b32_e32 v9, v11, v10
	s_waitcnt vmcnt(9)
	v_cmp_ne_u32_e32 vcc, v5, v17
	v_cmp_ne_u32_e64 s[0:1], v6, v18
	s_xor_b64 s[18:19], s[14:15], vcc
	s_waitcnt vmcnt(8)
	v_cmp_ne_u32_e64 s[2:3], v3, v21
	v_cmp_ne_u32_e64 s[4:5], v4, v22
	s_xor_b64 s[2:3], s[14:15], s[2:3]
	s_xor_b64 vcc, s[14:15], s[4:5]
	v_cndmask_b32_e64 v4, 0, 1, s[2:3]
	v_cndmask_b32_e32 v5, 0, v7, vcc
	s_xor_b64 vcc, s[14:15], s[0:1]
	v_or_b32_e32 v4, v5, v4
	v_cndmask_b32_e32 v5, 0, v7, vcc
	s_waitcnt vmcnt(6)
	v_cmp_ne_u32_e32 vcc, v25, v23
	s_xor_b64 s[0:1], s[14:15], vcc
	v_cmp_ne_u32_e32 vcc, v26, v24
	s_xor_b64 vcc, s[14:15], vcc
	v_cndmask_b32_e64 v3, 0, 1, s[18:19]
	v_cndmask_b32_e32 v6, 0, v7, vcc
	s_waitcnt vmcnt(4)
	v_cmp_ne_u32_e32 vcc, v27, v1
	v_or_b32_e32 v3, v5, v3
	v_cndmask_b32_e64 v5, 0, 1, s[0:1]
	s_xor_b64 s[0:1], s[14:15], vcc
	v_cmp_ne_u32_e32 vcc, v28, v2
	s_xor_b64 vcc, s[14:15], vcc
	v_cndmask_b32_e32 v2, 0, v7, vcc
	s_waitcnt vmcnt(2)
	v_cmp_ne_u32_e32 vcc, v31, v29
	v_cndmask_b32_e64 v1, 0, 1, s[0:1]
	s_xor_b64 s[0:1], s[14:15], vcc
	v_cmp_ne_u32_e32 vcc, v32, v30
	s_xor_b64 vcc, s[14:15], vcc
	v_or_b32_e32 v5, v6, v5
	v_cndmask_b32_e32 v6, 0, v7, vcc
	s_waitcnt vmcnt(0)
	v_cmp_ne_u32_e32 vcc, v33, v35
	v_or_b32_e32 v1, v2, v1
	v_cndmask_b32_e64 v2, 0, 1, s[0:1]
	s_xor_b64 s[0:1], s[14:15], vcc
	v_cmp_ne_u32_e32 vcc, v34, v36
	s_xor_b64 vcc, s[14:15], vcc
	v_or_b32_e32 v2, v6, v2
	v_cndmask_b32_e64 v6, 0, 1, s[0:1]
	v_cndmask_b32_e32 v7, 0, v7, vcc
	s_add_u32 s0, s8, s6
	v_or_b32_e32 v6, v7, v6
	s_addc_u32 s1, s9, s7
	v_lshlrev_b32_e32 v7, 1, v0
	global_store_short v7, v8, s[0:1]
	global_store_short v7, v9, s[0:1] offset:512
	global_store_short v7, v4, s[0:1] offset:1024
	;; [unrolled: 1-line block ×7, first 2 shown]
	s_mov_b64 s[0:1], 0
.LBB35_2:
	s_andn2_b64 vcc, exec, s[0:1]
	s_cbranch_vccnz .LBB35_54
; %bb.3:
	v_cmp_gt_i32_e32 vcc, s12, v0
	v_cmp_le_i32_e64 s[0:1], s12, v0
                                        ; implicit-def: $vgpr19
	s_and_saveexec_b64 s[2:3], s[0:1]
	s_xor_b64 s[0:1], exec, s[2:3]
; %bb.4:
	v_or_b32_e32 v19, 0x100, v0
; %bb.5:
	s_or_saveexec_b64 s[2:3], s[0:1]
	v_mov_b32_e32 v36, 0
	s_mov_b64 s[0:1], 0
	v_or_b32_e32 v1, s6, v0
	v_mov_b32_e32 v35, 0
	v_mov_b32_e32 v34, 0
	;; [unrolled: 1-line block ×29, first 2 shown]
	s_xor_b64 exec, exec, s[2:3]
	s_cbranch_execz .LBB35_37
; %bb.6:
	v_mov_b32_e32 v2, 0
	v_lshlrev_b64 v[3:4], 2, v[1:2]
	v_mov_b32_e32 v6, s11
	v_add_co_u32_e64 v5, s[0:1], s10, v3
	v_addc_co_u32_e64 v6, s[0:1], v6, v4, s[0:1]
	global_load_dword v22, v[5:6], off
	v_mov_b32_e32 v5, s17
	v_add_co_u32_e64 v3, s[0:1], s16, v3
	v_addc_co_u32_e64 v4, s[0:1], v5, v4, s[0:1]
	global_load_dword v26, v[3:4], off
	v_or_b32_e32 v19, 0x100, v0
	v_cmp_gt_u32_e64 s[0:1], s12, v19
	s_mov_b64 s[14:15], 0
	v_mov_b32_e32 v25, v2
	v_mov_b32_e32 v3, v2
	;; [unrolled: 1-line block ×27, first 2 shown]
	s_and_saveexec_b64 s[4:5], s[0:1]
	s_cbranch_execz .LBB35_36
; %bb.7:
	v_add_u32_e32 v2, s6, v0
	v_mov_b32_e32 v3, 0
	v_lshlrev_b64 v[4:5], 2, v[2:3]
	v_mov_b32_e32 v2, s11
	v_add_co_u32_e64 v15, s[0:1], s10, v4
	v_addc_co_u32_e64 v16, s[0:1], v2, v5, s[0:1]
	v_mov_b32_e32 v2, s17
	v_add_co_u32_e64 v17, s[0:1], s16, v4
	v_addc_co_u32_e64 v18, s[0:1], v2, v5, s[0:1]
	global_load_dword v25, v[15:16], off offset:1024
	global_load_dword v2, v[17:18], off offset:1024
	v_or_b32_e32 v4, 0x200, v0
	v_cmp_gt_u32_e64 s[0:1], s12, v4
	s_mov_b64 s[18:19], 0
	v_mov_b32_e32 v23, v3
	v_mov_b32_e32 v20, v3
	;; [unrolled: 1-line block ×25, first 2 shown]
	s_and_saveexec_b64 s[14:15], s[0:1]
	s_cbranch_execz .LBB35_35
; %bb.8:
	global_load_dword v23, v[15:16], off offset:2048
	global_load_dword v3, v[17:18], off offset:2048
	v_or_b32_e32 v4, 0x300, v0
	v_cmp_gt_u32_e64 s[0:1], s12, v4
	s_mov_b64 s[20:21], 0
	v_mov_b32_e32 v20, 0
	v_mov_b32_e32 v21, 0
	;; [unrolled: 1-line block ×24, first 2 shown]
	s_and_saveexec_b64 s[18:19], s[0:1]
	s_cbranch_execz .LBB35_34
; %bb.9:
	global_load_dword v21, v[15:16], off offset:3072
	global_load_dword v20, v[17:18], off offset:3072
	v_or_b32_e32 v15, 0x400, v0
	v_cmp_gt_u32_e64 s[0:1], s12, v15
	s_mov_b64 s[22:23], 0
	v_mov_b32_e32 v24, 0
	v_mov_b32_e32 v4, 0
	;; [unrolled: 1-line block ×22, first 2 shown]
	s_and_saveexec_b64 s[20:21], s[0:1]
	s_cbranch_execz .LBB35_33
; %bb.10:
	v_or_b32_e32 v4, s6, v15
	v_mov_b32_e32 v5, 0
	v_lshlrev_b64 v[6:7], 2, v[4:5]
	v_mov_b32_e32 v4, s11
	v_add_co_u32_e64 v8, s[0:1], s10, v6
	v_addc_co_u32_e64 v9, s[0:1], v4, v7, s[0:1]
	global_load_dword v4, v[8:9], off
	v_mov_b32_e32 v8, s17
	v_add_co_u32_e64 v6, s[0:1], s16, v6
	v_addc_co_u32_e64 v7, s[0:1], v8, v7, s[0:1]
	global_load_dword v24, v[6:7], off
	v_or_b32_e32 v15, 0x500, v0
	v_cmp_gt_u32_e64 s[0:1], s12, v15
	s_mov_b64 s[24:25], 0
	v_mov_b32_e32 v27, v5
	v_mov_b32_e32 v6, v5
	;; [unrolled: 1-line block ×19, first 2 shown]
	s_and_saveexec_b64 s[22:23], s[0:1]
	s_cbranch_execz .LBB35_32
; %bb.11:
	v_or_b32_e32 v5, s6, v15
	v_mov_b32_e32 v6, 0
	v_lshlrev_b64 v[7:8], 2, v[5:6]
	v_mov_b32_e32 v5, s11
	v_add_co_u32_e64 v9, s[0:1], s10, v7
	v_addc_co_u32_e64 v10, s[0:1], v5, v8, s[0:1]
	v_mov_b32_e32 v5, s17
	v_add_co_u32_e64 v7, s[0:1], s16, v7
	v_addc_co_u32_e64 v8, s[0:1], v5, v8, s[0:1]
	global_load_dword v27, v[9:10], off
	global_load_dword v5, v[7:8], off
	v_or_b32_e32 v15, 0x600, v0
	v_cmp_gt_u32_e64 s[0:1], s12, v15
	s_mov_b64 s[26:27], 0
	v_mov_b32_e32 v28, v6
	v_mov_b32_e32 v7, v6
	v_mov_b32_e32 v29, v6
	v_mov_b32_e32 v8, v6
	v_mov_b32_e32 v30, v6
	v_mov_b32_e32 v9, v6
	v_mov_b32_e32 v31, v6
	v_mov_b32_e32 v10, v6
	v_mov_b32_e32 v32, v6
	v_mov_b32_e32 v11, v6
	v_mov_b32_e32 v33, v6
	v_mov_b32_e32 v12, v6
	v_mov_b32_e32 v34, v6
	v_mov_b32_e32 v13, v6
	v_mov_b32_e32 v35, v6
	v_mov_b32_e32 v14, v6
	v_mov_b32_e32 v36, v6
	s_and_saveexec_b64 s[24:25], s[0:1]
	s_cbranch_execz .LBB35_31
; %bb.12:
	v_or_b32_e32 v6, s6, v15
	v_mov_b32_e32 v7, 0
	v_lshlrev_b64 v[8:9], 2, v[6:7]
	v_mov_b32_e32 v6, s11
	v_add_co_u32_e64 v10, s[0:1], s10, v8
	v_addc_co_u32_e64 v11, s[0:1], v6, v9, s[0:1]
	v_mov_b32_e32 v6, s17
	v_add_co_u32_e64 v8, s[0:1], s16, v8
	v_addc_co_u32_e64 v9, s[0:1], v6, v9, s[0:1]
	global_load_dword v28, v[10:11], off
	global_load_dword v6, v[8:9], off
	v_or_b32_e32 v15, 0x700, v0
	v_cmp_gt_u32_e64 s[0:1], s12, v15
	s_mov_b64 s[28:29], 0
	v_mov_b32_e32 v29, v7
	v_mov_b32_e32 v8, v7
	;; [unrolled: 1-line block ×15, first 2 shown]
	s_and_saveexec_b64 s[26:27], s[0:1]
	s_cbranch_execz .LBB35_30
; %bb.13:
	v_or_b32_e32 v7, s6, v15
	v_mov_b32_e32 v8, 0
	v_lshlrev_b64 v[9:10], 2, v[7:8]
	v_mov_b32_e32 v7, s11
	v_add_co_u32_e64 v11, s[0:1], s10, v9
	v_addc_co_u32_e64 v12, s[0:1], v7, v10, s[0:1]
	v_mov_b32_e32 v7, s17
	v_add_co_u32_e64 v9, s[0:1], s16, v9
	v_addc_co_u32_e64 v10, s[0:1], v7, v10, s[0:1]
	global_load_dword v29, v[11:12], off
	global_load_dword v7, v[9:10], off
	v_or_b32_e32 v15, 0x800, v0
	v_cmp_gt_u32_e64 s[0:1], s12, v15
	s_mov_b64 s[30:31], 0
	v_mov_b32_e32 v30, v8
	v_mov_b32_e32 v9, v8
	;; [unrolled: 1-line block ×13, first 2 shown]
	s_and_saveexec_b64 s[28:29], s[0:1]
	s_cbranch_execz .LBB35_29
; %bb.14:
	v_or_b32_e32 v8, s6, v15
	v_mov_b32_e32 v9, 0
	v_lshlrev_b64 v[10:11], 2, v[8:9]
	v_mov_b32_e32 v8, s11
	v_add_co_u32_e64 v12, s[0:1], s10, v10
	v_addc_co_u32_e64 v13, s[0:1], v8, v11, s[0:1]
	v_mov_b32_e32 v8, s17
	v_add_co_u32_e64 v10, s[0:1], s16, v10
	v_addc_co_u32_e64 v11, s[0:1], v8, v11, s[0:1]
	global_load_dword v30, v[12:13], off
	global_load_dword v8, v[10:11], off
	v_or_b32_e32 v15, 0x900, v0
	v_cmp_gt_u32_e64 s[0:1], s12, v15
	s_mov_b64 s[34:35], 0
	v_mov_b32_e32 v31, v9
	v_mov_b32_e32 v10, v9
	;; [unrolled: 1-line block ×11, first 2 shown]
	s_and_saveexec_b64 s[30:31], s[0:1]
	s_cbranch_execz .LBB35_28
; %bb.15:
	v_or_b32_e32 v9, s6, v15
	v_mov_b32_e32 v10, 0
	v_lshlrev_b64 v[11:12], 2, v[9:10]
	v_mov_b32_e32 v9, s11
	v_add_co_u32_e64 v13, s[0:1], s10, v11
	v_addc_co_u32_e64 v14, s[0:1], v9, v12, s[0:1]
	v_mov_b32_e32 v9, s17
	v_add_co_u32_e64 v11, s[0:1], s16, v11
	v_addc_co_u32_e64 v12, s[0:1], v9, v12, s[0:1]
	global_load_dword v31, v[13:14], off
	global_load_dword v9, v[11:12], off
	v_or_b32_e32 v15, 0xa00, v0
	v_cmp_gt_u32_e64 s[0:1], s12, v15
	s_mov_b64 s[36:37], 0
	v_mov_b32_e32 v32, v10
	v_mov_b32_e32 v11, v10
	;; [unrolled: 1-line block ×9, first 2 shown]
	s_and_saveexec_b64 s[34:35], s[0:1]
	s_cbranch_execz .LBB35_27
; %bb.16:
	v_or_b32_e32 v10, s6, v15
	v_mov_b32_e32 v11, 0
	v_lshlrev_b64 v[12:13], 2, v[10:11]
	v_mov_b32_e32 v10, s11
	v_add_co_u32_e64 v14, s[0:1], s10, v12
	v_addc_co_u32_e64 v15, s[0:1], v10, v13, s[0:1]
	v_mov_b32_e32 v10, s17
	v_add_co_u32_e64 v12, s[0:1], s16, v12
	v_addc_co_u32_e64 v13, s[0:1], v10, v13, s[0:1]
	global_load_dword v32, v[14:15], off
	global_load_dword v10, v[12:13], off
	v_or_b32_e32 v15, 0xb00, v0
	v_cmp_gt_u32_e64 s[0:1], s12, v15
	s_mov_b64 s[38:39], 0
	v_mov_b32_e32 v33, v11
	v_mov_b32_e32 v12, v11
	;; [unrolled: 1-line block ×7, first 2 shown]
	s_and_saveexec_b64 s[36:37], s[0:1]
	s_cbranch_execz .LBB35_26
; %bb.17:
	v_or_b32_e32 v11, s6, v15
	v_mov_b32_e32 v12, 0
	v_lshlrev_b64 v[13:14], 2, v[11:12]
	v_mov_b32_e32 v11, s11
	v_add_co_u32_e64 v15, s[0:1], s10, v13
	v_addc_co_u32_e64 v16, s[0:1], v11, v14, s[0:1]
	v_mov_b32_e32 v11, s17
	v_add_co_u32_e64 v13, s[0:1], s16, v13
	v_addc_co_u32_e64 v14, s[0:1], v11, v14, s[0:1]
	global_load_dword v33, v[15:16], off
	global_load_dword v11, v[13:14], off
	v_or_b32_e32 v15, 0xc00, v0
	v_cmp_gt_u32_e64 s[0:1], s12, v15
	s_mov_b64 s[40:41], 0
	v_mov_b32_e32 v34, v12
	v_mov_b32_e32 v13, v12
	;; [unrolled: 1-line block ×5, first 2 shown]
	s_and_saveexec_b64 s[38:39], s[0:1]
	s_cbranch_execz .LBB35_25
; %bb.18:
	v_or_b32_e32 v12, s6, v15
	v_mov_b32_e32 v13, 0
	v_lshlrev_b64 v[14:15], 2, v[12:13]
	v_mov_b32_e32 v12, s11
	v_add_co_u32_e64 v16, s[0:1], s10, v14
	v_addc_co_u32_e64 v17, s[0:1], v12, v15, s[0:1]
	v_mov_b32_e32 v12, s17
	v_add_co_u32_e64 v14, s[0:1], s16, v14
	v_addc_co_u32_e64 v15, s[0:1], v12, v15, s[0:1]
	global_load_dword v34, v[16:17], off
	global_load_dword v12, v[14:15], off
	v_or_b32_e32 v15, 0xd00, v0
	v_cmp_gt_u32_e64 s[0:1], s12, v15
	s_mov_b64 s[42:43], 0
	v_mov_b32_e32 v35, v13
	v_mov_b32_e32 v14, v13
	v_mov_b32_e32 v36, v13
	s_and_saveexec_b64 s[40:41], s[0:1]
	s_cbranch_execz .LBB35_24
; %bb.19:
	v_add_u32_e32 v13, s6, v15
	v_mov_b32_e32 v14, 0
	v_lshlrev_b64 v[15:16], 2, v[13:14]
	v_mov_b32_e32 v13, s11
	v_add_co_u32_e64 v17, s[0:1], s10, v15
	v_addc_co_u32_e64 v18, s[0:1], v13, v16, s[0:1]
	v_mov_b32_e32 v13, s17
	v_add_co_u32_e64 v15, s[0:1], s16, v15
	v_addc_co_u32_e64 v16, s[0:1], v13, v16, s[0:1]
	global_load_dword v35, v[17:18], off
	global_load_dword v13, v[15:16], off
	v_or_b32_e32 v15, 0xe00, v0
	v_cmp_gt_u32_e64 s[0:1], s12, v15
	s_mov_b64 s[44:45], 0
	v_mov_b32_e32 v36, v14
	s_and_saveexec_b64 s[42:43], s[0:1]
	s_cbranch_execz .LBB35_23
; %bb.20:
	v_add_u32_e32 v15, s6, v15
	v_mov_b32_e32 v16, 0
	v_lshlrev_b64 v[14:15], 2, v[15:16]
	v_mov_b32_e32 v18, s11
	v_add_co_u32_e64 v17, s[0:1], s10, v14
	v_addc_co_u32_e64 v18, s[0:1], v18, v15, s[0:1]
	global_load_dword v36, v[17:18], off
	v_mov_b32_e32 v17, s17
	v_add_co_u32_e64 v14, s[0:1], s16, v14
	v_addc_co_u32_e64 v15, s[0:1], v17, v15, s[0:1]
	global_load_dword v14, v[14:15], off
	v_or_b32_e32 v15, 0xf00, v0
	v_cmp_gt_u32_e64 s[0:1], s12, v15
	s_mov_b64 s[46:47], 0
	s_and_saveexec_b64 s[44:45], s[0:1]
	s_cbranch_execz .LBB35_22
; %bb.21:
	v_add_u32_e32 v15, s6, v15
	v_lshlrev_b64 v[15:16], 2, v[15:16]
	v_mov_b32_e32 v18, s17
	v_add_co_u32_e64 v17, s[0:1], s16, v15
	v_addc_co_u32_e64 v18, s[0:1], v18, v16, s[0:1]
	v_mov_b32_e32 v37, s11
	v_add_co_u32_e64 v15, s[0:1], s10, v15
	v_addc_co_u32_e64 v16, s[0:1], v37, v16, s[0:1]
	global_load_dword v37, v[15:16], off
	global_load_dword v38, v[17:18], off
	s_waitcnt vmcnt(0)
	v_cmp_ne_u32_e64 s[0:1], v37, v38
	s_and_b64 s[46:47], s[0:1], exec
.LBB35_22:
	s_or_b64 exec, exec, s[44:45]
	s_and_b64 s[44:45], s[46:47], exec
.LBB35_23:
	s_or_b64 exec, exec, s[42:43]
	s_and_b64 s[42:43], s[44:45], exec
.LBB35_24:
	s_or_b64 exec, exec, s[40:41]
	s_and_b64 s[40:41], s[42:43], exec
.LBB35_25:
	s_or_b64 exec, exec, s[38:39]
	s_and_b64 s[38:39], s[40:41], exec
.LBB35_26:
	s_or_b64 exec, exec, s[36:37]
	s_and_b64 s[36:37], s[38:39], exec
.LBB35_27:
	s_or_b64 exec, exec, s[34:35]
	s_and_b64 s[34:35], s[36:37], exec
.LBB35_28:
	s_or_b64 exec, exec, s[30:31]
	s_and_b64 s[30:31], s[34:35], exec
.LBB35_29:
	s_or_b64 exec, exec, s[28:29]
	s_and_b64 s[28:29], s[30:31], exec
.LBB35_30:
	s_or_b64 exec, exec, s[26:27]
	s_and_b64 s[26:27], s[28:29], exec
.LBB35_31:
	s_or_b64 exec, exec, s[24:25]
	s_and_b64 s[24:25], s[26:27], exec
.LBB35_32:
	s_or_b64 exec, exec, s[22:23]
	s_and_b64 s[22:23], s[24:25], exec
.LBB35_33:
	s_or_b64 exec, exec, s[20:21]
	s_and_b64 s[20:21], s[22:23], exec
.LBB35_34:
	s_or_b64 exec, exec, s[18:19]
	s_and_b64 s[18:19], s[20:21], exec
.LBB35_35:
	s_or_b64 exec, exec, s[14:15]
	s_and_b64 s[14:15], s[18:19], exec
.LBB35_36:
	s_or_b64 exec, exec, s[4:5]
	s_and_b64 s[0:1], s[14:15], exec
.LBB35_37:
	s_or_b64 exec, exec, s[2:3]
	s_cmp_eq_u32 s13, 0
	s_cselect_b64 s[2:3], -1, 0
	s_and_saveexec_b64 s[4:5], vcc
	s_cbranch_execnz .LBB35_55
; %bb.38:
	s_or_b64 exec, exec, s[4:5]
	v_cmp_gt_i32_e32 vcc, s12, v0
	s_and_saveexec_b64 s[4:5], vcc
	s_cbranch_execnz .LBB35_56
.LBB35_39:
	s_or_b64 exec, exec, s[4:5]
	v_cmp_gt_i32_e32 vcc, s12, v0
	s_and_saveexec_b64 s[4:5], vcc
	s_cbranch_execnz .LBB35_57
.LBB35_40:
	s_or_b64 exec, exec, s[4:5]
	v_cmp_gt_i32_e32 vcc, s12, v0
	s_and_saveexec_b64 s[4:5], vcc
	s_cbranch_execnz .LBB35_58
.LBB35_41:
	s_or_b64 exec, exec, s[4:5]
	v_cmp_gt_i32_e32 vcc, s12, v0
	s_and_saveexec_b64 s[4:5], vcc
	s_cbranch_execnz .LBB35_59
.LBB35_42:
	s_or_b64 exec, exec, s[4:5]
	v_cmp_gt_i32_e32 vcc, s12, v0
	s_and_saveexec_b64 s[4:5], vcc
	s_cbranch_execnz .LBB35_60
.LBB35_43:
	s_or_b64 exec, exec, s[4:5]
	v_cmp_gt_i32_e32 vcc, s12, v0
	s_and_saveexec_b64 s[4:5], vcc
	s_cbranch_execnz .LBB35_61
.LBB35_44:
	s_or_b64 exec, exec, s[4:5]
	v_cmp_gt_i32_e32 vcc, s12, v0
	s_and_saveexec_b64 s[4:5], vcc
	s_cbranch_execnz .LBB35_62
.LBB35_45:
	s_or_b64 exec, exec, s[4:5]
	v_cmp_gt_i32_e32 vcc, s12, v0
	s_and_saveexec_b64 s[4:5], vcc
	s_cbranch_execnz .LBB35_63
.LBB35_46:
	s_or_b64 exec, exec, s[4:5]
	v_cmp_gt_i32_e32 vcc, s12, v0
	s_and_saveexec_b64 s[4:5], vcc
	s_cbranch_execnz .LBB35_64
.LBB35_47:
	s_or_b64 exec, exec, s[4:5]
	v_cmp_gt_i32_e32 vcc, s12, v0
	s_and_saveexec_b64 s[4:5], vcc
	s_cbranch_execnz .LBB35_65
.LBB35_48:
	s_or_b64 exec, exec, s[4:5]
	v_cmp_gt_i32_e32 vcc, s12, v0
	s_and_saveexec_b64 s[4:5], vcc
	s_cbranch_execnz .LBB35_66
.LBB35_49:
	s_or_b64 exec, exec, s[4:5]
	v_cmp_gt_i32_e32 vcc, s12, v0
	s_and_saveexec_b64 s[4:5], vcc
	s_cbranch_execnz .LBB35_67
.LBB35_50:
	s_or_b64 exec, exec, s[4:5]
	v_cmp_gt_i32_e32 vcc, s12, v0
	s_and_saveexec_b64 s[4:5], vcc
	s_cbranch_execnz .LBB35_68
.LBB35_51:
	s_or_b64 exec, exec, s[4:5]
	v_cmp_gt_i32_e32 vcc, s12, v0
	s_and_saveexec_b64 s[4:5], vcc
	s_cbranch_execnz .LBB35_69
.LBB35_52:
	s_or_b64 exec, exec, s[4:5]
	v_cmp_gt_i32_e32 vcc, s12, v0
	s_and_saveexec_b64 s[4:5], vcc
	s_cbranch_execz .LBB35_54
.LBB35_53:
	s_xor_b64 s[0:1], s[2:3], s[0:1]
	v_cndmask_b32_e64 v1, 0, 1, s[0:1]
	v_add_u32_e32 v0, s6, v0
	global_store_byte v0, v1, s[8:9]
.LBB35_54:
	s_endpgm
.LBB35_55:
	s_waitcnt vmcnt(0)
	v_cmp_ne_u32_e32 vcc, v22, v26
	s_xor_b64 s[10:11], s[2:3], vcc
	v_cndmask_b32_e64 v0, 0, 1, s[10:11]
	global_store_byte v1, v0, s[8:9]
	v_mov_b32_e32 v0, v19
	s_or_b64 exec, exec, s[4:5]
	v_cmp_gt_i32_e32 vcc, s12, v0
	s_and_saveexec_b64 s[4:5], vcc
	s_cbranch_execz .LBB35_39
.LBB35_56:
	s_waitcnt vmcnt(0)
	v_cmp_ne_u32_e32 vcc, v25, v2
	s_xor_b64 s[10:11], s[2:3], vcc
	v_cndmask_b32_e64 v1, 0, 1, s[10:11]
	v_add_u32_e32 v2, s6, v0
	v_add_u32_e32 v0, 0x100, v0
	global_store_byte v2, v1, s[8:9]
	s_or_b64 exec, exec, s[4:5]
	v_cmp_gt_i32_e32 vcc, s12, v0
	s_and_saveexec_b64 s[4:5], vcc
	s_cbranch_execz .LBB35_40
.LBB35_57:
	s_waitcnt vmcnt(0)
	v_cmp_ne_u32_e32 vcc, v23, v3
	s_xor_b64 s[10:11], s[2:3], vcc
	v_cndmask_b32_e64 v1, 0, 1, s[10:11]
	v_add_u32_e32 v2, s6, v0
	v_add_u32_e32 v0, 0x100, v0
	global_store_byte v2, v1, s[8:9]
	s_or_b64 exec, exec, s[4:5]
	v_cmp_gt_i32_e32 vcc, s12, v0
	s_and_saveexec_b64 s[4:5], vcc
	s_cbranch_execz .LBB35_41
.LBB35_58:
	s_waitcnt vmcnt(0)
	v_cmp_ne_u32_e32 vcc, v21, v20
	s_xor_b64 s[10:11], s[2:3], vcc
	v_cndmask_b32_e64 v1, 0, 1, s[10:11]
	v_add_u32_e32 v2, s6, v0
	v_add_u32_e32 v0, 0x100, v0
	global_store_byte v2, v1, s[8:9]
	s_or_b64 exec, exec, s[4:5]
	v_cmp_gt_i32_e32 vcc, s12, v0
	s_and_saveexec_b64 s[4:5], vcc
	s_cbranch_execz .LBB35_42
.LBB35_59:
	s_waitcnt vmcnt(0)
	v_cmp_ne_u32_e32 vcc, v4, v24
	s_xor_b64 s[10:11], s[2:3], vcc
	v_cndmask_b32_e64 v1, 0, 1, s[10:11]
	v_add_u32_e32 v2, s6, v0
	v_add_u32_e32 v0, 0x100, v0
	global_store_byte v2, v1, s[8:9]
	s_or_b64 exec, exec, s[4:5]
	v_cmp_gt_i32_e32 vcc, s12, v0
	s_and_saveexec_b64 s[4:5], vcc
	s_cbranch_execz .LBB35_43
.LBB35_60:
	s_waitcnt vmcnt(0)
	v_cmp_ne_u32_e32 vcc, v27, v5
	s_xor_b64 s[10:11], s[2:3], vcc
	v_cndmask_b32_e64 v1, 0, 1, s[10:11]
	v_add_u32_e32 v2, s6, v0
	v_add_u32_e32 v0, 0x100, v0
	global_store_byte v2, v1, s[8:9]
	s_or_b64 exec, exec, s[4:5]
	v_cmp_gt_i32_e32 vcc, s12, v0
	s_and_saveexec_b64 s[4:5], vcc
	s_cbranch_execz .LBB35_44
.LBB35_61:
	s_waitcnt vmcnt(0)
	v_cmp_ne_u32_e32 vcc, v28, v6
	s_xor_b64 s[10:11], s[2:3], vcc
	v_cndmask_b32_e64 v1, 0, 1, s[10:11]
	v_add_u32_e32 v2, s6, v0
	v_add_u32_e32 v0, 0x100, v0
	global_store_byte v2, v1, s[8:9]
	s_or_b64 exec, exec, s[4:5]
	v_cmp_gt_i32_e32 vcc, s12, v0
	s_and_saveexec_b64 s[4:5], vcc
	s_cbranch_execz .LBB35_45
.LBB35_62:
	s_waitcnt vmcnt(0)
	v_cmp_ne_u32_e32 vcc, v29, v7
	s_xor_b64 s[10:11], s[2:3], vcc
	v_cndmask_b32_e64 v1, 0, 1, s[10:11]
	v_add_u32_e32 v2, s6, v0
	v_add_u32_e32 v0, 0x100, v0
	global_store_byte v2, v1, s[8:9]
	s_or_b64 exec, exec, s[4:5]
	v_cmp_gt_i32_e32 vcc, s12, v0
	s_and_saveexec_b64 s[4:5], vcc
	s_cbranch_execz .LBB35_46
.LBB35_63:
	s_waitcnt vmcnt(0)
	v_cmp_ne_u32_e32 vcc, v30, v8
	s_xor_b64 s[10:11], s[2:3], vcc
	v_cndmask_b32_e64 v1, 0, 1, s[10:11]
	v_add_u32_e32 v2, s6, v0
	v_add_u32_e32 v0, 0x100, v0
	global_store_byte v2, v1, s[8:9]
	s_or_b64 exec, exec, s[4:5]
	v_cmp_gt_i32_e32 vcc, s12, v0
	s_and_saveexec_b64 s[4:5], vcc
	s_cbranch_execz .LBB35_47
.LBB35_64:
	s_waitcnt vmcnt(0)
	v_cmp_ne_u32_e32 vcc, v31, v9
	s_xor_b64 s[10:11], s[2:3], vcc
	v_cndmask_b32_e64 v1, 0, 1, s[10:11]
	v_add_u32_e32 v2, s6, v0
	v_add_u32_e32 v0, 0x100, v0
	global_store_byte v2, v1, s[8:9]
	s_or_b64 exec, exec, s[4:5]
	v_cmp_gt_i32_e32 vcc, s12, v0
	s_and_saveexec_b64 s[4:5], vcc
	s_cbranch_execz .LBB35_48
.LBB35_65:
	s_waitcnt vmcnt(0)
	v_cmp_ne_u32_e32 vcc, v32, v10
	s_xor_b64 s[10:11], s[2:3], vcc
	v_cndmask_b32_e64 v1, 0, 1, s[10:11]
	v_add_u32_e32 v2, s6, v0
	v_add_u32_e32 v0, 0x100, v0
	global_store_byte v2, v1, s[8:9]
	s_or_b64 exec, exec, s[4:5]
	v_cmp_gt_i32_e32 vcc, s12, v0
	s_and_saveexec_b64 s[4:5], vcc
	s_cbranch_execz .LBB35_49
.LBB35_66:
	s_waitcnt vmcnt(0)
	v_cmp_ne_u32_e32 vcc, v33, v11
	s_xor_b64 s[10:11], s[2:3], vcc
	v_cndmask_b32_e64 v1, 0, 1, s[10:11]
	v_add_u32_e32 v2, s6, v0
	v_add_u32_e32 v0, 0x100, v0
	global_store_byte v2, v1, s[8:9]
	s_or_b64 exec, exec, s[4:5]
	v_cmp_gt_i32_e32 vcc, s12, v0
	s_and_saveexec_b64 s[4:5], vcc
	s_cbranch_execz .LBB35_50
.LBB35_67:
	s_waitcnt vmcnt(0)
	v_cmp_ne_u32_e32 vcc, v34, v12
	s_xor_b64 s[10:11], s[2:3], vcc
	v_cndmask_b32_e64 v1, 0, 1, s[10:11]
	v_add_u32_e32 v2, s6, v0
	v_add_u32_e32 v0, 0x100, v0
	global_store_byte v2, v1, s[8:9]
	s_or_b64 exec, exec, s[4:5]
	v_cmp_gt_i32_e32 vcc, s12, v0
	s_and_saveexec_b64 s[4:5], vcc
	s_cbranch_execz .LBB35_51
.LBB35_68:
	s_waitcnt vmcnt(0)
	v_cmp_ne_u32_e32 vcc, v35, v13
	s_xor_b64 s[10:11], s[2:3], vcc
	v_cndmask_b32_e64 v1, 0, 1, s[10:11]
	v_add_u32_e32 v2, s6, v0
	v_add_u32_e32 v0, 0x100, v0
	global_store_byte v2, v1, s[8:9]
	s_or_b64 exec, exec, s[4:5]
	v_cmp_gt_i32_e32 vcc, s12, v0
	s_and_saveexec_b64 s[4:5], vcc
	s_cbranch_execz .LBB35_52
.LBB35_69:
	s_waitcnt vmcnt(0)
	v_cmp_ne_u32_e32 vcc, v36, v14
	s_xor_b64 s[10:11], s[2:3], vcc
	v_cndmask_b32_e64 v1, 0, 1, s[10:11]
	v_add_u32_e32 v2, s6, v0
	v_add_u32_e32 v0, 0x100, v0
	global_store_byte v2, v1, s[8:9]
	s_or_b64 exec, exec, s[4:5]
	v_cmp_gt_i32_e32 vcc, s12, v0
	s_and_saveexec_b64 s[4:5], vcc
	s_cbranch_execnz .LBB35_53
	s_branch .LBB35_54
	.section	.rodata,"a",@progbits
	.p2align	6, 0x0
	.amdhsa_kernel _ZN2at6native29vectorized_elementwise_kernelILi2ENS0_13BinaryFunctorIiibNS0_12_GLOBAL__N_116CompareEqFunctorIiEEEESt5arrayIPcLm3EEEEviT0_T1_
		.amdhsa_group_segment_fixed_size 0
		.amdhsa_private_segment_fixed_size 0
		.amdhsa_kernarg_size 32
		.amdhsa_user_sgpr_count 6
		.amdhsa_user_sgpr_private_segment_buffer 1
		.amdhsa_user_sgpr_dispatch_ptr 0
		.amdhsa_user_sgpr_queue_ptr 0
		.amdhsa_user_sgpr_kernarg_segment_ptr 1
		.amdhsa_user_sgpr_dispatch_id 0
		.amdhsa_user_sgpr_flat_scratch_init 0
		.amdhsa_user_sgpr_private_segment_size 0
		.amdhsa_uses_dynamic_stack 0
		.amdhsa_system_sgpr_private_segment_wavefront_offset 0
		.amdhsa_system_sgpr_workgroup_id_x 1
		.amdhsa_system_sgpr_workgroup_id_y 0
		.amdhsa_system_sgpr_workgroup_id_z 0
		.amdhsa_system_sgpr_workgroup_info 0
		.amdhsa_system_vgpr_workitem_id 0
		.amdhsa_next_free_vgpr 39
		.amdhsa_next_free_sgpr 48
		.amdhsa_reserve_vcc 1
		.amdhsa_reserve_flat_scratch 0
		.amdhsa_float_round_mode_32 0
		.amdhsa_float_round_mode_16_64 0
		.amdhsa_float_denorm_mode_32 3
		.amdhsa_float_denorm_mode_16_64 3
		.amdhsa_dx10_clamp 1
		.amdhsa_ieee_mode 1
		.amdhsa_fp16_overflow 0
		.amdhsa_exception_fp_ieee_invalid_op 0
		.amdhsa_exception_fp_denorm_src 0
		.amdhsa_exception_fp_ieee_div_zero 0
		.amdhsa_exception_fp_ieee_overflow 0
		.amdhsa_exception_fp_ieee_underflow 0
		.amdhsa_exception_fp_ieee_inexact 0
		.amdhsa_exception_int_div_zero 0
	.end_amdhsa_kernel
	.section	.text._ZN2at6native29vectorized_elementwise_kernelILi2ENS0_13BinaryFunctorIiibNS0_12_GLOBAL__N_116CompareEqFunctorIiEEEESt5arrayIPcLm3EEEEviT0_T1_,"axG",@progbits,_ZN2at6native29vectorized_elementwise_kernelILi2ENS0_13BinaryFunctorIiibNS0_12_GLOBAL__N_116CompareEqFunctorIiEEEESt5arrayIPcLm3EEEEviT0_T1_,comdat
.Lfunc_end35:
	.size	_ZN2at6native29vectorized_elementwise_kernelILi2ENS0_13BinaryFunctorIiibNS0_12_GLOBAL__N_116CompareEqFunctorIiEEEESt5arrayIPcLm3EEEEviT0_T1_, .Lfunc_end35-_ZN2at6native29vectorized_elementwise_kernelILi2ENS0_13BinaryFunctorIiibNS0_12_GLOBAL__N_116CompareEqFunctorIiEEEESt5arrayIPcLm3EEEEviT0_T1_
                                        ; -- End function
	.set _ZN2at6native29vectorized_elementwise_kernelILi2ENS0_13BinaryFunctorIiibNS0_12_GLOBAL__N_116CompareEqFunctorIiEEEESt5arrayIPcLm3EEEEviT0_T1_.num_vgpr, 39
	.set _ZN2at6native29vectorized_elementwise_kernelILi2ENS0_13BinaryFunctorIiibNS0_12_GLOBAL__N_116CompareEqFunctorIiEEEESt5arrayIPcLm3EEEEviT0_T1_.num_agpr, 0
	.set _ZN2at6native29vectorized_elementwise_kernelILi2ENS0_13BinaryFunctorIiibNS0_12_GLOBAL__N_116CompareEqFunctorIiEEEESt5arrayIPcLm3EEEEviT0_T1_.numbered_sgpr, 48
	.set _ZN2at6native29vectorized_elementwise_kernelILi2ENS0_13BinaryFunctorIiibNS0_12_GLOBAL__N_116CompareEqFunctorIiEEEESt5arrayIPcLm3EEEEviT0_T1_.num_named_barrier, 0
	.set _ZN2at6native29vectorized_elementwise_kernelILi2ENS0_13BinaryFunctorIiibNS0_12_GLOBAL__N_116CompareEqFunctorIiEEEESt5arrayIPcLm3EEEEviT0_T1_.private_seg_size, 0
	.set _ZN2at6native29vectorized_elementwise_kernelILi2ENS0_13BinaryFunctorIiibNS0_12_GLOBAL__N_116CompareEqFunctorIiEEEESt5arrayIPcLm3EEEEviT0_T1_.uses_vcc, 1
	.set _ZN2at6native29vectorized_elementwise_kernelILi2ENS0_13BinaryFunctorIiibNS0_12_GLOBAL__N_116CompareEqFunctorIiEEEESt5arrayIPcLm3EEEEviT0_T1_.uses_flat_scratch, 0
	.set _ZN2at6native29vectorized_elementwise_kernelILi2ENS0_13BinaryFunctorIiibNS0_12_GLOBAL__N_116CompareEqFunctorIiEEEESt5arrayIPcLm3EEEEviT0_T1_.has_dyn_sized_stack, 0
	.set _ZN2at6native29vectorized_elementwise_kernelILi2ENS0_13BinaryFunctorIiibNS0_12_GLOBAL__N_116CompareEqFunctorIiEEEESt5arrayIPcLm3EEEEviT0_T1_.has_recursion, 0
	.set _ZN2at6native29vectorized_elementwise_kernelILi2ENS0_13BinaryFunctorIiibNS0_12_GLOBAL__N_116CompareEqFunctorIiEEEESt5arrayIPcLm3EEEEviT0_T1_.has_indirect_call, 0
	.section	.AMDGPU.csdata,"",@progbits
; Kernel info:
; codeLenInByte = 4412
; TotalNumSgprs: 52
; NumVgprs: 39
; ScratchSize: 0
; MemoryBound: 0
; FloatMode: 240
; IeeeMode: 1
; LDSByteSize: 0 bytes/workgroup (compile time only)
; SGPRBlocks: 6
; VGPRBlocks: 9
; NumSGPRsForWavesPerEU: 52
; NumVGPRsForWavesPerEU: 39
; Occupancy: 6
; WaveLimiterHint : 1
; COMPUTE_PGM_RSRC2:SCRATCH_EN: 0
; COMPUTE_PGM_RSRC2:USER_SGPR: 6
; COMPUTE_PGM_RSRC2:TRAP_HANDLER: 0
; COMPUTE_PGM_RSRC2:TGID_X_EN: 1
; COMPUTE_PGM_RSRC2:TGID_Y_EN: 0
; COMPUTE_PGM_RSRC2:TGID_Z_EN: 0
; COMPUTE_PGM_RSRC2:TIDIG_COMP_CNT: 0
	.section	.text._ZN2at6native27unrolled_elementwise_kernelINS0_13BinaryFunctorIiibNS0_12_GLOBAL__N_116CompareEqFunctorIiEEEESt5arrayIPcLm3EELi4E23TrivialOffsetCalculatorILi2EjESA_ILi1EjENS0_6memory15LoadWithoutCastENSD_16StoreWithoutCastEEEviT_T0_T2_T3_T4_T5_,"axG",@progbits,_ZN2at6native27unrolled_elementwise_kernelINS0_13BinaryFunctorIiibNS0_12_GLOBAL__N_116CompareEqFunctorIiEEEESt5arrayIPcLm3EELi4E23TrivialOffsetCalculatorILi2EjESA_ILi1EjENS0_6memory15LoadWithoutCastENSD_16StoreWithoutCastEEEviT_T0_T2_T3_T4_T5_,comdat
	.globl	_ZN2at6native27unrolled_elementwise_kernelINS0_13BinaryFunctorIiibNS0_12_GLOBAL__N_116CompareEqFunctorIiEEEESt5arrayIPcLm3EELi4E23TrivialOffsetCalculatorILi2EjESA_ILi1EjENS0_6memory15LoadWithoutCastENSD_16StoreWithoutCastEEEviT_T0_T2_T3_T4_T5_ ; -- Begin function _ZN2at6native27unrolled_elementwise_kernelINS0_13BinaryFunctorIiibNS0_12_GLOBAL__N_116CompareEqFunctorIiEEEESt5arrayIPcLm3EELi4E23TrivialOffsetCalculatorILi2EjESA_ILi1EjENS0_6memory15LoadWithoutCastENSD_16StoreWithoutCastEEEviT_T0_T2_T3_T4_T5_
	.p2align	8
	.type	_ZN2at6native27unrolled_elementwise_kernelINS0_13BinaryFunctorIiibNS0_12_GLOBAL__N_116CompareEqFunctorIiEEEESt5arrayIPcLm3EELi4E23TrivialOffsetCalculatorILi2EjESA_ILi1EjENS0_6memory15LoadWithoutCastENSD_16StoreWithoutCastEEEviT_T0_T2_T3_T4_T5_,@function
_ZN2at6native27unrolled_elementwise_kernelINS0_13BinaryFunctorIiibNS0_12_GLOBAL__N_116CompareEqFunctorIiEEEESt5arrayIPcLm3EELi4E23TrivialOffsetCalculatorILi2EjESA_ILi1EjENS0_6memory15LoadWithoutCastENSD_16StoreWithoutCastEEEviT_T0_T2_T3_T4_T5_: ; @_ZN2at6native27unrolled_elementwise_kernelINS0_13BinaryFunctorIiibNS0_12_GLOBAL__N_116CompareEqFunctorIiEEEESt5arrayIPcLm3EELi4E23TrivialOffsetCalculatorILi2EjESA_ILi1EjENS0_6memory15LoadWithoutCastENSD_16StoreWithoutCastEEEviT_T0_T2_T3_T4_T5_
; %bb.0:
	s_load_dwordx2 s[2:3], s[4:5], 0x0
	s_load_dwordx4 s[8:11], s[4:5], 0x8
	s_load_dwordx2 s[12:13], s[4:5], 0x18
	s_lshl_b32 s20, s6, 10
                                        ; implicit-def: $vgpr6
	s_waitcnt lgkmcnt(0)
	s_sub_i32 s2, s2, s20
	v_cmp_gt_i32_e32 vcc, s2, v0
	v_cmp_le_i32_e64 s[0:1], s2, v0
	s_and_saveexec_b64 s[4:5], s[0:1]
	s_xor_b64 s[0:1], exec, s[4:5]
; %bb.1:
	v_or_b32_e32 v6, 0x100, v0
; %bb.2:
	s_or_saveexec_b64 s[4:5], s[0:1]
	v_mov_b32_e32 v10, 0
	s_mov_b64 s[6:7], 0
	v_or_b32_e32 v1, s20, v0
	v_mov_b32_e32 v3, 0
	v_mov_b32_e32 v9, 0
	;; [unrolled: 1-line block ×5, first 2 shown]
	s_xor_b64 exec, exec, s[4:5]
	s_cbranch_execz .LBB36_10
; %bb.3:
	v_mov_b32_e32 v2, 0
	v_lshlrev_b64 v[3:4], 2, v[1:2]
	v_mov_b32_e32 v6, s11
	v_add_co_u32_e64 v5, s[0:1], s10, v3
	v_addc_co_u32_e64 v6, s[0:1], v6, v4, s[0:1]
	global_load_dword v7, v[5:6], off
	v_mov_b32_e32 v5, s13
	v_add_co_u32_e64 v3, s[0:1], s12, v3
	v_addc_co_u32_e64 v4, s[0:1], v5, v4, s[0:1]
	global_load_dword v8, v[3:4], off
	v_or_b32_e32 v6, 0x100, v0
	v_cmp_gt_u32_e64 s[0:1], s2, v6
	s_mov_b64 s[14:15], 0
	v_mov_b32_e32 v9, v2
	v_mov_b32_e32 v3, v2
	;; [unrolled: 1-line block ×3, first 2 shown]
	s_and_saveexec_b64 s[6:7], s[0:1]
	s_cbranch_execz .LBB36_9
; %bb.4:
	v_add_u32_e32 v2, s20, v6
	v_mov_b32_e32 v3, 0
	v_lshlrev_b64 v[4:5], 2, v[2:3]
	v_mov_b32_e32 v2, s11
	v_add_co_u32_e64 v9, s[0:1], s10, v4
	v_addc_co_u32_e64 v10, s[0:1], v2, v5, s[0:1]
	v_mov_b32_e32 v2, s13
	v_add_co_u32_e64 v4, s[0:1], s12, v4
	v_addc_co_u32_e64 v5, s[0:1], v2, v5, s[0:1]
	global_load_dword v9, v[9:10], off
	s_mov_b64 s[16:17], 0
	global_load_dword v2, v[4:5], off
	v_or_b32_e32 v4, 0x200, v0
	v_cmp_gt_u32_e64 s[0:1], s2, v4
	v_mov_b32_e32 v10, v3
	s_and_saveexec_b64 s[14:15], s[0:1]
	s_cbranch_execz .LBB36_8
; %bb.5:
	v_add_u32_e32 v4, s20, v4
	v_mov_b32_e32 v5, 0
	v_lshlrev_b64 v[3:4], 2, v[4:5]
	v_mov_b32_e32 v11, s11
	v_add_co_u32_e64 v10, s[0:1], s10, v3
	v_addc_co_u32_e64 v11, s[0:1], v11, v4, s[0:1]
	global_load_dword v10, v[10:11], off
	v_mov_b32_e32 v11, s13
	v_add_co_u32_e64 v3, s[0:1], s12, v3
	v_addc_co_u32_e64 v4, s[0:1], v11, v4, s[0:1]
	global_load_dword v3, v[3:4], off
	v_or_b32_e32 v4, 0x300, v0
	v_cmp_gt_u32_e64 s[0:1], s2, v4
	s_mov_b64 s[18:19], 0
	s_and_saveexec_b64 s[16:17], s[0:1]
	s_cbranch_execz .LBB36_7
; %bb.6:
	v_add_u32_e32 v4, s20, v4
	v_lshlrev_b64 v[4:5], 2, v[4:5]
	v_mov_b32_e32 v12, s11
	v_add_co_u32_e64 v11, s[0:1], s10, v4
	v_addc_co_u32_e64 v12, s[0:1], v12, v5, s[0:1]
	v_mov_b32_e32 v13, s13
	v_add_co_u32_e64 v4, s[0:1], s12, v4
	v_addc_co_u32_e64 v5, s[0:1], v13, v5, s[0:1]
	global_load_dword v13, v[11:12], off
	global_load_dword v14, v[4:5], off
	s_waitcnt vmcnt(0)
	v_cmp_ne_u32_e64 s[0:1], v13, v14
	s_and_b64 s[18:19], s[0:1], exec
.LBB36_7:
	s_or_b64 exec, exec, s[16:17]
	s_and_b64 s[16:17], s[18:19], exec
.LBB36_8:
	s_or_b64 exec, exec, s[14:15]
	s_and_b64 s[14:15], s[16:17], exec
.LBB36_9:
	s_or_b64 exec, exec, s[6:7]
	s_and_b64 s[6:7], s[14:15], exec
.LBB36_10:
	s_or_b64 exec, exec, s[4:5]
	s_cmp_eq_u32 s3, 0
	s_cselect_b64 s[4:5], -1, 0
	s_waitcnt vmcnt(0)
	v_cmp_ne_u32_e64 s[0:1], v7, v8
	s_xor_b64 s[0:1], s[4:5], s[0:1]
	v_cndmask_b32_e64 v4, 0, 1, s[0:1]
	v_cmp_ne_u32_e64 s[0:1], v9, v2
	s_xor_b64 s[0:1], s[4:5], s[0:1]
	v_cndmask_b32_e64 v2, 0, 1, s[0:1]
	v_cndmask_b32_e32 v4, 0, v4, vcc
	v_lshlrev_b16_e32 v2, 8, v2
	v_or_b32_e32 v2, v4, v2
	v_and_b32_e32 v2, 0xffff, v2
	v_cmp_gt_i32_e64 s[0:1], s2, v6
	v_cndmask_b32_e64 v2, v4, v2, s[0:1]
	v_cmp_ne_u32_e64 s[0:1], v10, v3
	s_xor_b64 s[0:1], s[4:5], s[0:1]
	v_cndmask_b32_e64 v3, 0, 1, s[0:1]
	v_or_b32_e32 v4, 0x200, v0
	v_lshlrev_b32_e32 v3, 16, v3
	v_or_b32_e32 v3, v2, v3
	v_cmp_gt_i32_e64 s[0:1], s2, v4
	v_cndmask_b32_e64 v2, v2, v3, s[0:1]
	s_movk_i32 s0, 0xff
	v_and_b32_sdwa v3, v2, s0 dst_sel:DWORD dst_unused:UNUSED_PAD src0_sel:WORD_1 src1_sel:DWORD
	s_xor_b64 s[0:1], s[4:5], s[6:7]
	v_cndmask_b32_e64 v5, 0, 1, s[0:1]
	v_lshlrev_b16_e32 v5, 8, v5
	s_mov_b32 s3, 0xffff
	v_or_b32_e32 v4, 0x300, v0
	v_or_b32_sdwa v3, v3, v5 dst_sel:WORD_1 dst_unused:UNUSED_PAD src0_sel:DWORD src1_sel:DWORD
	v_and_or_b32 v3, v2, s3, v3
	v_cmp_gt_i32_e64 s[0:1], s2, v4
	v_cndmask_b32_e64 v2, v2, v3, s[0:1]
	s_and_saveexec_b64 s[0:1], vcc
	s_cbranch_execnz .LBB36_15
; %bb.11:
	s_or_b64 exec, exec, s[0:1]
	v_cmp_gt_i32_e32 vcc, s2, v0
	s_and_saveexec_b64 s[0:1], vcc
	s_cbranch_execnz .LBB36_16
.LBB36_12:
	s_or_b64 exec, exec, s[0:1]
	v_cmp_gt_i32_e32 vcc, s2, v0
	s_and_saveexec_b64 s[0:1], vcc
	s_cbranch_execnz .LBB36_17
.LBB36_13:
	s_or_b64 exec, exec, s[0:1]
	v_cmp_gt_i32_e32 vcc, s2, v0
	s_and_saveexec_b64 s[0:1], vcc
	s_cbranch_execnz .LBB36_18
.LBB36_14:
	s_endpgm
.LBB36_15:
	v_mov_b32_e32 v0, v6
	global_store_byte v1, v2, s[8:9]
	s_or_b64 exec, exec, s[0:1]
	v_cmp_gt_i32_e32 vcc, s2, v0
	s_and_saveexec_b64 s[0:1], vcc
	s_cbranch_execz .LBB36_12
.LBB36_16:
	v_add_u32_e32 v1, 0x100, v0
	v_add_u32_e32 v0, s20, v0
	v_lshrrev_b32_e32 v3, 8, v2
	global_store_byte v0, v3, s[8:9]
	v_mov_b32_e32 v0, v1
	s_or_b64 exec, exec, s[0:1]
	v_cmp_gt_i32_e32 vcc, s2, v0
	s_and_saveexec_b64 s[0:1], vcc
	s_cbranch_execz .LBB36_13
.LBB36_17:
	v_add_u32_e32 v1, 0x100, v0
	v_add_u32_e32 v0, s20, v0
	global_store_byte_d16_hi v0, v2, s[8:9]
	v_mov_b32_e32 v0, v1
	s_or_b64 exec, exec, s[0:1]
	v_cmp_gt_i32_e32 vcc, s2, v0
	s_and_saveexec_b64 s[0:1], vcc
	s_cbranch_execz .LBB36_14
.LBB36_18:
	v_add_u32_e32 v0, s20, v0
	v_lshrrev_b32_e32 v1, 24, v2
	global_store_byte v0, v1, s[8:9]
	s_endpgm
	.section	.rodata,"a",@progbits
	.p2align	6, 0x0
	.amdhsa_kernel _ZN2at6native27unrolled_elementwise_kernelINS0_13BinaryFunctorIiibNS0_12_GLOBAL__N_116CompareEqFunctorIiEEEESt5arrayIPcLm3EELi4E23TrivialOffsetCalculatorILi2EjESA_ILi1EjENS0_6memory15LoadWithoutCastENSD_16StoreWithoutCastEEEviT_T0_T2_T3_T4_T5_
		.amdhsa_group_segment_fixed_size 0
		.amdhsa_private_segment_fixed_size 0
		.amdhsa_kernarg_size 36
		.amdhsa_user_sgpr_count 6
		.amdhsa_user_sgpr_private_segment_buffer 1
		.amdhsa_user_sgpr_dispatch_ptr 0
		.amdhsa_user_sgpr_queue_ptr 0
		.amdhsa_user_sgpr_kernarg_segment_ptr 1
		.amdhsa_user_sgpr_dispatch_id 0
		.amdhsa_user_sgpr_flat_scratch_init 0
		.amdhsa_user_sgpr_private_segment_size 0
		.amdhsa_uses_dynamic_stack 0
		.amdhsa_system_sgpr_private_segment_wavefront_offset 0
		.amdhsa_system_sgpr_workgroup_id_x 1
		.amdhsa_system_sgpr_workgroup_id_y 0
		.amdhsa_system_sgpr_workgroup_id_z 0
		.amdhsa_system_sgpr_workgroup_info 0
		.amdhsa_system_vgpr_workitem_id 0
		.amdhsa_next_free_vgpr 15
		.amdhsa_next_free_sgpr 21
		.amdhsa_reserve_vcc 1
		.amdhsa_reserve_flat_scratch 0
		.amdhsa_float_round_mode_32 0
		.amdhsa_float_round_mode_16_64 0
		.amdhsa_float_denorm_mode_32 3
		.amdhsa_float_denorm_mode_16_64 3
		.amdhsa_dx10_clamp 1
		.amdhsa_ieee_mode 1
		.amdhsa_fp16_overflow 0
		.amdhsa_exception_fp_ieee_invalid_op 0
		.amdhsa_exception_fp_denorm_src 0
		.amdhsa_exception_fp_ieee_div_zero 0
		.amdhsa_exception_fp_ieee_overflow 0
		.amdhsa_exception_fp_ieee_underflow 0
		.amdhsa_exception_fp_ieee_inexact 0
		.amdhsa_exception_int_div_zero 0
	.end_amdhsa_kernel
	.section	.text._ZN2at6native27unrolled_elementwise_kernelINS0_13BinaryFunctorIiibNS0_12_GLOBAL__N_116CompareEqFunctorIiEEEESt5arrayIPcLm3EELi4E23TrivialOffsetCalculatorILi2EjESA_ILi1EjENS0_6memory15LoadWithoutCastENSD_16StoreWithoutCastEEEviT_T0_T2_T3_T4_T5_,"axG",@progbits,_ZN2at6native27unrolled_elementwise_kernelINS0_13BinaryFunctorIiibNS0_12_GLOBAL__N_116CompareEqFunctorIiEEEESt5arrayIPcLm3EELi4E23TrivialOffsetCalculatorILi2EjESA_ILi1EjENS0_6memory15LoadWithoutCastENSD_16StoreWithoutCastEEEviT_T0_T2_T3_T4_T5_,comdat
.Lfunc_end36:
	.size	_ZN2at6native27unrolled_elementwise_kernelINS0_13BinaryFunctorIiibNS0_12_GLOBAL__N_116CompareEqFunctorIiEEEESt5arrayIPcLm3EELi4E23TrivialOffsetCalculatorILi2EjESA_ILi1EjENS0_6memory15LoadWithoutCastENSD_16StoreWithoutCastEEEviT_T0_T2_T3_T4_T5_, .Lfunc_end36-_ZN2at6native27unrolled_elementwise_kernelINS0_13BinaryFunctorIiibNS0_12_GLOBAL__N_116CompareEqFunctorIiEEEESt5arrayIPcLm3EELi4E23TrivialOffsetCalculatorILi2EjESA_ILi1EjENS0_6memory15LoadWithoutCastENSD_16StoreWithoutCastEEEviT_T0_T2_T3_T4_T5_
                                        ; -- End function
	.set _ZN2at6native27unrolled_elementwise_kernelINS0_13BinaryFunctorIiibNS0_12_GLOBAL__N_116CompareEqFunctorIiEEEESt5arrayIPcLm3EELi4E23TrivialOffsetCalculatorILi2EjESA_ILi1EjENS0_6memory15LoadWithoutCastENSD_16StoreWithoutCastEEEviT_T0_T2_T3_T4_T5_.num_vgpr, 15
	.set _ZN2at6native27unrolled_elementwise_kernelINS0_13BinaryFunctorIiibNS0_12_GLOBAL__N_116CompareEqFunctorIiEEEESt5arrayIPcLm3EELi4E23TrivialOffsetCalculatorILi2EjESA_ILi1EjENS0_6memory15LoadWithoutCastENSD_16StoreWithoutCastEEEviT_T0_T2_T3_T4_T5_.num_agpr, 0
	.set _ZN2at6native27unrolled_elementwise_kernelINS0_13BinaryFunctorIiibNS0_12_GLOBAL__N_116CompareEqFunctorIiEEEESt5arrayIPcLm3EELi4E23TrivialOffsetCalculatorILi2EjESA_ILi1EjENS0_6memory15LoadWithoutCastENSD_16StoreWithoutCastEEEviT_T0_T2_T3_T4_T5_.numbered_sgpr, 21
	.set _ZN2at6native27unrolled_elementwise_kernelINS0_13BinaryFunctorIiibNS0_12_GLOBAL__N_116CompareEqFunctorIiEEEESt5arrayIPcLm3EELi4E23TrivialOffsetCalculatorILi2EjESA_ILi1EjENS0_6memory15LoadWithoutCastENSD_16StoreWithoutCastEEEviT_T0_T2_T3_T4_T5_.num_named_barrier, 0
	.set _ZN2at6native27unrolled_elementwise_kernelINS0_13BinaryFunctorIiibNS0_12_GLOBAL__N_116CompareEqFunctorIiEEEESt5arrayIPcLm3EELi4E23TrivialOffsetCalculatorILi2EjESA_ILi1EjENS0_6memory15LoadWithoutCastENSD_16StoreWithoutCastEEEviT_T0_T2_T3_T4_T5_.private_seg_size, 0
	.set _ZN2at6native27unrolled_elementwise_kernelINS0_13BinaryFunctorIiibNS0_12_GLOBAL__N_116CompareEqFunctorIiEEEESt5arrayIPcLm3EELi4E23TrivialOffsetCalculatorILi2EjESA_ILi1EjENS0_6memory15LoadWithoutCastENSD_16StoreWithoutCastEEEviT_T0_T2_T3_T4_T5_.uses_vcc, 1
	.set _ZN2at6native27unrolled_elementwise_kernelINS0_13BinaryFunctorIiibNS0_12_GLOBAL__N_116CompareEqFunctorIiEEEESt5arrayIPcLm3EELi4E23TrivialOffsetCalculatorILi2EjESA_ILi1EjENS0_6memory15LoadWithoutCastENSD_16StoreWithoutCastEEEviT_T0_T2_T3_T4_T5_.uses_flat_scratch, 0
	.set _ZN2at6native27unrolled_elementwise_kernelINS0_13BinaryFunctorIiibNS0_12_GLOBAL__N_116CompareEqFunctorIiEEEESt5arrayIPcLm3EELi4E23TrivialOffsetCalculatorILi2EjESA_ILi1EjENS0_6memory15LoadWithoutCastENSD_16StoreWithoutCastEEEviT_T0_T2_T3_T4_T5_.has_dyn_sized_stack, 0
	.set _ZN2at6native27unrolled_elementwise_kernelINS0_13BinaryFunctorIiibNS0_12_GLOBAL__N_116CompareEqFunctorIiEEEESt5arrayIPcLm3EELi4E23TrivialOffsetCalculatorILi2EjESA_ILi1EjENS0_6memory15LoadWithoutCastENSD_16StoreWithoutCastEEEviT_T0_T2_T3_T4_T5_.has_recursion, 0
	.set _ZN2at6native27unrolled_elementwise_kernelINS0_13BinaryFunctorIiibNS0_12_GLOBAL__N_116CompareEqFunctorIiEEEESt5arrayIPcLm3EELi4E23TrivialOffsetCalculatorILi2EjESA_ILi1EjENS0_6memory15LoadWithoutCastENSD_16StoreWithoutCastEEEviT_T0_T2_T3_T4_T5_.has_indirect_call, 0
	.section	.AMDGPU.csdata,"",@progbits
; Kernel info:
; codeLenInByte = 940
; TotalNumSgprs: 25
; NumVgprs: 15
; ScratchSize: 0
; MemoryBound: 0
; FloatMode: 240
; IeeeMode: 1
; LDSByteSize: 0 bytes/workgroup (compile time only)
; SGPRBlocks: 3
; VGPRBlocks: 3
; NumSGPRsForWavesPerEU: 25
; NumVGPRsForWavesPerEU: 15
; Occupancy: 10
; WaveLimiterHint : 0
; COMPUTE_PGM_RSRC2:SCRATCH_EN: 0
; COMPUTE_PGM_RSRC2:USER_SGPR: 6
; COMPUTE_PGM_RSRC2:TRAP_HANDLER: 0
; COMPUTE_PGM_RSRC2:TGID_X_EN: 1
; COMPUTE_PGM_RSRC2:TGID_Y_EN: 0
; COMPUTE_PGM_RSRC2:TGID_Z_EN: 0
; COMPUTE_PGM_RSRC2:TIDIG_COMP_CNT: 0
	.section	.text._ZN2at6native32elementwise_kernel_manual_unrollILi128ELi8EZNS0_22gpu_kernel_impl_nocastINS0_13BinaryFunctorIiibNS0_12_GLOBAL__N_116CompareEqFunctorIiEEEEEEvRNS_18TensorIteratorBaseERKT_EUlibE_EEviT1_,"axG",@progbits,_ZN2at6native32elementwise_kernel_manual_unrollILi128ELi8EZNS0_22gpu_kernel_impl_nocastINS0_13BinaryFunctorIiibNS0_12_GLOBAL__N_116CompareEqFunctorIiEEEEEEvRNS_18TensorIteratorBaseERKT_EUlibE_EEviT1_,comdat
	.globl	_ZN2at6native32elementwise_kernel_manual_unrollILi128ELi8EZNS0_22gpu_kernel_impl_nocastINS0_13BinaryFunctorIiibNS0_12_GLOBAL__N_116CompareEqFunctorIiEEEEEEvRNS_18TensorIteratorBaseERKT_EUlibE_EEviT1_ ; -- Begin function _ZN2at6native32elementwise_kernel_manual_unrollILi128ELi8EZNS0_22gpu_kernel_impl_nocastINS0_13BinaryFunctorIiibNS0_12_GLOBAL__N_116CompareEqFunctorIiEEEEEEvRNS_18TensorIteratorBaseERKT_EUlibE_EEviT1_
	.p2align	8
	.type	_ZN2at6native32elementwise_kernel_manual_unrollILi128ELi8EZNS0_22gpu_kernel_impl_nocastINS0_13BinaryFunctorIiibNS0_12_GLOBAL__N_116CompareEqFunctorIiEEEEEEvRNS_18TensorIteratorBaseERKT_EUlibE_EEviT1_,@function
_ZN2at6native32elementwise_kernel_manual_unrollILi128ELi8EZNS0_22gpu_kernel_impl_nocastINS0_13BinaryFunctorIiibNS0_12_GLOBAL__N_116CompareEqFunctorIiEEEEEEvRNS_18TensorIteratorBaseERKT_EUlibE_EEviT1_: ; @_ZN2at6native32elementwise_kernel_manual_unrollILi128ELi8EZNS0_22gpu_kernel_impl_nocastINS0_13BinaryFunctorIiibNS0_12_GLOBAL__N_116CompareEqFunctorIiEEEEEEvRNS_18TensorIteratorBaseERKT_EUlibE_EEviT1_
; %bb.0:
	s_load_dword s38, s[4:5], 0x0
	s_load_dword s33, s[4:5], 0x8
	s_add_u32 s12, s4, 8
	s_addc_u32 s13, s5, 0
	v_lshl_or_b32 v31, s6, 10, v0
	v_or_b32_e32 v41, 0x380, v31
	s_waitcnt lgkmcnt(0)
	s_add_i32 s36, s33, -1
	s_cmp_gt_u32 s36, 1
	v_cmp_le_i32_e32 vcc, s38, v41
	s_cselect_b64 s[14:15], -1, 0
	s_and_saveexec_b64 s[0:1], vcc
	s_xor_b64 s[16:17], exec, s[0:1]
	s_cbranch_execz .LBB37_106
; %bb.1:
	s_load_dwordx4 s[8:11], s[12:13], 0x4
	s_load_dwordx2 s[24:25], s[12:13], 0x14
	s_load_dwordx4 s[4:7], s[12:13], 0xc4
	s_load_dwordx2 s[22:23], s[12:13], 0xd4
	s_load_dword s20, s[12:13], 0x1a0
	s_cmp_lg_u32 s33, 0
	s_load_dwordx2 s[18:19], s[12:13], 0x198
	s_load_dwordx4 s[0:3], s[12:13], 0x188
	s_cselect_b64 s[28:29], -1, 0
	s_min_u32 s37, s36, 15
	s_cmp_gt_u32 s33, 1
	s_cselect_b64 s[26:27], -1, 0
	s_waitcnt lgkmcnt(0)
	s_cmp_eq_u32 s20, 0
	s_cselect_b64 s[20:21], -1, 0
	v_cmp_gt_i32_e32 vcc, s38, v31
	s_and_saveexec_b64 s[30:31], vcc
	s_cbranch_execnz .LBB37_9
; %bb.2:
	s_or_b64 exec, exec, s[30:31]
	v_cmp_gt_i32_e32 vcc, s38, v31
	s_and_saveexec_b64 s[30:31], vcc
	s_cbranch_execnz .LBB37_21
.LBB37_3:
	s_or_b64 exec, exec, s[30:31]
	v_cmp_gt_i32_e32 vcc, s38, v31
	s_and_saveexec_b64 s[30:31], vcc
	s_cbranch_execnz .LBB37_33
.LBB37_4:
	s_or_b64 exec, exec, s[30:31]
	v_cmp_gt_i32_e32 vcc, s38, v31
	s_and_saveexec_b64 s[30:31], vcc
	s_cbranch_execnz .LBB37_45
.LBB37_5:
	s_or_b64 exec, exec, s[30:31]
	v_cmp_gt_i32_e32 vcc, s38, v31
	s_and_saveexec_b64 s[30:31], vcc
	s_cbranch_execnz .LBB37_57
.LBB37_6:
	s_or_b64 exec, exec, s[30:31]
	v_cmp_gt_i32_e32 vcc, s38, v31
	s_and_saveexec_b64 s[30:31], vcc
	s_cbranch_execnz .LBB37_69
.LBB37_7:
	s_or_b64 exec, exec, s[30:31]
	v_cmp_gt_i32_e32 vcc, s38, v31
	s_and_saveexec_b64 s[30:31], vcc
	s_cbranch_execnz .LBB37_81
.LBB37_8:
	s_or_b64 exec, exec, s[30:31]
	v_cmp_gt_i32_e32 vcc, s38, v31
	s_and_saveexec_b64 s[30:31], vcc
	s_cbranch_execnz .LBB37_93
	s_branch .LBB37_105
.LBB37_9:
	s_andn2_b64 vcc, exec, s[14:15]
	s_cbranch_vccnz .LBB37_15
; %bb.10:
	s_andn2_b64 vcc, exec, s[28:29]
	s_cbranch_vccnz .LBB37_16
; %bb.11:
	s_add_i32 s34, s37, 1
	s_and_b32 s39, s34, 30
	s_add_u32 s34, s12, 0xffffffe8
	s_addc_u32 s35, s13, -1
	v_mov_b32_e32 v2, 0
	v_mov_b32_e32 v4, 0
	;; [unrolled: 1-line block ×4, first 2 shown]
.LBB37_12:                              ; =>This Inner Loop Header: Depth=1
	s_load_dwordx4 s[40:43], s[34:35], 0x1c
	s_load_dwordx2 s[48:49], s[34:35], 0x2c
	s_load_dwordx2 s[50:51], s[34:35], 0xec
	s_load_dwordx4 s[44:47], s[34:35], 0xdc
	s_add_u32 s34, s34, 24
	s_waitcnt lgkmcnt(0)
	v_mul_hi_u32 v3, s41, v1
	s_addc_u32 s35, s35, 0
	s_add_i32 s39, s39, -2
	s_cmp_lg_u32 s39, 0
	v_add_u32_e32 v3, v1, v3
	v_lshrrev_b32_e32 v3, s42, v3
	v_mul_lo_u32 v5, v3, s40
	v_mul_hi_u32 v6, s48, v3
	v_sub_u32_e32 v5, v1, v5
	v_add_u32_e32 v1, v3, v6
	v_lshrrev_b32_e32 v1, s49, v1
	v_mul_lo_u32 v8, v1, s43
	v_mul_lo_u32 v6, v5, s44
	;; [unrolled: 1-line block ×4, first 2 shown]
	v_sub_u32_e32 v3, v3, v8
	v_mul_lo_u32 v8, v3, s47
	v_mul_lo_u32 v9, v3, s50
	;; [unrolled: 1-line block ×3, first 2 shown]
	v_add3_u32 v0, v6, v0, v8
	v_add3_u32 v4, v7, v4, v9
	;; [unrolled: 1-line block ×3, first 2 shown]
	s_cbranch_scc1 .LBB37_12
; %bb.13:
	s_bitcmp1_b32 s37, 0
	s_cselect_b64 s[40:41], -1, 0
	s_and_b64 vcc, exec, s[40:41]
	s_cbranch_vccnz .LBB37_17
; %bb.14:
	s_load_dwordx2 s[40:41], s[34:35], 0x1c
	s_load_dword s39, s[34:35], 0x24
	s_load_dwordx2 s[42:43], s[34:35], 0xdc
	s_waitcnt lgkmcnt(0)
	v_mul_hi_u32 v3, s41, v1
	v_add_u32_e32 v3, v1, v3
	v_lshrrev_b32_e32 v3, s39, v3
	v_mul_lo_u32 v3, v3, s40
	s_load_dword s39, s[34:35], 0xe4
	v_sub_u32_e32 v3, v1, v3
	v_mad_u64_u32 v[0:1], s[34:35], v3, s42, v[0:1]
	v_mad_u64_u32 v[4:5], s[34:35], v3, s43, v[4:5]
	s_waitcnt lgkmcnt(0)
	v_mad_u64_u32 v[2:3], s[34:35], v3, s39, v[2:3]
	s_cbranch_execz .LBB37_18
	s_branch .LBB37_20
.LBB37_15:
                                        ; implicit-def: $vgpr0
                                        ; implicit-def: $vgpr4
                                        ; implicit-def: $vgpr2
	s_branch .LBB37_18
.LBB37_16:
	v_mov_b32_e32 v0, 0
	v_mov_b32_e32 v4, 0
	;; [unrolled: 1-line block ×3, first 2 shown]
.LBB37_17:
	s_cbranch_execnz .LBB37_20
.LBB37_18:
	v_mul_hi_u32 v0, s9, v31
	s_andn2_b64 vcc, exec, s[26:27]
	v_add_u32_e32 v0, v31, v0
	v_lshrrev_b32_e32 v1, s10, v0
	v_mul_lo_u32 v0, v1, s8
	v_sub_u32_e32 v2, v31, v0
	v_mul_lo_u32 v0, v2, s4
	v_mul_lo_u32 v4, v2, s5
	;; [unrolled: 1-line block ×3, first 2 shown]
	s_cbranch_vccnz .LBB37_20
; %bb.19:
	v_mul_hi_u32 v3, s24, v1
	v_add_u32_e32 v3, v1, v3
	v_lshrrev_b32_e32 v3, s25, v3
	v_mul_lo_u32 v3, v3, s11
	v_sub_u32_e32 v3, v1, v3
	v_mad_u64_u32 v[0:1], s[34:35], v3, s7, v[0:1]
	v_mad_u64_u32 v[4:5], s[34:35], v3, s22, v[4:5]
	v_mad_u64_u32 v[2:3], s[34:35], v3, s23, v[2:3]
.LBB37_20:
	global_load_dword v1, v4, s[2:3]
	global_load_dword v3, v2, s[18:19]
	v_add_u32_e32 v31, 0x80, v31
	s_waitcnt vmcnt(0)
	v_cmp_ne_u32_e32 vcc, v1, v3
	s_xor_b64 s[34:35], s[20:21], vcc
	v_cndmask_b32_e64 v1, 0, 1, s[34:35]
	global_store_byte v0, v1, s[0:1]
	s_or_b64 exec, exec, s[30:31]
	v_cmp_gt_i32_e32 vcc, s38, v31
	s_and_saveexec_b64 s[30:31], vcc
	s_cbranch_execz .LBB37_3
.LBB37_21:
	s_andn2_b64 vcc, exec, s[14:15]
	s_cbranch_vccnz .LBB37_27
; %bb.22:
	s_andn2_b64 vcc, exec, s[28:29]
	s_cbranch_vccnz .LBB37_28
; %bb.23:
	s_add_i32 s34, s37, 1
	s_and_b32 s39, s34, 30
	s_add_u32 s34, s12, 0xffffffe8
	s_addc_u32 s35, s13, -1
	v_mov_b32_e32 v2, 0
	v_mov_b32_e32 v4, 0
	;; [unrolled: 1-line block ×4, first 2 shown]
.LBB37_24:                              ; =>This Inner Loop Header: Depth=1
	s_load_dwordx4 s[40:43], s[34:35], 0x1c
	s_load_dwordx2 s[48:49], s[34:35], 0x2c
	s_load_dwordx2 s[50:51], s[34:35], 0xec
	s_load_dwordx4 s[44:47], s[34:35], 0xdc
	s_add_u32 s34, s34, 24
	s_waitcnt lgkmcnt(0)
	v_mul_hi_u32 v3, s41, v1
	s_addc_u32 s35, s35, 0
	s_add_i32 s39, s39, -2
	s_cmp_eq_u32 s39, 0
	v_add_u32_e32 v3, v1, v3
	v_lshrrev_b32_e32 v3, s42, v3
	v_mul_lo_u32 v5, v3, s40
	v_mul_hi_u32 v6, s48, v3
	v_sub_u32_e32 v5, v1, v5
	v_add_u32_e32 v1, v3, v6
	v_lshrrev_b32_e32 v1, s49, v1
	v_mul_lo_u32 v8, v1, s43
	v_mul_lo_u32 v6, v5, s44
	v_mul_lo_u32 v7, v5, s45
	v_mul_lo_u32 v5, v5, s46
	v_sub_u32_e32 v3, v3, v8
	v_mul_lo_u32 v8, v3, s47
	v_mul_lo_u32 v9, v3, s50
	v_mul_lo_u32 v3, v3, s51
	v_add3_u32 v0, v6, v0, v8
	v_add3_u32 v4, v7, v4, v9
	;; [unrolled: 1-line block ×3, first 2 shown]
	s_cbranch_scc0 .LBB37_24
; %bb.25:
	s_bitcmp1_b32 s37, 0
	s_cselect_b64 s[40:41], -1, 0
	s_and_b64 vcc, exec, s[40:41]
	s_cbranch_vccnz .LBB37_29
; %bb.26:
	s_load_dwordx2 s[40:41], s[34:35], 0x1c
	s_load_dword s39, s[34:35], 0x24
	s_load_dwordx2 s[42:43], s[34:35], 0xdc
	s_waitcnt lgkmcnt(0)
	v_mul_hi_u32 v3, s41, v1
	v_add_u32_e32 v3, v1, v3
	v_lshrrev_b32_e32 v3, s39, v3
	v_mul_lo_u32 v3, v3, s40
	s_load_dword s39, s[34:35], 0xe4
	v_sub_u32_e32 v3, v1, v3
	v_mad_u64_u32 v[0:1], s[34:35], v3, s42, v[0:1]
	v_mad_u64_u32 v[4:5], s[34:35], v3, s43, v[4:5]
	s_waitcnt lgkmcnt(0)
	v_mad_u64_u32 v[2:3], s[34:35], v3, s39, v[2:3]
	s_branch .LBB37_29
.LBB37_27:
                                        ; implicit-def: $vgpr0
                                        ; implicit-def: $vgpr4
                                        ; implicit-def: $vgpr2
	s_branch .LBB37_30
.LBB37_28:
	v_mov_b32_e32 v0, 0
	v_mov_b32_e32 v4, 0
	;; [unrolled: 1-line block ×3, first 2 shown]
.LBB37_29:
	s_cbranch_execnz .LBB37_32
.LBB37_30:
	v_mul_hi_u32 v0, s9, v31
	s_andn2_b64 vcc, exec, s[26:27]
	v_add_u32_e32 v0, v31, v0
	v_lshrrev_b32_e32 v1, s10, v0
	v_mul_lo_u32 v0, v1, s8
	v_sub_u32_e32 v2, v31, v0
	v_mul_lo_u32 v0, v2, s4
	v_mul_lo_u32 v4, v2, s5
	;; [unrolled: 1-line block ×3, first 2 shown]
	s_cbranch_vccnz .LBB37_32
; %bb.31:
	v_mul_hi_u32 v3, s24, v1
	v_add_u32_e32 v3, v1, v3
	v_lshrrev_b32_e32 v3, s25, v3
	v_mul_lo_u32 v3, v3, s11
	v_sub_u32_e32 v3, v1, v3
	v_mad_u64_u32 v[0:1], s[34:35], v3, s7, v[0:1]
	v_mad_u64_u32 v[4:5], s[34:35], v3, s22, v[4:5]
	;; [unrolled: 1-line block ×3, first 2 shown]
.LBB37_32:
	global_load_dword v1, v4, s[2:3]
	global_load_dword v3, v2, s[18:19]
	v_add_u32_e32 v31, 0x80, v31
	s_waitcnt vmcnt(0)
	v_cmp_ne_u32_e32 vcc, v1, v3
	s_xor_b64 s[34:35], s[20:21], vcc
	v_cndmask_b32_e64 v1, 0, 1, s[34:35]
	global_store_byte v0, v1, s[0:1]
	s_or_b64 exec, exec, s[30:31]
	v_cmp_gt_i32_e32 vcc, s38, v31
	s_and_saveexec_b64 s[30:31], vcc
	s_cbranch_execz .LBB37_4
.LBB37_33:
	s_andn2_b64 vcc, exec, s[14:15]
	s_cbranch_vccnz .LBB37_39
; %bb.34:
	s_andn2_b64 vcc, exec, s[28:29]
	s_cbranch_vccnz .LBB37_40
; %bb.35:
	s_add_i32 s34, s37, 1
	s_and_b32 s39, s34, 30
	s_add_u32 s34, s12, 0xffffffe8
	s_addc_u32 s35, s13, -1
	v_mov_b32_e32 v2, 0
	v_mov_b32_e32 v4, 0
	;; [unrolled: 1-line block ×4, first 2 shown]
.LBB37_36:                              ; =>This Inner Loop Header: Depth=1
	s_load_dwordx4 s[40:43], s[34:35], 0x1c
	s_load_dwordx2 s[48:49], s[34:35], 0x2c
	s_load_dwordx2 s[50:51], s[34:35], 0xec
	s_load_dwordx4 s[44:47], s[34:35], 0xdc
	s_add_u32 s34, s34, 24
	s_waitcnt lgkmcnt(0)
	v_mul_hi_u32 v3, s41, v1
	s_addc_u32 s35, s35, 0
	s_add_i32 s39, s39, -2
	s_cmp_eq_u32 s39, 0
	v_add_u32_e32 v3, v1, v3
	v_lshrrev_b32_e32 v3, s42, v3
	v_mul_lo_u32 v5, v3, s40
	v_mul_hi_u32 v6, s48, v3
	v_sub_u32_e32 v5, v1, v5
	v_add_u32_e32 v1, v3, v6
	v_lshrrev_b32_e32 v1, s49, v1
	v_mul_lo_u32 v8, v1, s43
	v_mul_lo_u32 v6, v5, s44
	v_mul_lo_u32 v7, v5, s45
	v_mul_lo_u32 v5, v5, s46
	v_sub_u32_e32 v3, v3, v8
	v_mul_lo_u32 v8, v3, s47
	v_mul_lo_u32 v9, v3, s50
	;; [unrolled: 1-line block ×3, first 2 shown]
	v_add3_u32 v0, v6, v0, v8
	v_add3_u32 v4, v7, v4, v9
	;; [unrolled: 1-line block ×3, first 2 shown]
	s_cbranch_scc0 .LBB37_36
; %bb.37:
	s_bitcmp1_b32 s37, 0
	s_cselect_b64 s[40:41], -1, 0
	s_and_b64 vcc, exec, s[40:41]
	s_cbranch_vccnz .LBB37_41
; %bb.38:
	s_load_dwordx2 s[40:41], s[34:35], 0x1c
	s_load_dword s39, s[34:35], 0x24
	s_load_dwordx2 s[42:43], s[34:35], 0xdc
	s_waitcnt lgkmcnt(0)
	v_mul_hi_u32 v3, s41, v1
	v_add_u32_e32 v3, v1, v3
	v_lshrrev_b32_e32 v3, s39, v3
	v_mul_lo_u32 v3, v3, s40
	s_load_dword s39, s[34:35], 0xe4
	v_sub_u32_e32 v3, v1, v3
	v_mad_u64_u32 v[0:1], s[34:35], v3, s42, v[0:1]
	v_mad_u64_u32 v[4:5], s[34:35], v3, s43, v[4:5]
	s_waitcnt lgkmcnt(0)
	v_mad_u64_u32 v[2:3], s[34:35], v3, s39, v[2:3]
	s_branch .LBB37_41
.LBB37_39:
                                        ; implicit-def: $vgpr0
                                        ; implicit-def: $vgpr4
                                        ; implicit-def: $vgpr2
	s_branch .LBB37_42
.LBB37_40:
	v_mov_b32_e32 v0, 0
	v_mov_b32_e32 v4, 0
	;; [unrolled: 1-line block ×3, first 2 shown]
.LBB37_41:
	s_cbranch_execnz .LBB37_44
.LBB37_42:
	v_mul_hi_u32 v0, s9, v31
	s_andn2_b64 vcc, exec, s[26:27]
	v_add_u32_e32 v0, v31, v0
	v_lshrrev_b32_e32 v1, s10, v0
	v_mul_lo_u32 v0, v1, s8
	v_sub_u32_e32 v2, v31, v0
	v_mul_lo_u32 v0, v2, s4
	v_mul_lo_u32 v4, v2, s5
	;; [unrolled: 1-line block ×3, first 2 shown]
	s_cbranch_vccnz .LBB37_44
; %bb.43:
	v_mul_hi_u32 v3, s24, v1
	v_add_u32_e32 v3, v1, v3
	v_lshrrev_b32_e32 v3, s25, v3
	v_mul_lo_u32 v3, v3, s11
	v_sub_u32_e32 v3, v1, v3
	v_mad_u64_u32 v[0:1], s[34:35], v3, s7, v[0:1]
	v_mad_u64_u32 v[4:5], s[34:35], v3, s22, v[4:5]
	;; [unrolled: 1-line block ×3, first 2 shown]
.LBB37_44:
	global_load_dword v1, v4, s[2:3]
	global_load_dword v3, v2, s[18:19]
	v_add_u32_e32 v31, 0x80, v31
	s_waitcnt vmcnt(0)
	v_cmp_ne_u32_e32 vcc, v1, v3
	s_xor_b64 s[34:35], s[20:21], vcc
	v_cndmask_b32_e64 v1, 0, 1, s[34:35]
	global_store_byte v0, v1, s[0:1]
	s_or_b64 exec, exec, s[30:31]
	v_cmp_gt_i32_e32 vcc, s38, v31
	s_and_saveexec_b64 s[30:31], vcc
	s_cbranch_execz .LBB37_5
.LBB37_45:
	s_andn2_b64 vcc, exec, s[14:15]
	s_cbranch_vccnz .LBB37_51
; %bb.46:
	s_andn2_b64 vcc, exec, s[28:29]
	s_cbranch_vccnz .LBB37_52
; %bb.47:
	s_add_i32 s34, s37, 1
	s_and_b32 s39, s34, 30
	s_add_u32 s34, s12, 0xffffffe8
	s_addc_u32 s35, s13, -1
	v_mov_b32_e32 v2, 0
	v_mov_b32_e32 v4, 0
	;; [unrolled: 1-line block ×4, first 2 shown]
.LBB37_48:                              ; =>This Inner Loop Header: Depth=1
	s_load_dwordx4 s[40:43], s[34:35], 0x1c
	s_load_dwordx2 s[48:49], s[34:35], 0x2c
	s_load_dwordx2 s[50:51], s[34:35], 0xec
	s_load_dwordx4 s[44:47], s[34:35], 0xdc
	s_add_u32 s34, s34, 24
	s_waitcnt lgkmcnt(0)
	v_mul_hi_u32 v3, s41, v1
	s_addc_u32 s35, s35, 0
	s_add_i32 s39, s39, -2
	s_cmp_eq_u32 s39, 0
	v_add_u32_e32 v3, v1, v3
	v_lshrrev_b32_e32 v3, s42, v3
	v_mul_lo_u32 v5, v3, s40
	v_mul_hi_u32 v6, s48, v3
	v_sub_u32_e32 v5, v1, v5
	v_add_u32_e32 v1, v3, v6
	v_lshrrev_b32_e32 v1, s49, v1
	v_mul_lo_u32 v8, v1, s43
	v_mul_lo_u32 v6, v5, s44
	;; [unrolled: 1-line block ×4, first 2 shown]
	v_sub_u32_e32 v3, v3, v8
	v_mul_lo_u32 v8, v3, s47
	v_mul_lo_u32 v9, v3, s50
	;; [unrolled: 1-line block ×3, first 2 shown]
	v_add3_u32 v0, v6, v0, v8
	v_add3_u32 v4, v7, v4, v9
	;; [unrolled: 1-line block ×3, first 2 shown]
	s_cbranch_scc0 .LBB37_48
; %bb.49:
	s_bitcmp1_b32 s37, 0
	s_cselect_b64 s[40:41], -1, 0
	s_and_b64 vcc, exec, s[40:41]
	s_cbranch_vccnz .LBB37_53
; %bb.50:
	s_load_dwordx2 s[40:41], s[34:35], 0x1c
	s_load_dword s39, s[34:35], 0x24
	s_load_dwordx2 s[42:43], s[34:35], 0xdc
	s_waitcnt lgkmcnt(0)
	v_mul_hi_u32 v3, s41, v1
	v_add_u32_e32 v3, v1, v3
	v_lshrrev_b32_e32 v3, s39, v3
	v_mul_lo_u32 v3, v3, s40
	s_load_dword s39, s[34:35], 0xe4
	v_sub_u32_e32 v3, v1, v3
	v_mad_u64_u32 v[0:1], s[34:35], v3, s42, v[0:1]
	v_mad_u64_u32 v[4:5], s[34:35], v3, s43, v[4:5]
	s_waitcnt lgkmcnt(0)
	v_mad_u64_u32 v[2:3], s[34:35], v3, s39, v[2:3]
	s_branch .LBB37_53
.LBB37_51:
                                        ; implicit-def: $vgpr0
                                        ; implicit-def: $vgpr4
                                        ; implicit-def: $vgpr2
	s_branch .LBB37_54
.LBB37_52:
	v_mov_b32_e32 v0, 0
	v_mov_b32_e32 v4, 0
	;; [unrolled: 1-line block ×3, first 2 shown]
.LBB37_53:
	s_cbranch_execnz .LBB37_56
.LBB37_54:
	v_mul_hi_u32 v0, s9, v31
	s_andn2_b64 vcc, exec, s[26:27]
	v_add_u32_e32 v0, v31, v0
	v_lshrrev_b32_e32 v1, s10, v0
	v_mul_lo_u32 v0, v1, s8
	v_sub_u32_e32 v2, v31, v0
	v_mul_lo_u32 v0, v2, s4
	v_mul_lo_u32 v4, v2, s5
	;; [unrolled: 1-line block ×3, first 2 shown]
	s_cbranch_vccnz .LBB37_56
; %bb.55:
	v_mul_hi_u32 v3, s24, v1
	v_add_u32_e32 v3, v1, v3
	v_lshrrev_b32_e32 v3, s25, v3
	v_mul_lo_u32 v3, v3, s11
	v_sub_u32_e32 v3, v1, v3
	v_mad_u64_u32 v[0:1], s[34:35], v3, s7, v[0:1]
	v_mad_u64_u32 v[4:5], s[34:35], v3, s22, v[4:5]
	;; [unrolled: 1-line block ×3, first 2 shown]
.LBB37_56:
	global_load_dword v1, v4, s[2:3]
	global_load_dword v3, v2, s[18:19]
	v_add_u32_e32 v31, 0x80, v31
	s_waitcnt vmcnt(0)
	v_cmp_ne_u32_e32 vcc, v1, v3
	s_xor_b64 s[34:35], s[20:21], vcc
	v_cndmask_b32_e64 v1, 0, 1, s[34:35]
	global_store_byte v0, v1, s[0:1]
	s_or_b64 exec, exec, s[30:31]
	v_cmp_gt_i32_e32 vcc, s38, v31
	s_and_saveexec_b64 s[30:31], vcc
	s_cbranch_execz .LBB37_6
.LBB37_57:
	s_andn2_b64 vcc, exec, s[14:15]
	s_cbranch_vccnz .LBB37_63
; %bb.58:
	s_andn2_b64 vcc, exec, s[28:29]
	s_cbranch_vccnz .LBB37_64
; %bb.59:
	s_add_i32 s34, s37, 1
	s_and_b32 s39, s34, 30
	s_add_u32 s34, s12, 0xffffffe8
	s_addc_u32 s35, s13, -1
	v_mov_b32_e32 v2, 0
	v_mov_b32_e32 v4, 0
	;; [unrolled: 1-line block ×4, first 2 shown]
.LBB37_60:                              ; =>This Inner Loop Header: Depth=1
	s_load_dwordx4 s[40:43], s[34:35], 0x1c
	s_load_dwordx2 s[48:49], s[34:35], 0x2c
	s_load_dwordx2 s[50:51], s[34:35], 0xec
	s_load_dwordx4 s[44:47], s[34:35], 0xdc
	s_add_u32 s34, s34, 24
	s_waitcnt lgkmcnt(0)
	v_mul_hi_u32 v3, s41, v1
	s_addc_u32 s35, s35, 0
	s_add_i32 s39, s39, -2
	s_cmp_eq_u32 s39, 0
	v_add_u32_e32 v3, v1, v3
	v_lshrrev_b32_e32 v3, s42, v3
	v_mul_lo_u32 v5, v3, s40
	v_mul_hi_u32 v6, s48, v3
	v_sub_u32_e32 v5, v1, v5
	v_add_u32_e32 v1, v3, v6
	v_lshrrev_b32_e32 v1, s49, v1
	v_mul_lo_u32 v8, v1, s43
	v_mul_lo_u32 v6, v5, s44
	;; [unrolled: 1-line block ×4, first 2 shown]
	v_sub_u32_e32 v3, v3, v8
	v_mul_lo_u32 v8, v3, s47
	v_mul_lo_u32 v9, v3, s50
	;; [unrolled: 1-line block ×3, first 2 shown]
	v_add3_u32 v0, v6, v0, v8
	v_add3_u32 v4, v7, v4, v9
	;; [unrolled: 1-line block ×3, first 2 shown]
	s_cbranch_scc0 .LBB37_60
; %bb.61:
	s_bitcmp1_b32 s37, 0
	s_cselect_b64 s[40:41], -1, 0
	s_and_b64 vcc, exec, s[40:41]
	s_cbranch_vccnz .LBB37_65
; %bb.62:
	s_load_dwordx2 s[40:41], s[34:35], 0x1c
	s_load_dword s39, s[34:35], 0x24
	s_load_dwordx2 s[42:43], s[34:35], 0xdc
	s_waitcnt lgkmcnt(0)
	v_mul_hi_u32 v3, s41, v1
	v_add_u32_e32 v3, v1, v3
	v_lshrrev_b32_e32 v3, s39, v3
	v_mul_lo_u32 v3, v3, s40
	s_load_dword s39, s[34:35], 0xe4
	v_sub_u32_e32 v3, v1, v3
	v_mad_u64_u32 v[0:1], s[34:35], v3, s42, v[0:1]
	v_mad_u64_u32 v[4:5], s[34:35], v3, s43, v[4:5]
	s_waitcnt lgkmcnt(0)
	v_mad_u64_u32 v[2:3], s[34:35], v3, s39, v[2:3]
	s_branch .LBB37_65
.LBB37_63:
                                        ; implicit-def: $vgpr0
                                        ; implicit-def: $vgpr4
                                        ; implicit-def: $vgpr2
	s_branch .LBB37_66
.LBB37_64:
	v_mov_b32_e32 v0, 0
	v_mov_b32_e32 v4, 0
	v_mov_b32_e32 v2, 0
.LBB37_65:
	s_cbranch_execnz .LBB37_68
.LBB37_66:
	v_mul_hi_u32 v0, s9, v31
	s_andn2_b64 vcc, exec, s[26:27]
	v_add_u32_e32 v0, v31, v0
	v_lshrrev_b32_e32 v1, s10, v0
	v_mul_lo_u32 v0, v1, s8
	v_sub_u32_e32 v2, v31, v0
	v_mul_lo_u32 v0, v2, s4
	v_mul_lo_u32 v4, v2, s5
	;; [unrolled: 1-line block ×3, first 2 shown]
	s_cbranch_vccnz .LBB37_68
; %bb.67:
	v_mul_hi_u32 v3, s24, v1
	v_add_u32_e32 v3, v1, v3
	v_lshrrev_b32_e32 v3, s25, v3
	v_mul_lo_u32 v3, v3, s11
	v_sub_u32_e32 v3, v1, v3
	v_mad_u64_u32 v[0:1], s[34:35], v3, s7, v[0:1]
	v_mad_u64_u32 v[4:5], s[34:35], v3, s22, v[4:5]
	;; [unrolled: 1-line block ×3, first 2 shown]
.LBB37_68:
	global_load_dword v1, v4, s[2:3]
	global_load_dword v3, v2, s[18:19]
	v_add_u32_e32 v31, 0x80, v31
	s_waitcnt vmcnt(0)
	v_cmp_ne_u32_e32 vcc, v1, v3
	s_xor_b64 s[34:35], s[20:21], vcc
	v_cndmask_b32_e64 v1, 0, 1, s[34:35]
	global_store_byte v0, v1, s[0:1]
	s_or_b64 exec, exec, s[30:31]
	v_cmp_gt_i32_e32 vcc, s38, v31
	s_and_saveexec_b64 s[30:31], vcc
	s_cbranch_execz .LBB37_7
.LBB37_69:
	s_andn2_b64 vcc, exec, s[14:15]
	s_cbranch_vccnz .LBB37_75
; %bb.70:
	s_andn2_b64 vcc, exec, s[28:29]
	s_cbranch_vccnz .LBB37_76
; %bb.71:
	s_add_i32 s34, s37, 1
	s_and_b32 s39, s34, 30
	s_add_u32 s34, s12, 0xffffffe8
	s_addc_u32 s35, s13, -1
	v_mov_b32_e32 v2, 0
	v_mov_b32_e32 v4, 0
	v_mov_b32_e32 v0, 0
	v_mov_b32_e32 v1, v31
.LBB37_72:                              ; =>This Inner Loop Header: Depth=1
	s_load_dwordx4 s[40:43], s[34:35], 0x1c
	s_load_dwordx2 s[48:49], s[34:35], 0x2c
	s_load_dwordx2 s[50:51], s[34:35], 0xec
	s_load_dwordx4 s[44:47], s[34:35], 0xdc
	s_add_u32 s34, s34, 24
	s_waitcnt lgkmcnt(0)
	v_mul_hi_u32 v3, s41, v1
	s_addc_u32 s35, s35, 0
	s_add_i32 s39, s39, -2
	s_cmp_eq_u32 s39, 0
	v_add_u32_e32 v3, v1, v3
	v_lshrrev_b32_e32 v3, s42, v3
	v_mul_lo_u32 v5, v3, s40
	v_mul_hi_u32 v6, s48, v3
	v_sub_u32_e32 v5, v1, v5
	v_add_u32_e32 v1, v3, v6
	v_lshrrev_b32_e32 v1, s49, v1
	v_mul_lo_u32 v8, v1, s43
	v_mul_lo_u32 v6, v5, s44
	;; [unrolled: 1-line block ×4, first 2 shown]
	v_sub_u32_e32 v3, v3, v8
	v_mul_lo_u32 v8, v3, s47
	v_mul_lo_u32 v9, v3, s50
	v_mul_lo_u32 v3, v3, s51
	v_add3_u32 v0, v6, v0, v8
	v_add3_u32 v4, v7, v4, v9
	;; [unrolled: 1-line block ×3, first 2 shown]
	s_cbranch_scc0 .LBB37_72
; %bb.73:
	s_bitcmp1_b32 s37, 0
	s_cselect_b64 s[40:41], -1, 0
	s_and_b64 vcc, exec, s[40:41]
	s_cbranch_vccnz .LBB37_77
; %bb.74:
	s_load_dwordx2 s[40:41], s[34:35], 0x1c
	s_load_dword s39, s[34:35], 0x24
	s_load_dwordx2 s[42:43], s[34:35], 0xdc
	s_waitcnt lgkmcnt(0)
	v_mul_hi_u32 v3, s41, v1
	v_add_u32_e32 v3, v1, v3
	v_lshrrev_b32_e32 v3, s39, v3
	v_mul_lo_u32 v3, v3, s40
	s_load_dword s39, s[34:35], 0xe4
	v_sub_u32_e32 v3, v1, v3
	v_mad_u64_u32 v[0:1], s[34:35], v3, s42, v[0:1]
	v_mad_u64_u32 v[4:5], s[34:35], v3, s43, v[4:5]
	s_waitcnt lgkmcnt(0)
	v_mad_u64_u32 v[2:3], s[34:35], v3, s39, v[2:3]
	s_branch .LBB37_77
.LBB37_75:
                                        ; implicit-def: $vgpr0
                                        ; implicit-def: $vgpr4
                                        ; implicit-def: $vgpr2
	s_branch .LBB37_78
.LBB37_76:
	v_mov_b32_e32 v0, 0
	v_mov_b32_e32 v4, 0
	v_mov_b32_e32 v2, 0
.LBB37_77:
	s_cbranch_execnz .LBB37_80
.LBB37_78:
	v_mul_hi_u32 v0, s9, v31
	s_andn2_b64 vcc, exec, s[26:27]
	v_add_u32_e32 v0, v31, v0
	v_lshrrev_b32_e32 v1, s10, v0
	v_mul_lo_u32 v0, v1, s8
	v_sub_u32_e32 v2, v31, v0
	v_mul_lo_u32 v0, v2, s4
	v_mul_lo_u32 v4, v2, s5
	;; [unrolled: 1-line block ×3, first 2 shown]
	s_cbranch_vccnz .LBB37_80
; %bb.79:
	v_mul_hi_u32 v3, s24, v1
	v_add_u32_e32 v3, v1, v3
	v_lshrrev_b32_e32 v3, s25, v3
	v_mul_lo_u32 v3, v3, s11
	v_sub_u32_e32 v3, v1, v3
	v_mad_u64_u32 v[0:1], s[34:35], v3, s7, v[0:1]
	v_mad_u64_u32 v[4:5], s[34:35], v3, s22, v[4:5]
	;; [unrolled: 1-line block ×3, first 2 shown]
.LBB37_80:
	global_load_dword v1, v4, s[2:3]
	global_load_dword v3, v2, s[18:19]
	v_add_u32_e32 v31, 0x80, v31
	s_waitcnt vmcnt(0)
	v_cmp_ne_u32_e32 vcc, v1, v3
	s_xor_b64 s[34:35], s[20:21], vcc
	v_cndmask_b32_e64 v1, 0, 1, s[34:35]
	global_store_byte v0, v1, s[0:1]
	s_or_b64 exec, exec, s[30:31]
	v_cmp_gt_i32_e32 vcc, s38, v31
	s_and_saveexec_b64 s[30:31], vcc
	s_cbranch_execz .LBB37_8
.LBB37_81:
	s_andn2_b64 vcc, exec, s[14:15]
	s_cbranch_vccnz .LBB37_87
; %bb.82:
	s_andn2_b64 vcc, exec, s[28:29]
	s_cbranch_vccnz .LBB37_88
; %bb.83:
	s_add_i32 s34, s37, 1
	s_and_b32 s39, s34, 30
	s_add_u32 s34, s12, 0xffffffe8
	s_addc_u32 s35, s13, -1
	v_mov_b32_e32 v2, 0
	v_mov_b32_e32 v4, 0
	;; [unrolled: 1-line block ×4, first 2 shown]
.LBB37_84:                              ; =>This Inner Loop Header: Depth=1
	s_load_dwordx4 s[40:43], s[34:35], 0x1c
	s_load_dwordx2 s[48:49], s[34:35], 0x2c
	s_load_dwordx2 s[50:51], s[34:35], 0xec
	s_load_dwordx4 s[44:47], s[34:35], 0xdc
	s_add_u32 s34, s34, 24
	s_waitcnt lgkmcnt(0)
	v_mul_hi_u32 v3, s41, v1
	s_addc_u32 s35, s35, 0
	s_add_i32 s39, s39, -2
	s_cmp_eq_u32 s39, 0
	v_add_u32_e32 v3, v1, v3
	v_lshrrev_b32_e32 v3, s42, v3
	v_mul_lo_u32 v5, v3, s40
	v_mul_hi_u32 v6, s48, v3
	v_sub_u32_e32 v5, v1, v5
	v_add_u32_e32 v1, v3, v6
	v_lshrrev_b32_e32 v1, s49, v1
	v_mul_lo_u32 v8, v1, s43
	v_mul_lo_u32 v6, v5, s44
	;; [unrolled: 1-line block ×4, first 2 shown]
	v_sub_u32_e32 v3, v3, v8
	v_mul_lo_u32 v8, v3, s47
	v_mul_lo_u32 v9, v3, s50
	;; [unrolled: 1-line block ×3, first 2 shown]
	v_add3_u32 v0, v6, v0, v8
	v_add3_u32 v4, v7, v4, v9
	;; [unrolled: 1-line block ×3, first 2 shown]
	s_cbranch_scc0 .LBB37_84
; %bb.85:
	s_bitcmp1_b32 s37, 0
	s_cselect_b64 s[40:41], -1, 0
	s_and_b64 vcc, exec, s[40:41]
	s_cbranch_vccnz .LBB37_89
; %bb.86:
	s_load_dwordx2 s[40:41], s[34:35], 0x1c
	s_load_dword s39, s[34:35], 0x24
	s_load_dwordx2 s[42:43], s[34:35], 0xdc
	s_waitcnt lgkmcnt(0)
	v_mul_hi_u32 v3, s41, v1
	v_add_u32_e32 v3, v1, v3
	v_lshrrev_b32_e32 v3, s39, v3
	v_mul_lo_u32 v3, v3, s40
	s_load_dword s39, s[34:35], 0xe4
	v_sub_u32_e32 v3, v1, v3
	v_mad_u64_u32 v[0:1], s[34:35], v3, s42, v[0:1]
	v_mad_u64_u32 v[4:5], s[34:35], v3, s43, v[4:5]
	s_waitcnt lgkmcnt(0)
	v_mad_u64_u32 v[2:3], s[34:35], v3, s39, v[2:3]
	s_branch .LBB37_89
.LBB37_87:
                                        ; implicit-def: $vgpr0
                                        ; implicit-def: $vgpr4
                                        ; implicit-def: $vgpr2
	s_branch .LBB37_90
.LBB37_88:
	v_mov_b32_e32 v0, 0
	v_mov_b32_e32 v4, 0
	;; [unrolled: 1-line block ×3, first 2 shown]
.LBB37_89:
	s_cbranch_execnz .LBB37_92
.LBB37_90:
	v_mul_hi_u32 v0, s9, v31
	s_andn2_b64 vcc, exec, s[26:27]
	v_add_u32_e32 v0, v31, v0
	v_lshrrev_b32_e32 v1, s10, v0
	v_mul_lo_u32 v0, v1, s8
	v_sub_u32_e32 v2, v31, v0
	v_mul_lo_u32 v0, v2, s4
	v_mul_lo_u32 v4, v2, s5
	;; [unrolled: 1-line block ×3, first 2 shown]
	s_cbranch_vccnz .LBB37_92
; %bb.91:
	v_mul_hi_u32 v3, s24, v1
	v_add_u32_e32 v3, v1, v3
	v_lshrrev_b32_e32 v3, s25, v3
	v_mul_lo_u32 v3, v3, s11
	v_sub_u32_e32 v3, v1, v3
	v_mad_u64_u32 v[0:1], s[34:35], v3, s7, v[0:1]
	v_mad_u64_u32 v[4:5], s[34:35], v3, s22, v[4:5]
	;; [unrolled: 1-line block ×3, first 2 shown]
.LBB37_92:
	global_load_dword v1, v4, s[2:3]
	global_load_dword v3, v2, s[18:19]
	v_add_u32_e32 v31, 0x80, v31
	s_waitcnt vmcnt(0)
	v_cmp_ne_u32_e32 vcc, v1, v3
	s_xor_b64 s[34:35], s[20:21], vcc
	v_cndmask_b32_e64 v1, 0, 1, s[34:35]
	global_store_byte v0, v1, s[0:1]
	s_or_b64 exec, exec, s[30:31]
	v_cmp_gt_i32_e32 vcc, s38, v31
	s_and_saveexec_b64 s[30:31], vcc
	s_cbranch_execz .LBB37_105
.LBB37_93:
	s_andn2_b64 vcc, exec, s[14:15]
	s_cbranch_vccnz .LBB37_99
; %bb.94:
	s_andn2_b64 vcc, exec, s[28:29]
	s_cbranch_vccnz .LBB37_100
; %bb.95:
	s_add_i32 s28, s37, 1
	s_and_b32 s34, s28, 30
	s_add_u32 s28, s12, 0xffffffe8
	s_addc_u32 s29, s13, -1
	v_mov_b32_e32 v4, 0
	v_mov_b32_e32 v2, 0
	;; [unrolled: 1-line block ×4, first 2 shown]
.LBB37_96:                              ; =>This Inner Loop Header: Depth=1
	s_load_dwordx4 s[40:43], s[28:29], 0x1c
	s_load_dwordx2 s[38:39], s[28:29], 0x2c
	s_load_dwordx2 s[48:49], s[28:29], 0xec
	s_load_dwordx4 s[44:47], s[28:29], 0xdc
	s_add_u32 s28, s28, 24
	s_waitcnt lgkmcnt(0)
	v_mul_hi_u32 v3, s41, v1
	s_addc_u32 s29, s29, 0
	s_add_i32 s34, s34, -2
	s_cmp_eq_u32 s34, 0
	v_add_u32_e32 v3, v1, v3
	v_lshrrev_b32_e32 v3, s42, v3
	v_mul_lo_u32 v5, v3, s40
	v_mul_hi_u32 v6, s38, v3
	v_sub_u32_e32 v5, v1, v5
	v_add_u32_e32 v1, v3, v6
	v_lshrrev_b32_e32 v1, s39, v1
	v_mul_lo_u32 v8, v1, s43
	v_mul_lo_u32 v6, v5, s44
	;; [unrolled: 1-line block ×4, first 2 shown]
	v_sub_u32_e32 v3, v3, v8
	v_mul_lo_u32 v8, v3, s47
	v_mul_lo_u32 v9, v3, s48
	;; [unrolled: 1-line block ×3, first 2 shown]
	v_add3_u32 v0, v6, v0, v8
	v_add3_u32 v2, v7, v2, v9
	;; [unrolled: 1-line block ×3, first 2 shown]
	s_cbranch_scc0 .LBB37_96
; %bb.97:
	s_bitcmp1_b32 s37, 0
	s_cselect_b64 s[34:35], -1, 0
	s_and_b64 vcc, exec, s[34:35]
	s_cbranch_vccnz .LBB37_101
; %bb.98:
	s_load_dwordx2 s[34:35], s[28:29], 0x1c
	s_load_dword s37, s[28:29], 0x24
	s_load_dwordx2 s[38:39], s[28:29], 0xdc
	s_waitcnt lgkmcnt(0)
	v_mul_hi_u32 v3, s35, v1
	v_add_u32_e32 v3, v1, v3
	v_lshrrev_b32_e32 v3, s37, v3
	v_mul_lo_u32 v3, v3, s34
	s_load_dword s34, s[28:29], 0xe4
	v_sub_u32_e32 v5, v1, v3
	v_mad_u64_u32 v[0:1], s[28:29], v5, s38, v[0:1]
	v_mad_u64_u32 v[2:3], s[28:29], v5, s39, v[2:3]
	s_waitcnt lgkmcnt(0)
	v_mad_u64_u32 v[4:5], s[28:29], v5, s34, v[4:5]
	s_branch .LBB37_101
.LBB37_99:
                                        ; implicit-def: $vgpr0
                                        ; implicit-def: $vgpr2
                                        ; implicit-def: $vgpr4
	s_branch .LBB37_102
.LBB37_100:
	v_mov_b32_e32 v0, 0
	v_mov_b32_e32 v2, 0
	;; [unrolled: 1-line block ×3, first 2 shown]
.LBB37_101:
	s_cbranch_execnz .LBB37_104
.LBB37_102:
	v_mul_hi_u32 v0, s9, v31
	s_andn2_b64 vcc, exec, s[26:27]
	v_add_u32_e32 v0, v31, v0
	v_lshrrev_b32_e32 v1, s10, v0
	v_mul_lo_u32 v0, v1, s8
	v_sub_u32_e32 v3, v31, v0
	v_mul_lo_u32 v0, v3, s4
	v_mul_lo_u32 v2, v3, s5
	;; [unrolled: 1-line block ×3, first 2 shown]
	s_cbranch_vccnz .LBB37_104
; %bb.103:
	v_mul_hi_u32 v3, s24, v1
	v_add_u32_e32 v3, v1, v3
	v_lshrrev_b32_e32 v3, s25, v3
	v_mul_lo_u32 v3, v3, s11
	v_sub_u32_e32 v5, v1, v3
	v_mad_u64_u32 v[0:1], s[4:5], v5, s7, v[0:1]
	v_mad_u64_u32 v[2:3], s[4:5], v5, s22, v[2:3]
	;; [unrolled: 1-line block ×3, first 2 shown]
.LBB37_104:
	global_load_dword v1, v2, s[2:3]
	global_load_dword v3, v4, s[18:19]
	s_waitcnt vmcnt(0)
	v_cmp_ne_u32_e32 vcc, v1, v3
	s_xor_b64 s[2:3], s[20:21], vcc
	v_cndmask_b32_e64 v1, 0, 1, s[2:3]
	global_store_byte v0, v1, s[0:1]
.LBB37_105:
	s_or_b64 exec, exec, s[30:31]
                                        ; implicit-def: $vgpr41
                                        ; implicit-def: $vgpr31
.LBB37_106:
	s_andn2_saveexec_b64 s[0:1], s[16:17]
	s_cbranch_execz .LBB37_113
; %bb.107:
	v_cndmask_b32_e64 v0, 0, 1, s[14:15]
	v_cmp_ne_u32_e64 s[0:1], 1, v0
	s_andn2_b64 vcc, exec, s[14:15]
	s_cbranch_vccnz .LBB37_114
; %bb.108:
	s_cmp_lg_u32 s33, 0
	s_cbranch_scc0 .LBB37_115
; %bb.109:
	s_min_u32 s4, s36, 15
	s_add_i32 s2, s4, 1
	s_and_b32 s5, s2, 30
	s_add_u32 s2, s12, 0xffffffe8
	s_addc_u32 s3, s13, -1
	v_mov_b32_e32 v2, 0
	v_mov_b32_e32 v4, 0
	;; [unrolled: 1-line block ×4, first 2 shown]
.LBB37_110:                             ; =>This Inner Loop Header: Depth=1
	s_load_dwordx4 s[8:11], s[2:3], 0x1c
	s_load_dwordx2 s[6:7], s[2:3], 0x2c
	s_load_dwordx2 s[14:15], s[2:3], 0xec
	s_load_dwordx4 s[16:19], s[2:3], 0xdc
	s_add_u32 s2, s2, 24
	s_waitcnt lgkmcnt(0)
	v_mul_hi_u32 v3, s9, v1
	s_addc_u32 s3, s3, 0
	s_add_i32 s5, s5, -2
	s_cmp_lg_u32 s5, 0
	v_add_u32_e32 v3, v1, v3
	v_lshrrev_b32_e32 v3, s10, v3
	v_mul_lo_u32 v5, v3, s8
	v_mul_hi_u32 v6, s6, v3
	v_sub_u32_e32 v5, v1, v5
	v_add_u32_e32 v1, v3, v6
	v_lshrrev_b32_e32 v1, s7, v1
	v_mul_lo_u32 v8, v1, s11
	v_mul_lo_u32 v6, v5, s16
	;; [unrolled: 1-line block ×4, first 2 shown]
	v_sub_u32_e32 v3, v3, v8
	v_mul_lo_u32 v8, v3, s19
	v_mul_lo_u32 v9, v3, s14
	;; [unrolled: 1-line block ×3, first 2 shown]
	v_add3_u32 v0, v6, v0, v8
	v_add3_u32 v4, v7, v4, v9
	;; [unrolled: 1-line block ×3, first 2 shown]
	s_cbranch_scc1 .LBB37_110
; %bb.111:
	s_bitcmp1_b32 s4, 0
	s_cselect_b64 s[4:5], -1, 0
	s_and_b64 vcc, exec, s[4:5]
	s_cbranch_vccnz .LBB37_116
; %bb.112:
	s_load_dwordx2 s[4:5], s[2:3], 0x1c
	s_load_dword s8, s[2:3], 0x24
	s_load_dwordx2 s[6:7], s[2:3], 0xdc
	s_waitcnt lgkmcnt(0)
	v_mul_hi_u32 v3, s5, v1
	v_add_u32_e32 v3, v1, v3
	v_lshrrev_b32_e32 v3, s8, v3
	v_mul_lo_u32 v3, v3, s4
	s_load_dword s4, s[2:3], 0xe4
	v_sub_u32_e32 v3, v1, v3
	v_mad_u64_u32 v[0:1], s[2:3], v3, s6, v[0:1]
	v_mad_u64_u32 v[4:5], s[2:3], v3, s7, v[4:5]
	s_waitcnt lgkmcnt(0)
	v_mad_u64_u32 v[2:3], s[2:3], v3, s4, v[2:3]
	s_cbranch_execz .LBB37_117
	s_branch .LBB37_119
.LBB37_113:
	s_endpgm
.LBB37_114:
                                        ; implicit-def: $vgpr0
                                        ; implicit-def: $vgpr4
                                        ; implicit-def: $vgpr2
	s_branch .LBB37_117
.LBB37_115:
	v_mov_b32_e32 v0, 0
	v_mov_b32_e32 v4, 0
	;; [unrolled: 1-line block ×3, first 2 shown]
.LBB37_116:
	s_cbranch_execnz .LBB37_119
.LBB37_117:
	s_load_dwordx4 s[4:7], s[12:13], 0x4
	s_load_dwordx4 s[8:11], s[12:13], 0xc4
	s_cmp_lt_u32 s33, 2
	s_waitcnt lgkmcnt(0)
	v_mul_hi_u32 v0, s5, v31
	v_add_u32_e32 v0, v31, v0
	v_lshrrev_b32_e32 v1, s6, v0
	v_mul_lo_u32 v0, v1, s4
	v_sub_u32_e32 v2, v31, v0
	v_mul_lo_u32 v0, v2, s8
	v_mul_lo_u32 v4, v2, s9
	;; [unrolled: 1-line block ×3, first 2 shown]
	s_cbranch_scc1 .LBB37_119
; %bb.118:
	s_load_dwordx4 s[4:7], s[12:13], 0x10
	s_load_dwordx4 s[8:11], s[12:13], 0xd0
	s_waitcnt lgkmcnt(0)
	v_mul_hi_u32 v3, s5, v1
	v_add_u32_e32 v3, v1, v3
	v_lshrrev_b32_e32 v3, s6, v3
	v_mul_lo_u32 v3, v3, s4
	v_sub_u32_e32 v3, v1, v3
	v_mad_u64_u32 v[0:1], s[2:3], v3, s8, v[0:1]
	v_mad_u64_u32 v[4:5], s[2:3], v3, s9, v[4:5]
	;; [unrolled: 1-line block ×3, first 2 shown]
.LBB37_119:
	s_and_b64 vcc, exec, s[0:1]
	v_add_u32_e32 v1, 0x80, v31
	s_cbranch_vccnz .LBB37_125
; %bb.120:
	s_cmp_lg_u32 s33, 0
	s_cbranch_scc0 .LBB37_126
; %bb.121:
	s_min_u32 s4, s36, 15
	s_add_i32 s2, s4, 1
	s_and_b32 s5, s2, 30
	s_add_u32 s2, s12, 0xffffffe8
	s_addc_u32 s3, s13, -1
	v_mov_b32_e32 v7, 0
	v_mov_b32_e32 v9, 0
	;; [unrolled: 1-line block ×4, first 2 shown]
.LBB37_122:                             ; =>This Inner Loop Header: Depth=1
	s_load_dwordx4 s[8:11], s[2:3], 0x1c
	s_load_dwordx2 s[6:7], s[2:3], 0x2c
	s_load_dwordx2 s[14:15], s[2:3], 0xec
	s_load_dwordx4 s[16:19], s[2:3], 0xdc
	s_add_u32 s2, s2, 24
	s_waitcnt lgkmcnt(0)
	v_mul_hi_u32 v6, s9, v3
	s_addc_u32 s3, s3, 0
	s_add_i32 s5, s5, -2
	s_cmp_lg_u32 s5, 0
	v_add_u32_e32 v6, v3, v6
	v_lshrrev_b32_e32 v6, s10, v6
	v_mul_lo_u32 v8, v6, s8
	v_mul_hi_u32 v10, s6, v6
	v_sub_u32_e32 v8, v3, v8
	v_add_u32_e32 v3, v6, v10
	v_lshrrev_b32_e32 v3, s7, v3
	v_mul_lo_u32 v12, v3, s11
	v_mul_lo_u32 v10, v8, s16
	;; [unrolled: 1-line block ×4, first 2 shown]
	v_sub_u32_e32 v6, v6, v12
	v_mul_lo_u32 v12, v6, s19
	v_mul_lo_u32 v13, v6, s14
	;; [unrolled: 1-line block ×3, first 2 shown]
	v_add3_u32 v5, v10, v5, v12
	v_add3_u32 v9, v11, v9, v13
	;; [unrolled: 1-line block ×3, first 2 shown]
	s_cbranch_scc1 .LBB37_122
; %bb.123:
	s_bitcmp1_b32 s4, 0
	s_cselect_b64 s[4:5], -1, 0
	s_and_b64 vcc, exec, s[4:5]
	s_cbranch_vccnz .LBB37_127
; %bb.124:
	s_load_dwordx2 s[4:5], s[2:3], 0x1c
	s_load_dword s8, s[2:3], 0x24
	s_load_dwordx2 s[6:7], s[2:3], 0xdc
	s_waitcnt lgkmcnt(0)
	v_mul_hi_u32 v6, s5, v3
	v_add_u32_e32 v6, v3, v6
	v_lshrrev_b32_e32 v6, s8, v6
	v_mul_lo_u32 v6, v6, s4
	s_load_dword s4, s[2:3], 0xe4
	v_sub_u32_e32 v3, v3, v6
	v_mad_u64_u32 v[5:6], s[2:3], v3, s6, v[5:6]
	v_mad_u64_u32 v[9:10], s[2:3], v3, s7, v[9:10]
	s_waitcnt lgkmcnt(0)
	v_mad_u64_u32 v[7:8], s[2:3], v3, s4, v[7:8]
	s_cbranch_execz .LBB37_128
	s_branch .LBB37_130
.LBB37_125:
                                        ; implicit-def: $vgpr5
                                        ; implicit-def: $vgpr9
                                        ; implicit-def: $vgpr7
	s_branch .LBB37_128
.LBB37_126:
	v_mov_b32_e32 v5, 0
	v_mov_b32_e32 v9, 0
	;; [unrolled: 1-line block ×3, first 2 shown]
.LBB37_127:
	s_cbranch_execnz .LBB37_130
.LBB37_128:
	s_load_dwordx4 s[4:7], s[12:13], 0x4
	s_load_dwordx4 s[8:11], s[12:13], 0xc4
	s_cmp_lt_u32 s33, 2
	s_waitcnt lgkmcnt(0)
	v_mul_hi_u32 v3, s5, v1
	v_add_u32_e32 v3, v1, v3
	v_lshrrev_b32_e32 v3, s6, v3
	v_mul_lo_u32 v5, v3, s4
	v_sub_u32_e32 v1, v1, v5
	v_mul_lo_u32 v5, v1, s8
	v_mul_lo_u32 v9, v1, s9
	;; [unrolled: 1-line block ×3, first 2 shown]
	s_cbranch_scc1 .LBB37_130
; %bb.129:
	s_load_dwordx4 s[4:7], s[12:13], 0x10
	s_load_dwordx4 s[8:11], s[12:13], 0xd0
	s_waitcnt lgkmcnt(0)
	v_mul_hi_u32 v1, s5, v3
	v_add_u32_e32 v1, v3, v1
	v_lshrrev_b32_e32 v1, s6, v1
	v_mul_lo_u32 v1, v1, s4
	v_sub_u32_e32 v1, v3, v1
	v_mad_u64_u32 v[5:6], s[2:3], v1, s8, v[5:6]
	v_mad_u64_u32 v[9:10], s[2:3], v1, s9, v[9:10]
	v_mad_u64_u32 v[7:8], s[2:3], v1, s10, v[7:8]
.LBB37_130:
	s_and_b64 vcc, exec, s[0:1]
	v_add_u32_e32 v1, 0x100, v31
	s_cbranch_vccnz .LBB37_136
; %bb.131:
	s_cmp_lg_u32 s33, 0
	s_cbranch_scc0 .LBB37_137
; %bb.132:
	s_min_u32 s4, s36, 15
	s_add_i32 s2, s4, 1
	s_and_b32 s5, s2, 30
	s_add_u32 s2, s12, 0xffffffe8
	s_addc_u32 s3, s13, -1
	v_mov_b32_e32 v12, 0
	v_mov_b32_e32 v14, 0
	;; [unrolled: 1-line block ×4, first 2 shown]
.LBB37_133:                             ; =>This Inner Loop Header: Depth=1
	s_load_dwordx4 s[8:11], s[2:3], 0x1c
	s_load_dwordx2 s[6:7], s[2:3], 0x2c
	s_load_dwordx2 s[14:15], s[2:3], 0xec
	s_load_dwordx4 s[16:19], s[2:3], 0xdc
	s_add_u32 s2, s2, 24
	s_waitcnt lgkmcnt(0)
	v_mul_hi_u32 v6, s9, v3
	s_addc_u32 s3, s3, 0
	s_add_i32 s5, s5, -2
	s_cmp_lg_u32 s5, 0
	v_add_u32_e32 v6, v3, v6
	v_lshrrev_b32_e32 v6, s10, v6
	v_mul_lo_u32 v8, v6, s8
	v_mul_hi_u32 v11, s6, v6
	v_sub_u32_e32 v8, v3, v8
	v_add_u32_e32 v3, v6, v11
	v_lshrrev_b32_e32 v3, s7, v3
	v_mul_lo_u32 v15, v3, s11
	v_mul_lo_u32 v11, v8, s16
	;; [unrolled: 1-line block ×4, first 2 shown]
	v_sub_u32_e32 v6, v6, v15
	v_mul_lo_u32 v15, v6, s19
	v_mul_lo_u32 v16, v6, s14
	;; [unrolled: 1-line block ×3, first 2 shown]
	v_add3_u32 v10, v11, v10, v15
	v_add3_u32 v14, v13, v14, v16
	;; [unrolled: 1-line block ×3, first 2 shown]
	s_cbranch_scc1 .LBB37_133
; %bb.134:
	s_bitcmp1_b32 s4, 0
	s_cselect_b64 s[4:5], -1, 0
	s_and_b64 vcc, exec, s[4:5]
	s_cbranch_vccnz .LBB37_138
; %bb.135:
	s_load_dwordx2 s[4:5], s[2:3], 0x1c
	s_load_dword s8, s[2:3], 0x24
	s_load_dwordx2 s[6:7], s[2:3], 0xdc
	s_waitcnt lgkmcnt(0)
	v_mul_hi_u32 v6, s5, v3
	v_add_u32_e32 v6, v3, v6
	v_lshrrev_b32_e32 v6, s8, v6
	v_mul_lo_u32 v6, v6, s4
	s_load_dword s4, s[2:3], 0xe4
	v_sub_u32_e32 v3, v3, v6
	v_mad_u64_u32 v[10:11], s[2:3], v3, s6, v[10:11]
	v_mad_u64_u32 v[14:15], s[2:3], v3, s7, v[14:15]
	s_waitcnt lgkmcnt(0)
	v_mad_u64_u32 v[12:13], s[2:3], v3, s4, v[12:13]
	s_cbranch_execz .LBB37_139
	s_branch .LBB37_141
.LBB37_136:
                                        ; implicit-def: $vgpr10
                                        ; implicit-def: $vgpr14
                                        ; implicit-def: $vgpr12
	s_branch .LBB37_139
.LBB37_137:
	v_mov_b32_e32 v10, 0
	v_mov_b32_e32 v14, 0
	;; [unrolled: 1-line block ×3, first 2 shown]
.LBB37_138:
	s_cbranch_execnz .LBB37_141
.LBB37_139:
	s_load_dwordx4 s[4:7], s[12:13], 0x4
	s_load_dwordx4 s[8:11], s[12:13], 0xc4
	s_cmp_lt_u32 s33, 2
	s_waitcnt lgkmcnt(0)
	v_mul_hi_u32 v3, s5, v1
	v_add_u32_e32 v3, v1, v3
	v_lshrrev_b32_e32 v3, s6, v3
	v_mul_lo_u32 v6, v3, s4
	v_sub_u32_e32 v1, v1, v6
	v_mul_lo_u32 v10, v1, s8
	v_mul_lo_u32 v14, v1, s9
	;; [unrolled: 1-line block ×3, first 2 shown]
	s_cbranch_scc1 .LBB37_141
; %bb.140:
	s_load_dwordx4 s[4:7], s[12:13], 0x10
	s_load_dwordx4 s[8:11], s[12:13], 0xd0
	s_waitcnt lgkmcnt(0)
	v_mul_hi_u32 v1, s5, v3
	v_add_u32_e32 v1, v3, v1
	v_lshrrev_b32_e32 v1, s6, v1
	v_mul_lo_u32 v1, v1, s4
	v_sub_u32_e32 v1, v3, v1
	v_mad_u64_u32 v[10:11], s[2:3], v1, s8, v[10:11]
	v_mad_u64_u32 v[14:15], s[2:3], v1, s9, v[14:15]
	;; [unrolled: 1-line block ×3, first 2 shown]
.LBB37_141:
	s_and_b64 vcc, exec, s[0:1]
	v_add_u32_e32 v1, 0x180, v31
	s_cbranch_vccnz .LBB37_147
; %bb.142:
	s_cmp_lg_u32 s33, 0
	s_cbranch_scc0 .LBB37_148
; %bb.143:
	s_min_u32 s4, s36, 15
	s_add_i32 s2, s4, 1
	s_and_b32 s5, s2, 30
	s_add_u32 s2, s12, 0xffffffe8
	s_addc_u32 s3, s13, -1
	v_mov_b32_e32 v17, 0
	v_mov_b32_e32 v19, 0
	;; [unrolled: 1-line block ×4, first 2 shown]
.LBB37_144:                             ; =>This Inner Loop Header: Depth=1
	s_load_dwordx4 s[8:11], s[2:3], 0x1c
	s_load_dwordx2 s[6:7], s[2:3], 0x2c
	s_load_dwordx2 s[14:15], s[2:3], 0xec
	s_load_dwordx4 s[16:19], s[2:3], 0xdc
	s_add_u32 s2, s2, 24
	s_waitcnt lgkmcnt(0)
	v_mul_hi_u32 v6, s9, v3
	s_addc_u32 s3, s3, 0
	s_add_i32 s5, s5, -2
	s_cmp_lg_u32 s5, 0
	v_add_u32_e32 v6, v3, v6
	v_lshrrev_b32_e32 v6, s10, v6
	v_mul_lo_u32 v8, v6, s8
	v_mul_hi_u32 v11, s6, v6
	v_sub_u32_e32 v8, v3, v8
	v_add_u32_e32 v3, v6, v11
	v_lshrrev_b32_e32 v3, s7, v3
	v_mul_lo_u32 v16, v3, s11
	v_mul_lo_u32 v11, v8, s16
	;; [unrolled: 1-line block ×4, first 2 shown]
	v_sub_u32_e32 v6, v6, v16
	v_mul_lo_u32 v16, v6, s19
	v_mul_lo_u32 v18, v6, s14
	;; [unrolled: 1-line block ×3, first 2 shown]
	v_add3_u32 v15, v11, v15, v16
	v_add3_u32 v19, v13, v19, v18
	;; [unrolled: 1-line block ×3, first 2 shown]
	s_cbranch_scc1 .LBB37_144
; %bb.145:
	s_bitcmp1_b32 s4, 0
	s_cselect_b64 s[4:5], -1, 0
	s_and_b64 vcc, exec, s[4:5]
	s_cbranch_vccnz .LBB37_149
; %bb.146:
	s_load_dwordx2 s[4:5], s[2:3], 0x1c
	s_load_dword s8, s[2:3], 0x24
	s_load_dwordx2 s[6:7], s[2:3], 0xdc
	s_waitcnt lgkmcnt(0)
	v_mul_hi_u32 v6, s5, v3
	v_add_u32_e32 v6, v3, v6
	v_lshrrev_b32_e32 v6, s8, v6
	v_mul_lo_u32 v6, v6, s4
	s_load_dword s4, s[2:3], 0xe4
	v_sub_u32_e32 v3, v3, v6
	v_mad_u64_u32 v[15:16], s[2:3], v3, s6, v[15:16]
	v_mad_u64_u32 v[19:20], s[2:3], v3, s7, v[19:20]
	s_waitcnt lgkmcnt(0)
	v_mad_u64_u32 v[17:18], s[2:3], v3, s4, v[17:18]
	s_cbranch_execz .LBB37_150
	s_branch .LBB37_152
.LBB37_147:
                                        ; implicit-def: $vgpr15
                                        ; implicit-def: $vgpr19
                                        ; implicit-def: $vgpr17
	s_branch .LBB37_150
.LBB37_148:
	v_mov_b32_e32 v15, 0
	v_mov_b32_e32 v19, 0
	;; [unrolled: 1-line block ×3, first 2 shown]
.LBB37_149:
	s_cbranch_execnz .LBB37_152
.LBB37_150:
	s_load_dwordx4 s[4:7], s[12:13], 0x4
	s_load_dwordx4 s[8:11], s[12:13], 0xc4
	s_cmp_lt_u32 s33, 2
	s_waitcnt lgkmcnt(0)
	v_mul_hi_u32 v3, s5, v1
	v_add_u32_e32 v3, v1, v3
	v_lshrrev_b32_e32 v3, s6, v3
	v_mul_lo_u32 v6, v3, s4
	v_sub_u32_e32 v1, v1, v6
	v_mul_lo_u32 v15, v1, s8
	v_mul_lo_u32 v19, v1, s9
	;; [unrolled: 1-line block ×3, first 2 shown]
	s_cbranch_scc1 .LBB37_152
; %bb.151:
	s_load_dwordx4 s[4:7], s[12:13], 0x10
	s_load_dwordx4 s[8:11], s[12:13], 0xd0
	s_waitcnt lgkmcnt(0)
	v_mul_hi_u32 v1, s5, v3
	v_add_u32_e32 v1, v3, v1
	v_lshrrev_b32_e32 v1, s6, v1
	v_mul_lo_u32 v1, v1, s4
	v_sub_u32_e32 v1, v3, v1
	v_mad_u64_u32 v[15:16], s[2:3], v1, s8, v[15:16]
	v_mad_u64_u32 v[19:20], s[2:3], v1, s9, v[19:20]
	;; [unrolled: 1-line block ×3, first 2 shown]
.LBB37_152:
	s_and_b64 vcc, exec, s[0:1]
	v_add_u32_e32 v1, 0x200, v31
	s_cbranch_vccnz .LBB37_158
; %bb.153:
	s_cmp_lg_u32 s33, 0
	s_cbranch_scc0 .LBB37_159
; %bb.154:
	s_min_u32 s4, s36, 15
	s_add_i32 s2, s4, 1
	s_and_b32 s5, s2, 30
	s_add_u32 s2, s12, 0xffffffe8
	s_addc_u32 s3, s13, -1
	v_mov_b32_e32 v22, 0
	v_mov_b32_e32 v24, 0
	v_mov_b32_e32 v20, 0
	v_mov_b32_e32 v3, v1
.LBB37_155:                             ; =>This Inner Loop Header: Depth=1
	s_load_dwordx4 s[8:11], s[2:3], 0x1c
	s_load_dwordx2 s[6:7], s[2:3], 0x2c
	s_load_dwordx2 s[14:15], s[2:3], 0xec
	s_load_dwordx4 s[16:19], s[2:3], 0xdc
	s_add_u32 s2, s2, 24
	s_waitcnt lgkmcnt(0)
	v_mul_hi_u32 v6, s9, v3
	s_addc_u32 s3, s3, 0
	s_add_i32 s5, s5, -2
	s_cmp_lg_u32 s5, 0
	v_add_u32_e32 v6, v3, v6
	v_lshrrev_b32_e32 v6, s10, v6
	v_mul_lo_u32 v8, v6, s8
	v_mul_hi_u32 v11, s6, v6
	v_sub_u32_e32 v8, v3, v8
	v_add_u32_e32 v3, v6, v11
	v_lshrrev_b32_e32 v3, s7, v3
	v_mul_lo_u32 v16, v3, s11
	v_mul_lo_u32 v11, v8, s16
	;; [unrolled: 1-line block ×4, first 2 shown]
	v_sub_u32_e32 v6, v6, v16
	v_mul_lo_u32 v16, v6, s19
	v_mul_lo_u32 v18, v6, s14
	;; [unrolled: 1-line block ×3, first 2 shown]
	v_add3_u32 v20, v11, v20, v16
	v_add3_u32 v24, v13, v24, v18
	;; [unrolled: 1-line block ×3, first 2 shown]
	s_cbranch_scc1 .LBB37_155
; %bb.156:
	s_bitcmp1_b32 s4, 0
	s_cselect_b64 s[4:5], -1, 0
	s_and_b64 vcc, exec, s[4:5]
	s_cbranch_vccnz .LBB37_160
; %bb.157:
	s_load_dwordx2 s[4:5], s[2:3], 0x1c
	s_load_dword s8, s[2:3], 0x24
	s_load_dwordx2 s[6:7], s[2:3], 0xdc
	s_waitcnt lgkmcnt(0)
	v_mul_hi_u32 v6, s5, v3
	v_add_u32_e32 v6, v3, v6
	v_lshrrev_b32_e32 v6, s8, v6
	v_mul_lo_u32 v6, v6, s4
	s_load_dword s4, s[2:3], 0xe4
	v_sub_u32_e32 v3, v3, v6
	v_mad_u64_u32 v[20:21], s[2:3], v3, s6, v[20:21]
	v_mad_u64_u32 v[24:25], s[2:3], v3, s7, v[24:25]
	s_waitcnt lgkmcnt(0)
	v_mad_u64_u32 v[22:23], s[2:3], v3, s4, v[22:23]
	s_cbranch_execz .LBB37_161
	s_branch .LBB37_163
.LBB37_158:
                                        ; implicit-def: $vgpr20
                                        ; implicit-def: $vgpr24
                                        ; implicit-def: $vgpr22
	s_branch .LBB37_161
.LBB37_159:
	v_mov_b32_e32 v20, 0
	v_mov_b32_e32 v24, 0
	;; [unrolled: 1-line block ×3, first 2 shown]
.LBB37_160:
	s_cbranch_execnz .LBB37_163
.LBB37_161:
	s_load_dwordx4 s[4:7], s[12:13], 0x4
	s_load_dwordx4 s[8:11], s[12:13], 0xc4
	s_cmp_lt_u32 s33, 2
	s_waitcnt lgkmcnt(0)
	v_mul_hi_u32 v3, s5, v1
	v_add_u32_e32 v3, v1, v3
	v_lshrrev_b32_e32 v3, s6, v3
	v_mul_lo_u32 v6, v3, s4
	v_sub_u32_e32 v1, v1, v6
	v_mul_lo_u32 v20, v1, s8
	v_mul_lo_u32 v24, v1, s9
	v_mul_lo_u32 v22, v1, s10
	s_cbranch_scc1 .LBB37_163
; %bb.162:
	s_load_dwordx4 s[4:7], s[12:13], 0x10
	s_load_dwordx4 s[8:11], s[12:13], 0xd0
	s_waitcnt lgkmcnt(0)
	v_mul_hi_u32 v1, s5, v3
	v_add_u32_e32 v1, v3, v1
	v_lshrrev_b32_e32 v1, s6, v1
	v_mul_lo_u32 v1, v1, s4
	v_sub_u32_e32 v1, v3, v1
	v_mad_u64_u32 v[20:21], s[2:3], v1, s8, v[20:21]
	v_mad_u64_u32 v[24:25], s[2:3], v1, s9, v[24:25]
	;; [unrolled: 1-line block ×3, first 2 shown]
.LBB37_163:
	s_and_b64 vcc, exec, s[0:1]
	v_add_u32_e32 v1, 0x280, v31
	s_cbranch_vccnz .LBB37_169
; %bb.164:
	s_cmp_lg_u32 s33, 0
	s_cbranch_scc0 .LBB37_170
; %bb.165:
	s_min_u32 s4, s36, 15
	s_add_i32 s2, s4, 1
	s_and_b32 s5, s2, 30
	s_add_u32 s2, s12, 0xffffffe8
	s_addc_u32 s3, s13, -1
	v_mov_b32_e32 v27, 0
	v_mov_b32_e32 v29, 0
	v_mov_b32_e32 v25, 0
	v_mov_b32_e32 v3, v1
.LBB37_166:                             ; =>This Inner Loop Header: Depth=1
	s_load_dwordx4 s[8:11], s[2:3], 0x1c
	s_load_dwordx2 s[6:7], s[2:3], 0x2c
	s_load_dwordx2 s[14:15], s[2:3], 0xec
	s_load_dwordx4 s[16:19], s[2:3], 0xdc
	s_add_u32 s2, s2, 24
	s_waitcnt lgkmcnt(0)
	v_mul_hi_u32 v6, s9, v3
	s_addc_u32 s3, s3, 0
	s_add_i32 s5, s5, -2
	s_cmp_lg_u32 s5, 0
	v_add_u32_e32 v6, v3, v6
	v_lshrrev_b32_e32 v6, s10, v6
	v_mul_lo_u32 v8, v6, s8
	v_mul_hi_u32 v11, s6, v6
	v_sub_u32_e32 v8, v3, v8
	v_add_u32_e32 v3, v6, v11
	v_lshrrev_b32_e32 v3, s7, v3
	v_mul_lo_u32 v16, v3, s11
	v_mul_lo_u32 v11, v8, s16
	;; [unrolled: 1-line block ×4, first 2 shown]
	v_sub_u32_e32 v6, v6, v16
	v_mul_lo_u32 v16, v6, s19
	v_mul_lo_u32 v18, v6, s14
	;; [unrolled: 1-line block ×3, first 2 shown]
	v_add3_u32 v25, v11, v25, v16
	v_add3_u32 v29, v13, v29, v18
	;; [unrolled: 1-line block ×3, first 2 shown]
	s_cbranch_scc1 .LBB37_166
; %bb.167:
	s_bitcmp1_b32 s4, 0
	s_cselect_b64 s[4:5], -1, 0
	s_and_b64 vcc, exec, s[4:5]
	s_cbranch_vccnz .LBB37_171
; %bb.168:
	s_load_dwordx2 s[4:5], s[2:3], 0x1c
	s_load_dword s8, s[2:3], 0x24
	s_load_dwordx2 s[6:7], s[2:3], 0xdc
	s_waitcnt lgkmcnt(0)
	v_mul_hi_u32 v6, s5, v3
	v_add_u32_e32 v6, v3, v6
	v_lshrrev_b32_e32 v6, s8, v6
	v_mul_lo_u32 v6, v6, s4
	s_load_dword s4, s[2:3], 0xe4
	v_sub_u32_e32 v3, v3, v6
	v_mad_u64_u32 v[25:26], s[2:3], v3, s6, v[25:26]
	v_mad_u64_u32 v[29:30], s[2:3], v3, s7, v[29:30]
	s_waitcnt lgkmcnt(0)
	v_mad_u64_u32 v[27:28], s[2:3], v3, s4, v[27:28]
	s_cbranch_execz .LBB37_172
	s_branch .LBB37_174
.LBB37_169:
                                        ; implicit-def: $vgpr25
                                        ; implicit-def: $vgpr29
                                        ; implicit-def: $vgpr27
	s_branch .LBB37_172
.LBB37_170:
	v_mov_b32_e32 v25, 0
	v_mov_b32_e32 v29, 0
	;; [unrolled: 1-line block ×3, first 2 shown]
.LBB37_171:
	s_cbranch_execnz .LBB37_174
.LBB37_172:
	s_load_dwordx4 s[4:7], s[12:13], 0x4
	s_load_dwordx4 s[8:11], s[12:13], 0xc4
	s_cmp_lt_u32 s33, 2
	s_waitcnt lgkmcnt(0)
	v_mul_hi_u32 v3, s5, v1
	v_add_u32_e32 v3, v1, v3
	v_lshrrev_b32_e32 v3, s6, v3
	v_mul_lo_u32 v6, v3, s4
	v_sub_u32_e32 v1, v1, v6
	v_mul_lo_u32 v25, v1, s8
	v_mul_lo_u32 v29, v1, s9
	;; [unrolled: 1-line block ×3, first 2 shown]
	s_cbranch_scc1 .LBB37_174
; %bb.173:
	s_load_dwordx4 s[4:7], s[12:13], 0x10
	s_load_dwordx4 s[8:11], s[12:13], 0xd0
	s_waitcnt lgkmcnt(0)
	v_mul_hi_u32 v1, s5, v3
	v_add_u32_e32 v1, v3, v1
	v_lshrrev_b32_e32 v1, s6, v1
	v_mul_lo_u32 v1, v1, s4
	v_sub_u32_e32 v1, v3, v1
	v_mad_u64_u32 v[25:26], s[2:3], v1, s8, v[25:26]
	v_mad_u64_u32 v[29:30], s[2:3], v1, s9, v[29:30]
	;; [unrolled: 1-line block ×3, first 2 shown]
.LBB37_174:
	s_and_b64 vcc, exec, s[0:1]
	v_add_u32_e32 v1, 0x300, v31
	s_cbranch_vccnz .LBB37_180
; %bb.175:
	s_cmp_lg_u32 s33, 0
	s_cbranch_scc0 .LBB37_181
; %bb.176:
	s_min_u32 s4, s36, 15
	s_add_i32 s2, s4, 1
	s_and_b32 s5, s2, 30
	s_add_u32 s2, s12, 0xffffffe8
	s_addc_u32 s3, s13, -1
	v_mov_b32_e32 v34, 0
	v_mov_b32_e32 v32, 0
	;; [unrolled: 1-line block ×4, first 2 shown]
.LBB37_177:                             ; =>This Inner Loop Header: Depth=1
	s_load_dwordx4 s[8:11], s[2:3], 0x1c
	s_load_dwordx2 s[6:7], s[2:3], 0x2c
	s_load_dwordx2 s[14:15], s[2:3], 0xec
	s_load_dwordx4 s[16:19], s[2:3], 0xdc
	s_add_u32 s2, s2, 24
	s_waitcnt lgkmcnt(0)
	v_mul_hi_u32 v6, s9, v3
	s_addc_u32 s3, s3, 0
	s_add_i32 s5, s5, -2
	s_cmp_lg_u32 s5, 0
	v_add_u32_e32 v6, v3, v6
	v_lshrrev_b32_e32 v6, s10, v6
	v_mul_lo_u32 v8, v6, s8
	v_mul_hi_u32 v11, s6, v6
	v_sub_u32_e32 v8, v3, v8
	v_add_u32_e32 v3, v6, v11
	v_lshrrev_b32_e32 v3, s7, v3
	v_mul_lo_u32 v16, v3, s11
	v_mul_lo_u32 v11, v8, s16
	v_mul_lo_u32 v13, v8, s17
	v_mul_lo_u32 v8, v8, s18
	v_sub_u32_e32 v6, v6, v16
	v_mul_lo_u32 v16, v6, s19
	v_mul_lo_u32 v18, v6, s14
	;; [unrolled: 1-line block ×3, first 2 shown]
	v_add3_u32 v30, v11, v30, v16
	v_add3_u32 v32, v13, v32, v18
	;; [unrolled: 1-line block ×3, first 2 shown]
	s_cbranch_scc1 .LBB37_177
; %bb.178:
	s_bitcmp1_b32 s4, 0
	s_cselect_b64 s[4:5], -1, 0
	s_and_b64 vcc, exec, s[4:5]
	s_cbranch_vccnz .LBB37_182
; %bb.179:
	s_load_dwordx2 s[4:5], s[2:3], 0x1c
	s_load_dword s8, s[2:3], 0x24
	s_load_dwordx2 s[6:7], s[2:3], 0xdc
	s_waitcnt lgkmcnt(0)
	v_mul_hi_u32 v6, s5, v3
	v_add_u32_e32 v6, v3, v6
	v_lshrrev_b32_e32 v6, s8, v6
	v_mul_lo_u32 v6, v6, s4
	s_load_dword s4, s[2:3], 0xe4
	v_sub_u32_e32 v3, v3, v6
	v_mad_u64_u32 v[30:31], s[2:3], v3, s6, v[30:31]
	v_mad_u64_u32 v[32:33], s[2:3], v3, s7, v[32:33]
	s_waitcnt lgkmcnt(0)
	v_mad_u64_u32 v[34:35], s[2:3], v3, s4, v[34:35]
	s_cbranch_execz .LBB37_183
	s_branch .LBB37_185
.LBB37_180:
                                        ; implicit-def: $vgpr30
                                        ; implicit-def: $vgpr32
                                        ; implicit-def: $vgpr34
	s_branch .LBB37_183
.LBB37_181:
	v_mov_b32_e32 v30, 0
	v_mov_b32_e32 v32, 0
	;; [unrolled: 1-line block ×3, first 2 shown]
.LBB37_182:
	s_cbranch_execnz .LBB37_185
.LBB37_183:
	s_load_dwordx4 s[4:7], s[12:13], 0x4
	s_load_dwordx4 s[8:11], s[12:13], 0xc4
	s_cmp_lt_u32 s33, 2
	s_waitcnt lgkmcnt(0)
	v_mul_hi_u32 v3, s5, v1
	v_add_u32_e32 v3, v1, v3
	v_lshrrev_b32_e32 v3, s6, v3
	v_mul_lo_u32 v6, v3, s4
	v_sub_u32_e32 v1, v1, v6
	v_mul_lo_u32 v30, v1, s8
	v_mul_lo_u32 v32, v1, s9
	;; [unrolled: 1-line block ×3, first 2 shown]
	s_cbranch_scc1 .LBB37_185
; %bb.184:
	s_load_dwordx4 s[4:7], s[12:13], 0x10
	s_load_dwordx4 s[8:11], s[12:13], 0xd0
	s_waitcnt lgkmcnt(0)
	v_mul_hi_u32 v1, s5, v3
	v_add_u32_e32 v1, v3, v1
	v_lshrrev_b32_e32 v1, s6, v1
	v_mul_lo_u32 v1, v1, s4
	v_sub_u32_e32 v1, v3, v1
	v_mad_u64_u32 v[30:31], s[2:3], v1, s8, v[30:31]
	v_mad_u64_u32 v[32:33], s[2:3], v1, s9, v[32:33]
	;; [unrolled: 1-line block ×3, first 2 shown]
.LBB37_185:
	s_and_b64 vcc, exec, s[0:1]
	s_cbranch_vccnz .LBB37_191
; %bb.186:
	s_cmp_lg_u32 s33, 0
	s_cbranch_scc0 .LBB37_192
; %bb.187:
	s_min_u32 s2, s36, 15
	s_add_i32 s0, s2, 1
	s_and_b32 s3, s0, 30
	s_add_u32 s0, s12, 0xffffffe8
	s_addc_u32 s1, s13, -1
	v_mov_b32_e32 v39, 0
	v_mov_b32_e32 v37, 0
	;; [unrolled: 1-line block ×4, first 2 shown]
.LBB37_188:                             ; =>This Inner Loop Header: Depth=1
	s_load_dwordx4 s[4:7], s[0:1], 0x1c
	s_load_dwordx2 s[14:15], s[0:1], 0x2c
	s_load_dwordx2 s[16:17], s[0:1], 0xec
	s_load_dwordx4 s[8:11], s[0:1], 0xdc
	s_add_u32 s0, s0, 24
	s_waitcnt lgkmcnt(0)
	v_mul_hi_u32 v3, s5, v1
	s_addc_u32 s1, s1, 0
	s_add_i32 s3, s3, -2
	s_cmp_lg_u32 s3, 0
	v_add_u32_e32 v3, v1, v3
	v_lshrrev_b32_e32 v3, s6, v3
	v_mul_lo_u32 v6, v3, s4
	v_mul_hi_u32 v8, s14, v3
	v_sub_u32_e32 v6, v1, v6
	v_add_u32_e32 v1, v3, v8
	v_lshrrev_b32_e32 v1, s15, v1
	v_mul_lo_u32 v13, v1, s7
	v_mul_lo_u32 v8, v6, s8
	;; [unrolled: 1-line block ×4, first 2 shown]
	v_sub_u32_e32 v3, v3, v13
	v_mul_lo_u32 v13, v3, s11
	v_mul_lo_u32 v16, v3, s16
	;; [unrolled: 1-line block ×3, first 2 shown]
	v_add3_u32 v35, v8, v35, v13
	v_add3_u32 v37, v11, v37, v16
	;; [unrolled: 1-line block ×3, first 2 shown]
	s_cbranch_scc1 .LBB37_188
; %bb.189:
	s_bitcmp1_b32 s2, 0
	s_cselect_b64 s[2:3], -1, 0
	s_and_b64 vcc, exec, s[2:3]
	s_cbranch_vccnz .LBB37_193
; %bb.190:
	s_load_dwordx2 s[2:3], s[0:1], 0x1c
	s_load_dword s6, s[0:1], 0x24
	s_load_dwordx2 s[4:5], s[0:1], 0xdc
	s_waitcnt lgkmcnt(0)
	v_mul_hi_u32 v3, s3, v1
	v_add_u32_e32 v3, v1, v3
	v_lshrrev_b32_e32 v3, s6, v3
	v_mul_lo_u32 v3, v3, s2
	s_load_dword s2, s[0:1], 0xe4
	v_sub_u32_e32 v1, v1, v3
	v_mad_u64_u32 v[35:36], s[0:1], v1, s4, v[35:36]
	v_mad_u64_u32 v[37:38], s[0:1], v1, s5, v[37:38]
	s_waitcnt lgkmcnt(0)
	v_mad_u64_u32 v[39:40], s[0:1], v1, s2, v[39:40]
	s_cbranch_execz .LBB37_194
	s_branch .LBB37_196
.LBB37_191:
                                        ; implicit-def: $vgpr35
                                        ; implicit-def: $vgpr37
                                        ; implicit-def: $vgpr39
	s_branch .LBB37_194
.LBB37_192:
	v_mov_b32_e32 v35, 0
	v_mov_b32_e32 v37, 0
	;; [unrolled: 1-line block ×3, first 2 shown]
.LBB37_193:
	s_cbranch_execnz .LBB37_196
.LBB37_194:
	s_load_dwordx4 s[0:3], s[12:13], 0x4
	s_load_dwordx4 s[4:7], s[12:13], 0xc4
	s_cmp_lt_u32 s33, 2
	s_waitcnt lgkmcnt(0)
	v_mul_hi_u32 v1, s1, v41
	v_add_u32_e32 v1, v41, v1
	v_lshrrev_b32_e32 v1, s2, v1
	v_mul_lo_u32 v3, v1, s0
	v_sub_u32_e32 v3, v41, v3
	v_mul_lo_u32 v35, v3, s4
	v_mul_lo_u32 v37, v3, s5
	;; [unrolled: 1-line block ×3, first 2 shown]
	s_cbranch_scc1 .LBB37_196
; %bb.195:
	s_load_dwordx4 s[0:3], s[12:13], 0x10
	s_load_dwordx4 s[4:7], s[12:13], 0xd0
	s_waitcnt lgkmcnt(0)
	v_mul_hi_u32 v3, s1, v1
	v_add_u32_e32 v3, v1, v3
	v_lshrrev_b32_e32 v3, s2, v3
	v_mul_lo_u32 v3, v3, s0
	v_sub_u32_e32 v1, v1, v3
	v_mad_u64_u32 v[35:36], s[0:1], v1, s4, v[35:36]
	v_mad_u64_u32 v[37:38], s[0:1], v1, s5, v[37:38]
	;; [unrolled: 1-line block ×3, first 2 shown]
.LBB37_196:
	s_load_dwordx4 s[16:19], s[12:13], 0x188
	s_load_dwordx2 s[0:1], s[12:13], 0x198
	s_waitcnt lgkmcnt(0)
	global_load_dword v1, v4, s[18:19]
	s_nop 0
	global_load_dword v3, v2, s[0:1]
	global_load_dword v6, v9, s[18:19]
	;; [unrolled: 1-line block ×7, first 2 shown]
                                        ; kill: killed $vgpr4
                                        ; kill: killed $vgpr9
                                        ; kill: killed $vgpr2
                                        ; kill: killed $vgpr14
                                        ; kill: killed $vgpr7
                                        ; kill: killed $vgpr19
                                        ; kill: killed $vgpr12
                                        ; kill: killed $vgpr17
	global_load_dword v2, v24, s[18:19]
	global_load_dword v4, v22, s[0:1]
	;; [unrolled: 1-line block ×8, first 2 shown]
	s_load_dword s0, s[12:13], 0x1a0
	s_waitcnt lgkmcnt(0)
	s_cmp_eq_u32 s0, 0
	s_cselect_b64 s[14:15], -1, 0
	s_waitcnt vmcnt(14)
	v_cmp_ne_u32_e32 vcc, v1, v3
	s_xor_b64 s[18:19], s[14:15], vcc
	s_waitcnt vmcnt(12)
	v_cmp_ne_u32_e64 s[0:1], v6, v8
	s_xor_b64 s[0:1], s[14:15], s[0:1]
	s_waitcnt vmcnt(10)
	v_cmp_ne_u32_e64 s[2:3], v11, v13
	v_cndmask_b32_e64 v1, 0, 1, s[18:19]
	s_waitcnt vmcnt(8)
	v_cmp_ne_u32_e64 s[4:5], v16, v18
	s_waitcnt vmcnt(6)
	v_cmp_ne_u32_e64 s[6:7], v2, v4
	v_cndmask_b32_e64 v2, 0, 1, s[0:1]
	s_xor_b64 s[0:1], s[14:15], s[2:3]
	v_cndmask_b32_e64 v3, 0, 1, s[0:1]
	s_xor_b64 s[0:1], s[14:15], s[4:5]
	s_waitcnt vmcnt(4)
	v_cmp_ne_u32_e64 s[8:9], v7, v9
	v_cndmask_b32_e64 v4, 0, 1, s[0:1]
	s_xor_b64 s[0:1], s[14:15], s[6:7]
	s_waitcnt vmcnt(2)
	v_cmp_ne_u32_e64 s[10:11], v12, v14
	;; [unrolled: 4-line block ×3, first 2 shown]
	v_cndmask_b32_e64 v7, 0, 1, s[0:1]
	s_xor_b64 s[0:1], s[14:15], s[10:11]
	v_cndmask_b32_e64 v8, 0, 1, s[0:1]
	s_xor_b64 s[0:1], s[14:15], s[12:13]
	v_cndmask_b32_e64 v9, 0, 1, s[0:1]
	global_store_byte v0, v1, s[16:17]
	global_store_byte v5, v2, s[16:17]
	;; [unrolled: 1-line block ×8, first 2 shown]
	s_endpgm
	.section	.rodata,"a",@progbits
	.p2align	6, 0x0
	.amdhsa_kernel _ZN2at6native32elementwise_kernel_manual_unrollILi128ELi8EZNS0_22gpu_kernel_impl_nocastINS0_13BinaryFunctorIiibNS0_12_GLOBAL__N_116CompareEqFunctorIiEEEEEEvRNS_18TensorIteratorBaseERKT_EUlibE_EEviT1_
		.amdhsa_group_segment_fixed_size 0
		.amdhsa_private_segment_fixed_size 0
		.amdhsa_kernarg_size 432
		.amdhsa_user_sgpr_count 6
		.amdhsa_user_sgpr_private_segment_buffer 1
		.amdhsa_user_sgpr_dispatch_ptr 0
		.amdhsa_user_sgpr_queue_ptr 0
		.amdhsa_user_sgpr_kernarg_segment_ptr 1
		.amdhsa_user_sgpr_dispatch_id 0
		.amdhsa_user_sgpr_flat_scratch_init 0
		.amdhsa_user_sgpr_private_segment_size 0
		.amdhsa_uses_dynamic_stack 0
		.amdhsa_system_sgpr_private_segment_wavefront_offset 0
		.amdhsa_system_sgpr_workgroup_id_x 1
		.amdhsa_system_sgpr_workgroup_id_y 0
		.amdhsa_system_sgpr_workgroup_id_z 0
		.amdhsa_system_sgpr_workgroup_info 0
		.amdhsa_system_vgpr_workitem_id 0
		.amdhsa_next_free_vgpr 42
		.amdhsa_next_free_sgpr 52
		.amdhsa_reserve_vcc 1
		.amdhsa_reserve_flat_scratch 0
		.amdhsa_float_round_mode_32 0
		.amdhsa_float_round_mode_16_64 0
		.amdhsa_float_denorm_mode_32 3
		.amdhsa_float_denorm_mode_16_64 3
		.amdhsa_dx10_clamp 1
		.amdhsa_ieee_mode 1
		.amdhsa_fp16_overflow 0
		.amdhsa_exception_fp_ieee_invalid_op 0
		.amdhsa_exception_fp_denorm_src 0
		.amdhsa_exception_fp_ieee_div_zero 0
		.amdhsa_exception_fp_ieee_overflow 0
		.amdhsa_exception_fp_ieee_underflow 0
		.amdhsa_exception_fp_ieee_inexact 0
		.amdhsa_exception_int_div_zero 0
	.end_amdhsa_kernel
	.section	.text._ZN2at6native32elementwise_kernel_manual_unrollILi128ELi8EZNS0_22gpu_kernel_impl_nocastINS0_13BinaryFunctorIiibNS0_12_GLOBAL__N_116CompareEqFunctorIiEEEEEEvRNS_18TensorIteratorBaseERKT_EUlibE_EEviT1_,"axG",@progbits,_ZN2at6native32elementwise_kernel_manual_unrollILi128ELi8EZNS0_22gpu_kernel_impl_nocastINS0_13BinaryFunctorIiibNS0_12_GLOBAL__N_116CompareEqFunctorIiEEEEEEvRNS_18TensorIteratorBaseERKT_EUlibE_EEviT1_,comdat
.Lfunc_end37:
	.size	_ZN2at6native32elementwise_kernel_manual_unrollILi128ELi8EZNS0_22gpu_kernel_impl_nocastINS0_13BinaryFunctorIiibNS0_12_GLOBAL__N_116CompareEqFunctorIiEEEEEEvRNS_18TensorIteratorBaseERKT_EUlibE_EEviT1_, .Lfunc_end37-_ZN2at6native32elementwise_kernel_manual_unrollILi128ELi8EZNS0_22gpu_kernel_impl_nocastINS0_13BinaryFunctorIiibNS0_12_GLOBAL__N_116CompareEqFunctorIiEEEEEEvRNS_18TensorIteratorBaseERKT_EUlibE_EEviT1_
                                        ; -- End function
	.set _ZN2at6native32elementwise_kernel_manual_unrollILi128ELi8EZNS0_22gpu_kernel_impl_nocastINS0_13BinaryFunctorIiibNS0_12_GLOBAL__N_116CompareEqFunctorIiEEEEEEvRNS_18TensorIteratorBaseERKT_EUlibE_EEviT1_.num_vgpr, 42
	.set _ZN2at6native32elementwise_kernel_manual_unrollILi128ELi8EZNS0_22gpu_kernel_impl_nocastINS0_13BinaryFunctorIiibNS0_12_GLOBAL__N_116CompareEqFunctorIiEEEEEEvRNS_18TensorIteratorBaseERKT_EUlibE_EEviT1_.num_agpr, 0
	.set _ZN2at6native32elementwise_kernel_manual_unrollILi128ELi8EZNS0_22gpu_kernel_impl_nocastINS0_13BinaryFunctorIiibNS0_12_GLOBAL__N_116CompareEqFunctorIiEEEEEEvRNS_18TensorIteratorBaseERKT_EUlibE_EEviT1_.numbered_sgpr, 52
	.set _ZN2at6native32elementwise_kernel_manual_unrollILi128ELi8EZNS0_22gpu_kernel_impl_nocastINS0_13BinaryFunctorIiibNS0_12_GLOBAL__N_116CompareEqFunctorIiEEEEEEvRNS_18TensorIteratorBaseERKT_EUlibE_EEviT1_.num_named_barrier, 0
	.set _ZN2at6native32elementwise_kernel_manual_unrollILi128ELi8EZNS0_22gpu_kernel_impl_nocastINS0_13BinaryFunctorIiibNS0_12_GLOBAL__N_116CompareEqFunctorIiEEEEEEvRNS_18TensorIteratorBaseERKT_EUlibE_EEviT1_.private_seg_size, 0
	.set _ZN2at6native32elementwise_kernel_manual_unrollILi128ELi8EZNS0_22gpu_kernel_impl_nocastINS0_13BinaryFunctorIiibNS0_12_GLOBAL__N_116CompareEqFunctorIiEEEEEEvRNS_18TensorIteratorBaseERKT_EUlibE_EEviT1_.uses_vcc, 1
	.set _ZN2at6native32elementwise_kernel_manual_unrollILi128ELi8EZNS0_22gpu_kernel_impl_nocastINS0_13BinaryFunctorIiibNS0_12_GLOBAL__N_116CompareEqFunctorIiEEEEEEvRNS_18TensorIteratorBaseERKT_EUlibE_EEviT1_.uses_flat_scratch, 0
	.set _ZN2at6native32elementwise_kernel_manual_unrollILi128ELi8EZNS0_22gpu_kernel_impl_nocastINS0_13BinaryFunctorIiibNS0_12_GLOBAL__N_116CompareEqFunctorIiEEEEEEvRNS_18TensorIteratorBaseERKT_EUlibE_EEviT1_.has_dyn_sized_stack, 0
	.set _ZN2at6native32elementwise_kernel_manual_unrollILi128ELi8EZNS0_22gpu_kernel_impl_nocastINS0_13BinaryFunctorIiibNS0_12_GLOBAL__N_116CompareEqFunctorIiEEEEEEvRNS_18TensorIteratorBaseERKT_EUlibE_EEviT1_.has_recursion, 0
	.set _ZN2at6native32elementwise_kernel_manual_unrollILi128ELi8EZNS0_22gpu_kernel_impl_nocastINS0_13BinaryFunctorIiibNS0_12_GLOBAL__N_116CompareEqFunctorIiEEEEEEvRNS_18TensorIteratorBaseERKT_EUlibE_EEviT1_.has_indirect_call, 0
	.section	.AMDGPU.csdata,"",@progbits
; Kernel info:
; codeLenInByte = 9384
; TotalNumSgprs: 56
; NumVgprs: 42
; ScratchSize: 0
; MemoryBound: 0
; FloatMode: 240
; IeeeMode: 1
; LDSByteSize: 0 bytes/workgroup (compile time only)
; SGPRBlocks: 6
; VGPRBlocks: 10
; NumSGPRsForWavesPerEU: 56
; NumVGPRsForWavesPerEU: 42
; Occupancy: 5
; WaveLimiterHint : 1
; COMPUTE_PGM_RSRC2:SCRATCH_EN: 0
; COMPUTE_PGM_RSRC2:USER_SGPR: 6
; COMPUTE_PGM_RSRC2:TRAP_HANDLER: 0
; COMPUTE_PGM_RSRC2:TGID_X_EN: 1
; COMPUTE_PGM_RSRC2:TGID_Y_EN: 0
; COMPUTE_PGM_RSRC2:TGID_Z_EN: 0
; COMPUTE_PGM_RSRC2:TIDIG_COMP_CNT: 0
	.section	.text._ZN2at6native32elementwise_kernel_manual_unrollILi128ELi4EZNS0_15gpu_kernel_implINS0_13BinaryFunctorIiibNS0_12_GLOBAL__N_116CompareEqFunctorIiEEEEEEvRNS_18TensorIteratorBaseERKT_EUlibE_EEviT1_,"axG",@progbits,_ZN2at6native32elementwise_kernel_manual_unrollILi128ELi4EZNS0_15gpu_kernel_implINS0_13BinaryFunctorIiibNS0_12_GLOBAL__N_116CompareEqFunctorIiEEEEEEvRNS_18TensorIteratorBaseERKT_EUlibE_EEviT1_,comdat
	.globl	_ZN2at6native32elementwise_kernel_manual_unrollILi128ELi4EZNS0_15gpu_kernel_implINS0_13BinaryFunctorIiibNS0_12_GLOBAL__N_116CompareEqFunctorIiEEEEEEvRNS_18TensorIteratorBaseERKT_EUlibE_EEviT1_ ; -- Begin function _ZN2at6native32elementwise_kernel_manual_unrollILi128ELi4EZNS0_15gpu_kernel_implINS0_13BinaryFunctorIiibNS0_12_GLOBAL__N_116CompareEqFunctorIiEEEEEEvRNS_18TensorIteratorBaseERKT_EUlibE_EEviT1_
	.p2align	8
	.type	_ZN2at6native32elementwise_kernel_manual_unrollILi128ELi4EZNS0_15gpu_kernel_implINS0_13BinaryFunctorIiibNS0_12_GLOBAL__N_116CompareEqFunctorIiEEEEEEvRNS_18TensorIteratorBaseERKT_EUlibE_EEviT1_,@function
_ZN2at6native32elementwise_kernel_manual_unrollILi128ELi4EZNS0_15gpu_kernel_implINS0_13BinaryFunctorIiibNS0_12_GLOBAL__N_116CompareEqFunctorIiEEEEEEvRNS_18TensorIteratorBaseERKT_EUlibE_EEviT1_: ; @_ZN2at6native32elementwise_kernel_manual_unrollILi128ELi4EZNS0_15gpu_kernel_implINS0_13BinaryFunctorIiibNS0_12_GLOBAL__N_116CompareEqFunctorIiEEEEEEvRNS_18TensorIteratorBaseERKT_EUlibE_EEviT1_
; %bb.0:
	s_load_dword s33, s[4:5], 0x30
	s_load_dword s50, s[4:5], 0x0
	s_load_dwordx4 s[8:11], s[4:5], 0x8
	s_load_dwordx2 s[2:3], s[4:5], 0x18
	s_load_dwordx4 s[12:15], s[4:5], 0x20
	v_lshl_or_b32 v2, s6, 9, v0
	v_or_b32_e32 v0, 0x180, v2
	s_waitcnt lgkmcnt(0)
	s_lshr_b32 s57, s33, 8
	s_lshr_b32 s56, s33, 16
	v_cmp_le_i32_e32 vcc, s50, v0
	s_mov_b64 s[4:5], 0
	s_mov_b64 s[16:17], 0
	s_and_saveexec_b64 s[0:1], vcc
	s_xor_b64 s[6:7], exec, s[0:1]
	s_cbranch_execz .LBB38_1512
; %bb.1:
	s_cmp_eq_u32 s15, 0
	s_cselect_b64 s[16:17], -1, 0
	v_cmp_gt_i32_e32 vcc, s50, v2
	s_mov_b64 s[0:1], -1
	s_mov_b64 s[28:29], 0
	s_mov_b64 s[22:23], 0
	;; [unrolled: 1-line block ×4, first 2 shown]
	s_and_saveexec_b64 s[24:25], vcc
	s_cbranch_execz .LBB38_375
; %bb.2:
	v_mul_lo_u32 v0, v2, s13
	v_mov_b32_e32 v1, s11
	s_and_b32 s20, s57, 0xff
	s_cmp_lt_i32 s20, 11
	v_ashrrev_i32_e32 v3, 31, v0
	v_add_co_u32_e32 v0, vcc, s10, v0
	v_addc_co_u32_e32 v1, vcc, v1, v3, vcc
	s_cbranch_scc1 .LBB38_9
; %bb.3:
	s_and_b32 s21, 0xffff, s20
	s_cmp_gt_i32 s21, 25
	s_cbranch_scc0 .LBB38_18
; %bb.4:
	s_cmp_gt_i32 s21, 28
	s_cbranch_scc0 .LBB38_28
; %bb.5:
	;; [unrolled: 3-line block ×4, first 2 shown]
	s_cmp_eq_u32 s21, 46
	s_cbranch_scc0 .LBB38_37
; %bb.8:
	global_load_dword v3, v[0:1], off
	s_waitcnt vmcnt(0)
	v_lshlrev_b32_e32 v3, 16, v3
	v_cvt_i32_f32_e32 v3, v3
	s_branch .LBB38_39
.LBB38_9:
                                        ; implicit-def: $vgpr3
	s_mov_b64 s[0:1], 0
	s_cbranch_execnz .LBB38_101
.LBB38_10:
	s_andn2_b64 vcc, exec, s[0:1]
	s_cbranch_vccnz .LBB38_148
.LBB38_11:
	v_mul_lo_u32 v0, v2, s14
	v_mov_b32_e32 v1, s3
	s_and_b32 s26, s56, 0xff
	s_cmp_lt_i32 s26, 11
	v_ashrrev_i32_e32 v4, 31, v0
	v_add_co_u32_e32 v0, vcc, s2, v0
	v_addc_co_u32_e32 v1, vcc, v1, v4, vcc
	s_cbranch_scc1 .LBB38_19
; %bb.12:
	s_and_b32 s27, 0xffff, s26
	s_cmp_gt_i32 s27, 25
	s_cbranch_scc0 .LBB38_29
; %bb.13:
	s_cmp_gt_i32 s27, 28
	s_cbranch_scc0 .LBB38_32
; %bb.14:
	;; [unrolled: 3-line block ×4, first 2 shown]
	s_cmp_eq_u32 s27, 46
	s_mov_b64 s[18:19], 0
	s_cbranch_scc0 .LBB38_149
; %bb.17:
	global_load_dword v4, v[0:1], off
	s_mov_b64 s[0:1], -1
	s_mov_b64 s[20:21], 0
	s_waitcnt vmcnt(0)
	v_lshlrev_b32_e32 v4, 16, v4
	v_cvt_i32_f32_e32 v4, v4
	s_branch .LBB38_151
.LBB38_18:
	s_mov_b64 s[0:1], 0
                                        ; implicit-def: $vgpr3
	s_cbranch_execnz .LBB38_68
	s_branch .LBB38_100
.LBB38_19:
	s_mov_b64 s[20:21], 0
                                        ; implicit-def: $vgpr4
	s_mov_b64 s[0:1], 0
	s_cbranch_execnz .LBB38_324
.LBB38_20:
	s_andn2_b64 vcc, exec, s[0:1]
	s_cbranch_vccnz .LBB38_372
.LBB38_21:
	v_mul_lo_u32 v0, v2, s12
	s_waitcnt vmcnt(0)
	v_cmp_ne_u32_e32 vcc, v3, v4
	v_mov_b32_e32 v1, s9
	s_xor_b64 s[18:19], s[16:17], vcc
	v_ashrrev_i32_e32 v3, 31, v0
	s_and_b32 s36, s33, 0xff
	v_add_co_u32_e32 v0, vcc, s8, v0
	s_cmp_lt_i32 s36, 11
	v_addc_co_u32_e32 v1, vcc, v1, v3, vcc
	s_cbranch_scc1 .LBB38_30
; %bb.22:
	s_and_b32 s37, 0xffff, s36
	s_cmp_gt_i32 s37, 25
	s_cbranch_scc0 .LBB38_33
; %bb.23:
	s_cmp_gt_i32 s37, 28
	s_cbranch_scc0 .LBB38_36
; %bb.24:
	;; [unrolled: 3-line block ×4, first 2 shown]
	s_mov_b64 s[30:31], 0
	s_mov_b64 s[0:1], -1
	s_cmp_eq_u32 s37, 46
	s_mov_b64 s[26:27], 0
	s_cbranch_scc0 .LBB38_155
; %bb.27:
	v_cndmask_b32_e64 v3, 0, 1.0, s[18:19]
	v_bfe_u32 v4, v3, 16, 1
	s_movk_i32 s0, 0x7fff
	v_add3_u32 v3, v3, v4, s0
	v_lshrrev_b32_e32 v3, 16, v3
	global_store_dword v[0:1], v3, off
	s_mov_b64 s[26:27], -1
	s_mov_b64 s[0:1], 0
	s_branch .LBB38_155
.LBB38_28:
	s_mov_b64 s[18:19], -1
	s_mov_b64 s[0:1], 0
                                        ; implicit-def: $vgpr3
	s_branch .LBB38_51
.LBB38_29:
	s_mov_b64 s[18:19], -1
	s_mov_b64 s[20:21], 0
	s_mov_b64 s[0:1], 0
                                        ; implicit-def: $vgpr4
	s_branch .LBB38_290
.LBB38_30:
	s_mov_b64 s[30:31], -1
	s_mov_b64 s[0:1], 0
	s_mov_b64 s[26:27], 0
	s_branch .LBB38_224
.LBB38_31:
	s_mov_b64 s[18:19], -1
	s_mov_b64 s[0:1], 0
                                        ; implicit-def: $vgpr3
	s_branch .LBB38_46
.LBB38_32:
	s_mov_b64 s[18:19], -1
	s_mov_b64 s[20:21], 0
	s_mov_b64 s[0:1], 0
                                        ; implicit-def: $vgpr4
	s_branch .LBB38_273
.LBB38_33:
	s_mov_b64 s[30:31], -1
	s_mov_b64 s[0:1], 0
	s_mov_b64 s[26:27], 0
	s_branch .LBB38_182
.LBB38_34:
	s_mov_b64 s[18:19], -1
	s_branch .LBB38_38
.LBB38_35:
	s_mov_b64 s[18:19], -1
	s_mov_b64 s[20:21], 0
	s_mov_b64 s[0:1], 0
                                        ; implicit-def: $vgpr4
	s_branch .LBB38_268
.LBB38_36:
	s_mov_b64 s[30:31], -1
	s_mov_b64 s[0:1], 0
	s_mov_b64 s[26:27], 0
	s_branch .LBB38_165
.LBB38_37:
	s_mov_b64 s[22:23], -1
.LBB38_38:
	s_mov_b64 s[0:1], 0
                                        ; implicit-def: $vgpr3
.LBB38_39:
	s_and_b64 vcc, exec, s[18:19]
	s_cbranch_vccz .LBB38_45
; %bb.40:
	s_cmp_eq_u32 s21, 44
	s_cbranch_scc0 .LBB38_44
; %bb.41:
	global_load_ubyte v3, v[0:1], off
	s_mov_b64 s[0:1], -1
	s_mov_b64 s[22:23], 0
	s_waitcnt vmcnt(0)
	v_lshlrev_b32_e32 v4, 23, v3
	v_cvt_i32_f32_e32 v4, v4
	v_cmp_ne_u32_e32 vcc, 0, v3
	v_cndmask_b32_e32 v3, 0, v4, vcc
	s_branch .LBB38_45
.LBB38_42:
	s_mov_b64 s[18:19], -1
	s_mov_b64 s[20:21], 0
	s_branch .LBB38_150
.LBB38_43:
	s_mov_b64 s[30:31], -1
	s_mov_b64 s[0:1], 0
	s_mov_b64 s[26:27], 0
	s_branch .LBB38_161
.LBB38_44:
	s_mov_b64 s[22:23], -1
                                        ; implicit-def: $vgpr3
.LBB38_45:
	s_mov_b64 s[18:19], 0
.LBB38_46:
	s_and_b64 vcc, exec, s[18:19]
	s_cbranch_vccz .LBB38_50
; %bb.47:
	s_cmp_eq_u32 s21, 29
	s_cbranch_scc0 .LBB38_49
; %bb.48:
	global_load_dword v3, v[0:1], off
	s_mov_b64 s[0:1], -1
	s_mov_b64 s[22:23], 0
	s_branch .LBB38_50
.LBB38_49:
	s_mov_b64 s[22:23], -1
                                        ; implicit-def: $vgpr3
.LBB38_50:
	s_mov_b64 s[18:19], 0
.LBB38_51:
	s_and_b64 vcc, exec, s[18:19]
	s_cbranch_vccz .LBB38_67
; %bb.52:
	s_cmp_lt_i32 s21, 27
	s_cbranch_scc1 .LBB38_55
; %bb.53:
	s_cmp_gt_i32 s21, 27
	s_cbranch_scc0 .LBB38_56
; %bb.54:
	global_load_dword v3, v[0:1], off
	s_mov_b64 s[0:1], 0
	s_branch .LBB38_57
.LBB38_55:
	s_mov_b64 s[0:1], -1
                                        ; implicit-def: $vgpr3
	s_branch .LBB38_60
.LBB38_56:
	s_mov_b64 s[0:1], -1
                                        ; implicit-def: $vgpr3
.LBB38_57:
	s_andn2_b64 vcc, exec, s[0:1]
	s_cbranch_vccnz .LBB38_59
; %bb.58:
	global_load_ushort v3, v[0:1], off
.LBB38_59:
	s_mov_b64 s[0:1], 0
.LBB38_60:
	s_andn2_b64 vcc, exec, s[0:1]
	s_cbranch_vccnz .LBB38_66
; %bb.61:
	global_load_ubyte v4, v[0:1], off
	s_movk_i32 s0, 0x7f
	s_mov_b64 s[18:19], 0
	s_waitcnt vmcnt(0)
	v_cmp_lt_i16_e32 vcc, s0, v4
	s_and_saveexec_b64 s[0:1], vcc
	s_xor_b64 s[0:1], exec, s[0:1]
	s_cbranch_execz .LBB38_77
; %bb.62:
	s_movk_i32 s18, 0x80
	v_cmp_ne_u16_e32 vcc, s18, v4
	s_and_b64 s[18:19], vcc, exec
	s_andn2_saveexec_b64 s[0:1], s[0:1]
	s_cbranch_execnz .LBB38_78
.LBB38_63:
	s_or_b64 exec, exec, s[0:1]
	v_mov_b32_e32 v3, 0
	s_and_saveexec_b64 s[0:1], s[18:19]
	s_cbranch_execz .LBB38_65
.LBB38_64:
	v_lshlrev_b32_e32 v3, 24, v4
	v_and_b32_e32 v4, 0xffff, v4
	v_and_b32_e32 v5, 7, v4
	v_ffbh_u32_e32 v7, v5
	v_min_u32_e32 v7, 32, v7
	v_subrev_u32_e32 v8, 28, v7
	v_bfe_u32 v6, v4, 3, 4
	v_lshlrev_b32_e32 v4, v8, v4
	v_sub_u32_e32 v7, 29, v7
	v_and_b32_e32 v4, 7, v4
	v_cmp_eq_u32_e32 vcc, 0, v6
	v_cndmask_b32_e32 v6, v6, v7, vcc
	v_cndmask_b32_e32 v4, v5, v4, vcc
	v_mov_b32_e32 v5, 0x3b800000
	v_lshlrev_b32_e32 v4, 20, v4
	v_and_b32_e32 v3, 0x80000000, v3
	v_lshl_add_u32 v5, v6, 23, v5
	v_or3_b32 v3, v3, v5, v4
	v_cvt_i32_f32_e32 v3, v3
.LBB38_65:
	s_or_b64 exec, exec, s[0:1]
.LBB38_66:
	s_mov_b64 s[0:1], -1
.LBB38_67:
	s_branch .LBB38_100
.LBB38_68:
	s_cmp_gt_i32 s21, 22
	s_cbranch_scc0 .LBB38_76
; %bb.69:
	s_cmp_lt_i32 s21, 24
	s_cbranch_scc1 .LBB38_79
; %bb.70:
	s_cmp_gt_i32 s21, 24
	s_cbranch_scc0 .LBB38_80
; %bb.71:
	global_load_ubyte v4, v[0:1], off
	s_movk_i32 s0, 0x7f
	s_mov_b64 s[18:19], 0
	s_waitcnt vmcnt(0)
	v_cmp_lt_i16_e32 vcc, s0, v4
	s_and_saveexec_b64 s[0:1], vcc
	s_xor_b64 s[0:1], exec, s[0:1]
	s_cbranch_execz .LBB38_92
; %bb.72:
	s_movk_i32 s18, 0x80
	v_cmp_ne_u16_e32 vcc, s18, v4
	s_and_b64 s[18:19], vcc, exec
	s_andn2_saveexec_b64 s[0:1], s[0:1]
	s_cbranch_execnz .LBB38_93
.LBB38_73:
	s_or_b64 exec, exec, s[0:1]
	v_mov_b32_e32 v3, 0
	s_and_saveexec_b64 s[0:1], s[18:19]
	s_cbranch_execz .LBB38_75
.LBB38_74:
	v_lshlrev_b32_e32 v3, 24, v4
	v_and_b32_e32 v4, 0xffff, v4
	v_and_b32_e32 v5, 3, v4
	v_ffbh_u32_e32 v7, v5
	v_min_u32_e32 v7, 32, v7
	v_subrev_u32_e32 v8, 29, v7
	v_bfe_u32 v6, v4, 2, 5
	v_lshlrev_b32_e32 v4, v8, v4
	v_sub_u32_e32 v7, 30, v7
	v_and_b32_e32 v4, 3, v4
	v_cmp_eq_u32_e32 vcc, 0, v6
	v_cndmask_b32_e32 v6, v6, v7, vcc
	v_cndmask_b32_e32 v4, v5, v4, vcc
	v_mov_b32_e32 v5, 0x37800000
	v_lshlrev_b32_e32 v4, 21, v4
	v_and_b32_e32 v3, 0x80000000, v3
	v_lshl_add_u32 v5, v6, 23, v5
	v_or3_b32 v3, v3, v5, v4
	v_cvt_i32_f32_e32 v3, v3
.LBB38_75:
	s_or_b64 exec, exec, s[0:1]
	s_mov_b64 s[0:1], 0
	s_branch .LBB38_81
.LBB38_76:
	s_mov_b64 s[18:19], -1
                                        ; implicit-def: $vgpr3
	s_branch .LBB38_87
.LBB38_77:
	s_andn2_saveexec_b64 s[0:1], s[0:1]
	s_cbranch_execz .LBB38_63
.LBB38_78:
	v_cmp_ne_u16_e32 vcc, 0, v4
	s_andn2_b64 s[18:19], s[18:19], exec
	s_and_b64 s[26:27], vcc, exec
	s_or_b64 s[18:19], s[18:19], s[26:27]
	s_or_b64 exec, exec, s[0:1]
	v_mov_b32_e32 v3, 0
	s_and_saveexec_b64 s[0:1], s[18:19]
	s_cbranch_execnz .LBB38_64
	s_branch .LBB38_65
.LBB38_79:
	s_mov_b64 s[0:1], -1
                                        ; implicit-def: $vgpr3
	s_branch .LBB38_84
.LBB38_80:
	s_mov_b64 s[0:1], -1
                                        ; implicit-def: $vgpr3
.LBB38_81:
	s_and_b64 vcc, exec, s[0:1]
	s_cbranch_vccz .LBB38_83
; %bb.82:
	global_load_ubyte v3, v[0:1], off
	s_mov_b32 s0, 0x7f800000
	s_waitcnt vmcnt(0)
	v_lshlrev_b32_e32 v3, 24, v3
	v_and_b32_e32 v4, 0x7f000000, v3
	v_ffbh_u32_e32 v5, v4
	v_min_u32_e32 v5, 32, v5
	v_sub_u32_e64 v5, v5, 4 clamp
	v_lshlrev_b32_e32 v7, v5, v4
	v_lshlrev_b32_e32 v5, 23, v5
	v_lshrrev_b32_e32 v7, 4, v7
	v_add_u32_e32 v6, 0x1000000, v4
	v_sub_u32_e32 v5, v7, v5
	v_ashrrev_i32_e32 v6, 8, v6
	v_add_u32_e32 v5, 0x3c000000, v5
	v_and_or_b32 v5, v6, s0, v5
	v_cmp_ne_u32_e32 vcc, 0, v4
	v_cndmask_b32_e32 v4, 0, v5, vcc
	s_brev_b32 s0, 1
	v_and_or_b32 v3, v3, s0, v4
	v_cvt_i32_f32_e32 v3, v3
.LBB38_83:
	s_mov_b64 s[0:1], 0
.LBB38_84:
	s_andn2_b64 vcc, exec, s[0:1]
	s_cbranch_vccnz .LBB38_86
; %bb.85:
	global_load_ubyte v3, v[0:1], off
	s_movk_i32 s0, 0x7f00
	s_brev_b32 s1, 16
	s_waitcnt vmcnt(0)
	v_lshlrev_b16_e32 v4, 8, v3
	v_lshlrev_b32_e32 v3, 25, v3
	v_lshrrev_b32_e32 v5, 4, v3
	v_and_or_b32 v6, v4, s0, 0.5
	v_or_b32_e32 v5, 0x70000000, v5
	v_add_f32_e32 v6, -0.5, v6
	v_mul_f32_e32 v5, 0x7800000, v5
	v_cmp_gt_u32_e32 vcc, s1, v3
	v_bfe_i32 v4, v4, 0, 16
	v_cndmask_b32_e32 v3, v5, v6, vcc
	s_brev_b32 s0, 1
	v_and_or_b32 v3, v4, s0, v3
	v_cvt_i32_f32_e32 v3, v3
.LBB38_86:
	s_mov_b64 s[18:19], 0
	s_mov_b64 s[0:1], -1
.LBB38_87:
	s_andn2_b64 vcc, exec, s[18:19]
	s_cbranch_vccnz .LBB38_100
; %bb.88:
	s_cmp_gt_i32 s21, 14
	s_cbranch_scc0 .LBB38_91
; %bb.89:
	s_cmp_eq_u32 s21, 15
	s_cbranch_scc0 .LBB38_94
; %bb.90:
	global_load_ushort v3, v[0:1], off
	s_mov_b64 s[0:1], -1
	s_mov_b64 s[22:23], 0
	s_waitcnt vmcnt(0)
	v_lshlrev_b32_e32 v3, 16, v3
	v_cvt_i32_f32_e32 v3, v3
	s_branch .LBB38_95
.LBB38_91:
	s_mov_b64 s[18:19], -1
                                        ; implicit-def: $vgpr3
	s_branch .LBB38_96
.LBB38_92:
	s_andn2_saveexec_b64 s[0:1], s[0:1]
	s_cbranch_execz .LBB38_73
.LBB38_93:
	v_cmp_ne_u16_e32 vcc, 0, v4
	s_andn2_b64 s[18:19], s[18:19], exec
	s_and_b64 s[26:27], vcc, exec
	s_or_b64 s[18:19], s[18:19], s[26:27]
	s_or_b64 exec, exec, s[0:1]
	v_mov_b32_e32 v3, 0
	s_and_saveexec_b64 s[0:1], s[18:19]
	s_cbranch_execnz .LBB38_74
	s_branch .LBB38_75
.LBB38_94:
	s_mov_b64 s[22:23], -1
                                        ; implicit-def: $vgpr3
.LBB38_95:
	s_mov_b64 s[18:19], 0
.LBB38_96:
	s_and_b64 vcc, exec, s[18:19]
	s_cbranch_vccz .LBB38_100
; %bb.97:
	s_cmp_eq_u32 s21, 11
	s_cbranch_scc0 .LBB38_99
; %bb.98:
	global_load_ubyte v3, v[0:1], off
	s_mov_b64 s[0:1], -1
	s_mov_b64 s[22:23], 0
	s_waitcnt vmcnt(0)
	v_cmp_ne_u16_e32 vcc, 0, v3
	v_cndmask_b32_e64 v3, 0, 1, vcc
	s_branch .LBB38_100
.LBB38_99:
	s_mov_b64 s[22:23], -1
                                        ; implicit-def: $vgpr3
.LBB38_100:
	s_branch .LBB38_10
.LBB38_101:
	s_and_b32 s18, 0xffff, s20
	s_cmp_lt_i32 s18, 5
	s_cbranch_scc1 .LBB38_106
; %bb.102:
	s_cmp_lt_i32 s18, 8
	s_cbranch_scc1 .LBB38_107
; %bb.103:
	;; [unrolled: 3-line block ×3, first 2 shown]
	s_cmp_gt_i32 s18, 9
	s_cbranch_scc0 .LBB38_109
; %bb.105:
	global_load_dwordx2 v[3:4], v[0:1], off
	s_mov_b64 s[0:1], 0
	s_waitcnt vmcnt(0)
	v_cvt_i32_f64_e32 v3, v[3:4]
	s_branch .LBB38_110
.LBB38_106:
                                        ; implicit-def: $vgpr3
	s_branch .LBB38_128
.LBB38_107:
	s_mov_b64 s[0:1], -1
                                        ; implicit-def: $vgpr3
	s_branch .LBB38_116
.LBB38_108:
	s_mov_b64 s[0:1], -1
                                        ; implicit-def: $vgpr3
	s_branch .LBB38_113
.LBB38_109:
	s_mov_b64 s[0:1], -1
                                        ; implicit-def: $vgpr3
.LBB38_110:
	s_andn2_b64 vcc, exec, s[0:1]
	s_cbranch_vccnz .LBB38_112
; %bb.111:
	global_load_dword v3, v[0:1], off
	s_waitcnt vmcnt(0)
	v_cvt_i32_f32_e32 v3, v3
.LBB38_112:
	s_mov_b64 s[0:1], 0
.LBB38_113:
	s_andn2_b64 vcc, exec, s[0:1]
	s_cbranch_vccnz .LBB38_115
; %bb.114:
	global_load_dword v3, v[0:1], off
	s_waitcnt vmcnt(0)
	v_cvt_f32_f16_e32 v3, v3
	v_cvt_i32_f32_e32 v3, v3
.LBB38_115:
	s_mov_b64 s[0:1], 0
.LBB38_116:
	s_andn2_b64 vcc, exec, s[0:1]
	s_cbranch_vccnz .LBB38_127
; %bb.117:
	s_cmp_lt_i32 s18, 6
	s_cbranch_scc1 .LBB38_120
; %bb.118:
	s_cmp_gt_i32 s18, 6
	s_cbranch_scc0 .LBB38_121
; %bb.119:
	global_load_dwordx2 v[3:4], v[0:1], off
	s_mov_b64 s[0:1], 0
	s_waitcnt vmcnt(0)
	v_cvt_i32_f64_e32 v3, v[3:4]
	s_branch .LBB38_122
.LBB38_120:
	s_mov_b64 s[0:1], -1
                                        ; implicit-def: $vgpr3
	s_branch .LBB38_125
.LBB38_121:
	s_mov_b64 s[0:1], -1
                                        ; implicit-def: $vgpr3
.LBB38_122:
	s_andn2_b64 vcc, exec, s[0:1]
	s_cbranch_vccnz .LBB38_124
; %bb.123:
	global_load_dword v3, v[0:1], off
	s_waitcnt vmcnt(0)
	v_cvt_i32_f32_e32 v3, v3
.LBB38_124:
	s_mov_b64 s[0:1], 0
.LBB38_125:
	s_andn2_b64 vcc, exec, s[0:1]
	s_cbranch_vccnz .LBB38_127
; %bb.126:
	global_load_ushort v3, v[0:1], off
	s_waitcnt vmcnt(0)
	v_cvt_f32_f16_e32 v3, v3
	v_cvt_i32_f32_e32 v3, v3
.LBB38_127:
	s_cbranch_execnz .LBB38_147
.LBB38_128:
	s_cmp_lt_i32 s18, 2
	s_cbranch_scc1 .LBB38_132
; %bb.129:
	s_cmp_lt_i32 s18, 3
	s_cbranch_scc1 .LBB38_133
; %bb.130:
	s_cmp_gt_i32 s18, 3
	s_cbranch_scc0 .LBB38_134
; %bb.131:
	global_load_dword v3, v[0:1], off
	s_mov_b64 s[0:1], 0
	s_branch .LBB38_135
.LBB38_132:
	s_mov_b64 s[0:1], -1
                                        ; implicit-def: $vgpr3
	s_branch .LBB38_141
.LBB38_133:
	s_mov_b64 s[0:1], -1
                                        ; implicit-def: $vgpr3
	s_branch .LBB38_138
.LBB38_134:
	s_mov_b64 s[0:1], -1
                                        ; implicit-def: $vgpr3
.LBB38_135:
	s_andn2_b64 vcc, exec, s[0:1]
	s_cbranch_vccnz .LBB38_137
; %bb.136:
	global_load_dword v3, v[0:1], off
.LBB38_137:
	s_mov_b64 s[0:1], 0
.LBB38_138:
	s_andn2_b64 vcc, exec, s[0:1]
	s_cbranch_vccnz .LBB38_140
; %bb.139:
	global_load_sshort v3, v[0:1], off
.LBB38_140:
	s_mov_b64 s[0:1], 0
.LBB38_141:
	s_andn2_b64 vcc, exec, s[0:1]
	s_cbranch_vccnz .LBB38_147
; %bb.142:
	s_cmp_gt_i32 s18, 0
	s_cbranch_scc0 .LBB38_144
; %bb.143:
	global_load_sbyte v3, v[0:1], off
	s_mov_b64 s[0:1], 0
	s_branch .LBB38_145
.LBB38_144:
	s_mov_b64 s[0:1], -1
                                        ; implicit-def: $vgpr3
.LBB38_145:
	s_andn2_b64 vcc, exec, s[0:1]
	s_cbranch_vccnz .LBB38_147
; %bb.146:
	global_load_ubyte v3, v[0:1], off
.LBB38_147:
	s_branch .LBB38_11
.LBB38_148:
	s_mov_b64 s[0:1], 0
	s_mov_b64 s[20:21], 0
	s_branch .LBB38_373
.LBB38_149:
	s_mov_b64 s[20:21], -1
.LBB38_150:
	s_mov_b64 s[0:1], 0
                                        ; implicit-def: $vgpr4
.LBB38_151:
	s_and_b64 vcc, exec, s[18:19]
	s_cbranch_vccz .LBB38_267
; %bb.152:
	s_cmp_eq_u32 s27, 44
	s_cbranch_scc0 .LBB38_266
; %bb.153:
	global_load_ubyte v4, v[0:1], off
	s_mov_b64 s[0:1], -1
	s_mov_b64 s[20:21], 0
	s_waitcnt vmcnt(0)
	v_lshlrev_b32_e32 v5, 23, v4
	v_cvt_i32_f32_e32 v5, v5
	v_cmp_ne_u32_e32 vcc, 0, v4
	v_cndmask_b32_e32 v4, 0, v5, vcc
	s_branch .LBB38_267
.LBB38_154:
	s_mov_b64 s[30:31], -1
	s_mov_b64 s[0:1], 0
	s_mov_b64 s[26:27], 0
.LBB38_155:
	s_and_b64 vcc, exec, s[30:31]
	s_cbranch_vccz .LBB38_160
; %bb.156:
	s_cmp_eq_u32 s37, 44
	s_mov_b64 s[0:1], -1
	s_cbranch_scc0 .LBB38_160
; %bb.157:
	v_cndmask_b32_e64 v4, 0, 1.0, s[18:19]
	v_lshrrev_b32_e32 v3, 23, v4
	s_movk_i32 s0, 0xff
	v_cmp_ne_u32_e32 vcc, s0, v3
	v_mov_b32_e32 v5, 0xff
	s_and_saveexec_b64 s[26:27], vcc
; %bb.158:
	s_mov_b32 s0, 0x3fffff
	v_and_b32_e32 v5, 0x400000, v4
	v_and_or_b32 v4, v4, s0, v3
	v_cmp_ne_u32_e32 vcc, 0, v5
	v_cmp_ne_u32_e64 s[0:1], 0, v4
	s_and_b64 s[0:1], vcc, s[0:1]
	v_cndmask_b32_e64 v4, 0, 1, s[0:1]
	v_add_u32_e32 v5, v3, v4
; %bb.159:
	s_or_b64 exec, exec, s[26:27]
	s_mov_b64 s[26:27], -1
	s_mov_b64 s[0:1], 0
	global_store_byte v[0:1], v5, off
.LBB38_160:
	s_mov_b64 s[30:31], 0
.LBB38_161:
	s_and_b64 vcc, exec, s[30:31]
	s_cbranch_vccz .LBB38_164
; %bb.162:
	s_cmp_eq_u32 s37, 29
	s_mov_b64 s[0:1], -1
	s_cbranch_scc0 .LBB38_164
; %bb.163:
	s_mov_b32 s0, 0
	v_cndmask_b32_e64 v3, 0, 1, s[18:19]
	v_mov_b32_e32 v4, s0
	global_store_dwordx2 v[0:1], v[3:4], off
	s_mov_b64 s[26:27], -1
	s_mov_b64 s[0:1], 0
.LBB38_164:
	s_mov_b64 s[30:31], 0
.LBB38_165:
	s_and_b64 vcc, exec, s[30:31]
	s_cbranch_vccz .LBB38_181
; %bb.166:
	s_cmp_lt_i32 s37, 27
	s_mov_b64 s[26:27], -1
	s_cbranch_scc1 .LBB38_172
; %bb.167:
	s_cmp_gt_i32 s37, 27
	s_cbranch_scc0 .LBB38_169
; %bb.168:
	v_cndmask_b32_e64 v3, 0, 1, s[18:19]
	s_mov_b64 s[26:27], 0
	global_store_dword v[0:1], v3, off
.LBB38_169:
	s_andn2_b64 vcc, exec, s[26:27]
	s_cbranch_vccnz .LBB38_171
; %bb.170:
	v_cndmask_b32_e64 v3, 0, 1, s[18:19]
	global_store_short v[0:1], v3, off
.LBB38_171:
	s_mov_b64 s[26:27], 0
.LBB38_172:
	s_andn2_b64 vcc, exec, s[26:27]
	s_cbranch_vccnz .LBB38_180
; %bb.173:
	v_cndmask_b32_e64 v4, 0, 1.0, s[18:19]
	s_mov_b32 s26, 0x43800000
	v_cmp_gt_u32_e32 vcc, s26, v4
	v_mov_b32_e32 v5, 0x80
	s_and_saveexec_b64 s[26:27], vcc
	s_cbranch_execz .LBB38_179
; %bb.174:
	s_mov_b32 s30, 0x3bffffff
	v_cmp_lt_u32_e32 vcc, s30, v4
	s_mov_b64 s[30:31], 0
                                        ; implicit-def: $vgpr3
	s_and_saveexec_b64 s[34:35], vcc
	s_xor_b64 s[34:35], exec, s[34:35]
	s_cbranch_execz .LBB38_404
; %bb.175:
	v_bfe_u32 v3, v4, 20, 1
	s_mov_b32 s38, 0x487ffff
	v_add3_u32 v3, v4, v3, s38
	s_mov_b64 s[30:31], exec
	v_lshrrev_b32_e32 v3, 20, v3
                                        ; implicit-def: $vgpr4
	s_andn2_saveexec_b64 s[34:35], s[34:35]
	s_cbranch_execnz .LBB38_405
.LBB38_176:
	s_or_b64 exec, exec, s[34:35]
	v_mov_b32_e32 v5, 0
	s_and_saveexec_b64 s[34:35], s[30:31]
.LBB38_177:
	v_mov_b32_e32 v5, v3
.LBB38_178:
	s_or_b64 exec, exec, s[34:35]
.LBB38_179:
	s_or_b64 exec, exec, s[26:27]
	global_store_byte v[0:1], v5, off
.LBB38_180:
	s_mov_b64 s[26:27], -1
.LBB38_181:
	s_mov_b64 s[30:31], 0
.LBB38_182:
	s_and_b64 vcc, exec, s[30:31]
	s_cbranch_vccz .LBB38_223
; %bb.183:
	s_cmp_gt_i32 s37, 22
	s_mov_b64 s[30:31], -1
	s_cbranch_scc0 .LBB38_215
; %bb.184:
	s_cmp_lt_i32 s37, 24
	s_mov_b64 s[26:27], -1
	s_cbranch_scc1 .LBB38_204
; %bb.185:
	s_cmp_gt_i32 s37, 24
	s_cbranch_scc0 .LBB38_193
; %bb.186:
	v_cndmask_b32_e64 v4, 0, 1.0, s[18:19]
	s_mov_b32 s26, 0x47800000
	v_cmp_gt_u32_e32 vcc, s26, v4
	v_mov_b32_e32 v5, 0x80
	s_and_saveexec_b64 s[26:27], vcc
	s_cbranch_execz .LBB38_192
; %bb.187:
	s_mov_b32 s30, 0x37ffffff
	v_cmp_lt_u32_e32 vcc, s30, v4
	s_mov_b64 s[30:31], 0
                                        ; implicit-def: $vgpr3
	s_and_saveexec_b64 s[34:35], vcc
	s_xor_b64 s[34:35], exec, s[34:35]
	s_cbranch_execz .LBB38_519
; %bb.188:
	v_bfe_u32 v3, v4, 21, 1
	s_mov_b32 s38, 0x88fffff
	v_add3_u32 v3, v4, v3, s38
	s_mov_b64 s[30:31], exec
	v_lshrrev_b32_e32 v3, 21, v3
                                        ; implicit-def: $vgpr4
	s_andn2_saveexec_b64 s[34:35], s[34:35]
	s_cbranch_execnz .LBB38_520
.LBB38_189:
	s_or_b64 exec, exec, s[34:35]
	v_mov_b32_e32 v5, 0
	s_and_saveexec_b64 s[34:35], s[30:31]
.LBB38_190:
	v_mov_b32_e32 v5, v3
.LBB38_191:
	s_or_b64 exec, exec, s[34:35]
.LBB38_192:
	s_or_b64 exec, exec, s[26:27]
	s_mov_b64 s[26:27], 0
	global_store_byte v[0:1], v5, off
.LBB38_193:
	s_and_b64 vcc, exec, s[26:27]
	s_cbranch_vccz .LBB38_203
; %bb.194:
	v_cndmask_b32_e64 v3, 0, 1.0, s[18:19]
	s_mov_b32 s26, 0x43f00000
	v_cmp_gt_u32_e32 vcc, s26, v3
                                        ; implicit-def: $vgpr4
	s_and_saveexec_b64 s[26:27], vcc
	s_xor_b64 s[26:27], exec, s[26:27]
	s_cbranch_execz .LBB38_200
; %bb.195:
	s_mov_b32 s30, 0x3c7fffff
	v_cmp_lt_u32_e32 vcc, s30, v3
                                        ; implicit-def: $vgpr4
	s_and_saveexec_b64 s[30:31], vcc
	s_xor_b64 s[30:31], exec, s[30:31]
; %bb.196:
	v_bfe_u32 v4, v3, 20, 1
	s_mov_b32 s34, 0x407ffff
	v_add3_u32 v3, v3, v4, s34
	v_lshrrev_b32_e32 v4, 20, v3
	v_and_b32_e32 v3, 0xff00000, v3
	s_mov_b32 s34, 0x7f00000
	v_mov_b32_e32 v5, 0x7e
	v_cmp_ne_u32_e32 vcc, s34, v3
	v_cndmask_b32_e32 v4, v5, v4, vcc
                                        ; implicit-def: $vgpr3
; %bb.197:
	s_andn2_saveexec_b64 s[30:31], s[30:31]
; %bb.198:
	v_add_f32_e32 v4, 0x46800000, v3
; %bb.199:
	s_or_b64 exec, exec, s[30:31]
                                        ; implicit-def: $vgpr3
.LBB38_200:
	s_andn2_saveexec_b64 s[26:27], s[26:27]
; %bb.201:
	s_mov_b32 s30, 0x7f800000
	v_mov_b32_e32 v4, 0x7e
	v_mov_b32_e32 v5, 0x7f
	v_cmp_lt_u32_e32 vcc, s30, v3
	v_cndmask_b32_e32 v4, v4, v5, vcc
; %bb.202:
	s_or_b64 exec, exec, s[26:27]
	global_store_byte v[0:1], v4, off
.LBB38_203:
	s_mov_b64 s[26:27], 0
.LBB38_204:
	s_andn2_b64 vcc, exec, s[26:27]
	s_cbranch_vccnz .LBB38_214
; %bb.205:
	v_cndmask_b32_e64 v3, 0, 1.0, s[18:19]
	s_mov_b32 s26, 0x47800000
	v_cmp_gt_u32_e32 vcc, s26, v3
                                        ; implicit-def: $vgpr4
	s_and_saveexec_b64 s[26:27], vcc
	s_xor_b64 s[26:27], exec, s[26:27]
	s_cbranch_execz .LBB38_211
; %bb.206:
	s_mov_b32 s30, 0x387fffff
	v_cmp_lt_u32_e32 vcc, s30, v3
                                        ; implicit-def: $vgpr4
	s_and_saveexec_b64 s[30:31], vcc
	s_xor_b64 s[30:31], exec, s[30:31]
; %bb.207:
	v_bfe_u32 v4, v3, 21, 1
	s_mov_b32 s34, 0x80fffff
	v_add3_u32 v3, v3, v4, s34
	v_lshrrev_b32_e32 v4, 21, v3
                                        ; implicit-def: $vgpr3
; %bb.208:
	s_andn2_saveexec_b64 s[30:31], s[30:31]
; %bb.209:
	v_add_f32_e32 v4, 0x43000000, v3
; %bb.210:
	s_or_b64 exec, exec, s[30:31]
                                        ; implicit-def: $vgpr3
.LBB38_211:
	s_andn2_saveexec_b64 s[26:27], s[26:27]
; %bb.212:
	s_mov_b32 s30, 0x7f800000
	v_mov_b32_e32 v4, 0x7c
	v_mov_b32_e32 v5, 0x7f
	v_cmp_lt_u32_e32 vcc, s30, v3
	v_cndmask_b32_e32 v4, v4, v5, vcc
; %bb.213:
	s_or_b64 exec, exec, s[26:27]
	global_store_byte v[0:1], v4, off
.LBB38_214:
	s_mov_b64 s[30:31], 0
	s_mov_b64 s[26:27], -1
.LBB38_215:
	s_andn2_b64 vcc, exec, s[30:31]
	s_cbranch_vccnz .LBB38_223
; %bb.216:
	s_cmp_gt_i32 s37, 14
	s_mov_b64 s[30:31], -1
	s_cbranch_scc0 .LBB38_220
; %bb.217:
	s_cmp_eq_u32 s37, 15
	s_mov_b64 s[0:1], -1
	s_cbranch_scc0 .LBB38_219
; %bb.218:
	v_cndmask_b32_e64 v3, 0, 1.0, s[18:19]
	v_bfe_u32 v4, v3, 16, 1
	s_movk_i32 s0, 0x7fff
	v_add3_u32 v3, v3, v4, s0
	global_store_short_d16_hi v[0:1], v3, off
	s_mov_b64 s[26:27], -1
	s_mov_b64 s[0:1], 0
.LBB38_219:
	s_mov_b64 s[30:31], 0
.LBB38_220:
	s_and_b64 vcc, exec, s[30:31]
	s_cbranch_vccz .LBB38_223
; %bb.221:
	s_cmp_eq_u32 s37, 11
	s_mov_b64 s[0:1], -1
	s_cbranch_scc0 .LBB38_223
; %bb.222:
	v_cndmask_b32_e64 v3, 0, 1, s[18:19]
	s_mov_b64 s[26:27], -1
	s_mov_b64 s[0:1], 0
	global_store_byte v[0:1], v3, off
.LBB38_223:
	s_mov_b64 s[30:31], 0
.LBB38_224:
	s_and_b64 vcc, exec, s[30:31]
	s_cbranch_vccz .LBB38_263
; %bb.225:
	s_and_b32 s30, 0xffff, s36
	s_cmp_lt_i32 s30, 5
	s_mov_b64 s[26:27], -1
	s_cbranch_scc1 .LBB38_246
; %bb.226:
	s_cmp_lt_i32 s30, 8
	s_cbranch_scc1 .LBB38_236
; %bb.227:
	s_cmp_lt_i32 s30, 9
	s_cbranch_scc1 .LBB38_233
; %bb.228:
	s_cmp_gt_i32 s30, 9
	s_cbranch_scc0 .LBB38_230
; %bb.229:
	v_cndmask_b32_e64 v3, 0, 1, s[18:19]
	v_cvt_f64_u32_e32 v[3:4], v3
	v_mov_b32_e32 v5, 0
	v_mov_b32_e32 v6, v5
	s_mov_b64 s[26:27], 0
	global_store_dwordx4 v[0:1], v[3:6], off
.LBB38_230:
	s_andn2_b64 vcc, exec, s[26:27]
	s_cbranch_vccnz .LBB38_232
; %bb.231:
	v_cndmask_b32_e64 v3, 0, 1.0, s[18:19]
	v_mov_b32_e32 v4, 0
	global_store_dwordx2 v[0:1], v[3:4], off
.LBB38_232:
	s_mov_b64 s[26:27], 0
.LBB38_233:
	s_andn2_b64 vcc, exec, s[26:27]
	s_cbranch_vccnz .LBB38_235
; %bb.234:
	v_cndmask_b32_e64 v3, 0, 1.0, s[18:19]
	v_cvt_f16_f32_e32 v3, v3
	global_store_dword v[0:1], v3, off
.LBB38_235:
	s_mov_b64 s[26:27], 0
.LBB38_236:
	s_andn2_b64 vcc, exec, s[26:27]
	s_cbranch_vccnz .LBB38_245
; %bb.237:
	s_cmp_lt_i32 s30, 6
	s_mov_b64 s[26:27], -1
	s_cbranch_scc1 .LBB38_243
; %bb.238:
	s_cmp_gt_i32 s30, 6
	s_cbranch_scc0 .LBB38_240
; %bb.239:
	v_cndmask_b32_e64 v3, 0, 1, s[18:19]
	v_cvt_f64_u32_e32 v[3:4], v3
	s_mov_b64 s[26:27], 0
	global_store_dwordx2 v[0:1], v[3:4], off
.LBB38_240:
	s_andn2_b64 vcc, exec, s[26:27]
	s_cbranch_vccnz .LBB38_242
; %bb.241:
	v_cndmask_b32_e64 v3, 0, 1.0, s[18:19]
	global_store_dword v[0:1], v3, off
.LBB38_242:
	s_mov_b64 s[26:27], 0
.LBB38_243:
	s_andn2_b64 vcc, exec, s[26:27]
	s_cbranch_vccnz .LBB38_245
; %bb.244:
	v_cndmask_b32_e64 v3, 0, 1.0, s[18:19]
	v_cvt_f16_f32_e32 v3, v3
	global_store_short v[0:1], v3, off
.LBB38_245:
	s_mov_b64 s[26:27], 0
.LBB38_246:
	s_andn2_b64 vcc, exec, s[26:27]
	s_cbranch_vccnz .LBB38_262
; %bb.247:
	s_cmp_lt_i32 s30, 2
	s_mov_b64 s[26:27], -1
	s_cbranch_scc1 .LBB38_257
; %bb.248:
	s_cmp_lt_i32 s30, 3
	s_cbranch_scc1 .LBB38_254
; %bb.249:
	s_cmp_gt_i32 s30, 3
	s_cbranch_scc0 .LBB38_251
; %bb.250:
	s_mov_b32 s26, 0
	v_cndmask_b32_e64 v3, 0, 1, s[18:19]
	v_mov_b32_e32 v4, s26
	global_store_dwordx2 v[0:1], v[3:4], off
	s_mov_b64 s[26:27], 0
.LBB38_251:
	s_andn2_b64 vcc, exec, s[26:27]
	s_cbranch_vccnz .LBB38_253
; %bb.252:
	v_cndmask_b32_e64 v3, 0, 1, s[18:19]
	global_store_dword v[0:1], v3, off
.LBB38_253:
	s_mov_b64 s[26:27], 0
.LBB38_254:
	s_andn2_b64 vcc, exec, s[26:27]
	s_cbranch_vccnz .LBB38_256
; %bb.255:
	v_cndmask_b32_e64 v3, 0, 1, s[18:19]
	global_store_short v[0:1], v3, off
.LBB38_256:
	s_mov_b64 s[26:27], 0
.LBB38_257:
	s_andn2_b64 vcc, exec, s[26:27]
	s_cbranch_vccnz .LBB38_262
; %bb.258:
	s_mov_b64 s[26:27], -1
	s_cmp_gt_i32 s30, 0
	v_cndmask_b32_e64 v3, 0, 1, s[18:19]
	s_cbranch_scc0 .LBB38_260
; %bb.259:
	global_store_byte v[0:1], v3, off
	s_mov_b64 s[26:27], 0
.LBB38_260:
	s_andn2_b64 vcc, exec, s[26:27]
	s_cbranch_vccnz .LBB38_262
; %bb.261:
	global_store_byte v[0:1], v3, off
.LBB38_262:
	s_mov_b64 s[26:27], -1
.LBB38_263:
	s_andn2_b64 vcc, exec, s[26:27]
	s_cbranch_vccnz .LBB38_265
; %bb.264:
	v_add_u32_e32 v2, 0x80, v2
	s_mov_b64 s[26:27], -1
	s_branch .LBB38_374
.LBB38_265:
	s_mov_b64 s[26:27], 0
                                        ; implicit-def: $vgpr2
	s_branch .LBB38_374
.LBB38_266:
	s_mov_b64 s[20:21], -1
                                        ; implicit-def: $vgpr4
.LBB38_267:
	s_mov_b64 s[18:19], 0
.LBB38_268:
	s_and_b64 vcc, exec, s[18:19]
	s_cbranch_vccz .LBB38_272
; %bb.269:
	s_cmp_eq_u32 s27, 29
	s_cbranch_scc0 .LBB38_271
; %bb.270:
	global_load_dword v4, v[0:1], off
	s_mov_b64 s[0:1], -1
	s_mov_b64 s[20:21], 0
	s_branch .LBB38_272
.LBB38_271:
	s_mov_b64 s[20:21], -1
                                        ; implicit-def: $vgpr4
.LBB38_272:
	s_mov_b64 s[18:19], 0
.LBB38_273:
	s_and_b64 vcc, exec, s[18:19]
	s_cbranch_vccz .LBB38_289
; %bb.274:
	s_cmp_lt_i32 s27, 27
	s_cbranch_scc1 .LBB38_277
; %bb.275:
	s_cmp_gt_i32 s27, 27
	s_cbranch_scc0 .LBB38_278
; %bb.276:
	global_load_dword v4, v[0:1], off
	s_mov_b64 s[0:1], 0
	s_branch .LBB38_279
.LBB38_277:
	s_mov_b64 s[0:1], -1
                                        ; implicit-def: $vgpr4
	s_branch .LBB38_282
.LBB38_278:
	s_mov_b64 s[0:1], -1
                                        ; implicit-def: $vgpr4
.LBB38_279:
	s_andn2_b64 vcc, exec, s[0:1]
	s_cbranch_vccnz .LBB38_281
; %bb.280:
	global_load_ushort v4, v[0:1], off
.LBB38_281:
	s_mov_b64 s[0:1], 0
.LBB38_282:
	s_andn2_b64 vcc, exec, s[0:1]
	s_cbranch_vccnz .LBB38_288
; %bb.283:
	global_load_ubyte v5, v[0:1], off
	s_movk_i32 s0, 0x7f
	s_mov_b64 s[18:19], 0
	s_waitcnt vmcnt(0)
	v_cmp_lt_i16_e32 vcc, s0, v5
	s_and_saveexec_b64 s[0:1], vcc
	s_xor_b64 s[0:1], exec, s[0:1]
	s_cbranch_execz .LBB38_300
; %bb.284:
	s_movk_i32 s18, 0x80
	v_cmp_ne_u16_e32 vcc, s18, v5
	s_and_b64 s[18:19], vcc, exec
	s_andn2_saveexec_b64 s[0:1], s[0:1]
	s_cbranch_execnz .LBB38_301
.LBB38_285:
	s_or_b64 exec, exec, s[0:1]
	v_mov_b32_e32 v4, 0
	s_and_saveexec_b64 s[0:1], s[18:19]
	s_cbranch_execz .LBB38_287
.LBB38_286:
	v_lshlrev_b32_e32 v4, 24, v5
	v_and_b32_e32 v5, 0xffff, v5
	v_and_b32_e32 v6, 7, v5
	v_ffbh_u32_e32 v8, v6
	v_min_u32_e32 v8, 32, v8
	v_subrev_u32_e32 v9, 28, v8
	v_bfe_u32 v7, v5, 3, 4
	v_lshlrev_b32_e32 v5, v9, v5
	v_sub_u32_e32 v8, 29, v8
	v_and_b32_e32 v5, 7, v5
	v_cmp_eq_u32_e32 vcc, 0, v7
	v_cndmask_b32_e32 v7, v7, v8, vcc
	v_cndmask_b32_e32 v5, v6, v5, vcc
	v_mov_b32_e32 v6, 0x3b800000
	v_lshlrev_b32_e32 v5, 20, v5
	v_and_b32_e32 v4, 0x80000000, v4
	v_lshl_add_u32 v6, v7, 23, v6
	v_or3_b32 v4, v4, v6, v5
	v_cvt_i32_f32_e32 v4, v4
.LBB38_287:
	s_or_b64 exec, exec, s[0:1]
.LBB38_288:
	s_mov_b64 s[0:1], -1
.LBB38_289:
	s_mov_b64 s[18:19], 0
.LBB38_290:
	s_and_b64 vcc, exec, s[18:19]
	s_cbranch_vccz .LBB38_323
; %bb.291:
	s_cmp_gt_i32 s27, 22
	s_cbranch_scc0 .LBB38_299
; %bb.292:
	s_cmp_lt_i32 s27, 24
	s_cbranch_scc1 .LBB38_302
; %bb.293:
	s_cmp_gt_i32 s27, 24
	s_cbranch_scc0 .LBB38_303
; %bb.294:
	global_load_ubyte v5, v[0:1], off
	s_movk_i32 s0, 0x7f
	s_mov_b64 s[18:19], 0
	s_waitcnt vmcnt(0)
	v_cmp_lt_i16_e32 vcc, s0, v5
	s_and_saveexec_b64 s[0:1], vcc
	s_xor_b64 s[0:1], exec, s[0:1]
	s_cbranch_execz .LBB38_315
; %bb.295:
	s_movk_i32 s18, 0x80
	v_cmp_ne_u16_e32 vcc, s18, v5
	s_and_b64 s[18:19], vcc, exec
	s_andn2_saveexec_b64 s[0:1], s[0:1]
	s_cbranch_execnz .LBB38_316
.LBB38_296:
	s_or_b64 exec, exec, s[0:1]
	v_mov_b32_e32 v4, 0
	s_and_saveexec_b64 s[0:1], s[18:19]
	s_cbranch_execz .LBB38_298
.LBB38_297:
	v_lshlrev_b32_e32 v4, 24, v5
	v_and_b32_e32 v5, 0xffff, v5
	v_and_b32_e32 v6, 3, v5
	v_ffbh_u32_e32 v8, v6
	v_min_u32_e32 v8, 32, v8
	v_subrev_u32_e32 v9, 29, v8
	v_bfe_u32 v7, v5, 2, 5
	v_lshlrev_b32_e32 v5, v9, v5
	v_sub_u32_e32 v8, 30, v8
	v_and_b32_e32 v5, 3, v5
	v_cmp_eq_u32_e32 vcc, 0, v7
	v_cndmask_b32_e32 v7, v7, v8, vcc
	v_cndmask_b32_e32 v5, v6, v5, vcc
	v_mov_b32_e32 v6, 0x37800000
	v_lshlrev_b32_e32 v5, 21, v5
	v_and_b32_e32 v4, 0x80000000, v4
	v_lshl_add_u32 v6, v7, 23, v6
	v_or3_b32 v4, v4, v6, v5
	v_cvt_i32_f32_e32 v4, v4
.LBB38_298:
	s_or_b64 exec, exec, s[0:1]
	s_mov_b64 s[0:1], 0
	s_branch .LBB38_304
.LBB38_299:
	s_mov_b64 s[18:19], -1
                                        ; implicit-def: $vgpr4
	s_branch .LBB38_310
.LBB38_300:
	s_andn2_saveexec_b64 s[0:1], s[0:1]
	s_cbranch_execz .LBB38_285
.LBB38_301:
	v_cmp_ne_u16_e32 vcc, 0, v5
	s_andn2_b64 s[18:19], s[18:19], exec
	s_and_b64 s[30:31], vcc, exec
	s_or_b64 s[18:19], s[18:19], s[30:31]
	s_or_b64 exec, exec, s[0:1]
	v_mov_b32_e32 v4, 0
	s_and_saveexec_b64 s[0:1], s[18:19]
	s_cbranch_execnz .LBB38_286
	s_branch .LBB38_287
.LBB38_302:
	s_mov_b64 s[0:1], -1
                                        ; implicit-def: $vgpr4
	s_branch .LBB38_307
.LBB38_303:
	s_mov_b64 s[0:1], -1
                                        ; implicit-def: $vgpr4
.LBB38_304:
	s_and_b64 vcc, exec, s[0:1]
	s_cbranch_vccz .LBB38_306
; %bb.305:
	global_load_ubyte v4, v[0:1], off
	s_mov_b32 s0, 0x7f800000
	s_waitcnt vmcnt(0)
	v_lshlrev_b32_e32 v4, 24, v4
	v_and_b32_e32 v5, 0x7f000000, v4
	v_ffbh_u32_e32 v6, v5
	v_min_u32_e32 v6, 32, v6
	v_sub_u32_e64 v6, v6, 4 clamp
	v_lshlrev_b32_e32 v8, v6, v5
	v_lshlrev_b32_e32 v6, 23, v6
	v_lshrrev_b32_e32 v8, 4, v8
	v_add_u32_e32 v7, 0x1000000, v5
	v_sub_u32_e32 v6, v8, v6
	v_ashrrev_i32_e32 v7, 8, v7
	v_add_u32_e32 v6, 0x3c000000, v6
	v_and_or_b32 v6, v7, s0, v6
	v_cmp_ne_u32_e32 vcc, 0, v5
	v_cndmask_b32_e32 v5, 0, v6, vcc
	s_brev_b32 s0, 1
	v_and_or_b32 v4, v4, s0, v5
	v_cvt_i32_f32_e32 v4, v4
.LBB38_306:
	s_mov_b64 s[0:1], 0
.LBB38_307:
	s_andn2_b64 vcc, exec, s[0:1]
	s_cbranch_vccnz .LBB38_309
; %bb.308:
	global_load_ubyte v4, v[0:1], off
	s_movk_i32 s0, 0x7f00
	s_brev_b32 s1, 16
	s_waitcnt vmcnt(0)
	v_lshlrev_b16_e32 v5, 8, v4
	v_lshlrev_b32_e32 v4, 25, v4
	v_lshrrev_b32_e32 v6, 4, v4
	v_and_or_b32 v7, v5, s0, 0.5
	v_or_b32_e32 v6, 0x70000000, v6
	v_add_f32_e32 v7, -0.5, v7
	v_mul_f32_e32 v6, 0x7800000, v6
	v_cmp_gt_u32_e32 vcc, s1, v4
	v_bfe_i32 v5, v5, 0, 16
	v_cndmask_b32_e32 v4, v6, v7, vcc
	s_brev_b32 s0, 1
	v_and_or_b32 v4, v5, s0, v4
	v_cvt_i32_f32_e32 v4, v4
.LBB38_309:
	s_mov_b64 s[18:19], 0
	s_mov_b64 s[0:1], -1
.LBB38_310:
	s_andn2_b64 vcc, exec, s[18:19]
	s_cbranch_vccnz .LBB38_323
; %bb.311:
	s_cmp_gt_i32 s27, 14
	s_cbranch_scc0 .LBB38_314
; %bb.312:
	s_cmp_eq_u32 s27, 15
	s_cbranch_scc0 .LBB38_317
; %bb.313:
	global_load_ushort v4, v[0:1], off
	s_mov_b64 s[0:1], -1
	s_mov_b64 s[20:21], 0
	s_waitcnt vmcnt(0)
	v_lshlrev_b32_e32 v4, 16, v4
	v_cvt_i32_f32_e32 v4, v4
	s_branch .LBB38_318
.LBB38_314:
	s_mov_b64 s[18:19], -1
                                        ; implicit-def: $vgpr4
	s_branch .LBB38_319
.LBB38_315:
	s_andn2_saveexec_b64 s[0:1], s[0:1]
	s_cbranch_execz .LBB38_296
.LBB38_316:
	v_cmp_ne_u16_e32 vcc, 0, v5
	s_andn2_b64 s[18:19], s[18:19], exec
	s_and_b64 s[30:31], vcc, exec
	s_or_b64 s[18:19], s[18:19], s[30:31]
	s_or_b64 exec, exec, s[0:1]
	v_mov_b32_e32 v4, 0
	s_and_saveexec_b64 s[0:1], s[18:19]
	s_cbranch_execnz .LBB38_297
	s_branch .LBB38_298
.LBB38_317:
	s_mov_b64 s[20:21], -1
                                        ; implicit-def: $vgpr4
.LBB38_318:
	s_mov_b64 s[18:19], 0
.LBB38_319:
	s_and_b64 vcc, exec, s[18:19]
	s_cbranch_vccz .LBB38_323
; %bb.320:
	s_cmp_eq_u32 s27, 11
	s_cbranch_scc0 .LBB38_322
; %bb.321:
	global_load_ubyte v4, v[0:1], off
	s_mov_b64 s[0:1], -1
	s_mov_b64 s[20:21], 0
	s_waitcnt vmcnt(0)
	v_cmp_ne_u16_e32 vcc, 0, v4
	v_cndmask_b32_e64 v4, 0, 1, vcc
	s_branch .LBB38_323
.LBB38_322:
	s_mov_b64 s[20:21], -1
                                        ; implicit-def: $vgpr4
.LBB38_323:
	s_branch .LBB38_20
.LBB38_324:
	s_and_b32 s18, 0xffff, s26
	s_cmp_lt_i32 s18, 5
	s_cbranch_scc1 .LBB38_329
; %bb.325:
	s_cmp_lt_i32 s18, 8
	s_cbranch_scc1 .LBB38_330
; %bb.326:
	;; [unrolled: 3-line block ×3, first 2 shown]
	s_cmp_gt_i32 s18, 9
	s_cbranch_scc0 .LBB38_332
; %bb.328:
	global_load_dwordx2 v[4:5], v[0:1], off
	s_mov_b64 s[0:1], 0
	s_waitcnt vmcnt(0)
	v_cvt_i32_f64_e32 v4, v[4:5]
	s_branch .LBB38_333
.LBB38_329:
	s_mov_b64 s[0:1], -1
                                        ; implicit-def: $vgpr4
	s_branch .LBB38_351
.LBB38_330:
	s_mov_b64 s[0:1], -1
                                        ; implicit-def: $vgpr4
	s_branch .LBB38_339
.LBB38_331:
	s_mov_b64 s[0:1], -1
                                        ; implicit-def: $vgpr4
	s_branch .LBB38_336
.LBB38_332:
	s_mov_b64 s[0:1], -1
                                        ; implicit-def: $vgpr4
.LBB38_333:
	s_andn2_b64 vcc, exec, s[0:1]
	s_cbranch_vccnz .LBB38_335
; %bb.334:
	global_load_dword v4, v[0:1], off
	s_waitcnt vmcnt(0)
	v_cvt_i32_f32_e32 v4, v4
.LBB38_335:
	s_mov_b64 s[0:1], 0
.LBB38_336:
	s_andn2_b64 vcc, exec, s[0:1]
	s_cbranch_vccnz .LBB38_338
; %bb.337:
	global_load_dword v4, v[0:1], off
	s_waitcnt vmcnt(0)
	v_cvt_f32_f16_e32 v4, v4
	v_cvt_i32_f32_e32 v4, v4
.LBB38_338:
	s_mov_b64 s[0:1], 0
.LBB38_339:
	s_andn2_b64 vcc, exec, s[0:1]
	s_cbranch_vccnz .LBB38_350
; %bb.340:
	s_cmp_lt_i32 s18, 6
	s_cbranch_scc1 .LBB38_343
; %bb.341:
	s_cmp_gt_i32 s18, 6
	s_cbranch_scc0 .LBB38_344
; %bb.342:
	global_load_dwordx2 v[4:5], v[0:1], off
	s_mov_b64 s[0:1], 0
	s_waitcnt vmcnt(0)
	v_cvt_i32_f64_e32 v4, v[4:5]
	s_branch .LBB38_345
.LBB38_343:
	s_mov_b64 s[0:1], -1
                                        ; implicit-def: $vgpr4
	s_branch .LBB38_348
.LBB38_344:
	s_mov_b64 s[0:1], -1
                                        ; implicit-def: $vgpr4
.LBB38_345:
	s_andn2_b64 vcc, exec, s[0:1]
	s_cbranch_vccnz .LBB38_347
; %bb.346:
	global_load_dword v4, v[0:1], off
	s_waitcnt vmcnt(0)
	v_cvt_i32_f32_e32 v4, v4
.LBB38_347:
	s_mov_b64 s[0:1], 0
.LBB38_348:
	s_andn2_b64 vcc, exec, s[0:1]
	s_cbranch_vccnz .LBB38_350
; %bb.349:
	global_load_ushort v4, v[0:1], off
	s_waitcnt vmcnt(0)
	v_cvt_f32_f16_e32 v4, v4
	v_cvt_i32_f32_e32 v4, v4
.LBB38_350:
	s_mov_b64 s[0:1], 0
.LBB38_351:
	s_andn2_b64 vcc, exec, s[0:1]
	s_cbranch_vccnz .LBB38_371
; %bb.352:
	s_cmp_lt_i32 s18, 2
	s_cbranch_scc1 .LBB38_356
; %bb.353:
	s_cmp_lt_i32 s18, 3
	s_cbranch_scc1 .LBB38_357
; %bb.354:
	s_cmp_gt_i32 s18, 3
	s_cbranch_scc0 .LBB38_358
; %bb.355:
	global_load_dword v4, v[0:1], off
	s_mov_b64 s[0:1], 0
	s_branch .LBB38_359
.LBB38_356:
	s_mov_b64 s[0:1], -1
                                        ; implicit-def: $vgpr4
	s_branch .LBB38_365
.LBB38_357:
	s_mov_b64 s[0:1], -1
                                        ; implicit-def: $vgpr4
	s_branch .LBB38_362
.LBB38_358:
	s_mov_b64 s[0:1], -1
                                        ; implicit-def: $vgpr4
.LBB38_359:
	s_andn2_b64 vcc, exec, s[0:1]
	s_cbranch_vccnz .LBB38_361
; %bb.360:
	global_load_dword v4, v[0:1], off
.LBB38_361:
	s_mov_b64 s[0:1], 0
.LBB38_362:
	s_andn2_b64 vcc, exec, s[0:1]
	s_cbranch_vccnz .LBB38_364
; %bb.363:
	global_load_sshort v4, v[0:1], off
.LBB38_364:
	s_mov_b64 s[0:1], 0
.LBB38_365:
	s_andn2_b64 vcc, exec, s[0:1]
	s_cbranch_vccnz .LBB38_371
; %bb.366:
	s_cmp_gt_i32 s18, 0
	s_cbranch_scc0 .LBB38_368
; %bb.367:
	global_load_sbyte v4, v[0:1], off
	s_mov_b64 s[0:1], 0
	s_branch .LBB38_369
.LBB38_368:
	s_mov_b64 s[0:1], -1
                                        ; implicit-def: $vgpr4
.LBB38_369:
	s_andn2_b64 vcc, exec, s[0:1]
	s_cbranch_vccnz .LBB38_371
; %bb.370:
	global_load_ubyte v4, v[0:1], off
.LBB38_371:
	s_branch .LBB38_21
.LBB38_372:
	s_mov_b64 s[0:1], 0
.LBB38_373:
                                        ; implicit-def: $vgpr2
	s_mov_b64 s[26:27], 0
.LBB38_374:
	s_and_b64 s[18:19], s[0:1], exec
	s_and_b64 s[20:21], s[20:21], exec
	;; [unrolled: 1-line block ×3, first 2 shown]
	s_orn2_b64 s[0:1], s[26:27], exec
.LBB38_375:
	s_or_b64 exec, exec, s[24:25]
	s_mov_b64 s[34:35], 0
	s_mov_b64 s[30:31], 0
                                        ; implicit-def: $sgpr58
                                        ; implicit-def: $vgpr0_vgpr1
                                        ; implicit-def: $vgpr3
	s_and_saveexec_b64 s[24:25], s[0:1]
	s_cbranch_execz .LBB38_384
; %bb.376:
	v_cmp_gt_i32_e32 vcc, s50, v2
	s_mov_b64 s[0:1], -1
	s_mov_b64 s[26:27], s[22:23]
	s_mov_b64 s[28:29], s[20:21]
	;; [unrolled: 1-line block ×3, first 2 shown]
	s_and_saveexec_b64 s[34:35], vcc
	s_cbranch_execz .LBB38_757
; %bb.377:
	v_mul_lo_u32 v0, v2, s13
	v_mov_b32_e32 v1, s11
	s_and_b32 s30, s57, 0xff
	s_cmp_lt_i32 s30, 11
	s_waitcnt vmcnt(0)
	v_ashrrev_i32_e32 v3, 31, v0
	v_add_co_u32_e32 v0, vcc, s10, v0
	v_addc_co_u32_e32 v1, vcc, v1, v3, vcc
	s_cbranch_scc1 .LBB38_387
; %bb.378:
	s_and_b32 s31, 0xffff, s30
	s_cmp_gt_i32 s31, 25
	s_cbranch_scc0 .LBB38_396
; %bb.379:
	s_cmp_gt_i32 s31, 28
	s_cbranch_scc0 .LBB38_398
; %bb.380:
	;; [unrolled: 3-line block ×4, first 2 shown]
	s_cmp_eq_u32 s31, 46
	s_mov_b64 s[28:29], 0
	s_cbranch_scc0 .LBB38_406
; %bb.383:
	global_load_dword v3, v[0:1], off
	s_mov_b64 s[26:27], 0
	s_waitcnt vmcnt(0)
	v_lshlrev_b32_e32 v3, 16, v3
	v_cvt_i32_f32_e32 v3, v3
	s_branch .LBB38_407
.LBB38_384:
	s_or_b64 exec, exec, s[24:25]
	s_mov_b64 s[24:25], 0
	s_and_saveexec_b64 s[0:1], s[22:23]
	s_cbranch_execnz .LBB38_1220
.LBB38_385:
	s_or_b64 exec, exec, s[0:1]
	s_and_saveexec_b64 s[0:1], s[28:29]
	s_xor_b64 s[0:1], exec, s[0:1]
	s_cbranch_execz .LBB38_1221
.LBB38_386:
	global_load_ubyte v3, v[0:1], off
	s_or_b64 s[30:31], s[30:31], exec
	s_waitcnt vmcnt(0)
	v_cmp_ne_u16_e32 vcc, 0, v3
	v_cndmask_b32_e64 v3, 0, 1, vcc
	s_or_b64 exec, exec, s[0:1]
	s_and_saveexec_b64 s[0:1], s[34:35]
	s_cbranch_execz .LBB38_1267
	s_branch .LBB38_1222
.LBB38_387:
	s_mov_b64 s[0:1], 0
                                        ; implicit-def: $vgpr3
	s_mov_b64 s[26:27], s[22:23]
	s_cbranch_execnz .LBB38_469
.LBB38_388:
	s_andn2_b64 vcc, exec, s[0:1]
	s_cbranch_vccnz .LBB38_517
.LBB38_389:
	v_mul_lo_u32 v0, v2, s14
	v_mov_b32_e32 v1, s3
	s_and_b32 s36, s56, 0xff
	s_cmp_lt_i32 s36, 11
	v_ashrrev_i32_e32 v4, 31, v0
	v_add_co_u32_e32 v0, vcc, s2, v0
	v_addc_co_u32_e32 v1, vcc, v1, v4, vcc
	s_cbranch_scc1 .LBB38_397
; %bb.390:
	s_and_b32 s37, 0xffff, s36
	s_cmp_gt_i32 s37, 25
	s_cbranch_scc0 .LBB38_399
; %bb.391:
	s_cmp_gt_i32 s37, 28
	s_cbranch_scc0 .LBB38_401
; %bb.392:
	;; [unrolled: 3-line block ×4, first 2 shown]
	s_cmp_eq_u32 s37, 46
	s_mov_b64 s[30:31], 0
	s_cbranch_scc0 .LBB38_521
; %bb.395:
	global_load_dword v4, v[0:1], off
	s_mov_b64 s[0:1], -1
	s_mov_b64 s[28:29], 0
	s_waitcnt vmcnt(0)
	v_lshlrev_b32_e32 v4, 16, v4
	v_cvt_i32_f32_e32 v4, v4
	s_branch .LBB38_522
.LBB38_396:
	s_mov_b64 s[28:29], -1
	s_mov_b64 s[0:1], 0
	s_mov_b64 s[26:27], s[22:23]
                                        ; implicit-def: $vgpr3
	s_branch .LBB38_435
.LBB38_397:
	s_mov_b64 s[30:31], -1
	s_mov_b64 s[0:1], 0
                                        ; implicit-def: $vgpr4
	s_mov_b64 s[28:29], s[20:21]
	s_branch .LBB38_583
.LBB38_398:
	s_mov_b64 s[28:29], -1
	s_mov_b64 s[0:1], 0
	s_mov_b64 s[26:27], s[22:23]
                                        ; implicit-def: $vgpr3
	s_branch .LBB38_418
.LBB38_399:
	s_mov_b64 s[30:31], -1
	s_mov_b64 s[0:1], 0
	s_mov_b64 s[28:29], s[20:21]
                                        ; implicit-def: $vgpr4
	s_branch .LBB38_549
.LBB38_400:
	s_mov_b64 s[28:29], -1
	s_mov_b64 s[0:1], 0
	s_mov_b64 s[26:27], s[22:23]
                                        ; implicit-def: $vgpr3
	s_branch .LBB38_413
.LBB38_401:
	s_mov_b64 s[30:31], -1
	s_mov_b64 s[0:1], 0
	s_mov_b64 s[28:29], s[20:21]
                                        ; implicit-def: $vgpr4
	s_branch .LBB38_532
.LBB38_402:
	s_mov_b64 s[28:29], -1
	s_mov_b64 s[0:1], 0
	s_mov_b64 s[26:27], s[22:23]
                                        ; implicit-def: $vgpr3
	s_branch .LBB38_407
.LBB38_403:
	s_mov_b64 s[30:31], -1
	s_mov_b64 s[0:1], 0
	s_mov_b64 s[28:29], s[20:21]
                                        ; implicit-def: $vgpr4
	s_branch .LBB38_527
.LBB38_404:
	s_andn2_saveexec_b64 s[34:35], s[34:35]
	s_cbranch_execz .LBB38_176
.LBB38_405:
	v_add_f32_e32 v3, 0x46000000, v4
	v_and_b32_e32 v3, 0xff, v3
	v_cmp_ne_u32_e32 vcc, 0, v3
	s_andn2_b64 s[30:31], s[30:31], exec
	s_and_b64 s[38:39], vcc, exec
	s_or_b64 s[30:31], s[30:31], s[38:39]
	s_or_b64 exec, exec, s[34:35]
	v_mov_b32_e32 v5, 0
	s_and_saveexec_b64 s[34:35], s[30:31]
	s_cbranch_execnz .LBB38_177
	s_branch .LBB38_178
.LBB38_406:
	s_mov_b64 s[26:27], -1
                                        ; implicit-def: $vgpr3
	s_mov_b64 s[0:1], 0
.LBB38_407:
	s_and_b64 vcc, exec, s[28:29]
	s_cbranch_vccz .LBB38_412
; %bb.408:
	s_cmp_eq_u32 s31, 44
	s_cbranch_scc0 .LBB38_411
; %bb.409:
	global_load_ubyte v3, v[0:1], off
	s_mov_b64 s[0:1], -1
	s_mov_b64 s[26:27], 0
	s_waitcnt vmcnt(0)
	v_lshlrev_b32_e32 v4, 23, v3
	v_cvt_i32_f32_e32 v4, v4
	v_cmp_ne_u32_e32 vcc, 0, v3
	v_cndmask_b32_e32 v3, 0, v4, vcc
	s_branch .LBB38_412
.LBB38_410:
	s_mov_b64 s[30:31], -1
	s_mov_b64 s[0:1], 0
	s_mov_b64 s[28:29], s[20:21]
                                        ; implicit-def: $vgpr4
	s_branch .LBB38_522
.LBB38_411:
	s_mov_b64 s[26:27], -1
                                        ; implicit-def: $vgpr3
.LBB38_412:
	s_mov_b64 s[28:29], 0
.LBB38_413:
	s_and_b64 vcc, exec, s[28:29]
	s_cbranch_vccz .LBB38_417
; %bb.414:
	s_cmp_eq_u32 s31, 29
	s_cbranch_scc0 .LBB38_416
; %bb.415:
	global_load_dword v3, v[0:1], off
	s_mov_b64 s[0:1], -1
	s_mov_b64 s[26:27], 0
	s_branch .LBB38_417
.LBB38_416:
	s_mov_b64 s[26:27], -1
                                        ; implicit-def: $vgpr3
.LBB38_417:
	s_mov_b64 s[28:29], 0
.LBB38_418:
	s_and_b64 vcc, exec, s[28:29]
	s_cbranch_vccz .LBB38_434
; %bb.419:
	s_cmp_lt_i32 s31, 27
	s_cbranch_scc1 .LBB38_422
; %bb.420:
	s_cmp_gt_i32 s31, 27
	s_cbranch_scc0 .LBB38_423
; %bb.421:
	global_load_dword v3, v[0:1], off
	s_mov_b64 s[0:1], 0
	s_branch .LBB38_424
.LBB38_422:
	s_mov_b64 s[0:1], -1
                                        ; implicit-def: $vgpr3
	s_branch .LBB38_427
.LBB38_423:
	s_mov_b64 s[0:1], -1
                                        ; implicit-def: $vgpr3
.LBB38_424:
	s_andn2_b64 vcc, exec, s[0:1]
	s_cbranch_vccnz .LBB38_426
; %bb.425:
	global_load_ushort v3, v[0:1], off
.LBB38_426:
	s_mov_b64 s[0:1], 0
.LBB38_427:
	s_andn2_b64 vcc, exec, s[0:1]
	s_cbranch_vccnz .LBB38_433
; %bb.428:
	global_load_ubyte v4, v[0:1], off
	s_movk_i32 s0, 0x7f
	s_mov_b64 s[28:29], 0
	s_waitcnt vmcnt(0)
	v_cmp_lt_i16_e32 vcc, s0, v4
	s_and_saveexec_b64 s[0:1], vcc
	s_xor_b64 s[0:1], exec, s[0:1]
	s_cbranch_execz .LBB38_445
; %bb.429:
	s_movk_i32 s28, 0x80
	v_cmp_ne_u16_e32 vcc, s28, v4
	s_and_b64 s[28:29], vcc, exec
	s_andn2_saveexec_b64 s[0:1], s[0:1]
	s_cbranch_execnz .LBB38_446
.LBB38_430:
	s_or_b64 exec, exec, s[0:1]
	v_mov_b32_e32 v3, 0
	s_and_saveexec_b64 s[0:1], s[28:29]
	s_cbranch_execz .LBB38_432
.LBB38_431:
	v_lshlrev_b32_e32 v3, 24, v4
	v_and_b32_e32 v4, 0xffff, v4
	v_and_b32_e32 v5, 7, v4
	v_ffbh_u32_e32 v7, v5
	v_min_u32_e32 v7, 32, v7
	v_subrev_u32_e32 v8, 28, v7
	v_bfe_u32 v6, v4, 3, 4
	v_lshlrev_b32_e32 v4, v8, v4
	v_sub_u32_e32 v7, 29, v7
	v_and_b32_e32 v4, 7, v4
	v_cmp_eq_u32_e32 vcc, 0, v6
	v_cndmask_b32_e32 v6, v6, v7, vcc
	v_cndmask_b32_e32 v4, v5, v4, vcc
	v_mov_b32_e32 v5, 0x3b800000
	v_lshlrev_b32_e32 v4, 20, v4
	v_and_b32_e32 v3, 0x80000000, v3
	v_lshl_add_u32 v5, v6, 23, v5
	v_or3_b32 v3, v3, v5, v4
	v_cvt_i32_f32_e32 v3, v3
.LBB38_432:
	s_or_b64 exec, exec, s[0:1]
.LBB38_433:
	s_mov_b64 s[0:1], -1
.LBB38_434:
	s_mov_b64 s[28:29], 0
.LBB38_435:
	s_and_b64 vcc, exec, s[28:29]
	s_cbranch_vccz .LBB38_468
; %bb.436:
	s_cmp_gt_i32 s31, 22
	s_cbranch_scc0 .LBB38_444
; %bb.437:
	s_cmp_lt_i32 s31, 24
	s_cbranch_scc1 .LBB38_447
; %bb.438:
	s_cmp_gt_i32 s31, 24
	s_cbranch_scc0 .LBB38_448
; %bb.439:
	global_load_ubyte v4, v[0:1], off
	s_movk_i32 s0, 0x7f
	s_mov_b64 s[28:29], 0
	s_waitcnt vmcnt(0)
	v_cmp_lt_i16_e32 vcc, s0, v4
	s_and_saveexec_b64 s[0:1], vcc
	s_xor_b64 s[0:1], exec, s[0:1]
	s_cbranch_execz .LBB38_460
; %bb.440:
	s_movk_i32 s28, 0x80
	v_cmp_ne_u16_e32 vcc, s28, v4
	s_and_b64 s[28:29], vcc, exec
	s_andn2_saveexec_b64 s[0:1], s[0:1]
	s_cbranch_execnz .LBB38_461
.LBB38_441:
	s_or_b64 exec, exec, s[0:1]
	v_mov_b32_e32 v3, 0
	s_and_saveexec_b64 s[0:1], s[28:29]
	s_cbranch_execz .LBB38_443
.LBB38_442:
	v_lshlrev_b32_e32 v3, 24, v4
	v_and_b32_e32 v4, 0xffff, v4
	v_and_b32_e32 v5, 3, v4
	v_ffbh_u32_e32 v7, v5
	v_min_u32_e32 v7, 32, v7
	v_subrev_u32_e32 v8, 29, v7
	v_bfe_u32 v6, v4, 2, 5
	v_lshlrev_b32_e32 v4, v8, v4
	v_sub_u32_e32 v7, 30, v7
	v_and_b32_e32 v4, 3, v4
	v_cmp_eq_u32_e32 vcc, 0, v6
	v_cndmask_b32_e32 v6, v6, v7, vcc
	v_cndmask_b32_e32 v4, v5, v4, vcc
	v_mov_b32_e32 v5, 0x37800000
	v_lshlrev_b32_e32 v4, 21, v4
	v_and_b32_e32 v3, 0x80000000, v3
	v_lshl_add_u32 v5, v6, 23, v5
	v_or3_b32 v3, v3, v5, v4
	v_cvt_i32_f32_e32 v3, v3
.LBB38_443:
	s_or_b64 exec, exec, s[0:1]
	s_mov_b64 s[0:1], 0
	s_branch .LBB38_449
.LBB38_444:
	s_mov_b64 s[28:29], -1
                                        ; implicit-def: $vgpr3
	s_branch .LBB38_455
.LBB38_445:
	s_andn2_saveexec_b64 s[0:1], s[0:1]
	s_cbranch_execz .LBB38_430
.LBB38_446:
	v_cmp_ne_u16_e32 vcc, 0, v4
	s_andn2_b64 s[28:29], s[28:29], exec
	s_and_b64 s[36:37], vcc, exec
	s_or_b64 s[28:29], s[28:29], s[36:37]
	s_or_b64 exec, exec, s[0:1]
	v_mov_b32_e32 v3, 0
	s_and_saveexec_b64 s[0:1], s[28:29]
	s_cbranch_execnz .LBB38_431
	s_branch .LBB38_432
.LBB38_447:
	s_mov_b64 s[0:1], -1
                                        ; implicit-def: $vgpr3
	s_branch .LBB38_452
.LBB38_448:
	s_mov_b64 s[0:1], -1
                                        ; implicit-def: $vgpr3
.LBB38_449:
	s_and_b64 vcc, exec, s[0:1]
	s_cbranch_vccz .LBB38_451
; %bb.450:
	global_load_ubyte v3, v[0:1], off
	s_mov_b32 s0, 0x7f800000
	s_waitcnt vmcnt(0)
	v_lshlrev_b32_e32 v3, 24, v3
	v_and_b32_e32 v4, 0x7f000000, v3
	v_ffbh_u32_e32 v5, v4
	v_min_u32_e32 v5, 32, v5
	v_sub_u32_e64 v5, v5, 4 clamp
	v_lshlrev_b32_e32 v7, v5, v4
	v_lshlrev_b32_e32 v5, 23, v5
	v_lshrrev_b32_e32 v7, 4, v7
	v_add_u32_e32 v6, 0x1000000, v4
	v_sub_u32_e32 v5, v7, v5
	v_ashrrev_i32_e32 v6, 8, v6
	v_add_u32_e32 v5, 0x3c000000, v5
	v_and_or_b32 v5, v6, s0, v5
	v_cmp_ne_u32_e32 vcc, 0, v4
	v_cndmask_b32_e32 v4, 0, v5, vcc
	s_brev_b32 s0, 1
	v_and_or_b32 v3, v3, s0, v4
	v_cvt_i32_f32_e32 v3, v3
.LBB38_451:
	s_mov_b64 s[0:1], 0
.LBB38_452:
	s_andn2_b64 vcc, exec, s[0:1]
	s_cbranch_vccnz .LBB38_454
; %bb.453:
	global_load_ubyte v3, v[0:1], off
	s_movk_i32 s0, 0x7f00
	s_brev_b32 s1, 16
	s_waitcnt vmcnt(0)
	v_lshlrev_b16_e32 v4, 8, v3
	v_lshlrev_b32_e32 v3, 25, v3
	v_lshrrev_b32_e32 v5, 4, v3
	v_and_or_b32 v6, v4, s0, 0.5
	v_or_b32_e32 v5, 0x70000000, v5
	v_add_f32_e32 v6, -0.5, v6
	v_mul_f32_e32 v5, 0x7800000, v5
	v_cmp_gt_u32_e32 vcc, s1, v3
	v_bfe_i32 v4, v4, 0, 16
	v_cndmask_b32_e32 v3, v5, v6, vcc
	s_brev_b32 s0, 1
	v_and_or_b32 v3, v4, s0, v3
	v_cvt_i32_f32_e32 v3, v3
.LBB38_454:
	s_mov_b64 s[28:29], 0
	s_mov_b64 s[0:1], -1
.LBB38_455:
	s_andn2_b64 vcc, exec, s[28:29]
	s_cbranch_vccnz .LBB38_468
; %bb.456:
	s_cmp_gt_i32 s31, 14
	s_cbranch_scc0 .LBB38_459
; %bb.457:
	s_cmp_eq_u32 s31, 15
	s_cbranch_scc0 .LBB38_462
; %bb.458:
	global_load_ushort v3, v[0:1], off
	s_mov_b64 s[0:1], -1
	s_mov_b64 s[26:27], 0
	s_waitcnt vmcnt(0)
	v_lshlrev_b32_e32 v3, 16, v3
	v_cvt_i32_f32_e32 v3, v3
	s_branch .LBB38_463
.LBB38_459:
	s_mov_b64 s[28:29], -1
                                        ; implicit-def: $vgpr3
	s_branch .LBB38_464
.LBB38_460:
	s_andn2_saveexec_b64 s[0:1], s[0:1]
	s_cbranch_execz .LBB38_441
.LBB38_461:
	v_cmp_ne_u16_e32 vcc, 0, v4
	s_andn2_b64 s[28:29], s[28:29], exec
	s_and_b64 s[36:37], vcc, exec
	s_or_b64 s[28:29], s[28:29], s[36:37]
	s_or_b64 exec, exec, s[0:1]
	v_mov_b32_e32 v3, 0
	s_and_saveexec_b64 s[0:1], s[28:29]
	s_cbranch_execnz .LBB38_442
	s_branch .LBB38_443
.LBB38_462:
	s_mov_b64 s[26:27], -1
                                        ; implicit-def: $vgpr3
.LBB38_463:
	s_mov_b64 s[28:29], 0
.LBB38_464:
	s_and_b64 vcc, exec, s[28:29]
	s_cbranch_vccz .LBB38_468
; %bb.465:
	s_cmp_eq_u32 s31, 11
	s_cbranch_scc0 .LBB38_467
; %bb.466:
	global_load_ubyte v3, v[0:1], off
	s_mov_b64 s[0:1], -1
	s_mov_b64 s[26:27], 0
	s_waitcnt vmcnt(0)
	v_cmp_ne_u16_e32 vcc, 0, v3
	v_cndmask_b32_e64 v3, 0, 1, vcc
	s_branch .LBB38_468
.LBB38_467:
	s_mov_b64 s[26:27], -1
                                        ; implicit-def: $vgpr3
.LBB38_468:
	s_branch .LBB38_388
.LBB38_469:
	s_and_b32 s28, 0xffff, s30
	s_cmp_lt_i32 s28, 5
	s_cbranch_scc1 .LBB38_474
; %bb.470:
	s_cmp_lt_i32 s28, 8
	s_cbranch_scc1 .LBB38_475
; %bb.471:
	;; [unrolled: 3-line block ×3, first 2 shown]
	s_cmp_gt_i32 s28, 9
	s_cbranch_scc0 .LBB38_477
; %bb.473:
	global_load_dwordx2 v[3:4], v[0:1], off
	s_mov_b64 s[0:1], 0
	s_waitcnt vmcnt(0)
	v_cvt_i32_f64_e32 v3, v[3:4]
	s_branch .LBB38_478
.LBB38_474:
	s_mov_b64 s[0:1], -1
                                        ; implicit-def: $vgpr3
	s_branch .LBB38_496
.LBB38_475:
	s_mov_b64 s[0:1], -1
                                        ; implicit-def: $vgpr3
	s_branch .LBB38_484
.LBB38_476:
	s_mov_b64 s[0:1], -1
                                        ; implicit-def: $vgpr3
	s_branch .LBB38_481
.LBB38_477:
	s_mov_b64 s[0:1], -1
                                        ; implicit-def: $vgpr3
.LBB38_478:
	s_andn2_b64 vcc, exec, s[0:1]
	s_cbranch_vccnz .LBB38_480
; %bb.479:
	global_load_dword v3, v[0:1], off
	s_waitcnt vmcnt(0)
	v_cvt_i32_f32_e32 v3, v3
.LBB38_480:
	s_mov_b64 s[0:1], 0
.LBB38_481:
	s_andn2_b64 vcc, exec, s[0:1]
	s_cbranch_vccnz .LBB38_483
; %bb.482:
	global_load_dword v3, v[0:1], off
	s_waitcnt vmcnt(0)
	v_cvt_f32_f16_e32 v3, v3
	v_cvt_i32_f32_e32 v3, v3
.LBB38_483:
	s_mov_b64 s[0:1], 0
.LBB38_484:
	s_andn2_b64 vcc, exec, s[0:1]
	s_cbranch_vccnz .LBB38_495
; %bb.485:
	s_cmp_lt_i32 s28, 6
	s_cbranch_scc1 .LBB38_488
; %bb.486:
	s_cmp_gt_i32 s28, 6
	s_cbranch_scc0 .LBB38_489
; %bb.487:
	global_load_dwordx2 v[3:4], v[0:1], off
	s_mov_b64 s[0:1], 0
	s_waitcnt vmcnt(0)
	v_cvt_i32_f64_e32 v3, v[3:4]
	s_branch .LBB38_490
.LBB38_488:
	s_mov_b64 s[0:1], -1
                                        ; implicit-def: $vgpr3
	s_branch .LBB38_493
.LBB38_489:
	s_mov_b64 s[0:1], -1
                                        ; implicit-def: $vgpr3
.LBB38_490:
	s_andn2_b64 vcc, exec, s[0:1]
	s_cbranch_vccnz .LBB38_492
; %bb.491:
	global_load_dword v3, v[0:1], off
	s_waitcnt vmcnt(0)
	v_cvt_i32_f32_e32 v3, v3
.LBB38_492:
	s_mov_b64 s[0:1], 0
.LBB38_493:
	s_andn2_b64 vcc, exec, s[0:1]
	s_cbranch_vccnz .LBB38_495
; %bb.494:
	global_load_ushort v3, v[0:1], off
	s_waitcnt vmcnt(0)
	v_cvt_f32_f16_e32 v3, v3
	v_cvt_i32_f32_e32 v3, v3
.LBB38_495:
	s_mov_b64 s[0:1], 0
.LBB38_496:
	s_andn2_b64 vcc, exec, s[0:1]
	s_cbranch_vccnz .LBB38_516
; %bb.497:
	s_cmp_lt_i32 s28, 2
	s_cbranch_scc1 .LBB38_501
; %bb.498:
	s_cmp_lt_i32 s28, 3
	s_cbranch_scc1 .LBB38_502
; %bb.499:
	s_cmp_gt_i32 s28, 3
	s_cbranch_scc0 .LBB38_503
; %bb.500:
	global_load_dword v3, v[0:1], off
	s_mov_b64 s[0:1], 0
	s_branch .LBB38_504
.LBB38_501:
	s_mov_b64 s[0:1], -1
                                        ; implicit-def: $vgpr3
	s_branch .LBB38_510
.LBB38_502:
	s_mov_b64 s[0:1], -1
                                        ; implicit-def: $vgpr3
	s_branch .LBB38_507
.LBB38_503:
	s_mov_b64 s[0:1], -1
                                        ; implicit-def: $vgpr3
.LBB38_504:
	s_andn2_b64 vcc, exec, s[0:1]
	s_cbranch_vccnz .LBB38_506
; %bb.505:
	global_load_dword v3, v[0:1], off
.LBB38_506:
	s_mov_b64 s[0:1], 0
.LBB38_507:
	s_andn2_b64 vcc, exec, s[0:1]
	s_cbranch_vccnz .LBB38_509
; %bb.508:
	global_load_sshort v3, v[0:1], off
.LBB38_509:
	s_mov_b64 s[0:1], 0
.LBB38_510:
	s_andn2_b64 vcc, exec, s[0:1]
	s_cbranch_vccnz .LBB38_516
; %bb.511:
	s_cmp_gt_i32 s28, 0
	s_cbranch_scc0 .LBB38_513
; %bb.512:
	global_load_sbyte v3, v[0:1], off
	s_mov_b64 s[0:1], 0
	s_branch .LBB38_514
.LBB38_513:
	s_mov_b64 s[0:1], -1
                                        ; implicit-def: $vgpr3
.LBB38_514:
	s_andn2_b64 vcc, exec, s[0:1]
	s_cbranch_vccnz .LBB38_516
; %bb.515:
	global_load_ubyte v3, v[0:1], off
.LBB38_516:
	s_branch .LBB38_389
.LBB38_517:
	s_mov_b64 s[36:37], 0
	s_mov_b64 s[0:1], s[18:19]
	;; [unrolled: 1-line block ×3, first 2 shown]
.LBB38_518:
                                        ; implicit-def: $vgpr2
	s_branch .LBB38_756
.LBB38_519:
	s_andn2_saveexec_b64 s[34:35], s[34:35]
	s_cbranch_execz .LBB38_189
.LBB38_520:
	v_add_f32_e32 v3, 0x42800000, v4
	v_and_b32_e32 v3, 0xff, v3
	v_cmp_ne_u32_e32 vcc, 0, v3
	s_andn2_b64 s[30:31], s[30:31], exec
	s_and_b64 s[38:39], vcc, exec
	s_or_b64 s[30:31], s[30:31], s[38:39]
	s_or_b64 exec, exec, s[34:35]
	v_mov_b32_e32 v5, 0
	s_and_saveexec_b64 s[34:35], s[30:31]
	s_cbranch_execnz .LBB38_190
	s_branch .LBB38_191
.LBB38_521:
	s_mov_b64 s[28:29], -1
                                        ; implicit-def: $vgpr4
	s_mov_b64 s[0:1], 0
.LBB38_522:
	s_and_b64 vcc, exec, s[30:31]
	s_cbranch_vccz .LBB38_526
; %bb.523:
	s_cmp_eq_u32 s37, 44
	s_cbranch_scc0 .LBB38_525
; %bb.524:
	global_load_ubyte v4, v[0:1], off
	s_mov_b64 s[0:1], -1
	s_mov_b64 s[28:29], 0
	s_waitcnt vmcnt(0)
	v_lshlrev_b32_e32 v5, 23, v4
	v_cvt_i32_f32_e32 v5, v5
	v_cmp_ne_u32_e32 vcc, 0, v4
	v_cndmask_b32_e32 v4, 0, v5, vcc
	s_branch .LBB38_526
.LBB38_525:
	s_mov_b64 s[28:29], -1
                                        ; implicit-def: $vgpr4
.LBB38_526:
	s_mov_b64 s[30:31], 0
.LBB38_527:
	s_and_b64 vcc, exec, s[30:31]
	s_cbranch_vccz .LBB38_531
; %bb.528:
	s_cmp_eq_u32 s37, 29
	s_cbranch_scc0 .LBB38_530
; %bb.529:
	global_load_dword v4, v[0:1], off
	s_mov_b64 s[0:1], -1
	s_mov_b64 s[28:29], 0
	s_branch .LBB38_531
.LBB38_530:
	s_mov_b64 s[28:29], -1
                                        ; implicit-def: $vgpr4
.LBB38_531:
	s_mov_b64 s[30:31], 0
.LBB38_532:
	s_and_b64 vcc, exec, s[30:31]
	s_cbranch_vccz .LBB38_548
; %bb.533:
	s_cmp_lt_i32 s37, 27
	s_cbranch_scc1 .LBB38_536
; %bb.534:
	s_cmp_gt_i32 s37, 27
	s_cbranch_scc0 .LBB38_537
; %bb.535:
	global_load_dword v4, v[0:1], off
	s_mov_b64 s[0:1], 0
	s_branch .LBB38_538
.LBB38_536:
	s_mov_b64 s[0:1], -1
                                        ; implicit-def: $vgpr4
	s_branch .LBB38_541
.LBB38_537:
	s_mov_b64 s[0:1], -1
                                        ; implicit-def: $vgpr4
.LBB38_538:
	s_andn2_b64 vcc, exec, s[0:1]
	s_cbranch_vccnz .LBB38_540
; %bb.539:
	global_load_ushort v4, v[0:1], off
.LBB38_540:
	s_mov_b64 s[0:1], 0
.LBB38_541:
	s_andn2_b64 vcc, exec, s[0:1]
	s_cbranch_vccnz .LBB38_547
; %bb.542:
	global_load_ubyte v5, v[0:1], off
	s_movk_i32 s0, 0x7f
	s_mov_b64 s[30:31], 0
	s_waitcnt vmcnt(0)
	v_cmp_lt_i16_e32 vcc, s0, v5
	s_and_saveexec_b64 s[0:1], vcc
	s_xor_b64 s[0:1], exec, s[0:1]
	s_cbranch_execz .LBB38_559
; %bb.543:
	s_movk_i32 s30, 0x80
	v_cmp_ne_u16_e32 vcc, s30, v5
	s_and_b64 s[30:31], vcc, exec
	s_andn2_saveexec_b64 s[0:1], s[0:1]
	s_cbranch_execnz .LBB38_560
.LBB38_544:
	s_or_b64 exec, exec, s[0:1]
	v_mov_b32_e32 v4, 0
	s_and_saveexec_b64 s[0:1], s[30:31]
	s_cbranch_execz .LBB38_546
.LBB38_545:
	v_lshlrev_b32_e32 v4, 24, v5
	v_and_b32_e32 v5, 0xffff, v5
	v_and_b32_e32 v6, 7, v5
	v_ffbh_u32_e32 v8, v6
	v_min_u32_e32 v8, 32, v8
	v_subrev_u32_e32 v9, 28, v8
	v_bfe_u32 v7, v5, 3, 4
	v_lshlrev_b32_e32 v5, v9, v5
	v_sub_u32_e32 v8, 29, v8
	v_and_b32_e32 v5, 7, v5
	v_cmp_eq_u32_e32 vcc, 0, v7
	v_cndmask_b32_e32 v7, v7, v8, vcc
	v_cndmask_b32_e32 v5, v6, v5, vcc
	v_mov_b32_e32 v6, 0x3b800000
	v_lshlrev_b32_e32 v5, 20, v5
	v_and_b32_e32 v4, 0x80000000, v4
	v_lshl_add_u32 v6, v7, 23, v6
	v_or3_b32 v4, v4, v6, v5
	v_cvt_i32_f32_e32 v4, v4
.LBB38_546:
	s_or_b64 exec, exec, s[0:1]
.LBB38_547:
	s_mov_b64 s[0:1], -1
.LBB38_548:
	s_mov_b64 s[30:31], 0
.LBB38_549:
	s_and_b64 vcc, exec, s[30:31]
	s_cbranch_vccz .LBB38_582
; %bb.550:
	s_cmp_gt_i32 s37, 22
	s_cbranch_scc0 .LBB38_558
; %bb.551:
	s_cmp_lt_i32 s37, 24
	s_cbranch_scc1 .LBB38_561
; %bb.552:
	s_cmp_gt_i32 s37, 24
	s_cbranch_scc0 .LBB38_562
; %bb.553:
	global_load_ubyte v5, v[0:1], off
	s_movk_i32 s0, 0x7f
	s_mov_b64 s[30:31], 0
	s_waitcnt vmcnt(0)
	v_cmp_lt_i16_e32 vcc, s0, v5
	s_and_saveexec_b64 s[0:1], vcc
	s_xor_b64 s[0:1], exec, s[0:1]
	s_cbranch_execz .LBB38_574
; %bb.554:
	s_movk_i32 s30, 0x80
	v_cmp_ne_u16_e32 vcc, s30, v5
	s_and_b64 s[30:31], vcc, exec
	s_andn2_saveexec_b64 s[0:1], s[0:1]
	s_cbranch_execnz .LBB38_575
.LBB38_555:
	s_or_b64 exec, exec, s[0:1]
	v_mov_b32_e32 v4, 0
	s_and_saveexec_b64 s[0:1], s[30:31]
	s_cbranch_execz .LBB38_557
.LBB38_556:
	v_lshlrev_b32_e32 v4, 24, v5
	v_and_b32_e32 v5, 0xffff, v5
	v_and_b32_e32 v6, 3, v5
	v_ffbh_u32_e32 v8, v6
	v_min_u32_e32 v8, 32, v8
	v_subrev_u32_e32 v9, 29, v8
	v_bfe_u32 v7, v5, 2, 5
	v_lshlrev_b32_e32 v5, v9, v5
	v_sub_u32_e32 v8, 30, v8
	v_and_b32_e32 v5, 3, v5
	v_cmp_eq_u32_e32 vcc, 0, v7
	v_cndmask_b32_e32 v7, v7, v8, vcc
	v_cndmask_b32_e32 v5, v6, v5, vcc
	v_mov_b32_e32 v6, 0x37800000
	v_lshlrev_b32_e32 v5, 21, v5
	v_and_b32_e32 v4, 0x80000000, v4
	v_lshl_add_u32 v6, v7, 23, v6
	v_or3_b32 v4, v4, v6, v5
	v_cvt_i32_f32_e32 v4, v4
.LBB38_557:
	s_or_b64 exec, exec, s[0:1]
	s_mov_b64 s[0:1], 0
	s_branch .LBB38_563
.LBB38_558:
	s_mov_b64 s[30:31], -1
                                        ; implicit-def: $vgpr4
	s_branch .LBB38_569
.LBB38_559:
	s_andn2_saveexec_b64 s[0:1], s[0:1]
	s_cbranch_execz .LBB38_544
.LBB38_560:
	v_cmp_ne_u16_e32 vcc, 0, v5
	s_andn2_b64 s[30:31], s[30:31], exec
	s_and_b64 s[38:39], vcc, exec
	s_or_b64 s[30:31], s[30:31], s[38:39]
	s_or_b64 exec, exec, s[0:1]
	v_mov_b32_e32 v4, 0
	s_and_saveexec_b64 s[0:1], s[30:31]
	s_cbranch_execnz .LBB38_545
	s_branch .LBB38_546
.LBB38_561:
	s_mov_b64 s[0:1], -1
                                        ; implicit-def: $vgpr4
	s_branch .LBB38_566
.LBB38_562:
	s_mov_b64 s[0:1], -1
                                        ; implicit-def: $vgpr4
.LBB38_563:
	s_and_b64 vcc, exec, s[0:1]
	s_cbranch_vccz .LBB38_565
; %bb.564:
	global_load_ubyte v4, v[0:1], off
	s_mov_b32 s0, 0x7f800000
	s_waitcnt vmcnt(0)
	v_lshlrev_b32_e32 v4, 24, v4
	v_and_b32_e32 v5, 0x7f000000, v4
	v_ffbh_u32_e32 v6, v5
	v_min_u32_e32 v6, 32, v6
	v_sub_u32_e64 v6, v6, 4 clamp
	v_lshlrev_b32_e32 v8, v6, v5
	v_lshlrev_b32_e32 v6, 23, v6
	v_lshrrev_b32_e32 v8, 4, v8
	v_add_u32_e32 v7, 0x1000000, v5
	v_sub_u32_e32 v6, v8, v6
	v_ashrrev_i32_e32 v7, 8, v7
	v_add_u32_e32 v6, 0x3c000000, v6
	v_and_or_b32 v6, v7, s0, v6
	v_cmp_ne_u32_e32 vcc, 0, v5
	v_cndmask_b32_e32 v5, 0, v6, vcc
	s_brev_b32 s0, 1
	v_and_or_b32 v4, v4, s0, v5
	v_cvt_i32_f32_e32 v4, v4
.LBB38_565:
	s_mov_b64 s[0:1], 0
.LBB38_566:
	s_andn2_b64 vcc, exec, s[0:1]
	s_cbranch_vccnz .LBB38_568
; %bb.567:
	global_load_ubyte v4, v[0:1], off
	s_movk_i32 s0, 0x7f00
	s_brev_b32 s1, 16
	s_waitcnt vmcnt(0)
	v_lshlrev_b16_e32 v5, 8, v4
	v_lshlrev_b32_e32 v4, 25, v4
	v_lshrrev_b32_e32 v6, 4, v4
	v_and_or_b32 v7, v5, s0, 0.5
	v_or_b32_e32 v6, 0x70000000, v6
	v_add_f32_e32 v7, -0.5, v7
	v_mul_f32_e32 v6, 0x7800000, v6
	v_cmp_gt_u32_e32 vcc, s1, v4
	v_bfe_i32 v5, v5, 0, 16
	v_cndmask_b32_e32 v4, v6, v7, vcc
	s_brev_b32 s0, 1
	v_and_or_b32 v4, v5, s0, v4
	v_cvt_i32_f32_e32 v4, v4
.LBB38_568:
	s_mov_b64 s[30:31], 0
	s_mov_b64 s[0:1], -1
.LBB38_569:
	s_andn2_b64 vcc, exec, s[30:31]
	s_cbranch_vccnz .LBB38_582
; %bb.570:
	s_cmp_gt_i32 s37, 14
	s_cbranch_scc0 .LBB38_573
; %bb.571:
	s_cmp_eq_u32 s37, 15
	s_cbranch_scc0 .LBB38_576
; %bb.572:
	global_load_ushort v4, v[0:1], off
	s_mov_b64 s[0:1], -1
	s_mov_b64 s[28:29], 0
	s_waitcnt vmcnt(0)
	v_lshlrev_b32_e32 v4, 16, v4
	v_cvt_i32_f32_e32 v4, v4
	s_branch .LBB38_577
.LBB38_573:
	s_mov_b64 s[30:31], -1
                                        ; implicit-def: $vgpr4
	s_branch .LBB38_578
.LBB38_574:
	s_andn2_saveexec_b64 s[0:1], s[0:1]
	s_cbranch_execz .LBB38_555
.LBB38_575:
	v_cmp_ne_u16_e32 vcc, 0, v5
	s_andn2_b64 s[30:31], s[30:31], exec
	s_and_b64 s[38:39], vcc, exec
	s_or_b64 s[30:31], s[30:31], s[38:39]
	s_or_b64 exec, exec, s[0:1]
	v_mov_b32_e32 v4, 0
	s_and_saveexec_b64 s[0:1], s[30:31]
	s_cbranch_execnz .LBB38_556
	s_branch .LBB38_557
.LBB38_576:
	s_mov_b64 s[28:29], -1
                                        ; implicit-def: $vgpr4
.LBB38_577:
	s_mov_b64 s[30:31], 0
.LBB38_578:
	s_and_b64 vcc, exec, s[30:31]
	s_cbranch_vccz .LBB38_582
; %bb.579:
	s_cmp_eq_u32 s37, 11
	s_cbranch_scc0 .LBB38_581
; %bb.580:
	global_load_ubyte v4, v[0:1], off
	s_mov_b64 s[0:1], -1
	s_mov_b64 s[28:29], 0
	s_waitcnt vmcnt(0)
	v_cmp_ne_u16_e32 vcc, 0, v4
	v_cndmask_b32_e64 v4, 0, 1, vcc
	s_branch .LBB38_582
.LBB38_581:
	s_mov_b64 s[28:29], -1
                                        ; implicit-def: $vgpr4
.LBB38_582:
	s_mov_b64 s[30:31], 0
.LBB38_583:
	s_and_b64 vcc, exec, s[30:31]
	s_cbranch_vccz .LBB38_632
; %bb.584:
	s_and_b32 s30, 0xffff, s36
	s_cmp_lt_i32 s30, 5
	s_cbranch_scc1 .LBB38_589
; %bb.585:
	s_cmp_lt_i32 s30, 8
	s_cbranch_scc1 .LBB38_590
; %bb.586:
	;; [unrolled: 3-line block ×3, first 2 shown]
	s_cmp_gt_i32 s30, 9
	s_cbranch_scc0 .LBB38_592
; %bb.588:
	global_load_dwordx2 v[4:5], v[0:1], off
	s_mov_b64 s[0:1], 0
	s_waitcnt vmcnt(0)
	v_cvt_i32_f64_e32 v4, v[4:5]
	s_branch .LBB38_593
.LBB38_589:
	s_mov_b64 s[0:1], -1
                                        ; implicit-def: $vgpr4
	s_branch .LBB38_611
.LBB38_590:
	s_mov_b64 s[0:1], -1
                                        ; implicit-def: $vgpr4
	s_branch .LBB38_599
.LBB38_591:
	s_mov_b64 s[0:1], -1
                                        ; implicit-def: $vgpr4
	s_branch .LBB38_596
.LBB38_592:
	s_mov_b64 s[0:1], -1
                                        ; implicit-def: $vgpr4
.LBB38_593:
	s_andn2_b64 vcc, exec, s[0:1]
	s_cbranch_vccnz .LBB38_595
; %bb.594:
	global_load_dword v4, v[0:1], off
	s_waitcnt vmcnt(0)
	v_cvt_i32_f32_e32 v4, v4
.LBB38_595:
	s_mov_b64 s[0:1], 0
.LBB38_596:
	s_andn2_b64 vcc, exec, s[0:1]
	s_cbranch_vccnz .LBB38_598
; %bb.597:
	global_load_dword v4, v[0:1], off
	s_waitcnt vmcnt(0)
	v_cvt_f32_f16_e32 v4, v4
	v_cvt_i32_f32_e32 v4, v4
.LBB38_598:
	s_mov_b64 s[0:1], 0
.LBB38_599:
	s_andn2_b64 vcc, exec, s[0:1]
	s_cbranch_vccnz .LBB38_610
; %bb.600:
	s_cmp_lt_i32 s30, 6
	s_cbranch_scc1 .LBB38_603
; %bb.601:
	s_cmp_gt_i32 s30, 6
	s_cbranch_scc0 .LBB38_604
; %bb.602:
	global_load_dwordx2 v[4:5], v[0:1], off
	s_mov_b64 s[0:1], 0
	s_waitcnt vmcnt(0)
	v_cvt_i32_f64_e32 v4, v[4:5]
	s_branch .LBB38_605
.LBB38_603:
	s_mov_b64 s[0:1], -1
                                        ; implicit-def: $vgpr4
	s_branch .LBB38_608
.LBB38_604:
	s_mov_b64 s[0:1], -1
                                        ; implicit-def: $vgpr4
.LBB38_605:
	s_andn2_b64 vcc, exec, s[0:1]
	s_cbranch_vccnz .LBB38_607
; %bb.606:
	global_load_dword v4, v[0:1], off
	s_waitcnt vmcnt(0)
	v_cvt_i32_f32_e32 v4, v4
.LBB38_607:
	s_mov_b64 s[0:1], 0
.LBB38_608:
	s_andn2_b64 vcc, exec, s[0:1]
	s_cbranch_vccnz .LBB38_610
; %bb.609:
	global_load_ushort v4, v[0:1], off
	s_waitcnt vmcnt(0)
	v_cvt_f32_f16_e32 v4, v4
	v_cvt_i32_f32_e32 v4, v4
.LBB38_610:
	s_mov_b64 s[0:1], 0
.LBB38_611:
	s_andn2_b64 vcc, exec, s[0:1]
	s_cbranch_vccnz .LBB38_631
; %bb.612:
	s_cmp_lt_i32 s30, 2
	s_cbranch_scc1 .LBB38_616
; %bb.613:
	s_cmp_lt_i32 s30, 3
	s_cbranch_scc1 .LBB38_617
; %bb.614:
	s_cmp_gt_i32 s30, 3
	s_cbranch_scc0 .LBB38_618
; %bb.615:
	global_load_dword v4, v[0:1], off
	s_mov_b64 s[0:1], 0
	s_branch .LBB38_619
.LBB38_616:
	s_mov_b64 s[0:1], -1
                                        ; implicit-def: $vgpr4
	s_branch .LBB38_625
.LBB38_617:
	s_mov_b64 s[0:1], -1
                                        ; implicit-def: $vgpr4
	s_branch .LBB38_622
.LBB38_618:
	s_mov_b64 s[0:1], -1
                                        ; implicit-def: $vgpr4
.LBB38_619:
	s_andn2_b64 vcc, exec, s[0:1]
	s_cbranch_vccnz .LBB38_621
; %bb.620:
	global_load_dword v4, v[0:1], off
.LBB38_621:
	s_mov_b64 s[0:1], 0
.LBB38_622:
	s_andn2_b64 vcc, exec, s[0:1]
	s_cbranch_vccnz .LBB38_624
; %bb.623:
	global_load_sshort v4, v[0:1], off
.LBB38_624:
	s_mov_b64 s[0:1], 0
.LBB38_625:
	s_andn2_b64 vcc, exec, s[0:1]
	s_cbranch_vccnz .LBB38_631
; %bb.626:
	s_cmp_gt_i32 s30, 0
	s_cbranch_scc0 .LBB38_628
; %bb.627:
	global_load_sbyte v4, v[0:1], off
	s_mov_b64 s[0:1], 0
	s_branch .LBB38_629
.LBB38_628:
	s_mov_b64 s[0:1], -1
                                        ; implicit-def: $vgpr4
.LBB38_629:
	s_andn2_b64 vcc, exec, s[0:1]
	s_cbranch_vccnz .LBB38_631
; %bb.630:
	global_load_ubyte v4, v[0:1], off
.LBB38_631:
	s_mov_b64 s[0:1], -1
.LBB38_632:
	s_andn2_b64 vcc, exec, s[0:1]
	s_cbranch_vccnz .LBB38_640
; %bb.633:
	v_mul_lo_u32 v0, v2, s12
	s_waitcnt vmcnt(0)
	v_cmp_ne_u32_e32 vcc, v3, v4
	v_mov_b32_e32 v1, s9
	s_xor_b64 s[30:31], s[16:17], vcc
	v_ashrrev_i32_e32 v3, 31, v0
	s_and_b32 s42, s33, 0xff
	v_add_co_u32_e32 v0, vcc, s8, v0
	s_cmp_lt_i32 s42, 11
	v_addc_co_u32_e32 v1, vcc, v1, v3, vcc
	s_cbranch_scc1 .LBB38_641
; %bb.634:
	s_and_b32 s43, 0xffff, s42
	s_cmp_gt_i32 s43, 25
	s_cbranch_scc0 .LBB38_642
; %bb.635:
	s_cmp_gt_i32 s43, 28
	s_cbranch_scc0 .LBB38_643
; %bb.636:
	;; [unrolled: 3-line block ×4, first 2 shown]
	s_mov_b64 s[38:39], 0
	s_mov_b64 s[0:1], -1
	s_cmp_eq_u32 s43, 46
	s_mov_b64 s[36:37], 0
	s_cbranch_scc0 .LBB38_646
; %bb.639:
	v_cndmask_b32_e64 v3, 0, 1.0, s[30:31]
	v_bfe_u32 v4, v3, 16, 1
	s_movk_i32 s0, 0x7fff
	v_add3_u32 v3, v3, v4, s0
	v_lshrrev_b32_e32 v3, 16, v3
	global_store_dword v[0:1], v3, off
	s_mov_b64 s[36:37], -1
	s_mov_b64 s[0:1], 0
	s_branch .LBB38_646
.LBB38_640:
	s_mov_b64 s[36:37], 0
                                        ; implicit-def: $vgpr2
	s_mov_b64 s[0:1], s[18:19]
	s_branch .LBB38_756
.LBB38_641:
	s_mov_b64 s[38:39], -1
	s_mov_b64 s[36:37], 0
	s_mov_b64 s[0:1], s[18:19]
	s_branch .LBB38_715
.LBB38_642:
	s_mov_b64 s[38:39], -1
	s_mov_b64 s[36:37], 0
	s_mov_b64 s[0:1], s[18:19]
	s_branch .LBB38_673
.LBB38_643:
	s_mov_b64 s[38:39], -1
	s_mov_b64 s[36:37], 0
	s_mov_b64 s[0:1], s[18:19]
	s_branch .LBB38_656
.LBB38_644:
	s_mov_b64 s[38:39], -1
	s_mov_b64 s[36:37], 0
	s_mov_b64 s[0:1], s[18:19]
	s_branch .LBB38_652
.LBB38_645:
	s_mov_b64 s[38:39], -1
	s_mov_b64 s[36:37], 0
	s_mov_b64 s[0:1], s[18:19]
.LBB38_646:
	s_and_b64 vcc, exec, s[38:39]
	s_cbranch_vccz .LBB38_651
; %bb.647:
	s_cmp_eq_u32 s43, 44
	s_mov_b64 s[0:1], -1
	s_cbranch_scc0 .LBB38_651
; %bb.648:
	v_cndmask_b32_e64 v4, 0, 1.0, s[30:31]
	v_lshrrev_b32_e32 v3, 23, v4
	s_movk_i32 s0, 0xff
	v_cmp_ne_u32_e32 vcc, s0, v3
	v_mov_b32_e32 v5, 0xff
	s_and_saveexec_b64 s[36:37], vcc
; %bb.649:
	s_mov_b32 s0, 0x3fffff
	v_and_b32_e32 v5, 0x400000, v4
	v_and_or_b32 v4, v4, s0, v3
	v_cmp_ne_u32_e32 vcc, 0, v5
	v_cmp_ne_u32_e64 s[0:1], 0, v4
	s_and_b64 s[0:1], vcc, s[0:1]
	v_cndmask_b32_e64 v4, 0, 1, s[0:1]
	v_add_u32_e32 v5, v3, v4
; %bb.650:
	s_or_b64 exec, exec, s[36:37]
	s_mov_b64 s[36:37], -1
	s_mov_b64 s[0:1], 0
	global_store_byte v[0:1], v5, off
.LBB38_651:
	s_mov_b64 s[38:39], 0
.LBB38_652:
	s_and_b64 vcc, exec, s[38:39]
	s_cbranch_vccz .LBB38_655
; %bb.653:
	s_cmp_eq_u32 s43, 29
	s_mov_b64 s[0:1], -1
	s_cbranch_scc0 .LBB38_655
; %bb.654:
	s_mov_b32 s0, 0
	v_cndmask_b32_e64 v3, 0, 1, s[30:31]
	v_mov_b32_e32 v4, s0
	global_store_dwordx2 v[0:1], v[3:4], off
	s_mov_b64 s[36:37], -1
	s_mov_b64 s[0:1], 0
.LBB38_655:
	s_mov_b64 s[38:39], 0
.LBB38_656:
	s_and_b64 vcc, exec, s[38:39]
	s_cbranch_vccz .LBB38_672
; %bb.657:
	s_cmp_lt_i32 s43, 27
	s_mov_b64 s[36:37], -1
	s_cbranch_scc1 .LBB38_663
; %bb.658:
	s_cmp_gt_i32 s43, 27
	s_cbranch_scc0 .LBB38_660
; %bb.659:
	v_cndmask_b32_e64 v3, 0, 1, s[30:31]
	s_mov_b64 s[36:37], 0
	global_store_dword v[0:1], v3, off
.LBB38_660:
	s_andn2_b64 vcc, exec, s[36:37]
	s_cbranch_vccnz .LBB38_662
; %bb.661:
	v_cndmask_b32_e64 v3, 0, 1, s[30:31]
	global_store_short v[0:1], v3, off
.LBB38_662:
	s_mov_b64 s[36:37], 0
.LBB38_663:
	s_andn2_b64 vcc, exec, s[36:37]
	s_cbranch_vccnz .LBB38_671
; %bb.664:
	v_cndmask_b32_e64 v4, 0, 1.0, s[30:31]
	s_mov_b32 s36, 0x43800000
	v_cmp_gt_u32_e32 vcc, s36, v4
	v_mov_b32_e32 v5, 0x80
	s_and_saveexec_b64 s[36:37], vcc
	s_cbranch_execz .LBB38_670
; %bb.665:
	s_mov_b32 s38, 0x3bffffff
	v_cmp_lt_u32_e32 vcc, s38, v4
	s_mov_b64 s[38:39], 0
                                        ; implicit-def: $vgpr3
	s_and_saveexec_b64 s[40:41], vcc
	s_xor_b64 s[40:41], exec, s[40:41]
	s_cbranch_execz .LBB38_772
; %bb.666:
	v_bfe_u32 v3, v4, 20, 1
	s_mov_b32 s44, 0x487ffff
	v_add3_u32 v3, v4, v3, s44
	s_mov_b64 s[38:39], exec
	v_lshrrev_b32_e32 v3, 20, v3
                                        ; implicit-def: $vgpr4
	s_andn2_saveexec_b64 s[40:41], s[40:41]
	s_cbranch_execnz .LBB38_773
.LBB38_667:
	s_or_b64 exec, exec, s[40:41]
	v_mov_b32_e32 v5, 0
	s_and_saveexec_b64 s[40:41], s[38:39]
.LBB38_668:
	v_mov_b32_e32 v5, v3
.LBB38_669:
	s_or_b64 exec, exec, s[40:41]
.LBB38_670:
	s_or_b64 exec, exec, s[36:37]
	global_store_byte v[0:1], v5, off
.LBB38_671:
	s_mov_b64 s[36:37], -1
.LBB38_672:
	s_mov_b64 s[38:39], 0
.LBB38_673:
	s_and_b64 vcc, exec, s[38:39]
	s_cbranch_vccz .LBB38_714
; %bb.674:
	s_cmp_gt_i32 s43, 22
	s_mov_b64 s[38:39], -1
	s_cbranch_scc0 .LBB38_706
; %bb.675:
	s_cmp_lt_i32 s43, 24
	s_mov_b64 s[36:37], -1
	s_cbranch_scc1 .LBB38_695
; %bb.676:
	s_cmp_gt_i32 s43, 24
	s_cbranch_scc0 .LBB38_684
; %bb.677:
	v_cndmask_b32_e64 v4, 0, 1.0, s[30:31]
	s_mov_b32 s36, 0x47800000
	v_cmp_gt_u32_e32 vcc, s36, v4
	v_mov_b32_e32 v5, 0x80
	s_and_saveexec_b64 s[36:37], vcc
	s_cbranch_execz .LBB38_683
; %bb.678:
	s_mov_b32 s38, 0x37ffffff
	v_cmp_lt_u32_e32 vcc, s38, v4
	s_mov_b64 s[38:39], 0
                                        ; implicit-def: $vgpr3
	s_and_saveexec_b64 s[40:41], vcc
	s_xor_b64 s[40:41], exec, s[40:41]
	s_cbranch_execz .LBB38_900
; %bb.679:
	v_bfe_u32 v3, v4, 21, 1
	s_mov_b32 s44, 0x88fffff
	v_add3_u32 v3, v4, v3, s44
	s_mov_b64 s[38:39], exec
	v_lshrrev_b32_e32 v3, 21, v3
                                        ; implicit-def: $vgpr4
	s_andn2_saveexec_b64 s[40:41], s[40:41]
	s_cbranch_execnz .LBB38_901
.LBB38_680:
	s_or_b64 exec, exec, s[40:41]
	v_mov_b32_e32 v5, 0
	s_and_saveexec_b64 s[40:41], s[38:39]
.LBB38_681:
	v_mov_b32_e32 v5, v3
.LBB38_682:
	s_or_b64 exec, exec, s[40:41]
.LBB38_683:
	s_or_b64 exec, exec, s[36:37]
	s_mov_b64 s[36:37], 0
	global_store_byte v[0:1], v5, off
.LBB38_684:
	s_and_b64 vcc, exec, s[36:37]
	s_cbranch_vccz .LBB38_694
; %bb.685:
	v_cndmask_b32_e64 v3, 0, 1.0, s[30:31]
	s_mov_b32 s36, 0x43f00000
	v_cmp_gt_u32_e32 vcc, s36, v3
                                        ; implicit-def: $vgpr4
	s_and_saveexec_b64 s[36:37], vcc
	s_xor_b64 s[36:37], exec, s[36:37]
	s_cbranch_execz .LBB38_691
; %bb.686:
	s_mov_b32 s38, 0x3c7fffff
	v_cmp_lt_u32_e32 vcc, s38, v3
                                        ; implicit-def: $vgpr4
	s_and_saveexec_b64 s[38:39], vcc
	s_xor_b64 s[38:39], exec, s[38:39]
; %bb.687:
	v_bfe_u32 v4, v3, 20, 1
	s_mov_b32 s40, 0x407ffff
	v_add3_u32 v3, v3, v4, s40
	v_lshrrev_b32_e32 v4, 20, v3
	v_and_b32_e32 v3, 0xff00000, v3
	s_mov_b32 s40, 0x7f00000
	v_mov_b32_e32 v5, 0x7e
	v_cmp_ne_u32_e32 vcc, s40, v3
	v_cndmask_b32_e32 v4, v5, v4, vcc
                                        ; implicit-def: $vgpr3
; %bb.688:
	s_andn2_saveexec_b64 s[38:39], s[38:39]
; %bb.689:
	v_add_f32_e32 v4, 0x46800000, v3
; %bb.690:
	s_or_b64 exec, exec, s[38:39]
                                        ; implicit-def: $vgpr3
.LBB38_691:
	s_andn2_saveexec_b64 s[36:37], s[36:37]
; %bb.692:
	s_mov_b32 s38, 0x7f800000
	v_mov_b32_e32 v4, 0x7e
	v_mov_b32_e32 v5, 0x7f
	v_cmp_lt_u32_e32 vcc, s38, v3
	v_cndmask_b32_e32 v4, v4, v5, vcc
; %bb.693:
	s_or_b64 exec, exec, s[36:37]
	global_store_byte v[0:1], v4, off
.LBB38_694:
	s_mov_b64 s[36:37], 0
.LBB38_695:
	s_andn2_b64 vcc, exec, s[36:37]
	s_cbranch_vccnz .LBB38_705
; %bb.696:
	v_cndmask_b32_e64 v3, 0, 1.0, s[30:31]
	s_mov_b32 s36, 0x47800000
	v_cmp_gt_u32_e32 vcc, s36, v3
                                        ; implicit-def: $vgpr4
	s_and_saveexec_b64 s[36:37], vcc
	s_xor_b64 s[36:37], exec, s[36:37]
	s_cbranch_execz .LBB38_702
; %bb.697:
	s_mov_b32 s38, 0x387fffff
	v_cmp_lt_u32_e32 vcc, s38, v3
                                        ; implicit-def: $vgpr4
	s_and_saveexec_b64 s[38:39], vcc
	s_xor_b64 s[38:39], exec, s[38:39]
; %bb.698:
	v_bfe_u32 v4, v3, 21, 1
	s_mov_b32 s40, 0x80fffff
	v_add3_u32 v3, v3, v4, s40
	v_lshrrev_b32_e32 v4, 21, v3
                                        ; implicit-def: $vgpr3
; %bb.699:
	s_andn2_saveexec_b64 s[38:39], s[38:39]
; %bb.700:
	v_add_f32_e32 v4, 0x43000000, v3
; %bb.701:
	s_or_b64 exec, exec, s[38:39]
                                        ; implicit-def: $vgpr3
.LBB38_702:
	s_andn2_saveexec_b64 s[36:37], s[36:37]
; %bb.703:
	s_mov_b32 s38, 0x7f800000
	v_mov_b32_e32 v4, 0x7c
	v_mov_b32_e32 v5, 0x7f
	v_cmp_lt_u32_e32 vcc, s38, v3
	v_cndmask_b32_e32 v4, v4, v5, vcc
; %bb.704:
	s_or_b64 exec, exec, s[36:37]
	global_store_byte v[0:1], v4, off
.LBB38_705:
	s_mov_b64 s[38:39], 0
	s_mov_b64 s[36:37], -1
.LBB38_706:
	s_andn2_b64 vcc, exec, s[38:39]
	s_cbranch_vccnz .LBB38_714
; %bb.707:
	s_cmp_gt_i32 s43, 14
	s_mov_b64 s[38:39], -1
	s_cbranch_scc0 .LBB38_711
; %bb.708:
	s_cmp_eq_u32 s43, 15
	s_mov_b64 s[0:1], -1
	s_cbranch_scc0 .LBB38_710
; %bb.709:
	v_cndmask_b32_e64 v3, 0, 1.0, s[30:31]
	v_bfe_u32 v4, v3, 16, 1
	s_movk_i32 s0, 0x7fff
	v_add3_u32 v3, v3, v4, s0
	global_store_short_d16_hi v[0:1], v3, off
	s_mov_b64 s[36:37], -1
	s_mov_b64 s[0:1], 0
.LBB38_710:
	s_mov_b64 s[38:39], 0
.LBB38_711:
	s_and_b64 vcc, exec, s[38:39]
	s_cbranch_vccz .LBB38_714
; %bb.712:
	s_cmp_eq_u32 s43, 11
	s_mov_b64 s[0:1], -1
	s_cbranch_scc0 .LBB38_714
; %bb.713:
	v_cndmask_b32_e64 v3, 0, 1, s[30:31]
	s_mov_b64 s[36:37], -1
	s_mov_b64 s[0:1], 0
	global_store_byte v[0:1], v3, off
.LBB38_714:
	s_mov_b64 s[38:39], 0
.LBB38_715:
	s_and_b64 vcc, exec, s[38:39]
	s_cbranch_vccz .LBB38_754
; %bb.716:
	s_and_b32 s38, 0xffff, s42
	s_cmp_lt_i32 s38, 5
	s_mov_b64 s[36:37], -1
	s_cbranch_scc1 .LBB38_737
; %bb.717:
	s_cmp_lt_i32 s38, 8
	s_cbranch_scc1 .LBB38_727
; %bb.718:
	s_cmp_lt_i32 s38, 9
	s_cbranch_scc1 .LBB38_724
; %bb.719:
	s_cmp_gt_i32 s38, 9
	s_cbranch_scc0 .LBB38_721
; %bb.720:
	v_cndmask_b32_e64 v3, 0, 1, s[30:31]
	v_cvt_f64_u32_e32 v[3:4], v3
	v_mov_b32_e32 v5, 0
	v_mov_b32_e32 v6, v5
	s_mov_b64 s[36:37], 0
	global_store_dwordx4 v[0:1], v[3:6], off
.LBB38_721:
	s_andn2_b64 vcc, exec, s[36:37]
	s_cbranch_vccnz .LBB38_723
; %bb.722:
	v_cndmask_b32_e64 v3, 0, 1.0, s[30:31]
	v_mov_b32_e32 v4, 0
	global_store_dwordx2 v[0:1], v[3:4], off
.LBB38_723:
	s_mov_b64 s[36:37], 0
.LBB38_724:
	s_andn2_b64 vcc, exec, s[36:37]
	s_cbranch_vccnz .LBB38_726
; %bb.725:
	v_cndmask_b32_e64 v3, 0, 1.0, s[30:31]
	v_cvt_f16_f32_e32 v3, v3
	global_store_dword v[0:1], v3, off
.LBB38_726:
	s_mov_b64 s[36:37], 0
.LBB38_727:
	s_andn2_b64 vcc, exec, s[36:37]
	s_cbranch_vccnz .LBB38_736
; %bb.728:
	s_cmp_lt_i32 s38, 6
	s_mov_b64 s[36:37], -1
	s_cbranch_scc1 .LBB38_734
; %bb.729:
	s_cmp_gt_i32 s38, 6
	s_cbranch_scc0 .LBB38_731
; %bb.730:
	v_cndmask_b32_e64 v3, 0, 1, s[30:31]
	v_cvt_f64_u32_e32 v[3:4], v3
	s_mov_b64 s[36:37], 0
	global_store_dwordx2 v[0:1], v[3:4], off
.LBB38_731:
	s_andn2_b64 vcc, exec, s[36:37]
	s_cbranch_vccnz .LBB38_733
; %bb.732:
	v_cndmask_b32_e64 v3, 0, 1.0, s[30:31]
	global_store_dword v[0:1], v3, off
.LBB38_733:
	s_mov_b64 s[36:37], 0
.LBB38_734:
	s_andn2_b64 vcc, exec, s[36:37]
	s_cbranch_vccnz .LBB38_736
; %bb.735:
	v_cndmask_b32_e64 v3, 0, 1.0, s[30:31]
	v_cvt_f16_f32_e32 v3, v3
	global_store_short v[0:1], v3, off
.LBB38_736:
	s_mov_b64 s[36:37], 0
.LBB38_737:
	s_andn2_b64 vcc, exec, s[36:37]
	s_cbranch_vccnz .LBB38_753
; %bb.738:
	s_cmp_lt_i32 s38, 2
	s_mov_b64 s[36:37], -1
	s_cbranch_scc1 .LBB38_748
; %bb.739:
	s_cmp_lt_i32 s38, 3
	s_cbranch_scc1 .LBB38_745
; %bb.740:
	s_cmp_gt_i32 s38, 3
	s_cbranch_scc0 .LBB38_742
; %bb.741:
	s_mov_b32 s36, 0
	v_cndmask_b32_e64 v3, 0, 1, s[30:31]
	v_mov_b32_e32 v4, s36
	s_mov_b64 s[36:37], 0
	global_store_dwordx2 v[0:1], v[3:4], off
.LBB38_742:
	s_andn2_b64 vcc, exec, s[36:37]
	s_cbranch_vccnz .LBB38_744
; %bb.743:
	v_cndmask_b32_e64 v3, 0, 1, s[30:31]
	global_store_dword v[0:1], v3, off
.LBB38_744:
	s_mov_b64 s[36:37], 0
.LBB38_745:
	s_andn2_b64 vcc, exec, s[36:37]
	s_cbranch_vccnz .LBB38_747
; %bb.746:
	v_cndmask_b32_e64 v3, 0, 1, s[30:31]
	global_store_short v[0:1], v3, off
.LBB38_747:
	s_mov_b64 s[36:37], 0
.LBB38_748:
	s_andn2_b64 vcc, exec, s[36:37]
	s_cbranch_vccnz .LBB38_753
; %bb.749:
	s_mov_b64 s[36:37], -1
	s_cmp_gt_i32 s38, 0
	v_cndmask_b32_e64 v3, 0, 1, s[30:31]
	s_cbranch_scc0 .LBB38_751
; %bb.750:
	s_mov_b64 s[36:37], 0
	global_store_byte v[0:1], v3, off
.LBB38_751:
	s_andn2_b64 vcc, exec, s[36:37]
	s_cbranch_vccnz .LBB38_753
; %bb.752:
	global_store_byte v[0:1], v3, off
.LBB38_753:
	s_mov_b64 s[36:37], -1
.LBB38_754:
	s_andn2_b64 vcc, exec, s[36:37]
	s_cbranch_vccnz .LBB38_767
; %bb.755:
	v_add_u32_e32 v2, 0x80, v2
	s_mov_b64 s[36:37], -1
.LBB38_756:
	s_andn2_b64 s[30:31], s[18:19], exec
	s_and_b64 s[0:1], s[0:1], exec
	s_or_b64 s[30:31], s[30:31], s[0:1]
	s_andn2_b64 s[0:1], s[20:21], exec
	s_and_b64 s[28:29], s[28:29], exec
	s_or_b64 s[28:29], s[0:1], s[28:29]
	;; [unrolled: 3-line block ×3, first 2 shown]
	s_orn2_b64 s[0:1], s[36:37], exec
.LBB38_757:
	s_or_b64 exec, exec, s[34:35]
	s_mov_b64 s[36:37], 0
	s_mov_b64 s[38:39], 0
	;; [unrolled: 1-line block ×3, first 2 shown]
                                        ; implicit-def: $sgpr58
                                        ; implicit-def: $vgpr0_vgpr1
                                        ; implicit-def: $vgpr3
	s_and_saveexec_b64 s[34:35], s[0:1]
	s_cbranch_execz .LBB38_1219
; %bb.758:
	v_cmp_gt_i32_e32 vcc, s50, v2
	s_mov_b64 s[48:49], -1
	s_mov_b64 s[0:1], s[26:27]
	s_mov_b64 s[40:41], s[28:29]
	;; [unrolled: 1-line block ×3, first 2 shown]
	s_and_saveexec_b64 s[36:37], vcc
	s_cbranch_execz .LBB38_1138
; %bb.759:
	v_mul_lo_u32 v0, v2, s13
	v_mov_b32_e32 v1, s11
	s_and_b32 s42, s57, 0xff
	s_cmp_lt_i32 s42, 11
	s_waitcnt vmcnt(0)
	v_ashrrev_i32_e32 v3, 31, v0
	v_add_co_u32_e32 v0, vcc, s10, v0
	v_addc_co_u32_e32 v1, vcc, v1, v3, vcc
	s_cbranch_scc1 .LBB38_766
; %bb.760:
	s_and_b32 s43, 0xffff, s42
	s_cmp_gt_i32 s43, 25
	s_cbranch_scc0 .LBB38_768
; %bb.761:
	s_cmp_gt_i32 s43, 28
	s_cbranch_scc0 .LBB38_769
; %bb.762:
	;; [unrolled: 3-line block ×4, first 2 shown]
	s_cmp_eq_u32 s43, 46
	s_mov_b64 s[40:41], 0
	s_cbranch_scc0 .LBB38_774
; %bb.765:
	global_load_dword v3, v[0:1], off
	s_mov_b64 s[0:1], -1
	s_waitcnt vmcnt(0)
	v_lshlrev_b32_e32 v3, 16, v3
	v_cvt_i32_f32_e32 v3, v3
	s_branch .LBB38_775
.LBB38_766:
	s_mov_b64 s[40:41], -1
	s_mov_b64 s[0:1], 0
                                        ; implicit-def: $vgpr3
	s_mov_b64 s[38:39], s[26:27]
	s_branch .LBB38_836
.LBB38_767:
	s_mov_b64 s[36:37], 0
	s_branch .LBB38_518
.LBB38_768:
	s_mov_b64 s[40:41], -1
	s_mov_b64 s[0:1], 0
	s_mov_b64 s[38:39], s[26:27]
                                        ; implicit-def: $vgpr3
	s_branch .LBB38_802
.LBB38_769:
	s_mov_b64 s[40:41], -1
	s_mov_b64 s[0:1], 0
	s_mov_b64 s[38:39], s[26:27]
                                        ; implicit-def: $vgpr3
	s_branch .LBB38_785
.LBB38_770:
	s_mov_b64 s[40:41], -1
	s_mov_b64 s[0:1], 0
	s_mov_b64 s[38:39], s[26:27]
                                        ; implicit-def: $vgpr3
	s_branch .LBB38_780
.LBB38_771:
	s_mov_b64 s[40:41], -1
	s_mov_b64 s[0:1], 0
	s_mov_b64 s[38:39], s[26:27]
                                        ; implicit-def: $vgpr3
	s_branch .LBB38_775
.LBB38_772:
	s_andn2_saveexec_b64 s[40:41], s[40:41]
	s_cbranch_execz .LBB38_667
.LBB38_773:
	v_add_f32_e32 v3, 0x46000000, v4
	v_and_b32_e32 v3, 0xff, v3
	v_cmp_ne_u32_e32 vcc, 0, v3
	s_andn2_b64 s[38:39], s[38:39], exec
	s_and_b64 s[44:45], vcc, exec
	s_or_b64 s[38:39], s[38:39], s[44:45]
	s_or_b64 exec, exec, s[40:41]
	v_mov_b32_e32 v5, 0
	s_and_saveexec_b64 s[40:41], s[38:39]
	s_cbranch_execnz .LBB38_668
	s_branch .LBB38_669
.LBB38_774:
	s_mov_b64 s[38:39], -1
                                        ; implicit-def: $vgpr3
	s_mov_b64 s[0:1], 0
.LBB38_775:
	s_and_b64 vcc, exec, s[40:41]
	s_cbranch_vccz .LBB38_779
; %bb.776:
	s_cmp_eq_u32 s43, 44
	s_cbranch_scc0 .LBB38_778
; %bb.777:
	global_load_ubyte v3, v[0:1], off
	s_mov_b64 s[0:1], -1
	s_mov_b64 s[38:39], 0
	s_waitcnt vmcnt(0)
	v_lshlrev_b32_e32 v4, 23, v3
	v_cvt_i32_f32_e32 v4, v4
	v_cmp_ne_u32_e32 vcc, 0, v3
	v_cndmask_b32_e32 v3, 0, v4, vcc
	s_branch .LBB38_779
.LBB38_778:
	s_mov_b64 s[38:39], -1
                                        ; implicit-def: $vgpr3
.LBB38_779:
	s_mov_b64 s[40:41], 0
.LBB38_780:
	s_and_b64 vcc, exec, s[40:41]
	s_cbranch_vccz .LBB38_784
; %bb.781:
	s_cmp_eq_u32 s43, 29
	s_cbranch_scc0 .LBB38_783
; %bb.782:
	global_load_dword v3, v[0:1], off
	s_mov_b64 s[0:1], -1
	s_mov_b64 s[38:39], 0
	s_branch .LBB38_784
.LBB38_783:
	s_mov_b64 s[38:39], -1
                                        ; implicit-def: $vgpr3
.LBB38_784:
	s_mov_b64 s[40:41], 0
.LBB38_785:
	s_and_b64 vcc, exec, s[40:41]
	s_cbranch_vccz .LBB38_801
; %bb.786:
	s_cmp_lt_i32 s43, 27
	s_cbranch_scc1 .LBB38_789
; %bb.787:
	s_cmp_gt_i32 s43, 27
	s_cbranch_scc0 .LBB38_790
; %bb.788:
	global_load_dword v3, v[0:1], off
	s_mov_b64 s[0:1], 0
	s_branch .LBB38_791
.LBB38_789:
	s_mov_b64 s[0:1], -1
                                        ; implicit-def: $vgpr3
	s_branch .LBB38_794
.LBB38_790:
	s_mov_b64 s[0:1], -1
                                        ; implicit-def: $vgpr3
.LBB38_791:
	s_andn2_b64 vcc, exec, s[0:1]
	s_cbranch_vccnz .LBB38_793
; %bb.792:
	global_load_ushort v3, v[0:1], off
.LBB38_793:
	s_mov_b64 s[0:1], 0
.LBB38_794:
	s_andn2_b64 vcc, exec, s[0:1]
	s_cbranch_vccnz .LBB38_800
; %bb.795:
	global_load_ubyte v4, v[0:1], off
	s_movk_i32 s0, 0x7f
	s_mov_b64 s[40:41], 0
	s_waitcnt vmcnt(0)
	v_cmp_lt_i16_e32 vcc, s0, v4
	s_and_saveexec_b64 s[0:1], vcc
	s_xor_b64 s[0:1], exec, s[0:1]
	s_cbranch_execz .LBB38_812
; %bb.796:
	s_movk_i32 s40, 0x80
	v_cmp_ne_u16_e32 vcc, s40, v4
	s_and_b64 s[40:41], vcc, exec
	s_andn2_saveexec_b64 s[0:1], s[0:1]
	s_cbranch_execnz .LBB38_813
.LBB38_797:
	s_or_b64 exec, exec, s[0:1]
	v_mov_b32_e32 v3, 0
	s_and_saveexec_b64 s[0:1], s[40:41]
	s_cbranch_execz .LBB38_799
.LBB38_798:
	v_lshlrev_b32_e32 v3, 24, v4
	v_and_b32_e32 v4, 0xffff, v4
	v_and_b32_e32 v5, 7, v4
	v_ffbh_u32_e32 v7, v5
	v_min_u32_e32 v7, 32, v7
	v_subrev_u32_e32 v8, 28, v7
	v_bfe_u32 v6, v4, 3, 4
	v_lshlrev_b32_e32 v4, v8, v4
	v_sub_u32_e32 v7, 29, v7
	v_and_b32_e32 v4, 7, v4
	v_cmp_eq_u32_e32 vcc, 0, v6
	v_cndmask_b32_e32 v6, v6, v7, vcc
	v_cndmask_b32_e32 v4, v5, v4, vcc
	v_mov_b32_e32 v5, 0x3b800000
	v_lshlrev_b32_e32 v4, 20, v4
	v_and_b32_e32 v3, 0x80000000, v3
	v_lshl_add_u32 v5, v6, 23, v5
	v_or3_b32 v3, v3, v5, v4
	v_cvt_i32_f32_e32 v3, v3
.LBB38_799:
	s_or_b64 exec, exec, s[0:1]
.LBB38_800:
	s_mov_b64 s[0:1], -1
.LBB38_801:
	s_mov_b64 s[40:41], 0
.LBB38_802:
	s_and_b64 vcc, exec, s[40:41]
	s_cbranch_vccz .LBB38_835
; %bb.803:
	s_cmp_gt_i32 s43, 22
	s_cbranch_scc0 .LBB38_811
; %bb.804:
	s_cmp_lt_i32 s43, 24
	s_cbranch_scc1 .LBB38_814
; %bb.805:
	s_cmp_gt_i32 s43, 24
	s_cbranch_scc0 .LBB38_815
; %bb.806:
	global_load_ubyte v4, v[0:1], off
	s_movk_i32 s0, 0x7f
	s_mov_b64 s[40:41], 0
	s_waitcnt vmcnt(0)
	v_cmp_lt_i16_e32 vcc, s0, v4
	s_and_saveexec_b64 s[0:1], vcc
	s_xor_b64 s[0:1], exec, s[0:1]
	s_cbranch_execz .LBB38_827
; %bb.807:
	s_movk_i32 s40, 0x80
	v_cmp_ne_u16_e32 vcc, s40, v4
	s_and_b64 s[40:41], vcc, exec
	s_andn2_saveexec_b64 s[0:1], s[0:1]
	s_cbranch_execnz .LBB38_828
.LBB38_808:
	s_or_b64 exec, exec, s[0:1]
	v_mov_b32_e32 v3, 0
	s_and_saveexec_b64 s[0:1], s[40:41]
	s_cbranch_execz .LBB38_810
.LBB38_809:
	v_lshlrev_b32_e32 v3, 24, v4
	v_and_b32_e32 v4, 0xffff, v4
	v_and_b32_e32 v5, 3, v4
	v_ffbh_u32_e32 v7, v5
	v_min_u32_e32 v7, 32, v7
	v_subrev_u32_e32 v8, 29, v7
	v_bfe_u32 v6, v4, 2, 5
	v_lshlrev_b32_e32 v4, v8, v4
	v_sub_u32_e32 v7, 30, v7
	v_and_b32_e32 v4, 3, v4
	v_cmp_eq_u32_e32 vcc, 0, v6
	v_cndmask_b32_e32 v6, v6, v7, vcc
	v_cndmask_b32_e32 v4, v5, v4, vcc
	v_mov_b32_e32 v5, 0x37800000
	v_lshlrev_b32_e32 v4, 21, v4
	v_and_b32_e32 v3, 0x80000000, v3
	v_lshl_add_u32 v5, v6, 23, v5
	v_or3_b32 v3, v3, v5, v4
	v_cvt_i32_f32_e32 v3, v3
.LBB38_810:
	s_or_b64 exec, exec, s[0:1]
	s_mov_b64 s[0:1], 0
	s_branch .LBB38_816
.LBB38_811:
	s_mov_b64 s[40:41], -1
                                        ; implicit-def: $vgpr3
	s_branch .LBB38_822
.LBB38_812:
	s_andn2_saveexec_b64 s[0:1], s[0:1]
	s_cbranch_execz .LBB38_797
.LBB38_813:
	v_cmp_ne_u16_e32 vcc, 0, v4
	s_andn2_b64 s[40:41], s[40:41], exec
	s_and_b64 s[44:45], vcc, exec
	s_or_b64 s[40:41], s[40:41], s[44:45]
	s_or_b64 exec, exec, s[0:1]
	v_mov_b32_e32 v3, 0
	s_and_saveexec_b64 s[0:1], s[40:41]
	s_cbranch_execnz .LBB38_798
	s_branch .LBB38_799
.LBB38_814:
	s_mov_b64 s[0:1], -1
                                        ; implicit-def: $vgpr3
	s_branch .LBB38_819
.LBB38_815:
	s_mov_b64 s[0:1], -1
                                        ; implicit-def: $vgpr3
.LBB38_816:
	s_and_b64 vcc, exec, s[0:1]
	s_cbranch_vccz .LBB38_818
; %bb.817:
	global_load_ubyte v3, v[0:1], off
	s_mov_b32 s0, 0x7f800000
	s_waitcnt vmcnt(0)
	v_lshlrev_b32_e32 v3, 24, v3
	v_and_b32_e32 v4, 0x7f000000, v3
	v_ffbh_u32_e32 v5, v4
	v_min_u32_e32 v5, 32, v5
	v_sub_u32_e64 v5, v5, 4 clamp
	v_lshlrev_b32_e32 v7, v5, v4
	v_lshlrev_b32_e32 v5, 23, v5
	v_lshrrev_b32_e32 v7, 4, v7
	v_add_u32_e32 v6, 0x1000000, v4
	v_sub_u32_e32 v5, v7, v5
	v_ashrrev_i32_e32 v6, 8, v6
	v_add_u32_e32 v5, 0x3c000000, v5
	v_and_or_b32 v5, v6, s0, v5
	v_cmp_ne_u32_e32 vcc, 0, v4
	v_cndmask_b32_e32 v4, 0, v5, vcc
	s_brev_b32 s0, 1
	v_and_or_b32 v3, v3, s0, v4
	v_cvt_i32_f32_e32 v3, v3
.LBB38_818:
	s_mov_b64 s[0:1], 0
.LBB38_819:
	s_andn2_b64 vcc, exec, s[0:1]
	s_cbranch_vccnz .LBB38_821
; %bb.820:
	global_load_ubyte v3, v[0:1], off
	s_movk_i32 s0, 0x7f00
	s_brev_b32 s1, 16
	s_waitcnt vmcnt(0)
	v_lshlrev_b16_e32 v4, 8, v3
	v_lshlrev_b32_e32 v3, 25, v3
	v_lshrrev_b32_e32 v5, 4, v3
	v_and_or_b32 v6, v4, s0, 0.5
	v_or_b32_e32 v5, 0x70000000, v5
	v_add_f32_e32 v6, -0.5, v6
	v_mul_f32_e32 v5, 0x7800000, v5
	v_cmp_gt_u32_e32 vcc, s1, v3
	v_bfe_i32 v4, v4, 0, 16
	v_cndmask_b32_e32 v3, v5, v6, vcc
	s_brev_b32 s0, 1
	v_and_or_b32 v3, v4, s0, v3
	v_cvt_i32_f32_e32 v3, v3
.LBB38_821:
	s_mov_b64 s[40:41], 0
	s_mov_b64 s[0:1], -1
.LBB38_822:
	s_andn2_b64 vcc, exec, s[40:41]
	s_cbranch_vccnz .LBB38_835
; %bb.823:
	s_cmp_gt_i32 s43, 14
	s_cbranch_scc0 .LBB38_826
; %bb.824:
	s_cmp_eq_u32 s43, 15
	s_cbranch_scc0 .LBB38_829
; %bb.825:
	global_load_ushort v3, v[0:1], off
	s_mov_b64 s[0:1], -1
	s_mov_b64 s[38:39], 0
	s_waitcnt vmcnt(0)
	v_lshlrev_b32_e32 v3, 16, v3
	v_cvt_i32_f32_e32 v3, v3
	s_branch .LBB38_830
.LBB38_826:
	s_mov_b64 s[40:41], -1
                                        ; implicit-def: $vgpr3
	s_branch .LBB38_831
.LBB38_827:
	s_andn2_saveexec_b64 s[0:1], s[0:1]
	s_cbranch_execz .LBB38_808
.LBB38_828:
	v_cmp_ne_u16_e32 vcc, 0, v4
	s_andn2_b64 s[40:41], s[40:41], exec
	s_and_b64 s[44:45], vcc, exec
	s_or_b64 s[40:41], s[40:41], s[44:45]
	s_or_b64 exec, exec, s[0:1]
	v_mov_b32_e32 v3, 0
	s_and_saveexec_b64 s[0:1], s[40:41]
	s_cbranch_execnz .LBB38_809
	s_branch .LBB38_810
.LBB38_829:
	s_mov_b64 s[38:39], -1
                                        ; implicit-def: $vgpr3
.LBB38_830:
	s_mov_b64 s[40:41], 0
.LBB38_831:
	s_and_b64 vcc, exec, s[40:41]
	s_cbranch_vccz .LBB38_835
; %bb.832:
	s_cmp_eq_u32 s43, 11
	s_cbranch_scc0 .LBB38_834
; %bb.833:
	global_load_ubyte v3, v[0:1], off
	s_mov_b64 s[0:1], -1
	s_mov_b64 s[38:39], 0
	s_waitcnt vmcnt(0)
	v_cmp_ne_u16_e32 vcc, 0, v3
	v_cndmask_b32_e64 v3, 0, 1, vcc
	s_branch .LBB38_835
.LBB38_834:
	s_mov_b64 s[38:39], -1
                                        ; implicit-def: $vgpr3
.LBB38_835:
	s_mov_b64 s[40:41], 0
.LBB38_836:
	s_and_b64 vcc, exec, s[40:41]
	s_cbranch_vccz .LBB38_885
; %bb.837:
	s_and_b32 s40, 0xffff, s42
	s_cmp_lt_i32 s40, 5
	s_cbranch_scc1 .LBB38_842
; %bb.838:
	s_cmp_lt_i32 s40, 8
	s_cbranch_scc1 .LBB38_843
; %bb.839:
	;; [unrolled: 3-line block ×3, first 2 shown]
	s_cmp_gt_i32 s40, 9
	s_cbranch_scc0 .LBB38_845
; %bb.841:
	global_load_dwordx2 v[3:4], v[0:1], off
	s_mov_b64 s[0:1], 0
	s_waitcnt vmcnt(0)
	v_cvt_i32_f64_e32 v3, v[3:4]
	s_branch .LBB38_846
.LBB38_842:
	s_mov_b64 s[0:1], -1
                                        ; implicit-def: $vgpr3
	s_branch .LBB38_864
.LBB38_843:
	s_mov_b64 s[0:1], -1
                                        ; implicit-def: $vgpr3
	s_branch .LBB38_852
.LBB38_844:
	s_mov_b64 s[0:1], -1
                                        ; implicit-def: $vgpr3
	s_branch .LBB38_849
.LBB38_845:
	s_mov_b64 s[0:1], -1
                                        ; implicit-def: $vgpr3
.LBB38_846:
	s_andn2_b64 vcc, exec, s[0:1]
	s_cbranch_vccnz .LBB38_848
; %bb.847:
	global_load_dword v3, v[0:1], off
	s_waitcnt vmcnt(0)
	v_cvt_i32_f32_e32 v3, v3
.LBB38_848:
	s_mov_b64 s[0:1], 0
.LBB38_849:
	s_andn2_b64 vcc, exec, s[0:1]
	s_cbranch_vccnz .LBB38_851
; %bb.850:
	global_load_dword v3, v[0:1], off
	s_waitcnt vmcnt(0)
	v_cvt_f32_f16_e32 v3, v3
	v_cvt_i32_f32_e32 v3, v3
.LBB38_851:
	s_mov_b64 s[0:1], 0
.LBB38_852:
	s_andn2_b64 vcc, exec, s[0:1]
	s_cbranch_vccnz .LBB38_863
; %bb.853:
	s_cmp_lt_i32 s40, 6
	s_cbranch_scc1 .LBB38_856
; %bb.854:
	s_cmp_gt_i32 s40, 6
	s_cbranch_scc0 .LBB38_857
; %bb.855:
	global_load_dwordx2 v[3:4], v[0:1], off
	s_mov_b64 s[0:1], 0
	s_waitcnt vmcnt(0)
	v_cvt_i32_f64_e32 v3, v[3:4]
	s_branch .LBB38_858
.LBB38_856:
	s_mov_b64 s[0:1], -1
                                        ; implicit-def: $vgpr3
	s_branch .LBB38_861
.LBB38_857:
	s_mov_b64 s[0:1], -1
                                        ; implicit-def: $vgpr3
.LBB38_858:
	s_andn2_b64 vcc, exec, s[0:1]
	s_cbranch_vccnz .LBB38_860
; %bb.859:
	global_load_dword v3, v[0:1], off
	s_waitcnt vmcnt(0)
	v_cvt_i32_f32_e32 v3, v3
.LBB38_860:
	s_mov_b64 s[0:1], 0
.LBB38_861:
	s_andn2_b64 vcc, exec, s[0:1]
	s_cbranch_vccnz .LBB38_863
; %bb.862:
	global_load_ushort v3, v[0:1], off
	s_waitcnt vmcnt(0)
	v_cvt_f32_f16_e32 v3, v3
	v_cvt_i32_f32_e32 v3, v3
.LBB38_863:
	s_mov_b64 s[0:1], 0
.LBB38_864:
	s_andn2_b64 vcc, exec, s[0:1]
	s_cbranch_vccnz .LBB38_884
; %bb.865:
	s_cmp_lt_i32 s40, 2
	s_cbranch_scc1 .LBB38_869
; %bb.866:
	s_cmp_lt_i32 s40, 3
	s_cbranch_scc1 .LBB38_870
; %bb.867:
	s_cmp_gt_i32 s40, 3
	s_cbranch_scc0 .LBB38_871
; %bb.868:
	global_load_dword v3, v[0:1], off
	s_mov_b64 s[0:1], 0
	s_branch .LBB38_872
.LBB38_869:
	s_mov_b64 s[0:1], -1
                                        ; implicit-def: $vgpr3
	s_branch .LBB38_878
.LBB38_870:
	s_mov_b64 s[0:1], -1
                                        ; implicit-def: $vgpr3
	s_branch .LBB38_875
.LBB38_871:
	s_mov_b64 s[0:1], -1
                                        ; implicit-def: $vgpr3
.LBB38_872:
	s_andn2_b64 vcc, exec, s[0:1]
	s_cbranch_vccnz .LBB38_874
; %bb.873:
	global_load_dword v3, v[0:1], off
.LBB38_874:
	s_mov_b64 s[0:1], 0
.LBB38_875:
	s_andn2_b64 vcc, exec, s[0:1]
	s_cbranch_vccnz .LBB38_877
; %bb.876:
	global_load_sshort v3, v[0:1], off
.LBB38_877:
	s_mov_b64 s[0:1], 0
.LBB38_878:
	s_andn2_b64 vcc, exec, s[0:1]
	s_cbranch_vccnz .LBB38_884
; %bb.879:
	s_cmp_gt_i32 s40, 0
	s_cbranch_scc0 .LBB38_881
; %bb.880:
	global_load_sbyte v3, v[0:1], off
	s_mov_b64 s[0:1], 0
	s_branch .LBB38_882
.LBB38_881:
	s_mov_b64 s[0:1], -1
                                        ; implicit-def: $vgpr3
.LBB38_882:
	s_andn2_b64 vcc, exec, s[0:1]
	s_cbranch_vccnz .LBB38_884
; %bb.883:
	global_load_ubyte v3, v[0:1], off
.LBB38_884:
	s_mov_b64 s[0:1], -1
.LBB38_885:
	s_andn2_b64 vcc, exec, s[0:1]
	s_cbranch_vccnz .LBB38_893
; %bb.886:
	v_mul_lo_u32 v0, v2, s14
	v_mov_b32_e32 v1, s3
	s_and_b32 s44, s56, 0xff
	s_cmp_lt_i32 s44, 11
	v_ashrrev_i32_e32 v4, 31, v0
	v_add_co_u32_e32 v0, vcc, s2, v0
	v_addc_co_u32_e32 v1, vcc, v1, v4, vcc
	s_cbranch_scc1 .LBB38_895
; %bb.887:
	s_and_b32 s45, 0xffff, s44
	s_cmp_gt_i32 s45, 25
	s_cbranch_scc0 .LBB38_896
; %bb.888:
	s_cmp_gt_i32 s45, 28
	s_cbranch_scc0 .LBB38_897
; %bb.889:
	;; [unrolled: 3-line block ×4, first 2 shown]
	s_cmp_eq_u32 s45, 46
	s_mov_b64 s[42:43], 0
	s_cbranch_scc0 .LBB38_902
; %bb.892:
	global_load_dword v4, v[0:1], off
	s_mov_b64 s[0:1], -1
	s_mov_b64 s[40:41], 0
	s_waitcnt vmcnt(0)
	v_lshlrev_b32_e32 v4, 16, v4
	v_cvt_i32_f32_e32 v4, v4
	s_branch .LBB38_903
.LBB38_893:
	s_mov_b64 s[44:45], 0
	s_mov_b64 s[0:1], s[30:31]
	s_mov_b64 s[40:41], s[28:29]
.LBB38_894:
                                        ; implicit-def: $vgpr2
	s_branch .LBB38_1137
.LBB38_895:
	s_mov_b64 s[42:43], -1
	s_mov_b64 s[0:1], 0
                                        ; implicit-def: $vgpr4
	s_mov_b64 s[40:41], s[28:29]
	s_branch .LBB38_964
.LBB38_896:
	s_mov_b64 s[42:43], -1
	s_mov_b64 s[0:1], 0
	s_mov_b64 s[40:41], s[28:29]
                                        ; implicit-def: $vgpr4
	s_branch .LBB38_930
.LBB38_897:
	s_mov_b64 s[42:43], -1
	s_mov_b64 s[0:1], 0
	s_mov_b64 s[40:41], s[28:29]
                                        ; implicit-def: $vgpr4
	s_branch .LBB38_913
.LBB38_898:
	s_mov_b64 s[42:43], -1
	s_mov_b64 s[0:1], 0
	s_mov_b64 s[40:41], s[28:29]
                                        ; implicit-def: $vgpr4
	s_branch .LBB38_908
.LBB38_899:
	s_mov_b64 s[42:43], -1
	s_mov_b64 s[0:1], 0
	s_mov_b64 s[40:41], s[28:29]
                                        ; implicit-def: $vgpr4
	s_branch .LBB38_903
.LBB38_900:
	s_andn2_saveexec_b64 s[40:41], s[40:41]
	s_cbranch_execz .LBB38_680
.LBB38_901:
	v_add_f32_e32 v3, 0x42800000, v4
	v_and_b32_e32 v3, 0xff, v3
	v_cmp_ne_u32_e32 vcc, 0, v3
	s_andn2_b64 s[38:39], s[38:39], exec
	s_and_b64 s[44:45], vcc, exec
	s_or_b64 s[38:39], s[38:39], s[44:45]
	s_or_b64 exec, exec, s[40:41]
	v_mov_b32_e32 v5, 0
	s_and_saveexec_b64 s[40:41], s[38:39]
	s_cbranch_execnz .LBB38_681
	s_branch .LBB38_682
.LBB38_902:
	s_mov_b64 s[40:41], -1
                                        ; implicit-def: $vgpr4
	s_mov_b64 s[0:1], 0
.LBB38_903:
	s_and_b64 vcc, exec, s[42:43]
	s_cbranch_vccz .LBB38_907
; %bb.904:
	s_cmp_eq_u32 s45, 44
	s_cbranch_scc0 .LBB38_906
; %bb.905:
	global_load_ubyte v4, v[0:1], off
	s_mov_b64 s[0:1], -1
	s_mov_b64 s[40:41], 0
	s_waitcnt vmcnt(0)
	v_lshlrev_b32_e32 v5, 23, v4
	v_cvt_i32_f32_e32 v5, v5
	v_cmp_ne_u32_e32 vcc, 0, v4
	v_cndmask_b32_e32 v4, 0, v5, vcc
	s_branch .LBB38_907
.LBB38_906:
	s_mov_b64 s[40:41], -1
                                        ; implicit-def: $vgpr4
.LBB38_907:
	s_mov_b64 s[42:43], 0
.LBB38_908:
	s_and_b64 vcc, exec, s[42:43]
	s_cbranch_vccz .LBB38_912
; %bb.909:
	s_cmp_eq_u32 s45, 29
	s_cbranch_scc0 .LBB38_911
; %bb.910:
	global_load_dword v4, v[0:1], off
	s_mov_b64 s[0:1], -1
	s_mov_b64 s[40:41], 0
	s_branch .LBB38_912
.LBB38_911:
	s_mov_b64 s[40:41], -1
                                        ; implicit-def: $vgpr4
.LBB38_912:
	s_mov_b64 s[42:43], 0
.LBB38_913:
	s_and_b64 vcc, exec, s[42:43]
	s_cbranch_vccz .LBB38_929
; %bb.914:
	s_cmp_lt_i32 s45, 27
	s_cbranch_scc1 .LBB38_917
; %bb.915:
	s_cmp_gt_i32 s45, 27
	s_cbranch_scc0 .LBB38_918
; %bb.916:
	global_load_dword v4, v[0:1], off
	s_mov_b64 s[0:1], 0
	s_branch .LBB38_919
.LBB38_917:
	s_mov_b64 s[0:1], -1
                                        ; implicit-def: $vgpr4
	s_branch .LBB38_922
.LBB38_918:
	s_mov_b64 s[0:1], -1
                                        ; implicit-def: $vgpr4
.LBB38_919:
	s_andn2_b64 vcc, exec, s[0:1]
	s_cbranch_vccnz .LBB38_921
; %bb.920:
	global_load_ushort v4, v[0:1], off
.LBB38_921:
	s_mov_b64 s[0:1], 0
.LBB38_922:
	s_andn2_b64 vcc, exec, s[0:1]
	s_cbranch_vccnz .LBB38_928
; %bb.923:
	global_load_ubyte v5, v[0:1], off
	s_movk_i32 s0, 0x7f
	s_mov_b64 s[42:43], 0
	s_waitcnt vmcnt(0)
	v_cmp_lt_i16_e32 vcc, s0, v5
	s_and_saveexec_b64 s[0:1], vcc
	s_xor_b64 s[0:1], exec, s[0:1]
	s_cbranch_execz .LBB38_940
; %bb.924:
	s_movk_i32 s42, 0x80
	v_cmp_ne_u16_e32 vcc, s42, v5
	s_and_b64 s[42:43], vcc, exec
	s_andn2_saveexec_b64 s[0:1], s[0:1]
	s_cbranch_execnz .LBB38_941
.LBB38_925:
	s_or_b64 exec, exec, s[0:1]
	v_mov_b32_e32 v4, 0
	s_and_saveexec_b64 s[0:1], s[42:43]
	s_cbranch_execz .LBB38_927
.LBB38_926:
	v_lshlrev_b32_e32 v4, 24, v5
	v_and_b32_e32 v5, 0xffff, v5
	v_and_b32_e32 v6, 7, v5
	v_ffbh_u32_e32 v8, v6
	v_min_u32_e32 v8, 32, v8
	v_subrev_u32_e32 v9, 28, v8
	v_bfe_u32 v7, v5, 3, 4
	v_lshlrev_b32_e32 v5, v9, v5
	v_sub_u32_e32 v8, 29, v8
	v_and_b32_e32 v5, 7, v5
	v_cmp_eq_u32_e32 vcc, 0, v7
	v_cndmask_b32_e32 v7, v7, v8, vcc
	v_cndmask_b32_e32 v5, v6, v5, vcc
	v_mov_b32_e32 v6, 0x3b800000
	v_lshlrev_b32_e32 v5, 20, v5
	v_and_b32_e32 v4, 0x80000000, v4
	v_lshl_add_u32 v6, v7, 23, v6
	v_or3_b32 v4, v4, v6, v5
	v_cvt_i32_f32_e32 v4, v4
.LBB38_927:
	s_or_b64 exec, exec, s[0:1]
.LBB38_928:
	s_mov_b64 s[0:1], -1
.LBB38_929:
	s_mov_b64 s[42:43], 0
.LBB38_930:
	s_and_b64 vcc, exec, s[42:43]
	s_cbranch_vccz .LBB38_963
; %bb.931:
	s_cmp_gt_i32 s45, 22
	s_cbranch_scc0 .LBB38_939
; %bb.932:
	s_cmp_lt_i32 s45, 24
	s_cbranch_scc1 .LBB38_942
; %bb.933:
	s_cmp_gt_i32 s45, 24
	s_cbranch_scc0 .LBB38_943
; %bb.934:
	global_load_ubyte v5, v[0:1], off
	s_movk_i32 s0, 0x7f
	s_mov_b64 s[42:43], 0
	s_waitcnt vmcnt(0)
	v_cmp_lt_i16_e32 vcc, s0, v5
	s_and_saveexec_b64 s[0:1], vcc
	s_xor_b64 s[0:1], exec, s[0:1]
	s_cbranch_execz .LBB38_955
; %bb.935:
	s_movk_i32 s42, 0x80
	v_cmp_ne_u16_e32 vcc, s42, v5
	s_and_b64 s[42:43], vcc, exec
	s_andn2_saveexec_b64 s[0:1], s[0:1]
	s_cbranch_execnz .LBB38_956
.LBB38_936:
	s_or_b64 exec, exec, s[0:1]
	v_mov_b32_e32 v4, 0
	s_and_saveexec_b64 s[0:1], s[42:43]
	s_cbranch_execz .LBB38_938
.LBB38_937:
	v_lshlrev_b32_e32 v4, 24, v5
	v_and_b32_e32 v5, 0xffff, v5
	v_and_b32_e32 v6, 3, v5
	v_ffbh_u32_e32 v8, v6
	v_min_u32_e32 v8, 32, v8
	v_subrev_u32_e32 v9, 29, v8
	v_bfe_u32 v7, v5, 2, 5
	v_lshlrev_b32_e32 v5, v9, v5
	v_sub_u32_e32 v8, 30, v8
	v_and_b32_e32 v5, 3, v5
	v_cmp_eq_u32_e32 vcc, 0, v7
	v_cndmask_b32_e32 v7, v7, v8, vcc
	v_cndmask_b32_e32 v5, v6, v5, vcc
	v_mov_b32_e32 v6, 0x37800000
	v_lshlrev_b32_e32 v5, 21, v5
	v_and_b32_e32 v4, 0x80000000, v4
	v_lshl_add_u32 v6, v7, 23, v6
	v_or3_b32 v4, v4, v6, v5
	v_cvt_i32_f32_e32 v4, v4
.LBB38_938:
	s_or_b64 exec, exec, s[0:1]
	s_mov_b64 s[0:1], 0
	s_branch .LBB38_944
.LBB38_939:
	s_mov_b64 s[42:43], -1
                                        ; implicit-def: $vgpr4
	s_branch .LBB38_950
.LBB38_940:
	s_andn2_saveexec_b64 s[0:1], s[0:1]
	s_cbranch_execz .LBB38_925
.LBB38_941:
	v_cmp_ne_u16_e32 vcc, 0, v5
	s_andn2_b64 s[42:43], s[42:43], exec
	s_and_b64 s[46:47], vcc, exec
	s_or_b64 s[42:43], s[42:43], s[46:47]
	s_or_b64 exec, exec, s[0:1]
	v_mov_b32_e32 v4, 0
	s_and_saveexec_b64 s[0:1], s[42:43]
	s_cbranch_execnz .LBB38_926
	s_branch .LBB38_927
.LBB38_942:
	s_mov_b64 s[0:1], -1
                                        ; implicit-def: $vgpr4
	s_branch .LBB38_947
.LBB38_943:
	s_mov_b64 s[0:1], -1
                                        ; implicit-def: $vgpr4
.LBB38_944:
	s_and_b64 vcc, exec, s[0:1]
	s_cbranch_vccz .LBB38_946
; %bb.945:
	global_load_ubyte v4, v[0:1], off
	s_mov_b32 s0, 0x7f800000
	s_waitcnt vmcnt(0)
	v_lshlrev_b32_e32 v4, 24, v4
	v_and_b32_e32 v5, 0x7f000000, v4
	v_ffbh_u32_e32 v6, v5
	v_min_u32_e32 v6, 32, v6
	v_sub_u32_e64 v6, v6, 4 clamp
	v_lshlrev_b32_e32 v8, v6, v5
	v_lshlrev_b32_e32 v6, 23, v6
	v_lshrrev_b32_e32 v8, 4, v8
	v_add_u32_e32 v7, 0x1000000, v5
	v_sub_u32_e32 v6, v8, v6
	v_ashrrev_i32_e32 v7, 8, v7
	v_add_u32_e32 v6, 0x3c000000, v6
	v_and_or_b32 v6, v7, s0, v6
	v_cmp_ne_u32_e32 vcc, 0, v5
	v_cndmask_b32_e32 v5, 0, v6, vcc
	s_brev_b32 s0, 1
	v_and_or_b32 v4, v4, s0, v5
	v_cvt_i32_f32_e32 v4, v4
.LBB38_946:
	s_mov_b64 s[0:1], 0
.LBB38_947:
	s_andn2_b64 vcc, exec, s[0:1]
	s_cbranch_vccnz .LBB38_949
; %bb.948:
	global_load_ubyte v4, v[0:1], off
	s_movk_i32 s0, 0x7f00
	s_brev_b32 s1, 16
	s_waitcnt vmcnt(0)
	v_lshlrev_b16_e32 v5, 8, v4
	v_lshlrev_b32_e32 v4, 25, v4
	v_lshrrev_b32_e32 v6, 4, v4
	v_and_or_b32 v7, v5, s0, 0.5
	v_or_b32_e32 v6, 0x70000000, v6
	v_add_f32_e32 v7, -0.5, v7
	v_mul_f32_e32 v6, 0x7800000, v6
	v_cmp_gt_u32_e32 vcc, s1, v4
	v_bfe_i32 v5, v5, 0, 16
	v_cndmask_b32_e32 v4, v6, v7, vcc
	s_brev_b32 s0, 1
	v_and_or_b32 v4, v5, s0, v4
	v_cvt_i32_f32_e32 v4, v4
.LBB38_949:
	s_mov_b64 s[42:43], 0
	s_mov_b64 s[0:1], -1
.LBB38_950:
	s_andn2_b64 vcc, exec, s[42:43]
	s_cbranch_vccnz .LBB38_963
; %bb.951:
	s_cmp_gt_i32 s45, 14
	s_cbranch_scc0 .LBB38_954
; %bb.952:
	s_cmp_eq_u32 s45, 15
	s_cbranch_scc0 .LBB38_957
; %bb.953:
	global_load_ushort v4, v[0:1], off
	s_mov_b64 s[0:1], -1
	s_mov_b64 s[40:41], 0
	s_waitcnt vmcnt(0)
	v_lshlrev_b32_e32 v4, 16, v4
	v_cvt_i32_f32_e32 v4, v4
	s_branch .LBB38_958
.LBB38_954:
	s_mov_b64 s[42:43], -1
                                        ; implicit-def: $vgpr4
	s_branch .LBB38_959
.LBB38_955:
	s_andn2_saveexec_b64 s[0:1], s[0:1]
	s_cbranch_execz .LBB38_936
.LBB38_956:
	v_cmp_ne_u16_e32 vcc, 0, v5
	s_andn2_b64 s[42:43], s[42:43], exec
	s_and_b64 s[46:47], vcc, exec
	s_or_b64 s[42:43], s[42:43], s[46:47]
	s_or_b64 exec, exec, s[0:1]
	v_mov_b32_e32 v4, 0
	s_and_saveexec_b64 s[0:1], s[42:43]
	s_cbranch_execnz .LBB38_937
	s_branch .LBB38_938
.LBB38_957:
	s_mov_b64 s[40:41], -1
                                        ; implicit-def: $vgpr4
.LBB38_958:
	s_mov_b64 s[42:43], 0
.LBB38_959:
	s_and_b64 vcc, exec, s[42:43]
	s_cbranch_vccz .LBB38_963
; %bb.960:
	s_cmp_eq_u32 s45, 11
	s_cbranch_scc0 .LBB38_962
; %bb.961:
	global_load_ubyte v4, v[0:1], off
	s_mov_b64 s[0:1], -1
	s_mov_b64 s[40:41], 0
	s_waitcnt vmcnt(0)
	v_cmp_ne_u16_e32 vcc, 0, v4
	v_cndmask_b32_e64 v4, 0, 1, vcc
	s_branch .LBB38_963
.LBB38_962:
	s_mov_b64 s[40:41], -1
                                        ; implicit-def: $vgpr4
.LBB38_963:
	s_mov_b64 s[42:43], 0
.LBB38_964:
	s_and_b64 vcc, exec, s[42:43]
	s_cbranch_vccz .LBB38_1013
; %bb.965:
	s_and_b32 s42, 0xffff, s44
	s_cmp_lt_i32 s42, 5
	s_cbranch_scc1 .LBB38_970
; %bb.966:
	s_cmp_lt_i32 s42, 8
	s_cbranch_scc1 .LBB38_971
; %bb.967:
	;; [unrolled: 3-line block ×3, first 2 shown]
	s_cmp_gt_i32 s42, 9
	s_cbranch_scc0 .LBB38_973
; %bb.969:
	global_load_dwordx2 v[4:5], v[0:1], off
	s_mov_b64 s[0:1], 0
	s_waitcnt vmcnt(0)
	v_cvt_i32_f64_e32 v4, v[4:5]
	s_branch .LBB38_974
.LBB38_970:
	s_mov_b64 s[0:1], -1
                                        ; implicit-def: $vgpr4
	s_branch .LBB38_992
.LBB38_971:
	s_mov_b64 s[0:1], -1
                                        ; implicit-def: $vgpr4
	s_branch .LBB38_980
.LBB38_972:
	s_mov_b64 s[0:1], -1
                                        ; implicit-def: $vgpr4
	s_branch .LBB38_977
.LBB38_973:
	s_mov_b64 s[0:1], -1
                                        ; implicit-def: $vgpr4
.LBB38_974:
	s_andn2_b64 vcc, exec, s[0:1]
	s_cbranch_vccnz .LBB38_976
; %bb.975:
	global_load_dword v4, v[0:1], off
	s_waitcnt vmcnt(0)
	v_cvt_i32_f32_e32 v4, v4
.LBB38_976:
	s_mov_b64 s[0:1], 0
.LBB38_977:
	s_andn2_b64 vcc, exec, s[0:1]
	s_cbranch_vccnz .LBB38_979
; %bb.978:
	global_load_dword v4, v[0:1], off
	s_waitcnt vmcnt(0)
	v_cvt_f32_f16_e32 v4, v4
	v_cvt_i32_f32_e32 v4, v4
.LBB38_979:
	s_mov_b64 s[0:1], 0
.LBB38_980:
	s_andn2_b64 vcc, exec, s[0:1]
	s_cbranch_vccnz .LBB38_991
; %bb.981:
	s_cmp_lt_i32 s42, 6
	s_cbranch_scc1 .LBB38_984
; %bb.982:
	s_cmp_gt_i32 s42, 6
	s_cbranch_scc0 .LBB38_985
; %bb.983:
	global_load_dwordx2 v[4:5], v[0:1], off
	s_mov_b64 s[0:1], 0
	s_waitcnt vmcnt(0)
	v_cvt_i32_f64_e32 v4, v[4:5]
	s_branch .LBB38_986
.LBB38_984:
	s_mov_b64 s[0:1], -1
                                        ; implicit-def: $vgpr4
	s_branch .LBB38_989
.LBB38_985:
	s_mov_b64 s[0:1], -1
                                        ; implicit-def: $vgpr4
.LBB38_986:
	s_andn2_b64 vcc, exec, s[0:1]
	s_cbranch_vccnz .LBB38_988
; %bb.987:
	global_load_dword v4, v[0:1], off
	s_waitcnt vmcnt(0)
	v_cvt_i32_f32_e32 v4, v4
.LBB38_988:
	s_mov_b64 s[0:1], 0
.LBB38_989:
	s_andn2_b64 vcc, exec, s[0:1]
	s_cbranch_vccnz .LBB38_991
; %bb.990:
	global_load_ushort v4, v[0:1], off
	s_waitcnt vmcnt(0)
	v_cvt_f32_f16_e32 v4, v4
	v_cvt_i32_f32_e32 v4, v4
.LBB38_991:
	s_mov_b64 s[0:1], 0
.LBB38_992:
	s_andn2_b64 vcc, exec, s[0:1]
	s_cbranch_vccnz .LBB38_1012
; %bb.993:
	s_cmp_lt_i32 s42, 2
	s_cbranch_scc1 .LBB38_997
; %bb.994:
	s_cmp_lt_i32 s42, 3
	s_cbranch_scc1 .LBB38_998
; %bb.995:
	s_cmp_gt_i32 s42, 3
	s_cbranch_scc0 .LBB38_999
; %bb.996:
	global_load_dword v4, v[0:1], off
	s_mov_b64 s[0:1], 0
	s_branch .LBB38_1000
.LBB38_997:
	s_mov_b64 s[0:1], -1
                                        ; implicit-def: $vgpr4
	s_branch .LBB38_1006
.LBB38_998:
	s_mov_b64 s[0:1], -1
                                        ; implicit-def: $vgpr4
	s_branch .LBB38_1003
.LBB38_999:
	s_mov_b64 s[0:1], -1
                                        ; implicit-def: $vgpr4
.LBB38_1000:
	s_andn2_b64 vcc, exec, s[0:1]
	s_cbranch_vccnz .LBB38_1002
; %bb.1001:
	global_load_dword v4, v[0:1], off
.LBB38_1002:
	s_mov_b64 s[0:1], 0
.LBB38_1003:
	s_andn2_b64 vcc, exec, s[0:1]
	s_cbranch_vccnz .LBB38_1005
; %bb.1004:
	global_load_sshort v4, v[0:1], off
.LBB38_1005:
	s_mov_b64 s[0:1], 0
.LBB38_1006:
	s_andn2_b64 vcc, exec, s[0:1]
	s_cbranch_vccnz .LBB38_1012
; %bb.1007:
	s_cmp_gt_i32 s42, 0
	s_cbranch_scc0 .LBB38_1009
; %bb.1008:
	global_load_sbyte v4, v[0:1], off
	s_mov_b64 s[0:1], 0
	s_branch .LBB38_1010
.LBB38_1009:
	s_mov_b64 s[0:1], -1
                                        ; implicit-def: $vgpr4
.LBB38_1010:
	s_andn2_b64 vcc, exec, s[0:1]
	s_cbranch_vccnz .LBB38_1012
; %bb.1011:
	global_load_ubyte v4, v[0:1], off
.LBB38_1012:
	s_mov_b64 s[0:1], -1
.LBB38_1013:
	s_andn2_b64 vcc, exec, s[0:1]
	s_cbranch_vccnz .LBB38_1021
; %bb.1014:
	v_mul_lo_u32 v0, v2, s12
	s_waitcnt vmcnt(0)
	v_cmp_ne_u32_e32 vcc, v3, v4
	v_mov_b32_e32 v1, s9
	s_xor_b64 s[42:43], s[16:17], vcc
	v_ashrrev_i32_e32 v3, 31, v0
	s_and_b32 s51, s33, 0xff
	v_add_co_u32_e32 v0, vcc, s8, v0
	s_cmp_lt_i32 s51, 11
	v_addc_co_u32_e32 v1, vcc, v1, v3, vcc
	s_cbranch_scc1 .LBB38_1022
; %bb.1015:
	s_and_b32 s52, 0xffff, s51
	s_cmp_gt_i32 s52, 25
	s_cbranch_scc0 .LBB38_1023
; %bb.1016:
	s_cmp_gt_i32 s52, 28
	s_cbranch_scc0 .LBB38_1024
; %bb.1017:
	;; [unrolled: 3-line block ×4, first 2 shown]
	s_mov_b64 s[46:47], 0
	s_mov_b64 s[0:1], -1
	s_cmp_eq_u32 s52, 46
	s_mov_b64 s[44:45], 0
	s_cbranch_scc0 .LBB38_1027
; %bb.1020:
	v_cndmask_b32_e64 v3, 0, 1.0, s[42:43]
	v_bfe_u32 v4, v3, 16, 1
	s_movk_i32 s0, 0x7fff
	v_add3_u32 v3, v3, v4, s0
	v_lshrrev_b32_e32 v3, 16, v3
	global_store_dword v[0:1], v3, off
	s_mov_b64 s[44:45], -1
	s_mov_b64 s[0:1], 0
	s_branch .LBB38_1027
.LBB38_1021:
	s_mov_b64 s[44:45], 0
                                        ; implicit-def: $vgpr2
	s_mov_b64 s[0:1], s[30:31]
	s_branch .LBB38_1137
.LBB38_1022:
	s_mov_b64 s[46:47], -1
	s_mov_b64 s[44:45], 0
	s_mov_b64 s[0:1], s[30:31]
	s_branch .LBB38_1096
.LBB38_1023:
	s_mov_b64 s[46:47], -1
	s_mov_b64 s[44:45], 0
	s_mov_b64 s[0:1], s[30:31]
	s_branch .LBB38_1054
.LBB38_1024:
	s_mov_b64 s[46:47], -1
	s_mov_b64 s[44:45], 0
	s_mov_b64 s[0:1], s[30:31]
	s_branch .LBB38_1037
.LBB38_1025:
	s_mov_b64 s[46:47], -1
	s_mov_b64 s[44:45], 0
	s_mov_b64 s[0:1], s[30:31]
	s_branch .LBB38_1033
.LBB38_1026:
	s_mov_b64 s[46:47], -1
	s_mov_b64 s[44:45], 0
	s_mov_b64 s[0:1], s[30:31]
.LBB38_1027:
	s_and_b64 vcc, exec, s[46:47]
	s_cbranch_vccz .LBB38_1032
; %bb.1028:
	s_cmp_eq_u32 s52, 44
	s_mov_b64 s[0:1], -1
	s_cbranch_scc0 .LBB38_1032
; %bb.1029:
	v_cndmask_b32_e64 v4, 0, 1.0, s[42:43]
	v_lshrrev_b32_e32 v3, 23, v4
	s_movk_i32 s0, 0xff
	v_cmp_ne_u32_e32 vcc, s0, v3
	v_mov_b32_e32 v5, 0xff
	s_and_saveexec_b64 s[44:45], vcc
; %bb.1030:
	s_mov_b32 s0, 0x3fffff
	v_and_b32_e32 v5, 0x400000, v4
	v_and_or_b32 v4, v4, s0, v3
	v_cmp_ne_u32_e32 vcc, 0, v5
	v_cmp_ne_u32_e64 s[0:1], 0, v4
	s_and_b64 s[0:1], vcc, s[0:1]
	v_cndmask_b32_e64 v4, 0, 1, s[0:1]
	v_add_u32_e32 v5, v3, v4
; %bb.1031:
	s_or_b64 exec, exec, s[44:45]
	s_mov_b64 s[44:45], -1
	s_mov_b64 s[0:1], 0
	global_store_byte v[0:1], v5, off
.LBB38_1032:
	s_mov_b64 s[46:47], 0
.LBB38_1033:
	s_and_b64 vcc, exec, s[46:47]
	s_cbranch_vccz .LBB38_1036
; %bb.1034:
	s_cmp_eq_u32 s52, 29
	s_mov_b64 s[0:1], -1
	s_cbranch_scc0 .LBB38_1036
; %bb.1035:
	s_mov_b32 s0, 0
	v_cndmask_b32_e64 v3, 0, 1, s[42:43]
	v_mov_b32_e32 v4, s0
	global_store_dwordx2 v[0:1], v[3:4], off
	s_mov_b64 s[44:45], -1
	s_mov_b64 s[0:1], 0
.LBB38_1036:
	s_mov_b64 s[46:47], 0
.LBB38_1037:
	s_and_b64 vcc, exec, s[46:47]
	s_cbranch_vccz .LBB38_1053
; %bb.1038:
	s_cmp_lt_i32 s52, 27
	s_mov_b64 s[44:45], -1
	s_cbranch_scc1 .LBB38_1044
; %bb.1039:
	s_cmp_gt_i32 s52, 27
	s_cbranch_scc0 .LBB38_1041
; %bb.1040:
	v_cndmask_b32_e64 v3, 0, 1, s[42:43]
	s_mov_b64 s[44:45], 0
	global_store_dword v[0:1], v3, off
.LBB38_1041:
	s_andn2_b64 vcc, exec, s[44:45]
	s_cbranch_vccnz .LBB38_1043
; %bb.1042:
	v_cndmask_b32_e64 v3, 0, 1, s[42:43]
	global_store_short v[0:1], v3, off
.LBB38_1043:
	s_mov_b64 s[44:45], 0
.LBB38_1044:
	s_andn2_b64 vcc, exec, s[44:45]
	s_cbranch_vccnz .LBB38_1052
; %bb.1045:
	v_cndmask_b32_e64 v4, 0, 1.0, s[42:43]
	s_mov_b32 s44, 0x43800000
	v_cmp_gt_u32_e32 vcc, s44, v4
	v_mov_b32_e32 v5, 0x80
	s_and_saveexec_b64 s[44:45], vcc
	s_cbranch_execz .LBB38_1051
; %bb.1046:
	s_mov_b32 s46, 0x3bffffff
	v_cmp_lt_u32_e32 vcc, s46, v4
	s_mov_b64 s[46:47], 0
                                        ; implicit-def: $vgpr3
	s_and_saveexec_b64 s[48:49], vcc
	s_xor_b64 s[48:49], exec, s[48:49]
	s_cbranch_execz .LBB38_1153
; %bb.1047:
	v_bfe_u32 v3, v4, 20, 1
	s_mov_b32 s53, 0x487ffff
	v_add3_u32 v3, v4, v3, s53
	s_mov_b64 s[46:47], exec
	v_lshrrev_b32_e32 v3, 20, v3
                                        ; implicit-def: $vgpr4
	s_andn2_saveexec_b64 s[48:49], s[48:49]
	s_cbranch_execnz .LBB38_1154
.LBB38_1048:
	s_or_b64 exec, exec, s[48:49]
	v_mov_b32_e32 v5, 0
	s_and_saveexec_b64 s[48:49], s[46:47]
.LBB38_1049:
	v_mov_b32_e32 v5, v3
.LBB38_1050:
	s_or_b64 exec, exec, s[48:49]
.LBB38_1051:
	s_or_b64 exec, exec, s[44:45]
	global_store_byte v[0:1], v5, off
.LBB38_1052:
	s_mov_b64 s[44:45], -1
.LBB38_1053:
	s_mov_b64 s[46:47], 0
.LBB38_1054:
	s_and_b64 vcc, exec, s[46:47]
	s_cbranch_vccz .LBB38_1095
; %bb.1055:
	s_cmp_gt_i32 s52, 22
	s_mov_b64 s[46:47], -1
	s_cbranch_scc0 .LBB38_1087
; %bb.1056:
	s_cmp_lt_i32 s52, 24
	s_mov_b64 s[44:45], -1
	s_cbranch_scc1 .LBB38_1076
; %bb.1057:
	s_cmp_gt_i32 s52, 24
	s_cbranch_scc0 .LBB38_1065
; %bb.1058:
	v_cndmask_b32_e64 v4, 0, 1.0, s[42:43]
	s_mov_b32 s44, 0x47800000
	v_cmp_gt_u32_e32 vcc, s44, v4
	v_mov_b32_e32 v5, 0x80
	s_and_saveexec_b64 s[44:45], vcc
	s_cbranch_execz .LBB38_1064
; %bb.1059:
	s_mov_b32 s46, 0x37ffffff
	v_cmp_lt_u32_e32 vcc, s46, v4
	s_mov_b64 s[46:47], 0
                                        ; implicit-def: $vgpr3
	s_and_saveexec_b64 s[48:49], vcc
	s_xor_b64 s[48:49], exec, s[48:49]
	s_cbranch_execz .LBB38_2147
; %bb.1060:
	v_bfe_u32 v3, v4, 21, 1
	s_mov_b32 s53, 0x88fffff
	v_add3_u32 v3, v4, v3, s53
	s_mov_b64 s[46:47], exec
	v_lshrrev_b32_e32 v3, 21, v3
                                        ; implicit-def: $vgpr4
	s_andn2_saveexec_b64 s[48:49], s[48:49]
	s_cbranch_execnz .LBB38_2148
.LBB38_1061:
	s_or_b64 exec, exec, s[48:49]
	v_mov_b32_e32 v5, 0
	s_and_saveexec_b64 s[48:49], s[46:47]
.LBB38_1062:
	v_mov_b32_e32 v5, v3
.LBB38_1063:
	s_or_b64 exec, exec, s[48:49]
.LBB38_1064:
	s_or_b64 exec, exec, s[44:45]
	s_mov_b64 s[44:45], 0
	global_store_byte v[0:1], v5, off
.LBB38_1065:
	s_and_b64 vcc, exec, s[44:45]
	s_cbranch_vccz .LBB38_1075
; %bb.1066:
	v_cndmask_b32_e64 v3, 0, 1.0, s[42:43]
	s_mov_b32 s44, 0x43f00000
	v_cmp_gt_u32_e32 vcc, s44, v3
                                        ; implicit-def: $vgpr4
	s_and_saveexec_b64 s[44:45], vcc
	s_xor_b64 s[44:45], exec, s[44:45]
	s_cbranch_execz .LBB38_1072
; %bb.1067:
	s_mov_b32 s46, 0x3c7fffff
	v_cmp_lt_u32_e32 vcc, s46, v3
                                        ; implicit-def: $vgpr4
	s_and_saveexec_b64 s[46:47], vcc
	s_xor_b64 s[46:47], exec, s[46:47]
; %bb.1068:
	v_bfe_u32 v4, v3, 20, 1
	s_mov_b32 s48, 0x407ffff
	v_add3_u32 v3, v3, v4, s48
	v_lshrrev_b32_e32 v4, 20, v3
	v_and_b32_e32 v3, 0xff00000, v3
	s_mov_b32 s48, 0x7f00000
	v_mov_b32_e32 v5, 0x7e
	v_cmp_ne_u32_e32 vcc, s48, v3
	v_cndmask_b32_e32 v4, v5, v4, vcc
                                        ; implicit-def: $vgpr3
; %bb.1069:
	s_andn2_saveexec_b64 s[46:47], s[46:47]
; %bb.1070:
	v_add_f32_e32 v4, 0x46800000, v3
; %bb.1071:
	s_or_b64 exec, exec, s[46:47]
                                        ; implicit-def: $vgpr3
.LBB38_1072:
	s_andn2_saveexec_b64 s[44:45], s[44:45]
; %bb.1073:
	s_mov_b32 s46, 0x7f800000
	v_mov_b32_e32 v4, 0x7e
	v_mov_b32_e32 v5, 0x7f
	v_cmp_lt_u32_e32 vcc, s46, v3
	v_cndmask_b32_e32 v4, v4, v5, vcc
; %bb.1074:
	s_or_b64 exec, exec, s[44:45]
	global_store_byte v[0:1], v4, off
.LBB38_1075:
	s_mov_b64 s[44:45], 0
.LBB38_1076:
	s_andn2_b64 vcc, exec, s[44:45]
	s_cbranch_vccnz .LBB38_1086
; %bb.1077:
	v_cndmask_b32_e64 v3, 0, 1.0, s[42:43]
	s_mov_b32 s44, 0x47800000
	v_cmp_gt_u32_e32 vcc, s44, v3
                                        ; implicit-def: $vgpr4
	s_and_saveexec_b64 s[44:45], vcc
	s_xor_b64 s[44:45], exec, s[44:45]
	s_cbranch_execz .LBB38_1083
; %bb.1078:
	s_mov_b32 s46, 0x387fffff
	v_cmp_lt_u32_e32 vcc, s46, v3
                                        ; implicit-def: $vgpr4
	s_and_saveexec_b64 s[46:47], vcc
	s_xor_b64 s[46:47], exec, s[46:47]
; %bb.1079:
	v_bfe_u32 v4, v3, 21, 1
	s_mov_b32 s48, 0x80fffff
	v_add3_u32 v3, v3, v4, s48
	v_lshrrev_b32_e32 v4, 21, v3
                                        ; implicit-def: $vgpr3
; %bb.1080:
	s_andn2_saveexec_b64 s[46:47], s[46:47]
; %bb.1081:
	v_add_f32_e32 v4, 0x43000000, v3
; %bb.1082:
	s_or_b64 exec, exec, s[46:47]
                                        ; implicit-def: $vgpr3
.LBB38_1083:
	s_andn2_saveexec_b64 s[44:45], s[44:45]
; %bb.1084:
	s_mov_b32 s46, 0x7f800000
	v_mov_b32_e32 v4, 0x7c
	v_mov_b32_e32 v5, 0x7f
	v_cmp_lt_u32_e32 vcc, s46, v3
	v_cndmask_b32_e32 v4, v4, v5, vcc
; %bb.1085:
	s_or_b64 exec, exec, s[44:45]
	global_store_byte v[0:1], v4, off
.LBB38_1086:
	s_mov_b64 s[46:47], 0
	s_mov_b64 s[44:45], -1
.LBB38_1087:
	s_andn2_b64 vcc, exec, s[46:47]
	s_cbranch_vccnz .LBB38_1095
; %bb.1088:
	s_cmp_gt_i32 s52, 14
	s_mov_b64 s[46:47], -1
	s_cbranch_scc0 .LBB38_1092
; %bb.1089:
	s_cmp_eq_u32 s52, 15
	s_mov_b64 s[0:1], -1
	s_cbranch_scc0 .LBB38_1091
; %bb.1090:
	v_cndmask_b32_e64 v3, 0, 1.0, s[42:43]
	v_bfe_u32 v4, v3, 16, 1
	s_movk_i32 s0, 0x7fff
	v_add3_u32 v3, v3, v4, s0
	global_store_short_d16_hi v[0:1], v3, off
	s_mov_b64 s[44:45], -1
	s_mov_b64 s[0:1], 0
.LBB38_1091:
	s_mov_b64 s[46:47], 0
.LBB38_1092:
	s_and_b64 vcc, exec, s[46:47]
	s_cbranch_vccz .LBB38_1095
; %bb.1093:
	s_cmp_eq_u32 s52, 11
	s_mov_b64 s[0:1], -1
	s_cbranch_scc0 .LBB38_1095
; %bb.1094:
	v_cndmask_b32_e64 v3, 0, 1, s[42:43]
	s_mov_b64 s[44:45], -1
	s_mov_b64 s[0:1], 0
	global_store_byte v[0:1], v3, off
.LBB38_1095:
	s_mov_b64 s[46:47], 0
.LBB38_1096:
	s_and_b64 vcc, exec, s[46:47]
	s_cbranch_vccz .LBB38_1135
; %bb.1097:
	s_and_b32 s46, 0xffff, s51
	s_cmp_lt_i32 s46, 5
	s_mov_b64 s[44:45], -1
	s_cbranch_scc1 .LBB38_1118
; %bb.1098:
	s_cmp_lt_i32 s46, 8
	s_cbranch_scc1 .LBB38_1108
; %bb.1099:
	s_cmp_lt_i32 s46, 9
	s_cbranch_scc1 .LBB38_1105
; %bb.1100:
	s_cmp_gt_i32 s46, 9
	s_cbranch_scc0 .LBB38_1102
; %bb.1101:
	v_cndmask_b32_e64 v3, 0, 1, s[42:43]
	v_cvt_f64_u32_e32 v[3:4], v3
	v_mov_b32_e32 v5, 0
	v_mov_b32_e32 v6, v5
	s_mov_b64 s[44:45], 0
	global_store_dwordx4 v[0:1], v[3:6], off
.LBB38_1102:
	s_andn2_b64 vcc, exec, s[44:45]
	s_cbranch_vccnz .LBB38_1104
; %bb.1103:
	v_cndmask_b32_e64 v3, 0, 1.0, s[42:43]
	v_mov_b32_e32 v4, 0
	global_store_dwordx2 v[0:1], v[3:4], off
.LBB38_1104:
	s_mov_b64 s[44:45], 0
.LBB38_1105:
	s_andn2_b64 vcc, exec, s[44:45]
	s_cbranch_vccnz .LBB38_1107
; %bb.1106:
	v_cndmask_b32_e64 v3, 0, 1.0, s[42:43]
	v_cvt_f16_f32_e32 v3, v3
	global_store_dword v[0:1], v3, off
.LBB38_1107:
	s_mov_b64 s[44:45], 0
.LBB38_1108:
	s_andn2_b64 vcc, exec, s[44:45]
	s_cbranch_vccnz .LBB38_1117
; %bb.1109:
	s_cmp_lt_i32 s46, 6
	s_mov_b64 s[44:45], -1
	s_cbranch_scc1 .LBB38_1115
; %bb.1110:
	s_cmp_gt_i32 s46, 6
	s_cbranch_scc0 .LBB38_1112
; %bb.1111:
	v_cndmask_b32_e64 v3, 0, 1, s[42:43]
	v_cvt_f64_u32_e32 v[3:4], v3
	s_mov_b64 s[44:45], 0
	global_store_dwordx2 v[0:1], v[3:4], off
.LBB38_1112:
	s_andn2_b64 vcc, exec, s[44:45]
	s_cbranch_vccnz .LBB38_1114
; %bb.1113:
	v_cndmask_b32_e64 v3, 0, 1.0, s[42:43]
	global_store_dword v[0:1], v3, off
.LBB38_1114:
	s_mov_b64 s[44:45], 0
.LBB38_1115:
	s_andn2_b64 vcc, exec, s[44:45]
	s_cbranch_vccnz .LBB38_1117
; %bb.1116:
	v_cndmask_b32_e64 v3, 0, 1.0, s[42:43]
	v_cvt_f16_f32_e32 v3, v3
	global_store_short v[0:1], v3, off
.LBB38_1117:
	s_mov_b64 s[44:45], 0
.LBB38_1118:
	s_andn2_b64 vcc, exec, s[44:45]
	s_cbranch_vccnz .LBB38_1134
; %bb.1119:
	s_cmp_lt_i32 s46, 2
	s_mov_b64 s[44:45], -1
	s_cbranch_scc1 .LBB38_1129
; %bb.1120:
	s_cmp_lt_i32 s46, 3
	s_cbranch_scc1 .LBB38_1126
; %bb.1121:
	s_cmp_gt_i32 s46, 3
	s_cbranch_scc0 .LBB38_1123
; %bb.1122:
	s_mov_b32 s44, 0
	v_cndmask_b32_e64 v3, 0, 1, s[42:43]
	v_mov_b32_e32 v4, s44
	s_mov_b64 s[44:45], 0
	global_store_dwordx2 v[0:1], v[3:4], off
.LBB38_1123:
	s_andn2_b64 vcc, exec, s[44:45]
	s_cbranch_vccnz .LBB38_1125
; %bb.1124:
	v_cndmask_b32_e64 v3, 0, 1, s[42:43]
	global_store_dword v[0:1], v3, off
.LBB38_1125:
	s_mov_b64 s[44:45], 0
.LBB38_1126:
	s_andn2_b64 vcc, exec, s[44:45]
	s_cbranch_vccnz .LBB38_1128
; %bb.1127:
	v_cndmask_b32_e64 v3, 0, 1, s[42:43]
	global_store_short v[0:1], v3, off
.LBB38_1128:
	s_mov_b64 s[44:45], 0
.LBB38_1129:
	s_andn2_b64 vcc, exec, s[44:45]
	s_cbranch_vccnz .LBB38_1134
; %bb.1130:
	s_mov_b64 s[44:45], -1
	s_cmp_gt_i32 s46, 0
	v_cndmask_b32_e64 v3, 0, 1, s[42:43]
	s_cbranch_scc0 .LBB38_1132
; %bb.1131:
	s_mov_b64 s[44:45], 0
	global_store_byte v[0:1], v3, off
.LBB38_1132:
	s_andn2_b64 vcc, exec, s[44:45]
	s_cbranch_vccnz .LBB38_1134
; %bb.1133:
	global_store_byte v[0:1], v3, off
.LBB38_1134:
	s_mov_b64 s[44:45], -1
.LBB38_1135:
	s_andn2_b64 vcc, exec, s[44:45]
	s_cbranch_vccnz .LBB38_1148
; %bb.1136:
	v_add_u32_e32 v2, 0x80, v2
	s_mov_b64 s[44:45], -1
.LBB38_1137:
	s_andn2_b64 s[42:43], s[30:31], exec
	s_and_b64 s[0:1], s[0:1], exec
	s_or_b64 s[42:43], s[42:43], s[0:1]
	s_andn2_b64 s[0:1], s[28:29], exec
	s_and_b64 s[40:41], s[40:41], exec
	s_or_b64 s[40:41], s[0:1], s[40:41]
	s_andn2_b64 s[0:1], s[26:27], exec
	s_and_b64 s[38:39], s[38:39], exec
	s_or_b64 s[0:1], s[0:1], s[38:39]
	s_orn2_b64 s[48:49], s[44:45], exec
.LBB38_1138:
	s_or_b64 exec, exec, s[36:37]
	s_mov_b64 s[44:45], 0
	s_mov_b64 s[38:39], 0
	;; [unrolled: 1-line block ×3, first 2 shown]
                                        ; implicit-def: $sgpr58
                                        ; implicit-def: $vgpr0_vgpr1
                                        ; implicit-def: $vgpr3
	s_and_saveexec_b64 s[36:37], s[48:49]
	s_cbranch_execz .LBB38_1218
; %bb.1139:
	v_cmp_gt_i32_e32 vcc, s50, v2
	s_mov_b64 s[48:49], 0
	s_mov_b64 s[50:51], s[0:1]
	;; [unrolled: 1-line block ×4, first 2 shown]
                                        ; implicit-def: $sgpr58
                                        ; implicit-def: $vgpr0_vgpr1
                                        ; implicit-def: $vgpr3
	s_and_saveexec_b64 s[38:39], vcc
	s_cbranch_execz .LBB38_1217
; %bb.1140:
	v_mul_lo_u32 v0, v2, s13
	v_mov_b32_e32 v1, s11
	s_and_b32 s58, s57, 0xff
	s_cmp_lt_i32 s58, 11
	s_waitcnt vmcnt(0)
	v_ashrrev_i32_e32 v3, 31, v0
	v_add_co_u32_e32 v0, vcc, s10, v0
	v_addc_co_u32_e32 v1, vcc, v1, v3, vcc
	s_cbranch_scc1 .LBB38_1147
; %bb.1141:
	s_and_b32 s52, 0xffff, s58
	s_cmp_gt_i32 s52, 25
	s_cbranch_scc0 .LBB38_1149
; %bb.1142:
	s_cmp_gt_i32 s52, 28
	s_cbranch_scc0 .LBB38_1150
; %bb.1143:
	;; [unrolled: 3-line block ×4, first 2 shown]
	s_cmp_eq_u32 s52, 46
	s_mov_b64 s[50:51], 0
	s_cbranch_scc0 .LBB38_1155
; %bb.1146:
	global_load_dword v3, v[0:1], off
	s_mov_b64 s[48:49], -1
	s_waitcnt vmcnt(0)
	v_lshlrev_b32_e32 v3, 16, v3
	v_cvt_i32_f32_e32 v3, v3
	s_branch .LBB38_1157
.LBB38_1147:
	s_mov_b64 s[50:51], -1
                                        ; implicit-def: $vgpr3
	s_mov_b64 s[44:45], s[0:1]
	s_branch .LBB38_1216
.LBB38_1148:
	s_mov_b64 s[44:45], 0
	s_branch .LBB38_894
.LBB38_1149:
	s_mov_b64 s[50:51], -1
	s_mov_b64 s[44:45], s[0:1]
                                        ; implicit-def: $vgpr3
	s_branch .LBB38_1184
.LBB38_1150:
	s_mov_b64 s[50:51], -1
	s_mov_b64 s[44:45], s[0:1]
                                        ; implicit-def: $vgpr3
	s_branch .LBB38_1167
.LBB38_1151:
	s_mov_b64 s[50:51], -1
	s_mov_b64 s[44:45], s[0:1]
                                        ; implicit-def: $vgpr3
	s_branch .LBB38_1162
.LBB38_1152:
	s_mov_b64 s[50:51], -1
	s_mov_b64 s[44:45], s[0:1]
	s_branch .LBB38_1156
.LBB38_1153:
	s_andn2_saveexec_b64 s[48:49], s[48:49]
	s_cbranch_execz .LBB38_1048
.LBB38_1154:
	v_add_f32_e32 v3, 0x46000000, v4
	v_and_b32_e32 v3, 0xff, v3
	v_cmp_ne_u32_e32 vcc, 0, v3
	s_andn2_b64 s[46:47], s[46:47], exec
	s_and_b64 s[54:55], vcc, exec
	s_or_b64 s[46:47], s[46:47], s[54:55]
	s_or_b64 exec, exec, s[48:49]
	v_mov_b32_e32 v5, 0
	s_and_saveexec_b64 s[48:49], s[46:47]
	s_cbranch_execnz .LBB38_1049
	s_branch .LBB38_1050
.LBB38_1155:
	s_mov_b64 s[44:45], -1
.LBB38_1156:
                                        ; implicit-def: $vgpr3
.LBB38_1157:
	s_and_b64 vcc, exec, s[50:51]
	s_cbranch_vccz .LBB38_1161
; %bb.1158:
	s_cmp_eq_u32 s52, 44
	s_cbranch_scc0 .LBB38_1160
; %bb.1159:
	global_load_ubyte v3, v[0:1], off
	s_mov_b64 s[44:45], 0
	s_mov_b64 s[48:49], -1
	s_waitcnt vmcnt(0)
	v_lshlrev_b32_e32 v4, 23, v3
	v_cvt_i32_f32_e32 v4, v4
	v_cmp_ne_u32_e32 vcc, 0, v3
	v_cndmask_b32_e32 v3, 0, v4, vcc
	s_branch .LBB38_1161
.LBB38_1160:
	s_mov_b64 s[44:45], -1
                                        ; implicit-def: $vgpr3
.LBB38_1161:
	s_mov_b64 s[50:51], 0
.LBB38_1162:
	s_and_b64 vcc, exec, s[50:51]
	s_cbranch_vccz .LBB38_1166
; %bb.1163:
	s_cmp_eq_u32 s52, 29
	s_cbranch_scc0 .LBB38_1165
; %bb.1164:
	global_load_dword v3, v[0:1], off
	s_mov_b64 s[44:45], 0
	s_mov_b64 s[48:49], -1
	s_branch .LBB38_1166
.LBB38_1165:
	s_mov_b64 s[44:45], -1
                                        ; implicit-def: $vgpr3
.LBB38_1166:
	s_mov_b64 s[50:51], 0
.LBB38_1167:
	s_and_b64 vcc, exec, s[50:51]
	s_cbranch_vccz .LBB38_1183
; %bb.1168:
	s_cmp_lt_i32 s52, 27
	s_cbranch_scc1 .LBB38_1171
; %bb.1169:
	s_cmp_gt_i32 s52, 27
	s_cbranch_scc0 .LBB38_1172
; %bb.1170:
	global_load_dword v3, v[0:1], off
	s_mov_b64 s[48:49], 0
	s_branch .LBB38_1173
.LBB38_1171:
	s_mov_b64 s[48:49], -1
                                        ; implicit-def: $vgpr3
	s_branch .LBB38_1176
.LBB38_1172:
	s_mov_b64 s[48:49], -1
                                        ; implicit-def: $vgpr3
.LBB38_1173:
	s_andn2_b64 vcc, exec, s[48:49]
	s_cbranch_vccnz .LBB38_1175
; %bb.1174:
	global_load_ushort v3, v[0:1], off
.LBB38_1175:
	s_mov_b64 s[48:49], 0
.LBB38_1176:
	s_andn2_b64 vcc, exec, s[48:49]
	s_cbranch_vccnz .LBB38_1182
; %bb.1177:
	global_load_ubyte v4, v[0:1], off
	s_movk_i32 s48, 0x7f
	s_mov_b64 s[50:51], 0
	s_waitcnt vmcnt(0)
	v_cmp_lt_i16_e32 vcc, s48, v4
	s_and_saveexec_b64 s[48:49], vcc
	s_xor_b64 s[48:49], exec, s[48:49]
	s_cbranch_execz .LBB38_1194
; %bb.1178:
	s_movk_i32 s50, 0x80
	v_cmp_ne_u16_e32 vcc, s50, v4
	s_and_b64 s[50:51], vcc, exec
	s_andn2_saveexec_b64 s[48:49], s[48:49]
	s_cbranch_execnz .LBB38_1195
.LBB38_1179:
	s_or_b64 exec, exec, s[48:49]
	v_mov_b32_e32 v3, 0
	s_and_saveexec_b64 s[48:49], s[50:51]
	s_cbranch_execz .LBB38_1181
.LBB38_1180:
	v_lshlrev_b32_e32 v3, 24, v4
	v_and_b32_e32 v4, 0xffff, v4
	v_and_b32_e32 v5, 7, v4
	v_ffbh_u32_e32 v7, v5
	v_min_u32_e32 v7, 32, v7
	v_subrev_u32_e32 v8, 28, v7
	v_bfe_u32 v6, v4, 3, 4
	v_lshlrev_b32_e32 v4, v8, v4
	v_sub_u32_e32 v7, 29, v7
	v_and_b32_e32 v4, 7, v4
	v_cmp_eq_u32_e32 vcc, 0, v6
	v_cndmask_b32_e32 v6, v6, v7, vcc
	v_cndmask_b32_e32 v4, v5, v4, vcc
	v_mov_b32_e32 v5, 0x3b800000
	v_lshlrev_b32_e32 v4, 20, v4
	v_and_b32_e32 v3, 0x80000000, v3
	v_lshl_add_u32 v5, v6, 23, v5
	v_or3_b32 v3, v3, v5, v4
	v_cvt_i32_f32_e32 v3, v3
.LBB38_1181:
	s_or_b64 exec, exec, s[48:49]
.LBB38_1182:
	s_mov_b64 s[48:49], -1
.LBB38_1183:
	s_mov_b64 s[50:51], 0
.LBB38_1184:
	s_and_b64 vcc, exec, s[50:51]
	s_cbranch_vccz .LBB38_1215
; %bb.1185:
	s_cmp_gt_i32 s52, 22
	s_cbranch_scc0 .LBB38_1193
; %bb.1186:
	s_cmp_lt_i32 s52, 24
	s_cbranch_scc1 .LBB38_1196
; %bb.1187:
	s_cmp_gt_i32 s52, 24
	s_cbranch_scc0 .LBB38_1197
; %bb.1188:
	global_load_ubyte v4, v[0:1], off
	s_movk_i32 s46, 0x7f
	s_mov_b64 s[48:49], 0
	s_waitcnt vmcnt(0)
	v_cmp_lt_i16_e32 vcc, s46, v4
	s_and_saveexec_b64 s[46:47], vcc
	s_xor_b64 s[46:47], exec, s[46:47]
	s_cbranch_execz .LBB38_1209
; %bb.1189:
	s_movk_i32 s48, 0x80
	v_cmp_ne_u16_e32 vcc, s48, v4
	s_and_b64 s[48:49], vcc, exec
	s_andn2_saveexec_b64 s[46:47], s[46:47]
	s_cbranch_execnz .LBB38_1210
.LBB38_1190:
	s_or_b64 exec, exec, s[46:47]
	v_mov_b32_e32 v3, 0
	s_and_saveexec_b64 s[46:47], s[48:49]
	s_cbranch_execz .LBB38_1192
.LBB38_1191:
	v_lshlrev_b32_e32 v3, 24, v4
	v_and_b32_e32 v4, 0xffff, v4
	v_and_b32_e32 v5, 3, v4
	v_ffbh_u32_e32 v7, v5
	v_min_u32_e32 v7, 32, v7
	v_subrev_u32_e32 v8, 29, v7
	v_bfe_u32 v6, v4, 2, 5
	v_lshlrev_b32_e32 v4, v8, v4
	v_sub_u32_e32 v7, 30, v7
	v_and_b32_e32 v4, 3, v4
	v_cmp_eq_u32_e32 vcc, 0, v6
	v_cndmask_b32_e32 v6, v6, v7, vcc
	v_cndmask_b32_e32 v4, v5, v4, vcc
	v_mov_b32_e32 v5, 0x37800000
	v_lshlrev_b32_e32 v4, 21, v4
	v_and_b32_e32 v3, 0x80000000, v3
	v_lshl_add_u32 v5, v6, 23, v5
	v_or3_b32 v3, v3, v5, v4
	v_cvt_i32_f32_e32 v3, v3
.LBB38_1192:
	s_or_b64 exec, exec, s[46:47]
	s_mov_b64 s[46:47], 0
	s_branch .LBB38_1198
.LBB38_1193:
	s_mov_b64 s[46:47], -1
                                        ; implicit-def: $vgpr3
	s_branch .LBB38_1204
.LBB38_1194:
	s_andn2_saveexec_b64 s[48:49], s[48:49]
	s_cbranch_execz .LBB38_1179
.LBB38_1195:
	v_cmp_ne_u16_e32 vcc, 0, v4
	s_andn2_b64 s[50:51], s[50:51], exec
	s_and_b64 s[54:55], vcc, exec
	s_or_b64 s[50:51], s[50:51], s[54:55]
	s_or_b64 exec, exec, s[48:49]
	v_mov_b32_e32 v3, 0
	s_and_saveexec_b64 s[48:49], s[50:51]
	s_cbranch_execnz .LBB38_1180
	s_branch .LBB38_1181
.LBB38_1196:
	s_mov_b64 s[46:47], -1
                                        ; implicit-def: $vgpr3
	s_branch .LBB38_1201
.LBB38_1197:
	s_mov_b64 s[46:47], -1
                                        ; implicit-def: $vgpr3
.LBB38_1198:
	s_and_b64 vcc, exec, s[46:47]
	s_cbranch_vccz .LBB38_1200
; %bb.1199:
	global_load_ubyte v3, v[0:1], off
	s_mov_b32 s46, 0x7f800000
	s_waitcnt vmcnt(0)
	v_lshlrev_b32_e32 v3, 24, v3
	v_and_b32_e32 v4, 0x7f000000, v3
	v_ffbh_u32_e32 v5, v4
	v_min_u32_e32 v5, 32, v5
	v_sub_u32_e64 v5, v5, 4 clamp
	v_lshlrev_b32_e32 v7, v5, v4
	v_lshlrev_b32_e32 v5, 23, v5
	v_lshrrev_b32_e32 v7, 4, v7
	v_add_u32_e32 v6, 0x1000000, v4
	v_sub_u32_e32 v5, v7, v5
	v_ashrrev_i32_e32 v6, 8, v6
	v_add_u32_e32 v5, 0x3c000000, v5
	v_and_or_b32 v5, v6, s46, v5
	v_cmp_ne_u32_e32 vcc, 0, v4
	v_cndmask_b32_e32 v4, 0, v5, vcc
	s_brev_b32 s46, 1
	v_and_or_b32 v3, v3, s46, v4
	v_cvt_i32_f32_e32 v3, v3
.LBB38_1200:
	s_mov_b64 s[46:47], 0
.LBB38_1201:
	s_andn2_b64 vcc, exec, s[46:47]
	s_cbranch_vccnz .LBB38_1203
; %bb.1202:
	global_load_ubyte v3, v[0:1], off
	s_movk_i32 s46, 0x7f00
	s_brev_b32 s47, 16
	s_waitcnt vmcnt(0)
	v_lshlrev_b16_e32 v4, 8, v3
	v_lshlrev_b32_e32 v3, 25, v3
	v_lshrrev_b32_e32 v5, 4, v3
	v_and_or_b32 v6, v4, s46, 0.5
	v_or_b32_e32 v5, 0x70000000, v5
	v_add_f32_e32 v6, -0.5, v6
	v_mul_f32_e32 v5, 0x7800000, v5
	v_cmp_gt_u32_e32 vcc, s47, v3
	v_bfe_i32 v4, v4, 0, 16
	v_cndmask_b32_e32 v3, v5, v6, vcc
	s_brev_b32 s46, 1
	v_and_or_b32 v3, v4, s46, v3
	v_cvt_i32_f32_e32 v3, v3
.LBB38_1203:
	s_mov_b64 s[46:47], 0
	s_mov_b64 s[48:49], -1
.LBB38_1204:
	s_andn2_b64 vcc, exec, s[46:47]
	s_mov_b64 s[46:47], 0
	s_cbranch_vccnz .LBB38_1215
; %bb.1205:
	s_cmp_gt_i32 s52, 14
	s_cbranch_scc0 .LBB38_1208
; %bb.1206:
	s_cmp_eq_u32 s52, 15
	s_cbranch_scc0 .LBB38_1211
; %bb.1207:
	global_load_ushort v3, v[0:1], off
	s_mov_b64 s[44:45], 0
	s_mov_b64 s[48:49], -1
	s_waitcnt vmcnt(0)
	v_lshlrev_b32_e32 v3, 16, v3
	v_cvt_i32_f32_e32 v3, v3
	s_branch .LBB38_1212
.LBB38_1208:
	s_mov_b64 s[50:51], -1
                                        ; implicit-def: $vgpr3
	s_branch .LBB38_1213
.LBB38_1209:
	s_andn2_saveexec_b64 s[46:47], s[46:47]
	s_cbranch_execz .LBB38_1190
.LBB38_1210:
	v_cmp_ne_u16_e32 vcc, 0, v4
	s_andn2_b64 s[48:49], s[48:49], exec
	s_and_b64 s[50:51], vcc, exec
	s_or_b64 s[48:49], s[48:49], s[50:51]
	s_or_b64 exec, exec, s[46:47]
	v_mov_b32_e32 v3, 0
	s_and_saveexec_b64 s[46:47], s[48:49]
	s_cbranch_execnz .LBB38_1191
	s_branch .LBB38_1192
.LBB38_1211:
	s_mov_b64 s[44:45], -1
                                        ; implicit-def: $vgpr3
.LBB38_1212:
	s_mov_b64 s[50:51], 0
.LBB38_1213:
	s_and_b64 vcc, exec, s[50:51]
	s_cbranch_vccz .LBB38_1215
; %bb.1214:
	s_cmp_lg_u32 s52, 11
	s_cselect_b64 s[50:51], -1, 0
	s_andn2_b64 s[44:45], s[44:45], exec
	s_and_b64 s[50:51], s[50:51], exec
	s_mov_b64 s[46:47], -1
	s_or_b64 s[44:45], s[44:45], s[50:51]
.LBB38_1215:
	s_mov_b64 s[50:51], 0
.LBB38_1216:
	s_and_b64 s[54:55], s[48:49], exec
	s_and_b64 s[48:49], s[46:47], exec
	s_andn2_b64 s[46:47], s[0:1], exec
	s_and_b64 s[44:45], s[44:45], exec
	s_and_b64 s[52:53], s[50:51], exec
	s_or_b64 s[50:51], s[46:47], s[44:45]
.LBB38_1217:
	s_or_b64 exec, exec, s[38:39]
	s_and_b64 s[44:45], s[48:49], exec
	s_andn2_b64 s[0:1], s[0:1], exec
	s_and_b64 s[48:49], s[50:51], exec
	s_and_b64 s[46:47], s[54:55], exec
	;; [unrolled: 1-line block ×3, first 2 shown]
	s_or_b64 s[0:1], s[0:1], s[48:49]
.LBB38_1218:
	s_or_b64 exec, exec, s[36:37]
	s_andn2_b64 s[30:31], s[30:31], exec
	s_and_b64 s[36:37], s[42:43], exec
	s_or_b64 s[30:31], s[30:31], s[36:37]
	s_andn2_b64 s[28:29], s[28:29], exec
	s_and_b64 s[36:37], s[40:41], exec
	s_andn2_b64 s[26:27], s[26:27], exec
	s_and_b64 s[0:1], s[0:1], exec
	s_or_b64 s[28:29], s[28:29], s[36:37]
	s_and_b64 s[40:41], s[46:47], exec
	s_and_b64 s[38:39], s[38:39], exec
	;; [unrolled: 1-line block ×3, first 2 shown]
	s_or_b64 s[26:27], s[26:27], s[0:1]
.LBB38_1219:
	s_or_b64 exec, exec, s[34:35]
	s_andn2_b64 s[0:1], s[18:19], exec
	s_and_b64 s[18:19], s[30:31], exec
	s_or_b64 s[18:19], s[0:1], s[18:19]
	s_andn2_b64 s[0:1], s[20:21], exec
	s_and_b64 s[20:21], s[28:29], exec
	s_or_b64 s[20:21], s[0:1], s[20:21]
	s_andn2_b64 s[0:1], s[22:23], exec
	s_and_b64 s[22:23], s[26:27], exec
	s_and_b64 s[30:31], s[40:41], exec
	;; [unrolled: 1-line block ×4, first 2 shown]
	s_or_b64 s[22:23], s[0:1], s[22:23]
	s_or_b64 exec, exec, s[24:25]
	s_mov_b64 s[24:25], 0
	s_and_saveexec_b64 s[0:1], s[22:23]
	s_cbranch_execz .LBB38_385
.LBB38_1220:
	s_mov_b64 s[24:25], exec
	s_andn2_b64 s[28:29], s[28:29], exec
	s_trap 2
	s_or_b64 exec, exec, s[0:1]
	s_and_saveexec_b64 s[0:1], s[28:29]
	s_xor_b64 s[0:1], exec, s[0:1]
	s_cbranch_execnz .LBB38_386
.LBB38_1221:
	s_or_b64 exec, exec, s[0:1]
	s_and_saveexec_b64 s[0:1], s[34:35]
	s_cbranch_execz .LBB38_1267
.LBB38_1222:
	s_sext_i32_i16 s22, s58
	s_cmp_lt_i32 s22, 5
	s_cbranch_scc1 .LBB38_1227
; %bb.1223:
	s_cmp_lt_i32 s22, 8
	s_cbranch_scc1 .LBB38_1228
; %bb.1224:
	;; [unrolled: 3-line block ×3, first 2 shown]
	s_cmp_gt_i32 s22, 9
	s_cbranch_scc0 .LBB38_1230
; %bb.1226:
	global_load_dwordx2 v[3:4], v[0:1], off
	s_mov_b64 s[22:23], 0
	s_waitcnt vmcnt(0)
	v_cvt_i32_f64_e32 v3, v[3:4]
	s_branch .LBB38_1231
.LBB38_1227:
                                        ; implicit-def: $vgpr3
	s_branch .LBB38_1248
.LBB38_1228:
                                        ; implicit-def: $vgpr3
	s_branch .LBB38_1237
.LBB38_1229:
	s_mov_b64 s[22:23], -1
                                        ; implicit-def: $vgpr3
	s_branch .LBB38_1234
.LBB38_1230:
	s_mov_b64 s[22:23], -1
                                        ; implicit-def: $vgpr3
.LBB38_1231:
	s_andn2_b64 vcc, exec, s[22:23]
	s_cbranch_vccnz .LBB38_1233
; %bb.1232:
	global_load_dword v3, v[0:1], off
	s_waitcnt vmcnt(0)
	v_cvt_i32_f32_e32 v3, v3
.LBB38_1233:
	s_mov_b64 s[22:23], 0
.LBB38_1234:
	s_andn2_b64 vcc, exec, s[22:23]
	s_cbranch_vccnz .LBB38_1236
; %bb.1235:
	global_load_dword v3, v[0:1], off
	s_waitcnt vmcnt(0)
	v_cvt_f32_f16_e32 v3, v3
	v_cvt_i32_f32_e32 v3, v3
.LBB38_1236:
	s_cbranch_execnz .LBB38_1247
.LBB38_1237:
	s_sext_i32_i16 s22, s58
	s_cmp_lt_i32 s22, 6
	s_cbranch_scc1 .LBB38_1240
; %bb.1238:
	s_cmp_gt_i32 s22, 6
	s_cbranch_scc0 .LBB38_1241
; %bb.1239:
	global_load_dwordx2 v[3:4], v[0:1], off
	s_mov_b64 s[22:23], 0
	s_waitcnt vmcnt(0)
	v_cvt_i32_f64_e32 v3, v[3:4]
	s_branch .LBB38_1242
.LBB38_1240:
	s_mov_b64 s[22:23], -1
                                        ; implicit-def: $vgpr3
	s_branch .LBB38_1245
.LBB38_1241:
	s_mov_b64 s[22:23], -1
                                        ; implicit-def: $vgpr3
.LBB38_1242:
	s_andn2_b64 vcc, exec, s[22:23]
	s_cbranch_vccnz .LBB38_1244
; %bb.1243:
	global_load_dword v3, v[0:1], off
	s_waitcnt vmcnt(0)
	v_cvt_i32_f32_e32 v3, v3
.LBB38_1244:
	s_mov_b64 s[22:23], 0
.LBB38_1245:
	s_andn2_b64 vcc, exec, s[22:23]
	s_cbranch_vccnz .LBB38_1247
; %bb.1246:
	global_load_ushort v3, v[0:1], off
	s_waitcnt vmcnt(0)
	v_cvt_f32_f16_e32 v3, v3
	v_cvt_i32_f32_e32 v3, v3
.LBB38_1247:
	s_cbranch_execnz .LBB38_1266
.LBB38_1248:
	s_sext_i32_i16 s22, s58
	s_cmp_lt_i32 s22, 2
	s_cbranch_scc1 .LBB38_1252
; %bb.1249:
	s_cmp_lt_i32 s22, 3
	s_cbranch_scc1 .LBB38_1253
; %bb.1250:
	s_cmp_gt_i32 s22, 3
	s_cbranch_scc0 .LBB38_1254
; %bb.1251:
	global_load_dword v3, v[0:1], off
	s_mov_b64 s[22:23], 0
	s_branch .LBB38_1255
.LBB38_1252:
                                        ; implicit-def: $vgpr3
	s_branch .LBB38_1261
.LBB38_1253:
	s_mov_b64 s[22:23], -1
                                        ; implicit-def: $vgpr3
	s_branch .LBB38_1258
.LBB38_1254:
	s_mov_b64 s[22:23], -1
                                        ; implicit-def: $vgpr3
.LBB38_1255:
	s_andn2_b64 vcc, exec, s[22:23]
	s_cbranch_vccnz .LBB38_1257
; %bb.1256:
	global_load_dword v3, v[0:1], off
.LBB38_1257:
	s_mov_b64 s[22:23], 0
.LBB38_1258:
	s_andn2_b64 vcc, exec, s[22:23]
	s_cbranch_vccnz .LBB38_1260
; %bb.1259:
	global_load_sshort v3, v[0:1], off
.LBB38_1260:
	s_cbranch_execnz .LBB38_1266
.LBB38_1261:
	s_sext_i32_i16 s22, s58
	s_cmp_gt_i32 s22, 0
	s_cbranch_scc0 .LBB38_1263
; %bb.1262:
	global_load_sbyte v3, v[0:1], off
	s_mov_b64 s[22:23], 0
	s_branch .LBB38_1264
.LBB38_1263:
	s_mov_b64 s[22:23], -1
                                        ; implicit-def: $vgpr3
.LBB38_1264:
	s_andn2_b64 vcc, exec, s[22:23]
	s_cbranch_vccnz .LBB38_1266
; %bb.1265:
	global_load_ubyte v3, v[0:1], off
.LBB38_1266:
	s_or_b64 s[30:31], s[30:31], exec
.LBB38_1267:
	s_or_b64 exec, exec, s[0:1]
	s_mov_b64 s[28:29], 0
	s_mov_b64 s[34:35], 0
	;; [unrolled: 1-line block ×3, first 2 shown]
                                        ; implicit-def: $sgpr36
                                        ; implicit-def: $vgpr0_vgpr1
                                        ; implicit-def: $vgpr4
	s_and_saveexec_b64 s[0:1], s[30:31]
	s_cbranch_execz .LBB38_1275
; %bb.1268:
	v_mul_lo_u32 v0, v2, s14
	v_mov_b32_e32 v1, s3
	s_and_b32 s36, s56, 0xff
	s_cmp_lt_i32 s36, 11
	s_waitcnt vmcnt(0)
	v_ashrrev_i32_e32 v4, 31, v0
	v_add_co_u32_e32 v0, vcc, s2, v0
	v_addc_co_u32_e32 v1, vcc, v1, v4, vcc
	s_cbranch_scc1 .LBB38_1278
; %bb.1269:
	s_and_b32 s34, 0xffff, s36
	s_cmp_gt_i32 s34, 25
	s_cbranch_scc0 .LBB38_1279
; %bb.1270:
	s_cmp_gt_i32 s34, 28
	s_cbranch_scc0 .LBB38_1280
; %bb.1271:
	;; [unrolled: 3-line block ×4, first 2 shown]
	s_cmp_eq_u32 s34, 46
	s_mov_b64 s[30:31], 0
	s_cbranch_scc0 .LBB38_1283
; %bb.1274:
	global_load_dword v4, v[0:1], off
	s_mov_b64 s[22:23], 0
	s_mov_b64 s[26:27], -1
	s_waitcnt vmcnt(0)
	v_lshlrev_b32_e32 v4, 16, v4
	v_cvt_i32_f32_e32 v4, v4
	s_branch .LBB38_1285
.LBB38_1275:
	s_or_b64 exec, exec, s[0:1]
	s_and_saveexec_b64 s[0:1], s[20:21]
	s_cbranch_execnz .LBB38_1344
.LBB38_1276:
	s_or_b64 exec, exec, s[0:1]
	s_and_saveexec_b64 s[0:1], s[28:29]
	s_xor_b64 s[0:1], exec, s[0:1]
	s_cbranch_execz .LBB38_1345
.LBB38_1277:
	global_load_ubyte v4, v[0:1], off
	s_or_b64 s[26:27], s[26:27], exec
	s_waitcnt vmcnt(0)
	v_cmp_ne_u16_e32 vcc, 0, v4
	v_cndmask_b32_e64 v4, 0, 1, vcc
	s_or_b64 exec, exec, s[0:1]
	s_and_saveexec_b64 s[0:1], s[34:35]
	s_cbranch_execz .LBB38_1391
	s_branch .LBB38_1346
.LBB38_1278:
	s_mov_b64 s[30:31], -1
                                        ; implicit-def: $vgpr4
	s_mov_b64 s[22:23], s[20:21]
	s_branch .LBB38_1343
.LBB38_1279:
	s_mov_b64 s[22:23], s[20:21]
                                        ; implicit-def: $vgpr4
	s_cbranch_execnz .LBB38_1312
	s_branch .LBB38_1342
.LBB38_1280:
	s_mov_b64 s[30:31], -1
	s_mov_b64 s[22:23], s[20:21]
                                        ; implicit-def: $vgpr4
	s_branch .LBB38_1295
.LBB38_1281:
	s_mov_b64 s[30:31], -1
	s_mov_b64 s[22:23], s[20:21]
                                        ; implicit-def: $vgpr4
	s_branch .LBB38_1290
.LBB38_1282:
	s_mov_b64 s[30:31], -1
	s_mov_b64 s[22:23], s[20:21]
	s_branch .LBB38_1284
.LBB38_1283:
	s_mov_b64 s[22:23], -1
.LBB38_1284:
                                        ; implicit-def: $vgpr4
.LBB38_1285:
	s_and_b64 vcc, exec, s[30:31]
	s_cbranch_vccz .LBB38_1289
; %bb.1286:
	s_cmp_eq_u32 s34, 44
	s_cbranch_scc0 .LBB38_1288
; %bb.1287:
	global_load_ubyte v4, v[0:1], off
	s_mov_b64 s[22:23], 0
	s_mov_b64 s[26:27], -1
	s_waitcnt vmcnt(0)
	v_lshlrev_b32_e32 v5, 23, v4
	v_cvt_i32_f32_e32 v5, v5
	v_cmp_ne_u32_e32 vcc, 0, v4
	v_cndmask_b32_e32 v4, 0, v5, vcc
	s_branch .LBB38_1289
.LBB38_1288:
	s_mov_b64 s[22:23], -1
                                        ; implicit-def: $vgpr4
.LBB38_1289:
	s_mov_b64 s[30:31], 0
.LBB38_1290:
	s_and_b64 vcc, exec, s[30:31]
	s_cbranch_vccz .LBB38_1294
; %bb.1291:
	s_cmp_eq_u32 s34, 29
	s_cbranch_scc0 .LBB38_1293
; %bb.1292:
	global_load_dword v4, v[0:1], off
	s_mov_b64 s[22:23], 0
	s_mov_b64 s[26:27], -1
	s_branch .LBB38_1294
.LBB38_1293:
	s_mov_b64 s[22:23], -1
                                        ; implicit-def: $vgpr4
.LBB38_1294:
	s_mov_b64 s[30:31], 0
.LBB38_1295:
	s_and_b64 vcc, exec, s[30:31]
	s_cbranch_vccz .LBB38_1311
; %bb.1296:
	s_cmp_lt_i32 s34, 27
	s_cbranch_scc1 .LBB38_1299
; %bb.1297:
	s_cmp_gt_i32 s34, 27
	s_cbranch_scc0 .LBB38_1300
; %bb.1298:
	global_load_dword v4, v[0:1], off
	s_mov_b64 s[26:27], 0
	s_branch .LBB38_1301
.LBB38_1299:
	s_mov_b64 s[26:27], -1
                                        ; implicit-def: $vgpr4
	s_branch .LBB38_1304
.LBB38_1300:
	s_mov_b64 s[26:27], -1
                                        ; implicit-def: $vgpr4
.LBB38_1301:
	s_andn2_b64 vcc, exec, s[26:27]
	s_cbranch_vccnz .LBB38_1303
; %bb.1302:
	global_load_ushort v4, v[0:1], off
.LBB38_1303:
	s_mov_b64 s[26:27], 0
.LBB38_1304:
	s_andn2_b64 vcc, exec, s[26:27]
	s_cbranch_vccnz .LBB38_1310
; %bb.1305:
	global_load_ubyte v5, v[0:1], off
	s_movk_i32 s26, 0x7f
	s_mov_b64 s[30:31], 0
	s_waitcnt vmcnt(0)
	v_cmp_lt_i16_e32 vcc, s26, v5
	s_and_saveexec_b64 s[26:27], vcc
	s_xor_b64 s[26:27], exec, s[26:27]
	s_cbranch_execz .LBB38_1321
; %bb.1306:
	s_movk_i32 s30, 0x80
	v_cmp_ne_u16_e32 vcc, s30, v5
	s_and_b64 s[30:31], vcc, exec
	s_andn2_saveexec_b64 s[26:27], s[26:27]
	s_cbranch_execnz .LBB38_1322
.LBB38_1307:
	s_or_b64 exec, exec, s[26:27]
	v_mov_b32_e32 v4, 0
	s_and_saveexec_b64 s[26:27], s[30:31]
	s_cbranch_execz .LBB38_1309
.LBB38_1308:
	v_lshlrev_b32_e32 v4, 24, v5
	v_and_b32_e32 v5, 0xffff, v5
	v_and_b32_e32 v6, 7, v5
	v_ffbh_u32_e32 v8, v6
	v_min_u32_e32 v8, 32, v8
	v_subrev_u32_e32 v9, 28, v8
	v_bfe_u32 v7, v5, 3, 4
	v_lshlrev_b32_e32 v5, v9, v5
	v_sub_u32_e32 v8, 29, v8
	v_and_b32_e32 v5, 7, v5
	v_cmp_eq_u32_e32 vcc, 0, v7
	v_cndmask_b32_e32 v7, v7, v8, vcc
	v_cndmask_b32_e32 v5, v6, v5, vcc
	v_mov_b32_e32 v6, 0x3b800000
	v_lshlrev_b32_e32 v5, 20, v5
	v_and_b32_e32 v4, 0x80000000, v4
	v_lshl_add_u32 v6, v7, 23, v6
	v_or3_b32 v4, v4, v6, v5
	v_cvt_i32_f32_e32 v4, v4
.LBB38_1309:
	s_or_b64 exec, exec, s[26:27]
.LBB38_1310:
	s_mov_b64 s[26:27], -1
.LBB38_1311:
	s_branch .LBB38_1342
.LBB38_1312:
	s_cmp_gt_i32 s34, 22
	s_cbranch_scc0 .LBB38_1320
; %bb.1313:
	s_cmp_lt_i32 s34, 24
	s_cbranch_scc1 .LBB38_1323
; %bb.1314:
	s_cmp_gt_i32 s34, 24
	s_cbranch_scc0 .LBB38_1324
; %bb.1315:
	global_load_ubyte v5, v[0:1], off
	s_movk_i32 s26, 0x7f
	s_waitcnt vmcnt(0)
	v_cmp_lt_i16_e32 vcc, s26, v5
	s_and_saveexec_b64 s[26:27], vcc
	s_xor_b64 s[26:27], exec, s[26:27]
	s_cbranch_execz .LBB38_1336
; %bb.1316:
	s_movk_i32 s28, 0x80
	v_cmp_ne_u16_e32 vcc, s28, v5
	s_and_b64 s[28:29], vcc, exec
	s_andn2_saveexec_b64 s[26:27], s[26:27]
	s_cbranch_execnz .LBB38_1337
.LBB38_1317:
	s_or_b64 exec, exec, s[26:27]
	v_mov_b32_e32 v4, 0
	s_and_saveexec_b64 s[26:27], s[28:29]
	s_cbranch_execz .LBB38_1319
.LBB38_1318:
	v_lshlrev_b32_e32 v4, 24, v5
	v_and_b32_e32 v5, 0xffff, v5
	v_and_b32_e32 v6, 3, v5
	v_ffbh_u32_e32 v8, v6
	v_min_u32_e32 v8, 32, v8
	v_subrev_u32_e32 v9, 29, v8
	v_bfe_u32 v7, v5, 2, 5
	v_lshlrev_b32_e32 v5, v9, v5
	v_sub_u32_e32 v8, 30, v8
	v_and_b32_e32 v5, 3, v5
	v_cmp_eq_u32_e32 vcc, 0, v7
	v_cndmask_b32_e32 v7, v7, v8, vcc
	v_cndmask_b32_e32 v5, v6, v5, vcc
	v_mov_b32_e32 v6, 0x37800000
	v_lshlrev_b32_e32 v5, 21, v5
	v_and_b32_e32 v4, 0x80000000, v4
	v_lshl_add_u32 v6, v7, 23, v6
	v_or3_b32 v4, v4, v6, v5
	v_cvt_i32_f32_e32 v4, v4
.LBB38_1319:
	s_or_b64 exec, exec, s[26:27]
	s_mov_b64 s[26:27], 0
	s_branch .LBB38_1325
.LBB38_1320:
	s_mov_b64 s[28:29], -1
                                        ; implicit-def: $vgpr4
	s_branch .LBB38_1331
.LBB38_1321:
	s_andn2_saveexec_b64 s[26:27], s[26:27]
	s_cbranch_execz .LBB38_1307
.LBB38_1322:
	v_cmp_ne_u16_e32 vcc, 0, v5
	s_andn2_b64 s[30:31], s[30:31], exec
	s_and_b64 s[38:39], vcc, exec
	s_or_b64 s[30:31], s[30:31], s[38:39]
	s_or_b64 exec, exec, s[26:27]
	v_mov_b32_e32 v4, 0
	s_and_saveexec_b64 s[26:27], s[30:31]
	s_cbranch_execnz .LBB38_1308
	s_branch .LBB38_1309
.LBB38_1323:
	s_mov_b64 s[26:27], -1
                                        ; implicit-def: $vgpr4
	s_branch .LBB38_1328
.LBB38_1324:
	s_mov_b64 s[26:27], -1
                                        ; implicit-def: $vgpr4
.LBB38_1325:
	s_and_b64 vcc, exec, s[26:27]
	s_cbranch_vccz .LBB38_1327
; %bb.1326:
	global_load_ubyte v4, v[0:1], off
	s_mov_b32 s26, 0x7f800000
	s_waitcnt vmcnt(0)
	v_lshlrev_b32_e32 v4, 24, v4
	v_and_b32_e32 v5, 0x7f000000, v4
	v_ffbh_u32_e32 v6, v5
	v_min_u32_e32 v6, 32, v6
	v_sub_u32_e64 v6, v6, 4 clamp
	v_lshlrev_b32_e32 v8, v6, v5
	v_lshlrev_b32_e32 v6, 23, v6
	v_lshrrev_b32_e32 v8, 4, v8
	v_add_u32_e32 v7, 0x1000000, v5
	v_sub_u32_e32 v6, v8, v6
	v_ashrrev_i32_e32 v7, 8, v7
	v_add_u32_e32 v6, 0x3c000000, v6
	v_and_or_b32 v6, v7, s26, v6
	v_cmp_ne_u32_e32 vcc, 0, v5
	v_cndmask_b32_e32 v5, 0, v6, vcc
	s_brev_b32 s26, 1
	v_and_or_b32 v4, v4, s26, v5
	v_cvt_i32_f32_e32 v4, v4
.LBB38_1327:
	s_mov_b64 s[26:27], 0
.LBB38_1328:
	s_andn2_b64 vcc, exec, s[26:27]
	s_cbranch_vccnz .LBB38_1330
; %bb.1329:
	global_load_ubyte v4, v[0:1], off
	s_movk_i32 s26, 0x7f00
	s_brev_b32 s27, 16
	s_waitcnt vmcnt(0)
	v_lshlrev_b16_e32 v5, 8, v4
	v_lshlrev_b32_e32 v4, 25, v4
	v_lshrrev_b32_e32 v6, 4, v4
	v_and_or_b32 v7, v5, s26, 0.5
	v_or_b32_e32 v6, 0x70000000, v6
	v_add_f32_e32 v7, -0.5, v7
	v_mul_f32_e32 v6, 0x7800000, v6
	v_cmp_gt_u32_e32 vcc, s27, v4
	v_bfe_i32 v5, v5, 0, 16
	v_cndmask_b32_e32 v4, v6, v7, vcc
	s_brev_b32 s26, 1
	v_and_or_b32 v4, v5, s26, v4
	v_cvt_i32_f32_e32 v4, v4
.LBB38_1330:
	s_mov_b64 s[28:29], 0
	s_mov_b64 s[26:27], -1
.LBB38_1331:
	s_andn2_b64 vcc, exec, s[28:29]
	s_mov_b64 s[28:29], 0
	s_cbranch_vccnz .LBB38_1342
; %bb.1332:
	s_cmp_gt_i32 s34, 14
	s_cbranch_scc0 .LBB38_1335
; %bb.1333:
	s_cmp_eq_u32 s34, 15
	s_cbranch_scc0 .LBB38_1338
; %bb.1334:
	global_load_ushort v4, v[0:1], off
	s_mov_b64 s[22:23], 0
	s_mov_b64 s[26:27], -1
	s_waitcnt vmcnt(0)
	v_lshlrev_b32_e32 v4, 16, v4
	v_cvt_i32_f32_e32 v4, v4
	s_branch .LBB38_1339
.LBB38_1335:
	s_mov_b64 s[30:31], -1
                                        ; implicit-def: $vgpr4
	s_branch .LBB38_1340
.LBB38_1336:
	s_andn2_saveexec_b64 s[26:27], s[26:27]
	s_cbranch_execz .LBB38_1317
.LBB38_1337:
	v_cmp_ne_u16_e32 vcc, 0, v5
	s_andn2_b64 s[28:29], s[28:29], exec
	s_and_b64 s[30:31], vcc, exec
	s_or_b64 s[28:29], s[28:29], s[30:31]
	s_or_b64 exec, exec, s[26:27]
	v_mov_b32_e32 v4, 0
	s_and_saveexec_b64 s[26:27], s[28:29]
	s_cbranch_execnz .LBB38_1318
	s_branch .LBB38_1319
.LBB38_1338:
	s_mov_b64 s[22:23], -1
                                        ; implicit-def: $vgpr4
.LBB38_1339:
	s_mov_b64 s[30:31], 0
.LBB38_1340:
	s_and_b64 vcc, exec, s[30:31]
	s_cbranch_vccz .LBB38_1342
; %bb.1341:
	s_cmp_lg_u32 s34, 11
	s_cselect_b64 s[30:31], -1, 0
	s_andn2_b64 s[22:23], s[22:23], exec
	s_and_b64 s[30:31], s[30:31], exec
	s_mov_b64 s[28:29], -1
	s_or_b64 s[22:23], s[22:23], s[30:31]
.LBB38_1342:
	s_mov_b64 s[30:31], 0
.LBB38_1343:
	s_andn2_b64 s[20:21], s[20:21], exec
	s_and_b64 s[22:23], s[22:23], exec
	s_and_b64 s[26:27], s[26:27], exec
	;; [unrolled: 1-line block ×4, first 2 shown]
	s_or_b64 s[20:21], s[20:21], s[22:23]
	s_or_b64 exec, exec, s[0:1]
	s_and_saveexec_b64 s[0:1], s[20:21]
	s_cbranch_execz .LBB38_1276
.LBB38_1344:
	s_or_b64 s[24:25], s[24:25], exec
	s_andn2_b64 s[28:29], s[28:29], exec
	s_trap 2
	s_or_b64 exec, exec, s[0:1]
	s_and_saveexec_b64 s[0:1], s[28:29]
	s_xor_b64 s[0:1], exec, s[0:1]
	s_cbranch_execnz .LBB38_1277
.LBB38_1345:
	s_or_b64 exec, exec, s[0:1]
	s_and_saveexec_b64 s[0:1], s[34:35]
	s_cbranch_execz .LBB38_1391
.LBB38_1346:
	s_sext_i32_i16 s20, s36
	s_cmp_lt_i32 s20, 5
	s_cbranch_scc1 .LBB38_1351
; %bb.1347:
	s_cmp_lt_i32 s20, 8
	s_cbranch_scc1 .LBB38_1352
; %bb.1348:
	;; [unrolled: 3-line block ×3, first 2 shown]
	s_cmp_gt_i32 s20, 9
	s_cbranch_scc0 .LBB38_1354
; %bb.1350:
	global_load_dwordx2 v[4:5], v[0:1], off
	s_mov_b64 s[20:21], 0
	s_waitcnt vmcnt(0)
	v_cvt_i32_f64_e32 v4, v[4:5]
	s_branch .LBB38_1355
.LBB38_1351:
                                        ; implicit-def: $vgpr4
	s_branch .LBB38_1372
.LBB38_1352:
                                        ; implicit-def: $vgpr4
	s_branch .LBB38_1361
.LBB38_1353:
	s_mov_b64 s[20:21], -1
                                        ; implicit-def: $vgpr4
	s_branch .LBB38_1358
.LBB38_1354:
	s_mov_b64 s[20:21], -1
                                        ; implicit-def: $vgpr4
.LBB38_1355:
	s_andn2_b64 vcc, exec, s[20:21]
	s_cbranch_vccnz .LBB38_1357
; %bb.1356:
	global_load_dword v4, v[0:1], off
	s_waitcnt vmcnt(0)
	v_cvt_i32_f32_e32 v4, v4
.LBB38_1357:
	s_mov_b64 s[20:21], 0
.LBB38_1358:
	s_andn2_b64 vcc, exec, s[20:21]
	s_cbranch_vccnz .LBB38_1360
; %bb.1359:
	global_load_dword v4, v[0:1], off
	s_waitcnt vmcnt(0)
	v_cvt_f32_f16_e32 v4, v4
	v_cvt_i32_f32_e32 v4, v4
.LBB38_1360:
	s_cbranch_execnz .LBB38_1371
.LBB38_1361:
	s_sext_i32_i16 s20, s36
	s_cmp_lt_i32 s20, 6
	s_cbranch_scc1 .LBB38_1364
; %bb.1362:
	s_cmp_gt_i32 s20, 6
	s_cbranch_scc0 .LBB38_1365
; %bb.1363:
	global_load_dwordx2 v[4:5], v[0:1], off
	s_mov_b64 s[20:21], 0
	s_waitcnt vmcnt(0)
	v_cvt_i32_f64_e32 v4, v[4:5]
	s_branch .LBB38_1366
.LBB38_1364:
	s_mov_b64 s[20:21], -1
                                        ; implicit-def: $vgpr4
	s_branch .LBB38_1369
.LBB38_1365:
	s_mov_b64 s[20:21], -1
                                        ; implicit-def: $vgpr4
.LBB38_1366:
	s_andn2_b64 vcc, exec, s[20:21]
	s_cbranch_vccnz .LBB38_1368
; %bb.1367:
	global_load_dword v4, v[0:1], off
	s_waitcnt vmcnt(0)
	v_cvt_i32_f32_e32 v4, v4
.LBB38_1368:
	s_mov_b64 s[20:21], 0
.LBB38_1369:
	s_andn2_b64 vcc, exec, s[20:21]
	s_cbranch_vccnz .LBB38_1371
; %bb.1370:
	global_load_ushort v4, v[0:1], off
	s_waitcnt vmcnt(0)
	v_cvt_f32_f16_e32 v4, v4
	v_cvt_i32_f32_e32 v4, v4
.LBB38_1371:
	s_cbranch_execnz .LBB38_1390
.LBB38_1372:
	s_sext_i32_i16 s20, s36
	s_cmp_lt_i32 s20, 2
	s_cbranch_scc1 .LBB38_1376
; %bb.1373:
	s_cmp_lt_i32 s20, 3
	s_cbranch_scc1 .LBB38_1377
; %bb.1374:
	s_cmp_gt_i32 s20, 3
	s_cbranch_scc0 .LBB38_1378
; %bb.1375:
	global_load_dword v4, v[0:1], off
	s_mov_b64 s[20:21], 0
	s_branch .LBB38_1379
.LBB38_1376:
                                        ; implicit-def: $vgpr4
	s_branch .LBB38_1385
.LBB38_1377:
	s_mov_b64 s[20:21], -1
                                        ; implicit-def: $vgpr4
	s_branch .LBB38_1382
.LBB38_1378:
	s_mov_b64 s[20:21], -1
                                        ; implicit-def: $vgpr4
.LBB38_1379:
	s_andn2_b64 vcc, exec, s[20:21]
	s_cbranch_vccnz .LBB38_1381
; %bb.1380:
	global_load_dword v4, v[0:1], off
.LBB38_1381:
	s_mov_b64 s[20:21], 0
.LBB38_1382:
	s_andn2_b64 vcc, exec, s[20:21]
	s_cbranch_vccnz .LBB38_1384
; %bb.1383:
	global_load_sshort v4, v[0:1], off
.LBB38_1384:
	s_cbranch_execnz .LBB38_1390
.LBB38_1385:
	s_sext_i32_i16 s20, s36
	s_cmp_gt_i32 s20, 0
	s_cbranch_scc0 .LBB38_1387
; %bb.1386:
	global_load_sbyte v4, v[0:1], off
	s_mov_b64 s[20:21], 0
	s_branch .LBB38_1388
.LBB38_1387:
	s_mov_b64 s[20:21], -1
                                        ; implicit-def: $vgpr4
.LBB38_1388:
	s_andn2_b64 vcc, exec, s[20:21]
	s_cbranch_vccnz .LBB38_1390
; %bb.1389:
	global_load_ubyte v4, v[0:1], off
.LBB38_1390:
	s_or_b64 s[26:27], s[26:27], exec
.LBB38_1391:
	s_or_b64 exec, exec, s[0:1]
	s_mov_b64 s[30:31], 0
	s_mov_b64 s[28:29], 0
                                        ; implicit-def: $sgpr20_sgpr21
                                        ; implicit-def: $sgpr34
                                        ; implicit-def: $vgpr0_vgpr1
	s_and_saveexec_b64 s[22:23], s[26:27]
	s_cbranch_execz .LBB38_1466
; %bb.1392:
	v_mul_lo_u32 v0, v2, s12
	s_waitcnt vmcnt(0)
	v_cmp_ne_u32_e32 vcc, v3, v4
	v_mov_b32_e32 v1, s9
	s_xor_b64 s[20:21], s[16:17], vcc
	v_ashrrev_i32_e32 v2, 31, v0
	s_and_b32 s34, s33, 0xff
	v_add_co_u32_e32 v0, vcc, s8, v0
	s_cmp_lt_i32 s34, 11
	v_addc_co_u32_e32 v1, vcc, v1, v2, vcc
	s_cbranch_scc1 .LBB38_1469
; %bb.1393:
	s_and_b32 s35, 0xffff, s34
	s_mov_b64 s[26:27], -1
	s_cmp_gt_i32 s35, 25
	s_mov_b64 s[0:1], s[18:19]
	s_cbranch_scc0 .LBB38_1426
; %bb.1394:
	s_mov_b64 s[16:17], -1
	s_cmp_gt_i32 s35, 28
	s_mov_b64 s[0:1], s[18:19]
	s_cbranch_scc0 .LBB38_1410
; %bb.1395:
	s_cmp_gt_i32 s35, 43
	s_mov_b64 s[0:1], s[18:19]
	s_cbranch_scc0 .LBB38_1406
; %bb.1396:
	;; [unrolled: 4-line block ×3, first 2 shown]
	s_cmp_eq_u32 s35, 46
	s_mov_b64 s[0:1], -1
	s_cbranch_scc0 .LBB38_1399
; %bb.1398:
	v_cndmask_b32_e64 v2, 0, 1.0, s[20:21]
	v_bfe_u32 v3, v2, 16, 1
	s_movk_i32 s0, 0x7fff
	v_add3_u32 v2, v2, v3, s0
	v_lshrrev_b32_e32 v2, 16, v2
	global_store_dword v[0:1], v2, off
	s_mov_b64 s[0:1], 0
.LBB38_1399:
	s_mov_b64 s[16:17], 0
.LBB38_1400:
	s_and_b64 vcc, exec, s[16:17]
	s_cbranch_vccz .LBB38_1405
; %bb.1401:
	s_cmp_eq_u32 s35, 44
	s_mov_b64 s[0:1], -1
	s_cbranch_scc0 .LBB38_1405
; %bb.1402:
	v_cndmask_b32_e64 v3, 0, 1.0, s[20:21]
	v_lshrrev_b32_e32 v2, 23, v3
	s_movk_i32 s0, 0xff
	v_cmp_ne_u32_e32 vcc, s0, v2
	v_mov_b32_e32 v4, 0xff
	s_and_saveexec_b64 s[16:17], vcc
; %bb.1403:
	s_mov_b32 s0, 0x3fffff
	v_and_b32_e32 v4, 0x400000, v3
	v_and_or_b32 v3, v3, s0, v2
	v_cmp_ne_u32_e32 vcc, 0, v4
	v_cmp_ne_u32_e64 s[0:1], 0, v3
	s_and_b64 s[0:1], vcc, s[0:1]
	v_cndmask_b32_e64 v3, 0, 1, s[0:1]
	v_add_u32_e32 v4, v2, v3
; %bb.1404:
	s_or_b64 exec, exec, s[16:17]
	s_mov_b64 s[0:1], 0
	global_store_byte v[0:1], v4, off
.LBB38_1405:
	s_mov_b64 s[16:17], 0
.LBB38_1406:
	s_and_b64 vcc, exec, s[16:17]
	s_cbranch_vccz .LBB38_1409
; %bb.1407:
	s_cmp_eq_u32 s35, 29
	s_mov_b64 s[0:1], -1
	s_cbranch_scc0 .LBB38_1409
; %bb.1408:
	s_mov_b32 s0, 0
	v_cndmask_b32_e64 v2, 0, 1, s[20:21]
	v_mov_b32_e32 v3, s0
	global_store_dwordx2 v[0:1], v[2:3], off
	s_mov_b64 s[0:1], 0
.LBB38_1409:
	s_mov_b64 s[16:17], 0
.LBB38_1410:
	s_and_b64 vcc, exec, s[16:17]
	s_cbranch_vccz .LBB38_1425
; %bb.1411:
	s_cmp_lt_i32 s35, 27
	s_mov_b64 s[16:17], -1
	s_cbranch_scc1 .LBB38_1417
; %bb.1412:
	s_cmp_gt_i32 s35, 27
	v_cndmask_b32_e64 v2, 0, 1, s[20:21]
	s_cbranch_scc0 .LBB38_1414
; %bb.1413:
	s_mov_b64 s[16:17], 0
	global_store_dword v[0:1], v2, off
.LBB38_1414:
	s_andn2_b64 vcc, exec, s[16:17]
	s_cbranch_vccnz .LBB38_1416
; %bb.1415:
	global_store_short v[0:1], v2, off
.LBB38_1416:
	s_mov_b64 s[16:17], 0
.LBB38_1417:
	s_andn2_b64 vcc, exec, s[16:17]
	s_cbranch_vccnz .LBB38_1425
; %bb.1418:
	v_cndmask_b32_e64 v3, 0, 1.0, s[20:21]
	s_mov_b32 s16, 0x43800000
	v_cmp_gt_u32_e32 vcc, s16, v3
	v_mov_b32_e32 v4, 0x80
	s_and_saveexec_b64 s[16:17], vcc
	s_cbranch_execz .LBB38_1424
; %bb.1419:
	s_mov_b32 s26, 0x3bffffff
	v_cmp_lt_u32_e32 vcc, s26, v3
	s_mov_b64 s[26:27], 0
                                        ; implicit-def: $vgpr2
	s_and_saveexec_b64 s[28:29], vcc
	s_xor_b64 s[28:29], exec, s[28:29]
	s_cbranch_execz .LBB38_1526
; %bb.1420:
	v_bfe_u32 v2, v3, 20, 1
	s_mov_b32 s30, 0x487ffff
	v_add3_u32 v2, v3, v2, s30
	s_mov_b64 s[26:27], exec
	v_lshrrev_b32_e32 v2, 20, v2
                                        ; implicit-def: $vgpr3
	s_andn2_saveexec_b64 s[28:29], s[28:29]
	s_cbranch_execnz .LBB38_1527
.LBB38_1421:
	s_or_b64 exec, exec, s[28:29]
	v_mov_b32_e32 v4, 0
	s_and_saveexec_b64 s[28:29], s[26:27]
.LBB38_1422:
	v_mov_b32_e32 v4, v2
.LBB38_1423:
	s_or_b64 exec, exec, s[28:29]
.LBB38_1424:
	s_or_b64 exec, exec, s[16:17]
	global_store_byte v[0:1], v4, off
.LBB38_1425:
	s_mov_b64 s[26:27], 0
.LBB38_1426:
	s_mov_b64 s[16:17], 0
	s_and_b64 vcc, exec, s[26:27]
	s_cbranch_vccz .LBB38_1470
; %bb.1427:
	s_cmp_gt_i32 s35, 22
	s_mov_b64 s[26:27], -1
	s_cbranch_scc0 .LBB38_1459
; %bb.1428:
	s_cmp_lt_i32 s35, 24
	s_cbranch_scc1 .LBB38_1448
; %bb.1429:
	s_cmp_gt_i32 s35, 24
	s_cbranch_scc0 .LBB38_1437
; %bb.1430:
	v_cndmask_b32_e64 v3, 0, 1.0, s[20:21]
	s_mov_b32 s26, 0x47800000
	v_cmp_gt_u32_e32 vcc, s26, v3
	v_mov_b32_e32 v4, 0x80
	s_and_saveexec_b64 s[26:27], vcc
	s_cbranch_execz .LBB38_1436
; %bb.1431:
	s_mov_b32 s28, 0x37ffffff
	v_cmp_lt_u32_e32 vcc, s28, v3
	s_mov_b64 s[28:29], 0
                                        ; implicit-def: $vgpr2
	s_and_saveexec_b64 s[30:31], vcc
	s_xor_b64 s[30:31], exec, s[30:31]
	s_cbranch_execz .LBB38_1646
; %bb.1432:
	v_bfe_u32 v2, v3, 21, 1
	s_mov_b32 s36, 0x88fffff
	v_add3_u32 v2, v3, v2, s36
	s_mov_b64 s[28:29], exec
	v_lshrrev_b32_e32 v2, 21, v2
                                        ; implicit-def: $vgpr3
	s_andn2_saveexec_b64 s[30:31], s[30:31]
	s_cbranch_execnz .LBB38_1647
.LBB38_1433:
	s_or_b64 exec, exec, s[30:31]
	v_mov_b32_e32 v4, 0
	s_and_saveexec_b64 s[30:31], s[28:29]
.LBB38_1434:
	v_mov_b32_e32 v4, v2
.LBB38_1435:
	s_or_b64 exec, exec, s[30:31]
.LBB38_1436:
	s_or_b64 exec, exec, s[26:27]
	s_mov_b64 s[26:27], 0
	global_store_byte v[0:1], v4, off
.LBB38_1437:
	s_and_b64 vcc, exec, s[26:27]
	s_cbranch_vccz .LBB38_1447
; %bb.1438:
	v_cndmask_b32_e64 v2, 0, 1.0, s[20:21]
	s_mov_b32 s26, 0x43f00000
	v_cmp_gt_u32_e32 vcc, s26, v2
                                        ; implicit-def: $vgpr3
	s_and_saveexec_b64 s[26:27], vcc
	s_xor_b64 s[26:27], exec, s[26:27]
	s_cbranch_execz .LBB38_1444
; %bb.1439:
	s_mov_b32 s28, 0x3c7fffff
	v_cmp_lt_u32_e32 vcc, s28, v2
                                        ; implicit-def: $vgpr3
	s_and_saveexec_b64 s[28:29], vcc
	s_xor_b64 s[28:29], exec, s[28:29]
; %bb.1440:
	v_bfe_u32 v3, v2, 20, 1
	s_mov_b32 s30, 0x407ffff
	v_add3_u32 v2, v2, v3, s30
	v_lshrrev_b32_e32 v3, 20, v2
	v_and_b32_e32 v2, 0xff00000, v2
	s_mov_b32 s30, 0x7f00000
	v_mov_b32_e32 v4, 0x7e
	v_cmp_ne_u32_e32 vcc, s30, v2
	v_cndmask_b32_e32 v3, v4, v3, vcc
                                        ; implicit-def: $vgpr2
; %bb.1441:
	s_andn2_saveexec_b64 s[28:29], s[28:29]
; %bb.1442:
	v_add_f32_e32 v3, 0x46800000, v2
; %bb.1443:
	s_or_b64 exec, exec, s[28:29]
                                        ; implicit-def: $vgpr2
.LBB38_1444:
	s_andn2_saveexec_b64 s[26:27], s[26:27]
; %bb.1445:
	s_mov_b32 s28, 0x7f800000
	v_mov_b32_e32 v3, 0x7e
	v_mov_b32_e32 v4, 0x7f
	v_cmp_lt_u32_e32 vcc, s28, v2
	v_cndmask_b32_e32 v3, v3, v4, vcc
; %bb.1446:
	s_or_b64 exec, exec, s[26:27]
	global_store_byte v[0:1], v3, off
.LBB38_1447:
	s_mov_b64 s[26:27], 0
.LBB38_1448:
	s_andn2_b64 vcc, exec, s[26:27]
	s_cbranch_vccnz .LBB38_1458
; %bb.1449:
	v_cndmask_b32_e64 v2, 0, 1.0, s[20:21]
	s_mov_b32 s26, 0x47800000
	v_cmp_gt_u32_e32 vcc, s26, v2
                                        ; implicit-def: $vgpr3
	s_and_saveexec_b64 s[26:27], vcc
	s_xor_b64 s[26:27], exec, s[26:27]
	s_cbranch_execz .LBB38_1455
; %bb.1450:
	s_mov_b32 s28, 0x387fffff
	v_cmp_lt_u32_e32 vcc, s28, v2
                                        ; implicit-def: $vgpr3
	s_and_saveexec_b64 s[28:29], vcc
	s_xor_b64 s[28:29], exec, s[28:29]
; %bb.1451:
	v_bfe_u32 v3, v2, 21, 1
	s_mov_b32 s30, 0x80fffff
	v_add3_u32 v2, v2, v3, s30
	v_lshrrev_b32_e32 v3, 21, v2
                                        ; implicit-def: $vgpr2
; %bb.1452:
	s_andn2_saveexec_b64 s[28:29], s[28:29]
; %bb.1453:
	v_add_f32_e32 v3, 0x43000000, v2
; %bb.1454:
	s_or_b64 exec, exec, s[28:29]
                                        ; implicit-def: $vgpr2
.LBB38_1455:
	s_andn2_saveexec_b64 s[26:27], s[26:27]
; %bb.1456:
	s_mov_b32 s28, 0x7f800000
	v_mov_b32_e32 v3, 0x7c
	v_mov_b32_e32 v4, 0x7f
	v_cmp_lt_u32_e32 vcc, s28, v2
	v_cndmask_b32_e32 v3, v3, v4, vcc
; %bb.1457:
	s_or_b64 exec, exec, s[26:27]
	global_store_byte v[0:1], v3, off
.LBB38_1458:
	s_mov_b64 s[26:27], 0
.LBB38_1459:
	s_andn2_b64 vcc, exec, s[26:27]
	s_mov_b64 s[26:27], 0
	s_cbranch_vccnz .LBB38_1471
; %bb.1460:
	s_cmp_gt_i32 s35, 14
	s_mov_b64 s[28:29], -1
	s_cbranch_scc0 .LBB38_1464
; %bb.1461:
	s_cmp_eq_u32 s35, 15
	s_mov_b64 s[0:1], -1
	s_cbranch_scc0 .LBB38_1463
; %bb.1462:
	v_cndmask_b32_e64 v2, 0, 1.0, s[20:21]
	v_bfe_u32 v3, v2, 16, 1
	s_movk_i32 s0, 0x7fff
	v_add3_u32 v2, v2, v3, s0
	global_store_short_d16_hi v[0:1], v2, off
	s_mov_b64 s[0:1], 0
.LBB38_1463:
	s_mov_b64 s[28:29], 0
.LBB38_1464:
	s_and_b64 vcc, exec, s[28:29]
	s_cbranch_vccz .LBB38_1471
; %bb.1465:
	s_cmp_lg_u32 s35, 11
	s_cselect_b64 s[28:29], -1, 0
	s_andn2_b64 s[0:1], s[0:1], exec
	s_and_b64 s[28:29], s[28:29], exec
	s_mov_b64 s[26:27], -1
	s_or_b64 s[0:1], s[0:1], s[28:29]
	s_branch .LBB38_1471
.LBB38_1466:
	s_or_b64 exec, exec, s[22:23]
	s_and_saveexec_b64 s[0:1], s[18:19]
	s_cbranch_execnz .LBB38_1472
.LBB38_1467:
	s_or_b64 exec, exec, s[0:1]
	s_and_saveexec_b64 s[0:1], s[30:31]
	s_xor_b64 s[0:1], exec, s[0:1]
	s_cbranch_execz .LBB38_1473
.LBB38_1468:
	v_cndmask_b32_e64 v2, 0, 1, s[20:21]
	global_store_byte v[0:1], v2, off
	s_or_b64 exec, exec, s[0:1]
	s_and_saveexec_b64 s[0:1], s[28:29]
	s_xor_b64 s[0:1], exec, s[0:1]
	s_cbranch_execz .LBB38_1511
	s_branch .LBB38_1474
.LBB38_1469:
	s_mov_b64 s[26:27], 0
	s_mov_b64 s[16:17], -1
	s_mov_b64 s[0:1], s[18:19]
	s_branch .LBB38_1471
.LBB38_1470:
	s_mov_b64 s[26:27], 0
.LBB38_1471:
	s_and_b64 s[28:29], s[16:17], exec
	s_andn2_b64 s[16:17], s[18:19], exec
	s_and_b64 s[0:1], s[0:1], exec
	s_and_b64 s[30:31], s[26:27], exec
	s_or_b64 s[18:19], s[16:17], s[0:1]
	s_or_b64 exec, exec, s[22:23]
	s_and_saveexec_b64 s[0:1], s[18:19]
	s_cbranch_execz .LBB38_1467
.LBB38_1472:
	s_or_b64 s[24:25], s[24:25], exec
	s_andn2_b64 s[30:31], s[30:31], exec
	s_trap 2
	s_or_b64 exec, exec, s[0:1]
	s_and_saveexec_b64 s[0:1], s[30:31]
	s_xor_b64 s[0:1], exec, s[0:1]
	s_cbranch_execnz .LBB38_1468
.LBB38_1473:
	s_or_b64 exec, exec, s[0:1]
	s_and_saveexec_b64 s[0:1], s[28:29]
	s_xor_b64 s[0:1], exec, s[0:1]
	s_cbranch_execz .LBB38_1511
.LBB38_1474:
	s_sext_i32_i16 s18, s34
	s_cmp_lt_i32 s18, 5
	s_mov_b64 s[16:17], -1
	s_cbranch_scc1 .LBB38_1495
; %bb.1475:
	s_cmp_lt_i32 s18, 8
	s_cbranch_scc1 .LBB38_1485
; %bb.1476:
	s_cmp_lt_i32 s18, 9
	s_cbranch_scc1 .LBB38_1482
; %bb.1477:
	s_cmp_gt_i32 s18, 9
	s_cbranch_scc0 .LBB38_1479
; %bb.1478:
	v_cndmask_b32_e64 v2, 0, 1, s[20:21]
	s_waitcnt vmcnt(0)
	v_cvt_f64_u32_e32 v[2:3], v2
	v_mov_b32_e32 v4, 0
	v_mov_b32_e32 v5, v4
	s_mov_b64 s[16:17], 0
	global_store_dwordx4 v[0:1], v[2:5], off
.LBB38_1479:
	s_andn2_b64 vcc, exec, s[16:17]
	s_cbranch_vccnz .LBB38_1481
; %bb.1480:
	v_cndmask_b32_e64 v2, 0, 1.0, s[20:21]
	s_waitcnt vmcnt(0)
	v_mov_b32_e32 v3, 0
	global_store_dwordx2 v[0:1], v[2:3], off
.LBB38_1481:
	s_mov_b64 s[16:17], 0
.LBB38_1482:
	s_andn2_b64 vcc, exec, s[16:17]
	s_cbranch_vccnz .LBB38_1484
; %bb.1483:
	v_cndmask_b32_e64 v2, 0, 1.0, s[20:21]
	v_cvt_f16_f32_e32 v2, v2
	global_store_dword v[0:1], v2, off
.LBB38_1484:
	s_mov_b64 s[16:17], 0
.LBB38_1485:
	s_andn2_b64 vcc, exec, s[16:17]
	s_cbranch_vccnz .LBB38_1494
; %bb.1486:
	s_sext_i32_i16 s18, s34
	s_cmp_lt_i32 s18, 6
	s_mov_b64 s[16:17], -1
	s_cbranch_scc1 .LBB38_1492
; %bb.1487:
	s_cmp_gt_i32 s18, 6
	s_cbranch_scc0 .LBB38_1489
; %bb.1488:
	v_cndmask_b32_e64 v2, 0, 1, s[20:21]
	s_waitcnt vmcnt(0)
	v_cvt_f64_u32_e32 v[2:3], v2
	s_mov_b64 s[16:17], 0
	global_store_dwordx2 v[0:1], v[2:3], off
.LBB38_1489:
	s_andn2_b64 vcc, exec, s[16:17]
	s_cbranch_vccnz .LBB38_1491
; %bb.1490:
	v_cndmask_b32_e64 v2, 0, 1.0, s[20:21]
	global_store_dword v[0:1], v2, off
.LBB38_1491:
	s_mov_b64 s[16:17], 0
.LBB38_1492:
	s_andn2_b64 vcc, exec, s[16:17]
	s_cbranch_vccnz .LBB38_1494
; %bb.1493:
	v_cndmask_b32_e64 v2, 0, 1.0, s[20:21]
	v_cvt_f16_f32_e32 v2, v2
	global_store_short v[0:1], v2, off
.LBB38_1494:
	s_mov_b64 s[16:17], 0
.LBB38_1495:
	s_andn2_b64 vcc, exec, s[16:17]
	s_cbranch_vccnz .LBB38_1511
; %bb.1496:
	s_sext_i32_i16 s18, s34
	s_cmp_lt_i32 s18, 2
	s_mov_b64 s[16:17], -1
	s_cbranch_scc1 .LBB38_1506
; %bb.1497:
	s_cmp_lt_i32 s18, 3
	s_cbranch_scc1 .LBB38_1503
; %bb.1498:
	s_cmp_gt_i32 s18, 3
	s_cbranch_scc0 .LBB38_1500
; %bb.1499:
	s_mov_b32 s16, 0
	v_cndmask_b32_e64 v2, 0, 1, s[20:21]
	s_waitcnt vmcnt(0)
	v_mov_b32_e32 v3, s16
	s_mov_b64 s[16:17], 0
	global_store_dwordx2 v[0:1], v[2:3], off
.LBB38_1500:
	s_andn2_b64 vcc, exec, s[16:17]
	s_cbranch_vccnz .LBB38_1502
; %bb.1501:
	v_cndmask_b32_e64 v2, 0, 1, s[20:21]
	global_store_dword v[0:1], v2, off
.LBB38_1502:
	s_mov_b64 s[16:17], 0
.LBB38_1503:
	s_andn2_b64 vcc, exec, s[16:17]
	s_cbranch_vccnz .LBB38_1505
; %bb.1504:
	v_cndmask_b32_e64 v2, 0, 1, s[20:21]
	global_store_short v[0:1], v2, off
.LBB38_1505:
	s_mov_b64 s[16:17], 0
.LBB38_1506:
	s_andn2_b64 vcc, exec, s[16:17]
	s_cbranch_vccnz .LBB38_1511
; %bb.1507:
	s_sext_i32_i16 s18, s34
	s_mov_b64 s[16:17], -1
	s_cmp_gt_i32 s18, 0
	v_cndmask_b32_e64 v2, 0, 1, s[20:21]
	s_cbranch_scc0 .LBB38_1509
; %bb.1508:
	s_mov_b64 s[16:17], 0
	global_store_byte v[0:1], v2, off
.LBB38_1509:
	s_andn2_b64 vcc, exec, s[16:17]
	s_cbranch_vccnz .LBB38_1511
; %bb.1510:
	global_store_byte v[0:1], v2, off
.LBB38_1511:
	s_or_b64 exec, exec, s[0:1]
	s_and_b64 s[16:17], s[24:25], exec
                                        ; implicit-def: $vgpr2
.LBB38_1512:
	s_or_saveexec_b64 s[6:7], s[6:7]
	s_mov_b64 s[0:1], 0
                                        ; implicit-def: $sgpr20_sgpr21
                                        ; implicit-def: $sgpr24
                                        ; implicit-def: $vgpr0_vgpr1
	s_xor_b64 exec, exec, s[6:7]
	s_cbranch_execz .LBB38_2949
; %bb.1513:
	s_waitcnt vmcnt(0)
	v_mul_lo_u32 v4, s13, v2
	v_mov_b32_e32 v1, s11
	s_and_b32 s24, s57, 0xff
	s_cmp_lt_i32 s24, 11
	v_ashrrev_i32_e32 v3, 31, v4
	v_add_co_u32_e32 v0, vcc, s10, v4
	v_addc_co_u32_e32 v1, vcc, v1, v3, vcc
	s_cbranch_scc1 .LBB38_1520
; %bb.1514:
	s_and_b32 s22, 0xffff, s24
	s_cmp_gt_i32 s22, 25
	s_cbranch_scc0 .LBB38_1522
; %bb.1515:
	s_cmp_gt_i32 s22, 28
	s_cbranch_scc0 .LBB38_1523
; %bb.1516:
	;; [unrolled: 3-line block ×4, first 2 shown]
	s_cmp_eq_u32 s22, 46
	s_mov_b64 s[18:19], 0
	s_cbranch_scc0 .LBB38_1528
; %bb.1519:
	global_load_dword v3, v[0:1], off
	s_mov_b64 s[20:21], -1
	s_waitcnt vmcnt(0)
	v_lshlrev_b32_e32 v3, 16, v3
	v_cvt_i32_f32_e32 v3, v3
	s_branch .LBB38_1529
.LBB38_1520:
	s_mov_b64 s[20:21], 0
                                        ; implicit-def: $vgpr3
	s_mov_b64 s[18:19], s[16:17]
	s_cbranch_execnz .LBB38_1587
.LBB38_1521:
	s_andn2_b64 vcc, exec, s[20:21]
	s_cbranch_vccz .LBB38_1632
	s_branch .LBB38_2947
.LBB38_1522:
	s_mov_b64 s[20:21], 0
                                        ; implicit-def: $vgpr3
	s_cbranch_execnz .LBB38_1554
	s_branch .LBB38_1583
.LBB38_1523:
	s_mov_b64 s[20:21], 0
                                        ; implicit-def: $vgpr3
	s_cbranch_execz .LBB38_1553
	s_branch .LBB38_1538
.LBB38_1524:
	s_mov_b64 s[20:21], 0
                                        ; implicit-def: $vgpr3
	s_cbranch_execnz .LBB38_1534
	s_branch .LBB38_1537
.LBB38_1525:
	s_mov_b64 s[18:19], -1
	s_mov_b64 s[20:21], 0
                                        ; implicit-def: $vgpr3
	s_branch .LBB38_1529
.LBB38_1526:
	s_andn2_saveexec_b64 s[28:29], s[28:29]
	s_cbranch_execz .LBB38_1421
.LBB38_1527:
	v_add_f32_e32 v2, 0x46000000, v3
	v_and_b32_e32 v2, 0xff, v2
	v_cmp_ne_u32_e32 vcc, 0, v2
	s_andn2_b64 s[26:27], s[26:27], exec
	s_and_b64 s[30:31], vcc, exec
	s_or_b64 s[26:27], s[26:27], s[30:31]
	s_or_b64 exec, exec, s[28:29]
	v_mov_b32_e32 v4, 0
	s_and_saveexec_b64 s[28:29], s[26:27]
	s_cbranch_execnz .LBB38_1422
	s_branch .LBB38_1423
.LBB38_1528:
	s_mov_b64 s[0:1], -1
                                        ; implicit-def: $vgpr3
	s_mov_b64 s[20:21], 0
.LBB38_1529:
	s_and_b64 vcc, exec, s[18:19]
	s_cbranch_vccz .LBB38_1532
; %bb.1530:
	s_cmp_eq_u32 s22, 44
	s_cbranch_scc0 .LBB38_1533
; %bb.1531:
	global_load_ubyte v3, v[0:1], off
	s_mov_b64 s[0:1], 0
	s_mov_b64 s[20:21], -1
	s_waitcnt vmcnt(0)
	v_lshlrev_b32_e32 v5, 23, v3
	v_cvt_i32_f32_e32 v5, v5
	v_cmp_ne_u32_e32 vcc, 0, v3
	v_cndmask_b32_e32 v3, 0, v5, vcc
.LBB38_1532:
	s_branch .LBB38_1537
.LBB38_1533:
	s_mov_b64 s[0:1], -1
                                        ; implicit-def: $vgpr3
	s_branch .LBB38_1537
.LBB38_1534:
	s_cmp_eq_u32 s22, 29
	s_cbranch_scc0 .LBB38_1536
; %bb.1535:
	global_load_dword v3, v[0:1], off
	s_mov_b64 s[0:1], 0
	s_mov_b64 s[20:21], -1
	s_branch .LBB38_1537
.LBB38_1536:
	s_mov_b64 s[0:1], -1
                                        ; implicit-def: $vgpr3
.LBB38_1537:
	s_branch .LBB38_1553
.LBB38_1538:
	s_cmp_lt_i32 s22, 27
	s_cbranch_scc1 .LBB38_1541
; %bb.1539:
	s_cmp_gt_i32 s22, 27
	s_cbranch_scc0 .LBB38_1542
; %bb.1540:
	global_load_dword v3, v[0:1], off
	s_mov_b64 s[18:19], 0
	s_branch .LBB38_1543
.LBB38_1541:
	s_mov_b64 s[18:19], -1
                                        ; implicit-def: $vgpr3
	s_branch .LBB38_1546
.LBB38_1542:
	s_mov_b64 s[18:19], -1
                                        ; implicit-def: $vgpr3
.LBB38_1543:
	s_andn2_b64 vcc, exec, s[18:19]
	s_cbranch_vccnz .LBB38_1545
; %bb.1544:
	global_load_ushort v3, v[0:1], off
.LBB38_1545:
	s_mov_b64 s[18:19], 0
.LBB38_1546:
	s_andn2_b64 vcc, exec, s[18:19]
	s_cbranch_vccnz .LBB38_1552
; %bb.1547:
	global_load_ubyte v5, v[0:1], off
	s_movk_i32 s18, 0x7f
	s_mov_b64 s[20:21], 0
	s_waitcnt vmcnt(0)
	v_cmp_lt_i16_e32 vcc, s18, v5
	s_and_saveexec_b64 s[18:19], vcc
	s_xor_b64 s[18:19], exec, s[18:19]
	s_cbranch_execz .LBB38_1563
; %bb.1548:
	s_movk_i32 s20, 0x80
	v_cmp_ne_u16_e32 vcc, s20, v5
	s_and_b64 s[20:21], vcc, exec
	s_andn2_saveexec_b64 s[18:19], s[18:19]
	s_cbranch_execnz .LBB38_1564
.LBB38_1549:
	s_or_b64 exec, exec, s[18:19]
	v_mov_b32_e32 v3, 0
	s_and_saveexec_b64 s[18:19], s[20:21]
	s_cbranch_execz .LBB38_1551
.LBB38_1550:
	v_lshlrev_b32_e32 v3, 24, v5
	v_and_b32_e32 v5, 0xffff, v5
	v_and_b32_e32 v6, 7, v5
	v_ffbh_u32_e32 v8, v6
	v_min_u32_e32 v8, 32, v8
	v_subrev_u32_e32 v9, 28, v8
	v_bfe_u32 v7, v5, 3, 4
	v_lshlrev_b32_e32 v5, v9, v5
	v_sub_u32_e32 v8, 29, v8
	v_and_b32_e32 v5, 7, v5
	v_cmp_eq_u32_e32 vcc, 0, v7
	v_cndmask_b32_e32 v7, v7, v8, vcc
	v_cndmask_b32_e32 v5, v6, v5, vcc
	v_mov_b32_e32 v6, 0x3b800000
	v_lshlrev_b32_e32 v5, 20, v5
	v_and_b32_e32 v3, 0x80000000, v3
	v_lshl_add_u32 v6, v7, 23, v6
	v_or3_b32 v3, v3, v6, v5
	v_cvt_i32_f32_e32 v3, v3
.LBB38_1551:
	s_or_b64 exec, exec, s[18:19]
.LBB38_1552:
	s_mov_b64 s[20:21], -1
.LBB38_1553:
	s_branch .LBB38_1583
.LBB38_1554:
	s_cmp_gt_i32 s22, 22
	s_cbranch_scc0 .LBB38_1562
; %bb.1555:
	s_cmp_lt_i32 s22, 24
	s_cbranch_scc1 .LBB38_1565
; %bb.1556:
	s_cmp_gt_i32 s22, 24
	s_cbranch_scc0 .LBB38_1566
; %bb.1557:
	global_load_ubyte v5, v[0:1], off
	s_movk_i32 s4, 0x7f
	s_mov_b64 s[18:19], 0
	s_waitcnt vmcnt(0)
	v_cmp_lt_i16_e32 vcc, s4, v5
	s_and_saveexec_b64 s[4:5], vcc
	s_xor_b64 s[4:5], exec, s[4:5]
	s_cbranch_execz .LBB38_1577
; %bb.1558:
	s_movk_i32 s18, 0x80
	v_cmp_ne_u16_e32 vcc, s18, v5
	s_and_b64 s[18:19], vcc, exec
	s_andn2_saveexec_b64 s[4:5], s[4:5]
	s_cbranch_execnz .LBB38_1578
.LBB38_1559:
	s_or_b64 exec, exec, s[4:5]
	v_mov_b32_e32 v3, 0
	s_and_saveexec_b64 s[4:5], s[18:19]
	s_cbranch_execz .LBB38_1561
.LBB38_1560:
	v_lshlrev_b32_e32 v3, 24, v5
	v_and_b32_e32 v5, 0xffff, v5
	v_and_b32_e32 v6, 3, v5
	v_ffbh_u32_e32 v8, v6
	v_min_u32_e32 v8, 32, v8
	v_subrev_u32_e32 v9, 29, v8
	v_bfe_u32 v7, v5, 2, 5
	v_lshlrev_b32_e32 v5, v9, v5
	v_sub_u32_e32 v8, 30, v8
	v_and_b32_e32 v5, 3, v5
	v_cmp_eq_u32_e32 vcc, 0, v7
	v_cndmask_b32_e32 v7, v7, v8, vcc
	v_cndmask_b32_e32 v5, v6, v5, vcc
	v_mov_b32_e32 v6, 0x37800000
	v_lshlrev_b32_e32 v5, 21, v5
	v_and_b32_e32 v3, 0x80000000, v3
	v_lshl_add_u32 v6, v7, 23, v6
	v_or3_b32 v3, v3, v6, v5
	v_cvt_i32_f32_e32 v3, v3
.LBB38_1561:
	s_or_b64 exec, exec, s[4:5]
	s_mov_b64 s[4:5], 0
	s_branch .LBB38_1567
.LBB38_1562:
                                        ; implicit-def: $vgpr3
	s_mov_b64 s[4:5], 0
	s_branch .LBB38_1573
.LBB38_1563:
	s_andn2_saveexec_b64 s[18:19], s[18:19]
	s_cbranch_execz .LBB38_1549
.LBB38_1564:
	v_cmp_ne_u16_e32 vcc, 0, v5
	s_andn2_b64 s[20:21], s[20:21], exec
	s_and_b64 s[26:27], vcc, exec
	s_or_b64 s[20:21], s[20:21], s[26:27]
	s_or_b64 exec, exec, s[18:19]
	v_mov_b32_e32 v3, 0
	s_and_saveexec_b64 s[18:19], s[20:21]
	s_cbranch_execnz .LBB38_1550
	s_branch .LBB38_1551
.LBB38_1565:
	s_mov_b64 s[4:5], -1
                                        ; implicit-def: $vgpr3
	s_branch .LBB38_1570
.LBB38_1566:
	s_mov_b64 s[4:5], -1
                                        ; implicit-def: $vgpr3
.LBB38_1567:
	s_and_b64 vcc, exec, s[4:5]
	s_cbranch_vccz .LBB38_1569
; %bb.1568:
	global_load_ubyte v3, v[0:1], off
	s_mov_b32 s4, 0x7f800000
	s_waitcnt vmcnt(0)
	v_lshlrev_b32_e32 v3, 24, v3
	v_and_b32_e32 v5, 0x7f000000, v3
	v_ffbh_u32_e32 v6, v5
	v_min_u32_e32 v6, 32, v6
	v_sub_u32_e64 v6, v6, 4 clamp
	v_lshlrev_b32_e32 v8, v6, v5
	v_lshlrev_b32_e32 v6, 23, v6
	v_lshrrev_b32_e32 v8, 4, v8
	v_add_u32_e32 v7, 0x1000000, v5
	v_sub_u32_e32 v6, v8, v6
	v_ashrrev_i32_e32 v7, 8, v7
	v_add_u32_e32 v6, 0x3c000000, v6
	v_and_or_b32 v6, v7, s4, v6
	v_cmp_ne_u32_e32 vcc, 0, v5
	v_cndmask_b32_e32 v5, 0, v6, vcc
	s_brev_b32 s4, 1
	v_and_or_b32 v3, v3, s4, v5
	v_cvt_i32_f32_e32 v3, v3
.LBB38_1569:
	s_mov_b64 s[4:5], 0
.LBB38_1570:
	s_andn2_b64 vcc, exec, s[4:5]
	s_cbranch_vccnz .LBB38_1572
; %bb.1571:
	global_load_ubyte v3, v[0:1], off
	s_movk_i32 s4, 0x7f00
	s_brev_b32 s5, 16
	s_waitcnt vmcnt(0)
	v_lshlrev_b16_e32 v5, 8, v3
	v_lshlrev_b32_e32 v3, 25, v3
	v_lshrrev_b32_e32 v6, 4, v3
	v_and_or_b32 v7, v5, s4, 0.5
	v_or_b32_e32 v6, 0x70000000, v6
	v_add_f32_e32 v7, -0.5, v7
	v_mul_f32_e32 v6, 0x7800000, v6
	v_cmp_gt_u32_e32 vcc, s5, v3
	v_bfe_i32 v5, v5, 0, 16
	v_cndmask_b32_e32 v3, v6, v7, vcc
	s_brev_b32 s4, 1
	v_and_or_b32 v3, v5, s4, v3
	v_cvt_i32_f32_e32 v3, v3
.LBB38_1572:
	s_mov_b64 s[20:21], -1
	s_mov_b64 s[4:5], 0
	s_cbranch_execnz .LBB38_1583
.LBB38_1573:
	s_cmp_gt_i32 s22, 14
	s_cbranch_scc0 .LBB38_1576
; %bb.1574:
	s_cmp_eq_u32 s22, 15
	s_cbranch_scc0 .LBB38_1579
; %bb.1575:
	global_load_ushort v3, v[0:1], off
	s_mov_b64 s[0:1], 0
	s_mov_b64 s[20:21], -1
	s_waitcnt vmcnt(0)
	v_lshlrev_b32_e32 v3, 16, v3
	v_cvt_i32_f32_e32 v3, v3
	s_branch .LBB38_1580
.LBB38_1576:
	s_mov_b64 s[18:19], -1
                                        ; implicit-def: $vgpr3
	s_branch .LBB38_1581
.LBB38_1577:
	s_andn2_saveexec_b64 s[4:5], s[4:5]
	s_cbranch_execz .LBB38_1559
.LBB38_1578:
	v_cmp_ne_u16_e32 vcc, 0, v5
	s_andn2_b64 s[18:19], s[18:19], exec
	s_and_b64 s[20:21], vcc, exec
	s_or_b64 s[18:19], s[18:19], s[20:21]
	s_or_b64 exec, exec, s[4:5]
	v_mov_b32_e32 v3, 0
	s_and_saveexec_b64 s[4:5], s[18:19]
	s_cbranch_execnz .LBB38_1560
	s_branch .LBB38_1561
.LBB38_1579:
	s_mov_b64 s[0:1], -1
                                        ; implicit-def: $vgpr3
.LBB38_1580:
	s_mov_b64 s[18:19], 0
.LBB38_1581:
	s_and_b64 vcc, exec, s[18:19]
	s_cbranch_vccz .LBB38_1583
; %bb.1582:
	s_cmp_lg_u32 s22, 11
	s_mov_b64 s[4:5], -1
	s_cselect_b64 s[0:1], -1, 0
.LBB38_1583:
	s_and_b64 vcc, exec, s[0:1]
	s_mov_b64 s[18:19], s[16:17]
	s_cbranch_vccnz .LBB38_1644
; %bb.1584:
	s_andn2_b64 vcc, exec, s[4:5]
	s_cbranch_vccnz .LBB38_1586
.LBB38_1585:
	global_load_ubyte v3, v[0:1], off
	s_mov_b64 s[20:21], -1
	s_waitcnt vmcnt(0)
	v_cmp_ne_u16_e32 vcc, 0, v3
	v_cndmask_b32_e64 v3, 0, 1, vcc
.LBB38_1586:
	s_branch .LBB38_1521
.LBB38_1587:
	s_and_b32 s4, 0xffff, s24
	s_cmp_lt_i32 s4, 5
	s_cbranch_scc1 .LBB38_1592
; %bb.1588:
	s_cmp_lt_i32 s4, 8
	s_cbranch_scc1 .LBB38_1593
; %bb.1589:
	;; [unrolled: 3-line block ×3, first 2 shown]
	s_cmp_gt_i32 s4, 9
	s_cbranch_scc0 .LBB38_1595
; %bb.1591:
	global_load_dwordx2 v[5:6], v[0:1], off
	s_mov_b64 s[0:1], 0
	s_waitcnt vmcnt(0)
	v_cvt_i32_f64_e32 v3, v[5:6]
	s_branch .LBB38_1596
.LBB38_1592:
                                        ; implicit-def: $vgpr3
	s_branch .LBB38_1613
.LBB38_1593:
                                        ; implicit-def: $vgpr3
	s_branch .LBB38_1602
.LBB38_1594:
	s_mov_b64 s[0:1], -1
                                        ; implicit-def: $vgpr3
	s_branch .LBB38_1599
.LBB38_1595:
	s_mov_b64 s[0:1], -1
                                        ; implicit-def: $vgpr3
.LBB38_1596:
	s_andn2_b64 vcc, exec, s[0:1]
	s_cbranch_vccnz .LBB38_1598
; %bb.1597:
	global_load_dword v3, v[0:1], off
	s_waitcnt vmcnt(0)
	v_cvt_i32_f32_e32 v3, v3
.LBB38_1598:
	s_mov_b64 s[0:1], 0
.LBB38_1599:
	s_andn2_b64 vcc, exec, s[0:1]
	s_cbranch_vccnz .LBB38_1601
; %bb.1600:
	global_load_dword v3, v[0:1], off
	s_waitcnt vmcnt(0)
	v_cvt_f32_f16_e32 v3, v3
	v_cvt_i32_f32_e32 v3, v3
.LBB38_1601:
	s_cbranch_execnz .LBB38_1612
.LBB38_1602:
	s_cmp_lt_i32 s4, 6
	s_cbranch_scc1 .LBB38_1605
; %bb.1603:
	s_cmp_gt_i32 s4, 6
	s_cbranch_scc0 .LBB38_1606
; %bb.1604:
	global_load_dwordx2 v[5:6], v[0:1], off
	s_mov_b64 s[0:1], 0
	s_waitcnt vmcnt(0)
	v_cvt_i32_f64_e32 v3, v[5:6]
	s_branch .LBB38_1607
.LBB38_1605:
	s_mov_b64 s[0:1], -1
                                        ; implicit-def: $vgpr3
	s_branch .LBB38_1610
.LBB38_1606:
	s_mov_b64 s[0:1], -1
                                        ; implicit-def: $vgpr3
.LBB38_1607:
	s_andn2_b64 vcc, exec, s[0:1]
	s_cbranch_vccnz .LBB38_1609
; %bb.1608:
	global_load_dword v3, v[0:1], off
	s_waitcnt vmcnt(0)
	v_cvt_i32_f32_e32 v3, v3
.LBB38_1609:
	s_mov_b64 s[0:1], 0
.LBB38_1610:
	s_andn2_b64 vcc, exec, s[0:1]
	s_cbranch_vccnz .LBB38_1612
; %bb.1611:
	global_load_ushort v3, v[0:1], off
	s_waitcnt vmcnt(0)
	v_cvt_f32_f16_e32 v3, v3
	v_cvt_i32_f32_e32 v3, v3
.LBB38_1612:
	s_cbranch_execnz .LBB38_1631
.LBB38_1613:
	s_cmp_lt_i32 s4, 2
	s_cbranch_scc1 .LBB38_1617
; %bb.1614:
	s_cmp_lt_i32 s4, 3
	s_cbranch_scc1 .LBB38_1618
; %bb.1615:
	s_cmp_gt_i32 s4, 3
	s_cbranch_scc0 .LBB38_1619
; %bb.1616:
	global_load_dword v3, v[0:1], off
	s_mov_b64 s[0:1], 0
	s_branch .LBB38_1620
.LBB38_1617:
                                        ; implicit-def: $vgpr3
	s_branch .LBB38_1626
.LBB38_1618:
	s_mov_b64 s[0:1], -1
                                        ; implicit-def: $vgpr3
	s_branch .LBB38_1623
.LBB38_1619:
	s_mov_b64 s[0:1], -1
                                        ; implicit-def: $vgpr3
.LBB38_1620:
	s_andn2_b64 vcc, exec, s[0:1]
	s_cbranch_vccnz .LBB38_1622
; %bb.1621:
	global_load_dword v3, v[0:1], off
.LBB38_1622:
	s_mov_b64 s[0:1], 0
.LBB38_1623:
	s_andn2_b64 vcc, exec, s[0:1]
	s_cbranch_vccnz .LBB38_1625
; %bb.1624:
	global_load_sshort v3, v[0:1], off
.LBB38_1625:
	s_cbranch_execnz .LBB38_1631
.LBB38_1626:
	s_cmp_gt_i32 s4, 0
	s_cbranch_scc0 .LBB38_1628
; %bb.1627:
	global_load_sbyte v3, v[0:1], off
	s_mov_b64 s[0:1], 0
	s_branch .LBB38_1629
.LBB38_1628:
	s_mov_b64 s[0:1], -1
                                        ; implicit-def: $vgpr3
.LBB38_1629:
	s_andn2_b64 vcc, exec, s[0:1]
	s_cbranch_vccnz .LBB38_1631
; %bb.1630:
	global_load_ubyte v3, v[0:1], off
.LBB38_1631:
.LBB38_1632:
	v_mul_lo_u32 v6, s14, v2
	v_mov_b32_e32 v1, s3
	s_and_b32 s25, s56, 0xff
	s_cmp_lt_i32 s25, 11
	v_ashrrev_i32_e32 v5, 31, v6
	v_add_co_u32_e32 v0, vcc, s2, v6
	v_addc_co_u32_e32 v1, vcc, v1, v5, vcc
	s_cbranch_scc1 .LBB38_1639
; %bb.1633:
	s_and_b32 s26, 0xffff, s25
	s_cmp_gt_i32 s26, 25
	s_mov_b64 s[4:5], 0
	s_cbranch_scc0 .LBB38_1641
; %bb.1634:
	s_cmp_gt_i32 s26, 28
	s_cbranch_scc0 .LBB38_1642
; %bb.1635:
	s_cmp_gt_i32 s26, 43
	;; [unrolled: 3-line block ×3, first 2 shown]
	s_cbranch_scc0 .LBB38_1645
; %bb.1637:
	s_cmp_eq_u32 s26, 46
	s_mov_b64 s[22:23], 0
	s_cbranch_scc0 .LBB38_1648
; %bb.1638:
	global_load_dword v5, v[0:1], off
	s_mov_b64 s[0:1], 0
	s_mov_b64 s[20:21], -1
	s_waitcnt vmcnt(0)
	v_lshlrev_b32_e32 v5, 16, v5
	v_cvt_i32_f32_e32 v5, v5
	s_branch .LBB38_1649
.LBB38_1639:
	s_mov_b64 s[20:21], 0
                                        ; implicit-def: $vgpr5
	s_cbranch_execnz .LBB38_1710
.LBB38_1640:
	s_andn2_b64 vcc, exec, s[20:21]
	s_cbranch_vccnz .LBB38_2947
	s_branch .LBB38_1757
.LBB38_1641:
	s_mov_b64 s[20:21], 0
	s_mov_b64 s[0:1], 0
                                        ; implicit-def: $vgpr5
	s_cbranch_execnz .LBB38_1676
	s_branch .LBB38_1706
.LBB38_1642:
	s_mov_b64 s[22:23], -1
	s_mov_b64 s[20:21], 0
	s_mov_b64 s[0:1], 0
                                        ; implicit-def: $vgpr5
	s_branch .LBB38_1659
.LBB38_1643:
	s_mov_b64 s[22:23], -1
	s_mov_b64 s[20:21], 0
	s_mov_b64 s[0:1], 0
                                        ; implicit-def: $vgpr5
	s_branch .LBB38_1654
.LBB38_1644:
	s_or_b64 s[18:19], s[16:17], exec
	s_trap 2
	s_cbranch_execz .LBB38_1585
	s_branch .LBB38_1586
.LBB38_1645:
	s_mov_b64 s[22:23], -1
	s_mov_b64 s[20:21], 0
	s_mov_b64 s[0:1], 0
                                        ; implicit-def: $vgpr5
	s_branch .LBB38_1649
.LBB38_1646:
	s_andn2_saveexec_b64 s[30:31], s[30:31]
	s_cbranch_execz .LBB38_1433
.LBB38_1647:
	v_add_f32_e32 v2, 0x42800000, v3
	v_and_b32_e32 v2, 0xff, v2
	v_cmp_ne_u32_e32 vcc, 0, v2
	s_andn2_b64 s[28:29], s[28:29], exec
	s_and_b64 s[36:37], vcc, exec
	s_or_b64 s[28:29], s[28:29], s[36:37]
	s_or_b64 exec, exec, s[30:31]
	v_mov_b32_e32 v4, 0
	s_and_saveexec_b64 s[30:31], s[28:29]
	s_cbranch_execnz .LBB38_1434
	s_branch .LBB38_1435
.LBB38_1648:
	s_mov_b64 s[0:1], -1
                                        ; implicit-def: $vgpr5
	s_mov_b64 s[20:21], 0
.LBB38_1649:
	s_and_b64 vcc, exec, s[22:23]
	s_cbranch_vccz .LBB38_1653
; %bb.1650:
	s_cmp_eq_u32 s26, 44
	s_cbranch_scc0 .LBB38_1652
; %bb.1651:
	global_load_ubyte v5, v[0:1], off
	s_mov_b64 s[0:1], 0
	s_mov_b64 s[20:21], -1
	s_waitcnt vmcnt(0)
	v_lshlrev_b32_e32 v7, 23, v5
	v_cvt_i32_f32_e32 v7, v7
	v_cmp_ne_u32_e32 vcc, 0, v5
	v_cndmask_b32_e32 v5, 0, v7, vcc
	s_branch .LBB38_1653
.LBB38_1652:
	s_mov_b64 s[0:1], -1
                                        ; implicit-def: $vgpr5
.LBB38_1653:
	s_mov_b64 s[22:23], 0
.LBB38_1654:
	s_and_b64 vcc, exec, s[22:23]
	s_cbranch_vccz .LBB38_1658
; %bb.1655:
	s_cmp_eq_u32 s26, 29
	s_cbranch_scc0 .LBB38_1657
; %bb.1656:
	global_load_dword v5, v[0:1], off
	s_mov_b64 s[0:1], 0
	s_mov_b64 s[20:21], -1
	s_branch .LBB38_1658
.LBB38_1657:
	s_mov_b64 s[0:1], -1
                                        ; implicit-def: $vgpr5
.LBB38_1658:
	s_mov_b64 s[22:23], 0
.LBB38_1659:
	s_and_b64 vcc, exec, s[22:23]
	s_cbranch_vccz .LBB38_1675
; %bb.1660:
	s_cmp_lt_i32 s26, 27
	s_cbranch_scc1 .LBB38_1663
; %bb.1661:
	s_cmp_gt_i32 s26, 27
	s_cbranch_scc0 .LBB38_1664
; %bb.1662:
	global_load_dword v5, v[0:1], off
	s_mov_b64 s[20:21], 0
	s_branch .LBB38_1665
.LBB38_1663:
	s_mov_b64 s[20:21], -1
                                        ; implicit-def: $vgpr5
	s_branch .LBB38_1668
.LBB38_1664:
	s_mov_b64 s[20:21], -1
                                        ; implicit-def: $vgpr5
.LBB38_1665:
	s_andn2_b64 vcc, exec, s[20:21]
	s_cbranch_vccnz .LBB38_1667
; %bb.1666:
	global_load_ushort v5, v[0:1], off
.LBB38_1667:
	s_mov_b64 s[20:21], 0
.LBB38_1668:
	s_andn2_b64 vcc, exec, s[20:21]
	s_cbranch_vccnz .LBB38_1674
; %bb.1669:
	global_load_ubyte v7, v[0:1], off
	s_movk_i32 s20, 0x7f
	s_mov_b64 s[22:23], 0
	s_waitcnt vmcnt(0)
	v_cmp_lt_i16_e32 vcc, s20, v7
	s_and_saveexec_b64 s[20:21], vcc
	s_xor_b64 s[20:21], exec, s[20:21]
	s_cbranch_execz .LBB38_1685
; %bb.1670:
	s_movk_i32 s22, 0x80
	v_cmp_ne_u16_e32 vcc, s22, v7
	s_and_b64 s[22:23], vcc, exec
	s_andn2_saveexec_b64 s[20:21], s[20:21]
	s_cbranch_execnz .LBB38_1686
.LBB38_1671:
	s_or_b64 exec, exec, s[20:21]
	v_mov_b32_e32 v5, 0
	s_and_saveexec_b64 s[20:21], s[22:23]
	s_cbranch_execz .LBB38_1673
.LBB38_1672:
	v_lshlrev_b32_e32 v5, 24, v7
	v_and_b32_e32 v7, 0xffff, v7
	v_and_b32_e32 v8, 7, v7
	v_ffbh_u32_e32 v10, v8
	v_min_u32_e32 v10, 32, v10
	v_subrev_u32_e32 v11, 28, v10
	v_bfe_u32 v9, v7, 3, 4
	v_lshlrev_b32_e32 v7, v11, v7
	v_sub_u32_e32 v10, 29, v10
	v_and_b32_e32 v7, 7, v7
	v_cmp_eq_u32_e32 vcc, 0, v9
	v_cndmask_b32_e32 v9, v9, v10, vcc
	v_cndmask_b32_e32 v7, v8, v7, vcc
	v_mov_b32_e32 v8, 0x3b800000
	v_lshlrev_b32_e32 v7, 20, v7
	v_and_b32_e32 v5, 0x80000000, v5
	v_lshl_add_u32 v8, v9, 23, v8
	v_or3_b32 v5, v5, v8, v7
	v_cvt_i32_f32_e32 v5, v5
.LBB38_1673:
	s_or_b64 exec, exec, s[20:21]
.LBB38_1674:
	s_mov_b64 s[20:21], -1
.LBB38_1675:
	s_branch .LBB38_1706
.LBB38_1676:
	s_cmp_gt_i32 s26, 22
	s_cbranch_scc0 .LBB38_1684
; %bb.1677:
	s_cmp_lt_i32 s26, 24
	s_cbranch_scc1 .LBB38_1687
; %bb.1678:
	s_cmp_gt_i32 s26, 24
	s_cbranch_scc0 .LBB38_1688
; %bb.1679:
	global_load_ubyte v7, v[0:1], off
	s_movk_i32 s4, 0x7f
	s_mov_b64 s[20:21], 0
	s_waitcnt vmcnt(0)
	v_cmp_lt_i16_e32 vcc, s4, v7
	s_and_saveexec_b64 s[4:5], vcc
	s_xor_b64 s[4:5], exec, s[4:5]
	s_cbranch_execz .LBB38_1700
; %bb.1680:
	s_movk_i32 s20, 0x80
	v_cmp_ne_u16_e32 vcc, s20, v7
	s_and_b64 s[20:21], vcc, exec
	s_andn2_saveexec_b64 s[4:5], s[4:5]
	s_cbranch_execnz .LBB38_1701
.LBB38_1681:
	s_or_b64 exec, exec, s[4:5]
	v_mov_b32_e32 v5, 0
	s_and_saveexec_b64 s[4:5], s[20:21]
	s_cbranch_execz .LBB38_1683
.LBB38_1682:
	v_lshlrev_b32_e32 v5, 24, v7
	v_and_b32_e32 v7, 0xffff, v7
	v_and_b32_e32 v8, 3, v7
	v_ffbh_u32_e32 v10, v8
	v_min_u32_e32 v10, 32, v10
	v_subrev_u32_e32 v11, 29, v10
	v_bfe_u32 v9, v7, 2, 5
	v_lshlrev_b32_e32 v7, v11, v7
	v_sub_u32_e32 v10, 30, v10
	v_and_b32_e32 v7, 3, v7
	v_cmp_eq_u32_e32 vcc, 0, v9
	v_cndmask_b32_e32 v9, v9, v10, vcc
	v_cndmask_b32_e32 v7, v8, v7, vcc
	v_mov_b32_e32 v8, 0x37800000
	v_lshlrev_b32_e32 v7, 21, v7
	v_and_b32_e32 v5, 0x80000000, v5
	v_lshl_add_u32 v8, v9, 23, v8
	v_or3_b32 v5, v5, v8, v7
	v_cvt_i32_f32_e32 v5, v5
.LBB38_1683:
	s_or_b64 exec, exec, s[4:5]
	s_mov_b64 s[4:5], 0
	s_branch .LBB38_1689
.LBB38_1684:
	s_mov_b64 s[4:5], -1
                                        ; implicit-def: $vgpr5
	s_branch .LBB38_1695
.LBB38_1685:
	s_andn2_saveexec_b64 s[20:21], s[20:21]
	s_cbranch_execz .LBB38_1671
.LBB38_1686:
	v_cmp_ne_u16_e32 vcc, 0, v7
	s_andn2_b64 s[22:23], s[22:23], exec
	s_and_b64 s[28:29], vcc, exec
	s_or_b64 s[22:23], s[22:23], s[28:29]
	s_or_b64 exec, exec, s[20:21]
	v_mov_b32_e32 v5, 0
	s_and_saveexec_b64 s[20:21], s[22:23]
	s_cbranch_execnz .LBB38_1672
	s_branch .LBB38_1673
.LBB38_1687:
	s_mov_b64 s[4:5], -1
                                        ; implicit-def: $vgpr5
	s_branch .LBB38_1692
.LBB38_1688:
	s_mov_b64 s[4:5], -1
                                        ; implicit-def: $vgpr5
.LBB38_1689:
	s_and_b64 vcc, exec, s[4:5]
	s_cbranch_vccz .LBB38_1691
; %bb.1690:
	global_load_ubyte v5, v[0:1], off
	s_mov_b32 s4, 0x7f800000
	s_waitcnt vmcnt(0)
	v_lshlrev_b32_e32 v5, 24, v5
	v_and_b32_e32 v7, 0x7f000000, v5
	v_ffbh_u32_e32 v8, v7
	v_min_u32_e32 v8, 32, v8
	v_sub_u32_e64 v8, v8, 4 clamp
	v_lshlrev_b32_e32 v10, v8, v7
	v_lshlrev_b32_e32 v8, 23, v8
	v_lshrrev_b32_e32 v10, 4, v10
	v_add_u32_e32 v9, 0x1000000, v7
	v_sub_u32_e32 v8, v10, v8
	v_ashrrev_i32_e32 v9, 8, v9
	v_add_u32_e32 v8, 0x3c000000, v8
	v_and_or_b32 v8, v9, s4, v8
	v_cmp_ne_u32_e32 vcc, 0, v7
	v_cndmask_b32_e32 v7, 0, v8, vcc
	s_brev_b32 s4, 1
	v_and_or_b32 v5, v5, s4, v7
	v_cvt_i32_f32_e32 v5, v5
.LBB38_1691:
	s_mov_b64 s[4:5], 0
.LBB38_1692:
	s_andn2_b64 vcc, exec, s[4:5]
	s_cbranch_vccnz .LBB38_1694
; %bb.1693:
	global_load_ubyte v5, v[0:1], off
	s_movk_i32 s4, 0x7f00
	s_brev_b32 s5, 16
	s_waitcnt vmcnt(0)
	v_lshlrev_b16_e32 v7, 8, v5
	v_lshlrev_b32_e32 v5, 25, v5
	v_lshrrev_b32_e32 v8, 4, v5
	v_and_or_b32 v9, v7, s4, 0.5
	v_or_b32_e32 v8, 0x70000000, v8
	v_add_f32_e32 v9, -0.5, v9
	v_mul_f32_e32 v8, 0x7800000, v8
	v_cmp_gt_u32_e32 vcc, s5, v5
	v_bfe_i32 v7, v7, 0, 16
	v_cndmask_b32_e32 v5, v8, v9, vcc
	s_brev_b32 s4, 1
	v_and_or_b32 v5, v7, s4, v5
	v_cvt_i32_f32_e32 v5, v5
.LBB38_1694:
	s_mov_b64 s[4:5], 0
	s_mov_b64 s[20:21], -1
.LBB38_1695:
	s_andn2_b64 vcc, exec, s[4:5]
	s_mov_b64 s[4:5], 0
	s_cbranch_vccnz .LBB38_1706
; %bb.1696:
	s_cmp_gt_i32 s26, 14
	s_cbranch_scc0 .LBB38_1699
; %bb.1697:
	s_cmp_eq_u32 s26, 15
	s_cbranch_scc0 .LBB38_1702
; %bb.1698:
	global_load_ushort v5, v[0:1], off
	s_mov_b64 s[0:1], 0
	s_mov_b64 s[20:21], -1
	s_waitcnt vmcnt(0)
	v_lshlrev_b32_e32 v5, 16, v5
	v_cvt_i32_f32_e32 v5, v5
	s_branch .LBB38_1703
.LBB38_1699:
	s_mov_b64 s[22:23], -1
                                        ; implicit-def: $vgpr5
	s_branch .LBB38_1704
.LBB38_1700:
	s_andn2_saveexec_b64 s[4:5], s[4:5]
	s_cbranch_execz .LBB38_1681
.LBB38_1701:
	v_cmp_ne_u16_e32 vcc, 0, v7
	s_andn2_b64 s[20:21], s[20:21], exec
	s_and_b64 s[22:23], vcc, exec
	s_or_b64 s[20:21], s[20:21], s[22:23]
	s_or_b64 exec, exec, s[4:5]
	v_mov_b32_e32 v5, 0
	s_and_saveexec_b64 s[4:5], s[20:21]
	s_cbranch_execnz .LBB38_1682
	s_branch .LBB38_1683
.LBB38_1702:
	s_mov_b64 s[0:1], -1
                                        ; implicit-def: $vgpr5
.LBB38_1703:
	s_mov_b64 s[22:23], 0
.LBB38_1704:
	s_and_b64 vcc, exec, s[22:23]
	s_cbranch_vccz .LBB38_1706
; %bb.1705:
	s_cmp_lg_u32 s26, 11
	s_mov_b64 s[4:5], -1
	s_cselect_b64 s[0:1], -1, 0
.LBB38_1706:
	s_and_b64 vcc, exec, s[0:1]
	s_cbranch_vccnz .LBB38_1769
; %bb.1707:
	s_andn2_b64 vcc, exec, s[4:5]
	s_cbranch_vccnz .LBB38_1709
.LBB38_1708:
	global_load_ubyte v5, v[0:1], off
	s_mov_b64 s[20:21], -1
	s_waitcnt vmcnt(0)
	v_cmp_ne_u16_e32 vcc, 0, v5
	v_cndmask_b32_e64 v5, 0, 1, vcc
.LBB38_1709:
	s_branch .LBB38_1640
.LBB38_1710:
	s_and_b32 s4, 0xffff, s25
	s_cmp_lt_i32 s4, 5
	s_cbranch_scc1 .LBB38_1715
; %bb.1711:
	s_cmp_lt_i32 s4, 8
	s_cbranch_scc1 .LBB38_1716
; %bb.1712:
	;; [unrolled: 3-line block ×3, first 2 shown]
	s_cmp_gt_i32 s4, 9
	s_cbranch_scc0 .LBB38_1718
; %bb.1714:
	global_load_dwordx2 v[7:8], v[0:1], off
	s_mov_b64 s[0:1], 0
	s_waitcnt vmcnt(0)
	v_cvt_i32_f64_e32 v5, v[7:8]
	s_branch .LBB38_1719
.LBB38_1715:
                                        ; implicit-def: $vgpr5
	s_branch .LBB38_1737
.LBB38_1716:
	s_mov_b64 s[0:1], -1
                                        ; implicit-def: $vgpr5
	s_branch .LBB38_1725
.LBB38_1717:
	s_mov_b64 s[0:1], -1
                                        ; implicit-def: $vgpr5
	s_branch .LBB38_1722
.LBB38_1718:
	s_mov_b64 s[0:1], -1
                                        ; implicit-def: $vgpr5
.LBB38_1719:
	s_andn2_b64 vcc, exec, s[0:1]
	s_cbranch_vccnz .LBB38_1721
; %bb.1720:
	global_load_dword v5, v[0:1], off
	s_waitcnt vmcnt(0)
	v_cvt_i32_f32_e32 v5, v5
.LBB38_1721:
	s_mov_b64 s[0:1], 0
.LBB38_1722:
	s_andn2_b64 vcc, exec, s[0:1]
	s_cbranch_vccnz .LBB38_1724
; %bb.1723:
	global_load_dword v5, v[0:1], off
	s_waitcnt vmcnt(0)
	v_cvt_f32_f16_e32 v5, v5
	v_cvt_i32_f32_e32 v5, v5
.LBB38_1724:
	s_mov_b64 s[0:1], 0
.LBB38_1725:
	s_andn2_b64 vcc, exec, s[0:1]
	s_cbranch_vccnz .LBB38_1736
; %bb.1726:
	s_cmp_lt_i32 s4, 6
	s_cbranch_scc1 .LBB38_1729
; %bb.1727:
	s_cmp_gt_i32 s4, 6
	s_cbranch_scc0 .LBB38_1730
; %bb.1728:
	global_load_dwordx2 v[7:8], v[0:1], off
	s_mov_b64 s[0:1], 0
	s_waitcnt vmcnt(0)
	v_cvt_i32_f64_e32 v5, v[7:8]
	s_branch .LBB38_1731
.LBB38_1729:
	s_mov_b64 s[0:1], -1
                                        ; implicit-def: $vgpr5
	s_branch .LBB38_1734
.LBB38_1730:
	s_mov_b64 s[0:1], -1
                                        ; implicit-def: $vgpr5
.LBB38_1731:
	s_andn2_b64 vcc, exec, s[0:1]
	s_cbranch_vccnz .LBB38_1733
; %bb.1732:
	global_load_dword v5, v[0:1], off
	s_waitcnt vmcnt(0)
	v_cvt_i32_f32_e32 v5, v5
.LBB38_1733:
	s_mov_b64 s[0:1], 0
.LBB38_1734:
	s_andn2_b64 vcc, exec, s[0:1]
	s_cbranch_vccnz .LBB38_1736
; %bb.1735:
	global_load_ushort v5, v[0:1], off
	s_waitcnt vmcnt(0)
	v_cvt_f32_f16_e32 v5, v5
	v_cvt_i32_f32_e32 v5, v5
.LBB38_1736:
	s_cbranch_execnz .LBB38_1756
.LBB38_1737:
	s_cmp_lt_i32 s4, 2
	s_cbranch_scc1 .LBB38_1741
; %bb.1738:
	s_cmp_lt_i32 s4, 3
	s_cbranch_scc1 .LBB38_1742
; %bb.1739:
	s_cmp_gt_i32 s4, 3
	s_cbranch_scc0 .LBB38_1743
; %bb.1740:
	global_load_dword v5, v[0:1], off
	s_mov_b64 s[0:1], 0
	s_branch .LBB38_1744
.LBB38_1741:
	s_mov_b64 s[0:1], -1
                                        ; implicit-def: $vgpr5
	s_branch .LBB38_1750
.LBB38_1742:
	s_mov_b64 s[0:1], -1
                                        ; implicit-def: $vgpr5
	s_branch .LBB38_1747
.LBB38_1743:
	s_mov_b64 s[0:1], -1
                                        ; implicit-def: $vgpr5
.LBB38_1744:
	s_andn2_b64 vcc, exec, s[0:1]
	s_cbranch_vccnz .LBB38_1746
; %bb.1745:
	global_load_dword v5, v[0:1], off
.LBB38_1746:
	s_mov_b64 s[0:1], 0
.LBB38_1747:
	s_andn2_b64 vcc, exec, s[0:1]
	s_cbranch_vccnz .LBB38_1749
; %bb.1748:
	global_load_sshort v5, v[0:1], off
.LBB38_1749:
	s_mov_b64 s[0:1], 0
.LBB38_1750:
	s_andn2_b64 vcc, exec, s[0:1]
	s_cbranch_vccnz .LBB38_1756
; %bb.1751:
	s_cmp_gt_i32 s4, 0
	s_cbranch_scc0 .LBB38_1753
; %bb.1752:
	global_load_sbyte v5, v[0:1], off
	s_mov_b64 s[0:1], 0
	s_branch .LBB38_1754
.LBB38_1753:
	s_mov_b64 s[0:1], -1
                                        ; implicit-def: $vgpr5
.LBB38_1754:
	s_andn2_b64 vcc, exec, s[0:1]
	s_cbranch_vccnz .LBB38_1756
; %bb.1755:
	global_load_ubyte v5, v[0:1], off
.LBB38_1756:
.LBB38_1757:
	s_lshl_b32 s13, s13, 7
	v_add_u32_e32 v8, s13, v4
	v_ashrrev_i32_e32 v1, 31, v8
	v_mov_b32_e32 v4, s11
	v_add_co_u32_e32 v0, vcc, s10, v8
	s_cmp_lt_i32 s24, 11
	v_addc_co_u32_e32 v1, vcc, v4, v1, vcc
	s_cbranch_scc1 .LBB38_1764
; %bb.1758:
	s_and_b32 s26, 0xffff, s24
	s_cmp_gt_i32 s26, 25
	s_mov_b64 s[4:5], 0
	s_cbranch_scc0 .LBB38_1766
; %bb.1759:
	s_cmp_gt_i32 s26, 28
	s_cbranch_scc0 .LBB38_1767
; %bb.1760:
	s_cmp_gt_i32 s26, 43
	;; [unrolled: 3-line block ×3, first 2 shown]
	s_cbranch_scc0 .LBB38_1770
; %bb.1762:
	s_cmp_eq_u32 s26, 46
	s_mov_b64 s[22:23], 0
	s_cbranch_scc0 .LBB38_1771
; %bb.1763:
	global_load_dword v4, v[0:1], off
	s_mov_b64 s[0:1], 0
	s_mov_b64 s[20:21], -1
	s_waitcnt vmcnt(0)
	v_lshlrev_b32_e32 v4, 16, v4
	v_cvt_i32_f32_e32 v4, v4
	s_branch .LBB38_1772
.LBB38_1764:
	s_mov_b64 s[20:21], 0
                                        ; implicit-def: $vgpr4
	s_cbranch_execnz .LBB38_1834
.LBB38_1765:
	s_andn2_b64 vcc, exec, s[20:21]
	s_cbranch_vccnz .LBB38_2947
	s_branch .LBB38_1882
.LBB38_1766:
	s_mov_b64 s[22:23], -1
	s_mov_b64 s[20:21], 0
	s_mov_b64 s[0:1], 0
                                        ; implicit-def: $vgpr4
	s_branch .LBB38_1799
.LBB38_1767:
	s_mov_b64 s[22:23], -1
	s_mov_b64 s[20:21], 0
	s_mov_b64 s[0:1], 0
                                        ; implicit-def: $vgpr4
	s_branch .LBB38_1782
.LBB38_1768:
	s_mov_b64 s[22:23], -1
	s_mov_b64 s[20:21], 0
	s_mov_b64 s[0:1], 0
                                        ; implicit-def: $vgpr4
	s_branch .LBB38_1777
.LBB38_1769:
	s_trap 2
	s_or_b64 s[18:19], s[18:19], exec
	s_cbranch_execz .LBB38_1708
	s_branch .LBB38_1709
.LBB38_1770:
	s_mov_b64 s[22:23], -1
	s_mov_b64 s[20:21], 0
	s_mov_b64 s[0:1], 0
                                        ; implicit-def: $vgpr4
	s_branch .LBB38_1772
.LBB38_1771:
	s_mov_b64 s[0:1], -1
                                        ; implicit-def: $vgpr4
	s_mov_b64 s[20:21], 0
.LBB38_1772:
	s_and_b64 vcc, exec, s[22:23]
	s_cbranch_vccz .LBB38_1776
; %bb.1773:
	s_cmp_eq_u32 s26, 44
	s_cbranch_scc0 .LBB38_1775
; %bb.1774:
	global_load_ubyte v4, v[0:1], off
	s_mov_b64 s[0:1], 0
	s_mov_b64 s[20:21], -1
	s_waitcnt vmcnt(0)
	v_lshlrev_b32_e32 v7, 23, v4
	v_cvt_i32_f32_e32 v7, v7
	v_cmp_ne_u32_e32 vcc, 0, v4
	v_cndmask_b32_e32 v4, 0, v7, vcc
	s_branch .LBB38_1776
.LBB38_1775:
	s_mov_b64 s[0:1], -1
                                        ; implicit-def: $vgpr4
.LBB38_1776:
	s_mov_b64 s[22:23], 0
.LBB38_1777:
	s_and_b64 vcc, exec, s[22:23]
	s_cbranch_vccz .LBB38_1781
; %bb.1778:
	s_cmp_eq_u32 s26, 29
	s_cbranch_scc0 .LBB38_1780
; %bb.1779:
	global_load_dword v4, v[0:1], off
	s_mov_b64 s[0:1], 0
	s_mov_b64 s[20:21], -1
	s_branch .LBB38_1781
.LBB38_1780:
	s_mov_b64 s[0:1], -1
                                        ; implicit-def: $vgpr4
.LBB38_1781:
	s_mov_b64 s[22:23], 0
.LBB38_1782:
	s_and_b64 vcc, exec, s[22:23]
	s_cbranch_vccz .LBB38_1798
; %bb.1783:
	s_cmp_lt_i32 s26, 27
	s_cbranch_scc1 .LBB38_1786
; %bb.1784:
	s_cmp_gt_i32 s26, 27
	s_cbranch_scc0 .LBB38_1787
; %bb.1785:
	global_load_dword v4, v[0:1], off
	s_mov_b64 s[20:21], 0
	s_branch .LBB38_1788
.LBB38_1786:
	s_mov_b64 s[20:21], -1
                                        ; implicit-def: $vgpr4
	s_branch .LBB38_1791
.LBB38_1787:
	s_mov_b64 s[20:21], -1
                                        ; implicit-def: $vgpr4
.LBB38_1788:
	s_andn2_b64 vcc, exec, s[20:21]
	s_cbranch_vccnz .LBB38_1790
; %bb.1789:
	global_load_ushort v4, v[0:1], off
.LBB38_1790:
	s_mov_b64 s[20:21], 0
.LBB38_1791:
	s_andn2_b64 vcc, exec, s[20:21]
	s_cbranch_vccnz .LBB38_1797
; %bb.1792:
	global_load_ubyte v7, v[0:1], off
	s_movk_i32 s20, 0x7f
	s_mov_b64 s[22:23], 0
	s_waitcnt vmcnt(0)
	v_cmp_lt_i16_e32 vcc, s20, v7
	s_and_saveexec_b64 s[20:21], vcc
	s_xor_b64 s[20:21], exec, s[20:21]
	s_cbranch_execz .LBB38_1809
; %bb.1793:
	s_movk_i32 s22, 0x80
	v_cmp_ne_u16_e32 vcc, s22, v7
	s_and_b64 s[22:23], vcc, exec
	s_andn2_saveexec_b64 s[20:21], s[20:21]
	s_cbranch_execnz .LBB38_1810
.LBB38_1794:
	s_or_b64 exec, exec, s[20:21]
	v_mov_b32_e32 v4, 0
	s_and_saveexec_b64 s[20:21], s[22:23]
	s_cbranch_execz .LBB38_1796
.LBB38_1795:
	v_lshlrev_b32_e32 v4, 24, v7
	v_and_b32_e32 v7, 0xffff, v7
	v_and_b32_e32 v9, 7, v7
	v_ffbh_u32_e32 v11, v9
	v_min_u32_e32 v11, 32, v11
	v_subrev_u32_e32 v12, 28, v11
	v_bfe_u32 v10, v7, 3, 4
	v_lshlrev_b32_e32 v7, v12, v7
	v_sub_u32_e32 v11, 29, v11
	v_and_b32_e32 v7, 7, v7
	v_cmp_eq_u32_e32 vcc, 0, v10
	v_cndmask_b32_e32 v10, v10, v11, vcc
	v_cndmask_b32_e32 v7, v9, v7, vcc
	v_mov_b32_e32 v9, 0x3b800000
	v_lshlrev_b32_e32 v7, 20, v7
	v_and_b32_e32 v4, 0x80000000, v4
	v_lshl_add_u32 v9, v10, 23, v9
	v_or3_b32 v4, v4, v9, v7
	v_cvt_i32_f32_e32 v4, v4
.LBB38_1796:
	s_or_b64 exec, exec, s[20:21]
.LBB38_1797:
	s_mov_b64 s[20:21], -1
.LBB38_1798:
	s_mov_b64 s[22:23], 0
.LBB38_1799:
	s_and_b64 vcc, exec, s[22:23]
	s_cbranch_vccz .LBB38_1830
; %bb.1800:
	s_cmp_gt_i32 s26, 22
	s_cbranch_scc0 .LBB38_1808
; %bb.1801:
	s_cmp_lt_i32 s26, 24
	s_cbranch_scc1 .LBB38_1811
; %bb.1802:
	s_cmp_gt_i32 s26, 24
	s_cbranch_scc0 .LBB38_1812
; %bb.1803:
	global_load_ubyte v7, v[0:1], off
	s_movk_i32 s4, 0x7f
	s_mov_b64 s[20:21], 0
	s_waitcnt vmcnt(0)
	v_cmp_lt_i16_e32 vcc, s4, v7
	s_and_saveexec_b64 s[4:5], vcc
	s_xor_b64 s[4:5], exec, s[4:5]
	s_cbranch_execz .LBB38_1824
; %bb.1804:
	s_movk_i32 s20, 0x80
	v_cmp_ne_u16_e32 vcc, s20, v7
	s_and_b64 s[20:21], vcc, exec
	s_andn2_saveexec_b64 s[4:5], s[4:5]
	s_cbranch_execnz .LBB38_1825
.LBB38_1805:
	s_or_b64 exec, exec, s[4:5]
	v_mov_b32_e32 v4, 0
	s_and_saveexec_b64 s[4:5], s[20:21]
	s_cbranch_execz .LBB38_1807
.LBB38_1806:
	v_lshlrev_b32_e32 v4, 24, v7
	v_and_b32_e32 v7, 0xffff, v7
	v_and_b32_e32 v9, 3, v7
	v_ffbh_u32_e32 v11, v9
	v_min_u32_e32 v11, 32, v11
	v_subrev_u32_e32 v12, 29, v11
	v_bfe_u32 v10, v7, 2, 5
	v_lshlrev_b32_e32 v7, v12, v7
	v_sub_u32_e32 v11, 30, v11
	v_and_b32_e32 v7, 3, v7
	v_cmp_eq_u32_e32 vcc, 0, v10
	v_cndmask_b32_e32 v10, v10, v11, vcc
	v_cndmask_b32_e32 v7, v9, v7, vcc
	v_mov_b32_e32 v9, 0x37800000
	v_lshlrev_b32_e32 v7, 21, v7
	v_and_b32_e32 v4, 0x80000000, v4
	v_lshl_add_u32 v9, v10, 23, v9
	v_or3_b32 v4, v4, v9, v7
	v_cvt_i32_f32_e32 v4, v4
.LBB38_1807:
	s_or_b64 exec, exec, s[4:5]
	s_mov_b64 s[4:5], 0
	s_branch .LBB38_1813
.LBB38_1808:
	s_mov_b64 s[4:5], -1
                                        ; implicit-def: $vgpr4
	s_branch .LBB38_1819
.LBB38_1809:
	s_andn2_saveexec_b64 s[20:21], s[20:21]
	s_cbranch_execz .LBB38_1794
.LBB38_1810:
	v_cmp_ne_u16_e32 vcc, 0, v7
	s_andn2_b64 s[22:23], s[22:23], exec
	s_and_b64 s[28:29], vcc, exec
	s_or_b64 s[22:23], s[22:23], s[28:29]
	s_or_b64 exec, exec, s[20:21]
	v_mov_b32_e32 v4, 0
	s_and_saveexec_b64 s[20:21], s[22:23]
	s_cbranch_execnz .LBB38_1795
	s_branch .LBB38_1796
.LBB38_1811:
	s_mov_b64 s[4:5], -1
                                        ; implicit-def: $vgpr4
	s_branch .LBB38_1816
.LBB38_1812:
	s_mov_b64 s[4:5], -1
                                        ; implicit-def: $vgpr4
.LBB38_1813:
	s_and_b64 vcc, exec, s[4:5]
	s_cbranch_vccz .LBB38_1815
; %bb.1814:
	global_load_ubyte v4, v[0:1], off
	s_mov_b32 s4, 0x7f800000
	s_waitcnt vmcnt(0)
	v_lshlrev_b32_e32 v4, 24, v4
	v_and_b32_e32 v7, 0x7f000000, v4
	v_ffbh_u32_e32 v9, v7
	v_min_u32_e32 v9, 32, v9
	v_sub_u32_e64 v9, v9, 4 clamp
	v_lshlrev_b32_e32 v11, v9, v7
	v_lshlrev_b32_e32 v9, 23, v9
	v_lshrrev_b32_e32 v11, 4, v11
	v_add_u32_e32 v10, 0x1000000, v7
	v_sub_u32_e32 v9, v11, v9
	v_ashrrev_i32_e32 v10, 8, v10
	v_add_u32_e32 v9, 0x3c000000, v9
	v_and_or_b32 v9, v10, s4, v9
	v_cmp_ne_u32_e32 vcc, 0, v7
	v_cndmask_b32_e32 v7, 0, v9, vcc
	s_brev_b32 s4, 1
	v_and_or_b32 v4, v4, s4, v7
	v_cvt_i32_f32_e32 v4, v4
.LBB38_1815:
	s_mov_b64 s[4:5], 0
.LBB38_1816:
	s_andn2_b64 vcc, exec, s[4:5]
	s_cbranch_vccnz .LBB38_1818
; %bb.1817:
	global_load_ubyte v4, v[0:1], off
	s_movk_i32 s4, 0x7f00
	s_brev_b32 s5, 16
	s_waitcnt vmcnt(0)
	v_lshlrev_b16_e32 v7, 8, v4
	v_lshlrev_b32_e32 v4, 25, v4
	v_lshrrev_b32_e32 v9, 4, v4
	v_and_or_b32 v10, v7, s4, 0.5
	v_or_b32_e32 v9, 0x70000000, v9
	v_add_f32_e32 v10, -0.5, v10
	v_mul_f32_e32 v9, 0x7800000, v9
	v_cmp_gt_u32_e32 vcc, s5, v4
	v_bfe_i32 v7, v7, 0, 16
	v_cndmask_b32_e32 v4, v9, v10, vcc
	s_brev_b32 s4, 1
	v_and_or_b32 v4, v7, s4, v4
	v_cvt_i32_f32_e32 v4, v4
.LBB38_1818:
	s_mov_b64 s[4:5], 0
	s_mov_b64 s[20:21], -1
.LBB38_1819:
	s_andn2_b64 vcc, exec, s[4:5]
	s_mov_b64 s[4:5], 0
	s_cbranch_vccnz .LBB38_1830
; %bb.1820:
	s_cmp_gt_i32 s26, 14
	s_cbranch_scc0 .LBB38_1823
; %bb.1821:
	s_cmp_eq_u32 s26, 15
	s_cbranch_scc0 .LBB38_1826
; %bb.1822:
	global_load_ushort v4, v[0:1], off
	s_mov_b64 s[0:1], 0
	s_mov_b64 s[20:21], -1
	s_waitcnt vmcnt(0)
	v_lshlrev_b32_e32 v4, 16, v4
	v_cvt_i32_f32_e32 v4, v4
	s_branch .LBB38_1827
.LBB38_1823:
	s_mov_b64 s[22:23], -1
                                        ; implicit-def: $vgpr4
	s_branch .LBB38_1828
.LBB38_1824:
	s_andn2_saveexec_b64 s[4:5], s[4:5]
	s_cbranch_execz .LBB38_1805
.LBB38_1825:
	v_cmp_ne_u16_e32 vcc, 0, v7
	s_andn2_b64 s[20:21], s[20:21], exec
	s_and_b64 s[22:23], vcc, exec
	s_or_b64 s[20:21], s[20:21], s[22:23]
	s_or_b64 exec, exec, s[4:5]
	v_mov_b32_e32 v4, 0
	s_and_saveexec_b64 s[4:5], s[20:21]
	s_cbranch_execnz .LBB38_1806
	s_branch .LBB38_1807
.LBB38_1826:
	s_mov_b64 s[0:1], -1
                                        ; implicit-def: $vgpr4
.LBB38_1827:
	s_mov_b64 s[22:23], 0
.LBB38_1828:
	s_and_b64 vcc, exec, s[22:23]
	s_cbranch_vccz .LBB38_1830
; %bb.1829:
	s_cmp_lg_u32 s26, 11
	s_mov_b64 s[4:5], -1
	s_cselect_b64 s[0:1], -1, 0
.LBB38_1830:
	s_and_b64 vcc, exec, s[0:1]
	s_cbranch_vccnz .LBB38_1893
; %bb.1831:
	s_andn2_b64 vcc, exec, s[4:5]
	s_cbranch_vccnz .LBB38_1833
.LBB38_1832:
	global_load_ubyte v4, v[0:1], off
	s_mov_b64 s[20:21], -1
	s_waitcnt vmcnt(0)
	v_cmp_ne_u16_e32 vcc, 0, v4
	v_cndmask_b32_e64 v4, 0, 1, vcc
.LBB38_1833:
	s_branch .LBB38_1765
.LBB38_1834:
	s_and_b32 s4, 0xffff, s24
	s_cmp_lt_i32 s4, 5
	s_cbranch_scc1 .LBB38_1839
; %bb.1835:
	s_cmp_lt_i32 s4, 8
	s_cbranch_scc1 .LBB38_1840
; %bb.1836:
	;; [unrolled: 3-line block ×3, first 2 shown]
	s_cmp_gt_i32 s4, 9
	s_cbranch_scc0 .LBB38_1842
; %bb.1838:
	global_load_dwordx2 v[9:10], v[0:1], off
	s_mov_b64 s[0:1], 0
	s_waitcnt vmcnt(0)
	v_cvt_i32_f64_e32 v4, v[9:10]
	s_branch .LBB38_1843
.LBB38_1839:
	s_mov_b64 s[0:1], -1
                                        ; implicit-def: $vgpr4
	s_branch .LBB38_1861
.LBB38_1840:
	s_mov_b64 s[0:1], -1
                                        ; implicit-def: $vgpr4
	s_branch .LBB38_1849
.LBB38_1841:
	s_mov_b64 s[0:1], -1
                                        ; implicit-def: $vgpr4
	s_branch .LBB38_1846
.LBB38_1842:
	s_mov_b64 s[0:1], -1
                                        ; implicit-def: $vgpr4
.LBB38_1843:
	s_andn2_b64 vcc, exec, s[0:1]
	s_cbranch_vccnz .LBB38_1845
; %bb.1844:
	global_load_dword v4, v[0:1], off
	s_waitcnt vmcnt(0)
	v_cvt_i32_f32_e32 v4, v4
.LBB38_1845:
	s_mov_b64 s[0:1], 0
.LBB38_1846:
	s_andn2_b64 vcc, exec, s[0:1]
	s_cbranch_vccnz .LBB38_1848
; %bb.1847:
	global_load_dword v4, v[0:1], off
	s_waitcnt vmcnt(0)
	v_cvt_f32_f16_e32 v4, v4
	v_cvt_i32_f32_e32 v4, v4
.LBB38_1848:
	s_mov_b64 s[0:1], 0
.LBB38_1849:
	s_andn2_b64 vcc, exec, s[0:1]
	s_cbranch_vccnz .LBB38_1860
; %bb.1850:
	s_cmp_lt_i32 s4, 6
	s_cbranch_scc1 .LBB38_1853
; %bb.1851:
	s_cmp_gt_i32 s4, 6
	s_cbranch_scc0 .LBB38_1854
; %bb.1852:
	global_load_dwordx2 v[9:10], v[0:1], off
	s_mov_b64 s[0:1], 0
	s_waitcnt vmcnt(0)
	v_cvt_i32_f64_e32 v4, v[9:10]
	s_branch .LBB38_1855
.LBB38_1853:
	s_mov_b64 s[0:1], -1
                                        ; implicit-def: $vgpr4
	s_branch .LBB38_1858
.LBB38_1854:
	s_mov_b64 s[0:1], -1
                                        ; implicit-def: $vgpr4
.LBB38_1855:
	s_andn2_b64 vcc, exec, s[0:1]
	s_cbranch_vccnz .LBB38_1857
; %bb.1856:
	global_load_dword v4, v[0:1], off
	s_waitcnt vmcnt(0)
	v_cvt_i32_f32_e32 v4, v4
.LBB38_1857:
	s_mov_b64 s[0:1], 0
.LBB38_1858:
	s_andn2_b64 vcc, exec, s[0:1]
	s_cbranch_vccnz .LBB38_1860
; %bb.1859:
	global_load_ushort v4, v[0:1], off
	s_waitcnt vmcnt(0)
	v_cvt_f32_f16_e32 v4, v4
	v_cvt_i32_f32_e32 v4, v4
.LBB38_1860:
	s_mov_b64 s[0:1], 0
.LBB38_1861:
	s_andn2_b64 vcc, exec, s[0:1]
	s_cbranch_vccnz .LBB38_1881
; %bb.1862:
	s_cmp_lt_i32 s4, 2
	s_cbranch_scc1 .LBB38_1866
; %bb.1863:
	s_cmp_lt_i32 s4, 3
	s_cbranch_scc1 .LBB38_1867
; %bb.1864:
	s_cmp_gt_i32 s4, 3
	s_cbranch_scc0 .LBB38_1868
; %bb.1865:
	global_load_dword v4, v[0:1], off
	s_mov_b64 s[0:1], 0
	s_branch .LBB38_1869
.LBB38_1866:
	s_mov_b64 s[0:1], -1
                                        ; implicit-def: $vgpr4
	s_branch .LBB38_1875
.LBB38_1867:
	s_mov_b64 s[0:1], -1
                                        ; implicit-def: $vgpr4
	s_branch .LBB38_1872
.LBB38_1868:
	s_mov_b64 s[0:1], -1
                                        ; implicit-def: $vgpr4
.LBB38_1869:
	s_andn2_b64 vcc, exec, s[0:1]
	s_cbranch_vccnz .LBB38_1871
; %bb.1870:
	global_load_dword v4, v[0:1], off
.LBB38_1871:
	s_mov_b64 s[0:1], 0
.LBB38_1872:
	s_andn2_b64 vcc, exec, s[0:1]
	s_cbranch_vccnz .LBB38_1874
; %bb.1873:
	global_load_sshort v4, v[0:1], off
.LBB38_1874:
	s_mov_b64 s[0:1], 0
.LBB38_1875:
	s_andn2_b64 vcc, exec, s[0:1]
	s_cbranch_vccnz .LBB38_1881
; %bb.1876:
	s_cmp_gt_i32 s4, 0
	s_cbranch_scc0 .LBB38_1878
; %bb.1877:
	global_load_sbyte v4, v[0:1], off
	s_mov_b64 s[0:1], 0
	s_branch .LBB38_1879
.LBB38_1878:
	s_mov_b64 s[0:1], -1
                                        ; implicit-def: $vgpr4
.LBB38_1879:
	s_andn2_b64 vcc, exec, s[0:1]
	s_cbranch_vccnz .LBB38_1881
; %bb.1880:
	global_load_ubyte v4, v[0:1], off
.LBB38_1881:
.LBB38_1882:
	s_lshl_b32 s14, s14, 7
	v_add_u32_e32 v9, s14, v6
	v_ashrrev_i32_e32 v1, 31, v9
	v_mov_b32_e32 v6, s3
	v_add_co_u32_e32 v0, vcc, s2, v9
	s_cmp_lt_i32 s25, 11
	v_addc_co_u32_e32 v1, vcc, v6, v1, vcc
	s_cbranch_scc1 .LBB38_1889
; %bb.1883:
	s_and_b32 s26, 0xffff, s25
	s_cmp_gt_i32 s26, 25
	s_mov_b64 s[4:5], 0
	s_cbranch_scc0 .LBB38_1890
; %bb.1884:
	s_cmp_gt_i32 s26, 28
	s_cbranch_scc0 .LBB38_1891
; %bb.1885:
	s_cmp_gt_i32 s26, 43
	;; [unrolled: 3-line block ×3, first 2 shown]
	s_cbranch_scc0 .LBB38_1894
; %bb.1887:
	s_cmp_eq_u32 s26, 46
	s_mov_b64 s[22:23], 0
	s_cbranch_scc0 .LBB38_1895
; %bb.1888:
	global_load_dword v6, v[0:1], off
	s_mov_b64 s[0:1], 0
	s_mov_b64 s[20:21], -1
	s_waitcnt vmcnt(0)
	v_lshlrev_b32_e32 v6, 16, v6
	v_cvt_i32_f32_e32 v7, v6
	s_branch .LBB38_1896
.LBB38_1889:
	s_mov_b64 s[0:1], -1
	s_mov_b64 s[20:21], 0
                                        ; implicit-def: $vgpr7
	s_branch .LBB38_1958
.LBB38_1890:
	s_mov_b64 s[22:23], -1
	s_mov_b64 s[20:21], 0
	s_mov_b64 s[0:1], 0
                                        ; implicit-def: $vgpr7
	s_branch .LBB38_1923
.LBB38_1891:
	s_mov_b64 s[22:23], -1
	s_mov_b64 s[20:21], 0
	s_mov_b64 s[0:1], 0
                                        ; implicit-def: $vgpr7
	s_branch .LBB38_1906
.LBB38_1892:
	s_mov_b64 s[22:23], -1
	s_mov_b64 s[20:21], 0
	s_mov_b64 s[0:1], 0
                                        ; implicit-def: $vgpr7
	s_branch .LBB38_1901
.LBB38_1893:
	s_trap 2
	s_or_b64 s[18:19], s[18:19], exec
	s_cbranch_execz .LBB38_1832
	s_branch .LBB38_1833
.LBB38_1894:
	s_mov_b64 s[22:23], -1
	s_mov_b64 s[20:21], 0
	s_mov_b64 s[0:1], 0
                                        ; implicit-def: $vgpr7
	s_branch .LBB38_1896
.LBB38_1895:
	s_mov_b64 s[0:1], -1
                                        ; implicit-def: $vgpr7
	s_mov_b64 s[20:21], 0
.LBB38_1896:
	s_and_b64 vcc, exec, s[22:23]
	s_cbranch_vccz .LBB38_1900
; %bb.1897:
	s_cmp_eq_u32 s26, 44
	s_cbranch_scc0 .LBB38_1899
; %bb.1898:
	global_load_ubyte v6, v[0:1], off
	s_mov_b64 s[0:1], 0
	s_mov_b64 s[20:21], -1
	s_waitcnt vmcnt(0)
	v_lshlrev_b32_e32 v7, 23, v6
	v_cvt_i32_f32_e32 v7, v7
	v_cmp_ne_u32_e32 vcc, 0, v6
	v_cndmask_b32_e32 v7, 0, v7, vcc
	s_branch .LBB38_1900
.LBB38_1899:
	s_mov_b64 s[0:1], -1
                                        ; implicit-def: $vgpr7
.LBB38_1900:
	s_mov_b64 s[22:23], 0
.LBB38_1901:
	s_and_b64 vcc, exec, s[22:23]
	s_cbranch_vccz .LBB38_1905
; %bb.1902:
	s_cmp_eq_u32 s26, 29
	s_cbranch_scc0 .LBB38_1904
; %bb.1903:
	global_load_dword v7, v[0:1], off
	s_mov_b64 s[0:1], 0
	s_mov_b64 s[20:21], -1
	s_branch .LBB38_1905
.LBB38_1904:
	s_mov_b64 s[0:1], -1
                                        ; implicit-def: $vgpr7
.LBB38_1905:
	s_mov_b64 s[22:23], 0
.LBB38_1906:
	s_and_b64 vcc, exec, s[22:23]
	s_cbranch_vccz .LBB38_1922
; %bb.1907:
	s_cmp_lt_i32 s26, 27
	s_cbranch_scc1 .LBB38_1910
; %bb.1908:
	s_cmp_gt_i32 s26, 27
	s_cbranch_scc0 .LBB38_1911
; %bb.1909:
	global_load_dword v7, v[0:1], off
	s_mov_b64 s[20:21], 0
	s_branch .LBB38_1912
.LBB38_1910:
	s_mov_b64 s[20:21], -1
                                        ; implicit-def: $vgpr7
	s_branch .LBB38_1915
.LBB38_1911:
	s_mov_b64 s[20:21], -1
                                        ; implicit-def: $vgpr7
.LBB38_1912:
	s_andn2_b64 vcc, exec, s[20:21]
	s_cbranch_vccnz .LBB38_1914
; %bb.1913:
	global_load_ushort v7, v[0:1], off
.LBB38_1914:
	s_mov_b64 s[20:21], 0
.LBB38_1915:
	s_andn2_b64 vcc, exec, s[20:21]
	s_cbranch_vccnz .LBB38_1921
; %bb.1916:
	global_load_ubyte v6, v[0:1], off
	s_movk_i32 s20, 0x7f
	s_mov_b64 s[22:23], 0
	s_waitcnt vmcnt(0)
	v_cmp_lt_i16_e32 vcc, s20, v6
	s_and_saveexec_b64 s[20:21], vcc
	s_xor_b64 s[20:21], exec, s[20:21]
	s_cbranch_execz .LBB38_1933
; %bb.1917:
	s_movk_i32 s22, 0x80
	v_cmp_ne_u16_e32 vcc, s22, v6
	s_and_b64 s[22:23], vcc, exec
	s_andn2_saveexec_b64 s[20:21], s[20:21]
	s_cbranch_execnz .LBB38_1934
.LBB38_1918:
	s_or_b64 exec, exec, s[20:21]
	v_mov_b32_e32 v7, 0
	s_and_saveexec_b64 s[20:21], s[22:23]
	s_cbranch_execz .LBB38_1920
.LBB38_1919:
	v_lshlrev_b32_e32 v7, 24, v6
	v_and_b32_e32 v6, 0xffff, v6
	v_and_b32_e32 v10, 7, v6
	v_ffbh_u32_e32 v12, v10
	v_min_u32_e32 v12, 32, v12
	v_subrev_u32_e32 v13, 28, v12
	v_bfe_u32 v11, v6, 3, 4
	v_lshlrev_b32_e32 v6, v13, v6
	v_sub_u32_e32 v12, 29, v12
	v_and_b32_e32 v6, 7, v6
	v_cmp_eq_u32_e32 vcc, 0, v11
	v_cndmask_b32_e32 v11, v11, v12, vcc
	v_cndmask_b32_e32 v6, v10, v6, vcc
	v_mov_b32_e32 v10, 0x3b800000
	v_lshlrev_b32_e32 v6, 20, v6
	v_and_b32_e32 v7, 0x80000000, v7
	v_lshl_add_u32 v10, v11, 23, v10
	v_or3_b32 v6, v7, v10, v6
	v_cvt_i32_f32_e32 v7, v6
.LBB38_1920:
	s_or_b64 exec, exec, s[20:21]
.LBB38_1921:
	s_mov_b64 s[20:21], -1
.LBB38_1922:
	s_mov_b64 s[22:23], 0
.LBB38_1923:
	s_and_b64 vcc, exec, s[22:23]
	s_cbranch_vccz .LBB38_1954
; %bb.1924:
	s_cmp_gt_i32 s26, 22
	s_cbranch_scc0 .LBB38_1932
; %bb.1925:
	s_cmp_lt_i32 s26, 24
	s_cbranch_scc1 .LBB38_1935
; %bb.1926:
	s_cmp_gt_i32 s26, 24
	s_cbranch_scc0 .LBB38_1936
; %bb.1927:
	global_load_ubyte v6, v[0:1], off
	s_movk_i32 s4, 0x7f
	s_mov_b64 s[20:21], 0
	s_waitcnt vmcnt(0)
	v_cmp_lt_i16_e32 vcc, s4, v6
	s_and_saveexec_b64 s[4:5], vcc
	s_xor_b64 s[4:5], exec, s[4:5]
	s_cbranch_execz .LBB38_1948
; %bb.1928:
	s_movk_i32 s20, 0x80
	v_cmp_ne_u16_e32 vcc, s20, v6
	s_and_b64 s[20:21], vcc, exec
	s_andn2_saveexec_b64 s[4:5], s[4:5]
	s_cbranch_execnz .LBB38_1949
.LBB38_1929:
	s_or_b64 exec, exec, s[4:5]
	v_mov_b32_e32 v7, 0
	s_and_saveexec_b64 s[4:5], s[20:21]
	s_cbranch_execz .LBB38_1931
.LBB38_1930:
	v_lshlrev_b32_e32 v7, 24, v6
	v_and_b32_e32 v6, 0xffff, v6
	v_and_b32_e32 v10, 3, v6
	v_ffbh_u32_e32 v12, v10
	v_min_u32_e32 v12, 32, v12
	v_subrev_u32_e32 v13, 29, v12
	v_bfe_u32 v11, v6, 2, 5
	v_lshlrev_b32_e32 v6, v13, v6
	v_sub_u32_e32 v12, 30, v12
	v_and_b32_e32 v6, 3, v6
	v_cmp_eq_u32_e32 vcc, 0, v11
	v_cndmask_b32_e32 v11, v11, v12, vcc
	v_cndmask_b32_e32 v6, v10, v6, vcc
	v_mov_b32_e32 v10, 0x37800000
	v_lshlrev_b32_e32 v6, 21, v6
	v_and_b32_e32 v7, 0x80000000, v7
	v_lshl_add_u32 v10, v11, 23, v10
	v_or3_b32 v6, v7, v10, v6
	v_cvt_i32_f32_e32 v7, v6
.LBB38_1931:
	s_or_b64 exec, exec, s[4:5]
	s_mov_b64 s[4:5], 0
	s_branch .LBB38_1937
.LBB38_1932:
	s_mov_b64 s[4:5], -1
                                        ; implicit-def: $vgpr7
	s_branch .LBB38_1943
.LBB38_1933:
	s_andn2_saveexec_b64 s[20:21], s[20:21]
	s_cbranch_execz .LBB38_1918
.LBB38_1934:
	v_cmp_ne_u16_e32 vcc, 0, v6
	s_andn2_b64 s[22:23], s[22:23], exec
	s_and_b64 s[28:29], vcc, exec
	s_or_b64 s[22:23], s[22:23], s[28:29]
	s_or_b64 exec, exec, s[20:21]
	v_mov_b32_e32 v7, 0
	s_and_saveexec_b64 s[20:21], s[22:23]
	s_cbranch_execnz .LBB38_1919
	s_branch .LBB38_1920
.LBB38_1935:
	s_mov_b64 s[4:5], -1
                                        ; implicit-def: $vgpr7
	s_branch .LBB38_1940
.LBB38_1936:
	s_mov_b64 s[4:5], -1
                                        ; implicit-def: $vgpr7
.LBB38_1937:
	s_and_b64 vcc, exec, s[4:5]
	s_cbranch_vccz .LBB38_1939
; %bb.1938:
	global_load_ubyte v6, v[0:1], off
	s_mov_b32 s4, 0x7f800000
	s_waitcnt vmcnt(0)
	v_lshlrev_b32_e32 v6, 24, v6
	v_and_b32_e32 v7, 0x7f000000, v6
	v_ffbh_u32_e32 v10, v7
	v_min_u32_e32 v10, 32, v10
	v_sub_u32_e64 v10, v10, 4 clamp
	v_lshlrev_b32_e32 v12, v10, v7
	v_lshlrev_b32_e32 v10, 23, v10
	v_lshrrev_b32_e32 v12, 4, v12
	v_add_u32_e32 v11, 0x1000000, v7
	v_sub_u32_e32 v10, v12, v10
	v_ashrrev_i32_e32 v11, 8, v11
	v_add_u32_e32 v10, 0x3c000000, v10
	v_and_or_b32 v10, v11, s4, v10
	v_cmp_ne_u32_e32 vcc, 0, v7
	v_cndmask_b32_e32 v7, 0, v10, vcc
	s_brev_b32 s4, 1
	v_and_or_b32 v6, v6, s4, v7
	v_cvt_i32_f32_e32 v7, v6
.LBB38_1939:
	s_mov_b64 s[4:5], 0
.LBB38_1940:
	s_andn2_b64 vcc, exec, s[4:5]
	s_cbranch_vccnz .LBB38_1942
; %bb.1941:
	global_load_ubyte v6, v[0:1], off
	s_movk_i32 s4, 0x7f00
	s_brev_b32 s5, 16
	s_waitcnt vmcnt(0)
	v_lshlrev_b16_e32 v7, 8, v6
	v_lshlrev_b32_e32 v6, 25, v6
	v_lshrrev_b32_e32 v10, 4, v6
	v_and_or_b32 v11, v7, s4, 0.5
	v_or_b32_e32 v10, 0x70000000, v10
	v_add_f32_e32 v11, -0.5, v11
	v_mul_f32_e32 v10, 0x7800000, v10
	v_cmp_gt_u32_e32 vcc, s5, v6
	v_bfe_i32 v7, v7, 0, 16
	v_cndmask_b32_e32 v6, v10, v11, vcc
	s_brev_b32 s4, 1
	v_and_or_b32 v6, v7, s4, v6
	v_cvt_i32_f32_e32 v7, v6
.LBB38_1942:
	s_mov_b64 s[4:5], 0
	s_mov_b64 s[20:21], -1
.LBB38_1943:
	s_andn2_b64 vcc, exec, s[4:5]
	s_mov_b64 s[4:5], 0
	s_cbranch_vccnz .LBB38_1954
; %bb.1944:
	s_cmp_gt_i32 s26, 14
	s_cbranch_scc0 .LBB38_1947
; %bb.1945:
	s_cmp_eq_u32 s26, 15
	s_cbranch_scc0 .LBB38_1950
; %bb.1946:
	global_load_ushort v6, v[0:1], off
	s_mov_b64 s[0:1], 0
	s_mov_b64 s[20:21], -1
	s_waitcnt vmcnt(0)
	v_lshlrev_b32_e32 v6, 16, v6
	v_cvt_i32_f32_e32 v7, v6
	s_branch .LBB38_1951
.LBB38_1947:
	s_mov_b64 s[22:23], -1
                                        ; implicit-def: $vgpr7
	s_branch .LBB38_1952
.LBB38_1948:
	s_andn2_saveexec_b64 s[4:5], s[4:5]
	s_cbranch_execz .LBB38_1929
.LBB38_1949:
	v_cmp_ne_u16_e32 vcc, 0, v6
	s_andn2_b64 s[20:21], s[20:21], exec
	s_and_b64 s[22:23], vcc, exec
	s_or_b64 s[20:21], s[20:21], s[22:23]
	s_or_b64 exec, exec, s[4:5]
	v_mov_b32_e32 v7, 0
	s_and_saveexec_b64 s[4:5], s[20:21]
	s_cbranch_execnz .LBB38_1930
	s_branch .LBB38_1931
.LBB38_1950:
	s_mov_b64 s[0:1], -1
                                        ; implicit-def: $vgpr7
.LBB38_1951:
	s_mov_b64 s[22:23], 0
.LBB38_1952:
	s_and_b64 vcc, exec, s[22:23]
	s_cbranch_vccz .LBB38_1954
; %bb.1953:
	s_cmp_lg_u32 s26, 11
	s_mov_b64 s[4:5], -1
	s_cselect_b64 s[0:1], -1, 0
.LBB38_1954:
	s_and_b64 vcc, exec, s[0:1]
	s_cbranch_vccnz .LBB38_2019
; %bb.1955:
	s_andn2_b64 vcc, exec, s[4:5]
	s_cbranch_vccnz .LBB38_1957
.LBB38_1956:
	global_load_ubyte v6, v[0:1], off
	s_mov_b64 s[20:21], -1
	s_waitcnt vmcnt(0)
	v_cmp_ne_u16_e32 vcc, 0, v6
	v_cndmask_b32_e64 v7, 0, 1, vcc
.LBB38_1957:
	s_mov_b64 s[0:1], 0
.LBB38_1958:
	s_and_b64 vcc, exec, s[0:1]
	s_cbranch_vccz .LBB38_2007
; %bb.1959:
	s_and_b32 s4, 0xffff, s25
	s_cmp_lt_i32 s4, 5
	s_cbranch_scc1 .LBB38_1964
; %bb.1960:
	s_cmp_lt_i32 s4, 8
	s_cbranch_scc1 .LBB38_1965
; %bb.1961:
	;; [unrolled: 3-line block ×3, first 2 shown]
	s_cmp_gt_i32 s4, 9
	s_cbranch_scc0 .LBB38_1967
; %bb.1963:
	global_load_dwordx2 v[6:7], v[0:1], off
	s_mov_b64 s[0:1], 0
	s_waitcnt vmcnt(0)
	v_cvt_i32_f64_e32 v7, v[6:7]
	s_branch .LBB38_1968
.LBB38_1964:
	s_mov_b64 s[0:1], -1
                                        ; implicit-def: $vgpr7
	s_branch .LBB38_1986
.LBB38_1965:
	s_mov_b64 s[0:1], -1
                                        ; implicit-def: $vgpr7
	s_branch .LBB38_1974
.LBB38_1966:
	s_mov_b64 s[0:1], -1
                                        ; implicit-def: $vgpr7
	s_branch .LBB38_1971
.LBB38_1967:
	s_mov_b64 s[0:1], -1
                                        ; implicit-def: $vgpr7
.LBB38_1968:
	s_andn2_b64 vcc, exec, s[0:1]
	s_cbranch_vccnz .LBB38_1970
; %bb.1969:
	global_load_dword v6, v[0:1], off
	s_waitcnt vmcnt(0)
	v_cvt_i32_f32_e32 v7, v6
.LBB38_1970:
	s_mov_b64 s[0:1], 0
.LBB38_1971:
	s_andn2_b64 vcc, exec, s[0:1]
	s_cbranch_vccnz .LBB38_1973
; %bb.1972:
	global_load_dword v6, v[0:1], off
	s_waitcnt vmcnt(0)
	v_cvt_f32_f16_e32 v6, v6
	v_cvt_i32_f32_e32 v7, v6
.LBB38_1973:
	s_mov_b64 s[0:1], 0
.LBB38_1974:
	s_andn2_b64 vcc, exec, s[0:1]
	s_cbranch_vccnz .LBB38_1985
; %bb.1975:
	s_cmp_lt_i32 s4, 6
	s_cbranch_scc1 .LBB38_1978
; %bb.1976:
	s_cmp_gt_i32 s4, 6
	s_cbranch_scc0 .LBB38_1979
; %bb.1977:
	global_load_dwordx2 v[6:7], v[0:1], off
	s_mov_b64 s[0:1], 0
	s_waitcnt vmcnt(0)
	v_cvt_i32_f64_e32 v7, v[6:7]
	s_branch .LBB38_1980
.LBB38_1978:
	s_mov_b64 s[0:1], -1
                                        ; implicit-def: $vgpr7
	s_branch .LBB38_1983
.LBB38_1979:
	s_mov_b64 s[0:1], -1
                                        ; implicit-def: $vgpr7
.LBB38_1980:
	s_andn2_b64 vcc, exec, s[0:1]
	s_cbranch_vccnz .LBB38_1982
; %bb.1981:
	global_load_dword v6, v[0:1], off
	s_waitcnt vmcnt(0)
	v_cvt_i32_f32_e32 v7, v6
.LBB38_1982:
	s_mov_b64 s[0:1], 0
.LBB38_1983:
	s_andn2_b64 vcc, exec, s[0:1]
	s_cbranch_vccnz .LBB38_1985
; %bb.1984:
	global_load_ushort v6, v[0:1], off
	s_waitcnt vmcnt(0)
	v_cvt_f32_f16_e32 v6, v6
	v_cvt_i32_f32_e32 v7, v6
.LBB38_1985:
	s_mov_b64 s[0:1], 0
.LBB38_1986:
	s_andn2_b64 vcc, exec, s[0:1]
	s_cbranch_vccnz .LBB38_2006
; %bb.1987:
	s_cmp_lt_i32 s4, 2
	s_cbranch_scc1 .LBB38_1991
; %bb.1988:
	s_cmp_lt_i32 s4, 3
	s_cbranch_scc1 .LBB38_1992
; %bb.1989:
	s_cmp_gt_i32 s4, 3
	s_cbranch_scc0 .LBB38_1993
; %bb.1990:
	global_load_dword v7, v[0:1], off
	s_mov_b64 s[0:1], 0
	s_branch .LBB38_1994
.LBB38_1991:
	s_mov_b64 s[0:1], -1
                                        ; implicit-def: $vgpr7
	s_branch .LBB38_2000
.LBB38_1992:
	s_mov_b64 s[0:1], -1
                                        ; implicit-def: $vgpr7
	s_branch .LBB38_1997
.LBB38_1993:
	s_mov_b64 s[0:1], -1
                                        ; implicit-def: $vgpr7
.LBB38_1994:
	s_andn2_b64 vcc, exec, s[0:1]
	s_cbranch_vccnz .LBB38_1996
; %bb.1995:
	global_load_dword v7, v[0:1], off
.LBB38_1996:
	s_mov_b64 s[0:1], 0
.LBB38_1997:
	s_andn2_b64 vcc, exec, s[0:1]
	s_cbranch_vccnz .LBB38_1999
; %bb.1998:
	global_load_sshort v7, v[0:1], off
.LBB38_1999:
	s_mov_b64 s[0:1], 0
.LBB38_2000:
	s_andn2_b64 vcc, exec, s[0:1]
	s_cbranch_vccnz .LBB38_2006
; %bb.2001:
	s_cmp_gt_i32 s4, 0
	s_cbranch_scc0 .LBB38_2003
; %bb.2002:
	global_load_sbyte v7, v[0:1], off
	s_mov_b64 s[0:1], 0
	s_branch .LBB38_2004
.LBB38_2003:
	s_mov_b64 s[0:1], -1
                                        ; implicit-def: $vgpr7
.LBB38_2004:
	s_andn2_b64 vcc, exec, s[0:1]
	s_cbranch_vccnz .LBB38_2006
; %bb.2005:
	global_load_ubyte v7, v[0:1], off
.LBB38_2006:
	s_mov_b64 s[20:21], -1
.LBB38_2007:
	s_andn2_b64 vcc, exec, s[20:21]
	s_cbranch_vccnz .LBB38_2947
; %bb.2008:
	v_add_u32_e32 v8, s13, v8
	v_ashrrev_i32_e32 v1, 31, v8
	v_mov_b32_e32 v6, s11
	v_add_co_u32_e32 v0, vcc, s10, v8
	s_cmp_lt_i32 s24, 11
	v_addc_co_u32_e32 v1, vcc, v6, v1, vcc
	s_cbranch_scc1 .LBB38_2015
; %bb.2009:
	s_and_b32 s26, 0xffff, s24
	s_cmp_gt_i32 s26, 25
	s_mov_b64 s[4:5], 0
	s_cbranch_scc0 .LBB38_2016
; %bb.2010:
	s_cmp_gt_i32 s26, 28
	s_cbranch_scc0 .LBB38_2017
; %bb.2011:
	s_cmp_gt_i32 s26, 43
	;; [unrolled: 3-line block ×3, first 2 shown]
	s_cbranch_scc0 .LBB38_2020
; %bb.2013:
	s_cmp_eq_u32 s26, 46
	s_mov_b64 s[22:23], 0
	s_cbranch_scc0 .LBB38_2021
; %bb.2014:
	global_load_dword v6, v[0:1], off
	s_mov_b64 s[0:1], 0
	s_mov_b64 s[20:21], -1
	s_waitcnt vmcnt(0)
	v_lshlrev_b32_e32 v6, 16, v6
	v_cvt_i32_f32_e32 v6, v6
	s_branch .LBB38_2022
.LBB38_2015:
	s_mov_b64 s[0:1], -1
	s_mov_b64 s[20:21], 0
                                        ; implicit-def: $vgpr6
	s_branch .LBB38_2084
.LBB38_2016:
	s_mov_b64 s[22:23], -1
	s_mov_b64 s[20:21], 0
	s_mov_b64 s[0:1], 0
                                        ; implicit-def: $vgpr6
	s_branch .LBB38_2049
.LBB38_2017:
	s_mov_b64 s[22:23], -1
	s_mov_b64 s[20:21], 0
	s_mov_b64 s[0:1], 0
                                        ; implicit-def: $vgpr6
	s_branch .LBB38_2032
.LBB38_2018:
	s_mov_b64 s[22:23], -1
	s_mov_b64 s[20:21], 0
	s_mov_b64 s[0:1], 0
                                        ; implicit-def: $vgpr6
	s_branch .LBB38_2027
.LBB38_2019:
	s_trap 2
	s_or_b64 s[18:19], s[18:19], exec
	s_cbranch_execz .LBB38_1956
	s_branch .LBB38_1957
.LBB38_2020:
	s_mov_b64 s[22:23], -1
	s_mov_b64 s[20:21], 0
	s_mov_b64 s[0:1], 0
                                        ; implicit-def: $vgpr6
	s_branch .LBB38_2022
.LBB38_2021:
	s_mov_b64 s[0:1], -1
                                        ; implicit-def: $vgpr6
	s_mov_b64 s[20:21], 0
.LBB38_2022:
	s_and_b64 vcc, exec, s[22:23]
	s_cbranch_vccz .LBB38_2026
; %bb.2023:
	s_cmp_eq_u32 s26, 44
	s_cbranch_scc0 .LBB38_2025
; %bb.2024:
	global_load_ubyte v6, v[0:1], off
	s_mov_b64 s[0:1], 0
	s_mov_b64 s[20:21], -1
	s_waitcnt vmcnt(0)
	v_lshlrev_b32_e32 v10, 23, v6
	v_cvt_i32_f32_e32 v10, v10
	v_cmp_ne_u32_e32 vcc, 0, v6
	v_cndmask_b32_e32 v6, 0, v10, vcc
	s_branch .LBB38_2026
.LBB38_2025:
	s_mov_b64 s[0:1], -1
                                        ; implicit-def: $vgpr6
.LBB38_2026:
	s_mov_b64 s[22:23], 0
.LBB38_2027:
	s_and_b64 vcc, exec, s[22:23]
	s_cbranch_vccz .LBB38_2031
; %bb.2028:
	s_cmp_eq_u32 s26, 29
	s_cbranch_scc0 .LBB38_2030
; %bb.2029:
	global_load_dword v6, v[0:1], off
	s_mov_b64 s[0:1], 0
	s_mov_b64 s[20:21], -1
	s_branch .LBB38_2031
.LBB38_2030:
	s_mov_b64 s[0:1], -1
                                        ; implicit-def: $vgpr6
.LBB38_2031:
	s_mov_b64 s[22:23], 0
.LBB38_2032:
	s_and_b64 vcc, exec, s[22:23]
	s_cbranch_vccz .LBB38_2048
; %bb.2033:
	s_cmp_lt_i32 s26, 27
	s_cbranch_scc1 .LBB38_2036
; %bb.2034:
	s_cmp_gt_i32 s26, 27
	s_cbranch_scc0 .LBB38_2037
; %bb.2035:
	global_load_dword v6, v[0:1], off
	s_mov_b64 s[20:21], 0
	s_branch .LBB38_2038
.LBB38_2036:
	s_mov_b64 s[20:21], -1
                                        ; implicit-def: $vgpr6
	s_branch .LBB38_2041
.LBB38_2037:
	s_mov_b64 s[20:21], -1
                                        ; implicit-def: $vgpr6
.LBB38_2038:
	s_andn2_b64 vcc, exec, s[20:21]
	s_cbranch_vccnz .LBB38_2040
; %bb.2039:
	global_load_ushort v6, v[0:1], off
.LBB38_2040:
	s_mov_b64 s[20:21], 0
.LBB38_2041:
	s_andn2_b64 vcc, exec, s[20:21]
	s_cbranch_vccnz .LBB38_2047
; %bb.2042:
	global_load_ubyte v10, v[0:1], off
	s_movk_i32 s20, 0x7f
	s_mov_b64 s[22:23], 0
	s_waitcnt vmcnt(0)
	v_cmp_lt_i16_e32 vcc, s20, v10
	s_and_saveexec_b64 s[20:21], vcc
	s_xor_b64 s[20:21], exec, s[20:21]
	s_cbranch_execz .LBB38_2059
; %bb.2043:
	s_movk_i32 s22, 0x80
	v_cmp_ne_u16_e32 vcc, s22, v10
	s_and_b64 s[22:23], vcc, exec
	s_andn2_saveexec_b64 s[20:21], s[20:21]
	s_cbranch_execnz .LBB38_2060
.LBB38_2044:
	s_or_b64 exec, exec, s[20:21]
	v_mov_b32_e32 v6, 0
	s_and_saveexec_b64 s[20:21], s[22:23]
	s_cbranch_execz .LBB38_2046
.LBB38_2045:
	v_lshlrev_b32_e32 v6, 24, v10
	v_and_b32_e32 v10, 0xffff, v10
	v_and_b32_e32 v11, 7, v10
	v_ffbh_u32_e32 v13, v11
	v_min_u32_e32 v13, 32, v13
	v_subrev_u32_e32 v14, 28, v13
	v_bfe_u32 v12, v10, 3, 4
	v_lshlrev_b32_e32 v10, v14, v10
	v_sub_u32_e32 v13, 29, v13
	v_and_b32_e32 v10, 7, v10
	v_cmp_eq_u32_e32 vcc, 0, v12
	v_cndmask_b32_e32 v12, v12, v13, vcc
	v_cndmask_b32_e32 v10, v11, v10, vcc
	v_mov_b32_e32 v11, 0x3b800000
	v_lshlrev_b32_e32 v10, 20, v10
	v_and_b32_e32 v6, 0x80000000, v6
	v_lshl_add_u32 v11, v12, 23, v11
	v_or3_b32 v6, v6, v11, v10
	v_cvt_i32_f32_e32 v6, v6
.LBB38_2046:
	s_or_b64 exec, exec, s[20:21]
.LBB38_2047:
	s_mov_b64 s[20:21], -1
.LBB38_2048:
	s_mov_b64 s[22:23], 0
.LBB38_2049:
	s_and_b64 vcc, exec, s[22:23]
	s_cbranch_vccz .LBB38_2080
; %bb.2050:
	s_cmp_gt_i32 s26, 22
	s_cbranch_scc0 .LBB38_2058
; %bb.2051:
	s_cmp_lt_i32 s26, 24
	s_cbranch_scc1 .LBB38_2061
; %bb.2052:
	s_cmp_gt_i32 s26, 24
	s_cbranch_scc0 .LBB38_2062
; %bb.2053:
	global_load_ubyte v10, v[0:1], off
	s_movk_i32 s4, 0x7f
	s_mov_b64 s[20:21], 0
	s_waitcnt vmcnt(0)
	v_cmp_lt_i16_e32 vcc, s4, v10
	s_and_saveexec_b64 s[4:5], vcc
	s_xor_b64 s[4:5], exec, s[4:5]
	s_cbranch_execz .LBB38_2074
; %bb.2054:
	s_movk_i32 s20, 0x80
	v_cmp_ne_u16_e32 vcc, s20, v10
	s_and_b64 s[20:21], vcc, exec
	s_andn2_saveexec_b64 s[4:5], s[4:5]
	s_cbranch_execnz .LBB38_2075
.LBB38_2055:
	s_or_b64 exec, exec, s[4:5]
	v_mov_b32_e32 v6, 0
	s_and_saveexec_b64 s[4:5], s[20:21]
	s_cbranch_execz .LBB38_2057
.LBB38_2056:
	v_lshlrev_b32_e32 v6, 24, v10
	v_and_b32_e32 v10, 0xffff, v10
	v_and_b32_e32 v11, 3, v10
	v_ffbh_u32_e32 v13, v11
	v_min_u32_e32 v13, 32, v13
	v_subrev_u32_e32 v14, 29, v13
	v_bfe_u32 v12, v10, 2, 5
	v_lshlrev_b32_e32 v10, v14, v10
	v_sub_u32_e32 v13, 30, v13
	v_and_b32_e32 v10, 3, v10
	v_cmp_eq_u32_e32 vcc, 0, v12
	v_cndmask_b32_e32 v12, v12, v13, vcc
	v_cndmask_b32_e32 v10, v11, v10, vcc
	v_mov_b32_e32 v11, 0x37800000
	v_lshlrev_b32_e32 v10, 21, v10
	v_and_b32_e32 v6, 0x80000000, v6
	v_lshl_add_u32 v11, v12, 23, v11
	v_or3_b32 v6, v6, v11, v10
	v_cvt_i32_f32_e32 v6, v6
.LBB38_2057:
	s_or_b64 exec, exec, s[4:5]
	s_mov_b64 s[4:5], 0
	s_branch .LBB38_2063
.LBB38_2058:
	s_mov_b64 s[4:5], -1
                                        ; implicit-def: $vgpr6
	s_branch .LBB38_2069
.LBB38_2059:
	s_andn2_saveexec_b64 s[20:21], s[20:21]
	s_cbranch_execz .LBB38_2044
.LBB38_2060:
	v_cmp_ne_u16_e32 vcc, 0, v10
	s_andn2_b64 s[22:23], s[22:23], exec
	s_and_b64 s[28:29], vcc, exec
	s_or_b64 s[22:23], s[22:23], s[28:29]
	s_or_b64 exec, exec, s[20:21]
	v_mov_b32_e32 v6, 0
	s_and_saveexec_b64 s[20:21], s[22:23]
	s_cbranch_execnz .LBB38_2045
	s_branch .LBB38_2046
.LBB38_2061:
	s_mov_b64 s[4:5], -1
                                        ; implicit-def: $vgpr6
	s_branch .LBB38_2066
.LBB38_2062:
	s_mov_b64 s[4:5], -1
                                        ; implicit-def: $vgpr6
.LBB38_2063:
	s_and_b64 vcc, exec, s[4:5]
	s_cbranch_vccz .LBB38_2065
; %bb.2064:
	global_load_ubyte v6, v[0:1], off
	s_mov_b32 s4, 0x7f800000
	s_waitcnt vmcnt(0)
	v_lshlrev_b32_e32 v6, 24, v6
	v_and_b32_e32 v10, 0x7f000000, v6
	v_ffbh_u32_e32 v11, v10
	v_min_u32_e32 v11, 32, v11
	v_sub_u32_e64 v11, v11, 4 clamp
	v_lshlrev_b32_e32 v13, v11, v10
	v_lshlrev_b32_e32 v11, 23, v11
	v_lshrrev_b32_e32 v13, 4, v13
	v_add_u32_e32 v12, 0x1000000, v10
	v_sub_u32_e32 v11, v13, v11
	v_ashrrev_i32_e32 v12, 8, v12
	v_add_u32_e32 v11, 0x3c000000, v11
	v_and_or_b32 v11, v12, s4, v11
	v_cmp_ne_u32_e32 vcc, 0, v10
	v_cndmask_b32_e32 v10, 0, v11, vcc
	s_brev_b32 s4, 1
	v_and_or_b32 v6, v6, s4, v10
	v_cvt_i32_f32_e32 v6, v6
.LBB38_2065:
	s_mov_b64 s[4:5], 0
.LBB38_2066:
	s_andn2_b64 vcc, exec, s[4:5]
	s_cbranch_vccnz .LBB38_2068
; %bb.2067:
	global_load_ubyte v6, v[0:1], off
	s_movk_i32 s4, 0x7f00
	s_brev_b32 s5, 16
	s_waitcnt vmcnt(0)
	v_lshlrev_b16_e32 v10, 8, v6
	v_lshlrev_b32_e32 v6, 25, v6
	v_lshrrev_b32_e32 v11, 4, v6
	v_and_or_b32 v12, v10, s4, 0.5
	v_or_b32_e32 v11, 0x70000000, v11
	v_add_f32_e32 v12, -0.5, v12
	v_mul_f32_e32 v11, 0x7800000, v11
	v_cmp_gt_u32_e32 vcc, s5, v6
	v_bfe_i32 v10, v10, 0, 16
	v_cndmask_b32_e32 v6, v11, v12, vcc
	s_brev_b32 s4, 1
	v_and_or_b32 v6, v10, s4, v6
	v_cvt_i32_f32_e32 v6, v6
.LBB38_2068:
	s_mov_b64 s[4:5], 0
	s_mov_b64 s[20:21], -1
.LBB38_2069:
	s_andn2_b64 vcc, exec, s[4:5]
	s_mov_b64 s[4:5], 0
	s_cbranch_vccnz .LBB38_2080
; %bb.2070:
	s_cmp_gt_i32 s26, 14
	s_cbranch_scc0 .LBB38_2073
; %bb.2071:
	s_cmp_eq_u32 s26, 15
	s_cbranch_scc0 .LBB38_2076
; %bb.2072:
	global_load_ushort v6, v[0:1], off
	s_mov_b64 s[0:1], 0
	s_mov_b64 s[20:21], -1
	s_waitcnt vmcnt(0)
	v_lshlrev_b32_e32 v6, 16, v6
	v_cvt_i32_f32_e32 v6, v6
	s_branch .LBB38_2077
.LBB38_2073:
	s_mov_b64 s[22:23], -1
                                        ; implicit-def: $vgpr6
	s_branch .LBB38_2078
.LBB38_2074:
	s_andn2_saveexec_b64 s[4:5], s[4:5]
	s_cbranch_execz .LBB38_2055
.LBB38_2075:
	v_cmp_ne_u16_e32 vcc, 0, v10
	s_andn2_b64 s[20:21], s[20:21], exec
	s_and_b64 s[22:23], vcc, exec
	s_or_b64 s[20:21], s[20:21], s[22:23]
	s_or_b64 exec, exec, s[4:5]
	v_mov_b32_e32 v6, 0
	s_and_saveexec_b64 s[4:5], s[20:21]
	s_cbranch_execnz .LBB38_2056
	s_branch .LBB38_2057
.LBB38_2076:
	s_mov_b64 s[0:1], -1
                                        ; implicit-def: $vgpr6
.LBB38_2077:
	s_mov_b64 s[22:23], 0
.LBB38_2078:
	s_and_b64 vcc, exec, s[22:23]
	s_cbranch_vccz .LBB38_2080
; %bb.2079:
	s_cmp_lg_u32 s26, 11
	s_mov_b64 s[4:5], -1
	s_cselect_b64 s[0:1], -1, 0
.LBB38_2080:
	s_and_b64 vcc, exec, s[0:1]
	s_cbranch_vccnz .LBB38_2145
; %bb.2081:
	s_andn2_b64 vcc, exec, s[4:5]
	s_cbranch_vccnz .LBB38_2083
.LBB38_2082:
	global_load_ubyte v6, v[0:1], off
	s_mov_b64 s[20:21], -1
	s_waitcnt vmcnt(0)
	v_cmp_ne_u16_e32 vcc, 0, v6
	v_cndmask_b32_e64 v6, 0, 1, vcc
.LBB38_2083:
	s_mov_b64 s[0:1], 0
.LBB38_2084:
	s_and_b64 vcc, exec, s[0:1]
	s_cbranch_vccz .LBB38_2133
; %bb.2085:
	s_and_b32 s4, 0xffff, s24
	s_cmp_lt_i32 s4, 5
	s_cbranch_scc1 .LBB38_2090
; %bb.2086:
	s_cmp_lt_i32 s4, 8
	s_cbranch_scc1 .LBB38_2091
; %bb.2087:
	;; [unrolled: 3-line block ×3, first 2 shown]
	s_cmp_gt_i32 s4, 9
	s_cbranch_scc0 .LBB38_2093
; %bb.2089:
	global_load_dwordx2 v[10:11], v[0:1], off
	s_mov_b64 s[0:1], 0
	s_waitcnt vmcnt(0)
	v_cvt_i32_f64_e32 v6, v[10:11]
	s_branch .LBB38_2094
.LBB38_2090:
	s_mov_b64 s[0:1], -1
                                        ; implicit-def: $vgpr6
	s_branch .LBB38_2112
.LBB38_2091:
	s_mov_b64 s[0:1], -1
                                        ; implicit-def: $vgpr6
	s_branch .LBB38_2100
.LBB38_2092:
	s_mov_b64 s[0:1], -1
                                        ; implicit-def: $vgpr6
	s_branch .LBB38_2097
.LBB38_2093:
	s_mov_b64 s[0:1], -1
                                        ; implicit-def: $vgpr6
.LBB38_2094:
	s_andn2_b64 vcc, exec, s[0:1]
	s_cbranch_vccnz .LBB38_2096
; %bb.2095:
	global_load_dword v6, v[0:1], off
	s_waitcnt vmcnt(0)
	v_cvt_i32_f32_e32 v6, v6
.LBB38_2096:
	s_mov_b64 s[0:1], 0
.LBB38_2097:
	s_andn2_b64 vcc, exec, s[0:1]
	s_cbranch_vccnz .LBB38_2099
; %bb.2098:
	global_load_dword v6, v[0:1], off
	s_waitcnt vmcnt(0)
	v_cvt_f32_f16_e32 v6, v6
	v_cvt_i32_f32_e32 v6, v6
.LBB38_2099:
	s_mov_b64 s[0:1], 0
.LBB38_2100:
	s_andn2_b64 vcc, exec, s[0:1]
	s_cbranch_vccnz .LBB38_2111
; %bb.2101:
	s_cmp_lt_i32 s4, 6
	s_cbranch_scc1 .LBB38_2104
; %bb.2102:
	s_cmp_gt_i32 s4, 6
	s_cbranch_scc0 .LBB38_2105
; %bb.2103:
	global_load_dwordx2 v[10:11], v[0:1], off
	s_mov_b64 s[0:1], 0
	s_waitcnt vmcnt(0)
	v_cvt_i32_f64_e32 v6, v[10:11]
	s_branch .LBB38_2106
.LBB38_2104:
	s_mov_b64 s[0:1], -1
                                        ; implicit-def: $vgpr6
	s_branch .LBB38_2109
.LBB38_2105:
	s_mov_b64 s[0:1], -1
                                        ; implicit-def: $vgpr6
.LBB38_2106:
	s_andn2_b64 vcc, exec, s[0:1]
	s_cbranch_vccnz .LBB38_2108
; %bb.2107:
	global_load_dword v6, v[0:1], off
	s_waitcnt vmcnt(0)
	v_cvt_i32_f32_e32 v6, v6
.LBB38_2108:
	s_mov_b64 s[0:1], 0
.LBB38_2109:
	s_andn2_b64 vcc, exec, s[0:1]
	s_cbranch_vccnz .LBB38_2111
; %bb.2110:
	global_load_ushort v6, v[0:1], off
	s_waitcnt vmcnt(0)
	v_cvt_f32_f16_e32 v6, v6
	v_cvt_i32_f32_e32 v6, v6
.LBB38_2111:
	s_mov_b64 s[0:1], 0
.LBB38_2112:
	s_andn2_b64 vcc, exec, s[0:1]
	s_cbranch_vccnz .LBB38_2132
; %bb.2113:
	s_cmp_lt_i32 s4, 2
	s_cbranch_scc1 .LBB38_2117
; %bb.2114:
	s_cmp_lt_i32 s4, 3
	s_cbranch_scc1 .LBB38_2118
; %bb.2115:
	s_cmp_gt_i32 s4, 3
	s_cbranch_scc0 .LBB38_2119
; %bb.2116:
	global_load_dword v6, v[0:1], off
	s_mov_b64 s[0:1], 0
	s_branch .LBB38_2120
.LBB38_2117:
	s_mov_b64 s[0:1], -1
                                        ; implicit-def: $vgpr6
	s_branch .LBB38_2126
.LBB38_2118:
	s_mov_b64 s[0:1], -1
                                        ; implicit-def: $vgpr6
	s_branch .LBB38_2123
.LBB38_2119:
	s_mov_b64 s[0:1], -1
                                        ; implicit-def: $vgpr6
.LBB38_2120:
	s_andn2_b64 vcc, exec, s[0:1]
	s_cbranch_vccnz .LBB38_2122
; %bb.2121:
	global_load_dword v6, v[0:1], off
.LBB38_2122:
	s_mov_b64 s[0:1], 0
.LBB38_2123:
	s_andn2_b64 vcc, exec, s[0:1]
	s_cbranch_vccnz .LBB38_2125
; %bb.2124:
	global_load_sshort v6, v[0:1], off
.LBB38_2125:
	s_mov_b64 s[0:1], 0
.LBB38_2126:
	s_andn2_b64 vcc, exec, s[0:1]
	s_cbranch_vccnz .LBB38_2132
; %bb.2127:
	s_cmp_gt_i32 s4, 0
	s_cbranch_scc0 .LBB38_2129
; %bb.2128:
	global_load_sbyte v6, v[0:1], off
	s_mov_b64 s[0:1], 0
	s_branch .LBB38_2130
.LBB38_2129:
	s_mov_b64 s[0:1], -1
                                        ; implicit-def: $vgpr6
.LBB38_2130:
	s_andn2_b64 vcc, exec, s[0:1]
	s_cbranch_vccnz .LBB38_2132
; %bb.2131:
	global_load_ubyte v6, v[0:1], off
.LBB38_2132:
	s_mov_b64 s[20:21], -1
.LBB38_2133:
	s_andn2_b64 vcc, exec, s[20:21]
	s_cbranch_vccnz .LBB38_2947
; %bb.2134:
	v_add_u32_e32 v10, s14, v9
	v_ashrrev_i32_e32 v1, 31, v10
	v_mov_b32_e32 v9, s3
	v_add_co_u32_e32 v0, vcc, s2, v10
	s_cmp_lt_i32 s25, 11
	v_addc_co_u32_e32 v1, vcc, v9, v1, vcc
	s_cbranch_scc1 .LBB38_2141
; %bb.2135:
	s_and_b32 s26, 0xffff, s25
	s_cmp_gt_i32 s26, 25
	s_mov_b64 s[4:5], 0
	s_cbranch_scc0 .LBB38_2142
; %bb.2136:
	s_cmp_gt_i32 s26, 28
	s_cbranch_scc0 .LBB38_2143
; %bb.2137:
	s_cmp_gt_i32 s26, 43
	s_cbranch_scc0 .LBB38_2144
; %bb.2138:
	s_cmp_gt_i32 s26, 45
	s_cbranch_scc0 .LBB38_2146
; %bb.2139:
	s_cmp_eq_u32 s26, 46
	s_mov_b64 s[22:23], 0
	s_cbranch_scc0 .LBB38_2149
; %bb.2140:
	global_load_dword v9, v[0:1], off
	s_mov_b64 s[0:1], 0
	s_mov_b64 s[20:21], -1
	s_waitcnt vmcnt(0)
	v_lshlrev_b32_e32 v9, 16, v9
	v_cvt_i32_f32_e32 v9, v9
	s_branch .LBB38_2150
.LBB38_2141:
	s_mov_b64 s[0:1], -1
	s_mov_b64 s[20:21], 0
                                        ; implicit-def: $vgpr9
	s_branch .LBB38_2212
.LBB38_2142:
	s_mov_b64 s[22:23], -1
	s_mov_b64 s[20:21], 0
	s_mov_b64 s[0:1], 0
                                        ; implicit-def: $vgpr9
	s_branch .LBB38_2177
.LBB38_2143:
	s_mov_b64 s[22:23], -1
	s_mov_b64 s[20:21], 0
	s_mov_b64 s[0:1], 0
                                        ; implicit-def: $vgpr9
	s_branch .LBB38_2160
.LBB38_2144:
	s_mov_b64 s[22:23], -1
	s_mov_b64 s[20:21], 0
	s_mov_b64 s[0:1], 0
                                        ; implicit-def: $vgpr9
	s_branch .LBB38_2155
.LBB38_2145:
	s_trap 2
	s_or_b64 s[18:19], s[18:19], exec
	s_cbranch_execz .LBB38_2082
	s_branch .LBB38_2083
.LBB38_2146:
	s_mov_b64 s[22:23], -1
	s_mov_b64 s[20:21], 0
	s_mov_b64 s[0:1], 0
                                        ; implicit-def: $vgpr9
	s_branch .LBB38_2150
.LBB38_2147:
	s_andn2_saveexec_b64 s[48:49], s[48:49]
	s_cbranch_execz .LBB38_1061
.LBB38_2148:
	v_add_f32_e32 v3, 0x42800000, v4
	v_and_b32_e32 v3, 0xff, v3
	v_cmp_ne_u32_e32 vcc, 0, v3
	s_andn2_b64 s[46:47], s[46:47], exec
	s_and_b64 s[54:55], vcc, exec
	s_or_b64 s[46:47], s[46:47], s[54:55]
	s_or_b64 exec, exec, s[48:49]
	v_mov_b32_e32 v5, 0
	s_and_saveexec_b64 s[48:49], s[46:47]
	s_cbranch_execnz .LBB38_1062
	s_branch .LBB38_1063
.LBB38_2149:
	s_mov_b64 s[0:1], -1
                                        ; implicit-def: $vgpr9
	s_mov_b64 s[20:21], 0
.LBB38_2150:
	s_and_b64 vcc, exec, s[22:23]
	s_cbranch_vccz .LBB38_2154
; %bb.2151:
	s_cmp_eq_u32 s26, 44
	s_cbranch_scc0 .LBB38_2153
; %bb.2152:
	global_load_ubyte v9, v[0:1], off
	s_mov_b64 s[0:1], 0
	s_mov_b64 s[20:21], -1
	s_waitcnt vmcnt(0)
	v_lshlrev_b32_e32 v11, 23, v9
	v_cvt_i32_f32_e32 v11, v11
	v_cmp_ne_u32_e32 vcc, 0, v9
	v_cndmask_b32_e32 v9, 0, v11, vcc
	s_branch .LBB38_2154
.LBB38_2153:
	s_mov_b64 s[0:1], -1
                                        ; implicit-def: $vgpr9
.LBB38_2154:
	s_mov_b64 s[22:23], 0
.LBB38_2155:
	s_and_b64 vcc, exec, s[22:23]
	s_cbranch_vccz .LBB38_2159
; %bb.2156:
	s_cmp_eq_u32 s26, 29
	s_cbranch_scc0 .LBB38_2158
; %bb.2157:
	global_load_dword v9, v[0:1], off
	s_mov_b64 s[0:1], 0
	s_mov_b64 s[20:21], -1
	s_branch .LBB38_2159
.LBB38_2158:
	s_mov_b64 s[0:1], -1
                                        ; implicit-def: $vgpr9
.LBB38_2159:
	s_mov_b64 s[22:23], 0
.LBB38_2160:
	s_and_b64 vcc, exec, s[22:23]
	s_cbranch_vccz .LBB38_2176
; %bb.2161:
	s_cmp_lt_i32 s26, 27
	s_cbranch_scc1 .LBB38_2164
; %bb.2162:
	s_cmp_gt_i32 s26, 27
	s_cbranch_scc0 .LBB38_2165
; %bb.2163:
	global_load_dword v9, v[0:1], off
	s_mov_b64 s[20:21], 0
	s_branch .LBB38_2166
.LBB38_2164:
	s_mov_b64 s[20:21], -1
                                        ; implicit-def: $vgpr9
	s_branch .LBB38_2169
.LBB38_2165:
	s_mov_b64 s[20:21], -1
                                        ; implicit-def: $vgpr9
.LBB38_2166:
	s_andn2_b64 vcc, exec, s[20:21]
	s_cbranch_vccnz .LBB38_2168
; %bb.2167:
	global_load_ushort v9, v[0:1], off
.LBB38_2168:
	s_mov_b64 s[20:21], 0
.LBB38_2169:
	s_andn2_b64 vcc, exec, s[20:21]
	s_cbranch_vccnz .LBB38_2175
; %bb.2170:
	global_load_ubyte v11, v[0:1], off
	s_movk_i32 s20, 0x7f
	s_mov_b64 s[22:23], 0
	s_waitcnt vmcnt(0)
	v_cmp_lt_i16_e32 vcc, s20, v11
	s_and_saveexec_b64 s[20:21], vcc
	s_xor_b64 s[20:21], exec, s[20:21]
	s_cbranch_execz .LBB38_2187
; %bb.2171:
	s_movk_i32 s22, 0x80
	v_cmp_ne_u16_e32 vcc, s22, v11
	s_and_b64 s[22:23], vcc, exec
	s_andn2_saveexec_b64 s[20:21], s[20:21]
	s_cbranch_execnz .LBB38_2188
.LBB38_2172:
	s_or_b64 exec, exec, s[20:21]
	v_mov_b32_e32 v9, 0
	s_and_saveexec_b64 s[20:21], s[22:23]
	s_cbranch_execz .LBB38_2174
.LBB38_2173:
	v_lshlrev_b32_e32 v9, 24, v11
	v_and_b32_e32 v11, 0xffff, v11
	v_and_b32_e32 v12, 7, v11
	v_ffbh_u32_e32 v14, v12
	v_min_u32_e32 v14, 32, v14
	v_subrev_u32_e32 v15, 28, v14
	v_bfe_u32 v13, v11, 3, 4
	v_lshlrev_b32_e32 v11, v15, v11
	v_sub_u32_e32 v14, 29, v14
	v_and_b32_e32 v11, 7, v11
	v_cmp_eq_u32_e32 vcc, 0, v13
	v_cndmask_b32_e32 v13, v13, v14, vcc
	v_cndmask_b32_e32 v11, v12, v11, vcc
	v_mov_b32_e32 v12, 0x3b800000
	v_lshlrev_b32_e32 v11, 20, v11
	v_and_b32_e32 v9, 0x80000000, v9
	v_lshl_add_u32 v12, v13, 23, v12
	v_or3_b32 v9, v9, v12, v11
	v_cvt_i32_f32_e32 v9, v9
.LBB38_2174:
	s_or_b64 exec, exec, s[20:21]
.LBB38_2175:
	s_mov_b64 s[20:21], -1
.LBB38_2176:
	s_mov_b64 s[22:23], 0
.LBB38_2177:
	s_and_b64 vcc, exec, s[22:23]
	s_cbranch_vccz .LBB38_2208
; %bb.2178:
	s_cmp_gt_i32 s26, 22
	s_cbranch_scc0 .LBB38_2186
; %bb.2179:
	s_cmp_lt_i32 s26, 24
	s_cbranch_scc1 .LBB38_2189
; %bb.2180:
	s_cmp_gt_i32 s26, 24
	s_cbranch_scc0 .LBB38_2190
; %bb.2181:
	global_load_ubyte v11, v[0:1], off
	s_movk_i32 s4, 0x7f
	s_mov_b64 s[20:21], 0
	s_waitcnt vmcnt(0)
	v_cmp_lt_i16_e32 vcc, s4, v11
	s_and_saveexec_b64 s[4:5], vcc
	s_xor_b64 s[4:5], exec, s[4:5]
	s_cbranch_execz .LBB38_2202
; %bb.2182:
	s_movk_i32 s20, 0x80
	v_cmp_ne_u16_e32 vcc, s20, v11
	s_and_b64 s[20:21], vcc, exec
	s_andn2_saveexec_b64 s[4:5], s[4:5]
	s_cbranch_execnz .LBB38_2203
.LBB38_2183:
	s_or_b64 exec, exec, s[4:5]
	v_mov_b32_e32 v9, 0
	s_and_saveexec_b64 s[4:5], s[20:21]
	s_cbranch_execz .LBB38_2185
.LBB38_2184:
	v_lshlrev_b32_e32 v9, 24, v11
	v_and_b32_e32 v11, 0xffff, v11
	v_and_b32_e32 v12, 3, v11
	v_ffbh_u32_e32 v14, v12
	v_min_u32_e32 v14, 32, v14
	v_subrev_u32_e32 v15, 29, v14
	v_bfe_u32 v13, v11, 2, 5
	v_lshlrev_b32_e32 v11, v15, v11
	v_sub_u32_e32 v14, 30, v14
	v_and_b32_e32 v11, 3, v11
	v_cmp_eq_u32_e32 vcc, 0, v13
	v_cndmask_b32_e32 v13, v13, v14, vcc
	v_cndmask_b32_e32 v11, v12, v11, vcc
	v_mov_b32_e32 v12, 0x37800000
	v_lshlrev_b32_e32 v11, 21, v11
	v_and_b32_e32 v9, 0x80000000, v9
	v_lshl_add_u32 v12, v13, 23, v12
	v_or3_b32 v9, v9, v12, v11
	v_cvt_i32_f32_e32 v9, v9
.LBB38_2185:
	s_or_b64 exec, exec, s[4:5]
	s_mov_b64 s[4:5], 0
	s_branch .LBB38_2191
.LBB38_2186:
	s_mov_b64 s[4:5], -1
                                        ; implicit-def: $vgpr9
	s_branch .LBB38_2197
.LBB38_2187:
	s_andn2_saveexec_b64 s[20:21], s[20:21]
	s_cbranch_execz .LBB38_2172
.LBB38_2188:
	v_cmp_ne_u16_e32 vcc, 0, v11
	s_andn2_b64 s[22:23], s[22:23], exec
	s_and_b64 s[28:29], vcc, exec
	s_or_b64 s[22:23], s[22:23], s[28:29]
	s_or_b64 exec, exec, s[20:21]
	v_mov_b32_e32 v9, 0
	s_and_saveexec_b64 s[20:21], s[22:23]
	s_cbranch_execnz .LBB38_2173
	s_branch .LBB38_2174
.LBB38_2189:
	s_mov_b64 s[4:5], -1
                                        ; implicit-def: $vgpr9
	s_branch .LBB38_2194
.LBB38_2190:
	s_mov_b64 s[4:5], -1
                                        ; implicit-def: $vgpr9
.LBB38_2191:
	s_and_b64 vcc, exec, s[4:5]
	s_cbranch_vccz .LBB38_2193
; %bb.2192:
	global_load_ubyte v9, v[0:1], off
	s_mov_b32 s4, 0x7f800000
	s_waitcnt vmcnt(0)
	v_lshlrev_b32_e32 v9, 24, v9
	v_and_b32_e32 v11, 0x7f000000, v9
	v_ffbh_u32_e32 v12, v11
	v_min_u32_e32 v12, 32, v12
	v_sub_u32_e64 v12, v12, 4 clamp
	v_lshlrev_b32_e32 v14, v12, v11
	v_lshlrev_b32_e32 v12, 23, v12
	v_lshrrev_b32_e32 v14, 4, v14
	v_add_u32_e32 v13, 0x1000000, v11
	v_sub_u32_e32 v12, v14, v12
	v_ashrrev_i32_e32 v13, 8, v13
	v_add_u32_e32 v12, 0x3c000000, v12
	v_and_or_b32 v12, v13, s4, v12
	v_cmp_ne_u32_e32 vcc, 0, v11
	v_cndmask_b32_e32 v11, 0, v12, vcc
	s_brev_b32 s4, 1
	v_and_or_b32 v9, v9, s4, v11
	v_cvt_i32_f32_e32 v9, v9
.LBB38_2193:
	s_mov_b64 s[4:5], 0
.LBB38_2194:
	s_andn2_b64 vcc, exec, s[4:5]
	s_cbranch_vccnz .LBB38_2196
; %bb.2195:
	global_load_ubyte v9, v[0:1], off
	s_movk_i32 s4, 0x7f00
	s_brev_b32 s5, 16
	s_waitcnt vmcnt(0)
	v_lshlrev_b16_e32 v11, 8, v9
	v_lshlrev_b32_e32 v9, 25, v9
	v_lshrrev_b32_e32 v12, 4, v9
	v_and_or_b32 v13, v11, s4, 0.5
	v_or_b32_e32 v12, 0x70000000, v12
	v_add_f32_e32 v13, -0.5, v13
	v_mul_f32_e32 v12, 0x7800000, v12
	v_cmp_gt_u32_e32 vcc, s5, v9
	v_bfe_i32 v11, v11, 0, 16
	v_cndmask_b32_e32 v9, v12, v13, vcc
	s_brev_b32 s4, 1
	v_and_or_b32 v9, v11, s4, v9
	v_cvt_i32_f32_e32 v9, v9
.LBB38_2196:
	s_mov_b64 s[4:5], 0
	s_mov_b64 s[20:21], -1
.LBB38_2197:
	s_andn2_b64 vcc, exec, s[4:5]
	s_mov_b64 s[4:5], 0
	s_cbranch_vccnz .LBB38_2208
; %bb.2198:
	s_cmp_gt_i32 s26, 14
	s_cbranch_scc0 .LBB38_2201
; %bb.2199:
	s_cmp_eq_u32 s26, 15
	s_cbranch_scc0 .LBB38_2204
; %bb.2200:
	global_load_ushort v9, v[0:1], off
	s_mov_b64 s[0:1], 0
	s_mov_b64 s[20:21], -1
	s_waitcnt vmcnt(0)
	v_lshlrev_b32_e32 v9, 16, v9
	v_cvt_i32_f32_e32 v9, v9
	s_branch .LBB38_2205
.LBB38_2201:
	s_mov_b64 s[22:23], -1
                                        ; implicit-def: $vgpr9
	s_branch .LBB38_2206
.LBB38_2202:
	s_andn2_saveexec_b64 s[4:5], s[4:5]
	s_cbranch_execz .LBB38_2183
.LBB38_2203:
	v_cmp_ne_u16_e32 vcc, 0, v11
	s_andn2_b64 s[20:21], s[20:21], exec
	s_and_b64 s[22:23], vcc, exec
	s_or_b64 s[20:21], s[20:21], s[22:23]
	s_or_b64 exec, exec, s[4:5]
	v_mov_b32_e32 v9, 0
	s_and_saveexec_b64 s[4:5], s[20:21]
	s_cbranch_execnz .LBB38_2184
	s_branch .LBB38_2185
.LBB38_2204:
	s_mov_b64 s[0:1], -1
                                        ; implicit-def: $vgpr9
.LBB38_2205:
	s_mov_b64 s[22:23], 0
.LBB38_2206:
	s_and_b64 vcc, exec, s[22:23]
	s_cbranch_vccz .LBB38_2208
; %bb.2207:
	s_cmp_lg_u32 s26, 11
	s_mov_b64 s[4:5], -1
	s_cselect_b64 s[0:1], -1, 0
.LBB38_2208:
	s_and_b64 vcc, exec, s[0:1]
	s_cbranch_vccnz .LBB38_2273
; %bb.2209:
	s_andn2_b64 vcc, exec, s[4:5]
	s_cbranch_vccnz .LBB38_2211
.LBB38_2210:
	global_load_ubyte v9, v[0:1], off
	s_mov_b64 s[20:21], -1
	s_waitcnt vmcnt(0)
	v_cmp_ne_u16_e32 vcc, 0, v9
	v_cndmask_b32_e64 v9, 0, 1, vcc
.LBB38_2211:
	s_mov_b64 s[0:1], 0
.LBB38_2212:
	s_and_b64 vcc, exec, s[0:1]
	s_cbranch_vccz .LBB38_2261
; %bb.2213:
	s_and_b32 s4, 0xffff, s25
	s_cmp_lt_i32 s4, 5
	s_cbranch_scc1 .LBB38_2218
; %bb.2214:
	s_cmp_lt_i32 s4, 8
	s_cbranch_scc1 .LBB38_2219
; %bb.2215:
	;; [unrolled: 3-line block ×3, first 2 shown]
	s_cmp_gt_i32 s4, 9
	s_cbranch_scc0 .LBB38_2221
; %bb.2217:
	global_load_dwordx2 v[11:12], v[0:1], off
	s_mov_b64 s[0:1], 0
	s_waitcnt vmcnt(0)
	v_cvt_i32_f64_e32 v9, v[11:12]
	s_branch .LBB38_2222
.LBB38_2218:
	s_mov_b64 s[0:1], -1
                                        ; implicit-def: $vgpr9
	s_branch .LBB38_2240
.LBB38_2219:
	s_mov_b64 s[0:1], -1
                                        ; implicit-def: $vgpr9
	s_branch .LBB38_2228
.LBB38_2220:
	s_mov_b64 s[0:1], -1
                                        ; implicit-def: $vgpr9
	s_branch .LBB38_2225
.LBB38_2221:
	s_mov_b64 s[0:1], -1
                                        ; implicit-def: $vgpr9
.LBB38_2222:
	s_andn2_b64 vcc, exec, s[0:1]
	s_cbranch_vccnz .LBB38_2224
; %bb.2223:
	global_load_dword v9, v[0:1], off
	s_waitcnt vmcnt(0)
	v_cvt_i32_f32_e32 v9, v9
.LBB38_2224:
	s_mov_b64 s[0:1], 0
.LBB38_2225:
	s_andn2_b64 vcc, exec, s[0:1]
	s_cbranch_vccnz .LBB38_2227
; %bb.2226:
	global_load_dword v9, v[0:1], off
	s_waitcnt vmcnt(0)
	v_cvt_f32_f16_e32 v9, v9
	v_cvt_i32_f32_e32 v9, v9
.LBB38_2227:
	s_mov_b64 s[0:1], 0
.LBB38_2228:
	s_andn2_b64 vcc, exec, s[0:1]
	s_cbranch_vccnz .LBB38_2239
; %bb.2229:
	s_cmp_lt_i32 s4, 6
	s_cbranch_scc1 .LBB38_2232
; %bb.2230:
	s_cmp_gt_i32 s4, 6
	s_cbranch_scc0 .LBB38_2233
; %bb.2231:
	global_load_dwordx2 v[11:12], v[0:1], off
	s_mov_b64 s[0:1], 0
	s_waitcnt vmcnt(0)
	v_cvt_i32_f64_e32 v9, v[11:12]
	s_branch .LBB38_2234
.LBB38_2232:
	s_mov_b64 s[0:1], -1
                                        ; implicit-def: $vgpr9
	s_branch .LBB38_2237
.LBB38_2233:
	s_mov_b64 s[0:1], -1
                                        ; implicit-def: $vgpr9
.LBB38_2234:
	s_andn2_b64 vcc, exec, s[0:1]
	s_cbranch_vccnz .LBB38_2236
; %bb.2235:
	global_load_dword v9, v[0:1], off
	s_waitcnt vmcnt(0)
	v_cvt_i32_f32_e32 v9, v9
.LBB38_2236:
	s_mov_b64 s[0:1], 0
.LBB38_2237:
	s_andn2_b64 vcc, exec, s[0:1]
	s_cbranch_vccnz .LBB38_2239
; %bb.2238:
	global_load_ushort v9, v[0:1], off
	s_waitcnt vmcnt(0)
	v_cvt_f32_f16_e32 v9, v9
	v_cvt_i32_f32_e32 v9, v9
.LBB38_2239:
	s_mov_b64 s[0:1], 0
.LBB38_2240:
	s_andn2_b64 vcc, exec, s[0:1]
	s_cbranch_vccnz .LBB38_2260
; %bb.2241:
	s_cmp_lt_i32 s4, 2
	s_cbranch_scc1 .LBB38_2245
; %bb.2242:
	s_cmp_lt_i32 s4, 3
	s_cbranch_scc1 .LBB38_2246
; %bb.2243:
	s_cmp_gt_i32 s4, 3
	s_cbranch_scc0 .LBB38_2247
; %bb.2244:
	global_load_dword v9, v[0:1], off
	s_mov_b64 s[0:1], 0
	s_branch .LBB38_2248
.LBB38_2245:
	s_mov_b64 s[0:1], -1
                                        ; implicit-def: $vgpr9
	s_branch .LBB38_2254
.LBB38_2246:
	s_mov_b64 s[0:1], -1
                                        ; implicit-def: $vgpr9
	s_branch .LBB38_2251
.LBB38_2247:
	s_mov_b64 s[0:1], -1
                                        ; implicit-def: $vgpr9
.LBB38_2248:
	s_andn2_b64 vcc, exec, s[0:1]
	s_cbranch_vccnz .LBB38_2250
; %bb.2249:
	global_load_dword v9, v[0:1], off
.LBB38_2250:
	s_mov_b64 s[0:1], 0
.LBB38_2251:
	s_andn2_b64 vcc, exec, s[0:1]
	s_cbranch_vccnz .LBB38_2253
; %bb.2252:
	global_load_sshort v9, v[0:1], off
.LBB38_2253:
	s_mov_b64 s[0:1], 0
.LBB38_2254:
	s_andn2_b64 vcc, exec, s[0:1]
	s_cbranch_vccnz .LBB38_2260
; %bb.2255:
	s_cmp_gt_i32 s4, 0
	s_cbranch_scc0 .LBB38_2257
; %bb.2256:
	global_load_sbyte v9, v[0:1], off
	s_mov_b64 s[0:1], 0
	s_branch .LBB38_2258
.LBB38_2257:
	s_mov_b64 s[0:1], -1
                                        ; implicit-def: $vgpr9
.LBB38_2258:
	s_andn2_b64 vcc, exec, s[0:1]
	s_cbranch_vccnz .LBB38_2260
; %bb.2259:
	global_load_ubyte v9, v[0:1], off
.LBB38_2260:
	s_mov_b64 s[20:21], -1
.LBB38_2261:
	s_andn2_b64 vcc, exec, s[20:21]
	s_cbranch_vccnz .LBB38_2947
; %bb.2262:
	v_add_u32_e32 v0, s13, v8
	v_ashrrev_i32_e32 v1, 31, v0
	v_mov_b32_e32 v8, s11
	v_add_co_u32_e32 v0, vcc, s10, v0
	s_cmp_lt_i32 s24, 11
	v_addc_co_u32_e32 v1, vcc, v8, v1, vcc
	s_cbranch_scc1 .LBB38_2269
; %bb.2263:
	s_and_b32 s13, 0xffff, s24
	s_cmp_gt_i32 s13, 25
	s_mov_b64 s[4:5], 0
	s_cbranch_scc0 .LBB38_2270
; %bb.2264:
	s_cmp_gt_i32 s13, 28
	s_cbranch_scc0 .LBB38_2271
; %bb.2265:
	s_cmp_gt_i32 s13, 43
	;; [unrolled: 3-line block ×3, first 2 shown]
	s_cbranch_scc0 .LBB38_2274
; %bb.2267:
	s_cmp_eq_u32 s13, 46
	s_mov_b64 s[20:21], 0
	s_cbranch_scc0 .LBB38_2275
; %bb.2268:
	global_load_dword v8, v[0:1], off
	s_mov_b64 s[0:1], 0
	s_mov_b64 s[10:11], -1
	s_waitcnt vmcnt(0)
	v_lshlrev_b32_e32 v8, 16, v8
	v_cvt_i32_f32_e32 v8, v8
	s_branch .LBB38_2276
.LBB38_2269:
	s_mov_b64 s[0:1], -1
	s_mov_b64 s[10:11], 0
                                        ; implicit-def: $vgpr8
	s_branch .LBB38_2338
.LBB38_2270:
	s_mov_b64 s[20:21], -1
	s_mov_b64 s[10:11], 0
	s_mov_b64 s[0:1], 0
                                        ; implicit-def: $vgpr8
	s_branch .LBB38_2303
.LBB38_2271:
	s_mov_b64 s[20:21], -1
	s_mov_b64 s[10:11], 0
	s_mov_b64 s[0:1], 0
                                        ; implicit-def: $vgpr8
	s_branch .LBB38_2286
.LBB38_2272:
	s_mov_b64 s[20:21], -1
	s_mov_b64 s[10:11], 0
	s_mov_b64 s[0:1], 0
                                        ; implicit-def: $vgpr8
	s_branch .LBB38_2281
.LBB38_2273:
	s_trap 2
	s_or_b64 s[18:19], s[18:19], exec
	s_cbranch_execz .LBB38_2210
	s_branch .LBB38_2211
.LBB38_2274:
	s_mov_b64 s[20:21], -1
	s_mov_b64 s[10:11], 0
	s_mov_b64 s[0:1], 0
                                        ; implicit-def: $vgpr8
	s_branch .LBB38_2276
.LBB38_2275:
	s_mov_b64 s[0:1], -1
                                        ; implicit-def: $vgpr8
	s_mov_b64 s[10:11], 0
.LBB38_2276:
	s_and_b64 vcc, exec, s[20:21]
	s_cbranch_vccz .LBB38_2280
; %bb.2277:
	s_cmp_eq_u32 s13, 44
	s_cbranch_scc0 .LBB38_2279
; %bb.2278:
	global_load_ubyte v8, v[0:1], off
	s_mov_b64 s[0:1], 0
	s_mov_b64 s[10:11], -1
	s_waitcnt vmcnt(0)
	v_lshlrev_b32_e32 v11, 23, v8
	v_cvt_i32_f32_e32 v11, v11
	v_cmp_ne_u32_e32 vcc, 0, v8
	v_cndmask_b32_e32 v8, 0, v11, vcc
	s_branch .LBB38_2280
.LBB38_2279:
	s_mov_b64 s[0:1], -1
                                        ; implicit-def: $vgpr8
.LBB38_2280:
	s_mov_b64 s[20:21], 0
.LBB38_2281:
	s_and_b64 vcc, exec, s[20:21]
	s_cbranch_vccz .LBB38_2285
; %bb.2282:
	s_cmp_eq_u32 s13, 29
	s_cbranch_scc0 .LBB38_2284
; %bb.2283:
	global_load_dword v8, v[0:1], off
	s_mov_b64 s[0:1], 0
	s_mov_b64 s[10:11], -1
	s_branch .LBB38_2285
.LBB38_2284:
	s_mov_b64 s[0:1], -1
                                        ; implicit-def: $vgpr8
.LBB38_2285:
	s_mov_b64 s[20:21], 0
.LBB38_2286:
	s_and_b64 vcc, exec, s[20:21]
	s_cbranch_vccz .LBB38_2302
; %bb.2287:
	s_cmp_lt_i32 s13, 27
	s_cbranch_scc1 .LBB38_2290
; %bb.2288:
	s_cmp_gt_i32 s13, 27
	s_cbranch_scc0 .LBB38_2291
; %bb.2289:
	global_load_dword v8, v[0:1], off
	s_mov_b64 s[10:11], 0
	s_branch .LBB38_2292
.LBB38_2290:
	s_mov_b64 s[10:11], -1
                                        ; implicit-def: $vgpr8
	s_branch .LBB38_2295
.LBB38_2291:
	s_mov_b64 s[10:11], -1
                                        ; implicit-def: $vgpr8
.LBB38_2292:
	s_andn2_b64 vcc, exec, s[10:11]
	s_cbranch_vccnz .LBB38_2294
; %bb.2293:
	global_load_ushort v8, v[0:1], off
.LBB38_2294:
	s_mov_b64 s[10:11], 0
.LBB38_2295:
	s_andn2_b64 vcc, exec, s[10:11]
	s_cbranch_vccnz .LBB38_2301
; %bb.2296:
	global_load_ubyte v11, v[0:1], off
	s_movk_i32 s10, 0x7f
	s_mov_b64 s[20:21], 0
	s_waitcnt vmcnt(0)
	v_cmp_lt_i16_e32 vcc, s10, v11
	s_and_saveexec_b64 s[10:11], vcc
	s_xor_b64 s[10:11], exec, s[10:11]
	s_cbranch_execz .LBB38_2313
; %bb.2297:
	s_movk_i32 s20, 0x80
	v_cmp_ne_u16_e32 vcc, s20, v11
	s_and_b64 s[20:21], vcc, exec
	s_andn2_saveexec_b64 s[10:11], s[10:11]
	s_cbranch_execnz .LBB38_2314
.LBB38_2298:
	s_or_b64 exec, exec, s[10:11]
	v_mov_b32_e32 v8, 0
	s_and_saveexec_b64 s[10:11], s[20:21]
	s_cbranch_execz .LBB38_2300
.LBB38_2299:
	v_lshlrev_b32_e32 v8, 24, v11
	v_and_b32_e32 v11, 0xffff, v11
	v_and_b32_e32 v12, 7, v11
	v_ffbh_u32_e32 v14, v12
	v_min_u32_e32 v14, 32, v14
	v_subrev_u32_e32 v15, 28, v14
	v_bfe_u32 v13, v11, 3, 4
	v_lshlrev_b32_e32 v11, v15, v11
	v_sub_u32_e32 v14, 29, v14
	v_and_b32_e32 v11, 7, v11
	v_cmp_eq_u32_e32 vcc, 0, v13
	v_cndmask_b32_e32 v13, v13, v14, vcc
	v_cndmask_b32_e32 v11, v12, v11, vcc
	v_mov_b32_e32 v12, 0x3b800000
	v_lshlrev_b32_e32 v11, 20, v11
	v_and_b32_e32 v8, 0x80000000, v8
	v_lshl_add_u32 v12, v13, 23, v12
	v_or3_b32 v8, v8, v12, v11
	v_cvt_i32_f32_e32 v8, v8
.LBB38_2300:
	s_or_b64 exec, exec, s[10:11]
.LBB38_2301:
	s_mov_b64 s[10:11], -1
.LBB38_2302:
	s_mov_b64 s[20:21], 0
.LBB38_2303:
	s_and_b64 vcc, exec, s[20:21]
	s_cbranch_vccz .LBB38_2334
; %bb.2304:
	s_cmp_gt_i32 s13, 22
	s_cbranch_scc0 .LBB38_2312
; %bb.2305:
	s_cmp_lt_i32 s13, 24
	s_cbranch_scc1 .LBB38_2315
; %bb.2306:
	s_cmp_gt_i32 s13, 24
	s_cbranch_scc0 .LBB38_2316
; %bb.2307:
	global_load_ubyte v11, v[0:1], off
	s_movk_i32 s4, 0x7f
	s_mov_b64 s[10:11], 0
	s_waitcnt vmcnt(0)
	v_cmp_lt_i16_e32 vcc, s4, v11
	s_and_saveexec_b64 s[4:5], vcc
	s_xor_b64 s[4:5], exec, s[4:5]
	s_cbranch_execz .LBB38_2328
; %bb.2308:
	s_movk_i32 s10, 0x80
	v_cmp_ne_u16_e32 vcc, s10, v11
	s_and_b64 s[10:11], vcc, exec
	s_andn2_saveexec_b64 s[4:5], s[4:5]
	s_cbranch_execnz .LBB38_2329
.LBB38_2309:
	s_or_b64 exec, exec, s[4:5]
	v_mov_b32_e32 v8, 0
	s_and_saveexec_b64 s[4:5], s[10:11]
	s_cbranch_execz .LBB38_2311
.LBB38_2310:
	v_lshlrev_b32_e32 v8, 24, v11
	v_and_b32_e32 v11, 0xffff, v11
	v_and_b32_e32 v12, 3, v11
	v_ffbh_u32_e32 v14, v12
	v_min_u32_e32 v14, 32, v14
	v_subrev_u32_e32 v15, 29, v14
	v_bfe_u32 v13, v11, 2, 5
	v_lshlrev_b32_e32 v11, v15, v11
	v_sub_u32_e32 v14, 30, v14
	v_and_b32_e32 v11, 3, v11
	v_cmp_eq_u32_e32 vcc, 0, v13
	v_cndmask_b32_e32 v13, v13, v14, vcc
	v_cndmask_b32_e32 v11, v12, v11, vcc
	v_mov_b32_e32 v12, 0x37800000
	v_lshlrev_b32_e32 v11, 21, v11
	v_and_b32_e32 v8, 0x80000000, v8
	v_lshl_add_u32 v12, v13, 23, v12
	v_or3_b32 v8, v8, v12, v11
	v_cvt_i32_f32_e32 v8, v8
.LBB38_2311:
	s_or_b64 exec, exec, s[4:5]
	s_mov_b64 s[4:5], 0
	s_branch .LBB38_2317
.LBB38_2312:
	s_mov_b64 s[4:5], -1
                                        ; implicit-def: $vgpr8
	s_branch .LBB38_2323
.LBB38_2313:
	s_andn2_saveexec_b64 s[10:11], s[10:11]
	s_cbranch_execz .LBB38_2298
.LBB38_2314:
	v_cmp_ne_u16_e32 vcc, 0, v11
	s_andn2_b64 s[20:21], s[20:21], exec
	s_and_b64 s[22:23], vcc, exec
	s_or_b64 s[20:21], s[20:21], s[22:23]
	s_or_b64 exec, exec, s[10:11]
	v_mov_b32_e32 v8, 0
	s_and_saveexec_b64 s[10:11], s[20:21]
	s_cbranch_execnz .LBB38_2299
	s_branch .LBB38_2300
.LBB38_2315:
	s_mov_b64 s[4:5], -1
                                        ; implicit-def: $vgpr8
	s_branch .LBB38_2320
.LBB38_2316:
	s_mov_b64 s[4:5], -1
                                        ; implicit-def: $vgpr8
.LBB38_2317:
	s_and_b64 vcc, exec, s[4:5]
	s_cbranch_vccz .LBB38_2319
; %bb.2318:
	global_load_ubyte v8, v[0:1], off
	s_mov_b32 s4, 0x7f800000
	s_waitcnt vmcnt(0)
	v_lshlrev_b32_e32 v8, 24, v8
	v_and_b32_e32 v11, 0x7f000000, v8
	v_ffbh_u32_e32 v12, v11
	v_min_u32_e32 v12, 32, v12
	v_sub_u32_e64 v12, v12, 4 clamp
	v_lshlrev_b32_e32 v14, v12, v11
	v_lshlrev_b32_e32 v12, 23, v12
	v_lshrrev_b32_e32 v14, 4, v14
	v_add_u32_e32 v13, 0x1000000, v11
	v_sub_u32_e32 v12, v14, v12
	v_ashrrev_i32_e32 v13, 8, v13
	v_add_u32_e32 v12, 0x3c000000, v12
	v_and_or_b32 v12, v13, s4, v12
	v_cmp_ne_u32_e32 vcc, 0, v11
	v_cndmask_b32_e32 v11, 0, v12, vcc
	s_brev_b32 s4, 1
	v_and_or_b32 v8, v8, s4, v11
	v_cvt_i32_f32_e32 v8, v8
.LBB38_2319:
	s_mov_b64 s[4:5], 0
.LBB38_2320:
	s_andn2_b64 vcc, exec, s[4:5]
	s_cbranch_vccnz .LBB38_2322
; %bb.2321:
	global_load_ubyte v8, v[0:1], off
	s_movk_i32 s4, 0x7f00
	s_brev_b32 s5, 16
	s_waitcnt vmcnt(0)
	v_lshlrev_b16_e32 v11, 8, v8
	v_lshlrev_b32_e32 v8, 25, v8
	v_lshrrev_b32_e32 v12, 4, v8
	v_and_or_b32 v13, v11, s4, 0.5
	v_or_b32_e32 v12, 0x70000000, v12
	v_add_f32_e32 v13, -0.5, v13
	v_mul_f32_e32 v12, 0x7800000, v12
	v_cmp_gt_u32_e32 vcc, s5, v8
	v_bfe_i32 v11, v11, 0, 16
	v_cndmask_b32_e32 v8, v12, v13, vcc
	s_brev_b32 s4, 1
	v_and_or_b32 v8, v11, s4, v8
	v_cvt_i32_f32_e32 v8, v8
.LBB38_2322:
	s_mov_b64 s[4:5], 0
	s_mov_b64 s[10:11], -1
.LBB38_2323:
	s_andn2_b64 vcc, exec, s[4:5]
	s_mov_b64 s[4:5], 0
	s_cbranch_vccnz .LBB38_2334
; %bb.2324:
	s_cmp_gt_i32 s13, 14
	s_cbranch_scc0 .LBB38_2327
; %bb.2325:
	s_cmp_eq_u32 s13, 15
	s_cbranch_scc0 .LBB38_2330
; %bb.2326:
	global_load_ushort v8, v[0:1], off
	s_mov_b64 s[0:1], 0
	s_mov_b64 s[10:11], -1
	s_waitcnt vmcnt(0)
	v_lshlrev_b32_e32 v8, 16, v8
	v_cvt_i32_f32_e32 v8, v8
	s_branch .LBB38_2331
.LBB38_2327:
	s_mov_b64 s[20:21], -1
                                        ; implicit-def: $vgpr8
	s_branch .LBB38_2332
.LBB38_2328:
	s_andn2_saveexec_b64 s[4:5], s[4:5]
	s_cbranch_execz .LBB38_2309
.LBB38_2329:
	v_cmp_ne_u16_e32 vcc, 0, v11
	s_andn2_b64 s[10:11], s[10:11], exec
	s_and_b64 s[20:21], vcc, exec
	s_or_b64 s[10:11], s[10:11], s[20:21]
	s_or_b64 exec, exec, s[4:5]
	v_mov_b32_e32 v8, 0
	s_and_saveexec_b64 s[4:5], s[10:11]
	s_cbranch_execnz .LBB38_2310
	s_branch .LBB38_2311
.LBB38_2330:
	s_mov_b64 s[0:1], -1
                                        ; implicit-def: $vgpr8
.LBB38_2331:
	s_mov_b64 s[20:21], 0
.LBB38_2332:
	s_and_b64 vcc, exec, s[20:21]
	s_cbranch_vccz .LBB38_2334
; %bb.2333:
	s_cmp_lg_u32 s13, 11
	s_mov_b64 s[4:5], -1
	s_cselect_b64 s[0:1], -1, 0
.LBB38_2334:
	s_and_b64 vcc, exec, s[0:1]
	s_cbranch_vccnz .LBB38_2399
; %bb.2335:
	s_andn2_b64 vcc, exec, s[4:5]
	s_cbranch_vccnz .LBB38_2337
.LBB38_2336:
	global_load_ubyte v8, v[0:1], off
	s_mov_b64 s[10:11], -1
	s_waitcnt vmcnt(0)
	v_cmp_ne_u16_e32 vcc, 0, v8
	v_cndmask_b32_e64 v8, 0, 1, vcc
.LBB38_2337:
	s_mov_b64 s[0:1], 0
.LBB38_2338:
	s_and_b64 vcc, exec, s[0:1]
	s_cbranch_vccz .LBB38_2387
; %bb.2339:
	s_and_b32 s4, 0xffff, s24
	s_cmp_lt_i32 s4, 5
	s_cbranch_scc1 .LBB38_2344
; %bb.2340:
	s_cmp_lt_i32 s4, 8
	s_cbranch_scc1 .LBB38_2345
; %bb.2341:
	;; [unrolled: 3-line block ×3, first 2 shown]
	s_cmp_gt_i32 s4, 9
	s_cbranch_scc0 .LBB38_2347
; %bb.2343:
	global_load_dwordx2 v[11:12], v[0:1], off
	s_mov_b64 s[0:1], 0
	s_waitcnt vmcnt(0)
	v_cvt_i32_f64_e32 v8, v[11:12]
	s_branch .LBB38_2348
.LBB38_2344:
	s_mov_b64 s[0:1], -1
                                        ; implicit-def: $vgpr8
	s_branch .LBB38_2366
.LBB38_2345:
	s_mov_b64 s[0:1], -1
                                        ; implicit-def: $vgpr8
	s_branch .LBB38_2354
.LBB38_2346:
	s_mov_b64 s[0:1], -1
                                        ; implicit-def: $vgpr8
	s_branch .LBB38_2351
.LBB38_2347:
	s_mov_b64 s[0:1], -1
                                        ; implicit-def: $vgpr8
.LBB38_2348:
	s_andn2_b64 vcc, exec, s[0:1]
	s_cbranch_vccnz .LBB38_2350
; %bb.2349:
	global_load_dword v8, v[0:1], off
	s_waitcnt vmcnt(0)
	v_cvt_i32_f32_e32 v8, v8
.LBB38_2350:
	s_mov_b64 s[0:1], 0
.LBB38_2351:
	s_andn2_b64 vcc, exec, s[0:1]
	s_cbranch_vccnz .LBB38_2353
; %bb.2352:
	global_load_dword v8, v[0:1], off
	s_waitcnt vmcnt(0)
	v_cvt_f32_f16_e32 v8, v8
	v_cvt_i32_f32_e32 v8, v8
.LBB38_2353:
	s_mov_b64 s[0:1], 0
.LBB38_2354:
	s_andn2_b64 vcc, exec, s[0:1]
	s_cbranch_vccnz .LBB38_2365
; %bb.2355:
	s_cmp_lt_i32 s4, 6
	s_cbranch_scc1 .LBB38_2358
; %bb.2356:
	s_cmp_gt_i32 s4, 6
	s_cbranch_scc0 .LBB38_2359
; %bb.2357:
	global_load_dwordx2 v[11:12], v[0:1], off
	s_mov_b64 s[0:1], 0
	s_waitcnt vmcnt(0)
	v_cvt_i32_f64_e32 v8, v[11:12]
	s_branch .LBB38_2360
.LBB38_2358:
	s_mov_b64 s[0:1], -1
                                        ; implicit-def: $vgpr8
	s_branch .LBB38_2363
.LBB38_2359:
	s_mov_b64 s[0:1], -1
                                        ; implicit-def: $vgpr8
.LBB38_2360:
	s_andn2_b64 vcc, exec, s[0:1]
	s_cbranch_vccnz .LBB38_2362
; %bb.2361:
	global_load_dword v8, v[0:1], off
	s_waitcnt vmcnt(0)
	v_cvt_i32_f32_e32 v8, v8
.LBB38_2362:
	s_mov_b64 s[0:1], 0
.LBB38_2363:
	s_andn2_b64 vcc, exec, s[0:1]
	s_cbranch_vccnz .LBB38_2365
; %bb.2364:
	global_load_ushort v8, v[0:1], off
	s_waitcnt vmcnt(0)
	v_cvt_f32_f16_e32 v8, v8
	v_cvt_i32_f32_e32 v8, v8
.LBB38_2365:
	s_mov_b64 s[0:1], 0
.LBB38_2366:
	s_andn2_b64 vcc, exec, s[0:1]
	s_cbranch_vccnz .LBB38_2386
; %bb.2367:
	s_cmp_lt_i32 s4, 2
	s_cbranch_scc1 .LBB38_2371
; %bb.2368:
	s_cmp_lt_i32 s4, 3
	s_cbranch_scc1 .LBB38_2372
; %bb.2369:
	s_cmp_gt_i32 s4, 3
	s_cbranch_scc0 .LBB38_2373
; %bb.2370:
	global_load_dword v8, v[0:1], off
	s_mov_b64 s[0:1], 0
	s_branch .LBB38_2374
.LBB38_2371:
	s_mov_b64 s[0:1], -1
                                        ; implicit-def: $vgpr8
	s_branch .LBB38_2380
.LBB38_2372:
	s_mov_b64 s[0:1], -1
                                        ; implicit-def: $vgpr8
	s_branch .LBB38_2377
.LBB38_2373:
	s_mov_b64 s[0:1], -1
                                        ; implicit-def: $vgpr8
.LBB38_2374:
	s_andn2_b64 vcc, exec, s[0:1]
	s_cbranch_vccnz .LBB38_2376
; %bb.2375:
	global_load_dword v8, v[0:1], off
.LBB38_2376:
	s_mov_b64 s[0:1], 0
.LBB38_2377:
	s_andn2_b64 vcc, exec, s[0:1]
	s_cbranch_vccnz .LBB38_2379
; %bb.2378:
	global_load_sshort v8, v[0:1], off
.LBB38_2379:
	s_mov_b64 s[0:1], 0
.LBB38_2380:
	s_andn2_b64 vcc, exec, s[0:1]
	s_cbranch_vccnz .LBB38_2386
; %bb.2381:
	s_cmp_gt_i32 s4, 0
	s_cbranch_scc0 .LBB38_2383
; %bb.2382:
	global_load_sbyte v8, v[0:1], off
	s_mov_b64 s[0:1], 0
	s_branch .LBB38_2384
.LBB38_2383:
	s_mov_b64 s[0:1], -1
                                        ; implicit-def: $vgpr8
.LBB38_2384:
	s_andn2_b64 vcc, exec, s[0:1]
	s_cbranch_vccnz .LBB38_2386
; %bb.2385:
	global_load_ubyte v8, v[0:1], off
.LBB38_2386:
	s_mov_b64 s[10:11], -1
.LBB38_2387:
	s_andn2_b64 vcc, exec, s[10:11]
	s_cbranch_vccnz .LBB38_2947
; %bb.2388:
	v_add_u32_e32 v0, s14, v10
	v_ashrrev_i32_e32 v1, 31, v0
	v_mov_b32_e32 v10, s3
	v_add_co_u32_e32 v0, vcc, s2, v0
	s_cmp_lt_i32 s25, 11
	v_addc_co_u32_e32 v1, vcc, v10, v1, vcc
	s_cbranch_scc1 .LBB38_2395
; %bb.2389:
	s_and_b32 s13, 0xffff, s25
	s_cmp_gt_i32 s13, 25
	s_mov_b64 s[2:3], 0
	s_cbranch_scc0 .LBB38_2396
; %bb.2390:
	s_cmp_gt_i32 s13, 28
	s_cbranch_scc0 .LBB38_2397
; %bb.2391:
	s_cmp_gt_i32 s13, 43
	;; [unrolled: 3-line block ×3, first 2 shown]
	s_cbranch_scc0 .LBB38_2400
; %bb.2393:
	s_cmp_eq_u32 s13, 46
	s_mov_b64 s[10:11], 0
	s_cbranch_scc0 .LBB38_2401
; %bb.2394:
	global_load_dword v10, v[0:1], off
	s_mov_b64 s[0:1], 0
	s_mov_b64 s[4:5], -1
	s_waitcnt vmcnt(0)
	v_lshlrev_b32_e32 v10, 16, v10
	v_cvt_i32_f32_e32 v10, v10
	s_branch .LBB38_2402
.LBB38_2395:
	s_mov_b64 s[0:1], -1
	s_mov_b64 s[4:5], 0
                                        ; implicit-def: $vgpr10
	s_branch .LBB38_2464
.LBB38_2396:
	s_mov_b64 s[10:11], -1
	s_mov_b64 s[4:5], 0
	s_mov_b64 s[0:1], 0
                                        ; implicit-def: $vgpr10
	s_branch .LBB38_2429
.LBB38_2397:
	s_mov_b64 s[10:11], -1
	s_mov_b64 s[4:5], 0
	s_mov_b64 s[0:1], 0
                                        ; implicit-def: $vgpr10
	s_branch .LBB38_2412
.LBB38_2398:
	s_mov_b64 s[10:11], -1
	s_mov_b64 s[4:5], 0
	s_mov_b64 s[0:1], 0
                                        ; implicit-def: $vgpr10
	s_branch .LBB38_2407
.LBB38_2399:
	s_trap 2
	s_or_b64 s[18:19], s[18:19], exec
	s_cbranch_execz .LBB38_2336
	s_branch .LBB38_2337
.LBB38_2400:
	s_mov_b64 s[10:11], -1
	s_mov_b64 s[4:5], 0
	s_mov_b64 s[0:1], 0
                                        ; implicit-def: $vgpr10
	s_branch .LBB38_2402
.LBB38_2401:
	s_mov_b64 s[0:1], -1
                                        ; implicit-def: $vgpr10
	s_mov_b64 s[4:5], 0
.LBB38_2402:
	s_and_b64 vcc, exec, s[10:11]
	s_cbranch_vccz .LBB38_2406
; %bb.2403:
	s_cmp_eq_u32 s13, 44
	s_cbranch_scc0 .LBB38_2405
; %bb.2404:
	global_load_ubyte v10, v[0:1], off
	s_mov_b64 s[0:1], 0
	s_mov_b64 s[4:5], -1
	s_waitcnt vmcnt(0)
	v_lshlrev_b32_e32 v11, 23, v10
	v_cvt_i32_f32_e32 v11, v11
	v_cmp_ne_u32_e32 vcc, 0, v10
	v_cndmask_b32_e32 v10, 0, v11, vcc
	s_branch .LBB38_2406
.LBB38_2405:
	s_mov_b64 s[0:1], -1
                                        ; implicit-def: $vgpr10
.LBB38_2406:
	s_mov_b64 s[10:11], 0
.LBB38_2407:
	s_and_b64 vcc, exec, s[10:11]
	s_cbranch_vccz .LBB38_2411
; %bb.2408:
	s_cmp_eq_u32 s13, 29
	s_cbranch_scc0 .LBB38_2410
; %bb.2409:
	global_load_dword v10, v[0:1], off
	s_mov_b64 s[0:1], 0
	s_mov_b64 s[4:5], -1
	s_branch .LBB38_2411
.LBB38_2410:
	s_mov_b64 s[0:1], -1
                                        ; implicit-def: $vgpr10
.LBB38_2411:
	s_mov_b64 s[10:11], 0
.LBB38_2412:
	s_and_b64 vcc, exec, s[10:11]
	s_cbranch_vccz .LBB38_2428
; %bb.2413:
	s_cmp_lt_i32 s13, 27
	s_cbranch_scc1 .LBB38_2416
; %bb.2414:
	s_cmp_gt_i32 s13, 27
	s_cbranch_scc0 .LBB38_2417
; %bb.2415:
	global_load_dword v10, v[0:1], off
	s_mov_b64 s[4:5], 0
	s_branch .LBB38_2418
.LBB38_2416:
	s_mov_b64 s[4:5], -1
                                        ; implicit-def: $vgpr10
	s_branch .LBB38_2421
.LBB38_2417:
	s_mov_b64 s[4:5], -1
                                        ; implicit-def: $vgpr10
.LBB38_2418:
	s_andn2_b64 vcc, exec, s[4:5]
	s_cbranch_vccnz .LBB38_2420
; %bb.2419:
	global_load_ushort v10, v[0:1], off
.LBB38_2420:
	s_mov_b64 s[4:5], 0
.LBB38_2421:
	s_andn2_b64 vcc, exec, s[4:5]
	s_cbranch_vccnz .LBB38_2427
; %bb.2422:
	global_load_ubyte v11, v[0:1], off
	s_movk_i32 s4, 0x7f
	s_mov_b64 s[10:11], 0
	s_waitcnt vmcnt(0)
	v_cmp_lt_i16_e32 vcc, s4, v11
	s_and_saveexec_b64 s[4:5], vcc
	s_xor_b64 s[4:5], exec, s[4:5]
	s_cbranch_execz .LBB38_2439
; %bb.2423:
	s_movk_i32 s10, 0x80
	v_cmp_ne_u16_e32 vcc, s10, v11
	s_and_b64 s[10:11], vcc, exec
	s_andn2_saveexec_b64 s[4:5], s[4:5]
	s_cbranch_execnz .LBB38_2440
.LBB38_2424:
	s_or_b64 exec, exec, s[4:5]
	v_mov_b32_e32 v10, 0
	s_and_saveexec_b64 s[4:5], s[10:11]
	s_cbranch_execz .LBB38_2426
.LBB38_2425:
	v_lshlrev_b32_e32 v10, 24, v11
	v_and_b32_e32 v11, 0xffff, v11
	v_and_b32_e32 v12, 7, v11
	v_ffbh_u32_e32 v14, v12
	v_min_u32_e32 v14, 32, v14
	v_subrev_u32_e32 v15, 28, v14
	v_bfe_u32 v13, v11, 3, 4
	v_lshlrev_b32_e32 v11, v15, v11
	v_sub_u32_e32 v14, 29, v14
	v_and_b32_e32 v11, 7, v11
	v_cmp_eq_u32_e32 vcc, 0, v13
	v_cndmask_b32_e32 v13, v13, v14, vcc
	v_cndmask_b32_e32 v11, v12, v11, vcc
	v_mov_b32_e32 v12, 0x3b800000
	v_lshlrev_b32_e32 v11, 20, v11
	v_and_b32_e32 v10, 0x80000000, v10
	v_lshl_add_u32 v12, v13, 23, v12
	v_or3_b32 v10, v10, v12, v11
	v_cvt_i32_f32_e32 v10, v10
.LBB38_2426:
	s_or_b64 exec, exec, s[4:5]
.LBB38_2427:
	s_mov_b64 s[4:5], -1
.LBB38_2428:
	s_mov_b64 s[10:11], 0
.LBB38_2429:
	s_and_b64 vcc, exec, s[10:11]
	s_cbranch_vccz .LBB38_2460
; %bb.2430:
	s_cmp_gt_i32 s13, 22
	s_cbranch_scc0 .LBB38_2438
; %bb.2431:
	s_cmp_lt_i32 s13, 24
	s_cbranch_scc1 .LBB38_2441
; %bb.2432:
	s_cmp_gt_i32 s13, 24
	s_cbranch_scc0 .LBB38_2442
; %bb.2433:
	global_load_ubyte v11, v[0:1], off
	s_movk_i32 s2, 0x7f
	s_mov_b64 s[4:5], 0
	s_waitcnt vmcnt(0)
	v_cmp_lt_i16_e32 vcc, s2, v11
	s_and_saveexec_b64 s[2:3], vcc
	s_xor_b64 s[2:3], exec, s[2:3]
	s_cbranch_execz .LBB38_2454
; %bb.2434:
	s_movk_i32 s4, 0x80
	v_cmp_ne_u16_e32 vcc, s4, v11
	s_and_b64 s[4:5], vcc, exec
	s_andn2_saveexec_b64 s[2:3], s[2:3]
	s_cbranch_execnz .LBB38_2455
.LBB38_2435:
	s_or_b64 exec, exec, s[2:3]
	v_mov_b32_e32 v10, 0
	s_and_saveexec_b64 s[2:3], s[4:5]
	s_cbranch_execz .LBB38_2437
.LBB38_2436:
	v_lshlrev_b32_e32 v10, 24, v11
	v_and_b32_e32 v11, 0xffff, v11
	v_and_b32_e32 v12, 3, v11
	v_ffbh_u32_e32 v14, v12
	v_min_u32_e32 v14, 32, v14
	v_subrev_u32_e32 v15, 29, v14
	v_bfe_u32 v13, v11, 2, 5
	v_lshlrev_b32_e32 v11, v15, v11
	v_sub_u32_e32 v14, 30, v14
	v_and_b32_e32 v11, 3, v11
	v_cmp_eq_u32_e32 vcc, 0, v13
	v_cndmask_b32_e32 v13, v13, v14, vcc
	v_cndmask_b32_e32 v11, v12, v11, vcc
	v_mov_b32_e32 v12, 0x37800000
	v_lshlrev_b32_e32 v11, 21, v11
	v_and_b32_e32 v10, 0x80000000, v10
	v_lshl_add_u32 v12, v13, 23, v12
	v_or3_b32 v10, v10, v12, v11
	v_cvt_i32_f32_e32 v10, v10
.LBB38_2437:
	s_or_b64 exec, exec, s[2:3]
	s_mov_b64 s[2:3], 0
	s_branch .LBB38_2443
.LBB38_2438:
	s_mov_b64 s[2:3], -1
                                        ; implicit-def: $vgpr10
	s_branch .LBB38_2449
.LBB38_2439:
	s_andn2_saveexec_b64 s[4:5], s[4:5]
	s_cbranch_execz .LBB38_2424
.LBB38_2440:
	v_cmp_ne_u16_e32 vcc, 0, v11
	s_andn2_b64 s[10:11], s[10:11], exec
	s_and_b64 s[20:21], vcc, exec
	s_or_b64 s[10:11], s[10:11], s[20:21]
	s_or_b64 exec, exec, s[4:5]
	v_mov_b32_e32 v10, 0
	s_and_saveexec_b64 s[4:5], s[10:11]
	s_cbranch_execnz .LBB38_2425
	s_branch .LBB38_2426
.LBB38_2441:
	s_mov_b64 s[2:3], -1
                                        ; implicit-def: $vgpr10
	s_branch .LBB38_2446
.LBB38_2442:
	s_mov_b64 s[2:3], -1
                                        ; implicit-def: $vgpr10
.LBB38_2443:
	s_and_b64 vcc, exec, s[2:3]
	s_cbranch_vccz .LBB38_2445
; %bb.2444:
	global_load_ubyte v10, v[0:1], off
	s_mov_b32 s2, 0x7f800000
	s_waitcnt vmcnt(0)
	v_lshlrev_b32_e32 v10, 24, v10
	v_and_b32_e32 v11, 0x7f000000, v10
	v_ffbh_u32_e32 v12, v11
	v_min_u32_e32 v12, 32, v12
	v_sub_u32_e64 v12, v12, 4 clamp
	v_lshlrev_b32_e32 v14, v12, v11
	v_lshlrev_b32_e32 v12, 23, v12
	v_lshrrev_b32_e32 v14, 4, v14
	v_add_u32_e32 v13, 0x1000000, v11
	v_sub_u32_e32 v12, v14, v12
	v_ashrrev_i32_e32 v13, 8, v13
	v_add_u32_e32 v12, 0x3c000000, v12
	v_and_or_b32 v12, v13, s2, v12
	v_cmp_ne_u32_e32 vcc, 0, v11
	v_cndmask_b32_e32 v11, 0, v12, vcc
	s_brev_b32 s2, 1
	v_and_or_b32 v10, v10, s2, v11
	v_cvt_i32_f32_e32 v10, v10
.LBB38_2445:
	s_mov_b64 s[2:3], 0
.LBB38_2446:
	s_andn2_b64 vcc, exec, s[2:3]
	s_cbranch_vccnz .LBB38_2448
; %bb.2447:
	global_load_ubyte v10, v[0:1], off
	s_movk_i32 s2, 0x7f00
	s_brev_b32 s3, 16
	s_waitcnt vmcnt(0)
	v_lshlrev_b16_e32 v11, 8, v10
	v_lshlrev_b32_e32 v10, 25, v10
	v_lshrrev_b32_e32 v12, 4, v10
	v_and_or_b32 v13, v11, s2, 0.5
	v_or_b32_e32 v12, 0x70000000, v12
	v_add_f32_e32 v13, -0.5, v13
	v_mul_f32_e32 v12, 0x7800000, v12
	v_cmp_gt_u32_e32 vcc, s3, v10
	v_bfe_i32 v11, v11, 0, 16
	v_cndmask_b32_e32 v10, v12, v13, vcc
	s_brev_b32 s2, 1
	v_and_or_b32 v10, v11, s2, v10
	v_cvt_i32_f32_e32 v10, v10
.LBB38_2448:
	s_mov_b64 s[2:3], 0
	s_mov_b64 s[4:5], -1
.LBB38_2449:
	s_andn2_b64 vcc, exec, s[2:3]
	s_mov_b64 s[2:3], 0
	s_cbranch_vccnz .LBB38_2460
; %bb.2450:
	s_cmp_gt_i32 s13, 14
	s_cbranch_scc0 .LBB38_2453
; %bb.2451:
	s_cmp_eq_u32 s13, 15
	s_cbranch_scc0 .LBB38_2456
; %bb.2452:
	global_load_ushort v10, v[0:1], off
	s_mov_b64 s[0:1], 0
	s_mov_b64 s[4:5], -1
	s_waitcnt vmcnt(0)
	v_lshlrev_b32_e32 v10, 16, v10
	v_cvt_i32_f32_e32 v10, v10
	s_branch .LBB38_2457
.LBB38_2453:
	s_mov_b64 s[10:11], -1
                                        ; implicit-def: $vgpr10
	s_branch .LBB38_2458
.LBB38_2454:
	s_andn2_saveexec_b64 s[2:3], s[2:3]
	s_cbranch_execz .LBB38_2435
.LBB38_2455:
	v_cmp_ne_u16_e32 vcc, 0, v11
	s_andn2_b64 s[4:5], s[4:5], exec
	s_and_b64 s[10:11], vcc, exec
	s_or_b64 s[4:5], s[4:5], s[10:11]
	s_or_b64 exec, exec, s[2:3]
	v_mov_b32_e32 v10, 0
	s_and_saveexec_b64 s[2:3], s[4:5]
	s_cbranch_execnz .LBB38_2436
	s_branch .LBB38_2437
.LBB38_2456:
	s_mov_b64 s[0:1], -1
                                        ; implicit-def: $vgpr10
.LBB38_2457:
	s_mov_b64 s[10:11], 0
.LBB38_2458:
	s_and_b64 vcc, exec, s[10:11]
	s_cbranch_vccz .LBB38_2460
; %bb.2459:
	s_cmp_lg_u32 s13, 11
	s_mov_b64 s[2:3], -1
	s_cselect_b64 s[0:1], -1, 0
.LBB38_2460:
	s_and_b64 vcc, exec, s[0:1]
	s_cbranch_vccnz .LBB38_2993
; %bb.2461:
	s_andn2_b64 vcc, exec, s[2:3]
	s_cbranch_vccnz .LBB38_2463
.LBB38_2462:
	global_load_ubyte v10, v[0:1], off
	s_mov_b64 s[4:5], -1
	s_waitcnt vmcnt(0)
	v_cmp_ne_u16_e32 vcc, 0, v10
	v_cndmask_b32_e64 v10, 0, 1, vcc
.LBB38_2463:
	s_mov_b64 s[0:1], 0
.LBB38_2464:
	s_and_b64 vcc, exec, s[0:1]
	s_cbranch_vccz .LBB38_2513
; %bb.2465:
	s_and_b32 s2, 0xffff, s25
	s_cmp_lt_i32 s2, 5
	s_cbranch_scc1 .LBB38_2470
; %bb.2466:
	s_cmp_lt_i32 s2, 8
	s_cbranch_scc1 .LBB38_2471
; %bb.2467:
	;; [unrolled: 3-line block ×3, first 2 shown]
	s_cmp_gt_i32 s2, 9
	s_cbranch_scc0 .LBB38_2473
; %bb.2469:
	global_load_dwordx2 v[10:11], v[0:1], off
	s_mov_b64 s[0:1], 0
	s_waitcnt vmcnt(0)
	v_cvt_i32_f64_e32 v10, v[10:11]
	s_branch .LBB38_2474
.LBB38_2470:
	s_mov_b64 s[0:1], -1
                                        ; implicit-def: $vgpr10
	s_branch .LBB38_2492
.LBB38_2471:
	s_mov_b64 s[0:1], -1
                                        ; implicit-def: $vgpr10
	s_branch .LBB38_2480
.LBB38_2472:
	s_mov_b64 s[0:1], -1
                                        ; implicit-def: $vgpr10
	s_branch .LBB38_2477
.LBB38_2473:
	s_mov_b64 s[0:1], -1
                                        ; implicit-def: $vgpr10
.LBB38_2474:
	s_andn2_b64 vcc, exec, s[0:1]
	s_cbranch_vccnz .LBB38_2476
; %bb.2475:
	global_load_dword v10, v[0:1], off
	s_waitcnt vmcnt(0)
	v_cvt_i32_f32_e32 v10, v10
.LBB38_2476:
	s_mov_b64 s[0:1], 0
.LBB38_2477:
	s_andn2_b64 vcc, exec, s[0:1]
	s_cbranch_vccnz .LBB38_2479
; %bb.2478:
	global_load_dword v10, v[0:1], off
	s_waitcnt vmcnt(0)
	v_cvt_f32_f16_e32 v10, v10
	v_cvt_i32_f32_e32 v10, v10
.LBB38_2479:
	s_mov_b64 s[0:1], 0
.LBB38_2480:
	s_andn2_b64 vcc, exec, s[0:1]
	s_cbranch_vccnz .LBB38_2491
; %bb.2481:
	s_cmp_lt_i32 s2, 6
	s_cbranch_scc1 .LBB38_2484
; %bb.2482:
	s_cmp_gt_i32 s2, 6
	s_cbranch_scc0 .LBB38_2485
; %bb.2483:
	global_load_dwordx2 v[10:11], v[0:1], off
	s_mov_b64 s[0:1], 0
	s_waitcnt vmcnt(0)
	v_cvt_i32_f64_e32 v10, v[10:11]
	s_branch .LBB38_2486
.LBB38_2484:
	s_mov_b64 s[0:1], -1
                                        ; implicit-def: $vgpr10
	s_branch .LBB38_2489
.LBB38_2485:
	s_mov_b64 s[0:1], -1
                                        ; implicit-def: $vgpr10
.LBB38_2486:
	s_andn2_b64 vcc, exec, s[0:1]
	s_cbranch_vccnz .LBB38_2488
; %bb.2487:
	global_load_dword v10, v[0:1], off
	s_waitcnt vmcnt(0)
	v_cvt_i32_f32_e32 v10, v10
.LBB38_2488:
	s_mov_b64 s[0:1], 0
.LBB38_2489:
	s_andn2_b64 vcc, exec, s[0:1]
	s_cbranch_vccnz .LBB38_2491
; %bb.2490:
	global_load_ushort v10, v[0:1], off
	s_waitcnt vmcnt(0)
	v_cvt_f32_f16_e32 v10, v10
	v_cvt_i32_f32_e32 v10, v10
.LBB38_2491:
	s_mov_b64 s[0:1], 0
.LBB38_2492:
	s_andn2_b64 vcc, exec, s[0:1]
	s_cbranch_vccnz .LBB38_2512
; %bb.2493:
	s_cmp_lt_i32 s2, 2
	s_cbranch_scc1 .LBB38_2497
; %bb.2494:
	s_cmp_lt_i32 s2, 3
	s_cbranch_scc1 .LBB38_2498
; %bb.2495:
	s_cmp_gt_i32 s2, 3
	s_cbranch_scc0 .LBB38_2499
; %bb.2496:
	global_load_dword v10, v[0:1], off
	s_mov_b64 s[0:1], 0
	s_branch .LBB38_2500
.LBB38_2497:
	s_mov_b64 s[0:1], -1
                                        ; implicit-def: $vgpr10
	s_branch .LBB38_2506
.LBB38_2498:
	s_mov_b64 s[0:1], -1
                                        ; implicit-def: $vgpr10
	s_branch .LBB38_2503
.LBB38_2499:
	s_mov_b64 s[0:1], -1
                                        ; implicit-def: $vgpr10
.LBB38_2500:
	s_andn2_b64 vcc, exec, s[0:1]
	s_cbranch_vccnz .LBB38_2502
; %bb.2501:
	global_load_dword v10, v[0:1], off
.LBB38_2502:
	s_mov_b64 s[0:1], 0
.LBB38_2503:
	s_andn2_b64 vcc, exec, s[0:1]
	s_cbranch_vccnz .LBB38_2505
; %bb.2504:
	global_load_sshort v10, v[0:1], off
.LBB38_2505:
	s_mov_b64 s[0:1], 0
.LBB38_2506:
	s_andn2_b64 vcc, exec, s[0:1]
	s_cbranch_vccnz .LBB38_2512
; %bb.2507:
	s_cmp_gt_i32 s2, 0
	s_cbranch_scc0 .LBB38_2509
; %bb.2508:
	global_load_sbyte v10, v[0:1], off
	s_mov_b64 s[0:1], 0
	s_branch .LBB38_2510
.LBB38_2509:
	s_mov_b64 s[0:1], -1
                                        ; implicit-def: $vgpr10
.LBB38_2510:
	s_andn2_b64 vcc, exec, s[0:1]
	s_cbranch_vccnz .LBB38_2512
; %bb.2511:
	global_load_ubyte v10, v[0:1], off
.LBB38_2512:
	s_mov_b64 s[4:5], -1
.LBB38_2513:
	s_andn2_b64 vcc, exec, s[4:5]
	s_cbranch_vccnz .LBB38_2947
; %bb.2514:
	v_mul_lo_u32 v2, s12, v2
	s_cmp_eq_u32 s15, 0
	s_cselect_b64 s[2:3], -1, 0
	s_waitcnt vmcnt(0)
	v_cmp_ne_u32_e32 vcc, v3, v5
	s_xor_b64 s[4:5], s[2:3], vcc
	v_ashrrev_i32_e32 v1, 31, v2
	v_mov_b32_e32 v3, s9
	s_and_b32 s24, s33, 0xff
	v_add_co_u32_e32 v0, vcc, s8, v2
	s_cmp_lt_i32 s24, 11
	v_addc_co_u32_e32 v1, vcc, v3, v1, vcc
	s_cbranch_scc1 .LBB38_2592
; %bb.2515:
	s_and_b32 s13, 0xffff, s24
	s_mov_b64 s[20:21], -1
	s_mov_b64 s[10:11], 0
	s_cmp_gt_i32 s13, 25
	s_mov_b64 s[14:15], 0
	s_mov_b64 s[0:1], 0
	s_cbranch_scc0 .LBB38_2548
; %bb.2516:
	s_cmp_gt_i32 s13, 28
	s_cbranch_scc0 .LBB38_2531
; %bb.2517:
	s_cmp_gt_i32 s13, 43
	;; [unrolled: 3-line block ×3, first 2 shown]
	s_cbranch_scc0 .LBB38_2521
; %bb.2519:
	s_mov_b64 s[0:1], -1
	s_mov_b64 s[20:21], 0
	s_cmp_eq_u32 s13, 46
	s_cbranch_scc0 .LBB38_2521
; %bb.2520:
	v_cndmask_b32_e64 v3, 0, 1.0, s[4:5]
	v_bfe_u32 v5, v3, 16, 1
	s_movk_i32 s0, 0x7fff
	v_add3_u32 v3, v3, v5, s0
	v_lshrrev_b32_e32 v3, 16, v3
	global_store_dword v[0:1], v3, off
	s_mov_b64 s[0:1], 0
	s_mov_b64 s[14:15], -1
.LBB38_2521:
	s_and_b64 vcc, exec, s[20:21]
	s_cbranch_vccz .LBB38_2526
; %bb.2522:
	s_cmp_eq_u32 s13, 44
	s_mov_b64 s[0:1], -1
	s_cbranch_scc0 .LBB38_2526
; %bb.2523:
	v_cndmask_b32_e64 v5, 0, 1.0, s[4:5]
	v_lshrrev_b32_e32 v3, 23, v5
	s_movk_i32 s0, 0xff
	v_cmp_ne_u32_e32 vcc, s0, v3
	v_mov_b32_e32 v11, 0xff
	s_and_saveexec_b64 s[14:15], vcc
; %bb.2524:
	s_mov_b32 s0, 0x3fffff
	v_and_b32_e32 v11, 0x400000, v5
	v_and_or_b32 v5, v5, s0, v3
	v_cmp_ne_u32_e32 vcc, 0, v11
	v_cmp_ne_u32_e64 s[0:1], 0, v5
	s_and_b64 s[0:1], vcc, s[0:1]
	v_cndmask_b32_e64 v5, 0, 1, s[0:1]
	v_add_u32_e32 v11, v3, v5
; %bb.2525:
	s_or_b64 exec, exec, s[14:15]
	s_mov_b64 s[0:1], 0
	s_mov_b64 s[14:15], -1
	global_store_byte v[0:1], v11, off
.LBB38_2526:
	s_mov_b64 s[20:21], 0
.LBB38_2527:
	s_and_b64 vcc, exec, s[20:21]
	s_cbranch_vccz .LBB38_2530
; %bb.2528:
	s_cmp_eq_u32 s13, 29
	s_mov_b64 s[0:1], -1
	s_cbranch_scc0 .LBB38_2530
; %bb.2529:
	s_mov_b32 s0, 0
	v_cndmask_b32_e64 v11, 0, 1, s[4:5]
	v_mov_b32_e32 v12, s0
	global_store_dwordx2 v[0:1], v[11:12], off
	s_mov_b64 s[0:1], 0
	s_mov_b64 s[14:15], -1
.LBB38_2530:
	s_mov_b64 s[20:21], 0
.LBB38_2531:
	s_and_b64 vcc, exec, s[20:21]
	s_cbranch_vccz .LBB38_2547
; %bb.2532:
	s_cmp_lt_i32 s13, 27
	s_mov_b64 s[14:15], -1
	s_cbranch_scc1 .LBB38_2538
; %bb.2533:
	s_cmp_gt_i32 s13, 27
	s_cbranch_scc0 .LBB38_2535
; %bb.2534:
	v_cndmask_b32_e64 v3, 0, 1, s[4:5]
	s_mov_b64 s[14:15], 0
	global_store_dword v[0:1], v3, off
.LBB38_2535:
	s_andn2_b64 vcc, exec, s[14:15]
	s_cbranch_vccnz .LBB38_2537
; %bb.2536:
	v_cndmask_b32_e64 v3, 0, 1, s[4:5]
	global_store_short v[0:1], v3, off
.LBB38_2537:
	s_mov_b64 s[14:15], 0
.LBB38_2538:
	s_andn2_b64 vcc, exec, s[14:15]
	s_cbranch_vccnz .LBB38_2546
; %bb.2539:
	v_cndmask_b32_e64 v5, 0, 1.0, s[4:5]
	s_mov_b32 s14, 0x43800000
	v_cmp_gt_u32_e32 vcc, s14, v5
	v_mov_b32_e32 v11, 0x80
	s_and_saveexec_b64 s[14:15], vcc
	s_cbranch_execz .LBB38_2545
; %bb.2540:
	s_mov_b32 s20, 0x3bffffff
	v_cmp_lt_u32_e32 vcc, s20, v5
	s_mov_b64 s[20:21], 0
                                        ; implicit-def: $vgpr3
	s_and_saveexec_b64 s[22:23], vcc
	s_xor_b64 s[22:23], exec, s[22:23]
	s_cbranch_execz .LBB38_2994
; %bb.2541:
	v_bfe_u32 v3, v5, 20, 1
	s_mov_b32 s25, 0x487ffff
	v_add3_u32 v3, v5, v3, s25
	s_mov_b64 s[20:21], exec
	v_lshrrev_b32_e32 v3, 20, v3
                                        ; implicit-def: $vgpr5
	s_andn2_saveexec_b64 s[22:23], s[22:23]
	s_cbranch_execnz .LBB38_2995
.LBB38_2542:
	s_or_b64 exec, exec, s[22:23]
	v_mov_b32_e32 v11, 0
	s_and_saveexec_b64 s[22:23], s[20:21]
.LBB38_2543:
	v_mov_b32_e32 v11, v3
.LBB38_2544:
	s_or_b64 exec, exec, s[22:23]
.LBB38_2545:
	s_or_b64 exec, exec, s[14:15]
	global_store_byte v[0:1], v11, off
.LBB38_2546:
	s_mov_b64 s[14:15], -1
.LBB38_2547:
	s_mov_b64 s[20:21], 0
.LBB38_2548:
	s_and_b64 vcc, exec, s[20:21]
	s_cbranch_vccz .LBB38_2588
; %bb.2549:
	s_cmp_gt_i32 s13, 22
	s_mov_b64 s[10:11], -1
	s_cbranch_scc0 .LBB38_2581
; %bb.2550:
	s_cmp_lt_i32 s13, 24
	s_cbranch_scc1 .LBB38_2570
; %bb.2551:
	s_cmp_gt_i32 s13, 24
	s_cbranch_scc0 .LBB38_2559
; %bb.2552:
	v_cndmask_b32_e64 v5, 0, 1.0, s[4:5]
	s_mov_b32 s10, 0x47800000
	v_cmp_gt_u32_e32 vcc, s10, v5
	v_mov_b32_e32 v11, 0x80
	s_and_saveexec_b64 s[10:11], vcc
	s_cbranch_execz .LBB38_2558
; %bb.2553:
	s_mov_b32 s14, 0x37ffffff
	v_cmp_lt_u32_e32 vcc, s14, v5
	s_mov_b64 s[14:15], 0
                                        ; implicit-def: $vgpr3
	s_and_saveexec_b64 s[20:21], vcc
	s_xor_b64 s[20:21], exec, s[20:21]
	s_cbranch_execz .LBB38_2997
; %bb.2554:
	v_bfe_u32 v3, v5, 21, 1
	s_mov_b32 s22, 0x88fffff
	v_add3_u32 v3, v5, v3, s22
	s_mov_b64 s[14:15], exec
	v_lshrrev_b32_e32 v3, 21, v3
                                        ; implicit-def: $vgpr5
	s_andn2_saveexec_b64 s[20:21], s[20:21]
	s_cbranch_execnz .LBB38_2998
.LBB38_2555:
	s_or_b64 exec, exec, s[20:21]
	v_mov_b32_e32 v11, 0
	s_and_saveexec_b64 s[20:21], s[14:15]
.LBB38_2556:
	v_mov_b32_e32 v11, v3
.LBB38_2557:
	s_or_b64 exec, exec, s[20:21]
.LBB38_2558:
	s_or_b64 exec, exec, s[10:11]
	s_mov_b64 s[10:11], 0
	global_store_byte v[0:1], v11, off
.LBB38_2559:
	s_and_b64 vcc, exec, s[10:11]
	s_cbranch_vccz .LBB38_2569
; %bb.2560:
	v_cndmask_b32_e64 v3, 0, 1.0, s[4:5]
	s_mov_b32 s10, 0x43f00000
	v_cmp_gt_u32_e32 vcc, s10, v3
                                        ; implicit-def: $vgpr5
	s_and_saveexec_b64 s[10:11], vcc
	s_xor_b64 s[10:11], exec, s[10:11]
	s_cbranch_execz .LBB38_2566
; %bb.2561:
	s_mov_b32 s14, 0x3c7fffff
	v_cmp_lt_u32_e32 vcc, s14, v3
                                        ; implicit-def: $vgpr5
	s_and_saveexec_b64 s[14:15], vcc
	s_xor_b64 s[14:15], exec, s[14:15]
; %bb.2562:
	v_bfe_u32 v5, v3, 20, 1
	s_mov_b32 s20, 0x407ffff
	v_add3_u32 v3, v3, v5, s20
	v_lshrrev_b32_e32 v5, 20, v3
	v_and_b32_e32 v3, 0xff00000, v3
	s_mov_b32 s20, 0x7f00000
	v_mov_b32_e32 v11, 0x7e
	v_cmp_ne_u32_e32 vcc, s20, v3
	v_cndmask_b32_e32 v5, v11, v5, vcc
                                        ; implicit-def: $vgpr3
; %bb.2563:
	s_andn2_saveexec_b64 s[14:15], s[14:15]
; %bb.2564:
	v_add_f32_e32 v5, 0x46800000, v3
; %bb.2565:
	s_or_b64 exec, exec, s[14:15]
                                        ; implicit-def: $vgpr3
.LBB38_2566:
	s_andn2_saveexec_b64 s[10:11], s[10:11]
; %bb.2567:
	s_mov_b32 s14, 0x7f800000
	v_mov_b32_e32 v5, 0x7e
	v_mov_b32_e32 v11, 0x7f
	v_cmp_lt_u32_e32 vcc, s14, v3
	v_cndmask_b32_e32 v5, v5, v11, vcc
; %bb.2568:
	s_or_b64 exec, exec, s[10:11]
	global_store_byte v[0:1], v5, off
.LBB38_2569:
	s_mov_b64 s[10:11], 0
.LBB38_2570:
	s_andn2_b64 vcc, exec, s[10:11]
	s_cbranch_vccnz .LBB38_2580
; %bb.2571:
	v_cndmask_b32_e64 v3, 0, 1.0, s[4:5]
	s_mov_b32 s10, 0x47800000
	v_cmp_gt_u32_e32 vcc, s10, v3
                                        ; implicit-def: $vgpr5
	s_and_saveexec_b64 s[10:11], vcc
	s_xor_b64 s[10:11], exec, s[10:11]
	s_cbranch_execz .LBB38_2577
; %bb.2572:
	s_mov_b32 s14, 0x387fffff
	v_cmp_lt_u32_e32 vcc, s14, v3
                                        ; implicit-def: $vgpr5
	s_and_saveexec_b64 s[14:15], vcc
	s_xor_b64 s[14:15], exec, s[14:15]
; %bb.2573:
	v_bfe_u32 v5, v3, 21, 1
	s_mov_b32 s20, 0x80fffff
	v_add3_u32 v3, v3, v5, s20
	v_lshrrev_b32_e32 v5, 21, v3
                                        ; implicit-def: $vgpr3
; %bb.2574:
	s_andn2_saveexec_b64 s[14:15], s[14:15]
; %bb.2575:
	v_add_f32_e32 v5, 0x43000000, v3
; %bb.2576:
	s_or_b64 exec, exec, s[14:15]
                                        ; implicit-def: $vgpr3
.LBB38_2577:
	s_andn2_saveexec_b64 s[10:11], s[10:11]
; %bb.2578:
	s_mov_b32 s14, 0x7f800000
	v_mov_b32_e32 v5, 0x7c
	v_mov_b32_e32 v11, 0x7f
	v_cmp_lt_u32_e32 vcc, s14, v3
	v_cndmask_b32_e32 v5, v5, v11, vcc
; %bb.2579:
	s_or_b64 exec, exec, s[10:11]
	global_store_byte v[0:1], v5, off
.LBB38_2580:
	s_mov_b64 s[10:11], 0
	s_mov_b64 s[14:15], -1
.LBB38_2581:
	s_andn2_b64 vcc, exec, s[10:11]
	s_mov_b64 s[10:11], 0
	s_cbranch_vccnz .LBB38_2588
; %bb.2582:
	s_cmp_gt_i32 s13, 14
	s_mov_b64 s[20:21], -1
	s_cbranch_scc0 .LBB38_2586
; %bb.2583:
	s_cmp_eq_u32 s13, 15
	s_mov_b64 s[0:1], -1
	s_cbranch_scc0 .LBB38_2585
; %bb.2584:
	v_cndmask_b32_e64 v3, 0, 1.0, s[4:5]
	v_bfe_u32 v5, v3, 16, 1
	s_movk_i32 s0, 0x7fff
	v_add3_u32 v3, v3, v5, s0
	global_store_short_d16_hi v[0:1], v3, off
	s_mov_b64 s[0:1], 0
	s_mov_b64 s[14:15], -1
.LBB38_2585:
	s_mov_b64 s[20:21], 0
.LBB38_2586:
	s_and_b64 vcc, exec, s[20:21]
	s_cbranch_vccz .LBB38_2588
; %bb.2587:
	s_cmp_lg_u32 s13, 11
	s_mov_b64 s[10:11], -1
	s_cselect_b64 s[0:1], -1, 0
.LBB38_2588:
	s_and_b64 vcc, exec, s[0:1]
	s_cbranch_vccnz .LBB38_2996
; %bb.2589:
	s_andn2_b64 vcc, exec, s[10:11]
	s_cbranch_vccnz .LBB38_2591
.LBB38_2590:
	v_cndmask_b32_e64 v3, 0, 1, s[4:5]
	s_mov_b64 s[14:15], -1
	global_store_byte v[0:1], v3, off
.LBB38_2591:
	s_mov_b64 s[0:1], 0
	s_branch .LBB38_2593
.LBB38_2592:
	s_mov_b64 s[0:1], -1
	s_mov_b64 s[14:15], 0
.LBB38_2593:
	s_and_b64 vcc, exec, s[0:1]
	s_cbranch_vccz .LBB38_2632
; %bb.2594:
	s_and_b32 s10, 0xffff, s24
	s_cmp_lt_i32 s10, 5
	s_mov_b64 s[0:1], -1
	s_cbranch_scc1 .LBB38_2615
; %bb.2595:
	s_cmp_lt_i32 s10, 8
	s_cbranch_scc1 .LBB38_2605
; %bb.2596:
	s_cmp_lt_i32 s10, 9
	s_cbranch_scc1 .LBB38_2602
; %bb.2597:
	s_cmp_gt_i32 s10, 9
	s_cbranch_scc0 .LBB38_2599
; %bb.2598:
	v_cndmask_b32_e64 v3, 0, 1, s[4:5]
	v_cvt_f64_u32_e32 v[11:12], v3
	v_mov_b32_e32 v13, 0
	v_mov_b32_e32 v14, v13
	s_mov_b64 s[0:1], 0
	global_store_dwordx4 v[0:1], v[11:14], off
.LBB38_2599:
	s_andn2_b64 vcc, exec, s[0:1]
	s_cbranch_vccnz .LBB38_2601
; %bb.2600:
	v_cndmask_b32_e64 v11, 0, 1.0, s[4:5]
	v_mov_b32_e32 v12, 0
	global_store_dwordx2 v[0:1], v[11:12], off
.LBB38_2601:
	s_mov_b64 s[0:1], 0
.LBB38_2602:
	s_andn2_b64 vcc, exec, s[0:1]
	s_cbranch_vccnz .LBB38_2604
; %bb.2603:
	v_cndmask_b32_e64 v3, 0, 1.0, s[4:5]
	v_cvt_f16_f32_e32 v3, v3
	global_store_dword v[0:1], v3, off
.LBB38_2604:
	s_mov_b64 s[0:1], 0
.LBB38_2605:
	s_andn2_b64 vcc, exec, s[0:1]
	s_cbranch_vccnz .LBB38_2614
; %bb.2606:
	s_cmp_lt_i32 s10, 6
	s_mov_b64 s[0:1], -1
	s_cbranch_scc1 .LBB38_2612
; %bb.2607:
	s_cmp_gt_i32 s10, 6
	s_cbranch_scc0 .LBB38_2609
; %bb.2608:
	v_cndmask_b32_e64 v3, 0, 1, s[4:5]
	v_cvt_f64_u32_e32 v[11:12], v3
	s_mov_b64 s[0:1], 0
	global_store_dwordx2 v[0:1], v[11:12], off
.LBB38_2609:
	s_andn2_b64 vcc, exec, s[0:1]
	s_cbranch_vccnz .LBB38_2611
; %bb.2610:
	v_cndmask_b32_e64 v3, 0, 1.0, s[4:5]
	global_store_dword v[0:1], v3, off
.LBB38_2611:
	s_mov_b64 s[0:1], 0
.LBB38_2612:
	s_andn2_b64 vcc, exec, s[0:1]
	s_cbranch_vccnz .LBB38_2614
; %bb.2613:
	v_cndmask_b32_e64 v3, 0, 1.0, s[4:5]
	v_cvt_f16_f32_e32 v3, v3
	global_store_short v[0:1], v3, off
.LBB38_2614:
	s_mov_b64 s[0:1], 0
.LBB38_2615:
	s_andn2_b64 vcc, exec, s[0:1]
	s_cbranch_vccnz .LBB38_2631
; %bb.2616:
	s_cmp_lt_i32 s10, 2
	s_mov_b64 s[0:1], -1
	s_cbranch_scc1 .LBB38_2626
; %bb.2617:
	s_cmp_lt_i32 s10, 3
	s_cbranch_scc1 .LBB38_2623
; %bb.2618:
	s_cmp_gt_i32 s10, 3
	s_cbranch_scc0 .LBB38_2620
; %bb.2619:
	s_mov_b32 s0, 0
	v_cndmask_b32_e64 v11, 0, 1, s[4:5]
	v_mov_b32_e32 v12, s0
	global_store_dwordx2 v[0:1], v[11:12], off
	s_mov_b64 s[0:1], 0
.LBB38_2620:
	s_andn2_b64 vcc, exec, s[0:1]
	s_cbranch_vccnz .LBB38_2622
; %bb.2621:
	v_cndmask_b32_e64 v3, 0, 1, s[4:5]
	global_store_dword v[0:1], v3, off
.LBB38_2622:
	s_mov_b64 s[0:1], 0
.LBB38_2623:
	s_andn2_b64 vcc, exec, s[0:1]
	s_cbranch_vccnz .LBB38_2625
; %bb.2624:
	v_cndmask_b32_e64 v3, 0, 1, s[4:5]
	global_store_short v[0:1], v3, off
.LBB38_2625:
	s_mov_b64 s[0:1], 0
.LBB38_2626:
	s_andn2_b64 vcc, exec, s[0:1]
	s_cbranch_vccnz .LBB38_2631
; %bb.2627:
	s_mov_b64 s[0:1], -1
	s_cmp_gt_i32 s10, 0
	v_cndmask_b32_e64 v3, 0, 1, s[4:5]
	s_cbranch_scc0 .LBB38_2629
; %bb.2628:
	global_store_byte v[0:1], v3, off
	s_mov_b64 s[0:1], 0
.LBB38_2629:
	s_andn2_b64 vcc, exec, s[0:1]
	s_cbranch_vccnz .LBB38_2631
; %bb.2630:
	global_store_byte v[0:1], v3, off
.LBB38_2631:
	s_mov_b64 s[14:15], -1
.LBB38_2632:
	s_andn2_b64 vcc, exec, s[14:15]
	s_cbranch_vccnz .LBB38_2947
; %bb.2633:
	s_lshl_b32 s22, s12, 7
	v_cmp_ne_u32_e32 vcc, v4, v7
	v_add_u32_e32 v2, s22, v2
	s_xor_b64 s[4:5], s[2:3], vcc
	v_ashrrev_i32_e32 v1, 31, v2
	v_mov_b32_e32 v3, s9
	v_add_co_u32_e32 v0, vcc, s8, v2
	s_cmp_lt_i32 s24, 11
	v_addc_co_u32_e32 v1, vcc, v3, v1, vcc
	s_cbranch_scc1 .LBB38_2711
; %bb.2634:
	s_and_b32 s23, 0xffff, s24
	s_mov_b64 s[14:15], -1
	s_mov_b64 s[10:11], 0
	s_cmp_gt_i32 s23, 25
	s_mov_b64 s[12:13], 0
	s_mov_b64 s[0:1], 0
	s_cbranch_scc0 .LBB38_2667
; %bb.2635:
	s_cmp_gt_i32 s23, 28
	s_cbranch_scc0 .LBB38_2650
; %bb.2636:
	s_cmp_gt_i32 s23, 43
	;; [unrolled: 3-line block ×3, first 2 shown]
	s_cbranch_scc0 .LBB38_2640
; %bb.2638:
	s_mov_b64 s[0:1], -1
	s_mov_b64 s[14:15], 0
	s_cmp_eq_u32 s23, 46
	s_cbranch_scc0 .LBB38_2640
; %bb.2639:
	v_cndmask_b32_e64 v3, 0, 1.0, s[4:5]
	v_bfe_u32 v4, v3, 16, 1
	s_movk_i32 s0, 0x7fff
	v_add3_u32 v3, v3, v4, s0
	v_lshrrev_b32_e32 v3, 16, v3
	global_store_dword v[0:1], v3, off
	s_mov_b64 s[0:1], 0
	s_mov_b64 s[12:13], -1
.LBB38_2640:
	s_and_b64 vcc, exec, s[14:15]
	s_cbranch_vccz .LBB38_2645
; %bb.2641:
	s_cmp_eq_u32 s23, 44
	s_mov_b64 s[0:1], -1
	s_cbranch_scc0 .LBB38_2645
; %bb.2642:
	v_cndmask_b32_e64 v4, 0, 1.0, s[4:5]
	v_lshrrev_b32_e32 v3, 23, v4
	s_movk_i32 s0, 0xff
	v_cmp_ne_u32_e32 vcc, s0, v3
	v_mov_b32_e32 v5, 0xff
	s_and_saveexec_b64 s[12:13], vcc
; %bb.2643:
	s_mov_b32 s0, 0x3fffff
	v_and_b32_e32 v5, 0x400000, v4
	v_and_or_b32 v4, v4, s0, v3
	v_cmp_ne_u32_e32 vcc, 0, v5
	v_cmp_ne_u32_e64 s[0:1], 0, v4
	s_and_b64 s[0:1], vcc, s[0:1]
	v_cndmask_b32_e64 v4, 0, 1, s[0:1]
	v_add_u32_e32 v5, v3, v4
; %bb.2644:
	s_or_b64 exec, exec, s[12:13]
	s_mov_b64 s[0:1], 0
	s_mov_b64 s[12:13], -1
	global_store_byte v[0:1], v5, off
.LBB38_2645:
	s_mov_b64 s[14:15], 0
.LBB38_2646:
	s_and_b64 vcc, exec, s[14:15]
	s_cbranch_vccz .LBB38_2649
; %bb.2647:
	s_cmp_eq_u32 s23, 29
	s_mov_b64 s[0:1], -1
	s_cbranch_scc0 .LBB38_2649
; %bb.2648:
	s_mov_b32 s0, 0
	v_cndmask_b32_e64 v3, 0, 1, s[4:5]
	v_mov_b32_e32 v4, s0
	global_store_dwordx2 v[0:1], v[3:4], off
	s_mov_b64 s[0:1], 0
	s_mov_b64 s[12:13], -1
.LBB38_2649:
	s_mov_b64 s[14:15], 0
.LBB38_2650:
	s_and_b64 vcc, exec, s[14:15]
	s_cbranch_vccz .LBB38_2666
; %bb.2651:
	s_cmp_lt_i32 s23, 27
	s_mov_b64 s[12:13], -1
	s_cbranch_scc1 .LBB38_2657
; %bb.2652:
	s_cmp_gt_i32 s23, 27
	s_cbranch_scc0 .LBB38_2654
; %bb.2653:
	v_cndmask_b32_e64 v3, 0, 1, s[4:5]
	s_mov_b64 s[12:13], 0
	global_store_dword v[0:1], v3, off
.LBB38_2654:
	s_andn2_b64 vcc, exec, s[12:13]
	s_cbranch_vccnz .LBB38_2656
; %bb.2655:
	v_cndmask_b32_e64 v3, 0, 1, s[4:5]
	global_store_short v[0:1], v3, off
.LBB38_2656:
	s_mov_b64 s[12:13], 0
.LBB38_2657:
	s_andn2_b64 vcc, exec, s[12:13]
	s_cbranch_vccnz .LBB38_2665
; %bb.2658:
	v_cndmask_b32_e64 v4, 0, 1.0, s[4:5]
	s_mov_b32 s12, 0x43800000
	v_cmp_gt_u32_e32 vcc, s12, v4
	v_mov_b32_e32 v5, 0x80
	s_and_saveexec_b64 s[12:13], vcc
	s_cbranch_execz .LBB38_2664
; %bb.2659:
	s_mov_b32 s14, 0x3bffffff
	v_cmp_lt_u32_e32 vcc, s14, v4
	s_mov_b64 s[14:15], 0
                                        ; implicit-def: $vgpr3
	s_and_saveexec_b64 s[20:21], vcc
	s_xor_b64 s[20:21], exec, s[20:21]
	s_cbranch_execz .LBB38_2999
; %bb.2660:
	v_bfe_u32 v3, v4, 20, 1
	s_mov_b32 s25, 0x487ffff
	v_add3_u32 v3, v4, v3, s25
	s_mov_b64 s[14:15], exec
	v_lshrrev_b32_e32 v3, 20, v3
                                        ; implicit-def: $vgpr4
	s_andn2_saveexec_b64 s[20:21], s[20:21]
	s_cbranch_execnz .LBB38_3000
.LBB38_2661:
	s_or_b64 exec, exec, s[20:21]
	v_mov_b32_e32 v5, 0
	s_and_saveexec_b64 s[20:21], s[14:15]
.LBB38_2662:
	v_mov_b32_e32 v5, v3
.LBB38_2663:
	s_or_b64 exec, exec, s[20:21]
.LBB38_2664:
	s_or_b64 exec, exec, s[12:13]
	global_store_byte v[0:1], v5, off
.LBB38_2665:
	s_mov_b64 s[12:13], -1
.LBB38_2666:
	s_mov_b64 s[14:15], 0
.LBB38_2667:
	s_and_b64 vcc, exec, s[14:15]
	s_cbranch_vccz .LBB38_2707
; %bb.2668:
	s_cmp_gt_i32 s23, 22
	s_mov_b64 s[10:11], -1
	s_cbranch_scc0 .LBB38_2700
; %bb.2669:
	s_cmp_lt_i32 s23, 24
	s_cbranch_scc1 .LBB38_2689
; %bb.2670:
	s_cmp_gt_i32 s23, 24
	s_cbranch_scc0 .LBB38_2678
; %bb.2671:
	v_cndmask_b32_e64 v4, 0, 1.0, s[4:5]
	s_mov_b32 s10, 0x47800000
	v_cmp_gt_u32_e32 vcc, s10, v4
	v_mov_b32_e32 v5, 0x80
	s_and_saveexec_b64 s[10:11], vcc
	s_cbranch_execz .LBB38_2677
; %bb.2672:
	s_mov_b32 s12, 0x37ffffff
	v_cmp_lt_u32_e32 vcc, s12, v4
	s_mov_b64 s[12:13], 0
                                        ; implicit-def: $vgpr3
	s_and_saveexec_b64 s[14:15], vcc
	s_xor_b64 s[14:15], exec, s[14:15]
	s_cbranch_execz .LBB38_3002
; %bb.2673:
	v_bfe_u32 v3, v4, 21, 1
	s_mov_b32 s20, 0x88fffff
	v_add3_u32 v3, v4, v3, s20
	s_mov_b64 s[12:13], exec
	v_lshrrev_b32_e32 v3, 21, v3
                                        ; implicit-def: $vgpr4
	s_andn2_saveexec_b64 s[14:15], s[14:15]
	s_cbranch_execnz .LBB38_3003
.LBB38_2674:
	s_or_b64 exec, exec, s[14:15]
	v_mov_b32_e32 v5, 0
	s_and_saveexec_b64 s[14:15], s[12:13]
.LBB38_2675:
	v_mov_b32_e32 v5, v3
.LBB38_2676:
	s_or_b64 exec, exec, s[14:15]
.LBB38_2677:
	s_or_b64 exec, exec, s[10:11]
	s_mov_b64 s[10:11], 0
	global_store_byte v[0:1], v5, off
.LBB38_2678:
	s_and_b64 vcc, exec, s[10:11]
	s_cbranch_vccz .LBB38_2688
; %bb.2679:
	v_cndmask_b32_e64 v3, 0, 1.0, s[4:5]
	s_mov_b32 s10, 0x43f00000
	v_cmp_gt_u32_e32 vcc, s10, v3
                                        ; implicit-def: $vgpr4
	s_and_saveexec_b64 s[10:11], vcc
	s_xor_b64 s[10:11], exec, s[10:11]
	s_cbranch_execz .LBB38_2685
; %bb.2680:
	s_mov_b32 s12, 0x3c7fffff
	v_cmp_lt_u32_e32 vcc, s12, v3
                                        ; implicit-def: $vgpr4
	s_and_saveexec_b64 s[12:13], vcc
	s_xor_b64 s[12:13], exec, s[12:13]
; %bb.2681:
	v_bfe_u32 v4, v3, 20, 1
	s_mov_b32 s14, 0x407ffff
	v_add3_u32 v3, v3, v4, s14
	v_lshrrev_b32_e32 v4, 20, v3
	v_and_b32_e32 v3, 0xff00000, v3
	s_mov_b32 s14, 0x7f00000
	v_mov_b32_e32 v5, 0x7e
	v_cmp_ne_u32_e32 vcc, s14, v3
	v_cndmask_b32_e32 v4, v5, v4, vcc
                                        ; implicit-def: $vgpr3
; %bb.2682:
	s_andn2_saveexec_b64 s[12:13], s[12:13]
; %bb.2683:
	v_add_f32_e32 v4, 0x46800000, v3
; %bb.2684:
	s_or_b64 exec, exec, s[12:13]
                                        ; implicit-def: $vgpr3
.LBB38_2685:
	s_andn2_saveexec_b64 s[10:11], s[10:11]
; %bb.2686:
	s_mov_b32 s12, 0x7f800000
	v_mov_b32_e32 v4, 0x7e
	v_mov_b32_e32 v5, 0x7f
	v_cmp_lt_u32_e32 vcc, s12, v3
	v_cndmask_b32_e32 v4, v4, v5, vcc
; %bb.2687:
	s_or_b64 exec, exec, s[10:11]
	global_store_byte v[0:1], v4, off
.LBB38_2688:
	s_mov_b64 s[10:11], 0
.LBB38_2689:
	s_andn2_b64 vcc, exec, s[10:11]
	s_cbranch_vccnz .LBB38_2699
; %bb.2690:
	v_cndmask_b32_e64 v3, 0, 1.0, s[4:5]
	s_mov_b32 s10, 0x47800000
	v_cmp_gt_u32_e32 vcc, s10, v3
                                        ; implicit-def: $vgpr4
	s_and_saveexec_b64 s[10:11], vcc
	s_xor_b64 s[10:11], exec, s[10:11]
	s_cbranch_execz .LBB38_2696
; %bb.2691:
	s_mov_b32 s12, 0x387fffff
	v_cmp_lt_u32_e32 vcc, s12, v3
                                        ; implicit-def: $vgpr4
	s_and_saveexec_b64 s[12:13], vcc
	s_xor_b64 s[12:13], exec, s[12:13]
; %bb.2692:
	v_bfe_u32 v4, v3, 21, 1
	s_mov_b32 s14, 0x80fffff
	v_add3_u32 v3, v3, v4, s14
	v_lshrrev_b32_e32 v4, 21, v3
                                        ; implicit-def: $vgpr3
; %bb.2693:
	s_andn2_saveexec_b64 s[12:13], s[12:13]
; %bb.2694:
	v_add_f32_e32 v4, 0x43000000, v3
; %bb.2695:
	s_or_b64 exec, exec, s[12:13]
                                        ; implicit-def: $vgpr3
.LBB38_2696:
	s_andn2_saveexec_b64 s[10:11], s[10:11]
; %bb.2697:
	s_mov_b32 s12, 0x7f800000
	v_mov_b32_e32 v4, 0x7c
	v_mov_b32_e32 v5, 0x7f
	v_cmp_lt_u32_e32 vcc, s12, v3
	v_cndmask_b32_e32 v4, v4, v5, vcc
; %bb.2698:
	s_or_b64 exec, exec, s[10:11]
	global_store_byte v[0:1], v4, off
.LBB38_2699:
	s_mov_b64 s[10:11], 0
	s_mov_b64 s[12:13], -1
.LBB38_2700:
	s_andn2_b64 vcc, exec, s[10:11]
	s_mov_b64 s[10:11], 0
	s_cbranch_vccnz .LBB38_2707
; %bb.2701:
	s_cmp_gt_i32 s23, 14
	s_mov_b64 s[14:15], -1
	s_cbranch_scc0 .LBB38_2705
; %bb.2702:
	s_cmp_eq_u32 s23, 15
	s_mov_b64 s[0:1], -1
	s_cbranch_scc0 .LBB38_2704
; %bb.2703:
	v_cndmask_b32_e64 v3, 0, 1.0, s[4:5]
	v_bfe_u32 v4, v3, 16, 1
	s_movk_i32 s0, 0x7fff
	v_add3_u32 v3, v3, v4, s0
	global_store_short_d16_hi v[0:1], v3, off
	s_mov_b64 s[0:1], 0
	s_mov_b64 s[12:13], -1
.LBB38_2704:
	s_mov_b64 s[14:15], 0
.LBB38_2705:
	s_and_b64 vcc, exec, s[14:15]
	s_cbranch_vccz .LBB38_2707
; %bb.2706:
	s_cmp_lg_u32 s23, 11
	s_mov_b64 s[10:11], -1
	s_cselect_b64 s[0:1], -1, 0
.LBB38_2707:
	s_and_b64 vcc, exec, s[0:1]
	s_cbranch_vccnz .LBB38_3001
; %bb.2708:
	s_andn2_b64 vcc, exec, s[10:11]
	s_cbranch_vccnz .LBB38_2710
.LBB38_2709:
	v_cndmask_b32_e64 v3, 0, 1, s[4:5]
	s_mov_b64 s[12:13], -1
	global_store_byte v[0:1], v3, off
.LBB38_2710:
	s_mov_b64 s[0:1], 0
	s_branch .LBB38_2712
.LBB38_2711:
	s_mov_b64 s[0:1], -1
	s_mov_b64 s[12:13], 0
.LBB38_2712:
	s_and_b64 vcc, exec, s[0:1]
	s_cbranch_vccz .LBB38_2751
; %bb.2713:
	s_and_b32 s10, 0xffff, s24
	s_cmp_lt_i32 s10, 5
	s_mov_b64 s[0:1], -1
	s_cbranch_scc1 .LBB38_2734
; %bb.2714:
	s_cmp_lt_i32 s10, 8
	s_cbranch_scc1 .LBB38_2724
; %bb.2715:
	s_cmp_lt_i32 s10, 9
	s_cbranch_scc1 .LBB38_2721
; %bb.2716:
	s_cmp_gt_i32 s10, 9
	s_cbranch_scc0 .LBB38_2718
; %bb.2717:
	v_cndmask_b32_e64 v3, 0, 1, s[4:5]
	v_cvt_f64_u32_e32 v[11:12], v3
	v_mov_b32_e32 v13, 0
	v_mov_b32_e32 v14, v13
	s_mov_b64 s[0:1], 0
	global_store_dwordx4 v[0:1], v[11:14], off
.LBB38_2718:
	s_andn2_b64 vcc, exec, s[0:1]
	s_cbranch_vccnz .LBB38_2720
; %bb.2719:
	v_cndmask_b32_e64 v3, 0, 1.0, s[4:5]
	v_mov_b32_e32 v4, 0
	global_store_dwordx2 v[0:1], v[3:4], off
.LBB38_2720:
	s_mov_b64 s[0:1], 0
.LBB38_2721:
	s_andn2_b64 vcc, exec, s[0:1]
	s_cbranch_vccnz .LBB38_2723
; %bb.2722:
	v_cndmask_b32_e64 v3, 0, 1.0, s[4:5]
	v_cvt_f16_f32_e32 v3, v3
	global_store_dword v[0:1], v3, off
.LBB38_2723:
	s_mov_b64 s[0:1], 0
.LBB38_2724:
	s_andn2_b64 vcc, exec, s[0:1]
	s_cbranch_vccnz .LBB38_2733
; %bb.2725:
	s_cmp_lt_i32 s10, 6
	s_mov_b64 s[0:1], -1
	s_cbranch_scc1 .LBB38_2731
; %bb.2726:
	s_cmp_gt_i32 s10, 6
	s_cbranch_scc0 .LBB38_2728
; %bb.2727:
	v_cndmask_b32_e64 v3, 0, 1, s[4:5]
	v_cvt_f64_u32_e32 v[3:4], v3
	s_mov_b64 s[0:1], 0
	global_store_dwordx2 v[0:1], v[3:4], off
.LBB38_2728:
	s_andn2_b64 vcc, exec, s[0:1]
	s_cbranch_vccnz .LBB38_2730
; %bb.2729:
	v_cndmask_b32_e64 v3, 0, 1.0, s[4:5]
	global_store_dword v[0:1], v3, off
.LBB38_2730:
	s_mov_b64 s[0:1], 0
.LBB38_2731:
	s_andn2_b64 vcc, exec, s[0:1]
	s_cbranch_vccnz .LBB38_2733
; %bb.2732:
	v_cndmask_b32_e64 v3, 0, 1.0, s[4:5]
	v_cvt_f16_f32_e32 v3, v3
	global_store_short v[0:1], v3, off
.LBB38_2733:
	s_mov_b64 s[0:1], 0
.LBB38_2734:
	s_andn2_b64 vcc, exec, s[0:1]
	s_cbranch_vccnz .LBB38_2750
; %bb.2735:
	s_cmp_lt_i32 s10, 2
	s_mov_b64 s[0:1], -1
	s_cbranch_scc1 .LBB38_2745
; %bb.2736:
	s_cmp_lt_i32 s10, 3
	s_cbranch_scc1 .LBB38_2742
; %bb.2737:
	s_cmp_gt_i32 s10, 3
	s_cbranch_scc0 .LBB38_2739
; %bb.2738:
	s_mov_b32 s0, 0
	v_cndmask_b32_e64 v3, 0, 1, s[4:5]
	v_mov_b32_e32 v4, s0
	global_store_dwordx2 v[0:1], v[3:4], off
	s_mov_b64 s[0:1], 0
.LBB38_2739:
	s_andn2_b64 vcc, exec, s[0:1]
	s_cbranch_vccnz .LBB38_2741
; %bb.2740:
	v_cndmask_b32_e64 v3, 0, 1, s[4:5]
	global_store_dword v[0:1], v3, off
.LBB38_2741:
	s_mov_b64 s[0:1], 0
.LBB38_2742:
	s_andn2_b64 vcc, exec, s[0:1]
	s_cbranch_vccnz .LBB38_2744
; %bb.2743:
	v_cndmask_b32_e64 v3, 0, 1, s[4:5]
	global_store_short v[0:1], v3, off
.LBB38_2744:
	s_mov_b64 s[0:1], 0
.LBB38_2745:
	s_andn2_b64 vcc, exec, s[0:1]
	s_cbranch_vccnz .LBB38_2750
; %bb.2746:
	s_mov_b64 s[0:1], -1
	s_cmp_gt_i32 s10, 0
	v_cndmask_b32_e64 v3, 0, 1, s[4:5]
	s_cbranch_scc0 .LBB38_2748
; %bb.2747:
	global_store_byte v[0:1], v3, off
	s_mov_b64 s[0:1], 0
.LBB38_2748:
	s_andn2_b64 vcc, exec, s[0:1]
	s_cbranch_vccnz .LBB38_2750
; %bb.2749:
	global_store_byte v[0:1], v3, off
.LBB38_2750:
	s_mov_b64 s[12:13], -1
.LBB38_2751:
	s_andn2_b64 vcc, exec, s[12:13]
	s_cbranch_vccnz .LBB38_2947
; %bb.2752:
	v_cmp_ne_u32_e32 vcc, v6, v9
	v_add_u32_e32 v2, s22, v2
	s_xor_b64 s[4:5], s[2:3], vcc
	v_ashrrev_i32_e32 v1, 31, v2
	v_mov_b32_e32 v3, s9
	v_add_co_u32_e32 v0, vcc, s8, v2
	s_cmp_lt_i32 s24, 11
	v_addc_co_u32_e32 v1, vcc, v3, v1, vcc
	s_cbranch_scc1 .LBB38_2830
; %bb.2753:
	s_and_b32 s23, 0xffff, s24
	s_mov_b64 s[14:15], -1
	s_mov_b64 s[10:11], 0
	s_cmp_gt_i32 s23, 25
	s_mov_b64 s[12:13], 0
	s_mov_b64 s[0:1], 0
	s_cbranch_scc0 .LBB38_2786
; %bb.2754:
	s_cmp_gt_i32 s23, 28
	s_cbranch_scc0 .LBB38_2769
; %bb.2755:
	s_cmp_gt_i32 s23, 43
	;; [unrolled: 3-line block ×3, first 2 shown]
	s_cbranch_scc0 .LBB38_2759
; %bb.2757:
	s_mov_b64 s[0:1], -1
	s_mov_b64 s[14:15], 0
	s_cmp_eq_u32 s23, 46
	s_cbranch_scc0 .LBB38_2759
; %bb.2758:
	v_cndmask_b32_e64 v3, 0, 1.0, s[4:5]
	v_bfe_u32 v4, v3, 16, 1
	s_movk_i32 s0, 0x7fff
	v_add3_u32 v3, v3, v4, s0
	v_lshrrev_b32_e32 v3, 16, v3
	global_store_dword v[0:1], v3, off
	s_mov_b64 s[0:1], 0
	s_mov_b64 s[12:13], -1
.LBB38_2759:
	s_and_b64 vcc, exec, s[14:15]
	s_cbranch_vccz .LBB38_2764
; %bb.2760:
	s_cmp_eq_u32 s23, 44
	s_mov_b64 s[0:1], -1
	s_cbranch_scc0 .LBB38_2764
; %bb.2761:
	v_cndmask_b32_e64 v4, 0, 1.0, s[4:5]
	v_lshrrev_b32_e32 v3, 23, v4
	s_movk_i32 s0, 0xff
	v_cmp_ne_u32_e32 vcc, s0, v3
	v_mov_b32_e32 v5, 0xff
	s_and_saveexec_b64 s[12:13], vcc
; %bb.2762:
	s_mov_b32 s0, 0x3fffff
	v_and_b32_e32 v5, 0x400000, v4
	v_and_or_b32 v4, v4, s0, v3
	v_cmp_ne_u32_e32 vcc, 0, v5
	v_cmp_ne_u32_e64 s[0:1], 0, v4
	s_and_b64 s[0:1], vcc, s[0:1]
	v_cndmask_b32_e64 v4, 0, 1, s[0:1]
	v_add_u32_e32 v5, v3, v4
; %bb.2763:
	s_or_b64 exec, exec, s[12:13]
	s_mov_b64 s[0:1], 0
	s_mov_b64 s[12:13], -1
	global_store_byte v[0:1], v5, off
.LBB38_2764:
	s_mov_b64 s[14:15], 0
.LBB38_2765:
	s_and_b64 vcc, exec, s[14:15]
	s_cbranch_vccz .LBB38_2768
; %bb.2766:
	s_cmp_eq_u32 s23, 29
	s_mov_b64 s[0:1], -1
	s_cbranch_scc0 .LBB38_2768
; %bb.2767:
	s_mov_b32 s0, 0
	v_cndmask_b32_e64 v3, 0, 1, s[4:5]
	v_mov_b32_e32 v4, s0
	global_store_dwordx2 v[0:1], v[3:4], off
	s_mov_b64 s[0:1], 0
	s_mov_b64 s[12:13], -1
.LBB38_2768:
	s_mov_b64 s[14:15], 0
.LBB38_2769:
	s_and_b64 vcc, exec, s[14:15]
	s_cbranch_vccz .LBB38_2785
; %bb.2770:
	s_cmp_lt_i32 s23, 27
	s_mov_b64 s[12:13], -1
	s_cbranch_scc1 .LBB38_2776
; %bb.2771:
	s_cmp_gt_i32 s23, 27
	s_cbranch_scc0 .LBB38_2773
; %bb.2772:
	v_cndmask_b32_e64 v3, 0, 1, s[4:5]
	s_mov_b64 s[12:13], 0
	global_store_dword v[0:1], v3, off
.LBB38_2773:
	s_andn2_b64 vcc, exec, s[12:13]
	s_cbranch_vccnz .LBB38_2775
; %bb.2774:
	v_cndmask_b32_e64 v3, 0, 1, s[4:5]
	global_store_short v[0:1], v3, off
.LBB38_2775:
	s_mov_b64 s[12:13], 0
.LBB38_2776:
	s_andn2_b64 vcc, exec, s[12:13]
	s_cbranch_vccnz .LBB38_2784
; %bb.2777:
	v_cndmask_b32_e64 v4, 0, 1.0, s[4:5]
	s_mov_b32 s12, 0x43800000
	v_cmp_gt_u32_e32 vcc, s12, v4
	v_mov_b32_e32 v5, 0x80
	s_and_saveexec_b64 s[12:13], vcc
	s_cbranch_execz .LBB38_2783
; %bb.2778:
	s_mov_b32 s14, 0x3bffffff
	v_cmp_lt_u32_e32 vcc, s14, v4
	s_mov_b64 s[14:15], 0
                                        ; implicit-def: $vgpr3
	s_and_saveexec_b64 s[20:21], vcc
	s_xor_b64 s[20:21], exec, s[20:21]
	s_cbranch_execz .LBB38_3004
; %bb.2779:
	v_bfe_u32 v3, v4, 20, 1
	s_mov_b32 s25, 0x487ffff
	v_add3_u32 v3, v4, v3, s25
	s_mov_b64 s[14:15], exec
	v_lshrrev_b32_e32 v3, 20, v3
                                        ; implicit-def: $vgpr4
	s_andn2_saveexec_b64 s[20:21], s[20:21]
	s_cbranch_execnz .LBB38_3005
.LBB38_2780:
	s_or_b64 exec, exec, s[20:21]
	v_mov_b32_e32 v5, 0
	s_and_saveexec_b64 s[20:21], s[14:15]
.LBB38_2781:
	v_mov_b32_e32 v5, v3
.LBB38_2782:
	s_or_b64 exec, exec, s[20:21]
.LBB38_2783:
	s_or_b64 exec, exec, s[12:13]
	global_store_byte v[0:1], v5, off
.LBB38_2784:
	s_mov_b64 s[12:13], -1
.LBB38_2785:
	s_mov_b64 s[14:15], 0
.LBB38_2786:
	s_and_b64 vcc, exec, s[14:15]
	s_cbranch_vccz .LBB38_2826
; %bb.2787:
	s_cmp_gt_i32 s23, 22
	s_mov_b64 s[10:11], -1
	s_cbranch_scc0 .LBB38_2819
; %bb.2788:
	s_cmp_lt_i32 s23, 24
	s_cbranch_scc1 .LBB38_2808
; %bb.2789:
	s_cmp_gt_i32 s23, 24
	s_cbranch_scc0 .LBB38_2797
; %bb.2790:
	v_cndmask_b32_e64 v4, 0, 1.0, s[4:5]
	s_mov_b32 s10, 0x47800000
	v_cmp_gt_u32_e32 vcc, s10, v4
	v_mov_b32_e32 v5, 0x80
	s_and_saveexec_b64 s[10:11], vcc
	s_cbranch_execz .LBB38_2796
; %bb.2791:
	s_mov_b32 s12, 0x37ffffff
	v_cmp_lt_u32_e32 vcc, s12, v4
	s_mov_b64 s[12:13], 0
                                        ; implicit-def: $vgpr3
	s_and_saveexec_b64 s[14:15], vcc
	s_xor_b64 s[14:15], exec, s[14:15]
	s_cbranch_execz .LBB38_3007
; %bb.2792:
	v_bfe_u32 v3, v4, 21, 1
	s_mov_b32 s20, 0x88fffff
	v_add3_u32 v3, v4, v3, s20
	s_mov_b64 s[12:13], exec
	v_lshrrev_b32_e32 v3, 21, v3
                                        ; implicit-def: $vgpr4
	s_andn2_saveexec_b64 s[14:15], s[14:15]
	s_cbranch_execnz .LBB38_3008
.LBB38_2793:
	s_or_b64 exec, exec, s[14:15]
	v_mov_b32_e32 v5, 0
	s_and_saveexec_b64 s[14:15], s[12:13]
.LBB38_2794:
	v_mov_b32_e32 v5, v3
.LBB38_2795:
	s_or_b64 exec, exec, s[14:15]
.LBB38_2796:
	s_or_b64 exec, exec, s[10:11]
	s_mov_b64 s[10:11], 0
	global_store_byte v[0:1], v5, off
.LBB38_2797:
	s_and_b64 vcc, exec, s[10:11]
	s_cbranch_vccz .LBB38_2807
; %bb.2798:
	v_cndmask_b32_e64 v3, 0, 1.0, s[4:5]
	s_mov_b32 s10, 0x43f00000
	v_cmp_gt_u32_e32 vcc, s10, v3
                                        ; implicit-def: $vgpr4
	s_and_saveexec_b64 s[10:11], vcc
	s_xor_b64 s[10:11], exec, s[10:11]
	s_cbranch_execz .LBB38_2804
; %bb.2799:
	s_mov_b32 s12, 0x3c7fffff
	v_cmp_lt_u32_e32 vcc, s12, v3
                                        ; implicit-def: $vgpr4
	s_and_saveexec_b64 s[12:13], vcc
	s_xor_b64 s[12:13], exec, s[12:13]
; %bb.2800:
	v_bfe_u32 v4, v3, 20, 1
	s_mov_b32 s14, 0x407ffff
	v_add3_u32 v3, v3, v4, s14
	v_lshrrev_b32_e32 v4, 20, v3
	v_and_b32_e32 v3, 0xff00000, v3
	s_mov_b32 s14, 0x7f00000
	v_mov_b32_e32 v5, 0x7e
	v_cmp_ne_u32_e32 vcc, s14, v3
	v_cndmask_b32_e32 v4, v5, v4, vcc
                                        ; implicit-def: $vgpr3
; %bb.2801:
	s_andn2_saveexec_b64 s[12:13], s[12:13]
; %bb.2802:
	v_add_f32_e32 v4, 0x46800000, v3
; %bb.2803:
	s_or_b64 exec, exec, s[12:13]
                                        ; implicit-def: $vgpr3
.LBB38_2804:
	s_andn2_saveexec_b64 s[10:11], s[10:11]
; %bb.2805:
	s_mov_b32 s12, 0x7f800000
	v_mov_b32_e32 v4, 0x7e
	v_mov_b32_e32 v5, 0x7f
	v_cmp_lt_u32_e32 vcc, s12, v3
	v_cndmask_b32_e32 v4, v4, v5, vcc
; %bb.2806:
	s_or_b64 exec, exec, s[10:11]
	global_store_byte v[0:1], v4, off
.LBB38_2807:
	s_mov_b64 s[10:11], 0
.LBB38_2808:
	s_andn2_b64 vcc, exec, s[10:11]
	s_cbranch_vccnz .LBB38_2818
; %bb.2809:
	v_cndmask_b32_e64 v3, 0, 1.0, s[4:5]
	s_mov_b32 s10, 0x47800000
	v_cmp_gt_u32_e32 vcc, s10, v3
                                        ; implicit-def: $vgpr4
	s_and_saveexec_b64 s[10:11], vcc
	s_xor_b64 s[10:11], exec, s[10:11]
	s_cbranch_execz .LBB38_2815
; %bb.2810:
	s_mov_b32 s12, 0x387fffff
	v_cmp_lt_u32_e32 vcc, s12, v3
                                        ; implicit-def: $vgpr4
	s_and_saveexec_b64 s[12:13], vcc
	s_xor_b64 s[12:13], exec, s[12:13]
; %bb.2811:
	v_bfe_u32 v4, v3, 21, 1
	s_mov_b32 s14, 0x80fffff
	v_add3_u32 v3, v3, v4, s14
	v_lshrrev_b32_e32 v4, 21, v3
                                        ; implicit-def: $vgpr3
; %bb.2812:
	s_andn2_saveexec_b64 s[12:13], s[12:13]
; %bb.2813:
	v_add_f32_e32 v4, 0x43000000, v3
; %bb.2814:
	s_or_b64 exec, exec, s[12:13]
                                        ; implicit-def: $vgpr3
.LBB38_2815:
	s_andn2_saveexec_b64 s[10:11], s[10:11]
; %bb.2816:
	s_mov_b32 s12, 0x7f800000
	v_mov_b32_e32 v4, 0x7c
	v_mov_b32_e32 v5, 0x7f
	v_cmp_lt_u32_e32 vcc, s12, v3
	v_cndmask_b32_e32 v4, v4, v5, vcc
; %bb.2817:
	s_or_b64 exec, exec, s[10:11]
	global_store_byte v[0:1], v4, off
.LBB38_2818:
	s_mov_b64 s[10:11], 0
	s_mov_b64 s[12:13], -1
.LBB38_2819:
	s_andn2_b64 vcc, exec, s[10:11]
	s_mov_b64 s[10:11], 0
	s_cbranch_vccnz .LBB38_2826
; %bb.2820:
	s_cmp_gt_i32 s23, 14
	s_mov_b64 s[14:15], -1
	s_cbranch_scc0 .LBB38_2824
; %bb.2821:
	s_cmp_eq_u32 s23, 15
	s_mov_b64 s[0:1], -1
	s_cbranch_scc0 .LBB38_2823
; %bb.2822:
	v_cndmask_b32_e64 v3, 0, 1.0, s[4:5]
	v_bfe_u32 v4, v3, 16, 1
	s_movk_i32 s0, 0x7fff
	v_add3_u32 v3, v3, v4, s0
	global_store_short_d16_hi v[0:1], v3, off
	s_mov_b64 s[0:1], 0
	s_mov_b64 s[12:13], -1
.LBB38_2823:
	s_mov_b64 s[14:15], 0
.LBB38_2824:
	s_and_b64 vcc, exec, s[14:15]
	s_cbranch_vccz .LBB38_2826
; %bb.2825:
	s_cmp_lg_u32 s23, 11
	s_mov_b64 s[10:11], -1
	s_cselect_b64 s[0:1], -1, 0
.LBB38_2826:
	s_and_b64 vcc, exec, s[0:1]
	s_cbranch_vccnz .LBB38_3006
; %bb.2827:
	s_andn2_b64 vcc, exec, s[10:11]
	s_cbranch_vccnz .LBB38_2829
.LBB38_2828:
	v_cndmask_b32_e64 v3, 0, 1, s[4:5]
	s_mov_b64 s[12:13], -1
	global_store_byte v[0:1], v3, off
.LBB38_2829:
	s_mov_b64 s[0:1], 0
	s_branch .LBB38_2831
.LBB38_2830:
	s_mov_b64 s[0:1], -1
	s_mov_b64 s[12:13], 0
.LBB38_2831:
	s_and_b64 vcc, exec, s[0:1]
	s_cbranch_vccz .LBB38_2870
; %bb.2832:
	s_and_b32 s10, 0xffff, s24
	s_cmp_lt_i32 s10, 5
	s_mov_b64 s[0:1], -1
	s_cbranch_scc1 .LBB38_2853
; %bb.2833:
	s_cmp_lt_i32 s10, 8
	s_cbranch_scc1 .LBB38_2843
; %bb.2834:
	s_cmp_lt_i32 s10, 9
	s_cbranch_scc1 .LBB38_2840
; %bb.2835:
	s_cmp_gt_i32 s10, 9
	s_cbranch_scc0 .LBB38_2837
; %bb.2836:
	v_cndmask_b32_e64 v3, 0, 1, s[4:5]
	v_cvt_f64_u32_e32 v[3:4], v3
	v_mov_b32_e32 v5, 0
	v_mov_b32_e32 v6, v5
	s_mov_b64 s[0:1], 0
	global_store_dwordx4 v[0:1], v[3:6], off
.LBB38_2837:
	s_andn2_b64 vcc, exec, s[0:1]
	s_cbranch_vccnz .LBB38_2839
; %bb.2838:
	v_cndmask_b32_e64 v3, 0, 1.0, s[4:5]
	v_mov_b32_e32 v4, 0
	global_store_dwordx2 v[0:1], v[3:4], off
.LBB38_2839:
	s_mov_b64 s[0:1], 0
.LBB38_2840:
	s_andn2_b64 vcc, exec, s[0:1]
	s_cbranch_vccnz .LBB38_2842
; %bb.2841:
	v_cndmask_b32_e64 v3, 0, 1.0, s[4:5]
	v_cvt_f16_f32_e32 v3, v3
	global_store_dword v[0:1], v3, off
.LBB38_2842:
	s_mov_b64 s[0:1], 0
.LBB38_2843:
	s_andn2_b64 vcc, exec, s[0:1]
	s_cbranch_vccnz .LBB38_2852
; %bb.2844:
	s_cmp_lt_i32 s10, 6
	s_mov_b64 s[0:1], -1
	s_cbranch_scc1 .LBB38_2850
; %bb.2845:
	s_cmp_gt_i32 s10, 6
	s_cbranch_scc0 .LBB38_2847
; %bb.2846:
	v_cndmask_b32_e64 v3, 0, 1, s[4:5]
	v_cvt_f64_u32_e32 v[3:4], v3
	s_mov_b64 s[0:1], 0
	global_store_dwordx2 v[0:1], v[3:4], off
.LBB38_2847:
	s_andn2_b64 vcc, exec, s[0:1]
	s_cbranch_vccnz .LBB38_2849
; %bb.2848:
	v_cndmask_b32_e64 v3, 0, 1.0, s[4:5]
	global_store_dword v[0:1], v3, off
.LBB38_2849:
	s_mov_b64 s[0:1], 0
.LBB38_2850:
	s_andn2_b64 vcc, exec, s[0:1]
	s_cbranch_vccnz .LBB38_2852
; %bb.2851:
	v_cndmask_b32_e64 v3, 0, 1.0, s[4:5]
	v_cvt_f16_f32_e32 v3, v3
	global_store_short v[0:1], v3, off
.LBB38_2852:
	s_mov_b64 s[0:1], 0
.LBB38_2853:
	s_andn2_b64 vcc, exec, s[0:1]
	s_cbranch_vccnz .LBB38_2869
; %bb.2854:
	s_cmp_lt_i32 s10, 2
	s_mov_b64 s[0:1], -1
	s_cbranch_scc1 .LBB38_2864
; %bb.2855:
	s_cmp_lt_i32 s10, 3
	s_cbranch_scc1 .LBB38_2861
; %bb.2856:
	s_cmp_gt_i32 s10, 3
	s_cbranch_scc0 .LBB38_2858
; %bb.2857:
	s_mov_b32 s0, 0
	v_cndmask_b32_e64 v3, 0, 1, s[4:5]
	v_mov_b32_e32 v4, s0
	global_store_dwordx2 v[0:1], v[3:4], off
	s_mov_b64 s[0:1], 0
.LBB38_2858:
	s_andn2_b64 vcc, exec, s[0:1]
	s_cbranch_vccnz .LBB38_2860
; %bb.2859:
	v_cndmask_b32_e64 v3, 0, 1, s[4:5]
	global_store_dword v[0:1], v3, off
.LBB38_2860:
	s_mov_b64 s[0:1], 0
.LBB38_2861:
	s_andn2_b64 vcc, exec, s[0:1]
	s_cbranch_vccnz .LBB38_2863
; %bb.2862:
	v_cndmask_b32_e64 v3, 0, 1, s[4:5]
	global_store_short v[0:1], v3, off
.LBB38_2863:
	s_mov_b64 s[0:1], 0
.LBB38_2864:
	s_andn2_b64 vcc, exec, s[0:1]
	s_cbranch_vccnz .LBB38_2869
; %bb.2865:
	s_mov_b64 s[0:1], -1
	s_cmp_gt_i32 s10, 0
	v_cndmask_b32_e64 v3, 0, 1, s[4:5]
	s_cbranch_scc0 .LBB38_2867
; %bb.2866:
	global_store_byte v[0:1], v3, off
	s_mov_b64 s[0:1], 0
.LBB38_2867:
	s_andn2_b64 vcc, exec, s[0:1]
	s_cbranch_vccnz .LBB38_2869
; %bb.2868:
	global_store_byte v[0:1], v3, off
.LBB38_2869:
	s_mov_b64 s[12:13], -1
.LBB38_2870:
	s_andn2_b64 vcc, exec, s[12:13]
	s_cbranch_vccnz .LBB38_2947
; %bb.2871:
	v_cmp_ne_u32_e32 vcc, v8, v10
	v_add_u32_e32 v0, s22, v2
	s_xor_b64 s[20:21], s[2:3], vcc
	v_ashrrev_i32_e32 v1, 31, v0
	v_mov_b32_e32 v2, s9
	v_add_co_u32_e32 v0, vcc, s8, v0
	s_cmp_lt_i32 s24, 11
	v_addc_co_u32_e32 v1, vcc, v2, v1, vcc
	s_cbranch_scc1 .LBB38_2992
; %bb.2872:
	s_and_b32 s12, 0xffff, s24
	s_mov_b64 s[4:5], -1
	s_mov_b64 s[2:3], 0
	s_cmp_gt_i32 s12, 25
	s_mov_b64 s[0:1], 0
	s_cbranch_scc0 .LBB38_2905
; %bb.2873:
	s_cmp_gt_i32 s12, 28
	s_cbranch_scc0 .LBB38_2889
; %bb.2874:
	s_cmp_gt_i32 s12, 43
	;; [unrolled: 3-line block ×3, first 2 shown]
	s_cbranch_scc0 .LBB38_2879
; %bb.2876:
	s_cmp_eq_u32 s12, 46
	s_mov_b64 s[0:1], -1
	s_cbranch_scc0 .LBB38_2878
; %bb.2877:
	v_cndmask_b32_e64 v2, 0, 1.0, s[20:21]
	v_bfe_u32 v3, v2, 16, 1
	s_movk_i32 s0, 0x7fff
	v_add3_u32 v2, v2, v3, s0
	v_lshrrev_b32_e32 v2, 16, v2
	global_store_dword v[0:1], v2, off
	s_mov_b64 s[0:1], 0
.LBB38_2878:
	s_mov_b64 s[4:5], 0
.LBB38_2879:
	s_and_b64 vcc, exec, s[4:5]
	s_cbranch_vccz .LBB38_2884
; %bb.2880:
	s_cmp_eq_u32 s12, 44
	s_mov_b64 s[0:1], -1
	s_cbranch_scc0 .LBB38_2884
; %bb.2881:
	v_cndmask_b32_e64 v3, 0, 1.0, s[20:21]
	v_lshrrev_b32_e32 v2, 23, v3
	s_movk_i32 s0, 0xff
	v_cmp_ne_u32_e32 vcc, s0, v2
	v_mov_b32_e32 v4, 0xff
	s_and_saveexec_b64 s[4:5], vcc
; %bb.2882:
	s_mov_b32 s0, 0x3fffff
	v_and_b32_e32 v4, 0x400000, v3
	v_and_or_b32 v3, v3, s0, v2
	v_cmp_ne_u32_e32 vcc, 0, v4
	v_cmp_ne_u32_e64 s[0:1], 0, v3
	s_and_b64 s[0:1], vcc, s[0:1]
	v_cndmask_b32_e64 v3, 0, 1, s[0:1]
	v_add_u32_e32 v4, v2, v3
; %bb.2883:
	s_or_b64 exec, exec, s[4:5]
	s_mov_b64 s[0:1], 0
	global_store_byte v[0:1], v4, off
.LBB38_2884:
	s_mov_b64 s[4:5], 0
.LBB38_2885:
	s_and_b64 vcc, exec, s[4:5]
	s_cbranch_vccz .LBB38_2888
; %bb.2886:
	s_cmp_eq_u32 s12, 29
	s_mov_b64 s[0:1], -1
	s_cbranch_scc0 .LBB38_2888
; %bb.2887:
	s_mov_b32 s0, 0
	v_cndmask_b32_e64 v2, 0, 1, s[20:21]
	v_mov_b32_e32 v3, s0
	global_store_dwordx2 v[0:1], v[2:3], off
	s_mov_b64 s[0:1], 0
.LBB38_2888:
	s_mov_b64 s[4:5], 0
.LBB38_2889:
	s_and_b64 vcc, exec, s[4:5]
	s_cbranch_vccz .LBB38_2904
; %bb.2890:
	s_cmp_lt_i32 s12, 27
	s_mov_b64 s[4:5], -1
	s_cbranch_scc1 .LBB38_2896
; %bb.2891:
	s_cmp_gt_i32 s12, 27
	v_cndmask_b32_e64 v2, 0, 1, s[20:21]
	s_cbranch_scc0 .LBB38_2893
; %bb.2892:
	global_store_dword v[0:1], v2, off
	s_mov_b64 s[4:5], 0
.LBB38_2893:
	s_andn2_b64 vcc, exec, s[4:5]
	s_cbranch_vccnz .LBB38_2895
; %bb.2894:
	global_store_short v[0:1], v2, off
.LBB38_2895:
	s_mov_b64 s[4:5], 0
.LBB38_2896:
	s_andn2_b64 vcc, exec, s[4:5]
	s_cbranch_vccnz .LBB38_2904
; %bb.2897:
	v_cndmask_b32_e64 v3, 0, 1.0, s[20:21]
	s_mov_b32 s4, 0x43800000
	v_cmp_gt_u32_e32 vcc, s4, v3
	v_mov_b32_e32 v4, 0x80
	s_and_saveexec_b64 s[4:5], vcc
	s_cbranch_execz .LBB38_2903
; %bb.2898:
	s_mov_b32 s8, 0x3bffffff
	v_cmp_lt_u32_e32 vcc, s8, v3
	s_mov_b64 s[8:9], 0
                                        ; implicit-def: $vgpr2
	s_and_saveexec_b64 s[10:11], vcc
	s_xor_b64 s[10:11], exec, s[10:11]
	s_cbranch_execz .LBB38_3009
; %bb.2899:
	v_bfe_u32 v2, v3, 20, 1
	s_mov_b32 s13, 0x487ffff
	v_add3_u32 v2, v3, v2, s13
	s_mov_b64 s[8:9], exec
	v_lshrrev_b32_e32 v2, 20, v2
                                        ; implicit-def: $vgpr3
	s_andn2_saveexec_b64 s[10:11], s[10:11]
	s_cbranch_execnz .LBB38_3010
.LBB38_2900:
	s_or_b64 exec, exec, s[10:11]
	v_mov_b32_e32 v4, 0
	s_and_saveexec_b64 s[10:11], s[8:9]
.LBB38_2901:
	v_mov_b32_e32 v4, v2
.LBB38_2902:
	s_or_b64 exec, exec, s[10:11]
.LBB38_2903:
	s_or_b64 exec, exec, s[4:5]
	global_store_byte v[0:1], v4, off
.LBB38_2904:
	s_mov_b64 s[4:5], 0
.LBB38_2905:
	s_and_b64 vcc, exec, s[4:5]
	s_cbranch_vccz .LBB38_2945
; %bb.2906:
	s_cmp_gt_i32 s12, 22
	s_mov_b64 s[2:3], -1
	s_cbranch_scc0 .LBB38_2938
; %bb.2907:
	s_cmp_lt_i32 s12, 24
	s_cbranch_scc1 .LBB38_2927
; %bb.2908:
	s_cmp_gt_i32 s12, 24
	s_cbranch_scc0 .LBB38_2916
; %bb.2909:
	v_cndmask_b32_e64 v3, 0, 1.0, s[20:21]
	s_mov_b32 s2, 0x47800000
	v_cmp_gt_u32_e32 vcc, s2, v3
	v_mov_b32_e32 v4, 0x80
	s_and_saveexec_b64 s[2:3], vcc
	s_cbranch_execz .LBB38_2915
; %bb.2910:
	s_mov_b32 s4, 0x37ffffff
	v_cmp_lt_u32_e32 vcc, s4, v3
	s_mov_b64 s[4:5], 0
                                        ; implicit-def: $vgpr2
	s_and_saveexec_b64 s[8:9], vcc
	s_xor_b64 s[8:9], exec, s[8:9]
	s_cbranch_execz .LBB38_3012
; %bb.2911:
	v_bfe_u32 v2, v3, 21, 1
	s_mov_b32 s10, 0x88fffff
	v_add3_u32 v2, v3, v2, s10
	s_mov_b64 s[4:5], exec
	v_lshrrev_b32_e32 v2, 21, v2
                                        ; implicit-def: $vgpr3
	s_andn2_saveexec_b64 s[8:9], s[8:9]
	s_cbranch_execnz .LBB38_3013
.LBB38_2912:
	s_or_b64 exec, exec, s[8:9]
	v_mov_b32_e32 v4, 0
	s_and_saveexec_b64 s[8:9], s[4:5]
.LBB38_2913:
	v_mov_b32_e32 v4, v2
.LBB38_2914:
	s_or_b64 exec, exec, s[8:9]
.LBB38_2915:
	s_or_b64 exec, exec, s[2:3]
	s_mov_b64 s[2:3], 0
	global_store_byte v[0:1], v4, off
.LBB38_2916:
	s_and_b64 vcc, exec, s[2:3]
	s_cbranch_vccz .LBB38_2926
; %bb.2917:
	v_cndmask_b32_e64 v2, 0, 1.0, s[20:21]
	s_mov_b32 s2, 0x43f00000
	v_cmp_gt_u32_e32 vcc, s2, v2
                                        ; implicit-def: $vgpr3
	s_and_saveexec_b64 s[2:3], vcc
	s_xor_b64 s[2:3], exec, s[2:3]
	s_cbranch_execz .LBB38_2923
; %bb.2918:
	s_mov_b32 s4, 0x3c7fffff
	v_cmp_lt_u32_e32 vcc, s4, v2
                                        ; implicit-def: $vgpr3
	s_and_saveexec_b64 s[4:5], vcc
	s_xor_b64 s[4:5], exec, s[4:5]
; %bb.2919:
	v_bfe_u32 v3, v2, 20, 1
	s_mov_b32 s8, 0x407ffff
	v_add3_u32 v2, v2, v3, s8
	v_lshrrev_b32_e32 v3, 20, v2
	v_and_b32_e32 v2, 0xff00000, v2
	s_mov_b32 s8, 0x7f00000
	v_mov_b32_e32 v4, 0x7e
	v_cmp_ne_u32_e32 vcc, s8, v2
	v_cndmask_b32_e32 v3, v4, v3, vcc
                                        ; implicit-def: $vgpr2
; %bb.2920:
	s_andn2_saveexec_b64 s[4:5], s[4:5]
; %bb.2921:
	v_add_f32_e32 v3, 0x46800000, v2
; %bb.2922:
	s_or_b64 exec, exec, s[4:5]
                                        ; implicit-def: $vgpr2
.LBB38_2923:
	s_andn2_saveexec_b64 s[2:3], s[2:3]
; %bb.2924:
	s_mov_b32 s4, 0x7f800000
	v_mov_b32_e32 v3, 0x7e
	v_mov_b32_e32 v4, 0x7f
	v_cmp_lt_u32_e32 vcc, s4, v2
	v_cndmask_b32_e32 v3, v3, v4, vcc
; %bb.2925:
	s_or_b64 exec, exec, s[2:3]
	global_store_byte v[0:1], v3, off
.LBB38_2926:
	s_mov_b64 s[2:3], 0
.LBB38_2927:
	s_andn2_b64 vcc, exec, s[2:3]
	s_cbranch_vccnz .LBB38_2937
; %bb.2928:
	v_cndmask_b32_e64 v2, 0, 1.0, s[20:21]
	s_mov_b32 s2, 0x47800000
	v_cmp_gt_u32_e32 vcc, s2, v2
                                        ; implicit-def: $vgpr3
	s_and_saveexec_b64 s[2:3], vcc
	s_xor_b64 s[2:3], exec, s[2:3]
	s_cbranch_execz .LBB38_2934
; %bb.2929:
	s_mov_b32 s4, 0x387fffff
	v_cmp_lt_u32_e32 vcc, s4, v2
                                        ; implicit-def: $vgpr3
	s_and_saveexec_b64 s[4:5], vcc
	s_xor_b64 s[4:5], exec, s[4:5]
; %bb.2930:
	v_bfe_u32 v3, v2, 21, 1
	s_mov_b32 s8, 0x80fffff
	v_add3_u32 v2, v2, v3, s8
	v_lshrrev_b32_e32 v3, 21, v2
                                        ; implicit-def: $vgpr2
; %bb.2931:
	s_andn2_saveexec_b64 s[4:5], s[4:5]
; %bb.2932:
	v_add_f32_e32 v3, 0x43000000, v2
; %bb.2933:
	s_or_b64 exec, exec, s[4:5]
                                        ; implicit-def: $vgpr2
.LBB38_2934:
	s_andn2_saveexec_b64 s[2:3], s[2:3]
; %bb.2935:
	s_mov_b32 s4, 0x7f800000
	v_mov_b32_e32 v3, 0x7c
	v_mov_b32_e32 v4, 0x7f
	v_cmp_lt_u32_e32 vcc, s4, v2
	v_cndmask_b32_e32 v3, v3, v4, vcc
; %bb.2936:
	s_or_b64 exec, exec, s[2:3]
	global_store_byte v[0:1], v3, off
.LBB38_2937:
	s_mov_b64 s[2:3], 0
.LBB38_2938:
	s_andn2_b64 vcc, exec, s[2:3]
	s_mov_b64 s[2:3], 0
	s_cbranch_vccnz .LBB38_2945
; %bb.2939:
	s_cmp_gt_i32 s12, 14
	s_mov_b64 s[4:5], -1
	s_cbranch_scc0 .LBB38_2943
; %bb.2940:
	s_cmp_eq_u32 s12, 15
	s_mov_b64 s[0:1], -1
	s_cbranch_scc0 .LBB38_2942
; %bb.2941:
	v_cndmask_b32_e64 v2, 0, 1.0, s[20:21]
	v_bfe_u32 v3, v2, 16, 1
	s_movk_i32 s0, 0x7fff
	v_add3_u32 v2, v2, v3, s0
	global_store_short_d16_hi v[0:1], v2, off
	s_mov_b64 s[0:1], 0
.LBB38_2942:
	s_mov_b64 s[4:5], 0
.LBB38_2943:
	s_and_b64 vcc, exec, s[4:5]
	s_cbranch_vccz .LBB38_2945
; %bb.2944:
	s_cmp_lg_u32 s12, 11
	s_mov_b64 s[2:3], -1
	s_cselect_b64 s[0:1], -1, 0
.LBB38_2945:
	s_and_b64 vcc, exec, s[0:1]
	s_cbranch_vccnz .LBB38_3011
.LBB38_2946:
	s_mov_b64 s[0:1], 0
	s_branch .LBB38_2948
.LBB38_2947:
	s_mov_b64 s[0:1], 0
	s_mov_b64 s[2:3], 0
                                        ; implicit-def: $sgpr20_sgpr21
                                        ; implicit-def: $sgpr24
                                        ; implicit-def: $vgpr0_vgpr1
.LBB38_2948:
	s_and_b64 s[4:5], s[2:3], exec
	s_andn2_b64 s[2:3], s[16:17], exec
	s_and_b64 s[8:9], s[18:19], exec
	s_and_b64 s[0:1], s[0:1], exec
	s_or_b64 s[16:17], s[2:3], s[8:9]
.LBB38_2949:
	s_or_b64 exec, exec, s[6:7]
	s_and_saveexec_b64 s[2:3], s[16:17]
	s_cbranch_execz .LBB38_2952
; %bb.2950:
	; divergent unreachable
	s_or_b64 exec, exec, s[2:3]
	s_and_saveexec_b64 s[2:3], s[4:5]
	s_xor_b64 s[2:3], exec, s[2:3]
	s_cbranch_execnz .LBB38_2953
.LBB38_2951:
	s_or_b64 exec, exec, s[2:3]
	s_and_saveexec_b64 s[2:3], s[0:1]
	s_cbranch_execnz .LBB38_2954
	s_branch .LBB38_2991
.LBB38_2952:
	s_or_b64 exec, exec, s[2:3]
	s_and_saveexec_b64 s[2:3], s[4:5]
	s_xor_b64 s[2:3], exec, s[2:3]
	s_cbranch_execz .LBB38_2951
.LBB38_2953:
	v_cndmask_b32_e64 v2, 0, 1, s[20:21]
	global_store_byte v[0:1], v2, off
	s_or_b64 exec, exec, s[2:3]
	s_and_saveexec_b64 s[2:3], s[0:1]
	s_cbranch_execz .LBB38_2991
.LBB38_2954:
	s_sext_i32_i16 s2, s24
	s_cmp_lt_i32 s2, 5
	s_mov_b64 s[0:1], -1
	s_cbranch_scc1 .LBB38_2975
; %bb.2955:
	s_cmp_lt_i32 s2, 8
	s_cbranch_scc1 .LBB38_2965
; %bb.2956:
	s_cmp_lt_i32 s2, 9
	s_cbranch_scc1 .LBB38_2962
; %bb.2957:
	s_cmp_gt_i32 s2, 9
	s_cbranch_scc0 .LBB38_2959
; %bb.2958:
	v_cndmask_b32_e64 v2, 0, 1, s[20:21]
	s_waitcnt vmcnt(0)
	v_cvt_f64_u32_e32 v[2:3], v2
	v_mov_b32_e32 v4, 0
	v_mov_b32_e32 v5, v4
	s_mov_b64 s[0:1], 0
	global_store_dwordx4 v[0:1], v[2:5], off
.LBB38_2959:
	s_andn2_b64 vcc, exec, s[0:1]
	s_cbranch_vccnz .LBB38_2961
; %bb.2960:
	v_cndmask_b32_e64 v2, 0, 1.0, s[20:21]
	s_waitcnt vmcnt(0)
	v_mov_b32_e32 v3, 0
	global_store_dwordx2 v[0:1], v[2:3], off
.LBB38_2961:
	s_mov_b64 s[0:1], 0
.LBB38_2962:
	s_andn2_b64 vcc, exec, s[0:1]
	s_cbranch_vccnz .LBB38_2964
; %bb.2963:
	v_cndmask_b32_e64 v2, 0, 1.0, s[20:21]
	v_cvt_f16_f32_e32 v2, v2
	global_store_dword v[0:1], v2, off
.LBB38_2964:
	s_mov_b64 s[0:1], 0
.LBB38_2965:
	s_andn2_b64 vcc, exec, s[0:1]
	s_cbranch_vccnz .LBB38_2974
; %bb.2966:
	s_sext_i32_i16 s2, s24
	s_cmp_lt_i32 s2, 6
	s_mov_b64 s[0:1], -1
	s_cbranch_scc1 .LBB38_2972
; %bb.2967:
	s_cmp_gt_i32 s2, 6
	s_cbranch_scc0 .LBB38_2969
; %bb.2968:
	v_cndmask_b32_e64 v2, 0, 1, s[20:21]
	s_waitcnt vmcnt(0)
	v_cvt_f64_u32_e32 v[2:3], v2
	s_mov_b64 s[0:1], 0
	global_store_dwordx2 v[0:1], v[2:3], off
.LBB38_2969:
	s_andn2_b64 vcc, exec, s[0:1]
	s_cbranch_vccnz .LBB38_2971
; %bb.2970:
	v_cndmask_b32_e64 v2, 0, 1.0, s[20:21]
	global_store_dword v[0:1], v2, off
.LBB38_2971:
	s_mov_b64 s[0:1], 0
.LBB38_2972:
	s_andn2_b64 vcc, exec, s[0:1]
	s_cbranch_vccnz .LBB38_2974
; %bb.2973:
	v_cndmask_b32_e64 v2, 0, 1.0, s[20:21]
	v_cvt_f16_f32_e32 v2, v2
	global_store_short v[0:1], v2, off
.LBB38_2974:
	s_mov_b64 s[0:1], 0
.LBB38_2975:
	s_andn2_b64 vcc, exec, s[0:1]
	s_cbranch_vccnz .LBB38_2991
; %bb.2976:
	s_sext_i32_i16 s2, s24
	s_cmp_lt_i32 s2, 2
	s_mov_b64 s[0:1], -1
	s_cbranch_scc1 .LBB38_2986
; %bb.2977:
	s_cmp_lt_i32 s2, 3
	s_cbranch_scc1 .LBB38_2983
; %bb.2978:
	s_cmp_gt_i32 s2, 3
	s_cbranch_scc0 .LBB38_2980
; %bb.2979:
	s_mov_b32 s0, 0
	v_cndmask_b32_e64 v2, 0, 1, s[20:21]
	s_waitcnt vmcnt(0)
	v_mov_b32_e32 v3, s0
	global_store_dwordx2 v[0:1], v[2:3], off
	s_mov_b64 s[0:1], 0
.LBB38_2980:
	s_andn2_b64 vcc, exec, s[0:1]
	s_cbranch_vccnz .LBB38_2982
; %bb.2981:
	v_cndmask_b32_e64 v2, 0, 1, s[20:21]
	global_store_dword v[0:1], v2, off
.LBB38_2982:
	s_mov_b64 s[0:1], 0
.LBB38_2983:
	s_andn2_b64 vcc, exec, s[0:1]
	s_cbranch_vccnz .LBB38_2985
; %bb.2984:
	v_cndmask_b32_e64 v2, 0, 1, s[20:21]
	global_store_short v[0:1], v2, off
.LBB38_2985:
	s_mov_b64 s[0:1], 0
.LBB38_2986:
	s_andn2_b64 vcc, exec, s[0:1]
	s_cbranch_vccnz .LBB38_2991
; %bb.2987:
	s_sext_i32_i16 s2, s24
	s_mov_b64 s[0:1], -1
	s_cmp_gt_i32 s2, 0
	v_cndmask_b32_e64 v2, 0, 1, s[20:21]
	s_cbranch_scc0 .LBB38_2989
; %bb.2988:
	global_store_byte v[0:1], v2, off
	s_mov_b64 s[0:1], 0
.LBB38_2989:
	s_andn2_b64 vcc, exec, s[0:1]
	s_cbranch_vccnz .LBB38_2991
; %bb.2990:
	global_store_byte v[0:1], v2, off
	s_endpgm
.LBB38_2991:
	s_endpgm
.LBB38_2992:
	s_mov_b64 s[2:3], 0
	s_mov_b64 s[0:1], -1
	s_branch .LBB38_2948
.LBB38_2993:
	s_trap 2
	s_or_b64 s[18:19], s[18:19], exec
	s_cbranch_execz .LBB38_2462
	s_branch .LBB38_2463
.LBB38_2994:
	s_andn2_saveexec_b64 s[22:23], s[22:23]
	s_cbranch_execz .LBB38_2542
.LBB38_2995:
	v_add_f32_e32 v3, 0x46000000, v5
	v_and_b32_e32 v3, 0xff, v3
	v_cmp_ne_u32_e32 vcc, 0, v3
	s_andn2_b64 s[20:21], s[20:21], exec
	s_and_b64 s[26:27], vcc, exec
	s_or_b64 s[20:21], s[20:21], s[26:27]
	s_or_b64 exec, exec, s[22:23]
	v_mov_b32_e32 v11, 0
	s_and_saveexec_b64 s[22:23], s[20:21]
	s_cbranch_execnz .LBB38_2543
	s_branch .LBB38_2544
.LBB38_2996:
	s_trap 2
	s_or_b64 s[18:19], s[18:19], exec
	s_cbranch_execz .LBB38_2590
	s_branch .LBB38_2591
.LBB38_2997:
	s_andn2_saveexec_b64 s[20:21], s[20:21]
	s_cbranch_execz .LBB38_2555
.LBB38_2998:
	v_add_f32_e32 v3, 0x42800000, v5
	v_and_b32_e32 v3, 0xff, v3
	v_cmp_ne_u32_e32 vcc, 0, v3
	s_andn2_b64 s[14:15], s[14:15], exec
	s_and_b64 s[22:23], vcc, exec
	s_or_b64 s[14:15], s[14:15], s[22:23]
	s_or_b64 exec, exec, s[20:21]
	v_mov_b32_e32 v11, 0
	s_and_saveexec_b64 s[20:21], s[14:15]
	s_cbranch_execnz .LBB38_2556
	s_branch .LBB38_2557
.LBB38_2999:
	s_andn2_saveexec_b64 s[20:21], s[20:21]
	s_cbranch_execz .LBB38_2661
.LBB38_3000:
	v_add_f32_e32 v3, 0x46000000, v4
	v_and_b32_e32 v3, 0xff, v3
	v_cmp_ne_u32_e32 vcc, 0, v3
	s_andn2_b64 s[14:15], s[14:15], exec
	s_and_b64 s[26:27], vcc, exec
	s_or_b64 s[14:15], s[14:15], s[26:27]
	s_or_b64 exec, exec, s[20:21]
	v_mov_b32_e32 v5, 0
	s_and_saveexec_b64 s[20:21], s[14:15]
	s_cbranch_execnz .LBB38_2662
	s_branch .LBB38_2663
.LBB38_3001:
	s_trap 2
	s_or_b64 s[18:19], s[18:19], exec
	s_cbranch_execz .LBB38_2709
	s_branch .LBB38_2710
.LBB38_3002:
	s_andn2_saveexec_b64 s[14:15], s[14:15]
	s_cbranch_execz .LBB38_2674
.LBB38_3003:
	v_add_f32_e32 v3, 0x42800000, v4
	v_and_b32_e32 v3, 0xff, v3
	v_cmp_ne_u32_e32 vcc, 0, v3
	s_andn2_b64 s[12:13], s[12:13], exec
	s_and_b64 s[20:21], vcc, exec
	s_or_b64 s[12:13], s[12:13], s[20:21]
	s_or_b64 exec, exec, s[14:15]
	v_mov_b32_e32 v5, 0
	s_and_saveexec_b64 s[14:15], s[12:13]
	s_cbranch_execnz .LBB38_2675
	s_branch .LBB38_2676
.LBB38_3004:
	s_andn2_saveexec_b64 s[20:21], s[20:21]
	s_cbranch_execz .LBB38_2780
.LBB38_3005:
	v_add_f32_e32 v3, 0x46000000, v4
	v_and_b32_e32 v3, 0xff, v3
	v_cmp_ne_u32_e32 vcc, 0, v3
	s_andn2_b64 s[14:15], s[14:15], exec
	s_and_b64 s[26:27], vcc, exec
	s_or_b64 s[14:15], s[14:15], s[26:27]
	s_or_b64 exec, exec, s[20:21]
	v_mov_b32_e32 v5, 0
	s_and_saveexec_b64 s[20:21], s[14:15]
	s_cbranch_execnz .LBB38_2781
	s_branch .LBB38_2782
.LBB38_3006:
	s_trap 2
	s_or_b64 s[18:19], s[18:19], exec
	s_cbranch_execz .LBB38_2828
	s_branch .LBB38_2829
.LBB38_3007:
	s_andn2_saveexec_b64 s[14:15], s[14:15]
	s_cbranch_execz .LBB38_2793
.LBB38_3008:
	v_add_f32_e32 v3, 0x42800000, v4
	v_and_b32_e32 v3, 0xff, v3
	v_cmp_ne_u32_e32 vcc, 0, v3
	s_andn2_b64 s[12:13], s[12:13], exec
	s_and_b64 s[20:21], vcc, exec
	s_or_b64 s[12:13], s[12:13], s[20:21]
	s_or_b64 exec, exec, s[14:15]
	v_mov_b32_e32 v5, 0
	s_and_saveexec_b64 s[14:15], s[12:13]
	s_cbranch_execnz .LBB38_2794
	s_branch .LBB38_2795
.LBB38_3009:
	s_andn2_saveexec_b64 s[10:11], s[10:11]
	s_cbranch_execz .LBB38_2900
.LBB38_3010:
	v_add_f32_e32 v2, 0x46000000, v3
	v_and_b32_e32 v2, 0xff, v2
	v_cmp_ne_u32_e32 vcc, 0, v2
	s_andn2_b64 s[8:9], s[8:9], exec
	s_and_b64 s[14:15], vcc, exec
	s_or_b64 s[8:9], s[8:9], s[14:15]
	s_or_b64 exec, exec, s[10:11]
	v_mov_b32_e32 v4, 0
	s_and_saveexec_b64 s[10:11], s[8:9]
	s_cbranch_execnz .LBB38_2901
	s_branch .LBB38_2902
.LBB38_3011:
	s_mov_b64 s[2:3], 0
	s_or_b64 s[18:19], s[18:19], exec
	s_trap 2
	s_branch .LBB38_2946
.LBB38_3012:
	s_andn2_saveexec_b64 s[8:9], s[8:9]
	s_cbranch_execz .LBB38_2912
.LBB38_3013:
	v_add_f32_e32 v2, 0x42800000, v3
	v_and_b32_e32 v2, 0xff, v2
	v_cmp_ne_u32_e32 vcc, 0, v2
	s_andn2_b64 s[4:5], s[4:5], exec
	s_and_b64 s[10:11], vcc, exec
	s_or_b64 s[4:5], s[4:5], s[10:11]
	s_or_b64 exec, exec, s[8:9]
	v_mov_b32_e32 v4, 0
	s_and_saveexec_b64 s[8:9], s[4:5]
	s_cbranch_execnz .LBB38_2913
	s_branch .LBB38_2914
	.section	.rodata,"a",@progbits
	.p2align	6, 0x0
	.amdhsa_kernel _ZN2at6native32elementwise_kernel_manual_unrollILi128ELi4EZNS0_15gpu_kernel_implINS0_13BinaryFunctorIiibNS0_12_GLOBAL__N_116CompareEqFunctorIiEEEEEEvRNS_18TensorIteratorBaseERKT_EUlibE_EEviT1_
		.amdhsa_group_segment_fixed_size 0
		.amdhsa_private_segment_fixed_size 0
		.amdhsa_kernarg_size 56
		.amdhsa_user_sgpr_count 6
		.amdhsa_user_sgpr_private_segment_buffer 1
		.amdhsa_user_sgpr_dispatch_ptr 0
		.amdhsa_user_sgpr_queue_ptr 0
		.amdhsa_user_sgpr_kernarg_segment_ptr 1
		.amdhsa_user_sgpr_dispatch_id 0
		.amdhsa_user_sgpr_flat_scratch_init 0
		.amdhsa_user_sgpr_private_segment_size 0
		.amdhsa_uses_dynamic_stack 0
		.amdhsa_system_sgpr_private_segment_wavefront_offset 0
		.amdhsa_system_sgpr_workgroup_id_x 1
		.amdhsa_system_sgpr_workgroup_id_y 0
		.amdhsa_system_sgpr_workgroup_id_z 0
		.amdhsa_system_sgpr_workgroup_info 0
		.amdhsa_system_vgpr_workitem_id 0
		.amdhsa_next_free_vgpr 16
		.amdhsa_next_free_sgpr 59
		.amdhsa_reserve_vcc 1
		.amdhsa_reserve_flat_scratch 0
		.amdhsa_float_round_mode_32 0
		.amdhsa_float_round_mode_16_64 0
		.amdhsa_float_denorm_mode_32 3
		.amdhsa_float_denorm_mode_16_64 3
		.amdhsa_dx10_clamp 1
		.amdhsa_ieee_mode 1
		.amdhsa_fp16_overflow 0
		.amdhsa_exception_fp_ieee_invalid_op 0
		.amdhsa_exception_fp_denorm_src 0
		.amdhsa_exception_fp_ieee_div_zero 0
		.amdhsa_exception_fp_ieee_overflow 0
		.amdhsa_exception_fp_ieee_underflow 0
		.amdhsa_exception_fp_ieee_inexact 0
		.amdhsa_exception_int_div_zero 0
	.end_amdhsa_kernel
	.section	.text._ZN2at6native32elementwise_kernel_manual_unrollILi128ELi4EZNS0_15gpu_kernel_implINS0_13BinaryFunctorIiibNS0_12_GLOBAL__N_116CompareEqFunctorIiEEEEEEvRNS_18TensorIteratorBaseERKT_EUlibE_EEviT1_,"axG",@progbits,_ZN2at6native32elementwise_kernel_manual_unrollILi128ELi4EZNS0_15gpu_kernel_implINS0_13BinaryFunctorIiibNS0_12_GLOBAL__N_116CompareEqFunctorIiEEEEEEvRNS_18TensorIteratorBaseERKT_EUlibE_EEviT1_,comdat
.Lfunc_end38:
	.size	_ZN2at6native32elementwise_kernel_manual_unrollILi128ELi4EZNS0_15gpu_kernel_implINS0_13BinaryFunctorIiibNS0_12_GLOBAL__N_116CompareEqFunctorIiEEEEEEvRNS_18TensorIteratorBaseERKT_EUlibE_EEviT1_, .Lfunc_end38-_ZN2at6native32elementwise_kernel_manual_unrollILi128ELi4EZNS0_15gpu_kernel_implINS0_13BinaryFunctorIiibNS0_12_GLOBAL__N_116CompareEqFunctorIiEEEEEEvRNS_18TensorIteratorBaseERKT_EUlibE_EEviT1_
                                        ; -- End function
	.set _ZN2at6native32elementwise_kernel_manual_unrollILi128ELi4EZNS0_15gpu_kernel_implINS0_13BinaryFunctorIiibNS0_12_GLOBAL__N_116CompareEqFunctorIiEEEEEEvRNS_18TensorIteratorBaseERKT_EUlibE_EEviT1_.num_vgpr, 16
	.set _ZN2at6native32elementwise_kernel_manual_unrollILi128ELi4EZNS0_15gpu_kernel_implINS0_13BinaryFunctorIiibNS0_12_GLOBAL__N_116CompareEqFunctorIiEEEEEEvRNS_18TensorIteratorBaseERKT_EUlibE_EEviT1_.num_agpr, 0
	.set _ZN2at6native32elementwise_kernel_manual_unrollILi128ELi4EZNS0_15gpu_kernel_implINS0_13BinaryFunctorIiibNS0_12_GLOBAL__N_116CompareEqFunctorIiEEEEEEvRNS_18TensorIteratorBaseERKT_EUlibE_EEviT1_.numbered_sgpr, 59
	.set _ZN2at6native32elementwise_kernel_manual_unrollILi128ELi4EZNS0_15gpu_kernel_implINS0_13BinaryFunctorIiibNS0_12_GLOBAL__N_116CompareEqFunctorIiEEEEEEvRNS_18TensorIteratorBaseERKT_EUlibE_EEviT1_.num_named_barrier, 0
	.set _ZN2at6native32elementwise_kernel_manual_unrollILi128ELi4EZNS0_15gpu_kernel_implINS0_13BinaryFunctorIiibNS0_12_GLOBAL__N_116CompareEqFunctorIiEEEEEEvRNS_18TensorIteratorBaseERKT_EUlibE_EEviT1_.private_seg_size, 0
	.set _ZN2at6native32elementwise_kernel_manual_unrollILi128ELi4EZNS0_15gpu_kernel_implINS0_13BinaryFunctorIiibNS0_12_GLOBAL__N_116CompareEqFunctorIiEEEEEEvRNS_18TensorIteratorBaseERKT_EUlibE_EEviT1_.uses_vcc, 1
	.set _ZN2at6native32elementwise_kernel_manual_unrollILi128ELi4EZNS0_15gpu_kernel_implINS0_13BinaryFunctorIiibNS0_12_GLOBAL__N_116CompareEqFunctorIiEEEEEEvRNS_18TensorIteratorBaseERKT_EUlibE_EEviT1_.uses_flat_scratch, 0
	.set _ZN2at6native32elementwise_kernel_manual_unrollILi128ELi4EZNS0_15gpu_kernel_implINS0_13BinaryFunctorIiibNS0_12_GLOBAL__N_116CompareEqFunctorIiEEEEEEvRNS_18TensorIteratorBaseERKT_EUlibE_EEviT1_.has_dyn_sized_stack, 0
	.set _ZN2at6native32elementwise_kernel_manual_unrollILi128ELi4EZNS0_15gpu_kernel_implINS0_13BinaryFunctorIiibNS0_12_GLOBAL__N_116CompareEqFunctorIiEEEEEEvRNS_18TensorIteratorBaseERKT_EUlibE_EEviT1_.has_recursion, 0
	.set _ZN2at6native32elementwise_kernel_manual_unrollILi128ELi4EZNS0_15gpu_kernel_implINS0_13BinaryFunctorIiibNS0_12_GLOBAL__N_116CompareEqFunctorIiEEEEEEvRNS_18TensorIteratorBaseERKT_EUlibE_EEviT1_.has_indirect_call, 0
	.section	.AMDGPU.csdata,"",@progbits
; Kernel info:
; codeLenInByte = 43408
; TotalNumSgprs: 63
; NumVgprs: 16
; ScratchSize: 0
; MemoryBound: 1
; FloatMode: 240
; IeeeMode: 1
; LDSByteSize: 0 bytes/workgroup (compile time only)
; SGPRBlocks: 7
; VGPRBlocks: 3
; NumSGPRsForWavesPerEU: 63
; NumVGPRsForWavesPerEU: 16
; Occupancy: 10
; WaveLimiterHint : 0
; COMPUTE_PGM_RSRC2:SCRATCH_EN: 0
; COMPUTE_PGM_RSRC2:USER_SGPR: 6
; COMPUTE_PGM_RSRC2:TRAP_HANDLER: 0
; COMPUTE_PGM_RSRC2:TGID_X_EN: 1
; COMPUTE_PGM_RSRC2:TGID_Y_EN: 0
; COMPUTE_PGM_RSRC2:TGID_Z_EN: 0
; COMPUTE_PGM_RSRC2:TIDIG_COMP_CNT: 0
	.section	.text._ZN2at6native32elementwise_kernel_manual_unrollILi128ELi4EZNS0_15gpu_kernel_implINS0_13BinaryFunctorIiibNS0_12_GLOBAL__N_116CompareEqFunctorIiEEEEEEvRNS_18TensorIteratorBaseERKT_EUlibE0_EEviT1_,"axG",@progbits,_ZN2at6native32elementwise_kernel_manual_unrollILi128ELi4EZNS0_15gpu_kernel_implINS0_13BinaryFunctorIiibNS0_12_GLOBAL__N_116CompareEqFunctorIiEEEEEEvRNS_18TensorIteratorBaseERKT_EUlibE0_EEviT1_,comdat
	.globl	_ZN2at6native32elementwise_kernel_manual_unrollILi128ELi4EZNS0_15gpu_kernel_implINS0_13BinaryFunctorIiibNS0_12_GLOBAL__N_116CompareEqFunctorIiEEEEEEvRNS_18TensorIteratorBaseERKT_EUlibE0_EEviT1_ ; -- Begin function _ZN2at6native32elementwise_kernel_manual_unrollILi128ELi4EZNS0_15gpu_kernel_implINS0_13BinaryFunctorIiibNS0_12_GLOBAL__N_116CompareEqFunctorIiEEEEEEvRNS_18TensorIteratorBaseERKT_EUlibE0_EEviT1_
	.p2align	8
	.type	_ZN2at6native32elementwise_kernel_manual_unrollILi128ELi4EZNS0_15gpu_kernel_implINS0_13BinaryFunctorIiibNS0_12_GLOBAL__N_116CompareEqFunctorIiEEEEEEvRNS_18TensorIteratorBaseERKT_EUlibE0_EEviT1_,@function
_ZN2at6native32elementwise_kernel_manual_unrollILi128ELi4EZNS0_15gpu_kernel_implINS0_13BinaryFunctorIiibNS0_12_GLOBAL__N_116CompareEqFunctorIiEEEEEEvRNS_18TensorIteratorBaseERKT_EUlibE0_EEviT1_: ; @_ZN2at6native32elementwise_kernel_manual_unrollILi128ELi4EZNS0_15gpu_kernel_implINS0_13BinaryFunctorIiibNS0_12_GLOBAL__N_116CompareEqFunctorIiEEEEEEvRNS_18TensorIteratorBaseERKT_EUlibE0_EEviT1_
; %bb.0:
	s_load_dword s70, s[4:5], 0x0
	s_load_dword s33, s[4:5], 0x8
	s_add_u32 s2, s4, 8
	s_addc_u32 s3, s5, 0
	v_lshl_or_b32 v8, s6, 9, v0
	v_or_b32_e32 v23, 0x180, v8
	s_waitcnt lgkmcnt(0)
	s_add_i32 s72, s33, -1
	s_cmp_gt_u32 s72, 1
	v_cmp_le_i32_e32 vcc, s70, v23
	s_cselect_b64 s[24:25], -1, 0
	s_mov_b64 s[6:7], 0
	s_mov_b64 s[12:13], 0
	s_and_saveexec_b64 s[0:1], vcc
	s_xor_b64 s[26:27], exec, s[0:1]
	s_cbranch_execz .LBB39_1557
; %bb.1:
	s_cmp_lg_u32 s33, 0
	s_load_dwordx4 s[16:19], s[2:3], 0x4
	s_load_dwordx2 s[34:35], s[2:3], 0x14
	s_load_dwordx8 s[8:15], s[2:3], 0x188
	s_load_dwordx4 s[20:23], s[2:3], 0xc4
	s_load_dwordx2 s[30:31], s[2:3], 0xd4
	s_cselect_b64 s[38:39], -1, 0
	s_min_u32 s75, s72, 15
	s_cmp_gt_u32 s33, 1
	s_cselect_b64 s[36:37], -1, 0
	s_waitcnt lgkmcnt(0)
	s_lshr_b32 s74, s15, 8
	s_lshr_b32 s73, s15, 16
	s_cmp_eq_u32 s14, 0
	s_cselect_b64 s[28:29], -1, 0
	v_cmp_gt_i32_e32 vcc, s70, v8
	s_mov_b64 s[0:1], -1
	s_mov_b64 s[50:51], 0
	s_mov_b64 s[44:45], 0
	;; [unrolled: 1-line block ×4, first 2 shown]
	s_and_saveexec_b64 s[46:47], vcc
	s_cbranch_execz .LBB39_386
; %bb.2:
	s_andn2_b64 vcc, exec, s[24:25]
	s_cbranch_vccnz .LBB39_8
; %bb.3:
	s_andn2_b64 vcc, exec, s[38:39]
	s_cbranch_vccnz .LBB39_9
; %bb.4:
	s_add_i32 s0, s75, 1
	s_and_b32 s14, s0, 30
	s_add_u32 s0, s2, 0xffffffe8
	s_addc_u32 s1, s3, -1
	v_mov_b32_e32 v2, 0
	v_mov_b32_e32 v4, 0
	;; [unrolled: 1-line block ×4, first 2 shown]
.LBB39_5:                               ; =>This Inner Loop Header: Depth=1
	s_load_dwordx4 s[40:43], s[0:1], 0x1c
	s_load_dwordx2 s[44:45], s[0:1], 0x2c
	s_load_dwordx2 s[48:49], s[0:1], 0xec
	s_load_dwordx4 s[52:55], s[0:1], 0xdc
	s_add_u32 s0, s0, 24
	s_waitcnt lgkmcnt(0)
	v_mul_hi_u32 v3, s41, v1
	s_addc_u32 s1, s1, 0
	s_add_i32 s14, s14, -2
	s_cmp_lg_u32 s14, 0
	v_add_u32_e32 v3, v1, v3
	v_lshrrev_b32_e32 v3, s42, v3
	v_mul_lo_u32 v5, v3, s40
	v_mul_hi_u32 v6, s44, v3
	v_sub_u32_e32 v5, v1, v5
	v_add_u32_e32 v1, v3, v6
	v_lshrrev_b32_e32 v1, s45, v1
	v_mul_lo_u32 v9, v1, s43
	v_mul_lo_u32 v6, v5, s52
	;; [unrolled: 1-line block ×4, first 2 shown]
	v_sub_u32_e32 v3, v3, v9
	v_mul_lo_u32 v9, v3, s55
	v_mul_lo_u32 v10, v3, s48
	;; [unrolled: 1-line block ×3, first 2 shown]
	v_add3_u32 v0, v6, v0, v9
	v_add3_u32 v4, v7, v4, v10
	;; [unrolled: 1-line block ×3, first 2 shown]
	s_cbranch_scc1 .LBB39_5
; %bb.6:
	s_bitcmp1_b32 s75, 0
	s_cselect_b64 s[40:41], -1, 0
	s_and_b64 vcc, exec, s[40:41]
	s_cbranch_vccnz .LBB39_10
; %bb.7:
	s_load_dwordx2 s[40:41], s[0:1], 0x1c
	s_load_dword s14, s[0:1], 0x24
	s_load_dwordx2 s[42:43], s[0:1], 0xdc
	s_waitcnt lgkmcnt(0)
	v_mul_hi_u32 v3, s41, v1
	v_add_u32_e32 v3, v1, v3
	v_lshrrev_b32_e32 v3, s14, v3
	v_mul_lo_u32 v3, v3, s40
	s_load_dword s14, s[0:1], 0xe4
	v_sub_u32_e32 v3, v1, v3
	v_mad_u64_u32 v[0:1], s[0:1], v3, s42, v[0:1]
	v_mad_u64_u32 v[4:5], s[0:1], v3, s43, v[4:5]
	s_waitcnt lgkmcnt(0)
	v_mad_u64_u32 v[2:3], s[0:1], v3, s14, v[2:3]
	s_cbranch_execz .LBB39_11
	s_branch .LBB39_13
.LBB39_8:
                                        ; implicit-def: $vgpr0
                                        ; implicit-def: $vgpr4
                                        ; implicit-def: $vgpr2
	s_andn2_b64 vcc, exec, s[0:1]
	s_cbranch_vccz .LBB39_11
	s_branch .LBB39_13
.LBB39_9:
	v_mov_b32_e32 v0, 0
	v_mov_b32_e32 v4, 0
	v_mov_b32_e32 v2, 0
.LBB39_10:
	s_cbranch_execnz .LBB39_13
.LBB39_11:
	v_mul_hi_u32 v0, s17, v8
	s_andn2_b64 vcc, exec, s[36:37]
	v_add_u32_e32 v0, v8, v0
	v_lshrrev_b32_e32 v1, s18, v0
	v_mul_lo_u32 v0, v1, s16
	v_sub_u32_e32 v2, v8, v0
	v_mul_lo_u32 v0, v2, s20
	v_mul_lo_u32 v4, v2, s21
	;; [unrolled: 1-line block ×3, first 2 shown]
	s_cbranch_vccnz .LBB39_13
; %bb.12:
	v_mul_hi_u32 v3, s34, v1
	v_add_u32_e32 v3, v1, v3
	v_lshrrev_b32_e32 v3, s35, v3
	v_mul_lo_u32 v3, v3, s19
	v_sub_u32_e32 v3, v1, v3
	v_mad_u64_u32 v[0:1], s[0:1], v3, s23, v[0:1]
	v_mad_u64_u32 v[4:5], s[0:1], v3, s30, v[4:5]
	;; [unrolled: 1-line block ×3, first 2 shown]
.LBB39_13:
	v_mov_b32_e32 v1, s11
	s_and_b32 s14, s74, 0xff
	v_add_co_u32_e32 v3, vcc, s10, v4
	s_cmp_lt_i32 s14, 11
	v_addc_co_u32_e32 v4, vcc, 0, v1, vcc
	s_cbranch_scc1 .LBB39_20
; %bb.14:
	s_and_b32 s42, 0xffff, s14
	s_cmp_gt_i32 s42, 25
	s_cbranch_scc0 .LBB39_29
; %bb.15:
	s_cmp_gt_i32 s42, 28
	s_cbranch_scc0 .LBB39_39
; %bb.16:
	;; [unrolled: 3-line block ×4, first 2 shown]
	s_cmp_eq_u32 s42, 46
	s_mov_b64 s[40:41], 0
	s_cbranch_scc0 .LBB39_48
; %bb.19:
	global_load_dword v1, v[3:4], off
	s_mov_b64 s[0:1], -1
	s_mov_b64 s[44:45], 0
	s_waitcnt vmcnt(0)
	v_lshlrev_b32_e32 v1, 16, v1
	v_cvt_i32_f32_e32 v5, v1
	s_branch .LBB39_50
.LBB39_20:
	s_mov_b64 s[44:45], 0
                                        ; implicit-def: $vgpr5
	s_mov_b64 s[0:1], 0
	s_cbranch_execnz .LBB39_112
.LBB39_21:
	s_andn2_b64 vcc, exec, s[0:1]
	s_cbranch_vccnz .LBB39_159
.LBB39_22:
	v_mov_b32_e32 v3, s13
	s_and_b32 s14, s73, 0xff
	v_add_co_u32_e32 v1, vcc, s12, v2
	s_cmp_lt_i32 s14, 11
	v_addc_co_u32_e32 v2, vcc, 0, v3, vcc
	s_cbranch_scc1 .LBB39_30
; %bb.23:
	s_and_b32 s48, 0xffff, s14
	s_cmp_gt_i32 s48, 25
	s_cbranch_scc0 .LBB39_40
; %bb.24:
	s_cmp_gt_i32 s48, 28
	s_cbranch_scc0 .LBB39_43
; %bb.25:
	;; [unrolled: 3-line block ×4, first 2 shown]
	s_cmp_eq_u32 s48, 46
	s_mov_b64 s[40:41], 0
	s_cbranch_scc0 .LBB39_160
; %bb.28:
	global_load_dword v3, v[1:2], off
	s_mov_b64 s[0:1], -1
	s_mov_b64 s[42:43], 0
	s_waitcnt vmcnt(0)
	v_lshlrev_b32_e32 v3, 16, v3
	v_cvt_i32_f32_e32 v3, v3
	s_branch .LBB39_162
.LBB39_29:
	s_mov_b64 s[44:45], 0
	s_mov_b64 s[0:1], 0
                                        ; implicit-def: $vgpr5
	s_cbranch_execnz .LBB39_79
	s_branch .LBB39_111
.LBB39_30:
	s_mov_b64 s[42:43], 0
                                        ; implicit-def: $vgpr3
	s_mov_b64 s[0:1], 0
	s_cbranch_execnz .LBB39_335
.LBB39_31:
	s_andn2_b64 vcc, exec, s[0:1]
	s_cbranch_vccnz .LBB39_383
.LBB39_32:
	s_waitcnt vmcnt(0)
	v_cmp_ne_u32_e32 vcc, v5, v3
	s_xor_b64 s[40:41], s[28:29], vcc
	v_mov_b32_e32 v1, s9
	s_and_b32 s14, s15, 0xff
	v_add_co_u32_e32 v0, vcc, s8, v0
	s_cmp_lt_i32 s14, 11
	v_addc_co_u32_e32 v1, vcc, 0, v1, vcc
	s_cbranch_scc1 .LBB39_41
; %bb.33:
	s_and_b32 s56, 0xffff, s14
	s_cmp_gt_i32 s56, 25
	s_cbranch_scc0 .LBB39_44
; %bb.34:
	s_cmp_gt_i32 s56, 28
	s_cbranch_scc0 .LBB39_47
; %bb.35:
	;; [unrolled: 3-line block ×4, first 2 shown]
	s_mov_b64 s[52:53], 0
	s_mov_b64 s[0:1], -1
	s_cmp_eq_u32 s56, 46
	s_mov_b64 s[48:49], 0
	s_cbranch_scc0 .LBB39_166
; %bb.38:
	v_cndmask_b32_e64 v2, 0, 1.0, s[40:41]
	v_bfe_u32 v3, v2, 16, 1
	s_movk_i32 s0, 0x7fff
	v_add3_u32 v2, v2, v3, s0
	v_lshrrev_b32_e32 v2, 16, v2
	global_store_dword v[0:1], v2, off
	s_mov_b64 s[48:49], -1
	s_mov_b64 s[0:1], 0
	s_branch .LBB39_166
.LBB39_39:
	s_mov_b64 s[40:41], -1
	s_mov_b64 s[44:45], 0
	s_mov_b64 s[0:1], 0
                                        ; implicit-def: $vgpr5
	s_branch .LBB39_62
.LBB39_40:
	s_mov_b64 s[40:41], -1
	s_mov_b64 s[42:43], 0
	s_mov_b64 s[0:1], 0
                                        ; implicit-def: $vgpr3
	s_branch .LBB39_301
.LBB39_41:
	s_mov_b64 s[52:53], -1
	s_mov_b64 s[0:1], 0
	s_mov_b64 s[48:49], 0
	s_branch .LBB39_235
.LBB39_42:
	s_mov_b64 s[40:41], -1
	s_mov_b64 s[44:45], 0
	s_mov_b64 s[0:1], 0
                                        ; implicit-def: $vgpr5
	s_branch .LBB39_57
.LBB39_43:
	s_mov_b64 s[40:41], -1
	s_mov_b64 s[42:43], 0
	s_mov_b64 s[0:1], 0
                                        ; implicit-def: $vgpr3
	s_branch .LBB39_284
.LBB39_44:
	s_mov_b64 s[52:53], -1
	s_mov_b64 s[0:1], 0
	s_mov_b64 s[48:49], 0
	s_branch .LBB39_193
.LBB39_45:
	s_mov_b64 s[40:41], -1
	s_mov_b64 s[44:45], 0
	s_branch .LBB39_49
.LBB39_46:
	s_mov_b64 s[40:41], -1
	s_mov_b64 s[42:43], 0
	s_mov_b64 s[0:1], 0
                                        ; implicit-def: $vgpr3
	s_branch .LBB39_279
.LBB39_47:
	s_mov_b64 s[52:53], -1
	s_mov_b64 s[0:1], 0
	s_mov_b64 s[48:49], 0
	s_branch .LBB39_176
.LBB39_48:
	s_mov_b64 s[44:45], -1
.LBB39_49:
	s_mov_b64 s[0:1], 0
                                        ; implicit-def: $vgpr5
.LBB39_50:
	s_and_b64 vcc, exec, s[40:41]
	s_cbranch_vccz .LBB39_56
; %bb.51:
	s_cmp_eq_u32 s42, 44
	s_cbranch_scc0 .LBB39_55
; %bb.52:
	global_load_ubyte v1, v[3:4], off
	s_mov_b64 s[0:1], -1
	s_mov_b64 s[44:45], 0
	s_waitcnt vmcnt(0)
	v_lshlrev_b32_e32 v5, 23, v1
	v_cvt_i32_f32_e32 v5, v5
	v_cmp_ne_u32_e32 vcc, 0, v1
	v_cndmask_b32_e32 v5, 0, v5, vcc
	s_branch .LBB39_56
.LBB39_53:
	s_mov_b64 s[40:41], -1
	s_mov_b64 s[42:43], 0
	s_branch .LBB39_161
.LBB39_54:
	s_mov_b64 s[52:53], -1
	s_mov_b64 s[0:1], 0
	s_mov_b64 s[48:49], 0
	s_branch .LBB39_172
.LBB39_55:
	s_mov_b64 s[44:45], -1
                                        ; implicit-def: $vgpr5
.LBB39_56:
	s_mov_b64 s[40:41], 0
.LBB39_57:
	s_and_b64 vcc, exec, s[40:41]
	s_cbranch_vccz .LBB39_61
; %bb.58:
	s_cmp_eq_u32 s42, 29
	s_cbranch_scc0 .LBB39_60
; %bb.59:
	global_load_dword v5, v[3:4], off
	s_mov_b64 s[0:1], -1
	s_mov_b64 s[44:45], 0
	s_branch .LBB39_61
.LBB39_60:
	s_mov_b64 s[44:45], -1
                                        ; implicit-def: $vgpr5
.LBB39_61:
	s_mov_b64 s[40:41], 0
.LBB39_62:
	s_and_b64 vcc, exec, s[40:41]
	s_cbranch_vccz .LBB39_78
; %bb.63:
	s_cmp_lt_i32 s42, 27
	s_cbranch_scc1 .LBB39_66
; %bb.64:
	s_cmp_gt_i32 s42, 27
	s_cbranch_scc0 .LBB39_67
; %bb.65:
	global_load_dword v5, v[3:4], off
	s_mov_b64 s[0:1], 0
	s_branch .LBB39_68
.LBB39_66:
	s_mov_b64 s[0:1], -1
                                        ; implicit-def: $vgpr5
	s_branch .LBB39_71
.LBB39_67:
	s_mov_b64 s[0:1], -1
                                        ; implicit-def: $vgpr5
.LBB39_68:
	s_andn2_b64 vcc, exec, s[0:1]
	s_cbranch_vccnz .LBB39_70
; %bb.69:
	global_load_ushort v5, v[3:4], off
.LBB39_70:
	s_mov_b64 s[0:1], 0
.LBB39_71:
	s_andn2_b64 vcc, exec, s[0:1]
	s_cbranch_vccnz .LBB39_77
; %bb.72:
	global_load_ubyte v1, v[3:4], off
	s_movk_i32 s0, 0x7f
	s_mov_b64 s[40:41], 0
	s_waitcnt vmcnt(0)
	v_cmp_lt_i16_e32 vcc, s0, v1
	s_and_saveexec_b64 s[0:1], vcc
	s_xor_b64 s[0:1], exec, s[0:1]
	s_cbranch_execz .LBB39_88
; %bb.73:
	s_movk_i32 s40, 0x80
	v_cmp_ne_u16_e32 vcc, s40, v1
	s_and_b64 s[40:41], vcc, exec
	s_andn2_saveexec_b64 s[0:1], s[0:1]
	s_cbranch_execnz .LBB39_89
.LBB39_74:
	s_or_b64 exec, exec, s[0:1]
	v_mov_b32_e32 v5, 0
	s_and_saveexec_b64 s[0:1], s[40:41]
	s_cbranch_execz .LBB39_76
.LBB39_75:
	v_lshlrev_b32_e32 v5, 24, v1
	v_and_b32_e32 v1, 0xffff, v1
	v_and_b32_e32 v6, 7, v1
	v_ffbh_u32_e32 v9, v6
	v_min_u32_e32 v9, 32, v9
	v_subrev_u32_e32 v10, 28, v9
	v_bfe_u32 v7, v1, 3, 4
	v_lshlrev_b32_e32 v1, v10, v1
	v_sub_u32_e32 v9, 29, v9
	v_and_b32_e32 v1, 7, v1
	v_cmp_eq_u32_e32 vcc, 0, v7
	v_cndmask_b32_e32 v7, v7, v9, vcc
	v_cndmask_b32_e32 v1, v6, v1, vcc
	v_mov_b32_e32 v6, 0x3b800000
	v_lshlrev_b32_e32 v1, 20, v1
	v_and_b32_e32 v5, 0x80000000, v5
	v_lshl_add_u32 v6, v7, 23, v6
	v_or3_b32 v1, v5, v6, v1
	v_cvt_i32_f32_e32 v5, v1
.LBB39_76:
	s_or_b64 exec, exec, s[0:1]
.LBB39_77:
	s_mov_b64 s[0:1], -1
.LBB39_78:
	s_branch .LBB39_111
.LBB39_79:
	s_cmp_gt_i32 s42, 22
	s_cbranch_scc0 .LBB39_87
; %bb.80:
	s_cmp_lt_i32 s42, 24
	s_cbranch_scc1 .LBB39_90
; %bb.81:
	s_cmp_gt_i32 s42, 24
	s_cbranch_scc0 .LBB39_91
; %bb.82:
	global_load_ubyte v1, v[3:4], off
	s_movk_i32 s0, 0x7f
	s_mov_b64 s[40:41], 0
	s_waitcnt vmcnt(0)
	v_cmp_lt_i16_e32 vcc, s0, v1
	s_and_saveexec_b64 s[0:1], vcc
	s_xor_b64 s[0:1], exec, s[0:1]
	s_cbranch_execz .LBB39_103
; %bb.83:
	s_movk_i32 s40, 0x80
	v_cmp_ne_u16_e32 vcc, s40, v1
	s_and_b64 s[40:41], vcc, exec
	s_andn2_saveexec_b64 s[0:1], s[0:1]
	s_cbranch_execnz .LBB39_104
.LBB39_84:
	s_or_b64 exec, exec, s[0:1]
	v_mov_b32_e32 v5, 0
	s_and_saveexec_b64 s[0:1], s[40:41]
	s_cbranch_execz .LBB39_86
.LBB39_85:
	v_lshlrev_b32_e32 v5, 24, v1
	v_and_b32_e32 v1, 0xffff, v1
	v_and_b32_e32 v6, 3, v1
	v_ffbh_u32_e32 v9, v6
	v_min_u32_e32 v9, 32, v9
	v_subrev_u32_e32 v10, 29, v9
	v_bfe_u32 v7, v1, 2, 5
	v_lshlrev_b32_e32 v1, v10, v1
	v_sub_u32_e32 v9, 30, v9
	v_and_b32_e32 v1, 3, v1
	v_cmp_eq_u32_e32 vcc, 0, v7
	v_cndmask_b32_e32 v7, v7, v9, vcc
	v_cndmask_b32_e32 v1, v6, v1, vcc
	v_mov_b32_e32 v6, 0x37800000
	v_lshlrev_b32_e32 v1, 21, v1
	v_and_b32_e32 v5, 0x80000000, v5
	v_lshl_add_u32 v6, v7, 23, v6
	v_or3_b32 v1, v5, v6, v1
	v_cvt_i32_f32_e32 v5, v1
.LBB39_86:
	s_or_b64 exec, exec, s[0:1]
	s_mov_b64 s[0:1], 0
	s_branch .LBB39_92
.LBB39_87:
	s_mov_b64 s[40:41], -1
                                        ; implicit-def: $vgpr5
	s_branch .LBB39_98
.LBB39_88:
	s_andn2_saveexec_b64 s[0:1], s[0:1]
	s_cbranch_execz .LBB39_74
.LBB39_89:
	v_cmp_ne_u16_e32 vcc, 0, v1
	s_andn2_b64 s[40:41], s[40:41], exec
	s_and_b64 s[48:49], vcc, exec
	s_or_b64 s[40:41], s[40:41], s[48:49]
	s_or_b64 exec, exec, s[0:1]
	v_mov_b32_e32 v5, 0
	s_and_saveexec_b64 s[0:1], s[40:41]
	s_cbranch_execnz .LBB39_75
	s_branch .LBB39_76
.LBB39_90:
	s_mov_b64 s[0:1], -1
                                        ; implicit-def: $vgpr5
	s_branch .LBB39_95
.LBB39_91:
	s_mov_b64 s[0:1], -1
                                        ; implicit-def: $vgpr5
.LBB39_92:
	s_and_b64 vcc, exec, s[0:1]
	s_cbranch_vccz .LBB39_94
; %bb.93:
	global_load_ubyte v1, v[3:4], off
	s_mov_b32 s0, 0x7f800000
	s_waitcnt vmcnt(0)
	v_lshlrev_b32_e32 v1, 24, v1
	v_and_b32_e32 v5, 0x7f000000, v1
	v_ffbh_u32_e32 v6, v5
	v_min_u32_e32 v6, 32, v6
	v_sub_u32_e64 v6, v6, 4 clamp
	v_lshlrev_b32_e32 v9, v6, v5
	v_lshlrev_b32_e32 v6, 23, v6
	v_lshrrev_b32_e32 v9, 4, v9
	v_add_u32_e32 v7, 0x1000000, v5
	v_sub_u32_e32 v6, v9, v6
	v_ashrrev_i32_e32 v7, 8, v7
	v_add_u32_e32 v6, 0x3c000000, v6
	v_and_or_b32 v6, v7, s0, v6
	v_cmp_ne_u32_e32 vcc, 0, v5
	v_cndmask_b32_e32 v5, 0, v6, vcc
	s_brev_b32 s0, 1
	v_and_or_b32 v1, v1, s0, v5
	v_cvt_i32_f32_e32 v5, v1
.LBB39_94:
	s_mov_b64 s[0:1], 0
.LBB39_95:
	s_andn2_b64 vcc, exec, s[0:1]
	s_cbranch_vccnz .LBB39_97
; %bb.96:
	global_load_ubyte v1, v[3:4], off
	s_movk_i32 s0, 0x7f00
	s_brev_b32 s1, 16
	s_waitcnt vmcnt(0)
	v_lshlrev_b16_e32 v5, 8, v1
	v_lshlrev_b32_e32 v1, 25, v1
	v_lshrrev_b32_e32 v6, 4, v1
	v_and_or_b32 v7, v5, s0, 0.5
	v_or_b32_e32 v6, 0x70000000, v6
	v_add_f32_e32 v7, -0.5, v7
	v_mul_f32_e32 v6, 0x7800000, v6
	v_cmp_gt_u32_e32 vcc, s1, v1
	v_bfe_i32 v5, v5, 0, 16
	v_cndmask_b32_e32 v1, v6, v7, vcc
	s_brev_b32 s0, 1
	v_and_or_b32 v1, v5, s0, v1
	v_cvt_i32_f32_e32 v5, v1
.LBB39_97:
	s_mov_b64 s[40:41], 0
	s_mov_b64 s[0:1], -1
.LBB39_98:
	s_andn2_b64 vcc, exec, s[40:41]
	s_cbranch_vccnz .LBB39_111
; %bb.99:
	s_cmp_gt_i32 s42, 14
	s_cbranch_scc0 .LBB39_102
; %bb.100:
	s_cmp_eq_u32 s42, 15
	s_cbranch_scc0 .LBB39_105
; %bb.101:
	global_load_ushort v1, v[3:4], off
	s_mov_b64 s[0:1], -1
	s_mov_b64 s[44:45], 0
	s_waitcnt vmcnt(0)
	v_lshlrev_b32_e32 v1, 16, v1
	v_cvt_i32_f32_e32 v5, v1
	s_branch .LBB39_106
.LBB39_102:
	s_mov_b64 s[40:41], -1
                                        ; implicit-def: $vgpr5
	s_branch .LBB39_107
.LBB39_103:
	s_andn2_saveexec_b64 s[0:1], s[0:1]
	s_cbranch_execz .LBB39_84
.LBB39_104:
	v_cmp_ne_u16_e32 vcc, 0, v1
	s_andn2_b64 s[40:41], s[40:41], exec
	s_and_b64 s[48:49], vcc, exec
	s_or_b64 s[40:41], s[40:41], s[48:49]
	s_or_b64 exec, exec, s[0:1]
	v_mov_b32_e32 v5, 0
	s_and_saveexec_b64 s[0:1], s[40:41]
	s_cbranch_execnz .LBB39_85
	s_branch .LBB39_86
.LBB39_105:
	s_mov_b64 s[44:45], -1
                                        ; implicit-def: $vgpr5
.LBB39_106:
	s_mov_b64 s[40:41], 0
.LBB39_107:
	s_and_b64 vcc, exec, s[40:41]
	s_cbranch_vccz .LBB39_111
; %bb.108:
	s_cmp_eq_u32 s42, 11
	s_cbranch_scc0 .LBB39_110
; %bb.109:
	global_load_ubyte v1, v[3:4], off
	s_mov_b64 s[0:1], -1
	s_mov_b64 s[44:45], 0
	s_waitcnt vmcnt(0)
	v_cmp_ne_u16_e32 vcc, 0, v1
	v_cndmask_b32_e64 v5, 0, 1, vcc
	s_branch .LBB39_111
.LBB39_110:
	s_mov_b64 s[44:45], -1
                                        ; implicit-def: $vgpr5
.LBB39_111:
	s_branch .LBB39_21
.LBB39_112:
	s_and_b32 s14, 0xffff, s14
	s_cmp_lt_i32 s14, 5
	s_cbranch_scc1 .LBB39_117
; %bb.113:
	s_cmp_lt_i32 s14, 8
	s_cbranch_scc1 .LBB39_118
; %bb.114:
	s_cmp_lt_i32 s14, 9
	s_cbranch_scc1 .LBB39_119
; %bb.115:
	s_cmp_gt_i32 s14, 9
	s_cbranch_scc0 .LBB39_120
; %bb.116:
	global_load_dwordx2 v[5:6], v[3:4], off
	s_mov_b64 s[0:1], 0
	s_waitcnt vmcnt(0)
	v_cvt_i32_f64_e32 v5, v[5:6]
	s_branch .LBB39_121
.LBB39_117:
                                        ; implicit-def: $vgpr5
	s_branch .LBB39_139
.LBB39_118:
	s_mov_b64 s[0:1], -1
                                        ; implicit-def: $vgpr5
	s_branch .LBB39_127
.LBB39_119:
	s_mov_b64 s[0:1], -1
                                        ; implicit-def: $vgpr5
	s_branch .LBB39_124
.LBB39_120:
	s_mov_b64 s[0:1], -1
                                        ; implicit-def: $vgpr5
.LBB39_121:
	s_andn2_b64 vcc, exec, s[0:1]
	s_cbranch_vccnz .LBB39_123
; %bb.122:
	global_load_dword v1, v[3:4], off
	s_waitcnt vmcnt(0)
	v_cvt_i32_f32_e32 v5, v1
.LBB39_123:
	s_mov_b64 s[0:1], 0
.LBB39_124:
	s_andn2_b64 vcc, exec, s[0:1]
	s_cbranch_vccnz .LBB39_126
; %bb.125:
	global_load_dword v1, v[3:4], off
	s_waitcnt vmcnt(0)
	v_cvt_f32_f16_e32 v1, v1
	v_cvt_i32_f32_e32 v5, v1
.LBB39_126:
	s_mov_b64 s[0:1], 0
.LBB39_127:
	s_andn2_b64 vcc, exec, s[0:1]
	s_cbranch_vccnz .LBB39_138
; %bb.128:
	s_cmp_lt_i32 s14, 6
	s_cbranch_scc1 .LBB39_131
; %bb.129:
	s_cmp_gt_i32 s14, 6
	s_cbranch_scc0 .LBB39_132
; %bb.130:
	global_load_dwordx2 v[5:6], v[3:4], off
	s_mov_b64 s[0:1], 0
	s_waitcnt vmcnt(0)
	v_cvt_i32_f64_e32 v5, v[5:6]
	s_branch .LBB39_133
.LBB39_131:
	s_mov_b64 s[0:1], -1
                                        ; implicit-def: $vgpr5
	s_branch .LBB39_136
.LBB39_132:
	s_mov_b64 s[0:1], -1
                                        ; implicit-def: $vgpr5
.LBB39_133:
	s_andn2_b64 vcc, exec, s[0:1]
	s_cbranch_vccnz .LBB39_135
; %bb.134:
	global_load_dword v1, v[3:4], off
	s_waitcnt vmcnt(0)
	v_cvt_i32_f32_e32 v5, v1
.LBB39_135:
	s_mov_b64 s[0:1], 0
.LBB39_136:
	s_andn2_b64 vcc, exec, s[0:1]
	s_cbranch_vccnz .LBB39_138
; %bb.137:
	global_load_ushort v1, v[3:4], off
	s_waitcnt vmcnt(0)
	v_cvt_f32_f16_e32 v1, v1
	v_cvt_i32_f32_e32 v5, v1
.LBB39_138:
	s_cbranch_execnz .LBB39_158
.LBB39_139:
	s_cmp_lt_i32 s14, 2
	s_cbranch_scc1 .LBB39_143
; %bb.140:
	s_cmp_lt_i32 s14, 3
	s_cbranch_scc1 .LBB39_144
; %bb.141:
	s_cmp_gt_i32 s14, 3
	s_cbranch_scc0 .LBB39_145
; %bb.142:
	global_load_dword v5, v[3:4], off
	s_mov_b64 s[0:1], 0
	s_branch .LBB39_146
.LBB39_143:
	s_mov_b64 s[0:1], -1
                                        ; implicit-def: $vgpr5
	s_branch .LBB39_152
.LBB39_144:
	s_mov_b64 s[0:1], -1
                                        ; implicit-def: $vgpr5
	s_branch .LBB39_149
.LBB39_145:
	s_mov_b64 s[0:1], -1
                                        ; implicit-def: $vgpr5
.LBB39_146:
	s_andn2_b64 vcc, exec, s[0:1]
	s_cbranch_vccnz .LBB39_148
; %bb.147:
	global_load_dword v5, v[3:4], off
.LBB39_148:
	s_mov_b64 s[0:1], 0
.LBB39_149:
	s_andn2_b64 vcc, exec, s[0:1]
	s_cbranch_vccnz .LBB39_151
; %bb.150:
	global_load_sshort v5, v[3:4], off
.LBB39_151:
	s_mov_b64 s[0:1], 0
.LBB39_152:
	s_andn2_b64 vcc, exec, s[0:1]
	s_cbranch_vccnz .LBB39_158
; %bb.153:
	s_cmp_gt_i32 s14, 0
	s_cbranch_scc0 .LBB39_155
; %bb.154:
	global_load_sbyte v5, v[3:4], off
	s_mov_b64 s[0:1], 0
	s_branch .LBB39_156
.LBB39_155:
	s_mov_b64 s[0:1], -1
                                        ; implicit-def: $vgpr5
.LBB39_156:
	s_andn2_b64 vcc, exec, s[0:1]
	s_cbranch_vccnz .LBB39_158
; %bb.157:
	global_load_ubyte v5, v[3:4], off
.LBB39_158:
	s_branch .LBB39_22
.LBB39_159:
	s_mov_b64 s[0:1], 0
	s_mov_b64 s[42:43], 0
	s_branch .LBB39_384
.LBB39_160:
	s_mov_b64 s[42:43], -1
.LBB39_161:
	s_mov_b64 s[0:1], 0
                                        ; implicit-def: $vgpr3
.LBB39_162:
	s_and_b64 vcc, exec, s[40:41]
	s_cbranch_vccz .LBB39_278
; %bb.163:
	s_cmp_eq_u32 s48, 44
	s_cbranch_scc0 .LBB39_277
; %bb.164:
	global_load_ubyte v3, v[1:2], off
	s_mov_b64 s[0:1], -1
	s_mov_b64 s[42:43], 0
	s_waitcnt vmcnt(0)
	v_lshlrev_b32_e32 v4, 23, v3
	v_cvt_i32_f32_e32 v4, v4
	v_cmp_ne_u32_e32 vcc, 0, v3
	v_cndmask_b32_e32 v3, 0, v4, vcc
	s_branch .LBB39_278
.LBB39_165:
	s_mov_b64 s[52:53], -1
	s_mov_b64 s[0:1], 0
	s_mov_b64 s[48:49], 0
.LBB39_166:
	s_and_b64 vcc, exec, s[52:53]
	s_cbranch_vccz .LBB39_171
; %bb.167:
	s_cmp_eq_u32 s56, 44
	s_mov_b64 s[0:1], -1
	s_cbranch_scc0 .LBB39_171
; %bb.168:
	v_cndmask_b32_e64 v3, 0, 1.0, s[40:41]
	v_lshrrev_b32_e32 v2, 23, v3
	s_movk_i32 s0, 0xff
	v_cmp_ne_u32_e32 vcc, s0, v2
	v_mov_b32_e32 v4, 0xff
	s_and_saveexec_b64 s[48:49], vcc
; %bb.169:
	s_mov_b32 s0, 0x3fffff
	v_and_b32_e32 v4, 0x400000, v3
	v_and_or_b32 v3, v3, s0, v2
	v_cmp_ne_u32_e32 vcc, 0, v4
	v_cmp_ne_u32_e64 s[0:1], 0, v3
	s_and_b64 s[0:1], vcc, s[0:1]
	v_cndmask_b32_e64 v3, 0, 1, s[0:1]
	v_add_u32_e32 v4, v2, v3
; %bb.170:
	s_or_b64 exec, exec, s[48:49]
	s_mov_b64 s[48:49], -1
	s_mov_b64 s[0:1], 0
	global_store_byte v[0:1], v4, off
.LBB39_171:
	s_mov_b64 s[52:53], 0
.LBB39_172:
	s_and_b64 vcc, exec, s[52:53]
	s_cbranch_vccz .LBB39_175
; %bb.173:
	s_cmp_eq_u32 s56, 29
	s_mov_b64 s[0:1], -1
	s_cbranch_scc0 .LBB39_175
; %bb.174:
	s_mov_b32 s0, 0
	v_cndmask_b32_e64 v2, 0, 1, s[40:41]
	v_mov_b32_e32 v3, s0
	global_store_dwordx2 v[0:1], v[2:3], off
	s_mov_b64 s[48:49], -1
	s_mov_b64 s[0:1], 0
.LBB39_175:
	s_mov_b64 s[52:53], 0
.LBB39_176:
	s_and_b64 vcc, exec, s[52:53]
	s_cbranch_vccz .LBB39_192
; %bb.177:
	s_cmp_lt_i32 s56, 27
	s_mov_b64 s[48:49], -1
	s_cbranch_scc1 .LBB39_183
; %bb.178:
	s_cmp_gt_i32 s56, 27
	s_cbranch_scc0 .LBB39_180
; %bb.179:
	v_cndmask_b32_e64 v2, 0, 1, s[40:41]
	s_mov_b64 s[48:49], 0
	global_store_dword v[0:1], v2, off
.LBB39_180:
	s_andn2_b64 vcc, exec, s[48:49]
	s_cbranch_vccnz .LBB39_182
; %bb.181:
	v_cndmask_b32_e64 v2, 0, 1, s[40:41]
	global_store_short v[0:1], v2, off
.LBB39_182:
	s_mov_b64 s[48:49], 0
.LBB39_183:
	s_andn2_b64 vcc, exec, s[48:49]
	s_cbranch_vccnz .LBB39_191
; %bb.184:
	v_cndmask_b32_e64 v3, 0, 1.0, s[40:41]
	s_mov_b32 s48, 0x43800000
	v_cmp_gt_u32_e32 vcc, s48, v3
	v_mov_b32_e32 v4, 0x80
	s_and_saveexec_b64 s[48:49], vcc
	s_cbranch_execz .LBB39_190
; %bb.185:
	s_mov_b32 s52, 0x3bffffff
	v_cmp_lt_u32_e32 vcc, s52, v3
	s_mov_b64 s[52:53], 0
                                        ; implicit-def: $vgpr2
	s_and_saveexec_b64 s[54:55], vcc
	s_xor_b64 s[54:55], exec, s[54:55]
	s_cbranch_execz .LBB39_426
; %bb.186:
	v_bfe_u32 v2, v3, 20, 1
	s_mov_b32 s57, 0x487ffff
	v_add3_u32 v2, v3, v2, s57
	s_mov_b64 s[52:53], exec
	v_lshrrev_b32_e32 v2, 20, v2
                                        ; implicit-def: $vgpr3
	s_andn2_saveexec_b64 s[54:55], s[54:55]
	s_cbranch_execnz .LBB39_427
.LBB39_187:
	s_or_b64 exec, exec, s[54:55]
	v_mov_b32_e32 v4, 0
	s_and_saveexec_b64 s[54:55], s[52:53]
.LBB39_188:
	v_mov_b32_e32 v4, v2
.LBB39_189:
	s_or_b64 exec, exec, s[54:55]
.LBB39_190:
	s_or_b64 exec, exec, s[48:49]
	global_store_byte v[0:1], v4, off
.LBB39_191:
	s_mov_b64 s[48:49], -1
.LBB39_192:
	s_mov_b64 s[52:53], 0
.LBB39_193:
	s_and_b64 vcc, exec, s[52:53]
	s_cbranch_vccz .LBB39_234
; %bb.194:
	s_cmp_gt_i32 s56, 22
	s_mov_b64 s[52:53], -1
	s_cbranch_scc0 .LBB39_226
; %bb.195:
	s_cmp_lt_i32 s56, 24
	s_mov_b64 s[48:49], -1
	s_cbranch_scc1 .LBB39_215
; %bb.196:
	s_cmp_gt_i32 s56, 24
	s_cbranch_scc0 .LBB39_204
; %bb.197:
	v_cndmask_b32_e64 v3, 0, 1.0, s[40:41]
	s_mov_b32 s48, 0x47800000
	v_cmp_gt_u32_e32 vcc, s48, v3
	v_mov_b32_e32 v4, 0x80
	s_and_saveexec_b64 s[48:49], vcc
	s_cbranch_execz .LBB39_203
; %bb.198:
	s_mov_b32 s52, 0x37ffffff
	v_cmp_lt_u32_e32 vcc, s52, v3
	s_mov_b64 s[52:53], 0
                                        ; implicit-def: $vgpr2
	s_and_saveexec_b64 s[54:55], vcc
	s_xor_b64 s[54:55], exec, s[54:55]
	s_cbranch_execz .LBB39_541
; %bb.199:
	v_bfe_u32 v2, v3, 21, 1
	s_mov_b32 s57, 0x88fffff
	v_add3_u32 v2, v3, v2, s57
	s_mov_b64 s[52:53], exec
	v_lshrrev_b32_e32 v2, 21, v2
                                        ; implicit-def: $vgpr3
	s_andn2_saveexec_b64 s[54:55], s[54:55]
	s_cbranch_execnz .LBB39_542
.LBB39_200:
	s_or_b64 exec, exec, s[54:55]
	v_mov_b32_e32 v4, 0
	s_and_saveexec_b64 s[54:55], s[52:53]
.LBB39_201:
	v_mov_b32_e32 v4, v2
.LBB39_202:
	s_or_b64 exec, exec, s[54:55]
.LBB39_203:
	s_or_b64 exec, exec, s[48:49]
	s_mov_b64 s[48:49], 0
	global_store_byte v[0:1], v4, off
.LBB39_204:
	s_and_b64 vcc, exec, s[48:49]
	s_cbranch_vccz .LBB39_214
; %bb.205:
	v_cndmask_b32_e64 v2, 0, 1.0, s[40:41]
	s_mov_b32 s48, 0x43f00000
	v_cmp_gt_u32_e32 vcc, s48, v2
                                        ; implicit-def: $vgpr3
	s_and_saveexec_b64 s[48:49], vcc
	s_xor_b64 s[48:49], exec, s[48:49]
	s_cbranch_execz .LBB39_211
; %bb.206:
	s_mov_b32 s52, 0x3c7fffff
	v_cmp_lt_u32_e32 vcc, s52, v2
                                        ; implicit-def: $vgpr3
	s_and_saveexec_b64 s[52:53], vcc
	s_xor_b64 s[52:53], exec, s[52:53]
; %bb.207:
	v_bfe_u32 v3, v2, 20, 1
	s_mov_b32 s54, 0x407ffff
	v_add3_u32 v2, v2, v3, s54
	v_lshrrev_b32_e32 v3, 20, v2
	v_and_b32_e32 v2, 0xff00000, v2
	s_mov_b32 s54, 0x7f00000
	v_mov_b32_e32 v4, 0x7e
	v_cmp_ne_u32_e32 vcc, s54, v2
	v_cndmask_b32_e32 v3, v4, v3, vcc
                                        ; implicit-def: $vgpr2
; %bb.208:
	s_andn2_saveexec_b64 s[52:53], s[52:53]
; %bb.209:
	v_add_f32_e32 v3, 0x46800000, v2
; %bb.210:
	s_or_b64 exec, exec, s[52:53]
                                        ; implicit-def: $vgpr2
.LBB39_211:
	s_andn2_saveexec_b64 s[48:49], s[48:49]
; %bb.212:
	s_mov_b32 s52, 0x7f800000
	v_mov_b32_e32 v3, 0x7e
	v_mov_b32_e32 v4, 0x7f
	v_cmp_lt_u32_e32 vcc, s52, v2
	v_cndmask_b32_e32 v3, v3, v4, vcc
; %bb.213:
	s_or_b64 exec, exec, s[48:49]
	global_store_byte v[0:1], v3, off
.LBB39_214:
	s_mov_b64 s[48:49], 0
.LBB39_215:
	s_andn2_b64 vcc, exec, s[48:49]
	s_cbranch_vccnz .LBB39_225
; %bb.216:
	v_cndmask_b32_e64 v2, 0, 1.0, s[40:41]
	s_mov_b32 s48, 0x47800000
	v_cmp_gt_u32_e32 vcc, s48, v2
                                        ; implicit-def: $vgpr3
	s_and_saveexec_b64 s[48:49], vcc
	s_xor_b64 s[48:49], exec, s[48:49]
	s_cbranch_execz .LBB39_222
; %bb.217:
	s_mov_b32 s52, 0x387fffff
	v_cmp_lt_u32_e32 vcc, s52, v2
                                        ; implicit-def: $vgpr3
	s_and_saveexec_b64 s[52:53], vcc
	s_xor_b64 s[52:53], exec, s[52:53]
; %bb.218:
	v_bfe_u32 v3, v2, 21, 1
	s_mov_b32 s54, 0x80fffff
	v_add3_u32 v2, v2, v3, s54
	v_lshrrev_b32_e32 v3, 21, v2
                                        ; implicit-def: $vgpr2
; %bb.219:
	s_andn2_saveexec_b64 s[52:53], s[52:53]
; %bb.220:
	v_add_f32_e32 v3, 0x43000000, v2
; %bb.221:
	s_or_b64 exec, exec, s[52:53]
                                        ; implicit-def: $vgpr2
.LBB39_222:
	s_andn2_saveexec_b64 s[48:49], s[48:49]
; %bb.223:
	s_mov_b32 s52, 0x7f800000
	v_mov_b32_e32 v3, 0x7c
	v_mov_b32_e32 v4, 0x7f
	v_cmp_lt_u32_e32 vcc, s52, v2
	v_cndmask_b32_e32 v3, v3, v4, vcc
; %bb.224:
	s_or_b64 exec, exec, s[48:49]
	global_store_byte v[0:1], v3, off
.LBB39_225:
	s_mov_b64 s[52:53], 0
	s_mov_b64 s[48:49], -1
.LBB39_226:
	s_andn2_b64 vcc, exec, s[52:53]
	s_cbranch_vccnz .LBB39_234
; %bb.227:
	s_cmp_gt_i32 s56, 14
	s_mov_b64 s[52:53], -1
	s_cbranch_scc0 .LBB39_231
; %bb.228:
	s_cmp_eq_u32 s56, 15
	s_mov_b64 s[0:1], -1
	s_cbranch_scc0 .LBB39_230
; %bb.229:
	v_cndmask_b32_e64 v2, 0, 1.0, s[40:41]
	v_bfe_u32 v3, v2, 16, 1
	s_movk_i32 s0, 0x7fff
	v_add3_u32 v2, v2, v3, s0
	global_store_short_d16_hi v[0:1], v2, off
	s_mov_b64 s[48:49], -1
	s_mov_b64 s[0:1], 0
.LBB39_230:
	s_mov_b64 s[52:53], 0
.LBB39_231:
	s_and_b64 vcc, exec, s[52:53]
	s_cbranch_vccz .LBB39_234
; %bb.232:
	s_cmp_eq_u32 s56, 11
	s_mov_b64 s[0:1], -1
	s_cbranch_scc0 .LBB39_234
; %bb.233:
	v_cndmask_b32_e64 v2, 0, 1, s[40:41]
	s_mov_b64 s[48:49], -1
	s_mov_b64 s[0:1], 0
	global_store_byte v[0:1], v2, off
.LBB39_234:
	s_mov_b64 s[52:53], 0
.LBB39_235:
	s_and_b64 vcc, exec, s[52:53]
	s_cbranch_vccz .LBB39_274
; %bb.236:
	s_and_b32 s14, 0xffff, s14
	s_cmp_lt_i32 s14, 5
	s_mov_b64 s[48:49], -1
	s_cbranch_scc1 .LBB39_257
; %bb.237:
	s_cmp_lt_i32 s14, 8
	s_cbranch_scc1 .LBB39_247
; %bb.238:
	s_cmp_lt_i32 s14, 9
	s_cbranch_scc1 .LBB39_244
; %bb.239:
	s_cmp_gt_i32 s14, 9
	s_cbranch_scc0 .LBB39_241
; %bb.240:
	v_cndmask_b32_e64 v2, 0, 1, s[40:41]
	v_cvt_f64_u32_e32 v[2:3], v2
	v_mov_b32_e32 v4, 0
	v_mov_b32_e32 v5, v4
	s_mov_b64 s[48:49], 0
	global_store_dwordx4 v[0:1], v[2:5], off
.LBB39_241:
	s_andn2_b64 vcc, exec, s[48:49]
	s_cbranch_vccnz .LBB39_243
; %bb.242:
	v_cndmask_b32_e64 v2, 0, 1.0, s[40:41]
	v_mov_b32_e32 v3, 0
	global_store_dwordx2 v[0:1], v[2:3], off
.LBB39_243:
	s_mov_b64 s[48:49], 0
.LBB39_244:
	s_andn2_b64 vcc, exec, s[48:49]
	s_cbranch_vccnz .LBB39_246
; %bb.245:
	v_cndmask_b32_e64 v2, 0, 1.0, s[40:41]
	v_cvt_f16_f32_e32 v2, v2
	global_store_dword v[0:1], v2, off
.LBB39_246:
	s_mov_b64 s[48:49], 0
.LBB39_247:
	s_andn2_b64 vcc, exec, s[48:49]
	s_cbranch_vccnz .LBB39_256
; %bb.248:
	s_cmp_lt_i32 s14, 6
	s_mov_b64 s[48:49], -1
	s_cbranch_scc1 .LBB39_254
; %bb.249:
	s_cmp_gt_i32 s14, 6
	s_cbranch_scc0 .LBB39_251
; %bb.250:
	v_cndmask_b32_e64 v2, 0, 1, s[40:41]
	v_cvt_f64_u32_e32 v[2:3], v2
	s_mov_b64 s[48:49], 0
	global_store_dwordx2 v[0:1], v[2:3], off
.LBB39_251:
	s_andn2_b64 vcc, exec, s[48:49]
	s_cbranch_vccnz .LBB39_253
; %bb.252:
	v_cndmask_b32_e64 v2, 0, 1.0, s[40:41]
	global_store_dword v[0:1], v2, off
.LBB39_253:
	s_mov_b64 s[48:49], 0
.LBB39_254:
	s_andn2_b64 vcc, exec, s[48:49]
	s_cbranch_vccnz .LBB39_256
; %bb.255:
	v_cndmask_b32_e64 v2, 0, 1.0, s[40:41]
	v_cvt_f16_f32_e32 v2, v2
	global_store_short v[0:1], v2, off
.LBB39_256:
	s_mov_b64 s[48:49], 0
.LBB39_257:
	s_andn2_b64 vcc, exec, s[48:49]
	s_cbranch_vccnz .LBB39_273
; %bb.258:
	s_cmp_lt_i32 s14, 2
	s_mov_b64 s[48:49], -1
	s_cbranch_scc1 .LBB39_268
; %bb.259:
	s_cmp_lt_i32 s14, 3
	s_cbranch_scc1 .LBB39_265
; %bb.260:
	s_cmp_gt_i32 s14, 3
	s_cbranch_scc0 .LBB39_262
; %bb.261:
	s_mov_b32 s48, 0
	v_cndmask_b32_e64 v2, 0, 1, s[40:41]
	v_mov_b32_e32 v3, s48
	global_store_dwordx2 v[0:1], v[2:3], off
	s_mov_b64 s[48:49], 0
.LBB39_262:
	s_andn2_b64 vcc, exec, s[48:49]
	s_cbranch_vccnz .LBB39_264
; %bb.263:
	v_cndmask_b32_e64 v2, 0, 1, s[40:41]
	global_store_dword v[0:1], v2, off
.LBB39_264:
	s_mov_b64 s[48:49], 0
.LBB39_265:
	s_andn2_b64 vcc, exec, s[48:49]
	s_cbranch_vccnz .LBB39_267
; %bb.266:
	v_cndmask_b32_e64 v2, 0, 1, s[40:41]
	global_store_short v[0:1], v2, off
.LBB39_267:
	s_mov_b64 s[48:49], 0
.LBB39_268:
	s_andn2_b64 vcc, exec, s[48:49]
	s_cbranch_vccnz .LBB39_273
; %bb.269:
	s_cmp_gt_i32 s14, 0
	s_mov_b64 s[48:49], -1
	s_cbranch_scc0 .LBB39_271
; %bb.270:
	v_cndmask_b32_e64 v2, 0, 1, s[40:41]
	global_store_byte v[0:1], v2, off
	s_mov_b64 s[48:49], 0
.LBB39_271:
	s_andn2_b64 vcc, exec, s[48:49]
	s_cbranch_vccnz .LBB39_273
; %bb.272:
	v_cndmask_b32_e64 v2, 0, 1, s[40:41]
	global_store_byte v[0:1], v2, off
.LBB39_273:
	s_mov_b64 s[48:49], -1
.LBB39_274:
	s_andn2_b64 vcc, exec, s[48:49]
	s_cbranch_vccnz .LBB39_276
; %bb.275:
	v_add_u32_e32 v8, 0x80, v8
	s_mov_b64 s[48:49], -1
	s_branch .LBB39_385
.LBB39_276:
	s_mov_b64 s[48:49], 0
                                        ; implicit-def: $vgpr8
	s_branch .LBB39_385
.LBB39_277:
	s_mov_b64 s[42:43], -1
                                        ; implicit-def: $vgpr3
.LBB39_278:
	s_mov_b64 s[40:41], 0
.LBB39_279:
	s_and_b64 vcc, exec, s[40:41]
	s_cbranch_vccz .LBB39_283
; %bb.280:
	s_cmp_eq_u32 s48, 29
	s_cbranch_scc0 .LBB39_282
; %bb.281:
	global_load_dword v3, v[1:2], off
	s_mov_b64 s[0:1], -1
	s_mov_b64 s[42:43], 0
	s_branch .LBB39_283
.LBB39_282:
	s_mov_b64 s[42:43], -1
                                        ; implicit-def: $vgpr3
.LBB39_283:
	s_mov_b64 s[40:41], 0
.LBB39_284:
	s_and_b64 vcc, exec, s[40:41]
	s_cbranch_vccz .LBB39_300
; %bb.285:
	s_cmp_lt_i32 s48, 27
	s_cbranch_scc1 .LBB39_288
; %bb.286:
	s_cmp_gt_i32 s48, 27
	s_cbranch_scc0 .LBB39_289
; %bb.287:
	global_load_dword v3, v[1:2], off
	s_mov_b64 s[0:1], 0
	s_branch .LBB39_290
.LBB39_288:
	s_mov_b64 s[0:1], -1
                                        ; implicit-def: $vgpr3
	s_branch .LBB39_293
.LBB39_289:
	s_mov_b64 s[0:1], -1
                                        ; implicit-def: $vgpr3
.LBB39_290:
	s_andn2_b64 vcc, exec, s[0:1]
	s_cbranch_vccnz .LBB39_292
; %bb.291:
	global_load_ushort v3, v[1:2], off
.LBB39_292:
	s_mov_b64 s[0:1], 0
.LBB39_293:
	s_andn2_b64 vcc, exec, s[0:1]
	s_cbranch_vccnz .LBB39_299
; %bb.294:
	global_load_ubyte v4, v[1:2], off
	s_movk_i32 s0, 0x7f
	s_mov_b64 s[40:41], 0
	s_waitcnt vmcnt(0)
	v_cmp_lt_i16_e32 vcc, s0, v4
	s_and_saveexec_b64 s[0:1], vcc
	s_xor_b64 s[0:1], exec, s[0:1]
	s_cbranch_execz .LBB39_311
; %bb.295:
	s_movk_i32 s40, 0x80
	v_cmp_ne_u16_e32 vcc, s40, v4
	s_and_b64 s[40:41], vcc, exec
	s_andn2_saveexec_b64 s[0:1], s[0:1]
	s_cbranch_execnz .LBB39_312
.LBB39_296:
	s_or_b64 exec, exec, s[0:1]
	v_mov_b32_e32 v3, 0
	s_and_saveexec_b64 s[0:1], s[40:41]
	s_cbranch_execz .LBB39_298
.LBB39_297:
	v_lshlrev_b32_e32 v3, 24, v4
	v_and_b32_e32 v4, 0xffff, v4
	v_and_b32_e32 v6, 7, v4
	v_ffbh_u32_e32 v9, v6
	v_min_u32_e32 v9, 32, v9
	v_subrev_u32_e32 v10, 28, v9
	v_bfe_u32 v7, v4, 3, 4
	v_lshlrev_b32_e32 v4, v10, v4
	v_sub_u32_e32 v9, 29, v9
	v_and_b32_e32 v4, 7, v4
	v_cmp_eq_u32_e32 vcc, 0, v7
	v_cndmask_b32_e32 v7, v7, v9, vcc
	v_cndmask_b32_e32 v4, v6, v4, vcc
	v_mov_b32_e32 v6, 0x3b800000
	v_lshlrev_b32_e32 v4, 20, v4
	v_and_b32_e32 v3, 0x80000000, v3
	v_lshl_add_u32 v6, v7, 23, v6
	v_or3_b32 v3, v3, v6, v4
	v_cvt_i32_f32_e32 v3, v3
.LBB39_298:
	s_or_b64 exec, exec, s[0:1]
.LBB39_299:
	s_mov_b64 s[0:1], -1
.LBB39_300:
	s_mov_b64 s[40:41], 0
.LBB39_301:
	s_and_b64 vcc, exec, s[40:41]
	s_cbranch_vccz .LBB39_334
; %bb.302:
	s_cmp_gt_i32 s48, 22
	s_cbranch_scc0 .LBB39_310
; %bb.303:
	s_cmp_lt_i32 s48, 24
	s_cbranch_scc1 .LBB39_313
; %bb.304:
	s_cmp_gt_i32 s48, 24
	s_cbranch_scc0 .LBB39_314
; %bb.305:
	global_load_ubyte v4, v[1:2], off
	s_movk_i32 s0, 0x7f
	s_mov_b64 s[40:41], 0
	s_waitcnt vmcnt(0)
	v_cmp_lt_i16_e32 vcc, s0, v4
	s_and_saveexec_b64 s[0:1], vcc
	s_xor_b64 s[0:1], exec, s[0:1]
	s_cbranch_execz .LBB39_326
; %bb.306:
	s_movk_i32 s40, 0x80
	v_cmp_ne_u16_e32 vcc, s40, v4
	s_and_b64 s[40:41], vcc, exec
	s_andn2_saveexec_b64 s[0:1], s[0:1]
	s_cbranch_execnz .LBB39_327
.LBB39_307:
	s_or_b64 exec, exec, s[0:1]
	v_mov_b32_e32 v3, 0
	s_and_saveexec_b64 s[0:1], s[40:41]
	s_cbranch_execz .LBB39_309
.LBB39_308:
	v_lshlrev_b32_e32 v3, 24, v4
	v_and_b32_e32 v4, 0xffff, v4
	v_and_b32_e32 v6, 3, v4
	v_ffbh_u32_e32 v9, v6
	v_min_u32_e32 v9, 32, v9
	v_subrev_u32_e32 v10, 29, v9
	v_bfe_u32 v7, v4, 2, 5
	v_lshlrev_b32_e32 v4, v10, v4
	v_sub_u32_e32 v9, 30, v9
	v_and_b32_e32 v4, 3, v4
	v_cmp_eq_u32_e32 vcc, 0, v7
	v_cndmask_b32_e32 v7, v7, v9, vcc
	v_cndmask_b32_e32 v4, v6, v4, vcc
	v_mov_b32_e32 v6, 0x37800000
	v_lshlrev_b32_e32 v4, 21, v4
	v_and_b32_e32 v3, 0x80000000, v3
	v_lshl_add_u32 v6, v7, 23, v6
	v_or3_b32 v3, v3, v6, v4
	v_cvt_i32_f32_e32 v3, v3
.LBB39_309:
	s_or_b64 exec, exec, s[0:1]
	s_mov_b64 s[0:1], 0
	s_branch .LBB39_315
.LBB39_310:
	s_mov_b64 s[40:41], -1
                                        ; implicit-def: $vgpr3
	s_branch .LBB39_321
.LBB39_311:
	s_andn2_saveexec_b64 s[0:1], s[0:1]
	s_cbranch_execz .LBB39_296
.LBB39_312:
	v_cmp_ne_u16_e32 vcc, 0, v4
	s_andn2_b64 s[40:41], s[40:41], exec
	s_and_b64 s[52:53], vcc, exec
	s_or_b64 s[40:41], s[40:41], s[52:53]
	s_or_b64 exec, exec, s[0:1]
	v_mov_b32_e32 v3, 0
	s_and_saveexec_b64 s[0:1], s[40:41]
	s_cbranch_execnz .LBB39_297
	s_branch .LBB39_298
.LBB39_313:
	s_mov_b64 s[0:1], -1
                                        ; implicit-def: $vgpr3
	s_branch .LBB39_318
.LBB39_314:
	s_mov_b64 s[0:1], -1
                                        ; implicit-def: $vgpr3
.LBB39_315:
	s_and_b64 vcc, exec, s[0:1]
	s_cbranch_vccz .LBB39_317
; %bb.316:
	global_load_ubyte v3, v[1:2], off
	s_mov_b32 s0, 0x7f800000
	s_waitcnt vmcnt(0)
	v_lshlrev_b32_e32 v3, 24, v3
	v_and_b32_e32 v4, 0x7f000000, v3
	v_ffbh_u32_e32 v6, v4
	v_min_u32_e32 v6, 32, v6
	v_sub_u32_e64 v6, v6, 4 clamp
	v_lshlrev_b32_e32 v9, v6, v4
	v_lshlrev_b32_e32 v6, 23, v6
	v_lshrrev_b32_e32 v9, 4, v9
	v_add_u32_e32 v7, 0x1000000, v4
	v_sub_u32_e32 v6, v9, v6
	v_ashrrev_i32_e32 v7, 8, v7
	v_add_u32_e32 v6, 0x3c000000, v6
	v_and_or_b32 v6, v7, s0, v6
	v_cmp_ne_u32_e32 vcc, 0, v4
	v_cndmask_b32_e32 v4, 0, v6, vcc
	s_brev_b32 s0, 1
	v_and_or_b32 v3, v3, s0, v4
	v_cvt_i32_f32_e32 v3, v3
.LBB39_317:
	s_mov_b64 s[0:1], 0
.LBB39_318:
	s_andn2_b64 vcc, exec, s[0:1]
	s_cbranch_vccnz .LBB39_320
; %bb.319:
	global_load_ubyte v3, v[1:2], off
	s_movk_i32 s0, 0x7f00
	s_brev_b32 s1, 16
	s_waitcnt vmcnt(0)
	v_lshlrev_b16_e32 v4, 8, v3
	v_lshlrev_b32_e32 v3, 25, v3
	v_lshrrev_b32_e32 v6, 4, v3
	v_and_or_b32 v7, v4, s0, 0.5
	v_or_b32_e32 v6, 0x70000000, v6
	v_add_f32_e32 v7, -0.5, v7
	v_mul_f32_e32 v6, 0x7800000, v6
	v_cmp_gt_u32_e32 vcc, s1, v3
	v_bfe_i32 v4, v4, 0, 16
	v_cndmask_b32_e32 v3, v6, v7, vcc
	s_brev_b32 s0, 1
	v_and_or_b32 v3, v4, s0, v3
	v_cvt_i32_f32_e32 v3, v3
.LBB39_320:
	s_mov_b64 s[40:41], 0
	s_mov_b64 s[0:1], -1
.LBB39_321:
	s_andn2_b64 vcc, exec, s[40:41]
	s_cbranch_vccnz .LBB39_334
; %bb.322:
	s_cmp_gt_i32 s48, 14
	s_cbranch_scc0 .LBB39_325
; %bb.323:
	s_cmp_eq_u32 s48, 15
	s_cbranch_scc0 .LBB39_328
; %bb.324:
	global_load_ushort v3, v[1:2], off
	s_mov_b64 s[0:1], -1
	s_mov_b64 s[42:43], 0
	s_waitcnt vmcnt(0)
	v_lshlrev_b32_e32 v3, 16, v3
	v_cvt_i32_f32_e32 v3, v3
	s_branch .LBB39_329
.LBB39_325:
	s_mov_b64 s[40:41], -1
                                        ; implicit-def: $vgpr3
	s_branch .LBB39_330
.LBB39_326:
	s_andn2_saveexec_b64 s[0:1], s[0:1]
	s_cbranch_execz .LBB39_307
.LBB39_327:
	v_cmp_ne_u16_e32 vcc, 0, v4
	s_andn2_b64 s[40:41], s[40:41], exec
	s_and_b64 s[52:53], vcc, exec
	s_or_b64 s[40:41], s[40:41], s[52:53]
	s_or_b64 exec, exec, s[0:1]
	v_mov_b32_e32 v3, 0
	s_and_saveexec_b64 s[0:1], s[40:41]
	s_cbranch_execnz .LBB39_308
	s_branch .LBB39_309
.LBB39_328:
	s_mov_b64 s[42:43], -1
                                        ; implicit-def: $vgpr3
.LBB39_329:
	s_mov_b64 s[40:41], 0
.LBB39_330:
	s_and_b64 vcc, exec, s[40:41]
	s_cbranch_vccz .LBB39_334
; %bb.331:
	s_cmp_eq_u32 s48, 11
	s_cbranch_scc0 .LBB39_333
; %bb.332:
	global_load_ubyte v3, v[1:2], off
	s_mov_b64 s[0:1], -1
	s_mov_b64 s[42:43], 0
	s_waitcnt vmcnt(0)
	v_cmp_ne_u16_e32 vcc, 0, v3
	v_cndmask_b32_e64 v3, 0, 1, vcc
	s_branch .LBB39_334
.LBB39_333:
	s_mov_b64 s[42:43], -1
                                        ; implicit-def: $vgpr3
.LBB39_334:
	s_branch .LBB39_31
.LBB39_335:
	s_and_b32 s14, 0xffff, s14
	s_cmp_lt_i32 s14, 5
	s_cbranch_scc1 .LBB39_340
; %bb.336:
	s_cmp_lt_i32 s14, 8
	s_cbranch_scc1 .LBB39_341
; %bb.337:
	;; [unrolled: 3-line block ×3, first 2 shown]
	s_cmp_gt_i32 s14, 9
	s_cbranch_scc0 .LBB39_343
; %bb.339:
	global_load_dwordx2 v[3:4], v[1:2], off
	s_mov_b64 s[0:1], 0
	s_waitcnt vmcnt(0)
	v_cvt_i32_f64_e32 v3, v[3:4]
	s_branch .LBB39_344
.LBB39_340:
	s_mov_b64 s[0:1], -1
                                        ; implicit-def: $vgpr3
	s_branch .LBB39_362
.LBB39_341:
	s_mov_b64 s[0:1], -1
                                        ; implicit-def: $vgpr3
	s_branch .LBB39_350
.LBB39_342:
	s_mov_b64 s[0:1], -1
                                        ; implicit-def: $vgpr3
	s_branch .LBB39_347
.LBB39_343:
	s_mov_b64 s[0:1], -1
                                        ; implicit-def: $vgpr3
.LBB39_344:
	s_andn2_b64 vcc, exec, s[0:1]
	s_cbranch_vccnz .LBB39_346
; %bb.345:
	global_load_dword v3, v[1:2], off
	s_waitcnt vmcnt(0)
	v_cvt_i32_f32_e32 v3, v3
.LBB39_346:
	s_mov_b64 s[0:1], 0
.LBB39_347:
	s_andn2_b64 vcc, exec, s[0:1]
	s_cbranch_vccnz .LBB39_349
; %bb.348:
	global_load_dword v3, v[1:2], off
	s_waitcnt vmcnt(0)
	v_cvt_f32_f16_e32 v3, v3
	v_cvt_i32_f32_e32 v3, v3
.LBB39_349:
	s_mov_b64 s[0:1], 0
.LBB39_350:
	s_andn2_b64 vcc, exec, s[0:1]
	s_cbranch_vccnz .LBB39_361
; %bb.351:
	s_cmp_lt_i32 s14, 6
	s_cbranch_scc1 .LBB39_354
; %bb.352:
	s_cmp_gt_i32 s14, 6
	s_cbranch_scc0 .LBB39_355
; %bb.353:
	global_load_dwordx2 v[3:4], v[1:2], off
	s_mov_b64 s[0:1], 0
	s_waitcnt vmcnt(0)
	v_cvt_i32_f64_e32 v3, v[3:4]
	s_branch .LBB39_356
.LBB39_354:
	s_mov_b64 s[0:1], -1
                                        ; implicit-def: $vgpr3
	s_branch .LBB39_359
.LBB39_355:
	s_mov_b64 s[0:1], -1
                                        ; implicit-def: $vgpr3
.LBB39_356:
	s_andn2_b64 vcc, exec, s[0:1]
	s_cbranch_vccnz .LBB39_358
; %bb.357:
	global_load_dword v3, v[1:2], off
	s_waitcnt vmcnt(0)
	v_cvt_i32_f32_e32 v3, v3
.LBB39_358:
	s_mov_b64 s[0:1], 0
.LBB39_359:
	s_andn2_b64 vcc, exec, s[0:1]
	s_cbranch_vccnz .LBB39_361
; %bb.360:
	global_load_ushort v3, v[1:2], off
	s_waitcnt vmcnt(0)
	v_cvt_f32_f16_e32 v3, v3
	v_cvt_i32_f32_e32 v3, v3
.LBB39_361:
	s_mov_b64 s[0:1], 0
.LBB39_362:
	s_andn2_b64 vcc, exec, s[0:1]
	s_cbranch_vccnz .LBB39_382
; %bb.363:
	s_cmp_lt_i32 s14, 2
	s_cbranch_scc1 .LBB39_367
; %bb.364:
	s_cmp_lt_i32 s14, 3
	s_cbranch_scc1 .LBB39_368
; %bb.365:
	s_cmp_gt_i32 s14, 3
	s_cbranch_scc0 .LBB39_369
; %bb.366:
	global_load_dword v3, v[1:2], off
	s_mov_b64 s[0:1], 0
	s_branch .LBB39_370
.LBB39_367:
	s_mov_b64 s[0:1], -1
                                        ; implicit-def: $vgpr3
	s_branch .LBB39_376
.LBB39_368:
	s_mov_b64 s[0:1], -1
                                        ; implicit-def: $vgpr3
	s_branch .LBB39_373
.LBB39_369:
	s_mov_b64 s[0:1], -1
                                        ; implicit-def: $vgpr3
.LBB39_370:
	s_andn2_b64 vcc, exec, s[0:1]
	s_cbranch_vccnz .LBB39_372
; %bb.371:
	global_load_dword v3, v[1:2], off
.LBB39_372:
	s_mov_b64 s[0:1], 0
.LBB39_373:
	s_andn2_b64 vcc, exec, s[0:1]
	s_cbranch_vccnz .LBB39_375
; %bb.374:
	global_load_sshort v3, v[1:2], off
.LBB39_375:
	s_mov_b64 s[0:1], 0
.LBB39_376:
	s_andn2_b64 vcc, exec, s[0:1]
	s_cbranch_vccnz .LBB39_382
; %bb.377:
	s_cmp_gt_i32 s14, 0
	s_cbranch_scc0 .LBB39_379
; %bb.378:
	global_load_sbyte v3, v[1:2], off
	s_mov_b64 s[0:1], 0
	s_branch .LBB39_380
.LBB39_379:
	s_mov_b64 s[0:1], -1
                                        ; implicit-def: $vgpr3
.LBB39_380:
	s_andn2_b64 vcc, exec, s[0:1]
	s_cbranch_vccnz .LBB39_382
; %bb.381:
	global_load_ubyte v3, v[1:2], off
.LBB39_382:
	s_branch .LBB39_32
.LBB39_383:
	s_mov_b64 s[0:1], 0
.LBB39_384:
                                        ; implicit-def: $vgpr8
	s_mov_b64 s[48:49], 0
.LBB39_385:
	s_and_b64 s[40:41], s[0:1], exec
	s_and_b64 s[42:43], s[42:43], exec
	s_and_b64 s[44:45], s[44:45], exec
	s_orn2_b64 s[0:1], s[48:49], exec
.LBB39_386:
	s_or_b64 exec, exec, s[46:47]
	s_mov_b64 s[54:55], 0
	s_mov_b64 s[52:53], 0
                                        ; implicit-def: $sgpr14
                                        ; implicit-def: $vgpr3_vgpr4
                                        ; implicit-def: $vgpr0
                                        ; implicit-def: $vgpr2
                                        ; implicit-def: $vgpr5
	s_and_saveexec_b64 s[46:47], s[0:1]
	s_cbranch_execz .LBB39_394
; %bb.387:
	v_cmp_gt_i32_e32 vcc, s70, v8
	s_mov_b64 s[0:1], -1
	s_mov_b64 s[48:49], s[44:45]
	s_mov_b64 s[50:51], s[42:43]
	;; [unrolled: 1-line block ×3, first 2 shown]
	s_and_saveexec_b64 s[54:55], vcc
	s_cbranch_execz .LBB39_779
; %bb.388:
	s_andn2_b64 vcc, exec, s[24:25]
	s_cbranch_vccnz .LBB39_397
; %bb.389:
	s_andn2_b64 vcc, exec, s[38:39]
	s_cbranch_vccnz .LBB39_398
; %bb.390:
	s_add_i32 s0, s75, 1
	s_and_b32 s14, s0, 30
	s_add_u32 s0, s2, 0xffffffe8
	s_addc_u32 s1, s3, -1
	v_mov_b32_e32 v2, 0
	v_mov_b32_e32 v4, 0
	;; [unrolled: 1-line block ×4, first 2 shown]
.LBB39_391:                             ; =>This Inner Loop Header: Depth=1
	s_load_dwordx4 s[48:51], s[0:1], 0x1c
	s_load_dwordx2 s[52:53], s[0:1], 0x2c
	s_load_dwordx2 s[60:61], s[0:1], 0xec
	s_load_dwordx4 s[56:59], s[0:1], 0xdc
	s_add_u32 s0, s0, 24
	s_waitcnt vmcnt(0) lgkmcnt(0)
	v_mul_hi_u32 v3, s49, v1
	s_addc_u32 s1, s1, 0
	s_add_i32 s14, s14, -2
	s_cmp_eq_u32 s14, 0
	v_add_u32_e32 v3, v1, v3
	v_lshrrev_b32_e32 v3, s50, v3
	v_mul_lo_u32 v5, v3, s48
	v_mul_hi_u32 v6, s52, v3
	v_sub_u32_e32 v5, v1, v5
	v_add_u32_e32 v1, v3, v6
	v_lshrrev_b32_e32 v1, s53, v1
	v_mul_lo_u32 v9, v1, s51
	v_mul_lo_u32 v6, v5, s56
	;; [unrolled: 1-line block ×4, first 2 shown]
	v_sub_u32_e32 v3, v3, v9
	v_mul_lo_u32 v9, v3, s59
	v_mul_lo_u32 v10, v3, s60
	;; [unrolled: 1-line block ×3, first 2 shown]
	v_add3_u32 v0, v6, v0, v9
	v_add3_u32 v4, v7, v4, v10
	;; [unrolled: 1-line block ×3, first 2 shown]
	s_cbranch_scc0 .LBB39_391
; %bb.392:
	s_bitcmp1_b32 s75, 0
	s_cselect_b64 s[48:49], -1, 0
	s_and_b64 vcc, exec, s[48:49]
	s_cbranch_vccnz .LBB39_399
; %bb.393:
	s_load_dwordx2 s[48:49], s[0:1], 0x1c
	s_load_dword s14, s[0:1], 0x24
	s_load_dwordx2 s[50:51], s[0:1], 0xdc
	s_waitcnt lgkmcnt(0)
	v_mul_hi_u32 v3, s49, v1
	v_add_u32_e32 v3, v1, v3
	v_lshrrev_b32_e32 v3, s14, v3
	v_mul_lo_u32 v3, v3, s48
	s_load_dword s14, s[0:1], 0xe4
	v_sub_u32_e32 v3, v1, v3
	v_mad_u64_u32 v[0:1], s[0:1], v3, s50, v[0:1]
	v_mad_u64_u32 v[4:5], s[0:1], v3, s51, v[4:5]
	s_waitcnt lgkmcnt(0)
	v_mad_u64_u32 v[2:3], s[0:1], v3, s14, v[2:3]
	s_branch .LBB39_399
.LBB39_394:
	s_or_b64 exec, exec, s[46:47]
	s_mov_b64 s[10:11], 0
	s_and_saveexec_b64 s[0:1], s[44:45]
	s_cbranch_execnz .LBB39_1265
.LBB39_395:
	s_or_b64 exec, exec, s[0:1]
	s_and_saveexec_b64 s[0:1], s[50:51]
	s_xor_b64 s[0:1], exec, s[0:1]
	s_cbranch_execz .LBB39_1266
.LBB39_396:
	s_waitcnt vmcnt(0)
	global_load_ubyte v1, v[3:4], off
	s_or_b64 s[52:53], s[52:53], exec
	s_waitcnt vmcnt(0)
	v_cmp_ne_u16_e32 vcc, 0, v1
	v_cndmask_b32_e64 v5, 0, 1, vcc
	s_or_b64 exec, exec, s[0:1]
	s_and_saveexec_b64 s[0:1], s[54:55]
	s_cbranch_execz .LBB39_1312
	s_branch .LBB39_1267
.LBB39_397:
                                        ; implicit-def: $vgpr0
                                        ; implicit-def: $vgpr4
                                        ; implicit-def: $vgpr2
	s_andn2_b64 vcc, exec, s[0:1]
	s_cbranch_vccz .LBB39_400
	s_branch .LBB39_402
.LBB39_398:
	v_mov_b32_e32 v0, 0
	v_mov_b32_e32 v4, 0
	;; [unrolled: 1-line block ×3, first 2 shown]
.LBB39_399:
	s_cbranch_execnz .LBB39_402
.LBB39_400:
	v_mul_hi_u32 v0, s17, v8
	s_andn2_b64 vcc, exec, s[36:37]
	v_add_u32_e32 v0, v8, v0
	v_lshrrev_b32_e32 v1, s18, v0
	v_mul_lo_u32 v0, v1, s16
	v_sub_u32_e32 v2, v8, v0
	v_mul_lo_u32 v0, v2, s20
	v_mul_lo_u32 v4, v2, s21
	;; [unrolled: 1-line block ×3, first 2 shown]
	s_cbranch_vccnz .LBB39_402
; %bb.401:
	s_waitcnt vmcnt(0)
	v_mul_hi_u32 v3, s34, v1
	v_add_u32_e32 v3, v1, v3
	v_lshrrev_b32_e32 v3, s35, v3
	v_mul_lo_u32 v3, v3, s19
	v_sub_u32_e32 v3, v1, v3
	v_mad_u64_u32 v[0:1], s[0:1], v3, s23, v[0:1]
	v_mad_u64_u32 v[4:5], s[0:1], v3, s30, v[4:5]
	;; [unrolled: 1-line block ×3, first 2 shown]
.LBB39_402:
	v_mov_b32_e32 v1, s11
	s_and_b32 s14, s74, 0xff
	s_waitcnt vmcnt(0)
	v_add_co_u32_e32 v3, vcc, s10, v4
	s_cmp_lt_i32 s14, 11
	v_addc_co_u32_e32 v4, vcc, 0, v1, vcc
	s_cbranch_scc1 .LBB39_409
; %bb.403:
	s_and_b32 s52, 0xffff, s14
	s_cmp_gt_i32 s52, 25
	s_cbranch_scc0 .LBB39_418
; %bb.404:
	s_cmp_gt_i32 s52, 28
	s_cbranch_scc0 .LBB39_420
; %bb.405:
	;; [unrolled: 3-line block ×4, first 2 shown]
	s_cmp_eq_u32 s52, 46
	s_mov_b64 s[50:51], 0
	s_cbranch_scc0 .LBB39_428
; %bb.408:
	global_load_dword v1, v[3:4], off
	s_mov_b64 s[0:1], -1
	s_mov_b64 s[48:49], 0
	s_waitcnt vmcnt(0)
	v_lshlrev_b32_e32 v1, 16, v1
	v_cvt_i32_f32_e32 v5, v1
	s_branch .LBB39_429
.LBB39_409:
	s_mov_b64 s[0:1], 0
                                        ; implicit-def: $vgpr5
	s_mov_b64 s[48:49], s[44:45]
	s_cbranch_execnz .LBB39_491
.LBB39_410:
	s_andn2_b64 vcc, exec, s[0:1]
	s_cbranch_vccnz .LBB39_539
.LBB39_411:
	v_mov_b32_e32 v3, s13
	s_and_b32 s14, s73, 0xff
	v_add_co_u32_e32 v1, vcc, s12, v2
	s_cmp_lt_i32 s14, 11
	v_addc_co_u32_e32 v2, vcc, 0, v3, vcc
	s_cbranch_scc1 .LBB39_419
; %bb.412:
	s_and_b32 s56, 0xffff, s14
	s_cmp_gt_i32 s56, 25
	s_cbranch_scc0 .LBB39_421
; %bb.413:
	s_cmp_gt_i32 s56, 28
	s_cbranch_scc0 .LBB39_423
; %bb.414:
	;; [unrolled: 3-line block ×4, first 2 shown]
	s_cmp_eq_u32 s56, 46
	s_mov_b64 s[52:53], 0
	s_cbranch_scc0 .LBB39_543
; %bb.417:
	global_load_dword v3, v[1:2], off
	s_mov_b64 s[0:1], -1
	s_mov_b64 s[50:51], 0
	s_waitcnt vmcnt(0)
	v_lshlrev_b32_e32 v3, 16, v3
	v_cvt_i32_f32_e32 v3, v3
	s_branch .LBB39_544
.LBB39_418:
	s_mov_b64 s[50:51], -1
	s_mov_b64 s[0:1], 0
	s_mov_b64 s[48:49], s[44:45]
                                        ; implicit-def: $vgpr5
	s_branch .LBB39_457
.LBB39_419:
	s_mov_b64 s[52:53], -1
	s_mov_b64 s[0:1], 0
                                        ; implicit-def: $vgpr3
	s_mov_b64 s[50:51], s[42:43]
	s_branch .LBB39_605
.LBB39_420:
	s_mov_b64 s[50:51], -1
	s_mov_b64 s[0:1], 0
	s_mov_b64 s[48:49], s[44:45]
                                        ; implicit-def: $vgpr5
	s_branch .LBB39_440
.LBB39_421:
	s_mov_b64 s[52:53], -1
	s_mov_b64 s[0:1], 0
	s_mov_b64 s[50:51], s[42:43]
                                        ; implicit-def: $vgpr3
	s_branch .LBB39_571
.LBB39_422:
	s_mov_b64 s[50:51], -1
	s_mov_b64 s[0:1], 0
	s_mov_b64 s[48:49], s[44:45]
                                        ; implicit-def: $vgpr5
	s_branch .LBB39_435
.LBB39_423:
	s_mov_b64 s[52:53], -1
	s_mov_b64 s[0:1], 0
	s_mov_b64 s[50:51], s[42:43]
                                        ; implicit-def: $vgpr3
	s_branch .LBB39_554
.LBB39_424:
	s_mov_b64 s[50:51], -1
	s_mov_b64 s[0:1], 0
	s_mov_b64 s[48:49], s[44:45]
                                        ; implicit-def: $vgpr5
	s_branch .LBB39_429
.LBB39_425:
	s_mov_b64 s[52:53], -1
	s_mov_b64 s[0:1], 0
	s_mov_b64 s[50:51], s[42:43]
                                        ; implicit-def: $vgpr3
	s_branch .LBB39_549
.LBB39_426:
	s_andn2_saveexec_b64 s[54:55], s[54:55]
	s_cbranch_execz .LBB39_187
.LBB39_427:
	v_add_f32_e32 v2, 0x46000000, v3
	v_and_b32_e32 v2, 0xff, v2
	v_cmp_ne_u32_e32 vcc, 0, v2
	s_andn2_b64 s[52:53], s[52:53], exec
	s_and_b64 s[58:59], vcc, exec
	s_or_b64 s[52:53], s[52:53], s[58:59]
	s_or_b64 exec, exec, s[54:55]
	v_mov_b32_e32 v4, 0
	s_and_saveexec_b64 s[54:55], s[52:53]
	s_cbranch_execnz .LBB39_188
	s_branch .LBB39_189
.LBB39_428:
	s_mov_b64 s[48:49], -1
                                        ; implicit-def: $vgpr5
	s_mov_b64 s[0:1], 0
.LBB39_429:
	s_and_b64 vcc, exec, s[50:51]
	s_cbranch_vccz .LBB39_434
; %bb.430:
	s_cmp_eq_u32 s52, 44
	s_cbranch_scc0 .LBB39_433
; %bb.431:
	global_load_ubyte v1, v[3:4], off
	s_mov_b64 s[0:1], -1
	s_mov_b64 s[48:49], 0
	s_waitcnt vmcnt(0)
	v_lshlrev_b32_e32 v5, 23, v1
	v_cvt_i32_f32_e32 v5, v5
	v_cmp_ne_u32_e32 vcc, 0, v1
	v_cndmask_b32_e32 v5, 0, v5, vcc
	s_branch .LBB39_434
.LBB39_432:
	s_mov_b64 s[52:53], -1
	s_mov_b64 s[0:1], 0
	s_mov_b64 s[50:51], s[42:43]
                                        ; implicit-def: $vgpr3
	s_branch .LBB39_544
.LBB39_433:
	s_mov_b64 s[48:49], -1
                                        ; implicit-def: $vgpr5
.LBB39_434:
	s_mov_b64 s[50:51], 0
.LBB39_435:
	s_and_b64 vcc, exec, s[50:51]
	s_cbranch_vccz .LBB39_439
; %bb.436:
	s_cmp_eq_u32 s52, 29
	s_cbranch_scc0 .LBB39_438
; %bb.437:
	global_load_dword v5, v[3:4], off
	s_mov_b64 s[0:1], -1
	s_mov_b64 s[48:49], 0
	s_branch .LBB39_439
.LBB39_438:
	s_mov_b64 s[48:49], -1
                                        ; implicit-def: $vgpr5
.LBB39_439:
	s_mov_b64 s[50:51], 0
.LBB39_440:
	s_and_b64 vcc, exec, s[50:51]
	s_cbranch_vccz .LBB39_456
; %bb.441:
	s_cmp_lt_i32 s52, 27
	s_cbranch_scc1 .LBB39_444
; %bb.442:
	s_cmp_gt_i32 s52, 27
	s_cbranch_scc0 .LBB39_445
; %bb.443:
	global_load_dword v5, v[3:4], off
	s_mov_b64 s[0:1], 0
	s_branch .LBB39_446
.LBB39_444:
	s_mov_b64 s[0:1], -1
                                        ; implicit-def: $vgpr5
	s_branch .LBB39_449
.LBB39_445:
	s_mov_b64 s[0:1], -1
                                        ; implicit-def: $vgpr5
.LBB39_446:
	s_andn2_b64 vcc, exec, s[0:1]
	s_cbranch_vccnz .LBB39_448
; %bb.447:
	global_load_ushort v5, v[3:4], off
.LBB39_448:
	s_mov_b64 s[0:1], 0
.LBB39_449:
	s_andn2_b64 vcc, exec, s[0:1]
	s_cbranch_vccnz .LBB39_455
; %bb.450:
	global_load_ubyte v1, v[3:4], off
	s_movk_i32 s0, 0x7f
	s_mov_b64 s[50:51], 0
	s_waitcnt vmcnt(0)
	v_cmp_lt_i16_e32 vcc, s0, v1
	s_and_saveexec_b64 s[0:1], vcc
	s_xor_b64 s[0:1], exec, s[0:1]
	s_cbranch_execz .LBB39_467
; %bb.451:
	s_movk_i32 s50, 0x80
	v_cmp_ne_u16_e32 vcc, s50, v1
	s_and_b64 s[50:51], vcc, exec
	s_andn2_saveexec_b64 s[0:1], s[0:1]
	s_cbranch_execnz .LBB39_468
.LBB39_452:
	s_or_b64 exec, exec, s[0:1]
	v_mov_b32_e32 v5, 0
	s_and_saveexec_b64 s[0:1], s[50:51]
	s_cbranch_execz .LBB39_454
.LBB39_453:
	v_lshlrev_b32_e32 v5, 24, v1
	v_and_b32_e32 v1, 0xffff, v1
	v_and_b32_e32 v6, 7, v1
	v_ffbh_u32_e32 v9, v6
	v_min_u32_e32 v9, 32, v9
	v_subrev_u32_e32 v10, 28, v9
	v_bfe_u32 v7, v1, 3, 4
	v_lshlrev_b32_e32 v1, v10, v1
	v_sub_u32_e32 v9, 29, v9
	v_and_b32_e32 v1, 7, v1
	v_cmp_eq_u32_e32 vcc, 0, v7
	v_cndmask_b32_e32 v7, v7, v9, vcc
	v_cndmask_b32_e32 v1, v6, v1, vcc
	v_mov_b32_e32 v6, 0x3b800000
	v_lshlrev_b32_e32 v1, 20, v1
	v_and_b32_e32 v5, 0x80000000, v5
	v_lshl_add_u32 v6, v7, 23, v6
	v_or3_b32 v1, v5, v6, v1
	v_cvt_i32_f32_e32 v5, v1
.LBB39_454:
	s_or_b64 exec, exec, s[0:1]
.LBB39_455:
	s_mov_b64 s[0:1], -1
.LBB39_456:
	s_mov_b64 s[50:51], 0
.LBB39_457:
	s_and_b64 vcc, exec, s[50:51]
	s_cbranch_vccz .LBB39_490
; %bb.458:
	s_cmp_gt_i32 s52, 22
	s_cbranch_scc0 .LBB39_466
; %bb.459:
	s_cmp_lt_i32 s52, 24
	s_cbranch_scc1 .LBB39_469
; %bb.460:
	s_cmp_gt_i32 s52, 24
	s_cbranch_scc0 .LBB39_470
; %bb.461:
	global_load_ubyte v1, v[3:4], off
	s_movk_i32 s0, 0x7f
	s_mov_b64 s[50:51], 0
	s_waitcnt vmcnt(0)
	v_cmp_lt_i16_e32 vcc, s0, v1
	s_and_saveexec_b64 s[0:1], vcc
	s_xor_b64 s[0:1], exec, s[0:1]
	s_cbranch_execz .LBB39_482
; %bb.462:
	s_movk_i32 s50, 0x80
	v_cmp_ne_u16_e32 vcc, s50, v1
	s_and_b64 s[50:51], vcc, exec
	s_andn2_saveexec_b64 s[0:1], s[0:1]
	s_cbranch_execnz .LBB39_483
.LBB39_463:
	s_or_b64 exec, exec, s[0:1]
	v_mov_b32_e32 v5, 0
	s_and_saveexec_b64 s[0:1], s[50:51]
	s_cbranch_execz .LBB39_465
.LBB39_464:
	v_lshlrev_b32_e32 v5, 24, v1
	v_and_b32_e32 v1, 0xffff, v1
	v_and_b32_e32 v6, 3, v1
	v_ffbh_u32_e32 v9, v6
	v_min_u32_e32 v9, 32, v9
	v_subrev_u32_e32 v10, 29, v9
	v_bfe_u32 v7, v1, 2, 5
	v_lshlrev_b32_e32 v1, v10, v1
	v_sub_u32_e32 v9, 30, v9
	v_and_b32_e32 v1, 3, v1
	v_cmp_eq_u32_e32 vcc, 0, v7
	v_cndmask_b32_e32 v7, v7, v9, vcc
	v_cndmask_b32_e32 v1, v6, v1, vcc
	v_mov_b32_e32 v6, 0x37800000
	v_lshlrev_b32_e32 v1, 21, v1
	v_and_b32_e32 v5, 0x80000000, v5
	v_lshl_add_u32 v6, v7, 23, v6
	v_or3_b32 v1, v5, v6, v1
	v_cvt_i32_f32_e32 v5, v1
.LBB39_465:
	s_or_b64 exec, exec, s[0:1]
	s_mov_b64 s[0:1], 0
	s_branch .LBB39_471
.LBB39_466:
	s_mov_b64 s[50:51], -1
                                        ; implicit-def: $vgpr5
	s_branch .LBB39_477
.LBB39_467:
	s_andn2_saveexec_b64 s[0:1], s[0:1]
	s_cbranch_execz .LBB39_452
.LBB39_468:
	v_cmp_ne_u16_e32 vcc, 0, v1
	s_andn2_b64 s[50:51], s[50:51], exec
	s_and_b64 s[56:57], vcc, exec
	s_or_b64 s[50:51], s[50:51], s[56:57]
	s_or_b64 exec, exec, s[0:1]
	v_mov_b32_e32 v5, 0
	s_and_saveexec_b64 s[0:1], s[50:51]
	s_cbranch_execnz .LBB39_453
	s_branch .LBB39_454
.LBB39_469:
	s_mov_b64 s[0:1], -1
                                        ; implicit-def: $vgpr5
	s_branch .LBB39_474
.LBB39_470:
	s_mov_b64 s[0:1], -1
                                        ; implicit-def: $vgpr5
.LBB39_471:
	s_and_b64 vcc, exec, s[0:1]
	s_cbranch_vccz .LBB39_473
; %bb.472:
	global_load_ubyte v1, v[3:4], off
	s_mov_b32 s0, 0x7f800000
	s_waitcnt vmcnt(0)
	v_lshlrev_b32_e32 v1, 24, v1
	v_and_b32_e32 v5, 0x7f000000, v1
	v_ffbh_u32_e32 v6, v5
	v_min_u32_e32 v6, 32, v6
	v_sub_u32_e64 v6, v6, 4 clamp
	v_lshlrev_b32_e32 v9, v6, v5
	v_lshlrev_b32_e32 v6, 23, v6
	v_lshrrev_b32_e32 v9, 4, v9
	v_add_u32_e32 v7, 0x1000000, v5
	v_sub_u32_e32 v6, v9, v6
	v_ashrrev_i32_e32 v7, 8, v7
	v_add_u32_e32 v6, 0x3c000000, v6
	v_and_or_b32 v6, v7, s0, v6
	v_cmp_ne_u32_e32 vcc, 0, v5
	v_cndmask_b32_e32 v5, 0, v6, vcc
	s_brev_b32 s0, 1
	v_and_or_b32 v1, v1, s0, v5
	v_cvt_i32_f32_e32 v5, v1
.LBB39_473:
	s_mov_b64 s[0:1], 0
.LBB39_474:
	s_andn2_b64 vcc, exec, s[0:1]
	s_cbranch_vccnz .LBB39_476
; %bb.475:
	global_load_ubyte v1, v[3:4], off
	s_movk_i32 s0, 0x7f00
	s_brev_b32 s1, 16
	s_waitcnt vmcnt(0)
	v_lshlrev_b16_e32 v5, 8, v1
	v_lshlrev_b32_e32 v1, 25, v1
	v_lshrrev_b32_e32 v6, 4, v1
	v_and_or_b32 v7, v5, s0, 0.5
	v_or_b32_e32 v6, 0x70000000, v6
	v_add_f32_e32 v7, -0.5, v7
	v_mul_f32_e32 v6, 0x7800000, v6
	v_cmp_gt_u32_e32 vcc, s1, v1
	v_bfe_i32 v5, v5, 0, 16
	v_cndmask_b32_e32 v1, v6, v7, vcc
	s_brev_b32 s0, 1
	v_and_or_b32 v1, v5, s0, v1
	v_cvt_i32_f32_e32 v5, v1
.LBB39_476:
	s_mov_b64 s[50:51], 0
	s_mov_b64 s[0:1], -1
.LBB39_477:
	s_andn2_b64 vcc, exec, s[50:51]
	s_cbranch_vccnz .LBB39_490
; %bb.478:
	s_cmp_gt_i32 s52, 14
	s_cbranch_scc0 .LBB39_481
; %bb.479:
	s_cmp_eq_u32 s52, 15
	s_cbranch_scc0 .LBB39_484
; %bb.480:
	global_load_ushort v1, v[3:4], off
	s_mov_b64 s[0:1], -1
	s_mov_b64 s[48:49], 0
	s_waitcnt vmcnt(0)
	v_lshlrev_b32_e32 v1, 16, v1
	v_cvt_i32_f32_e32 v5, v1
	s_branch .LBB39_485
.LBB39_481:
	s_mov_b64 s[50:51], -1
                                        ; implicit-def: $vgpr5
	s_branch .LBB39_486
.LBB39_482:
	s_andn2_saveexec_b64 s[0:1], s[0:1]
	s_cbranch_execz .LBB39_463
.LBB39_483:
	v_cmp_ne_u16_e32 vcc, 0, v1
	s_andn2_b64 s[50:51], s[50:51], exec
	s_and_b64 s[56:57], vcc, exec
	s_or_b64 s[50:51], s[50:51], s[56:57]
	s_or_b64 exec, exec, s[0:1]
	v_mov_b32_e32 v5, 0
	s_and_saveexec_b64 s[0:1], s[50:51]
	s_cbranch_execnz .LBB39_464
	s_branch .LBB39_465
.LBB39_484:
	s_mov_b64 s[48:49], -1
                                        ; implicit-def: $vgpr5
.LBB39_485:
	s_mov_b64 s[50:51], 0
.LBB39_486:
	s_and_b64 vcc, exec, s[50:51]
	s_cbranch_vccz .LBB39_490
; %bb.487:
	s_cmp_eq_u32 s52, 11
	s_cbranch_scc0 .LBB39_489
; %bb.488:
	global_load_ubyte v1, v[3:4], off
	s_mov_b64 s[0:1], -1
	s_mov_b64 s[48:49], 0
	s_waitcnt vmcnt(0)
	v_cmp_ne_u16_e32 vcc, 0, v1
	v_cndmask_b32_e64 v5, 0, 1, vcc
	s_branch .LBB39_490
.LBB39_489:
	s_mov_b64 s[48:49], -1
                                        ; implicit-def: $vgpr5
.LBB39_490:
	s_branch .LBB39_410
.LBB39_491:
	s_and_b32 s14, 0xffff, s14
	s_cmp_lt_i32 s14, 5
	s_cbranch_scc1 .LBB39_496
; %bb.492:
	s_cmp_lt_i32 s14, 8
	s_cbranch_scc1 .LBB39_497
; %bb.493:
	;; [unrolled: 3-line block ×3, first 2 shown]
	s_cmp_gt_i32 s14, 9
	s_cbranch_scc0 .LBB39_499
; %bb.495:
	global_load_dwordx2 v[5:6], v[3:4], off
	s_mov_b64 s[0:1], 0
	s_waitcnt vmcnt(0)
	v_cvt_i32_f64_e32 v5, v[5:6]
	s_branch .LBB39_500
.LBB39_496:
	s_mov_b64 s[0:1], -1
                                        ; implicit-def: $vgpr5
	s_branch .LBB39_518
.LBB39_497:
	s_mov_b64 s[0:1], -1
                                        ; implicit-def: $vgpr5
	s_branch .LBB39_506
.LBB39_498:
	s_mov_b64 s[0:1], -1
                                        ; implicit-def: $vgpr5
	s_branch .LBB39_503
.LBB39_499:
	s_mov_b64 s[0:1], -1
                                        ; implicit-def: $vgpr5
.LBB39_500:
	s_andn2_b64 vcc, exec, s[0:1]
	s_cbranch_vccnz .LBB39_502
; %bb.501:
	global_load_dword v1, v[3:4], off
	s_waitcnt vmcnt(0)
	v_cvt_i32_f32_e32 v5, v1
.LBB39_502:
	s_mov_b64 s[0:1], 0
.LBB39_503:
	s_andn2_b64 vcc, exec, s[0:1]
	s_cbranch_vccnz .LBB39_505
; %bb.504:
	global_load_dword v1, v[3:4], off
	s_waitcnt vmcnt(0)
	v_cvt_f32_f16_e32 v1, v1
	v_cvt_i32_f32_e32 v5, v1
.LBB39_505:
	s_mov_b64 s[0:1], 0
.LBB39_506:
	s_andn2_b64 vcc, exec, s[0:1]
	s_cbranch_vccnz .LBB39_517
; %bb.507:
	s_cmp_lt_i32 s14, 6
	s_cbranch_scc1 .LBB39_510
; %bb.508:
	s_cmp_gt_i32 s14, 6
	s_cbranch_scc0 .LBB39_511
; %bb.509:
	global_load_dwordx2 v[5:6], v[3:4], off
	s_mov_b64 s[0:1], 0
	s_waitcnt vmcnt(0)
	v_cvt_i32_f64_e32 v5, v[5:6]
	s_branch .LBB39_512
.LBB39_510:
	s_mov_b64 s[0:1], -1
                                        ; implicit-def: $vgpr5
	s_branch .LBB39_515
.LBB39_511:
	s_mov_b64 s[0:1], -1
                                        ; implicit-def: $vgpr5
.LBB39_512:
	s_andn2_b64 vcc, exec, s[0:1]
	s_cbranch_vccnz .LBB39_514
; %bb.513:
	global_load_dword v1, v[3:4], off
	s_waitcnt vmcnt(0)
	v_cvt_i32_f32_e32 v5, v1
.LBB39_514:
	s_mov_b64 s[0:1], 0
.LBB39_515:
	s_andn2_b64 vcc, exec, s[0:1]
	s_cbranch_vccnz .LBB39_517
; %bb.516:
	global_load_ushort v1, v[3:4], off
	s_waitcnt vmcnt(0)
	v_cvt_f32_f16_e32 v1, v1
	v_cvt_i32_f32_e32 v5, v1
.LBB39_517:
	s_mov_b64 s[0:1], 0
.LBB39_518:
	s_andn2_b64 vcc, exec, s[0:1]
	s_cbranch_vccnz .LBB39_538
; %bb.519:
	s_cmp_lt_i32 s14, 2
	s_cbranch_scc1 .LBB39_523
; %bb.520:
	s_cmp_lt_i32 s14, 3
	s_cbranch_scc1 .LBB39_524
; %bb.521:
	s_cmp_gt_i32 s14, 3
	s_cbranch_scc0 .LBB39_525
; %bb.522:
	global_load_dword v5, v[3:4], off
	s_mov_b64 s[0:1], 0
	s_branch .LBB39_526
.LBB39_523:
	s_mov_b64 s[0:1], -1
                                        ; implicit-def: $vgpr5
	s_branch .LBB39_532
.LBB39_524:
	s_mov_b64 s[0:1], -1
                                        ; implicit-def: $vgpr5
	s_branch .LBB39_529
.LBB39_525:
	s_mov_b64 s[0:1], -1
                                        ; implicit-def: $vgpr5
.LBB39_526:
	s_andn2_b64 vcc, exec, s[0:1]
	s_cbranch_vccnz .LBB39_528
; %bb.527:
	global_load_dword v5, v[3:4], off
.LBB39_528:
	s_mov_b64 s[0:1], 0
.LBB39_529:
	s_andn2_b64 vcc, exec, s[0:1]
	s_cbranch_vccnz .LBB39_531
; %bb.530:
	global_load_sshort v5, v[3:4], off
.LBB39_531:
	s_mov_b64 s[0:1], 0
.LBB39_532:
	s_andn2_b64 vcc, exec, s[0:1]
	s_cbranch_vccnz .LBB39_538
; %bb.533:
	s_cmp_gt_i32 s14, 0
	s_cbranch_scc0 .LBB39_535
; %bb.534:
	global_load_sbyte v5, v[3:4], off
	s_mov_b64 s[0:1], 0
	s_branch .LBB39_536
.LBB39_535:
	s_mov_b64 s[0:1], -1
                                        ; implicit-def: $vgpr5
.LBB39_536:
	s_andn2_b64 vcc, exec, s[0:1]
	s_cbranch_vccnz .LBB39_538
; %bb.537:
	global_load_ubyte v5, v[3:4], off
.LBB39_538:
	s_branch .LBB39_411
.LBB39_539:
	s_mov_b64 s[56:57], 0
	s_mov_b64 s[0:1], s[40:41]
	;; [unrolled: 1-line block ×3, first 2 shown]
.LBB39_540:
                                        ; implicit-def: $vgpr8
	s_branch .LBB39_778
.LBB39_541:
	s_andn2_saveexec_b64 s[54:55], s[54:55]
	s_cbranch_execz .LBB39_200
.LBB39_542:
	v_add_f32_e32 v2, 0x42800000, v3
	v_and_b32_e32 v2, 0xff, v2
	v_cmp_ne_u32_e32 vcc, 0, v2
	s_andn2_b64 s[52:53], s[52:53], exec
	s_and_b64 s[58:59], vcc, exec
	s_or_b64 s[52:53], s[52:53], s[58:59]
	s_or_b64 exec, exec, s[54:55]
	v_mov_b32_e32 v4, 0
	s_and_saveexec_b64 s[54:55], s[52:53]
	s_cbranch_execnz .LBB39_201
	s_branch .LBB39_202
.LBB39_543:
	s_mov_b64 s[50:51], -1
                                        ; implicit-def: $vgpr3
	s_mov_b64 s[0:1], 0
.LBB39_544:
	s_and_b64 vcc, exec, s[52:53]
	s_cbranch_vccz .LBB39_548
; %bb.545:
	s_cmp_eq_u32 s56, 44
	s_cbranch_scc0 .LBB39_547
; %bb.546:
	global_load_ubyte v3, v[1:2], off
	s_mov_b64 s[0:1], -1
	s_mov_b64 s[50:51], 0
	s_waitcnt vmcnt(0)
	v_lshlrev_b32_e32 v4, 23, v3
	v_cvt_i32_f32_e32 v4, v4
	v_cmp_ne_u32_e32 vcc, 0, v3
	v_cndmask_b32_e32 v3, 0, v4, vcc
	s_branch .LBB39_548
.LBB39_547:
	s_mov_b64 s[50:51], -1
                                        ; implicit-def: $vgpr3
.LBB39_548:
	s_mov_b64 s[52:53], 0
.LBB39_549:
	s_and_b64 vcc, exec, s[52:53]
	s_cbranch_vccz .LBB39_553
; %bb.550:
	s_cmp_eq_u32 s56, 29
	s_cbranch_scc0 .LBB39_552
; %bb.551:
	global_load_dword v3, v[1:2], off
	s_mov_b64 s[0:1], -1
	s_mov_b64 s[50:51], 0
	s_branch .LBB39_553
.LBB39_552:
	s_mov_b64 s[50:51], -1
                                        ; implicit-def: $vgpr3
.LBB39_553:
	s_mov_b64 s[52:53], 0
.LBB39_554:
	s_and_b64 vcc, exec, s[52:53]
	s_cbranch_vccz .LBB39_570
; %bb.555:
	s_cmp_lt_i32 s56, 27
	s_cbranch_scc1 .LBB39_558
; %bb.556:
	s_cmp_gt_i32 s56, 27
	s_cbranch_scc0 .LBB39_559
; %bb.557:
	global_load_dword v3, v[1:2], off
	s_mov_b64 s[0:1], 0
	s_branch .LBB39_560
.LBB39_558:
	s_mov_b64 s[0:1], -1
                                        ; implicit-def: $vgpr3
	s_branch .LBB39_563
.LBB39_559:
	s_mov_b64 s[0:1], -1
                                        ; implicit-def: $vgpr3
.LBB39_560:
	s_andn2_b64 vcc, exec, s[0:1]
	s_cbranch_vccnz .LBB39_562
; %bb.561:
	global_load_ushort v3, v[1:2], off
.LBB39_562:
	s_mov_b64 s[0:1], 0
.LBB39_563:
	s_andn2_b64 vcc, exec, s[0:1]
	s_cbranch_vccnz .LBB39_569
; %bb.564:
	global_load_ubyte v4, v[1:2], off
	s_movk_i32 s0, 0x7f
	s_mov_b64 s[52:53], 0
	s_waitcnt vmcnt(0)
	v_cmp_lt_i16_e32 vcc, s0, v4
	s_and_saveexec_b64 s[0:1], vcc
	s_xor_b64 s[0:1], exec, s[0:1]
	s_cbranch_execz .LBB39_581
; %bb.565:
	s_movk_i32 s52, 0x80
	v_cmp_ne_u16_e32 vcc, s52, v4
	s_and_b64 s[52:53], vcc, exec
	s_andn2_saveexec_b64 s[0:1], s[0:1]
	s_cbranch_execnz .LBB39_582
.LBB39_566:
	s_or_b64 exec, exec, s[0:1]
	v_mov_b32_e32 v3, 0
	s_and_saveexec_b64 s[0:1], s[52:53]
	s_cbranch_execz .LBB39_568
.LBB39_567:
	v_lshlrev_b32_e32 v3, 24, v4
	v_and_b32_e32 v4, 0xffff, v4
	v_and_b32_e32 v6, 7, v4
	v_ffbh_u32_e32 v9, v6
	v_min_u32_e32 v9, 32, v9
	v_subrev_u32_e32 v10, 28, v9
	v_bfe_u32 v7, v4, 3, 4
	v_lshlrev_b32_e32 v4, v10, v4
	v_sub_u32_e32 v9, 29, v9
	v_and_b32_e32 v4, 7, v4
	v_cmp_eq_u32_e32 vcc, 0, v7
	v_cndmask_b32_e32 v7, v7, v9, vcc
	v_cndmask_b32_e32 v4, v6, v4, vcc
	v_mov_b32_e32 v6, 0x3b800000
	v_lshlrev_b32_e32 v4, 20, v4
	v_and_b32_e32 v3, 0x80000000, v3
	v_lshl_add_u32 v6, v7, 23, v6
	v_or3_b32 v3, v3, v6, v4
	v_cvt_i32_f32_e32 v3, v3
.LBB39_568:
	s_or_b64 exec, exec, s[0:1]
.LBB39_569:
	s_mov_b64 s[0:1], -1
.LBB39_570:
	s_mov_b64 s[52:53], 0
.LBB39_571:
	s_and_b64 vcc, exec, s[52:53]
	s_cbranch_vccz .LBB39_604
; %bb.572:
	s_cmp_gt_i32 s56, 22
	s_cbranch_scc0 .LBB39_580
; %bb.573:
	s_cmp_lt_i32 s56, 24
	s_cbranch_scc1 .LBB39_583
; %bb.574:
	s_cmp_gt_i32 s56, 24
	s_cbranch_scc0 .LBB39_584
; %bb.575:
	global_load_ubyte v4, v[1:2], off
	s_movk_i32 s0, 0x7f
	s_mov_b64 s[52:53], 0
	s_waitcnt vmcnt(0)
	v_cmp_lt_i16_e32 vcc, s0, v4
	s_and_saveexec_b64 s[0:1], vcc
	s_xor_b64 s[0:1], exec, s[0:1]
	s_cbranch_execz .LBB39_596
; %bb.576:
	s_movk_i32 s52, 0x80
	v_cmp_ne_u16_e32 vcc, s52, v4
	s_and_b64 s[52:53], vcc, exec
	s_andn2_saveexec_b64 s[0:1], s[0:1]
	s_cbranch_execnz .LBB39_597
.LBB39_577:
	s_or_b64 exec, exec, s[0:1]
	v_mov_b32_e32 v3, 0
	s_and_saveexec_b64 s[0:1], s[52:53]
	s_cbranch_execz .LBB39_579
.LBB39_578:
	v_lshlrev_b32_e32 v3, 24, v4
	v_and_b32_e32 v4, 0xffff, v4
	v_and_b32_e32 v6, 3, v4
	v_ffbh_u32_e32 v9, v6
	v_min_u32_e32 v9, 32, v9
	v_subrev_u32_e32 v10, 29, v9
	v_bfe_u32 v7, v4, 2, 5
	v_lshlrev_b32_e32 v4, v10, v4
	v_sub_u32_e32 v9, 30, v9
	v_and_b32_e32 v4, 3, v4
	v_cmp_eq_u32_e32 vcc, 0, v7
	v_cndmask_b32_e32 v7, v7, v9, vcc
	v_cndmask_b32_e32 v4, v6, v4, vcc
	v_mov_b32_e32 v6, 0x37800000
	v_lshlrev_b32_e32 v4, 21, v4
	v_and_b32_e32 v3, 0x80000000, v3
	v_lshl_add_u32 v6, v7, 23, v6
	v_or3_b32 v3, v3, v6, v4
	v_cvt_i32_f32_e32 v3, v3
.LBB39_579:
	s_or_b64 exec, exec, s[0:1]
	s_mov_b64 s[0:1], 0
	s_branch .LBB39_585
.LBB39_580:
	s_mov_b64 s[52:53], -1
                                        ; implicit-def: $vgpr3
	s_branch .LBB39_591
.LBB39_581:
	s_andn2_saveexec_b64 s[0:1], s[0:1]
	s_cbranch_execz .LBB39_566
.LBB39_582:
	v_cmp_ne_u16_e32 vcc, 0, v4
	s_andn2_b64 s[52:53], s[52:53], exec
	s_and_b64 s[58:59], vcc, exec
	s_or_b64 s[52:53], s[52:53], s[58:59]
	s_or_b64 exec, exec, s[0:1]
	v_mov_b32_e32 v3, 0
	s_and_saveexec_b64 s[0:1], s[52:53]
	s_cbranch_execnz .LBB39_567
	s_branch .LBB39_568
.LBB39_583:
	s_mov_b64 s[0:1], -1
                                        ; implicit-def: $vgpr3
	s_branch .LBB39_588
.LBB39_584:
	s_mov_b64 s[0:1], -1
                                        ; implicit-def: $vgpr3
.LBB39_585:
	s_and_b64 vcc, exec, s[0:1]
	s_cbranch_vccz .LBB39_587
; %bb.586:
	global_load_ubyte v3, v[1:2], off
	s_mov_b32 s0, 0x7f800000
	s_waitcnt vmcnt(0)
	v_lshlrev_b32_e32 v3, 24, v3
	v_and_b32_e32 v4, 0x7f000000, v3
	v_ffbh_u32_e32 v6, v4
	v_min_u32_e32 v6, 32, v6
	v_sub_u32_e64 v6, v6, 4 clamp
	v_lshlrev_b32_e32 v9, v6, v4
	v_lshlrev_b32_e32 v6, 23, v6
	v_lshrrev_b32_e32 v9, 4, v9
	v_add_u32_e32 v7, 0x1000000, v4
	v_sub_u32_e32 v6, v9, v6
	v_ashrrev_i32_e32 v7, 8, v7
	v_add_u32_e32 v6, 0x3c000000, v6
	v_and_or_b32 v6, v7, s0, v6
	v_cmp_ne_u32_e32 vcc, 0, v4
	v_cndmask_b32_e32 v4, 0, v6, vcc
	s_brev_b32 s0, 1
	v_and_or_b32 v3, v3, s0, v4
	v_cvt_i32_f32_e32 v3, v3
.LBB39_587:
	s_mov_b64 s[0:1], 0
.LBB39_588:
	s_andn2_b64 vcc, exec, s[0:1]
	s_cbranch_vccnz .LBB39_590
; %bb.589:
	global_load_ubyte v3, v[1:2], off
	s_movk_i32 s0, 0x7f00
	s_brev_b32 s1, 16
	s_waitcnt vmcnt(0)
	v_lshlrev_b16_e32 v4, 8, v3
	v_lshlrev_b32_e32 v3, 25, v3
	v_lshrrev_b32_e32 v6, 4, v3
	v_and_or_b32 v7, v4, s0, 0.5
	v_or_b32_e32 v6, 0x70000000, v6
	v_add_f32_e32 v7, -0.5, v7
	v_mul_f32_e32 v6, 0x7800000, v6
	v_cmp_gt_u32_e32 vcc, s1, v3
	v_bfe_i32 v4, v4, 0, 16
	v_cndmask_b32_e32 v3, v6, v7, vcc
	s_brev_b32 s0, 1
	v_and_or_b32 v3, v4, s0, v3
	v_cvt_i32_f32_e32 v3, v3
.LBB39_590:
	s_mov_b64 s[52:53], 0
	s_mov_b64 s[0:1], -1
.LBB39_591:
	s_andn2_b64 vcc, exec, s[52:53]
	s_cbranch_vccnz .LBB39_604
; %bb.592:
	s_cmp_gt_i32 s56, 14
	s_cbranch_scc0 .LBB39_595
; %bb.593:
	s_cmp_eq_u32 s56, 15
	s_cbranch_scc0 .LBB39_598
; %bb.594:
	global_load_ushort v3, v[1:2], off
	s_mov_b64 s[0:1], -1
	s_mov_b64 s[50:51], 0
	s_waitcnt vmcnt(0)
	v_lshlrev_b32_e32 v3, 16, v3
	v_cvt_i32_f32_e32 v3, v3
	s_branch .LBB39_599
.LBB39_595:
	s_mov_b64 s[52:53], -1
                                        ; implicit-def: $vgpr3
	s_branch .LBB39_600
.LBB39_596:
	s_andn2_saveexec_b64 s[0:1], s[0:1]
	s_cbranch_execz .LBB39_577
.LBB39_597:
	v_cmp_ne_u16_e32 vcc, 0, v4
	s_andn2_b64 s[52:53], s[52:53], exec
	s_and_b64 s[58:59], vcc, exec
	s_or_b64 s[52:53], s[52:53], s[58:59]
	s_or_b64 exec, exec, s[0:1]
	v_mov_b32_e32 v3, 0
	s_and_saveexec_b64 s[0:1], s[52:53]
	s_cbranch_execnz .LBB39_578
	s_branch .LBB39_579
.LBB39_598:
	s_mov_b64 s[50:51], -1
                                        ; implicit-def: $vgpr3
.LBB39_599:
	s_mov_b64 s[52:53], 0
.LBB39_600:
	s_and_b64 vcc, exec, s[52:53]
	s_cbranch_vccz .LBB39_604
; %bb.601:
	s_cmp_eq_u32 s56, 11
	s_cbranch_scc0 .LBB39_603
; %bb.602:
	global_load_ubyte v3, v[1:2], off
	s_mov_b64 s[0:1], -1
	s_mov_b64 s[50:51], 0
	s_waitcnt vmcnt(0)
	v_cmp_ne_u16_e32 vcc, 0, v3
	v_cndmask_b32_e64 v3, 0, 1, vcc
	s_branch .LBB39_604
.LBB39_603:
	s_mov_b64 s[50:51], -1
                                        ; implicit-def: $vgpr3
.LBB39_604:
	s_mov_b64 s[52:53], 0
.LBB39_605:
	s_and_b64 vcc, exec, s[52:53]
	s_cbranch_vccz .LBB39_654
; %bb.606:
	s_and_b32 s14, 0xffff, s14
	s_cmp_lt_i32 s14, 5
	s_cbranch_scc1 .LBB39_611
; %bb.607:
	s_cmp_lt_i32 s14, 8
	s_cbranch_scc1 .LBB39_612
; %bb.608:
	;; [unrolled: 3-line block ×3, first 2 shown]
	s_cmp_gt_i32 s14, 9
	s_cbranch_scc0 .LBB39_614
; %bb.610:
	global_load_dwordx2 v[3:4], v[1:2], off
	s_mov_b64 s[0:1], 0
	s_waitcnt vmcnt(0)
	v_cvt_i32_f64_e32 v3, v[3:4]
	s_branch .LBB39_615
.LBB39_611:
	s_mov_b64 s[0:1], -1
                                        ; implicit-def: $vgpr3
	s_branch .LBB39_633
.LBB39_612:
	s_mov_b64 s[0:1], -1
                                        ; implicit-def: $vgpr3
	s_branch .LBB39_621
.LBB39_613:
	s_mov_b64 s[0:1], -1
                                        ; implicit-def: $vgpr3
	s_branch .LBB39_618
.LBB39_614:
	s_mov_b64 s[0:1], -1
                                        ; implicit-def: $vgpr3
.LBB39_615:
	s_andn2_b64 vcc, exec, s[0:1]
	s_cbranch_vccnz .LBB39_617
; %bb.616:
	global_load_dword v3, v[1:2], off
	s_waitcnt vmcnt(0)
	v_cvt_i32_f32_e32 v3, v3
.LBB39_617:
	s_mov_b64 s[0:1], 0
.LBB39_618:
	s_andn2_b64 vcc, exec, s[0:1]
	s_cbranch_vccnz .LBB39_620
; %bb.619:
	global_load_dword v3, v[1:2], off
	s_waitcnt vmcnt(0)
	v_cvt_f32_f16_e32 v3, v3
	v_cvt_i32_f32_e32 v3, v3
.LBB39_620:
	s_mov_b64 s[0:1], 0
.LBB39_621:
	s_andn2_b64 vcc, exec, s[0:1]
	s_cbranch_vccnz .LBB39_632
; %bb.622:
	s_cmp_lt_i32 s14, 6
	s_cbranch_scc1 .LBB39_625
; %bb.623:
	s_cmp_gt_i32 s14, 6
	s_cbranch_scc0 .LBB39_626
; %bb.624:
	global_load_dwordx2 v[3:4], v[1:2], off
	s_mov_b64 s[0:1], 0
	s_waitcnt vmcnt(0)
	v_cvt_i32_f64_e32 v3, v[3:4]
	s_branch .LBB39_627
.LBB39_625:
	s_mov_b64 s[0:1], -1
                                        ; implicit-def: $vgpr3
	s_branch .LBB39_630
.LBB39_626:
	s_mov_b64 s[0:1], -1
                                        ; implicit-def: $vgpr3
.LBB39_627:
	s_andn2_b64 vcc, exec, s[0:1]
	s_cbranch_vccnz .LBB39_629
; %bb.628:
	global_load_dword v3, v[1:2], off
	s_waitcnt vmcnt(0)
	v_cvt_i32_f32_e32 v3, v3
.LBB39_629:
	s_mov_b64 s[0:1], 0
.LBB39_630:
	s_andn2_b64 vcc, exec, s[0:1]
	s_cbranch_vccnz .LBB39_632
; %bb.631:
	global_load_ushort v3, v[1:2], off
	s_waitcnt vmcnt(0)
	v_cvt_f32_f16_e32 v3, v3
	v_cvt_i32_f32_e32 v3, v3
.LBB39_632:
	s_mov_b64 s[0:1], 0
.LBB39_633:
	s_andn2_b64 vcc, exec, s[0:1]
	s_cbranch_vccnz .LBB39_653
; %bb.634:
	s_cmp_lt_i32 s14, 2
	s_cbranch_scc1 .LBB39_638
; %bb.635:
	s_cmp_lt_i32 s14, 3
	s_cbranch_scc1 .LBB39_639
; %bb.636:
	s_cmp_gt_i32 s14, 3
	s_cbranch_scc0 .LBB39_640
; %bb.637:
	global_load_dword v3, v[1:2], off
	s_mov_b64 s[0:1], 0
	s_branch .LBB39_641
.LBB39_638:
	s_mov_b64 s[0:1], -1
                                        ; implicit-def: $vgpr3
	s_branch .LBB39_647
.LBB39_639:
	s_mov_b64 s[0:1], -1
                                        ; implicit-def: $vgpr3
	s_branch .LBB39_644
.LBB39_640:
	s_mov_b64 s[0:1], -1
                                        ; implicit-def: $vgpr3
.LBB39_641:
	s_andn2_b64 vcc, exec, s[0:1]
	s_cbranch_vccnz .LBB39_643
; %bb.642:
	global_load_dword v3, v[1:2], off
.LBB39_643:
	s_mov_b64 s[0:1], 0
.LBB39_644:
	s_andn2_b64 vcc, exec, s[0:1]
	s_cbranch_vccnz .LBB39_646
; %bb.645:
	global_load_sshort v3, v[1:2], off
.LBB39_646:
	s_mov_b64 s[0:1], 0
.LBB39_647:
	s_andn2_b64 vcc, exec, s[0:1]
	s_cbranch_vccnz .LBB39_653
; %bb.648:
	s_cmp_gt_i32 s14, 0
	s_cbranch_scc0 .LBB39_650
; %bb.649:
	global_load_sbyte v3, v[1:2], off
	s_mov_b64 s[0:1], 0
	s_branch .LBB39_651
.LBB39_650:
	s_mov_b64 s[0:1], -1
                                        ; implicit-def: $vgpr3
.LBB39_651:
	s_andn2_b64 vcc, exec, s[0:1]
	s_cbranch_vccnz .LBB39_653
; %bb.652:
	global_load_ubyte v3, v[1:2], off
.LBB39_653:
	s_mov_b64 s[0:1], -1
.LBB39_654:
	s_andn2_b64 vcc, exec, s[0:1]
	s_cbranch_vccnz .LBB39_662
; %bb.655:
	s_waitcnt vmcnt(0)
	v_cmp_ne_u32_e32 vcc, v5, v3
	s_xor_b64 s[52:53], s[28:29], vcc
	v_mov_b32_e32 v1, s9
	s_and_b32 s14, s15, 0xff
	v_add_co_u32_e32 v0, vcc, s8, v0
	s_cmp_lt_i32 s14, 11
	v_addc_co_u32_e32 v1, vcc, 0, v1, vcc
	s_cbranch_scc1 .LBB39_663
; %bb.656:
	s_and_b32 s62, 0xffff, s14
	s_cmp_gt_i32 s62, 25
	s_cbranch_scc0 .LBB39_664
; %bb.657:
	s_cmp_gt_i32 s62, 28
	s_cbranch_scc0 .LBB39_665
; %bb.658:
	;; [unrolled: 3-line block ×4, first 2 shown]
	s_mov_b64 s[58:59], 0
	s_mov_b64 s[0:1], -1
	s_cmp_eq_u32 s62, 46
	s_mov_b64 s[56:57], 0
	s_cbranch_scc0 .LBB39_668
; %bb.661:
	v_cndmask_b32_e64 v2, 0, 1.0, s[52:53]
	v_bfe_u32 v3, v2, 16, 1
	s_movk_i32 s0, 0x7fff
	v_add3_u32 v2, v2, v3, s0
	v_lshrrev_b32_e32 v2, 16, v2
	global_store_dword v[0:1], v2, off
	s_mov_b64 s[56:57], -1
	s_mov_b64 s[0:1], 0
	s_branch .LBB39_668
.LBB39_662:
	s_mov_b64 s[56:57], 0
                                        ; implicit-def: $vgpr8
	s_mov_b64 s[0:1], s[40:41]
	s_branch .LBB39_778
.LBB39_663:
	s_mov_b64 s[58:59], -1
	s_mov_b64 s[56:57], 0
	s_mov_b64 s[0:1], s[40:41]
	s_branch .LBB39_737
.LBB39_664:
	s_mov_b64 s[58:59], -1
	s_mov_b64 s[56:57], 0
	s_mov_b64 s[0:1], s[40:41]
	s_branch .LBB39_695
.LBB39_665:
	s_mov_b64 s[58:59], -1
	s_mov_b64 s[56:57], 0
	s_mov_b64 s[0:1], s[40:41]
	s_branch .LBB39_678
.LBB39_666:
	s_mov_b64 s[58:59], -1
	s_mov_b64 s[56:57], 0
	s_mov_b64 s[0:1], s[40:41]
	s_branch .LBB39_674
.LBB39_667:
	s_mov_b64 s[58:59], -1
	s_mov_b64 s[56:57], 0
	s_mov_b64 s[0:1], s[40:41]
.LBB39_668:
	s_and_b64 vcc, exec, s[58:59]
	s_cbranch_vccz .LBB39_673
; %bb.669:
	s_cmp_eq_u32 s62, 44
	s_mov_b64 s[0:1], -1
	s_cbranch_scc0 .LBB39_673
; %bb.670:
	v_cndmask_b32_e64 v3, 0, 1.0, s[52:53]
	v_lshrrev_b32_e32 v2, 23, v3
	s_movk_i32 s0, 0xff
	v_cmp_ne_u32_e32 vcc, s0, v2
	v_mov_b32_e32 v4, 0xff
	s_and_saveexec_b64 s[56:57], vcc
; %bb.671:
	s_mov_b32 s0, 0x3fffff
	v_and_b32_e32 v4, 0x400000, v3
	v_and_or_b32 v3, v3, s0, v2
	v_cmp_ne_u32_e32 vcc, 0, v4
	v_cmp_ne_u32_e64 s[0:1], 0, v3
	s_and_b64 s[0:1], vcc, s[0:1]
	v_cndmask_b32_e64 v3, 0, 1, s[0:1]
	v_add_u32_e32 v4, v2, v3
; %bb.672:
	s_or_b64 exec, exec, s[56:57]
	s_mov_b64 s[56:57], -1
	s_mov_b64 s[0:1], 0
	global_store_byte v[0:1], v4, off
.LBB39_673:
	s_mov_b64 s[58:59], 0
.LBB39_674:
	s_and_b64 vcc, exec, s[58:59]
	s_cbranch_vccz .LBB39_677
; %bb.675:
	s_cmp_eq_u32 s62, 29
	s_mov_b64 s[0:1], -1
	s_cbranch_scc0 .LBB39_677
; %bb.676:
	s_mov_b32 s0, 0
	v_cndmask_b32_e64 v2, 0, 1, s[52:53]
	v_mov_b32_e32 v3, s0
	global_store_dwordx2 v[0:1], v[2:3], off
	s_mov_b64 s[56:57], -1
	s_mov_b64 s[0:1], 0
.LBB39_677:
	s_mov_b64 s[58:59], 0
.LBB39_678:
	s_and_b64 vcc, exec, s[58:59]
	s_cbranch_vccz .LBB39_694
; %bb.679:
	s_cmp_lt_i32 s62, 27
	s_mov_b64 s[56:57], -1
	s_cbranch_scc1 .LBB39_685
; %bb.680:
	s_cmp_gt_i32 s62, 27
	s_cbranch_scc0 .LBB39_682
; %bb.681:
	v_cndmask_b32_e64 v2, 0, 1, s[52:53]
	s_mov_b64 s[56:57], 0
	global_store_dword v[0:1], v2, off
.LBB39_682:
	s_andn2_b64 vcc, exec, s[56:57]
	s_cbranch_vccnz .LBB39_684
; %bb.683:
	v_cndmask_b32_e64 v2, 0, 1, s[52:53]
	global_store_short v[0:1], v2, off
.LBB39_684:
	s_mov_b64 s[56:57], 0
.LBB39_685:
	s_andn2_b64 vcc, exec, s[56:57]
	s_cbranch_vccnz .LBB39_693
; %bb.686:
	v_cndmask_b32_e64 v3, 0, 1.0, s[52:53]
	s_mov_b32 s56, 0x43800000
	v_cmp_gt_u32_e32 vcc, s56, v3
	v_mov_b32_e32 v4, 0x80
	s_and_saveexec_b64 s[56:57], vcc
	s_cbranch_execz .LBB39_692
; %bb.687:
	s_mov_b32 s58, 0x3bffffff
	v_cmp_lt_u32_e32 vcc, s58, v3
	s_mov_b64 s[58:59], 0
                                        ; implicit-def: $vgpr2
	s_and_saveexec_b64 s[60:61], vcc
	s_xor_b64 s[60:61], exec, s[60:61]
	s_cbranch_execz .LBB39_806
; %bb.688:
	v_bfe_u32 v2, v3, 20, 1
	s_mov_b32 s63, 0x487ffff
	v_add3_u32 v2, v3, v2, s63
	s_mov_b64 s[58:59], exec
	v_lshrrev_b32_e32 v2, 20, v2
                                        ; implicit-def: $vgpr3
	s_andn2_saveexec_b64 s[60:61], s[60:61]
	s_cbranch_execnz .LBB39_807
.LBB39_689:
	s_or_b64 exec, exec, s[60:61]
	v_mov_b32_e32 v4, 0
	s_and_saveexec_b64 s[60:61], s[58:59]
.LBB39_690:
	v_mov_b32_e32 v4, v2
.LBB39_691:
	s_or_b64 exec, exec, s[60:61]
.LBB39_692:
	s_or_b64 exec, exec, s[56:57]
	global_store_byte v[0:1], v4, off
.LBB39_693:
	s_mov_b64 s[56:57], -1
.LBB39_694:
	s_mov_b64 s[58:59], 0
.LBB39_695:
	s_and_b64 vcc, exec, s[58:59]
	s_cbranch_vccz .LBB39_736
; %bb.696:
	s_cmp_gt_i32 s62, 22
	s_mov_b64 s[58:59], -1
	s_cbranch_scc0 .LBB39_728
; %bb.697:
	s_cmp_lt_i32 s62, 24
	s_mov_b64 s[56:57], -1
	s_cbranch_scc1 .LBB39_717
; %bb.698:
	s_cmp_gt_i32 s62, 24
	s_cbranch_scc0 .LBB39_706
; %bb.699:
	v_cndmask_b32_e64 v3, 0, 1.0, s[52:53]
	s_mov_b32 s56, 0x47800000
	v_cmp_gt_u32_e32 vcc, s56, v3
	v_mov_b32_e32 v4, 0x80
	s_and_saveexec_b64 s[56:57], vcc
	s_cbranch_execz .LBB39_705
; %bb.700:
	s_mov_b32 s58, 0x37ffffff
	v_cmp_lt_u32_e32 vcc, s58, v3
	s_mov_b64 s[58:59], 0
                                        ; implicit-def: $vgpr2
	s_and_saveexec_b64 s[60:61], vcc
	s_xor_b64 s[60:61], exec, s[60:61]
	s_cbranch_execz .LBB39_934
; %bb.701:
	v_bfe_u32 v2, v3, 21, 1
	s_mov_b32 s63, 0x88fffff
	v_add3_u32 v2, v3, v2, s63
	s_mov_b64 s[58:59], exec
	v_lshrrev_b32_e32 v2, 21, v2
                                        ; implicit-def: $vgpr3
	s_andn2_saveexec_b64 s[60:61], s[60:61]
	s_cbranch_execnz .LBB39_935
.LBB39_702:
	s_or_b64 exec, exec, s[60:61]
	v_mov_b32_e32 v4, 0
	s_and_saveexec_b64 s[60:61], s[58:59]
.LBB39_703:
	v_mov_b32_e32 v4, v2
.LBB39_704:
	s_or_b64 exec, exec, s[60:61]
.LBB39_705:
	s_or_b64 exec, exec, s[56:57]
	s_mov_b64 s[56:57], 0
	global_store_byte v[0:1], v4, off
.LBB39_706:
	s_and_b64 vcc, exec, s[56:57]
	s_cbranch_vccz .LBB39_716
; %bb.707:
	v_cndmask_b32_e64 v2, 0, 1.0, s[52:53]
	s_mov_b32 s56, 0x43f00000
	v_cmp_gt_u32_e32 vcc, s56, v2
                                        ; implicit-def: $vgpr3
	s_and_saveexec_b64 s[56:57], vcc
	s_xor_b64 s[56:57], exec, s[56:57]
	s_cbranch_execz .LBB39_713
; %bb.708:
	s_mov_b32 s58, 0x3c7fffff
	v_cmp_lt_u32_e32 vcc, s58, v2
                                        ; implicit-def: $vgpr3
	s_and_saveexec_b64 s[58:59], vcc
	s_xor_b64 s[58:59], exec, s[58:59]
; %bb.709:
	v_bfe_u32 v3, v2, 20, 1
	s_mov_b32 s60, 0x407ffff
	v_add3_u32 v2, v2, v3, s60
	v_lshrrev_b32_e32 v3, 20, v2
	v_and_b32_e32 v2, 0xff00000, v2
	s_mov_b32 s60, 0x7f00000
	v_mov_b32_e32 v4, 0x7e
	v_cmp_ne_u32_e32 vcc, s60, v2
	v_cndmask_b32_e32 v3, v4, v3, vcc
                                        ; implicit-def: $vgpr2
; %bb.710:
	s_andn2_saveexec_b64 s[58:59], s[58:59]
; %bb.711:
	v_add_f32_e32 v3, 0x46800000, v2
; %bb.712:
	s_or_b64 exec, exec, s[58:59]
                                        ; implicit-def: $vgpr2
.LBB39_713:
	s_andn2_saveexec_b64 s[56:57], s[56:57]
; %bb.714:
	s_mov_b32 s58, 0x7f800000
	v_mov_b32_e32 v3, 0x7e
	v_mov_b32_e32 v4, 0x7f
	v_cmp_lt_u32_e32 vcc, s58, v2
	v_cndmask_b32_e32 v3, v3, v4, vcc
; %bb.715:
	s_or_b64 exec, exec, s[56:57]
	global_store_byte v[0:1], v3, off
.LBB39_716:
	s_mov_b64 s[56:57], 0
.LBB39_717:
	s_andn2_b64 vcc, exec, s[56:57]
	s_cbranch_vccnz .LBB39_727
; %bb.718:
	v_cndmask_b32_e64 v2, 0, 1.0, s[52:53]
	s_mov_b32 s56, 0x47800000
	v_cmp_gt_u32_e32 vcc, s56, v2
                                        ; implicit-def: $vgpr3
	s_and_saveexec_b64 s[56:57], vcc
	s_xor_b64 s[56:57], exec, s[56:57]
	s_cbranch_execz .LBB39_724
; %bb.719:
	s_mov_b32 s58, 0x387fffff
	v_cmp_lt_u32_e32 vcc, s58, v2
                                        ; implicit-def: $vgpr3
	s_and_saveexec_b64 s[58:59], vcc
	s_xor_b64 s[58:59], exec, s[58:59]
; %bb.720:
	v_bfe_u32 v3, v2, 21, 1
	s_mov_b32 s60, 0x80fffff
	v_add3_u32 v2, v2, v3, s60
	v_lshrrev_b32_e32 v3, 21, v2
                                        ; implicit-def: $vgpr2
; %bb.721:
	s_andn2_saveexec_b64 s[58:59], s[58:59]
; %bb.722:
	v_add_f32_e32 v3, 0x43000000, v2
; %bb.723:
	s_or_b64 exec, exec, s[58:59]
                                        ; implicit-def: $vgpr2
.LBB39_724:
	s_andn2_saveexec_b64 s[56:57], s[56:57]
; %bb.725:
	s_mov_b32 s58, 0x7f800000
	v_mov_b32_e32 v3, 0x7c
	v_mov_b32_e32 v4, 0x7f
	v_cmp_lt_u32_e32 vcc, s58, v2
	v_cndmask_b32_e32 v3, v3, v4, vcc
; %bb.726:
	s_or_b64 exec, exec, s[56:57]
	global_store_byte v[0:1], v3, off
.LBB39_727:
	s_mov_b64 s[58:59], 0
	s_mov_b64 s[56:57], -1
.LBB39_728:
	s_andn2_b64 vcc, exec, s[58:59]
	s_cbranch_vccnz .LBB39_736
; %bb.729:
	s_cmp_gt_i32 s62, 14
	s_mov_b64 s[58:59], -1
	s_cbranch_scc0 .LBB39_733
; %bb.730:
	s_cmp_eq_u32 s62, 15
	s_mov_b64 s[0:1], -1
	s_cbranch_scc0 .LBB39_732
; %bb.731:
	v_cndmask_b32_e64 v2, 0, 1.0, s[52:53]
	v_bfe_u32 v3, v2, 16, 1
	s_movk_i32 s0, 0x7fff
	v_add3_u32 v2, v2, v3, s0
	global_store_short_d16_hi v[0:1], v2, off
	s_mov_b64 s[56:57], -1
	s_mov_b64 s[0:1], 0
.LBB39_732:
	s_mov_b64 s[58:59], 0
.LBB39_733:
	s_and_b64 vcc, exec, s[58:59]
	s_cbranch_vccz .LBB39_736
; %bb.734:
	s_cmp_eq_u32 s62, 11
	s_mov_b64 s[0:1], -1
	s_cbranch_scc0 .LBB39_736
; %bb.735:
	v_cndmask_b32_e64 v2, 0, 1, s[52:53]
	s_mov_b64 s[56:57], -1
	s_mov_b64 s[0:1], 0
	global_store_byte v[0:1], v2, off
.LBB39_736:
	s_mov_b64 s[58:59], 0
.LBB39_737:
	s_and_b64 vcc, exec, s[58:59]
	s_cbranch_vccz .LBB39_776
; %bb.738:
	s_and_b32 s14, 0xffff, s14
	s_cmp_lt_i32 s14, 5
	s_mov_b64 s[56:57], -1
	s_cbranch_scc1 .LBB39_759
; %bb.739:
	s_cmp_lt_i32 s14, 8
	s_cbranch_scc1 .LBB39_749
; %bb.740:
	s_cmp_lt_i32 s14, 9
	s_cbranch_scc1 .LBB39_746
; %bb.741:
	s_cmp_gt_i32 s14, 9
	s_cbranch_scc0 .LBB39_743
; %bb.742:
	v_cndmask_b32_e64 v2, 0, 1, s[52:53]
	v_cvt_f64_u32_e32 v[2:3], v2
	v_mov_b32_e32 v4, 0
	v_mov_b32_e32 v5, v4
	s_mov_b64 s[56:57], 0
	global_store_dwordx4 v[0:1], v[2:5], off
.LBB39_743:
	s_andn2_b64 vcc, exec, s[56:57]
	s_cbranch_vccnz .LBB39_745
; %bb.744:
	v_cndmask_b32_e64 v2, 0, 1.0, s[52:53]
	v_mov_b32_e32 v3, 0
	global_store_dwordx2 v[0:1], v[2:3], off
.LBB39_745:
	s_mov_b64 s[56:57], 0
.LBB39_746:
	s_andn2_b64 vcc, exec, s[56:57]
	s_cbranch_vccnz .LBB39_748
; %bb.747:
	v_cndmask_b32_e64 v2, 0, 1.0, s[52:53]
	v_cvt_f16_f32_e32 v2, v2
	global_store_dword v[0:1], v2, off
.LBB39_748:
	s_mov_b64 s[56:57], 0
.LBB39_749:
	s_andn2_b64 vcc, exec, s[56:57]
	s_cbranch_vccnz .LBB39_758
; %bb.750:
	s_cmp_lt_i32 s14, 6
	s_mov_b64 s[56:57], -1
	s_cbranch_scc1 .LBB39_756
; %bb.751:
	s_cmp_gt_i32 s14, 6
	s_cbranch_scc0 .LBB39_753
; %bb.752:
	v_cndmask_b32_e64 v2, 0, 1, s[52:53]
	v_cvt_f64_u32_e32 v[2:3], v2
	s_mov_b64 s[56:57], 0
	global_store_dwordx2 v[0:1], v[2:3], off
.LBB39_753:
	s_andn2_b64 vcc, exec, s[56:57]
	s_cbranch_vccnz .LBB39_755
; %bb.754:
	v_cndmask_b32_e64 v2, 0, 1.0, s[52:53]
	global_store_dword v[0:1], v2, off
.LBB39_755:
	s_mov_b64 s[56:57], 0
.LBB39_756:
	s_andn2_b64 vcc, exec, s[56:57]
	s_cbranch_vccnz .LBB39_758
; %bb.757:
	v_cndmask_b32_e64 v2, 0, 1.0, s[52:53]
	v_cvt_f16_f32_e32 v2, v2
	global_store_short v[0:1], v2, off
.LBB39_758:
	s_mov_b64 s[56:57], 0
.LBB39_759:
	s_andn2_b64 vcc, exec, s[56:57]
	s_cbranch_vccnz .LBB39_775
; %bb.760:
	s_cmp_lt_i32 s14, 2
	s_mov_b64 s[56:57], -1
	s_cbranch_scc1 .LBB39_770
; %bb.761:
	s_cmp_lt_i32 s14, 3
	s_cbranch_scc1 .LBB39_767
; %bb.762:
	s_cmp_gt_i32 s14, 3
	s_cbranch_scc0 .LBB39_764
; %bb.763:
	s_mov_b32 s56, 0
	v_cndmask_b32_e64 v2, 0, 1, s[52:53]
	v_mov_b32_e32 v3, s56
	s_mov_b64 s[56:57], 0
	global_store_dwordx2 v[0:1], v[2:3], off
.LBB39_764:
	s_andn2_b64 vcc, exec, s[56:57]
	s_cbranch_vccnz .LBB39_766
; %bb.765:
	v_cndmask_b32_e64 v2, 0, 1, s[52:53]
	global_store_dword v[0:1], v2, off
.LBB39_766:
	s_mov_b64 s[56:57], 0
.LBB39_767:
	s_andn2_b64 vcc, exec, s[56:57]
	s_cbranch_vccnz .LBB39_769
; %bb.768:
	v_cndmask_b32_e64 v2, 0, 1, s[52:53]
	global_store_short v[0:1], v2, off
.LBB39_769:
	s_mov_b64 s[56:57], 0
.LBB39_770:
	s_andn2_b64 vcc, exec, s[56:57]
	s_cbranch_vccnz .LBB39_775
; %bb.771:
	s_mov_b64 s[56:57], -1
	s_cmp_gt_i32 s14, 0
	v_cndmask_b32_e64 v2, 0, 1, s[52:53]
	s_cbranch_scc0 .LBB39_773
; %bb.772:
	s_mov_b64 s[56:57], 0
	global_store_byte v[0:1], v2, off
.LBB39_773:
	s_andn2_b64 vcc, exec, s[56:57]
	s_cbranch_vccnz .LBB39_775
; %bb.774:
	global_store_byte v[0:1], v2, off
.LBB39_775:
	s_mov_b64 s[56:57], -1
.LBB39_776:
	s_andn2_b64 vcc, exec, s[56:57]
	s_cbranch_vccnz .LBB39_788
; %bb.777:
	v_add_u32_e32 v8, 0x80, v8
	s_mov_b64 s[56:57], -1
.LBB39_778:
	s_andn2_b64 s[52:53], s[40:41], exec
	s_and_b64 s[0:1], s[0:1], exec
	s_or_b64 s[52:53], s[52:53], s[0:1]
	s_andn2_b64 s[0:1], s[42:43], exec
	s_and_b64 s[50:51], s[50:51], exec
	s_or_b64 s[50:51], s[0:1], s[50:51]
	;; [unrolled: 3-line block ×3, first 2 shown]
	s_orn2_b64 s[0:1], s[56:57], exec
.LBB39_779:
	s_or_b64 exec, exec, s[54:55]
	s_mov_b64 s[56:57], 0
	s_mov_b64 s[58:59], 0
	;; [unrolled: 1-line block ×3, first 2 shown]
                                        ; implicit-def: $sgpr14
                                        ; implicit-def: $vgpr3_vgpr4
                                        ; implicit-def: $vgpr0
                                        ; implicit-def: $vgpr2
                                        ; implicit-def: $vgpr5
	s_and_saveexec_b64 s[54:55], s[0:1]
	s_cbranch_execz .LBB39_1264
; %bb.780:
	v_cmp_gt_i32_e32 vcc, s70, v8
	s_mov_b64 s[68:69], -1
	s_mov_b64 s[0:1], s[48:49]
	s_mov_b64 s[60:61], s[50:51]
	;; [unrolled: 1-line block ×3, first 2 shown]
	s_and_saveexec_b64 s[56:57], vcc
	s_cbranch_execz .LBB39_1172
; %bb.781:
	s_andn2_b64 vcc, exec, s[24:25]
	s_cbranch_vccnz .LBB39_787
; %bb.782:
	s_andn2_b64 vcc, exec, s[38:39]
	s_cbranch_vccnz .LBB39_789
; %bb.783:
	s_add_i32 s0, s75, 1
	s_and_b32 s14, s0, 30
	s_add_u32 s0, s2, 0xffffffe8
	s_addc_u32 s1, s3, -1
	v_mov_b32_e32 v2, 0
	v_mov_b32_e32 v4, 0
	;; [unrolled: 1-line block ×4, first 2 shown]
.LBB39_784:                             ; =>This Inner Loop Header: Depth=1
	s_load_dwordx4 s[60:63], s[0:1], 0x1c
	s_load_dwordx2 s[58:59], s[0:1], 0x2c
	s_load_dwordx2 s[68:69], s[0:1], 0xec
	s_load_dwordx4 s[64:67], s[0:1], 0xdc
	s_add_u32 s0, s0, 24
	s_waitcnt vmcnt(0) lgkmcnt(0)
	v_mul_hi_u32 v3, s61, v1
	s_addc_u32 s1, s1, 0
	s_add_i32 s14, s14, -2
	s_cmp_eq_u32 s14, 0
	v_add_u32_e32 v3, v1, v3
	v_lshrrev_b32_e32 v3, s62, v3
	v_mul_lo_u32 v5, v3, s60
	v_mul_hi_u32 v6, s58, v3
	v_sub_u32_e32 v5, v1, v5
	v_add_u32_e32 v1, v3, v6
	v_lshrrev_b32_e32 v1, s59, v1
	v_mul_lo_u32 v9, v1, s63
	v_mul_lo_u32 v6, v5, s64
	;; [unrolled: 1-line block ×4, first 2 shown]
	v_sub_u32_e32 v3, v3, v9
	v_mul_lo_u32 v9, v3, s67
	v_mul_lo_u32 v10, v3, s68
	;; [unrolled: 1-line block ×3, first 2 shown]
	v_add3_u32 v0, v6, v0, v9
	v_add3_u32 v4, v7, v4, v10
	v_add3_u32 v2, v5, v2, v3
	s_cbranch_scc0 .LBB39_784
; %bb.785:
	s_bitcmp1_b32 s75, 0
	s_cselect_b64 s[58:59], -1, 0
	s_and_b64 vcc, exec, s[58:59]
	s_cbranch_vccnz .LBB39_790
; %bb.786:
	s_load_dwordx2 s[58:59], s[0:1], 0x1c
	s_load_dword s14, s[0:1], 0x24
	s_load_dwordx2 s[60:61], s[0:1], 0xdc
	s_waitcnt lgkmcnt(0)
	v_mul_hi_u32 v3, s59, v1
	v_add_u32_e32 v3, v1, v3
	v_lshrrev_b32_e32 v3, s14, v3
	v_mul_lo_u32 v3, v3, s58
	s_load_dword s14, s[0:1], 0xe4
	v_sub_u32_e32 v3, v1, v3
	v_mad_u64_u32 v[0:1], s[0:1], v3, s60, v[0:1]
	v_mad_u64_u32 v[4:5], s[0:1], v3, s61, v[4:5]
	s_waitcnt lgkmcnt(0)
	v_mad_u64_u32 v[2:3], s[0:1], v3, s14, v[2:3]
	s_branch .LBB39_790
.LBB39_787:
	s_mov_b64 s[0:1], -1
                                        ; implicit-def: $vgpr0
                                        ; implicit-def: $vgpr4
                                        ; implicit-def: $vgpr2
	s_branch .LBB39_791
.LBB39_788:
	s_mov_b64 s[56:57], 0
	s_branch .LBB39_540
.LBB39_789:
	v_mov_b32_e32 v0, 0
	v_mov_b32_e32 v4, 0
	;; [unrolled: 1-line block ×3, first 2 shown]
.LBB39_790:
	s_mov_b64 s[0:1], 0
.LBB39_791:
	s_andn2_b64 vcc, exec, s[0:1]
	s_cbranch_vccnz .LBB39_794
; %bb.792:
	v_mul_hi_u32 v0, s17, v8
	s_andn2_b64 vcc, exec, s[36:37]
	v_add_u32_e32 v0, v8, v0
	v_lshrrev_b32_e32 v1, s18, v0
	v_mul_lo_u32 v0, v1, s16
	v_sub_u32_e32 v2, v8, v0
	v_mul_lo_u32 v0, v2, s20
	v_mul_lo_u32 v4, v2, s21
	;; [unrolled: 1-line block ×3, first 2 shown]
	s_cbranch_vccnz .LBB39_794
; %bb.793:
	s_waitcnt vmcnt(0)
	v_mul_hi_u32 v3, s34, v1
	v_add_u32_e32 v3, v1, v3
	v_lshrrev_b32_e32 v3, s35, v3
	v_mul_lo_u32 v3, v3, s19
	v_sub_u32_e32 v3, v1, v3
	v_mad_u64_u32 v[0:1], s[0:1], v3, s23, v[0:1]
	v_mad_u64_u32 v[4:5], s[0:1], v3, s30, v[4:5]
	;; [unrolled: 1-line block ×3, first 2 shown]
.LBB39_794:
	v_mov_b32_e32 v1, s11
	s_and_b32 s14, s74, 0xff
	s_waitcnt vmcnt(0)
	v_add_co_u32_e32 v3, vcc, s10, v4
	s_cmp_lt_i32 s14, 11
	v_addc_co_u32_e32 v4, vcc, 0, v1, vcc
	s_cbranch_scc1 .LBB39_801
; %bb.795:
	s_and_b32 s62, 0xffff, s14
	s_cmp_gt_i32 s62, 25
	s_cbranch_scc0 .LBB39_802
; %bb.796:
	s_cmp_gt_i32 s62, 28
	s_cbranch_scc0 .LBB39_803
; %bb.797:
	;; [unrolled: 3-line block ×4, first 2 shown]
	s_cmp_eq_u32 s62, 46
	s_mov_b64 s[60:61], 0
	s_cbranch_scc0 .LBB39_808
; %bb.800:
	global_load_dword v1, v[3:4], off
	s_mov_b64 s[0:1], -1
	s_mov_b64 s[58:59], 0
	s_waitcnt vmcnt(0)
	v_lshlrev_b32_e32 v1, 16, v1
	v_cvt_i32_f32_e32 v5, v1
	s_branch .LBB39_809
.LBB39_801:
	s_mov_b64 s[60:61], -1
	s_mov_b64 s[0:1], 0
                                        ; implicit-def: $vgpr5
	s_mov_b64 s[58:59], s[48:49]
	s_branch .LBB39_870
.LBB39_802:
	s_mov_b64 s[60:61], -1
	s_mov_b64 s[0:1], 0
	s_mov_b64 s[58:59], s[48:49]
                                        ; implicit-def: $vgpr5
	s_branch .LBB39_836
.LBB39_803:
	s_mov_b64 s[60:61], -1
	s_mov_b64 s[0:1], 0
	s_mov_b64 s[58:59], s[48:49]
                                        ; implicit-def: $vgpr5
	s_branch .LBB39_819
.LBB39_804:
	s_mov_b64 s[60:61], -1
	s_mov_b64 s[0:1], 0
	s_mov_b64 s[58:59], s[48:49]
                                        ; implicit-def: $vgpr5
	s_branch .LBB39_814
.LBB39_805:
	s_mov_b64 s[60:61], -1
	s_mov_b64 s[0:1], 0
	s_mov_b64 s[58:59], s[48:49]
                                        ; implicit-def: $vgpr5
	s_branch .LBB39_809
.LBB39_806:
	s_andn2_saveexec_b64 s[60:61], s[60:61]
	s_cbranch_execz .LBB39_689
.LBB39_807:
	v_add_f32_e32 v2, 0x46000000, v3
	v_and_b32_e32 v2, 0xff, v2
	v_cmp_ne_u32_e32 vcc, 0, v2
	s_andn2_b64 s[58:59], s[58:59], exec
	s_and_b64 s[64:65], vcc, exec
	s_or_b64 s[58:59], s[58:59], s[64:65]
	s_or_b64 exec, exec, s[60:61]
	v_mov_b32_e32 v4, 0
	s_and_saveexec_b64 s[60:61], s[58:59]
	s_cbranch_execnz .LBB39_690
	s_branch .LBB39_691
.LBB39_808:
	s_mov_b64 s[58:59], -1
                                        ; implicit-def: $vgpr5
	s_mov_b64 s[0:1], 0
.LBB39_809:
	s_and_b64 vcc, exec, s[60:61]
	s_cbranch_vccz .LBB39_813
; %bb.810:
	s_cmp_eq_u32 s62, 44
	s_cbranch_scc0 .LBB39_812
; %bb.811:
	global_load_ubyte v1, v[3:4], off
	s_mov_b64 s[0:1], -1
	s_mov_b64 s[58:59], 0
	s_waitcnt vmcnt(0)
	v_lshlrev_b32_e32 v5, 23, v1
	v_cvt_i32_f32_e32 v5, v5
	v_cmp_ne_u32_e32 vcc, 0, v1
	v_cndmask_b32_e32 v5, 0, v5, vcc
	s_branch .LBB39_813
.LBB39_812:
	s_mov_b64 s[58:59], -1
                                        ; implicit-def: $vgpr5
.LBB39_813:
	s_mov_b64 s[60:61], 0
.LBB39_814:
	s_and_b64 vcc, exec, s[60:61]
	s_cbranch_vccz .LBB39_818
; %bb.815:
	s_cmp_eq_u32 s62, 29
	s_cbranch_scc0 .LBB39_817
; %bb.816:
	global_load_dword v5, v[3:4], off
	s_mov_b64 s[0:1], -1
	s_mov_b64 s[58:59], 0
	s_branch .LBB39_818
.LBB39_817:
	s_mov_b64 s[58:59], -1
                                        ; implicit-def: $vgpr5
.LBB39_818:
	s_mov_b64 s[60:61], 0
.LBB39_819:
	s_and_b64 vcc, exec, s[60:61]
	s_cbranch_vccz .LBB39_835
; %bb.820:
	s_cmp_lt_i32 s62, 27
	s_cbranch_scc1 .LBB39_823
; %bb.821:
	s_cmp_gt_i32 s62, 27
	s_cbranch_scc0 .LBB39_824
; %bb.822:
	global_load_dword v5, v[3:4], off
	s_mov_b64 s[0:1], 0
	s_branch .LBB39_825
.LBB39_823:
	s_mov_b64 s[0:1], -1
                                        ; implicit-def: $vgpr5
	s_branch .LBB39_828
.LBB39_824:
	s_mov_b64 s[0:1], -1
                                        ; implicit-def: $vgpr5
.LBB39_825:
	s_andn2_b64 vcc, exec, s[0:1]
	s_cbranch_vccnz .LBB39_827
; %bb.826:
	global_load_ushort v5, v[3:4], off
.LBB39_827:
	s_mov_b64 s[0:1], 0
.LBB39_828:
	s_andn2_b64 vcc, exec, s[0:1]
	s_cbranch_vccnz .LBB39_834
; %bb.829:
	global_load_ubyte v1, v[3:4], off
	s_movk_i32 s0, 0x7f
	s_mov_b64 s[60:61], 0
	s_waitcnt vmcnt(0)
	v_cmp_lt_i16_e32 vcc, s0, v1
	s_and_saveexec_b64 s[0:1], vcc
	s_xor_b64 s[0:1], exec, s[0:1]
	s_cbranch_execz .LBB39_846
; %bb.830:
	s_movk_i32 s60, 0x80
	v_cmp_ne_u16_e32 vcc, s60, v1
	s_and_b64 s[60:61], vcc, exec
	s_andn2_saveexec_b64 s[0:1], s[0:1]
	s_cbranch_execnz .LBB39_847
.LBB39_831:
	s_or_b64 exec, exec, s[0:1]
	v_mov_b32_e32 v5, 0
	s_and_saveexec_b64 s[0:1], s[60:61]
	s_cbranch_execz .LBB39_833
.LBB39_832:
	v_lshlrev_b32_e32 v5, 24, v1
	v_and_b32_e32 v1, 0xffff, v1
	v_and_b32_e32 v6, 7, v1
	v_ffbh_u32_e32 v9, v6
	v_min_u32_e32 v9, 32, v9
	v_subrev_u32_e32 v10, 28, v9
	v_bfe_u32 v7, v1, 3, 4
	v_lshlrev_b32_e32 v1, v10, v1
	v_sub_u32_e32 v9, 29, v9
	v_and_b32_e32 v1, 7, v1
	v_cmp_eq_u32_e32 vcc, 0, v7
	v_cndmask_b32_e32 v7, v7, v9, vcc
	v_cndmask_b32_e32 v1, v6, v1, vcc
	v_mov_b32_e32 v6, 0x3b800000
	v_lshlrev_b32_e32 v1, 20, v1
	v_and_b32_e32 v5, 0x80000000, v5
	v_lshl_add_u32 v6, v7, 23, v6
	v_or3_b32 v1, v5, v6, v1
	v_cvt_i32_f32_e32 v5, v1
.LBB39_833:
	s_or_b64 exec, exec, s[0:1]
.LBB39_834:
	s_mov_b64 s[0:1], -1
.LBB39_835:
	s_mov_b64 s[60:61], 0
.LBB39_836:
	s_and_b64 vcc, exec, s[60:61]
	s_cbranch_vccz .LBB39_869
; %bb.837:
	s_cmp_gt_i32 s62, 22
	s_cbranch_scc0 .LBB39_845
; %bb.838:
	s_cmp_lt_i32 s62, 24
	s_cbranch_scc1 .LBB39_848
; %bb.839:
	s_cmp_gt_i32 s62, 24
	s_cbranch_scc0 .LBB39_849
; %bb.840:
	global_load_ubyte v1, v[3:4], off
	s_movk_i32 s0, 0x7f
	s_mov_b64 s[60:61], 0
	s_waitcnt vmcnt(0)
	v_cmp_lt_i16_e32 vcc, s0, v1
	s_and_saveexec_b64 s[0:1], vcc
	s_xor_b64 s[0:1], exec, s[0:1]
	s_cbranch_execz .LBB39_861
; %bb.841:
	s_movk_i32 s60, 0x80
	v_cmp_ne_u16_e32 vcc, s60, v1
	s_and_b64 s[60:61], vcc, exec
	s_andn2_saveexec_b64 s[0:1], s[0:1]
	s_cbranch_execnz .LBB39_862
.LBB39_842:
	s_or_b64 exec, exec, s[0:1]
	v_mov_b32_e32 v5, 0
	s_and_saveexec_b64 s[0:1], s[60:61]
	s_cbranch_execz .LBB39_844
.LBB39_843:
	v_lshlrev_b32_e32 v5, 24, v1
	v_and_b32_e32 v1, 0xffff, v1
	v_and_b32_e32 v6, 3, v1
	v_ffbh_u32_e32 v9, v6
	v_min_u32_e32 v9, 32, v9
	v_subrev_u32_e32 v10, 29, v9
	v_bfe_u32 v7, v1, 2, 5
	v_lshlrev_b32_e32 v1, v10, v1
	v_sub_u32_e32 v9, 30, v9
	v_and_b32_e32 v1, 3, v1
	v_cmp_eq_u32_e32 vcc, 0, v7
	v_cndmask_b32_e32 v7, v7, v9, vcc
	v_cndmask_b32_e32 v1, v6, v1, vcc
	v_mov_b32_e32 v6, 0x37800000
	v_lshlrev_b32_e32 v1, 21, v1
	v_and_b32_e32 v5, 0x80000000, v5
	v_lshl_add_u32 v6, v7, 23, v6
	v_or3_b32 v1, v5, v6, v1
	v_cvt_i32_f32_e32 v5, v1
.LBB39_844:
	s_or_b64 exec, exec, s[0:1]
	s_mov_b64 s[0:1], 0
	s_branch .LBB39_850
.LBB39_845:
	s_mov_b64 s[60:61], -1
                                        ; implicit-def: $vgpr5
	s_branch .LBB39_856
.LBB39_846:
	s_andn2_saveexec_b64 s[0:1], s[0:1]
	s_cbranch_execz .LBB39_831
.LBB39_847:
	v_cmp_ne_u16_e32 vcc, 0, v1
	s_andn2_b64 s[60:61], s[60:61], exec
	s_and_b64 s[64:65], vcc, exec
	s_or_b64 s[60:61], s[60:61], s[64:65]
	s_or_b64 exec, exec, s[0:1]
	v_mov_b32_e32 v5, 0
	s_and_saveexec_b64 s[0:1], s[60:61]
	s_cbranch_execnz .LBB39_832
	s_branch .LBB39_833
.LBB39_848:
	s_mov_b64 s[0:1], -1
                                        ; implicit-def: $vgpr5
	s_branch .LBB39_853
.LBB39_849:
	s_mov_b64 s[0:1], -1
                                        ; implicit-def: $vgpr5
.LBB39_850:
	s_and_b64 vcc, exec, s[0:1]
	s_cbranch_vccz .LBB39_852
; %bb.851:
	global_load_ubyte v1, v[3:4], off
	s_mov_b32 s0, 0x7f800000
	s_waitcnt vmcnt(0)
	v_lshlrev_b32_e32 v1, 24, v1
	v_and_b32_e32 v5, 0x7f000000, v1
	v_ffbh_u32_e32 v6, v5
	v_min_u32_e32 v6, 32, v6
	v_sub_u32_e64 v6, v6, 4 clamp
	v_lshlrev_b32_e32 v9, v6, v5
	v_lshlrev_b32_e32 v6, 23, v6
	v_lshrrev_b32_e32 v9, 4, v9
	v_add_u32_e32 v7, 0x1000000, v5
	v_sub_u32_e32 v6, v9, v6
	v_ashrrev_i32_e32 v7, 8, v7
	v_add_u32_e32 v6, 0x3c000000, v6
	v_and_or_b32 v6, v7, s0, v6
	v_cmp_ne_u32_e32 vcc, 0, v5
	v_cndmask_b32_e32 v5, 0, v6, vcc
	s_brev_b32 s0, 1
	v_and_or_b32 v1, v1, s0, v5
	v_cvt_i32_f32_e32 v5, v1
.LBB39_852:
	s_mov_b64 s[0:1], 0
.LBB39_853:
	s_andn2_b64 vcc, exec, s[0:1]
	s_cbranch_vccnz .LBB39_855
; %bb.854:
	global_load_ubyte v1, v[3:4], off
	s_movk_i32 s0, 0x7f00
	s_brev_b32 s1, 16
	s_waitcnt vmcnt(0)
	v_lshlrev_b16_e32 v5, 8, v1
	v_lshlrev_b32_e32 v1, 25, v1
	v_lshrrev_b32_e32 v6, 4, v1
	v_and_or_b32 v7, v5, s0, 0.5
	v_or_b32_e32 v6, 0x70000000, v6
	v_add_f32_e32 v7, -0.5, v7
	v_mul_f32_e32 v6, 0x7800000, v6
	v_cmp_gt_u32_e32 vcc, s1, v1
	v_bfe_i32 v5, v5, 0, 16
	v_cndmask_b32_e32 v1, v6, v7, vcc
	s_brev_b32 s0, 1
	v_and_or_b32 v1, v5, s0, v1
	v_cvt_i32_f32_e32 v5, v1
.LBB39_855:
	s_mov_b64 s[60:61], 0
	s_mov_b64 s[0:1], -1
.LBB39_856:
	s_andn2_b64 vcc, exec, s[60:61]
	s_cbranch_vccnz .LBB39_869
; %bb.857:
	s_cmp_gt_i32 s62, 14
	s_cbranch_scc0 .LBB39_860
; %bb.858:
	s_cmp_eq_u32 s62, 15
	s_cbranch_scc0 .LBB39_863
; %bb.859:
	global_load_ushort v1, v[3:4], off
	s_mov_b64 s[0:1], -1
	s_mov_b64 s[58:59], 0
	s_waitcnt vmcnt(0)
	v_lshlrev_b32_e32 v1, 16, v1
	v_cvt_i32_f32_e32 v5, v1
	s_branch .LBB39_864
.LBB39_860:
	s_mov_b64 s[60:61], -1
                                        ; implicit-def: $vgpr5
	s_branch .LBB39_865
.LBB39_861:
	s_andn2_saveexec_b64 s[0:1], s[0:1]
	s_cbranch_execz .LBB39_842
.LBB39_862:
	v_cmp_ne_u16_e32 vcc, 0, v1
	s_andn2_b64 s[60:61], s[60:61], exec
	s_and_b64 s[64:65], vcc, exec
	s_or_b64 s[60:61], s[60:61], s[64:65]
	s_or_b64 exec, exec, s[0:1]
	v_mov_b32_e32 v5, 0
	s_and_saveexec_b64 s[0:1], s[60:61]
	s_cbranch_execnz .LBB39_843
	s_branch .LBB39_844
.LBB39_863:
	s_mov_b64 s[58:59], -1
                                        ; implicit-def: $vgpr5
.LBB39_864:
	s_mov_b64 s[60:61], 0
.LBB39_865:
	s_and_b64 vcc, exec, s[60:61]
	s_cbranch_vccz .LBB39_869
; %bb.866:
	s_cmp_eq_u32 s62, 11
	s_cbranch_scc0 .LBB39_868
; %bb.867:
	global_load_ubyte v1, v[3:4], off
	s_mov_b64 s[0:1], -1
	s_mov_b64 s[58:59], 0
	s_waitcnt vmcnt(0)
	v_cmp_ne_u16_e32 vcc, 0, v1
	v_cndmask_b32_e64 v5, 0, 1, vcc
	s_branch .LBB39_869
.LBB39_868:
	s_mov_b64 s[58:59], -1
                                        ; implicit-def: $vgpr5
.LBB39_869:
	s_mov_b64 s[60:61], 0
.LBB39_870:
	s_and_b64 vcc, exec, s[60:61]
	s_cbranch_vccz .LBB39_919
; %bb.871:
	s_and_b32 s14, 0xffff, s14
	s_cmp_lt_i32 s14, 5
	s_cbranch_scc1 .LBB39_876
; %bb.872:
	s_cmp_lt_i32 s14, 8
	s_cbranch_scc1 .LBB39_877
; %bb.873:
	;; [unrolled: 3-line block ×3, first 2 shown]
	s_cmp_gt_i32 s14, 9
	s_cbranch_scc0 .LBB39_879
; %bb.875:
	global_load_dwordx2 v[5:6], v[3:4], off
	s_mov_b64 s[0:1], 0
	s_waitcnt vmcnt(0)
	v_cvt_i32_f64_e32 v5, v[5:6]
	s_branch .LBB39_880
.LBB39_876:
	s_mov_b64 s[0:1], -1
                                        ; implicit-def: $vgpr5
	s_branch .LBB39_898
.LBB39_877:
	s_mov_b64 s[0:1], -1
                                        ; implicit-def: $vgpr5
	s_branch .LBB39_886
.LBB39_878:
	s_mov_b64 s[0:1], -1
                                        ; implicit-def: $vgpr5
	s_branch .LBB39_883
.LBB39_879:
	s_mov_b64 s[0:1], -1
                                        ; implicit-def: $vgpr5
.LBB39_880:
	s_andn2_b64 vcc, exec, s[0:1]
	s_cbranch_vccnz .LBB39_882
; %bb.881:
	global_load_dword v1, v[3:4], off
	s_waitcnt vmcnt(0)
	v_cvt_i32_f32_e32 v5, v1
.LBB39_882:
	s_mov_b64 s[0:1], 0
.LBB39_883:
	s_andn2_b64 vcc, exec, s[0:1]
	s_cbranch_vccnz .LBB39_885
; %bb.884:
	global_load_dword v1, v[3:4], off
	s_waitcnt vmcnt(0)
	v_cvt_f32_f16_e32 v1, v1
	v_cvt_i32_f32_e32 v5, v1
.LBB39_885:
	s_mov_b64 s[0:1], 0
.LBB39_886:
	s_andn2_b64 vcc, exec, s[0:1]
	s_cbranch_vccnz .LBB39_897
; %bb.887:
	s_cmp_lt_i32 s14, 6
	s_cbranch_scc1 .LBB39_890
; %bb.888:
	s_cmp_gt_i32 s14, 6
	s_cbranch_scc0 .LBB39_891
; %bb.889:
	global_load_dwordx2 v[5:6], v[3:4], off
	s_mov_b64 s[0:1], 0
	s_waitcnt vmcnt(0)
	v_cvt_i32_f64_e32 v5, v[5:6]
	s_branch .LBB39_892
.LBB39_890:
	s_mov_b64 s[0:1], -1
                                        ; implicit-def: $vgpr5
	s_branch .LBB39_895
.LBB39_891:
	s_mov_b64 s[0:1], -1
                                        ; implicit-def: $vgpr5
.LBB39_892:
	s_andn2_b64 vcc, exec, s[0:1]
	s_cbranch_vccnz .LBB39_894
; %bb.893:
	global_load_dword v1, v[3:4], off
	s_waitcnt vmcnt(0)
	v_cvt_i32_f32_e32 v5, v1
.LBB39_894:
	s_mov_b64 s[0:1], 0
.LBB39_895:
	s_andn2_b64 vcc, exec, s[0:1]
	s_cbranch_vccnz .LBB39_897
; %bb.896:
	global_load_ushort v1, v[3:4], off
	s_waitcnt vmcnt(0)
	v_cvt_f32_f16_e32 v1, v1
	v_cvt_i32_f32_e32 v5, v1
.LBB39_897:
	s_mov_b64 s[0:1], 0
.LBB39_898:
	s_andn2_b64 vcc, exec, s[0:1]
	s_cbranch_vccnz .LBB39_918
; %bb.899:
	s_cmp_lt_i32 s14, 2
	s_cbranch_scc1 .LBB39_903
; %bb.900:
	s_cmp_lt_i32 s14, 3
	s_cbranch_scc1 .LBB39_904
; %bb.901:
	s_cmp_gt_i32 s14, 3
	s_cbranch_scc0 .LBB39_905
; %bb.902:
	global_load_dword v5, v[3:4], off
	s_mov_b64 s[0:1], 0
	s_branch .LBB39_906
.LBB39_903:
	s_mov_b64 s[0:1], -1
                                        ; implicit-def: $vgpr5
	s_branch .LBB39_912
.LBB39_904:
	s_mov_b64 s[0:1], -1
                                        ; implicit-def: $vgpr5
	s_branch .LBB39_909
.LBB39_905:
	s_mov_b64 s[0:1], -1
                                        ; implicit-def: $vgpr5
.LBB39_906:
	s_andn2_b64 vcc, exec, s[0:1]
	s_cbranch_vccnz .LBB39_908
; %bb.907:
	global_load_dword v5, v[3:4], off
.LBB39_908:
	s_mov_b64 s[0:1], 0
.LBB39_909:
	s_andn2_b64 vcc, exec, s[0:1]
	s_cbranch_vccnz .LBB39_911
; %bb.910:
	global_load_sshort v5, v[3:4], off
.LBB39_911:
	s_mov_b64 s[0:1], 0
.LBB39_912:
	s_andn2_b64 vcc, exec, s[0:1]
	s_cbranch_vccnz .LBB39_918
; %bb.913:
	s_cmp_gt_i32 s14, 0
	s_cbranch_scc0 .LBB39_915
; %bb.914:
	global_load_sbyte v5, v[3:4], off
	s_mov_b64 s[0:1], 0
	s_branch .LBB39_916
.LBB39_915:
	s_mov_b64 s[0:1], -1
                                        ; implicit-def: $vgpr5
.LBB39_916:
	s_andn2_b64 vcc, exec, s[0:1]
	s_cbranch_vccnz .LBB39_918
; %bb.917:
	global_load_ubyte v5, v[3:4], off
.LBB39_918:
	s_mov_b64 s[0:1], -1
.LBB39_919:
	s_andn2_b64 vcc, exec, s[0:1]
	s_cbranch_vccnz .LBB39_927
; %bb.920:
	v_mov_b32_e32 v3, s13
	s_and_b32 s14, s73, 0xff
	v_add_co_u32_e32 v1, vcc, s12, v2
	s_cmp_lt_i32 s14, 11
	v_addc_co_u32_e32 v2, vcc, 0, v3, vcc
	s_cbranch_scc1 .LBB39_929
; %bb.921:
	s_and_b32 s64, 0xffff, s14
	s_cmp_gt_i32 s64, 25
	s_cbranch_scc0 .LBB39_930
; %bb.922:
	s_cmp_gt_i32 s64, 28
	s_cbranch_scc0 .LBB39_931
; %bb.923:
	;; [unrolled: 3-line block ×4, first 2 shown]
	s_cmp_eq_u32 s64, 46
	s_mov_b64 s[62:63], 0
	s_cbranch_scc0 .LBB39_936
; %bb.926:
	global_load_dword v3, v[1:2], off
	s_mov_b64 s[0:1], -1
	s_mov_b64 s[60:61], 0
	s_waitcnt vmcnt(0)
	v_lshlrev_b32_e32 v3, 16, v3
	v_cvt_i32_f32_e32 v3, v3
	s_branch .LBB39_937
.LBB39_927:
	s_mov_b64 s[64:65], 0
	s_mov_b64 s[0:1], s[52:53]
	;; [unrolled: 1-line block ×3, first 2 shown]
.LBB39_928:
                                        ; implicit-def: $vgpr8
	s_branch .LBB39_1171
.LBB39_929:
	s_mov_b64 s[62:63], -1
	s_mov_b64 s[0:1], 0
                                        ; implicit-def: $vgpr3
	s_mov_b64 s[60:61], s[50:51]
	s_branch .LBB39_998
.LBB39_930:
	s_mov_b64 s[62:63], -1
	s_mov_b64 s[0:1], 0
	s_mov_b64 s[60:61], s[50:51]
                                        ; implicit-def: $vgpr3
	s_branch .LBB39_964
.LBB39_931:
	s_mov_b64 s[62:63], -1
	s_mov_b64 s[0:1], 0
	s_mov_b64 s[60:61], s[50:51]
                                        ; implicit-def: $vgpr3
	s_branch .LBB39_947
.LBB39_932:
	s_mov_b64 s[62:63], -1
	s_mov_b64 s[0:1], 0
	s_mov_b64 s[60:61], s[50:51]
                                        ; implicit-def: $vgpr3
	s_branch .LBB39_942
.LBB39_933:
	s_mov_b64 s[62:63], -1
	s_mov_b64 s[0:1], 0
	s_mov_b64 s[60:61], s[50:51]
                                        ; implicit-def: $vgpr3
	s_branch .LBB39_937
.LBB39_934:
	s_andn2_saveexec_b64 s[60:61], s[60:61]
	s_cbranch_execz .LBB39_702
.LBB39_935:
	v_add_f32_e32 v2, 0x42800000, v3
	v_and_b32_e32 v2, 0xff, v2
	v_cmp_ne_u32_e32 vcc, 0, v2
	s_andn2_b64 s[58:59], s[58:59], exec
	s_and_b64 s[64:65], vcc, exec
	s_or_b64 s[58:59], s[58:59], s[64:65]
	s_or_b64 exec, exec, s[60:61]
	v_mov_b32_e32 v4, 0
	s_and_saveexec_b64 s[60:61], s[58:59]
	s_cbranch_execnz .LBB39_703
	s_branch .LBB39_704
.LBB39_936:
	s_mov_b64 s[60:61], -1
                                        ; implicit-def: $vgpr3
	s_mov_b64 s[0:1], 0
.LBB39_937:
	s_and_b64 vcc, exec, s[62:63]
	s_cbranch_vccz .LBB39_941
; %bb.938:
	s_cmp_eq_u32 s64, 44
	s_cbranch_scc0 .LBB39_940
; %bb.939:
	global_load_ubyte v3, v[1:2], off
	s_mov_b64 s[0:1], -1
	s_mov_b64 s[60:61], 0
	s_waitcnt vmcnt(0)
	v_lshlrev_b32_e32 v4, 23, v3
	v_cvt_i32_f32_e32 v4, v4
	v_cmp_ne_u32_e32 vcc, 0, v3
	v_cndmask_b32_e32 v3, 0, v4, vcc
	s_branch .LBB39_941
.LBB39_940:
	s_mov_b64 s[60:61], -1
                                        ; implicit-def: $vgpr3
.LBB39_941:
	s_mov_b64 s[62:63], 0
.LBB39_942:
	s_and_b64 vcc, exec, s[62:63]
	s_cbranch_vccz .LBB39_946
; %bb.943:
	s_cmp_eq_u32 s64, 29
	s_cbranch_scc0 .LBB39_945
; %bb.944:
	global_load_dword v3, v[1:2], off
	s_mov_b64 s[0:1], -1
	s_mov_b64 s[60:61], 0
	s_branch .LBB39_946
.LBB39_945:
	s_mov_b64 s[60:61], -1
                                        ; implicit-def: $vgpr3
.LBB39_946:
	s_mov_b64 s[62:63], 0
.LBB39_947:
	s_and_b64 vcc, exec, s[62:63]
	s_cbranch_vccz .LBB39_963
; %bb.948:
	s_cmp_lt_i32 s64, 27
	s_cbranch_scc1 .LBB39_951
; %bb.949:
	s_cmp_gt_i32 s64, 27
	s_cbranch_scc0 .LBB39_952
; %bb.950:
	global_load_dword v3, v[1:2], off
	s_mov_b64 s[0:1], 0
	s_branch .LBB39_953
.LBB39_951:
	s_mov_b64 s[0:1], -1
                                        ; implicit-def: $vgpr3
	s_branch .LBB39_956
.LBB39_952:
	s_mov_b64 s[0:1], -1
                                        ; implicit-def: $vgpr3
.LBB39_953:
	s_andn2_b64 vcc, exec, s[0:1]
	s_cbranch_vccnz .LBB39_955
; %bb.954:
	global_load_ushort v3, v[1:2], off
.LBB39_955:
	s_mov_b64 s[0:1], 0
.LBB39_956:
	s_andn2_b64 vcc, exec, s[0:1]
	s_cbranch_vccnz .LBB39_962
; %bb.957:
	global_load_ubyte v4, v[1:2], off
	s_movk_i32 s0, 0x7f
	s_mov_b64 s[62:63], 0
	s_waitcnt vmcnt(0)
	v_cmp_lt_i16_e32 vcc, s0, v4
	s_and_saveexec_b64 s[0:1], vcc
	s_xor_b64 s[0:1], exec, s[0:1]
	s_cbranch_execz .LBB39_974
; %bb.958:
	s_movk_i32 s62, 0x80
	v_cmp_ne_u16_e32 vcc, s62, v4
	s_and_b64 s[62:63], vcc, exec
	s_andn2_saveexec_b64 s[0:1], s[0:1]
	s_cbranch_execnz .LBB39_975
.LBB39_959:
	s_or_b64 exec, exec, s[0:1]
	v_mov_b32_e32 v3, 0
	s_and_saveexec_b64 s[0:1], s[62:63]
	s_cbranch_execz .LBB39_961
.LBB39_960:
	v_lshlrev_b32_e32 v3, 24, v4
	v_and_b32_e32 v4, 0xffff, v4
	v_and_b32_e32 v6, 7, v4
	v_ffbh_u32_e32 v9, v6
	v_min_u32_e32 v9, 32, v9
	v_subrev_u32_e32 v10, 28, v9
	v_bfe_u32 v7, v4, 3, 4
	v_lshlrev_b32_e32 v4, v10, v4
	v_sub_u32_e32 v9, 29, v9
	v_and_b32_e32 v4, 7, v4
	v_cmp_eq_u32_e32 vcc, 0, v7
	v_cndmask_b32_e32 v7, v7, v9, vcc
	v_cndmask_b32_e32 v4, v6, v4, vcc
	v_mov_b32_e32 v6, 0x3b800000
	v_lshlrev_b32_e32 v4, 20, v4
	v_and_b32_e32 v3, 0x80000000, v3
	v_lshl_add_u32 v6, v7, 23, v6
	v_or3_b32 v3, v3, v6, v4
	v_cvt_i32_f32_e32 v3, v3
.LBB39_961:
	s_or_b64 exec, exec, s[0:1]
.LBB39_962:
	s_mov_b64 s[0:1], -1
.LBB39_963:
	s_mov_b64 s[62:63], 0
.LBB39_964:
	s_and_b64 vcc, exec, s[62:63]
	s_cbranch_vccz .LBB39_997
; %bb.965:
	s_cmp_gt_i32 s64, 22
	s_cbranch_scc0 .LBB39_973
; %bb.966:
	s_cmp_lt_i32 s64, 24
	s_cbranch_scc1 .LBB39_976
; %bb.967:
	s_cmp_gt_i32 s64, 24
	s_cbranch_scc0 .LBB39_977
; %bb.968:
	global_load_ubyte v4, v[1:2], off
	s_movk_i32 s0, 0x7f
	s_mov_b64 s[62:63], 0
	s_waitcnt vmcnt(0)
	v_cmp_lt_i16_e32 vcc, s0, v4
	s_and_saveexec_b64 s[0:1], vcc
	s_xor_b64 s[0:1], exec, s[0:1]
	s_cbranch_execz .LBB39_989
; %bb.969:
	s_movk_i32 s62, 0x80
	v_cmp_ne_u16_e32 vcc, s62, v4
	s_and_b64 s[62:63], vcc, exec
	s_andn2_saveexec_b64 s[0:1], s[0:1]
	s_cbranch_execnz .LBB39_990
.LBB39_970:
	s_or_b64 exec, exec, s[0:1]
	v_mov_b32_e32 v3, 0
	s_and_saveexec_b64 s[0:1], s[62:63]
	s_cbranch_execz .LBB39_972
.LBB39_971:
	v_lshlrev_b32_e32 v3, 24, v4
	v_and_b32_e32 v4, 0xffff, v4
	v_and_b32_e32 v6, 3, v4
	v_ffbh_u32_e32 v9, v6
	v_min_u32_e32 v9, 32, v9
	v_subrev_u32_e32 v10, 29, v9
	v_bfe_u32 v7, v4, 2, 5
	v_lshlrev_b32_e32 v4, v10, v4
	v_sub_u32_e32 v9, 30, v9
	v_and_b32_e32 v4, 3, v4
	v_cmp_eq_u32_e32 vcc, 0, v7
	v_cndmask_b32_e32 v7, v7, v9, vcc
	v_cndmask_b32_e32 v4, v6, v4, vcc
	v_mov_b32_e32 v6, 0x37800000
	v_lshlrev_b32_e32 v4, 21, v4
	v_and_b32_e32 v3, 0x80000000, v3
	v_lshl_add_u32 v6, v7, 23, v6
	v_or3_b32 v3, v3, v6, v4
	v_cvt_i32_f32_e32 v3, v3
.LBB39_972:
	s_or_b64 exec, exec, s[0:1]
	s_mov_b64 s[0:1], 0
	s_branch .LBB39_978
.LBB39_973:
	s_mov_b64 s[62:63], -1
                                        ; implicit-def: $vgpr3
	s_branch .LBB39_984
.LBB39_974:
	s_andn2_saveexec_b64 s[0:1], s[0:1]
	s_cbranch_execz .LBB39_959
.LBB39_975:
	v_cmp_ne_u16_e32 vcc, 0, v4
	s_andn2_b64 s[62:63], s[62:63], exec
	s_and_b64 s[66:67], vcc, exec
	s_or_b64 s[62:63], s[62:63], s[66:67]
	s_or_b64 exec, exec, s[0:1]
	v_mov_b32_e32 v3, 0
	s_and_saveexec_b64 s[0:1], s[62:63]
	s_cbranch_execnz .LBB39_960
	s_branch .LBB39_961
.LBB39_976:
	s_mov_b64 s[0:1], -1
                                        ; implicit-def: $vgpr3
	s_branch .LBB39_981
.LBB39_977:
	s_mov_b64 s[0:1], -1
                                        ; implicit-def: $vgpr3
.LBB39_978:
	s_and_b64 vcc, exec, s[0:1]
	s_cbranch_vccz .LBB39_980
; %bb.979:
	global_load_ubyte v3, v[1:2], off
	s_mov_b32 s0, 0x7f800000
	s_waitcnt vmcnt(0)
	v_lshlrev_b32_e32 v3, 24, v3
	v_and_b32_e32 v4, 0x7f000000, v3
	v_ffbh_u32_e32 v6, v4
	v_min_u32_e32 v6, 32, v6
	v_sub_u32_e64 v6, v6, 4 clamp
	v_lshlrev_b32_e32 v9, v6, v4
	v_lshlrev_b32_e32 v6, 23, v6
	v_lshrrev_b32_e32 v9, 4, v9
	v_add_u32_e32 v7, 0x1000000, v4
	v_sub_u32_e32 v6, v9, v6
	v_ashrrev_i32_e32 v7, 8, v7
	v_add_u32_e32 v6, 0x3c000000, v6
	v_and_or_b32 v6, v7, s0, v6
	v_cmp_ne_u32_e32 vcc, 0, v4
	v_cndmask_b32_e32 v4, 0, v6, vcc
	s_brev_b32 s0, 1
	v_and_or_b32 v3, v3, s0, v4
	v_cvt_i32_f32_e32 v3, v3
.LBB39_980:
	s_mov_b64 s[0:1], 0
.LBB39_981:
	s_andn2_b64 vcc, exec, s[0:1]
	s_cbranch_vccnz .LBB39_983
; %bb.982:
	global_load_ubyte v3, v[1:2], off
	s_movk_i32 s0, 0x7f00
	s_brev_b32 s1, 16
	s_waitcnt vmcnt(0)
	v_lshlrev_b16_e32 v4, 8, v3
	v_lshlrev_b32_e32 v3, 25, v3
	v_lshrrev_b32_e32 v6, 4, v3
	v_and_or_b32 v7, v4, s0, 0.5
	v_or_b32_e32 v6, 0x70000000, v6
	v_add_f32_e32 v7, -0.5, v7
	v_mul_f32_e32 v6, 0x7800000, v6
	v_cmp_gt_u32_e32 vcc, s1, v3
	v_bfe_i32 v4, v4, 0, 16
	v_cndmask_b32_e32 v3, v6, v7, vcc
	s_brev_b32 s0, 1
	v_and_or_b32 v3, v4, s0, v3
	v_cvt_i32_f32_e32 v3, v3
.LBB39_983:
	s_mov_b64 s[62:63], 0
	s_mov_b64 s[0:1], -1
.LBB39_984:
	s_andn2_b64 vcc, exec, s[62:63]
	s_cbranch_vccnz .LBB39_997
; %bb.985:
	s_cmp_gt_i32 s64, 14
	s_cbranch_scc0 .LBB39_988
; %bb.986:
	s_cmp_eq_u32 s64, 15
	s_cbranch_scc0 .LBB39_991
; %bb.987:
	global_load_ushort v3, v[1:2], off
	s_mov_b64 s[0:1], -1
	s_mov_b64 s[60:61], 0
	s_waitcnt vmcnt(0)
	v_lshlrev_b32_e32 v3, 16, v3
	v_cvt_i32_f32_e32 v3, v3
	s_branch .LBB39_992
.LBB39_988:
	s_mov_b64 s[62:63], -1
                                        ; implicit-def: $vgpr3
	s_branch .LBB39_993
.LBB39_989:
	s_andn2_saveexec_b64 s[0:1], s[0:1]
	s_cbranch_execz .LBB39_970
.LBB39_990:
	v_cmp_ne_u16_e32 vcc, 0, v4
	s_andn2_b64 s[62:63], s[62:63], exec
	s_and_b64 s[66:67], vcc, exec
	s_or_b64 s[62:63], s[62:63], s[66:67]
	s_or_b64 exec, exec, s[0:1]
	v_mov_b32_e32 v3, 0
	s_and_saveexec_b64 s[0:1], s[62:63]
	s_cbranch_execnz .LBB39_971
	s_branch .LBB39_972
.LBB39_991:
	s_mov_b64 s[60:61], -1
                                        ; implicit-def: $vgpr3
.LBB39_992:
	s_mov_b64 s[62:63], 0
.LBB39_993:
	s_and_b64 vcc, exec, s[62:63]
	s_cbranch_vccz .LBB39_997
; %bb.994:
	s_cmp_eq_u32 s64, 11
	s_cbranch_scc0 .LBB39_996
; %bb.995:
	global_load_ubyte v3, v[1:2], off
	s_mov_b64 s[0:1], -1
	s_mov_b64 s[60:61], 0
	s_waitcnt vmcnt(0)
	v_cmp_ne_u16_e32 vcc, 0, v3
	v_cndmask_b32_e64 v3, 0, 1, vcc
	s_branch .LBB39_997
.LBB39_996:
	s_mov_b64 s[60:61], -1
                                        ; implicit-def: $vgpr3
.LBB39_997:
	s_mov_b64 s[62:63], 0
.LBB39_998:
	s_and_b64 vcc, exec, s[62:63]
	s_cbranch_vccz .LBB39_1047
; %bb.999:
	s_and_b32 s14, 0xffff, s14
	s_cmp_lt_i32 s14, 5
	s_cbranch_scc1 .LBB39_1004
; %bb.1000:
	s_cmp_lt_i32 s14, 8
	s_cbranch_scc1 .LBB39_1005
; %bb.1001:
	;; [unrolled: 3-line block ×3, first 2 shown]
	s_cmp_gt_i32 s14, 9
	s_cbranch_scc0 .LBB39_1007
; %bb.1003:
	global_load_dwordx2 v[3:4], v[1:2], off
	s_mov_b64 s[0:1], 0
	s_waitcnt vmcnt(0)
	v_cvt_i32_f64_e32 v3, v[3:4]
	s_branch .LBB39_1008
.LBB39_1004:
	s_mov_b64 s[0:1], -1
                                        ; implicit-def: $vgpr3
	s_branch .LBB39_1026
.LBB39_1005:
	s_mov_b64 s[0:1], -1
                                        ; implicit-def: $vgpr3
	s_branch .LBB39_1014
.LBB39_1006:
	s_mov_b64 s[0:1], -1
                                        ; implicit-def: $vgpr3
	s_branch .LBB39_1011
.LBB39_1007:
	s_mov_b64 s[0:1], -1
                                        ; implicit-def: $vgpr3
.LBB39_1008:
	s_andn2_b64 vcc, exec, s[0:1]
	s_cbranch_vccnz .LBB39_1010
; %bb.1009:
	global_load_dword v3, v[1:2], off
	s_waitcnt vmcnt(0)
	v_cvt_i32_f32_e32 v3, v3
.LBB39_1010:
	s_mov_b64 s[0:1], 0
.LBB39_1011:
	s_andn2_b64 vcc, exec, s[0:1]
	s_cbranch_vccnz .LBB39_1013
; %bb.1012:
	global_load_dword v3, v[1:2], off
	s_waitcnt vmcnt(0)
	v_cvt_f32_f16_e32 v3, v3
	v_cvt_i32_f32_e32 v3, v3
.LBB39_1013:
	s_mov_b64 s[0:1], 0
.LBB39_1014:
	s_andn2_b64 vcc, exec, s[0:1]
	s_cbranch_vccnz .LBB39_1025
; %bb.1015:
	s_cmp_lt_i32 s14, 6
	s_cbranch_scc1 .LBB39_1018
; %bb.1016:
	s_cmp_gt_i32 s14, 6
	s_cbranch_scc0 .LBB39_1019
; %bb.1017:
	global_load_dwordx2 v[3:4], v[1:2], off
	s_mov_b64 s[0:1], 0
	s_waitcnt vmcnt(0)
	v_cvt_i32_f64_e32 v3, v[3:4]
	s_branch .LBB39_1020
.LBB39_1018:
	s_mov_b64 s[0:1], -1
                                        ; implicit-def: $vgpr3
	s_branch .LBB39_1023
.LBB39_1019:
	s_mov_b64 s[0:1], -1
                                        ; implicit-def: $vgpr3
.LBB39_1020:
	s_andn2_b64 vcc, exec, s[0:1]
	s_cbranch_vccnz .LBB39_1022
; %bb.1021:
	global_load_dword v3, v[1:2], off
	s_waitcnt vmcnt(0)
	v_cvt_i32_f32_e32 v3, v3
.LBB39_1022:
	s_mov_b64 s[0:1], 0
.LBB39_1023:
	s_andn2_b64 vcc, exec, s[0:1]
	s_cbranch_vccnz .LBB39_1025
; %bb.1024:
	global_load_ushort v3, v[1:2], off
	s_waitcnt vmcnt(0)
	v_cvt_f32_f16_e32 v3, v3
	v_cvt_i32_f32_e32 v3, v3
.LBB39_1025:
	s_mov_b64 s[0:1], 0
.LBB39_1026:
	s_andn2_b64 vcc, exec, s[0:1]
	s_cbranch_vccnz .LBB39_1046
; %bb.1027:
	s_cmp_lt_i32 s14, 2
	s_cbranch_scc1 .LBB39_1031
; %bb.1028:
	s_cmp_lt_i32 s14, 3
	s_cbranch_scc1 .LBB39_1032
; %bb.1029:
	s_cmp_gt_i32 s14, 3
	s_cbranch_scc0 .LBB39_1033
; %bb.1030:
	global_load_dword v3, v[1:2], off
	s_mov_b64 s[0:1], 0
	s_branch .LBB39_1034
.LBB39_1031:
	s_mov_b64 s[0:1], -1
                                        ; implicit-def: $vgpr3
	s_branch .LBB39_1040
.LBB39_1032:
	s_mov_b64 s[0:1], -1
                                        ; implicit-def: $vgpr3
	s_branch .LBB39_1037
.LBB39_1033:
	s_mov_b64 s[0:1], -1
                                        ; implicit-def: $vgpr3
.LBB39_1034:
	s_andn2_b64 vcc, exec, s[0:1]
	s_cbranch_vccnz .LBB39_1036
; %bb.1035:
	global_load_dword v3, v[1:2], off
.LBB39_1036:
	s_mov_b64 s[0:1], 0
.LBB39_1037:
	s_andn2_b64 vcc, exec, s[0:1]
	s_cbranch_vccnz .LBB39_1039
; %bb.1038:
	global_load_sshort v3, v[1:2], off
.LBB39_1039:
	s_mov_b64 s[0:1], 0
.LBB39_1040:
	s_andn2_b64 vcc, exec, s[0:1]
	s_cbranch_vccnz .LBB39_1046
; %bb.1041:
	s_cmp_gt_i32 s14, 0
	s_cbranch_scc0 .LBB39_1043
; %bb.1042:
	global_load_sbyte v3, v[1:2], off
	s_mov_b64 s[0:1], 0
	s_branch .LBB39_1044
.LBB39_1043:
	s_mov_b64 s[0:1], -1
                                        ; implicit-def: $vgpr3
.LBB39_1044:
	s_andn2_b64 vcc, exec, s[0:1]
	s_cbranch_vccnz .LBB39_1046
; %bb.1045:
	global_load_ubyte v3, v[1:2], off
.LBB39_1046:
	s_mov_b64 s[0:1], -1
.LBB39_1047:
	s_andn2_b64 vcc, exec, s[0:1]
	s_cbranch_vccnz .LBB39_1055
; %bb.1048:
	s_waitcnt vmcnt(0)
	v_cmp_ne_u32_e32 vcc, v5, v3
	s_xor_b64 s[62:63], s[28:29], vcc
	v_mov_b32_e32 v1, s9
	s_and_b32 s14, s15, 0xff
	v_add_co_u32_e32 v0, vcc, s8, v0
	s_cmp_lt_i32 s14, 11
	v_addc_co_u32_e32 v1, vcc, 0, v1, vcc
	s_cbranch_scc1 .LBB39_1056
; %bb.1049:
	s_and_b32 s71, 0xffff, s14
	s_cmp_gt_i32 s71, 25
	s_cbranch_scc0 .LBB39_1057
; %bb.1050:
	s_cmp_gt_i32 s71, 28
	s_cbranch_scc0 .LBB39_1058
; %bb.1051:
	;; [unrolled: 3-line block ×4, first 2 shown]
	s_mov_b64 s[66:67], 0
	s_mov_b64 s[0:1], -1
	s_cmp_eq_u32 s71, 46
	s_mov_b64 s[64:65], 0
	s_cbranch_scc0 .LBB39_1061
; %bb.1054:
	v_cndmask_b32_e64 v2, 0, 1.0, s[62:63]
	v_bfe_u32 v3, v2, 16, 1
	s_movk_i32 s0, 0x7fff
	v_add3_u32 v2, v2, v3, s0
	v_lshrrev_b32_e32 v2, 16, v2
	global_store_dword v[0:1], v2, off
	s_mov_b64 s[64:65], -1
	s_mov_b64 s[0:1], 0
	s_branch .LBB39_1061
.LBB39_1055:
	s_mov_b64 s[64:65], 0
                                        ; implicit-def: $vgpr8
	s_mov_b64 s[0:1], s[52:53]
	s_branch .LBB39_1171
.LBB39_1056:
	s_mov_b64 s[66:67], -1
	s_mov_b64 s[64:65], 0
	s_mov_b64 s[0:1], s[52:53]
	s_branch .LBB39_1130
.LBB39_1057:
	s_mov_b64 s[66:67], -1
	s_mov_b64 s[64:65], 0
	s_mov_b64 s[0:1], s[52:53]
	s_branch .LBB39_1088
.LBB39_1058:
	s_mov_b64 s[66:67], -1
	s_mov_b64 s[64:65], 0
	s_mov_b64 s[0:1], s[52:53]
	s_branch .LBB39_1071
.LBB39_1059:
	s_mov_b64 s[66:67], -1
	s_mov_b64 s[64:65], 0
	s_mov_b64 s[0:1], s[52:53]
	s_branch .LBB39_1067
.LBB39_1060:
	s_mov_b64 s[66:67], -1
	s_mov_b64 s[64:65], 0
	s_mov_b64 s[0:1], s[52:53]
.LBB39_1061:
	s_and_b64 vcc, exec, s[66:67]
	s_cbranch_vccz .LBB39_1066
; %bb.1062:
	s_cmp_eq_u32 s71, 44
	s_mov_b64 s[0:1], -1
	s_cbranch_scc0 .LBB39_1066
; %bb.1063:
	v_cndmask_b32_e64 v3, 0, 1.0, s[62:63]
	v_lshrrev_b32_e32 v2, 23, v3
	s_movk_i32 s0, 0xff
	v_cmp_ne_u32_e32 vcc, s0, v2
	v_mov_b32_e32 v4, 0xff
	s_and_saveexec_b64 s[64:65], vcc
; %bb.1064:
	s_mov_b32 s0, 0x3fffff
	v_and_b32_e32 v4, 0x400000, v3
	v_and_or_b32 v3, v3, s0, v2
	v_cmp_ne_u32_e32 vcc, 0, v4
	v_cmp_ne_u32_e64 s[0:1], 0, v3
	s_and_b64 s[0:1], vcc, s[0:1]
	v_cndmask_b32_e64 v3, 0, 1, s[0:1]
	v_add_u32_e32 v4, v2, v3
; %bb.1065:
	s_or_b64 exec, exec, s[64:65]
	s_mov_b64 s[64:65], -1
	s_mov_b64 s[0:1], 0
	global_store_byte v[0:1], v4, off
.LBB39_1066:
	s_mov_b64 s[66:67], 0
.LBB39_1067:
	s_and_b64 vcc, exec, s[66:67]
	s_cbranch_vccz .LBB39_1070
; %bb.1068:
	s_cmp_eq_u32 s71, 29
	s_mov_b64 s[0:1], -1
	s_cbranch_scc0 .LBB39_1070
; %bb.1069:
	s_mov_b32 s0, 0
	v_cndmask_b32_e64 v2, 0, 1, s[62:63]
	v_mov_b32_e32 v3, s0
	global_store_dwordx2 v[0:1], v[2:3], off
	s_mov_b64 s[64:65], -1
	s_mov_b64 s[0:1], 0
.LBB39_1070:
	s_mov_b64 s[66:67], 0
.LBB39_1071:
	s_and_b64 vcc, exec, s[66:67]
	s_cbranch_vccz .LBB39_1087
; %bb.1072:
	s_cmp_lt_i32 s71, 27
	s_mov_b64 s[64:65], -1
	s_cbranch_scc1 .LBB39_1078
; %bb.1073:
	s_cmp_gt_i32 s71, 27
	s_cbranch_scc0 .LBB39_1075
; %bb.1074:
	v_cndmask_b32_e64 v2, 0, 1, s[62:63]
	s_mov_b64 s[64:65], 0
	global_store_dword v[0:1], v2, off
.LBB39_1075:
	s_andn2_b64 vcc, exec, s[64:65]
	s_cbranch_vccnz .LBB39_1077
; %bb.1076:
	v_cndmask_b32_e64 v2, 0, 1, s[62:63]
	global_store_short v[0:1], v2, off
.LBB39_1077:
	s_mov_b64 s[64:65], 0
.LBB39_1078:
	s_andn2_b64 vcc, exec, s[64:65]
	s_cbranch_vccnz .LBB39_1086
; %bb.1079:
	v_cndmask_b32_e64 v3, 0, 1.0, s[62:63]
	s_mov_b32 s64, 0x43800000
	v_cmp_gt_u32_e32 vcc, s64, v3
	v_mov_b32_e32 v4, 0x80
	s_and_saveexec_b64 s[64:65], vcc
	s_cbranch_execz .LBB39_1085
; %bb.1080:
	s_mov_b32 s66, 0x3bffffff
	v_cmp_lt_u32_e32 vcc, s66, v3
	s_mov_b64 s[66:67], 0
                                        ; implicit-def: $vgpr2
	s_and_saveexec_b64 s[68:69], vcc
	s_xor_b64 s[68:69], exec, s[68:69]
	s_cbranch_execz .LBB39_1199
; %bb.1081:
	v_bfe_u32 v2, v3, 20, 1
	s_mov_b32 s76, 0x487ffff
	v_add3_u32 v2, v3, v2, s76
	s_mov_b64 s[66:67], exec
	v_lshrrev_b32_e32 v2, 20, v2
                                        ; implicit-def: $vgpr3
	s_andn2_saveexec_b64 s[68:69], s[68:69]
	s_cbranch_execnz .LBB39_1200
.LBB39_1082:
	s_or_b64 exec, exec, s[68:69]
	v_mov_b32_e32 v4, 0
	s_and_saveexec_b64 s[68:69], s[66:67]
.LBB39_1083:
	v_mov_b32_e32 v4, v2
.LBB39_1084:
	s_or_b64 exec, exec, s[68:69]
.LBB39_1085:
	s_or_b64 exec, exec, s[64:65]
	global_store_byte v[0:1], v4, off
.LBB39_1086:
	s_mov_b64 s[64:65], -1
.LBB39_1087:
	s_mov_b64 s[66:67], 0
.LBB39_1088:
	s_and_b64 vcc, exec, s[66:67]
	s_cbranch_vccz .LBB39_1129
; %bb.1089:
	s_cmp_gt_i32 s71, 22
	s_mov_b64 s[66:67], -1
	s_cbranch_scc0 .LBB39_1121
; %bb.1090:
	s_cmp_lt_i32 s71, 24
	s_mov_b64 s[64:65], -1
	s_cbranch_scc1 .LBB39_1110
; %bb.1091:
	s_cmp_gt_i32 s71, 24
	s_cbranch_scc0 .LBB39_1099
; %bb.1092:
	v_cndmask_b32_e64 v3, 0, 1.0, s[62:63]
	s_mov_b32 s64, 0x47800000
	v_cmp_gt_u32_e32 vcc, s64, v3
	v_mov_b32_e32 v4, 0x80
	s_and_saveexec_b64 s[64:65], vcc
	s_cbranch_execz .LBB39_1098
; %bb.1093:
	s_mov_b32 s66, 0x37ffffff
	v_cmp_lt_u32_e32 vcc, s66, v3
	s_mov_b64 s[66:67], 0
                                        ; implicit-def: $vgpr2
	s_and_saveexec_b64 s[68:69], vcc
	s_xor_b64 s[68:69], exec, s[68:69]
	s_cbranch_execz .LBB39_2236
; %bb.1094:
	v_bfe_u32 v2, v3, 21, 1
	s_mov_b32 s76, 0x88fffff
	v_add3_u32 v2, v3, v2, s76
	s_mov_b64 s[66:67], exec
	v_lshrrev_b32_e32 v2, 21, v2
                                        ; implicit-def: $vgpr3
	s_andn2_saveexec_b64 s[68:69], s[68:69]
	s_cbranch_execnz .LBB39_2237
.LBB39_1095:
	s_or_b64 exec, exec, s[68:69]
	v_mov_b32_e32 v4, 0
	s_and_saveexec_b64 s[68:69], s[66:67]
.LBB39_1096:
	v_mov_b32_e32 v4, v2
.LBB39_1097:
	s_or_b64 exec, exec, s[68:69]
.LBB39_1098:
	s_or_b64 exec, exec, s[64:65]
	s_mov_b64 s[64:65], 0
	global_store_byte v[0:1], v4, off
.LBB39_1099:
	s_and_b64 vcc, exec, s[64:65]
	s_cbranch_vccz .LBB39_1109
; %bb.1100:
	v_cndmask_b32_e64 v2, 0, 1.0, s[62:63]
	s_mov_b32 s64, 0x43f00000
	v_cmp_gt_u32_e32 vcc, s64, v2
                                        ; implicit-def: $vgpr3
	s_and_saveexec_b64 s[64:65], vcc
	s_xor_b64 s[64:65], exec, s[64:65]
	s_cbranch_execz .LBB39_1106
; %bb.1101:
	s_mov_b32 s66, 0x3c7fffff
	v_cmp_lt_u32_e32 vcc, s66, v2
                                        ; implicit-def: $vgpr3
	s_and_saveexec_b64 s[66:67], vcc
	s_xor_b64 s[66:67], exec, s[66:67]
; %bb.1102:
	v_bfe_u32 v3, v2, 20, 1
	s_mov_b32 s68, 0x407ffff
	v_add3_u32 v2, v2, v3, s68
	v_lshrrev_b32_e32 v3, 20, v2
	v_and_b32_e32 v2, 0xff00000, v2
	s_mov_b32 s68, 0x7f00000
	v_mov_b32_e32 v4, 0x7e
	v_cmp_ne_u32_e32 vcc, s68, v2
	v_cndmask_b32_e32 v3, v4, v3, vcc
                                        ; implicit-def: $vgpr2
; %bb.1103:
	s_andn2_saveexec_b64 s[66:67], s[66:67]
; %bb.1104:
	v_add_f32_e32 v3, 0x46800000, v2
; %bb.1105:
	s_or_b64 exec, exec, s[66:67]
                                        ; implicit-def: $vgpr2
.LBB39_1106:
	s_andn2_saveexec_b64 s[64:65], s[64:65]
; %bb.1107:
	s_mov_b32 s66, 0x7f800000
	v_mov_b32_e32 v3, 0x7e
	v_mov_b32_e32 v4, 0x7f
	v_cmp_lt_u32_e32 vcc, s66, v2
	v_cndmask_b32_e32 v3, v3, v4, vcc
; %bb.1108:
	s_or_b64 exec, exec, s[64:65]
	global_store_byte v[0:1], v3, off
.LBB39_1109:
	s_mov_b64 s[64:65], 0
.LBB39_1110:
	s_andn2_b64 vcc, exec, s[64:65]
	s_cbranch_vccnz .LBB39_1120
; %bb.1111:
	v_cndmask_b32_e64 v2, 0, 1.0, s[62:63]
	s_mov_b32 s64, 0x47800000
	v_cmp_gt_u32_e32 vcc, s64, v2
                                        ; implicit-def: $vgpr3
	s_and_saveexec_b64 s[64:65], vcc
	s_xor_b64 s[64:65], exec, s[64:65]
	s_cbranch_execz .LBB39_1117
; %bb.1112:
	s_mov_b32 s66, 0x387fffff
	v_cmp_lt_u32_e32 vcc, s66, v2
                                        ; implicit-def: $vgpr3
	s_and_saveexec_b64 s[66:67], vcc
	s_xor_b64 s[66:67], exec, s[66:67]
; %bb.1113:
	v_bfe_u32 v3, v2, 21, 1
	s_mov_b32 s68, 0x80fffff
	v_add3_u32 v2, v2, v3, s68
	v_lshrrev_b32_e32 v3, 21, v2
                                        ; implicit-def: $vgpr2
; %bb.1114:
	s_andn2_saveexec_b64 s[66:67], s[66:67]
; %bb.1115:
	v_add_f32_e32 v3, 0x43000000, v2
; %bb.1116:
	s_or_b64 exec, exec, s[66:67]
                                        ; implicit-def: $vgpr2
.LBB39_1117:
	s_andn2_saveexec_b64 s[64:65], s[64:65]
; %bb.1118:
	s_mov_b32 s66, 0x7f800000
	v_mov_b32_e32 v3, 0x7c
	v_mov_b32_e32 v4, 0x7f
	v_cmp_lt_u32_e32 vcc, s66, v2
	v_cndmask_b32_e32 v3, v3, v4, vcc
; %bb.1119:
	s_or_b64 exec, exec, s[64:65]
	global_store_byte v[0:1], v3, off
.LBB39_1120:
	s_mov_b64 s[66:67], 0
	s_mov_b64 s[64:65], -1
.LBB39_1121:
	s_andn2_b64 vcc, exec, s[66:67]
	s_cbranch_vccnz .LBB39_1129
; %bb.1122:
	s_cmp_gt_i32 s71, 14
	s_mov_b64 s[66:67], -1
	s_cbranch_scc0 .LBB39_1126
; %bb.1123:
	s_cmp_eq_u32 s71, 15
	s_mov_b64 s[0:1], -1
	s_cbranch_scc0 .LBB39_1125
; %bb.1124:
	v_cndmask_b32_e64 v2, 0, 1.0, s[62:63]
	v_bfe_u32 v3, v2, 16, 1
	s_movk_i32 s0, 0x7fff
	v_add3_u32 v2, v2, v3, s0
	global_store_short_d16_hi v[0:1], v2, off
	s_mov_b64 s[64:65], -1
	s_mov_b64 s[0:1], 0
.LBB39_1125:
	s_mov_b64 s[66:67], 0
.LBB39_1126:
	s_and_b64 vcc, exec, s[66:67]
	s_cbranch_vccz .LBB39_1129
; %bb.1127:
	s_cmp_eq_u32 s71, 11
	s_mov_b64 s[0:1], -1
	s_cbranch_scc0 .LBB39_1129
; %bb.1128:
	v_cndmask_b32_e64 v2, 0, 1, s[62:63]
	s_mov_b64 s[64:65], -1
	s_mov_b64 s[0:1], 0
	global_store_byte v[0:1], v2, off
.LBB39_1129:
	s_mov_b64 s[66:67], 0
.LBB39_1130:
	s_and_b64 vcc, exec, s[66:67]
	s_cbranch_vccz .LBB39_1169
; %bb.1131:
	s_and_b32 s14, 0xffff, s14
	s_cmp_lt_i32 s14, 5
	s_mov_b64 s[64:65], -1
	s_cbranch_scc1 .LBB39_1152
; %bb.1132:
	s_cmp_lt_i32 s14, 8
	s_cbranch_scc1 .LBB39_1142
; %bb.1133:
	s_cmp_lt_i32 s14, 9
	s_cbranch_scc1 .LBB39_1139
; %bb.1134:
	s_cmp_gt_i32 s14, 9
	s_cbranch_scc0 .LBB39_1136
; %bb.1135:
	v_cndmask_b32_e64 v2, 0, 1, s[62:63]
	v_cvt_f64_u32_e32 v[2:3], v2
	v_mov_b32_e32 v4, 0
	v_mov_b32_e32 v5, v4
	s_mov_b64 s[64:65], 0
	global_store_dwordx4 v[0:1], v[2:5], off
.LBB39_1136:
	s_andn2_b64 vcc, exec, s[64:65]
	s_cbranch_vccnz .LBB39_1138
; %bb.1137:
	v_cndmask_b32_e64 v2, 0, 1.0, s[62:63]
	v_mov_b32_e32 v3, 0
	global_store_dwordx2 v[0:1], v[2:3], off
.LBB39_1138:
	s_mov_b64 s[64:65], 0
.LBB39_1139:
	s_andn2_b64 vcc, exec, s[64:65]
	s_cbranch_vccnz .LBB39_1141
; %bb.1140:
	v_cndmask_b32_e64 v2, 0, 1.0, s[62:63]
	v_cvt_f16_f32_e32 v2, v2
	global_store_dword v[0:1], v2, off
.LBB39_1141:
	s_mov_b64 s[64:65], 0
.LBB39_1142:
	s_andn2_b64 vcc, exec, s[64:65]
	s_cbranch_vccnz .LBB39_1151
; %bb.1143:
	s_cmp_lt_i32 s14, 6
	s_mov_b64 s[64:65], -1
	s_cbranch_scc1 .LBB39_1149
; %bb.1144:
	s_cmp_gt_i32 s14, 6
	s_cbranch_scc0 .LBB39_1146
; %bb.1145:
	v_cndmask_b32_e64 v2, 0, 1, s[62:63]
	v_cvt_f64_u32_e32 v[2:3], v2
	s_mov_b64 s[64:65], 0
	global_store_dwordx2 v[0:1], v[2:3], off
.LBB39_1146:
	s_andn2_b64 vcc, exec, s[64:65]
	s_cbranch_vccnz .LBB39_1148
; %bb.1147:
	v_cndmask_b32_e64 v2, 0, 1.0, s[62:63]
	global_store_dword v[0:1], v2, off
.LBB39_1148:
	s_mov_b64 s[64:65], 0
.LBB39_1149:
	s_andn2_b64 vcc, exec, s[64:65]
	s_cbranch_vccnz .LBB39_1151
; %bb.1150:
	v_cndmask_b32_e64 v2, 0, 1.0, s[62:63]
	v_cvt_f16_f32_e32 v2, v2
	global_store_short v[0:1], v2, off
.LBB39_1151:
	s_mov_b64 s[64:65], 0
.LBB39_1152:
	s_andn2_b64 vcc, exec, s[64:65]
	s_cbranch_vccnz .LBB39_1168
; %bb.1153:
	s_cmp_lt_i32 s14, 2
	s_mov_b64 s[64:65], -1
	s_cbranch_scc1 .LBB39_1163
; %bb.1154:
	s_cmp_lt_i32 s14, 3
	s_cbranch_scc1 .LBB39_1160
; %bb.1155:
	s_cmp_gt_i32 s14, 3
	s_cbranch_scc0 .LBB39_1157
; %bb.1156:
	s_mov_b32 s64, 0
	v_cndmask_b32_e64 v2, 0, 1, s[62:63]
	v_mov_b32_e32 v3, s64
	s_mov_b64 s[64:65], 0
	global_store_dwordx2 v[0:1], v[2:3], off
.LBB39_1157:
	s_andn2_b64 vcc, exec, s[64:65]
	s_cbranch_vccnz .LBB39_1159
; %bb.1158:
	v_cndmask_b32_e64 v2, 0, 1, s[62:63]
	global_store_dword v[0:1], v2, off
.LBB39_1159:
	s_mov_b64 s[64:65], 0
.LBB39_1160:
	s_andn2_b64 vcc, exec, s[64:65]
	s_cbranch_vccnz .LBB39_1162
; %bb.1161:
	v_cndmask_b32_e64 v2, 0, 1, s[62:63]
	global_store_short v[0:1], v2, off
.LBB39_1162:
	s_mov_b64 s[64:65], 0
.LBB39_1163:
	s_andn2_b64 vcc, exec, s[64:65]
	s_cbranch_vccnz .LBB39_1168
; %bb.1164:
	s_mov_b64 s[64:65], -1
	s_cmp_gt_i32 s14, 0
	v_cndmask_b32_e64 v2, 0, 1, s[62:63]
	s_cbranch_scc0 .LBB39_1166
; %bb.1165:
	s_mov_b64 s[64:65], 0
	global_store_byte v[0:1], v2, off
.LBB39_1166:
	s_andn2_b64 vcc, exec, s[64:65]
	s_cbranch_vccnz .LBB39_1168
; %bb.1167:
	global_store_byte v[0:1], v2, off
.LBB39_1168:
	s_mov_b64 s[64:65], -1
.LBB39_1169:
	s_andn2_b64 vcc, exec, s[64:65]
	s_cbranch_vccnz .LBB39_1181
; %bb.1170:
	v_add_u32_e32 v8, 0x80, v8
	s_mov_b64 s[64:65], -1
.LBB39_1171:
	s_andn2_b64 s[62:63], s[52:53], exec
	s_and_b64 s[0:1], s[0:1], exec
	s_or_b64 s[62:63], s[62:63], s[0:1]
	s_andn2_b64 s[0:1], s[50:51], exec
	s_and_b64 s[60:61], s[60:61], exec
	s_or_b64 s[60:61], s[0:1], s[60:61]
	;; [unrolled: 3-line block ×3, first 2 shown]
	s_orn2_b64 s[68:69], s[64:65], exec
.LBB39_1172:
	s_or_b64 exec, exec, s[56:57]
	s_mov_b64 s[64:65], 0
	s_mov_b64 s[58:59], 0
	;; [unrolled: 1-line block ×3, first 2 shown]
                                        ; implicit-def: $sgpr14
                                        ; implicit-def: $vgpr3_vgpr4
                                        ; implicit-def: $vgpr0
                                        ; implicit-def: $vgpr2
                                        ; implicit-def: $vgpr5
	s_and_saveexec_b64 s[56:57], s[68:69]
	s_cbranch_execz .LBB39_1263
; %bb.1173:
	v_cmp_gt_i32_e32 vcc, s70, v8
	s_mov_b64 s[68:69], s[0:1]
	s_mov_b64 s[70:71], 0
                                        ; implicit-def: $sgpr14
                                        ; implicit-def: $vgpr3_vgpr4
                                        ; implicit-def: $vgpr0
                                        ; implicit-def: $vgpr2
                                        ; implicit-def: $vgpr5
	s_and_saveexec_b64 s[58:59], vcc
	s_cbranch_execz .LBB39_1262
; %bb.1174:
	s_andn2_b64 vcc, exec, s[24:25]
	s_cbranch_vccnz .LBB39_1180
; %bb.1175:
	s_andn2_b64 vcc, exec, s[38:39]
	s_cbranch_vccnz .LBB39_1182
; %bb.1176:
	s_add_i32 s14, s75, 1
	s_and_b32 s14, s14, 30
	s_add_u32 s38, s2, 0xffffffe8
	s_addc_u32 s39, s3, -1
	v_mov_b32_e32 v2, 0
	v_mov_b32_e32 v4, 0
	v_mov_b32_e32 v0, 0
	v_mov_b32_e32 v1, v8
.LBB39_1177:                            ; =>This Inner Loop Header: Depth=1
	s_load_dwordx4 s[64:67], s[38:39], 0x1c
	s_load_dwordx2 s[76:77], s[38:39], 0x2c
	s_load_dwordx2 s[78:79], s[38:39], 0xec
	s_load_dwordx4 s[68:71], s[38:39], 0xdc
	s_add_u32 s38, s38, 24
	s_waitcnt vmcnt(0) lgkmcnt(0)
	v_mul_hi_u32 v3, s65, v1
	s_addc_u32 s39, s39, 0
	s_add_i32 s14, s14, -2
	s_cmp_eq_u32 s14, 0
	v_add_u32_e32 v3, v1, v3
	v_lshrrev_b32_e32 v3, s66, v3
	v_mul_lo_u32 v5, v3, s64
	v_mul_hi_u32 v6, s76, v3
	v_sub_u32_e32 v5, v1, v5
	v_add_u32_e32 v1, v3, v6
	v_lshrrev_b32_e32 v1, s77, v1
	v_mul_lo_u32 v9, v1, s67
	v_mul_lo_u32 v6, v5, s68
	;; [unrolled: 1-line block ×4, first 2 shown]
	v_sub_u32_e32 v3, v3, v9
	v_mul_lo_u32 v9, v3, s71
	v_mul_lo_u32 v10, v3, s78
	v_mul_lo_u32 v3, v3, s79
	v_add3_u32 v0, v6, v0, v9
	v_add3_u32 v4, v7, v4, v10
	;; [unrolled: 1-line block ×3, first 2 shown]
	s_cbranch_scc0 .LBB39_1177
; %bb.1178:
	s_bitcmp1_b32 s75, 0
	s_cselect_b64 s[64:65], -1, 0
	s_and_b64 vcc, exec, s[64:65]
	s_cbranch_vccnz .LBB39_1183
; %bb.1179:
	s_load_dwordx2 s[64:65], s[38:39], 0x1c
	s_load_dword s14, s[38:39], 0x24
	s_load_dwordx2 s[66:67], s[38:39], 0xdc
	s_waitcnt lgkmcnt(0)
	v_mul_hi_u32 v3, s65, v1
	v_add_u32_e32 v3, v1, v3
	v_lshrrev_b32_e32 v3, s14, v3
	v_mul_lo_u32 v3, v3, s64
	s_load_dword s14, s[38:39], 0xe4
	v_sub_u32_e32 v3, v1, v3
	v_mad_u64_u32 v[0:1], s[38:39], v3, s66, v[0:1]
	v_mad_u64_u32 v[4:5], s[38:39], v3, s67, v[4:5]
	s_waitcnt lgkmcnt(0)
	v_mad_u64_u32 v[2:3], s[38:39], v3, s14, v[2:3]
	s_branch .LBB39_1183
.LBB39_1180:
	s_mov_b64 s[38:39], -1
                                        ; implicit-def: $vgpr0
                                        ; implicit-def: $vgpr4
                                        ; implicit-def: $vgpr2
	s_branch .LBB39_1184
.LBB39_1181:
	s_mov_b64 s[64:65], 0
	s_branch .LBB39_928
.LBB39_1182:
	v_mov_b32_e32 v0, 0
	v_mov_b32_e32 v4, 0
	;; [unrolled: 1-line block ×3, first 2 shown]
.LBB39_1183:
	s_mov_b64 s[38:39], 0
.LBB39_1184:
	s_andn2_b64 vcc, exec, s[38:39]
	s_cbranch_vccnz .LBB39_1187
; %bb.1185:
	v_mul_hi_u32 v0, s17, v8
	s_andn2_b64 vcc, exec, s[36:37]
	v_add_u32_e32 v0, v8, v0
	v_lshrrev_b32_e32 v1, s18, v0
	v_mul_lo_u32 v0, v1, s16
	v_sub_u32_e32 v2, v8, v0
	v_mul_lo_u32 v0, v2, s20
	v_mul_lo_u32 v4, v2, s21
	;; [unrolled: 1-line block ×3, first 2 shown]
	s_cbranch_vccnz .LBB39_1187
; %bb.1186:
	s_waitcnt vmcnt(0)
	v_mul_hi_u32 v3, s34, v1
	v_add_u32_e32 v3, v1, v3
	v_lshrrev_b32_e32 v3, s35, v3
	v_mul_lo_u32 v3, v3, s19
	v_sub_u32_e32 v3, v1, v3
	v_mad_u64_u32 v[0:1], s[16:17], v3, s23, v[0:1]
	v_mad_u64_u32 v[4:5], s[16:17], v3, s30, v[4:5]
	;; [unrolled: 1-line block ×3, first 2 shown]
.LBB39_1187:
	v_mov_b32_e32 v1, s11
	s_and_b32 s14, s74, 0xff
	s_waitcnt vmcnt(0)
	v_add_co_u32_e32 v3, vcc, s10, v4
	s_cmp_lt_i32 s14, 11
	v_addc_co_u32_e32 v4, vcc, 0, v1, vcc
	s_cbranch_scc1 .LBB39_1194
; %bb.1188:
	s_and_b32 s22, 0xffff, s14
	s_cmp_gt_i32 s22, 25
	s_mov_b64 s[16:17], 0
	s_cbranch_scc0 .LBB39_1195
; %bb.1189:
	s_cmp_gt_i32 s22, 28
	s_cbranch_scc0 .LBB39_1196
; %bb.1190:
	s_cmp_gt_i32 s22, 43
	;; [unrolled: 3-line block ×3, first 2 shown]
	s_cbranch_scc0 .LBB39_1198
; %bb.1192:
	s_cmp_eq_u32 s22, 46
	s_mov_b64 s[20:21], 0
	s_cbranch_scc0 .LBB39_1201
; %bb.1193:
	global_load_dword v1, v[3:4], off
	s_mov_b64 s[10:11], 0
	s_mov_b64 s[18:19], -1
	s_waitcnt vmcnt(0)
	v_lshlrev_b32_e32 v1, 16, v1
	v_cvt_i32_f32_e32 v5, v1
	s_branch .LBB39_1202
.LBB39_1194:
	s_mov_b64 s[20:21], -1
	s_mov_b64 s[18:19], 0
	s_mov_b64 s[16:17], 0
	;; [unrolled: 1-line block ×3, first 2 shown]
                                        ; implicit-def: $vgpr5
	s_branch .LBB39_1261
.LBB39_1195:
	s_mov_b64 s[20:21], -1
	s_mov_b64 s[18:19], 0
	s_mov_b64 s[10:11], s[0:1]
                                        ; implicit-def: $vgpr5
	s_branch .LBB39_1229
.LBB39_1196:
	s_mov_b64 s[20:21], -1
	s_mov_b64 s[18:19], 0
	s_mov_b64 s[10:11], s[0:1]
                                        ; implicit-def: $vgpr5
	s_branch .LBB39_1212
.LBB39_1197:
	s_mov_b64 s[20:21], -1
	s_mov_b64 s[18:19], 0
	s_mov_b64 s[10:11], s[0:1]
                                        ; implicit-def: $vgpr5
	s_branch .LBB39_1207
.LBB39_1198:
	s_mov_b64 s[20:21], -1
	s_mov_b64 s[18:19], 0
	s_mov_b64 s[10:11], s[0:1]
                                        ; implicit-def: $vgpr5
	s_branch .LBB39_1202
.LBB39_1199:
	s_andn2_saveexec_b64 s[68:69], s[68:69]
	s_cbranch_execz .LBB39_1082
.LBB39_1200:
	v_add_f32_e32 v2, 0x46000000, v3
	v_and_b32_e32 v2, 0xff, v2
	v_cmp_ne_u32_e32 vcc, 0, v2
	s_andn2_b64 s[66:67], s[66:67], exec
	s_and_b64 s[76:77], vcc, exec
	s_or_b64 s[66:67], s[66:67], s[76:77]
	s_or_b64 exec, exec, s[68:69]
	v_mov_b32_e32 v4, 0
	s_and_saveexec_b64 s[68:69], s[66:67]
	s_cbranch_execnz .LBB39_1083
	s_branch .LBB39_1084
.LBB39_1201:
	s_mov_b64 s[10:11], -1
                                        ; implicit-def: $vgpr5
	s_mov_b64 s[18:19], 0
.LBB39_1202:
	s_and_b64 vcc, exec, s[20:21]
	s_cbranch_vccz .LBB39_1206
; %bb.1203:
	s_cmp_eq_u32 s22, 44
	s_cbranch_scc0 .LBB39_1205
; %bb.1204:
	global_load_ubyte v1, v[3:4], off
	s_mov_b64 s[10:11], 0
	s_mov_b64 s[18:19], -1
	s_waitcnt vmcnt(0)
	v_lshlrev_b32_e32 v5, 23, v1
	v_cvt_i32_f32_e32 v5, v5
	v_cmp_ne_u32_e32 vcc, 0, v1
	v_cndmask_b32_e32 v5, 0, v5, vcc
	s_branch .LBB39_1206
.LBB39_1205:
	s_mov_b64 s[10:11], -1
                                        ; implicit-def: $vgpr5
.LBB39_1206:
	s_mov_b64 s[20:21], 0
.LBB39_1207:
	s_and_b64 vcc, exec, s[20:21]
	s_cbranch_vccz .LBB39_1211
; %bb.1208:
	s_cmp_eq_u32 s22, 29
	s_cbranch_scc0 .LBB39_1210
; %bb.1209:
	global_load_dword v5, v[3:4], off
	s_mov_b64 s[10:11], 0
	s_mov_b64 s[18:19], -1
	s_branch .LBB39_1211
.LBB39_1210:
	s_mov_b64 s[10:11], -1
                                        ; implicit-def: $vgpr5
.LBB39_1211:
	s_mov_b64 s[20:21], 0
.LBB39_1212:
	s_and_b64 vcc, exec, s[20:21]
	s_cbranch_vccz .LBB39_1228
; %bb.1213:
	s_cmp_lt_i32 s22, 27
	s_cbranch_scc1 .LBB39_1216
; %bb.1214:
	s_cmp_gt_i32 s22, 27
	s_cbranch_scc0 .LBB39_1217
; %bb.1215:
	global_load_dword v5, v[3:4], off
	s_mov_b64 s[18:19], 0
	s_branch .LBB39_1218
.LBB39_1216:
	s_mov_b64 s[18:19], -1
                                        ; implicit-def: $vgpr5
	s_branch .LBB39_1221
.LBB39_1217:
	s_mov_b64 s[18:19], -1
                                        ; implicit-def: $vgpr5
.LBB39_1218:
	s_andn2_b64 vcc, exec, s[18:19]
	s_cbranch_vccnz .LBB39_1220
; %bb.1219:
	global_load_ushort v5, v[3:4], off
.LBB39_1220:
	s_mov_b64 s[18:19], 0
.LBB39_1221:
	s_andn2_b64 vcc, exec, s[18:19]
	s_cbranch_vccnz .LBB39_1227
; %bb.1222:
	global_load_ubyte v1, v[3:4], off
	s_movk_i32 s18, 0x7f
	s_mov_b64 s[20:21], 0
	s_waitcnt vmcnt(0)
	v_cmp_lt_i16_e32 vcc, s18, v1
	s_and_saveexec_b64 s[18:19], vcc
	s_xor_b64 s[18:19], exec, s[18:19]
	s_cbranch_execz .LBB39_1239
; %bb.1223:
	s_movk_i32 s20, 0x80
	v_cmp_ne_u16_e32 vcc, s20, v1
	s_and_b64 s[20:21], vcc, exec
	s_andn2_saveexec_b64 s[18:19], s[18:19]
	s_cbranch_execnz .LBB39_1240
.LBB39_1224:
	s_or_b64 exec, exec, s[18:19]
	v_mov_b32_e32 v5, 0
	s_and_saveexec_b64 s[18:19], s[20:21]
	s_cbranch_execz .LBB39_1226
.LBB39_1225:
	v_lshlrev_b32_e32 v5, 24, v1
	v_and_b32_e32 v1, 0xffff, v1
	v_and_b32_e32 v6, 7, v1
	v_ffbh_u32_e32 v8, v6
	v_min_u32_e32 v8, 32, v8
	v_subrev_u32_e32 v9, 28, v8
	v_bfe_u32 v7, v1, 3, 4
	v_lshlrev_b32_e32 v1, v9, v1
	v_sub_u32_e32 v8, 29, v8
	v_and_b32_e32 v1, 7, v1
	v_cmp_eq_u32_e32 vcc, 0, v7
	v_cndmask_b32_e32 v7, v7, v8, vcc
	v_cndmask_b32_e32 v1, v6, v1, vcc
	v_mov_b32_e32 v6, 0x3b800000
	v_lshlrev_b32_e32 v1, 20, v1
	v_and_b32_e32 v5, 0x80000000, v5
	v_lshl_add_u32 v6, v7, 23, v6
	v_or3_b32 v1, v5, v6, v1
	v_cvt_i32_f32_e32 v5, v1
.LBB39_1226:
	s_or_b64 exec, exec, s[18:19]
.LBB39_1227:
	s_mov_b64 s[18:19], -1
.LBB39_1228:
	s_mov_b64 s[20:21], 0
.LBB39_1229:
	s_and_b64 vcc, exec, s[20:21]
	s_cbranch_vccz .LBB39_1260
; %bb.1230:
	s_cmp_gt_i32 s22, 22
	s_cbranch_scc0 .LBB39_1238
; %bb.1231:
	s_cmp_lt_i32 s22, 24
	s_cbranch_scc1 .LBB39_1241
; %bb.1232:
	s_cmp_gt_i32 s22, 24
	s_cbranch_scc0 .LBB39_1242
; %bb.1233:
	global_load_ubyte v1, v[3:4], off
	s_movk_i32 s16, 0x7f
	s_mov_b64 s[18:19], 0
	s_waitcnt vmcnt(0)
	v_cmp_lt_i16_e32 vcc, s16, v1
	s_and_saveexec_b64 s[16:17], vcc
	s_xor_b64 s[16:17], exec, s[16:17]
	s_cbranch_execz .LBB39_1254
; %bb.1234:
	s_movk_i32 s18, 0x80
	v_cmp_ne_u16_e32 vcc, s18, v1
	s_and_b64 s[18:19], vcc, exec
	s_andn2_saveexec_b64 s[16:17], s[16:17]
	s_cbranch_execnz .LBB39_1255
.LBB39_1235:
	s_or_b64 exec, exec, s[16:17]
	v_mov_b32_e32 v5, 0
	s_and_saveexec_b64 s[16:17], s[18:19]
	s_cbranch_execz .LBB39_1237
.LBB39_1236:
	v_lshlrev_b32_e32 v5, 24, v1
	v_and_b32_e32 v1, 0xffff, v1
	v_and_b32_e32 v6, 3, v1
	v_ffbh_u32_e32 v8, v6
	v_min_u32_e32 v8, 32, v8
	v_subrev_u32_e32 v9, 29, v8
	v_bfe_u32 v7, v1, 2, 5
	v_lshlrev_b32_e32 v1, v9, v1
	v_sub_u32_e32 v8, 30, v8
	v_and_b32_e32 v1, 3, v1
	v_cmp_eq_u32_e32 vcc, 0, v7
	v_cndmask_b32_e32 v7, v7, v8, vcc
	v_cndmask_b32_e32 v1, v6, v1, vcc
	v_mov_b32_e32 v6, 0x37800000
	v_lshlrev_b32_e32 v1, 21, v1
	v_and_b32_e32 v5, 0x80000000, v5
	v_lshl_add_u32 v6, v7, 23, v6
	v_or3_b32 v1, v5, v6, v1
	v_cvt_i32_f32_e32 v5, v1
.LBB39_1237:
	s_or_b64 exec, exec, s[16:17]
	s_mov_b64 s[16:17], 0
	s_branch .LBB39_1243
.LBB39_1238:
	s_mov_b64 s[16:17], -1
                                        ; implicit-def: $vgpr5
	s_branch .LBB39_1249
.LBB39_1239:
	s_andn2_saveexec_b64 s[18:19], s[18:19]
	s_cbranch_execz .LBB39_1224
.LBB39_1240:
	v_cmp_ne_u16_e32 vcc, 0, v1
	s_andn2_b64 s[20:21], s[20:21], exec
	s_and_b64 s[30:31], vcc, exec
	s_or_b64 s[20:21], s[20:21], s[30:31]
	s_or_b64 exec, exec, s[18:19]
	v_mov_b32_e32 v5, 0
	s_and_saveexec_b64 s[18:19], s[20:21]
	s_cbranch_execnz .LBB39_1225
	s_branch .LBB39_1226
.LBB39_1241:
	s_mov_b64 s[16:17], -1
                                        ; implicit-def: $vgpr5
	s_branch .LBB39_1246
.LBB39_1242:
	s_mov_b64 s[16:17], -1
                                        ; implicit-def: $vgpr5
.LBB39_1243:
	s_and_b64 vcc, exec, s[16:17]
	s_cbranch_vccz .LBB39_1245
; %bb.1244:
	global_load_ubyte v1, v[3:4], off
	s_mov_b32 s16, 0x7f800000
	s_waitcnt vmcnt(0)
	v_lshlrev_b32_e32 v1, 24, v1
	v_and_b32_e32 v5, 0x7f000000, v1
	v_ffbh_u32_e32 v6, v5
	v_min_u32_e32 v6, 32, v6
	v_sub_u32_e64 v6, v6, 4 clamp
	v_lshlrev_b32_e32 v8, v6, v5
	v_lshlrev_b32_e32 v6, 23, v6
	v_lshrrev_b32_e32 v8, 4, v8
	v_add_u32_e32 v7, 0x1000000, v5
	v_sub_u32_e32 v6, v8, v6
	v_ashrrev_i32_e32 v7, 8, v7
	v_add_u32_e32 v6, 0x3c000000, v6
	v_and_or_b32 v6, v7, s16, v6
	v_cmp_ne_u32_e32 vcc, 0, v5
	v_cndmask_b32_e32 v5, 0, v6, vcc
	s_brev_b32 s16, 1
	v_and_or_b32 v1, v1, s16, v5
	v_cvt_i32_f32_e32 v5, v1
.LBB39_1245:
	s_mov_b64 s[16:17], 0
.LBB39_1246:
	s_andn2_b64 vcc, exec, s[16:17]
	s_cbranch_vccnz .LBB39_1248
; %bb.1247:
	global_load_ubyte v1, v[3:4], off
	s_movk_i32 s16, 0x7f00
	s_brev_b32 s17, 16
	s_waitcnt vmcnt(0)
	v_lshlrev_b16_e32 v5, 8, v1
	v_lshlrev_b32_e32 v1, 25, v1
	v_lshrrev_b32_e32 v6, 4, v1
	v_and_or_b32 v7, v5, s16, 0.5
	v_or_b32_e32 v6, 0x70000000, v6
	v_add_f32_e32 v7, -0.5, v7
	v_mul_f32_e32 v6, 0x7800000, v6
	v_cmp_gt_u32_e32 vcc, s17, v1
	v_bfe_i32 v5, v5, 0, 16
	v_cndmask_b32_e32 v1, v6, v7, vcc
	s_brev_b32 s16, 1
	v_and_or_b32 v1, v5, s16, v1
	v_cvt_i32_f32_e32 v5, v1
.LBB39_1248:
	s_mov_b64 s[16:17], 0
	s_mov_b64 s[18:19], -1
.LBB39_1249:
	s_andn2_b64 vcc, exec, s[16:17]
	s_mov_b64 s[16:17], 0
	s_cbranch_vccnz .LBB39_1260
; %bb.1250:
	s_cmp_gt_i32 s22, 14
	s_cbranch_scc0 .LBB39_1253
; %bb.1251:
	s_cmp_eq_u32 s22, 15
	s_cbranch_scc0 .LBB39_1256
; %bb.1252:
	global_load_ushort v1, v[3:4], off
	s_mov_b64 s[10:11], 0
	s_mov_b64 s[18:19], -1
	s_waitcnt vmcnt(0)
	v_lshlrev_b32_e32 v1, 16, v1
	v_cvt_i32_f32_e32 v5, v1
	s_branch .LBB39_1257
.LBB39_1253:
	s_mov_b64 s[20:21], -1
                                        ; implicit-def: $vgpr5
	s_branch .LBB39_1258
.LBB39_1254:
	s_andn2_saveexec_b64 s[16:17], s[16:17]
	s_cbranch_execz .LBB39_1235
.LBB39_1255:
	v_cmp_ne_u16_e32 vcc, 0, v1
	s_andn2_b64 s[18:19], s[18:19], exec
	s_and_b64 s[20:21], vcc, exec
	s_or_b64 s[18:19], s[18:19], s[20:21]
	s_or_b64 exec, exec, s[16:17]
	v_mov_b32_e32 v5, 0
	s_and_saveexec_b64 s[16:17], s[18:19]
	s_cbranch_execnz .LBB39_1236
	s_branch .LBB39_1237
.LBB39_1256:
	s_mov_b64 s[10:11], -1
                                        ; implicit-def: $vgpr5
.LBB39_1257:
	s_mov_b64 s[20:21], 0
.LBB39_1258:
	s_and_b64 vcc, exec, s[20:21]
	s_cbranch_vccz .LBB39_1260
; %bb.1259:
	s_cmp_lg_u32 s22, 11
	s_cselect_b64 s[20:21], -1, 0
	s_andn2_b64 s[10:11], s[10:11], exec
	s_and_b64 s[20:21], s[20:21], exec
	s_mov_b64 s[16:17], -1
	s_or_b64 s[10:11], s[10:11], s[20:21]
.LBB39_1260:
	s_mov_b64 s[20:21], 0
.LBB39_1261:
	s_and_b64 s[64:65], s[16:17], exec
	s_andn2_b64 s[16:17], s[0:1], exec
	s_and_b64 s[10:11], s[10:11], exec
	s_and_b64 s[66:67], s[18:19], exec
	;; [unrolled: 1-line block ×3, first 2 shown]
	s_or_b64 s[68:69], s[16:17], s[10:11]
.LBB39_1262:
	s_or_b64 exec, exec, s[58:59]
	s_andn2_b64 s[0:1], s[0:1], exec
	s_and_b64 s[10:11], s[68:69], exec
	s_and_b64 s[66:67], s[66:67], exec
	;; [unrolled: 1-line block ×4, first 2 shown]
	s_or_b64 s[0:1], s[0:1], s[10:11]
.LBB39_1263:
	s_or_b64 exec, exec, s[56:57]
	s_andn2_b64 s[10:11], s[52:53], exec
	s_and_b64 s[16:17], s[62:63], exec
	s_or_b64 s[52:53], s[10:11], s[16:17]
	s_andn2_b64 s[10:11], s[50:51], exec
	s_and_b64 s[16:17], s[60:61], exec
	s_or_b64 s[50:51], s[10:11], s[16:17]
	s_andn2_b64 s[10:11], s[48:49], exec
	s_and_b64 s[0:1], s[0:1], exec
	s_and_b64 s[60:61], s[66:67], exec
	;; [unrolled: 1-line block ×4, first 2 shown]
	s_or_b64 s[48:49], s[10:11], s[0:1]
.LBB39_1264:
	s_or_b64 exec, exec, s[54:55]
	s_andn2_b64 s[0:1], s[40:41], exec
	s_and_b64 s[10:11], s[52:53], exec
	s_or_b64 s[40:41], s[0:1], s[10:11]
	s_andn2_b64 s[0:1], s[42:43], exec
	s_and_b64 s[10:11], s[50:51], exec
	s_or_b64 s[42:43], s[0:1], s[10:11]
	s_andn2_b64 s[0:1], s[44:45], exec
	s_and_b64 s[10:11], s[48:49], exec
	s_and_b64 s[52:53], s[60:61], exec
	;; [unrolled: 1-line block ×4, first 2 shown]
	s_or_b64 s[44:45], s[0:1], s[10:11]
	s_or_b64 exec, exec, s[46:47]
	s_mov_b64 s[10:11], 0
	s_and_saveexec_b64 s[0:1], s[44:45]
	s_cbranch_execz .LBB39_395
.LBB39_1265:
	s_mov_b64 s[10:11], exec
	s_andn2_b64 s[50:51], s[50:51], exec
	s_trap 2
	s_or_b64 exec, exec, s[0:1]
	s_and_saveexec_b64 s[0:1], s[50:51]
	s_xor_b64 s[0:1], exec, s[0:1]
	s_cbranch_execnz .LBB39_396
.LBB39_1266:
	s_or_b64 exec, exec, s[0:1]
	s_and_saveexec_b64 s[0:1], s[54:55]
	s_cbranch_execz .LBB39_1312
.LBB39_1267:
	s_sext_i32_i16 s16, s14
	s_cmp_lt_i32 s16, 5
	s_cbranch_scc1 .LBB39_1272
; %bb.1268:
	s_cmp_lt_i32 s16, 8
	s_cbranch_scc1 .LBB39_1273
; %bb.1269:
	;; [unrolled: 3-line block ×3, first 2 shown]
	s_cmp_gt_i32 s16, 9
	s_cbranch_scc0 .LBB39_1275
; %bb.1271:
	s_waitcnt vmcnt(0)
	global_load_dwordx2 v[5:6], v[3:4], off
	s_mov_b64 s[16:17], 0
	s_waitcnt vmcnt(0)
	v_cvt_i32_f64_e32 v5, v[5:6]
	s_branch .LBB39_1276
.LBB39_1272:
                                        ; implicit-def: $vgpr5
	s_branch .LBB39_1293
.LBB39_1273:
                                        ; implicit-def: $vgpr5
	s_branch .LBB39_1282
.LBB39_1274:
	s_mov_b64 s[16:17], -1
                                        ; implicit-def: $vgpr5
	s_branch .LBB39_1279
.LBB39_1275:
	s_mov_b64 s[16:17], -1
                                        ; implicit-def: $vgpr5
.LBB39_1276:
	s_andn2_b64 vcc, exec, s[16:17]
	s_cbranch_vccnz .LBB39_1278
; %bb.1277:
	s_waitcnt vmcnt(0)
	global_load_dword v1, v[3:4], off
	s_waitcnt vmcnt(0)
	v_cvt_i32_f32_e32 v5, v1
.LBB39_1278:
	s_mov_b64 s[16:17], 0
.LBB39_1279:
	s_andn2_b64 vcc, exec, s[16:17]
	s_cbranch_vccnz .LBB39_1281
; %bb.1280:
	s_waitcnt vmcnt(0)
	global_load_dword v1, v[3:4], off
	s_waitcnt vmcnt(0)
	v_cvt_f32_f16_e32 v1, v1
	v_cvt_i32_f32_e32 v5, v1
.LBB39_1281:
	s_cbranch_execnz .LBB39_1292
.LBB39_1282:
	s_sext_i32_i16 s16, s14
	s_cmp_lt_i32 s16, 6
	s_cbranch_scc1 .LBB39_1285
; %bb.1283:
	s_cmp_gt_i32 s16, 6
	s_cbranch_scc0 .LBB39_1286
; %bb.1284:
	s_waitcnt vmcnt(0)
	global_load_dwordx2 v[5:6], v[3:4], off
	s_mov_b64 s[16:17], 0
	s_waitcnt vmcnt(0)
	v_cvt_i32_f64_e32 v5, v[5:6]
	s_branch .LBB39_1287
.LBB39_1285:
	s_mov_b64 s[16:17], -1
                                        ; implicit-def: $vgpr5
	s_branch .LBB39_1290
.LBB39_1286:
	s_mov_b64 s[16:17], -1
                                        ; implicit-def: $vgpr5
.LBB39_1287:
	s_andn2_b64 vcc, exec, s[16:17]
	s_cbranch_vccnz .LBB39_1289
; %bb.1288:
	s_waitcnt vmcnt(0)
	global_load_dword v1, v[3:4], off
	s_waitcnt vmcnt(0)
	v_cvt_i32_f32_e32 v5, v1
.LBB39_1289:
	s_mov_b64 s[16:17], 0
.LBB39_1290:
	s_andn2_b64 vcc, exec, s[16:17]
	s_cbranch_vccnz .LBB39_1292
; %bb.1291:
	s_waitcnt vmcnt(0)
	global_load_ushort v1, v[3:4], off
	s_waitcnt vmcnt(0)
	v_cvt_f32_f16_e32 v1, v1
	v_cvt_i32_f32_e32 v5, v1
.LBB39_1292:
	s_cbranch_execnz .LBB39_1311
.LBB39_1293:
	s_sext_i32_i16 s16, s14
	s_cmp_lt_i32 s16, 2
	s_cbranch_scc1 .LBB39_1297
; %bb.1294:
	s_cmp_lt_i32 s16, 3
	s_cbranch_scc1 .LBB39_1298
; %bb.1295:
	s_cmp_gt_i32 s16, 3
	s_cbranch_scc0 .LBB39_1299
; %bb.1296:
	s_waitcnt vmcnt(0)
	global_load_dword v5, v[3:4], off
	s_mov_b64 s[16:17], 0
	s_branch .LBB39_1300
.LBB39_1297:
                                        ; implicit-def: $vgpr5
	s_branch .LBB39_1306
.LBB39_1298:
	s_mov_b64 s[16:17], -1
                                        ; implicit-def: $vgpr5
	s_branch .LBB39_1303
.LBB39_1299:
	s_mov_b64 s[16:17], -1
                                        ; implicit-def: $vgpr5
.LBB39_1300:
	s_andn2_b64 vcc, exec, s[16:17]
	s_cbranch_vccnz .LBB39_1302
; %bb.1301:
	s_waitcnt vmcnt(0)
	global_load_dword v5, v[3:4], off
.LBB39_1302:
	s_mov_b64 s[16:17], 0
.LBB39_1303:
	s_andn2_b64 vcc, exec, s[16:17]
	s_cbranch_vccnz .LBB39_1305
; %bb.1304:
	s_waitcnt vmcnt(0)
	global_load_sshort v5, v[3:4], off
.LBB39_1305:
	s_cbranch_execnz .LBB39_1311
.LBB39_1306:
	s_sext_i32_i16 s14, s14
	s_cmp_gt_i32 s14, 0
	s_cbranch_scc0 .LBB39_1308
; %bb.1307:
	s_waitcnt vmcnt(0)
	global_load_sbyte v5, v[3:4], off
	s_mov_b64 s[16:17], 0
	s_branch .LBB39_1309
.LBB39_1308:
	s_mov_b64 s[16:17], -1
                                        ; implicit-def: $vgpr5
.LBB39_1309:
	s_andn2_b64 vcc, exec, s[16:17]
	s_cbranch_vccnz .LBB39_1311
; %bb.1310:
	s_waitcnt vmcnt(0)
	global_load_ubyte v5, v[3:4], off
.LBB39_1311:
	s_or_b64 s[52:53], s[52:53], exec
.LBB39_1312:
	s_or_b64 exec, exec, s[0:1]
	s_mov_b64 s[16:17], 0
	s_mov_b64 s[20:21], 0
	;; [unrolled: 1-line block ×3, first 2 shown]
                                        ; implicit-def: $sgpr14
                                        ; implicit-def: $vgpr3_vgpr4
                                        ; implicit-def: $vgpr6
	s_and_saveexec_b64 s[0:1], s[52:53]
	s_cbranch_execz .LBB39_1320
; %bb.1313:
	v_mov_b32_e32 v1, s13
	s_and_b32 s14, s73, 0xff
	s_waitcnt vmcnt(0)
	v_add_co_u32_e32 v3, vcc, s12, v2
	s_cmp_lt_i32 s14, 11
	v_addc_co_u32_e32 v4, vcc, 0, v1, vcc
	s_cbranch_scc1 .LBB39_1323
; %bb.1314:
	s_and_b32 s22, 0xffff, s14
	s_cmp_gt_i32 s22, 25
	s_cbranch_scc0 .LBB39_1324
; %bb.1315:
	s_cmp_gt_i32 s22, 28
	s_cbranch_scc0 .LBB39_1325
; %bb.1316:
	;; [unrolled: 3-line block ×4, first 2 shown]
	s_cmp_eq_u32 s22, 46
	s_cbranch_scc0 .LBB39_1328
; %bb.1319:
	global_load_dword v1, v[3:4], off
	s_mov_b64 s[12:13], 0
	s_mov_b64 s[18:19], -1
	s_waitcnt vmcnt(0)
	v_lshlrev_b32_e32 v1, 16, v1
	v_cvt_i32_f32_e32 v6, v1
	s_branch .LBB39_1330
.LBB39_1320:
	s_or_b64 exec, exec, s[0:1]
	s_and_saveexec_b64 s[0:1], s[42:43]
	s_cbranch_execnz .LBB39_1389
.LBB39_1321:
	s_or_b64 exec, exec, s[0:1]
	s_and_saveexec_b64 s[0:1], s[16:17]
	s_xor_b64 s[0:1], exec, s[0:1]
	s_cbranch_execz .LBB39_1390
.LBB39_1322:
	s_waitcnt vmcnt(0)
	global_load_ubyte v1, v[3:4], off
	s_or_b64 s[18:19], s[18:19], exec
	s_waitcnt vmcnt(0)
	v_cmp_ne_u16_e32 vcc, 0, v1
	v_cndmask_b32_e64 v6, 0, 1, vcc
	s_or_b64 exec, exec, s[0:1]
	s_and_saveexec_b64 s[0:1], s[20:21]
	s_cbranch_execz .LBB39_1436
	s_branch .LBB39_1391
.LBB39_1323:
	s_mov_b64 s[20:21], -1
                                        ; implicit-def: $vgpr6
	s_mov_b64 s[12:13], s[42:43]
	s_branch .LBB39_1388
.LBB39_1324:
	s_mov_b64 s[12:13], s[42:43]
                                        ; implicit-def: $vgpr6
	s_cbranch_execnz .LBB39_1357
	s_branch .LBB39_1387
.LBB39_1325:
	s_mov_b64 s[20:21], -1
	s_mov_b64 s[12:13], s[42:43]
                                        ; implicit-def: $vgpr6
	s_branch .LBB39_1340
.LBB39_1326:
	s_mov_b64 s[20:21], -1
	s_mov_b64 s[12:13], s[42:43]
                                        ; implicit-def: $vgpr6
	s_branch .LBB39_1335
.LBB39_1327:
	s_mov_b64 s[20:21], -1
	s_mov_b64 s[12:13], s[42:43]
	s_branch .LBB39_1329
.LBB39_1328:
	s_mov_b64 s[12:13], -1
.LBB39_1329:
                                        ; implicit-def: $vgpr6
.LBB39_1330:
	s_and_b64 vcc, exec, s[20:21]
	s_cbranch_vccz .LBB39_1334
; %bb.1331:
	s_cmp_eq_u32 s22, 44
	s_cbranch_scc0 .LBB39_1333
; %bb.1332:
	global_load_ubyte v1, v[3:4], off
	s_mov_b64 s[12:13], 0
	s_mov_b64 s[18:19], -1
	s_waitcnt vmcnt(0)
	v_lshlrev_b32_e32 v2, 23, v1
	v_cvt_i32_f32_e32 v2, v2
	v_cmp_ne_u32_e32 vcc, 0, v1
	v_cndmask_b32_e32 v6, 0, v2, vcc
	s_branch .LBB39_1334
.LBB39_1333:
	s_mov_b64 s[12:13], -1
                                        ; implicit-def: $vgpr6
.LBB39_1334:
	s_mov_b64 s[20:21], 0
.LBB39_1335:
	s_and_b64 vcc, exec, s[20:21]
	s_cbranch_vccz .LBB39_1339
; %bb.1336:
	s_cmp_eq_u32 s22, 29
	s_cbranch_scc0 .LBB39_1338
; %bb.1337:
	global_load_dword v6, v[3:4], off
	s_mov_b64 s[12:13], 0
	s_mov_b64 s[18:19], -1
	s_branch .LBB39_1339
.LBB39_1338:
	s_mov_b64 s[12:13], -1
                                        ; implicit-def: $vgpr6
.LBB39_1339:
	s_mov_b64 s[20:21], 0
.LBB39_1340:
	s_and_b64 vcc, exec, s[20:21]
	s_cbranch_vccz .LBB39_1356
; %bb.1341:
	s_cmp_lt_i32 s22, 27
	s_cbranch_scc1 .LBB39_1344
; %bb.1342:
	s_cmp_gt_i32 s22, 27
	s_cbranch_scc0 .LBB39_1345
; %bb.1343:
	global_load_dword v6, v[3:4], off
	s_mov_b64 s[18:19], 0
	s_branch .LBB39_1346
.LBB39_1344:
	s_mov_b64 s[18:19], -1
                                        ; implicit-def: $vgpr6
	s_branch .LBB39_1349
.LBB39_1345:
	s_mov_b64 s[18:19], -1
                                        ; implicit-def: $vgpr6
.LBB39_1346:
	s_andn2_b64 vcc, exec, s[18:19]
	s_cbranch_vccnz .LBB39_1348
; %bb.1347:
	global_load_ushort v6, v[3:4], off
.LBB39_1348:
	s_mov_b64 s[18:19], 0
.LBB39_1349:
	s_andn2_b64 vcc, exec, s[18:19]
	s_cbranch_vccnz .LBB39_1355
; %bb.1350:
	global_load_ubyte v1, v[3:4], off
	s_movk_i32 s18, 0x7f
	s_mov_b64 s[20:21], 0
	s_waitcnt vmcnt(0)
	v_cmp_lt_i16_e32 vcc, s18, v1
	s_and_saveexec_b64 s[18:19], vcc
	s_xor_b64 s[18:19], exec, s[18:19]
	s_cbranch_execz .LBB39_1366
; %bb.1351:
	s_movk_i32 s20, 0x80
	v_cmp_ne_u16_e32 vcc, s20, v1
	s_and_b64 s[20:21], vcc, exec
	s_andn2_saveexec_b64 s[18:19], s[18:19]
	s_cbranch_execnz .LBB39_1367
.LBB39_1352:
	s_or_b64 exec, exec, s[18:19]
	v_mov_b32_e32 v6, 0
	s_and_saveexec_b64 s[18:19], s[20:21]
	s_cbranch_execz .LBB39_1354
.LBB39_1353:
	v_lshlrev_b32_e32 v2, 24, v1
	v_and_b32_e32 v1, 0xffff, v1
	v_and_b32_e32 v6, 7, v1
	v_ffbh_u32_e32 v8, v6
	v_min_u32_e32 v8, 32, v8
	v_subrev_u32_e32 v9, 28, v8
	v_bfe_u32 v7, v1, 3, 4
	v_lshlrev_b32_e32 v1, v9, v1
	v_sub_u32_e32 v8, 29, v8
	v_and_b32_e32 v1, 7, v1
	v_cmp_eq_u32_e32 vcc, 0, v7
	v_cndmask_b32_e32 v7, v7, v8, vcc
	v_cndmask_b32_e32 v1, v6, v1, vcc
	v_mov_b32_e32 v6, 0x3b800000
	v_lshlrev_b32_e32 v1, 20, v1
	v_and_b32_e32 v2, 0x80000000, v2
	v_lshl_add_u32 v6, v7, 23, v6
	v_or3_b32 v1, v2, v6, v1
	v_cvt_i32_f32_e32 v6, v1
.LBB39_1354:
	s_or_b64 exec, exec, s[18:19]
.LBB39_1355:
	s_mov_b64 s[18:19], -1
.LBB39_1356:
	s_branch .LBB39_1387
.LBB39_1357:
	s_cmp_gt_i32 s22, 22
	s_cbranch_scc0 .LBB39_1365
; %bb.1358:
	s_cmp_lt_i32 s22, 24
	s_cbranch_scc1 .LBB39_1368
; %bb.1359:
	s_cmp_gt_i32 s22, 24
	s_cbranch_scc0 .LBB39_1369
; %bb.1360:
	global_load_ubyte v1, v[3:4], off
	s_movk_i32 s16, 0x7f
	s_mov_b64 s[18:19], 0
	s_waitcnt vmcnt(0)
	v_cmp_lt_i16_e32 vcc, s16, v1
	s_and_saveexec_b64 s[16:17], vcc
	s_xor_b64 s[16:17], exec, s[16:17]
	s_cbranch_execz .LBB39_1381
; %bb.1361:
	s_movk_i32 s18, 0x80
	v_cmp_ne_u16_e32 vcc, s18, v1
	s_and_b64 s[18:19], vcc, exec
	s_andn2_saveexec_b64 s[16:17], s[16:17]
	s_cbranch_execnz .LBB39_1382
.LBB39_1362:
	s_or_b64 exec, exec, s[16:17]
	v_mov_b32_e32 v6, 0
	s_and_saveexec_b64 s[16:17], s[18:19]
	s_cbranch_execz .LBB39_1364
.LBB39_1363:
	v_lshlrev_b32_e32 v2, 24, v1
	v_and_b32_e32 v1, 0xffff, v1
	v_and_b32_e32 v6, 3, v1
	v_ffbh_u32_e32 v8, v6
	v_min_u32_e32 v8, 32, v8
	v_subrev_u32_e32 v9, 29, v8
	v_bfe_u32 v7, v1, 2, 5
	v_lshlrev_b32_e32 v1, v9, v1
	v_sub_u32_e32 v8, 30, v8
	v_and_b32_e32 v1, 3, v1
	v_cmp_eq_u32_e32 vcc, 0, v7
	v_cndmask_b32_e32 v7, v7, v8, vcc
	v_cndmask_b32_e32 v1, v6, v1, vcc
	v_mov_b32_e32 v6, 0x37800000
	v_lshlrev_b32_e32 v1, 21, v1
	v_and_b32_e32 v2, 0x80000000, v2
	v_lshl_add_u32 v6, v7, 23, v6
	v_or3_b32 v1, v2, v6, v1
	v_cvt_i32_f32_e32 v6, v1
.LBB39_1364:
	s_or_b64 exec, exec, s[16:17]
	s_mov_b64 s[16:17], 0
	s_branch .LBB39_1370
.LBB39_1365:
	s_mov_b64 s[16:17], -1
                                        ; implicit-def: $vgpr6
	s_branch .LBB39_1376
.LBB39_1366:
	s_andn2_saveexec_b64 s[18:19], s[18:19]
	s_cbranch_execz .LBB39_1352
.LBB39_1367:
	v_cmp_ne_u16_e32 vcc, 0, v1
	s_andn2_b64 s[20:21], s[20:21], exec
	s_and_b64 s[30:31], vcc, exec
	s_or_b64 s[20:21], s[20:21], s[30:31]
	s_or_b64 exec, exec, s[18:19]
	v_mov_b32_e32 v6, 0
	s_and_saveexec_b64 s[18:19], s[20:21]
	s_cbranch_execnz .LBB39_1353
	s_branch .LBB39_1354
.LBB39_1368:
	s_mov_b64 s[16:17], -1
                                        ; implicit-def: $vgpr6
	s_branch .LBB39_1373
.LBB39_1369:
	s_mov_b64 s[16:17], -1
                                        ; implicit-def: $vgpr6
.LBB39_1370:
	s_and_b64 vcc, exec, s[16:17]
	s_cbranch_vccz .LBB39_1372
; %bb.1371:
	global_load_ubyte v1, v[3:4], off
	s_mov_b32 s16, 0x7f800000
	s_waitcnt vmcnt(0)
	v_lshlrev_b32_e32 v1, 24, v1
	v_and_b32_e32 v2, 0x7f000000, v1
	v_ffbh_u32_e32 v6, v2
	v_min_u32_e32 v6, 32, v6
	v_sub_u32_e64 v6, v6, 4 clamp
	v_lshlrev_b32_e32 v8, v6, v2
	v_lshlrev_b32_e32 v6, 23, v6
	v_lshrrev_b32_e32 v8, 4, v8
	v_add_u32_e32 v7, 0x1000000, v2
	v_sub_u32_e32 v6, v8, v6
	v_ashrrev_i32_e32 v7, 8, v7
	v_add_u32_e32 v6, 0x3c000000, v6
	v_and_or_b32 v6, v7, s16, v6
	v_cmp_ne_u32_e32 vcc, 0, v2
	v_cndmask_b32_e32 v2, 0, v6, vcc
	s_brev_b32 s16, 1
	v_and_or_b32 v1, v1, s16, v2
	v_cvt_i32_f32_e32 v6, v1
.LBB39_1372:
	s_mov_b64 s[16:17], 0
.LBB39_1373:
	s_andn2_b64 vcc, exec, s[16:17]
	s_cbranch_vccnz .LBB39_1375
; %bb.1374:
	global_load_ubyte v1, v[3:4], off
	s_movk_i32 s16, 0x7f00
	s_brev_b32 s17, 16
	s_waitcnt vmcnt(0)
	v_lshlrev_b16_e32 v2, 8, v1
	v_lshlrev_b32_e32 v1, 25, v1
	v_lshrrev_b32_e32 v6, 4, v1
	v_and_or_b32 v7, v2, s16, 0.5
	v_or_b32_e32 v6, 0x70000000, v6
	v_add_f32_e32 v7, -0.5, v7
	v_mul_f32_e32 v6, 0x7800000, v6
	v_cmp_gt_u32_e32 vcc, s17, v1
	v_bfe_i32 v2, v2, 0, 16
	v_cndmask_b32_e32 v1, v6, v7, vcc
	s_brev_b32 s16, 1
	v_and_or_b32 v1, v2, s16, v1
	v_cvt_i32_f32_e32 v6, v1
.LBB39_1375:
	s_mov_b64 s[16:17], 0
	s_mov_b64 s[18:19], -1
.LBB39_1376:
	s_andn2_b64 vcc, exec, s[16:17]
	s_mov_b64 s[16:17], 0
	s_cbranch_vccnz .LBB39_1387
; %bb.1377:
	s_cmp_gt_i32 s22, 14
	s_cbranch_scc0 .LBB39_1380
; %bb.1378:
	s_cmp_eq_u32 s22, 15
	s_cbranch_scc0 .LBB39_1383
; %bb.1379:
	global_load_ushort v1, v[3:4], off
	s_mov_b64 s[12:13], 0
	s_mov_b64 s[18:19], -1
	s_waitcnt vmcnt(0)
	v_lshlrev_b32_e32 v1, 16, v1
	v_cvt_i32_f32_e32 v6, v1
	s_branch .LBB39_1384
.LBB39_1380:
	s_mov_b64 s[20:21], -1
                                        ; implicit-def: $vgpr6
	s_branch .LBB39_1385
.LBB39_1381:
	s_andn2_saveexec_b64 s[16:17], s[16:17]
	s_cbranch_execz .LBB39_1362
.LBB39_1382:
	v_cmp_ne_u16_e32 vcc, 0, v1
	s_andn2_b64 s[18:19], s[18:19], exec
	s_and_b64 s[20:21], vcc, exec
	s_or_b64 s[18:19], s[18:19], s[20:21]
	s_or_b64 exec, exec, s[16:17]
	v_mov_b32_e32 v6, 0
	s_and_saveexec_b64 s[16:17], s[18:19]
	s_cbranch_execnz .LBB39_1363
	s_branch .LBB39_1364
.LBB39_1383:
	s_mov_b64 s[12:13], -1
                                        ; implicit-def: $vgpr6
.LBB39_1384:
	s_mov_b64 s[20:21], 0
.LBB39_1385:
	s_and_b64 vcc, exec, s[20:21]
	s_cbranch_vccz .LBB39_1387
; %bb.1386:
	s_cmp_lg_u32 s22, 11
	s_cselect_b64 s[20:21], -1, 0
	s_andn2_b64 s[12:13], s[12:13], exec
	s_and_b64 s[20:21], s[20:21], exec
	s_mov_b64 s[16:17], -1
	s_or_b64 s[12:13], s[12:13], s[20:21]
.LBB39_1387:
	s_mov_b64 s[20:21], 0
.LBB39_1388:
	s_andn2_b64 s[22:23], s[42:43], exec
	s_and_b64 s[12:13], s[12:13], exec
	s_and_b64 s[18:19], s[18:19], exec
	;; [unrolled: 1-line block ×4, first 2 shown]
	s_or_b64 s[42:43], s[22:23], s[12:13]
	s_or_b64 exec, exec, s[0:1]
	s_and_saveexec_b64 s[0:1], s[42:43]
	s_cbranch_execz .LBB39_1321
.LBB39_1389:
	s_or_b64 s[10:11], s[10:11], exec
	s_andn2_b64 s[16:17], s[16:17], exec
	s_trap 2
	s_or_b64 exec, exec, s[0:1]
	s_and_saveexec_b64 s[0:1], s[16:17]
	s_xor_b64 s[0:1], exec, s[0:1]
	s_cbranch_execnz .LBB39_1322
.LBB39_1390:
	s_or_b64 exec, exec, s[0:1]
	s_and_saveexec_b64 s[0:1], s[20:21]
	s_cbranch_execz .LBB39_1436
.LBB39_1391:
	s_sext_i32_i16 s12, s14
	s_cmp_lt_i32 s12, 5
	s_cbranch_scc1 .LBB39_1396
; %bb.1392:
	s_cmp_lt_i32 s12, 8
	s_cbranch_scc1 .LBB39_1397
; %bb.1393:
	;; [unrolled: 3-line block ×3, first 2 shown]
	s_cmp_gt_i32 s12, 9
	s_cbranch_scc0 .LBB39_1399
; %bb.1395:
	s_waitcnt vmcnt(0)
	global_load_dwordx2 v[1:2], v[3:4], off
	s_mov_b64 s[12:13], 0
	s_waitcnt vmcnt(0)
	v_cvt_i32_f64_e32 v6, v[1:2]
	s_branch .LBB39_1400
.LBB39_1396:
                                        ; implicit-def: $vgpr6
	s_branch .LBB39_1417
.LBB39_1397:
                                        ; implicit-def: $vgpr6
	s_branch .LBB39_1406
.LBB39_1398:
	s_mov_b64 s[12:13], -1
                                        ; implicit-def: $vgpr6
	s_branch .LBB39_1403
.LBB39_1399:
	s_mov_b64 s[12:13], -1
                                        ; implicit-def: $vgpr6
.LBB39_1400:
	s_andn2_b64 vcc, exec, s[12:13]
	s_cbranch_vccnz .LBB39_1402
; %bb.1401:
	s_waitcnt vmcnt(0)
	global_load_dword v1, v[3:4], off
	s_waitcnt vmcnt(0)
	v_cvt_i32_f32_e32 v6, v1
.LBB39_1402:
	s_mov_b64 s[12:13], 0
.LBB39_1403:
	s_andn2_b64 vcc, exec, s[12:13]
	s_cbranch_vccnz .LBB39_1405
; %bb.1404:
	s_waitcnt vmcnt(0)
	global_load_dword v1, v[3:4], off
	s_waitcnt vmcnt(0)
	v_cvt_f32_f16_e32 v1, v1
	v_cvt_i32_f32_e32 v6, v1
.LBB39_1405:
	s_cbranch_execnz .LBB39_1416
.LBB39_1406:
	s_sext_i32_i16 s12, s14
	s_cmp_lt_i32 s12, 6
	s_cbranch_scc1 .LBB39_1409
; %bb.1407:
	s_cmp_gt_i32 s12, 6
	s_cbranch_scc0 .LBB39_1410
; %bb.1408:
	s_waitcnt vmcnt(0)
	global_load_dwordx2 v[1:2], v[3:4], off
	s_mov_b64 s[12:13], 0
	s_waitcnt vmcnt(0)
	v_cvt_i32_f64_e32 v6, v[1:2]
	s_branch .LBB39_1411
.LBB39_1409:
	s_mov_b64 s[12:13], -1
                                        ; implicit-def: $vgpr6
	s_branch .LBB39_1414
.LBB39_1410:
	s_mov_b64 s[12:13], -1
                                        ; implicit-def: $vgpr6
.LBB39_1411:
	s_andn2_b64 vcc, exec, s[12:13]
	s_cbranch_vccnz .LBB39_1413
; %bb.1412:
	s_waitcnt vmcnt(0)
	global_load_dword v1, v[3:4], off
	s_waitcnt vmcnt(0)
	v_cvt_i32_f32_e32 v6, v1
.LBB39_1413:
	s_mov_b64 s[12:13], 0
.LBB39_1414:
	s_andn2_b64 vcc, exec, s[12:13]
	s_cbranch_vccnz .LBB39_1416
; %bb.1415:
	s_waitcnt vmcnt(0)
	global_load_ushort v1, v[3:4], off
	s_waitcnt vmcnt(0)
	v_cvt_f32_f16_e32 v1, v1
	v_cvt_i32_f32_e32 v6, v1
.LBB39_1416:
	s_cbranch_execnz .LBB39_1435
.LBB39_1417:
	s_sext_i32_i16 s12, s14
	s_cmp_lt_i32 s12, 2
	s_cbranch_scc1 .LBB39_1421
; %bb.1418:
	s_cmp_lt_i32 s12, 3
	s_cbranch_scc1 .LBB39_1422
; %bb.1419:
	s_cmp_gt_i32 s12, 3
	s_cbranch_scc0 .LBB39_1423
; %bb.1420:
	s_waitcnt vmcnt(0)
	global_load_dword v6, v[3:4], off
	s_mov_b64 s[12:13], 0
	s_branch .LBB39_1424
.LBB39_1421:
                                        ; implicit-def: $vgpr6
	s_branch .LBB39_1430
.LBB39_1422:
	s_mov_b64 s[12:13], -1
                                        ; implicit-def: $vgpr6
	s_branch .LBB39_1427
.LBB39_1423:
	s_mov_b64 s[12:13], -1
                                        ; implicit-def: $vgpr6
.LBB39_1424:
	s_andn2_b64 vcc, exec, s[12:13]
	s_cbranch_vccnz .LBB39_1426
; %bb.1425:
	s_waitcnt vmcnt(0)
	global_load_dword v6, v[3:4], off
.LBB39_1426:
	s_mov_b64 s[12:13], 0
.LBB39_1427:
	s_andn2_b64 vcc, exec, s[12:13]
	s_cbranch_vccnz .LBB39_1429
; %bb.1428:
	s_waitcnt vmcnt(0)
	global_load_sshort v6, v[3:4], off
.LBB39_1429:
	s_cbranch_execnz .LBB39_1435
.LBB39_1430:
	s_sext_i32_i16 s12, s14
	s_cmp_gt_i32 s12, 0
	s_cbranch_scc0 .LBB39_1432
; %bb.1431:
	s_waitcnt vmcnt(0)
	global_load_sbyte v6, v[3:4], off
	s_mov_b64 s[12:13], 0
	s_branch .LBB39_1433
.LBB39_1432:
	s_mov_b64 s[12:13], -1
                                        ; implicit-def: $vgpr6
.LBB39_1433:
	s_andn2_b64 vcc, exec, s[12:13]
	s_cbranch_vccnz .LBB39_1435
; %bb.1434:
	s_waitcnt vmcnt(0)
	global_load_ubyte v6, v[3:4], off
.LBB39_1435:
	s_or_b64 s[18:19], s[18:19], exec
.LBB39_1436:
	s_or_b64 exec, exec, s[0:1]
	s_mov_b64 s[22:23], 0
	s_mov_b64 s[20:21], 0
                                        ; implicit-def: $sgpr12_sgpr13
                                        ; implicit-def: $sgpr30
                                        ; implicit-def: $vgpr1_vgpr2
	s_and_saveexec_b64 s[16:17], s[18:19]
	s_cbranch_execz .LBB39_1511
; %bb.1437:
	s_waitcnt vmcnt(0)
	v_cmp_ne_u32_e32 vcc, v5, v6
	s_xor_b64 s[12:13], s[28:29], vcc
	v_mov_b32_e32 v2, s9
	s_and_b32 s30, s15, 0xff
	v_add_co_u32_e32 v1, vcc, s8, v0
	s_cmp_lt_i32 s30, 11
	v_addc_co_u32_e32 v2, vcc, 0, v2, vcc
	s_cbranch_scc1 .LBB39_1514
; %bb.1438:
	s_and_b32 s22, 0xffff, s30
	s_mov_b64 s[14:15], -1
	s_cmp_gt_i32 s22, 25
	s_mov_b64 s[0:1], s[40:41]
	s_cbranch_scc0 .LBB39_1471
; %bb.1439:
	s_mov_b64 s[8:9], -1
	s_cmp_gt_i32 s22, 28
	s_mov_b64 s[0:1], s[40:41]
	s_cbranch_scc0 .LBB39_1455
; %bb.1440:
	s_cmp_gt_i32 s22, 43
	s_mov_b64 s[0:1], s[40:41]
	s_cbranch_scc0 .LBB39_1451
; %bb.1441:
	;; [unrolled: 4-line block ×3, first 2 shown]
	s_cmp_eq_u32 s22, 46
	s_mov_b64 s[0:1], -1
	s_cbranch_scc0 .LBB39_1444
; %bb.1443:
	v_cndmask_b32_e64 v0, 0, 1.0, s[12:13]
	v_bfe_u32 v3, v0, 16, 1
	s_movk_i32 s0, 0x7fff
	v_add3_u32 v0, v0, v3, s0
	v_lshrrev_b32_e32 v0, 16, v0
	global_store_dword v[1:2], v0, off
	s_mov_b64 s[0:1], 0
.LBB39_1444:
	s_mov_b64 s[8:9], 0
.LBB39_1445:
	s_and_b64 vcc, exec, s[8:9]
	s_cbranch_vccz .LBB39_1450
; %bb.1446:
	s_cmp_eq_u32 s22, 44
	s_mov_b64 s[0:1], -1
	s_cbranch_scc0 .LBB39_1450
; %bb.1447:
	v_cndmask_b32_e64 v3, 0, 1.0, s[12:13]
	v_lshrrev_b32_e32 v0, 23, v3
	s_movk_i32 s0, 0xff
	v_cmp_ne_u32_e32 vcc, s0, v0
	v_mov_b32_e32 v4, 0xff
	s_and_saveexec_b64 s[8:9], vcc
; %bb.1448:
	s_mov_b32 s0, 0x3fffff
	v_and_b32_e32 v4, 0x400000, v3
	v_and_or_b32 v3, v3, s0, v0
	v_cmp_ne_u32_e32 vcc, 0, v4
	v_cmp_ne_u32_e64 s[0:1], 0, v3
	s_and_b64 s[0:1], vcc, s[0:1]
	v_cndmask_b32_e64 v3, 0, 1, s[0:1]
	v_add_u32_e32 v4, v0, v3
; %bb.1449:
	s_or_b64 exec, exec, s[8:9]
	s_mov_b64 s[0:1], 0
	global_store_byte v[1:2], v4, off
.LBB39_1450:
	s_mov_b64 s[8:9], 0
.LBB39_1451:
	s_and_b64 vcc, exec, s[8:9]
	s_cbranch_vccz .LBB39_1454
; %bb.1452:
	s_cmp_eq_u32 s22, 29
	s_mov_b64 s[0:1], -1
	s_cbranch_scc0 .LBB39_1454
; %bb.1453:
	s_mov_b32 s0, 0
	v_cndmask_b32_e64 v3, 0, 1, s[12:13]
	v_mov_b32_e32 v4, s0
	global_store_dwordx2 v[1:2], v[3:4], off
	s_mov_b64 s[0:1], 0
.LBB39_1454:
	s_mov_b64 s[8:9], 0
.LBB39_1455:
	s_and_b64 vcc, exec, s[8:9]
	s_cbranch_vccz .LBB39_1470
; %bb.1456:
	s_cmp_lt_i32 s22, 27
	s_mov_b64 s[8:9], -1
	s_cbranch_scc1 .LBB39_1462
; %bb.1457:
	s_cmp_gt_i32 s22, 27
	s_cbranch_scc0 .LBB39_1459
; %bb.1458:
	v_cndmask_b32_e64 v0, 0, 1, s[12:13]
	s_mov_b64 s[8:9], 0
	global_store_dword v[1:2], v0, off
.LBB39_1459:
	s_andn2_b64 vcc, exec, s[8:9]
	s_cbranch_vccnz .LBB39_1461
; %bb.1460:
	v_cndmask_b32_e64 v0, 0, 1, s[12:13]
	global_store_short v[1:2], v0, off
.LBB39_1461:
	s_mov_b64 s[8:9], 0
.LBB39_1462:
	s_andn2_b64 vcc, exec, s[8:9]
	s_cbranch_vccnz .LBB39_1470
; %bb.1463:
	v_cndmask_b32_e64 v3, 0, 1.0, s[12:13]
	s_mov_b32 s8, 0x43800000
	v_cmp_gt_u32_e32 vcc, s8, v3
	v_mov_b32_e32 v4, 0x80
	s_and_saveexec_b64 s[8:9], vcc
	s_cbranch_execz .LBB39_1469
; %bb.1464:
	s_mov_b32 s14, 0x3bffffff
	v_cmp_lt_u32_e32 vcc, s14, v3
	s_mov_b64 s[14:15], 0
                                        ; implicit-def: $vgpr0
	s_and_saveexec_b64 s[18:19], vcc
	s_xor_b64 s[18:19], exec, s[18:19]
	s_cbranch_execz .LBB39_1615
; %bb.1465:
	v_bfe_u32 v0, v3, 20, 1
	s_mov_b32 s20, 0x487ffff
	v_add3_u32 v0, v3, v0, s20
	s_mov_b64 s[14:15], exec
	v_lshrrev_b32_e32 v0, 20, v0
                                        ; implicit-def: $vgpr3
	s_andn2_saveexec_b64 s[18:19], s[18:19]
	s_cbranch_execnz .LBB39_1616
.LBB39_1466:
	s_or_b64 exec, exec, s[18:19]
	v_mov_b32_e32 v4, 0
	s_and_saveexec_b64 s[18:19], s[14:15]
.LBB39_1467:
	v_mov_b32_e32 v4, v0
.LBB39_1468:
	s_or_b64 exec, exec, s[18:19]
.LBB39_1469:
	s_or_b64 exec, exec, s[8:9]
	global_store_byte v[1:2], v4, off
.LBB39_1470:
	s_mov_b64 s[14:15], 0
.LBB39_1471:
	s_mov_b64 s[8:9], 0
	s_and_b64 vcc, exec, s[14:15]
	s_cbranch_vccz .LBB39_1515
; %bb.1472:
	s_cmp_gt_i32 s22, 22
	s_mov_b64 s[14:15], -1
	s_cbranch_scc0 .LBB39_1504
; %bb.1473:
	s_cmp_lt_i32 s22, 24
	s_cbranch_scc1 .LBB39_1493
; %bb.1474:
	s_cmp_gt_i32 s22, 24
	s_cbranch_scc0 .LBB39_1482
; %bb.1475:
	v_cndmask_b32_e64 v3, 0, 1.0, s[12:13]
	s_mov_b32 s14, 0x47800000
	v_cmp_gt_u32_e32 vcc, s14, v3
	v_mov_b32_e32 v4, 0x80
	s_and_saveexec_b64 s[14:15], vcc
	s_cbranch_execz .LBB39_1481
; %bb.1476:
	s_mov_b32 s18, 0x37ffffff
	v_cmp_lt_u32_e32 vcc, s18, v3
	s_mov_b64 s[18:19], 0
                                        ; implicit-def: $vgpr0
	s_and_saveexec_b64 s[20:21], vcc
	s_xor_b64 s[20:21], exec, s[20:21]
	s_cbranch_execz .LBB39_1735
; %bb.1477:
	v_bfe_u32 v0, v3, 21, 1
	s_mov_b32 s23, 0x88fffff
	v_add3_u32 v0, v3, v0, s23
	s_mov_b64 s[18:19], exec
	v_lshrrev_b32_e32 v0, 21, v0
                                        ; implicit-def: $vgpr3
	s_andn2_saveexec_b64 s[20:21], s[20:21]
	s_cbranch_execnz .LBB39_1736
.LBB39_1478:
	s_or_b64 exec, exec, s[20:21]
	v_mov_b32_e32 v4, 0
	s_and_saveexec_b64 s[20:21], s[18:19]
.LBB39_1479:
	v_mov_b32_e32 v4, v0
.LBB39_1480:
	s_or_b64 exec, exec, s[20:21]
.LBB39_1481:
	s_or_b64 exec, exec, s[14:15]
	s_mov_b64 s[14:15], 0
	global_store_byte v[1:2], v4, off
.LBB39_1482:
	s_and_b64 vcc, exec, s[14:15]
	s_cbranch_vccz .LBB39_1492
; %bb.1483:
	v_cndmask_b32_e64 v0, 0, 1.0, s[12:13]
	s_mov_b32 s14, 0x43f00000
	v_cmp_gt_u32_e32 vcc, s14, v0
                                        ; implicit-def: $vgpr3
	s_and_saveexec_b64 s[14:15], vcc
	s_xor_b64 s[14:15], exec, s[14:15]
	s_cbranch_execz .LBB39_1489
; %bb.1484:
	s_mov_b32 s18, 0x3c7fffff
	v_cmp_lt_u32_e32 vcc, s18, v0
                                        ; implicit-def: $vgpr3
	s_and_saveexec_b64 s[18:19], vcc
	s_xor_b64 s[18:19], exec, s[18:19]
; %bb.1485:
	v_bfe_u32 v3, v0, 20, 1
	s_mov_b32 s20, 0x407ffff
	v_add3_u32 v0, v0, v3, s20
	v_lshrrev_b32_e32 v3, 20, v0
	v_and_b32_e32 v0, 0xff00000, v0
	s_mov_b32 s20, 0x7f00000
	v_mov_b32_e32 v4, 0x7e
	v_cmp_ne_u32_e32 vcc, s20, v0
	v_cndmask_b32_e32 v3, v4, v3, vcc
                                        ; implicit-def: $vgpr0
; %bb.1486:
	s_andn2_saveexec_b64 s[18:19], s[18:19]
; %bb.1487:
	v_add_f32_e32 v3, 0x46800000, v0
; %bb.1488:
	s_or_b64 exec, exec, s[18:19]
                                        ; implicit-def: $vgpr0
.LBB39_1489:
	s_andn2_saveexec_b64 s[14:15], s[14:15]
; %bb.1490:
	s_mov_b32 s18, 0x7f800000
	v_mov_b32_e32 v3, 0x7e
	v_mov_b32_e32 v4, 0x7f
	v_cmp_lt_u32_e32 vcc, s18, v0
	v_cndmask_b32_e32 v3, v3, v4, vcc
; %bb.1491:
	s_or_b64 exec, exec, s[14:15]
	global_store_byte v[1:2], v3, off
.LBB39_1492:
	s_mov_b64 s[14:15], 0
.LBB39_1493:
	s_andn2_b64 vcc, exec, s[14:15]
	s_cbranch_vccnz .LBB39_1503
; %bb.1494:
	v_cndmask_b32_e64 v0, 0, 1.0, s[12:13]
	s_mov_b32 s14, 0x47800000
	v_cmp_gt_u32_e32 vcc, s14, v0
                                        ; implicit-def: $vgpr3
	s_and_saveexec_b64 s[14:15], vcc
	s_xor_b64 s[14:15], exec, s[14:15]
	s_cbranch_execz .LBB39_1500
; %bb.1495:
	s_mov_b32 s18, 0x387fffff
	v_cmp_lt_u32_e32 vcc, s18, v0
                                        ; implicit-def: $vgpr3
	s_and_saveexec_b64 s[18:19], vcc
	s_xor_b64 s[18:19], exec, s[18:19]
; %bb.1496:
	v_bfe_u32 v3, v0, 21, 1
	s_mov_b32 s20, 0x80fffff
	v_add3_u32 v0, v0, v3, s20
	v_lshrrev_b32_e32 v3, 21, v0
                                        ; implicit-def: $vgpr0
; %bb.1497:
	s_andn2_saveexec_b64 s[18:19], s[18:19]
; %bb.1498:
	v_add_f32_e32 v3, 0x43000000, v0
; %bb.1499:
	s_or_b64 exec, exec, s[18:19]
                                        ; implicit-def: $vgpr0
.LBB39_1500:
	s_andn2_saveexec_b64 s[14:15], s[14:15]
; %bb.1501:
	s_mov_b32 s18, 0x7f800000
	v_mov_b32_e32 v3, 0x7c
	v_mov_b32_e32 v4, 0x7f
	v_cmp_lt_u32_e32 vcc, s18, v0
	v_cndmask_b32_e32 v3, v3, v4, vcc
; %bb.1502:
	s_or_b64 exec, exec, s[14:15]
	global_store_byte v[1:2], v3, off
.LBB39_1503:
	s_mov_b64 s[14:15], 0
.LBB39_1504:
	s_andn2_b64 vcc, exec, s[14:15]
	s_mov_b64 s[14:15], 0
	s_cbranch_vccnz .LBB39_1516
; %bb.1505:
	s_cmp_gt_i32 s22, 14
	s_mov_b64 s[18:19], -1
	s_cbranch_scc0 .LBB39_1509
; %bb.1506:
	s_cmp_eq_u32 s22, 15
	s_mov_b64 s[0:1], -1
	s_cbranch_scc0 .LBB39_1508
; %bb.1507:
	v_cndmask_b32_e64 v0, 0, 1.0, s[12:13]
	v_bfe_u32 v3, v0, 16, 1
	s_movk_i32 s0, 0x7fff
	v_add3_u32 v0, v0, v3, s0
	global_store_short_d16_hi v[1:2], v0, off
	s_mov_b64 s[0:1], 0
.LBB39_1508:
	s_mov_b64 s[18:19], 0
.LBB39_1509:
	s_and_b64 vcc, exec, s[18:19]
	s_cbranch_vccz .LBB39_1516
; %bb.1510:
	s_cmp_lg_u32 s22, 11
	s_cselect_b64 s[18:19], -1, 0
	s_andn2_b64 s[0:1], s[0:1], exec
	s_and_b64 s[18:19], s[18:19], exec
	s_mov_b64 s[14:15], -1
	s_or_b64 s[0:1], s[0:1], s[18:19]
	s_branch .LBB39_1516
.LBB39_1511:
	s_or_b64 exec, exec, s[16:17]
	s_and_saveexec_b64 s[0:1], s[40:41]
	s_cbranch_execnz .LBB39_1517
.LBB39_1512:
	s_or_b64 exec, exec, s[0:1]
	s_and_saveexec_b64 s[0:1], s[22:23]
	s_xor_b64 s[0:1], exec, s[0:1]
	s_cbranch_execz .LBB39_1518
.LBB39_1513:
	v_cndmask_b32_e64 v0, 0, 1, s[12:13]
	global_store_byte v[1:2], v0, off
	s_or_b64 exec, exec, s[0:1]
	s_and_saveexec_b64 s[0:1], s[20:21]
	s_xor_b64 s[0:1], exec, s[0:1]
	s_cbranch_execz .LBB39_1556
	s_branch .LBB39_1519
.LBB39_1514:
	s_mov_b64 s[14:15], 0
	s_mov_b64 s[8:9], -1
	s_mov_b64 s[0:1], s[40:41]
	s_branch .LBB39_1516
.LBB39_1515:
	s_mov_b64 s[14:15], 0
.LBB39_1516:
	s_and_b64 s[20:21], s[8:9], exec
	s_andn2_b64 s[8:9], s[40:41], exec
	s_and_b64 s[0:1], s[0:1], exec
	s_and_b64 s[22:23], s[14:15], exec
	s_or_b64 s[40:41], s[8:9], s[0:1]
	s_or_b64 exec, exec, s[16:17]
	s_and_saveexec_b64 s[0:1], s[40:41]
	s_cbranch_execz .LBB39_1512
.LBB39_1517:
	s_or_b64 s[10:11], s[10:11], exec
	s_andn2_b64 s[22:23], s[22:23], exec
	s_trap 2
	s_or_b64 exec, exec, s[0:1]
	s_and_saveexec_b64 s[0:1], s[22:23]
	s_xor_b64 s[0:1], exec, s[0:1]
	s_cbranch_execnz .LBB39_1513
.LBB39_1518:
	s_or_b64 exec, exec, s[0:1]
	s_and_saveexec_b64 s[0:1], s[20:21]
	s_xor_b64 s[0:1], exec, s[0:1]
	s_cbranch_execz .LBB39_1556
.LBB39_1519:
	s_sext_i32_i16 s14, s30
	s_cmp_lt_i32 s14, 5
	s_mov_b64 s[8:9], -1
	s_cbranch_scc1 .LBB39_1540
; %bb.1520:
	s_cmp_lt_i32 s14, 8
	s_cbranch_scc1 .LBB39_1530
; %bb.1521:
	s_cmp_lt_i32 s14, 9
	s_cbranch_scc1 .LBB39_1527
; %bb.1522:
	s_cmp_gt_i32 s14, 9
	s_cbranch_scc0 .LBB39_1524
; %bb.1523:
	v_cndmask_b32_e64 v0, 0, 1, s[12:13]
	s_waitcnt vmcnt(0)
	v_cvt_f64_u32_e32 v[3:4], v0
	v_mov_b32_e32 v5, 0
	v_mov_b32_e32 v6, v5
	s_mov_b64 s[8:9], 0
	global_store_dwordx4 v[1:2], v[3:6], off
.LBB39_1524:
	s_andn2_b64 vcc, exec, s[8:9]
	s_cbranch_vccnz .LBB39_1526
; %bb.1525:
	s_waitcnt vmcnt(0)
	v_cndmask_b32_e64 v3, 0, 1.0, s[12:13]
	v_mov_b32_e32 v4, 0
	global_store_dwordx2 v[1:2], v[3:4], off
.LBB39_1526:
	s_mov_b64 s[8:9], 0
.LBB39_1527:
	s_andn2_b64 vcc, exec, s[8:9]
	s_cbranch_vccnz .LBB39_1529
; %bb.1528:
	v_cndmask_b32_e64 v0, 0, 1.0, s[12:13]
	v_cvt_f16_f32_e32 v0, v0
	global_store_dword v[1:2], v0, off
.LBB39_1529:
	s_mov_b64 s[8:9], 0
.LBB39_1530:
	s_andn2_b64 vcc, exec, s[8:9]
	s_cbranch_vccnz .LBB39_1539
; %bb.1531:
	s_sext_i32_i16 s14, s30
	s_cmp_lt_i32 s14, 6
	s_mov_b64 s[8:9], -1
	s_cbranch_scc1 .LBB39_1537
; %bb.1532:
	s_cmp_gt_i32 s14, 6
	s_cbranch_scc0 .LBB39_1534
; %bb.1533:
	v_cndmask_b32_e64 v0, 0, 1, s[12:13]
	s_waitcnt vmcnt(0)
	v_cvt_f64_u32_e32 v[3:4], v0
	s_mov_b64 s[8:9], 0
	global_store_dwordx2 v[1:2], v[3:4], off
.LBB39_1534:
	s_andn2_b64 vcc, exec, s[8:9]
	s_cbranch_vccnz .LBB39_1536
; %bb.1535:
	v_cndmask_b32_e64 v0, 0, 1.0, s[12:13]
	global_store_dword v[1:2], v0, off
.LBB39_1536:
	s_mov_b64 s[8:9], 0
.LBB39_1537:
	s_andn2_b64 vcc, exec, s[8:9]
	s_cbranch_vccnz .LBB39_1539
; %bb.1538:
	v_cndmask_b32_e64 v0, 0, 1.0, s[12:13]
	v_cvt_f16_f32_e32 v0, v0
	global_store_short v[1:2], v0, off
.LBB39_1539:
	s_mov_b64 s[8:9], 0
.LBB39_1540:
	s_andn2_b64 vcc, exec, s[8:9]
	s_cbranch_vccnz .LBB39_1556
; %bb.1541:
	s_sext_i32_i16 s14, s30
	s_cmp_lt_i32 s14, 2
	s_mov_b64 s[8:9], -1
	s_cbranch_scc1 .LBB39_1551
; %bb.1542:
	s_cmp_lt_i32 s14, 3
	s_cbranch_scc1 .LBB39_1548
; %bb.1543:
	s_cmp_gt_i32 s14, 3
	s_cbranch_scc0 .LBB39_1545
; %bb.1544:
	s_mov_b32 s8, 0
	s_waitcnt vmcnt(0)
	v_cndmask_b32_e64 v3, 0, 1, s[12:13]
	v_mov_b32_e32 v4, s8
	s_mov_b64 s[8:9], 0
	global_store_dwordx2 v[1:2], v[3:4], off
.LBB39_1545:
	s_andn2_b64 vcc, exec, s[8:9]
	s_cbranch_vccnz .LBB39_1547
; %bb.1546:
	v_cndmask_b32_e64 v0, 0, 1, s[12:13]
	global_store_dword v[1:2], v0, off
.LBB39_1547:
	s_mov_b64 s[8:9], 0
.LBB39_1548:
	s_andn2_b64 vcc, exec, s[8:9]
	s_cbranch_vccnz .LBB39_1550
; %bb.1549:
	v_cndmask_b32_e64 v0, 0, 1, s[12:13]
	global_store_short v[1:2], v0, off
.LBB39_1550:
	s_mov_b64 s[8:9], 0
.LBB39_1551:
	s_andn2_b64 vcc, exec, s[8:9]
	s_cbranch_vccnz .LBB39_1556
; %bb.1552:
	s_sext_i32_i16 s14, s30
	s_mov_b64 s[8:9], -1
	s_cmp_gt_i32 s14, 0
	v_cndmask_b32_e64 v0, 0, 1, s[12:13]
	s_cbranch_scc0 .LBB39_1554
; %bb.1553:
	s_mov_b64 s[8:9], 0
	global_store_byte v[1:2], v0, off
.LBB39_1554:
	s_andn2_b64 vcc, exec, s[8:9]
	s_cbranch_vccnz .LBB39_1556
; %bb.1555:
	global_store_byte v[1:2], v0, off
.LBB39_1556:
	s_or_b64 exec, exec, s[0:1]
	s_and_b64 s[12:13], s[10:11], exec
                                        ; implicit-def: $vgpr23
                                        ; implicit-def: $vgpr8
.LBB39_1557:
	s_or_saveexec_b64 s[14:15], s[26:27]
	s_mov_b64 s[0:1], 0
                                        ; implicit-def: $sgpr10_sgpr11
                                        ; implicit-def: $vgpr0_vgpr1
                                        ; implicit-def: $sgpr22
	s_xor_b64 exec, exec, s[14:15]
	s_cbranch_execz .LBB39_3038
; %bb.1558:
	v_cndmask_b32_e64 v0, 0, 1, s[24:25]
	v_cmp_ne_u32_e64 s[0:1], 1, v0
	s_andn2_b64 vcc, exec, s[24:25]
	s_cbranch_vccnz .LBB39_1564
; %bb.1559:
	s_cmp_lg_u32 s33, 0
	s_cbranch_scc0 .LBB39_1565
; %bb.1560:
	s_min_u32 s8, s72, 15
	s_add_i32 s6, s8, 1
	s_and_b32 s9, s6, 30
	s_add_u32 s6, s2, 0xffffffe8
	s_addc_u32 s7, s3, -1
	v_mov_b32_e32 v19, 0
	v_mov_b32_e32 v21, 0
	s_waitcnt vmcnt(0)
	v_mov_b32_e32 v6, 0
	v_mov_b32_e32 v0, v8
.LBB39_1561:                            ; =>This Inner Loop Header: Depth=1
	s_load_dwordx4 s[16:19], s[6:7], 0x1c
	s_load_dwordx2 s[10:11], s[6:7], 0x2c
	s_load_dwordx2 s[24:25], s[6:7], 0xec
	s_load_dwordx4 s[20:23], s[6:7], 0xdc
	s_add_u32 s6, s6, 24
	s_waitcnt lgkmcnt(0)
	v_mul_hi_u32 v1, s17, v0
	s_addc_u32 s7, s7, 0
	s_add_i32 s9, s9, -2
	s_cmp_lg_u32 s9, 0
	v_add_u32_e32 v1, v0, v1
	v_lshrrev_b32_e32 v1, s18, v1
	v_mul_lo_u32 v2, v1, s16
	v_mul_hi_u32 v3, s10, v1
	v_sub_u32_e32 v2, v0, v2
	v_add_u32_e32 v0, v1, v3
	v_lshrrev_b32_e32 v0, s11, v0
	v_mul_lo_u32 v5, v0, s19
	v_mul_lo_u32 v3, v2, s20
	;; [unrolled: 1-line block ×4, first 2 shown]
	v_sub_u32_e32 v1, v1, v5
	v_mul_lo_u32 v5, v1, s23
	v_mul_lo_u32 v7, v1, s24
	;; [unrolled: 1-line block ×3, first 2 shown]
	v_add3_u32 v6, v3, v6, v5
	v_add3_u32 v21, v4, v21, v7
	;; [unrolled: 1-line block ×3, first 2 shown]
	s_cbranch_scc1 .LBB39_1561
; %bb.1562:
	s_bitcmp1_b32 s8, 0
	s_cselect_b64 s[8:9], -1, 0
	s_and_b64 vcc, exec, s[8:9]
	s_cbranch_vccnz .LBB39_1566
; %bb.1563:
	s_load_dwordx2 s[8:9], s[6:7], 0x1c
	s_load_dword s16, s[6:7], 0x24
	s_load_dwordx2 s[10:11], s[6:7], 0xdc
	s_waitcnt lgkmcnt(0)
	v_mul_hi_u32 v1, s9, v0
	v_add_u32_e32 v1, v0, v1
	v_lshrrev_b32_e32 v1, s16, v1
	v_mul_lo_u32 v1, v1, s8
	s_load_dword s8, s[6:7], 0xe4
	v_sub_u32_e32 v0, v0, v1
	v_mad_u64_u32 v[6:7], s[6:7], v0, s10, v[6:7]
	v_mad_u64_u32 v[21:22], s[6:7], v0, s11, v[21:22]
	s_waitcnt lgkmcnt(0)
	v_mad_u64_u32 v[19:20], s[6:7], v0, s8, v[19:20]
	s_cbranch_execz .LBB39_1567
	s_branch .LBB39_1569
.LBB39_1564:
                                        ; implicit-def: $vgpr6
                                        ; implicit-def: $vgpr21
                                        ; implicit-def: $vgpr19
	s_branch .LBB39_1567
.LBB39_1565:
	s_waitcnt vmcnt(0)
	v_mov_b32_e32 v6, 0
	v_mov_b32_e32 v21, 0
	;; [unrolled: 1-line block ×3, first 2 shown]
.LBB39_1566:
	s_cbranch_execnz .LBB39_1569
.LBB39_1567:
	s_load_dwordx4 s[8:11], s[2:3], 0x4
	s_load_dwordx4 s[16:19], s[2:3], 0xc4
	s_cmp_lt_u32 s33, 2
	s_waitcnt lgkmcnt(0)
	v_mul_hi_u32 v0, s9, v8
	v_add_u32_e32 v0, v8, v0
	v_lshrrev_b32_e32 v0, s10, v0
	v_mul_lo_u32 v1, v0, s8
	v_sub_u32_e32 v1, v8, v1
	s_waitcnt vmcnt(0)
	v_mul_lo_u32 v6, v1, s16
	v_mul_lo_u32 v21, v1, s17
	;; [unrolled: 1-line block ×3, first 2 shown]
	s_cbranch_scc1 .LBB39_1569
; %bb.1568:
	s_load_dwordx4 s[8:11], s[2:3], 0x10
	s_load_dwordx4 s[16:19], s[2:3], 0xd0
	s_waitcnt lgkmcnt(0)
	v_mul_hi_u32 v1, s9, v0
	v_add_u32_e32 v1, v0, v1
	v_lshrrev_b32_e32 v1, s10, v1
	v_mul_lo_u32 v1, v1, s8
	v_sub_u32_e32 v0, v0, v1
	v_mad_u64_u32 v[6:7], s[6:7], v0, s16, v[6:7]
	v_mad_u64_u32 v[21:22], s[6:7], v0, s17, v[21:22]
	;; [unrolled: 1-line block ×3, first 2 shown]
.LBB39_1569:
	s_and_b64 vcc, exec, s[0:1]
	v_add_u32_e32 v0, 0x80, v8
	s_cbranch_vccnz .LBB39_1575
; %bb.1570:
	s_cmp_lg_u32 s33, 0
	s_cbranch_scc0 .LBB39_1576
; %bb.1571:
	s_min_u32 s8, s72, 15
	s_add_i32 s6, s8, 1
	s_and_b32 s9, s6, 30
	s_add_u32 s6, s2, 0xffffffe8
	s_addc_u32 s7, s3, -1
	v_mov_b32_e32 v15, 0
	v_mov_b32_e32 v17, 0
	;; [unrolled: 1-line block ×4, first 2 shown]
.LBB39_1572:                            ; =>This Inner Loop Header: Depth=1
	s_load_dwordx4 s[16:19], s[6:7], 0x1c
	s_load_dwordx2 s[10:11], s[6:7], 0x2c
	s_load_dwordx2 s[24:25], s[6:7], 0xec
	s_load_dwordx4 s[20:23], s[6:7], 0xdc
	s_add_u32 s6, s6, 24
	s_waitcnt lgkmcnt(0)
	v_mul_hi_u32 v2, s17, v1
	s_addc_u32 s7, s7, 0
	s_add_i32 s9, s9, -2
	s_cmp_lg_u32 s9, 0
	v_add_u32_e32 v2, v1, v2
	v_lshrrev_b32_e32 v2, s18, v2
	s_waitcnt vmcnt(0)
	v_mul_lo_u32 v3, v2, s16
	v_mul_hi_u32 v5, s10, v2
	v_sub_u32_e32 v3, v1, v3
	v_add_u32_e32 v1, v2, v5
	v_lshrrev_b32_e32 v1, s11, v1
	v_mul_lo_u32 v9, v1, s19
	v_mul_lo_u32 v5, v3, s20
	;; [unrolled: 1-line block ×4, first 2 shown]
	v_sub_u32_e32 v2, v2, v9
	v_mul_lo_u32 v9, v2, s23
	v_mul_lo_u32 v10, v2, s24
	;; [unrolled: 1-line block ×3, first 2 shown]
	v_add3_u32 v4, v5, v4, v9
	v_add3_u32 v17, v7, v17, v10
	;; [unrolled: 1-line block ×3, first 2 shown]
	s_cbranch_scc1 .LBB39_1572
; %bb.1573:
	s_bitcmp1_b32 s8, 0
	s_cselect_b64 s[8:9], -1, 0
	s_and_b64 vcc, exec, s[8:9]
	s_cbranch_vccnz .LBB39_1577
; %bb.1574:
	s_load_dwordx2 s[8:9], s[6:7], 0x1c
	s_load_dword s16, s[6:7], 0x24
	s_load_dwordx2 s[10:11], s[6:7], 0xdc
	s_waitcnt lgkmcnt(0)
	v_mul_hi_u32 v2, s9, v1
	v_add_u32_e32 v2, v1, v2
	v_lshrrev_b32_e32 v2, s16, v2
	v_mul_lo_u32 v2, v2, s8
	s_load_dword s8, s[6:7], 0xe4
	v_sub_u32_e32 v1, v1, v2
	v_mad_u64_u32 v[4:5], s[6:7], v1, s10, v[4:5]
	v_mad_u64_u32 v[17:18], s[6:7], v1, s11, v[17:18]
	s_waitcnt lgkmcnt(0)
	v_mad_u64_u32 v[15:16], s[6:7], v1, s8, v[15:16]
	s_cbranch_execz .LBB39_1578
	s_branch .LBB39_1580
.LBB39_1575:
                                        ; implicit-def: $vgpr4
                                        ; implicit-def: $vgpr17
                                        ; implicit-def: $vgpr15
	s_branch .LBB39_1578
.LBB39_1576:
	v_mov_b32_e32 v4, 0
	v_mov_b32_e32 v17, 0
	;; [unrolled: 1-line block ×3, first 2 shown]
.LBB39_1577:
	s_cbranch_execnz .LBB39_1580
.LBB39_1578:
	s_load_dwordx4 s[8:11], s[2:3], 0x4
	s_load_dwordx4 s[16:19], s[2:3], 0xc4
	s_cmp_lt_u32 s33, 2
	s_waitcnt lgkmcnt(0)
	v_mul_hi_u32 v1, s9, v0
	v_add_u32_e32 v1, v0, v1
	v_lshrrev_b32_e32 v1, s10, v1
	v_mul_lo_u32 v2, v1, s8
	v_sub_u32_e32 v0, v0, v2
	v_mul_lo_u32 v4, v0, s16
	v_mul_lo_u32 v17, v0, s17
	;; [unrolled: 1-line block ×3, first 2 shown]
	s_cbranch_scc1 .LBB39_1580
; %bb.1579:
	s_load_dwordx4 s[8:11], s[2:3], 0x10
	s_load_dwordx4 s[16:19], s[2:3], 0xd0
	s_waitcnt lgkmcnt(0)
	v_mul_hi_u32 v0, s9, v1
	v_add_u32_e32 v0, v1, v0
	v_lshrrev_b32_e32 v0, s10, v0
	v_mul_lo_u32 v0, v0, s8
	v_sub_u32_e32 v0, v1, v0
	s_waitcnt vmcnt(0)
	v_mad_u64_u32 v[4:5], s[6:7], v0, s16, v[4:5]
	v_mad_u64_u32 v[17:18], s[6:7], v0, s17, v[17:18]
	;; [unrolled: 1-line block ×3, first 2 shown]
.LBB39_1580:
	s_and_b64 vcc, exec, s[0:1]
	v_add_u32_e32 v0, 0x100, v8
	s_cbranch_vccnz .LBB39_1586
; %bb.1581:
	s_cmp_lg_u32 s33, 0
	s_cbranch_scc0 .LBB39_1587
; %bb.1582:
	s_min_u32 s8, s72, 15
	s_add_i32 s6, s8, 1
	s_and_b32 s9, s6, 30
	s_add_u32 s6, s2, 0xffffffe8
	s_addc_u32 s7, s3, -1
	v_mov_b32_e32 v11, 0
	v_mov_b32_e32 v13, 0
	v_mov_b32_e32 v2, 0
	v_mov_b32_e32 v1, v0
.LBB39_1583:                            ; =>This Inner Loop Header: Depth=1
	s_load_dwordx4 s[16:19], s[6:7], 0x1c
	s_load_dwordx2 s[10:11], s[6:7], 0x2c
	s_load_dwordx2 s[24:25], s[6:7], 0xec
	s_load_dwordx4 s[20:23], s[6:7], 0xdc
	s_add_u32 s6, s6, 24
	s_waitcnt vmcnt(0) lgkmcnt(0)
	v_mul_hi_u32 v3, s17, v1
	s_addc_u32 s7, s7, 0
	s_add_i32 s9, s9, -2
	s_cmp_lg_u32 s9, 0
	v_add_u32_e32 v3, v1, v3
	v_lshrrev_b32_e32 v3, s18, v3
	v_mul_lo_u32 v5, v3, s16
	v_mul_hi_u32 v7, s10, v3
	v_sub_u32_e32 v5, v1, v5
	v_add_u32_e32 v1, v3, v7
	v_lshrrev_b32_e32 v1, s11, v1
	v_mul_lo_u32 v9, v1, s19
	v_mul_lo_u32 v7, v5, s20
	v_mul_lo_u32 v8, v5, s21
	v_mul_lo_u32 v5, v5, s22
	v_sub_u32_e32 v3, v3, v9
	v_mul_lo_u32 v9, v3, s23
	v_mul_lo_u32 v10, v3, s24
	;; [unrolled: 1-line block ×3, first 2 shown]
	v_add3_u32 v2, v7, v2, v9
	v_add3_u32 v13, v8, v13, v10
	;; [unrolled: 1-line block ×3, first 2 shown]
	s_cbranch_scc1 .LBB39_1583
; %bb.1584:
	s_bitcmp1_b32 s8, 0
	s_cselect_b64 s[8:9], -1, 0
	s_and_b64 vcc, exec, s[8:9]
	s_cbranch_vccnz .LBB39_1588
; %bb.1585:
	s_load_dwordx2 s[8:9], s[6:7], 0x1c
	s_load_dword s16, s[6:7], 0x24
	s_load_dwordx2 s[10:11], s[6:7], 0xdc
	s_waitcnt lgkmcnt(0)
	v_mul_hi_u32 v3, s9, v1
	v_add_u32_e32 v3, v1, v3
	v_lshrrev_b32_e32 v3, s16, v3
	v_mul_lo_u32 v3, v3, s8
	s_load_dword s8, s[6:7], 0xe4
	v_sub_u32_e32 v1, v1, v3
	v_mad_u64_u32 v[2:3], s[6:7], v1, s10, v[2:3]
	v_mad_u64_u32 v[13:14], s[6:7], v1, s11, v[13:14]
	s_waitcnt lgkmcnt(0)
	v_mad_u64_u32 v[11:12], s[6:7], v1, s8, v[11:12]
	s_cbranch_execz .LBB39_1589
	s_branch .LBB39_1591
.LBB39_1586:
                                        ; implicit-def: $vgpr2
                                        ; implicit-def: $vgpr13
                                        ; implicit-def: $vgpr11
	s_branch .LBB39_1589
.LBB39_1587:
	v_mov_b32_e32 v2, 0
	v_mov_b32_e32 v13, 0
	;; [unrolled: 1-line block ×3, first 2 shown]
.LBB39_1588:
	s_cbranch_execnz .LBB39_1591
.LBB39_1589:
	s_load_dwordx4 s[8:11], s[2:3], 0x4
	s_load_dwordx4 s[16:19], s[2:3], 0xc4
	s_cmp_lt_u32 s33, 2
	s_waitcnt lgkmcnt(0)
	v_mul_hi_u32 v1, s9, v0
	v_add_u32_e32 v1, v0, v1
	v_lshrrev_b32_e32 v1, s10, v1
	v_mul_lo_u32 v2, v1, s8
	v_sub_u32_e32 v0, v0, v2
	v_mul_lo_u32 v2, v0, s16
	v_mul_lo_u32 v13, v0, s17
	;; [unrolled: 1-line block ×3, first 2 shown]
	s_cbranch_scc1 .LBB39_1591
; %bb.1590:
	s_load_dwordx4 s[8:11], s[2:3], 0x10
	s_load_dwordx4 s[16:19], s[2:3], 0xd0
	s_waitcnt lgkmcnt(0)
	v_mul_hi_u32 v0, s9, v1
	v_add_u32_e32 v0, v1, v0
	v_lshrrev_b32_e32 v0, s10, v0
	v_mul_lo_u32 v0, v0, s8
	v_sub_u32_e32 v0, v1, v0
	s_waitcnt vmcnt(0)
	v_mad_u64_u32 v[2:3], s[6:7], v0, s16, v[2:3]
	v_mad_u64_u32 v[13:14], s[6:7], v0, s17, v[13:14]
	;; [unrolled: 1-line block ×3, first 2 shown]
.LBB39_1591:
	s_and_b64 vcc, exec, s[0:1]
	s_cbranch_vccnz .LBB39_1597
; %bb.1592:
	s_cmp_lg_u32 s33, 0
	s_cbranch_scc0 .LBB39_1598
; %bb.1593:
	s_min_u32 s6, s72, 15
	s_add_i32 s0, s6, 1
	s_and_b32 s7, s0, 30
	s_add_u32 s0, s2, 0xffffffe8
	s_addc_u32 s1, s3, -1
	v_mov_b32_e32 v7, 0
	v_mov_b32_e32 v9, 0
	v_mov_b32_e32 v0, 0
	v_mov_b32_e32 v1, v23
.LBB39_1594:                            ; =>This Inner Loop Header: Depth=1
	s_load_dwordx4 s[8:11], s[0:1], 0x1c
	s_load_dwordx2 s[20:21], s[0:1], 0x2c
	s_load_dwordx2 s[22:23], s[0:1], 0xec
	s_load_dwordx4 s[16:19], s[0:1], 0xdc
	s_add_u32 s0, s0, 24
	s_waitcnt vmcnt(0) lgkmcnt(0)
	v_mul_hi_u32 v3, s9, v1
	s_addc_u32 s1, s1, 0
	s_add_i32 s7, s7, -2
	s_cmp_lg_u32 s7, 0
	v_add_u32_e32 v3, v1, v3
	v_lshrrev_b32_e32 v3, s10, v3
	v_mul_lo_u32 v5, v3, s8
	v_mul_hi_u32 v8, s20, v3
	v_sub_u32_e32 v5, v1, v5
	v_add_u32_e32 v1, v3, v8
	v_lshrrev_b32_e32 v1, s21, v1
	v_mul_lo_u32 v12, v1, s11
	v_mul_lo_u32 v8, v5, s16
	;; [unrolled: 1-line block ×4, first 2 shown]
	v_sub_u32_e32 v3, v3, v12
	v_mul_lo_u32 v12, v3, s19
	v_mul_lo_u32 v14, v3, s22
	;; [unrolled: 1-line block ×3, first 2 shown]
	v_add3_u32 v0, v8, v0, v12
	v_add3_u32 v9, v10, v9, v14
	;; [unrolled: 1-line block ×3, first 2 shown]
	s_cbranch_scc1 .LBB39_1594
; %bb.1595:
	s_bitcmp1_b32 s6, 0
	s_cselect_b64 s[6:7], -1, 0
	s_and_b64 vcc, exec, s[6:7]
	s_cbranch_vccnz .LBB39_1599
; %bb.1596:
	s_load_dwordx2 s[6:7], s[0:1], 0x1c
	s_load_dword s10, s[0:1], 0x24
	s_load_dwordx2 s[8:9], s[0:1], 0xdc
	s_waitcnt lgkmcnt(0)
	v_mul_hi_u32 v3, s7, v1
	v_add_u32_e32 v3, v1, v3
	v_lshrrev_b32_e32 v3, s10, v3
	v_mul_lo_u32 v3, v3, s6
	s_load_dword s6, s[0:1], 0xe4
	v_sub_u32_e32 v3, v1, v3
	v_mad_u64_u32 v[0:1], s[0:1], v3, s8, v[0:1]
	v_mad_u64_u32 v[9:10], s[0:1], v3, s9, v[9:10]
	s_waitcnt lgkmcnt(0)
	v_mad_u64_u32 v[7:8], s[0:1], v3, s6, v[7:8]
	s_cbranch_execz .LBB39_1600
	s_branch .LBB39_1602
.LBB39_1597:
                                        ; implicit-def: $vgpr0
                                        ; implicit-def: $vgpr9
                                        ; implicit-def: $vgpr7
	s_branch .LBB39_1600
.LBB39_1598:
	v_mov_b32_e32 v0, 0
	v_mov_b32_e32 v9, 0
	;; [unrolled: 1-line block ×3, first 2 shown]
.LBB39_1599:
	s_cbranch_execnz .LBB39_1602
.LBB39_1600:
	s_load_dwordx4 s[8:11], s[2:3], 0x4
	s_load_dwordx4 s[16:19], s[2:3], 0xc4
	s_cmp_lt_u32 s33, 2
	s_waitcnt lgkmcnt(0)
	v_mul_hi_u32 v0, s9, v23
	v_add_u32_e32 v0, v23, v0
	v_lshrrev_b32_e32 v1, s10, v0
	v_mul_lo_u32 v0, v1, s8
	s_waitcnt vmcnt(0)
	v_sub_u32_e32 v3, v23, v0
	v_mul_lo_u32 v0, v3, s16
	v_mul_lo_u32 v9, v3, s17
	;; [unrolled: 1-line block ×3, first 2 shown]
	s_cbranch_scc1 .LBB39_1602
; %bb.1601:
	s_load_dwordx4 s[8:11], s[2:3], 0x10
	s_load_dwordx4 s[16:19], s[2:3], 0xd0
	s_waitcnt lgkmcnt(0)
	v_mul_hi_u32 v3, s9, v1
	v_add_u32_e32 v3, v1, v3
	v_lshrrev_b32_e32 v3, s10, v3
	v_mul_lo_u32 v3, v3, s8
	v_sub_u32_e32 v3, v1, v3
	v_mad_u64_u32 v[0:1], s[0:1], v3, s16, v[0:1]
	v_mad_u64_u32 v[9:10], s[0:1], v3, s17, v[9:10]
	;; [unrolled: 1-line block ×3, first 2 shown]
.LBB39_1602:
	s_load_dwordx4 s[8:11], s[2:3], 0x188
	s_load_dword s23, s[4:5], 0x1ac
	s_waitcnt lgkmcnt(0)
	v_mov_b32_e32 v1, s11
	s_bfe_u32 s18, s23, 0x80008
	v_add_co_u32_e32 v20, vcc, s10, v21
	s_cmp_lt_i32 s18, 11
	v_addc_co_u32_e32 v21, vcc, 0, v1, vcc
	s_cbranch_scc1 .LBB39_1609
; %bb.1603:
	s_and_b32 s19, 0xffff, s18
	s_cmp_gt_i32 s19, 25
	s_mov_b64 s[6:7], 0
	s_cbranch_scc0 .LBB39_1611
; %bb.1604:
	s_cmp_gt_i32 s19, 28
	s_cbranch_scc0 .LBB39_1612
; %bb.1605:
	s_cmp_gt_i32 s19, 43
	;; [unrolled: 3-line block ×3, first 2 shown]
	s_cbranch_scc0 .LBB39_1614
; %bb.1607:
	s_cmp_eq_u32 s19, 46
	s_mov_b64 s[4:5], 0
	s_cbranch_scc0 .LBB39_1617
; %bb.1608:
	global_load_dword v1, v[20:21], off
	s_mov_b64 s[0:1], 0
	s_mov_b64 s[16:17], -1
	s_waitcnt vmcnt(0)
	v_lshlrev_b32_e32 v1, 16, v1
	v_cvt_i32_f32_e32 v1, v1
	s_branch .LBB39_1618
.LBB39_1609:
	s_mov_b64 s[16:17], 0
                                        ; implicit-def: $vgpr1
	s_mov_b64 s[4:5], s[12:13]
	s_cbranch_execnz .LBB39_1676
.LBB39_1610:
	s_andn2_b64 vcc, exec, s[16:17]
	s_cbranch_vccz .LBB39_1721
	s_branch .LBB39_3036
.LBB39_1611:
	s_mov_b64 s[16:17], 0
	s_mov_b64 s[0:1], 0
                                        ; implicit-def: $vgpr1
	s_cbranch_execnz .LBB39_1643
	s_branch .LBB39_1672
.LBB39_1612:
	s_mov_b64 s[16:17], 0
	s_mov_b64 s[0:1], 0
                                        ; implicit-def: $vgpr1
	s_cbranch_execz .LBB39_1642
	s_branch .LBB39_1627
.LBB39_1613:
	s_mov_b64 s[16:17], 0
	s_mov_b64 s[0:1], 0
                                        ; implicit-def: $vgpr1
	s_cbranch_execnz .LBB39_1623
	s_branch .LBB39_1626
.LBB39_1614:
	s_mov_b64 s[4:5], -1
	s_mov_b64 s[16:17], 0
	s_mov_b64 s[0:1], 0
                                        ; implicit-def: $vgpr1
	s_branch .LBB39_1618
.LBB39_1615:
	s_andn2_saveexec_b64 s[18:19], s[18:19]
	s_cbranch_execz .LBB39_1466
.LBB39_1616:
	v_add_f32_e32 v0, 0x46000000, v3
	v_and_b32_e32 v0, 0xff, v0
	v_cmp_ne_u32_e32 vcc, 0, v0
	s_andn2_b64 s[14:15], s[14:15], exec
	s_and_b64 s[20:21], vcc, exec
	s_or_b64 s[14:15], s[14:15], s[20:21]
	s_or_b64 exec, exec, s[18:19]
	v_mov_b32_e32 v4, 0
	s_and_saveexec_b64 s[18:19], s[14:15]
	s_cbranch_execnz .LBB39_1467
	s_branch .LBB39_1468
.LBB39_1617:
	s_mov_b64 s[0:1], -1
                                        ; implicit-def: $vgpr1
	s_mov_b64 s[16:17], 0
.LBB39_1618:
	s_and_b64 vcc, exec, s[4:5]
	s_cbranch_vccz .LBB39_1621
; %bb.1619:
	s_cmp_eq_u32 s19, 44
	s_cbranch_scc0 .LBB39_1622
; %bb.1620:
	global_load_ubyte v1, v[20:21], off
	s_mov_b64 s[0:1], 0
	s_mov_b64 s[16:17], -1
	s_waitcnt vmcnt(0)
	v_lshlrev_b32_e32 v3, 23, v1
	v_cvt_i32_f32_e32 v3, v3
	v_cmp_ne_u32_e32 vcc, 0, v1
	v_cndmask_b32_e32 v1, 0, v3, vcc
.LBB39_1621:
	s_branch .LBB39_1626
.LBB39_1622:
	s_mov_b64 s[0:1], -1
                                        ; implicit-def: $vgpr1
	s_branch .LBB39_1626
.LBB39_1623:
	s_cmp_eq_u32 s19, 29
	s_cbranch_scc0 .LBB39_1625
; %bb.1624:
	global_load_dword v1, v[20:21], off
	s_mov_b64 s[0:1], 0
	s_mov_b64 s[16:17], -1
	s_branch .LBB39_1626
.LBB39_1625:
	s_mov_b64 s[0:1], -1
                                        ; implicit-def: $vgpr1
.LBB39_1626:
	s_branch .LBB39_1642
.LBB39_1627:
	s_cmp_lt_i32 s19, 27
	s_cbranch_scc1 .LBB39_1630
; %bb.1628:
	s_cmp_gt_i32 s19, 27
	s_cbranch_scc0 .LBB39_1631
; %bb.1629:
	global_load_dword v1, v[20:21], off
	s_mov_b64 s[4:5], 0
	s_branch .LBB39_1632
.LBB39_1630:
	s_mov_b64 s[4:5], -1
                                        ; implicit-def: $vgpr1
	s_branch .LBB39_1635
.LBB39_1631:
	s_mov_b64 s[4:5], -1
                                        ; implicit-def: $vgpr1
.LBB39_1632:
	s_andn2_b64 vcc, exec, s[4:5]
	s_cbranch_vccnz .LBB39_1634
; %bb.1633:
	global_load_ushort v1, v[20:21], off
.LBB39_1634:
	s_mov_b64 s[4:5], 0
.LBB39_1635:
	s_andn2_b64 vcc, exec, s[4:5]
	s_cbranch_vccnz .LBB39_1641
; %bb.1636:
	global_load_ubyte v3, v[20:21], off
	s_movk_i32 s4, 0x7f
	s_mov_b64 s[16:17], 0
	s_waitcnt vmcnt(0)
	v_cmp_lt_i16_e32 vcc, s4, v3
	s_and_saveexec_b64 s[4:5], vcc
	s_xor_b64 s[4:5], exec, s[4:5]
	s_cbranch_execz .LBB39_1652
; %bb.1637:
	s_movk_i32 s16, 0x80
	v_cmp_ne_u16_e32 vcc, s16, v3
	s_and_b64 s[16:17], vcc, exec
	s_andn2_saveexec_b64 s[4:5], s[4:5]
	s_cbranch_execnz .LBB39_1653
.LBB39_1638:
	s_or_b64 exec, exec, s[4:5]
	v_mov_b32_e32 v1, 0
	s_and_saveexec_b64 s[4:5], s[16:17]
	s_cbranch_execz .LBB39_1640
.LBB39_1639:
	v_lshlrev_b32_e32 v1, 24, v3
	v_and_b32_e32 v3, 0xffff, v3
	v_and_b32_e32 v5, 7, v3
	v_ffbh_u32_e32 v10, v5
	v_min_u32_e32 v10, 32, v10
	v_subrev_u32_e32 v12, 28, v10
	v_bfe_u32 v8, v3, 3, 4
	v_lshlrev_b32_e32 v3, v12, v3
	v_sub_u32_e32 v10, 29, v10
	v_and_b32_e32 v3, 7, v3
	v_cmp_eq_u32_e32 vcc, 0, v8
	v_cndmask_b32_e32 v8, v8, v10, vcc
	v_cndmask_b32_e32 v3, v5, v3, vcc
	v_mov_b32_e32 v5, 0x3b800000
	v_lshlrev_b32_e32 v3, 20, v3
	v_and_b32_e32 v1, 0x80000000, v1
	v_lshl_add_u32 v5, v8, 23, v5
	v_or3_b32 v1, v1, v5, v3
	v_cvt_i32_f32_e32 v1, v1
.LBB39_1640:
	s_or_b64 exec, exec, s[4:5]
.LBB39_1641:
	s_mov_b64 s[16:17], -1
.LBB39_1642:
	s_branch .LBB39_1672
.LBB39_1643:
	s_cmp_gt_i32 s19, 22
	s_cbranch_scc0 .LBB39_1651
; %bb.1644:
	s_cmp_lt_i32 s19, 24
	s_cbranch_scc1 .LBB39_1654
; %bb.1645:
	s_cmp_gt_i32 s19, 24
	s_cbranch_scc0 .LBB39_1655
; %bb.1646:
	global_load_ubyte v3, v[20:21], off
	s_movk_i32 s4, 0x7f
	s_waitcnt vmcnt(0)
	v_cmp_lt_i16_e32 vcc, s4, v3
	s_and_saveexec_b64 s[4:5], vcc
	s_xor_b64 s[4:5], exec, s[4:5]
	s_cbranch_execz .LBB39_1666
; %bb.1647:
	s_movk_i32 s6, 0x80
	v_cmp_ne_u16_e32 vcc, s6, v3
	s_and_b64 s[6:7], vcc, exec
	s_andn2_saveexec_b64 s[4:5], s[4:5]
	s_cbranch_execnz .LBB39_1667
.LBB39_1648:
	s_or_b64 exec, exec, s[4:5]
	v_mov_b32_e32 v1, 0
	s_and_saveexec_b64 s[4:5], s[6:7]
	s_cbranch_execz .LBB39_1650
.LBB39_1649:
	v_lshlrev_b32_e32 v1, 24, v3
	v_and_b32_e32 v3, 0xffff, v3
	v_and_b32_e32 v5, 3, v3
	v_ffbh_u32_e32 v10, v5
	v_min_u32_e32 v10, 32, v10
	v_subrev_u32_e32 v12, 29, v10
	v_bfe_u32 v8, v3, 2, 5
	v_lshlrev_b32_e32 v3, v12, v3
	v_sub_u32_e32 v10, 30, v10
	v_and_b32_e32 v3, 3, v3
	v_cmp_eq_u32_e32 vcc, 0, v8
	v_cndmask_b32_e32 v8, v8, v10, vcc
	v_cndmask_b32_e32 v3, v5, v3, vcc
	v_mov_b32_e32 v5, 0x37800000
	v_lshlrev_b32_e32 v3, 21, v3
	v_and_b32_e32 v1, 0x80000000, v1
	v_lshl_add_u32 v5, v8, 23, v5
	v_or3_b32 v1, v1, v5, v3
	v_cvt_i32_f32_e32 v1, v1
.LBB39_1650:
	s_or_b64 exec, exec, s[4:5]
	s_mov_b64 s[4:5], 0
	s_branch .LBB39_1656
.LBB39_1651:
                                        ; implicit-def: $vgpr1
	s_mov_b64 s[6:7], 0
	s_branch .LBB39_1662
.LBB39_1652:
	s_andn2_saveexec_b64 s[4:5], s[4:5]
	s_cbranch_execz .LBB39_1638
.LBB39_1653:
	v_cmp_ne_u16_e32 vcc, 0, v3
	s_andn2_b64 s[16:17], s[16:17], exec
	s_and_b64 s[20:21], vcc, exec
	s_or_b64 s[16:17], s[16:17], s[20:21]
	s_or_b64 exec, exec, s[4:5]
	v_mov_b32_e32 v1, 0
	s_and_saveexec_b64 s[4:5], s[16:17]
	s_cbranch_execnz .LBB39_1639
	s_branch .LBB39_1640
.LBB39_1654:
	s_mov_b64 s[4:5], -1
                                        ; implicit-def: $vgpr1
	s_branch .LBB39_1659
.LBB39_1655:
	s_mov_b64 s[4:5], -1
                                        ; implicit-def: $vgpr1
.LBB39_1656:
	s_and_b64 vcc, exec, s[4:5]
	s_cbranch_vccz .LBB39_1658
; %bb.1657:
	global_load_ubyte v1, v[20:21], off
	s_mov_b32 s4, 0x7f800000
	s_waitcnt vmcnt(0)
	v_lshlrev_b32_e32 v1, 24, v1
	v_and_b32_e32 v3, 0x7f000000, v1
	v_ffbh_u32_e32 v5, v3
	v_min_u32_e32 v5, 32, v5
	v_sub_u32_e64 v5, v5, 4 clamp
	v_lshlrev_b32_e32 v10, v5, v3
	v_lshlrev_b32_e32 v5, 23, v5
	v_lshrrev_b32_e32 v10, 4, v10
	v_add_u32_e32 v8, 0x1000000, v3
	v_sub_u32_e32 v5, v10, v5
	v_ashrrev_i32_e32 v8, 8, v8
	v_add_u32_e32 v5, 0x3c000000, v5
	v_and_or_b32 v5, v8, s4, v5
	v_cmp_ne_u32_e32 vcc, 0, v3
	v_cndmask_b32_e32 v3, 0, v5, vcc
	s_brev_b32 s4, 1
	v_and_or_b32 v1, v1, s4, v3
	v_cvt_i32_f32_e32 v1, v1
.LBB39_1658:
	s_mov_b64 s[4:5], 0
.LBB39_1659:
	s_andn2_b64 vcc, exec, s[4:5]
	s_cbranch_vccnz .LBB39_1661
; %bb.1660:
	global_load_ubyte v1, v[20:21], off
	s_movk_i32 s4, 0x7f00
	s_brev_b32 s5, 16
	s_waitcnt vmcnt(0)
	v_lshlrev_b16_e32 v3, 8, v1
	v_lshlrev_b32_e32 v1, 25, v1
	v_lshrrev_b32_e32 v5, 4, v1
	v_and_or_b32 v8, v3, s4, 0.5
	v_or_b32_e32 v5, 0x70000000, v5
	v_add_f32_e32 v8, -0.5, v8
	v_mul_f32_e32 v5, 0x7800000, v5
	v_cmp_gt_u32_e32 vcc, s5, v1
	v_bfe_i32 v3, v3, 0, 16
	v_cndmask_b32_e32 v1, v5, v8, vcc
	s_brev_b32 s4, 1
	v_and_or_b32 v1, v3, s4, v1
	v_cvt_i32_f32_e32 v1, v1
.LBB39_1661:
	s_mov_b64 s[16:17], -1
	s_mov_b64 s[6:7], 0
	s_cbranch_execnz .LBB39_1672
.LBB39_1662:
	s_cmp_gt_i32 s19, 14
	s_cbranch_scc0 .LBB39_1665
; %bb.1663:
	s_cmp_eq_u32 s19, 15
	s_cbranch_scc0 .LBB39_1668
; %bb.1664:
	global_load_ushort v1, v[20:21], off
	s_mov_b64 s[0:1], 0
	s_mov_b64 s[16:17], -1
	s_waitcnt vmcnt(0)
	v_lshlrev_b32_e32 v1, 16, v1
	v_cvt_i32_f32_e32 v1, v1
	s_branch .LBB39_1669
.LBB39_1665:
	s_mov_b64 s[4:5], -1
                                        ; implicit-def: $vgpr1
	s_branch .LBB39_1670
.LBB39_1666:
	s_andn2_saveexec_b64 s[4:5], s[4:5]
	s_cbranch_execz .LBB39_1648
.LBB39_1667:
	v_cmp_ne_u16_e32 vcc, 0, v3
	s_andn2_b64 s[6:7], s[6:7], exec
	s_and_b64 s[16:17], vcc, exec
	s_or_b64 s[6:7], s[6:7], s[16:17]
	s_or_b64 exec, exec, s[4:5]
	v_mov_b32_e32 v1, 0
	s_and_saveexec_b64 s[4:5], s[6:7]
	s_cbranch_execnz .LBB39_1649
	s_branch .LBB39_1650
.LBB39_1668:
	s_mov_b64 s[0:1], -1
                                        ; implicit-def: $vgpr1
.LBB39_1669:
	s_mov_b64 s[4:5], 0
.LBB39_1670:
	s_and_b64 vcc, exec, s[4:5]
	s_cbranch_vccz .LBB39_1672
; %bb.1671:
	s_cmp_lg_u32 s19, 11
	s_mov_b64 s[6:7], -1
	s_cselect_b64 s[0:1], -1, 0
.LBB39_1672:
	s_and_b64 vcc, exec, s[0:1]
	s_mov_b64 s[4:5], s[12:13]
	s_cbranch_vccnz .LBB39_1733
; %bb.1673:
	s_andn2_b64 vcc, exec, s[6:7]
	s_cbranch_vccnz .LBB39_1675
.LBB39_1674:
	global_load_ubyte v1, v[20:21], off
	s_mov_b64 s[16:17], -1
	s_waitcnt vmcnt(0)
	v_cmp_ne_u16_e32 vcc, 0, v1
	v_cndmask_b32_e64 v1, 0, 1, vcc
.LBB39_1675:
	s_branch .LBB39_1610
.LBB39_1676:
	s_and_b32 s6, 0xffff, s18
	s_cmp_lt_i32 s6, 5
	s_cbranch_scc1 .LBB39_1681
; %bb.1677:
	s_cmp_lt_i32 s6, 8
	s_cbranch_scc1 .LBB39_1682
; %bb.1678:
	;; [unrolled: 3-line block ×3, first 2 shown]
	s_cmp_gt_i32 s6, 9
	s_cbranch_scc0 .LBB39_1684
; %bb.1680:
	global_load_dwordx2 v[22:23], v[20:21], off
	s_mov_b64 s[0:1], 0
	s_waitcnt vmcnt(0)
	v_cvt_i32_f64_e32 v1, v[22:23]
	s_branch .LBB39_1685
.LBB39_1681:
                                        ; implicit-def: $vgpr1
	s_branch .LBB39_1702
.LBB39_1682:
                                        ; implicit-def: $vgpr1
	s_branch .LBB39_1691
.LBB39_1683:
	s_mov_b64 s[0:1], -1
                                        ; implicit-def: $vgpr1
	s_branch .LBB39_1688
.LBB39_1684:
	s_mov_b64 s[0:1], -1
                                        ; implicit-def: $vgpr1
.LBB39_1685:
	s_andn2_b64 vcc, exec, s[0:1]
	s_cbranch_vccnz .LBB39_1687
; %bb.1686:
	global_load_dword v1, v[20:21], off
	s_waitcnt vmcnt(0)
	v_cvt_i32_f32_e32 v1, v1
.LBB39_1687:
	s_mov_b64 s[0:1], 0
.LBB39_1688:
	s_andn2_b64 vcc, exec, s[0:1]
	s_cbranch_vccnz .LBB39_1690
; %bb.1689:
	global_load_dword v1, v[20:21], off
	s_waitcnt vmcnt(0)
	v_cvt_f32_f16_e32 v1, v1
	v_cvt_i32_f32_e32 v1, v1
.LBB39_1690:
	s_cbranch_execnz .LBB39_1701
.LBB39_1691:
	s_cmp_lt_i32 s6, 6
	s_cbranch_scc1 .LBB39_1694
; %bb.1692:
	s_cmp_gt_i32 s6, 6
	s_cbranch_scc0 .LBB39_1695
; %bb.1693:
	global_load_dwordx2 v[22:23], v[20:21], off
	s_mov_b64 s[0:1], 0
	s_waitcnt vmcnt(0)
	v_cvt_i32_f64_e32 v1, v[22:23]
	s_branch .LBB39_1696
.LBB39_1694:
	s_mov_b64 s[0:1], -1
                                        ; implicit-def: $vgpr1
	s_branch .LBB39_1699
.LBB39_1695:
	s_mov_b64 s[0:1], -1
                                        ; implicit-def: $vgpr1
.LBB39_1696:
	s_andn2_b64 vcc, exec, s[0:1]
	s_cbranch_vccnz .LBB39_1698
; %bb.1697:
	global_load_dword v1, v[20:21], off
	s_waitcnt vmcnt(0)
	v_cvt_i32_f32_e32 v1, v1
.LBB39_1698:
	s_mov_b64 s[0:1], 0
.LBB39_1699:
	s_andn2_b64 vcc, exec, s[0:1]
	s_cbranch_vccnz .LBB39_1701
; %bb.1700:
	global_load_ushort v1, v[20:21], off
	s_waitcnt vmcnt(0)
	v_cvt_f32_f16_e32 v1, v1
	v_cvt_i32_f32_e32 v1, v1
.LBB39_1701:
	s_cbranch_execnz .LBB39_1720
.LBB39_1702:
	s_cmp_lt_i32 s6, 2
	s_cbranch_scc1 .LBB39_1706
; %bb.1703:
	s_cmp_lt_i32 s6, 3
	s_cbranch_scc1 .LBB39_1707
; %bb.1704:
	s_cmp_gt_i32 s6, 3
	s_cbranch_scc0 .LBB39_1708
; %bb.1705:
	global_load_dword v1, v[20:21], off
	s_mov_b64 s[0:1], 0
	s_branch .LBB39_1709
.LBB39_1706:
                                        ; implicit-def: $vgpr1
	s_branch .LBB39_1715
.LBB39_1707:
	s_mov_b64 s[0:1], -1
                                        ; implicit-def: $vgpr1
	s_branch .LBB39_1712
.LBB39_1708:
	s_mov_b64 s[0:1], -1
                                        ; implicit-def: $vgpr1
.LBB39_1709:
	s_andn2_b64 vcc, exec, s[0:1]
	s_cbranch_vccnz .LBB39_1711
; %bb.1710:
	global_load_dword v1, v[20:21], off
.LBB39_1711:
	s_mov_b64 s[0:1], 0
.LBB39_1712:
	s_andn2_b64 vcc, exec, s[0:1]
	s_cbranch_vccnz .LBB39_1714
; %bb.1713:
	global_load_sshort v1, v[20:21], off
.LBB39_1714:
	s_cbranch_execnz .LBB39_1720
.LBB39_1715:
	s_cmp_gt_i32 s6, 0
	s_cbranch_scc0 .LBB39_1717
; %bb.1716:
	global_load_sbyte v1, v[20:21], off
	s_mov_b64 s[0:1], 0
	s_branch .LBB39_1718
.LBB39_1717:
	s_mov_b64 s[0:1], -1
                                        ; implicit-def: $vgpr1
.LBB39_1718:
	s_andn2_b64 vcc, exec, s[0:1]
	s_cbranch_vccnz .LBB39_1720
; %bb.1719:
	global_load_ubyte v1, v[20:21], off
.LBB39_1720:
.LBB39_1721:
	s_load_dwordx2 s[0:1], s[2:3], 0x198
	s_bfe_u32 s22, s23, 0x80010
	s_cmp_lt_i32 s22, 11
	s_waitcnt vmcnt(0) lgkmcnt(0)
	v_mov_b32_e32 v3, s1
	v_add_co_u32_e32 v18, vcc, s0, v19
	v_addc_co_u32_e32 v19, vcc, 0, v3, vcc
	s_cbranch_scc1 .LBB39_1728
; %bb.1722:
	s_and_b32 s24, 0xffff, s22
	s_cmp_gt_i32 s24, 25
	s_mov_b64 s[16:17], 0
	s_cbranch_scc0 .LBB39_1730
; %bb.1723:
	s_cmp_gt_i32 s24, 28
	s_cbranch_scc0 .LBB39_1731
; %bb.1724:
	s_cmp_gt_i32 s24, 43
	s_cbranch_scc0 .LBB39_1732
; %bb.1725:
	s_cmp_gt_i32 s24, 45
	s_cbranch_scc0 .LBB39_1734
; %bb.1726:
	s_cmp_eq_u32 s24, 46
	s_mov_b64 s[20:21], 0
	s_cbranch_scc0 .LBB39_1737
; %bb.1727:
	global_load_dword v3, v[18:19], off
	s_mov_b64 s[6:7], 0
	s_mov_b64 s[18:19], -1
	s_waitcnt vmcnt(0)
	v_lshlrev_b32_e32 v3, 16, v3
	v_cvt_i32_f32_e32 v5, v3
	s_branch .LBB39_1738
.LBB39_1728:
	s_mov_b64 s[18:19], 0
                                        ; implicit-def: $vgpr5
	s_cbranch_execnz .LBB39_1799
.LBB39_1729:
	s_andn2_b64 vcc, exec, s[18:19]
	s_cbranch_vccnz .LBB39_3036
	s_branch .LBB39_1846
.LBB39_1730:
	s_mov_b64 s[18:19], 0
	s_mov_b64 s[6:7], 0
                                        ; implicit-def: $vgpr5
	s_cbranch_execnz .LBB39_1765
	s_branch .LBB39_1795
.LBB39_1731:
	s_mov_b64 s[20:21], -1
	s_mov_b64 s[18:19], 0
	s_mov_b64 s[6:7], 0
                                        ; implicit-def: $vgpr5
	s_branch .LBB39_1748
.LBB39_1732:
	s_mov_b64 s[20:21], -1
	s_mov_b64 s[18:19], 0
	s_mov_b64 s[6:7], 0
                                        ; implicit-def: $vgpr5
	s_branch .LBB39_1743
.LBB39_1733:
	s_or_b64 s[4:5], s[12:13], exec
	s_trap 2
	s_cbranch_execz .LBB39_1674
	s_branch .LBB39_1675
.LBB39_1734:
	s_mov_b64 s[20:21], -1
	s_mov_b64 s[18:19], 0
	s_mov_b64 s[6:7], 0
                                        ; implicit-def: $vgpr5
	s_branch .LBB39_1738
.LBB39_1735:
	s_andn2_saveexec_b64 s[20:21], s[20:21]
	s_cbranch_execz .LBB39_1478
.LBB39_1736:
	v_add_f32_e32 v0, 0x42800000, v3
	v_and_b32_e32 v0, 0xff, v0
	v_cmp_ne_u32_e32 vcc, 0, v0
	s_andn2_b64 s[18:19], s[18:19], exec
	s_and_b64 s[28:29], vcc, exec
	s_or_b64 s[18:19], s[18:19], s[28:29]
	s_or_b64 exec, exec, s[20:21]
	v_mov_b32_e32 v4, 0
	s_and_saveexec_b64 s[20:21], s[18:19]
	s_cbranch_execnz .LBB39_1479
	s_branch .LBB39_1480
.LBB39_1737:
	s_mov_b64 s[6:7], -1
                                        ; implicit-def: $vgpr5
	s_mov_b64 s[18:19], 0
.LBB39_1738:
	s_and_b64 vcc, exec, s[20:21]
	s_cbranch_vccz .LBB39_1742
; %bb.1739:
	s_cmp_eq_u32 s24, 44
	s_cbranch_scc0 .LBB39_1741
; %bb.1740:
	global_load_ubyte v3, v[18:19], off
	s_mov_b64 s[6:7], 0
	s_mov_b64 s[18:19], -1
	s_waitcnt vmcnt(0)
	v_lshlrev_b32_e32 v5, 23, v3
	v_cvt_i32_f32_e32 v5, v5
	v_cmp_ne_u32_e32 vcc, 0, v3
	v_cndmask_b32_e32 v5, 0, v5, vcc
	s_branch .LBB39_1742
.LBB39_1741:
	s_mov_b64 s[6:7], -1
                                        ; implicit-def: $vgpr5
.LBB39_1742:
	s_mov_b64 s[20:21], 0
.LBB39_1743:
	s_and_b64 vcc, exec, s[20:21]
	s_cbranch_vccz .LBB39_1747
; %bb.1744:
	s_cmp_eq_u32 s24, 29
	s_cbranch_scc0 .LBB39_1746
; %bb.1745:
	global_load_dword v5, v[18:19], off
	s_mov_b64 s[6:7], 0
	s_mov_b64 s[18:19], -1
	s_branch .LBB39_1747
.LBB39_1746:
	s_mov_b64 s[6:7], -1
                                        ; implicit-def: $vgpr5
.LBB39_1747:
	s_mov_b64 s[20:21], 0
.LBB39_1748:
	s_and_b64 vcc, exec, s[20:21]
	s_cbranch_vccz .LBB39_1764
; %bb.1749:
	s_cmp_lt_i32 s24, 27
	s_cbranch_scc1 .LBB39_1752
; %bb.1750:
	s_cmp_gt_i32 s24, 27
	s_cbranch_scc0 .LBB39_1753
; %bb.1751:
	global_load_dword v5, v[18:19], off
	s_mov_b64 s[18:19], 0
	s_branch .LBB39_1754
.LBB39_1752:
	s_mov_b64 s[18:19], -1
                                        ; implicit-def: $vgpr5
	s_branch .LBB39_1757
.LBB39_1753:
	s_mov_b64 s[18:19], -1
                                        ; implicit-def: $vgpr5
.LBB39_1754:
	s_andn2_b64 vcc, exec, s[18:19]
	s_cbranch_vccnz .LBB39_1756
; %bb.1755:
	global_load_ushort v5, v[18:19], off
.LBB39_1756:
	s_mov_b64 s[18:19], 0
.LBB39_1757:
	s_andn2_b64 vcc, exec, s[18:19]
	s_cbranch_vccnz .LBB39_1763
; %bb.1758:
	global_load_ubyte v3, v[18:19], off
	s_movk_i32 s18, 0x7f
	s_mov_b64 s[20:21], 0
	s_waitcnt vmcnt(0)
	v_cmp_lt_i16_e32 vcc, s18, v3
	s_and_saveexec_b64 s[18:19], vcc
	s_xor_b64 s[18:19], exec, s[18:19]
	s_cbranch_execz .LBB39_1774
; %bb.1759:
	s_movk_i32 s20, 0x80
	v_cmp_ne_u16_e32 vcc, s20, v3
	s_and_b64 s[20:21], vcc, exec
	s_andn2_saveexec_b64 s[18:19], s[18:19]
	s_cbranch_execnz .LBB39_1775
.LBB39_1760:
	s_or_b64 exec, exec, s[18:19]
	v_mov_b32_e32 v5, 0
	s_and_saveexec_b64 s[18:19], s[20:21]
	s_cbranch_execz .LBB39_1762
.LBB39_1761:
	v_lshlrev_b32_e32 v5, 24, v3
	v_and_b32_e32 v3, 0xffff, v3
	v_and_b32_e32 v8, 7, v3
	v_ffbh_u32_e32 v12, v8
	v_min_u32_e32 v12, 32, v12
	v_subrev_u32_e32 v14, 28, v12
	v_bfe_u32 v10, v3, 3, 4
	v_lshlrev_b32_e32 v3, v14, v3
	v_sub_u32_e32 v12, 29, v12
	v_and_b32_e32 v3, 7, v3
	v_cmp_eq_u32_e32 vcc, 0, v10
	v_cndmask_b32_e32 v10, v10, v12, vcc
	v_cndmask_b32_e32 v3, v8, v3, vcc
	v_mov_b32_e32 v8, 0x3b800000
	v_lshlrev_b32_e32 v3, 20, v3
	v_and_b32_e32 v5, 0x80000000, v5
	v_lshl_add_u32 v8, v10, 23, v8
	v_or3_b32 v3, v5, v8, v3
	v_cvt_i32_f32_e32 v5, v3
.LBB39_1762:
	s_or_b64 exec, exec, s[18:19]
.LBB39_1763:
	s_mov_b64 s[18:19], -1
.LBB39_1764:
	s_branch .LBB39_1795
.LBB39_1765:
	s_cmp_gt_i32 s24, 22
	s_cbranch_scc0 .LBB39_1773
; %bb.1766:
	s_cmp_lt_i32 s24, 24
	s_cbranch_scc1 .LBB39_1776
; %bb.1767:
	s_cmp_gt_i32 s24, 24
	s_cbranch_scc0 .LBB39_1777
; %bb.1768:
	global_load_ubyte v3, v[18:19], off
	s_movk_i32 s16, 0x7f
	s_mov_b64 s[18:19], 0
	s_waitcnt vmcnt(0)
	v_cmp_lt_i16_e32 vcc, s16, v3
	s_and_saveexec_b64 s[16:17], vcc
	s_xor_b64 s[16:17], exec, s[16:17]
	s_cbranch_execz .LBB39_1789
; %bb.1769:
	s_movk_i32 s18, 0x80
	v_cmp_ne_u16_e32 vcc, s18, v3
	s_and_b64 s[18:19], vcc, exec
	s_andn2_saveexec_b64 s[16:17], s[16:17]
	s_cbranch_execnz .LBB39_1790
.LBB39_1770:
	s_or_b64 exec, exec, s[16:17]
	v_mov_b32_e32 v5, 0
	s_and_saveexec_b64 s[16:17], s[18:19]
	s_cbranch_execz .LBB39_1772
.LBB39_1771:
	v_lshlrev_b32_e32 v5, 24, v3
	v_and_b32_e32 v3, 0xffff, v3
	v_and_b32_e32 v8, 3, v3
	v_ffbh_u32_e32 v12, v8
	v_min_u32_e32 v12, 32, v12
	v_subrev_u32_e32 v14, 29, v12
	v_bfe_u32 v10, v3, 2, 5
	v_lshlrev_b32_e32 v3, v14, v3
	v_sub_u32_e32 v12, 30, v12
	v_and_b32_e32 v3, 3, v3
	v_cmp_eq_u32_e32 vcc, 0, v10
	v_cndmask_b32_e32 v10, v10, v12, vcc
	v_cndmask_b32_e32 v3, v8, v3, vcc
	v_mov_b32_e32 v8, 0x37800000
	v_lshlrev_b32_e32 v3, 21, v3
	v_and_b32_e32 v5, 0x80000000, v5
	v_lshl_add_u32 v8, v10, 23, v8
	v_or3_b32 v3, v5, v8, v3
	v_cvt_i32_f32_e32 v5, v3
.LBB39_1772:
	s_or_b64 exec, exec, s[16:17]
	s_mov_b64 s[16:17], 0
	s_branch .LBB39_1778
.LBB39_1773:
	s_mov_b64 s[16:17], -1
                                        ; implicit-def: $vgpr5
	s_branch .LBB39_1784
.LBB39_1774:
	s_andn2_saveexec_b64 s[18:19], s[18:19]
	s_cbranch_execz .LBB39_1760
.LBB39_1775:
	v_cmp_ne_u16_e32 vcc, 0, v3
	s_andn2_b64 s[20:21], s[20:21], exec
	s_and_b64 s[26:27], vcc, exec
	s_or_b64 s[20:21], s[20:21], s[26:27]
	s_or_b64 exec, exec, s[18:19]
	v_mov_b32_e32 v5, 0
	s_and_saveexec_b64 s[18:19], s[20:21]
	s_cbranch_execnz .LBB39_1761
	s_branch .LBB39_1762
.LBB39_1776:
	s_mov_b64 s[16:17], -1
                                        ; implicit-def: $vgpr5
	s_branch .LBB39_1781
.LBB39_1777:
	s_mov_b64 s[16:17], -1
                                        ; implicit-def: $vgpr5
.LBB39_1778:
	s_and_b64 vcc, exec, s[16:17]
	s_cbranch_vccz .LBB39_1780
; %bb.1779:
	global_load_ubyte v3, v[18:19], off
	s_mov_b32 s16, 0x7f800000
	s_waitcnt vmcnt(0)
	v_lshlrev_b32_e32 v3, 24, v3
	v_and_b32_e32 v5, 0x7f000000, v3
	v_ffbh_u32_e32 v8, v5
	v_min_u32_e32 v8, 32, v8
	v_sub_u32_e64 v8, v8, 4 clamp
	v_lshlrev_b32_e32 v12, v8, v5
	v_lshlrev_b32_e32 v8, 23, v8
	v_lshrrev_b32_e32 v12, 4, v12
	v_add_u32_e32 v10, 0x1000000, v5
	v_sub_u32_e32 v8, v12, v8
	v_ashrrev_i32_e32 v10, 8, v10
	v_add_u32_e32 v8, 0x3c000000, v8
	v_and_or_b32 v8, v10, s16, v8
	v_cmp_ne_u32_e32 vcc, 0, v5
	v_cndmask_b32_e32 v5, 0, v8, vcc
	s_brev_b32 s16, 1
	v_and_or_b32 v3, v3, s16, v5
	v_cvt_i32_f32_e32 v5, v3
.LBB39_1780:
	s_mov_b64 s[16:17], 0
.LBB39_1781:
	s_andn2_b64 vcc, exec, s[16:17]
	s_cbranch_vccnz .LBB39_1783
; %bb.1782:
	global_load_ubyte v3, v[18:19], off
	s_movk_i32 s16, 0x7f00
	s_brev_b32 s17, 16
	s_waitcnt vmcnt(0)
	v_lshlrev_b16_e32 v5, 8, v3
	v_lshlrev_b32_e32 v3, 25, v3
	v_lshrrev_b32_e32 v8, 4, v3
	v_and_or_b32 v10, v5, s16, 0.5
	v_or_b32_e32 v8, 0x70000000, v8
	v_add_f32_e32 v10, -0.5, v10
	v_mul_f32_e32 v8, 0x7800000, v8
	v_cmp_gt_u32_e32 vcc, s17, v3
	v_bfe_i32 v5, v5, 0, 16
	v_cndmask_b32_e32 v3, v8, v10, vcc
	s_brev_b32 s16, 1
	v_and_or_b32 v3, v5, s16, v3
	v_cvt_i32_f32_e32 v5, v3
.LBB39_1783:
	s_mov_b64 s[16:17], 0
	s_mov_b64 s[18:19], -1
.LBB39_1784:
	s_andn2_b64 vcc, exec, s[16:17]
	s_mov_b64 s[16:17], 0
	s_cbranch_vccnz .LBB39_1795
; %bb.1785:
	s_cmp_gt_i32 s24, 14
	s_cbranch_scc0 .LBB39_1788
; %bb.1786:
	s_cmp_eq_u32 s24, 15
	s_cbranch_scc0 .LBB39_1791
; %bb.1787:
	global_load_ushort v3, v[18:19], off
	s_mov_b64 s[6:7], 0
	s_mov_b64 s[18:19], -1
	s_waitcnt vmcnt(0)
	v_lshlrev_b32_e32 v3, 16, v3
	v_cvt_i32_f32_e32 v5, v3
	s_branch .LBB39_1792
.LBB39_1788:
	s_mov_b64 s[20:21], -1
                                        ; implicit-def: $vgpr5
	s_branch .LBB39_1793
.LBB39_1789:
	s_andn2_saveexec_b64 s[16:17], s[16:17]
	s_cbranch_execz .LBB39_1770
.LBB39_1790:
	v_cmp_ne_u16_e32 vcc, 0, v3
	s_andn2_b64 s[18:19], s[18:19], exec
	s_and_b64 s[20:21], vcc, exec
	s_or_b64 s[18:19], s[18:19], s[20:21]
	s_or_b64 exec, exec, s[16:17]
	v_mov_b32_e32 v5, 0
	s_and_saveexec_b64 s[16:17], s[18:19]
	s_cbranch_execnz .LBB39_1771
	s_branch .LBB39_1772
.LBB39_1791:
	s_mov_b64 s[6:7], -1
                                        ; implicit-def: $vgpr5
.LBB39_1792:
	s_mov_b64 s[20:21], 0
.LBB39_1793:
	s_and_b64 vcc, exec, s[20:21]
	s_cbranch_vccz .LBB39_1795
; %bb.1794:
	s_cmp_lg_u32 s24, 11
	s_mov_b64 s[16:17], -1
	s_cselect_b64 s[6:7], -1, 0
.LBB39_1795:
	s_and_b64 vcc, exec, s[6:7]
	s_cbranch_vccnz .LBB39_1858
; %bb.1796:
	s_andn2_b64 vcc, exec, s[16:17]
	s_cbranch_vccnz .LBB39_1798
.LBB39_1797:
	global_load_ubyte v3, v[18:19], off
	s_mov_b64 s[18:19], -1
	s_waitcnt vmcnt(0)
	v_cmp_ne_u16_e32 vcc, 0, v3
	v_cndmask_b32_e64 v5, 0, 1, vcc
.LBB39_1798:
	s_branch .LBB39_1729
.LBB39_1799:
	s_and_b32 s16, 0xffff, s22
	s_cmp_lt_i32 s16, 5
	s_cbranch_scc1 .LBB39_1804
; %bb.1800:
	s_cmp_lt_i32 s16, 8
	s_cbranch_scc1 .LBB39_1805
; %bb.1801:
	;; [unrolled: 3-line block ×3, first 2 shown]
	s_cmp_gt_i32 s16, 9
	s_cbranch_scc0 .LBB39_1807
; %bb.1803:
	global_load_dwordx2 v[20:21], v[18:19], off
	s_mov_b64 s[6:7], 0
	s_waitcnt vmcnt(0)
	v_cvt_i32_f64_e32 v5, v[20:21]
	s_branch .LBB39_1808
.LBB39_1804:
                                        ; implicit-def: $vgpr5
	s_branch .LBB39_1826
.LBB39_1805:
	s_mov_b64 s[6:7], -1
                                        ; implicit-def: $vgpr5
	s_branch .LBB39_1814
.LBB39_1806:
	s_mov_b64 s[6:7], -1
                                        ; implicit-def: $vgpr5
	s_branch .LBB39_1811
.LBB39_1807:
	s_mov_b64 s[6:7], -1
                                        ; implicit-def: $vgpr5
.LBB39_1808:
	s_andn2_b64 vcc, exec, s[6:7]
	s_cbranch_vccnz .LBB39_1810
; %bb.1809:
	global_load_dword v3, v[18:19], off
	s_waitcnt vmcnt(0)
	v_cvt_i32_f32_e32 v5, v3
.LBB39_1810:
	s_mov_b64 s[6:7], 0
.LBB39_1811:
	s_andn2_b64 vcc, exec, s[6:7]
	s_cbranch_vccnz .LBB39_1813
; %bb.1812:
	global_load_dword v3, v[18:19], off
	s_waitcnt vmcnt(0)
	v_cvt_f32_f16_e32 v3, v3
	v_cvt_i32_f32_e32 v5, v3
.LBB39_1813:
	s_mov_b64 s[6:7], 0
.LBB39_1814:
	s_andn2_b64 vcc, exec, s[6:7]
	s_cbranch_vccnz .LBB39_1825
; %bb.1815:
	s_cmp_lt_i32 s16, 6
	s_cbranch_scc1 .LBB39_1818
; %bb.1816:
	s_cmp_gt_i32 s16, 6
	s_cbranch_scc0 .LBB39_1819
; %bb.1817:
	global_load_dwordx2 v[20:21], v[18:19], off
	s_mov_b64 s[6:7], 0
	s_waitcnt vmcnt(0)
	v_cvt_i32_f64_e32 v5, v[20:21]
	s_branch .LBB39_1820
.LBB39_1818:
	s_mov_b64 s[6:7], -1
                                        ; implicit-def: $vgpr5
	s_branch .LBB39_1823
.LBB39_1819:
	s_mov_b64 s[6:7], -1
                                        ; implicit-def: $vgpr5
.LBB39_1820:
	s_andn2_b64 vcc, exec, s[6:7]
	s_cbranch_vccnz .LBB39_1822
; %bb.1821:
	global_load_dword v3, v[18:19], off
	s_waitcnt vmcnt(0)
	v_cvt_i32_f32_e32 v5, v3
.LBB39_1822:
	s_mov_b64 s[6:7], 0
.LBB39_1823:
	s_andn2_b64 vcc, exec, s[6:7]
	s_cbranch_vccnz .LBB39_1825
; %bb.1824:
	global_load_ushort v3, v[18:19], off
	s_waitcnt vmcnt(0)
	v_cvt_f32_f16_e32 v3, v3
	v_cvt_i32_f32_e32 v5, v3
.LBB39_1825:
	s_cbranch_execnz .LBB39_1845
.LBB39_1826:
	s_cmp_lt_i32 s16, 2
	s_cbranch_scc1 .LBB39_1830
; %bb.1827:
	s_cmp_lt_i32 s16, 3
	s_cbranch_scc1 .LBB39_1831
; %bb.1828:
	s_cmp_gt_i32 s16, 3
	s_cbranch_scc0 .LBB39_1832
; %bb.1829:
	global_load_dword v5, v[18:19], off
	s_mov_b64 s[6:7], 0
	s_branch .LBB39_1833
.LBB39_1830:
	s_mov_b64 s[6:7], -1
                                        ; implicit-def: $vgpr5
	s_branch .LBB39_1839
.LBB39_1831:
	s_mov_b64 s[6:7], -1
                                        ; implicit-def: $vgpr5
	s_branch .LBB39_1836
.LBB39_1832:
	s_mov_b64 s[6:7], -1
                                        ; implicit-def: $vgpr5
.LBB39_1833:
	s_andn2_b64 vcc, exec, s[6:7]
	s_cbranch_vccnz .LBB39_1835
; %bb.1834:
	global_load_dword v5, v[18:19], off
.LBB39_1835:
	s_mov_b64 s[6:7], 0
.LBB39_1836:
	s_andn2_b64 vcc, exec, s[6:7]
	s_cbranch_vccnz .LBB39_1838
; %bb.1837:
	global_load_sshort v5, v[18:19], off
.LBB39_1838:
	s_mov_b64 s[6:7], 0
.LBB39_1839:
	s_andn2_b64 vcc, exec, s[6:7]
	s_cbranch_vccnz .LBB39_1845
; %bb.1840:
	s_cmp_gt_i32 s16, 0
	s_cbranch_scc0 .LBB39_1842
; %bb.1841:
	global_load_sbyte v5, v[18:19], off
	s_mov_b64 s[6:7], 0
	s_branch .LBB39_1843
.LBB39_1842:
	s_mov_b64 s[6:7], -1
                                        ; implicit-def: $vgpr5
.LBB39_1843:
	s_andn2_b64 vcc, exec, s[6:7]
	s_cbranch_vccnz .LBB39_1845
; %bb.1844:
	global_load_ubyte v5, v[18:19], off
.LBB39_1845:
.LBB39_1846:
	s_lshr_b32 s6, s23, 8
	v_mov_b32_e32 v3, s11
	s_and_b32 s22, s6, 0xff
	v_add_co_u32_e32 v16, vcc, s10, v17
	s_cmp_lt_i32 s22, 11
	v_addc_co_u32_e32 v17, vcc, 0, v3, vcc
	s_cbranch_scc1 .LBB39_1853
; %bb.1847:
	s_and_b32 s24, 0xffff, s22
	s_cmp_gt_i32 s24, 25
	s_mov_b64 s[16:17], 0
	s_cbranch_scc0 .LBB39_1855
; %bb.1848:
	s_cmp_gt_i32 s24, 28
	s_cbranch_scc0 .LBB39_1856
; %bb.1849:
	s_cmp_gt_i32 s24, 43
	;; [unrolled: 3-line block ×3, first 2 shown]
	s_cbranch_scc0 .LBB39_1859
; %bb.1851:
	s_cmp_eq_u32 s24, 46
	s_mov_b64 s[20:21], 0
	s_cbranch_scc0 .LBB39_1860
; %bb.1852:
	global_load_dword v3, v[16:17], off
	s_mov_b64 s[6:7], 0
	s_mov_b64 s[18:19], -1
	s_waitcnt vmcnt(0)
	v_lshlrev_b32_e32 v3, 16, v3
	v_cvt_i32_f32_e32 v3, v3
	s_branch .LBB39_1861
.LBB39_1853:
	s_mov_b64 s[18:19], 0
                                        ; implicit-def: $vgpr3
	s_cbranch_execnz .LBB39_1923
.LBB39_1854:
	s_andn2_b64 vcc, exec, s[18:19]
	s_cbranch_vccnz .LBB39_3036
	s_branch .LBB39_1971
.LBB39_1855:
	s_mov_b64 s[20:21], -1
	s_mov_b64 s[18:19], 0
	s_mov_b64 s[6:7], 0
                                        ; implicit-def: $vgpr3
	s_branch .LBB39_1888
.LBB39_1856:
	s_mov_b64 s[20:21], -1
	s_mov_b64 s[18:19], 0
	s_mov_b64 s[6:7], 0
                                        ; implicit-def: $vgpr3
	s_branch .LBB39_1871
.LBB39_1857:
	s_mov_b64 s[20:21], -1
	s_mov_b64 s[18:19], 0
	s_mov_b64 s[6:7], 0
                                        ; implicit-def: $vgpr3
	s_branch .LBB39_1866
.LBB39_1858:
	s_trap 2
	s_or_b64 s[4:5], s[4:5], exec
	s_cbranch_execz .LBB39_1797
	s_branch .LBB39_1798
.LBB39_1859:
	s_mov_b64 s[20:21], -1
	s_mov_b64 s[18:19], 0
	s_mov_b64 s[6:7], 0
                                        ; implicit-def: $vgpr3
	s_branch .LBB39_1861
.LBB39_1860:
	s_mov_b64 s[6:7], -1
                                        ; implicit-def: $vgpr3
	s_mov_b64 s[18:19], 0
.LBB39_1861:
	s_and_b64 vcc, exec, s[20:21]
	s_cbranch_vccz .LBB39_1865
; %bb.1862:
	s_cmp_eq_u32 s24, 44
	s_cbranch_scc0 .LBB39_1864
; %bb.1863:
	global_load_ubyte v3, v[16:17], off
	s_mov_b64 s[6:7], 0
	s_mov_b64 s[18:19], -1
	s_waitcnt vmcnt(0)
	v_lshlrev_b32_e32 v8, 23, v3
	v_cvt_i32_f32_e32 v8, v8
	v_cmp_ne_u32_e32 vcc, 0, v3
	v_cndmask_b32_e32 v3, 0, v8, vcc
	s_branch .LBB39_1865
.LBB39_1864:
	s_mov_b64 s[6:7], -1
                                        ; implicit-def: $vgpr3
.LBB39_1865:
	s_mov_b64 s[20:21], 0
.LBB39_1866:
	s_and_b64 vcc, exec, s[20:21]
	s_cbranch_vccz .LBB39_1870
; %bb.1867:
	s_cmp_eq_u32 s24, 29
	s_cbranch_scc0 .LBB39_1869
; %bb.1868:
	global_load_dword v3, v[16:17], off
	s_mov_b64 s[6:7], 0
	s_mov_b64 s[18:19], -1
	s_branch .LBB39_1870
.LBB39_1869:
	s_mov_b64 s[6:7], -1
                                        ; implicit-def: $vgpr3
.LBB39_1870:
	s_mov_b64 s[20:21], 0
.LBB39_1871:
	s_and_b64 vcc, exec, s[20:21]
	s_cbranch_vccz .LBB39_1887
; %bb.1872:
	s_cmp_lt_i32 s24, 27
	s_cbranch_scc1 .LBB39_1875
; %bb.1873:
	s_cmp_gt_i32 s24, 27
	s_cbranch_scc0 .LBB39_1876
; %bb.1874:
	global_load_dword v3, v[16:17], off
	s_mov_b64 s[18:19], 0
	s_branch .LBB39_1877
.LBB39_1875:
	s_mov_b64 s[18:19], -1
                                        ; implicit-def: $vgpr3
	s_branch .LBB39_1880
.LBB39_1876:
	s_mov_b64 s[18:19], -1
                                        ; implicit-def: $vgpr3
.LBB39_1877:
	s_andn2_b64 vcc, exec, s[18:19]
	s_cbranch_vccnz .LBB39_1879
; %bb.1878:
	global_load_ushort v3, v[16:17], off
.LBB39_1879:
	s_mov_b64 s[18:19], 0
.LBB39_1880:
	s_andn2_b64 vcc, exec, s[18:19]
	s_cbranch_vccnz .LBB39_1886
; %bb.1881:
	global_load_ubyte v8, v[16:17], off
	s_movk_i32 s18, 0x7f
	s_mov_b64 s[20:21], 0
	s_waitcnt vmcnt(0)
	v_cmp_lt_i16_e32 vcc, s18, v8
	s_and_saveexec_b64 s[18:19], vcc
	s_xor_b64 s[18:19], exec, s[18:19]
	s_cbranch_execz .LBB39_1898
; %bb.1882:
	s_movk_i32 s20, 0x80
	v_cmp_ne_u16_e32 vcc, s20, v8
	s_and_b64 s[20:21], vcc, exec
	s_andn2_saveexec_b64 s[18:19], s[18:19]
	s_cbranch_execnz .LBB39_1899
.LBB39_1883:
	s_or_b64 exec, exec, s[18:19]
	v_mov_b32_e32 v3, 0
	s_and_saveexec_b64 s[18:19], s[20:21]
	s_cbranch_execz .LBB39_1885
.LBB39_1884:
	v_lshlrev_b32_e32 v3, 24, v8
	v_and_b32_e32 v8, 0xffff, v8
	v_and_b32_e32 v10, 7, v8
	v_ffbh_u32_e32 v14, v10
	v_min_u32_e32 v14, 32, v14
	v_subrev_u32_e32 v18, 28, v14
	v_bfe_u32 v12, v8, 3, 4
	v_lshlrev_b32_e32 v8, v18, v8
	v_sub_u32_e32 v14, 29, v14
	v_and_b32_e32 v8, 7, v8
	v_cmp_eq_u32_e32 vcc, 0, v12
	v_cndmask_b32_e32 v12, v12, v14, vcc
	v_cndmask_b32_e32 v8, v10, v8, vcc
	v_mov_b32_e32 v10, 0x3b800000
	v_lshlrev_b32_e32 v8, 20, v8
	v_and_b32_e32 v3, 0x80000000, v3
	v_lshl_add_u32 v10, v12, 23, v10
	v_or3_b32 v3, v3, v10, v8
	v_cvt_i32_f32_e32 v3, v3
.LBB39_1885:
	s_or_b64 exec, exec, s[18:19]
.LBB39_1886:
	s_mov_b64 s[18:19], -1
.LBB39_1887:
	s_mov_b64 s[20:21], 0
.LBB39_1888:
	s_and_b64 vcc, exec, s[20:21]
	s_cbranch_vccz .LBB39_1919
; %bb.1889:
	s_cmp_gt_i32 s24, 22
	s_cbranch_scc0 .LBB39_1897
; %bb.1890:
	s_cmp_lt_i32 s24, 24
	s_cbranch_scc1 .LBB39_1900
; %bb.1891:
	s_cmp_gt_i32 s24, 24
	s_cbranch_scc0 .LBB39_1901
; %bb.1892:
	global_load_ubyte v8, v[16:17], off
	s_movk_i32 s16, 0x7f
	s_mov_b64 s[18:19], 0
	s_waitcnt vmcnt(0)
	v_cmp_lt_i16_e32 vcc, s16, v8
	s_and_saveexec_b64 s[16:17], vcc
	s_xor_b64 s[16:17], exec, s[16:17]
	s_cbranch_execz .LBB39_1913
; %bb.1893:
	s_movk_i32 s18, 0x80
	v_cmp_ne_u16_e32 vcc, s18, v8
	s_and_b64 s[18:19], vcc, exec
	s_andn2_saveexec_b64 s[16:17], s[16:17]
	s_cbranch_execnz .LBB39_1914
.LBB39_1894:
	s_or_b64 exec, exec, s[16:17]
	v_mov_b32_e32 v3, 0
	s_and_saveexec_b64 s[16:17], s[18:19]
	s_cbranch_execz .LBB39_1896
.LBB39_1895:
	v_lshlrev_b32_e32 v3, 24, v8
	v_and_b32_e32 v8, 0xffff, v8
	v_and_b32_e32 v10, 3, v8
	v_ffbh_u32_e32 v14, v10
	v_min_u32_e32 v14, 32, v14
	v_subrev_u32_e32 v18, 29, v14
	v_bfe_u32 v12, v8, 2, 5
	v_lshlrev_b32_e32 v8, v18, v8
	v_sub_u32_e32 v14, 30, v14
	v_and_b32_e32 v8, 3, v8
	v_cmp_eq_u32_e32 vcc, 0, v12
	v_cndmask_b32_e32 v12, v12, v14, vcc
	v_cndmask_b32_e32 v8, v10, v8, vcc
	v_mov_b32_e32 v10, 0x37800000
	v_lshlrev_b32_e32 v8, 21, v8
	v_and_b32_e32 v3, 0x80000000, v3
	v_lshl_add_u32 v10, v12, 23, v10
	v_or3_b32 v3, v3, v10, v8
	v_cvt_i32_f32_e32 v3, v3
.LBB39_1896:
	s_or_b64 exec, exec, s[16:17]
	s_mov_b64 s[16:17], 0
	s_branch .LBB39_1902
.LBB39_1897:
	s_mov_b64 s[16:17], -1
                                        ; implicit-def: $vgpr3
	s_branch .LBB39_1908
.LBB39_1898:
	s_andn2_saveexec_b64 s[18:19], s[18:19]
	s_cbranch_execz .LBB39_1883
.LBB39_1899:
	v_cmp_ne_u16_e32 vcc, 0, v8
	s_andn2_b64 s[20:21], s[20:21], exec
	s_and_b64 s[26:27], vcc, exec
	s_or_b64 s[20:21], s[20:21], s[26:27]
	s_or_b64 exec, exec, s[18:19]
	v_mov_b32_e32 v3, 0
	s_and_saveexec_b64 s[18:19], s[20:21]
	s_cbranch_execnz .LBB39_1884
	s_branch .LBB39_1885
.LBB39_1900:
	s_mov_b64 s[16:17], -1
                                        ; implicit-def: $vgpr3
	s_branch .LBB39_1905
.LBB39_1901:
	s_mov_b64 s[16:17], -1
                                        ; implicit-def: $vgpr3
.LBB39_1902:
	s_and_b64 vcc, exec, s[16:17]
	s_cbranch_vccz .LBB39_1904
; %bb.1903:
	global_load_ubyte v3, v[16:17], off
	s_mov_b32 s16, 0x7f800000
	s_waitcnt vmcnt(0)
	v_lshlrev_b32_e32 v3, 24, v3
	v_and_b32_e32 v8, 0x7f000000, v3
	v_ffbh_u32_e32 v10, v8
	v_min_u32_e32 v10, 32, v10
	v_sub_u32_e64 v10, v10, 4 clamp
	v_lshlrev_b32_e32 v14, v10, v8
	v_lshlrev_b32_e32 v10, 23, v10
	v_lshrrev_b32_e32 v14, 4, v14
	v_add_u32_e32 v12, 0x1000000, v8
	v_sub_u32_e32 v10, v14, v10
	v_ashrrev_i32_e32 v12, 8, v12
	v_add_u32_e32 v10, 0x3c000000, v10
	v_and_or_b32 v10, v12, s16, v10
	v_cmp_ne_u32_e32 vcc, 0, v8
	v_cndmask_b32_e32 v8, 0, v10, vcc
	s_brev_b32 s16, 1
	v_and_or_b32 v3, v3, s16, v8
	v_cvt_i32_f32_e32 v3, v3
.LBB39_1904:
	s_mov_b64 s[16:17], 0
.LBB39_1905:
	s_andn2_b64 vcc, exec, s[16:17]
	s_cbranch_vccnz .LBB39_1907
; %bb.1906:
	global_load_ubyte v3, v[16:17], off
	s_movk_i32 s16, 0x7f00
	s_brev_b32 s17, 16
	s_waitcnt vmcnt(0)
	v_lshlrev_b16_e32 v8, 8, v3
	v_lshlrev_b32_e32 v3, 25, v3
	v_lshrrev_b32_e32 v10, 4, v3
	v_and_or_b32 v12, v8, s16, 0.5
	v_or_b32_e32 v10, 0x70000000, v10
	v_add_f32_e32 v12, -0.5, v12
	v_mul_f32_e32 v10, 0x7800000, v10
	v_cmp_gt_u32_e32 vcc, s17, v3
	v_bfe_i32 v8, v8, 0, 16
	v_cndmask_b32_e32 v3, v10, v12, vcc
	s_brev_b32 s16, 1
	v_and_or_b32 v3, v8, s16, v3
	v_cvt_i32_f32_e32 v3, v3
.LBB39_1907:
	s_mov_b64 s[16:17], 0
	s_mov_b64 s[18:19], -1
.LBB39_1908:
	s_andn2_b64 vcc, exec, s[16:17]
	s_mov_b64 s[16:17], 0
	s_cbranch_vccnz .LBB39_1919
; %bb.1909:
	s_cmp_gt_i32 s24, 14
	s_cbranch_scc0 .LBB39_1912
; %bb.1910:
	s_cmp_eq_u32 s24, 15
	s_cbranch_scc0 .LBB39_1915
; %bb.1911:
	global_load_ushort v3, v[16:17], off
	s_mov_b64 s[6:7], 0
	s_mov_b64 s[18:19], -1
	s_waitcnt vmcnt(0)
	v_lshlrev_b32_e32 v3, 16, v3
	v_cvt_i32_f32_e32 v3, v3
	s_branch .LBB39_1916
.LBB39_1912:
	s_mov_b64 s[20:21], -1
                                        ; implicit-def: $vgpr3
	s_branch .LBB39_1917
.LBB39_1913:
	s_andn2_saveexec_b64 s[16:17], s[16:17]
	s_cbranch_execz .LBB39_1894
.LBB39_1914:
	v_cmp_ne_u16_e32 vcc, 0, v8
	s_andn2_b64 s[18:19], s[18:19], exec
	s_and_b64 s[20:21], vcc, exec
	s_or_b64 s[18:19], s[18:19], s[20:21]
	s_or_b64 exec, exec, s[16:17]
	v_mov_b32_e32 v3, 0
	s_and_saveexec_b64 s[16:17], s[18:19]
	s_cbranch_execnz .LBB39_1895
	s_branch .LBB39_1896
.LBB39_1915:
	s_mov_b64 s[6:7], -1
                                        ; implicit-def: $vgpr3
.LBB39_1916:
	s_mov_b64 s[20:21], 0
.LBB39_1917:
	s_and_b64 vcc, exec, s[20:21]
	s_cbranch_vccz .LBB39_1919
; %bb.1918:
	s_cmp_lg_u32 s24, 11
	s_mov_b64 s[16:17], -1
	s_cselect_b64 s[6:7], -1, 0
.LBB39_1919:
	s_and_b64 vcc, exec, s[6:7]
	s_cbranch_vccnz .LBB39_1982
; %bb.1920:
	s_andn2_b64 vcc, exec, s[16:17]
	s_cbranch_vccnz .LBB39_1922
.LBB39_1921:
	global_load_ubyte v3, v[16:17], off
	s_mov_b64 s[18:19], -1
	s_waitcnt vmcnt(0)
	v_cmp_ne_u16_e32 vcc, 0, v3
	v_cndmask_b32_e64 v3, 0, 1, vcc
.LBB39_1922:
	s_branch .LBB39_1854
.LBB39_1923:
	s_and_b32 s16, 0xffff, s22
	s_cmp_lt_i32 s16, 5
	s_cbranch_scc1 .LBB39_1928
; %bb.1924:
	s_cmp_lt_i32 s16, 8
	s_cbranch_scc1 .LBB39_1929
; %bb.1925:
	;; [unrolled: 3-line block ×3, first 2 shown]
	s_cmp_gt_i32 s16, 9
	s_cbranch_scc0 .LBB39_1931
; %bb.1927:
	global_load_dwordx2 v[18:19], v[16:17], off
	s_mov_b64 s[6:7], 0
	s_waitcnt vmcnt(0)
	v_cvt_i32_f64_e32 v3, v[18:19]
	s_branch .LBB39_1932
.LBB39_1928:
	s_mov_b64 s[6:7], -1
                                        ; implicit-def: $vgpr3
	s_branch .LBB39_1950
.LBB39_1929:
	s_mov_b64 s[6:7], -1
                                        ; implicit-def: $vgpr3
	s_branch .LBB39_1938
.LBB39_1930:
	s_mov_b64 s[6:7], -1
                                        ; implicit-def: $vgpr3
	s_branch .LBB39_1935
.LBB39_1931:
	s_mov_b64 s[6:7], -1
                                        ; implicit-def: $vgpr3
.LBB39_1932:
	s_andn2_b64 vcc, exec, s[6:7]
	s_cbranch_vccnz .LBB39_1934
; %bb.1933:
	global_load_dword v3, v[16:17], off
	s_waitcnt vmcnt(0)
	v_cvt_i32_f32_e32 v3, v3
.LBB39_1934:
	s_mov_b64 s[6:7], 0
.LBB39_1935:
	s_andn2_b64 vcc, exec, s[6:7]
	s_cbranch_vccnz .LBB39_1937
; %bb.1936:
	global_load_dword v3, v[16:17], off
	s_waitcnt vmcnt(0)
	v_cvt_f32_f16_e32 v3, v3
	v_cvt_i32_f32_e32 v3, v3
.LBB39_1937:
	s_mov_b64 s[6:7], 0
.LBB39_1938:
	s_andn2_b64 vcc, exec, s[6:7]
	s_cbranch_vccnz .LBB39_1949
; %bb.1939:
	s_cmp_lt_i32 s16, 6
	s_cbranch_scc1 .LBB39_1942
; %bb.1940:
	s_cmp_gt_i32 s16, 6
	s_cbranch_scc0 .LBB39_1943
; %bb.1941:
	global_load_dwordx2 v[18:19], v[16:17], off
	s_mov_b64 s[6:7], 0
	s_waitcnt vmcnt(0)
	v_cvt_i32_f64_e32 v3, v[18:19]
	s_branch .LBB39_1944
.LBB39_1942:
	s_mov_b64 s[6:7], -1
                                        ; implicit-def: $vgpr3
	s_branch .LBB39_1947
.LBB39_1943:
	s_mov_b64 s[6:7], -1
                                        ; implicit-def: $vgpr3
.LBB39_1944:
	s_andn2_b64 vcc, exec, s[6:7]
	s_cbranch_vccnz .LBB39_1946
; %bb.1945:
	global_load_dword v3, v[16:17], off
	s_waitcnt vmcnt(0)
	v_cvt_i32_f32_e32 v3, v3
.LBB39_1946:
	s_mov_b64 s[6:7], 0
.LBB39_1947:
	s_andn2_b64 vcc, exec, s[6:7]
	s_cbranch_vccnz .LBB39_1949
; %bb.1948:
	global_load_ushort v3, v[16:17], off
	s_waitcnt vmcnt(0)
	v_cvt_f32_f16_e32 v3, v3
	v_cvt_i32_f32_e32 v3, v3
.LBB39_1949:
	s_mov_b64 s[6:7], 0
.LBB39_1950:
	s_andn2_b64 vcc, exec, s[6:7]
	s_cbranch_vccnz .LBB39_1970
; %bb.1951:
	s_cmp_lt_i32 s16, 2
	s_cbranch_scc1 .LBB39_1955
; %bb.1952:
	s_cmp_lt_i32 s16, 3
	s_cbranch_scc1 .LBB39_1956
; %bb.1953:
	s_cmp_gt_i32 s16, 3
	s_cbranch_scc0 .LBB39_1957
; %bb.1954:
	global_load_dword v3, v[16:17], off
	s_mov_b64 s[6:7], 0
	s_branch .LBB39_1958
.LBB39_1955:
	s_mov_b64 s[6:7], -1
                                        ; implicit-def: $vgpr3
	s_branch .LBB39_1964
.LBB39_1956:
	s_mov_b64 s[6:7], -1
                                        ; implicit-def: $vgpr3
	s_branch .LBB39_1961
.LBB39_1957:
	s_mov_b64 s[6:7], -1
                                        ; implicit-def: $vgpr3
.LBB39_1958:
	s_andn2_b64 vcc, exec, s[6:7]
	s_cbranch_vccnz .LBB39_1960
; %bb.1959:
	global_load_dword v3, v[16:17], off
.LBB39_1960:
	s_mov_b64 s[6:7], 0
.LBB39_1961:
	s_andn2_b64 vcc, exec, s[6:7]
	s_cbranch_vccnz .LBB39_1963
; %bb.1962:
	global_load_sshort v3, v[16:17], off
.LBB39_1963:
	s_mov_b64 s[6:7], 0
.LBB39_1964:
	s_andn2_b64 vcc, exec, s[6:7]
	s_cbranch_vccnz .LBB39_1970
; %bb.1965:
	s_cmp_gt_i32 s16, 0
	s_cbranch_scc0 .LBB39_1967
; %bb.1966:
	global_load_sbyte v3, v[16:17], off
	s_mov_b64 s[6:7], 0
	s_branch .LBB39_1968
.LBB39_1967:
	s_mov_b64 s[6:7], -1
                                        ; implicit-def: $vgpr3
.LBB39_1968:
	s_andn2_b64 vcc, exec, s[6:7]
	s_cbranch_vccnz .LBB39_1970
; %bb.1969:
	global_load_ubyte v3, v[16:17], off
.LBB39_1970:
.LBB39_1971:
	s_lshr_b32 s6, s23, 16
	v_mov_b32_e32 v8, s1
	s_and_b32 s23, s6, 0xff
	v_add_co_u32_e32 v14, vcc, s0, v15
	s_cmp_lt_i32 s23, 11
	v_addc_co_u32_e32 v15, vcc, 0, v8, vcc
	s_cbranch_scc1 .LBB39_1978
; %bb.1972:
	s_and_b32 s24, 0xffff, s23
	s_cmp_gt_i32 s24, 25
	s_mov_b64 s[16:17], 0
	s_cbranch_scc0 .LBB39_1979
; %bb.1973:
	s_cmp_gt_i32 s24, 28
	s_cbranch_scc0 .LBB39_1980
; %bb.1974:
	s_cmp_gt_i32 s24, 43
	;; [unrolled: 3-line block ×3, first 2 shown]
	s_cbranch_scc0 .LBB39_1983
; %bb.1976:
	s_cmp_eq_u32 s24, 46
	s_mov_b64 s[20:21], 0
	s_cbranch_scc0 .LBB39_1984
; %bb.1977:
	global_load_dword v8, v[14:15], off
	s_mov_b64 s[6:7], 0
	s_mov_b64 s[18:19], -1
	s_waitcnt vmcnt(0)
	v_lshlrev_b32_e32 v8, 16, v8
	v_cvt_i32_f32_e32 v16, v8
	s_branch .LBB39_1985
.LBB39_1978:
	s_mov_b64 s[6:7], -1
	s_mov_b64 s[18:19], 0
                                        ; implicit-def: $vgpr16
	s_branch .LBB39_2047
.LBB39_1979:
	s_mov_b64 s[20:21], -1
	s_mov_b64 s[18:19], 0
	s_mov_b64 s[6:7], 0
                                        ; implicit-def: $vgpr16
	s_branch .LBB39_2012
.LBB39_1980:
	s_mov_b64 s[20:21], -1
	s_mov_b64 s[18:19], 0
	s_mov_b64 s[6:7], 0
                                        ; implicit-def: $vgpr16
	s_branch .LBB39_1995
.LBB39_1981:
	s_mov_b64 s[20:21], -1
	s_mov_b64 s[18:19], 0
	s_mov_b64 s[6:7], 0
                                        ; implicit-def: $vgpr16
	s_branch .LBB39_1990
.LBB39_1982:
	s_trap 2
	s_or_b64 s[4:5], s[4:5], exec
	s_cbranch_execz .LBB39_1921
	s_branch .LBB39_1922
.LBB39_1983:
	s_mov_b64 s[20:21], -1
	s_mov_b64 s[18:19], 0
	s_mov_b64 s[6:7], 0
                                        ; implicit-def: $vgpr16
	s_branch .LBB39_1985
.LBB39_1984:
	s_mov_b64 s[6:7], -1
                                        ; implicit-def: $vgpr16
	s_mov_b64 s[18:19], 0
.LBB39_1985:
	s_and_b64 vcc, exec, s[20:21]
	s_cbranch_vccz .LBB39_1989
; %bb.1986:
	s_cmp_eq_u32 s24, 44
	s_cbranch_scc0 .LBB39_1988
; %bb.1987:
	global_load_ubyte v8, v[14:15], off
	s_mov_b64 s[6:7], 0
	s_mov_b64 s[18:19], -1
	s_waitcnt vmcnt(0)
	v_lshlrev_b32_e32 v10, 23, v8
	v_cvt_i32_f32_e32 v10, v10
	v_cmp_ne_u32_e32 vcc, 0, v8
	v_cndmask_b32_e32 v16, 0, v10, vcc
	s_branch .LBB39_1989
.LBB39_1988:
	s_mov_b64 s[6:7], -1
                                        ; implicit-def: $vgpr16
.LBB39_1989:
	s_mov_b64 s[20:21], 0
.LBB39_1990:
	s_and_b64 vcc, exec, s[20:21]
	s_cbranch_vccz .LBB39_1994
; %bb.1991:
	s_cmp_eq_u32 s24, 29
	s_cbranch_scc0 .LBB39_1993
; %bb.1992:
	global_load_dword v16, v[14:15], off
	s_mov_b64 s[6:7], 0
	s_mov_b64 s[18:19], -1
	s_branch .LBB39_1994
.LBB39_1993:
	s_mov_b64 s[6:7], -1
                                        ; implicit-def: $vgpr16
.LBB39_1994:
	s_mov_b64 s[20:21], 0
.LBB39_1995:
	s_and_b64 vcc, exec, s[20:21]
	s_cbranch_vccz .LBB39_2011
; %bb.1996:
	s_cmp_lt_i32 s24, 27
	s_cbranch_scc1 .LBB39_1999
; %bb.1997:
	s_cmp_gt_i32 s24, 27
	s_cbranch_scc0 .LBB39_2000
; %bb.1998:
	global_load_dword v16, v[14:15], off
	s_mov_b64 s[18:19], 0
	s_branch .LBB39_2001
.LBB39_1999:
	s_mov_b64 s[18:19], -1
                                        ; implicit-def: $vgpr16
	s_branch .LBB39_2004
.LBB39_2000:
	s_mov_b64 s[18:19], -1
                                        ; implicit-def: $vgpr16
.LBB39_2001:
	s_andn2_b64 vcc, exec, s[18:19]
	s_cbranch_vccnz .LBB39_2003
; %bb.2002:
	global_load_ushort v16, v[14:15], off
.LBB39_2003:
	s_mov_b64 s[18:19], 0
.LBB39_2004:
	s_andn2_b64 vcc, exec, s[18:19]
	s_cbranch_vccnz .LBB39_2010
; %bb.2005:
	global_load_ubyte v8, v[14:15], off
	s_movk_i32 s18, 0x7f
	s_mov_b64 s[20:21], 0
	s_waitcnt vmcnt(0)
	v_cmp_lt_i16_e32 vcc, s18, v8
	s_and_saveexec_b64 s[18:19], vcc
	s_xor_b64 s[18:19], exec, s[18:19]
	s_cbranch_execz .LBB39_2022
; %bb.2006:
	s_movk_i32 s20, 0x80
	v_cmp_ne_u16_e32 vcc, s20, v8
	s_and_b64 s[20:21], vcc, exec
	s_andn2_saveexec_b64 s[18:19], s[18:19]
	s_cbranch_execnz .LBB39_2023
.LBB39_2007:
	s_or_b64 exec, exec, s[18:19]
	v_mov_b32_e32 v16, 0
	s_and_saveexec_b64 s[18:19], s[20:21]
	s_cbranch_execz .LBB39_2009
.LBB39_2008:
	v_lshlrev_b32_e32 v10, 24, v8
	v_and_b32_e32 v8, 0xffff, v8
	v_and_b32_e32 v12, 7, v8
	v_ffbh_u32_e32 v17, v12
	v_min_u32_e32 v17, 32, v17
	v_subrev_u32_e32 v18, 28, v17
	v_bfe_u32 v16, v8, 3, 4
	v_lshlrev_b32_e32 v8, v18, v8
	v_sub_u32_e32 v17, 29, v17
	v_and_b32_e32 v8, 7, v8
	v_cmp_eq_u32_e32 vcc, 0, v16
	v_cndmask_b32_e32 v16, v16, v17, vcc
	v_cndmask_b32_e32 v8, v12, v8, vcc
	v_mov_b32_e32 v12, 0x3b800000
	v_lshlrev_b32_e32 v8, 20, v8
	v_and_b32_e32 v10, 0x80000000, v10
	v_lshl_add_u32 v12, v16, 23, v12
	v_or3_b32 v8, v10, v12, v8
	v_cvt_i32_f32_e32 v16, v8
.LBB39_2009:
	s_or_b64 exec, exec, s[18:19]
.LBB39_2010:
	s_mov_b64 s[18:19], -1
.LBB39_2011:
	s_mov_b64 s[20:21], 0
.LBB39_2012:
	s_and_b64 vcc, exec, s[20:21]
	s_cbranch_vccz .LBB39_2043
; %bb.2013:
	s_cmp_gt_i32 s24, 22
	s_cbranch_scc0 .LBB39_2021
; %bb.2014:
	s_cmp_lt_i32 s24, 24
	s_cbranch_scc1 .LBB39_2024
; %bb.2015:
	s_cmp_gt_i32 s24, 24
	s_cbranch_scc0 .LBB39_2025
; %bb.2016:
	global_load_ubyte v8, v[14:15], off
	s_movk_i32 s16, 0x7f
	s_mov_b64 s[18:19], 0
	s_waitcnt vmcnt(0)
	v_cmp_lt_i16_e32 vcc, s16, v8
	s_and_saveexec_b64 s[16:17], vcc
	s_xor_b64 s[16:17], exec, s[16:17]
	s_cbranch_execz .LBB39_2037
; %bb.2017:
	s_movk_i32 s18, 0x80
	v_cmp_ne_u16_e32 vcc, s18, v8
	s_and_b64 s[18:19], vcc, exec
	s_andn2_saveexec_b64 s[16:17], s[16:17]
	s_cbranch_execnz .LBB39_2038
.LBB39_2018:
	s_or_b64 exec, exec, s[16:17]
	v_mov_b32_e32 v16, 0
	s_and_saveexec_b64 s[16:17], s[18:19]
	s_cbranch_execz .LBB39_2020
.LBB39_2019:
	v_lshlrev_b32_e32 v10, 24, v8
	v_and_b32_e32 v8, 0xffff, v8
	v_and_b32_e32 v12, 3, v8
	v_ffbh_u32_e32 v17, v12
	v_min_u32_e32 v17, 32, v17
	v_subrev_u32_e32 v18, 29, v17
	v_bfe_u32 v16, v8, 2, 5
	v_lshlrev_b32_e32 v8, v18, v8
	v_sub_u32_e32 v17, 30, v17
	v_and_b32_e32 v8, 3, v8
	v_cmp_eq_u32_e32 vcc, 0, v16
	v_cndmask_b32_e32 v16, v16, v17, vcc
	v_cndmask_b32_e32 v8, v12, v8, vcc
	v_mov_b32_e32 v12, 0x37800000
	v_lshlrev_b32_e32 v8, 21, v8
	v_and_b32_e32 v10, 0x80000000, v10
	v_lshl_add_u32 v12, v16, 23, v12
	v_or3_b32 v8, v10, v12, v8
	v_cvt_i32_f32_e32 v16, v8
.LBB39_2020:
	s_or_b64 exec, exec, s[16:17]
	s_mov_b64 s[16:17], 0
	s_branch .LBB39_2026
.LBB39_2021:
	s_mov_b64 s[16:17], -1
                                        ; implicit-def: $vgpr16
	s_branch .LBB39_2032
.LBB39_2022:
	s_andn2_saveexec_b64 s[18:19], s[18:19]
	s_cbranch_execz .LBB39_2007
.LBB39_2023:
	v_cmp_ne_u16_e32 vcc, 0, v8
	s_andn2_b64 s[20:21], s[20:21], exec
	s_and_b64 s[26:27], vcc, exec
	s_or_b64 s[20:21], s[20:21], s[26:27]
	s_or_b64 exec, exec, s[18:19]
	v_mov_b32_e32 v16, 0
	s_and_saveexec_b64 s[18:19], s[20:21]
	s_cbranch_execnz .LBB39_2008
	s_branch .LBB39_2009
.LBB39_2024:
	s_mov_b64 s[16:17], -1
                                        ; implicit-def: $vgpr16
	s_branch .LBB39_2029
.LBB39_2025:
	s_mov_b64 s[16:17], -1
                                        ; implicit-def: $vgpr16
.LBB39_2026:
	s_and_b64 vcc, exec, s[16:17]
	s_cbranch_vccz .LBB39_2028
; %bb.2027:
	global_load_ubyte v8, v[14:15], off
	s_mov_b32 s16, 0x7f800000
	s_waitcnt vmcnt(0)
	v_lshlrev_b32_e32 v8, 24, v8
	v_and_b32_e32 v10, 0x7f000000, v8
	v_ffbh_u32_e32 v12, v10
	v_min_u32_e32 v12, 32, v12
	v_sub_u32_e64 v12, v12, 4 clamp
	v_lshlrev_b32_e32 v17, v12, v10
	v_lshlrev_b32_e32 v12, 23, v12
	v_lshrrev_b32_e32 v17, 4, v17
	v_add_u32_e32 v16, 0x1000000, v10
	v_sub_u32_e32 v12, v17, v12
	v_ashrrev_i32_e32 v16, 8, v16
	v_add_u32_e32 v12, 0x3c000000, v12
	v_and_or_b32 v12, v16, s16, v12
	v_cmp_ne_u32_e32 vcc, 0, v10
	v_cndmask_b32_e32 v10, 0, v12, vcc
	s_brev_b32 s16, 1
	v_and_or_b32 v8, v8, s16, v10
	v_cvt_i32_f32_e32 v16, v8
.LBB39_2028:
	s_mov_b64 s[16:17], 0
.LBB39_2029:
	s_andn2_b64 vcc, exec, s[16:17]
	s_cbranch_vccnz .LBB39_2031
; %bb.2030:
	global_load_ubyte v8, v[14:15], off
	s_movk_i32 s16, 0x7f00
	s_brev_b32 s17, 16
	s_waitcnt vmcnt(0)
	v_lshlrev_b16_e32 v10, 8, v8
	v_lshlrev_b32_e32 v8, 25, v8
	v_lshrrev_b32_e32 v12, 4, v8
	v_and_or_b32 v16, v10, s16, 0.5
	v_or_b32_e32 v12, 0x70000000, v12
	v_add_f32_e32 v16, -0.5, v16
	v_mul_f32_e32 v12, 0x7800000, v12
	v_cmp_gt_u32_e32 vcc, s17, v8
	v_bfe_i32 v10, v10, 0, 16
	v_cndmask_b32_e32 v8, v12, v16, vcc
	s_brev_b32 s16, 1
	v_and_or_b32 v8, v10, s16, v8
	v_cvt_i32_f32_e32 v16, v8
.LBB39_2031:
	s_mov_b64 s[16:17], 0
	s_mov_b64 s[18:19], -1
.LBB39_2032:
	s_andn2_b64 vcc, exec, s[16:17]
	s_mov_b64 s[16:17], 0
	s_cbranch_vccnz .LBB39_2043
; %bb.2033:
	s_cmp_gt_i32 s24, 14
	s_cbranch_scc0 .LBB39_2036
; %bb.2034:
	s_cmp_eq_u32 s24, 15
	s_cbranch_scc0 .LBB39_2039
; %bb.2035:
	global_load_ushort v8, v[14:15], off
	s_mov_b64 s[6:7], 0
	s_mov_b64 s[18:19], -1
	s_waitcnt vmcnt(0)
	v_lshlrev_b32_e32 v8, 16, v8
	v_cvt_i32_f32_e32 v16, v8
	s_branch .LBB39_2040
.LBB39_2036:
	s_mov_b64 s[20:21], -1
                                        ; implicit-def: $vgpr16
	s_branch .LBB39_2041
.LBB39_2037:
	s_andn2_saveexec_b64 s[16:17], s[16:17]
	s_cbranch_execz .LBB39_2018
.LBB39_2038:
	v_cmp_ne_u16_e32 vcc, 0, v8
	s_andn2_b64 s[18:19], s[18:19], exec
	s_and_b64 s[20:21], vcc, exec
	s_or_b64 s[18:19], s[18:19], s[20:21]
	s_or_b64 exec, exec, s[16:17]
	v_mov_b32_e32 v16, 0
	s_and_saveexec_b64 s[16:17], s[18:19]
	s_cbranch_execnz .LBB39_2019
	s_branch .LBB39_2020
.LBB39_2039:
	s_mov_b64 s[6:7], -1
                                        ; implicit-def: $vgpr16
.LBB39_2040:
	s_mov_b64 s[20:21], 0
.LBB39_2041:
	s_and_b64 vcc, exec, s[20:21]
	s_cbranch_vccz .LBB39_2043
; %bb.2042:
	s_cmp_lg_u32 s24, 11
	s_mov_b64 s[16:17], -1
	s_cselect_b64 s[6:7], -1, 0
.LBB39_2043:
	s_and_b64 vcc, exec, s[6:7]
	s_cbranch_vccnz .LBB39_2108
; %bb.2044:
	s_andn2_b64 vcc, exec, s[16:17]
	s_cbranch_vccnz .LBB39_2046
.LBB39_2045:
	global_load_ubyte v8, v[14:15], off
	s_mov_b64 s[18:19], -1
	s_waitcnt vmcnt(0)
	v_cmp_ne_u16_e32 vcc, 0, v8
	v_cndmask_b32_e64 v16, 0, 1, vcc
.LBB39_2046:
	s_mov_b64 s[6:7], 0
.LBB39_2047:
	s_and_b64 vcc, exec, s[6:7]
	s_cbranch_vccz .LBB39_2096
; %bb.2048:
	s_and_b32 s16, 0xffff, s23
	s_cmp_lt_i32 s16, 5
	s_cbranch_scc1 .LBB39_2053
; %bb.2049:
	s_cmp_lt_i32 s16, 8
	s_cbranch_scc1 .LBB39_2054
; %bb.2050:
	;; [unrolled: 3-line block ×3, first 2 shown]
	s_cmp_gt_i32 s16, 9
	s_cbranch_scc0 .LBB39_2056
; %bb.2052:
	global_load_dwordx2 v[16:17], v[14:15], off
	s_mov_b64 s[6:7], 0
	s_waitcnt vmcnt(0)
	v_cvt_i32_f64_e32 v16, v[16:17]
	s_branch .LBB39_2057
.LBB39_2053:
	s_mov_b64 s[6:7], -1
                                        ; implicit-def: $vgpr16
	s_branch .LBB39_2075
.LBB39_2054:
	s_mov_b64 s[6:7], -1
                                        ; implicit-def: $vgpr16
	s_branch .LBB39_2063
.LBB39_2055:
	s_mov_b64 s[6:7], -1
                                        ; implicit-def: $vgpr16
	s_branch .LBB39_2060
.LBB39_2056:
	s_mov_b64 s[6:7], -1
                                        ; implicit-def: $vgpr16
.LBB39_2057:
	s_andn2_b64 vcc, exec, s[6:7]
	s_cbranch_vccnz .LBB39_2059
; %bb.2058:
	global_load_dword v8, v[14:15], off
	s_waitcnt vmcnt(0)
	v_cvt_i32_f32_e32 v16, v8
.LBB39_2059:
	s_mov_b64 s[6:7], 0
.LBB39_2060:
	s_andn2_b64 vcc, exec, s[6:7]
	s_cbranch_vccnz .LBB39_2062
; %bb.2061:
	global_load_dword v8, v[14:15], off
	s_waitcnt vmcnt(0)
	v_cvt_f32_f16_e32 v8, v8
	v_cvt_i32_f32_e32 v16, v8
.LBB39_2062:
	s_mov_b64 s[6:7], 0
.LBB39_2063:
	s_andn2_b64 vcc, exec, s[6:7]
	s_cbranch_vccnz .LBB39_2074
; %bb.2064:
	s_cmp_lt_i32 s16, 6
	s_cbranch_scc1 .LBB39_2067
; %bb.2065:
	s_cmp_gt_i32 s16, 6
	s_cbranch_scc0 .LBB39_2068
; %bb.2066:
	global_load_dwordx2 v[16:17], v[14:15], off
	s_mov_b64 s[6:7], 0
	s_waitcnt vmcnt(0)
	v_cvt_i32_f64_e32 v16, v[16:17]
	s_branch .LBB39_2069
.LBB39_2067:
	s_mov_b64 s[6:7], -1
                                        ; implicit-def: $vgpr16
	s_branch .LBB39_2072
.LBB39_2068:
	s_mov_b64 s[6:7], -1
                                        ; implicit-def: $vgpr16
.LBB39_2069:
	s_andn2_b64 vcc, exec, s[6:7]
	s_cbranch_vccnz .LBB39_2071
; %bb.2070:
	global_load_dword v8, v[14:15], off
	s_waitcnt vmcnt(0)
	v_cvt_i32_f32_e32 v16, v8
.LBB39_2071:
	s_mov_b64 s[6:7], 0
.LBB39_2072:
	s_andn2_b64 vcc, exec, s[6:7]
	s_cbranch_vccnz .LBB39_2074
; %bb.2073:
	global_load_ushort v8, v[14:15], off
	s_waitcnt vmcnt(0)
	v_cvt_f32_f16_e32 v8, v8
	v_cvt_i32_f32_e32 v16, v8
.LBB39_2074:
	s_mov_b64 s[6:7], 0
.LBB39_2075:
	s_andn2_b64 vcc, exec, s[6:7]
	s_cbranch_vccnz .LBB39_2095
; %bb.2076:
	s_cmp_lt_i32 s16, 2
	s_cbranch_scc1 .LBB39_2080
; %bb.2077:
	s_cmp_lt_i32 s16, 3
	s_cbranch_scc1 .LBB39_2081
; %bb.2078:
	s_cmp_gt_i32 s16, 3
	s_cbranch_scc0 .LBB39_2082
; %bb.2079:
	global_load_dword v16, v[14:15], off
	s_mov_b64 s[6:7], 0
	s_branch .LBB39_2083
.LBB39_2080:
	s_mov_b64 s[6:7], -1
                                        ; implicit-def: $vgpr16
	s_branch .LBB39_2089
.LBB39_2081:
	s_mov_b64 s[6:7], -1
                                        ; implicit-def: $vgpr16
	s_branch .LBB39_2086
.LBB39_2082:
	s_mov_b64 s[6:7], -1
                                        ; implicit-def: $vgpr16
.LBB39_2083:
	s_andn2_b64 vcc, exec, s[6:7]
	s_cbranch_vccnz .LBB39_2085
; %bb.2084:
	global_load_dword v16, v[14:15], off
.LBB39_2085:
	s_mov_b64 s[6:7], 0
.LBB39_2086:
	s_andn2_b64 vcc, exec, s[6:7]
	s_cbranch_vccnz .LBB39_2088
; %bb.2087:
	global_load_sshort v16, v[14:15], off
.LBB39_2088:
	s_mov_b64 s[6:7], 0
.LBB39_2089:
	s_andn2_b64 vcc, exec, s[6:7]
	s_cbranch_vccnz .LBB39_2095
; %bb.2090:
	s_cmp_gt_i32 s16, 0
	s_cbranch_scc0 .LBB39_2092
; %bb.2091:
	global_load_sbyte v16, v[14:15], off
	s_mov_b64 s[6:7], 0
	s_branch .LBB39_2093
.LBB39_2092:
	s_mov_b64 s[6:7], -1
                                        ; implicit-def: $vgpr16
.LBB39_2093:
	s_andn2_b64 vcc, exec, s[6:7]
	s_cbranch_vccnz .LBB39_2095
; %bb.2094:
	global_load_ubyte v16, v[14:15], off
.LBB39_2095:
	s_mov_b64 s[18:19], -1
.LBB39_2096:
	s_andn2_b64 vcc, exec, s[18:19]
	s_cbranch_vccnz .LBB39_3036
; %bb.2097:
	v_mov_b32_e32 v8, s11
	v_add_co_u32_e32 v12, vcc, s10, v13
	s_cmp_lt_i32 s22, 11
	v_addc_co_u32_e32 v13, vcc, 0, v8, vcc
	s_cbranch_scc1 .LBB39_2104
; %bb.2098:
	s_and_b32 s24, 0xffff, s22
	s_cmp_gt_i32 s24, 25
	s_mov_b64 s[16:17], 0
	s_cbranch_scc0 .LBB39_2105
; %bb.2099:
	s_cmp_gt_i32 s24, 28
	s_cbranch_scc0 .LBB39_2106
; %bb.2100:
	s_cmp_gt_i32 s24, 43
	;; [unrolled: 3-line block ×3, first 2 shown]
	s_cbranch_scc0 .LBB39_2109
; %bb.2102:
	s_cmp_eq_u32 s24, 46
	s_mov_b64 s[20:21], 0
	s_cbranch_scc0 .LBB39_2110
; %bb.2103:
	global_load_dword v8, v[12:13], off
	s_mov_b64 s[6:7], 0
	s_mov_b64 s[18:19], -1
	s_waitcnt vmcnt(0)
	v_lshlrev_b32_e32 v8, 16, v8
	v_cvt_i32_f32_e32 v14, v8
	s_branch .LBB39_2111
.LBB39_2104:
	s_mov_b64 s[6:7], -1
	s_mov_b64 s[18:19], 0
                                        ; implicit-def: $vgpr14
	s_branch .LBB39_2173
.LBB39_2105:
	s_mov_b64 s[20:21], -1
	s_mov_b64 s[18:19], 0
	s_mov_b64 s[6:7], 0
                                        ; implicit-def: $vgpr14
	s_branch .LBB39_2138
.LBB39_2106:
	s_mov_b64 s[20:21], -1
	s_mov_b64 s[18:19], 0
	s_mov_b64 s[6:7], 0
                                        ; implicit-def: $vgpr14
	s_branch .LBB39_2121
.LBB39_2107:
	s_mov_b64 s[20:21], -1
	s_mov_b64 s[18:19], 0
	s_mov_b64 s[6:7], 0
                                        ; implicit-def: $vgpr14
	s_branch .LBB39_2116
.LBB39_2108:
	s_trap 2
	s_or_b64 s[4:5], s[4:5], exec
	s_cbranch_execz .LBB39_2045
	s_branch .LBB39_2046
.LBB39_2109:
	s_mov_b64 s[20:21], -1
	s_mov_b64 s[18:19], 0
	s_mov_b64 s[6:7], 0
                                        ; implicit-def: $vgpr14
	s_branch .LBB39_2111
.LBB39_2110:
	s_mov_b64 s[6:7], -1
                                        ; implicit-def: $vgpr14
	s_mov_b64 s[18:19], 0
.LBB39_2111:
	s_and_b64 vcc, exec, s[20:21]
	s_cbranch_vccz .LBB39_2115
; %bb.2112:
	s_cmp_eq_u32 s24, 44
	s_cbranch_scc0 .LBB39_2114
; %bb.2113:
	global_load_ubyte v8, v[12:13], off
	s_mov_b64 s[6:7], 0
	s_mov_b64 s[18:19], -1
	s_waitcnt vmcnt(0)
	v_lshlrev_b32_e32 v10, 23, v8
	v_cvt_i32_f32_e32 v10, v10
	v_cmp_ne_u32_e32 vcc, 0, v8
	v_cndmask_b32_e32 v14, 0, v10, vcc
	s_branch .LBB39_2115
.LBB39_2114:
	s_mov_b64 s[6:7], -1
                                        ; implicit-def: $vgpr14
.LBB39_2115:
	s_mov_b64 s[20:21], 0
.LBB39_2116:
	s_and_b64 vcc, exec, s[20:21]
	s_cbranch_vccz .LBB39_2120
; %bb.2117:
	s_cmp_eq_u32 s24, 29
	s_cbranch_scc0 .LBB39_2119
; %bb.2118:
	global_load_dword v14, v[12:13], off
	s_mov_b64 s[6:7], 0
	s_mov_b64 s[18:19], -1
	s_branch .LBB39_2120
.LBB39_2119:
	s_mov_b64 s[6:7], -1
                                        ; implicit-def: $vgpr14
.LBB39_2120:
	s_mov_b64 s[20:21], 0
.LBB39_2121:
	s_and_b64 vcc, exec, s[20:21]
	s_cbranch_vccz .LBB39_2137
; %bb.2122:
	s_cmp_lt_i32 s24, 27
	s_cbranch_scc1 .LBB39_2125
; %bb.2123:
	s_cmp_gt_i32 s24, 27
	s_cbranch_scc0 .LBB39_2126
; %bb.2124:
	global_load_dword v14, v[12:13], off
	s_mov_b64 s[18:19], 0
	s_branch .LBB39_2127
.LBB39_2125:
	s_mov_b64 s[18:19], -1
                                        ; implicit-def: $vgpr14
	s_branch .LBB39_2130
.LBB39_2126:
	s_mov_b64 s[18:19], -1
                                        ; implicit-def: $vgpr14
.LBB39_2127:
	s_andn2_b64 vcc, exec, s[18:19]
	s_cbranch_vccnz .LBB39_2129
; %bb.2128:
	global_load_ushort v14, v[12:13], off
.LBB39_2129:
	s_mov_b64 s[18:19], 0
.LBB39_2130:
	s_andn2_b64 vcc, exec, s[18:19]
	s_cbranch_vccnz .LBB39_2136
; %bb.2131:
	global_load_ubyte v8, v[12:13], off
	s_movk_i32 s18, 0x7f
	s_mov_b64 s[20:21], 0
	s_waitcnt vmcnt(0)
	v_cmp_lt_i16_e32 vcc, s18, v8
	s_and_saveexec_b64 s[18:19], vcc
	s_xor_b64 s[18:19], exec, s[18:19]
	s_cbranch_execz .LBB39_2148
; %bb.2132:
	s_movk_i32 s20, 0x80
	v_cmp_ne_u16_e32 vcc, s20, v8
	s_and_b64 s[20:21], vcc, exec
	s_andn2_saveexec_b64 s[18:19], s[18:19]
	s_cbranch_execnz .LBB39_2149
.LBB39_2133:
	s_or_b64 exec, exec, s[18:19]
	v_mov_b32_e32 v14, 0
	s_and_saveexec_b64 s[18:19], s[20:21]
	s_cbranch_execz .LBB39_2135
.LBB39_2134:
	v_lshlrev_b32_e32 v10, 24, v8
	v_and_b32_e32 v8, 0xffff, v8
	v_and_b32_e32 v14, 7, v8
	v_ffbh_u32_e32 v17, v14
	v_min_u32_e32 v17, 32, v17
	v_subrev_u32_e32 v18, 28, v17
	v_bfe_u32 v15, v8, 3, 4
	v_lshlrev_b32_e32 v8, v18, v8
	v_sub_u32_e32 v17, 29, v17
	v_and_b32_e32 v8, 7, v8
	v_cmp_eq_u32_e32 vcc, 0, v15
	v_cndmask_b32_e32 v15, v15, v17, vcc
	v_cndmask_b32_e32 v8, v14, v8, vcc
	v_mov_b32_e32 v14, 0x3b800000
	v_lshlrev_b32_e32 v8, 20, v8
	v_and_b32_e32 v10, 0x80000000, v10
	v_lshl_add_u32 v14, v15, 23, v14
	v_or3_b32 v8, v10, v14, v8
	v_cvt_i32_f32_e32 v14, v8
.LBB39_2135:
	s_or_b64 exec, exec, s[18:19]
.LBB39_2136:
	s_mov_b64 s[18:19], -1
.LBB39_2137:
	s_mov_b64 s[20:21], 0
.LBB39_2138:
	s_and_b64 vcc, exec, s[20:21]
	s_cbranch_vccz .LBB39_2169
; %bb.2139:
	s_cmp_gt_i32 s24, 22
	s_cbranch_scc0 .LBB39_2147
; %bb.2140:
	s_cmp_lt_i32 s24, 24
	s_cbranch_scc1 .LBB39_2150
; %bb.2141:
	s_cmp_gt_i32 s24, 24
	s_cbranch_scc0 .LBB39_2151
; %bb.2142:
	global_load_ubyte v8, v[12:13], off
	s_movk_i32 s16, 0x7f
	s_mov_b64 s[18:19], 0
	s_waitcnt vmcnt(0)
	v_cmp_lt_i16_e32 vcc, s16, v8
	s_and_saveexec_b64 s[16:17], vcc
	s_xor_b64 s[16:17], exec, s[16:17]
	s_cbranch_execz .LBB39_2163
; %bb.2143:
	s_movk_i32 s18, 0x80
	v_cmp_ne_u16_e32 vcc, s18, v8
	s_and_b64 s[18:19], vcc, exec
	s_andn2_saveexec_b64 s[16:17], s[16:17]
	s_cbranch_execnz .LBB39_2164
.LBB39_2144:
	s_or_b64 exec, exec, s[16:17]
	v_mov_b32_e32 v14, 0
	s_and_saveexec_b64 s[16:17], s[18:19]
	s_cbranch_execz .LBB39_2146
.LBB39_2145:
	v_lshlrev_b32_e32 v10, 24, v8
	v_and_b32_e32 v8, 0xffff, v8
	v_and_b32_e32 v14, 3, v8
	v_ffbh_u32_e32 v17, v14
	v_min_u32_e32 v17, 32, v17
	v_subrev_u32_e32 v18, 29, v17
	v_bfe_u32 v15, v8, 2, 5
	v_lshlrev_b32_e32 v8, v18, v8
	v_sub_u32_e32 v17, 30, v17
	v_and_b32_e32 v8, 3, v8
	v_cmp_eq_u32_e32 vcc, 0, v15
	v_cndmask_b32_e32 v15, v15, v17, vcc
	v_cndmask_b32_e32 v8, v14, v8, vcc
	v_mov_b32_e32 v14, 0x37800000
	v_lshlrev_b32_e32 v8, 21, v8
	v_and_b32_e32 v10, 0x80000000, v10
	v_lshl_add_u32 v14, v15, 23, v14
	v_or3_b32 v8, v10, v14, v8
	v_cvt_i32_f32_e32 v14, v8
.LBB39_2146:
	s_or_b64 exec, exec, s[16:17]
	s_mov_b64 s[16:17], 0
	s_branch .LBB39_2152
.LBB39_2147:
	s_mov_b64 s[16:17], -1
                                        ; implicit-def: $vgpr14
	s_branch .LBB39_2158
.LBB39_2148:
	s_andn2_saveexec_b64 s[18:19], s[18:19]
	s_cbranch_execz .LBB39_2133
.LBB39_2149:
	v_cmp_ne_u16_e32 vcc, 0, v8
	s_andn2_b64 s[20:21], s[20:21], exec
	s_and_b64 s[26:27], vcc, exec
	s_or_b64 s[20:21], s[20:21], s[26:27]
	s_or_b64 exec, exec, s[18:19]
	v_mov_b32_e32 v14, 0
	s_and_saveexec_b64 s[18:19], s[20:21]
	s_cbranch_execnz .LBB39_2134
	s_branch .LBB39_2135
.LBB39_2150:
	s_mov_b64 s[16:17], -1
                                        ; implicit-def: $vgpr14
	s_branch .LBB39_2155
.LBB39_2151:
	s_mov_b64 s[16:17], -1
                                        ; implicit-def: $vgpr14
.LBB39_2152:
	s_and_b64 vcc, exec, s[16:17]
	s_cbranch_vccz .LBB39_2154
; %bb.2153:
	global_load_ubyte v8, v[12:13], off
	s_mov_b32 s16, 0x7f800000
	s_waitcnt vmcnt(0)
	v_lshlrev_b32_e32 v8, 24, v8
	v_and_b32_e32 v10, 0x7f000000, v8
	v_ffbh_u32_e32 v14, v10
	v_min_u32_e32 v14, 32, v14
	v_sub_u32_e64 v14, v14, 4 clamp
	v_lshlrev_b32_e32 v17, v14, v10
	v_lshlrev_b32_e32 v14, 23, v14
	v_lshrrev_b32_e32 v17, 4, v17
	v_add_u32_e32 v15, 0x1000000, v10
	v_sub_u32_e32 v14, v17, v14
	v_ashrrev_i32_e32 v15, 8, v15
	v_add_u32_e32 v14, 0x3c000000, v14
	v_and_or_b32 v14, v15, s16, v14
	v_cmp_ne_u32_e32 vcc, 0, v10
	v_cndmask_b32_e32 v10, 0, v14, vcc
	s_brev_b32 s16, 1
	v_and_or_b32 v8, v8, s16, v10
	v_cvt_i32_f32_e32 v14, v8
.LBB39_2154:
	s_mov_b64 s[16:17], 0
.LBB39_2155:
	s_andn2_b64 vcc, exec, s[16:17]
	s_cbranch_vccnz .LBB39_2157
; %bb.2156:
	global_load_ubyte v8, v[12:13], off
	s_movk_i32 s16, 0x7f00
	s_brev_b32 s17, 16
	s_waitcnt vmcnt(0)
	v_lshlrev_b16_e32 v10, 8, v8
	v_lshlrev_b32_e32 v8, 25, v8
	v_lshrrev_b32_e32 v14, 4, v8
	v_and_or_b32 v15, v10, s16, 0.5
	v_or_b32_e32 v14, 0x70000000, v14
	v_add_f32_e32 v15, -0.5, v15
	v_mul_f32_e32 v14, 0x7800000, v14
	v_cmp_gt_u32_e32 vcc, s17, v8
	v_bfe_i32 v10, v10, 0, 16
	v_cndmask_b32_e32 v8, v14, v15, vcc
	s_brev_b32 s16, 1
	v_and_or_b32 v8, v10, s16, v8
	v_cvt_i32_f32_e32 v14, v8
.LBB39_2157:
	s_mov_b64 s[16:17], 0
	s_mov_b64 s[18:19], -1
.LBB39_2158:
	s_andn2_b64 vcc, exec, s[16:17]
	s_mov_b64 s[16:17], 0
	s_cbranch_vccnz .LBB39_2169
; %bb.2159:
	s_cmp_gt_i32 s24, 14
	s_cbranch_scc0 .LBB39_2162
; %bb.2160:
	s_cmp_eq_u32 s24, 15
	s_cbranch_scc0 .LBB39_2165
; %bb.2161:
	global_load_ushort v8, v[12:13], off
	s_mov_b64 s[6:7], 0
	s_mov_b64 s[18:19], -1
	s_waitcnt vmcnt(0)
	v_lshlrev_b32_e32 v8, 16, v8
	v_cvt_i32_f32_e32 v14, v8
	s_branch .LBB39_2166
.LBB39_2162:
	s_mov_b64 s[20:21], -1
                                        ; implicit-def: $vgpr14
	s_branch .LBB39_2167
.LBB39_2163:
	s_andn2_saveexec_b64 s[16:17], s[16:17]
	s_cbranch_execz .LBB39_2144
.LBB39_2164:
	v_cmp_ne_u16_e32 vcc, 0, v8
	s_andn2_b64 s[18:19], s[18:19], exec
	s_and_b64 s[20:21], vcc, exec
	s_or_b64 s[18:19], s[18:19], s[20:21]
	s_or_b64 exec, exec, s[16:17]
	v_mov_b32_e32 v14, 0
	s_and_saveexec_b64 s[16:17], s[18:19]
	s_cbranch_execnz .LBB39_2145
	s_branch .LBB39_2146
.LBB39_2165:
	s_mov_b64 s[6:7], -1
                                        ; implicit-def: $vgpr14
.LBB39_2166:
	s_mov_b64 s[20:21], 0
.LBB39_2167:
	s_and_b64 vcc, exec, s[20:21]
	s_cbranch_vccz .LBB39_2169
; %bb.2168:
	s_cmp_lg_u32 s24, 11
	s_mov_b64 s[16:17], -1
	s_cselect_b64 s[6:7], -1, 0
.LBB39_2169:
	s_and_b64 vcc, exec, s[6:7]
	s_cbranch_vccnz .LBB39_2234
; %bb.2170:
	s_andn2_b64 vcc, exec, s[16:17]
	s_cbranch_vccnz .LBB39_2172
.LBB39_2171:
	global_load_ubyte v8, v[12:13], off
	s_mov_b64 s[18:19], -1
	s_waitcnt vmcnt(0)
	v_cmp_ne_u16_e32 vcc, 0, v8
	v_cndmask_b32_e64 v14, 0, 1, vcc
.LBB39_2172:
	s_mov_b64 s[6:7], 0
.LBB39_2173:
	s_and_b64 vcc, exec, s[6:7]
	s_cbranch_vccz .LBB39_2222
; %bb.2174:
	s_and_b32 s16, 0xffff, s22
	s_cmp_lt_i32 s16, 5
	s_cbranch_scc1 .LBB39_2179
; %bb.2175:
	s_cmp_lt_i32 s16, 8
	s_cbranch_scc1 .LBB39_2180
; %bb.2176:
	;; [unrolled: 3-line block ×3, first 2 shown]
	s_cmp_gt_i32 s16, 9
	s_cbranch_scc0 .LBB39_2182
; %bb.2178:
	global_load_dwordx2 v[14:15], v[12:13], off
	s_mov_b64 s[6:7], 0
	s_waitcnt vmcnt(0)
	v_cvt_i32_f64_e32 v14, v[14:15]
	s_branch .LBB39_2183
.LBB39_2179:
	s_mov_b64 s[6:7], -1
                                        ; implicit-def: $vgpr14
	s_branch .LBB39_2201
.LBB39_2180:
	s_mov_b64 s[6:7], -1
                                        ; implicit-def: $vgpr14
	s_branch .LBB39_2189
.LBB39_2181:
	s_mov_b64 s[6:7], -1
                                        ; implicit-def: $vgpr14
	s_branch .LBB39_2186
.LBB39_2182:
	s_mov_b64 s[6:7], -1
                                        ; implicit-def: $vgpr14
.LBB39_2183:
	s_andn2_b64 vcc, exec, s[6:7]
	s_cbranch_vccnz .LBB39_2185
; %bb.2184:
	global_load_dword v8, v[12:13], off
	s_waitcnt vmcnt(0)
	v_cvt_i32_f32_e32 v14, v8
.LBB39_2185:
	s_mov_b64 s[6:7], 0
.LBB39_2186:
	s_andn2_b64 vcc, exec, s[6:7]
	s_cbranch_vccnz .LBB39_2188
; %bb.2187:
	global_load_dword v8, v[12:13], off
	s_waitcnt vmcnt(0)
	v_cvt_f32_f16_e32 v8, v8
	v_cvt_i32_f32_e32 v14, v8
.LBB39_2188:
	s_mov_b64 s[6:7], 0
.LBB39_2189:
	s_andn2_b64 vcc, exec, s[6:7]
	s_cbranch_vccnz .LBB39_2200
; %bb.2190:
	s_cmp_lt_i32 s16, 6
	s_cbranch_scc1 .LBB39_2193
; %bb.2191:
	s_cmp_gt_i32 s16, 6
	s_cbranch_scc0 .LBB39_2194
; %bb.2192:
	global_load_dwordx2 v[14:15], v[12:13], off
	s_mov_b64 s[6:7], 0
	s_waitcnt vmcnt(0)
	v_cvt_i32_f64_e32 v14, v[14:15]
	s_branch .LBB39_2195
.LBB39_2193:
	s_mov_b64 s[6:7], -1
                                        ; implicit-def: $vgpr14
	s_branch .LBB39_2198
.LBB39_2194:
	s_mov_b64 s[6:7], -1
                                        ; implicit-def: $vgpr14
.LBB39_2195:
	s_andn2_b64 vcc, exec, s[6:7]
	s_cbranch_vccnz .LBB39_2197
; %bb.2196:
	global_load_dword v8, v[12:13], off
	s_waitcnt vmcnt(0)
	v_cvt_i32_f32_e32 v14, v8
.LBB39_2197:
	s_mov_b64 s[6:7], 0
.LBB39_2198:
	s_andn2_b64 vcc, exec, s[6:7]
	s_cbranch_vccnz .LBB39_2200
; %bb.2199:
	global_load_ushort v8, v[12:13], off
	s_waitcnt vmcnt(0)
	v_cvt_f32_f16_e32 v8, v8
	v_cvt_i32_f32_e32 v14, v8
.LBB39_2200:
	s_mov_b64 s[6:7], 0
.LBB39_2201:
	s_andn2_b64 vcc, exec, s[6:7]
	s_cbranch_vccnz .LBB39_2221
; %bb.2202:
	s_cmp_lt_i32 s16, 2
	s_cbranch_scc1 .LBB39_2206
; %bb.2203:
	s_cmp_lt_i32 s16, 3
	s_cbranch_scc1 .LBB39_2207
; %bb.2204:
	s_cmp_gt_i32 s16, 3
	s_cbranch_scc0 .LBB39_2208
; %bb.2205:
	global_load_dword v14, v[12:13], off
	s_mov_b64 s[6:7], 0
	s_branch .LBB39_2209
.LBB39_2206:
	s_mov_b64 s[6:7], -1
                                        ; implicit-def: $vgpr14
	s_branch .LBB39_2215
.LBB39_2207:
	s_mov_b64 s[6:7], -1
                                        ; implicit-def: $vgpr14
	s_branch .LBB39_2212
.LBB39_2208:
	s_mov_b64 s[6:7], -1
                                        ; implicit-def: $vgpr14
.LBB39_2209:
	s_andn2_b64 vcc, exec, s[6:7]
	s_cbranch_vccnz .LBB39_2211
; %bb.2210:
	global_load_dword v14, v[12:13], off
.LBB39_2211:
	s_mov_b64 s[6:7], 0
.LBB39_2212:
	s_andn2_b64 vcc, exec, s[6:7]
	s_cbranch_vccnz .LBB39_2214
; %bb.2213:
	global_load_sshort v14, v[12:13], off
.LBB39_2214:
	s_mov_b64 s[6:7], 0
.LBB39_2215:
	s_andn2_b64 vcc, exec, s[6:7]
	s_cbranch_vccnz .LBB39_2221
; %bb.2216:
	s_cmp_gt_i32 s16, 0
	s_cbranch_scc0 .LBB39_2218
; %bb.2217:
	global_load_sbyte v14, v[12:13], off
	s_mov_b64 s[6:7], 0
	s_branch .LBB39_2219
.LBB39_2218:
	s_mov_b64 s[6:7], -1
                                        ; implicit-def: $vgpr14
.LBB39_2219:
	s_andn2_b64 vcc, exec, s[6:7]
	s_cbranch_vccnz .LBB39_2221
; %bb.2220:
	global_load_ubyte v14, v[12:13], off
.LBB39_2221:
	s_mov_b64 s[18:19], -1
.LBB39_2222:
	s_andn2_b64 vcc, exec, s[18:19]
	s_cbranch_vccnz .LBB39_3036
; %bb.2223:
	v_mov_b32_e32 v8, s1
	v_add_co_u32_e32 v10, vcc, s0, v11
	s_cmp_lt_i32 s23, 11
	v_addc_co_u32_e32 v11, vcc, 0, v8, vcc
	s_cbranch_scc1 .LBB39_2230
; %bb.2224:
	s_and_b32 s24, 0xffff, s23
	s_cmp_gt_i32 s24, 25
	s_mov_b64 s[16:17], 0
	s_cbranch_scc0 .LBB39_2231
; %bb.2225:
	s_cmp_gt_i32 s24, 28
	s_cbranch_scc0 .LBB39_2232
; %bb.2226:
	s_cmp_gt_i32 s24, 43
	;; [unrolled: 3-line block ×3, first 2 shown]
	s_cbranch_scc0 .LBB39_2235
; %bb.2228:
	s_cmp_eq_u32 s24, 46
	s_mov_b64 s[20:21], 0
	s_cbranch_scc0 .LBB39_2238
; %bb.2229:
	global_load_dword v8, v[10:11], off
	s_mov_b64 s[6:7], 0
	s_mov_b64 s[18:19], -1
	s_waitcnt vmcnt(0)
	v_lshlrev_b32_e32 v8, 16, v8
	v_cvt_i32_f32_e32 v12, v8
	s_branch .LBB39_2239
.LBB39_2230:
	s_mov_b64 s[6:7], -1
	s_mov_b64 s[18:19], 0
                                        ; implicit-def: $vgpr12
	s_branch .LBB39_2301
.LBB39_2231:
	s_mov_b64 s[20:21], -1
	s_mov_b64 s[18:19], 0
	s_mov_b64 s[6:7], 0
                                        ; implicit-def: $vgpr12
	s_branch .LBB39_2266
.LBB39_2232:
	s_mov_b64 s[20:21], -1
	s_mov_b64 s[18:19], 0
	s_mov_b64 s[6:7], 0
                                        ; implicit-def: $vgpr12
	s_branch .LBB39_2249
.LBB39_2233:
	s_mov_b64 s[20:21], -1
	s_mov_b64 s[18:19], 0
	s_mov_b64 s[6:7], 0
                                        ; implicit-def: $vgpr12
	s_branch .LBB39_2244
.LBB39_2234:
	s_trap 2
	s_or_b64 s[4:5], s[4:5], exec
	s_cbranch_execz .LBB39_2171
	s_branch .LBB39_2172
.LBB39_2235:
	s_mov_b64 s[20:21], -1
	s_mov_b64 s[18:19], 0
	s_mov_b64 s[6:7], 0
                                        ; implicit-def: $vgpr12
	s_branch .LBB39_2239
.LBB39_2236:
	s_andn2_saveexec_b64 s[68:69], s[68:69]
	s_cbranch_execz .LBB39_1095
.LBB39_2237:
	v_add_f32_e32 v2, 0x42800000, v3
	v_and_b32_e32 v2, 0xff, v2
	v_cmp_ne_u32_e32 vcc, 0, v2
	s_andn2_b64 s[66:67], s[66:67], exec
	s_and_b64 s[76:77], vcc, exec
	s_or_b64 s[66:67], s[66:67], s[76:77]
	s_or_b64 exec, exec, s[68:69]
	v_mov_b32_e32 v4, 0
	s_and_saveexec_b64 s[68:69], s[66:67]
	s_cbranch_execnz .LBB39_1096
	s_branch .LBB39_1097
.LBB39_2238:
	s_mov_b64 s[6:7], -1
                                        ; implicit-def: $vgpr12
	s_mov_b64 s[18:19], 0
.LBB39_2239:
	s_and_b64 vcc, exec, s[20:21]
	s_cbranch_vccz .LBB39_2243
; %bb.2240:
	s_cmp_eq_u32 s24, 44
	s_cbranch_scc0 .LBB39_2242
; %bb.2241:
	global_load_ubyte v8, v[10:11], off
	s_mov_b64 s[6:7], 0
	s_mov_b64 s[18:19], -1
	s_waitcnt vmcnt(0)
	v_lshlrev_b32_e32 v12, 23, v8
	v_cvt_i32_f32_e32 v12, v12
	v_cmp_ne_u32_e32 vcc, 0, v8
	v_cndmask_b32_e32 v12, 0, v12, vcc
	s_branch .LBB39_2243
.LBB39_2242:
	s_mov_b64 s[6:7], -1
                                        ; implicit-def: $vgpr12
.LBB39_2243:
	s_mov_b64 s[20:21], 0
.LBB39_2244:
	s_and_b64 vcc, exec, s[20:21]
	s_cbranch_vccz .LBB39_2248
; %bb.2245:
	s_cmp_eq_u32 s24, 29
	s_cbranch_scc0 .LBB39_2247
; %bb.2246:
	global_load_dword v12, v[10:11], off
	s_mov_b64 s[6:7], 0
	s_mov_b64 s[18:19], -1
	s_branch .LBB39_2248
.LBB39_2247:
	s_mov_b64 s[6:7], -1
                                        ; implicit-def: $vgpr12
.LBB39_2248:
	s_mov_b64 s[20:21], 0
.LBB39_2249:
	s_and_b64 vcc, exec, s[20:21]
	s_cbranch_vccz .LBB39_2265
; %bb.2250:
	s_cmp_lt_i32 s24, 27
	s_cbranch_scc1 .LBB39_2253
; %bb.2251:
	s_cmp_gt_i32 s24, 27
	s_cbranch_scc0 .LBB39_2254
; %bb.2252:
	global_load_dword v12, v[10:11], off
	s_mov_b64 s[18:19], 0
	s_branch .LBB39_2255
.LBB39_2253:
	s_mov_b64 s[18:19], -1
                                        ; implicit-def: $vgpr12
	s_branch .LBB39_2258
.LBB39_2254:
	s_mov_b64 s[18:19], -1
                                        ; implicit-def: $vgpr12
.LBB39_2255:
	s_andn2_b64 vcc, exec, s[18:19]
	s_cbranch_vccnz .LBB39_2257
; %bb.2256:
	global_load_ushort v12, v[10:11], off
.LBB39_2257:
	s_mov_b64 s[18:19], 0
.LBB39_2258:
	s_andn2_b64 vcc, exec, s[18:19]
	s_cbranch_vccnz .LBB39_2264
; %bb.2259:
	global_load_ubyte v8, v[10:11], off
	s_movk_i32 s18, 0x7f
	s_mov_b64 s[20:21], 0
	s_waitcnt vmcnt(0)
	v_cmp_lt_i16_e32 vcc, s18, v8
	s_and_saveexec_b64 s[18:19], vcc
	s_xor_b64 s[18:19], exec, s[18:19]
	s_cbranch_execz .LBB39_2276
; %bb.2260:
	s_movk_i32 s20, 0x80
	v_cmp_ne_u16_e32 vcc, s20, v8
	s_and_b64 s[20:21], vcc, exec
	s_andn2_saveexec_b64 s[18:19], s[18:19]
	s_cbranch_execnz .LBB39_2277
.LBB39_2261:
	s_or_b64 exec, exec, s[18:19]
	v_mov_b32_e32 v12, 0
	s_and_saveexec_b64 s[18:19], s[20:21]
	s_cbranch_execz .LBB39_2263
.LBB39_2262:
	v_lshlrev_b32_e32 v12, 24, v8
	v_and_b32_e32 v8, 0xffff, v8
	v_and_b32_e32 v13, 7, v8
	v_ffbh_u32_e32 v17, v13
	v_min_u32_e32 v17, 32, v17
	v_subrev_u32_e32 v18, 28, v17
	v_bfe_u32 v15, v8, 3, 4
	v_lshlrev_b32_e32 v8, v18, v8
	v_sub_u32_e32 v17, 29, v17
	v_and_b32_e32 v8, 7, v8
	v_cmp_eq_u32_e32 vcc, 0, v15
	v_cndmask_b32_e32 v15, v15, v17, vcc
	v_cndmask_b32_e32 v8, v13, v8, vcc
	v_mov_b32_e32 v13, 0x3b800000
	v_lshlrev_b32_e32 v8, 20, v8
	v_and_b32_e32 v12, 0x80000000, v12
	v_lshl_add_u32 v13, v15, 23, v13
	v_or3_b32 v8, v12, v13, v8
	v_cvt_i32_f32_e32 v12, v8
.LBB39_2263:
	s_or_b64 exec, exec, s[18:19]
.LBB39_2264:
	s_mov_b64 s[18:19], -1
.LBB39_2265:
	s_mov_b64 s[20:21], 0
.LBB39_2266:
	s_and_b64 vcc, exec, s[20:21]
	s_cbranch_vccz .LBB39_2297
; %bb.2267:
	s_cmp_gt_i32 s24, 22
	s_cbranch_scc0 .LBB39_2275
; %bb.2268:
	s_cmp_lt_i32 s24, 24
	s_cbranch_scc1 .LBB39_2278
; %bb.2269:
	s_cmp_gt_i32 s24, 24
	s_cbranch_scc0 .LBB39_2279
; %bb.2270:
	global_load_ubyte v8, v[10:11], off
	s_movk_i32 s16, 0x7f
	s_mov_b64 s[18:19], 0
	s_waitcnt vmcnt(0)
	v_cmp_lt_i16_e32 vcc, s16, v8
	s_and_saveexec_b64 s[16:17], vcc
	s_xor_b64 s[16:17], exec, s[16:17]
	s_cbranch_execz .LBB39_2291
; %bb.2271:
	s_movk_i32 s18, 0x80
	v_cmp_ne_u16_e32 vcc, s18, v8
	s_and_b64 s[18:19], vcc, exec
	s_andn2_saveexec_b64 s[16:17], s[16:17]
	s_cbranch_execnz .LBB39_2292
.LBB39_2272:
	s_or_b64 exec, exec, s[16:17]
	v_mov_b32_e32 v12, 0
	s_and_saveexec_b64 s[16:17], s[18:19]
	s_cbranch_execz .LBB39_2274
.LBB39_2273:
	v_lshlrev_b32_e32 v12, 24, v8
	v_and_b32_e32 v8, 0xffff, v8
	v_and_b32_e32 v13, 3, v8
	v_ffbh_u32_e32 v17, v13
	v_min_u32_e32 v17, 32, v17
	v_subrev_u32_e32 v18, 29, v17
	v_bfe_u32 v15, v8, 2, 5
	v_lshlrev_b32_e32 v8, v18, v8
	v_sub_u32_e32 v17, 30, v17
	v_and_b32_e32 v8, 3, v8
	v_cmp_eq_u32_e32 vcc, 0, v15
	v_cndmask_b32_e32 v15, v15, v17, vcc
	v_cndmask_b32_e32 v8, v13, v8, vcc
	v_mov_b32_e32 v13, 0x37800000
	v_lshlrev_b32_e32 v8, 21, v8
	v_and_b32_e32 v12, 0x80000000, v12
	v_lshl_add_u32 v13, v15, 23, v13
	v_or3_b32 v8, v12, v13, v8
	v_cvt_i32_f32_e32 v12, v8
.LBB39_2274:
	s_or_b64 exec, exec, s[16:17]
	s_mov_b64 s[16:17], 0
	s_branch .LBB39_2280
.LBB39_2275:
	s_mov_b64 s[16:17], -1
                                        ; implicit-def: $vgpr12
	s_branch .LBB39_2286
.LBB39_2276:
	s_andn2_saveexec_b64 s[18:19], s[18:19]
	s_cbranch_execz .LBB39_2261
.LBB39_2277:
	v_cmp_ne_u16_e32 vcc, 0, v8
	s_andn2_b64 s[20:21], s[20:21], exec
	s_and_b64 s[26:27], vcc, exec
	s_or_b64 s[20:21], s[20:21], s[26:27]
	s_or_b64 exec, exec, s[18:19]
	v_mov_b32_e32 v12, 0
	s_and_saveexec_b64 s[18:19], s[20:21]
	s_cbranch_execnz .LBB39_2262
	s_branch .LBB39_2263
.LBB39_2278:
	s_mov_b64 s[16:17], -1
                                        ; implicit-def: $vgpr12
	s_branch .LBB39_2283
.LBB39_2279:
	s_mov_b64 s[16:17], -1
                                        ; implicit-def: $vgpr12
.LBB39_2280:
	s_and_b64 vcc, exec, s[16:17]
	s_cbranch_vccz .LBB39_2282
; %bb.2281:
	global_load_ubyte v8, v[10:11], off
	s_mov_b32 s16, 0x7f800000
	s_waitcnt vmcnt(0)
	v_lshlrev_b32_e32 v8, 24, v8
	v_and_b32_e32 v12, 0x7f000000, v8
	v_ffbh_u32_e32 v13, v12
	v_min_u32_e32 v13, 32, v13
	v_sub_u32_e64 v13, v13, 4 clamp
	v_lshlrev_b32_e32 v17, v13, v12
	v_lshlrev_b32_e32 v13, 23, v13
	v_lshrrev_b32_e32 v17, 4, v17
	v_add_u32_e32 v15, 0x1000000, v12
	v_sub_u32_e32 v13, v17, v13
	v_ashrrev_i32_e32 v15, 8, v15
	v_add_u32_e32 v13, 0x3c000000, v13
	v_and_or_b32 v13, v15, s16, v13
	v_cmp_ne_u32_e32 vcc, 0, v12
	v_cndmask_b32_e32 v12, 0, v13, vcc
	s_brev_b32 s16, 1
	v_and_or_b32 v8, v8, s16, v12
	v_cvt_i32_f32_e32 v12, v8
.LBB39_2282:
	s_mov_b64 s[16:17], 0
.LBB39_2283:
	s_andn2_b64 vcc, exec, s[16:17]
	s_cbranch_vccnz .LBB39_2285
; %bb.2284:
	global_load_ubyte v8, v[10:11], off
	s_movk_i32 s16, 0x7f00
	s_brev_b32 s17, 16
	s_waitcnt vmcnt(0)
	v_lshlrev_b16_e32 v12, 8, v8
	v_lshlrev_b32_e32 v8, 25, v8
	v_lshrrev_b32_e32 v13, 4, v8
	v_and_or_b32 v15, v12, s16, 0.5
	v_or_b32_e32 v13, 0x70000000, v13
	v_add_f32_e32 v15, -0.5, v15
	v_mul_f32_e32 v13, 0x7800000, v13
	v_cmp_gt_u32_e32 vcc, s17, v8
	v_bfe_i32 v12, v12, 0, 16
	v_cndmask_b32_e32 v8, v13, v15, vcc
	s_brev_b32 s16, 1
	v_and_or_b32 v8, v12, s16, v8
	v_cvt_i32_f32_e32 v12, v8
.LBB39_2285:
	s_mov_b64 s[16:17], 0
	s_mov_b64 s[18:19], -1
.LBB39_2286:
	s_andn2_b64 vcc, exec, s[16:17]
	s_mov_b64 s[16:17], 0
	s_cbranch_vccnz .LBB39_2297
; %bb.2287:
	s_cmp_gt_i32 s24, 14
	s_cbranch_scc0 .LBB39_2290
; %bb.2288:
	s_cmp_eq_u32 s24, 15
	s_cbranch_scc0 .LBB39_2293
; %bb.2289:
	global_load_ushort v8, v[10:11], off
	s_mov_b64 s[6:7], 0
	s_mov_b64 s[18:19], -1
	s_waitcnt vmcnt(0)
	v_lshlrev_b32_e32 v8, 16, v8
	v_cvt_i32_f32_e32 v12, v8
	s_branch .LBB39_2294
.LBB39_2290:
	s_mov_b64 s[20:21], -1
                                        ; implicit-def: $vgpr12
	s_branch .LBB39_2295
.LBB39_2291:
	s_andn2_saveexec_b64 s[16:17], s[16:17]
	s_cbranch_execz .LBB39_2272
.LBB39_2292:
	v_cmp_ne_u16_e32 vcc, 0, v8
	s_andn2_b64 s[18:19], s[18:19], exec
	s_and_b64 s[20:21], vcc, exec
	s_or_b64 s[18:19], s[18:19], s[20:21]
	s_or_b64 exec, exec, s[16:17]
	v_mov_b32_e32 v12, 0
	s_and_saveexec_b64 s[16:17], s[18:19]
	s_cbranch_execnz .LBB39_2273
	s_branch .LBB39_2274
.LBB39_2293:
	s_mov_b64 s[6:7], -1
                                        ; implicit-def: $vgpr12
.LBB39_2294:
	s_mov_b64 s[20:21], 0
.LBB39_2295:
	s_and_b64 vcc, exec, s[20:21]
	s_cbranch_vccz .LBB39_2297
; %bb.2296:
	s_cmp_lg_u32 s24, 11
	s_mov_b64 s[16:17], -1
	s_cselect_b64 s[6:7], -1, 0
.LBB39_2297:
	s_and_b64 vcc, exec, s[6:7]
	s_cbranch_vccnz .LBB39_2362
; %bb.2298:
	s_andn2_b64 vcc, exec, s[16:17]
	s_cbranch_vccnz .LBB39_2300
.LBB39_2299:
	global_load_ubyte v8, v[10:11], off
	s_mov_b64 s[18:19], -1
	s_waitcnt vmcnt(0)
	v_cmp_ne_u16_e32 vcc, 0, v8
	v_cndmask_b32_e64 v12, 0, 1, vcc
.LBB39_2300:
	s_mov_b64 s[6:7], 0
.LBB39_2301:
	s_and_b64 vcc, exec, s[6:7]
	s_cbranch_vccz .LBB39_2350
; %bb.2302:
	s_and_b32 s16, 0xffff, s23
	s_cmp_lt_i32 s16, 5
	s_cbranch_scc1 .LBB39_2307
; %bb.2303:
	s_cmp_lt_i32 s16, 8
	s_cbranch_scc1 .LBB39_2308
; %bb.2304:
	s_cmp_lt_i32 s16, 9
	s_cbranch_scc1 .LBB39_2309
; %bb.2305:
	s_cmp_gt_i32 s16, 9
	s_cbranch_scc0 .LBB39_2310
; %bb.2306:
	global_load_dwordx2 v[12:13], v[10:11], off
	s_mov_b64 s[6:7], 0
	s_waitcnt vmcnt(0)
	v_cvt_i32_f64_e32 v12, v[12:13]
	s_branch .LBB39_2311
.LBB39_2307:
	s_mov_b64 s[6:7], -1
                                        ; implicit-def: $vgpr12
	s_branch .LBB39_2329
.LBB39_2308:
	s_mov_b64 s[6:7], -1
                                        ; implicit-def: $vgpr12
	s_branch .LBB39_2317
.LBB39_2309:
	s_mov_b64 s[6:7], -1
                                        ; implicit-def: $vgpr12
	s_branch .LBB39_2314
.LBB39_2310:
	s_mov_b64 s[6:7], -1
                                        ; implicit-def: $vgpr12
.LBB39_2311:
	s_andn2_b64 vcc, exec, s[6:7]
	s_cbranch_vccnz .LBB39_2313
; %bb.2312:
	global_load_dword v8, v[10:11], off
	s_waitcnt vmcnt(0)
	v_cvt_i32_f32_e32 v12, v8
.LBB39_2313:
	s_mov_b64 s[6:7], 0
.LBB39_2314:
	s_andn2_b64 vcc, exec, s[6:7]
	s_cbranch_vccnz .LBB39_2316
; %bb.2315:
	global_load_dword v8, v[10:11], off
	s_waitcnt vmcnt(0)
	v_cvt_f32_f16_e32 v8, v8
	v_cvt_i32_f32_e32 v12, v8
.LBB39_2316:
	s_mov_b64 s[6:7], 0
.LBB39_2317:
	s_andn2_b64 vcc, exec, s[6:7]
	s_cbranch_vccnz .LBB39_2328
; %bb.2318:
	s_cmp_lt_i32 s16, 6
	s_cbranch_scc1 .LBB39_2321
; %bb.2319:
	s_cmp_gt_i32 s16, 6
	s_cbranch_scc0 .LBB39_2322
; %bb.2320:
	global_load_dwordx2 v[12:13], v[10:11], off
	s_mov_b64 s[6:7], 0
	s_waitcnt vmcnt(0)
	v_cvt_i32_f64_e32 v12, v[12:13]
	s_branch .LBB39_2323
.LBB39_2321:
	s_mov_b64 s[6:7], -1
                                        ; implicit-def: $vgpr12
	s_branch .LBB39_2326
.LBB39_2322:
	s_mov_b64 s[6:7], -1
                                        ; implicit-def: $vgpr12
.LBB39_2323:
	s_andn2_b64 vcc, exec, s[6:7]
	s_cbranch_vccnz .LBB39_2325
; %bb.2324:
	global_load_dword v8, v[10:11], off
	s_waitcnt vmcnt(0)
	v_cvt_i32_f32_e32 v12, v8
.LBB39_2325:
	s_mov_b64 s[6:7], 0
.LBB39_2326:
	s_andn2_b64 vcc, exec, s[6:7]
	s_cbranch_vccnz .LBB39_2328
; %bb.2327:
	global_load_ushort v8, v[10:11], off
	s_waitcnt vmcnt(0)
	v_cvt_f32_f16_e32 v8, v8
	v_cvt_i32_f32_e32 v12, v8
.LBB39_2328:
	s_mov_b64 s[6:7], 0
.LBB39_2329:
	s_andn2_b64 vcc, exec, s[6:7]
	s_cbranch_vccnz .LBB39_2349
; %bb.2330:
	s_cmp_lt_i32 s16, 2
	s_cbranch_scc1 .LBB39_2334
; %bb.2331:
	s_cmp_lt_i32 s16, 3
	s_cbranch_scc1 .LBB39_2335
; %bb.2332:
	s_cmp_gt_i32 s16, 3
	s_cbranch_scc0 .LBB39_2336
; %bb.2333:
	global_load_dword v12, v[10:11], off
	s_mov_b64 s[6:7], 0
	s_branch .LBB39_2337
.LBB39_2334:
	s_mov_b64 s[6:7], -1
                                        ; implicit-def: $vgpr12
	s_branch .LBB39_2343
.LBB39_2335:
	s_mov_b64 s[6:7], -1
                                        ; implicit-def: $vgpr12
	s_branch .LBB39_2340
.LBB39_2336:
	s_mov_b64 s[6:7], -1
                                        ; implicit-def: $vgpr12
.LBB39_2337:
	s_andn2_b64 vcc, exec, s[6:7]
	s_cbranch_vccnz .LBB39_2339
; %bb.2338:
	global_load_dword v12, v[10:11], off
.LBB39_2339:
	s_mov_b64 s[6:7], 0
.LBB39_2340:
	s_andn2_b64 vcc, exec, s[6:7]
	s_cbranch_vccnz .LBB39_2342
; %bb.2341:
	global_load_sshort v12, v[10:11], off
.LBB39_2342:
	s_mov_b64 s[6:7], 0
.LBB39_2343:
	s_andn2_b64 vcc, exec, s[6:7]
	s_cbranch_vccnz .LBB39_2349
; %bb.2344:
	s_cmp_gt_i32 s16, 0
	s_cbranch_scc0 .LBB39_2346
; %bb.2345:
	global_load_sbyte v12, v[10:11], off
	s_mov_b64 s[6:7], 0
	s_branch .LBB39_2347
.LBB39_2346:
	s_mov_b64 s[6:7], -1
                                        ; implicit-def: $vgpr12
.LBB39_2347:
	s_andn2_b64 vcc, exec, s[6:7]
	s_cbranch_vccnz .LBB39_2349
; %bb.2348:
	global_load_ubyte v12, v[10:11], off
.LBB39_2349:
	s_mov_b64 s[18:19], -1
.LBB39_2350:
	s_andn2_b64 vcc, exec, s[18:19]
	s_cbranch_vccnz .LBB39_3036
; %bb.2351:
	v_mov_b32_e32 v10, s11
	v_add_co_u32_e32 v8, vcc, s10, v9
	s_cmp_lt_i32 s22, 11
	v_addc_co_u32_e32 v9, vcc, 0, v10, vcc
	s_cbranch_scc1 .LBB39_2358
; %bb.2352:
	s_and_b32 s20, 0xffff, s22
	s_cmp_gt_i32 s20, 25
	s_mov_b64 s[10:11], 0
	s_cbranch_scc0 .LBB39_2359
; %bb.2353:
	s_cmp_gt_i32 s20, 28
	s_cbranch_scc0 .LBB39_2360
; %bb.2354:
	s_cmp_gt_i32 s20, 43
	;; [unrolled: 3-line block ×3, first 2 shown]
	s_cbranch_scc0 .LBB39_2363
; %bb.2356:
	s_cmp_eq_u32 s20, 46
	s_mov_b64 s[18:19], 0
	s_cbranch_scc0 .LBB39_2364
; %bb.2357:
	global_load_dword v10, v[8:9], off
	s_mov_b64 s[6:7], 0
	s_mov_b64 s[16:17], -1
	s_waitcnt vmcnt(0)
	v_lshlrev_b32_e32 v10, 16, v10
	v_cvt_i32_f32_e32 v10, v10
	s_branch .LBB39_2365
.LBB39_2358:
	s_mov_b64 s[6:7], -1
	s_mov_b64 s[16:17], 0
                                        ; implicit-def: $vgpr10
	s_branch .LBB39_2427
.LBB39_2359:
	s_mov_b64 s[18:19], -1
	s_mov_b64 s[16:17], 0
	s_mov_b64 s[6:7], 0
                                        ; implicit-def: $vgpr10
	s_branch .LBB39_2392
.LBB39_2360:
	s_mov_b64 s[18:19], -1
	s_mov_b64 s[16:17], 0
	s_mov_b64 s[6:7], 0
                                        ; implicit-def: $vgpr10
	s_branch .LBB39_2375
.LBB39_2361:
	s_mov_b64 s[18:19], -1
	s_mov_b64 s[16:17], 0
	s_mov_b64 s[6:7], 0
                                        ; implicit-def: $vgpr10
	s_branch .LBB39_2370
.LBB39_2362:
	s_trap 2
	s_or_b64 s[4:5], s[4:5], exec
	s_cbranch_execz .LBB39_2299
	s_branch .LBB39_2300
.LBB39_2363:
	s_mov_b64 s[18:19], -1
	s_mov_b64 s[16:17], 0
	s_mov_b64 s[6:7], 0
                                        ; implicit-def: $vgpr10
	s_branch .LBB39_2365
.LBB39_2364:
	s_mov_b64 s[6:7], -1
                                        ; implicit-def: $vgpr10
	s_mov_b64 s[16:17], 0
.LBB39_2365:
	s_and_b64 vcc, exec, s[18:19]
	s_cbranch_vccz .LBB39_2369
; %bb.2366:
	s_cmp_eq_u32 s20, 44
	s_cbranch_scc0 .LBB39_2368
; %bb.2367:
	global_load_ubyte v10, v[8:9], off
	s_mov_b64 s[6:7], 0
	s_mov_b64 s[16:17], -1
	s_waitcnt vmcnt(0)
	v_lshlrev_b32_e32 v11, 23, v10
	v_cvt_i32_f32_e32 v11, v11
	v_cmp_ne_u32_e32 vcc, 0, v10
	v_cndmask_b32_e32 v10, 0, v11, vcc
	s_branch .LBB39_2369
.LBB39_2368:
	s_mov_b64 s[6:7], -1
                                        ; implicit-def: $vgpr10
.LBB39_2369:
	s_mov_b64 s[18:19], 0
.LBB39_2370:
	s_and_b64 vcc, exec, s[18:19]
	s_cbranch_vccz .LBB39_2374
; %bb.2371:
	s_cmp_eq_u32 s20, 29
	s_cbranch_scc0 .LBB39_2373
; %bb.2372:
	global_load_dword v10, v[8:9], off
	s_mov_b64 s[6:7], 0
	s_mov_b64 s[16:17], -1
	s_branch .LBB39_2374
.LBB39_2373:
	s_mov_b64 s[6:7], -1
                                        ; implicit-def: $vgpr10
.LBB39_2374:
	s_mov_b64 s[18:19], 0
.LBB39_2375:
	s_and_b64 vcc, exec, s[18:19]
	s_cbranch_vccz .LBB39_2391
; %bb.2376:
	s_cmp_lt_i32 s20, 27
	s_cbranch_scc1 .LBB39_2379
; %bb.2377:
	s_cmp_gt_i32 s20, 27
	s_cbranch_scc0 .LBB39_2380
; %bb.2378:
	global_load_dword v10, v[8:9], off
	s_mov_b64 s[16:17], 0
	s_branch .LBB39_2381
.LBB39_2379:
	s_mov_b64 s[16:17], -1
                                        ; implicit-def: $vgpr10
	s_branch .LBB39_2384
.LBB39_2380:
	s_mov_b64 s[16:17], -1
                                        ; implicit-def: $vgpr10
.LBB39_2381:
	s_andn2_b64 vcc, exec, s[16:17]
	s_cbranch_vccnz .LBB39_2383
; %bb.2382:
	global_load_ushort v10, v[8:9], off
.LBB39_2383:
	s_mov_b64 s[16:17], 0
.LBB39_2384:
	s_andn2_b64 vcc, exec, s[16:17]
	s_cbranch_vccnz .LBB39_2390
; %bb.2385:
	global_load_ubyte v11, v[8:9], off
	s_movk_i32 s16, 0x7f
	s_mov_b64 s[18:19], 0
	s_waitcnt vmcnt(0)
	v_cmp_lt_i16_e32 vcc, s16, v11
	s_and_saveexec_b64 s[16:17], vcc
	s_xor_b64 s[16:17], exec, s[16:17]
	s_cbranch_execz .LBB39_2402
; %bb.2386:
	s_movk_i32 s18, 0x80
	v_cmp_ne_u16_e32 vcc, s18, v11
	s_and_b64 s[18:19], vcc, exec
	s_andn2_saveexec_b64 s[16:17], s[16:17]
	s_cbranch_execnz .LBB39_2403
.LBB39_2387:
	s_or_b64 exec, exec, s[16:17]
	v_mov_b32_e32 v10, 0
	s_and_saveexec_b64 s[16:17], s[18:19]
	s_cbranch_execz .LBB39_2389
.LBB39_2388:
	v_lshlrev_b32_e32 v10, 24, v11
	v_and_b32_e32 v11, 0xffff, v11
	v_and_b32_e32 v13, 7, v11
	v_ffbh_u32_e32 v17, v13
	v_min_u32_e32 v17, 32, v17
	v_subrev_u32_e32 v18, 28, v17
	v_bfe_u32 v15, v11, 3, 4
	v_lshlrev_b32_e32 v11, v18, v11
	v_sub_u32_e32 v17, 29, v17
	v_and_b32_e32 v11, 7, v11
	v_cmp_eq_u32_e32 vcc, 0, v15
	v_cndmask_b32_e32 v15, v15, v17, vcc
	v_cndmask_b32_e32 v11, v13, v11, vcc
	v_mov_b32_e32 v13, 0x3b800000
	v_lshlrev_b32_e32 v11, 20, v11
	v_and_b32_e32 v10, 0x80000000, v10
	v_lshl_add_u32 v13, v15, 23, v13
	v_or3_b32 v10, v10, v13, v11
	v_cvt_i32_f32_e32 v10, v10
.LBB39_2389:
	s_or_b64 exec, exec, s[16:17]
.LBB39_2390:
	s_mov_b64 s[16:17], -1
.LBB39_2391:
	s_mov_b64 s[18:19], 0
.LBB39_2392:
	s_and_b64 vcc, exec, s[18:19]
	s_cbranch_vccz .LBB39_2423
; %bb.2393:
	s_cmp_gt_i32 s20, 22
	s_cbranch_scc0 .LBB39_2401
; %bb.2394:
	s_cmp_lt_i32 s20, 24
	s_cbranch_scc1 .LBB39_2404
; %bb.2395:
	s_cmp_gt_i32 s20, 24
	s_cbranch_scc0 .LBB39_2405
; %bb.2396:
	global_load_ubyte v11, v[8:9], off
	s_movk_i32 s10, 0x7f
	s_mov_b64 s[16:17], 0
	s_waitcnt vmcnt(0)
	v_cmp_lt_i16_e32 vcc, s10, v11
	s_and_saveexec_b64 s[10:11], vcc
	s_xor_b64 s[10:11], exec, s[10:11]
	s_cbranch_execz .LBB39_2417
; %bb.2397:
	s_movk_i32 s16, 0x80
	v_cmp_ne_u16_e32 vcc, s16, v11
	s_and_b64 s[16:17], vcc, exec
	s_andn2_saveexec_b64 s[10:11], s[10:11]
	s_cbranch_execnz .LBB39_2418
.LBB39_2398:
	s_or_b64 exec, exec, s[10:11]
	v_mov_b32_e32 v10, 0
	s_and_saveexec_b64 s[10:11], s[16:17]
	s_cbranch_execz .LBB39_2400
.LBB39_2399:
	v_lshlrev_b32_e32 v10, 24, v11
	v_and_b32_e32 v11, 0xffff, v11
	v_and_b32_e32 v13, 3, v11
	v_ffbh_u32_e32 v17, v13
	v_min_u32_e32 v17, 32, v17
	v_subrev_u32_e32 v18, 29, v17
	v_bfe_u32 v15, v11, 2, 5
	v_lshlrev_b32_e32 v11, v18, v11
	v_sub_u32_e32 v17, 30, v17
	v_and_b32_e32 v11, 3, v11
	v_cmp_eq_u32_e32 vcc, 0, v15
	v_cndmask_b32_e32 v15, v15, v17, vcc
	v_cndmask_b32_e32 v11, v13, v11, vcc
	v_mov_b32_e32 v13, 0x37800000
	v_lshlrev_b32_e32 v11, 21, v11
	v_and_b32_e32 v10, 0x80000000, v10
	v_lshl_add_u32 v13, v15, 23, v13
	v_or3_b32 v10, v10, v13, v11
	v_cvt_i32_f32_e32 v10, v10
.LBB39_2400:
	s_or_b64 exec, exec, s[10:11]
	s_mov_b64 s[10:11], 0
	s_branch .LBB39_2406
.LBB39_2401:
	s_mov_b64 s[10:11], -1
                                        ; implicit-def: $vgpr10
	s_branch .LBB39_2412
.LBB39_2402:
	s_andn2_saveexec_b64 s[16:17], s[16:17]
	s_cbranch_execz .LBB39_2387
.LBB39_2403:
	v_cmp_ne_u16_e32 vcc, 0, v11
	s_andn2_b64 s[18:19], s[18:19], exec
	s_and_b64 s[24:25], vcc, exec
	s_or_b64 s[18:19], s[18:19], s[24:25]
	s_or_b64 exec, exec, s[16:17]
	v_mov_b32_e32 v10, 0
	s_and_saveexec_b64 s[16:17], s[18:19]
	s_cbranch_execnz .LBB39_2388
	s_branch .LBB39_2389
.LBB39_2404:
	s_mov_b64 s[10:11], -1
                                        ; implicit-def: $vgpr10
	s_branch .LBB39_2409
.LBB39_2405:
	s_mov_b64 s[10:11], -1
                                        ; implicit-def: $vgpr10
.LBB39_2406:
	s_and_b64 vcc, exec, s[10:11]
	s_cbranch_vccz .LBB39_2408
; %bb.2407:
	global_load_ubyte v10, v[8:9], off
	s_mov_b32 s10, 0x7f800000
	s_waitcnt vmcnt(0)
	v_lshlrev_b32_e32 v10, 24, v10
	v_and_b32_e32 v11, 0x7f000000, v10
	v_ffbh_u32_e32 v13, v11
	v_min_u32_e32 v13, 32, v13
	v_sub_u32_e64 v13, v13, 4 clamp
	v_lshlrev_b32_e32 v17, v13, v11
	v_lshlrev_b32_e32 v13, 23, v13
	v_lshrrev_b32_e32 v17, 4, v17
	v_add_u32_e32 v15, 0x1000000, v11
	v_sub_u32_e32 v13, v17, v13
	v_ashrrev_i32_e32 v15, 8, v15
	v_add_u32_e32 v13, 0x3c000000, v13
	v_and_or_b32 v13, v15, s10, v13
	v_cmp_ne_u32_e32 vcc, 0, v11
	v_cndmask_b32_e32 v11, 0, v13, vcc
	s_brev_b32 s10, 1
	v_and_or_b32 v10, v10, s10, v11
	v_cvt_i32_f32_e32 v10, v10
.LBB39_2408:
	s_mov_b64 s[10:11], 0
.LBB39_2409:
	s_andn2_b64 vcc, exec, s[10:11]
	s_cbranch_vccnz .LBB39_2411
; %bb.2410:
	global_load_ubyte v10, v[8:9], off
	s_movk_i32 s10, 0x7f00
	s_brev_b32 s11, 16
	s_waitcnt vmcnt(0)
	v_lshlrev_b16_e32 v11, 8, v10
	v_lshlrev_b32_e32 v10, 25, v10
	v_lshrrev_b32_e32 v13, 4, v10
	v_and_or_b32 v15, v11, s10, 0.5
	v_or_b32_e32 v13, 0x70000000, v13
	v_add_f32_e32 v15, -0.5, v15
	v_mul_f32_e32 v13, 0x7800000, v13
	v_cmp_gt_u32_e32 vcc, s11, v10
	v_bfe_i32 v11, v11, 0, 16
	v_cndmask_b32_e32 v10, v13, v15, vcc
	s_brev_b32 s10, 1
	v_and_or_b32 v10, v11, s10, v10
	v_cvt_i32_f32_e32 v10, v10
.LBB39_2411:
	s_mov_b64 s[10:11], 0
	s_mov_b64 s[16:17], -1
.LBB39_2412:
	s_andn2_b64 vcc, exec, s[10:11]
	s_mov_b64 s[10:11], 0
	s_cbranch_vccnz .LBB39_2423
; %bb.2413:
	s_cmp_gt_i32 s20, 14
	s_cbranch_scc0 .LBB39_2416
; %bb.2414:
	s_cmp_eq_u32 s20, 15
	s_cbranch_scc0 .LBB39_2419
; %bb.2415:
	global_load_ushort v10, v[8:9], off
	s_mov_b64 s[6:7], 0
	s_mov_b64 s[16:17], -1
	s_waitcnt vmcnt(0)
	v_lshlrev_b32_e32 v10, 16, v10
	v_cvt_i32_f32_e32 v10, v10
	s_branch .LBB39_2420
.LBB39_2416:
	s_mov_b64 s[18:19], -1
                                        ; implicit-def: $vgpr10
	s_branch .LBB39_2421
.LBB39_2417:
	s_andn2_saveexec_b64 s[10:11], s[10:11]
	s_cbranch_execz .LBB39_2398
.LBB39_2418:
	v_cmp_ne_u16_e32 vcc, 0, v11
	s_andn2_b64 s[16:17], s[16:17], exec
	s_and_b64 s[18:19], vcc, exec
	s_or_b64 s[16:17], s[16:17], s[18:19]
	s_or_b64 exec, exec, s[10:11]
	v_mov_b32_e32 v10, 0
	s_and_saveexec_b64 s[10:11], s[16:17]
	s_cbranch_execnz .LBB39_2399
	s_branch .LBB39_2400
.LBB39_2419:
	s_mov_b64 s[6:7], -1
                                        ; implicit-def: $vgpr10
.LBB39_2420:
	s_mov_b64 s[18:19], 0
.LBB39_2421:
	s_and_b64 vcc, exec, s[18:19]
	s_cbranch_vccz .LBB39_2423
; %bb.2422:
	s_cmp_lg_u32 s20, 11
	s_mov_b64 s[10:11], -1
	s_cselect_b64 s[6:7], -1, 0
.LBB39_2423:
	s_and_b64 vcc, exec, s[6:7]
	s_cbranch_vccnz .LBB39_2488
; %bb.2424:
	s_andn2_b64 vcc, exec, s[10:11]
	s_cbranch_vccnz .LBB39_2426
.LBB39_2425:
	global_load_ubyte v10, v[8:9], off
	s_mov_b64 s[16:17], -1
	s_waitcnt vmcnt(0)
	v_cmp_ne_u16_e32 vcc, 0, v10
	v_cndmask_b32_e64 v10, 0, 1, vcc
.LBB39_2426:
	s_mov_b64 s[6:7], 0
.LBB39_2427:
	s_and_b64 vcc, exec, s[6:7]
	s_cbranch_vccz .LBB39_2476
; %bb.2428:
	s_and_b32 s10, 0xffff, s22
	s_cmp_lt_i32 s10, 5
	s_cbranch_scc1 .LBB39_2433
; %bb.2429:
	s_cmp_lt_i32 s10, 8
	s_cbranch_scc1 .LBB39_2434
; %bb.2430:
	;; [unrolled: 3-line block ×3, first 2 shown]
	s_cmp_gt_i32 s10, 9
	s_cbranch_scc0 .LBB39_2436
; %bb.2432:
	global_load_dwordx2 v[10:11], v[8:9], off
	s_mov_b64 s[6:7], 0
	s_waitcnt vmcnt(0)
	v_cvt_i32_f64_e32 v10, v[10:11]
	s_branch .LBB39_2437
.LBB39_2433:
	s_mov_b64 s[6:7], -1
                                        ; implicit-def: $vgpr10
	s_branch .LBB39_2455
.LBB39_2434:
	s_mov_b64 s[6:7], -1
                                        ; implicit-def: $vgpr10
	s_branch .LBB39_2443
.LBB39_2435:
	s_mov_b64 s[6:7], -1
                                        ; implicit-def: $vgpr10
	s_branch .LBB39_2440
.LBB39_2436:
	s_mov_b64 s[6:7], -1
                                        ; implicit-def: $vgpr10
.LBB39_2437:
	s_andn2_b64 vcc, exec, s[6:7]
	s_cbranch_vccnz .LBB39_2439
; %bb.2438:
	global_load_dword v10, v[8:9], off
	s_waitcnt vmcnt(0)
	v_cvt_i32_f32_e32 v10, v10
.LBB39_2439:
	s_mov_b64 s[6:7], 0
.LBB39_2440:
	s_andn2_b64 vcc, exec, s[6:7]
	s_cbranch_vccnz .LBB39_2442
; %bb.2441:
	global_load_dword v10, v[8:9], off
	s_waitcnt vmcnt(0)
	v_cvt_f32_f16_e32 v10, v10
	v_cvt_i32_f32_e32 v10, v10
.LBB39_2442:
	s_mov_b64 s[6:7], 0
.LBB39_2443:
	s_andn2_b64 vcc, exec, s[6:7]
	s_cbranch_vccnz .LBB39_2454
; %bb.2444:
	s_cmp_lt_i32 s10, 6
	s_cbranch_scc1 .LBB39_2447
; %bb.2445:
	s_cmp_gt_i32 s10, 6
	s_cbranch_scc0 .LBB39_2448
; %bb.2446:
	global_load_dwordx2 v[10:11], v[8:9], off
	s_mov_b64 s[6:7], 0
	s_waitcnt vmcnt(0)
	v_cvt_i32_f64_e32 v10, v[10:11]
	s_branch .LBB39_2449
.LBB39_2447:
	s_mov_b64 s[6:7], -1
                                        ; implicit-def: $vgpr10
	s_branch .LBB39_2452
.LBB39_2448:
	s_mov_b64 s[6:7], -1
                                        ; implicit-def: $vgpr10
.LBB39_2449:
	s_andn2_b64 vcc, exec, s[6:7]
	s_cbranch_vccnz .LBB39_2451
; %bb.2450:
	global_load_dword v10, v[8:9], off
	s_waitcnt vmcnt(0)
	v_cvt_i32_f32_e32 v10, v10
.LBB39_2451:
	s_mov_b64 s[6:7], 0
.LBB39_2452:
	s_andn2_b64 vcc, exec, s[6:7]
	s_cbranch_vccnz .LBB39_2454
; %bb.2453:
	global_load_ushort v10, v[8:9], off
	s_waitcnt vmcnt(0)
	v_cvt_f32_f16_e32 v10, v10
	v_cvt_i32_f32_e32 v10, v10
.LBB39_2454:
	s_mov_b64 s[6:7], 0
.LBB39_2455:
	s_andn2_b64 vcc, exec, s[6:7]
	s_cbranch_vccnz .LBB39_2475
; %bb.2456:
	s_cmp_lt_i32 s10, 2
	s_cbranch_scc1 .LBB39_2460
; %bb.2457:
	s_cmp_lt_i32 s10, 3
	s_cbranch_scc1 .LBB39_2461
; %bb.2458:
	s_cmp_gt_i32 s10, 3
	s_cbranch_scc0 .LBB39_2462
; %bb.2459:
	global_load_dword v10, v[8:9], off
	s_mov_b64 s[6:7], 0
	s_branch .LBB39_2463
.LBB39_2460:
	s_mov_b64 s[6:7], -1
                                        ; implicit-def: $vgpr10
	s_branch .LBB39_2469
.LBB39_2461:
	s_mov_b64 s[6:7], -1
                                        ; implicit-def: $vgpr10
	s_branch .LBB39_2466
.LBB39_2462:
	s_mov_b64 s[6:7], -1
                                        ; implicit-def: $vgpr10
.LBB39_2463:
	s_andn2_b64 vcc, exec, s[6:7]
	s_cbranch_vccnz .LBB39_2465
; %bb.2464:
	global_load_dword v10, v[8:9], off
.LBB39_2465:
	s_mov_b64 s[6:7], 0
.LBB39_2466:
	s_andn2_b64 vcc, exec, s[6:7]
	s_cbranch_vccnz .LBB39_2468
; %bb.2467:
	global_load_sshort v10, v[8:9], off
.LBB39_2468:
	s_mov_b64 s[6:7], 0
.LBB39_2469:
	s_andn2_b64 vcc, exec, s[6:7]
	s_cbranch_vccnz .LBB39_2475
; %bb.2470:
	s_cmp_gt_i32 s10, 0
	s_cbranch_scc0 .LBB39_2472
; %bb.2471:
	global_load_sbyte v10, v[8:9], off
	s_mov_b64 s[6:7], 0
	s_branch .LBB39_2473
.LBB39_2472:
	s_mov_b64 s[6:7], -1
                                        ; implicit-def: $vgpr10
.LBB39_2473:
	s_andn2_b64 vcc, exec, s[6:7]
	s_cbranch_vccnz .LBB39_2475
; %bb.2474:
	global_load_ubyte v10, v[8:9], off
.LBB39_2475:
	s_mov_b64 s[16:17], -1
.LBB39_2476:
	s_andn2_b64 vcc, exec, s[16:17]
	s_cbranch_vccnz .LBB39_3036
; %bb.2477:
	v_mov_b32_e32 v8, s1
	v_add_co_u32_e32 v7, vcc, s0, v7
	s_cmp_lt_i32 s23, 11
	v_addc_co_u32_e32 v8, vcc, 0, v8, vcc
	s_cbranch_scc1 .LBB39_2484
; %bb.2478:
	s_and_b32 s18, 0xffff, s23
	s_cmp_gt_i32 s18, 25
	s_mov_b64 s[6:7], 0
	s_cbranch_scc0 .LBB39_2485
; %bb.2479:
	s_cmp_gt_i32 s18, 28
	s_cbranch_scc0 .LBB39_2486
; %bb.2480:
	s_cmp_gt_i32 s18, 43
	s_cbranch_scc0 .LBB39_2487
; %bb.2481:
	s_cmp_gt_i32 s18, 45
	s_cbranch_scc0 .LBB39_2489
; %bb.2482:
	s_cmp_eq_u32 s18, 46
	s_mov_b64 s[16:17], 0
	s_cbranch_scc0 .LBB39_2490
; %bb.2483:
	global_load_dword v9, v[7:8], off
	s_mov_b64 s[0:1], 0
	s_mov_b64 s[10:11], -1
	s_waitcnt vmcnt(0)
	v_lshlrev_b32_e32 v9, 16, v9
	v_cvt_i32_f32_e32 v9, v9
	s_branch .LBB39_2491
.LBB39_2484:
	s_mov_b64 s[0:1], -1
	s_mov_b64 s[10:11], 0
                                        ; implicit-def: $vgpr9
	s_branch .LBB39_2553
.LBB39_2485:
	s_mov_b64 s[16:17], -1
	s_mov_b64 s[10:11], 0
	s_mov_b64 s[0:1], 0
                                        ; implicit-def: $vgpr9
	s_branch .LBB39_2518
.LBB39_2486:
	s_mov_b64 s[16:17], -1
	s_mov_b64 s[10:11], 0
	s_mov_b64 s[0:1], 0
                                        ; implicit-def: $vgpr9
	s_branch .LBB39_2501
.LBB39_2487:
	s_mov_b64 s[16:17], -1
	s_mov_b64 s[10:11], 0
	s_mov_b64 s[0:1], 0
                                        ; implicit-def: $vgpr9
	s_branch .LBB39_2496
.LBB39_2488:
	s_trap 2
	s_or_b64 s[4:5], s[4:5], exec
	s_cbranch_execz .LBB39_2425
	s_branch .LBB39_2426
.LBB39_2489:
	s_mov_b64 s[16:17], -1
	s_mov_b64 s[10:11], 0
	s_mov_b64 s[0:1], 0
                                        ; implicit-def: $vgpr9
	s_branch .LBB39_2491
.LBB39_2490:
	s_mov_b64 s[0:1], -1
                                        ; implicit-def: $vgpr9
	s_mov_b64 s[10:11], 0
.LBB39_2491:
	s_and_b64 vcc, exec, s[16:17]
	s_cbranch_vccz .LBB39_2495
; %bb.2492:
	s_cmp_eq_u32 s18, 44
	s_cbranch_scc0 .LBB39_2494
; %bb.2493:
	global_load_ubyte v9, v[7:8], off
	s_mov_b64 s[0:1], 0
	s_mov_b64 s[10:11], -1
	s_waitcnt vmcnt(0)
	v_lshlrev_b32_e32 v11, 23, v9
	v_cvt_i32_f32_e32 v11, v11
	v_cmp_ne_u32_e32 vcc, 0, v9
	v_cndmask_b32_e32 v9, 0, v11, vcc
	s_branch .LBB39_2495
.LBB39_2494:
	s_mov_b64 s[0:1], -1
                                        ; implicit-def: $vgpr9
.LBB39_2495:
	s_mov_b64 s[16:17], 0
.LBB39_2496:
	s_and_b64 vcc, exec, s[16:17]
	s_cbranch_vccz .LBB39_2500
; %bb.2497:
	s_cmp_eq_u32 s18, 29
	s_cbranch_scc0 .LBB39_2499
; %bb.2498:
	global_load_dword v9, v[7:8], off
	s_mov_b64 s[0:1], 0
	s_mov_b64 s[10:11], -1
	s_branch .LBB39_2500
.LBB39_2499:
	s_mov_b64 s[0:1], -1
                                        ; implicit-def: $vgpr9
.LBB39_2500:
	s_mov_b64 s[16:17], 0
.LBB39_2501:
	s_and_b64 vcc, exec, s[16:17]
	s_cbranch_vccz .LBB39_2517
; %bb.2502:
	s_cmp_lt_i32 s18, 27
	s_cbranch_scc1 .LBB39_2505
; %bb.2503:
	s_cmp_gt_i32 s18, 27
	s_cbranch_scc0 .LBB39_2506
; %bb.2504:
	global_load_dword v9, v[7:8], off
	s_mov_b64 s[10:11], 0
	s_branch .LBB39_2507
.LBB39_2505:
	s_mov_b64 s[10:11], -1
                                        ; implicit-def: $vgpr9
	s_branch .LBB39_2510
.LBB39_2506:
	s_mov_b64 s[10:11], -1
                                        ; implicit-def: $vgpr9
.LBB39_2507:
	s_andn2_b64 vcc, exec, s[10:11]
	s_cbranch_vccnz .LBB39_2509
; %bb.2508:
	global_load_ushort v9, v[7:8], off
.LBB39_2509:
	s_mov_b64 s[10:11], 0
.LBB39_2510:
	s_andn2_b64 vcc, exec, s[10:11]
	s_cbranch_vccnz .LBB39_2516
; %bb.2511:
	global_load_ubyte v11, v[7:8], off
	s_movk_i32 s10, 0x7f
	s_mov_b64 s[16:17], 0
	s_waitcnt vmcnt(0)
	v_cmp_lt_i16_e32 vcc, s10, v11
	s_and_saveexec_b64 s[10:11], vcc
	s_xor_b64 s[10:11], exec, s[10:11]
	s_cbranch_execz .LBB39_2528
; %bb.2512:
	s_movk_i32 s16, 0x80
	v_cmp_ne_u16_e32 vcc, s16, v11
	s_and_b64 s[16:17], vcc, exec
	s_andn2_saveexec_b64 s[10:11], s[10:11]
	s_cbranch_execnz .LBB39_2529
.LBB39_2513:
	s_or_b64 exec, exec, s[10:11]
	v_mov_b32_e32 v9, 0
	s_and_saveexec_b64 s[10:11], s[16:17]
	s_cbranch_execz .LBB39_2515
.LBB39_2514:
	v_lshlrev_b32_e32 v9, 24, v11
	v_and_b32_e32 v11, 0xffff, v11
	v_and_b32_e32 v13, 7, v11
	v_ffbh_u32_e32 v17, v13
	v_min_u32_e32 v17, 32, v17
	v_subrev_u32_e32 v18, 28, v17
	v_bfe_u32 v15, v11, 3, 4
	v_lshlrev_b32_e32 v11, v18, v11
	v_sub_u32_e32 v17, 29, v17
	v_and_b32_e32 v11, 7, v11
	v_cmp_eq_u32_e32 vcc, 0, v15
	v_cndmask_b32_e32 v15, v15, v17, vcc
	v_cndmask_b32_e32 v11, v13, v11, vcc
	v_mov_b32_e32 v13, 0x3b800000
	v_lshlrev_b32_e32 v11, 20, v11
	v_and_b32_e32 v9, 0x80000000, v9
	v_lshl_add_u32 v13, v15, 23, v13
	v_or3_b32 v9, v9, v13, v11
	v_cvt_i32_f32_e32 v9, v9
.LBB39_2515:
	s_or_b64 exec, exec, s[10:11]
.LBB39_2516:
	s_mov_b64 s[10:11], -1
.LBB39_2517:
	s_mov_b64 s[16:17], 0
.LBB39_2518:
	s_and_b64 vcc, exec, s[16:17]
	s_cbranch_vccz .LBB39_2549
; %bb.2519:
	s_cmp_gt_i32 s18, 22
	s_cbranch_scc0 .LBB39_2527
; %bb.2520:
	s_cmp_lt_i32 s18, 24
	s_cbranch_scc1 .LBB39_2530
; %bb.2521:
	s_cmp_gt_i32 s18, 24
	s_cbranch_scc0 .LBB39_2531
; %bb.2522:
	global_load_ubyte v11, v[7:8], off
	s_movk_i32 s6, 0x7f
	s_mov_b64 s[10:11], 0
	s_waitcnt vmcnt(0)
	v_cmp_lt_i16_e32 vcc, s6, v11
	s_and_saveexec_b64 s[6:7], vcc
	s_xor_b64 s[6:7], exec, s[6:7]
	s_cbranch_execz .LBB39_2543
; %bb.2523:
	s_movk_i32 s10, 0x80
	v_cmp_ne_u16_e32 vcc, s10, v11
	s_and_b64 s[10:11], vcc, exec
	s_andn2_saveexec_b64 s[6:7], s[6:7]
	s_cbranch_execnz .LBB39_2544
.LBB39_2524:
	s_or_b64 exec, exec, s[6:7]
	v_mov_b32_e32 v9, 0
	s_and_saveexec_b64 s[6:7], s[10:11]
	s_cbranch_execz .LBB39_2526
.LBB39_2525:
	v_lshlrev_b32_e32 v9, 24, v11
	v_and_b32_e32 v11, 0xffff, v11
	v_and_b32_e32 v13, 3, v11
	v_ffbh_u32_e32 v17, v13
	v_min_u32_e32 v17, 32, v17
	v_subrev_u32_e32 v18, 29, v17
	v_bfe_u32 v15, v11, 2, 5
	v_lshlrev_b32_e32 v11, v18, v11
	v_sub_u32_e32 v17, 30, v17
	v_and_b32_e32 v11, 3, v11
	v_cmp_eq_u32_e32 vcc, 0, v15
	v_cndmask_b32_e32 v15, v15, v17, vcc
	v_cndmask_b32_e32 v11, v13, v11, vcc
	v_mov_b32_e32 v13, 0x37800000
	v_lshlrev_b32_e32 v11, 21, v11
	v_and_b32_e32 v9, 0x80000000, v9
	v_lshl_add_u32 v13, v15, 23, v13
	v_or3_b32 v9, v9, v13, v11
	v_cvt_i32_f32_e32 v9, v9
.LBB39_2526:
	s_or_b64 exec, exec, s[6:7]
	s_mov_b64 s[6:7], 0
	s_branch .LBB39_2532
.LBB39_2527:
	s_mov_b64 s[6:7], -1
                                        ; implicit-def: $vgpr9
	s_branch .LBB39_2538
.LBB39_2528:
	s_andn2_saveexec_b64 s[10:11], s[10:11]
	s_cbranch_execz .LBB39_2513
.LBB39_2529:
	v_cmp_ne_u16_e32 vcc, 0, v11
	s_andn2_b64 s[16:17], s[16:17], exec
	s_and_b64 s[20:21], vcc, exec
	s_or_b64 s[16:17], s[16:17], s[20:21]
	s_or_b64 exec, exec, s[10:11]
	v_mov_b32_e32 v9, 0
	s_and_saveexec_b64 s[10:11], s[16:17]
	s_cbranch_execnz .LBB39_2514
	s_branch .LBB39_2515
.LBB39_2530:
	s_mov_b64 s[6:7], -1
                                        ; implicit-def: $vgpr9
	s_branch .LBB39_2535
.LBB39_2531:
	s_mov_b64 s[6:7], -1
                                        ; implicit-def: $vgpr9
.LBB39_2532:
	s_and_b64 vcc, exec, s[6:7]
	s_cbranch_vccz .LBB39_2534
; %bb.2533:
	global_load_ubyte v9, v[7:8], off
	s_mov_b32 s6, 0x7f800000
	s_waitcnt vmcnt(0)
	v_lshlrev_b32_e32 v9, 24, v9
	v_and_b32_e32 v11, 0x7f000000, v9
	v_ffbh_u32_e32 v13, v11
	v_min_u32_e32 v13, 32, v13
	v_sub_u32_e64 v13, v13, 4 clamp
	v_lshlrev_b32_e32 v17, v13, v11
	v_lshlrev_b32_e32 v13, 23, v13
	v_lshrrev_b32_e32 v17, 4, v17
	v_add_u32_e32 v15, 0x1000000, v11
	v_sub_u32_e32 v13, v17, v13
	v_ashrrev_i32_e32 v15, 8, v15
	v_add_u32_e32 v13, 0x3c000000, v13
	v_and_or_b32 v13, v15, s6, v13
	v_cmp_ne_u32_e32 vcc, 0, v11
	v_cndmask_b32_e32 v11, 0, v13, vcc
	s_brev_b32 s6, 1
	v_and_or_b32 v9, v9, s6, v11
	v_cvt_i32_f32_e32 v9, v9
.LBB39_2534:
	s_mov_b64 s[6:7], 0
.LBB39_2535:
	s_andn2_b64 vcc, exec, s[6:7]
	s_cbranch_vccnz .LBB39_2537
; %bb.2536:
	global_load_ubyte v9, v[7:8], off
	s_movk_i32 s6, 0x7f00
	s_brev_b32 s7, 16
	s_waitcnt vmcnt(0)
	v_lshlrev_b16_e32 v11, 8, v9
	v_lshlrev_b32_e32 v9, 25, v9
	v_lshrrev_b32_e32 v13, 4, v9
	v_and_or_b32 v15, v11, s6, 0.5
	v_or_b32_e32 v13, 0x70000000, v13
	v_add_f32_e32 v15, -0.5, v15
	v_mul_f32_e32 v13, 0x7800000, v13
	v_cmp_gt_u32_e32 vcc, s7, v9
	v_bfe_i32 v11, v11, 0, 16
	v_cndmask_b32_e32 v9, v13, v15, vcc
	s_brev_b32 s6, 1
	v_and_or_b32 v9, v11, s6, v9
	v_cvt_i32_f32_e32 v9, v9
.LBB39_2537:
	s_mov_b64 s[6:7], 0
	s_mov_b64 s[10:11], -1
.LBB39_2538:
	s_andn2_b64 vcc, exec, s[6:7]
	s_mov_b64 s[6:7], 0
	s_cbranch_vccnz .LBB39_2549
; %bb.2539:
	s_cmp_gt_i32 s18, 14
	s_cbranch_scc0 .LBB39_2542
; %bb.2540:
	s_cmp_eq_u32 s18, 15
	s_cbranch_scc0 .LBB39_2545
; %bb.2541:
	global_load_ushort v9, v[7:8], off
	s_mov_b64 s[0:1], 0
	s_mov_b64 s[10:11], -1
	s_waitcnt vmcnt(0)
	v_lshlrev_b32_e32 v9, 16, v9
	v_cvt_i32_f32_e32 v9, v9
	s_branch .LBB39_2546
.LBB39_2542:
	s_mov_b64 s[16:17], -1
                                        ; implicit-def: $vgpr9
	s_branch .LBB39_2547
.LBB39_2543:
	s_andn2_saveexec_b64 s[6:7], s[6:7]
	s_cbranch_execz .LBB39_2524
.LBB39_2544:
	v_cmp_ne_u16_e32 vcc, 0, v11
	s_andn2_b64 s[10:11], s[10:11], exec
	s_and_b64 s[16:17], vcc, exec
	s_or_b64 s[10:11], s[10:11], s[16:17]
	s_or_b64 exec, exec, s[6:7]
	v_mov_b32_e32 v9, 0
	s_and_saveexec_b64 s[6:7], s[10:11]
	s_cbranch_execnz .LBB39_2525
	s_branch .LBB39_2526
.LBB39_2545:
	s_mov_b64 s[0:1], -1
                                        ; implicit-def: $vgpr9
.LBB39_2546:
	s_mov_b64 s[16:17], 0
.LBB39_2547:
	s_and_b64 vcc, exec, s[16:17]
	s_cbranch_vccz .LBB39_2549
; %bb.2548:
	s_cmp_lg_u32 s18, 11
	s_mov_b64 s[6:7], -1
	s_cselect_b64 s[0:1], -1, 0
.LBB39_2549:
	s_and_b64 vcc, exec, s[0:1]
	s_cbranch_vccnz .LBB39_3082
; %bb.2550:
	s_andn2_b64 vcc, exec, s[6:7]
	s_cbranch_vccnz .LBB39_2552
.LBB39_2551:
	global_load_ubyte v9, v[7:8], off
	s_mov_b64 s[10:11], -1
	s_waitcnt vmcnt(0)
	v_cmp_ne_u16_e32 vcc, 0, v9
	v_cndmask_b32_e64 v9, 0, 1, vcc
.LBB39_2552:
	s_mov_b64 s[0:1], 0
.LBB39_2553:
	s_and_b64 vcc, exec, s[0:1]
	s_cbranch_vccz .LBB39_2602
; %bb.2554:
	s_and_b32 s6, 0xffff, s23
	s_cmp_lt_i32 s6, 5
	s_cbranch_scc1 .LBB39_2559
; %bb.2555:
	s_cmp_lt_i32 s6, 8
	s_cbranch_scc1 .LBB39_2560
; %bb.2556:
	;; [unrolled: 3-line block ×3, first 2 shown]
	s_cmp_gt_i32 s6, 9
	s_cbranch_scc0 .LBB39_2562
; %bb.2558:
	global_load_dwordx2 v[17:18], v[7:8], off
	s_mov_b64 s[0:1], 0
	s_waitcnt vmcnt(0)
	v_cvt_i32_f64_e32 v9, v[17:18]
	s_branch .LBB39_2563
.LBB39_2559:
	s_mov_b64 s[0:1], -1
                                        ; implicit-def: $vgpr9
	s_branch .LBB39_2581
.LBB39_2560:
	s_mov_b64 s[0:1], -1
                                        ; implicit-def: $vgpr9
	s_branch .LBB39_2569
.LBB39_2561:
	s_mov_b64 s[0:1], -1
                                        ; implicit-def: $vgpr9
	s_branch .LBB39_2566
.LBB39_2562:
	s_mov_b64 s[0:1], -1
                                        ; implicit-def: $vgpr9
.LBB39_2563:
	s_andn2_b64 vcc, exec, s[0:1]
	s_cbranch_vccnz .LBB39_2565
; %bb.2564:
	global_load_dword v9, v[7:8], off
	s_waitcnt vmcnt(0)
	v_cvt_i32_f32_e32 v9, v9
.LBB39_2565:
	s_mov_b64 s[0:1], 0
.LBB39_2566:
	s_andn2_b64 vcc, exec, s[0:1]
	s_cbranch_vccnz .LBB39_2568
; %bb.2567:
	global_load_dword v9, v[7:8], off
	s_waitcnt vmcnt(0)
	v_cvt_f32_f16_e32 v9, v9
	v_cvt_i32_f32_e32 v9, v9
.LBB39_2568:
	s_mov_b64 s[0:1], 0
.LBB39_2569:
	s_andn2_b64 vcc, exec, s[0:1]
	s_cbranch_vccnz .LBB39_2580
; %bb.2570:
	s_cmp_lt_i32 s6, 6
	s_cbranch_scc1 .LBB39_2573
; %bb.2571:
	s_cmp_gt_i32 s6, 6
	s_cbranch_scc0 .LBB39_2574
; %bb.2572:
	global_load_dwordx2 v[17:18], v[7:8], off
	s_mov_b64 s[0:1], 0
	s_waitcnt vmcnt(0)
	v_cvt_i32_f64_e32 v9, v[17:18]
	s_branch .LBB39_2575
.LBB39_2573:
	s_mov_b64 s[0:1], -1
                                        ; implicit-def: $vgpr9
	s_branch .LBB39_2578
.LBB39_2574:
	s_mov_b64 s[0:1], -1
                                        ; implicit-def: $vgpr9
.LBB39_2575:
	s_andn2_b64 vcc, exec, s[0:1]
	s_cbranch_vccnz .LBB39_2577
; %bb.2576:
	global_load_dword v9, v[7:8], off
	s_waitcnt vmcnt(0)
	v_cvt_i32_f32_e32 v9, v9
.LBB39_2577:
	s_mov_b64 s[0:1], 0
.LBB39_2578:
	s_andn2_b64 vcc, exec, s[0:1]
	s_cbranch_vccnz .LBB39_2580
; %bb.2579:
	global_load_ushort v9, v[7:8], off
	s_waitcnt vmcnt(0)
	v_cvt_f32_f16_e32 v9, v9
	v_cvt_i32_f32_e32 v9, v9
.LBB39_2580:
	s_mov_b64 s[0:1], 0
.LBB39_2581:
	s_andn2_b64 vcc, exec, s[0:1]
	s_cbranch_vccnz .LBB39_2601
; %bb.2582:
	s_cmp_lt_i32 s6, 2
	s_cbranch_scc1 .LBB39_2586
; %bb.2583:
	s_cmp_lt_i32 s6, 3
	s_cbranch_scc1 .LBB39_2587
; %bb.2584:
	s_cmp_gt_i32 s6, 3
	s_cbranch_scc0 .LBB39_2588
; %bb.2585:
	global_load_dword v9, v[7:8], off
	s_mov_b64 s[0:1], 0
	s_branch .LBB39_2589
.LBB39_2586:
	s_mov_b64 s[0:1], -1
                                        ; implicit-def: $vgpr9
	s_branch .LBB39_2595
.LBB39_2587:
	s_mov_b64 s[0:1], -1
                                        ; implicit-def: $vgpr9
	s_branch .LBB39_2592
.LBB39_2588:
	s_mov_b64 s[0:1], -1
                                        ; implicit-def: $vgpr9
.LBB39_2589:
	s_andn2_b64 vcc, exec, s[0:1]
	s_cbranch_vccnz .LBB39_2591
; %bb.2590:
	global_load_dword v9, v[7:8], off
.LBB39_2591:
	s_mov_b64 s[0:1], 0
.LBB39_2592:
	s_andn2_b64 vcc, exec, s[0:1]
	s_cbranch_vccnz .LBB39_2594
; %bb.2593:
	global_load_sshort v9, v[7:8], off
.LBB39_2594:
	s_mov_b64 s[0:1], 0
.LBB39_2595:
	s_andn2_b64 vcc, exec, s[0:1]
	s_cbranch_vccnz .LBB39_2601
; %bb.2596:
	s_cmp_gt_i32 s6, 0
	s_cbranch_scc0 .LBB39_2598
; %bb.2597:
	global_load_sbyte v9, v[7:8], off
	s_mov_b64 s[0:1], 0
	s_branch .LBB39_2599
.LBB39_2598:
	s_mov_b64 s[0:1], -1
                                        ; implicit-def: $vgpr9
.LBB39_2599:
	s_andn2_b64 vcc, exec, s[0:1]
	s_cbranch_vccnz .LBB39_2601
; %bb.2600:
	global_load_ubyte v9, v[7:8], off
.LBB39_2601:
	s_mov_b64 s[10:11], -1
.LBB39_2602:
	s_andn2_b64 vcc, exec, s[10:11]
	s_cbranch_vccnz .LBB39_3036
; %bb.2603:
	s_load_dwordx2 s[0:1], s[2:3], 0x1a0
	s_waitcnt vmcnt(0)
	v_cmp_ne_u32_e32 vcc, v1, v5
	v_mov_b32_e32 v1, s9
	s_waitcnt lgkmcnt(0)
	s_cmp_eq_u32 s0, 0
	s_cselect_b64 s[2:3], -1, 0
	s_and_b32 s22, s1, 0xff
	s_xor_b64 s[6:7], s[2:3], vcc
	v_add_co_u32_e32 v5, vcc, s8, v6
	s_cmp_lt_i32 s22, 11
	v_addc_co_u32_e32 v6, vcc, 0, v1, vcc
	s_cbranch_scc1 .LBB39_2681
; %bb.2604:
	s_and_b32 s23, 0xffff, s22
	s_mov_b64 s[18:19], -1
	s_mov_b64 s[10:11], 0
	s_cmp_gt_i32 s23, 25
	s_mov_b64 s[16:17], 0
	s_mov_b64 s[0:1], 0
	s_cbranch_scc0 .LBB39_2637
; %bb.2605:
	s_cmp_gt_i32 s23, 28
	s_cbranch_scc0 .LBB39_2620
; %bb.2606:
	s_cmp_gt_i32 s23, 43
	;; [unrolled: 3-line block ×3, first 2 shown]
	s_cbranch_scc0 .LBB39_2610
; %bb.2608:
	s_mov_b64 s[0:1], -1
	s_mov_b64 s[18:19], 0
	s_cmp_eq_u32 s23, 46
	s_cbranch_scc0 .LBB39_2610
; %bb.2609:
	v_cndmask_b32_e64 v1, 0, 1.0, s[6:7]
	v_bfe_u32 v7, v1, 16, 1
	s_movk_i32 s0, 0x7fff
	v_add3_u32 v1, v1, v7, s0
	v_lshrrev_b32_e32 v1, 16, v1
	global_store_dword v[5:6], v1, off
	s_mov_b64 s[0:1], 0
	s_mov_b64 s[16:17], -1
.LBB39_2610:
	s_and_b64 vcc, exec, s[18:19]
	s_cbranch_vccz .LBB39_2615
; %bb.2611:
	s_cmp_eq_u32 s23, 44
	s_mov_b64 s[0:1], -1
	s_cbranch_scc0 .LBB39_2615
; %bb.2612:
	v_cndmask_b32_e64 v7, 0, 1.0, s[6:7]
	v_lshrrev_b32_e32 v1, 23, v7
	s_movk_i32 s0, 0xff
	v_cmp_ne_u32_e32 vcc, s0, v1
	v_mov_b32_e32 v8, 0xff
	s_and_saveexec_b64 s[16:17], vcc
; %bb.2613:
	s_mov_b32 s0, 0x3fffff
	v_and_b32_e32 v8, 0x400000, v7
	v_and_or_b32 v7, v7, s0, v1
	v_cmp_ne_u32_e32 vcc, 0, v8
	v_cmp_ne_u32_e64 s[0:1], 0, v7
	s_and_b64 s[0:1], vcc, s[0:1]
	v_cndmask_b32_e64 v7, 0, 1, s[0:1]
	v_add_u32_e32 v8, v1, v7
; %bb.2614:
	s_or_b64 exec, exec, s[16:17]
	s_mov_b64 s[0:1], 0
	s_mov_b64 s[16:17], -1
	global_store_byte v[5:6], v8, off
.LBB39_2615:
	s_mov_b64 s[18:19], 0
.LBB39_2616:
	s_and_b64 vcc, exec, s[18:19]
	s_cbranch_vccz .LBB39_2619
; %bb.2617:
	s_cmp_eq_u32 s23, 29
	s_mov_b64 s[0:1], -1
	s_cbranch_scc0 .LBB39_2619
; %bb.2618:
	s_mov_b32 s0, 0
	v_cndmask_b32_e64 v7, 0, 1, s[6:7]
	v_mov_b32_e32 v8, s0
	global_store_dwordx2 v[5:6], v[7:8], off
	s_mov_b64 s[0:1], 0
	s_mov_b64 s[16:17], -1
.LBB39_2619:
	s_mov_b64 s[18:19], 0
.LBB39_2620:
	s_and_b64 vcc, exec, s[18:19]
	s_cbranch_vccz .LBB39_2636
; %bb.2621:
	s_cmp_lt_i32 s23, 27
	s_mov_b64 s[16:17], -1
	s_cbranch_scc1 .LBB39_2627
; %bb.2622:
	s_cmp_gt_i32 s23, 27
	s_cbranch_scc0 .LBB39_2624
; %bb.2623:
	v_cndmask_b32_e64 v1, 0, 1, s[6:7]
	s_mov_b64 s[16:17], 0
	global_store_dword v[5:6], v1, off
.LBB39_2624:
	s_andn2_b64 vcc, exec, s[16:17]
	s_cbranch_vccnz .LBB39_2626
; %bb.2625:
	v_cndmask_b32_e64 v1, 0, 1, s[6:7]
	global_store_short v[5:6], v1, off
.LBB39_2626:
	s_mov_b64 s[16:17], 0
.LBB39_2627:
	s_andn2_b64 vcc, exec, s[16:17]
	s_cbranch_vccnz .LBB39_2635
; %bb.2628:
	v_cndmask_b32_e64 v7, 0, 1.0, s[6:7]
	s_mov_b32 s16, 0x43800000
	v_cmp_gt_u32_e32 vcc, s16, v7
	v_mov_b32_e32 v8, 0x80
	s_and_saveexec_b64 s[16:17], vcc
	s_cbranch_execz .LBB39_2634
; %bb.2629:
	s_mov_b32 s18, 0x3bffffff
	v_cmp_lt_u32_e32 vcc, s18, v7
	s_mov_b64 s[18:19], 0
                                        ; implicit-def: $vgpr1
	s_and_saveexec_b64 s[20:21], vcc
	s_xor_b64 s[20:21], exec, s[20:21]
	s_cbranch_execz .LBB39_3083
; %bb.2630:
	v_bfe_u32 v1, v7, 20, 1
	s_mov_b32 s24, 0x487ffff
	v_add3_u32 v1, v7, v1, s24
	s_mov_b64 s[18:19], exec
	v_lshrrev_b32_e32 v1, 20, v1
                                        ; implicit-def: $vgpr7
	s_andn2_saveexec_b64 s[20:21], s[20:21]
	s_cbranch_execnz .LBB39_3084
.LBB39_2631:
	s_or_b64 exec, exec, s[20:21]
	v_mov_b32_e32 v8, 0
	s_and_saveexec_b64 s[20:21], s[18:19]
.LBB39_2632:
	v_mov_b32_e32 v8, v1
.LBB39_2633:
	s_or_b64 exec, exec, s[20:21]
.LBB39_2634:
	s_or_b64 exec, exec, s[16:17]
	global_store_byte v[5:6], v8, off
.LBB39_2635:
	s_mov_b64 s[16:17], -1
.LBB39_2636:
	s_mov_b64 s[18:19], 0
.LBB39_2637:
	s_and_b64 vcc, exec, s[18:19]
	s_cbranch_vccz .LBB39_2677
; %bb.2638:
	s_cmp_gt_i32 s23, 22
	s_mov_b64 s[10:11], -1
	s_cbranch_scc0 .LBB39_2670
; %bb.2639:
	s_cmp_lt_i32 s23, 24
	s_cbranch_scc1 .LBB39_2659
; %bb.2640:
	s_cmp_gt_i32 s23, 24
	s_cbranch_scc0 .LBB39_2648
; %bb.2641:
	v_cndmask_b32_e64 v7, 0, 1.0, s[6:7]
	s_mov_b32 s10, 0x47800000
	v_cmp_gt_u32_e32 vcc, s10, v7
	v_mov_b32_e32 v8, 0x80
	s_and_saveexec_b64 s[10:11], vcc
	s_cbranch_execz .LBB39_2647
; %bb.2642:
	s_mov_b32 s16, 0x37ffffff
	v_cmp_lt_u32_e32 vcc, s16, v7
	s_mov_b64 s[16:17], 0
                                        ; implicit-def: $vgpr1
	s_and_saveexec_b64 s[18:19], vcc
	s_xor_b64 s[18:19], exec, s[18:19]
	s_cbranch_execz .LBB39_3086
; %bb.2643:
	v_bfe_u32 v1, v7, 21, 1
	s_mov_b32 s20, 0x88fffff
	v_add3_u32 v1, v7, v1, s20
	s_mov_b64 s[16:17], exec
	v_lshrrev_b32_e32 v1, 21, v1
                                        ; implicit-def: $vgpr7
	s_andn2_saveexec_b64 s[18:19], s[18:19]
	s_cbranch_execnz .LBB39_3087
.LBB39_2644:
	s_or_b64 exec, exec, s[18:19]
	v_mov_b32_e32 v8, 0
	s_and_saveexec_b64 s[18:19], s[16:17]
.LBB39_2645:
	v_mov_b32_e32 v8, v1
.LBB39_2646:
	s_or_b64 exec, exec, s[18:19]
.LBB39_2647:
	s_or_b64 exec, exec, s[10:11]
	s_mov_b64 s[10:11], 0
	global_store_byte v[5:6], v8, off
.LBB39_2648:
	s_and_b64 vcc, exec, s[10:11]
	s_cbranch_vccz .LBB39_2658
; %bb.2649:
	v_cndmask_b32_e64 v1, 0, 1.0, s[6:7]
	s_mov_b32 s10, 0x43f00000
	v_cmp_gt_u32_e32 vcc, s10, v1
                                        ; implicit-def: $vgpr7
	s_and_saveexec_b64 s[10:11], vcc
	s_xor_b64 s[10:11], exec, s[10:11]
	s_cbranch_execz .LBB39_2655
; %bb.2650:
	s_mov_b32 s16, 0x3c7fffff
	v_cmp_lt_u32_e32 vcc, s16, v1
                                        ; implicit-def: $vgpr7
	s_and_saveexec_b64 s[16:17], vcc
	s_xor_b64 s[16:17], exec, s[16:17]
; %bb.2651:
	v_bfe_u32 v7, v1, 20, 1
	s_mov_b32 s18, 0x407ffff
	v_add3_u32 v1, v1, v7, s18
	v_lshrrev_b32_e32 v7, 20, v1
	v_and_b32_e32 v1, 0xff00000, v1
	s_mov_b32 s18, 0x7f00000
	v_mov_b32_e32 v8, 0x7e
	v_cmp_ne_u32_e32 vcc, s18, v1
	v_cndmask_b32_e32 v7, v8, v7, vcc
                                        ; implicit-def: $vgpr1
; %bb.2652:
	s_andn2_saveexec_b64 s[16:17], s[16:17]
; %bb.2653:
	v_add_f32_e32 v7, 0x46800000, v1
; %bb.2654:
	s_or_b64 exec, exec, s[16:17]
                                        ; implicit-def: $vgpr1
.LBB39_2655:
	s_andn2_saveexec_b64 s[10:11], s[10:11]
; %bb.2656:
	s_mov_b32 s16, 0x7f800000
	v_mov_b32_e32 v7, 0x7e
	v_mov_b32_e32 v8, 0x7f
	v_cmp_lt_u32_e32 vcc, s16, v1
	v_cndmask_b32_e32 v7, v7, v8, vcc
; %bb.2657:
	s_or_b64 exec, exec, s[10:11]
	global_store_byte v[5:6], v7, off
.LBB39_2658:
	s_mov_b64 s[10:11], 0
.LBB39_2659:
	s_andn2_b64 vcc, exec, s[10:11]
	s_cbranch_vccnz .LBB39_2669
; %bb.2660:
	v_cndmask_b32_e64 v1, 0, 1.0, s[6:7]
	s_mov_b32 s10, 0x47800000
	v_cmp_gt_u32_e32 vcc, s10, v1
                                        ; implicit-def: $vgpr7
	s_and_saveexec_b64 s[10:11], vcc
	s_xor_b64 s[10:11], exec, s[10:11]
	s_cbranch_execz .LBB39_2666
; %bb.2661:
	s_mov_b32 s16, 0x387fffff
	v_cmp_lt_u32_e32 vcc, s16, v1
                                        ; implicit-def: $vgpr7
	s_and_saveexec_b64 s[16:17], vcc
	s_xor_b64 s[16:17], exec, s[16:17]
; %bb.2662:
	v_bfe_u32 v7, v1, 21, 1
	s_mov_b32 s18, 0x80fffff
	v_add3_u32 v1, v1, v7, s18
	v_lshrrev_b32_e32 v7, 21, v1
                                        ; implicit-def: $vgpr1
; %bb.2663:
	s_andn2_saveexec_b64 s[16:17], s[16:17]
; %bb.2664:
	v_add_f32_e32 v7, 0x43000000, v1
; %bb.2665:
	s_or_b64 exec, exec, s[16:17]
                                        ; implicit-def: $vgpr1
.LBB39_2666:
	s_andn2_saveexec_b64 s[10:11], s[10:11]
; %bb.2667:
	s_mov_b32 s16, 0x7f800000
	v_mov_b32_e32 v7, 0x7c
	v_mov_b32_e32 v8, 0x7f
	v_cmp_lt_u32_e32 vcc, s16, v1
	v_cndmask_b32_e32 v7, v7, v8, vcc
; %bb.2668:
	s_or_b64 exec, exec, s[10:11]
	global_store_byte v[5:6], v7, off
.LBB39_2669:
	s_mov_b64 s[10:11], 0
	s_mov_b64 s[16:17], -1
.LBB39_2670:
	s_andn2_b64 vcc, exec, s[10:11]
	s_mov_b64 s[10:11], 0
	s_cbranch_vccnz .LBB39_2677
; %bb.2671:
	s_cmp_gt_i32 s23, 14
	s_mov_b64 s[18:19], -1
	s_cbranch_scc0 .LBB39_2675
; %bb.2672:
	s_cmp_eq_u32 s23, 15
	s_mov_b64 s[0:1], -1
	s_cbranch_scc0 .LBB39_2674
; %bb.2673:
	v_cndmask_b32_e64 v1, 0, 1.0, s[6:7]
	v_bfe_u32 v7, v1, 16, 1
	s_movk_i32 s0, 0x7fff
	v_add3_u32 v1, v1, v7, s0
	global_store_short_d16_hi v[5:6], v1, off
	s_mov_b64 s[0:1], 0
	s_mov_b64 s[16:17], -1
.LBB39_2674:
	s_mov_b64 s[18:19], 0
.LBB39_2675:
	s_and_b64 vcc, exec, s[18:19]
	s_cbranch_vccz .LBB39_2677
; %bb.2676:
	s_cmp_lg_u32 s23, 11
	s_mov_b64 s[10:11], -1
	s_cselect_b64 s[0:1], -1, 0
.LBB39_2677:
	s_and_b64 vcc, exec, s[0:1]
	s_cbranch_vccnz .LBB39_3085
; %bb.2678:
	s_andn2_b64 vcc, exec, s[10:11]
	s_cbranch_vccnz .LBB39_2680
.LBB39_2679:
	v_cndmask_b32_e64 v1, 0, 1, s[6:7]
	s_mov_b64 s[16:17], -1
	global_store_byte v[5:6], v1, off
.LBB39_2680:
	s_mov_b64 s[0:1], 0
	s_branch .LBB39_2682
.LBB39_2681:
	s_mov_b64 s[0:1], -1
	s_mov_b64 s[16:17], 0
.LBB39_2682:
	s_and_b64 vcc, exec, s[0:1]
	s_cbranch_vccz .LBB39_2721
; %bb.2683:
	s_and_b32 s10, 0xffff, s22
	s_cmp_lt_i32 s10, 5
	s_mov_b64 s[0:1], -1
	s_cbranch_scc1 .LBB39_2704
; %bb.2684:
	s_cmp_lt_i32 s10, 8
	s_cbranch_scc1 .LBB39_2694
; %bb.2685:
	s_cmp_lt_i32 s10, 9
	s_cbranch_scc1 .LBB39_2691
; %bb.2686:
	s_cmp_gt_i32 s10, 9
	s_cbranch_scc0 .LBB39_2688
; %bb.2687:
	v_cndmask_b32_e64 v1, 0, 1, s[6:7]
	v_cvt_f64_u32_e32 v[17:18], v1
	v_mov_b32_e32 v19, 0
	v_mov_b32_e32 v20, v19
	s_mov_b64 s[0:1], 0
	global_store_dwordx4 v[5:6], v[17:20], off
.LBB39_2688:
	s_andn2_b64 vcc, exec, s[0:1]
	s_cbranch_vccnz .LBB39_2690
; %bb.2689:
	v_cndmask_b32_e64 v7, 0, 1.0, s[6:7]
	v_mov_b32_e32 v8, 0
	global_store_dwordx2 v[5:6], v[7:8], off
.LBB39_2690:
	s_mov_b64 s[0:1], 0
.LBB39_2691:
	s_andn2_b64 vcc, exec, s[0:1]
	s_cbranch_vccnz .LBB39_2693
; %bb.2692:
	v_cndmask_b32_e64 v1, 0, 1.0, s[6:7]
	v_cvt_f16_f32_e32 v1, v1
	global_store_dword v[5:6], v1, off
.LBB39_2693:
	s_mov_b64 s[0:1], 0
.LBB39_2694:
	s_andn2_b64 vcc, exec, s[0:1]
	s_cbranch_vccnz .LBB39_2703
; %bb.2695:
	s_cmp_lt_i32 s10, 6
	s_mov_b64 s[0:1], -1
	s_cbranch_scc1 .LBB39_2701
; %bb.2696:
	s_cmp_gt_i32 s10, 6
	s_cbranch_scc0 .LBB39_2698
; %bb.2697:
	v_cndmask_b32_e64 v1, 0, 1, s[6:7]
	v_cvt_f64_u32_e32 v[7:8], v1
	s_mov_b64 s[0:1], 0
	global_store_dwordx2 v[5:6], v[7:8], off
.LBB39_2698:
	s_andn2_b64 vcc, exec, s[0:1]
	s_cbranch_vccnz .LBB39_2700
; %bb.2699:
	v_cndmask_b32_e64 v1, 0, 1.0, s[6:7]
	global_store_dword v[5:6], v1, off
.LBB39_2700:
	s_mov_b64 s[0:1], 0
.LBB39_2701:
	s_andn2_b64 vcc, exec, s[0:1]
	s_cbranch_vccnz .LBB39_2703
; %bb.2702:
	v_cndmask_b32_e64 v1, 0, 1.0, s[6:7]
	v_cvt_f16_f32_e32 v1, v1
	global_store_short v[5:6], v1, off
.LBB39_2703:
	s_mov_b64 s[0:1], 0
.LBB39_2704:
	s_andn2_b64 vcc, exec, s[0:1]
	s_cbranch_vccnz .LBB39_2720
; %bb.2705:
	s_cmp_lt_i32 s10, 2
	s_mov_b64 s[0:1], -1
	s_cbranch_scc1 .LBB39_2715
; %bb.2706:
	s_cmp_lt_i32 s10, 3
	s_cbranch_scc1 .LBB39_2712
; %bb.2707:
	s_cmp_gt_i32 s10, 3
	s_cbranch_scc0 .LBB39_2709
; %bb.2708:
	s_mov_b32 s0, 0
	v_cndmask_b32_e64 v7, 0, 1, s[6:7]
	v_mov_b32_e32 v8, s0
	global_store_dwordx2 v[5:6], v[7:8], off
	s_mov_b64 s[0:1], 0
.LBB39_2709:
	s_andn2_b64 vcc, exec, s[0:1]
	s_cbranch_vccnz .LBB39_2711
; %bb.2710:
	v_cndmask_b32_e64 v1, 0, 1, s[6:7]
	global_store_dword v[5:6], v1, off
.LBB39_2711:
	s_mov_b64 s[0:1], 0
.LBB39_2712:
	s_andn2_b64 vcc, exec, s[0:1]
	s_cbranch_vccnz .LBB39_2714
; %bb.2713:
	v_cndmask_b32_e64 v1, 0, 1, s[6:7]
	global_store_short v[5:6], v1, off
.LBB39_2714:
	s_mov_b64 s[0:1], 0
.LBB39_2715:
	s_andn2_b64 vcc, exec, s[0:1]
	s_cbranch_vccnz .LBB39_2720
; %bb.2716:
	s_mov_b64 s[0:1], -1
	s_cmp_gt_i32 s10, 0
	v_cndmask_b32_e64 v1, 0, 1, s[6:7]
	s_cbranch_scc0 .LBB39_2718
; %bb.2717:
	global_store_byte v[5:6], v1, off
	s_mov_b64 s[0:1], 0
.LBB39_2718:
	s_andn2_b64 vcc, exec, s[0:1]
	s_cbranch_vccnz .LBB39_2720
; %bb.2719:
	global_store_byte v[5:6], v1, off
.LBB39_2720:
	s_mov_b64 s[16:17], -1
.LBB39_2721:
	s_andn2_b64 vcc, exec, s[16:17]
	s_cbranch_vccnz .LBB39_3036
; %bb.2722:
	v_cmp_ne_u32_e32 vcc, v3, v16
	s_xor_b64 s[6:7], s[2:3], vcc
	v_mov_b32_e32 v1, s9
	s_and_b32 s23, 0xffff, s22
	v_add_co_u32_e32 v3, vcc, s8, v4
	s_cmp_lt_i32 s23, 11
	v_addc_co_u32_e32 v4, vcc, 0, v1, vcc
	s_cbranch_scc1 .LBB39_2800
; %bb.2723:
	s_mov_b64 s[18:19], -1
	s_mov_b64 s[10:11], 0
	s_cmp_gt_i32 s23, 25
	s_mov_b64 s[16:17], 0
	s_mov_b64 s[0:1], 0
	s_cbranch_scc0 .LBB39_2756
; %bb.2724:
	s_cmp_gt_i32 s23, 28
	s_cbranch_scc0 .LBB39_2739
; %bb.2725:
	s_cmp_gt_i32 s23, 43
	;; [unrolled: 3-line block ×3, first 2 shown]
	s_cbranch_scc0 .LBB39_2729
; %bb.2727:
	s_mov_b64 s[0:1], -1
	s_mov_b64 s[18:19], 0
	s_cmp_eq_u32 s23, 46
	s_cbranch_scc0 .LBB39_2729
; %bb.2728:
	v_cndmask_b32_e64 v1, 0, 1.0, s[6:7]
	v_bfe_u32 v5, v1, 16, 1
	s_movk_i32 s0, 0x7fff
	v_add3_u32 v1, v1, v5, s0
	v_lshrrev_b32_e32 v1, 16, v1
	global_store_dword v[3:4], v1, off
	s_mov_b64 s[0:1], 0
	s_mov_b64 s[16:17], -1
.LBB39_2729:
	s_and_b64 vcc, exec, s[18:19]
	s_cbranch_vccz .LBB39_2734
; %bb.2730:
	s_cmp_eq_u32 s23, 44
	s_mov_b64 s[0:1], -1
	s_cbranch_scc0 .LBB39_2734
; %bb.2731:
	v_cndmask_b32_e64 v5, 0, 1.0, s[6:7]
	v_lshrrev_b32_e32 v1, 23, v5
	s_movk_i32 s0, 0xff
	v_cmp_ne_u32_e32 vcc, s0, v1
	v_mov_b32_e32 v6, 0xff
	s_and_saveexec_b64 s[16:17], vcc
; %bb.2732:
	s_mov_b32 s0, 0x3fffff
	v_and_b32_e32 v6, 0x400000, v5
	v_and_or_b32 v5, v5, s0, v1
	v_cmp_ne_u32_e32 vcc, 0, v6
	v_cmp_ne_u32_e64 s[0:1], 0, v5
	s_and_b64 s[0:1], vcc, s[0:1]
	v_cndmask_b32_e64 v5, 0, 1, s[0:1]
	v_add_u32_e32 v6, v1, v5
; %bb.2733:
	s_or_b64 exec, exec, s[16:17]
	s_mov_b64 s[0:1], 0
	s_mov_b64 s[16:17], -1
	global_store_byte v[3:4], v6, off
.LBB39_2734:
	s_mov_b64 s[18:19], 0
.LBB39_2735:
	s_and_b64 vcc, exec, s[18:19]
	s_cbranch_vccz .LBB39_2738
; %bb.2736:
	s_cmp_eq_u32 s23, 29
	s_mov_b64 s[0:1], -1
	s_cbranch_scc0 .LBB39_2738
; %bb.2737:
	s_mov_b32 s0, 0
	v_cndmask_b32_e64 v5, 0, 1, s[6:7]
	v_mov_b32_e32 v6, s0
	global_store_dwordx2 v[3:4], v[5:6], off
	s_mov_b64 s[0:1], 0
	s_mov_b64 s[16:17], -1
.LBB39_2738:
	s_mov_b64 s[18:19], 0
.LBB39_2739:
	s_and_b64 vcc, exec, s[18:19]
	s_cbranch_vccz .LBB39_2755
; %bb.2740:
	s_cmp_lt_i32 s23, 27
	s_mov_b64 s[16:17], -1
	s_cbranch_scc1 .LBB39_2746
; %bb.2741:
	s_cmp_gt_i32 s23, 27
	s_cbranch_scc0 .LBB39_2743
; %bb.2742:
	v_cndmask_b32_e64 v1, 0, 1, s[6:7]
	s_mov_b64 s[16:17], 0
	global_store_dword v[3:4], v1, off
.LBB39_2743:
	s_andn2_b64 vcc, exec, s[16:17]
	s_cbranch_vccnz .LBB39_2745
; %bb.2744:
	v_cndmask_b32_e64 v1, 0, 1, s[6:7]
	global_store_short v[3:4], v1, off
.LBB39_2745:
	s_mov_b64 s[16:17], 0
.LBB39_2746:
	s_andn2_b64 vcc, exec, s[16:17]
	s_cbranch_vccnz .LBB39_2754
; %bb.2747:
	v_cndmask_b32_e64 v5, 0, 1.0, s[6:7]
	s_mov_b32 s16, 0x43800000
	v_cmp_gt_u32_e32 vcc, s16, v5
	v_mov_b32_e32 v6, 0x80
	s_and_saveexec_b64 s[16:17], vcc
	s_cbranch_execz .LBB39_2753
; %bb.2748:
	s_mov_b32 s18, 0x3bffffff
	v_cmp_lt_u32_e32 vcc, s18, v5
	s_mov_b64 s[18:19], 0
                                        ; implicit-def: $vgpr1
	s_and_saveexec_b64 s[20:21], vcc
	s_xor_b64 s[20:21], exec, s[20:21]
	s_cbranch_execz .LBB39_3088
; %bb.2749:
	v_bfe_u32 v1, v5, 20, 1
	s_mov_b32 s24, 0x487ffff
	v_add3_u32 v1, v5, v1, s24
	s_mov_b64 s[18:19], exec
	v_lshrrev_b32_e32 v1, 20, v1
                                        ; implicit-def: $vgpr5
	s_andn2_saveexec_b64 s[20:21], s[20:21]
	s_cbranch_execnz .LBB39_3089
.LBB39_2750:
	s_or_b64 exec, exec, s[20:21]
	v_mov_b32_e32 v6, 0
	s_and_saveexec_b64 s[20:21], s[18:19]
.LBB39_2751:
	v_mov_b32_e32 v6, v1
.LBB39_2752:
	s_or_b64 exec, exec, s[20:21]
.LBB39_2753:
	s_or_b64 exec, exec, s[16:17]
	global_store_byte v[3:4], v6, off
.LBB39_2754:
	s_mov_b64 s[16:17], -1
.LBB39_2755:
	s_mov_b64 s[18:19], 0
.LBB39_2756:
	s_and_b64 vcc, exec, s[18:19]
	s_cbranch_vccz .LBB39_2796
; %bb.2757:
	s_cmp_gt_i32 s23, 22
	s_mov_b64 s[10:11], -1
	s_cbranch_scc0 .LBB39_2789
; %bb.2758:
	s_cmp_lt_i32 s23, 24
	s_cbranch_scc1 .LBB39_2778
; %bb.2759:
	s_cmp_gt_i32 s23, 24
	s_cbranch_scc0 .LBB39_2767
; %bb.2760:
	v_cndmask_b32_e64 v5, 0, 1.0, s[6:7]
	s_mov_b32 s10, 0x47800000
	v_cmp_gt_u32_e32 vcc, s10, v5
	v_mov_b32_e32 v6, 0x80
	s_and_saveexec_b64 s[10:11], vcc
	s_cbranch_execz .LBB39_2766
; %bb.2761:
	s_mov_b32 s16, 0x37ffffff
	v_cmp_lt_u32_e32 vcc, s16, v5
	s_mov_b64 s[16:17], 0
                                        ; implicit-def: $vgpr1
	s_and_saveexec_b64 s[18:19], vcc
	s_xor_b64 s[18:19], exec, s[18:19]
	s_cbranch_execz .LBB39_3091
; %bb.2762:
	v_bfe_u32 v1, v5, 21, 1
	s_mov_b32 s20, 0x88fffff
	v_add3_u32 v1, v5, v1, s20
	s_mov_b64 s[16:17], exec
	v_lshrrev_b32_e32 v1, 21, v1
                                        ; implicit-def: $vgpr5
	s_andn2_saveexec_b64 s[18:19], s[18:19]
	s_cbranch_execnz .LBB39_3092
.LBB39_2763:
	s_or_b64 exec, exec, s[18:19]
	v_mov_b32_e32 v6, 0
	s_and_saveexec_b64 s[18:19], s[16:17]
.LBB39_2764:
	v_mov_b32_e32 v6, v1
.LBB39_2765:
	s_or_b64 exec, exec, s[18:19]
.LBB39_2766:
	s_or_b64 exec, exec, s[10:11]
	s_mov_b64 s[10:11], 0
	global_store_byte v[3:4], v6, off
.LBB39_2767:
	s_and_b64 vcc, exec, s[10:11]
	s_cbranch_vccz .LBB39_2777
; %bb.2768:
	v_cndmask_b32_e64 v1, 0, 1.0, s[6:7]
	s_mov_b32 s10, 0x43f00000
	v_cmp_gt_u32_e32 vcc, s10, v1
                                        ; implicit-def: $vgpr5
	s_and_saveexec_b64 s[10:11], vcc
	s_xor_b64 s[10:11], exec, s[10:11]
	s_cbranch_execz .LBB39_2774
; %bb.2769:
	s_mov_b32 s16, 0x3c7fffff
	v_cmp_lt_u32_e32 vcc, s16, v1
                                        ; implicit-def: $vgpr5
	s_and_saveexec_b64 s[16:17], vcc
	s_xor_b64 s[16:17], exec, s[16:17]
; %bb.2770:
	v_bfe_u32 v5, v1, 20, 1
	s_mov_b32 s18, 0x407ffff
	v_add3_u32 v1, v1, v5, s18
	v_lshrrev_b32_e32 v5, 20, v1
	v_and_b32_e32 v1, 0xff00000, v1
	s_mov_b32 s18, 0x7f00000
	v_mov_b32_e32 v6, 0x7e
	v_cmp_ne_u32_e32 vcc, s18, v1
	v_cndmask_b32_e32 v5, v6, v5, vcc
                                        ; implicit-def: $vgpr1
; %bb.2771:
	s_andn2_saveexec_b64 s[16:17], s[16:17]
; %bb.2772:
	v_add_f32_e32 v5, 0x46800000, v1
; %bb.2773:
	s_or_b64 exec, exec, s[16:17]
                                        ; implicit-def: $vgpr1
.LBB39_2774:
	s_andn2_saveexec_b64 s[10:11], s[10:11]
; %bb.2775:
	s_mov_b32 s16, 0x7f800000
	v_mov_b32_e32 v5, 0x7e
	v_mov_b32_e32 v6, 0x7f
	v_cmp_lt_u32_e32 vcc, s16, v1
	v_cndmask_b32_e32 v5, v5, v6, vcc
; %bb.2776:
	s_or_b64 exec, exec, s[10:11]
	global_store_byte v[3:4], v5, off
.LBB39_2777:
	s_mov_b64 s[10:11], 0
.LBB39_2778:
	s_andn2_b64 vcc, exec, s[10:11]
	s_cbranch_vccnz .LBB39_2788
; %bb.2779:
	v_cndmask_b32_e64 v1, 0, 1.0, s[6:7]
	s_mov_b32 s10, 0x47800000
	v_cmp_gt_u32_e32 vcc, s10, v1
                                        ; implicit-def: $vgpr5
	s_and_saveexec_b64 s[10:11], vcc
	s_xor_b64 s[10:11], exec, s[10:11]
	s_cbranch_execz .LBB39_2785
; %bb.2780:
	s_mov_b32 s16, 0x387fffff
	v_cmp_lt_u32_e32 vcc, s16, v1
                                        ; implicit-def: $vgpr5
	s_and_saveexec_b64 s[16:17], vcc
	s_xor_b64 s[16:17], exec, s[16:17]
; %bb.2781:
	v_bfe_u32 v5, v1, 21, 1
	s_mov_b32 s18, 0x80fffff
	v_add3_u32 v1, v1, v5, s18
	v_lshrrev_b32_e32 v5, 21, v1
                                        ; implicit-def: $vgpr1
; %bb.2782:
	s_andn2_saveexec_b64 s[16:17], s[16:17]
; %bb.2783:
	v_add_f32_e32 v5, 0x43000000, v1
; %bb.2784:
	s_or_b64 exec, exec, s[16:17]
                                        ; implicit-def: $vgpr1
.LBB39_2785:
	s_andn2_saveexec_b64 s[10:11], s[10:11]
; %bb.2786:
	s_mov_b32 s16, 0x7f800000
	v_mov_b32_e32 v5, 0x7c
	v_mov_b32_e32 v6, 0x7f
	v_cmp_lt_u32_e32 vcc, s16, v1
	v_cndmask_b32_e32 v5, v5, v6, vcc
; %bb.2787:
	s_or_b64 exec, exec, s[10:11]
	global_store_byte v[3:4], v5, off
.LBB39_2788:
	s_mov_b64 s[10:11], 0
	s_mov_b64 s[16:17], -1
.LBB39_2789:
	s_andn2_b64 vcc, exec, s[10:11]
	s_mov_b64 s[10:11], 0
	s_cbranch_vccnz .LBB39_2796
; %bb.2790:
	s_cmp_gt_i32 s23, 14
	s_mov_b64 s[18:19], -1
	s_cbranch_scc0 .LBB39_2794
; %bb.2791:
	s_cmp_eq_u32 s23, 15
	s_mov_b64 s[0:1], -1
	s_cbranch_scc0 .LBB39_2793
; %bb.2792:
	v_cndmask_b32_e64 v1, 0, 1.0, s[6:7]
	v_bfe_u32 v5, v1, 16, 1
	s_movk_i32 s0, 0x7fff
	v_add3_u32 v1, v1, v5, s0
	global_store_short_d16_hi v[3:4], v1, off
	s_mov_b64 s[0:1], 0
	s_mov_b64 s[16:17], -1
.LBB39_2793:
	s_mov_b64 s[18:19], 0
.LBB39_2794:
	s_and_b64 vcc, exec, s[18:19]
	s_cbranch_vccz .LBB39_2796
; %bb.2795:
	s_cmp_lg_u32 s23, 11
	s_mov_b64 s[10:11], -1
	s_cselect_b64 s[0:1], -1, 0
.LBB39_2796:
	s_and_b64 vcc, exec, s[0:1]
	s_cbranch_vccnz .LBB39_3090
; %bb.2797:
	s_andn2_b64 vcc, exec, s[10:11]
	s_cbranch_vccnz .LBB39_2799
.LBB39_2798:
	v_cndmask_b32_e64 v1, 0, 1, s[6:7]
	s_mov_b64 s[16:17], -1
	global_store_byte v[3:4], v1, off
.LBB39_2799:
	s_mov_b64 s[0:1], 0
	s_branch .LBB39_2801
.LBB39_2800:
	s_mov_b64 s[0:1], -1
	s_mov_b64 s[16:17], 0
.LBB39_2801:
	s_and_b64 vcc, exec, s[0:1]
	s_cbranch_vccz .LBB39_2840
; %bb.2802:
	s_cmp_lt_i32 s23, 5
	s_mov_b64 s[0:1], -1
	s_cbranch_scc1 .LBB39_2823
; %bb.2803:
	s_cmp_lt_i32 s23, 8
	s_cbranch_scc1 .LBB39_2813
; %bb.2804:
	s_cmp_lt_i32 s23, 9
	s_cbranch_scc1 .LBB39_2810
; %bb.2805:
	s_cmp_gt_i32 s23, 9
	s_cbranch_scc0 .LBB39_2807
; %bb.2806:
	v_cndmask_b32_e64 v1, 0, 1, s[6:7]
	v_cvt_f64_u32_e32 v[5:6], v1
	v_mov_b32_e32 v7, 0
	v_mov_b32_e32 v8, v7
	s_mov_b64 s[0:1], 0
	global_store_dwordx4 v[3:4], v[5:8], off
.LBB39_2807:
	s_andn2_b64 vcc, exec, s[0:1]
	s_cbranch_vccnz .LBB39_2809
; %bb.2808:
	v_cndmask_b32_e64 v5, 0, 1.0, s[6:7]
	v_mov_b32_e32 v6, 0
	global_store_dwordx2 v[3:4], v[5:6], off
.LBB39_2809:
	s_mov_b64 s[0:1], 0
.LBB39_2810:
	s_andn2_b64 vcc, exec, s[0:1]
	s_cbranch_vccnz .LBB39_2812
; %bb.2811:
	v_cndmask_b32_e64 v1, 0, 1.0, s[6:7]
	v_cvt_f16_f32_e32 v1, v1
	global_store_dword v[3:4], v1, off
.LBB39_2812:
	s_mov_b64 s[0:1], 0
.LBB39_2813:
	s_andn2_b64 vcc, exec, s[0:1]
	s_cbranch_vccnz .LBB39_2822
; %bb.2814:
	s_cmp_lt_i32 s23, 6
	s_mov_b64 s[0:1], -1
	s_cbranch_scc1 .LBB39_2820
; %bb.2815:
	s_cmp_gt_i32 s23, 6
	s_cbranch_scc0 .LBB39_2817
; %bb.2816:
	v_cndmask_b32_e64 v1, 0, 1, s[6:7]
	v_cvt_f64_u32_e32 v[5:6], v1
	s_mov_b64 s[0:1], 0
	global_store_dwordx2 v[3:4], v[5:6], off
.LBB39_2817:
	s_andn2_b64 vcc, exec, s[0:1]
	s_cbranch_vccnz .LBB39_2819
; %bb.2818:
	v_cndmask_b32_e64 v1, 0, 1.0, s[6:7]
	global_store_dword v[3:4], v1, off
.LBB39_2819:
	s_mov_b64 s[0:1], 0
.LBB39_2820:
	s_andn2_b64 vcc, exec, s[0:1]
	s_cbranch_vccnz .LBB39_2822
; %bb.2821:
	v_cndmask_b32_e64 v1, 0, 1.0, s[6:7]
	v_cvt_f16_f32_e32 v1, v1
	global_store_short v[3:4], v1, off
.LBB39_2822:
	s_mov_b64 s[0:1], 0
.LBB39_2823:
	s_andn2_b64 vcc, exec, s[0:1]
	s_cbranch_vccnz .LBB39_2839
; %bb.2824:
	s_cmp_lt_i32 s23, 2
	s_mov_b64 s[0:1], -1
	s_cbranch_scc1 .LBB39_2834
; %bb.2825:
	s_cmp_lt_i32 s23, 3
	s_cbranch_scc1 .LBB39_2831
; %bb.2826:
	s_cmp_gt_i32 s23, 3
	s_cbranch_scc0 .LBB39_2828
; %bb.2827:
	s_mov_b32 s0, 0
	v_cndmask_b32_e64 v5, 0, 1, s[6:7]
	v_mov_b32_e32 v6, s0
	global_store_dwordx2 v[3:4], v[5:6], off
	s_mov_b64 s[0:1], 0
.LBB39_2828:
	s_andn2_b64 vcc, exec, s[0:1]
	s_cbranch_vccnz .LBB39_2830
; %bb.2829:
	v_cndmask_b32_e64 v1, 0, 1, s[6:7]
	global_store_dword v[3:4], v1, off
.LBB39_2830:
	s_mov_b64 s[0:1], 0
.LBB39_2831:
	s_andn2_b64 vcc, exec, s[0:1]
	s_cbranch_vccnz .LBB39_2833
; %bb.2832:
	v_cndmask_b32_e64 v1, 0, 1, s[6:7]
	global_store_short v[3:4], v1, off
.LBB39_2833:
	s_mov_b64 s[0:1], 0
.LBB39_2834:
	s_andn2_b64 vcc, exec, s[0:1]
	s_cbranch_vccnz .LBB39_2839
; %bb.2835:
	s_mov_b64 s[0:1], -1
	s_cmp_gt_i32 s23, 0
	v_cndmask_b32_e64 v1, 0, 1, s[6:7]
	s_cbranch_scc0 .LBB39_2837
; %bb.2836:
	global_store_byte v[3:4], v1, off
	s_mov_b64 s[0:1], 0
.LBB39_2837:
	s_andn2_b64 vcc, exec, s[0:1]
	s_cbranch_vccnz .LBB39_2839
; %bb.2838:
	global_store_byte v[3:4], v1, off
.LBB39_2839:
	s_mov_b64 s[16:17], -1
.LBB39_2840:
	s_andn2_b64 vcc, exec, s[16:17]
	s_cbranch_vccnz .LBB39_3036
; %bb.2841:
	v_cmp_ne_u32_e32 vcc, v14, v12
	s_xor_b64 s[6:7], s[2:3], vcc
	v_mov_b32_e32 v3, s9
	v_add_co_u32_e32 v1, vcc, s8, v2
	s_cmp_lt_i32 s23, 11
	v_addc_co_u32_e32 v2, vcc, 0, v3, vcc
	s_cbranch_scc1 .LBB39_2919
; %bb.2842:
	s_mov_b64 s[18:19], -1
	s_mov_b64 s[10:11], 0
	s_cmp_gt_i32 s23, 25
	s_mov_b64 s[16:17], 0
	s_mov_b64 s[0:1], 0
	s_cbranch_scc0 .LBB39_2875
; %bb.2843:
	s_cmp_gt_i32 s23, 28
	s_cbranch_scc0 .LBB39_2858
; %bb.2844:
	s_cmp_gt_i32 s23, 43
	;; [unrolled: 3-line block ×3, first 2 shown]
	s_cbranch_scc0 .LBB39_2848
; %bb.2846:
	s_mov_b64 s[0:1], -1
	s_mov_b64 s[18:19], 0
	s_cmp_eq_u32 s23, 46
	s_cbranch_scc0 .LBB39_2848
; %bb.2847:
	v_cndmask_b32_e64 v3, 0, 1.0, s[6:7]
	v_bfe_u32 v4, v3, 16, 1
	s_movk_i32 s0, 0x7fff
	v_add3_u32 v3, v3, v4, s0
	v_lshrrev_b32_e32 v3, 16, v3
	global_store_dword v[1:2], v3, off
	s_mov_b64 s[0:1], 0
	s_mov_b64 s[16:17], -1
.LBB39_2848:
	s_and_b64 vcc, exec, s[18:19]
	s_cbranch_vccz .LBB39_2853
; %bb.2849:
	s_cmp_eq_u32 s23, 44
	s_mov_b64 s[0:1], -1
	s_cbranch_scc0 .LBB39_2853
; %bb.2850:
	v_cndmask_b32_e64 v4, 0, 1.0, s[6:7]
	v_lshrrev_b32_e32 v3, 23, v4
	s_movk_i32 s0, 0xff
	v_cmp_ne_u32_e32 vcc, s0, v3
	v_mov_b32_e32 v5, 0xff
	s_and_saveexec_b64 s[16:17], vcc
; %bb.2851:
	s_mov_b32 s0, 0x3fffff
	v_and_b32_e32 v5, 0x400000, v4
	v_and_or_b32 v4, v4, s0, v3
	v_cmp_ne_u32_e32 vcc, 0, v5
	v_cmp_ne_u32_e64 s[0:1], 0, v4
	s_and_b64 s[0:1], vcc, s[0:1]
	v_cndmask_b32_e64 v4, 0, 1, s[0:1]
	v_add_u32_e32 v5, v3, v4
; %bb.2852:
	s_or_b64 exec, exec, s[16:17]
	s_mov_b64 s[0:1], 0
	s_mov_b64 s[16:17], -1
	global_store_byte v[1:2], v5, off
.LBB39_2853:
	s_mov_b64 s[18:19], 0
.LBB39_2854:
	s_and_b64 vcc, exec, s[18:19]
	s_cbranch_vccz .LBB39_2857
; %bb.2855:
	s_cmp_eq_u32 s23, 29
	s_mov_b64 s[0:1], -1
	s_cbranch_scc0 .LBB39_2857
; %bb.2856:
	s_mov_b32 s0, 0
	v_cndmask_b32_e64 v3, 0, 1, s[6:7]
	v_mov_b32_e32 v4, s0
	global_store_dwordx2 v[1:2], v[3:4], off
	s_mov_b64 s[0:1], 0
	s_mov_b64 s[16:17], -1
.LBB39_2857:
	s_mov_b64 s[18:19], 0
.LBB39_2858:
	s_and_b64 vcc, exec, s[18:19]
	s_cbranch_vccz .LBB39_2874
; %bb.2859:
	s_cmp_lt_i32 s23, 27
	s_mov_b64 s[16:17], -1
	s_cbranch_scc1 .LBB39_2865
; %bb.2860:
	s_cmp_gt_i32 s23, 27
	s_cbranch_scc0 .LBB39_2862
; %bb.2861:
	v_cndmask_b32_e64 v3, 0, 1, s[6:7]
	s_mov_b64 s[16:17], 0
	global_store_dword v[1:2], v3, off
.LBB39_2862:
	s_andn2_b64 vcc, exec, s[16:17]
	s_cbranch_vccnz .LBB39_2864
; %bb.2863:
	v_cndmask_b32_e64 v3, 0, 1, s[6:7]
	global_store_short v[1:2], v3, off
.LBB39_2864:
	s_mov_b64 s[16:17], 0
.LBB39_2865:
	s_andn2_b64 vcc, exec, s[16:17]
	s_cbranch_vccnz .LBB39_2873
; %bb.2866:
	v_cndmask_b32_e64 v4, 0, 1.0, s[6:7]
	s_mov_b32 s16, 0x43800000
	v_cmp_gt_u32_e32 vcc, s16, v4
	v_mov_b32_e32 v5, 0x80
	s_and_saveexec_b64 s[16:17], vcc
	s_cbranch_execz .LBB39_2872
; %bb.2867:
	s_mov_b32 s18, 0x3bffffff
	v_cmp_lt_u32_e32 vcc, s18, v4
	s_mov_b64 s[18:19], 0
                                        ; implicit-def: $vgpr3
	s_and_saveexec_b64 s[20:21], vcc
	s_xor_b64 s[20:21], exec, s[20:21]
	s_cbranch_execz .LBB39_3093
; %bb.2868:
	v_bfe_u32 v3, v4, 20, 1
	s_mov_b32 s24, 0x487ffff
	v_add3_u32 v3, v4, v3, s24
	s_mov_b64 s[18:19], exec
	v_lshrrev_b32_e32 v3, 20, v3
                                        ; implicit-def: $vgpr4
	s_andn2_saveexec_b64 s[20:21], s[20:21]
	s_cbranch_execnz .LBB39_3094
.LBB39_2869:
	s_or_b64 exec, exec, s[20:21]
	v_mov_b32_e32 v5, 0
	s_and_saveexec_b64 s[20:21], s[18:19]
.LBB39_2870:
	v_mov_b32_e32 v5, v3
.LBB39_2871:
	s_or_b64 exec, exec, s[20:21]
.LBB39_2872:
	s_or_b64 exec, exec, s[16:17]
	global_store_byte v[1:2], v5, off
.LBB39_2873:
	s_mov_b64 s[16:17], -1
.LBB39_2874:
	s_mov_b64 s[18:19], 0
.LBB39_2875:
	s_and_b64 vcc, exec, s[18:19]
	s_cbranch_vccz .LBB39_2915
; %bb.2876:
	s_cmp_gt_i32 s23, 22
	s_mov_b64 s[10:11], -1
	s_cbranch_scc0 .LBB39_2908
; %bb.2877:
	s_cmp_lt_i32 s23, 24
	s_cbranch_scc1 .LBB39_2897
; %bb.2878:
	s_cmp_gt_i32 s23, 24
	s_cbranch_scc0 .LBB39_2886
; %bb.2879:
	v_cndmask_b32_e64 v4, 0, 1.0, s[6:7]
	s_mov_b32 s10, 0x47800000
	v_cmp_gt_u32_e32 vcc, s10, v4
	v_mov_b32_e32 v5, 0x80
	s_and_saveexec_b64 s[10:11], vcc
	s_cbranch_execz .LBB39_2885
; %bb.2880:
	s_mov_b32 s16, 0x37ffffff
	v_cmp_lt_u32_e32 vcc, s16, v4
	s_mov_b64 s[16:17], 0
                                        ; implicit-def: $vgpr3
	s_and_saveexec_b64 s[18:19], vcc
	s_xor_b64 s[18:19], exec, s[18:19]
	s_cbranch_execz .LBB39_3096
; %bb.2881:
	v_bfe_u32 v3, v4, 21, 1
	s_mov_b32 s20, 0x88fffff
	v_add3_u32 v3, v4, v3, s20
	s_mov_b64 s[16:17], exec
	v_lshrrev_b32_e32 v3, 21, v3
                                        ; implicit-def: $vgpr4
	s_andn2_saveexec_b64 s[18:19], s[18:19]
	s_cbranch_execnz .LBB39_3097
.LBB39_2882:
	s_or_b64 exec, exec, s[18:19]
	v_mov_b32_e32 v5, 0
	s_and_saveexec_b64 s[18:19], s[16:17]
.LBB39_2883:
	v_mov_b32_e32 v5, v3
.LBB39_2884:
	s_or_b64 exec, exec, s[18:19]
.LBB39_2885:
	s_or_b64 exec, exec, s[10:11]
	s_mov_b64 s[10:11], 0
	global_store_byte v[1:2], v5, off
.LBB39_2886:
	s_and_b64 vcc, exec, s[10:11]
	s_cbranch_vccz .LBB39_2896
; %bb.2887:
	v_cndmask_b32_e64 v3, 0, 1.0, s[6:7]
	s_mov_b32 s10, 0x43f00000
	v_cmp_gt_u32_e32 vcc, s10, v3
                                        ; implicit-def: $vgpr4
	s_and_saveexec_b64 s[10:11], vcc
	s_xor_b64 s[10:11], exec, s[10:11]
	s_cbranch_execz .LBB39_2893
; %bb.2888:
	s_mov_b32 s16, 0x3c7fffff
	v_cmp_lt_u32_e32 vcc, s16, v3
                                        ; implicit-def: $vgpr4
	s_and_saveexec_b64 s[16:17], vcc
	s_xor_b64 s[16:17], exec, s[16:17]
; %bb.2889:
	v_bfe_u32 v4, v3, 20, 1
	s_mov_b32 s18, 0x407ffff
	v_add3_u32 v3, v3, v4, s18
	v_lshrrev_b32_e32 v4, 20, v3
	v_and_b32_e32 v3, 0xff00000, v3
	s_mov_b32 s18, 0x7f00000
	v_mov_b32_e32 v5, 0x7e
	v_cmp_ne_u32_e32 vcc, s18, v3
	v_cndmask_b32_e32 v4, v5, v4, vcc
                                        ; implicit-def: $vgpr3
; %bb.2890:
	s_andn2_saveexec_b64 s[16:17], s[16:17]
; %bb.2891:
	v_add_f32_e32 v4, 0x46800000, v3
; %bb.2892:
	s_or_b64 exec, exec, s[16:17]
                                        ; implicit-def: $vgpr3
.LBB39_2893:
	s_andn2_saveexec_b64 s[10:11], s[10:11]
; %bb.2894:
	s_mov_b32 s16, 0x7f800000
	v_mov_b32_e32 v4, 0x7e
	v_mov_b32_e32 v5, 0x7f
	v_cmp_lt_u32_e32 vcc, s16, v3
	v_cndmask_b32_e32 v4, v4, v5, vcc
; %bb.2895:
	s_or_b64 exec, exec, s[10:11]
	global_store_byte v[1:2], v4, off
.LBB39_2896:
	s_mov_b64 s[10:11], 0
.LBB39_2897:
	s_andn2_b64 vcc, exec, s[10:11]
	s_cbranch_vccnz .LBB39_2907
; %bb.2898:
	v_cndmask_b32_e64 v3, 0, 1.0, s[6:7]
	s_mov_b32 s10, 0x47800000
	v_cmp_gt_u32_e32 vcc, s10, v3
                                        ; implicit-def: $vgpr4
	s_and_saveexec_b64 s[10:11], vcc
	s_xor_b64 s[10:11], exec, s[10:11]
	s_cbranch_execz .LBB39_2904
; %bb.2899:
	s_mov_b32 s16, 0x387fffff
	v_cmp_lt_u32_e32 vcc, s16, v3
                                        ; implicit-def: $vgpr4
	s_and_saveexec_b64 s[16:17], vcc
	s_xor_b64 s[16:17], exec, s[16:17]
; %bb.2900:
	v_bfe_u32 v4, v3, 21, 1
	s_mov_b32 s18, 0x80fffff
	v_add3_u32 v3, v3, v4, s18
	v_lshrrev_b32_e32 v4, 21, v3
                                        ; implicit-def: $vgpr3
; %bb.2901:
	s_andn2_saveexec_b64 s[16:17], s[16:17]
; %bb.2902:
	v_add_f32_e32 v4, 0x43000000, v3
; %bb.2903:
	s_or_b64 exec, exec, s[16:17]
                                        ; implicit-def: $vgpr3
.LBB39_2904:
	s_andn2_saveexec_b64 s[10:11], s[10:11]
; %bb.2905:
	s_mov_b32 s16, 0x7f800000
	v_mov_b32_e32 v4, 0x7c
	v_mov_b32_e32 v5, 0x7f
	v_cmp_lt_u32_e32 vcc, s16, v3
	v_cndmask_b32_e32 v4, v4, v5, vcc
; %bb.2906:
	s_or_b64 exec, exec, s[10:11]
	global_store_byte v[1:2], v4, off
.LBB39_2907:
	s_mov_b64 s[10:11], 0
	s_mov_b64 s[16:17], -1
.LBB39_2908:
	s_andn2_b64 vcc, exec, s[10:11]
	s_mov_b64 s[10:11], 0
	s_cbranch_vccnz .LBB39_2915
; %bb.2909:
	s_cmp_gt_i32 s23, 14
	s_mov_b64 s[18:19], -1
	s_cbranch_scc0 .LBB39_2913
; %bb.2910:
	s_cmp_eq_u32 s23, 15
	s_mov_b64 s[0:1], -1
	s_cbranch_scc0 .LBB39_2912
; %bb.2911:
	v_cndmask_b32_e64 v3, 0, 1.0, s[6:7]
	v_bfe_u32 v4, v3, 16, 1
	s_movk_i32 s0, 0x7fff
	v_add3_u32 v3, v3, v4, s0
	global_store_short_d16_hi v[1:2], v3, off
	s_mov_b64 s[0:1], 0
	s_mov_b64 s[16:17], -1
.LBB39_2912:
	s_mov_b64 s[18:19], 0
.LBB39_2913:
	s_and_b64 vcc, exec, s[18:19]
	s_cbranch_vccz .LBB39_2915
; %bb.2914:
	s_cmp_lg_u32 s23, 11
	s_mov_b64 s[10:11], -1
	s_cselect_b64 s[0:1], -1, 0
.LBB39_2915:
	s_and_b64 vcc, exec, s[0:1]
	s_cbranch_vccnz .LBB39_3095
; %bb.2916:
	s_andn2_b64 vcc, exec, s[10:11]
	s_cbranch_vccnz .LBB39_2918
.LBB39_2917:
	v_cndmask_b32_e64 v3, 0, 1, s[6:7]
	s_mov_b64 s[16:17], -1
	global_store_byte v[1:2], v3, off
.LBB39_2918:
	s_mov_b64 s[0:1], 0
	s_branch .LBB39_2920
.LBB39_2919:
	s_mov_b64 s[0:1], -1
	s_mov_b64 s[16:17], 0
.LBB39_2920:
	s_and_b64 vcc, exec, s[0:1]
	s_cbranch_vccz .LBB39_2959
; %bb.2921:
	s_cmp_lt_i32 s23, 5
	s_mov_b64 s[0:1], -1
	s_cbranch_scc1 .LBB39_2942
; %bb.2922:
	s_cmp_lt_i32 s23, 8
	s_cbranch_scc1 .LBB39_2932
; %bb.2923:
	s_cmp_lt_i32 s23, 9
	s_cbranch_scc1 .LBB39_2929
; %bb.2924:
	s_cmp_gt_i32 s23, 9
	s_cbranch_scc0 .LBB39_2926
; %bb.2925:
	v_cndmask_b32_e64 v3, 0, 1, s[6:7]
	v_cvt_f64_u32_e32 v[3:4], v3
	v_mov_b32_e32 v5, 0
	v_mov_b32_e32 v6, v5
	s_mov_b64 s[0:1], 0
	global_store_dwordx4 v[1:2], v[3:6], off
.LBB39_2926:
	s_andn2_b64 vcc, exec, s[0:1]
	s_cbranch_vccnz .LBB39_2928
; %bb.2927:
	v_cndmask_b32_e64 v3, 0, 1.0, s[6:7]
	v_mov_b32_e32 v4, 0
	global_store_dwordx2 v[1:2], v[3:4], off
.LBB39_2928:
	s_mov_b64 s[0:1], 0
.LBB39_2929:
	s_andn2_b64 vcc, exec, s[0:1]
	s_cbranch_vccnz .LBB39_2931
; %bb.2930:
	v_cndmask_b32_e64 v3, 0, 1.0, s[6:7]
	v_cvt_f16_f32_e32 v3, v3
	global_store_dword v[1:2], v3, off
.LBB39_2931:
	s_mov_b64 s[0:1], 0
.LBB39_2932:
	s_andn2_b64 vcc, exec, s[0:1]
	s_cbranch_vccnz .LBB39_2941
; %bb.2933:
	s_cmp_lt_i32 s23, 6
	s_mov_b64 s[0:1], -1
	s_cbranch_scc1 .LBB39_2939
; %bb.2934:
	s_cmp_gt_i32 s23, 6
	s_cbranch_scc0 .LBB39_2936
; %bb.2935:
	v_cndmask_b32_e64 v3, 0, 1, s[6:7]
	v_cvt_f64_u32_e32 v[3:4], v3
	s_mov_b64 s[0:1], 0
	global_store_dwordx2 v[1:2], v[3:4], off
.LBB39_2936:
	s_andn2_b64 vcc, exec, s[0:1]
	s_cbranch_vccnz .LBB39_2938
; %bb.2937:
	v_cndmask_b32_e64 v3, 0, 1.0, s[6:7]
	global_store_dword v[1:2], v3, off
.LBB39_2938:
	s_mov_b64 s[0:1], 0
.LBB39_2939:
	s_andn2_b64 vcc, exec, s[0:1]
	s_cbranch_vccnz .LBB39_2941
; %bb.2940:
	v_cndmask_b32_e64 v3, 0, 1.0, s[6:7]
	v_cvt_f16_f32_e32 v3, v3
	global_store_short v[1:2], v3, off
.LBB39_2941:
	s_mov_b64 s[0:1], 0
.LBB39_2942:
	s_andn2_b64 vcc, exec, s[0:1]
	s_cbranch_vccnz .LBB39_2958
; %bb.2943:
	s_cmp_lt_i32 s23, 2
	s_mov_b64 s[0:1], -1
	s_cbranch_scc1 .LBB39_2953
; %bb.2944:
	s_cmp_lt_i32 s23, 3
	s_cbranch_scc1 .LBB39_2950
; %bb.2945:
	s_cmp_gt_i32 s23, 3
	s_cbranch_scc0 .LBB39_2947
; %bb.2946:
	s_mov_b32 s0, 0
	v_cndmask_b32_e64 v3, 0, 1, s[6:7]
	v_mov_b32_e32 v4, s0
	global_store_dwordx2 v[1:2], v[3:4], off
	s_mov_b64 s[0:1], 0
.LBB39_2947:
	s_andn2_b64 vcc, exec, s[0:1]
	s_cbranch_vccnz .LBB39_2949
; %bb.2948:
	v_cndmask_b32_e64 v3, 0, 1, s[6:7]
	global_store_dword v[1:2], v3, off
.LBB39_2949:
	s_mov_b64 s[0:1], 0
.LBB39_2950:
	s_andn2_b64 vcc, exec, s[0:1]
	s_cbranch_vccnz .LBB39_2952
; %bb.2951:
	v_cndmask_b32_e64 v3, 0, 1, s[6:7]
	global_store_short v[1:2], v3, off
.LBB39_2952:
	s_mov_b64 s[0:1], 0
.LBB39_2953:
	s_andn2_b64 vcc, exec, s[0:1]
	s_cbranch_vccnz .LBB39_2958
; %bb.2954:
	s_cmp_gt_i32 s23, 0
	s_mov_b64 s[0:1], -1
	s_cbranch_scc0 .LBB39_2956
; %bb.2955:
	v_cndmask_b32_e64 v3, 0, 1, s[6:7]
	global_store_byte v[1:2], v3, off
	s_mov_b64 s[0:1], 0
.LBB39_2956:
	s_andn2_b64 vcc, exec, s[0:1]
	s_cbranch_vccnz .LBB39_2958
; %bb.2957:
	v_cndmask_b32_e64 v3, 0, 1, s[6:7]
	global_store_byte v[1:2], v3, off
.LBB39_2958:
	s_mov_b64 s[16:17], -1
.LBB39_2959:
	s_andn2_b64 vcc, exec, s[16:17]
	s_cbranch_vccnz .LBB39_3036
; %bb.2960:
	v_cmp_ne_u32_e32 vcc, v10, v9
	s_xor_b64 s[10:11], s[2:3], vcc
	v_mov_b32_e32 v1, s9
	v_add_co_u32_e32 v0, vcc, s8, v0
	s_cmp_lt_i32 s23, 11
	v_addc_co_u32_e32 v1, vcc, 0, v1, vcc
	s_cbranch_scc1 .LBB39_3081
; %bb.2961:
	s_mov_b64 s[6:7], -1
	s_mov_b64 s[2:3], 0
	s_cmp_gt_i32 s23, 25
	s_mov_b64 s[0:1], 0
	s_cbranch_scc0 .LBB39_2994
; %bb.2962:
	s_cmp_gt_i32 s23, 28
	s_cbranch_scc0 .LBB39_2978
; %bb.2963:
	s_cmp_gt_i32 s23, 43
	;; [unrolled: 3-line block ×3, first 2 shown]
	s_cbranch_scc0 .LBB39_2968
; %bb.2965:
	s_cmp_eq_u32 s23, 46
	s_mov_b64 s[0:1], -1
	s_cbranch_scc0 .LBB39_2967
; %bb.2966:
	v_cndmask_b32_e64 v2, 0, 1.0, s[10:11]
	v_bfe_u32 v3, v2, 16, 1
	s_movk_i32 s0, 0x7fff
	v_add3_u32 v2, v2, v3, s0
	v_lshrrev_b32_e32 v2, 16, v2
	global_store_dword v[0:1], v2, off
	s_mov_b64 s[0:1], 0
.LBB39_2967:
	s_mov_b64 s[6:7], 0
.LBB39_2968:
	s_and_b64 vcc, exec, s[6:7]
	s_cbranch_vccz .LBB39_2973
; %bb.2969:
	s_cmp_eq_u32 s23, 44
	s_mov_b64 s[0:1], -1
	s_cbranch_scc0 .LBB39_2973
; %bb.2970:
	v_cndmask_b32_e64 v3, 0, 1.0, s[10:11]
	v_lshrrev_b32_e32 v2, 23, v3
	s_movk_i32 s0, 0xff
	v_cmp_ne_u32_e32 vcc, s0, v2
	v_mov_b32_e32 v4, 0xff
	s_and_saveexec_b64 s[6:7], vcc
; %bb.2971:
	s_mov_b32 s0, 0x3fffff
	v_and_b32_e32 v4, 0x400000, v3
	v_and_or_b32 v3, v3, s0, v2
	v_cmp_ne_u32_e32 vcc, 0, v4
	v_cmp_ne_u32_e64 s[0:1], 0, v3
	s_and_b64 s[0:1], vcc, s[0:1]
	v_cndmask_b32_e64 v3, 0, 1, s[0:1]
	v_add_u32_e32 v4, v2, v3
; %bb.2972:
	s_or_b64 exec, exec, s[6:7]
	s_mov_b64 s[0:1], 0
	global_store_byte v[0:1], v4, off
.LBB39_2973:
	s_mov_b64 s[6:7], 0
.LBB39_2974:
	s_and_b64 vcc, exec, s[6:7]
	s_cbranch_vccz .LBB39_2977
; %bb.2975:
	s_cmp_eq_u32 s23, 29
	s_mov_b64 s[0:1], -1
	s_cbranch_scc0 .LBB39_2977
; %bb.2976:
	s_mov_b32 s0, 0
	v_cndmask_b32_e64 v2, 0, 1, s[10:11]
	v_mov_b32_e32 v3, s0
	global_store_dwordx2 v[0:1], v[2:3], off
	s_mov_b64 s[0:1], 0
.LBB39_2977:
	s_mov_b64 s[6:7], 0
.LBB39_2978:
	s_and_b64 vcc, exec, s[6:7]
	s_cbranch_vccz .LBB39_2993
; %bb.2979:
	s_cmp_lt_i32 s23, 27
	s_mov_b64 s[6:7], -1
	s_cbranch_scc1 .LBB39_2985
; %bb.2980:
	s_cmp_gt_i32 s23, 27
	v_cndmask_b32_e64 v2, 0, 1, s[10:11]
	s_cbranch_scc0 .LBB39_2982
; %bb.2981:
	global_store_dword v[0:1], v2, off
	s_mov_b64 s[6:7], 0
.LBB39_2982:
	s_andn2_b64 vcc, exec, s[6:7]
	s_cbranch_vccnz .LBB39_2984
; %bb.2983:
	global_store_short v[0:1], v2, off
.LBB39_2984:
	s_mov_b64 s[6:7], 0
.LBB39_2985:
	s_andn2_b64 vcc, exec, s[6:7]
	s_cbranch_vccnz .LBB39_2993
; %bb.2986:
	v_cndmask_b32_e64 v3, 0, 1.0, s[10:11]
	s_mov_b32 s6, 0x43800000
	v_cmp_gt_u32_e32 vcc, s6, v3
	v_mov_b32_e32 v4, 0x80
	s_and_saveexec_b64 s[6:7], vcc
	s_cbranch_execz .LBB39_2992
; %bb.2987:
	s_mov_b32 s8, 0x3bffffff
	v_cmp_lt_u32_e32 vcc, s8, v3
	s_mov_b64 s[8:9], 0
                                        ; implicit-def: $vgpr2
	s_and_saveexec_b64 s[16:17], vcc
	s_xor_b64 s[16:17], exec, s[16:17]
	s_cbranch_execz .LBB39_3098
; %bb.2988:
	v_bfe_u32 v2, v3, 20, 1
	s_mov_b32 s18, 0x487ffff
	v_add3_u32 v2, v3, v2, s18
	s_mov_b64 s[8:9], exec
	v_lshrrev_b32_e32 v2, 20, v2
                                        ; implicit-def: $vgpr3
	s_andn2_saveexec_b64 s[16:17], s[16:17]
	s_cbranch_execnz .LBB39_3099
.LBB39_2989:
	s_or_b64 exec, exec, s[16:17]
	v_mov_b32_e32 v4, 0
	s_and_saveexec_b64 s[16:17], s[8:9]
.LBB39_2990:
	v_mov_b32_e32 v4, v2
.LBB39_2991:
	s_or_b64 exec, exec, s[16:17]
.LBB39_2992:
	s_or_b64 exec, exec, s[6:7]
	global_store_byte v[0:1], v4, off
.LBB39_2993:
	s_mov_b64 s[6:7], 0
.LBB39_2994:
	s_and_b64 vcc, exec, s[6:7]
	s_cbranch_vccz .LBB39_3034
; %bb.2995:
	s_cmp_gt_i32 s23, 22
	s_mov_b64 s[2:3], -1
	s_cbranch_scc0 .LBB39_3027
; %bb.2996:
	s_cmp_lt_i32 s23, 24
	s_cbranch_scc1 .LBB39_3016
; %bb.2997:
	s_cmp_gt_i32 s23, 24
	s_cbranch_scc0 .LBB39_3005
; %bb.2998:
	v_cndmask_b32_e64 v3, 0, 1.0, s[10:11]
	s_mov_b32 s2, 0x47800000
	v_cmp_gt_u32_e32 vcc, s2, v3
	v_mov_b32_e32 v4, 0x80
	s_and_saveexec_b64 s[2:3], vcc
	s_cbranch_execz .LBB39_3004
; %bb.2999:
	s_mov_b32 s6, 0x37ffffff
	v_cmp_lt_u32_e32 vcc, s6, v3
	s_mov_b64 s[6:7], 0
                                        ; implicit-def: $vgpr2
	s_and_saveexec_b64 s[8:9], vcc
	s_xor_b64 s[8:9], exec, s[8:9]
	s_cbranch_execz .LBB39_3101
; %bb.3000:
	v_bfe_u32 v2, v3, 21, 1
	s_mov_b32 s16, 0x88fffff
	v_add3_u32 v2, v3, v2, s16
	s_mov_b64 s[6:7], exec
	v_lshrrev_b32_e32 v2, 21, v2
                                        ; implicit-def: $vgpr3
	s_andn2_saveexec_b64 s[8:9], s[8:9]
	s_cbranch_execnz .LBB39_3102
.LBB39_3001:
	s_or_b64 exec, exec, s[8:9]
	v_mov_b32_e32 v4, 0
	s_and_saveexec_b64 s[8:9], s[6:7]
.LBB39_3002:
	v_mov_b32_e32 v4, v2
.LBB39_3003:
	s_or_b64 exec, exec, s[8:9]
.LBB39_3004:
	s_or_b64 exec, exec, s[2:3]
	s_mov_b64 s[2:3], 0
	global_store_byte v[0:1], v4, off
.LBB39_3005:
	s_and_b64 vcc, exec, s[2:3]
	s_cbranch_vccz .LBB39_3015
; %bb.3006:
	v_cndmask_b32_e64 v2, 0, 1.0, s[10:11]
	s_mov_b32 s2, 0x43f00000
	v_cmp_gt_u32_e32 vcc, s2, v2
                                        ; implicit-def: $vgpr3
	s_and_saveexec_b64 s[2:3], vcc
	s_xor_b64 s[2:3], exec, s[2:3]
	s_cbranch_execz .LBB39_3012
; %bb.3007:
	s_mov_b32 s6, 0x3c7fffff
	v_cmp_lt_u32_e32 vcc, s6, v2
                                        ; implicit-def: $vgpr3
	s_and_saveexec_b64 s[6:7], vcc
	s_xor_b64 s[6:7], exec, s[6:7]
; %bb.3008:
	v_bfe_u32 v3, v2, 20, 1
	s_mov_b32 s8, 0x407ffff
	v_add3_u32 v2, v2, v3, s8
	v_lshrrev_b32_e32 v3, 20, v2
	v_and_b32_e32 v2, 0xff00000, v2
	s_mov_b32 s8, 0x7f00000
	v_mov_b32_e32 v4, 0x7e
	v_cmp_ne_u32_e32 vcc, s8, v2
	v_cndmask_b32_e32 v3, v4, v3, vcc
                                        ; implicit-def: $vgpr2
; %bb.3009:
	s_andn2_saveexec_b64 s[6:7], s[6:7]
; %bb.3010:
	v_add_f32_e32 v3, 0x46800000, v2
; %bb.3011:
	s_or_b64 exec, exec, s[6:7]
                                        ; implicit-def: $vgpr2
.LBB39_3012:
	s_andn2_saveexec_b64 s[2:3], s[2:3]
; %bb.3013:
	s_mov_b32 s6, 0x7f800000
	v_mov_b32_e32 v3, 0x7e
	v_mov_b32_e32 v4, 0x7f
	v_cmp_lt_u32_e32 vcc, s6, v2
	v_cndmask_b32_e32 v3, v3, v4, vcc
; %bb.3014:
	s_or_b64 exec, exec, s[2:3]
	global_store_byte v[0:1], v3, off
.LBB39_3015:
	s_mov_b64 s[2:3], 0
.LBB39_3016:
	s_andn2_b64 vcc, exec, s[2:3]
	s_cbranch_vccnz .LBB39_3026
; %bb.3017:
	v_cndmask_b32_e64 v2, 0, 1.0, s[10:11]
	s_mov_b32 s2, 0x47800000
	v_cmp_gt_u32_e32 vcc, s2, v2
                                        ; implicit-def: $vgpr3
	s_and_saveexec_b64 s[2:3], vcc
	s_xor_b64 s[2:3], exec, s[2:3]
	s_cbranch_execz .LBB39_3023
; %bb.3018:
	s_mov_b32 s6, 0x387fffff
	v_cmp_lt_u32_e32 vcc, s6, v2
                                        ; implicit-def: $vgpr3
	s_and_saveexec_b64 s[6:7], vcc
	s_xor_b64 s[6:7], exec, s[6:7]
; %bb.3019:
	v_bfe_u32 v3, v2, 21, 1
	s_mov_b32 s8, 0x80fffff
	v_add3_u32 v2, v2, v3, s8
	v_lshrrev_b32_e32 v3, 21, v2
                                        ; implicit-def: $vgpr2
; %bb.3020:
	s_andn2_saveexec_b64 s[6:7], s[6:7]
; %bb.3021:
	v_add_f32_e32 v3, 0x43000000, v2
; %bb.3022:
	s_or_b64 exec, exec, s[6:7]
                                        ; implicit-def: $vgpr2
.LBB39_3023:
	s_andn2_saveexec_b64 s[2:3], s[2:3]
; %bb.3024:
	s_mov_b32 s6, 0x7f800000
	v_mov_b32_e32 v3, 0x7c
	v_mov_b32_e32 v4, 0x7f
	v_cmp_lt_u32_e32 vcc, s6, v2
	v_cndmask_b32_e32 v3, v3, v4, vcc
; %bb.3025:
	s_or_b64 exec, exec, s[2:3]
	global_store_byte v[0:1], v3, off
.LBB39_3026:
	s_mov_b64 s[2:3], 0
.LBB39_3027:
	s_andn2_b64 vcc, exec, s[2:3]
	s_mov_b64 s[2:3], 0
	s_cbranch_vccnz .LBB39_3034
; %bb.3028:
	s_cmp_gt_i32 s23, 14
	s_mov_b64 s[6:7], -1
	s_cbranch_scc0 .LBB39_3032
; %bb.3029:
	s_cmp_eq_u32 s23, 15
	s_mov_b64 s[0:1], -1
	s_cbranch_scc0 .LBB39_3031
; %bb.3030:
	v_cndmask_b32_e64 v2, 0, 1.0, s[10:11]
	v_bfe_u32 v3, v2, 16, 1
	s_movk_i32 s0, 0x7fff
	v_add3_u32 v2, v2, v3, s0
	global_store_short_d16_hi v[0:1], v2, off
	s_mov_b64 s[0:1], 0
.LBB39_3031:
	s_mov_b64 s[6:7], 0
.LBB39_3032:
	s_and_b64 vcc, exec, s[6:7]
	s_cbranch_vccz .LBB39_3034
; %bb.3033:
	s_cmp_lg_u32 s23, 11
	s_mov_b64 s[2:3], -1
	s_cselect_b64 s[0:1], -1, 0
.LBB39_3034:
	s_and_b64 vcc, exec, s[0:1]
	s_cbranch_vccnz .LBB39_3100
.LBB39_3035:
	s_mov_b64 s[0:1], 0
	s_branch .LBB39_3037
.LBB39_3036:
	s_mov_b64 s[0:1], 0
	s_mov_b64 s[2:3], 0
                                        ; implicit-def: $sgpr10_sgpr11
                                        ; implicit-def: $vgpr0_vgpr1
                                        ; implicit-def: $sgpr22
.LBB39_3037:
	s_and_b64 s[6:7], s[2:3], exec
	s_andn2_b64 s[2:3], s[12:13], exec
	s_and_b64 s[4:5], s[4:5], exec
	s_and_b64 s[0:1], s[0:1], exec
	s_or_b64 s[12:13], s[2:3], s[4:5]
.LBB39_3038:
	s_or_b64 exec, exec, s[14:15]
	s_and_saveexec_b64 s[2:3], s[12:13]
	s_cbranch_execz .LBB39_3041
; %bb.3039:
	; divergent unreachable
	s_or_b64 exec, exec, s[2:3]
	s_and_saveexec_b64 s[2:3], s[6:7]
	s_xor_b64 s[2:3], exec, s[2:3]
	s_cbranch_execnz .LBB39_3042
.LBB39_3040:
	s_or_b64 exec, exec, s[2:3]
	s_and_saveexec_b64 s[2:3], s[0:1]
	s_cbranch_execnz .LBB39_3043
	s_branch .LBB39_3080
.LBB39_3041:
	s_or_b64 exec, exec, s[2:3]
	s_and_saveexec_b64 s[2:3], s[6:7]
	s_xor_b64 s[2:3], exec, s[2:3]
	s_cbranch_execz .LBB39_3040
.LBB39_3042:
	v_cndmask_b32_e64 v2, 0, 1, s[10:11]
	s_waitcnt vmcnt(0)
	global_store_byte v[0:1], v2, off
	s_or_b64 exec, exec, s[2:3]
	s_and_saveexec_b64 s[2:3], s[0:1]
	s_cbranch_execz .LBB39_3080
.LBB39_3043:
	s_sext_i32_i16 s2, s22
	s_cmp_lt_i32 s2, 5
	s_mov_b64 s[0:1], -1
	s_cbranch_scc1 .LBB39_3064
; %bb.3044:
	s_cmp_lt_i32 s2, 8
	s_cbranch_scc1 .LBB39_3054
; %bb.3045:
	s_cmp_lt_i32 s2, 9
	s_cbranch_scc1 .LBB39_3051
; %bb.3046:
	s_cmp_gt_i32 s2, 9
	s_cbranch_scc0 .LBB39_3048
; %bb.3047:
	v_cndmask_b32_e64 v2, 0, 1, s[10:11]
	s_waitcnt vmcnt(0)
	v_cvt_f64_u32_e32 v[2:3], v2
	v_mov_b32_e32 v4, 0
	v_mov_b32_e32 v5, v4
	s_mov_b64 s[0:1], 0
	global_store_dwordx4 v[0:1], v[2:5], off
.LBB39_3048:
	s_andn2_b64 vcc, exec, s[0:1]
	s_cbranch_vccnz .LBB39_3050
; %bb.3049:
	v_cndmask_b32_e64 v2, 0, 1.0, s[10:11]
	s_waitcnt vmcnt(0)
	v_mov_b32_e32 v3, 0
	global_store_dwordx2 v[0:1], v[2:3], off
.LBB39_3050:
	s_mov_b64 s[0:1], 0
.LBB39_3051:
	s_andn2_b64 vcc, exec, s[0:1]
	s_cbranch_vccnz .LBB39_3053
; %bb.3052:
	v_cndmask_b32_e64 v2, 0, 1.0, s[10:11]
	v_cvt_f16_f32_e32 v2, v2
	s_waitcnt vmcnt(0)
	global_store_dword v[0:1], v2, off
.LBB39_3053:
	s_mov_b64 s[0:1], 0
.LBB39_3054:
	s_andn2_b64 vcc, exec, s[0:1]
	s_cbranch_vccnz .LBB39_3063
; %bb.3055:
	s_sext_i32_i16 s2, s22
	s_cmp_lt_i32 s2, 6
	s_mov_b64 s[0:1], -1
	s_cbranch_scc1 .LBB39_3061
; %bb.3056:
	s_cmp_gt_i32 s2, 6
	s_cbranch_scc0 .LBB39_3058
; %bb.3057:
	v_cndmask_b32_e64 v2, 0, 1, s[10:11]
	s_waitcnt vmcnt(0)
	v_cvt_f64_u32_e32 v[2:3], v2
	s_mov_b64 s[0:1], 0
	global_store_dwordx2 v[0:1], v[2:3], off
.LBB39_3058:
	s_andn2_b64 vcc, exec, s[0:1]
	s_cbranch_vccnz .LBB39_3060
; %bb.3059:
	v_cndmask_b32_e64 v2, 0, 1.0, s[10:11]
	s_waitcnt vmcnt(0)
	global_store_dword v[0:1], v2, off
.LBB39_3060:
	s_mov_b64 s[0:1], 0
.LBB39_3061:
	s_andn2_b64 vcc, exec, s[0:1]
	s_cbranch_vccnz .LBB39_3063
; %bb.3062:
	v_cndmask_b32_e64 v2, 0, 1.0, s[10:11]
	v_cvt_f16_f32_e32 v2, v2
	s_waitcnt vmcnt(0)
	global_store_short v[0:1], v2, off
.LBB39_3063:
	s_mov_b64 s[0:1], 0
.LBB39_3064:
	s_andn2_b64 vcc, exec, s[0:1]
	s_cbranch_vccnz .LBB39_3080
; %bb.3065:
	s_sext_i32_i16 s2, s22
	s_cmp_lt_i32 s2, 2
	s_mov_b64 s[0:1], -1
	s_cbranch_scc1 .LBB39_3075
; %bb.3066:
	s_cmp_lt_i32 s2, 3
	s_cbranch_scc1 .LBB39_3072
; %bb.3067:
	s_cmp_gt_i32 s2, 3
	s_cbranch_scc0 .LBB39_3069
; %bb.3068:
	s_mov_b32 s0, 0
	v_cndmask_b32_e64 v2, 0, 1, s[10:11]
	s_waitcnt vmcnt(0)
	v_mov_b32_e32 v3, s0
	global_store_dwordx2 v[0:1], v[2:3], off
	s_mov_b64 s[0:1], 0
.LBB39_3069:
	s_andn2_b64 vcc, exec, s[0:1]
	s_cbranch_vccnz .LBB39_3071
; %bb.3070:
	v_cndmask_b32_e64 v2, 0, 1, s[10:11]
	s_waitcnt vmcnt(0)
	global_store_dword v[0:1], v2, off
.LBB39_3071:
	s_mov_b64 s[0:1], 0
.LBB39_3072:
	s_andn2_b64 vcc, exec, s[0:1]
	s_cbranch_vccnz .LBB39_3074
; %bb.3073:
	v_cndmask_b32_e64 v2, 0, 1, s[10:11]
	s_waitcnt vmcnt(0)
	global_store_short v[0:1], v2, off
.LBB39_3074:
	s_mov_b64 s[0:1], 0
.LBB39_3075:
	s_andn2_b64 vcc, exec, s[0:1]
	s_cbranch_vccnz .LBB39_3080
; %bb.3076:
	s_sext_i32_i16 s0, s22
	s_cmp_gt_i32 s0, 0
	s_mov_b64 s[0:1], -1
	s_cbranch_scc0 .LBB39_3078
; %bb.3077:
	v_cndmask_b32_e64 v2, 0, 1, s[10:11]
	s_waitcnt vmcnt(0)
	global_store_byte v[0:1], v2, off
	s_mov_b64 s[0:1], 0
.LBB39_3078:
	s_andn2_b64 vcc, exec, s[0:1]
	s_cbranch_vccnz .LBB39_3080
; %bb.3079:
	v_cndmask_b32_e64 v2, 0, 1, s[10:11]
	s_waitcnt vmcnt(0)
	global_store_byte v[0:1], v2, off
	s_endpgm
.LBB39_3080:
	s_endpgm
.LBB39_3081:
	s_mov_b64 s[2:3], 0
	s_mov_b64 s[0:1], -1
	s_branch .LBB39_3037
.LBB39_3082:
	s_trap 2
	s_or_b64 s[4:5], s[4:5], exec
	s_cbranch_execz .LBB39_2551
	s_branch .LBB39_2552
.LBB39_3083:
	s_andn2_saveexec_b64 s[20:21], s[20:21]
	s_cbranch_execz .LBB39_2631
.LBB39_3084:
	v_add_f32_e32 v1, 0x46000000, v7
	v_and_b32_e32 v1, 0xff, v1
	v_cmp_ne_u32_e32 vcc, 0, v1
	s_andn2_b64 s[18:19], s[18:19], exec
	s_and_b64 s[24:25], vcc, exec
	s_or_b64 s[18:19], s[18:19], s[24:25]
	s_or_b64 exec, exec, s[20:21]
	v_mov_b32_e32 v8, 0
	s_and_saveexec_b64 s[20:21], s[18:19]
	s_cbranch_execnz .LBB39_2632
	s_branch .LBB39_2633
.LBB39_3085:
	s_trap 2
	s_or_b64 s[4:5], s[4:5], exec
	s_cbranch_execz .LBB39_2679
	s_branch .LBB39_2680
.LBB39_3086:
	s_andn2_saveexec_b64 s[18:19], s[18:19]
	s_cbranch_execz .LBB39_2644
.LBB39_3087:
	v_add_f32_e32 v1, 0x42800000, v7
	v_and_b32_e32 v1, 0xff, v1
	v_cmp_ne_u32_e32 vcc, 0, v1
	s_andn2_b64 s[16:17], s[16:17], exec
	s_and_b64 s[20:21], vcc, exec
	s_or_b64 s[16:17], s[16:17], s[20:21]
	s_or_b64 exec, exec, s[18:19]
	v_mov_b32_e32 v8, 0
	s_and_saveexec_b64 s[18:19], s[16:17]
	s_cbranch_execnz .LBB39_2645
	s_branch .LBB39_2646
.LBB39_3088:
	s_andn2_saveexec_b64 s[20:21], s[20:21]
	s_cbranch_execz .LBB39_2750
.LBB39_3089:
	v_add_f32_e32 v1, 0x46000000, v5
	v_and_b32_e32 v1, 0xff, v1
	v_cmp_ne_u32_e32 vcc, 0, v1
	s_andn2_b64 s[18:19], s[18:19], exec
	s_and_b64 s[24:25], vcc, exec
	s_or_b64 s[18:19], s[18:19], s[24:25]
	s_or_b64 exec, exec, s[20:21]
	v_mov_b32_e32 v6, 0
	s_and_saveexec_b64 s[20:21], s[18:19]
	s_cbranch_execnz .LBB39_2751
	s_branch .LBB39_2752
.LBB39_3090:
	s_trap 2
	s_or_b64 s[4:5], s[4:5], exec
	s_cbranch_execz .LBB39_2798
	s_branch .LBB39_2799
.LBB39_3091:
	s_andn2_saveexec_b64 s[18:19], s[18:19]
	s_cbranch_execz .LBB39_2763
.LBB39_3092:
	v_add_f32_e32 v1, 0x42800000, v5
	v_and_b32_e32 v1, 0xff, v1
	v_cmp_ne_u32_e32 vcc, 0, v1
	s_andn2_b64 s[16:17], s[16:17], exec
	s_and_b64 s[20:21], vcc, exec
	s_or_b64 s[16:17], s[16:17], s[20:21]
	s_or_b64 exec, exec, s[18:19]
	v_mov_b32_e32 v6, 0
	s_and_saveexec_b64 s[18:19], s[16:17]
	s_cbranch_execnz .LBB39_2764
	s_branch .LBB39_2765
.LBB39_3093:
	s_andn2_saveexec_b64 s[20:21], s[20:21]
	s_cbranch_execz .LBB39_2869
.LBB39_3094:
	v_add_f32_e32 v3, 0x46000000, v4
	v_and_b32_e32 v3, 0xff, v3
	v_cmp_ne_u32_e32 vcc, 0, v3
	s_andn2_b64 s[18:19], s[18:19], exec
	s_and_b64 s[24:25], vcc, exec
	s_or_b64 s[18:19], s[18:19], s[24:25]
	s_or_b64 exec, exec, s[20:21]
	v_mov_b32_e32 v5, 0
	s_and_saveexec_b64 s[20:21], s[18:19]
	s_cbranch_execnz .LBB39_2870
	s_branch .LBB39_2871
.LBB39_3095:
	s_trap 2
	s_or_b64 s[4:5], s[4:5], exec
	s_cbranch_execz .LBB39_2917
	s_branch .LBB39_2918
.LBB39_3096:
	s_andn2_saveexec_b64 s[18:19], s[18:19]
	s_cbranch_execz .LBB39_2882
.LBB39_3097:
	v_add_f32_e32 v3, 0x42800000, v4
	v_and_b32_e32 v3, 0xff, v3
	v_cmp_ne_u32_e32 vcc, 0, v3
	s_andn2_b64 s[16:17], s[16:17], exec
	s_and_b64 s[20:21], vcc, exec
	s_or_b64 s[16:17], s[16:17], s[20:21]
	s_or_b64 exec, exec, s[18:19]
	v_mov_b32_e32 v5, 0
	s_and_saveexec_b64 s[18:19], s[16:17]
	s_cbranch_execnz .LBB39_2883
	s_branch .LBB39_2884
.LBB39_3098:
	s_andn2_saveexec_b64 s[16:17], s[16:17]
	s_cbranch_execz .LBB39_2989
.LBB39_3099:
	v_add_f32_e32 v2, 0x46000000, v3
	v_and_b32_e32 v2, 0xff, v2
	v_cmp_ne_u32_e32 vcc, 0, v2
	s_andn2_b64 s[8:9], s[8:9], exec
	s_and_b64 s[18:19], vcc, exec
	s_or_b64 s[8:9], s[8:9], s[18:19]
	s_or_b64 exec, exec, s[16:17]
	v_mov_b32_e32 v4, 0
	s_and_saveexec_b64 s[16:17], s[8:9]
	s_cbranch_execnz .LBB39_2990
	s_branch .LBB39_2991
.LBB39_3100:
	s_mov_b64 s[2:3], 0
	s_or_b64 s[4:5], s[4:5], exec
	s_trap 2
	s_branch .LBB39_3035
.LBB39_3101:
	s_andn2_saveexec_b64 s[8:9], s[8:9]
	s_cbranch_execz .LBB39_3001
.LBB39_3102:
	v_add_f32_e32 v2, 0x42800000, v3
	v_and_b32_e32 v2, 0xff, v2
	v_cmp_ne_u32_e32 vcc, 0, v2
	s_andn2_b64 s[6:7], s[6:7], exec
	s_and_b64 s[16:17], vcc, exec
	s_or_b64 s[6:7], s[6:7], s[16:17]
	s_or_b64 exec, exec, s[8:9]
	v_mov_b32_e32 v4, 0
	s_and_saveexec_b64 s[8:9], s[6:7]
	s_cbranch_execnz .LBB39_3002
	s_branch .LBB39_3003
	.section	.rodata,"a",@progbits
	.p2align	6, 0x0
	.amdhsa_kernel _ZN2at6native32elementwise_kernel_manual_unrollILi128ELi4EZNS0_15gpu_kernel_implINS0_13BinaryFunctorIiibNS0_12_GLOBAL__N_116CompareEqFunctorIiEEEEEEvRNS_18TensorIteratorBaseERKT_EUlibE0_EEviT1_
		.amdhsa_group_segment_fixed_size 0
		.amdhsa_private_segment_fixed_size 0
		.amdhsa_kernarg_size 432
		.amdhsa_user_sgpr_count 6
		.amdhsa_user_sgpr_private_segment_buffer 1
		.amdhsa_user_sgpr_dispatch_ptr 0
		.amdhsa_user_sgpr_queue_ptr 0
		.amdhsa_user_sgpr_kernarg_segment_ptr 1
		.amdhsa_user_sgpr_dispatch_id 0
		.amdhsa_user_sgpr_flat_scratch_init 0
		.amdhsa_user_sgpr_private_segment_size 0
		.amdhsa_uses_dynamic_stack 0
		.amdhsa_system_sgpr_private_segment_wavefront_offset 0
		.amdhsa_system_sgpr_workgroup_id_x 1
		.amdhsa_system_sgpr_workgroup_id_y 0
		.amdhsa_system_sgpr_workgroup_id_z 0
		.amdhsa_system_sgpr_workgroup_info 0
		.amdhsa_system_vgpr_workitem_id 0
		.amdhsa_next_free_vgpr 24
		.amdhsa_next_free_sgpr 80
		.amdhsa_reserve_vcc 1
		.amdhsa_reserve_flat_scratch 0
		.amdhsa_float_round_mode_32 0
		.amdhsa_float_round_mode_16_64 0
		.amdhsa_float_denorm_mode_32 3
		.amdhsa_float_denorm_mode_16_64 3
		.amdhsa_dx10_clamp 1
		.amdhsa_ieee_mode 1
		.amdhsa_fp16_overflow 0
		.amdhsa_exception_fp_ieee_invalid_op 0
		.amdhsa_exception_fp_denorm_src 0
		.amdhsa_exception_fp_ieee_div_zero 0
		.amdhsa_exception_fp_ieee_overflow 0
		.amdhsa_exception_fp_ieee_underflow 0
		.amdhsa_exception_fp_ieee_inexact 0
		.amdhsa_exception_int_div_zero 0
	.end_amdhsa_kernel
	.section	.text._ZN2at6native32elementwise_kernel_manual_unrollILi128ELi4EZNS0_15gpu_kernel_implINS0_13BinaryFunctorIiibNS0_12_GLOBAL__N_116CompareEqFunctorIiEEEEEEvRNS_18TensorIteratorBaseERKT_EUlibE0_EEviT1_,"axG",@progbits,_ZN2at6native32elementwise_kernel_manual_unrollILi128ELi4EZNS0_15gpu_kernel_implINS0_13BinaryFunctorIiibNS0_12_GLOBAL__N_116CompareEqFunctorIiEEEEEEvRNS_18TensorIteratorBaseERKT_EUlibE0_EEviT1_,comdat
.Lfunc_end39:
	.size	_ZN2at6native32elementwise_kernel_manual_unrollILi128ELi4EZNS0_15gpu_kernel_implINS0_13BinaryFunctorIiibNS0_12_GLOBAL__N_116CompareEqFunctorIiEEEEEEvRNS_18TensorIteratorBaseERKT_EUlibE0_EEviT1_, .Lfunc_end39-_ZN2at6native32elementwise_kernel_manual_unrollILi128ELi4EZNS0_15gpu_kernel_implINS0_13BinaryFunctorIiibNS0_12_GLOBAL__N_116CompareEqFunctorIiEEEEEEvRNS_18TensorIteratorBaseERKT_EUlibE0_EEviT1_
                                        ; -- End function
	.set _ZN2at6native32elementwise_kernel_manual_unrollILi128ELi4EZNS0_15gpu_kernel_implINS0_13BinaryFunctorIiibNS0_12_GLOBAL__N_116CompareEqFunctorIiEEEEEEvRNS_18TensorIteratorBaseERKT_EUlibE0_EEviT1_.num_vgpr, 24
	.set _ZN2at6native32elementwise_kernel_manual_unrollILi128ELi4EZNS0_15gpu_kernel_implINS0_13BinaryFunctorIiibNS0_12_GLOBAL__N_116CompareEqFunctorIiEEEEEEvRNS_18TensorIteratorBaseERKT_EUlibE0_EEviT1_.num_agpr, 0
	.set _ZN2at6native32elementwise_kernel_manual_unrollILi128ELi4EZNS0_15gpu_kernel_implINS0_13BinaryFunctorIiibNS0_12_GLOBAL__N_116CompareEqFunctorIiEEEEEEvRNS_18TensorIteratorBaseERKT_EUlibE0_EEviT1_.numbered_sgpr, 80
	.set _ZN2at6native32elementwise_kernel_manual_unrollILi128ELi4EZNS0_15gpu_kernel_implINS0_13BinaryFunctorIiibNS0_12_GLOBAL__N_116CompareEqFunctorIiEEEEEEvRNS_18TensorIteratorBaseERKT_EUlibE0_EEviT1_.num_named_barrier, 0
	.set _ZN2at6native32elementwise_kernel_manual_unrollILi128ELi4EZNS0_15gpu_kernel_implINS0_13BinaryFunctorIiibNS0_12_GLOBAL__N_116CompareEqFunctorIiEEEEEEvRNS_18TensorIteratorBaseERKT_EUlibE0_EEviT1_.private_seg_size, 0
	.set _ZN2at6native32elementwise_kernel_manual_unrollILi128ELi4EZNS0_15gpu_kernel_implINS0_13BinaryFunctorIiibNS0_12_GLOBAL__N_116CompareEqFunctorIiEEEEEEvRNS_18TensorIteratorBaseERKT_EUlibE0_EEviT1_.uses_vcc, 1
	.set _ZN2at6native32elementwise_kernel_manual_unrollILi128ELi4EZNS0_15gpu_kernel_implINS0_13BinaryFunctorIiibNS0_12_GLOBAL__N_116CompareEqFunctorIiEEEEEEvRNS_18TensorIteratorBaseERKT_EUlibE0_EEviT1_.uses_flat_scratch, 0
	.set _ZN2at6native32elementwise_kernel_manual_unrollILi128ELi4EZNS0_15gpu_kernel_implINS0_13BinaryFunctorIiibNS0_12_GLOBAL__N_116CompareEqFunctorIiEEEEEEvRNS_18TensorIteratorBaseERKT_EUlibE0_EEviT1_.has_dyn_sized_stack, 0
	.set _ZN2at6native32elementwise_kernel_manual_unrollILi128ELi4EZNS0_15gpu_kernel_implINS0_13BinaryFunctorIiibNS0_12_GLOBAL__N_116CompareEqFunctorIiEEEEEEvRNS_18TensorIteratorBaseERKT_EUlibE0_EEviT1_.has_recursion, 0
	.set _ZN2at6native32elementwise_kernel_manual_unrollILi128ELi4EZNS0_15gpu_kernel_implINS0_13BinaryFunctorIiibNS0_12_GLOBAL__N_116CompareEqFunctorIiEEEEEEvRNS_18TensorIteratorBaseERKT_EUlibE0_EEviT1_.has_indirect_call, 0
	.section	.AMDGPU.csdata,"",@progbits
; Kernel info:
; codeLenInByte = 47632
; TotalNumSgprs: 84
; NumVgprs: 24
; ScratchSize: 0
; MemoryBound: 1
; FloatMode: 240
; IeeeMode: 1
; LDSByteSize: 0 bytes/workgroup (compile time only)
; SGPRBlocks: 10
; VGPRBlocks: 5
; NumSGPRsForWavesPerEU: 84
; NumVGPRsForWavesPerEU: 24
; Occupancy: 9
; WaveLimiterHint : 1
; COMPUTE_PGM_RSRC2:SCRATCH_EN: 0
; COMPUTE_PGM_RSRC2:USER_SGPR: 6
; COMPUTE_PGM_RSRC2:TRAP_HANDLER: 0
; COMPUTE_PGM_RSRC2:TGID_X_EN: 1
; COMPUTE_PGM_RSRC2:TGID_Y_EN: 0
; COMPUTE_PGM_RSRC2:TGID_Z_EN: 0
; COMPUTE_PGM_RSRC2:TIDIG_COMP_CNT: 0
	.section	.text._ZN2at6native29vectorized_elementwise_kernelILi16ENS0_13AUnaryFunctorIiibNS0_12_GLOBAL__N_116CompareEqFunctorIiEEEESt5arrayIPcLm2EEEEviT0_T1_,"axG",@progbits,_ZN2at6native29vectorized_elementwise_kernelILi16ENS0_13AUnaryFunctorIiibNS0_12_GLOBAL__N_116CompareEqFunctorIiEEEESt5arrayIPcLm2EEEEviT0_T1_,comdat
	.globl	_ZN2at6native29vectorized_elementwise_kernelILi16ENS0_13AUnaryFunctorIiibNS0_12_GLOBAL__N_116CompareEqFunctorIiEEEESt5arrayIPcLm2EEEEviT0_T1_ ; -- Begin function _ZN2at6native29vectorized_elementwise_kernelILi16ENS0_13AUnaryFunctorIiibNS0_12_GLOBAL__N_116CompareEqFunctorIiEEEESt5arrayIPcLm2EEEEviT0_T1_
	.p2align	8
	.type	_ZN2at6native29vectorized_elementwise_kernelILi16ENS0_13AUnaryFunctorIiibNS0_12_GLOBAL__N_116CompareEqFunctorIiEEEESt5arrayIPcLm2EEEEviT0_T1_,@function
_ZN2at6native29vectorized_elementwise_kernelILi16ENS0_13AUnaryFunctorIiibNS0_12_GLOBAL__N_116CompareEqFunctorIiEEEESt5arrayIPcLm2EEEEviT0_T1_: ; @_ZN2at6native29vectorized_elementwise_kernelILi16ENS0_13AUnaryFunctorIiibNS0_12_GLOBAL__N_116CompareEqFunctorIiEEEESt5arrayIPcLm2EEEEviT0_T1_
; %bb.0:
	s_load_dwordx8 s[36:43], s[4:5], 0x0
	s_lshl_b32 s30, s6, 12
	s_mov_b64 s[0:1], -1
	s_waitcnt lgkmcnt(0)
	s_sub_i32 s33, s36, s30
	s_cmpk_gt_i32 s33, 0xfff
	s_cbranch_scc0 .LBB40_2
; %bb.1:
	s_ashr_i32 s31, s30, 31
	s_lshl_b64 s[0:1], s[30:31], 2
	s_add_u32 s0, s42, s0
	s_addc_u32 s1, s43, s1
	v_lshlrev_b32_e32 v17, 6, v0
	global_load_dwordx4 v[1:4], v17, s[0:1]
	global_load_dwordx4 v[5:8], v17, s[0:1] offset:16
	global_load_dwordx4 v[9:12], v17, s[0:1] offset:32
	;; [unrolled: 1-line block ×3, first 2 shown]
	s_cmp_eq_u32 s37, 0
	s_cselect_b64 s[44:45], -1, 0
	s_add_u32 s34, s40, s30
	s_addc_u32 s35, s41, s31
	v_lshlrev_b32_e32 v17, 4, v0
	s_waitcnt vmcnt(3)
	v_cmp_ne_u32_e64 s[0:1], s38, v1
	v_cmp_ne_u32_e64 s[2:3], s38, v4
	s_xor_b64 s[0:1], s[44:45], s[0:1]
	v_cmp_ne_u32_e32 vcc, s38, v2
	v_cmp_ne_u32_e64 s[4:5], s38, v3
	v_cndmask_b32_e64 v2, 0, 1, s[0:1]
	s_xor_b64 s[0:1], s[44:45], s[2:3]
	s_waitcnt vmcnt(2)
	v_cmp_ne_u32_e64 s[6:7], s38, v6
	v_cndmask_b32_e64 v3, 0, 1, s[0:1]
	s_xor_b64 s[0:1], s[44:45], s[4:5]
	v_cmp_ne_u32_e64 s[8:9], s38, v5
	v_cndmask_b32_e64 v4, 0, 1, s[0:1]
	s_xor_b64 s[0:1], s[44:45], s[6:7]
	v_cmp_ne_u32_e64 s[10:11], s38, v8
	v_cndmask_b32_e64 v5, 0, 1, s[0:1]
	s_xor_b64 s[0:1], s[44:45], s[8:9]
	v_cmp_ne_u32_e64 s[12:13], s38, v7
	v_cndmask_b32_e64 v6, 0, 1, s[0:1]
	s_xor_b64 s[0:1], s[44:45], s[10:11]
	s_waitcnt vmcnt(1)
	v_cmp_ne_u32_e64 s[14:15], s38, v10
	v_cndmask_b32_e64 v7, 0, 1, s[0:1]
	s_xor_b64 s[0:1], s[44:45], s[12:13]
	v_cmp_ne_u32_e64 s[16:17], s38, v9
	v_cndmask_b32_e64 v8, 0, 1, s[0:1]
	s_xor_b64 s[0:1], s[44:45], s[14:15]
	v_cmp_ne_u32_e64 s[18:19], s38, v12
	v_cndmask_b32_e64 v9, 0, 1, s[0:1]
	s_xor_b64 s[0:1], s[44:45], s[16:17]
	;; [unrolled: 13-line block ×3, first 2 shown]
	v_cmp_ne_u32_e64 s[28:29], s38, v15
	s_xor_b64 s[46:47], s[44:45], vcc
	v_cndmask_b32_e64 v14, 0, 1, s[0:1]
	s_xor_b64 s[0:1], s[44:45], s[26:27]
	v_cndmask_b32_e64 v1, 0, 1, s[46:47]
	v_cndmask_b32_e64 v15, 0, 1, s[0:1]
	s_xor_b64 s[0:1], s[44:45], s[28:29]
	v_cndmask_b32_e64 v16, 0, 1, s[0:1]
	v_lshlrev_b16_e32 v1, 8, v1
	v_lshlrev_b16_e32 v3, 8, v3
	;; [unrolled: 1-line block ×8, first 2 shown]
	v_or_b32_e32 v1, v2, v1
	v_or_b32_sdwa v2, v4, v3 dst_sel:WORD_1 dst_unused:UNUSED_PAD src0_sel:DWORD src1_sel:DWORD
	v_or_b32_e32 v3, v6, v5
	v_or_b32_sdwa v4, v8, v7 dst_sel:WORD_1 dst_unused:UNUSED_PAD src0_sel:DWORD src1_sel:DWORD
	;; [unrolled: 2-line block ×4, first 2 shown]
	v_or_b32_sdwa v1, v1, v2 dst_sel:DWORD dst_unused:UNUSED_PAD src0_sel:WORD_0 src1_sel:DWORD
	v_or_b32_sdwa v2, v3, v4 dst_sel:DWORD dst_unused:UNUSED_PAD src0_sel:WORD_0 src1_sel:DWORD
	;; [unrolled: 1-line block ×4, first 2 shown]
	global_store_dwordx4 v17, v[1:4], s[34:35]
	s_mov_b64 s[0:1], 0
.LBB40_2:
	s_andn2_b64 vcc, exec, s[0:1]
	s_cbranch_vccnz .LBB40_52
; %bb.3:
	v_cmp_gt_i32_e32 vcc, s33, v0
	v_or_b32_e32 v19, 0x100, v0
	v_mov_b32_e32 v16, 0
	v_or_b32_e32 v1, s30, v0
	v_mov_b32_e32 v15, 0
	v_mov_b32_e32 v14, 0
	;; [unrolled: 1-line block ×15, first 2 shown]
	s_and_saveexec_b64 s[2:3], vcc
	s_cbranch_execz .LBB40_35
; %bb.4:
	v_mov_b32_e32 v2, 0
	v_lshlrev_b64 v[3:4], 2, v[1:2]
	v_mov_b32_e32 v5, s43
	v_add_co_u32_e64 v3, s[0:1], s42, v3
	v_addc_co_u32_e64 v4, s[0:1], v5, v4, s[0:1]
	global_load_dword v21, v[3:4], off
	v_cmp_gt_u32_e64 s[0:1], s33, v19
	v_mov_b32_e32 v9, v2
	v_mov_b32_e32 v20, v2
	;; [unrolled: 1-line block ×14, first 2 shown]
	s_and_saveexec_b64 s[4:5], s[0:1]
	s_cbranch_execz .LBB40_34
; %bb.5:
	v_add_u32_e32 v8, s30, v0
	v_mov_b32_e32 v9, 0
	v_lshlrev_b64 v[2:3], 2, v[8:9]
	v_mov_b32_e32 v4, s43
	v_add_co_u32_e64 v17, s[0:1], s42, v2
	v_addc_co_u32_e64 v18, s[0:1], v4, v3, s[0:1]
	global_load_dword v2, v[17:18], off offset:1024
	v_or_b32_e32 v3, 0x200, v0
	v_cmp_gt_u32_e64 s[0:1], s33, v3
	v_mov_b32_e32 v20, v9
	v_mov_b32_e32 v3, v9
	;; [unrolled: 1-line block ×13, first 2 shown]
	s_and_saveexec_b64 s[6:7], s[0:1]
	s_cbranch_execz .LBB40_33
; %bb.6:
	global_load_dword v9, v[17:18], off offset:2048
	v_or_b32_e32 v3, 0x300, v0
	v_cmp_gt_u32_e64 s[0:1], s33, v3
	v_mov_b32_e32 v20, 0
	v_mov_b32_e32 v3, 0
	;; [unrolled: 1-line block ×13, first 2 shown]
	s_and_saveexec_b64 s[8:9], s[0:1]
	s_cbranch_execz .LBB40_32
; %bb.7:
	global_load_dword v20, v[17:18], off offset:3072
	v_or_b32_e32 v10, 0x400, v0
	v_cmp_gt_u32_e64 s[0:1], s33, v10
	v_mov_b32_e32 v3, 0
	v_mov_b32_e32 v4, 0
	;; [unrolled: 1-line block ×12, first 2 shown]
	s_and_saveexec_b64 s[10:11], s[0:1]
	s_cbranch_execz .LBB40_31
; %bb.8:
	v_or_b32_e32 v3, s30, v10
	v_mov_b32_e32 v4, 0
	v_lshlrev_b64 v[5:6], 2, v[3:4]
	v_mov_b32_e32 v3, s43
	v_add_co_u32_e64 v5, s[0:1], s42, v5
	v_addc_co_u32_e64 v6, s[0:1], v3, v6, s[0:1]
	global_load_dword v3, v[5:6], off
	v_or_b32_e32 v10, 0x500, v0
	v_cmp_gt_u32_e64 s[0:1], s33, v10
	v_mov_b32_e32 v5, v4
	v_mov_b32_e32 v6, v4
	;; [unrolled: 1-line block ×10, first 2 shown]
	s_and_saveexec_b64 s[12:13], s[0:1]
	s_cbranch_execz .LBB40_30
; %bb.9:
	v_or_b32_e32 v4, s30, v10
	v_mov_b32_e32 v5, 0
	v_lshlrev_b64 v[6:7], 2, v[4:5]
	v_mov_b32_e32 v4, s43
	v_add_co_u32_e64 v6, s[0:1], s42, v6
	v_addc_co_u32_e64 v7, s[0:1], v4, v7, s[0:1]
	global_load_dword v4, v[6:7], off
	v_or_b32_e32 v10, 0x600, v0
	v_cmp_gt_u32_e64 s[0:1], s33, v10
	v_mov_b32_e32 v6, v5
	v_mov_b32_e32 v7, v5
	;; [unrolled: 1-line block ×9, first 2 shown]
	s_and_saveexec_b64 s[14:15], s[0:1]
	s_cbranch_execz .LBB40_29
; %bb.10:
	v_or_b32_e32 v5, s30, v10
	v_mov_b32_e32 v6, 0
	v_lshlrev_b64 v[7:8], 2, v[5:6]
	v_mov_b32_e32 v5, s43
	v_add_co_u32_e64 v7, s[0:1], s42, v7
	v_addc_co_u32_e64 v8, s[0:1], v5, v8, s[0:1]
	global_load_dword v5, v[7:8], off
	v_or_b32_e32 v10, 0x700, v0
	v_cmp_gt_u32_e64 s[0:1], s33, v10
	v_mov_b32_e32 v7, v6
	v_mov_b32_e32 v8, v6
	;; [unrolled: 1-line block ×8, first 2 shown]
	s_and_saveexec_b64 s[16:17], s[0:1]
	s_cbranch_execz .LBB40_28
; %bb.11:
	v_or_b32_e32 v6, s30, v10
	v_mov_b32_e32 v7, 0
	v_lshlrev_b64 v[10:11], 2, v[6:7]
	v_mov_b32_e32 v6, s43
	v_add_co_u32_e64 v10, s[0:1], s42, v10
	v_addc_co_u32_e64 v11, s[0:1], v6, v11, s[0:1]
	global_load_dword v6, v[10:11], off
	v_or_b32_e32 v10, 0x800, v0
	v_cmp_gt_u32_e64 s[0:1], s33, v10
	v_mov_b32_e32 v8, v7
	v_mov_b32_e32 v11, v7
	;; [unrolled: 1-line block ×7, first 2 shown]
	s_and_saveexec_b64 s[18:19], s[0:1]
	s_cbranch_execz .LBB40_27
; %bb.12:
	v_or_b32_e32 v7, s30, v10
	v_mov_b32_e32 v8, 0
	v_lshlrev_b64 v[10:11], 2, v[7:8]
	v_mov_b32_e32 v7, s43
	v_add_co_u32_e64 v10, s[0:1], s42, v10
	v_addc_co_u32_e64 v11, s[0:1], v7, v11, s[0:1]
	global_load_dword v7, v[10:11], off
	v_or_b32_e32 v10, 0x900, v0
	v_cmp_gt_u32_e64 s[0:1], s33, v10
	v_mov_b32_e32 v11, v8
	v_mov_b32_e32 v12, v8
	v_mov_b32_e32 v13, v8
	v_mov_b32_e32 v14, v8
	v_mov_b32_e32 v15, v8
	v_mov_b32_e32 v16, v8
	s_and_saveexec_b64 s[20:21], s[0:1]
	s_cbranch_execz .LBB40_26
; %bb.13:
	v_or_b32_e32 v10, s30, v10
	v_mov_b32_e32 v11, 0
	v_lshlrev_b64 v[12:13], 2, v[10:11]
	v_mov_b32_e32 v8, s43
	v_add_co_u32_e64 v12, s[0:1], s42, v12
	v_addc_co_u32_e64 v13, s[0:1], v8, v13, s[0:1]
	global_load_dword v8, v[12:13], off
	v_or_b32_e32 v10, 0xa00, v0
	v_cmp_gt_u32_e64 s[0:1], s33, v10
	v_mov_b32_e32 v12, v11
	v_mov_b32_e32 v13, v11
	;; [unrolled: 1-line block ×5, first 2 shown]
	s_and_saveexec_b64 s[22:23], s[0:1]
	s_cbranch_execz .LBB40_25
; %bb.14:
	v_or_b32_e32 v11, s30, v10
	v_mov_b32_e32 v12, 0
	v_lshlrev_b64 v[10:11], 2, v[11:12]
	v_mov_b32_e32 v13, s43
	v_add_co_u32_e64 v10, s[0:1], s42, v10
	v_addc_co_u32_e64 v11, s[0:1], v13, v11, s[0:1]
	global_load_dword v11, v[10:11], off
	v_or_b32_e32 v10, 0xb00, v0
	v_cmp_gt_u32_e64 s[0:1], s33, v10
	v_mov_b32_e32 v13, v12
	v_mov_b32_e32 v14, v12
	;; [unrolled: 1-line block ×4, first 2 shown]
	s_and_saveexec_b64 s[24:25], s[0:1]
	s_cbranch_execz .LBB40_24
; %bb.15:
	v_or_b32_e32 v12, s30, v10
	v_mov_b32_e32 v13, 0
	v_lshlrev_b64 v[14:15], 2, v[12:13]
	v_mov_b32_e32 v10, s43
	v_add_co_u32_e64 v14, s[0:1], s42, v14
	v_addc_co_u32_e64 v15, s[0:1], v10, v15, s[0:1]
	global_load_dword v12, v[14:15], off
	v_or_b32_e32 v10, 0xc00, v0
	v_cmp_gt_u32_e64 s[0:1], s33, v10
	v_mov_b32_e32 v14, v13
	v_mov_b32_e32 v15, v13
	;; [unrolled: 1-line block ×3, first 2 shown]
	s_and_saveexec_b64 s[26:27], s[0:1]
	s_cbranch_execz .LBB40_23
; %bb.16:
	v_or_b32_e32 v13, s30, v10
	v_mov_b32_e32 v14, 0
	v_lshlrev_b64 v[15:16], 2, v[13:14]
	v_mov_b32_e32 v10, s43
	v_add_co_u32_e64 v15, s[0:1], s42, v15
	v_addc_co_u32_e64 v16, s[0:1], v10, v16, s[0:1]
	global_load_dword v13, v[15:16], off
	v_or_b32_e32 v10, 0xd00, v0
	v_cmp_gt_u32_e64 s[0:1], s33, v10
	v_mov_b32_e32 v15, v14
	v_mov_b32_e32 v16, v14
	s_and_saveexec_b64 s[28:29], s[0:1]
	s_cbranch_execz .LBB40_22
; %bb.17:
	v_add_u32_e32 v14, s30, v10
	v_mov_b32_e32 v15, 0
	v_lshlrev_b64 v[16:17], 2, v[14:15]
	v_mov_b32_e32 v10, s43
	v_add_co_u32_e64 v16, s[0:1], s42, v16
	v_addc_co_u32_e64 v17, s[0:1], v10, v17, s[0:1]
	global_load_dword v14, v[16:17], off
	v_or_b32_e32 v10, 0xe00, v0
	v_cmp_gt_u32_e64 s[0:1], s33, v10
	v_mov_b32_e32 v16, v15
	s_and_saveexec_b64 s[34:35], s[0:1]
	s_cbranch_execz .LBB40_21
; %bb.18:
	v_add_u32_e32 v15, s30, v10
	v_mov_b32_e32 v16, 0
	v_lshlrev_b64 v[17:18], 2, v[15:16]
	v_mov_b32_e32 v10, s43
	v_add_co_u32_e64 v17, s[0:1], s42, v17
	v_addc_co_u32_e64 v18, s[0:1], v10, v18, s[0:1]
	global_load_dword v15, v[17:18], off
	v_or_b32_e32 v10, 0xf00, v0
	v_cmp_gt_u32_e64 s[0:1], s33, v10
	s_and_saveexec_b64 s[44:45], s[0:1]
	s_cbranch_execz .LBB40_20
; %bb.19:
	v_add_u32_e32 v16, s30, v10
	v_mov_b32_e32 v17, 0
	v_lshlrev_b64 v[16:17], 2, v[16:17]
	v_mov_b32_e32 v10, s43
	v_add_co_u32_e64 v16, s[0:1], s42, v16
	v_addc_co_u32_e64 v17, s[0:1], v10, v17, s[0:1]
	global_load_dword v16, v[16:17], off
.LBB40_20:
	s_or_b64 exec, exec, s[44:45]
.LBB40_21:
	s_or_b64 exec, exec, s[34:35]
.LBB40_22:
	s_or_b64 exec, exec, s[28:29]
.LBB40_23:
	s_or_b64 exec, exec, s[26:27]
.LBB40_24:
	s_or_b64 exec, exec, s[24:25]
.LBB40_25:
	s_or_b64 exec, exec, s[22:23]
.LBB40_26:
	s_or_b64 exec, exec, s[20:21]
.LBB40_27:
	s_or_b64 exec, exec, s[18:19]
.LBB40_28:
	s_or_b64 exec, exec, s[16:17]
.LBB40_29:
	s_or_b64 exec, exec, s[14:15]
.LBB40_30:
	s_or_b64 exec, exec, s[12:13]
.LBB40_31:
	s_or_b64 exec, exec, s[10:11]
.LBB40_32:
	s_or_b64 exec, exec, s[8:9]
.LBB40_33:
	s_or_b64 exec, exec, s[6:7]
.LBB40_34:
	s_or_b64 exec, exec, s[4:5]
.LBB40_35:
	s_or_b64 exec, exec, s[2:3]
	s_cmp_eq_u32 s37, 0
	s_cselect_b64 s[0:1], -1, 0
	s_and_saveexec_b64 s[2:3], vcc
	s_cbranch_execnz .LBB40_53
; %bb.36:
	s_or_b64 exec, exec, s[2:3]
	v_cmp_gt_i32_e32 vcc, s33, v0
	s_and_saveexec_b64 s[2:3], vcc
	s_cbranch_execnz .LBB40_54
.LBB40_37:
	s_or_b64 exec, exec, s[2:3]
	v_cmp_gt_i32_e32 vcc, s33, v0
	s_and_saveexec_b64 s[2:3], vcc
	s_cbranch_execnz .LBB40_55
.LBB40_38:
	s_or_b64 exec, exec, s[2:3]
	v_cmp_gt_i32_e32 vcc, s33, v0
	s_and_saveexec_b64 s[2:3], vcc
	s_cbranch_execnz .LBB40_56
.LBB40_39:
	s_or_b64 exec, exec, s[2:3]
	v_cmp_gt_i32_e32 vcc, s33, v0
	s_and_saveexec_b64 s[2:3], vcc
	s_cbranch_execnz .LBB40_57
.LBB40_40:
	s_or_b64 exec, exec, s[2:3]
	v_cmp_gt_i32_e32 vcc, s33, v0
	s_and_saveexec_b64 s[2:3], vcc
	s_cbranch_execnz .LBB40_58
.LBB40_41:
	s_or_b64 exec, exec, s[2:3]
	v_cmp_gt_i32_e32 vcc, s33, v0
	s_and_saveexec_b64 s[2:3], vcc
	s_cbranch_execnz .LBB40_59
.LBB40_42:
	s_or_b64 exec, exec, s[2:3]
	v_cmp_gt_i32_e32 vcc, s33, v0
	s_and_saveexec_b64 s[2:3], vcc
	s_cbranch_execnz .LBB40_60
.LBB40_43:
	s_or_b64 exec, exec, s[2:3]
	v_cmp_gt_i32_e32 vcc, s33, v0
	s_and_saveexec_b64 s[2:3], vcc
	s_cbranch_execnz .LBB40_61
.LBB40_44:
	s_or_b64 exec, exec, s[2:3]
	v_cmp_gt_i32_e32 vcc, s33, v0
	s_and_saveexec_b64 s[2:3], vcc
	s_cbranch_execnz .LBB40_62
.LBB40_45:
	s_or_b64 exec, exec, s[2:3]
	v_cmp_gt_i32_e32 vcc, s33, v0
	s_and_saveexec_b64 s[2:3], vcc
	s_cbranch_execnz .LBB40_63
.LBB40_46:
	s_or_b64 exec, exec, s[2:3]
	v_cmp_gt_i32_e32 vcc, s33, v0
	s_and_saveexec_b64 s[2:3], vcc
	s_cbranch_execnz .LBB40_64
.LBB40_47:
	s_or_b64 exec, exec, s[2:3]
	v_cmp_gt_i32_e32 vcc, s33, v0
	s_and_saveexec_b64 s[2:3], vcc
	s_cbranch_execnz .LBB40_65
.LBB40_48:
	s_or_b64 exec, exec, s[2:3]
	v_cmp_gt_i32_e32 vcc, s33, v0
	s_and_saveexec_b64 s[2:3], vcc
	s_cbranch_execnz .LBB40_66
.LBB40_49:
	s_or_b64 exec, exec, s[2:3]
	v_cmp_gt_i32_e32 vcc, s33, v0
	s_and_saveexec_b64 s[2:3], vcc
	s_cbranch_execnz .LBB40_67
.LBB40_50:
	s_or_b64 exec, exec, s[2:3]
	v_cmp_gt_i32_e32 vcc, s33, v0
	s_and_saveexec_b64 s[2:3], vcc
	s_cbranch_execz .LBB40_52
.LBB40_51:
	s_waitcnt vmcnt(0)
	v_cmp_ne_u32_e32 vcc, s38, v16
	s_xor_b64 s[0:1], s[0:1], vcc
	v_cndmask_b32_e64 v1, 0, 1, s[0:1]
	v_add_u32_e32 v0, s30, v0
	global_store_byte v0, v1, s[40:41]
.LBB40_52:
	s_endpgm
.LBB40_53:
	s_waitcnt vmcnt(0)
	v_cmp_ne_u32_e32 vcc, s38, v21
	s_xor_b64 s[4:5], s[0:1], vcc
	v_cndmask_b32_e64 v0, 0, 1, s[4:5]
	global_store_byte v1, v0, s[40:41]
	v_mov_b32_e32 v0, v19
	s_or_b64 exec, exec, s[2:3]
	v_cmp_gt_i32_e32 vcc, s33, v0
	s_and_saveexec_b64 s[2:3], vcc
	s_cbranch_execz .LBB40_37
.LBB40_54:
	s_waitcnt vmcnt(0)
	v_cmp_ne_u32_e32 vcc, s38, v2
	s_xor_b64 s[4:5], s[0:1], vcc
	v_cndmask_b32_e64 v1, 0, 1, s[4:5]
	v_add_u32_e32 v2, s30, v0
	v_add_u32_e32 v0, 0x100, v0
	global_store_byte v2, v1, s[40:41]
	s_or_b64 exec, exec, s[2:3]
	v_cmp_gt_i32_e32 vcc, s33, v0
	s_and_saveexec_b64 s[2:3], vcc
	s_cbranch_execz .LBB40_38
.LBB40_55:
	s_waitcnt vmcnt(0)
	v_cmp_ne_u32_e32 vcc, s38, v9
	s_xor_b64 s[4:5], s[0:1], vcc
	v_cndmask_b32_e64 v1, 0, 1, s[4:5]
	v_add_u32_e32 v2, s30, v0
	v_add_u32_e32 v0, 0x100, v0
	global_store_byte v2, v1, s[40:41]
	s_or_b64 exec, exec, s[2:3]
	v_cmp_gt_i32_e32 vcc, s33, v0
	s_and_saveexec_b64 s[2:3], vcc
	s_cbranch_execz .LBB40_39
.LBB40_56:
	s_waitcnt vmcnt(0)
	v_cmp_ne_u32_e32 vcc, s38, v20
	s_xor_b64 s[4:5], s[0:1], vcc
	v_cndmask_b32_e64 v1, 0, 1, s[4:5]
	v_add_u32_e32 v2, s30, v0
	v_add_u32_e32 v0, 0x100, v0
	global_store_byte v2, v1, s[40:41]
	s_or_b64 exec, exec, s[2:3]
	v_cmp_gt_i32_e32 vcc, s33, v0
	s_and_saveexec_b64 s[2:3], vcc
	s_cbranch_execz .LBB40_40
.LBB40_57:
	s_waitcnt vmcnt(0)
	v_cmp_ne_u32_e32 vcc, s38, v3
	s_xor_b64 s[4:5], s[0:1], vcc
	v_cndmask_b32_e64 v1, 0, 1, s[4:5]
	v_add_u32_e32 v2, s30, v0
	v_add_u32_e32 v0, 0x100, v0
	global_store_byte v2, v1, s[40:41]
	s_or_b64 exec, exec, s[2:3]
	v_cmp_gt_i32_e32 vcc, s33, v0
	s_and_saveexec_b64 s[2:3], vcc
	s_cbranch_execz .LBB40_41
.LBB40_58:
	s_waitcnt vmcnt(0)
	v_cmp_ne_u32_e32 vcc, s38, v4
	s_xor_b64 s[4:5], s[0:1], vcc
	v_cndmask_b32_e64 v1, 0, 1, s[4:5]
	v_add_u32_e32 v2, s30, v0
	v_add_u32_e32 v0, 0x100, v0
	global_store_byte v2, v1, s[40:41]
	s_or_b64 exec, exec, s[2:3]
	v_cmp_gt_i32_e32 vcc, s33, v0
	s_and_saveexec_b64 s[2:3], vcc
	s_cbranch_execz .LBB40_42
.LBB40_59:
	s_waitcnt vmcnt(0)
	v_cmp_ne_u32_e32 vcc, s38, v5
	s_xor_b64 s[4:5], s[0:1], vcc
	v_cndmask_b32_e64 v1, 0, 1, s[4:5]
	v_add_u32_e32 v2, s30, v0
	v_add_u32_e32 v0, 0x100, v0
	global_store_byte v2, v1, s[40:41]
	s_or_b64 exec, exec, s[2:3]
	v_cmp_gt_i32_e32 vcc, s33, v0
	s_and_saveexec_b64 s[2:3], vcc
	s_cbranch_execz .LBB40_43
.LBB40_60:
	s_waitcnt vmcnt(0)
	v_cmp_ne_u32_e32 vcc, s38, v6
	s_xor_b64 s[4:5], s[0:1], vcc
	v_cndmask_b32_e64 v1, 0, 1, s[4:5]
	v_add_u32_e32 v2, s30, v0
	v_add_u32_e32 v0, 0x100, v0
	global_store_byte v2, v1, s[40:41]
	s_or_b64 exec, exec, s[2:3]
	v_cmp_gt_i32_e32 vcc, s33, v0
	s_and_saveexec_b64 s[2:3], vcc
	s_cbranch_execz .LBB40_44
.LBB40_61:
	s_waitcnt vmcnt(0)
	v_cmp_ne_u32_e32 vcc, s38, v7
	s_xor_b64 s[4:5], s[0:1], vcc
	v_cndmask_b32_e64 v1, 0, 1, s[4:5]
	v_add_u32_e32 v2, s30, v0
	v_add_u32_e32 v0, 0x100, v0
	global_store_byte v2, v1, s[40:41]
	s_or_b64 exec, exec, s[2:3]
	v_cmp_gt_i32_e32 vcc, s33, v0
	s_and_saveexec_b64 s[2:3], vcc
	s_cbranch_execz .LBB40_45
.LBB40_62:
	s_waitcnt vmcnt(0)
	v_cmp_ne_u32_e32 vcc, s38, v8
	s_xor_b64 s[4:5], s[0:1], vcc
	v_cndmask_b32_e64 v1, 0, 1, s[4:5]
	v_add_u32_e32 v2, s30, v0
	v_add_u32_e32 v0, 0x100, v0
	global_store_byte v2, v1, s[40:41]
	s_or_b64 exec, exec, s[2:3]
	v_cmp_gt_i32_e32 vcc, s33, v0
	s_and_saveexec_b64 s[2:3], vcc
	s_cbranch_execz .LBB40_46
.LBB40_63:
	s_waitcnt vmcnt(0)
	v_cmp_ne_u32_e32 vcc, s38, v11
	s_xor_b64 s[4:5], s[0:1], vcc
	v_cndmask_b32_e64 v1, 0, 1, s[4:5]
	v_add_u32_e32 v2, s30, v0
	v_add_u32_e32 v0, 0x100, v0
	global_store_byte v2, v1, s[40:41]
	s_or_b64 exec, exec, s[2:3]
	v_cmp_gt_i32_e32 vcc, s33, v0
	s_and_saveexec_b64 s[2:3], vcc
	s_cbranch_execz .LBB40_47
.LBB40_64:
	s_waitcnt vmcnt(0)
	v_cmp_ne_u32_e32 vcc, s38, v12
	s_xor_b64 s[4:5], s[0:1], vcc
	v_cndmask_b32_e64 v1, 0, 1, s[4:5]
	v_add_u32_e32 v2, s30, v0
	v_add_u32_e32 v0, 0x100, v0
	global_store_byte v2, v1, s[40:41]
	s_or_b64 exec, exec, s[2:3]
	v_cmp_gt_i32_e32 vcc, s33, v0
	s_and_saveexec_b64 s[2:3], vcc
	s_cbranch_execz .LBB40_48
.LBB40_65:
	s_waitcnt vmcnt(0)
	v_cmp_ne_u32_e32 vcc, s38, v13
	s_xor_b64 s[4:5], s[0:1], vcc
	v_cndmask_b32_e64 v1, 0, 1, s[4:5]
	v_add_u32_e32 v2, s30, v0
	v_add_u32_e32 v0, 0x100, v0
	global_store_byte v2, v1, s[40:41]
	s_or_b64 exec, exec, s[2:3]
	v_cmp_gt_i32_e32 vcc, s33, v0
	s_and_saveexec_b64 s[2:3], vcc
	s_cbranch_execz .LBB40_49
.LBB40_66:
	s_waitcnt vmcnt(0)
	v_cmp_ne_u32_e32 vcc, s38, v14
	s_xor_b64 s[4:5], s[0:1], vcc
	v_cndmask_b32_e64 v1, 0, 1, s[4:5]
	v_add_u32_e32 v2, s30, v0
	v_add_u32_e32 v0, 0x100, v0
	global_store_byte v2, v1, s[40:41]
	s_or_b64 exec, exec, s[2:3]
	v_cmp_gt_i32_e32 vcc, s33, v0
	s_and_saveexec_b64 s[2:3], vcc
	s_cbranch_execz .LBB40_50
.LBB40_67:
	s_waitcnt vmcnt(0)
	v_cmp_ne_u32_e32 vcc, s38, v15
	s_xor_b64 s[4:5], s[0:1], vcc
	v_cndmask_b32_e64 v1, 0, 1, s[4:5]
	v_add_u32_e32 v2, s30, v0
	v_add_u32_e32 v0, 0x100, v0
	global_store_byte v2, v1, s[40:41]
	s_or_b64 exec, exec, s[2:3]
	v_cmp_gt_i32_e32 vcc, s33, v0
	s_and_saveexec_b64 s[2:3], vcc
	s_cbranch_execnz .LBB40_51
	s_branch .LBB40_52
	.section	.rodata,"a",@progbits
	.p2align	6, 0x0
	.amdhsa_kernel _ZN2at6native29vectorized_elementwise_kernelILi16ENS0_13AUnaryFunctorIiibNS0_12_GLOBAL__N_116CompareEqFunctorIiEEEESt5arrayIPcLm2EEEEviT0_T1_
		.amdhsa_group_segment_fixed_size 0
		.amdhsa_private_segment_fixed_size 0
		.amdhsa_kernarg_size 32
		.amdhsa_user_sgpr_count 6
		.amdhsa_user_sgpr_private_segment_buffer 1
		.amdhsa_user_sgpr_dispatch_ptr 0
		.amdhsa_user_sgpr_queue_ptr 0
		.amdhsa_user_sgpr_kernarg_segment_ptr 1
		.amdhsa_user_sgpr_dispatch_id 0
		.amdhsa_user_sgpr_flat_scratch_init 0
		.amdhsa_user_sgpr_private_segment_size 0
		.amdhsa_uses_dynamic_stack 0
		.amdhsa_system_sgpr_private_segment_wavefront_offset 0
		.amdhsa_system_sgpr_workgroup_id_x 1
		.amdhsa_system_sgpr_workgroup_id_y 0
		.amdhsa_system_sgpr_workgroup_id_z 0
		.amdhsa_system_sgpr_workgroup_info 0
		.amdhsa_system_vgpr_workitem_id 0
		.amdhsa_next_free_vgpr 22
		.amdhsa_next_free_sgpr 48
		.amdhsa_reserve_vcc 1
		.amdhsa_reserve_flat_scratch 0
		.amdhsa_float_round_mode_32 0
		.amdhsa_float_round_mode_16_64 0
		.amdhsa_float_denorm_mode_32 3
		.amdhsa_float_denorm_mode_16_64 3
		.amdhsa_dx10_clamp 1
		.amdhsa_ieee_mode 1
		.amdhsa_fp16_overflow 0
		.amdhsa_exception_fp_ieee_invalid_op 0
		.amdhsa_exception_fp_denorm_src 0
		.amdhsa_exception_fp_ieee_div_zero 0
		.amdhsa_exception_fp_ieee_overflow 0
		.amdhsa_exception_fp_ieee_underflow 0
		.amdhsa_exception_fp_ieee_inexact 0
		.amdhsa_exception_int_div_zero 0
	.end_amdhsa_kernel
	.section	.text._ZN2at6native29vectorized_elementwise_kernelILi16ENS0_13AUnaryFunctorIiibNS0_12_GLOBAL__N_116CompareEqFunctorIiEEEESt5arrayIPcLm2EEEEviT0_T1_,"axG",@progbits,_ZN2at6native29vectorized_elementwise_kernelILi16ENS0_13AUnaryFunctorIiibNS0_12_GLOBAL__N_116CompareEqFunctorIiEEEESt5arrayIPcLm2EEEEviT0_T1_,comdat
.Lfunc_end40:
	.size	_ZN2at6native29vectorized_elementwise_kernelILi16ENS0_13AUnaryFunctorIiibNS0_12_GLOBAL__N_116CompareEqFunctorIiEEEESt5arrayIPcLm2EEEEviT0_T1_, .Lfunc_end40-_ZN2at6native29vectorized_elementwise_kernelILi16ENS0_13AUnaryFunctorIiibNS0_12_GLOBAL__N_116CompareEqFunctorIiEEEESt5arrayIPcLm2EEEEviT0_T1_
                                        ; -- End function
	.set _ZN2at6native29vectorized_elementwise_kernelILi16ENS0_13AUnaryFunctorIiibNS0_12_GLOBAL__N_116CompareEqFunctorIiEEEESt5arrayIPcLm2EEEEviT0_T1_.num_vgpr, 22
	.set _ZN2at6native29vectorized_elementwise_kernelILi16ENS0_13AUnaryFunctorIiibNS0_12_GLOBAL__N_116CompareEqFunctorIiEEEESt5arrayIPcLm2EEEEviT0_T1_.num_agpr, 0
	.set _ZN2at6native29vectorized_elementwise_kernelILi16ENS0_13AUnaryFunctorIiibNS0_12_GLOBAL__N_116CompareEqFunctorIiEEEESt5arrayIPcLm2EEEEviT0_T1_.numbered_sgpr, 48
	.set _ZN2at6native29vectorized_elementwise_kernelILi16ENS0_13AUnaryFunctorIiibNS0_12_GLOBAL__N_116CompareEqFunctorIiEEEESt5arrayIPcLm2EEEEviT0_T1_.num_named_barrier, 0
	.set _ZN2at6native29vectorized_elementwise_kernelILi16ENS0_13AUnaryFunctorIiibNS0_12_GLOBAL__N_116CompareEqFunctorIiEEEESt5arrayIPcLm2EEEEviT0_T1_.private_seg_size, 0
	.set _ZN2at6native29vectorized_elementwise_kernelILi16ENS0_13AUnaryFunctorIiibNS0_12_GLOBAL__N_116CompareEqFunctorIiEEEESt5arrayIPcLm2EEEEviT0_T1_.uses_vcc, 1
	.set _ZN2at6native29vectorized_elementwise_kernelILi16ENS0_13AUnaryFunctorIiibNS0_12_GLOBAL__N_116CompareEqFunctorIiEEEESt5arrayIPcLm2EEEEviT0_T1_.uses_flat_scratch, 0
	.set _ZN2at6native29vectorized_elementwise_kernelILi16ENS0_13AUnaryFunctorIiibNS0_12_GLOBAL__N_116CompareEqFunctorIiEEEESt5arrayIPcLm2EEEEviT0_T1_.has_dyn_sized_stack, 0
	.set _ZN2at6native29vectorized_elementwise_kernelILi16ENS0_13AUnaryFunctorIiibNS0_12_GLOBAL__N_116CompareEqFunctorIiEEEESt5arrayIPcLm2EEEEviT0_T1_.has_recursion, 0
	.set _ZN2at6native29vectorized_elementwise_kernelILi16ENS0_13AUnaryFunctorIiibNS0_12_GLOBAL__N_116CompareEqFunctorIiEEEESt5arrayIPcLm2EEEEviT0_T1_.has_indirect_call, 0
	.section	.AMDGPU.csdata,"",@progbits
; Kernel info:
; codeLenInByte = 3256
; TotalNumSgprs: 52
; NumVgprs: 22
; ScratchSize: 0
; MemoryBound: 0
; FloatMode: 240
; IeeeMode: 1
; LDSByteSize: 0 bytes/workgroup (compile time only)
; SGPRBlocks: 6
; VGPRBlocks: 5
; NumSGPRsForWavesPerEU: 52
; NumVGPRsForWavesPerEU: 22
; Occupancy: 10
; WaveLimiterHint : 0
; COMPUTE_PGM_RSRC2:SCRATCH_EN: 0
; COMPUTE_PGM_RSRC2:USER_SGPR: 6
; COMPUTE_PGM_RSRC2:TRAP_HANDLER: 0
; COMPUTE_PGM_RSRC2:TGID_X_EN: 1
; COMPUTE_PGM_RSRC2:TGID_Y_EN: 0
; COMPUTE_PGM_RSRC2:TGID_Z_EN: 0
; COMPUTE_PGM_RSRC2:TIDIG_COMP_CNT: 0
	.section	.text._ZN2at6native29vectorized_elementwise_kernelILi8ENS0_13AUnaryFunctorIiibNS0_12_GLOBAL__N_116CompareEqFunctorIiEEEESt5arrayIPcLm2EEEEviT0_T1_,"axG",@progbits,_ZN2at6native29vectorized_elementwise_kernelILi8ENS0_13AUnaryFunctorIiibNS0_12_GLOBAL__N_116CompareEqFunctorIiEEEESt5arrayIPcLm2EEEEviT0_T1_,comdat
	.globl	_ZN2at6native29vectorized_elementwise_kernelILi8ENS0_13AUnaryFunctorIiibNS0_12_GLOBAL__N_116CompareEqFunctorIiEEEESt5arrayIPcLm2EEEEviT0_T1_ ; -- Begin function _ZN2at6native29vectorized_elementwise_kernelILi8ENS0_13AUnaryFunctorIiibNS0_12_GLOBAL__N_116CompareEqFunctorIiEEEESt5arrayIPcLm2EEEEviT0_T1_
	.p2align	8
	.type	_ZN2at6native29vectorized_elementwise_kernelILi8ENS0_13AUnaryFunctorIiibNS0_12_GLOBAL__N_116CompareEqFunctorIiEEEESt5arrayIPcLm2EEEEviT0_T1_,@function
_ZN2at6native29vectorized_elementwise_kernelILi8ENS0_13AUnaryFunctorIiibNS0_12_GLOBAL__N_116CompareEqFunctorIiEEEESt5arrayIPcLm2EEEEviT0_T1_: ; @_ZN2at6native29vectorized_elementwise_kernelILi8ENS0_13AUnaryFunctorIiibNS0_12_GLOBAL__N_116CompareEqFunctorIiEEEESt5arrayIPcLm2EEEEviT0_T1_
; %bb.0:
	s_load_dwordx8 s[16:23], s[4:5], 0x0
	s_lshl_b32 s14, s6, 12
	s_mov_b64 s[0:1], -1
	s_waitcnt lgkmcnt(0)
	s_sub_i32 s16, s16, s14
	s_cmpk_gt_i32 s16, 0xfff
	s_cbranch_scc0 .LBB41_2
; %bb.1:
	s_ashr_i32 s15, s14, 31
	s_lshl_b64 s[0:1], s[14:15], 2
	s_add_u32 s0, s22, s0
	s_addc_u32 s1, s23, s1
	v_lshlrev_b32_e32 v9, 5, v0
	global_load_dwordx4 v[1:4], v9, s[0:1]
	global_load_dwordx4 v[5:8], v9, s[0:1] offset:16
	v_mov_b32_e32 v10, s1
	v_add_co_u32_e32 v9, vcc, s0, v9
	v_addc_co_u32_e32 v14, vcc, 0, v10, vcc
	v_add_co_u32_e32 v13, vcc, 0x2000, v9
	v_addc_co_u32_e64 v10, s[0:1], 0, v14, vcc
	v_mov_b32_e32 v9, v13
	global_load_dwordx4 v[9:12], v[9:10], off
	v_addc_co_u32_e32 v14, vcc, 0, v14, vcc
	global_load_dwordx4 v[13:16], v[13:14], off offset:16
	s_cmp_eq_u32 s17, 0
	s_cselect_b64 s[24:25], -1, 0
	v_mov_b32_e32 v17, 0x100
	v_mov_b32_e32 v18, 0x10000
	v_mov_b32_e32 v19, 0x1000000
	s_waitcnt vmcnt(3)
	v_cmp_ne_u32_e32 vcc, s18, v1
	v_cmp_ne_u32_e64 s[0:1], s18, v2
	v_cmp_ne_u32_e64 s[2:3], s18, v3
	s_xor_b64 s[26:27], s[24:25], vcc
	s_xor_b64 vcc, s[24:25], s[0:1]
	v_cmp_ne_u32_e64 s[4:5], s18, v4
	v_cndmask_b32_e32 v2, 0, v17, vcc
	s_xor_b64 vcc, s[24:25], s[2:3]
	s_waitcnt vmcnt(2)
	v_cmp_ne_u32_e64 s[6:7], s18, v5
	v_cmp_ne_u32_e64 s[8:9], s18, v6
	v_cndmask_b32_e32 v5, 0, v18, vcc
	s_xor_b64 vcc, s[24:25], s[4:5]
	v_cmp_ne_u32_e64 s[10:11], s18, v7
	v_cndmask_b32_e32 v6, 0, v19, vcc
	s_xor_b64 vcc, s[24:25], s[8:9]
	v_cmp_ne_u32_e64 s[12:13], s18, v8
	v_cndmask_b32_e64 v1, 0, 1, s[26:27]
	s_xor_b64 s[0:1], s[24:25], s[6:7]
	v_cndmask_b32_e32 v8, 0, v17, vcc
	s_xor_b64 vcc, s[24:25], s[10:11]
	v_or3_b32 v3, 0, 0, 0
	v_cndmask_b32_e64 v7, 0, 1, s[0:1]
	v_or_b32_e32 v1, v2, v1
	v_cndmask_b32_e32 v2, 0, v18, vcc
	s_xor_b64 vcc, s[24:25], s[12:13]
	v_or3_b32 v7, v3, v7, v8
	v_cndmask_b32_e32 v8, 0, v19, vcc
	s_waitcnt vmcnt(1)
	v_cmp_ne_u32_e32 vcc, s18, v9
	v_cmp_ne_u32_e64 s[0:1], s18, v10
	v_cmp_ne_u32_e64 s[2:3], s18, v11
	s_xor_b64 s[26:27], s[24:25], vcc
	s_xor_b64 vcc, s[24:25], s[0:1]
	v_or3_b32 v1, v1, v5, v6
	v_cmp_ne_u32_e64 s[4:5], s18, v12
	v_cndmask_b32_e32 v6, 0, v17, vcc
	s_xor_b64 vcc, s[24:25], s[2:3]
	v_or3_b32 v2, v7, v2, v8
	s_waitcnt vmcnt(0)
	v_cmp_ne_u32_e64 s[8:9], s18, v14
	v_cndmask_b32_e32 v7, 0, v18, vcc
	s_xor_b64 vcc, s[24:25], s[4:5]
	v_cmp_ne_u32_e64 s[10:11], s18, v15
	v_cndmask_b32_e32 v8, 0, v19, vcc
	s_xor_b64 vcc, s[24:25], s[8:9]
	v_cmp_ne_u32_e64 s[6:7], s18, v13
	v_cmp_ne_u32_e64 s[12:13], s18, v16
	v_cndmask_b32_e64 v5, 0, 1, s[26:27]
	v_cndmask_b32_e32 v10, 0, v17, vcc
	s_xor_b64 vcc, s[24:25], s[10:11]
	s_xor_b64 s[0:1], s[24:25], s[6:7]
	v_cndmask_b32_e32 v11, 0, v18, vcc
	s_xor_b64 vcc, s[24:25], s[12:13]
	v_or_b32_e32 v5, v6, v5
	v_or3_b32 v1, v1, 0, 0
	v_cndmask_b32_e64 v9, 0, 1, s[0:1]
	s_add_u32 s0, s20, s14
	v_or3_b32 v5, v5, v7, v8
	v_lshlrev_b32_e32 v4, 3, v0
	v_cndmask_b32_e32 v12, 0, v19, vcc
	v_or3_b32 v1, v1, 0, 0
	v_or3_b32 v3, v3, v9, v10
	s_addc_u32 s1, s21, s15
	v_or3_b32 v5, v5, 0, 0
	v_or3_b32 v3, v3, v11, v12
	global_store_dwordx2 v4, v[1:2], s[0:1]
	v_or3_b32 v2, v5, 0, 0
	global_store_dwordx2 v4, v[2:3], s[0:1] offset:2048
	s_mov_b64 s[0:1], 0
.LBB41_2:
	s_andn2_b64 vcc, exec, s[0:1]
	s_cbranch_vccnz .LBB41_52
; %bb.3:
	v_cmp_gt_i32_e32 vcc, s16, v0
	v_or_b32_e32 v19, 0x100, v0
	v_mov_b32_e32 v16, 0
	v_or_b32_e32 v1, s14, v0
	v_mov_b32_e32 v15, 0
	v_mov_b32_e32 v14, 0
	;; [unrolled: 1-line block ×15, first 2 shown]
	s_and_saveexec_b64 s[2:3], vcc
	s_cbranch_execz .LBB41_35
; %bb.4:
	v_mov_b32_e32 v2, 0
	v_lshlrev_b64 v[3:4], 2, v[1:2]
	v_mov_b32_e32 v5, s23
	v_add_co_u32_e64 v3, s[0:1], s22, v3
	v_addc_co_u32_e64 v4, s[0:1], v5, v4, s[0:1]
	global_load_dword v21, v[3:4], off
	v_cmp_gt_u32_e64 s[0:1], s16, v19
	v_mov_b32_e32 v9, v2
	v_mov_b32_e32 v20, v2
	;; [unrolled: 1-line block ×14, first 2 shown]
	s_and_saveexec_b64 s[4:5], s[0:1]
	s_cbranch_execz .LBB41_34
; %bb.5:
	v_add_u32_e32 v8, s14, v0
	v_mov_b32_e32 v9, 0
	v_lshlrev_b64 v[2:3], 2, v[8:9]
	v_mov_b32_e32 v4, s23
	v_add_co_u32_e64 v17, s[0:1], s22, v2
	v_addc_co_u32_e64 v18, s[0:1], v4, v3, s[0:1]
	global_load_dword v2, v[17:18], off offset:1024
	v_or_b32_e32 v3, 0x200, v0
	v_cmp_gt_u32_e64 s[0:1], s16, v3
	v_mov_b32_e32 v20, v9
	v_mov_b32_e32 v3, v9
	v_mov_b32_e32 v4, v9
	v_mov_b32_e32 v5, v9
	v_mov_b32_e32 v6, v9
	v_mov_b32_e32 v7, v9
	v_mov_b32_e32 v8, v9
	v_mov_b32_e32 v11, v9
	v_mov_b32_e32 v12, v9
	v_mov_b32_e32 v13, v9
	v_mov_b32_e32 v14, v9
	v_mov_b32_e32 v15, v9
	v_mov_b32_e32 v16, v9
	s_and_saveexec_b64 s[6:7], s[0:1]
	s_cbranch_execz .LBB41_33
; %bb.6:
	global_load_dword v9, v[17:18], off offset:2048
	v_or_b32_e32 v3, 0x300, v0
	v_cmp_gt_u32_e64 s[0:1], s16, v3
	v_mov_b32_e32 v20, 0
	v_mov_b32_e32 v3, 0
	;; [unrolled: 1-line block ×13, first 2 shown]
	s_and_saveexec_b64 s[8:9], s[0:1]
	s_cbranch_execz .LBB41_32
; %bb.7:
	global_load_dword v20, v[17:18], off offset:3072
	v_or_b32_e32 v10, 0x400, v0
	v_cmp_gt_u32_e64 s[0:1], s16, v10
	v_mov_b32_e32 v3, 0
	v_mov_b32_e32 v4, 0
	;; [unrolled: 1-line block ×12, first 2 shown]
	s_and_saveexec_b64 s[10:11], s[0:1]
	s_cbranch_execz .LBB41_31
; %bb.8:
	v_or_b32_e32 v3, s14, v10
	v_mov_b32_e32 v4, 0
	v_lshlrev_b64 v[5:6], 2, v[3:4]
	v_mov_b32_e32 v3, s23
	v_add_co_u32_e64 v5, s[0:1], s22, v5
	v_addc_co_u32_e64 v6, s[0:1], v3, v6, s[0:1]
	global_load_dword v3, v[5:6], off
	v_or_b32_e32 v10, 0x500, v0
	v_cmp_gt_u32_e64 s[0:1], s16, v10
	v_mov_b32_e32 v5, v4
	v_mov_b32_e32 v6, v4
	;; [unrolled: 1-line block ×10, first 2 shown]
	s_and_saveexec_b64 s[12:13], s[0:1]
	s_cbranch_execz .LBB41_30
; %bb.9:
	v_or_b32_e32 v4, s14, v10
	v_mov_b32_e32 v5, 0
	v_lshlrev_b64 v[6:7], 2, v[4:5]
	v_mov_b32_e32 v4, s23
	v_add_co_u32_e64 v6, s[0:1], s22, v6
	v_addc_co_u32_e64 v7, s[0:1], v4, v7, s[0:1]
	global_load_dword v4, v[6:7], off
	v_or_b32_e32 v10, 0x600, v0
	v_cmp_gt_u32_e64 s[0:1], s16, v10
	v_mov_b32_e32 v6, v5
	v_mov_b32_e32 v7, v5
	;; [unrolled: 1-line block ×9, first 2 shown]
	s_and_saveexec_b64 s[24:25], s[0:1]
	s_cbranch_execz .LBB41_29
; %bb.10:
	v_or_b32_e32 v5, s14, v10
	v_mov_b32_e32 v6, 0
	v_lshlrev_b64 v[7:8], 2, v[5:6]
	v_mov_b32_e32 v5, s23
	v_add_co_u32_e64 v7, s[0:1], s22, v7
	v_addc_co_u32_e64 v8, s[0:1], v5, v8, s[0:1]
	global_load_dword v5, v[7:8], off
	v_or_b32_e32 v10, 0x700, v0
	v_cmp_gt_u32_e64 s[0:1], s16, v10
	v_mov_b32_e32 v7, v6
	v_mov_b32_e32 v8, v6
	;; [unrolled: 1-line block ×8, first 2 shown]
	s_and_saveexec_b64 s[26:27], s[0:1]
	s_cbranch_execz .LBB41_28
; %bb.11:
	v_or_b32_e32 v6, s14, v10
	v_mov_b32_e32 v7, 0
	v_lshlrev_b64 v[10:11], 2, v[6:7]
	v_mov_b32_e32 v6, s23
	v_add_co_u32_e64 v10, s[0:1], s22, v10
	v_addc_co_u32_e64 v11, s[0:1], v6, v11, s[0:1]
	global_load_dword v6, v[10:11], off
	v_or_b32_e32 v10, 0x800, v0
	v_cmp_gt_u32_e64 s[0:1], s16, v10
	v_mov_b32_e32 v8, v7
	v_mov_b32_e32 v11, v7
	;; [unrolled: 1-line block ×7, first 2 shown]
	s_and_saveexec_b64 s[28:29], s[0:1]
	s_cbranch_execz .LBB41_27
; %bb.12:
	v_or_b32_e32 v7, s14, v10
	v_mov_b32_e32 v8, 0
	v_lshlrev_b64 v[10:11], 2, v[7:8]
	v_mov_b32_e32 v7, s23
	v_add_co_u32_e64 v10, s[0:1], s22, v10
	v_addc_co_u32_e64 v11, s[0:1], v7, v11, s[0:1]
	global_load_dword v7, v[10:11], off
	v_or_b32_e32 v10, 0x900, v0
	v_cmp_gt_u32_e64 s[0:1], s16, v10
	v_mov_b32_e32 v11, v8
	v_mov_b32_e32 v12, v8
	;; [unrolled: 1-line block ×6, first 2 shown]
	s_and_saveexec_b64 s[30:31], s[0:1]
	s_cbranch_execz .LBB41_26
; %bb.13:
	v_or_b32_e32 v10, s14, v10
	v_mov_b32_e32 v11, 0
	v_lshlrev_b64 v[12:13], 2, v[10:11]
	v_mov_b32_e32 v8, s23
	v_add_co_u32_e64 v12, s[0:1], s22, v12
	v_addc_co_u32_e64 v13, s[0:1], v8, v13, s[0:1]
	global_load_dword v8, v[12:13], off
	v_or_b32_e32 v10, 0xa00, v0
	v_cmp_gt_u32_e64 s[0:1], s16, v10
	v_mov_b32_e32 v12, v11
	v_mov_b32_e32 v13, v11
	;; [unrolled: 1-line block ×5, first 2 shown]
	s_and_saveexec_b64 s[34:35], s[0:1]
	s_cbranch_execz .LBB41_25
; %bb.14:
	v_or_b32_e32 v11, s14, v10
	v_mov_b32_e32 v12, 0
	v_lshlrev_b64 v[10:11], 2, v[11:12]
	v_mov_b32_e32 v13, s23
	v_add_co_u32_e64 v10, s[0:1], s22, v10
	v_addc_co_u32_e64 v11, s[0:1], v13, v11, s[0:1]
	global_load_dword v11, v[10:11], off
	v_or_b32_e32 v10, 0xb00, v0
	v_cmp_gt_u32_e64 s[0:1], s16, v10
	v_mov_b32_e32 v13, v12
	v_mov_b32_e32 v14, v12
	;; [unrolled: 1-line block ×4, first 2 shown]
	s_and_saveexec_b64 s[36:37], s[0:1]
	s_cbranch_execz .LBB41_24
; %bb.15:
	v_or_b32_e32 v12, s14, v10
	v_mov_b32_e32 v13, 0
	v_lshlrev_b64 v[14:15], 2, v[12:13]
	v_mov_b32_e32 v10, s23
	v_add_co_u32_e64 v14, s[0:1], s22, v14
	v_addc_co_u32_e64 v15, s[0:1], v10, v15, s[0:1]
	global_load_dword v12, v[14:15], off
	v_or_b32_e32 v10, 0xc00, v0
	v_cmp_gt_u32_e64 s[0:1], s16, v10
	v_mov_b32_e32 v14, v13
	v_mov_b32_e32 v15, v13
	;; [unrolled: 1-line block ×3, first 2 shown]
	s_and_saveexec_b64 s[38:39], s[0:1]
	s_cbranch_execz .LBB41_23
; %bb.16:
	v_or_b32_e32 v13, s14, v10
	v_mov_b32_e32 v14, 0
	v_lshlrev_b64 v[15:16], 2, v[13:14]
	v_mov_b32_e32 v10, s23
	v_add_co_u32_e64 v15, s[0:1], s22, v15
	v_addc_co_u32_e64 v16, s[0:1], v10, v16, s[0:1]
	global_load_dword v13, v[15:16], off
	v_or_b32_e32 v10, 0xd00, v0
	v_cmp_gt_u32_e64 s[0:1], s16, v10
	v_mov_b32_e32 v15, v14
	v_mov_b32_e32 v16, v14
	s_and_saveexec_b64 s[40:41], s[0:1]
	s_cbranch_execz .LBB41_22
; %bb.17:
	v_add_u32_e32 v14, s14, v10
	v_mov_b32_e32 v15, 0
	v_lshlrev_b64 v[16:17], 2, v[14:15]
	v_mov_b32_e32 v10, s23
	v_add_co_u32_e64 v16, s[0:1], s22, v16
	v_addc_co_u32_e64 v17, s[0:1], v10, v17, s[0:1]
	global_load_dword v14, v[16:17], off
	v_or_b32_e32 v10, 0xe00, v0
	v_cmp_gt_u32_e64 s[0:1], s16, v10
	v_mov_b32_e32 v16, v15
	s_and_saveexec_b64 s[42:43], s[0:1]
	s_cbranch_execz .LBB41_21
; %bb.18:
	v_add_u32_e32 v15, s14, v10
	v_mov_b32_e32 v16, 0
	v_lshlrev_b64 v[17:18], 2, v[15:16]
	v_mov_b32_e32 v10, s23
	v_add_co_u32_e64 v17, s[0:1], s22, v17
	v_addc_co_u32_e64 v18, s[0:1], v10, v18, s[0:1]
	global_load_dword v15, v[17:18], off
	v_or_b32_e32 v10, 0xf00, v0
	v_cmp_gt_u32_e64 s[0:1], s16, v10
	s_and_saveexec_b64 s[44:45], s[0:1]
	s_cbranch_execz .LBB41_20
; %bb.19:
	v_add_u32_e32 v16, s14, v10
	v_mov_b32_e32 v17, 0
	v_lshlrev_b64 v[16:17], 2, v[16:17]
	v_mov_b32_e32 v10, s23
	v_add_co_u32_e64 v16, s[0:1], s22, v16
	v_addc_co_u32_e64 v17, s[0:1], v10, v17, s[0:1]
	global_load_dword v16, v[16:17], off
.LBB41_20:
	s_or_b64 exec, exec, s[44:45]
.LBB41_21:
	s_or_b64 exec, exec, s[42:43]
.LBB41_22:
	s_or_b64 exec, exec, s[40:41]
.LBB41_23:
	s_or_b64 exec, exec, s[38:39]
.LBB41_24:
	s_or_b64 exec, exec, s[36:37]
.LBB41_25:
	s_or_b64 exec, exec, s[34:35]
.LBB41_26:
	s_or_b64 exec, exec, s[30:31]
.LBB41_27:
	s_or_b64 exec, exec, s[28:29]
.LBB41_28:
	s_or_b64 exec, exec, s[26:27]
.LBB41_29:
	s_or_b64 exec, exec, s[24:25]
.LBB41_30:
	s_or_b64 exec, exec, s[12:13]
.LBB41_31:
	s_or_b64 exec, exec, s[10:11]
.LBB41_32:
	s_or_b64 exec, exec, s[8:9]
.LBB41_33:
	s_or_b64 exec, exec, s[6:7]
.LBB41_34:
	s_or_b64 exec, exec, s[4:5]
.LBB41_35:
	s_or_b64 exec, exec, s[2:3]
	s_cmp_eq_u32 s17, 0
	s_cselect_b64 s[0:1], -1, 0
	s_and_saveexec_b64 s[2:3], vcc
	s_cbranch_execnz .LBB41_53
; %bb.36:
	s_or_b64 exec, exec, s[2:3]
	v_cmp_gt_i32_e32 vcc, s16, v0
	s_and_saveexec_b64 s[2:3], vcc
	s_cbranch_execnz .LBB41_54
.LBB41_37:
	s_or_b64 exec, exec, s[2:3]
	v_cmp_gt_i32_e32 vcc, s16, v0
	s_and_saveexec_b64 s[2:3], vcc
	s_cbranch_execnz .LBB41_55
.LBB41_38:
	s_or_b64 exec, exec, s[2:3]
	v_cmp_gt_i32_e32 vcc, s16, v0
	s_and_saveexec_b64 s[2:3], vcc
	s_cbranch_execnz .LBB41_56
.LBB41_39:
	s_or_b64 exec, exec, s[2:3]
	v_cmp_gt_i32_e32 vcc, s16, v0
	s_and_saveexec_b64 s[2:3], vcc
	s_cbranch_execnz .LBB41_57
.LBB41_40:
	s_or_b64 exec, exec, s[2:3]
	v_cmp_gt_i32_e32 vcc, s16, v0
	s_and_saveexec_b64 s[2:3], vcc
	s_cbranch_execnz .LBB41_58
.LBB41_41:
	s_or_b64 exec, exec, s[2:3]
	v_cmp_gt_i32_e32 vcc, s16, v0
	s_and_saveexec_b64 s[2:3], vcc
	s_cbranch_execnz .LBB41_59
.LBB41_42:
	s_or_b64 exec, exec, s[2:3]
	v_cmp_gt_i32_e32 vcc, s16, v0
	s_and_saveexec_b64 s[2:3], vcc
	s_cbranch_execnz .LBB41_60
.LBB41_43:
	s_or_b64 exec, exec, s[2:3]
	v_cmp_gt_i32_e32 vcc, s16, v0
	s_and_saveexec_b64 s[2:3], vcc
	s_cbranch_execnz .LBB41_61
.LBB41_44:
	s_or_b64 exec, exec, s[2:3]
	v_cmp_gt_i32_e32 vcc, s16, v0
	s_and_saveexec_b64 s[2:3], vcc
	s_cbranch_execnz .LBB41_62
.LBB41_45:
	s_or_b64 exec, exec, s[2:3]
	v_cmp_gt_i32_e32 vcc, s16, v0
	s_and_saveexec_b64 s[2:3], vcc
	s_cbranch_execnz .LBB41_63
.LBB41_46:
	s_or_b64 exec, exec, s[2:3]
	v_cmp_gt_i32_e32 vcc, s16, v0
	s_and_saveexec_b64 s[2:3], vcc
	s_cbranch_execnz .LBB41_64
.LBB41_47:
	s_or_b64 exec, exec, s[2:3]
	v_cmp_gt_i32_e32 vcc, s16, v0
	s_and_saveexec_b64 s[2:3], vcc
	s_cbranch_execnz .LBB41_65
.LBB41_48:
	s_or_b64 exec, exec, s[2:3]
	v_cmp_gt_i32_e32 vcc, s16, v0
	s_and_saveexec_b64 s[2:3], vcc
	s_cbranch_execnz .LBB41_66
.LBB41_49:
	s_or_b64 exec, exec, s[2:3]
	v_cmp_gt_i32_e32 vcc, s16, v0
	s_and_saveexec_b64 s[2:3], vcc
	s_cbranch_execnz .LBB41_67
.LBB41_50:
	s_or_b64 exec, exec, s[2:3]
	v_cmp_gt_i32_e32 vcc, s16, v0
	s_and_saveexec_b64 s[2:3], vcc
	s_cbranch_execz .LBB41_52
.LBB41_51:
	s_waitcnt vmcnt(0)
	v_cmp_ne_u32_e32 vcc, s18, v16
	s_xor_b64 s[0:1], s[0:1], vcc
	v_cndmask_b32_e64 v1, 0, 1, s[0:1]
	v_add_u32_e32 v0, s14, v0
	global_store_byte v0, v1, s[20:21]
.LBB41_52:
	s_endpgm
.LBB41_53:
	s_waitcnt vmcnt(0)
	v_cmp_ne_u32_e32 vcc, s18, v21
	s_xor_b64 s[4:5], s[0:1], vcc
	v_cndmask_b32_e64 v0, 0, 1, s[4:5]
	global_store_byte v1, v0, s[20:21]
	v_mov_b32_e32 v0, v19
	s_or_b64 exec, exec, s[2:3]
	v_cmp_gt_i32_e32 vcc, s16, v0
	s_and_saveexec_b64 s[2:3], vcc
	s_cbranch_execz .LBB41_37
.LBB41_54:
	s_waitcnt vmcnt(0)
	v_cmp_ne_u32_e32 vcc, s18, v2
	s_xor_b64 s[4:5], s[0:1], vcc
	v_cndmask_b32_e64 v1, 0, 1, s[4:5]
	v_add_u32_e32 v2, s14, v0
	v_add_u32_e32 v0, 0x100, v0
	global_store_byte v2, v1, s[20:21]
	s_or_b64 exec, exec, s[2:3]
	v_cmp_gt_i32_e32 vcc, s16, v0
	s_and_saveexec_b64 s[2:3], vcc
	s_cbranch_execz .LBB41_38
.LBB41_55:
	s_waitcnt vmcnt(0)
	v_cmp_ne_u32_e32 vcc, s18, v9
	s_xor_b64 s[4:5], s[0:1], vcc
	v_cndmask_b32_e64 v1, 0, 1, s[4:5]
	v_add_u32_e32 v2, s14, v0
	v_add_u32_e32 v0, 0x100, v0
	global_store_byte v2, v1, s[20:21]
	s_or_b64 exec, exec, s[2:3]
	v_cmp_gt_i32_e32 vcc, s16, v0
	s_and_saveexec_b64 s[2:3], vcc
	s_cbranch_execz .LBB41_39
.LBB41_56:
	s_waitcnt vmcnt(0)
	v_cmp_ne_u32_e32 vcc, s18, v20
	s_xor_b64 s[4:5], s[0:1], vcc
	v_cndmask_b32_e64 v1, 0, 1, s[4:5]
	v_add_u32_e32 v2, s14, v0
	v_add_u32_e32 v0, 0x100, v0
	global_store_byte v2, v1, s[20:21]
	s_or_b64 exec, exec, s[2:3]
	v_cmp_gt_i32_e32 vcc, s16, v0
	s_and_saveexec_b64 s[2:3], vcc
	s_cbranch_execz .LBB41_40
.LBB41_57:
	s_waitcnt vmcnt(0)
	v_cmp_ne_u32_e32 vcc, s18, v3
	s_xor_b64 s[4:5], s[0:1], vcc
	v_cndmask_b32_e64 v1, 0, 1, s[4:5]
	v_add_u32_e32 v2, s14, v0
	v_add_u32_e32 v0, 0x100, v0
	global_store_byte v2, v1, s[20:21]
	s_or_b64 exec, exec, s[2:3]
	v_cmp_gt_i32_e32 vcc, s16, v0
	s_and_saveexec_b64 s[2:3], vcc
	s_cbranch_execz .LBB41_41
.LBB41_58:
	s_waitcnt vmcnt(0)
	v_cmp_ne_u32_e32 vcc, s18, v4
	s_xor_b64 s[4:5], s[0:1], vcc
	v_cndmask_b32_e64 v1, 0, 1, s[4:5]
	v_add_u32_e32 v2, s14, v0
	v_add_u32_e32 v0, 0x100, v0
	global_store_byte v2, v1, s[20:21]
	s_or_b64 exec, exec, s[2:3]
	v_cmp_gt_i32_e32 vcc, s16, v0
	s_and_saveexec_b64 s[2:3], vcc
	s_cbranch_execz .LBB41_42
.LBB41_59:
	s_waitcnt vmcnt(0)
	v_cmp_ne_u32_e32 vcc, s18, v5
	s_xor_b64 s[4:5], s[0:1], vcc
	v_cndmask_b32_e64 v1, 0, 1, s[4:5]
	v_add_u32_e32 v2, s14, v0
	v_add_u32_e32 v0, 0x100, v0
	global_store_byte v2, v1, s[20:21]
	s_or_b64 exec, exec, s[2:3]
	v_cmp_gt_i32_e32 vcc, s16, v0
	s_and_saveexec_b64 s[2:3], vcc
	s_cbranch_execz .LBB41_43
.LBB41_60:
	s_waitcnt vmcnt(0)
	v_cmp_ne_u32_e32 vcc, s18, v6
	s_xor_b64 s[4:5], s[0:1], vcc
	v_cndmask_b32_e64 v1, 0, 1, s[4:5]
	v_add_u32_e32 v2, s14, v0
	v_add_u32_e32 v0, 0x100, v0
	global_store_byte v2, v1, s[20:21]
	s_or_b64 exec, exec, s[2:3]
	v_cmp_gt_i32_e32 vcc, s16, v0
	s_and_saveexec_b64 s[2:3], vcc
	s_cbranch_execz .LBB41_44
.LBB41_61:
	s_waitcnt vmcnt(0)
	v_cmp_ne_u32_e32 vcc, s18, v7
	s_xor_b64 s[4:5], s[0:1], vcc
	v_cndmask_b32_e64 v1, 0, 1, s[4:5]
	v_add_u32_e32 v2, s14, v0
	v_add_u32_e32 v0, 0x100, v0
	global_store_byte v2, v1, s[20:21]
	s_or_b64 exec, exec, s[2:3]
	v_cmp_gt_i32_e32 vcc, s16, v0
	s_and_saveexec_b64 s[2:3], vcc
	s_cbranch_execz .LBB41_45
.LBB41_62:
	s_waitcnt vmcnt(0)
	v_cmp_ne_u32_e32 vcc, s18, v8
	s_xor_b64 s[4:5], s[0:1], vcc
	v_cndmask_b32_e64 v1, 0, 1, s[4:5]
	v_add_u32_e32 v2, s14, v0
	v_add_u32_e32 v0, 0x100, v0
	global_store_byte v2, v1, s[20:21]
	s_or_b64 exec, exec, s[2:3]
	v_cmp_gt_i32_e32 vcc, s16, v0
	s_and_saveexec_b64 s[2:3], vcc
	s_cbranch_execz .LBB41_46
.LBB41_63:
	s_waitcnt vmcnt(0)
	v_cmp_ne_u32_e32 vcc, s18, v11
	s_xor_b64 s[4:5], s[0:1], vcc
	v_cndmask_b32_e64 v1, 0, 1, s[4:5]
	v_add_u32_e32 v2, s14, v0
	v_add_u32_e32 v0, 0x100, v0
	global_store_byte v2, v1, s[20:21]
	s_or_b64 exec, exec, s[2:3]
	v_cmp_gt_i32_e32 vcc, s16, v0
	s_and_saveexec_b64 s[2:3], vcc
	s_cbranch_execz .LBB41_47
.LBB41_64:
	s_waitcnt vmcnt(0)
	v_cmp_ne_u32_e32 vcc, s18, v12
	s_xor_b64 s[4:5], s[0:1], vcc
	v_cndmask_b32_e64 v1, 0, 1, s[4:5]
	v_add_u32_e32 v2, s14, v0
	v_add_u32_e32 v0, 0x100, v0
	global_store_byte v2, v1, s[20:21]
	s_or_b64 exec, exec, s[2:3]
	v_cmp_gt_i32_e32 vcc, s16, v0
	s_and_saveexec_b64 s[2:3], vcc
	s_cbranch_execz .LBB41_48
.LBB41_65:
	s_waitcnt vmcnt(0)
	v_cmp_ne_u32_e32 vcc, s18, v13
	s_xor_b64 s[4:5], s[0:1], vcc
	v_cndmask_b32_e64 v1, 0, 1, s[4:5]
	v_add_u32_e32 v2, s14, v0
	v_add_u32_e32 v0, 0x100, v0
	global_store_byte v2, v1, s[20:21]
	s_or_b64 exec, exec, s[2:3]
	v_cmp_gt_i32_e32 vcc, s16, v0
	s_and_saveexec_b64 s[2:3], vcc
	s_cbranch_execz .LBB41_49
.LBB41_66:
	s_waitcnt vmcnt(0)
	v_cmp_ne_u32_e32 vcc, s18, v14
	s_xor_b64 s[4:5], s[0:1], vcc
	v_cndmask_b32_e64 v1, 0, 1, s[4:5]
	v_add_u32_e32 v2, s14, v0
	v_add_u32_e32 v0, 0x100, v0
	global_store_byte v2, v1, s[20:21]
	s_or_b64 exec, exec, s[2:3]
	v_cmp_gt_i32_e32 vcc, s16, v0
	s_and_saveexec_b64 s[2:3], vcc
	s_cbranch_execz .LBB41_50
.LBB41_67:
	s_waitcnt vmcnt(0)
	v_cmp_ne_u32_e32 vcc, s18, v15
	s_xor_b64 s[4:5], s[0:1], vcc
	v_cndmask_b32_e64 v1, 0, 1, s[4:5]
	v_add_u32_e32 v2, s14, v0
	v_add_u32_e32 v0, 0x100, v0
	global_store_byte v2, v1, s[20:21]
	s_or_b64 exec, exec, s[2:3]
	v_cmp_gt_i32_e32 vcc, s16, v0
	s_and_saveexec_b64 s[2:3], vcc
	s_cbranch_execnz .LBB41_51
	s_branch .LBB41_52
	.section	.rodata,"a",@progbits
	.p2align	6, 0x0
	.amdhsa_kernel _ZN2at6native29vectorized_elementwise_kernelILi8ENS0_13AUnaryFunctorIiibNS0_12_GLOBAL__N_116CompareEqFunctorIiEEEESt5arrayIPcLm2EEEEviT0_T1_
		.amdhsa_group_segment_fixed_size 0
		.amdhsa_private_segment_fixed_size 0
		.amdhsa_kernarg_size 32
		.amdhsa_user_sgpr_count 6
		.amdhsa_user_sgpr_private_segment_buffer 1
		.amdhsa_user_sgpr_dispatch_ptr 0
		.amdhsa_user_sgpr_queue_ptr 0
		.amdhsa_user_sgpr_kernarg_segment_ptr 1
		.amdhsa_user_sgpr_dispatch_id 0
		.amdhsa_user_sgpr_flat_scratch_init 0
		.amdhsa_user_sgpr_private_segment_size 0
		.amdhsa_uses_dynamic_stack 0
		.amdhsa_system_sgpr_private_segment_wavefront_offset 0
		.amdhsa_system_sgpr_workgroup_id_x 1
		.amdhsa_system_sgpr_workgroup_id_y 0
		.amdhsa_system_sgpr_workgroup_id_z 0
		.amdhsa_system_sgpr_workgroup_info 0
		.amdhsa_system_vgpr_workitem_id 0
		.amdhsa_next_free_vgpr 22
		.amdhsa_next_free_sgpr 46
		.amdhsa_reserve_vcc 1
		.amdhsa_reserve_flat_scratch 0
		.amdhsa_float_round_mode_32 0
		.amdhsa_float_round_mode_16_64 0
		.amdhsa_float_denorm_mode_32 3
		.amdhsa_float_denorm_mode_16_64 3
		.amdhsa_dx10_clamp 1
		.amdhsa_ieee_mode 1
		.amdhsa_fp16_overflow 0
		.amdhsa_exception_fp_ieee_invalid_op 0
		.amdhsa_exception_fp_denorm_src 0
		.amdhsa_exception_fp_ieee_div_zero 0
		.amdhsa_exception_fp_ieee_overflow 0
		.amdhsa_exception_fp_ieee_underflow 0
		.amdhsa_exception_fp_ieee_inexact 0
		.amdhsa_exception_int_div_zero 0
	.end_amdhsa_kernel
	.section	.text._ZN2at6native29vectorized_elementwise_kernelILi8ENS0_13AUnaryFunctorIiibNS0_12_GLOBAL__N_116CompareEqFunctorIiEEEESt5arrayIPcLm2EEEEviT0_T1_,"axG",@progbits,_ZN2at6native29vectorized_elementwise_kernelILi8ENS0_13AUnaryFunctorIiibNS0_12_GLOBAL__N_116CompareEqFunctorIiEEEESt5arrayIPcLm2EEEEviT0_T1_,comdat
.Lfunc_end41:
	.size	_ZN2at6native29vectorized_elementwise_kernelILi8ENS0_13AUnaryFunctorIiibNS0_12_GLOBAL__N_116CompareEqFunctorIiEEEESt5arrayIPcLm2EEEEviT0_T1_, .Lfunc_end41-_ZN2at6native29vectorized_elementwise_kernelILi8ENS0_13AUnaryFunctorIiibNS0_12_GLOBAL__N_116CompareEqFunctorIiEEEESt5arrayIPcLm2EEEEviT0_T1_
                                        ; -- End function
	.set _ZN2at6native29vectorized_elementwise_kernelILi8ENS0_13AUnaryFunctorIiibNS0_12_GLOBAL__N_116CompareEqFunctorIiEEEESt5arrayIPcLm2EEEEviT0_T1_.num_vgpr, 22
	.set _ZN2at6native29vectorized_elementwise_kernelILi8ENS0_13AUnaryFunctorIiibNS0_12_GLOBAL__N_116CompareEqFunctorIiEEEESt5arrayIPcLm2EEEEviT0_T1_.num_agpr, 0
	.set _ZN2at6native29vectorized_elementwise_kernelILi8ENS0_13AUnaryFunctorIiibNS0_12_GLOBAL__N_116CompareEqFunctorIiEEEESt5arrayIPcLm2EEEEviT0_T1_.numbered_sgpr, 46
	.set _ZN2at6native29vectorized_elementwise_kernelILi8ENS0_13AUnaryFunctorIiibNS0_12_GLOBAL__N_116CompareEqFunctorIiEEEESt5arrayIPcLm2EEEEviT0_T1_.num_named_barrier, 0
	.set _ZN2at6native29vectorized_elementwise_kernelILi8ENS0_13AUnaryFunctorIiibNS0_12_GLOBAL__N_116CompareEqFunctorIiEEEESt5arrayIPcLm2EEEEviT0_T1_.private_seg_size, 0
	.set _ZN2at6native29vectorized_elementwise_kernelILi8ENS0_13AUnaryFunctorIiibNS0_12_GLOBAL__N_116CompareEqFunctorIiEEEESt5arrayIPcLm2EEEEviT0_T1_.uses_vcc, 1
	.set _ZN2at6native29vectorized_elementwise_kernelILi8ENS0_13AUnaryFunctorIiibNS0_12_GLOBAL__N_116CompareEqFunctorIiEEEESt5arrayIPcLm2EEEEviT0_T1_.uses_flat_scratch, 0
	.set _ZN2at6native29vectorized_elementwise_kernelILi8ENS0_13AUnaryFunctorIiibNS0_12_GLOBAL__N_116CompareEqFunctorIiEEEESt5arrayIPcLm2EEEEviT0_T1_.has_dyn_sized_stack, 0
	.set _ZN2at6native29vectorized_elementwise_kernelILi8ENS0_13AUnaryFunctorIiibNS0_12_GLOBAL__N_116CompareEqFunctorIiEEEESt5arrayIPcLm2EEEEviT0_T1_.has_recursion, 0
	.set _ZN2at6native29vectorized_elementwise_kernelILi8ENS0_13AUnaryFunctorIiibNS0_12_GLOBAL__N_116CompareEqFunctorIiEEEESt5arrayIPcLm2EEEEviT0_T1_.has_indirect_call, 0
	.section	.AMDGPU.csdata,"",@progbits
; Kernel info:
; codeLenInByte = 3256
; TotalNumSgprs: 50
; NumVgprs: 22
; ScratchSize: 0
; MemoryBound: 0
; FloatMode: 240
; IeeeMode: 1
; LDSByteSize: 0 bytes/workgroup (compile time only)
; SGPRBlocks: 6
; VGPRBlocks: 5
; NumSGPRsForWavesPerEU: 50
; NumVGPRsForWavesPerEU: 22
; Occupancy: 10
; WaveLimiterHint : 1
; COMPUTE_PGM_RSRC2:SCRATCH_EN: 0
; COMPUTE_PGM_RSRC2:USER_SGPR: 6
; COMPUTE_PGM_RSRC2:TRAP_HANDLER: 0
; COMPUTE_PGM_RSRC2:TGID_X_EN: 1
; COMPUTE_PGM_RSRC2:TGID_Y_EN: 0
; COMPUTE_PGM_RSRC2:TGID_Z_EN: 0
; COMPUTE_PGM_RSRC2:TIDIG_COMP_CNT: 0
	.section	.text._ZN2at6native29vectorized_elementwise_kernelILi4ENS0_13AUnaryFunctorIiibNS0_12_GLOBAL__N_116CompareEqFunctorIiEEEESt5arrayIPcLm2EEEEviT0_T1_,"axG",@progbits,_ZN2at6native29vectorized_elementwise_kernelILi4ENS0_13AUnaryFunctorIiibNS0_12_GLOBAL__N_116CompareEqFunctorIiEEEESt5arrayIPcLm2EEEEviT0_T1_,comdat
	.globl	_ZN2at6native29vectorized_elementwise_kernelILi4ENS0_13AUnaryFunctorIiibNS0_12_GLOBAL__N_116CompareEqFunctorIiEEEESt5arrayIPcLm2EEEEviT0_T1_ ; -- Begin function _ZN2at6native29vectorized_elementwise_kernelILi4ENS0_13AUnaryFunctorIiibNS0_12_GLOBAL__N_116CompareEqFunctorIiEEEESt5arrayIPcLm2EEEEviT0_T1_
	.p2align	8
	.type	_ZN2at6native29vectorized_elementwise_kernelILi4ENS0_13AUnaryFunctorIiibNS0_12_GLOBAL__N_116CompareEqFunctorIiEEEESt5arrayIPcLm2EEEEviT0_T1_,@function
_ZN2at6native29vectorized_elementwise_kernelILi4ENS0_13AUnaryFunctorIiibNS0_12_GLOBAL__N_116CompareEqFunctorIiEEEESt5arrayIPcLm2EEEEviT0_T1_: ; @_ZN2at6native29vectorized_elementwise_kernelILi4ENS0_13AUnaryFunctorIiibNS0_12_GLOBAL__N_116CompareEqFunctorIiEEEESt5arrayIPcLm2EEEEviT0_T1_
; %bb.0:
	s_load_dwordx8 s[8:15], s[4:5], 0x0
	s_lshl_b32 s6, s6, 12
	s_mov_b64 s[0:1], -1
	s_waitcnt lgkmcnt(0)
	s_sub_i32 s8, s8, s6
	s_cmpk_gt_i32 s8, 0xfff
	s_cbranch_scc0 .LBB42_2
; %bb.1:
	s_ashr_i32 s7, s6, 31
	s_lshl_b64 s[0:1], s[6:7], 2
	s_add_u32 s0, s14, s0
	s_addc_u32 s1, s15, s1
	v_lshlrev_b32_e32 v5, 4, v0
	global_load_dwordx4 v[1:4], v5, s[0:1]
	v_mov_b32_e32 v6, s1
	v_add_co_u32_e32 v13, vcc, s0, v5
	v_addc_co_u32_e32 v14, vcc, 0, v6, vcc
	v_add_co_u32_e32 v5, vcc, 0x1000, v13
	v_addc_co_u32_e32 v6, vcc, 0, v14, vcc
	global_load_dwordx4 v[5:8], v[5:6], off
	v_add_co_u32_e32 v9, vcc, 0x2000, v13
	v_addc_co_u32_e32 v10, vcc, 0, v14, vcc
	global_load_dwordx4 v[9:12], v[9:10], off
	v_add_co_u32_e32 v13, vcc, 0x3000, v13
	v_addc_co_u32_e32 v14, vcc, 0, v14, vcc
	global_load_dwordx4 v[13:16], v[13:14], off
	s_cmp_eq_u32 s9, 0
	s_cselect_b64 s[16:17], -1, 0
	v_mov_b32_e32 v17, 0x100
	v_mov_b32_e32 v18, 0x10000
	;; [unrolled: 1-line block ×3, first 2 shown]
	s_waitcnt vmcnt(3)
	v_cmp_ne_u32_e32 vcc, s10, v1
	v_cmp_ne_u32_e64 s[0:1], s10, v2
	v_cmp_ne_u32_e64 s[2:3], s10, v3
	s_xor_b64 s[18:19], s[16:17], vcc
	s_xor_b64 vcc, s[16:17], s[0:1]
	v_cmp_ne_u32_e64 s[4:5], s10, v4
	v_cndmask_b32_e32 v3, 0, v17, vcc
	s_xor_b64 vcc, s[16:17], s[2:3]
	v_cndmask_b32_e64 v2, 0, 1, s[18:19]
	v_cndmask_b32_e32 v4, 0, v18, vcc
	s_xor_b64 vcc, s[16:17], s[4:5]
	v_or_b32_e32 v2, v3, v2
	v_cndmask_b32_e32 v3, 0, v19, vcc
	s_waitcnt vmcnt(2)
	v_cmp_ne_u32_e32 vcc, s10, v5
	v_cmp_ne_u32_e64 s[0:1], s10, v6
	v_cmp_ne_u32_e64 s[2:3], s10, v7
	s_xor_b64 s[18:19], s[16:17], vcc
	s_xor_b64 vcc, s[16:17], s[0:1]
	v_or3_b32 v2, v2, v4, v3
	v_cmp_ne_u32_e64 s[4:5], s10, v8
	v_cndmask_b32_e32 v4, 0, v17, vcc
	s_xor_b64 vcc, s[16:17], s[2:3]
	v_cndmask_b32_e32 v5, 0, v18, vcc
	s_xor_b64 vcc, s[16:17], s[4:5]
	v_cndmask_b32_e32 v6, 0, v19, vcc
	s_waitcnt vmcnt(1)
	v_cmp_ne_u32_e32 vcc, s10, v9
	v_cmp_ne_u32_e64 s[0:1], s10, v10
	v_cndmask_b32_e64 v3, 0, 1, s[18:19]
	v_cmp_ne_u32_e64 s[2:3], s10, v11
	s_xor_b64 s[18:19], s[16:17], vcc
	s_xor_b64 vcc, s[16:17], s[0:1]
	v_cmp_ne_u32_e64 s[4:5], s10, v12
	v_cndmask_b32_e32 v7, 0, v17, vcc
	s_xor_b64 vcc, s[16:17], s[2:3]
	v_cndmask_b32_e32 v8, 0, v18, vcc
	s_xor_b64 vcc, s[16:17], s[4:5]
	v_cndmask_b32_e32 v9, 0, v19, vcc
	s_waitcnt vmcnt(0)
	v_cmp_ne_u32_e32 vcc, s10, v13
	v_cmp_ne_u32_e64 s[0:1], s10, v14
	v_or_b32_e32 v3, v4, v3
	v_cndmask_b32_e64 v4, 0, 1, s[18:19]
	v_cmp_ne_u32_e64 s[2:3], s10, v15
	s_xor_b64 s[18:19], s[16:17], vcc
	s_xor_b64 vcc, s[16:17], s[0:1]
	v_cmp_ne_u32_e64 s[4:5], s10, v16
	v_or3_b32 v3, v3, v5, v6
	v_cndmask_b32_e32 v6, 0, v17, vcc
	s_xor_b64 vcc, s[16:17], s[2:3]
	v_or_b32_e32 v4, v7, v4
	v_cndmask_b32_e32 v7, 0, v18, vcc
	s_xor_b64 vcc, s[16:17], s[4:5]
	v_cndmask_b32_e64 v5, 0, 1, s[18:19]
	s_add_u32 s0, s12, s6
	v_lshlrev_b32_e32 v1, 2, v0
	v_cndmask_b32_e32 v10, 0, v19, vcc
	v_or_b32_e32 v5, v6, v5
	s_addc_u32 s1, s13, s7
	v_or3_b32 v4, v4, v8, v9
	v_or3_b32 v5, v5, v7, v10
	global_store_dword v1, v2, s[0:1]
	global_store_dword v1, v3, s[0:1] offset:1024
	global_store_dword v1, v4, s[0:1] offset:2048
	;; [unrolled: 1-line block ×3, first 2 shown]
	s_mov_b64 s[0:1], 0
.LBB42_2:
	s_andn2_b64 vcc, exec, s[0:1]
	s_cbranch_vccnz .LBB42_52
; %bb.3:
	v_cmp_gt_i32_e32 vcc, s8, v0
	v_or_b32_e32 v19, 0x100, v0
	v_mov_b32_e32 v16, 0
	v_or_b32_e32 v1, s6, v0
	v_mov_b32_e32 v15, 0
	v_mov_b32_e32 v14, 0
	;; [unrolled: 1-line block ×15, first 2 shown]
	s_and_saveexec_b64 s[2:3], vcc
	s_cbranch_execz .LBB42_35
; %bb.4:
	v_mov_b32_e32 v2, 0
	v_lshlrev_b64 v[3:4], 2, v[1:2]
	v_mov_b32_e32 v5, s15
	v_add_co_u32_e64 v3, s[0:1], s14, v3
	v_addc_co_u32_e64 v4, s[0:1], v5, v4, s[0:1]
	global_load_dword v21, v[3:4], off
	v_cmp_gt_u32_e64 s[0:1], s8, v19
	v_mov_b32_e32 v9, v2
	v_mov_b32_e32 v20, v2
	;; [unrolled: 1-line block ×14, first 2 shown]
	s_and_saveexec_b64 s[4:5], s[0:1]
	s_cbranch_execz .LBB42_34
; %bb.5:
	v_add_u32_e32 v8, s6, v0
	v_mov_b32_e32 v9, 0
	v_lshlrev_b64 v[2:3], 2, v[8:9]
	v_mov_b32_e32 v4, s15
	v_add_co_u32_e64 v17, s[0:1], s14, v2
	v_addc_co_u32_e64 v18, s[0:1], v4, v3, s[0:1]
	global_load_dword v2, v[17:18], off offset:1024
	v_or_b32_e32 v3, 0x200, v0
	v_cmp_gt_u32_e64 s[0:1], s8, v3
	v_mov_b32_e32 v20, v9
	v_mov_b32_e32 v3, v9
	;; [unrolled: 1-line block ×13, first 2 shown]
	s_and_saveexec_b64 s[16:17], s[0:1]
	s_cbranch_execz .LBB42_33
; %bb.6:
	global_load_dword v9, v[17:18], off offset:2048
	v_or_b32_e32 v3, 0x300, v0
	v_cmp_gt_u32_e64 s[0:1], s8, v3
	v_mov_b32_e32 v20, 0
	v_mov_b32_e32 v3, 0
	;; [unrolled: 1-line block ×13, first 2 shown]
	s_and_saveexec_b64 s[18:19], s[0:1]
	s_cbranch_execz .LBB42_32
; %bb.7:
	global_load_dword v20, v[17:18], off offset:3072
	v_or_b32_e32 v10, 0x400, v0
	v_cmp_gt_u32_e64 s[0:1], s8, v10
	v_mov_b32_e32 v3, 0
	v_mov_b32_e32 v4, 0
	;; [unrolled: 1-line block ×12, first 2 shown]
	s_and_saveexec_b64 s[20:21], s[0:1]
	s_cbranch_execz .LBB42_31
; %bb.8:
	v_or_b32_e32 v3, s6, v10
	v_mov_b32_e32 v4, 0
	v_lshlrev_b64 v[5:6], 2, v[3:4]
	v_mov_b32_e32 v3, s15
	v_add_co_u32_e64 v5, s[0:1], s14, v5
	v_addc_co_u32_e64 v6, s[0:1], v3, v6, s[0:1]
	global_load_dword v3, v[5:6], off
	v_or_b32_e32 v10, 0x500, v0
	v_cmp_gt_u32_e64 s[0:1], s8, v10
	v_mov_b32_e32 v5, v4
	v_mov_b32_e32 v6, v4
	;; [unrolled: 1-line block ×10, first 2 shown]
	s_and_saveexec_b64 s[22:23], s[0:1]
	s_cbranch_execz .LBB42_30
; %bb.9:
	v_or_b32_e32 v4, s6, v10
	v_mov_b32_e32 v5, 0
	v_lshlrev_b64 v[6:7], 2, v[4:5]
	v_mov_b32_e32 v4, s15
	v_add_co_u32_e64 v6, s[0:1], s14, v6
	v_addc_co_u32_e64 v7, s[0:1], v4, v7, s[0:1]
	global_load_dword v4, v[6:7], off
	v_or_b32_e32 v10, 0x600, v0
	v_cmp_gt_u32_e64 s[0:1], s8, v10
	v_mov_b32_e32 v6, v5
	v_mov_b32_e32 v7, v5
	;; [unrolled: 1-line block ×9, first 2 shown]
	s_and_saveexec_b64 s[24:25], s[0:1]
	s_cbranch_execz .LBB42_29
; %bb.10:
	v_or_b32_e32 v5, s6, v10
	v_mov_b32_e32 v6, 0
	v_lshlrev_b64 v[7:8], 2, v[5:6]
	v_mov_b32_e32 v5, s15
	v_add_co_u32_e64 v7, s[0:1], s14, v7
	v_addc_co_u32_e64 v8, s[0:1], v5, v8, s[0:1]
	global_load_dword v5, v[7:8], off
	v_or_b32_e32 v10, 0x700, v0
	v_cmp_gt_u32_e64 s[0:1], s8, v10
	v_mov_b32_e32 v7, v6
	v_mov_b32_e32 v8, v6
	;; [unrolled: 1-line block ×8, first 2 shown]
	s_and_saveexec_b64 s[26:27], s[0:1]
	s_cbranch_execz .LBB42_28
; %bb.11:
	v_or_b32_e32 v6, s6, v10
	v_mov_b32_e32 v7, 0
	v_lshlrev_b64 v[10:11], 2, v[6:7]
	v_mov_b32_e32 v6, s15
	v_add_co_u32_e64 v10, s[0:1], s14, v10
	v_addc_co_u32_e64 v11, s[0:1], v6, v11, s[0:1]
	global_load_dword v6, v[10:11], off
	v_or_b32_e32 v10, 0x800, v0
	v_cmp_gt_u32_e64 s[0:1], s8, v10
	v_mov_b32_e32 v8, v7
	v_mov_b32_e32 v11, v7
	;; [unrolled: 1-line block ×7, first 2 shown]
	s_and_saveexec_b64 s[28:29], s[0:1]
	s_cbranch_execz .LBB42_27
; %bb.12:
	v_or_b32_e32 v7, s6, v10
	v_mov_b32_e32 v8, 0
	v_lshlrev_b64 v[10:11], 2, v[7:8]
	v_mov_b32_e32 v7, s15
	v_add_co_u32_e64 v10, s[0:1], s14, v10
	v_addc_co_u32_e64 v11, s[0:1], v7, v11, s[0:1]
	global_load_dword v7, v[10:11], off
	v_or_b32_e32 v10, 0x900, v0
	v_cmp_gt_u32_e64 s[0:1], s8, v10
	v_mov_b32_e32 v11, v8
	v_mov_b32_e32 v12, v8
	;; [unrolled: 1-line block ×6, first 2 shown]
	s_and_saveexec_b64 s[30:31], s[0:1]
	s_cbranch_execz .LBB42_26
; %bb.13:
	v_or_b32_e32 v10, s6, v10
	v_mov_b32_e32 v11, 0
	v_lshlrev_b64 v[12:13], 2, v[10:11]
	v_mov_b32_e32 v8, s15
	v_add_co_u32_e64 v12, s[0:1], s14, v12
	v_addc_co_u32_e64 v13, s[0:1], v8, v13, s[0:1]
	global_load_dword v8, v[12:13], off
	v_or_b32_e32 v10, 0xa00, v0
	v_cmp_gt_u32_e64 s[0:1], s8, v10
	v_mov_b32_e32 v12, v11
	v_mov_b32_e32 v13, v11
	;; [unrolled: 1-line block ×5, first 2 shown]
	s_and_saveexec_b64 s[34:35], s[0:1]
	s_cbranch_execz .LBB42_25
; %bb.14:
	v_or_b32_e32 v11, s6, v10
	v_mov_b32_e32 v12, 0
	v_lshlrev_b64 v[10:11], 2, v[11:12]
	v_mov_b32_e32 v13, s15
	v_add_co_u32_e64 v10, s[0:1], s14, v10
	v_addc_co_u32_e64 v11, s[0:1], v13, v11, s[0:1]
	global_load_dword v11, v[10:11], off
	v_or_b32_e32 v10, 0xb00, v0
	v_cmp_gt_u32_e64 s[0:1], s8, v10
	v_mov_b32_e32 v13, v12
	v_mov_b32_e32 v14, v12
	;; [unrolled: 1-line block ×4, first 2 shown]
	s_and_saveexec_b64 s[36:37], s[0:1]
	s_cbranch_execz .LBB42_24
; %bb.15:
	v_or_b32_e32 v12, s6, v10
	v_mov_b32_e32 v13, 0
	v_lshlrev_b64 v[14:15], 2, v[12:13]
	v_mov_b32_e32 v10, s15
	v_add_co_u32_e64 v14, s[0:1], s14, v14
	v_addc_co_u32_e64 v15, s[0:1], v10, v15, s[0:1]
	global_load_dword v12, v[14:15], off
	v_or_b32_e32 v10, 0xc00, v0
	v_cmp_gt_u32_e64 s[0:1], s8, v10
	v_mov_b32_e32 v14, v13
	v_mov_b32_e32 v15, v13
	;; [unrolled: 1-line block ×3, first 2 shown]
	s_and_saveexec_b64 s[38:39], s[0:1]
	s_cbranch_execz .LBB42_23
; %bb.16:
	v_or_b32_e32 v13, s6, v10
	v_mov_b32_e32 v14, 0
	v_lshlrev_b64 v[15:16], 2, v[13:14]
	v_mov_b32_e32 v10, s15
	v_add_co_u32_e64 v15, s[0:1], s14, v15
	v_addc_co_u32_e64 v16, s[0:1], v10, v16, s[0:1]
	global_load_dword v13, v[15:16], off
	v_or_b32_e32 v10, 0xd00, v0
	v_cmp_gt_u32_e64 s[0:1], s8, v10
	v_mov_b32_e32 v15, v14
	v_mov_b32_e32 v16, v14
	s_and_saveexec_b64 s[40:41], s[0:1]
	s_cbranch_execz .LBB42_22
; %bb.17:
	v_add_u32_e32 v14, s6, v10
	v_mov_b32_e32 v15, 0
	v_lshlrev_b64 v[16:17], 2, v[14:15]
	v_mov_b32_e32 v10, s15
	v_add_co_u32_e64 v16, s[0:1], s14, v16
	v_addc_co_u32_e64 v17, s[0:1], v10, v17, s[0:1]
	global_load_dword v14, v[16:17], off
	v_or_b32_e32 v10, 0xe00, v0
	v_cmp_gt_u32_e64 s[0:1], s8, v10
	v_mov_b32_e32 v16, v15
	s_and_saveexec_b64 s[42:43], s[0:1]
	s_cbranch_execz .LBB42_21
; %bb.18:
	v_add_u32_e32 v15, s6, v10
	v_mov_b32_e32 v16, 0
	v_lshlrev_b64 v[17:18], 2, v[15:16]
	v_mov_b32_e32 v10, s15
	v_add_co_u32_e64 v17, s[0:1], s14, v17
	v_addc_co_u32_e64 v18, s[0:1], v10, v18, s[0:1]
	global_load_dword v15, v[17:18], off
	v_or_b32_e32 v10, 0xf00, v0
	v_cmp_gt_u32_e64 s[0:1], s8, v10
	s_and_saveexec_b64 s[44:45], s[0:1]
	s_cbranch_execz .LBB42_20
; %bb.19:
	v_add_u32_e32 v16, s6, v10
	v_mov_b32_e32 v17, 0
	v_lshlrev_b64 v[16:17], 2, v[16:17]
	v_mov_b32_e32 v10, s15
	v_add_co_u32_e64 v16, s[0:1], s14, v16
	v_addc_co_u32_e64 v17, s[0:1], v10, v17, s[0:1]
	global_load_dword v16, v[16:17], off
.LBB42_20:
	s_or_b64 exec, exec, s[44:45]
.LBB42_21:
	s_or_b64 exec, exec, s[42:43]
.LBB42_22:
	s_or_b64 exec, exec, s[40:41]
.LBB42_23:
	s_or_b64 exec, exec, s[38:39]
.LBB42_24:
	s_or_b64 exec, exec, s[36:37]
.LBB42_25:
	s_or_b64 exec, exec, s[34:35]
.LBB42_26:
	s_or_b64 exec, exec, s[30:31]
.LBB42_27:
	s_or_b64 exec, exec, s[28:29]
.LBB42_28:
	s_or_b64 exec, exec, s[26:27]
.LBB42_29:
	s_or_b64 exec, exec, s[24:25]
.LBB42_30:
	s_or_b64 exec, exec, s[22:23]
.LBB42_31:
	s_or_b64 exec, exec, s[20:21]
.LBB42_32:
	s_or_b64 exec, exec, s[18:19]
.LBB42_33:
	s_or_b64 exec, exec, s[16:17]
.LBB42_34:
	s_or_b64 exec, exec, s[4:5]
.LBB42_35:
	s_or_b64 exec, exec, s[2:3]
	s_cmp_eq_u32 s9, 0
	s_cselect_b64 s[0:1], -1, 0
	s_and_saveexec_b64 s[2:3], vcc
	s_cbranch_execnz .LBB42_53
; %bb.36:
	s_or_b64 exec, exec, s[2:3]
	v_cmp_gt_i32_e32 vcc, s8, v0
	s_and_saveexec_b64 s[2:3], vcc
	s_cbranch_execnz .LBB42_54
.LBB42_37:
	s_or_b64 exec, exec, s[2:3]
	v_cmp_gt_i32_e32 vcc, s8, v0
	s_and_saveexec_b64 s[2:3], vcc
	s_cbranch_execnz .LBB42_55
.LBB42_38:
	s_or_b64 exec, exec, s[2:3]
	v_cmp_gt_i32_e32 vcc, s8, v0
	s_and_saveexec_b64 s[2:3], vcc
	s_cbranch_execnz .LBB42_56
.LBB42_39:
	s_or_b64 exec, exec, s[2:3]
	v_cmp_gt_i32_e32 vcc, s8, v0
	s_and_saveexec_b64 s[2:3], vcc
	s_cbranch_execnz .LBB42_57
.LBB42_40:
	s_or_b64 exec, exec, s[2:3]
	v_cmp_gt_i32_e32 vcc, s8, v0
	s_and_saveexec_b64 s[2:3], vcc
	s_cbranch_execnz .LBB42_58
.LBB42_41:
	s_or_b64 exec, exec, s[2:3]
	v_cmp_gt_i32_e32 vcc, s8, v0
	s_and_saveexec_b64 s[2:3], vcc
	s_cbranch_execnz .LBB42_59
.LBB42_42:
	s_or_b64 exec, exec, s[2:3]
	v_cmp_gt_i32_e32 vcc, s8, v0
	s_and_saveexec_b64 s[2:3], vcc
	s_cbranch_execnz .LBB42_60
.LBB42_43:
	s_or_b64 exec, exec, s[2:3]
	v_cmp_gt_i32_e32 vcc, s8, v0
	s_and_saveexec_b64 s[2:3], vcc
	s_cbranch_execnz .LBB42_61
.LBB42_44:
	s_or_b64 exec, exec, s[2:3]
	v_cmp_gt_i32_e32 vcc, s8, v0
	s_and_saveexec_b64 s[2:3], vcc
	s_cbranch_execnz .LBB42_62
.LBB42_45:
	s_or_b64 exec, exec, s[2:3]
	v_cmp_gt_i32_e32 vcc, s8, v0
	s_and_saveexec_b64 s[2:3], vcc
	s_cbranch_execnz .LBB42_63
.LBB42_46:
	s_or_b64 exec, exec, s[2:3]
	v_cmp_gt_i32_e32 vcc, s8, v0
	s_and_saveexec_b64 s[2:3], vcc
	s_cbranch_execnz .LBB42_64
.LBB42_47:
	s_or_b64 exec, exec, s[2:3]
	v_cmp_gt_i32_e32 vcc, s8, v0
	s_and_saveexec_b64 s[2:3], vcc
	s_cbranch_execnz .LBB42_65
.LBB42_48:
	s_or_b64 exec, exec, s[2:3]
	v_cmp_gt_i32_e32 vcc, s8, v0
	s_and_saveexec_b64 s[2:3], vcc
	s_cbranch_execnz .LBB42_66
.LBB42_49:
	s_or_b64 exec, exec, s[2:3]
	v_cmp_gt_i32_e32 vcc, s8, v0
	s_and_saveexec_b64 s[2:3], vcc
	s_cbranch_execnz .LBB42_67
.LBB42_50:
	s_or_b64 exec, exec, s[2:3]
	v_cmp_gt_i32_e32 vcc, s8, v0
	s_and_saveexec_b64 s[2:3], vcc
	s_cbranch_execz .LBB42_52
.LBB42_51:
	s_waitcnt vmcnt(0)
	v_cmp_ne_u32_e32 vcc, s10, v16
	s_xor_b64 s[0:1], s[0:1], vcc
	v_cndmask_b32_e64 v1, 0, 1, s[0:1]
	v_add_u32_e32 v0, s6, v0
	global_store_byte v0, v1, s[12:13]
.LBB42_52:
	s_endpgm
.LBB42_53:
	s_waitcnt vmcnt(0)
	v_cmp_ne_u32_e32 vcc, s10, v21
	s_xor_b64 s[4:5], s[0:1], vcc
	v_cndmask_b32_e64 v0, 0, 1, s[4:5]
	global_store_byte v1, v0, s[12:13]
	v_mov_b32_e32 v0, v19
	s_or_b64 exec, exec, s[2:3]
	v_cmp_gt_i32_e32 vcc, s8, v0
	s_and_saveexec_b64 s[2:3], vcc
	s_cbranch_execz .LBB42_37
.LBB42_54:
	s_waitcnt vmcnt(0)
	v_cmp_ne_u32_e32 vcc, s10, v2
	s_xor_b64 s[4:5], s[0:1], vcc
	v_cndmask_b32_e64 v1, 0, 1, s[4:5]
	v_add_u32_e32 v2, s6, v0
	v_add_u32_e32 v0, 0x100, v0
	global_store_byte v2, v1, s[12:13]
	s_or_b64 exec, exec, s[2:3]
	v_cmp_gt_i32_e32 vcc, s8, v0
	s_and_saveexec_b64 s[2:3], vcc
	s_cbranch_execz .LBB42_38
.LBB42_55:
	s_waitcnt vmcnt(0)
	v_cmp_ne_u32_e32 vcc, s10, v9
	s_xor_b64 s[4:5], s[0:1], vcc
	v_cndmask_b32_e64 v1, 0, 1, s[4:5]
	v_add_u32_e32 v2, s6, v0
	v_add_u32_e32 v0, 0x100, v0
	global_store_byte v2, v1, s[12:13]
	s_or_b64 exec, exec, s[2:3]
	v_cmp_gt_i32_e32 vcc, s8, v0
	s_and_saveexec_b64 s[2:3], vcc
	s_cbranch_execz .LBB42_39
.LBB42_56:
	s_waitcnt vmcnt(0)
	v_cmp_ne_u32_e32 vcc, s10, v20
	s_xor_b64 s[4:5], s[0:1], vcc
	v_cndmask_b32_e64 v1, 0, 1, s[4:5]
	v_add_u32_e32 v2, s6, v0
	v_add_u32_e32 v0, 0x100, v0
	global_store_byte v2, v1, s[12:13]
	s_or_b64 exec, exec, s[2:3]
	v_cmp_gt_i32_e32 vcc, s8, v0
	s_and_saveexec_b64 s[2:3], vcc
	s_cbranch_execz .LBB42_40
.LBB42_57:
	s_waitcnt vmcnt(0)
	v_cmp_ne_u32_e32 vcc, s10, v3
	s_xor_b64 s[4:5], s[0:1], vcc
	v_cndmask_b32_e64 v1, 0, 1, s[4:5]
	v_add_u32_e32 v2, s6, v0
	v_add_u32_e32 v0, 0x100, v0
	global_store_byte v2, v1, s[12:13]
	s_or_b64 exec, exec, s[2:3]
	v_cmp_gt_i32_e32 vcc, s8, v0
	s_and_saveexec_b64 s[2:3], vcc
	s_cbranch_execz .LBB42_41
.LBB42_58:
	s_waitcnt vmcnt(0)
	v_cmp_ne_u32_e32 vcc, s10, v4
	s_xor_b64 s[4:5], s[0:1], vcc
	v_cndmask_b32_e64 v1, 0, 1, s[4:5]
	v_add_u32_e32 v2, s6, v0
	v_add_u32_e32 v0, 0x100, v0
	global_store_byte v2, v1, s[12:13]
	s_or_b64 exec, exec, s[2:3]
	v_cmp_gt_i32_e32 vcc, s8, v0
	s_and_saveexec_b64 s[2:3], vcc
	s_cbranch_execz .LBB42_42
.LBB42_59:
	s_waitcnt vmcnt(0)
	v_cmp_ne_u32_e32 vcc, s10, v5
	s_xor_b64 s[4:5], s[0:1], vcc
	v_cndmask_b32_e64 v1, 0, 1, s[4:5]
	v_add_u32_e32 v2, s6, v0
	v_add_u32_e32 v0, 0x100, v0
	global_store_byte v2, v1, s[12:13]
	s_or_b64 exec, exec, s[2:3]
	v_cmp_gt_i32_e32 vcc, s8, v0
	s_and_saveexec_b64 s[2:3], vcc
	s_cbranch_execz .LBB42_43
.LBB42_60:
	s_waitcnt vmcnt(0)
	v_cmp_ne_u32_e32 vcc, s10, v6
	s_xor_b64 s[4:5], s[0:1], vcc
	v_cndmask_b32_e64 v1, 0, 1, s[4:5]
	v_add_u32_e32 v2, s6, v0
	v_add_u32_e32 v0, 0x100, v0
	global_store_byte v2, v1, s[12:13]
	s_or_b64 exec, exec, s[2:3]
	v_cmp_gt_i32_e32 vcc, s8, v0
	s_and_saveexec_b64 s[2:3], vcc
	s_cbranch_execz .LBB42_44
.LBB42_61:
	s_waitcnt vmcnt(0)
	v_cmp_ne_u32_e32 vcc, s10, v7
	s_xor_b64 s[4:5], s[0:1], vcc
	v_cndmask_b32_e64 v1, 0, 1, s[4:5]
	v_add_u32_e32 v2, s6, v0
	v_add_u32_e32 v0, 0x100, v0
	global_store_byte v2, v1, s[12:13]
	s_or_b64 exec, exec, s[2:3]
	v_cmp_gt_i32_e32 vcc, s8, v0
	s_and_saveexec_b64 s[2:3], vcc
	s_cbranch_execz .LBB42_45
.LBB42_62:
	s_waitcnt vmcnt(0)
	v_cmp_ne_u32_e32 vcc, s10, v8
	s_xor_b64 s[4:5], s[0:1], vcc
	v_cndmask_b32_e64 v1, 0, 1, s[4:5]
	v_add_u32_e32 v2, s6, v0
	v_add_u32_e32 v0, 0x100, v0
	global_store_byte v2, v1, s[12:13]
	s_or_b64 exec, exec, s[2:3]
	v_cmp_gt_i32_e32 vcc, s8, v0
	s_and_saveexec_b64 s[2:3], vcc
	s_cbranch_execz .LBB42_46
.LBB42_63:
	s_waitcnt vmcnt(0)
	v_cmp_ne_u32_e32 vcc, s10, v11
	s_xor_b64 s[4:5], s[0:1], vcc
	v_cndmask_b32_e64 v1, 0, 1, s[4:5]
	v_add_u32_e32 v2, s6, v0
	v_add_u32_e32 v0, 0x100, v0
	global_store_byte v2, v1, s[12:13]
	s_or_b64 exec, exec, s[2:3]
	v_cmp_gt_i32_e32 vcc, s8, v0
	s_and_saveexec_b64 s[2:3], vcc
	s_cbranch_execz .LBB42_47
.LBB42_64:
	s_waitcnt vmcnt(0)
	v_cmp_ne_u32_e32 vcc, s10, v12
	s_xor_b64 s[4:5], s[0:1], vcc
	v_cndmask_b32_e64 v1, 0, 1, s[4:5]
	v_add_u32_e32 v2, s6, v0
	v_add_u32_e32 v0, 0x100, v0
	global_store_byte v2, v1, s[12:13]
	s_or_b64 exec, exec, s[2:3]
	v_cmp_gt_i32_e32 vcc, s8, v0
	s_and_saveexec_b64 s[2:3], vcc
	s_cbranch_execz .LBB42_48
.LBB42_65:
	s_waitcnt vmcnt(0)
	v_cmp_ne_u32_e32 vcc, s10, v13
	s_xor_b64 s[4:5], s[0:1], vcc
	v_cndmask_b32_e64 v1, 0, 1, s[4:5]
	v_add_u32_e32 v2, s6, v0
	v_add_u32_e32 v0, 0x100, v0
	global_store_byte v2, v1, s[12:13]
	s_or_b64 exec, exec, s[2:3]
	v_cmp_gt_i32_e32 vcc, s8, v0
	s_and_saveexec_b64 s[2:3], vcc
	s_cbranch_execz .LBB42_49
.LBB42_66:
	s_waitcnt vmcnt(0)
	v_cmp_ne_u32_e32 vcc, s10, v14
	s_xor_b64 s[4:5], s[0:1], vcc
	v_cndmask_b32_e64 v1, 0, 1, s[4:5]
	v_add_u32_e32 v2, s6, v0
	v_add_u32_e32 v0, 0x100, v0
	global_store_byte v2, v1, s[12:13]
	s_or_b64 exec, exec, s[2:3]
	v_cmp_gt_i32_e32 vcc, s8, v0
	s_and_saveexec_b64 s[2:3], vcc
	s_cbranch_execz .LBB42_50
.LBB42_67:
	s_waitcnt vmcnt(0)
	v_cmp_ne_u32_e32 vcc, s10, v15
	s_xor_b64 s[4:5], s[0:1], vcc
	v_cndmask_b32_e64 v1, 0, 1, s[4:5]
	v_add_u32_e32 v2, s6, v0
	v_add_u32_e32 v0, 0x100, v0
	global_store_byte v2, v1, s[12:13]
	s_or_b64 exec, exec, s[2:3]
	v_cmp_gt_i32_e32 vcc, s8, v0
	s_and_saveexec_b64 s[2:3], vcc
	s_cbranch_execnz .LBB42_51
	s_branch .LBB42_52
	.section	.rodata,"a",@progbits
	.p2align	6, 0x0
	.amdhsa_kernel _ZN2at6native29vectorized_elementwise_kernelILi4ENS0_13AUnaryFunctorIiibNS0_12_GLOBAL__N_116CompareEqFunctorIiEEEESt5arrayIPcLm2EEEEviT0_T1_
		.amdhsa_group_segment_fixed_size 0
		.amdhsa_private_segment_fixed_size 0
		.amdhsa_kernarg_size 32
		.amdhsa_user_sgpr_count 6
		.amdhsa_user_sgpr_private_segment_buffer 1
		.amdhsa_user_sgpr_dispatch_ptr 0
		.amdhsa_user_sgpr_queue_ptr 0
		.amdhsa_user_sgpr_kernarg_segment_ptr 1
		.amdhsa_user_sgpr_dispatch_id 0
		.amdhsa_user_sgpr_flat_scratch_init 0
		.amdhsa_user_sgpr_private_segment_size 0
		.amdhsa_uses_dynamic_stack 0
		.amdhsa_system_sgpr_private_segment_wavefront_offset 0
		.amdhsa_system_sgpr_workgroup_id_x 1
		.amdhsa_system_sgpr_workgroup_id_y 0
		.amdhsa_system_sgpr_workgroup_id_z 0
		.amdhsa_system_sgpr_workgroup_info 0
		.amdhsa_system_vgpr_workitem_id 0
		.amdhsa_next_free_vgpr 22
		.amdhsa_next_free_sgpr 46
		.amdhsa_reserve_vcc 1
		.amdhsa_reserve_flat_scratch 0
		.amdhsa_float_round_mode_32 0
		.amdhsa_float_round_mode_16_64 0
		.amdhsa_float_denorm_mode_32 3
		.amdhsa_float_denorm_mode_16_64 3
		.amdhsa_dx10_clamp 1
		.amdhsa_ieee_mode 1
		.amdhsa_fp16_overflow 0
		.amdhsa_exception_fp_ieee_invalid_op 0
		.amdhsa_exception_fp_denorm_src 0
		.amdhsa_exception_fp_ieee_div_zero 0
		.amdhsa_exception_fp_ieee_overflow 0
		.amdhsa_exception_fp_ieee_underflow 0
		.amdhsa_exception_fp_ieee_inexact 0
		.amdhsa_exception_int_div_zero 0
	.end_amdhsa_kernel
	.section	.text._ZN2at6native29vectorized_elementwise_kernelILi4ENS0_13AUnaryFunctorIiibNS0_12_GLOBAL__N_116CompareEqFunctorIiEEEESt5arrayIPcLm2EEEEviT0_T1_,"axG",@progbits,_ZN2at6native29vectorized_elementwise_kernelILi4ENS0_13AUnaryFunctorIiibNS0_12_GLOBAL__N_116CompareEqFunctorIiEEEESt5arrayIPcLm2EEEEviT0_T1_,comdat
.Lfunc_end42:
	.size	_ZN2at6native29vectorized_elementwise_kernelILi4ENS0_13AUnaryFunctorIiibNS0_12_GLOBAL__N_116CompareEqFunctorIiEEEESt5arrayIPcLm2EEEEviT0_T1_, .Lfunc_end42-_ZN2at6native29vectorized_elementwise_kernelILi4ENS0_13AUnaryFunctorIiibNS0_12_GLOBAL__N_116CompareEqFunctorIiEEEESt5arrayIPcLm2EEEEviT0_T1_
                                        ; -- End function
	.set _ZN2at6native29vectorized_elementwise_kernelILi4ENS0_13AUnaryFunctorIiibNS0_12_GLOBAL__N_116CompareEqFunctorIiEEEESt5arrayIPcLm2EEEEviT0_T1_.num_vgpr, 22
	.set _ZN2at6native29vectorized_elementwise_kernelILi4ENS0_13AUnaryFunctorIiibNS0_12_GLOBAL__N_116CompareEqFunctorIiEEEESt5arrayIPcLm2EEEEviT0_T1_.num_agpr, 0
	.set _ZN2at6native29vectorized_elementwise_kernelILi4ENS0_13AUnaryFunctorIiibNS0_12_GLOBAL__N_116CompareEqFunctorIiEEEESt5arrayIPcLm2EEEEviT0_T1_.numbered_sgpr, 46
	.set _ZN2at6native29vectorized_elementwise_kernelILi4ENS0_13AUnaryFunctorIiibNS0_12_GLOBAL__N_116CompareEqFunctorIiEEEESt5arrayIPcLm2EEEEviT0_T1_.num_named_barrier, 0
	.set _ZN2at6native29vectorized_elementwise_kernelILi4ENS0_13AUnaryFunctorIiibNS0_12_GLOBAL__N_116CompareEqFunctorIiEEEESt5arrayIPcLm2EEEEviT0_T1_.private_seg_size, 0
	.set _ZN2at6native29vectorized_elementwise_kernelILi4ENS0_13AUnaryFunctorIiibNS0_12_GLOBAL__N_116CompareEqFunctorIiEEEESt5arrayIPcLm2EEEEviT0_T1_.uses_vcc, 1
	.set _ZN2at6native29vectorized_elementwise_kernelILi4ENS0_13AUnaryFunctorIiibNS0_12_GLOBAL__N_116CompareEqFunctorIiEEEESt5arrayIPcLm2EEEEviT0_T1_.uses_flat_scratch, 0
	.set _ZN2at6native29vectorized_elementwise_kernelILi4ENS0_13AUnaryFunctorIiibNS0_12_GLOBAL__N_116CompareEqFunctorIiEEEESt5arrayIPcLm2EEEEviT0_T1_.has_dyn_sized_stack, 0
	.set _ZN2at6native29vectorized_elementwise_kernelILi4ENS0_13AUnaryFunctorIiibNS0_12_GLOBAL__N_116CompareEqFunctorIiEEEESt5arrayIPcLm2EEEEviT0_T1_.has_recursion, 0
	.set _ZN2at6native29vectorized_elementwise_kernelILi4ENS0_13AUnaryFunctorIiibNS0_12_GLOBAL__N_116CompareEqFunctorIiEEEESt5arrayIPcLm2EEEEviT0_T1_.has_indirect_call, 0
	.section	.AMDGPU.csdata,"",@progbits
; Kernel info:
; codeLenInByte = 3228
; TotalNumSgprs: 50
; NumVgprs: 22
; ScratchSize: 0
; MemoryBound: 0
; FloatMode: 240
; IeeeMode: 1
; LDSByteSize: 0 bytes/workgroup (compile time only)
; SGPRBlocks: 6
; VGPRBlocks: 5
; NumSGPRsForWavesPerEU: 50
; NumVGPRsForWavesPerEU: 22
; Occupancy: 10
; WaveLimiterHint : 1
; COMPUTE_PGM_RSRC2:SCRATCH_EN: 0
; COMPUTE_PGM_RSRC2:USER_SGPR: 6
; COMPUTE_PGM_RSRC2:TRAP_HANDLER: 0
; COMPUTE_PGM_RSRC2:TGID_X_EN: 1
; COMPUTE_PGM_RSRC2:TGID_Y_EN: 0
; COMPUTE_PGM_RSRC2:TGID_Z_EN: 0
; COMPUTE_PGM_RSRC2:TIDIG_COMP_CNT: 0
	.section	.text._ZN2at6native29vectorized_elementwise_kernelILi2ENS0_13AUnaryFunctorIiibNS0_12_GLOBAL__N_116CompareEqFunctorIiEEEESt5arrayIPcLm2EEEEviT0_T1_,"axG",@progbits,_ZN2at6native29vectorized_elementwise_kernelILi2ENS0_13AUnaryFunctorIiibNS0_12_GLOBAL__N_116CompareEqFunctorIiEEEESt5arrayIPcLm2EEEEviT0_T1_,comdat
	.globl	_ZN2at6native29vectorized_elementwise_kernelILi2ENS0_13AUnaryFunctorIiibNS0_12_GLOBAL__N_116CompareEqFunctorIiEEEESt5arrayIPcLm2EEEEviT0_T1_ ; -- Begin function _ZN2at6native29vectorized_elementwise_kernelILi2ENS0_13AUnaryFunctorIiibNS0_12_GLOBAL__N_116CompareEqFunctorIiEEEESt5arrayIPcLm2EEEEviT0_T1_
	.p2align	8
	.type	_ZN2at6native29vectorized_elementwise_kernelILi2ENS0_13AUnaryFunctorIiibNS0_12_GLOBAL__N_116CompareEqFunctorIiEEEESt5arrayIPcLm2EEEEviT0_T1_,@function
_ZN2at6native29vectorized_elementwise_kernelILi2ENS0_13AUnaryFunctorIiibNS0_12_GLOBAL__N_116CompareEqFunctorIiEEEESt5arrayIPcLm2EEEEviT0_T1_: ; @_ZN2at6native29vectorized_elementwise_kernelILi2ENS0_13AUnaryFunctorIiibNS0_12_GLOBAL__N_116CompareEqFunctorIiEEEESt5arrayIPcLm2EEEEviT0_T1_
; %bb.0:
	s_load_dwordx8 s[8:15], s[4:5], 0x0
	s_lshl_b32 s6, s6, 12
	s_mov_b64 s[0:1], -1
	s_waitcnt lgkmcnt(0)
	s_sub_i32 s8, s8, s6
	s_cmpk_gt_i32 s8, 0xfff
	s_cbranch_scc0 .LBB43_2
; %bb.1:
	s_ashr_i32 s7, s6, 31
	s_lshl_b64 s[0:1], s[6:7], 2
	s_add_u32 s0, s14, s0
	s_addc_u32 s1, s15, s1
	v_lshlrev_b32_e32 v5, 3, v0
	v_mov_b32_e32 v6, s1
	v_add_co_u32_e32 v15, vcc, s0, v5
	global_load_dwordx2 v[1:2], v5, s[0:1]
	global_load_dwordx2 v[3:4], v5, s[0:1] offset:2048
	v_addc_co_u32_e32 v16, vcc, 0, v6, vcc
	v_add_co_u32_e32 v5, vcc, 0x1000, v15
	v_addc_co_u32_e32 v6, vcc, 0, v16, vcc
	global_load_dwordx2 v[7:8], v[5:6], off
	global_load_dwordx2 v[9:10], v[5:6], off offset:2048
	v_add_co_u32_e32 v5, vcc, 0x2000, v15
	v_addc_co_u32_e32 v6, vcc, 0, v16, vcc
	global_load_dwordx2 v[11:12], v[5:6], off
	global_load_dwordx2 v[13:14], v[5:6], off offset:2048
	;; [unrolled: 4-line block ×3, first 2 shown]
	s_cmp_eq_u32 s9, 0
	s_cselect_b64 s[16:17], -1, 0
	v_mov_b32_e32 v5, 0x100
	s_waitcnt vmcnt(7)
	v_cmp_ne_u32_e32 vcc, s10, v1
	v_cmp_ne_u32_e64 s[0:1], s10, v2
	s_waitcnt vmcnt(6)
	v_cmp_ne_u32_e64 s[2:3], s10, v3
	v_cmp_ne_u32_e64 s[4:5], s10, v4
	s_xor_b64 s[18:19], s[16:17], vcc
	s_xor_b64 vcc, s[16:17], s[0:1]
	v_cndmask_b32_e32 v2, 0, v5, vcc
	s_xor_b64 s[0:1], s[16:17], s[2:3]
	s_xor_b64 vcc, s[16:17], s[4:5]
	v_cndmask_b32_e64 v3, 0, 1, s[0:1]
	v_cndmask_b32_e32 v4, 0, v5, vcc
	s_waitcnt vmcnt(5)
	v_cmp_ne_u32_e32 vcc, s10, v7
	v_cmp_ne_u32_e64 s[0:1], s10, v8
	v_cndmask_b32_e64 v1, 0, 1, s[18:19]
	s_waitcnt vmcnt(4)
	v_cmp_ne_u32_e64 s[2:3], s10, v9
	v_cmp_ne_u32_e64 s[4:5], s10, v10
	s_xor_b64 s[18:19], s[16:17], vcc
	s_xor_b64 vcc, s[16:17], s[0:1]
	v_or_b32_e32 v1, v2, v1
	v_or_b32_e32 v2, v4, v3
	v_cndmask_b32_e32 v4, 0, v5, vcc
	s_xor_b64 s[0:1], s[16:17], s[2:3]
	s_xor_b64 vcc, s[16:17], s[4:5]
	v_cndmask_b32_e64 v6, 0, 1, s[0:1]
	v_cndmask_b32_e32 v7, 0, v5, vcc
	s_waitcnt vmcnt(3)
	v_cmp_ne_u32_e32 vcc, s10, v11
	v_cmp_ne_u32_e64 s[0:1], s10, v12
	v_cndmask_b32_e64 v3, 0, 1, s[18:19]
	s_waitcnt vmcnt(2)
	v_cmp_ne_u32_e64 s[2:3], s10, v13
	v_cmp_ne_u32_e64 s[4:5], s10, v14
	s_xor_b64 s[18:19], s[16:17], vcc
	s_xor_b64 vcc, s[16:17], s[0:1]
	v_or_b32_e32 v3, v4, v3
	v_or_b32_e32 v4, v7, v6
	;; [unrolled: 16-line block ×3, first 2 shown]
	v_cndmask_b32_e32 v9, 0, v5, vcc
	s_xor_b64 s[0:1], s[16:17], s[2:3]
	s_xor_b64 vcc, s[16:17], s[4:5]
	v_cndmask_b32_e64 v8, 0, 1, s[18:19]
	v_cndmask_b32_e64 v10, 0, 1, s[0:1]
	s_add_u32 s0, s12, s6
	v_cndmask_b32_e32 v5, 0, v5, vcc
	v_or_b32_e32 v8, v9, v8
	s_addc_u32 s1, s13, s7
	v_lshlrev_b32_e32 v9, 1, v0
	v_or_b32_e32 v5, v5, v10
	global_store_short v9, v1, s[0:1]
	global_store_short v9, v2, s[0:1] offset:512
	global_store_short v9, v3, s[0:1] offset:1024
	;; [unrolled: 1-line block ×7, first 2 shown]
	s_mov_b64 s[0:1], 0
.LBB43_2:
	s_andn2_b64 vcc, exec, s[0:1]
	s_cbranch_vccnz .LBB43_52
; %bb.3:
	v_cmp_gt_i32_e32 vcc, s8, v0
	v_or_b32_e32 v19, 0x100, v0
	v_mov_b32_e32 v16, 0
	v_or_b32_e32 v1, s6, v0
	v_mov_b32_e32 v15, 0
	v_mov_b32_e32 v14, 0
	;; [unrolled: 1-line block ×15, first 2 shown]
	s_and_saveexec_b64 s[2:3], vcc
	s_cbranch_execz .LBB43_35
; %bb.4:
	v_mov_b32_e32 v2, 0
	v_lshlrev_b64 v[3:4], 2, v[1:2]
	v_mov_b32_e32 v5, s15
	v_add_co_u32_e64 v3, s[0:1], s14, v3
	v_addc_co_u32_e64 v4, s[0:1], v5, v4, s[0:1]
	global_load_dword v21, v[3:4], off
	v_cmp_gt_u32_e64 s[0:1], s8, v19
	v_mov_b32_e32 v9, v2
	v_mov_b32_e32 v20, v2
	;; [unrolled: 1-line block ×14, first 2 shown]
	s_and_saveexec_b64 s[4:5], s[0:1]
	s_cbranch_execz .LBB43_34
; %bb.5:
	v_add_u32_e32 v8, s6, v0
	v_mov_b32_e32 v9, 0
	v_lshlrev_b64 v[2:3], 2, v[8:9]
	v_mov_b32_e32 v4, s15
	v_add_co_u32_e64 v17, s[0:1], s14, v2
	v_addc_co_u32_e64 v18, s[0:1], v4, v3, s[0:1]
	global_load_dword v2, v[17:18], off offset:1024
	v_or_b32_e32 v3, 0x200, v0
	v_cmp_gt_u32_e64 s[0:1], s8, v3
	v_mov_b32_e32 v20, v9
	v_mov_b32_e32 v3, v9
	;; [unrolled: 1-line block ×13, first 2 shown]
	s_and_saveexec_b64 s[16:17], s[0:1]
	s_cbranch_execz .LBB43_33
; %bb.6:
	global_load_dword v9, v[17:18], off offset:2048
	v_or_b32_e32 v3, 0x300, v0
	v_cmp_gt_u32_e64 s[0:1], s8, v3
	v_mov_b32_e32 v20, 0
	v_mov_b32_e32 v3, 0
	;; [unrolled: 1-line block ×13, first 2 shown]
	s_and_saveexec_b64 s[18:19], s[0:1]
	s_cbranch_execz .LBB43_32
; %bb.7:
	global_load_dword v20, v[17:18], off offset:3072
	v_or_b32_e32 v10, 0x400, v0
	v_cmp_gt_u32_e64 s[0:1], s8, v10
	v_mov_b32_e32 v3, 0
	v_mov_b32_e32 v4, 0
	;; [unrolled: 1-line block ×12, first 2 shown]
	s_and_saveexec_b64 s[20:21], s[0:1]
	s_cbranch_execz .LBB43_31
; %bb.8:
	v_or_b32_e32 v3, s6, v10
	v_mov_b32_e32 v4, 0
	v_lshlrev_b64 v[5:6], 2, v[3:4]
	v_mov_b32_e32 v3, s15
	v_add_co_u32_e64 v5, s[0:1], s14, v5
	v_addc_co_u32_e64 v6, s[0:1], v3, v6, s[0:1]
	global_load_dword v3, v[5:6], off
	v_or_b32_e32 v10, 0x500, v0
	v_cmp_gt_u32_e64 s[0:1], s8, v10
	v_mov_b32_e32 v5, v4
	v_mov_b32_e32 v6, v4
	;; [unrolled: 1-line block ×10, first 2 shown]
	s_and_saveexec_b64 s[22:23], s[0:1]
	s_cbranch_execz .LBB43_30
; %bb.9:
	v_or_b32_e32 v4, s6, v10
	v_mov_b32_e32 v5, 0
	v_lshlrev_b64 v[6:7], 2, v[4:5]
	v_mov_b32_e32 v4, s15
	v_add_co_u32_e64 v6, s[0:1], s14, v6
	v_addc_co_u32_e64 v7, s[0:1], v4, v7, s[0:1]
	global_load_dword v4, v[6:7], off
	v_or_b32_e32 v10, 0x600, v0
	v_cmp_gt_u32_e64 s[0:1], s8, v10
	v_mov_b32_e32 v6, v5
	v_mov_b32_e32 v7, v5
	;; [unrolled: 1-line block ×9, first 2 shown]
	s_and_saveexec_b64 s[24:25], s[0:1]
	s_cbranch_execz .LBB43_29
; %bb.10:
	v_or_b32_e32 v5, s6, v10
	v_mov_b32_e32 v6, 0
	v_lshlrev_b64 v[7:8], 2, v[5:6]
	v_mov_b32_e32 v5, s15
	v_add_co_u32_e64 v7, s[0:1], s14, v7
	v_addc_co_u32_e64 v8, s[0:1], v5, v8, s[0:1]
	global_load_dword v5, v[7:8], off
	v_or_b32_e32 v10, 0x700, v0
	v_cmp_gt_u32_e64 s[0:1], s8, v10
	v_mov_b32_e32 v7, v6
	v_mov_b32_e32 v8, v6
	;; [unrolled: 1-line block ×8, first 2 shown]
	s_and_saveexec_b64 s[26:27], s[0:1]
	s_cbranch_execz .LBB43_28
; %bb.11:
	v_or_b32_e32 v6, s6, v10
	v_mov_b32_e32 v7, 0
	v_lshlrev_b64 v[10:11], 2, v[6:7]
	v_mov_b32_e32 v6, s15
	v_add_co_u32_e64 v10, s[0:1], s14, v10
	v_addc_co_u32_e64 v11, s[0:1], v6, v11, s[0:1]
	global_load_dword v6, v[10:11], off
	v_or_b32_e32 v10, 0x800, v0
	v_cmp_gt_u32_e64 s[0:1], s8, v10
	v_mov_b32_e32 v8, v7
	v_mov_b32_e32 v11, v7
	v_mov_b32_e32 v12, v7
	v_mov_b32_e32 v13, v7
	v_mov_b32_e32 v14, v7
	v_mov_b32_e32 v15, v7
	v_mov_b32_e32 v16, v7
	s_and_saveexec_b64 s[28:29], s[0:1]
	s_cbranch_execz .LBB43_27
; %bb.12:
	v_or_b32_e32 v7, s6, v10
	v_mov_b32_e32 v8, 0
	v_lshlrev_b64 v[10:11], 2, v[7:8]
	v_mov_b32_e32 v7, s15
	v_add_co_u32_e64 v10, s[0:1], s14, v10
	v_addc_co_u32_e64 v11, s[0:1], v7, v11, s[0:1]
	global_load_dword v7, v[10:11], off
	v_or_b32_e32 v10, 0x900, v0
	v_cmp_gt_u32_e64 s[0:1], s8, v10
	v_mov_b32_e32 v11, v8
	v_mov_b32_e32 v12, v8
	;; [unrolled: 1-line block ×6, first 2 shown]
	s_and_saveexec_b64 s[30:31], s[0:1]
	s_cbranch_execz .LBB43_26
; %bb.13:
	v_or_b32_e32 v10, s6, v10
	v_mov_b32_e32 v11, 0
	v_lshlrev_b64 v[12:13], 2, v[10:11]
	v_mov_b32_e32 v8, s15
	v_add_co_u32_e64 v12, s[0:1], s14, v12
	v_addc_co_u32_e64 v13, s[0:1], v8, v13, s[0:1]
	global_load_dword v8, v[12:13], off
	v_or_b32_e32 v10, 0xa00, v0
	v_cmp_gt_u32_e64 s[0:1], s8, v10
	v_mov_b32_e32 v12, v11
	v_mov_b32_e32 v13, v11
	v_mov_b32_e32 v14, v11
	v_mov_b32_e32 v15, v11
	v_mov_b32_e32 v16, v11
	s_and_saveexec_b64 s[34:35], s[0:1]
	s_cbranch_execz .LBB43_25
; %bb.14:
	v_or_b32_e32 v11, s6, v10
	v_mov_b32_e32 v12, 0
	v_lshlrev_b64 v[10:11], 2, v[11:12]
	v_mov_b32_e32 v13, s15
	v_add_co_u32_e64 v10, s[0:1], s14, v10
	v_addc_co_u32_e64 v11, s[0:1], v13, v11, s[0:1]
	global_load_dword v11, v[10:11], off
	v_or_b32_e32 v10, 0xb00, v0
	v_cmp_gt_u32_e64 s[0:1], s8, v10
	v_mov_b32_e32 v13, v12
	v_mov_b32_e32 v14, v12
	;; [unrolled: 1-line block ×4, first 2 shown]
	s_and_saveexec_b64 s[36:37], s[0:1]
	s_cbranch_execz .LBB43_24
; %bb.15:
	v_or_b32_e32 v12, s6, v10
	v_mov_b32_e32 v13, 0
	v_lshlrev_b64 v[14:15], 2, v[12:13]
	v_mov_b32_e32 v10, s15
	v_add_co_u32_e64 v14, s[0:1], s14, v14
	v_addc_co_u32_e64 v15, s[0:1], v10, v15, s[0:1]
	global_load_dword v12, v[14:15], off
	v_or_b32_e32 v10, 0xc00, v0
	v_cmp_gt_u32_e64 s[0:1], s8, v10
	v_mov_b32_e32 v14, v13
	v_mov_b32_e32 v15, v13
	;; [unrolled: 1-line block ×3, first 2 shown]
	s_and_saveexec_b64 s[38:39], s[0:1]
	s_cbranch_execz .LBB43_23
; %bb.16:
	v_or_b32_e32 v13, s6, v10
	v_mov_b32_e32 v14, 0
	v_lshlrev_b64 v[15:16], 2, v[13:14]
	v_mov_b32_e32 v10, s15
	v_add_co_u32_e64 v15, s[0:1], s14, v15
	v_addc_co_u32_e64 v16, s[0:1], v10, v16, s[0:1]
	global_load_dword v13, v[15:16], off
	v_or_b32_e32 v10, 0xd00, v0
	v_cmp_gt_u32_e64 s[0:1], s8, v10
	v_mov_b32_e32 v15, v14
	v_mov_b32_e32 v16, v14
	s_and_saveexec_b64 s[40:41], s[0:1]
	s_cbranch_execz .LBB43_22
; %bb.17:
	v_add_u32_e32 v14, s6, v10
	v_mov_b32_e32 v15, 0
	v_lshlrev_b64 v[16:17], 2, v[14:15]
	v_mov_b32_e32 v10, s15
	v_add_co_u32_e64 v16, s[0:1], s14, v16
	v_addc_co_u32_e64 v17, s[0:1], v10, v17, s[0:1]
	global_load_dword v14, v[16:17], off
	v_or_b32_e32 v10, 0xe00, v0
	v_cmp_gt_u32_e64 s[0:1], s8, v10
	v_mov_b32_e32 v16, v15
	s_and_saveexec_b64 s[42:43], s[0:1]
	s_cbranch_execz .LBB43_21
; %bb.18:
	v_add_u32_e32 v15, s6, v10
	v_mov_b32_e32 v16, 0
	v_lshlrev_b64 v[17:18], 2, v[15:16]
	v_mov_b32_e32 v10, s15
	v_add_co_u32_e64 v17, s[0:1], s14, v17
	v_addc_co_u32_e64 v18, s[0:1], v10, v18, s[0:1]
	global_load_dword v15, v[17:18], off
	v_or_b32_e32 v10, 0xf00, v0
	v_cmp_gt_u32_e64 s[0:1], s8, v10
	s_and_saveexec_b64 s[44:45], s[0:1]
	s_cbranch_execz .LBB43_20
; %bb.19:
	v_add_u32_e32 v16, s6, v10
	v_mov_b32_e32 v17, 0
	v_lshlrev_b64 v[16:17], 2, v[16:17]
	v_mov_b32_e32 v10, s15
	v_add_co_u32_e64 v16, s[0:1], s14, v16
	v_addc_co_u32_e64 v17, s[0:1], v10, v17, s[0:1]
	global_load_dword v16, v[16:17], off
.LBB43_20:
	s_or_b64 exec, exec, s[44:45]
.LBB43_21:
	s_or_b64 exec, exec, s[42:43]
.LBB43_22:
	s_or_b64 exec, exec, s[40:41]
.LBB43_23:
	s_or_b64 exec, exec, s[38:39]
.LBB43_24:
	s_or_b64 exec, exec, s[36:37]
.LBB43_25:
	s_or_b64 exec, exec, s[34:35]
.LBB43_26:
	s_or_b64 exec, exec, s[30:31]
.LBB43_27:
	s_or_b64 exec, exec, s[28:29]
.LBB43_28:
	s_or_b64 exec, exec, s[26:27]
.LBB43_29:
	s_or_b64 exec, exec, s[24:25]
.LBB43_30:
	s_or_b64 exec, exec, s[22:23]
.LBB43_31:
	s_or_b64 exec, exec, s[20:21]
.LBB43_32:
	s_or_b64 exec, exec, s[18:19]
.LBB43_33:
	s_or_b64 exec, exec, s[16:17]
.LBB43_34:
	s_or_b64 exec, exec, s[4:5]
.LBB43_35:
	s_or_b64 exec, exec, s[2:3]
	s_cmp_eq_u32 s9, 0
	s_cselect_b64 s[0:1], -1, 0
	s_and_saveexec_b64 s[2:3], vcc
	s_cbranch_execnz .LBB43_53
; %bb.36:
	s_or_b64 exec, exec, s[2:3]
	v_cmp_gt_i32_e32 vcc, s8, v0
	s_and_saveexec_b64 s[2:3], vcc
	s_cbranch_execnz .LBB43_54
.LBB43_37:
	s_or_b64 exec, exec, s[2:3]
	v_cmp_gt_i32_e32 vcc, s8, v0
	s_and_saveexec_b64 s[2:3], vcc
	s_cbranch_execnz .LBB43_55
.LBB43_38:
	s_or_b64 exec, exec, s[2:3]
	v_cmp_gt_i32_e32 vcc, s8, v0
	s_and_saveexec_b64 s[2:3], vcc
	s_cbranch_execnz .LBB43_56
.LBB43_39:
	s_or_b64 exec, exec, s[2:3]
	v_cmp_gt_i32_e32 vcc, s8, v0
	s_and_saveexec_b64 s[2:3], vcc
	s_cbranch_execnz .LBB43_57
.LBB43_40:
	s_or_b64 exec, exec, s[2:3]
	v_cmp_gt_i32_e32 vcc, s8, v0
	s_and_saveexec_b64 s[2:3], vcc
	s_cbranch_execnz .LBB43_58
.LBB43_41:
	s_or_b64 exec, exec, s[2:3]
	v_cmp_gt_i32_e32 vcc, s8, v0
	s_and_saveexec_b64 s[2:3], vcc
	s_cbranch_execnz .LBB43_59
.LBB43_42:
	s_or_b64 exec, exec, s[2:3]
	v_cmp_gt_i32_e32 vcc, s8, v0
	s_and_saveexec_b64 s[2:3], vcc
	s_cbranch_execnz .LBB43_60
.LBB43_43:
	s_or_b64 exec, exec, s[2:3]
	v_cmp_gt_i32_e32 vcc, s8, v0
	s_and_saveexec_b64 s[2:3], vcc
	s_cbranch_execnz .LBB43_61
.LBB43_44:
	s_or_b64 exec, exec, s[2:3]
	v_cmp_gt_i32_e32 vcc, s8, v0
	s_and_saveexec_b64 s[2:3], vcc
	s_cbranch_execnz .LBB43_62
.LBB43_45:
	s_or_b64 exec, exec, s[2:3]
	v_cmp_gt_i32_e32 vcc, s8, v0
	s_and_saveexec_b64 s[2:3], vcc
	s_cbranch_execnz .LBB43_63
.LBB43_46:
	s_or_b64 exec, exec, s[2:3]
	v_cmp_gt_i32_e32 vcc, s8, v0
	s_and_saveexec_b64 s[2:3], vcc
	s_cbranch_execnz .LBB43_64
.LBB43_47:
	s_or_b64 exec, exec, s[2:3]
	v_cmp_gt_i32_e32 vcc, s8, v0
	s_and_saveexec_b64 s[2:3], vcc
	s_cbranch_execnz .LBB43_65
.LBB43_48:
	s_or_b64 exec, exec, s[2:3]
	v_cmp_gt_i32_e32 vcc, s8, v0
	s_and_saveexec_b64 s[2:3], vcc
	s_cbranch_execnz .LBB43_66
.LBB43_49:
	s_or_b64 exec, exec, s[2:3]
	v_cmp_gt_i32_e32 vcc, s8, v0
	s_and_saveexec_b64 s[2:3], vcc
	s_cbranch_execnz .LBB43_67
.LBB43_50:
	s_or_b64 exec, exec, s[2:3]
	v_cmp_gt_i32_e32 vcc, s8, v0
	s_and_saveexec_b64 s[2:3], vcc
	s_cbranch_execz .LBB43_52
.LBB43_51:
	s_waitcnt vmcnt(0)
	v_cmp_ne_u32_e32 vcc, s10, v16
	s_xor_b64 s[0:1], s[0:1], vcc
	v_cndmask_b32_e64 v1, 0, 1, s[0:1]
	v_add_u32_e32 v0, s6, v0
	global_store_byte v0, v1, s[12:13]
.LBB43_52:
	s_endpgm
.LBB43_53:
	s_waitcnt vmcnt(0)
	v_cmp_ne_u32_e32 vcc, s10, v21
	s_xor_b64 s[4:5], s[0:1], vcc
	v_cndmask_b32_e64 v0, 0, 1, s[4:5]
	global_store_byte v1, v0, s[12:13]
	v_mov_b32_e32 v0, v19
	s_or_b64 exec, exec, s[2:3]
	v_cmp_gt_i32_e32 vcc, s8, v0
	s_and_saveexec_b64 s[2:3], vcc
	s_cbranch_execz .LBB43_37
.LBB43_54:
	s_waitcnt vmcnt(0)
	v_cmp_ne_u32_e32 vcc, s10, v2
	s_xor_b64 s[4:5], s[0:1], vcc
	v_cndmask_b32_e64 v1, 0, 1, s[4:5]
	v_add_u32_e32 v2, s6, v0
	v_add_u32_e32 v0, 0x100, v0
	global_store_byte v2, v1, s[12:13]
	s_or_b64 exec, exec, s[2:3]
	v_cmp_gt_i32_e32 vcc, s8, v0
	s_and_saveexec_b64 s[2:3], vcc
	s_cbranch_execz .LBB43_38
.LBB43_55:
	s_waitcnt vmcnt(0)
	v_cmp_ne_u32_e32 vcc, s10, v9
	s_xor_b64 s[4:5], s[0:1], vcc
	v_cndmask_b32_e64 v1, 0, 1, s[4:5]
	v_add_u32_e32 v2, s6, v0
	v_add_u32_e32 v0, 0x100, v0
	global_store_byte v2, v1, s[12:13]
	s_or_b64 exec, exec, s[2:3]
	v_cmp_gt_i32_e32 vcc, s8, v0
	s_and_saveexec_b64 s[2:3], vcc
	s_cbranch_execz .LBB43_39
.LBB43_56:
	s_waitcnt vmcnt(0)
	v_cmp_ne_u32_e32 vcc, s10, v20
	s_xor_b64 s[4:5], s[0:1], vcc
	v_cndmask_b32_e64 v1, 0, 1, s[4:5]
	v_add_u32_e32 v2, s6, v0
	v_add_u32_e32 v0, 0x100, v0
	global_store_byte v2, v1, s[12:13]
	s_or_b64 exec, exec, s[2:3]
	v_cmp_gt_i32_e32 vcc, s8, v0
	s_and_saveexec_b64 s[2:3], vcc
	s_cbranch_execz .LBB43_40
.LBB43_57:
	s_waitcnt vmcnt(0)
	v_cmp_ne_u32_e32 vcc, s10, v3
	s_xor_b64 s[4:5], s[0:1], vcc
	v_cndmask_b32_e64 v1, 0, 1, s[4:5]
	v_add_u32_e32 v2, s6, v0
	v_add_u32_e32 v0, 0x100, v0
	global_store_byte v2, v1, s[12:13]
	s_or_b64 exec, exec, s[2:3]
	v_cmp_gt_i32_e32 vcc, s8, v0
	s_and_saveexec_b64 s[2:3], vcc
	s_cbranch_execz .LBB43_41
.LBB43_58:
	s_waitcnt vmcnt(0)
	v_cmp_ne_u32_e32 vcc, s10, v4
	s_xor_b64 s[4:5], s[0:1], vcc
	v_cndmask_b32_e64 v1, 0, 1, s[4:5]
	v_add_u32_e32 v2, s6, v0
	v_add_u32_e32 v0, 0x100, v0
	global_store_byte v2, v1, s[12:13]
	s_or_b64 exec, exec, s[2:3]
	v_cmp_gt_i32_e32 vcc, s8, v0
	s_and_saveexec_b64 s[2:3], vcc
	s_cbranch_execz .LBB43_42
.LBB43_59:
	s_waitcnt vmcnt(0)
	v_cmp_ne_u32_e32 vcc, s10, v5
	s_xor_b64 s[4:5], s[0:1], vcc
	v_cndmask_b32_e64 v1, 0, 1, s[4:5]
	v_add_u32_e32 v2, s6, v0
	v_add_u32_e32 v0, 0x100, v0
	global_store_byte v2, v1, s[12:13]
	s_or_b64 exec, exec, s[2:3]
	v_cmp_gt_i32_e32 vcc, s8, v0
	s_and_saveexec_b64 s[2:3], vcc
	s_cbranch_execz .LBB43_43
.LBB43_60:
	s_waitcnt vmcnt(0)
	v_cmp_ne_u32_e32 vcc, s10, v6
	s_xor_b64 s[4:5], s[0:1], vcc
	v_cndmask_b32_e64 v1, 0, 1, s[4:5]
	v_add_u32_e32 v2, s6, v0
	v_add_u32_e32 v0, 0x100, v0
	global_store_byte v2, v1, s[12:13]
	s_or_b64 exec, exec, s[2:3]
	v_cmp_gt_i32_e32 vcc, s8, v0
	s_and_saveexec_b64 s[2:3], vcc
	s_cbranch_execz .LBB43_44
.LBB43_61:
	s_waitcnt vmcnt(0)
	v_cmp_ne_u32_e32 vcc, s10, v7
	s_xor_b64 s[4:5], s[0:1], vcc
	v_cndmask_b32_e64 v1, 0, 1, s[4:5]
	v_add_u32_e32 v2, s6, v0
	v_add_u32_e32 v0, 0x100, v0
	global_store_byte v2, v1, s[12:13]
	s_or_b64 exec, exec, s[2:3]
	v_cmp_gt_i32_e32 vcc, s8, v0
	s_and_saveexec_b64 s[2:3], vcc
	s_cbranch_execz .LBB43_45
.LBB43_62:
	s_waitcnt vmcnt(0)
	v_cmp_ne_u32_e32 vcc, s10, v8
	s_xor_b64 s[4:5], s[0:1], vcc
	v_cndmask_b32_e64 v1, 0, 1, s[4:5]
	v_add_u32_e32 v2, s6, v0
	v_add_u32_e32 v0, 0x100, v0
	global_store_byte v2, v1, s[12:13]
	s_or_b64 exec, exec, s[2:3]
	v_cmp_gt_i32_e32 vcc, s8, v0
	s_and_saveexec_b64 s[2:3], vcc
	s_cbranch_execz .LBB43_46
.LBB43_63:
	s_waitcnt vmcnt(0)
	v_cmp_ne_u32_e32 vcc, s10, v11
	s_xor_b64 s[4:5], s[0:1], vcc
	v_cndmask_b32_e64 v1, 0, 1, s[4:5]
	v_add_u32_e32 v2, s6, v0
	v_add_u32_e32 v0, 0x100, v0
	global_store_byte v2, v1, s[12:13]
	s_or_b64 exec, exec, s[2:3]
	v_cmp_gt_i32_e32 vcc, s8, v0
	s_and_saveexec_b64 s[2:3], vcc
	s_cbranch_execz .LBB43_47
.LBB43_64:
	s_waitcnt vmcnt(0)
	v_cmp_ne_u32_e32 vcc, s10, v12
	s_xor_b64 s[4:5], s[0:1], vcc
	v_cndmask_b32_e64 v1, 0, 1, s[4:5]
	v_add_u32_e32 v2, s6, v0
	v_add_u32_e32 v0, 0x100, v0
	global_store_byte v2, v1, s[12:13]
	s_or_b64 exec, exec, s[2:3]
	v_cmp_gt_i32_e32 vcc, s8, v0
	s_and_saveexec_b64 s[2:3], vcc
	s_cbranch_execz .LBB43_48
.LBB43_65:
	s_waitcnt vmcnt(0)
	v_cmp_ne_u32_e32 vcc, s10, v13
	s_xor_b64 s[4:5], s[0:1], vcc
	v_cndmask_b32_e64 v1, 0, 1, s[4:5]
	v_add_u32_e32 v2, s6, v0
	v_add_u32_e32 v0, 0x100, v0
	global_store_byte v2, v1, s[12:13]
	s_or_b64 exec, exec, s[2:3]
	v_cmp_gt_i32_e32 vcc, s8, v0
	s_and_saveexec_b64 s[2:3], vcc
	s_cbranch_execz .LBB43_49
.LBB43_66:
	s_waitcnt vmcnt(0)
	v_cmp_ne_u32_e32 vcc, s10, v14
	s_xor_b64 s[4:5], s[0:1], vcc
	v_cndmask_b32_e64 v1, 0, 1, s[4:5]
	v_add_u32_e32 v2, s6, v0
	v_add_u32_e32 v0, 0x100, v0
	global_store_byte v2, v1, s[12:13]
	s_or_b64 exec, exec, s[2:3]
	v_cmp_gt_i32_e32 vcc, s8, v0
	s_and_saveexec_b64 s[2:3], vcc
	s_cbranch_execz .LBB43_50
.LBB43_67:
	s_waitcnt vmcnt(0)
	v_cmp_ne_u32_e32 vcc, s10, v15
	s_xor_b64 s[4:5], s[0:1], vcc
	v_cndmask_b32_e64 v1, 0, 1, s[4:5]
	v_add_u32_e32 v2, s6, v0
	v_add_u32_e32 v0, 0x100, v0
	global_store_byte v2, v1, s[12:13]
	s_or_b64 exec, exec, s[2:3]
	v_cmp_gt_i32_e32 vcc, s8, v0
	s_and_saveexec_b64 s[2:3], vcc
	s_cbranch_execnz .LBB43_51
	s_branch .LBB43_52
	.section	.rodata,"a",@progbits
	.p2align	6, 0x0
	.amdhsa_kernel _ZN2at6native29vectorized_elementwise_kernelILi2ENS0_13AUnaryFunctorIiibNS0_12_GLOBAL__N_116CompareEqFunctorIiEEEESt5arrayIPcLm2EEEEviT0_T1_
		.amdhsa_group_segment_fixed_size 0
		.amdhsa_private_segment_fixed_size 0
		.amdhsa_kernarg_size 32
		.amdhsa_user_sgpr_count 6
		.amdhsa_user_sgpr_private_segment_buffer 1
		.amdhsa_user_sgpr_dispatch_ptr 0
		.amdhsa_user_sgpr_queue_ptr 0
		.amdhsa_user_sgpr_kernarg_segment_ptr 1
		.amdhsa_user_sgpr_dispatch_id 0
		.amdhsa_user_sgpr_flat_scratch_init 0
		.amdhsa_user_sgpr_private_segment_size 0
		.amdhsa_uses_dynamic_stack 0
		.amdhsa_system_sgpr_private_segment_wavefront_offset 0
		.amdhsa_system_sgpr_workgroup_id_x 1
		.amdhsa_system_sgpr_workgroup_id_y 0
		.amdhsa_system_sgpr_workgroup_id_z 0
		.amdhsa_system_sgpr_workgroup_info 0
		.amdhsa_system_vgpr_workitem_id 0
		.amdhsa_next_free_vgpr 22
		.amdhsa_next_free_sgpr 46
		.amdhsa_reserve_vcc 1
		.amdhsa_reserve_flat_scratch 0
		.amdhsa_float_round_mode_32 0
		.amdhsa_float_round_mode_16_64 0
		.amdhsa_float_denorm_mode_32 3
		.amdhsa_float_denorm_mode_16_64 3
		.amdhsa_dx10_clamp 1
		.amdhsa_ieee_mode 1
		.amdhsa_fp16_overflow 0
		.amdhsa_exception_fp_ieee_invalid_op 0
		.amdhsa_exception_fp_denorm_src 0
		.amdhsa_exception_fp_ieee_div_zero 0
		.amdhsa_exception_fp_ieee_overflow 0
		.amdhsa_exception_fp_ieee_underflow 0
		.amdhsa_exception_fp_ieee_inexact 0
		.amdhsa_exception_int_div_zero 0
	.end_amdhsa_kernel
	.section	.text._ZN2at6native29vectorized_elementwise_kernelILi2ENS0_13AUnaryFunctorIiibNS0_12_GLOBAL__N_116CompareEqFunctorIiEEEESt5arrayIPcLm2EEEEviT0_T1_,"axG",@progbits,_ZN2at6native29vectorized_elementwise_kernelILi2ENS0_13AUnaryFunctorIiibNS0_12_GLOBAL__N_116CompareEqFunctorIiEEEESt5arrayIPcLm2EEEEviT0_T1_,comdat
.Lfunc_end43:
	.size	_ZN2at6native29vectorized_elementwise_kernelILi2ENS0_13AUnaryFunctorIiibNS0_12_GLOBAL__N_116CompareEqFunctorIiEEEESt5arrayIPcLm2EEEEviT0_T1_, .Lfunc_end43-_ZN2at6native29vectorized_elementwise_kernelILi2ENS0_13AUnaryFunctorIiibNS0_12_GLOBAL__N_116CompareEqFunctorIiEEEESt5arrayIPcLm2EEEEviT0_T1_
                                        ; -- End function
	.set _ZN2at6native29vectorized_elementwise_kernelILi2ENS0_13AUnaryFunctorIiibNS0_12_GLOBAL__N_116CompareEqFunctorIiEEEESt5arrayIPcLm2EEEEviT0_T1_.num_vgpr, 22
	.set _ZN2at6native29vectorized_elementwise_kernelILi2ENS0_13AUnaryFunctorIiibNS0_12_GLOBAL__N_116CompareEqFunctorIiEEEESt5arrayIPcLm2EEEEviT0_T1_.num_agpr, 0
	.set _ZN2at6native29vectorized_elementwise_kernelILi2ENS0_13AUnaryFunctorIiibNS0_12_GLOBAL__N_116CompareEqFunctorIiEEEESt5arrayIPcLm2EEEEviT0_T1_.numbered_sgpr, 46
	.set _ZN2at6native29vectorized_elementwise_kernelILi2ENS0_13AUnaryFunctorIiibNS0_12_GLOBAL__N_116CompareEqFunctorIiEEEESt5arrayIPcLm2EEEEviT0_T1_.num_named_barrier, 0
	.set _ZN2at6native29vectorized_elementwise_kernelILi2ENS0_13AUnaryFunctorIiibNS0_12_GLOBAL__N_116CompareEqFunctorIiEEEESt5arrayIPcLm2EEEEviT0_T1_.private_seg_size, 0
	.set _ZN2at6native29vectorized_elementwise_kernelILi2ENS0_13AUnaryFunctorIiibNS0_12_GLOBAL__N_116CompareEqFunctorIiEEEESt5arrayIPcLm2EEEEviT0_T1_.uses_vcc, 1
	.set _ZN2at6native29vectorized_elementwise_kernelILi2ENS0_13AUnaryFunctorIiibNS0_12_GLOBAL__N_116CompareEqFunctorIiEEEESt5arrayIPcLm2EEEEviT0_T1_.uses_flat_scratch, 0
	.set _ZN2at6native29vectorized_elementwise_kernelILi2ENS0_13AUnaryFunctorIiibNS0_12_GLOBAL__N_116CompareEqFunctorIiEEEESt5arrayIPcLm2EEEEviT0_T1_.has_dyn_sized_stack, 0
	.set _ZN2at6native29vectorized_elementwise_kernelILi2ENS0_13AUnaryFunctorIiibNS0_12_GLOBAL__N_116CompareEqFunctorIiEEEESt5arrayIPcLm2EEEEviT0_T1_.has_recursion, 0
	.set _ZN2at6native29vectorized_elementwise_kernelILi2ENS0_13AUnaryFunctorIiibNS0_12_GLOBAL__N_116CompareEqFunctorIiEEEESt5arrayIPcLm2EEEEviT0_T1_.has_indirect_call, 0
	.section	.AMDGPU.csdata,"",@progbits
; Kernel info:
; codeLenInByte = 3292
; TotalNumSgprs: 50
; NumVgprs: 22
; ScratchSize: 0
; MemoryBound: 0
; FloatMode: 240
; IeeeMode: 1
; LDSByteSize: 0 bytes/workgroup (compile time only)
; SGPRBlocks: 6
; VGPRBlocks: 5
; NumSGPRsForWavesPerEU: 50
; NumVGPRsForWavesPerEU: 22
; Occupancy: 10
; WaveLimiterHint : 1
; COMPUTE_PGM_RSRC2:SCRATCH_EN: 0
; COMPUTE_PGM_RSRC2:USER_SGPR: 6
; COMPUTE_PGM_RSRC2:TRAP_HANDLER: 0
; COMPUTE_PGM_RSRC2:TGID_X_EN: 1
; COMPUTE_PGM_RSRC2:TGID_Y_EN: 0
; COMPUTE_PGM_RSRC2:TGID_Z_EN: 0
; COMPUTE_PGM_RSRC2:TIDIG_COMP_CNT: 0
	.section	.text._ZN2at6native27unrolled_elementwise_kernelINS0_13AUnaryFunctorIiibNS0_12_GLOBAL__N_116CompareEqFunctorIiEEEESt5arrayIPcLm2EELi4E23TrivialOffsetCalculatorILi1EjESB_NS0_6memory15LoadWithoutCastENSC_16StoreWithoutCastEEEviT_T0_T2_T3_T4_T5_,"axG",@progbits,_ZN2at6native27unrolled_elementwise_kernelINS0_13AUnaryFunctorIiibNS0_12_GLOBAL__N_116CompareEqFunctorIiEEEESt5arrayIPcLm2EELi4E23TrivialOffsetCalculatorILi1EjESB_NS0_6memory15LoadWithoutCastENSC_16StoreWithoutCastEEEviT_T0_T2_T3_T4_T5_,comdat
	.globl	_ZN2at6native27unrolled_elementwise_kernelINS0_13AUnaryFunctorIiibNS0_12_GLOBAL__N_116CompareEqFunctorIiEEEESt5arrayIPcLm2EELi4E23TrivialOffsetCalculatorILi1EjESB_NS0_6memory15LoadWithoutCastENSC_16StoreWithoutCastEEEviT_T0_T2_T3_T4_T5_ ; -- Begin function _ZN2at6native27unrolled_elementwise_kernelINS0_13AUnaryFunctorIiibNS0_12_GLOBAL__N_116CompareEqFunctorIiEEEESt5arrayIPcLm2EELi4E23TrivialOffsetCalculatorILi1EjESB_NS0_6memory15LoadWithoutCastENSC_16StoreWithoutCastEEEviT_T0_T2_T3_T4_T5_
	.p2align	8
	.type	_ZN2at6native27unrolled_elementwise_kernelINS0_13AUnaryFunctorIiibNS0_12_GLOBAL__N_116CompareEqFunctorIiEEEESt5arrayIPcLm2EELi4E23TrivialOffsetCalculatorILi1EjESB_NS0_6memory15LoadWithoutCastENSC_16StoreWithoutCastEEEviT_T0_T2_T3_T4_T5_,@function
_ZN2at6native27unrolled_elementwise_kernelINS0_13AUnaryFunctorIiibNS0_12_GLOBAL__N_116CompareEqFunctorIiEEEESt5arrayIPcLm2EELi4E23TrivialOffsetCalculatorILi1EjESB_NS0_6memory15LoadWithoutCastENSC_16StoreWithoutCastEEEviT_T0_T2_T3_T4_T5_: ; @_ZN2at6native27unrolled_elementwise_kernelINS0_13AUnaryFunctorIiibNS0_12_GLOBAL__N_116CompareEqFunctorIiEEEESt5arrayIPcLm2EELi4E23TrivialOffsetCalculatorILi1EjESB_NS0_6memory15LoadWithoutCastENSC_16StoreWithoutCastEEEviT_T0_T2_T3_T4_T5_
; %bb.0:
	s_load_dwordx8 s[8:15], s[4:5], 0x0
	s_waitcnt lgkmcnt(0)
	s_lshl_b32 s11, s6, 10
	v_mov_b32_e32 v4, 0
	v_or_b32_e32 v5, 0x100, v0
	v_or_b32_e32 v1, s11, v0
	s_sub_i32 s8, s8, s11
	v_cmp_gt_i32_e32 vcc, s8, v0
	v_mov_b32_e32 v3, 0
	v_mov_b32_e32 v2, v4
	v_mov_b32_e32 v6, 0
	s_and_saveexec_b64 s[2:3], vcc
	s_cbranch_execz .LBB44_8
; %bb.1:
	v_mov_b32_e32 v2, 0
	v_lshlrev_b64 v[3:4], 2, v[1:2]
	v_mov_b32_e32 v6, s15
	v_add_co_u32_e64 v3, s[0:1], s14, v3
	v_addc_co_u32_e64 v4, s[0:1], v6, v4, s[0:1]
	global_load_dword v6, v[3:4], off
	v_cmp_gt_u32_e64 s[0:1], s8, v5
	v_mov_b32_e32 v3, v2
	v_mov_b32_e32 v4, v2
	s_and_saveexec_b64 s[4:5], s[0:1]
	s_cbranch_execz .LBB44_7
; %bb.2:
	v_add_u32_e32 v2, s11, v5
	v_mov_b32_e32 v3, 0
	v_lshlrev_b64 v[7:8], 2, v[2:3]
	v_mov_b32_e32 v2, s15
	v_add_co_u32_e64 v7, s[0:1], s14, v7
	v_addc_co_u32_e64 v8, s[0:1], v2, v8, s[0:1]
	global_load_dword v2, v[7:8], off
	v_or_b32_e32 v7, 0x200, v0
	v_cmp_gt_u32_e64 s[0:1], s8, v7
	v_mov_b32_e32 v4, v3
	s_and_saveexec_b64 s[6:7], s[0:1]
	s_cbranch_execz .LBB44_6
; %bb.3:
	v_add_u32_e32 v3, s11, v7
	v_mov_b32_e32 v4, 0
	v_lshlrev_b64 v[7:8], 2, v[3:4]
	v_mov_b32_e32 v3, s15
	v_add_co_u32_e64 v7, s[0:1], s14, v7
	v_addc_co_u32_e64 v8, s[0:1], v3, v8, s[0:1]
	global_load_dword v3, v[7:8], off
	v_or_b32_e32 v7, 0x300, v0
	v_cmp_gt_u32_e64 s[0:1], s8, v7
	s_and_saveexec_b64 s[16:17], s[0:1]
	s_cbranch_execz .LBB44_5
; %bb.4:
	v_add_u32_e32 v7, s11, v7
	v_mov_b32_e32 v8, 0
	v_lshlrev_b64 v[7:8], 2, v[7:8]
	v_mov_b32_e32 v4, s15
	v_add_co_u32_e64 v7, s[0:1], s14, v7
	v_addc_co_u32_e64 v8, s[0:1], v4, v8, s[0:1]
	global_load_dword v4, v[7:8], off
.LBB44_5:
	s_or_b64 exec, exec, s[16:17]
.LBB44_6:
	s_or_b64 exec, exec, s[6:7]
.LBB44_7:
	s_or_b64 exec, exec, s[4:5]
.LBB44_8:
	s_or_b64 exec, exec, s[2:3]
	s_cmp_eq_u32 s9, 0
	s_cselect_b64 s[2:3], -1, 0
	s_waitcnt vmcnt(0)
	v_cmp_ne_u32_e64 s[0:1], s10, v6
	s_xor_b64 s[0:1], s[2:3], s[0:1]
	v_cndmask_b32_e64 v6, 0, 1, s[0:1]
	v_cmp_ne_u32_e64 s[0:1], s10, v2
	s_xor_b64 s[0:1], s[2:3], s[0:1]
	v_cndmask_b32_e64 v2, 0, 1, s[0:1]
	v_cndmask_b32_e32 v6, 0, v6, vcc
	v_lshlrev_b16_e32 v2, 8, v2
	v_or_b32_e32 v2, v6, v2
	v_and_b32_e32 v2, 0xffff, v2
	v_cmp_gt_i32_e64 s[0:1], s8, v5
	v_cndmask_b32_e64 v2, v6, v2, s[0:1]
	v_cmp_ne_u32_e64 s[0:1], s10, v3
	s_xor_b64 s[0:1], s[2:3], s[0:1]
	v_cndmask_b32_e64 v3, 0, 1, s[0:1]
	v_or_b32_e32 v6, 0x200, v0
	v_lshlrev_b32_e32 v3, 16, v3
	v_or_b32_e32 v3, v2, v3
	v_cmp_gt_i32_e64 s[0:1], s8, v6
	v_cndmask_b32_e64 v2, v2, v3, s[0:1]
	s_movk_i32 s0, 0xff
	v_and_b32_sdwa v3, v2, s0 dst_sel:DWORD dst_unused:UNUSED_PAD src0_sel:WORD_1 src1_sel:DWORD
	v_cmp_ne_u32_e64 s[0:1], s10, v4
	s_xor_b64 s[0:1], s[2:3], s[0:1]
	v_cndmask_b32_e64 v4, 0, 1, s[0:1]
	v_lshlrev_b16_e32 v4, 8, v4
	s_mov_b32 s4, 0xffff
	v_or_b32_e32 v6, 0x300, v0
	v_or_b32_sdwa v3, v3, v4 dst_sel:WORD_1 dst_unused:UNUSED_PAD src0_sel:DWORD src1_sel:DWORD
	v_and_or_b32 v3, v2, s4, v3
	v_cmp_gt_i32_e64 s[0:1], s8, v6
	v_cndmask_b32_e64 v2, v2, v3, s[0:1]
	s_and_saveexec_b64 s[0:1], vcc
	s_cbranch_execnz .LBB44_13
; %bb.9:
	s_or_b64 exec, exec, s[0:1]
	v_cmp_gt_i32_e32 vcc, s8, v0
	s_and_saveexec_b64 s[0:1], vcc
	s_cbranch_execnz .LBB44_14
.LBB44_10:
	s_or_b64 exec, exec, s[0:1]
	v_cmp_gt_i32_e32 vcc, s8, v0
	s_and_saveexec_b64 s[0:1], vcc
	s_cbranch_execnz .LBB44_15
.LBB44_11:
	s_or_b64 exec, exec, s[0:1]
	v_cmp_gt_i32_e32 vcc, s8, v0
	s_and_saveexec_b64 s[0:1], vcc
	s_cbranch_execnz .LBB44_16
.LBB44_12:
	s_endpgm
.LBB44_13:
	v_mov_b32_e32 v0, v5
	global_store_byte v1, v2, s[12:13]
	s_or_b64 exec, exec, s[0:1]
	v_cmp_gt_i32_e32 vcc, s8, v0
	s_and_saveexec_b64 s[0:1], vcc
	s_cbranch_execz .LBB44_10
.LBB44_14:
	v_add_u32_e32 v1, 0x100, v0
	v_add_u32_e32 v0, s11, v0
	v_lshrrev_b32_e32 v3, 8, v2
	global_store_byte v0, v3, s[12:13]
	v_mov_b32_e32 v0, v1
	s_or_b64 exec, exec, s[0:1]
	v_cmp_gt_i32_e32 vcc, s8, v0
	s_and_saveexec_b64 s[0:1], vcc
	s_cbranch_execz .LBB44_11
.LBB44_15:
	v_add_u32_e32 v1, 0x100, v0
	v_add_u32_e32 v0, s11, v0
	global_store_byte_d16_hi v0, v2, s[12:13]
	v_mov_b32_e32 v0, v1
	s_or_b64 exec, exec, s[0:1]
	v_cmp_gt_i32_e32 vcc, s8, v0
	s_and_saveexec_b64 s[0:1], vcc
	s_cbranch_execz .LBB44_12
.LBB44_16:
	v_add_u32_e32 v0, s11, v0
	v_lshrrev_b32_e32 v1, 24, v2
	global_store_byte v0, v1, s[12:13]
	s_endpgm
	.section	.rodata,"a",@progbits
	.p2align	6, 0x0
	.amdhsa_kernel _ZN2at6native27unrolled_elementwise_kernelINS0_13AUnaryFunctorIiibNS0_12_GLOBAL__N_116CompareEqFunctorIiEEEESt5arrayIPcLm2EELi4E23TrivialOffsetCalculatorILi1EjESB_NS0_6memory15LoadWithoutCastENSC_16StoreWithoutCastEEEviT_T0_T2_T3_T4_T5_
		.amdhsa_group_segment_fixed_size 0
		.amdhsa_private_segment_fixed_size 0
		.amdhsa_kernarg_size 36
		.amdhsa_user_sgpr_count 6
		.amdhsa_user_sgpr_private_segment_buffer 1
		.amdhsa_user_sgpr_dispatch_ptr 0
		.amdhsa_user_sgpr_queue_ptr 0
		.amdhsa_user_sgpr_kernarg_segment_ptr 1
		.amdhsa_user_sgpr_dispatch_id 0
		.amdhsa_user_sgpr_flat_scratch_init 0
		.amdhsa_user_sgpr_private_segment_size 0
		.amdhsa_uses_dynamic_stack 0
		.amdhsa_system_sgpr_private_segment_wavefront_offset 0
		.amdhsa_system_sgpr_workgroup_id_x 1
		.amdhsa_system_sgpr_workgroup_id_y 0
		.amdhsa_system_sgpr_workgroup_id_z 0
		.amdhsa_system_sgpr_workgroup_info 0
		.amdhsa_system_vgpr_workitem_id 0
		.amdhsa_next_free_vgpr 9
		.amdhsa_next_free_sgpr 18
		.amdhsa_reserve_vcc 1
		.amdhsa_reserve_flat_scratch 0
		.amdhsa_float_round_mode_32 0
		.amdhsa_float_round_mode_16_64 0
		.amdhsa_float_denorm_mode_32 3
		.amdhsa_float_denorm_mode_16_64 3
		.amdhsa_dx10_clamp 1
		.amdhsa_ieee_mode 1
		.amdhsa_fp16_overflow 0
		.amdhsa_exception_fp_ieee_invalid_op 0
		.amdhsa_exception_fp_denorm_src 0
		.amdhsa_exception_fp_ieee_div_zero 0
		.amdhsa_exception_fp_ieee_overflow 0
		.amdhsa_exception_fp_ieee_underflow 0
		.amdhsa_exception_fp_ieee_inexact 0
		.amdhsa_exception_int_div_zero 0
	.end_amdhsa_kernel
	.section	.text._ZN2at6native27unrolled_elementwise_kernelINS0_13AUnaryFunctorIiibNS0_12_GLOBAL__N_116CompareEqFunctorIiEEEESt5arrayIPcLm2EELi4E23TrivialOffsetCalculatorILi1EjESB_NS0_6memory15LoadWithoutCastENSC_16StoreWithoutCastEEEviT_T0_T2_T3_T4_T5_,"axG",@progbits,_ZN2at6native27unrolled_elementwise_kernelINS0_13AUnaryFunctorIiibNS0_12_GLOBAL__N_116CompareEqFunctorIiEEEESt5arrayIPcLm2EELi4E23TrivialOffsetCalculatorILi1EjESB_NS0_6memory15LoadWithoutCastENSC_16StoreWithoutCastEEEviT_T0_T2_T3_T4_T5_,comdat
.Lfunc_end44:
	.size	_ZN2at6native27unrolled_elementwise_kernelINS0_13AUnaryFunctorIiibNS0_12_GLOBAL__N_116CompareEqFunctorIiEEEESt5arrayIPcLm2EELi4E23TrivialOffsetCalculatorILi1EjESB_NS0_6memory15LoadWithoutCastENSC_16StoreWithoutCastEEEviT_T0_T2_T3_T4_T5_, .Lfunc_end44-_ZN2at6native27unrolled_elementwise_kernelINS0_13AUnaryFunctorIiibNS0_12_GLOBAL__N_116CompareEqFunctorIiEEEESt5arrayIPcLm2EELi4E23TrivialOffsetCalculatorILi1EjESB_NS0_6memory15LoadWithoutCastENSC_16StoreWithoutCastEEEviT_T0_T2_T3_T4_T5_
                                        ; -- End function
	.set _ZN2at6native27unrolled_elementwise_kernelINS0_13AUnaryFunctorIiibNS0_12_GLOBAL__N_116CompareEqFunctorIiEEEESt5arrayIPcLm2EELi4E23TrivialOffsetCalculatorILi1EjESB_NS0_6memory15LoadWithoutCastENSC_16StoreWithoutCastEEEviT_T0_T2_T3_T4_T5_.num_vgpr, 9
	.set _ZN2at6native27unrolled_elementwise_kernelINS0_13AUnaryFunctorIiibNS0_12_GLOBAL__N_116CompareEqFunctorIiEEEESt5arrayIPcLm2EELi4E23TrivialOffsetCalculatorILi1EjESB_NS0_6memory15LoadWithoutCastENSC_16StoreWithoutCastEEEviT_T0_T2_T3_T4_T5_.num_agpr, 0
	.set _ZN2at6native27unrolled_elementwise_kernelINS0_13AUnaryFunctorIiibNS0_12_GLOBAL__N_116CompareEqFunctorIiEEEESt5arrayIPcLm2EELi4E23TrivialOffsetCalculatorILi1EjESB_NS0_6memory15LoadWithoutCastENSC_16StoreWithoutCastEEEviT_T0_T2_T3_T4_T5_.numbered_sgpr, 18
	.set _ZN2at6native27unrolled_elementwise_kernelINS0_13AUnaryFunctorIiibNS0_12_GLOBAL__N_116CompareEqFunctorIiEEEESt5arrayIPcLm2EELi4E23TrivialOffsetCalculatorILi1EjESB_NS0_6memory15LoadWithoutCastENSC_16StoreWithoutCastEEEviT_T0_T2_T3_T4_T5_.num_named_barrier, 0
	.set _ZN2at6native27unrolled_elementwise_kernelINS0_13AUnaryFunctorIiibNS0_12_GLOBAL__N_116CompareEqFunctorIiEEEESt5arrayIPcLm2EELi4E23TrivialOffsetCalculatorILi1EjESB_NS0_6memory15LoadWithoutCastENSC_16StoreWithoutCastEEEviT_T0_T2_T3_T4_T5_.private_seg_size, 0
	.set _ZN2at6native27unrolled_elementwise_kernelINS0_13AUnaryFunctorIiibNS0_12_GLOBAL__N_116CompareEqFunctorIiEEEESt5arrayIPcLm2EELi4E23TrivialOffsetCalculatorILi1EjESB_NS0_6memory15LoadWithoutCastENSC_16StoreWithoutCastEEEviT_T0_T2_T3_T4_T5_.uses_vcc, 1
	.set _ZN2at6native27unrolled_elementwise_kernelINS0_13AUnaryFunctorIiibNS0_12_GLOBAL__N_116CompareEqFunctorIiEEEESt5arrayIPcLm2EELi4E23TrivialOffsetCalculatorILi1EjESB_NS0_6memory15LoadWithoutCastENSC_16StoreWithoutCastEEEviT_T0_T2_T3_T4_T5_.uses_flat_scratch, 0
	.set _ZN2at6native27unrolled_elementwise_kernelINS0_13AUnaryFunctorIiibNS0_12_GLOBAL__N_116CompareEqFunctorIiEEEESt5arrayIPcLm2EELi4E23TrivialOffsetCalculatorILi1EjESB_NS0_6memory15LoadWithoutCastENSC_16StoreWithoutCastEEEviT_T0_T2_T3_T4_T5_.has_dyn_sized_stack, 0
	.set _ZN2at6native27unrolled_elementwise_kernelINS0_13AUnaryFunctorIiibNS0_12_GLOBAL__N_116CompareEqFunctorIiEEEESt5arrayIPcLm2EELi4E23TrivialOffsetCalculatorILi1EjESB_NS0_6memory15LoadWithoutCastENSC_16StoreWithoutCastEEEviT_T0_T2_T3_T4_T5_.has_recursion, 0
	.set _ZN2at6native27unrolled_elementwise_kernelINS0_13AUnaryFunctorIiibNS0_12_GLOBAL__N_116CompareEqFunctorIiEEEESt5arrayIPcLm2EELi4E23TrivialOffsetCalculatorILi1EjESB_NS0_6memory15LoadWithoutCastENSC_16StoreWithoutCastEEEviT_T0_T2_T3_T4_T5_.has_indirect_call, 0
	.section	.AMDGPU.csdata,"",@progbits
; Kernel info:
; codeLenInByte = 740
; TotalNumSgprs: 22
; NumVgprs: 9
; ScratchSize: 0
; MemoryBound: 0
; FloatMode: 240
; IeeeMode: 1
; LDSByteSize: 0 bytes/workgroup (compile time only)
; SGPRBlocks: 2
; VGPRBlocks: 2
; NumSGPRsForWavesPerEU: 22
; NumVGPRsForWavesPerEU: 9
; Occupancy: 10
; WaveLimiterHint : 0
; COMPUTE_PGM_RSRC2:SCRATCH_EN: 0
; COMPUTE_PGM_RSRC2:USER_SGPR: 6
; COMPUTE_PGM_RSRC2:TRAP_HANDLER: 0
; COMPUTE_PGM_RSRC2:TGID_X_EN: 1
; COMPUTE_PGM_RSRC2:TGID_Y_EN: 0
; COMPUTE_PGM_RSRC2:TGID_Z_EN: 0
; COMPUTE_PGM_RSRC2:TIDIG_COMP_CNT: 0
	.section	.text._ZN2at6native32elementwise_kernel_manual_unrollILi128ELi8EZNS0_22gpu_kernel_impl_nocastINS0_13AUnaryFunctorIiibNS0_12_GLOBAL__N_116CompareEqFunctorIiEEEEEEvRNS_18TensorIteratorBaseERKT_EUlibE_EEviT1_,"axG",@progbits,_ZN2at6native32elementwise_kernel_manual_unrollILi128ELi8EZNS0_22gpu_kernel_impl_nocastINS0_13AUnaryFunctorIiibNS0_12_GLOBAL__N_116CompareEqFunctorIiEEEEEEvRNS_18TensorIteratorBaseERKT_EUlibE_EEviT1_,comdat
	.globl	_ZN2at6native32elementwise_kernel_manual_unrollILi128ELi8EZNS0_22gpu_kernel_impl_nocastINS0_13AUnaryFunctorIiibNS0_12_GLOBAL__N_116CompareEqFunctorIiEEEEEEvRNS_18TensorIteratorBaseERKT_EUlibE_EEviT1_ ; -- Begin function _ZN2at6native32elementwise_kernel_manual_unrollILi128ELi8EZNS0_22gpu_kernel_impl_nocastINS0_13AUnaryFunctorIiibNS0_12_GLOBAL__N_116CompareEqFunctorIiEEEEEEvRNS_18TensorIteratorBaseERKT_EUlibE_EEviT1_
	.p2align	8
	.type	_ZN2at6native32elementwise_kernel_manual_unrollILi128ELi8EZNS0_22gpu_kernel_impl_nocastINS0_13AUnaryFunctorIiibNS0_12_GLOBAL__N_116CompareEqFunctorIiEEEEEEvRNS_18TensorIteratorBaseERKT_EUlibE_EEviT1_,@function
_ZN2at6native32elementwise_kernel_manual_unrollILi128ELi8EZNS0_22gpu_kernel_impl_nocastINS0_13AUnaryFunctorIiibNS0_12_GLOBAL__N_116CompareEqFunctorIiEEEEEEvRNS_18TensorIteratorBaseERKT_EUlibE_EEviT1_: ; @_ZN2at6native32elementwise_kernel_manual_unrollILi128ELi8EZNS0_22gpu_kernel_impl_nocastINS0_13AUnaryFunctorIiibNS0_12_GLOBAL__N_116CompareEqFunctorIiEEEEEEvRNS_18TensorIteratorBaseERKT_EUlibE_EEviT1_
; %bb.0:
	s_load_dword s59, s[4:5], 0x0
	s_load_dword s33, s[4:5], 0x8
	s_add_u32 s34, s4, 8
	s_addc_u32 s35, s5, 0
	v_lshl_or_b32 v19, s6, 10, v0
	v_or_b32_e32 v25, 0x380, v19
	s_waitcnt lgkmcnt(0)
	s_add_i32 s58, s33, -1
	s_cmp_gt_u32 s58, 1
	v_cmp_le_i32_e32 vcc, s59, v25
	s_cselect_b64 s[36:37], -1, 0
	s_and_saveexec_b64 s[0:1], vcc
	s_xor_b64 s[38:39], exec, s[0:1]
	s_cbranch_execz .LBB45_7
; %bb.1:
	s_load_dwordx4 s[20:23], s[34:35], 0x4
	s_load_dwordx2 s[44:45], s[34:35], 0x14
	s_load_dwordx2 s[40:41], s[34:35], 0x158
	s_cmp_lg_u32 s33, 0
	s_cselect_b64 s[50:51], -1, 0
	s_add_u32 s48, s34, 0xc4
	s_load_dwordx4 s[24:27], s[34:35], 0xc4
	s_load_dwordx4 s[16:19], s[34:35], 0x148
	s_addc_u32 s49, s35, 0
	s_min_u32 s60, s58, 15
	s_cmp_gt_u32 s33, 1
	s_cselect_b64 s[46:47], -1, 0
	s_waitcnt lgkmcnt(0)
	s_cmp_eq_u32 s40, 0
	s_cselect_b64 s[42:43], -1, 0
	v_cmp_gt_i32_e32 vcc, s59, v19
	s_and_saveexec_b64 s[52:53], vcc
	s_cbranch_execz .LBB45_14
; %bb.2:
	s_andn2_b64 vcc, exec, s[36:37]
	s_cbranch_vccnz .LBB45_21
; %bb.3:
	s_andn2_b64 vcc, exec, s[50:51]
	s_cbranch_vccnz .LBB45_129
; %bb.4:
	s_add_i32 s61, s60, 1
	s_cmp_eq_u32 s58, 2
	s_cbranch_scc1 .LBB45_131
; %bb.5:
	s_and_b32 s40, s61, 28
	v_mov_b32_e32 v2, 0
	s_mov_b32 s62, 0
	s_mov_b64 s[54:55], s[34:35]
	s_mov_b64 s[56:57], s[48:49]
	v_mov_b32_e32 v0, 0
	v_mov_b32_e32 v1, v19
.LBB45_6:                               ; =>This Inner Loop Header: Depth=1
	s_load_dwordx8 s[8:15], s[54:55], 0x4
	s_load_dwordx4 s[28:31], s[54:55], 0x24
	s_load_dwordx8 s[0:7], s[56:57], 0x0
	s_add_u32 s54, s54, 48
	s_addc_u32 s55, s55, 0
	s_waitcnt lgkmcnt(0)
	v_mul_hi_u32 v3, s9, v1
	s_add_i32 s62, s62, 4
	s_add_u32 s56, s56, 32
	s_addc_u32 s57, s57, 0
	v_add_u32_e32 v3, v1, v3
	v_lshrrev_b32_e32 v3, s10, v3
	v_mul_lo_u32 v4, v3, s8
	v_mul_hi_u32 v5, s12, v3
	s_cmp_lg_u32 s40, s62
	v_sub_u32_e32 v1, v1, v4
	v_add_u32_e32 v4, v3, v5
	v_mul_lo_u32 v5, v1, s0
	v_mul_lo_u32 v6, v1, s1
	v_lshrrev_b32_e32 v1, s13, v4
	v_mul_lo_u32 v4, v1, s11
	v_mul_hi_u32 v7, s15, v1
	v_sub_u32_e32 v3, v3, v4
	v_add_u32_e32 v4, v1, v7
	v_lshrrev_b32_e32 v4, s28, v4
	v_mul_hi_u32 v8, s30, v4
	v_mul_lo_u32 v9, v4, s14
	v_mul_lo_u32 v7, v3, s2
	v_mul_lo_u32 v3, v3, s3
	v_sub_u32_e32 v9, v1, v9
	v_add_u32_e32 v1, v4, v8
	v_lshrrev_b32_e32 v1, s31, v1
	v_mul_lo_u32 v8, v1, s29
	v_mul_lo_u32 v10, v9, s4
	;; [unrolled: 1-line block ×3, first 2 shown]
	v_add3_u32 v0, v5, v0, v7
	v_sub_u32_e32 v4, v4, v8
	v_mul_lo_u32 v8, v4, s6
	v_mul_lo_u32 v4, v4, s7
	v_add3_u32 v2, v6, v2, v3
	v_add3_u32 v0, v10, v0, v8
	v_add3_u32 v2, v9, v2, v4
	s_cbranch_scc1 .LBB45_6
	s_branch .LBB45_132
.LBB45_7:
	s_andn2_saveexec_b64 s[0:1], s[38:39]
	s_cbranch_execz .LBB45_221
.LBB45_8:
	v_cndmask_b32_e64 v0, 0, 1, s[36:37]
	v_cmp_ne_u32_e64 s[0:1], 1, v0
	s_andn2_b64 vcc, exec, s[36:37]
	s_cbranch_vccnz .LBB45_20
; %bb.9:
	s_cmp_lg_u32 s33, 0
	s_mov_b32 s26, 0
	s_cbranch_scc0 .LBB45_23
; %bb.10:
	s_min_u32 s27, s58, 15
	s_add_i32 s27, s27, 1
	s_cmp_eq_u32 s58, 2
	s_cbranch_scc1 .LBB45_24
; %bb.11:
	s_and_b32 s26, s27, 28
	s_add_u32 s2, s34, 0xc4
	s_addc_u32 s3, s35, 0
	v_mov_b32_e32 v2, 0
	s_mov_b32 s28, 0
	s_mov_b64 s[24:25], s[34:35]
	v_mov_b32_e32 v0, 0
	v_mov_b32_e32 v1, v19
.LBB45_12:                              ; =>This Inner Loop Header: Depth=1
	s_load_dwordx8 s[12:19], s[24:25], 0x4
	s_load_dwordx4 s[20:23], s[24:25], 0x24
	s_load_dwordx8 s[4:11], s[2:3], 0x0
	s_add_u32 s24, s24, 48
	s_addc_u32 s25, s25, 0
	s_waitcnt lgkmcnt(0)
	v_mul_hi_u32 v3, s13, v1
	s_add_i32 s28, s28, 4
	s_add_u32 s2, s2, 32
	s_addc_u32 s3, s3, 0
	v_add_u32_e32 v3, v1, v3
	v_lshrrev_b32_e32 v3, s14, v3
	v_mul_lo_u32 v4, v3, s12
	v_mul_hi_u32 v5, s16, v3
	s_cmp_lg_u32 s26, s28
	v_sub_u32_e32 v1, v1, v4
	v_add_u32_e32 v4, v3, v5
	v_mul_lo_u32 v5, v1, s4
	v_mul_lo_u32 v6, v1, s5
	v_lshrrev_b32_e32 v1, s17, v4
	v_mul_lo_u32 v4, v1, s15
	v_mul_hi_u32 v7, s19, v1
	v_sub_u32_e32 v3, v3, v4
	v_add_u32_e32 v4, v1, v7
	v_lshrrev_b32_e32 v4, s20, v4
	v_mul_hi_u32 v8, s22, v4
	v_mul_lo_u32 v9, v4, s18
	v_mul_lo_u32 v7, v3, s6
	;; [unrolled: 1-line block ×3, first 2 shown]
	v_sub_u32_e32 v9, v1, v9
	v_add_u32_e32 v1, v4, v8
	v_lshrrev_b32_e32 v1, s23, v1
	v_mul_lo_u32 v8, v1, s21
	v_mul_lo_u32 v10, v9, s8
	;; [unrolled: 1-line block ×3, first 2 shown]
	v_add3_u32 v0, v5, v0, v7
	v_sub_u32_e32 v4, v4, v8
	v_mul_lo_u32 v8, v4, s10
	v_mul_lo_u32 v4, v4, s11
	v_add3_u32 v2, v6, v2, v3
	v_add3_u32 v0, v10, v0, v8
	;; [unrolled: 1-line block ×3, first 2 shown]
	s_cbranch_scc1 .LBB45_12
; %bb.13:
	s_and_b32 s6, s27, 3
	s_cmp_eq_u32 s6, 0
	s_cbranch_scc0 .LBB45_25
	s_branch .LBB45_27
.LBB45_14:
	s_or_b64 exec, exec, s[52:53]
	v_cmp_gt_i32_e32 vcc, s59, v19
	s_and_saveexec_b64 s[52:53], vcc
	s_cbranch_execz .LBB45_139
.LBB45_15:
	s_andn2_b64 vcc, exec, s[36:37]
	s_cbranch_vccnz .LBB45_22
; %bb.16:
	s_andn2_b64 vcc, exec, s[50:51]
	s_cbranch_vccnz .LBB45_130
; %bb.17:
	s_add_i32 s61, s60, 1
	s_cmp_eq_u32 s58, 2
	s_cbranch_scc1 .LBB45_147
; %bb.18:
	s_and_b32 s40, s61, 28
	v_mov_b32_e32 v2, 0
	s_mov_b32 s62, 0
	s_mov_b64 s[54:55], s[34:35]
	s_mov_b64 s[56:57], s[48:49]
	v_mov_b32_e32 v0, 0
	v_mov_b32_e32 v1, v19
.LBB45_19:                              ; =>This Inner Loop Header: Depth=1
	s_load_dwordx8 s[8:15], s[54:55], 0x4
	s_load_dwordx4 s[28:31], s[54:55], 0x24
	s_load_dwordx8 s[0:7], s[56:57], 0x0
	s_add_u32 s54, s54, 48
	s_addc_u32 s55, s55, 0
	s_waitcnt lgkmcnt(0)
	v_mul_hi_u32 v3, s9, v1
	s_add_i32 s62, s62, 4
	s_add_u32 s56, s56, 32
	s_addc_u32 s57, s57, 0
	v_add_u32_e32 v3, v1, v3
	v_lshrrev_b32_e32 v3, s10, v3
	v_mul_lo_u32 v4, v3, s8
	v_mul_hi_u32 v5, s12, v3
	s_cmp_eq_u32 s40, s62
	v_sub_u32_e32 v1, v1, v4
	v_add_u32_e32 v4, v3, v5
	v_mul_lo_u32 v5, v1, s0
	v_mul_lo_u32 v6, v1, s1
	v_lshrrev_b32_e32 v1, s13, v4
	v_mul_lo_u32 v4, v1, s11
	v_mul_hi_u32 v7, s15, v1
	v_sub_u32_e32 v3, v3, v4
	v_add_u32_e32 v4, v1, v7
	v_lshrrev_b32_e32 v4, s28, v4
	v_mul_hi_u32 v8, s30, v4
	v_mul_lo_u32 v9, v4, s14
	v_mul_lo_u32 v7, v3, s2
	;; [unrolled: 1-line block ×3, first 2 shown]
	v_sub_u32_e32 v9, v1, v9
	v_add_u32_e32 v1, v4, v8
	v_lshrrev_b32_e32 v1, s31, v1
	v_mul_lo_u32 v8, v1, s29
	v_mul_lo_u32 v10, v9, s4
	;; [unrolled: 1-line block ×3, first 2 shown]
	v_add3_u32 v0, v5, v0, v7
	v_sub_u32_e32 v4, v4, v8
	v_mul_lo_u32 v8, v4, s6
	v_mul_lo_u32 v4, v4, s7
	v_add3_u32 v2, v6, v2, v3
	v_add3_u32 v0, v10, v0, v8
	;; [unrolled: 1-line block ×3, first 2 shown]
	s_cbranch_scc0 .LBB45_19
	s_branch .LBB45_148
.LBB45_20:
                                        ; implicit-def: $vgpr0
                                        ; implicit-def: $vgpr2
	s_branch .LBB45_28
.LBB45_21:
                                        ; implicit-def: $vgpr0
                                        ; implicit-def: $vgpr2
	s_branch .LBB45_136
.LBB45_22:
                                        ; implicit-def: $vgpr0
                                        ; implicit-def: $vgpr2
	s_branch .LBB45_152
.LBB45_23:
	v_mov_b32_e32 v0, 0
	v_mov_b32_e32 v2, 0
	s_branch .LBB45_27
.LBB45_24:
	v_mov_b32_e32 v0, 0
	v_mov_b32_e32 v2, 0
	;; [unrolled: 1-line block ×3, first 2 shown]
	s_and_b32 s6, s27, 3
	s_cmp_eq_u32 s6, 0
	s_cbranch_scc1 .LBB45_27
.LBB45_25:
	s_lshl_b32 s2, s26, 3
	s_add_u32 s2, s34, s2
	s_addc_u32 s3, s35, 0
	s_add_u32 s2, s2, 0xc4
	s_addc_u32 s3, s3, 0
	s_mul_i32 s4, s26, 12
	s_add_u32 s4, s34, s4
	s_addc_u32 s5, s35, 0
.LBB45_26:                              ; =>This Inner Loop Header: Depth=1
	s_load_dwordx2 s[8:9], s[4:5], 0x4
	s_load_dword s7, s[4:5], 0xc
	s_load_dwordx2 s[10:11], s[2:3], 0x0
	s_add_u32 s4, s4, 12
	s_addc_u32 s5, s5, 0
	s_waitcnt lgkmcnt(0)
	v_mul_hi_u32 v4, s9, v1
	s_add_u32 s2, s2, 8
	s_addc_u32 s3, s3, 0
	s_add_i32 s6, s6, -1
	v_add_u32_e32 v4, v1, v4
	v_lshrrev_b32_e32 v4, s7, v4
	v_mul_lo_u32 v5, v4, s8
	s_cmp_lg_u32 s6, 0
	v_sub_u32_e32 v5, v1, v5
	v_mad_u64_u32 v[0:1], s[8:9], v5, s10, v[0:1]
	v_mad_u64_u32 v[2:3], s[8:9], v5, s11, v[2:3]
	v_mov_b32_e32 v1, v4
	s_cbranch_scc1 .LBB45_26
.LBB45_27:
	s_cbranch_execnz .LBB45_30
.LBB45_28:
	s_load_dwordx4 s[4:7], s[34:35], 0x4
	s_load_dwordx2 s[2:3], s[34:35], 0xc4
	s_cmp_lt_u32 s33, 2
	s_waitcnt lgkmcnt(0)
	v_mul_hi_u32 v0, s5, v19
	v_add_u32_e32 v0, v19, v0
	v_lshrrev_b32_e32 v1, s6, v0
	v_mul_lo_u32 v0, v1, s4
	v_sub_u32_e32 v2, v19, v0
	v_mul_lo_u32 v0, v2, s2
	v_mul_lo_u32 v2, v2, s3
	s_cbranch_scc1 .LBB45_30
; %bb.29:
	s_load_dwordx4 s[4:7], s[34:35], 0x10
	s_load_dwordx2 s[2:3], s[34:35], 0xcc
	s_waitcnt lgkmcnt(0)
	v_mul_hi_u32 v3, s5, v1
	v_add_u32_e32 v3, v1, v3
	v_lshrrev_b32_e32 v3, s6, v3
	v_mul_lo_u32 v3, v3, s4
	v_sub_u32_e32 v3, v1, v3
	v_mad_u64_u32 v[0:1], s[4:5], v3, s2, v[0:1]
	v_mad_u64_u32 v[2:3], s[2:3], v3, s3, v[2:3]
.LBB45_30:
	s_and_b64 vcc, exec, s[0:1]
	v_add_u32_e32 v1, 0x80, v19
	s_cbranch_vccnz .LBB45_36
; %bb.31:
	s_cmp_lg_u32 s33, 0
	s_mov_b32 s26, 0
	s_cbranch_scc0 .LBB45_37
; %bb.32:
	s_min_u32 s27, s58, 15
	s_add_i32 s27, s27, 1
	s_cmp_eq_u32 s58, 2
	s_cbranch_scc1 .LBB45_38
; %bb.33:
	s_and_b32 s26, s27, 28
	s_add_u32 s2, s34, 0xc4
	s_addc_u32 s3, s35, 0
	v_mov_b32_e32 v5, 0
	s_mov_b32 s28, 0
	s_mov_b64 s[24:25], s[34:35]
	v_mov_b32_e32 v3, 0
	v_mov_b32_e32 v4, v1
.LBB45_34:                              ; =>This Inner Loop Header: Depth=1
	s_load_dwordx8 s[12:19], s[24:25], 0x4
	s_load_dwordx4 s[20:23], s[24:25], 0x24
	s_load_dwordx8 s[4:11], s[2:3], 0x0
	s_add_u32 s24, s24, 48
	s_addc_u32 s25, s25, 0
	s_waitcnt lgkmcnt(0)
	v_mul_hi_u32 v6, s13, v4
	s_add_i32 s28, s28, 4
	s_add_u32 s2, s2, 32
	s_addc_u32 s3, s3, 0
	v_add_u32_e32 v6, v4, v6
	v_lshrrev_b32_e32 v6, s14, v6
	v_mul_lo_u32 v7, v6, s12
	v_mul_hi_u32 v8, s16, v6
	s_cmp_lg_u32 s26, s28
	v_sub_u32_e32 v4, v4, v7
	v_add_u32_e32 v7, v6, v8
	v_mul_lo_u32 v8, v4, s4
	v_mul_lo_u32 v9, v4, s5
	v_lshrrev_b32_e32 v4, s17, v7
	v_mul_lo_u32 v7, v4, s15
	v_mul_hi_u32 v10, s19, v4
	v_sub_u32_e32 v6, v6, v7
	v_add_u32_e32 v7, v4, v10
	v_lshrrev_b32_e32 v7, s20, v7
	v_mul_hi_u32 v11, s22, v7
	v_mul_lo_u32 v12, v7, s18
	v_mul_lo_u32 v10, v6, s6
	;; [unrolled: 1-line block ×3, first 2 shown]
	v_sub_u32_e32 v12, v4, v12
	v_add_u32_e32 v4, v7, v11
	v_lshrrev_b32_e32 v4, s23, v4
	v_mul_lo_u32 v11, v4, s21
	v_mul_lo_u32 v13, v12, s8
	;; [unrolled: 1-line block ×3, first 2 shown]
	v_add3_u32 v3, v8, v3, v10
	v_sub_u32_e32 v7, v7, v11
	v_mul_lo_u32 v11, v7, s10
	v_mul_lo_u32 v7, v7, s11
	v_add3_u32 v5, v9, v5, v6
	v_add3_u32 v3, v13, v3, v11
	v_add3_u32 v5, v12, v5, v7
	s_cbranch_scc1 .LBB45_34
; %bb.35:
	s_and_b32 s6, s27, 3
	s_cmp_eq_u32 s6, 0
	s_cbranch_scc0 .LBB45_39
	s_branch .LBB45_41
.LBB45_36:
                                        ; implicit-def: $vgpr3
                                        ; implicit-def: $vgpr5
	s_branch .LBB45_42
.LBB45_37:
	v_mov_b32_e32 v3, 0
	v_mov_b32_e32 v5, 0
	s_branch .LBB45_41
.LBB45_38:
	v_mov_b32_e32 v3, 0
	v_mov_b32_e32 v5, 0
	;; [unrolled: 1-line block ×3, first 2 shown]
	s_and_b32 s6, s27, 3
	s_cmp_eq_u32 s6, 0
	s_cbranch_scc1 .LBB45_41
.LBB45_39:
	s_lshl_b32 s2, s26, 3
	s_add_u32 s2, s34, s2
	s_addc_u32 s3, s35, 0
	s_add_u32 s2, s2, 0xc4
	s_addc_u32 s3, s3, 0
	s_mul_i32 s4, s26, 12
	s_add_u32 s4, s34, s4
	s_addc_u32 s5, s35, 0
.LBB45_40:                              ; =>This Inner Loop Header: Depth=1
	s_load_dwordx2 s[8:9], s[4:5], 0x4
	s_load_dword s7, s[4:5], 0xc
	s_load_dwordx2 s[10:11], s[2:3], 0x0
	s_add_u32 s4, s4, 12
	s_addc_u32 s5, s5, 0
	s_waitcnt lgkmcnt(0)
	v_mul_hi_u32 v7, s9, v4
	s_add_u32 s2, s2, 8
	s_addc_u32 s3, s3, 0
	s_add_i32 s6, s6, -1
	v_add_u32_e32 v7, v4, v7
	v_lshrrev_b32_e32 v7, s7, v7
	v_mul_lo_u32 v8, v7, s8
	s_cmp_lg_u32 s6, 0
	v_sub_u32_e32 v8, v4, v8
	v_mad_u64_u32 v[3:4], s[8:9], v8, s10, v[3:4]
	v_mad_u64_u32 v[5:6], s[8:9], v8, s11, v[5:6]
	v_mov_b32_e32 v4, v7
	s_cbranch_scc1 .LBB45_40
.LBB45_41:
	s_cbranch_execnz .LBB45_44
.LBB45_42:
	s_load_dwordx4 s[4:7], s[34:35], 0x4
	s_load_dwordx2 s[2:3], s[34:35], 0xc4
	s_cmp_lt_u32 s33, 2
	s_waitcnt lgkmcnt(0)
	v_mul_hi_u32 v3, s5, v1
	v_add_u32_e32 v3, v1, v3
	v_lshrrev_b32_e32 v4, s6, v3
	v_mul_lo_u32 v3, v4, s4
	v_sub_u32_e32 v1, v1, v3
	v_mul_lo_u32 v3, v1, s2
	v_mul_lo_u32 v5, v1, s3
	s_cbranch_scc1 .LBB45_44
; %bb.43:
	s_load_dwordx4 s[4:7], s[34:35], 0x10
	s_load_dwordx2 s[2:3], s[34:35], 0xcc
	s_waitcnt lgkmcnt(0)
	v_mul_hi_u32 v1, s5, v4
	v_add_u32_e32 v1, v4, v1
	v_lshrrev_b32_e32 v1, s6, v1
	v_mul_lo_u32 v1, v1, s4
	v_sub_u32_e32 v1, v4, v1
	v_mad_u64_u32 v[3:4], s[4:5], v1, s2, v[3:4]
	v_mad_u64_u32 v[5:6], s[2:3], v1, s3, v[5:6]
.LBB45_44:
	s_and_b64 vcc, exec, s[0:1]
	v_add_u32_e32 v1, 0x100, v19
	s_cbranch_vccnz .LBB45_50
; %bb.45:
	s_cmp_lg_u32 s33, 0
	s_mov_b32 s26, 0
	s_cbranch_scc0 .LBB45_51
; %bb.46:
	s_min_u32 s27, s58, 15
	s_add_i32 s27, s27, 1
	s_cmp_eq_u32 s58, 2
	s_cbranch_scc1 .LBB45_52
; %bb.47:
	s_and_b32 s26, s27, 28
	s_add_u32 s2, s34, 0xc4
	s_addc_u32 s3, s35, 0
	v_mov_b32_e32 v8, 0
	s_mov_b32 s28, 0
	s_mov_b64 s[24:25], s[34:35]
	v_mov_b32_e32 v6, 0
	v_mov_b32_e32 v4, v1
.LBB45_48:                              ; =>This Inner Loop Header: Depth=1
	s_load_dwordx8 s[12:19], s[24:25], 0x4
	s_load_dwordx4 s[20:23], s[24:25], 0x24
	s_load_dwordx8 s[4:11], s[2:3], 0x0
	s_add_u32 s24, s24, 48
	s_addc_u32 s25, s25, 0
	s_waitcnt lgkmcnt(0)
	v_mul_hi_u32 v7, s13, v4
	s_add_i32 s28, s28, 4
	s_add_u32 s2, s2, 32
	s_addc_u32 s3, s3, 0
	v_add_u32_e32 v7, v4, v7
	v_lshrrev_b32_e32 v7, s14, v7
	v_mul_lo_u32 v9, v7, s12
	v_mul_hi_u32 v10, s16, v7
	s_cmp_lg_u32 s26, s28
	v_sub_u32_e32 v4, v4, v9
	v_add_u32_e32 v9, v7, v10
	v_mul_lo_u32 v10, v4, s4
	v_mul_lo_u32 v11, v4, s5
	v_lshrrev_b32_e32 v4, s17, v9
	v_mul_lo_u32 v9, v4, s15
	v_mul_hi_u32 v12, s19, v4
	v_sub_u32_e32 v7, v7, v9
	v_add_u32_e32 v9, v4, v12
	v_lshrrev_b32_e32 v9, s20, v9
	v_mul_hi_u32 v13, s22, v9
	v_mul_lo_u32 v14, v9, s18
	v_mul_lo_u32 v12, v7, s6
	;; [unrolled: 1-line block ×3, first 2 shown]
	v_sub_u32_e32 v14, v4, v14
	v_add_u32_e32 v4, v9, v13
	v_lshrrev_b32_e32 v4, s23, v4
	v_mul_lo_u32 v13, v4, s21
	v_mul_lo_u32 v15, v14, s8
	;; [unrolled: 1-line block ×3, first 2 shown]
	v_add3_u32 v6, v10, v6, v12
	v_sub_u32_e32 v9, v9, v13
	v_mul_lo_u32 v13, v9, s10
	v_mul_lo_u32 v9, v9, s11
	v_add3_u32 v7, v11, v8, v7
	v_add3_u32 v6, v15, v6, v13
	;; [unrolled: 1-line block ×3, first 2 shown]
	s_cbranch_scc1 .LBB45_48
; %bb.49:
	s_and_b32 s6, s27, 3
	s_cmp_eq_u32 s6, 0
	s_cbranch_scc0 .LBB45_53
	s_branch .LBB45_55
.LBB45_50:
                                        ; implicit-def: $vgpr6
                                        ; implicit-def: $vgpr8
	s_branch .LBB45_56
.LBB45_51:
	v_mov_b32_e32 v6, 0
	v_mov_b32_e32 v8, 0
	s_branch .LBB45_55
.LBB45_52:
	v_mov_b32_e32 v6, 0
	v_mov_b32_e32 v8, 0
	;; [unrolled: 1-line block ×3, first 2 shown]
	s_and_b32 s6, s27, 3
	s_cmp_eq_u32 s6, 0
	s_cbranch_scc1 .LBB45_55
.LBB45_53:
	s_lshl_b32 s2, s26, 3
	s_add_u32 s2, s34, s2
	s_addc_u32 s3, s35, 0
	s_add_u32 s2, s2, 0xc4
	s_addc_u32 s3, s3, 0
	s_mul_i32 s4, s26, 12
	s_add_u32 s4, s34, s4
	s_addc_u32 s5, s35, 0
.LBB45_54:                              ; =>This Inner Loop Header: Depth=1
	s_load_dwordx2 s[8:9], s[4:5], 0x4
	s_load_dword s7, s[4:5], 0xc
	s_load_dwordx2 s[10:11], s[2:3], 0x0
	s_add_u32 s4, s4, 12
	s_addc_u32 s5, s5, 0
	s_waitcnt lgkmcnt(0)
	v_mul_hi_u32 v7, s9, v4
	s_add_u32 s2, s2, 8
	s_addc_u32 s3, s3, 0
	s_add_i32 s6, s6, -1
	v_add_u32_e32 v7, v4, v7
	v_lshrrev_b32_e32 v10, s7, v7
	v_mul_lo_u32 v7, v10, s8
	s_cmp_lg_u32 s6, 0
	v_sub_u32_e32 v4, v4, v7
	v_mad_u64_u32 v[6:7], s[8:9], v4, s10, v[6:7]
	v_mad_u64_u32 v[8:9], s[8:9], v4, s11, v[8:9]
	v_mov_b32_e32 v4, v10
	s_cbranch_scc1 .LBB45_54
.LBB45_55:
	s_cbranch_execnz .LBB45_58
.LBB45_56:
	s_load_dwordx4 s[4:7], s[34:35], 0x4
	s_load_dwordx2 s[2:3], s[34:35], 0xc4
	s_cmp_lt_u32 s33, 2
	s_waitcnt lgkmcnt(0)
	v_mul_hi_u32 v4, s5, v1
	v_add_u32_e32 v4, v1, v4
	v_lshrrev_b32_e32 v4, s6, v4
	v_mul_lo_u32 v6, v4, s4
	v_sub_u32_e32 v1, v1, v6
	v_mul_lo_u32 v6, v1, s2
	v_mul_lo_u32 v8, v1, s3
	s_cbranch_scc1 .LBB45_58
; %bb.57:
	s_load_dwordx4 s[4:7], s[34:35], 0x10
	s_load_dwordx2 s[2:3], s[34:35], 0xcc
	s_waitcnt lgkmcnt(0)
	v_mul_hi_u32 v1, s5, v4
	v_add_u32_e32 v1, v4, v1
	v_lshrrev_b32_e32 v1, s6, v1
	v_mul_lo_u32 v1, v1, s4
	v_sub_u32_e32 v1, v4, v1
	v_mad_u64_u32 v[6:7], s[4:5], v1, s2, v[6:7]
	v_mad_u64_u32 v[8:9], s[2:3], v1, s3, v[8:9]
.LBB45_58:
	s_and_b64 vcc, exec, s[0:1]
	v_add_u32_e32 v1, 0x180, v19
	s_cbranch_vccnz .LBB45_64
; %bb.59:
	s_cmp_lg_u32 s33, 0
	s_mov_b32 s26, 0
	s_cbranch_scc0 .LBB45_65
; %bb.60:
	s_min_u32 s27, s58, 15
	s_add_i32 s27, s27, 1
	s_cmp_eq_u32 s58, 2
	s_cbranch_scc1 .LBB45_66
; %bb.61:
	s_and_b32 s26, s27, 28
	s_add_u32 s2, s34, 0xc4
	s_addc_u32 s3, s35, 0
	v_mov_b32_e32 v11, 0
	s_mov_b32 s28, 0
	s_mov_b64 s[24:25], s[34:35]
	v_mov_b32_e32 v9, 0
	v_mov_b32_e32 v4, v1
.LBB45_62:                              ; =>This Inner Loop Header: Depth=1
	s_load_dwordx8 s[12:19], s[24:25], 0x4
	s_load_dwordx4 s[20:23], s[24:25], 0x24
	s_load_dwordx8 s[4:11], s[2:3], 0x0
	s_add_u32 s24, s24, 48
	s_addc_u32 s25, s25, 0
	s_waitcnt lgkmcnt(0)
	v_mul_hi_u32 v7, s13, v4
	s_add_i32 s28, s28, 4
	s_add_u32 s2, s2, 32
	s_addc_u32 s3, s3, 0
	v_add_u32_e32 v7, v4, v7
	v_lshrrev_b32_e32 v7, s14, v7
	v_mul_lo_u32 v10, v7, s12
	v_mul_hi_u32 v12, s16, v7
	s_cmp_lg_u32 s26, s28
	v_sub_u32_e32 v4, v4, v10
	v_add_u32_e32 v10, v7, v12
	v_mul_lo_u32 v12, v4, s4
	v_mul_lo_u32 v13, v4, s5
	v_lshrrev_b32_e32 v4, s17, v10
	v_mul_lo_u32 v10, v4, s15
	v_mul_hi_u32 v14, s19, v4
	v_sub_u32_e32 v7, v7, v10
	v_add_u32_e32 v10, v4, v14
	v_lshrrev_b32_e32 v10, s20, v10
	v_mul_hi_u32 v15, s22, v10
	v_mul_lo_u32 v16, v10, s18
	v_mul_lo_u32 v14, v7, s6
	;; [unrolled: 1-line block ×3, first 2 shown]
	v_sub_u32_e32 v16, v4, v16
	v_add_u32_e32 v4, v10, v15
	v_lshrrev_b32_e32 v4, s23, v4
	v_mul_lo_u32 v15, v4, s21
	v_mul_lo_u32 v17, v16, s8
	;; [unrolled: 1-line block ×3, first 2 shown]
	v_add3_u32 v9, v12, v9, v14
	v_sub_u32_e32 v10, v10, v15
	v_mul_lo_u32 v15, v10, s10
	v_mul_lo_u32 v10, v10, s11
	v_add3_u32 v7, v13, v11, v7
	v_add3_u32 v9, v17, v9, v15
	;; [unrolled: 1-line block ×3, first 2 shown]
	s_cbranch_scc1 .LBB45_62
; %bb.63:
	s_and_b32 s6, s27, 3
	s_cmp_eq_u32 s6, 0
	s_cbranch_scc0 .LBB45_67
	s_branch .LBB45_69
.LBB45_64:
                                        ; implicit-def: $vgpr9
                                        ; implicit-def: $vgpr11
	s_branch .LBB45_70
.LBB45_65:
	v_mov_b32_e32 v9, 0
	v_mov_b32_e32 v11, 0
	s_branch .LBB45_69
.LBB45_66:
	v_mov_b32_e32 v9, 0
	v_mov_b32_e32 v11, 0
	;; [unrolled: 1-line block ×3, first 2 shown]
	s_and_b32 s6, s27, 3
	s_cmp_eq_u32 s6, 0
	s_cbranch_scc1 .LBB45_69
.LBB45_67:
	s_lshl_b32 s2, s26, 3
	s_add_u32 s2, s34, s2
	s_addc_u32 s3, s35, 0
	s_add_u32 s2, s2, 0xc4
	s_addc_u32 s3, s3, 0
	s_mul_i32 s4, s26, 12
	s_add_u32 s4, s34, s4
	s_addc_u32 s5, s35, 0
.LBB45_68:                              ; =>This Inner Loop Header: Depth=1
	s_load_dwordx2 s[8:9], s[4:5], 0x4
	s_load_dword s7, s[4:5], 0xc
	s_load_dwordx2 s[10:11], s[2:3], 0x0
	s_add_u32 s4, s4, 12
	s_addc_u32 s5, s5, 0
	s_waitcnt lgkmcnt(0)
	v_mul_hi_u32 v7, s9, v4
	s_add_u32 s2, s2, 8
	s_addc_u32 s3, s3, 0
	s_add_i32 s6, s6, -1
	v_add_u32_e32 v7, v4, v7
	v_lshrrev_b32_e32 v7, s7, v7
	v_mul_lo_u32 v10, v7, s8
	s_cmp_lg_u32 s6, 0
	v_sub_u32_e32 v4, v4, v10
	v_mad_u64_u32 v[9:10], s[8:9], v4, s10, v[9:10]
	v_mad_u64_u32 v[11:12], s[8:9], v4, s11, v[11:12]
	v_mov_b32_e32 v4, v7
	s_cbranch_scc1 .LBB45_68
.LBB45_69:
	s_cbranch_execnz .LBB45_72
.LBB45_70:
	s_load_dwordx4 s[4:7], s[34:35], 0x4
	s_load_dwordx2 s[2:3], s[34:35], 0xc4
	s_cmp_lt_u32 s33, 2
	s_waitcnt lgkmcnt(0)
	v_mul_hi_u32 v4, s5, v1
	v_add_u32_e32 v4, v1, v4
	v_lshrrev_b32_e32 v4, s6, v4
	v_mul_lo_u32 v7, v4, s4
	v_sub_u32_e32 v1, v1, v7
	v_mul_lo_u32 v9, v1, s2
	v_mul_lo_u32 v11, v1, s3
	s_cbranch_scc1 .LBB45_72
; %bb.71:
	s_load_dwordx4 s[4:7], s[34:35], 0x10
	s_load_dwordx2 s[2:3], s[34:35], 0xcc
	s_waitcnt lgkmcnt(0)
	v_mul_hi_u32 v1, s5, v4
	v_add_u32_e32 v1, v4, v1
	v_lshrrev_b32_e32 v1, s6, v1
	v_mul_lo_u32 v1, v1, s4
	v_sub_u32_e32 v1, v4, v1
	v_mad_u64_u32 v[9:10], s[4:5], v1, s2, v[9:10]
	v_mad_u64_u32 v[11:12], s[2:3], v1, s3, v[11:12]
.LBB45_72:
	s_and_b64 vcc, exec, s[0:1]
	v_add_u32_e32 v1, 0x200, v19
	s_cbranch_vccnz .LBB45_78
; %bb.73:
	s_cmp_lg_u32 s33, 0
	s_mov_b32 s26, 0
	s_cbranch_scc0 .LBB45_79
; %bb.74:
	s_min_u32 s27, s58, 15
	s_add_i32 s27, s27, 1
	s_cmp_eq_u32 s58, 2
	s_cbranch_scc1 .LBB45_80
; %bb.75:
	s_and_b32 s26, s27, 28
	s_add_u32 s2, s34, 0xc4
	s_addc_u32 s3, s35, 0
	v_mov_b32_e32 v14, 0
	s_mov_b32 s28, 0
	s_mov_b64 s[24:25], s[34:35]
	v_mov_b32_e32 v12, 0
	v_mov_b32_e32 v4, v1
.LBB45_76:                              ; =>This Inner Loop Header: Depth=1
	s_load_dwordx8 s[12:19], s[24:25], 0x4
	s_load_dwordx4 s[20:23], s[24:25], 0x24
	s_load_dwordx8 s[4:11], s[2:3], 0x0
	s_add_u32 s24, s24, 48
	s_addc_u32 s25, s25, 0
	s_waitcnt lgkmcnt(0)
	v_mul_hi_u32 v7, s13, v4
	s_add_i32 s28, s28, 4
	s_add_u32 s2, s2, 32
	s_addc_u32 s3, s3, 0
	v_add_u32_e32 v7, v4, v7
	v_lshrrev_b32_e32 v7, s14, v7
	v_mul_lo_u32 v10, v7, s12
	v_mul_hi_u32 v13, s16, v7
	s_cmp_lg_u32 s26, s28
	v_sub_u32_e32 v4, v4, v10
	v_add_u32_e32 v10, v7, v13
	v_mul_lo_u32 v13, v4, s4
	v_mul_lo_u32 v15, v4, s5
	v_lshrrev_b32_e32 v4, s17, v10
	v_mul_lo_u32 v10, v4, s15
	v_mul_hi_u32 v16, s19, v4
	v_sub_u32_e32 v7, v7, v10
	v_add_u32_e32 v10, v4, v16
	v_lshrrev_b32_e32 v10, s20, v10
	v_mul_hi_u32 v17, s22, v10
	v_mul_lo_u32 v18, v10, s18
	v_mul_lo_u32 v16, v7, s6
	;; [unrolled: 1-line block ×3, first 2 shown]
	v_sub_u32_e32 v18, v4, v18
	v_add_u32_e32 v4, v10, v17
	v_lshrrev_b32_e32 v4, s23, v4
	v_mul_lo_u32 v17, v4, s21
	v_mul_lo_u32 v20, v18, s8
	;; [unrolled: 1-line block ×3, first 2 shown]
	v_add3_u32 v12, v13, v12, v16
	v_sub_u32_e32 v10, v10, v17
	v_mul_lo_u32 v17, v10, s10
	v_mul_lo_u32 v10, v10, s11
	v_add3_u32 v7, v15, v14, v7
	v_add3_u32 v12, v20, v12, v17
	;; [unrolled: 1-line block ×3, first 2 shown]
	s_cbranch_scc1 .LBB45_76
; %bb.77:
	s_and_b32 s6, s27, 3
	s_cmp_eq_u32 s6, 0
	s_cbranch_scc0 .LBB45_81
	s_branch .LBB45_83
.LBB45_78:
                                        ; implicit-def: $vgpr12
                                        ; implicit-def: $vgpr14
	s_branch .LBB45_84
.LBB45_79:
	v_mov_b32_e32 v12, 0
	v_mov_b32_e32 v14, 0
	s_branch .LBB45_83
.LBB45_80:
	v_mov_b32_e32 v12, 0
	v_mov_b32_e32 v14, 0
	;; [unrolled: 1-line block ×3, first 2 shown]
	s_and_b32 s6, s27, 3
	s_cmp_eq_u32 s6, 0
	s_cbranch_scc1 .LBB45_83
.LBB45_81:
	s_lshl_b32 s2, s26, 3
	s_add_u32 s2, s34, s2
	s_addc_u32 s3, s35, 0
	s_add_u32 s2, s2, 0xc4
	s_addc_u32 s3, s3, 0
	s_mul_i32 s4, s26, 12
	s_add_u32 s4, s34, s4
	s_addc_u32 s5, s35, 0
.LBB45_82:                              ; =>This Inner Loop Header: Depth=1
	s_load_dwordx2 s[8:9], s[4:5], 0x4
	s_load_dword s7, s[4:5], 0xc
	s_load_dwordx2 s[10:11], s[2:3], 0x0
	s_add_u32 s4, s4, 12
	s_addc_u32 s5, s5, 0
	s_waitcnt lgkmcnt(0)
	v_mul_hi_u32 v7, s9, v4
	s_add_u32 s2, s2, 8
	s_addc_u32 s3, s3, 0
	s_add_i32 s6, s6, -1
	v_add_u32_e32 v7, v4, v7
	v_lshrrev_b32_e32 v7, s7, v7
	v_mul_lo_u32 v10, v7, s8
	s_cmp_lg_u32 s6, 0
	v_sub_u32_e32 v4, v4, v10
	v_mad_u64_u32 v[12:13], s[8:9], v4, s10, v[12:13]
	v_mad_u64_u32 v[14:15], s[8:9], v4, s11, v[14:15]
	v_mov_b32_e32 v4, v7
	s_cbranch_scc1 .LBB45_82
.LBB45_83:
	s_cbranch_execnz .LBB45_86
.LBB45_84:
	s_load_dwordx4 s[4:7], s[34:35], 0x4
	s_load_dwordx2 s[2:3], s[34:35], 0xc4
	s_cmp_lt_u32 s33, 2
	s_waitcnt lgkmcnt(0)
	v_mul_hi_u32 v4, s5, v1
	v_add_u32_e32 v4, v1, v4
	v_lshrrev_b32_e32 v4, s6, v4
	v_mul_lo_u32 v7, v4, s4
	v_sub_u32_e32 v1, v1, v7
	v_mul_lo_u32 v12, v1, s2
	v_mul_lo_u32 v14, v1, s3
	s_cbranch_scc1 .LBB45_86
; %bb.85:
	s_load_dwordx4 s[4:7], s[34:35], 0x10
	s_load_dwordx2 s[2:3], s[34:35], 0xcc
	s_waitcnt lgkmcnt(0)
	v_mul_hi_u32 v1, s5, v4
	v_add_u32_e32 v1, v4, v1
	v_lshrrev_b32_e32 v1, s6, v1
	v_mul_lo_u32 v1, v1, s4
	v_sub_u32_e32 v1, v4, v1
	v_mad_u64_u32 v[12:13], s[4:5], v1, s2, v[12:13]
	v_mad_u64_u32 v[14:15], s[2:3], v1, s3, v[14:15]
.LBB45_86:
	s_and_b64 vcc, exec, s[0:1]
	v_add_u32_e32 v1, 0x280, v19
	s_cbranch_vccnz .LBB45_92
; %bb.87:
	s_cmp_lg_u32 s33, 0
	s_mov_b32 s26, 0
	s_cbranch_scc0 .LBB45_93
; %bb.88:
	s_min_u32 s27, s58, 15
	s_add_i32 s27, s27, 1
	s_cmp_eq_u32 s58, 2
	s_cbranch_scc1 .LBB45_94
; %bb.89:
	s_and_b32 s26, s27, 28
	s_add_u32 s2, s34, 0xc4
	s_addc_u32 s3, s35, 0
	v_mov_b32_e32 v17, 0
	s_mov_b32 s28, 0
	s_mov_b64 s[24:25], s[34:35]
	v_mov_b32_e32 v15, 0
	v_mov_b32_e32 v4, v1
.LBB45_90:                              ; =>This Inner Loop Header: Depth=1
	s_load_dwordx8 s[12:19], s[24:25], 0x4
	s_load_dwordx4 s[20:23], s[24:25], 0x24
	s_load_dwordx8 s[4:11], s[2:3], 0x0
	s_add_u32 s24, s24, 48
	s_addc_u32 s25, s25, 0
	s_waitcnt lgkmcnt(0)
	v_mul_hi_u32 v7, s13, v4
	s_add_i32 s28, s28, 4
	s_add_u32 s2, s2, 32
	s_addc_u32 s3, s3, 0
	v_add_u32_e32 v7, v4, v7
	v_lshrrev_b32_e32 v7, s14, v7
	v_mul_lo_u32 v10, v7, s12
	v_mul_hi_u32 v13, s16, v7
	s_cmp_lg_u32 s26, s28
	v_sub_u32_e32 v4, v4, v10
	v_add_u32_e32 v10, v7, v13
	v_mul_lo_u32 v13, v4, s4
	v_mul_lo_u32 v16, v4, s5
	v_lshrrev_b32_e32 v4, s17, v10
	v_mul_lo_u32 v10, v4, s15
	v_mul_hi_u32 v18, s19, v4
	v_sub_u32_e32 v7, v7, v10
	v_add_u32_e32 v10, v4, v18
	v_lshrrev_b32_e32 v10, s20, v10
	v_mul_hi_u32 v20, s22, v10
	v_mul_lo_u32 v21, v10, s18
	v_mul_lo_u32 v18, v7, s6
	;; [unrolled: 1-line block ×3, first 2 shown]
	v_sub_u32_e32 v21, v4, v21
	v_add_u32_e32 v4, v10, v20
	v_lshrrev_b32_e32 v4, s23, v4
	v_mul_lo_u32 v20, v4, s21
	v_mul_lo_u32 v22, v21, s8
	;; [unrolled: 1-line block ×3, first 2 shown]
	v_add3_u32 v13, v13, v15, v18
	v_sub_u32_e32 v10, v10, v20
	v_mul_lo_u32 v20, v10, s10
	v_mul_lo_u32 v10, v10, s11
	v_add3_u32 v7, v16, v17, v7
	v_add3_u32 v15, v22, v13, v20
	;; [unrolled: 1-line block ×3, first 2 shown]
	s_cbranch_scc1 .LBB45_90
; %bb.91:
	s_and_b32 s6, s27, 3
	s_cmp_eq_u32 s6, 0
	s_cbranch_scc0 .LBB45_95
	s_branch .LBB45_97
.LBB45_92:
                                        ; implicit-def: $vgpr15
                                        ; implicit-def: $vgpr17
	s_branch .LBB45_98
.LBB45_93:
	v_mov_b32_e32 v15, 0
	v_mov_b32_e32 v17, 0
	s_branch .LBB45_97
.LBB45_94:
	v_mov_b32_e32 v15, 0
	v_mov_b32_e32 v17, 0
	;; [unrolled: 1-line block ×3, first 2 shown]
	s_and_b32 s6, s27, 3
	s_cmp_eq_u32 s6, 0
	s_cbranch_scc1 .LBB45_97
.LBB45_95:
	s_lshl_b32 s2, s26, 3
	s_add_u32 s2, s34, s2
	s_addc_u32 s3, s35, 0
	s_add_u32 s2, s2, 0xc4
	s_addc_u32 s3, s3, 0
	s_mul_i32 s4, s26, 12
	s_add_u32 s4, s34, s4
	s_addc_u32 s5, s35, 0
.LBB45_96:                              ; =>This Inner Loop Header: Depth=1
	s_load_dwordx2 s[8:9], s[4:5], 0x4
	s_load_dword s7, s[4:5], 0xc
	s_load_dwordx2 s[10:11], s[2:3], 0x0
	s_add_u32 s4, s4, 12
	s_addc_u32 s5, s5, 0
	s_waitcnt lgkmcnt(0)
	v_mul_hi_u32 v7, s9, v4
	s_add_u32 s2, s2, 8
	s_addc_u32 s3, s3, 0
	s_add_i32 s6, s6, -1
	v_add_u32_e32 v7, v4, v7
	v_lshrrev_b32_e32 v7, s7, v7
	v_mul_lo_u32 v10, v7, s8
	s_cmp_lg_u32 s6, 0
	v_sub_u32_e32 v4, v4, v10
	v_mad_u64_u32 v[15:16], s[8:9], v4, s10, v[15:16]
	v_mad_u64_u32 v[17:18], s[8:9], v4, s11, v[17:18]
	v_mov_b32_e32 v4, v7
	s_cbranch_scc1 .LBB45_96
.LBB45_97:
	s_cbranch_execnz .LBB45_100
.LBB45_98:
	s_load_dwordx4 s[4:7], s[34:35], 0x4
	s_load_dwordx2 s[2:3], s[34:35], 0xc4
	s_cmp_lt_u32 s33, 2
	s_waitcnt lgkmcnt(0)
	v_mul_hi_u32 v4, s5, v1
	v_add_u32_e32 v4, v1, v4
	v_lshrrev_b32_e32 v4, s6, v4
	v_mul_lo_u32 v7, v4, s4
	v_sub_u32_e32 v1, v1, v7
	v_mul_lo_u32 v15, v1, s2
	v_mul_lo_u32 v17, v1, s3
	s_cbranch_scc1 .LBB45_100
; %bb.99:
	s_load_dwordx4 s[4:7], s[34:35], 0x10
	s_load_dwordx2 s[2:3], s[34:35], 0xcc
	s_waitcnt lgkmcnt(0)
	v_mul_hi_u32 v1, s5, v4
	v_add_u32_e32 v1, v4, v1
	v_lshrrev_b32_e32 v1, s6, v1
	v_mul_lo_u32 v1, v1, s4
	v_sub_u32_e32 v1, v4, v1
	v_mad_u64_u32 v[15:16], s[4:5], v1, s2, v[15:16]
	v_mad_u64_u32 v[17:18], s[2:3], v1, s3, v[17:18]
.LBB45_100:
	s_and_b64 vcc, exec, s[0:1]
	v_add_u32_e32 v1, 0x300, v19
	s_cbranch_vccnz .LBB45_106
; %bb.101:
	s_cmp_lg_u32 s33, 0
	s_mov_b32 s26, 0
	s_cbranch_scc0 .LBB45_107
; %bb.102:
	s_min_u32 s27, s58, 15
	s_add_i32 s27, s27, 1
	s_cmp_eq_u32 s58, 2
	s_cbranch_scc1 .LBB45_108
; %bb.103:
	s_and_b32 s26, s27, 28
	s_add_u32 s2, s34, 0xc4
	s_addc_u32 s3, s35, 0
	v_mov_b32_e32 v20, 0
	s_mov_b32 s28, 0
	s_mov_b64 s[24:25], s[34:35]
	v_mov_b32_e32 v18, 0
	v_mov_b32_e32 v4, v1
.LBB45_104:                             ; =>This Inner Loop Header: Depth=1
	s_load_dwordx8 s[12:19], s[24:25], 0x4
	s_load_dwordx4 s[20:23], s[24:25], 0x24
	s_load_dwordx8 s[4:11], s[2:3], 0x0
	s_add_u32 s24, s24, 48
	s_addc_u32 s25, s25, 0
	s_waitcnt lgkmcnt(0)
	v_mul_hi_u32 v7, s13, v4
	s_add_i32 s28, s28, 4
	s_add_u32 s2, s2, 32
	s_addc_u32 s3, s3, 0
	v_add_u32_e32 v7, v4, v7
	v_lshrrev_b32_e32 v7, s14, v7
	v_mul_lo_u32 v10, v7, s12
	v_mul_hi_u32 v13, s16, v7
	s_cmp_lg_u32 s26, s28
	v_sub_u32_e32 v4, v4, v10
	v_add_u32_e32 v10, v7, v13
	v_mul_lo_u32 v13, v4, s4
	v_mul_lo_u32 v16, v4, s5
	v_lshrrev_b32_e32 v4, s17, v10
	v_mul_lo_u32 v10, v4, s15
	v_mul_hi_u32 v19, s19, v4
	v_sub_u32_e32 v7, v7, v10
	v_add_u32_e32 v10, v4, v19
	v_lshrrev_b32_e32 v10, s20, v10
	v_mul_hi_u32 v21, s22, v10
	v_mul_lo_u32 v22, v10, s18
	v_mul_lo_u32 v19, v7, s6
	;; [unrolled: 1-line block ×3, first 2 shown]
	v_sub_u32_e32 v22, v4, v22
	v_add_u32_e32 v4, v10, v21
	v_lshrrev_b32_e32 v4, s23, v4
	v_mul_lo_u32 v21, v4, s21
	v_mul_lo_u32 v23, v22, s8
	;; [unrolled: 1-line block ×3, first 2 shown]
	v_add3_u32 v13, v13, v18, v19
	v_sub_u32_e32 v10, v10, v21
	v_mul_lo_u32 v21, v10, s10
	v_mul_lo_u32 v10, v10, s11
	v_add3_u32 v7, v16, v20, v7
	v_add3_u32 v18, v23, v13, v21
	;; [unrolled: 1-line block ×3, first 2 shown]
	s_cbranch_scc1 .LBB45_104
; %bb.105:
	s_and_b32 s6, s27, 3
	s_cmp_eq_u32 s6, 0
	s_cbranch_scc0 .LBB45_109
	s_branch .LBB45_111
.LBB45_106:
                                        ; implicit-def: $vgpr18
                                        ; implicit-def: $vgpr20
	s_branch .LBB45_112
.LBB45_107:
	v_mov_b32_e32 v18, 0
	v_mov_b32_e32 v20, 0
	s_branch .LBB45_111
.LBB45_108:
	v_mov_b32_e32 v18, 0
	v_mov_b32_e32 v20, 0
	;; [unrolled: 1-line block ×3, first 2 shown]
	s_and_b32 s6, s27, 3
	s_cmp_eq_u32 s6, 0
	s_cbranch_scc1 .LBB45_111
.LBB45_109:
	s_lshl_b32 s2, s26, 3
	s_add_u32 s2, s34, s2
	s_addc_u32 s3, s35, 0
	s_add_u32 s2, s2, 0xc4
	s_addc_u32 s3, s3, 0
	s_mul_i32 s4, s26, 12
	s_add_u32 s4, s34, s4
	s_addc_u32 s5, s35, 0
.LBB45_110:                             ; =>This Inner Loop Header: Depth=1
	s_load_dwordx2 s[8:9], s[4:5], 0x4
	s_load_dword s7, s[4:5], 0xc
	s_load_dwordx2 s[10:11], s[2:3], 0x0
	s_add_u32 s4, s4, 12
	s_addc_u32 s5, s5, 0
	s_waitcnt lgkmcnt(0)
	v_mul_hi_u32 v7, s9, v4
	s_add_u32 s2, s2, 8
	s_addc_u32 s3, s3, 0
	s_add_i32 s6, s6, -1
	v_add_u32_e32 v7, v4, v7
	v_lshrrev_b32_e32 v7, s7, v7
	v_mul_lo_u32 v10, v7, s8
	s_cmp_lg_u32 s6, 0
	v_sub_u32_e32 v4, v4, v10
	v_mad_u64_u32 v[18:19], s[8:9], v4, s10, v[18:19]
	v_mad_u64_u32 v[20:21], s[8:9], v4, s11, v[20:21]
	v_mov_b32_e32 v4, v7
	s_cbranch_scc1 .LBB45_110
.LBB45_111:
	s_cbranch_execnz .LBB45_114
.LBB45_112:
	s_load_dwordx4 s[4:7], s[34:35], 0x4
	s_load_dwordx2 s[2:3], s[34:35], 0xc4
	s_cmp_lt_u32 s33, 2
	s_waitcnt lgkmcnt(0)
	v_mul_hi_u32 v4, s5, v1
	v_add_u32_e32 v4, v1, v4
	v_lshrrev_b32_e32 v4, s6, v4
	v_mul_lo_u32 v7, v4, s4
	v_sub_u32_e32 v1, v1, v7
	v_mul_lo_u32 v18, v1, s2
	v_mul_lo_u32 v20, v1, s3
	s_cbranch_scc1 .LBB45_114
; %bb.113:
	s_load_dwordx4 s[4:7], s[34:35], 0x10
	s_load_dwordx2 s[2:3], s[34:35], 0xcc
	s_waitcnt lgkmcnt(0)
	v_mul_hi_u32 v1, s5, v4
	v_add_u32_e32 v1, v4, v1
	v_lshrrev_b32_e32 v1, s6, v1
	v_mul_lo_u32 v1, v1, s4
	v_sub_u32_e32 v1, v4, v1
	v_mad_u64_u32 v[18:19], s[4:5], v1, s2, v[18:19]
	v_mad_u64_u32 v[20:21], s[2:3], v1, s3, v[20:21]
.LBB45_114:
	s_and_b64 vcc, exec, s[0:1]
	s_cbranch_vccnz .LBB45_120
; %bb.115:
	s_cmp_lg_u32 s33, 0
	s_mov_b32 s24, 0
	s_cbranch_scc0 .LBB45_121
; %bb.116:
	s_min_u32 s25, s58, 15
	s_add_i32 s25, s25, 1
	s_cmp_eq_u32 s58, 2
	s_cbranch_scc1 .LBB45_122
; %bb.117:
	s_and_b32 s24, s25, 28
	s_add_u32 s20, s34, 0xc4
	s_addc_u32 s21, s35, 0
	v_mov_b32_e32 v23, 0
	s_mov_b32 s26, 0
	s_mov_b64 s[22:23], s[34:35]
	v_mov_b32_e32 v21, 0
	v_mov_b32_e32 v1, v25
.LBB45_118:                             ; =>This Inner Loop Header: Depth=1
	s_load_dwordx8 s[8:15], s[22:23], 0x4
	s_load_dwordx4 s[16:19], s[22:23], 0x24
	s_load_dwordx8 s[0:7], s[20:21], 0x0
	s_add_u32 s22, s22, 48
	s_addc_u32 s23, s23, 0
	s_waitcnt lgkmcnt(0)
	v_mul_hi_u32 v4, s9, v1
	s_add_i32 s26, s26, 4
	s_add_u32 s20, s20, 32
	s_addc_u32 s21, s21, 0
	v_add_u32_e32 v4, v1, v4
	v_lshrrev_b32_e32 v4, s10, v4
	v_mul_lo_u32 v7, v4, s8
	v_mul_hi_u32 v10, s12, v4
	s_cmp_lg_u32 s24, s26
	v_sub_u32_e32 v1, v1, v7
	v_add_u32_e32 v7, v4, v10
	v_mul_lo_u32 v10, v1, s0
	v_mul_lo_u32 v13, v1, s1
	v_lshrrev_b32_e32 v1, s13, v7
	v_mul_lo_u32 v7, v1, s11
	v_mul_hi_u32 v16, s15, v1
	v_sub_u32_e32 v4, v4, v7
	v_add_u32_e32 v7, v1, v16
	v_lshrrev_b32_e32 v7, s16, v7
	v_mul_hi_u32 v19, s18, v7
	v_mul_lo_u32 v22, v7, s14
	v_mul_lo_u32 v16, v4, s2
	v_mul_lo_u32 v4, v4, s3
	v_sub_u32_e32 v22, v1, v22
	v_add_u32_e32 v1, v7, v19
	v_lshrrev_b32_e32 v1, s19, v1
	v_mul_lo_u32 v19, v1, s17
	v_mul_lo_u32 v24, v22, s4
	v_mul_lo_u32 v22, v22, s5
	v_add3_u32 v10, v10, v21, v16
	v_sub_u32_e32 v7, v7, v19
	v_mul_lo_u32 v19, v7, s6
	v_mul_lo_u32 v7, v7, s7
	v_add3_u32 v4, v13, v23, v4
	v_add3_u32 v21, v24, v10, v19
	;; [unrolled: 1-line block ×3, first 2 shown]
	s_cbranch_scc1 .LBB45_118
; %bb.119:
	s_and_b32 s4, s25, 3
	s_cmp_eq_u32 s4, 0
	s_cbranch_scc0 .LBB45_123
	s_branch .LBB45_125
.LBB45_120:
                                        ; implicit-def: $vgpr21
                                        ; implicit-def: $vgpr23
	s_branch .LBB45_126
.LBB45_121:
	v_mov_b32_e32 v21, 0
	v_mov_b32_e32 v23, 0
	s_branch .LBB45_125
.LBB45_122:
	v_mov_b32_e32 v21, 0
	v_mov_b32_e32 v23, 0
	;; [unrolled: 1-line block ×3, first 2 shown]
	s_and_b32 s4, s25, 3
	s_cmp_eq_u32 s4, 0
	s_cbranch_scc1 .LBB45_125
.LBB45_123:
	s_lshl_b32 s0, s24, 3
	s_add_u32 s0, s34, s0
	s_addc_u32 s1, s35, 0
	s_add_u32 s0, s0, 0xc4
	s_addc_u32 s1, s1, 0
	s_mul_i32 s2, s24, 12
	s_add_u32 s2, s34, s2
	s_addc_u32 s3, s35, 0
.LBB45_124:                             ; =>This Inner Loop Header: Depth=1
	s_load_dwordx2 s[6:7], s[2:3], 0x4
	s_load_dword s5, s[2:3], 0xc
	s_load_dwordx2 s[8:9], s[0:1], 0x0
	s_add_u32 s2, s2, 12
	s_addc_u32 s3, s3, 0
	s_waitcnt lgkmcnt(0)
	v_mul_hi_u32 v4, s7, v1
	s_add_u32 s0, s0, 8
	s_addc_u32 s1, s1, 0
	s_add_i32 s4, s4, -1
	v_add_u32_e32 v4, v1, v4
	v_lshrrev_b32_e32 v4, s5, v4
	v_mul_lo_u32 v7, v4, s6
	s_cmp_lg_u32 s4, 0
	v_sub_u32_e32 v1, v1, v7
	v_mad_u64_u32 v[21:22], s[6:7], v1, s8, v[21:22]
	v_mad_u64_u32 v[23:24], s[6:7], v1, s9, v[23:24]
	v_mov_b32_e32 v1, v4
	s_cbranch_scc1 .LBB45_124
.LBB45_125:
	s_cbranch_execnz .LBB45_128
.LBB45_126:
	s_load_dwordx4 s[0:3], s[34:35], 0x4
	s_load_dwordx2 s[4:5], s[34:35], 0xc4
	s_cmp_lt_u32 s33, 2
	s_waitcnt lgkmcnt(0)
	v_mul_hi_u32 v1, s1, v25
	v_add_u32_e32 v1, v25, v1
	v_lshrrev_b32_e32 v1, s2, v1
	v_mul_lo_u32 v4, v1, s0
	v_sub_u32_e32 v4, v25, v4
	v_mul_lo_u32 v21, v4, s4
	v_mul_lo_u32 v23, v4, s5
	s_cbranch_scc1 .LBB45_128
; %bb.127:
	s_load_dwordx4 s[0:3], s[34:35], 0x10
	s_load_dwordx2 s[4:5], s[34:35], 0xcc
	s_waitcnt lgkmcnt(0)
	v_mul_hi_u32 v4, s1, v1
	v_add_u32_e32 v4, v1, v4
	v_lshrrev_b32_e32 v4, s2, v4
	v_mul_lo_u32 v4, v4, s0
	v_sub_u32_e32 v1, v1, v4
	v_mad_u64_u32 v[21:22], s[0:1], v1, s4, v[21:22]
	v_mad_u64_u32 v[23:24], s[0:1], v1, s5, v[23:24]
.LBB45_128:
	s_load_dwordx4 s[16:19], s[34:35], 0x148
	s_load_dwordx2 s[12:13], s[34:35], 0x158
	s_waitcnt lgkmcnt(0)
	global_load_dword v1, v2, s[18:19]
	global_load_dword v4, v5, s[18:19]
	;; [unrolled: 1-line block ×8, first 2 shown]
	s_cmp_eq_u32 s12, 0
	s_cselect_b64 s[14:15], -1, 0
	s_waitcnt vmcnt(7)
	v_cmp_ne_u32_e32 vcc, s13, v1
	s_waitcnt vmcnt(6)
	v_cmp_ne_u32_e64 s[0:1], s13, v4
	s_waitcnt vmcnt(5)
	v_cmp_ne_u32_e64 s[2:3], s13, v7
	s_xor_b64 s[0:1], s[14:15], s[0:1]
	s_waitcnt vmcnt(4)
	v_cmp_ne_u32_e64 s[4:5], s13, v10
	v_cndmask_b32_e64 v2, 0, 1, s[0:1]
	s_xor_b64 s[0:1], s[14:15], s[2:3]
	s_waitcnt vmcnt(3)
	v_cmp_ne_u32_e64 s[6:7], s13, v13
	v_cndmask_b32_e64 v4, 0, 1, s[0:1]
	;; [unrolled: 4-line block ×4, first 2 shown]
	s_xor_b64 s[0:1], s[14:15], s[8:9]
	s_waitcnt vmcnt(0)
	v_cmp_ne_u32_e64 s[12:13], s13, v22
	s_xor_b64 s[18:19], s[14:15], vcc
	v_cndmask_b32_e64 v8, 0, 1, s[0:1]
	s_xor_b64 s[0:1], s[14:15], s[10:11]
	v_cndmask_b32_e64 v1, 0, 1, s[18:19]
	v_cndmask_b32_e64 v10, 0, 1, s[0:1]
	s_xor_b64 s[0:1], s[14:15], s[12:13]
	v_cndmask_b32_e64 v11, 0, 1, s[0:1]
	global_store_byte v0, v1, s[16:17]
	global_store_byte v3, v2, s[16:17]
	;; [unrolled: 1-line block ×8, first 2 shown]
	s_endpgm
.LBB45_129:
	v_mov_b32_e32 v0, 0
	v_mov_b32_e32 v2, 0
	s_branch .LBB45_135
.LBB45_130:
	v_mov_b32_e32 v0, 0
	v_mov_b32_e32 v2, 0
	s_branch .LBB45_151
.LBB45_131:
	s_mov_b32 s40, 0
	v_mov_b32_e32 v0, 0
	v_mov_b32_e32 v2, 0
	;; [unrolled: 1-line block ×3, first 2 shown]
.LBB45_132:
	s_and_b32 s4, s61, 3
	s_cmp_eq_u32 s4, 0
	s_cbranch_scc1 .LBB45_135
; %bb.133:
	s_lshl_b32 s0, s40, 3
	s_add_u32 s0, s34, s0
	s_addc_u32 s1, s35, 0
	s_add_u32 s0, s0, 0xc4
	s_addc_u32 s1, s1, 0
	s_mul_i32 s2, s40, 12
	s_add_u32 s2, s34, s2
	s_addc_u32 s3, s35, 0
.LBB45_134:                             ; =>This Inner Loop Header: Depth=1
	s_load_dwordx2 s[6:7], s[2:3], 0x4
	s_load_dword s5, s[2:3], 0xc
	s_load_dwordx2 s[8:9], s[0:1], 0x0
	s_add_u32 s2, s2, 12
	s_addc_u32 s3, s3, 0
	s_waitcnt lgkmcnt(0)
	v_mul_hi_u32 v3, s7, v1
	s_add_u32 s0, s0, 8
	s_addc_u32 s1, s1, 0
	s_add_i32 s4, s4, -1
	v_add_u32_e32 v3, v1, v3
	v_lshrrev_b32_e32 v4, s5, v3
	v_mul_lo_u32 v3, v4, s6
	s_cmp_lg_u32 s4, 0
	v_sub_u32_e32 v3, v1, v3
	v_mad_u64_u32 v[0:1], s[6:7], v3, s8, v[0:1]
	v_mad_u64_u32 v[2:3], s[6:7], v3, s9, v[2:3]
	v_mov_b32_e32 v1, v4
	s_cbranch_scc1 .LBB45_134
.LBB45_135:
	s_cbranch_execnz .LBB45_138
.LBB45_136:
	v_mul_hi_u32 v0, s21, v19
	s_andn2_b64 vcc, exec, s[46:47]
	v_add_u32_e32 v0, v19, v0
	v_lshrrev_b32_e32 v1, s22, v0
	v_mul_lo_u32 v0, v1, s20
	v_sub_u32_e32 v2, v19, v0
	v_mul_lo_u32 v0, v2, s24
	v_mul_lo_u32 v2, v2, s25
	s_cbranch_vccnz .LBB45_138
; %bb.137:
	v_mul_hi_u32 v3, s44, v1
	v_add_u32_e32 v3, v1, v3
	v_lshrrev_b32_e32 v3, s45, v3
	v_mul_lo_u32 v3, v3, s23
	v_sub_u32_e32 v3, v1, v3
	v_mad_u64_u32 v[0:1], s[0:1], v3, s26, v[0:1]
	v_mad_u64_u32 v[2:3], s[0:1], v3, s27, v[2:3]
.LBB45_138:
	global_load_dword v1, v2, s[18:19]
	v_add_u32_e32 v19, 0x80, v19
	s_waitcnt vmcnt(0)
	v_cmp_ne_u32_e32 vcc, s41, v1
	s_xor_b64 s[0:1], s[42:43], vcc
	v_cndmask_b32_e64 v1, 0, 1, s[0:1]
	global_store_byte v0, v1, s[16:17]
	s_or_b64 exec, exec, s[52:53]
	v_cmp_gt_i32_e32 vcc, s59, v19
	s_and_saveexec_b64 s[52:53], vcc
	s_cbranch_execnz .LBB45_15
.LBB45_139:
	s_or_b64 exec, exec, s[52:53]
	v_cmp_gt_i32_e32 vcc, s59, v19
	s_and_saveexec_b64 s[52:53], vcc
	s_cbranch_execz .LBB45_155
.LBB45_140:
	s_andn2_b64 vcc, exec, s[36:37]
	s_cbranch_vccnz .LBB45_145
; %bb.141:
	s_andn2_b64 vcc, exec, s[50:51]
	s_cbranch_vccnz .LBB45_146
; %bb.142:
	s_add_i32 s61, s60, 1
	s_cmp_eq_u32 s58, 2
	s_cbranch_scc1 .LBB45_163
; %bb.143:
	s_and_b32 s40, s61, 28
	v_mov_b32_e32 v2, 0
	s_mov_b32 s62, 0
	s_mov_b64 s[54:55], s[34:35]
	s_mov_b64 s[56:57], s[48:49]
	v_mov_b32_e32 v0, 0
	v_mov_b32_e32 v1, v19
.LBB45_144:                             ; =>This Inner Loop Header: Depth=1
	s_load_dwordx8 s[8:15], s[54:55], 0x4
	s_load_dwordx4 s[28:31], s[54:55], 0x24
	s_load_dwordx8 s[0:7], s[56:57], 0x0
	s_add_u32 s54, s54, 48
	s_addc_u32 s55, s55, 0
	s_waitcnt lgkmcnt(0)
	v_mul_hi_u32 v3, s9, v1
	s_add_i32 s62, s62, 4
	s_add_u32 s56, s56, 32
	s_addc_u32 s57, s57, 0
	v_add_u32_e32 v3, v1, v3
	v_lshrrev_b32_e32 v3, s10, v3
	v_mul_lo_u32 v4, v3, s8
	v_mul_hi_u32 v5, s12, v3
	s_cmp_eq_u32 s40, s62
	v_sub_u32_e32 v1, v1, v4
	v_add_u32_e32 v4, v3, v5
	v_mul_lo_u32 v5, v1, s0
	v_mul_lo_u32 v6, v1, s1
	v_lshrrev_b32_e32 v1, s13, v4
	v_mul_lo_u32 v4, v1, s11
	v_mul_hi_u32 v7, s15, v1
	v_sub_u32_e32 v3, v3, v4
	v_add_u32_e32 v4, v1, v7
	v_lshrrev_b32_e32 v4, s28, v4
	v_mul_hi_u32 v8, s30, v4
	v_mul_lo_u32 v9, v4, s14
	v_mul_lo_u32 v7, v3, s2
	;; [unrolled: 1-line block ×3, first 2 shown]
	v_sub_u32_e32 v9, v1, v9
	v_add_u32_e32 v1, v4, v8
	v_lshrrev_b32_e32 v1, s31, v1
	v_mul_lo_u32 v8, v1, s29
	v_mul_lo_u32 v10, v9, s4
	;; [unrolled: 1-line block ×3, first 2 shown]
	v_add3_u32 v0, v5, v0, v7
	v_sub_u32_e32 v4, v4, v8
	v_mul_lo_u32 v8, v4, s6
	v_mul_lo_u32 v4, v4, s7
	v_add3_u32 v2, v6, v2, v3
	v_add3_u32 v0, v10, v0, v8
	v_add3_u32 v2, v9, v2, v4
	s_cbranch_scc0 .LBB45_144
	s_branch .LBB45_164
.LBB45_145:
                                        ; implicit-def: $vgpr0
                                        ; implicit-def: $vgpr2
	s_branch .LBB45_168
.LBB45_146:
	v_mov_b32_e32 v0, 0
	v_mov_b32_e32 v2, 0
	s_branch .LBB45_167
.LBB45_147:
	s_mov_b32 s40, 0
	v_mov_b32_e32 v0, 0
	v_mov_b32_e32 v2, 0
	;; [unrolled: 1-line block ×3, first 2 shown]
.LBB45_148:
	s_and_b32 s4, s61, 3
	s_cmp_eq_u32 s4, 0
	s_cbranch_scc1 .LBB45_151
; %bb.149:
	s_lshl_b32 s0, s40, 3
	s_add_u32 s0, s34, s0
	s_addc_u32 s1, s35, 0
	s_add_u32 s0, s0, 0xc4
	s_addc_u32 s1, s1, 0
	s_mul_i32 s2, s40, 12
	s_add_u32 s2, s34, s2
	s_addc_u32 s3, s35, 0
.LBB45_150:                             ; =>This Inner Loop Header: Depth=1
	s_load_dwordx2 s[6:7], s[2:3], 0x4
	s_load_dword s5, s[2:3], 0xc
	s_load_dwordx2 s[8:9], s[0:1], 0x0
	s_add_u32 s2, s2, 12
	s_addc_u32 s3, s3, 0
	s_waitcnt lgkmcnt(0)
	v_mul_hi_u32 v3, s7, v1
	s_add_u32 s0, s0, 8
	s_addc_u32 s1, s1, 0
	s_add_i32 s4, s4, -1
	v_add_u32_e32 v3, v1, v3
	v_lshrrev_b32_e32 v4, s5, v3
	v_mul_lo_u32 v3, v4, s6
	s_cmp_lg_u32 s4, 0
	v_sub_u32_e32 v3, v1, v3
	v_mad_u64_u32 v[0:1], s[6:7], v3, s8, v[0:1]
	v_mad_u64_u32 v[2:3], s[6:7], v3, s9, v[2:3]
	v_mov_b32_e32 v1, v4
	s_cbranch_scc1 .LBB45_150
.LBB45_151:
	s_cbranch_execnz .LBB45_154
.LBB45_152:
	v_mul_hi_u32 v0, s21, v19
	s_andn2_b64 vcc, exec, s[46:47]
	v_add_u32_e32 v0, v19, v0
	v_lshrrev_b32_e32 v1, s22, v0
	v_mul_lo_u32 v0, v1, s20
	v_sub_u32_e32 v2, v19, v0
	v_mul_lo_u32 v0, v2, s24
	v_mul_lo_u32 v2, v2, s25
	s_cbranch_vccnz .LBB45_154
; %bb.153:
	v_mul_hi_u32 v3, s44, v1
	v_add_u32_e32 v3, v1, v3
	v_lshrrev_b32_e32 v3, s45, v3
	v_mul_lo_u32 v3, v3, s23
	v_sub_u32_e32 v3, v1, v3
	v_mad_u64_u32 v[0:1], s[0:1], v3, s26, v[0:1]
	v_mad_u64_u32 v[2:3], s[0:1], v3, s27, v[2:3]
.LBB45_154:
	global_load_dword v1, v2, s[18:19]
	v_add_u32_e32 v19, 0x80, v19
	s_waitcnt vmcnt(0)
	v_cmp_ne_u32_e32 vcc, s41, v1
	s_xor_b64 s[0:1], s[42:43], vcc
	v_cndmask_b32_e64 v1, 0, 1, s[0:1]
	global_store_byte v0, v1, s[16:17]
	s_or_b64 exec, exec, s[52:53]
	v_cmp_gt_i32_e32 vcc, s59, v19
	s_and_saveexec_b64 s[52:53], vcc
	s_cbranch_execnz .LBB45_140
.LBB45_155:
	s_or_b64 exec, exec, s[52:53]
	v_cmp_gt_i32_e32 vcc, s59, v19
	s_and_saveexec_b64 s[52:53], vcc
	s_cbranch_execz .LBB45_171
.LBB45_156:
	s_andn2_b64 vcc, exec, s[36:37]
	s_cbranch_vccnz .LBB45_161
; %bb.157:
	s_andn2_b64 vcc, exec, s[50:51]
	s_cbranch_vccnz .LBB45_162
; %bb.158:
	s_add_i32 s61, s60, 1
	s_cmp_eq_u32 s58, 2
	s_cbranch_scc1 .LBB45_179
; %bb.159:
	s_and_b32 s40, s61, 28
	v_mov_b32_e32 v2, 0
	s_mov_b32 s62, 0
	s_mov_b64 s[54:55], s[34:35]
	s_mov_b64 s[56:57], s[48:49]
	v_mov_b32_e32 v0, 0
	v_mov_b32_e32 v1, v19
.LBB45_160:                             ; =>This Inner Loop Header: Depth=1
	s_load_dwordx8 s[8:15], s[54:55], 0x4
	s_load_dwordx4 s[28:31], s[54:55], 0x24
	s_load_dwordx8 s[0:7], s[56:57], 0x0
	s_add_u32 s54, s54, 48
	s_addc_u32 s55, s55, 0
	s_waitcnt lgkmcnt(0)
	v_mul_hi_u32 v3, s9, v1
	s_add_i32 s62, s62, 4
	s_add_u32 s56, s56, 32
	s_addc_u32 s57, s57, 0
	v_add_u32_e32 v3, v1, v3
	v_lshrrev_b32_e32 v3, s10, v3
	v_mul_lo_u32 v4, v3, s8
	v_mul_hi_u32 v5, s12, v3
	s_cmp_eq_u32 s40, s62
	v_sub_u32_e32 v1, v1, v4
	v_add_u32_e32 v4, v3, v5
	v_mul_lo_u32 v5, v1, s0
	v_mul_lo_u32 v6, v1, s1
	v_lshrrev_b32_e32 v1, s13, v4
	v_mul_lo_u32 v4, v1, s11
	v_mul_hi_u32 v7, s15, v1
	v_sub_u32_e32 v3, v3, v4
	v_add_u32_e32 v4, v1, v7
	v_lshrrev_b32_e32 v4, s28, v4
	v_mul_hi_u32 v8, s30, v4
	v_mul_lo_u32 v9, v4, s14
	v_mul_lo_u32 v7, v3, s2
	;; [unrolled: 1-line block ×3, first 2 shown]
	v_sub_u32_e32 v9, v1, v9
	v_add_u32_e32 v1, v4, v8
	v_lshrrev_b32_e32 v1, s31, v1
	v_mul_lo_u32 v8, v1, s29
	v_mul_lo_u32 v10, v9, s4
	;; [unrolled: 1-line block ×3, first 2 shown]
	v_add3_u32 v0, v5, v0, v7
	v_sub_u32_e32 v4, v4, v8
	v_mul_lo_u32 v8, v4, s6
	v_mul_lo_u32 v4, v4, s7
	v_add3_u32 v2, v6, v2, v3
	v_add3_u32 v0, v10, v0, v8
	;; [unrolled: 1-line block ×3, first 2 shown]
	s_cbranch_scc0 .LBB45_160
	s_branch .LBB45_180
.LBB45_161:
                                        ; implicit-def: $vgpr0
                                        ; implicit-def: $vgpr2
	s_branch .LBB45_184
.LBB45_162:
	v_mov_b32_e32 v0, 0
	v_mov_b32_e32 v2, 0
	s_branch .LBB45_183
.LBB45_163:
	s_mov_b32 s40, 0
	v_mov_b32_e32 v0, 0
	v_mov_b32_e32 v2, 0
	;; [unrolled: 1-line block ×3, first 2 shown]
.LBB45_164:
	s_and_b32 s4, s61, 3
	s_cmp_eq_u32 s4, 0
	s_cbranch_scc1 .LBB45_167
; %bb.165:
	s_lshl_b32 s0, s40, 3
	s_add_u32 s0, s34, s0
	s_addc_u32 s1, s35, 0
	s_add_u32 s0, s0, 0xc4
	s_addc_u32 s1, s1, 0
	s_mul_i32 s2, s40, 12
	s_add_u32 s2, s34, s2
	s_addc_u32 s3, s35, 0
.LBB45_166:                             ; =>This Inner Loop Header: Depth=1
	s_load_dwordx2 s[6:7], s[2:3], 0x4
	s_load_dword s5, s[2:3], 0xc
	s_load_dwordx2 s[8:9], s[0:1], 0x0
	s_add_u32 s2, s2, 12
	s_addc_u32 s3, s3, 0
	s_waitcnt lgkmcnt(0)
	v_mul_hi_u32 v3, s7, v1
	s_add_u32 s0, s0, 8
	s_addc_u32 s1, s1, 0
	s_add_i32 s4, s4, -1
	v_add_u32_e32 v3, v1, v3
	v_lshrrev_b32_e32 v4, s5, v3
	v_mul_lo_u32 v3, v4, s6
	s_cmp_lg_u32 s4, 0
	v_sub_u32_e32 v3, v1, v3
	v_mad_u64_u32 v[0:1], s[6:7], v3, s8, v[0:1]
	v_mad_u64_u32 v[2:3], s[6:7], v3, s9, v[2:3]
	v_mov_b32_e32 v1, v4
	s_cbranch_scc1 .LBB45_166
.LBB45_167:
	s_cbranch_execnz .LBB45_170
.LBB45_168:
	v_mul_hi_u32 v0, s21, v19
	s_andn2_b64 vcc, exec, s[46:47]
	v_add_u32_e32 v0, v19, v0
	v_lshrrev_b32_e32 v1, s22, v0
	v_mul_lo_u32 v0, v1, s20
	v_sub_u32_e32 v2, v19, v0
	v_mul_lo_u32 v0, v2, s24
	v_mul_lo_u32 v2, v2, s25
	s_cbranch_vccnz .LBB45_170
; %bb.169:
	v_mul_hi_u32 v3, s44, v1
	v_add_u32_e32 v3, v1, v3
	v_lshrrev_b32_e32 v3, s45, v3
	v_mul_lo_u32 v3, v3, s23
	v_sub_u32_e32 v3, v1, v3
	v_mad_u64_u32 v[0:1], s[0:1], v3, s26, v[0:1]
	v_mad_u64_u32 v[2:3], s[0:1], v3, s27, v[2:3]
.LBB45_170:
	global_load_dword v1, v2, s[18:19]
	v_add_u32_e32 v19, 0x80, v19
	s_waitcnt vmcnt(0)
	v_cmp_ne_u32_e32 vcc, s41, v1
	s_xor_b64 s[0:1], s[42:43], vcc
	v_cndmask_b32_e64 v1, 0, 1, s[0:1]
	global_store_byte v0, v1, s[16:17]
	s_or_b64 exec, exec, s[52:53]
	v_cmp_gt_i32_e32 vcc, s59, v19
	s_and_saveexec_b64 s[52:53], vcc
	s_cbranch_execnz .LBB45_156
.LBB45_171:
	s_or_b64 exec, exec, s[52:53]
	v_cmp_gt_i32_e32 vcc, s59, v19
	s_and_saveexec_b64 s[52:53], vcc
	s_cbranch_execz .LBB45_187
.LBB45_172:
	s_andn2_b64 vcc, exec, s[36:37]
	s_cbranch_vccnz .LBB45_177
; %bb.173:
	s_andn2_b64 vcc, exec, s[50:51]
	s_cbranch_vccnz .LBB45_178
; %bb.174:
	s_add_i32 s61, s60, 1
	s_cmp_eq_u32 s58, 2
	s_cbranch_scc1 .LBB45_195
; %bb.175:
	s_and_b32 s40, s61, 28
	v_mov_b32_e32 v2, 0
	s_mov_b32 s62, 0
	s_mov_b64 s[54:55], s[34:35]
	s_mov_b64 s[56:57], s[48:49]
	v_mov_b32_e32 v0, 0
	v_mov_b32_e32 v1, v19
.LBB45_176:                             ; =>This Inner Loop Header: Depth=1
	s_load_dwordx8 s[8:15], s[54:55], 0x4
	s_load_dwordx4 s[28:31], s[54:55], 0x24
	s_load_dwordx8 s[0:7], s[56:57], 0x0
	s_add_u32 s54, s54, 48
	s_addc_u32 s55, s55, 0
	s_waitcnt lgkmcnt(0)
	v_mul_hi_u32 v3, s9, v1
	s_add_i32 s62, s62, 4
	s_add_u32 s56, s56, 32
	s_addc_u32 s57, s57, 0
	v_add_u32_e32 v3, v1, v3
	v_lshrrev_b32_e32 v3, s10, v3
	v_mul_lo_u32 v4, v3, s8
	v_mul_hi_u32 v5, s12, v3
	s_cmp_eq_u32 s40, s62
	v_sub_u32_e32 v1, v1, v4
	v_add_u32_e32 v4, v3, v5
	v_mul_lo_u32 v5, v1, s0
	v_mul_lo_u32 v6, v1, s1
	v_lshrrev_b32_e32 v1, s13, v4
	v_mul_lo_u32 v4, v1, s11
	v_mul_hi_u32 v7, s15, v1
	v_sub_u32_e32 v3, v3, v4
	v_add_u32_e32 v4, v1, v7
	v_lshrrev_b32_e32 v4, s28, v4
	v_mul_hi_u32 v8, s30, v4
	v_mul_lo_u32 v9, v4, s14
	v_mul_lo_u32 v7, v3, s2
	;; [unrolled: 1-line block ×3, first 2 shown]
	v_sub_u32_e32 v9, v1, v9
	v_add_u32_e32 v1, v4, v8
	v_lshrrev_b32_e32 v1, s31, v1
	v_mul_lo_u32 v8, v1, s29
	v_mul_lo_u32 v10, v9, s4
	;; [unrolled: 1-line block ×3, first 2 shown]
	v_add3_u32 v0, v5, v0, v7
	v_sub_u32_e32 v4, v4, v8
	v_mul_lo_u32 v8, v4, s6
	v_mul_lo_u32 v4, v4, s7
	v_add3_u32 v2, v6, v2, v3
	v_add3_u32 v0, v10, v0, v8
	;; [unrolled: 1-line block ×3, first 2 shown]
	s_cbranch_scc0 .LBB45_176
	s_branch .LBB45_196
.LBB45_177:
                                        ; implicit-def: $vgpr0
                                        ; implicit-def: $vgpr2
	s_branch .LBB45_200
.LBB45_178:
	v_mov_b32_e32 v0, 0
	v_mov_b32_e32 v2, 0
	s_branch .LBB45_199
.LBB45_179:
	s_mov_b32 s40, 0
	v_mov_b32_e32 v0, 0
	v_mov_b32_e32 v2, 0
	v_mov_b32_e32 v1, v19
.LBB45_180:
	s_and_b32 s4, s61, 3
	s_cmp_eq_u32 s4, 0
	s_cbranch_scc1 .LBB45_183
; %bb.181:
	s_lshl_b32 s0, s40, 3
	s_add_u32 s0, s34, s0
	s_addc_u32 s1, s35, 0
	s_add_u32 s0, s0, 0xc4
	s_addc_u32 s1, s1, 0
	s_mul_i32 s2, s40, 12
	s_add_u32 s2, s34, s2
	s_addc_u32 s3, s35, 0
.LBB45_182:                             ; =>This Inner Loop Header: Depth=1
	s_load_dwordx2 s[6:7], s[2:3], 0x4
	s_load_dword s5, s[2:3], 0xc
	s_load_dwordx2 s[8:9], s[0:1], 0x0
	s_add_u32 s2, s2, 12
	s_addc_u32 s3, s3, 0
	s_waitcnt lgkmcnt(0)
	v_mul_hi_u32 v3, s7, v1
	s_add_u32 s0, s0, 8
	s_addc_u32 s1, s1, 0
	s_add_i32 s4, s4, -1
	v_add_u32_e32 v3, v1, v3
	v_lshrrev_b32_e32 v4, s5, v3
	v_mul_lo_u32 v3, v4, s6
	s_cmp_lg_u32 s4, 0
	v_sub_u32_e32 v3, v1, v3
	v_mad_u64_u32 v[0:1], s[6:7], v3, s8, v[0:1]
	v_mad_u64_u32 v[2:3], s[6:7], v3, s9, v[2:3]
	v_mov_b32_e32 v1, v4
	s_cbranch_scc1 .LBB45_182
.LBB45_183:
	s_cbranch_execnz .LBB45_186
.LBB45_184:
	v_mul_hi_u32 v0, s21, v19
	s_andn2_b64 vcc, exec, s[46:47]
	v_add_u32_e32 v0, v19, v0
	v_lshrrev_b32_e32 v1, s22, v0
	v_mul_lo_u32 v0, v1, s20
	v_sub_u32_e32 v2, v19, v0
	v_mul_lo_u32 v0, v2, s24
	v_mul_lo_u32 v2, v2, s25
	s_cbranch_vccnz .LBB45_186
; %bb.185:
	v_mul_hi_u32 v3, s44, v1
	v_add_u32_e32 v3, v1, v3
	v_lshrrev_b32_e32 v3, s45, v3
	v_mul_lo_u32 v3, v3, s23
	v_sub_u32_e32 v3, v1, v3
	v_mad_u64_u32 v[0:1], s[0:1], v3, s26, v[0:1]
	v_mad_u64_u32 v[2:3], s[0:1], v3, s27, v[2:3]
.LBB45_186:
	global_load_dword v1, v2, s[18:19]
	v_add_u32_e32 v19, 0x80, v19
	s_waitcnt vmcnt(0)
	v_cmp_ne_u32_e32 vcc, s41, v1
	s_xor_b64 s[0:1], s[42:43], vcc
	v_cndmask_b32_e64 v1, 0, 1, s[0:1]
	global_store_byte v0, v1, s[16:17]
	s_or_b64 exec, exec, s[52:53]
	v_cmp_gt_i32_e32 vcc, s59, v19
	s_and_saveexec_b64 s[52:53], vcc
	s_cbranch_execnz .LBB45_172
.LBB45_187:
	s_or_b64 exec, exec, s[52:53]
	v_cmp_gt_i32_e32 vcc, s59, v19
	s_and_saveexec_b64 s[52:53], vcc
	s_cbranch_execz .LBB45_203
.LBB45_188:
	s_andn2_b64 vcc, exec, s[36:37]
	s_cbranch_vccnz .LBB45_193
; %bb.189:
	s_andn2_b64 vcc, exec, s[50:51]
	s_cbranch_vccnz .LBB45_194
; %bb.190:
	s_add_i32 s61, s60, 1
	s_cmp_eq_u32 s58, 2
	s_cbranch_scc1 .LBB45_211
; %bb.191:
	s_and_b32 s40, s61, 28
	v_mov_b32_e32 v2, 0
	s_mov_b32 s62, 0
	s_mov_b64 s[54:55], s[34:35]
	s_mov_b64 s[56:57], s[48:49]
	v_mov_b32_e32 v0, 0
	v_mov_b32_e32 v1, v19
.LBB45_192:                             ; =>This Inner Loop Header: Depth=1
	s_load_dwordx8 s[8:15], s[54:55], 0x4
	s_load_dwordx4 s[28:31], s[54:55], 0x24
	s_load_dwordx8 s[0:7], s[56:57], 0x0
	s_add_u32 s54, s54, 48
	s_addc_u32 s55, s55, 0
	s_waitcnt lgkmcnt(0)
	v_mul_hi_u32 v3, s9, v1
	s_add_i32 s62, s62, 4
	s_add_u32 s56, s56, 32
	s_addc_u32 s57, s57, 0
	v_add_u32_e32 v3, v1, v3
	v_lshrrev_b32_e32 v3, s10, v3
	v_mul_lo_u32 v4, v3, s8
	v_mul_hi_u32 v5, s12, v3
	s_cmp_eq_u32 s40, s62
	v_sub_u32_e32 v1, v1, v4
	v_add_u32_e32 v4, v3, v5
	v_mul_lo_u32 v5, v1, s0
	v_mul_lo_u32 v6, v1, s1
	v_lshrrev_b32_e32 v1, s13, v4
	v_mul_lo_u32 v4, v1, s11
	v_mul_hi_u32 v7, s15, v1
	v_sub_u32_e32 v3, v3, v4
	v_add_u32_e32 v4, v1, v7
	v_lshrrev_b32_e32 v4, s28, v4
	v_mul_hi_u32 v8, s30, v4
	v_mul_lo_u32 v9, v4, s14
	v_mul_lo_u32 v7, v3, s2
	;; [unrolled: 1-line block ×3, first 2 shown]
	v_sub_u32_e32 v9, v1, v9
	v_add_u32_e32 v1, v4, v8
	v_lshrrev_b32_e32 v1, s31, v1
	v_mul_lo_u32 v8, v1, s29
	v_mul_lo_u32 v10, v9, s4
	;; [unrolled: 1-line block ×3, first 2 shown]
	v_add3_u32 v0, v5, v0, v7
	v_sub_u32_e32 v4, v4, v8
	v_mul_lo_u32 v8, v4, s6
	v_mul_lo_u32 v4, v4, s7
	v_add3_u32 v2, v6, v2, v3
	v_add3_u32 v0, v10, v0, v8
	;; [unrolled: 1-line block ×3, first 2 shown]
	s_cbranch_scc0 .LBB45_192
	s_branch .LBB45_212
.LBB45_193:
                                        ; implicit-def: $vgpr0
                                        ; implicit-def: $vgpr2
	s_branch .LBB45_216
.LBB45_194:
	v_mov_b32_e32 v0, 0
	v_mov_b32_e32 v2, 0
	s_branch .LBB45_215
.LBB45_195:
	s_mov_b32 s40, 0
	v_mov_b32_e32 v0, 0
	v_mov_b32_e32 v2, 0
	;; [unrolled: 1-line block ×3, first 2 shown]
.LBB45_196:
	s_and_b32 s4, s61, 3
	s_cmp_eq_u32 s4, 0
	s_cbranch_scc1 .LBB45_199
; %bb.197:
	s_lshl_b32 s0, s40, 3
	s_add_u32 s0, s34, s0
	s_addc_u32 s1, s35, 0
	s_add_u32 s0, s0, 0xc4
	s_addc_u32 s1, s1, 0
	s_mul_i32 s2, s40, 12
	s_add_u32 s2, s34, s2
	s_addc_u32 s3, s35, 0
.LBB45_198:                             ; =>This Inner Loop Header: Depth=1
	s_load_dwordx2 s[6:7], s[2:3], 0x4
	s_load_dword s5, s[2:3], 0xc
	s_load_dwordx2 s[8:9], s[0:1], 0x0
	s_add_u32 s2, s2, 12
	s_addc_u32 s3, s3, 0
	s_waitcnt lgkmcnt(0)
	v_mul_hi_u32 v3, s7, v1
	s_add_u32 s0, s0, 8
	s_addc_u32 s1, s1, 0
	s_add_i32 s4, s4, -1
	v_add_u32_e32 v3, v1, v3
	v_lshrrev_b32_e32 v4, s5, v3
	v_mul_lo_u32 v3, v4, s6
	s_cmp_lg_u32 s4, 0
	v_sub_u32_e32 v3, v1, v3
	v_mad_u64_u32 v[0:1], s[6:7], v3, s8, v[0:1]
	v_mad_u64_u32 v[2:3], s[6:7], v3, s9, v[2:3]
	v_mov_b32_e32 v1, v4
	s_cbranch_scc1 .LBB45_198
.LBB45_199:
	s_cbranch_execnz .LBB45_202
.LBB45_200:
	v_mul_hi_u32 v0, s21, v19
	s_andn2_b64 vcc, exec, s[46:47]
	v_add_u32_e32 v0, v19, v0
	v_lshrrev_b32_e32 v1, s22, v0
	v_mul_lo_u32 v0, v1, s20
	v_sub_u32_e32 v2, v19, v0
	v_mul_lo_u32 v0, v2, s24
	v_mul_lo_u32 v2, v2, s25
	s_cbranch_vccnz .LBB45_202
; %bb.201:
	v_mul_hi_u32 v3, s44, v1
	v_add_u32_e32 v3, v1, v3
	v_lshrrev_b32_e32 v3, s45, v3
	v_mul_lo_u32 v3, v3, s23
	v_sub_u32_e32 v3, v1, v3
	v_mad_u64_u32 v[0:1], s[0:1], v3, s26, v[0:1]
	v_mad_u64_u32 v[2:3], s[0:1], v3, s27, v[2:3]
.LBB45_202:
	global_load_dword v1, v2, s[18:19]
	v_add_u32_e32 v19, 0x80, v19
	s_waitcnt vmcnt(0)
	v_cmp_ne_u32_e32 vcc, s41, v1
	s_xor_b64 s[0:1], s[42:43], vcc
	v_cndmask_b32_e64 v1, 0, 1, s[0:1]
	global_store_byte v0, v1, s[16:17]
	s_or_b64 exec, exec, s[52:53]
	v_cmp_gt_i32_e32 vcc, s59, v19
	s_and_saveexec_b64 s[52:53], vcc
	s_cbranch_execnz .LBB45_188
.LBB45_203:
	s_or_b64 exec, exec, s[52:53]
	v_cmp_gt_i32_e32 vcc, s59, v19
	s_and_saveexec_b64 s[52:53], vcc
	s_cbranch_execz .LBB45_219
.LBB45_204:
	s_andn2_b64 vcc, exec, s[36:37]
	s_cbranch_vccnz .LBB45_209
; %bb.205:
	s_andn2_b64 vcc, exec, s[50:51]
	s_cbranch_vccnz .LBB45_210
; %bb.206:
	s_add_i32 s61, s60, 1
	s_cmp_eq_u32 s58, 2
	s_cbranch_scc1 .LBB45_222
; %bb.207:
	s_and_b32 s40, s61, 28
	v_mov_b32_e32 v2, 0
	s_mov_b32 s62, 0
	s_mov_b64 s[54:55], s[34:35]
	s_mov_b64 s[56:57], s[48:49]
	v_mov_b32_e32 v0, 0
	v_mov_b32_e32 v1, v19
.LBB45_208:                             ; =>This Inner Loop Header: Depth=1
	s_load_dwordx8 s[8:15], s[54:55], 0x4
	s_load_dwordx4 s[28:31], s[54:55], 0x24
	s_load_dwordx8 s[0:7], s[56:57], 0x0
	s_add_u32 s54, s54, 48
	s_addc_u32 s55, s55, 0
	s_waitcnt lgkmcnt(0)
	v_mul_hi_u32 v3, s9, v1
	s_add_i32 s62, s62, 4
	s_add_u32 s56, s56, 32
	s_addc_u32 s57, s57, 0
	v_add_u32_e32 v3, v1, v3
	v_lshrrev_b32_e32 v3, s10, v3
	v_mul_lo_u32 v4, v3, s8
	v_mul_hi_u32 v5, s12, v3
	s_cmp_eq_u32 s40, s62
	v_sub_u32_e32 v1, v1, v4
	v_add_u32_e32 v4, v3, v5
	v_mul_lo_u32 v5, v1, s0
	v_mul_lo_u32 v6, v1, s1
	v_lshrrev_b32_e32 v1, s13, v4
	v_mul_lo_u32 v4, v1, s11
	v_mul_hi_u32 v7, s15, v1
	v_sub_u32_e32 v3, v3, v4
	v_add_u32_e32 v4, v1, v7
	v_lshrrev_b32_e32 v4, s28, v4
	v_mul_hi_u32 v8, s30, v4
	v_mul_lo_u32 v9, v4, s14
	v_mul_lo_u32 v7, v3, s2
	;; [unrolled: 1-line block ×3, first 2 shown]
	v_sub_u32_e32 v9, v1, v9
	v_add_u32_e32 v1, v4, v8
	v_lshrrev_b32_e32 v1, s31, v1
	v_mul_lo_u32 v8, v1, s29
	v_mul_lo_u32 v10, v9, s4
	v_mul_lo_u32 v9, v9, s5
	v_add3_u32 v0, v5, v0, v7
	v_sub_u32_e32 v4, v4, v8
	v_mul_lo_u32 v8, v4, s6
	v_mul_lo_u32 v4, v4, s7
	v_add3_u32 v2, v6, v2, v3
	v_add3_u32 v0, v10, v0, v8
	;; [unrolled: 1-line block ×3, first 2 shown]
	s_cbranch_scc0 .LBB45_208
	s_branch .LBB45_223
.LBB45_209:
                                        ; implicit-def: $vgpr0
                                        ; implicit-def: $vgpr2
	s_branch .LBB45_227
.LBB45_210:
	v_mov_b32_e32 v0, 0
	v_mov_b32_e32 v2, 0
	s_branch .LBB45_226
.LBB45_211:
	s_mov_b32 s40, 0
	v_mov_b32_e32 v0, 0
	v_mov_b32_e32 v2, 0
	;; [unrolled: 1-line block ×3, first 2 shown]
.LBB45_212:
	s_and_b32 s4, s61, 3
	s_cmp_eq_u32 s4, 0
	s_cbranch_scc1 .LBB45_215
; %bb.213:
	s_lshl_b32 s0, s40, 3
	s_add_u32 s0, s34, s0
	s_addc_u32 s1, s35, 0
	s_add_u32 s0, s0, 0xc4
	s_addc_u32 s1, s1, 0
	s_mul_i32 s2, s40, 12
	s_add_u32 s2, s34, s2
	s_addc_u32 s3, s35, 0
.LBB45_214:                             ; =>This Inner Loop Header: Depth=1
	s_load_dwordx2 s[6:7], s[2:3], 0x4
	s_load_dword s5, s[2:3], 0xc
	s_load_dwordx2 s[8:9], s[0:1], 0x0
	s_add_u32 s2, s2, 12
	s_addc_u32 s3, s3, 0
	s_waitcnt lgkmcnt(0)
	v_mul_hi_u32 v3, s7, v1
	s_add_u32 s0, s0, 8
	s_addc_u32 s1, s1, 0
	s_add_i32 s4, s4, -1
	v_add_u32_e32 v3, v1, v3
	v_lshrrev_b32_e32 v4, s5, v3
	v_mul_lo_u32 v3, v4, s6
	s_cmp_lg_u32 s4, 0
	v_sub_u32_e32 v3, v1, v3
	v_mad_u64_u32 v[0:1], s[6:7], v3, s8, v[0:1]
	v_mad_u64_u32 v[2:3], s[6:7], v3, s9, v[2:3]
	v_mov_b32_e32 v1, v4
	s_cbranch_scc1 .LBB45_214
.LBB45_215:
	s_cbranch_execnz .LBB45_218
.LBB45_216:
	v_mul_hi_u32 v0, s21, v19
	s_andn2_b64 vcc, exec, s[46:47]
	v_add_u32_e32 v0, v19, v0
	v_lshrrev_b32_e32 v1, s22, v0
	v_mul_lo_u32 v0, v1, s20
	v_sub_u32_e32 v2, v19, v0
	v_mul_lo_u32 v0, v2, s24
	v_mul_lo_u32 v2, v2, s25
	s_cbranch_vccnz .LBB45_218
; %bb.217:
	v_mul_hi_u32 v3, s44, v1
	v_add_u32_e32 v3, v1, v3
	v_lshrrev_b32_e32 v3, s45, v3
	v_mul_lo_u32 v3, v3, s23
	v_sub_u32_e32 v3, v1, v3
	v_mad_u64_u32 v[0:1], s[0:1], v3, s26, v[0:1]
	v_mad_u64_u32 v[2:3], s[0:1], v3, s27, v[2:3]
.LBB45_218:
	global_load_dword v1, v2, s[18:19]
	v_add_u32_e32 v19, 0x80, v19
	s_waitcnt vmcnt(0)
	v_cmp_ne_u32_e32 vcc, s41, v1
	s_xor_b64 s[0:1], s[42:43], vcc
	v_cndmask_b32_e64 v1, 0, 1, s[0:1]
	global_store_byte v0, v1, s[16:17]
	s_or_b64 exec, exec, s[52:53]
	v_cmp_gt_i32_e32 vcc, s59, v19
	s_and_saveexec_b64 s[52:53], vcc
	s_cbranch_execnz .LBB45_204
.LBB45_219:
	s_or_b64 exec, exec, s[52:53]
	v_cmp_gt_i32_e32 vcc, s59, v19
	s_and_saveexec_b64 s[52:53], vcc
	s_cbranch_execnz .LBB45_230
.LBB45_220:
	s_or_b64 exec, exec, s[52:53]
                                        ; implicit-def: $vgpr25
                                        ; implicit-def: $vgpr19
	s_andn2_saveexec_b64 s[0:1], s[38:39]
	s_cbranch_execnz .LBB45_8
.LBB45_221:
	s_endpgm
.LBB45_222:
	s_mov_b32 s40, 0
	v_mov_b32_e32 v0, 0
	v_mov_b32_e32 v2, 0
	;; [unrolled: 1-line block ×3, first 2 shown]
.LBB45_223:
	s_and_b32 s4, s61, 3
	s_cmp_eq_u32 s4, 0
	s_cbranch_scc1 .LBB45_226
; %bb.224:
	s_lshl_b32 s0, s40, 3
	s_add_u32 s0, s34, s0
	s_addc_u32 s1, s35, 0
	s_add_u32 s0, s0, 0xc4
	s_addc_u32 s1, s1, 0
	s_mul_i32 s2, s40, 12
	s_add_u32 s2, s34, s2
	s_addc_u32 s3, s35, 0
.LBB45_225:                             ; =>This Inner Loop Header: Depth=1
	s_load_dwordx2 s[6:7], s[2:3], 0x4
	s_load_dword s5, s[2:3], 0xc
	s_load_dwordx2 s[8:9], s[0:1], 0x0
	s_add_u32 s2, s2, 12
	s_addc_u32 s3, s3, 0
	s_waitcnt lgkmcnt(0)
	v_mul_hi_u32 v3, s7, v1
	s_add_u32 s0, s0, 8
	s_addc_u32 s1, s1, 0
	s_add_i32 s4, s4, -1
	v_add_u32_e32 v3, v1, v3
	v_lshrrev_b32_e32 v4, s5, v3
	v_mul_lo_u32 v3, v4, s6
	s_cmp_lg_u32 s4, 0
	v_sub_u32_e32 v3, v1, v3
	v_mad_u64_u32 v[0:1], s[6:7], v3, s8, v[0:1]
	v_mad_u64_u32 v[2:3], s[6:7], v3, s9, v[2:3]
	v_mov_b32_e32 v1, v4
	s_cbranch_scc1 .LBB45_225
.LBB45_226:
	s_cbranch_execnz .LBB45_229
.LBB45_227:
	v_mul_hi_u32 v0, s21, v19
	s_andn2_b64 vcc, exec, s[46:47]
	v_add_u32_e32 v0, v19, v0
	v_lshrrev_b32_e32 v1, s22, v0
	v_mul_lo_u32 v0, v1, s20
	v_sub_u32_e32 v2, v19, v0
	v_mul_lo_u32 v0, v2, s24
	v_mul_lo_u32 v2, v2, s25
	s_cbranch_vccnz .LBB45_229
; %bb.228:
	v_mul_hi_u32 v3, s44, v1
	v_add_u32_e32 v3, v1, v3
	v_lshrrev_b32_e32 v3, s45, v3
	v_mul_lo_u32 v3, v3, s23
	v_sub_u32_e32 v3, v1, v3
	v_mad_u64_u32 v[0:1], s[0:1], v3, s26, v[0:1]
	v_mad_u64_u32 v[2:3], s[0:1], v3, s27, v[2:3]
.LBB45_229:
	global_load_dword v1, v2, s[18:19]
	v_add_u32_e32 v19, 0x80, v19
	s_waitcnt vmcnt(0)
	v_cmp_ne_u32_e32 vcc, s41, v1
	s_xor_b64 s[0:1], s[42:43], vcc
	v_cndmask_b32_e64 v1, 0, 1, s[0:1]
	global_store_byte v0, v1, s[16:17]
	s_or_b64 exec, exec, s[52:53]
	v_cmp_gt_i32_e32 vcc, s59, v19
	s_and_saveexec_b64 s[52:53], vcc
	s_cbranch_execz .LBB45_220
.LBB45_230:
	s_andn2_b64 vcc, exec, s[36:37]
	s_cbranch_vccnz .LBB45_235
; %bb.231:
	s_andn2_b64 vcc, exec, s[50:51]
	s_cbranch_vccnz .LBB45_236
; %bb.232:
	s_add_i32 s60, s60, 1
	s_cmp_eq_u32 s58, 2
	s_cbranch_scc1 .LBB45_237
; %bb.233:
	s_and_b32 s40, s60, 28
	v_mov_b32_e32 v2, 0
	s_mov_b32 s54, 0
	s_mov_b64 s[50:51], s[34:35]
	v_mov_b32_e32 v0, 0
	v_mov_b32_e32 v1, v19
.LBB45_234:                             ; =>This Inner Loop Header: Depth=1
	s_load_dwordx8 s[8:15], s[50:51], 0x4
	s_load_dwordx4 s[28:31], s[50:51], 0x24
	s_load_dwordx8 s[0:7], s[48:49], 0x0
	s_add_u32 s50, s50, 48
	s_addc_u32 s51, s51, 0
	s_waitcnt lgkmcnt(0)
	v_mul_hi_u32 v3, s9, v1
	s_add_i32 s54, s54, 4
	s_add_u32 s48, s48, 32
	s_addc_u32 s49, s49, 0
	v_add_u32_e32 v3, v1, v3
	v_lshrrev_b32_e32 v3, s10, v3
	v_mul_lo_u32 v4, v3, s8
	v_mul_hi_u32 v5, s12, v3
	s_cmp_eq_u32 s40, s54
	v_sub_u32_e32 v1, v1, v4
	v_add_u32_e32 v4, v3, v5
	v_mul_lo_u32 v5, v1, s0
	v_mul_lo_u32 v6, v1, s1
	v_lshrrev_b32_e32 v1, s13, v4
	v_mul_lo_u32 v4, v1, s11
	v_mul_hi_u32 v7, s15, v1
	v_sub_u32_e32 v3, v3, v4
	v_add_u32_e32 v4, v1, v7
	v_lshrrev_b32_e32 v4, s28, v4
	v_mul_hi_u32 v8, s30, v4
	v_mul_lo_u32 v9, v4, s14
	v_mul_lo_u32 v7, v3, s2
	v_mul_lo_u32 v3, v3, s3
	v_sub_u32_e32 v9, v1, v9
	v_add_u32_e32 v1, v4, v8
	v_lshrrev_b32_e32 v1, s31, v1
	v_mul_lo_u32 v8, v1, s29
	v_mul_lo_u32 v10, v9, s4
	;; [unrolled: 1-line block ×3, first 2 shown]
	v_add3_u32 v0, v5, v0, v7
	v_sub_u32_e32 v4, v4, v8
	v_mul_lo_u32 v8, v4, s6
	v_mul_lo_u32 v4, v4, s7
	v_add3_u32 v2, v6, v2, v3
	v_add3_u32 v0, v10, v0, v8
	;; [unrolled: 1-line block ×3, first 2 shown]
	s_cbranch_scc0 .LBB45_234
	s_branch .LBB45_238
.LBB45_235:
                                        ; implicit-def: $vgpr0
                                        ; implicit-def: $vgpr2
	s_branch .LBB45_242
.LBB45_236:
	v_mov_b32_e32 v0, 0
	v_mov_b32_e32 v2, 0
	s_branch .LBB45_241
.LBB45_237:
	s_mov_b32 s40, 0
	v_mov_b32_e32 v0, 0
	v_mov_b32_e32 v2, 0
	;; [unrolled: 1-line block ×3, first 2 shown]
.LBB45_238:
	s_and_b32 s4, s60, 3
	s_cmp_eq_u32 s4, 0
	s_cbranch_scc1 .LBB45_241
; %bb.239:
	s_lshl_b32 s0, s40, 3
	s_add_u32 s0, s34, s0
	s_addc_u32 s1, s35, 0
	s_add_u32 s0, s0, 0xc4
	s_addc_u32 s1, s1, 0
	s_mul_i32 s2, s40, 12
	s_add_u32 s2, s34, s2
	s_addc_u32 s3, s35, 0
.LBB45_240:                             ; =>This Inner Loop Header: Depth=1
	s_load_dwordx2 s[6:7], s[2:3], 0x4
	s_load_dword s5, s[2:3], 0xc
	s_load_dwordx2 s[8:9], s[0:1], 0x0
	s_add_u32 s2, s2, 12
	s_addc_u32 s3, s3, 0
	s_waitcnt lgkmcnt(0)
	v_mul_hi_u32 v3, s7, v1
	s_add_u32 s0, s0, 8
	s_addc_u32 s1, s1, 0
	s_add_i32 s4, s4, -1
	v_add_u32_e32 v3, v1, v3
	v_lshrrev_b32_e32 v4, s5, v3
	v_mul_lo_u32 v3, v4, s6
	s_cmp_lg_u32 s4, 0
	v_sub_u32_e32 v3, v1, v3
	v_mad_u64_u32 v[0:1], s[6:7], v3, s8, v[0:1]
	v_mad_u64_u32 v[2:3], s[6:7], v3, s9, v[2:3]
	v_mov_b32_e32 v1, v4
	s_cbranch_scc1 .LBB45_240
.LBB45_241:
	s_cbranch_execnz .LBB45_244
.LBB45_242:
	v_mul_hi_u32 v0, s21, v19
	s_andn2_b64 vcc, exec, s[46:47]
	v_add_u32_e32 v0, v19, v0
	v_lshrrev_b32_e32 v1, s22, v0
	v_mul_lo_u32 v0, v1, s20
	v_sub_u32_e32 v2, v19, v0
	v_mul_lo_u32 v0, v2, s24
	v_mul_lo_u32 v2, v2, s25
	s_cbranch_vccnz .LBB45_244
; %bb.243:
	v_mul_hi_u32 v3, s44, v1
	v_add_u32_e32 v3, v1, v3
	v_lshrrev_b32_e32 v3, s45, v3
	v_mul_lo_u32 v3, v3, s23
	v_sub_u32_e32 v3, v1, v3
	v_mad_u64_u32 v[0:1], s[0:1], v3, s26, v[0:1]
	v_mad_u64_u32 v[2:3], s[0:1], v3, s27, v[2:3]
.LBB45_244:
	global_load_dword v1, v2, s[18:19]
	s_waitcnt vmcnt(0)
	v_cmp_ne_u32_e32 vcc, s41, v1
	s_xor_b64 s[0:1], s[42:43], vcc
	v_cndmask_b32_e64 v1, 0, 1, s[0:1]
	global_store_byte v0, v1, s[16:17]
	s_or_b64 exec, exec, s[52:53]
                                        ; implicit-def: $vgpr25
                                        ; implicit-def: $vgpr19
	s_andn2_saveexec_b64 s[0:1], s[38:39]
	s_cbranch_execz .LBB45_221
	s_branch .LBB45_8
	.section	.rodata,"a",@progbits
	.p2align	6, 0x0
	.amdhsa_kernel _ZN2at6native32elementwise_kernel_manual_unrollILi128ELi8EZNS0_22gpu_kernel_impl_nocastINS0_13AUnaryFunctorIiibNS0_12_GLOBAL__N_116CompareEqFunctorIiEEEEEEvRNS_18TensorIteratorBaseERKT_EUlibE_EEviT1_
		.amdhsa_group_segment_fixed_size 0
		.amdhsa_private_segment_fixed_size 0
		.amdhsa_kernarg_size 360
		.amdhsa_user_sgpr_count 6
		.amdhsa_user_sgpr_private_segment_buffer 1
		.amdhsa_user_sgpr_dispatch_ptr 0
		.amdhsa_user_sgpr_queue_ptr 0
		.amdhsa_user_sgpr_kernarg_segment_ptr 1
		.amdhsa_user_sgpr_dispatch_id 0
		.amdhsa_user_sgpr_flat_scratch_init 0
		.amdhsa_user_sgpr_private_segment_size 0
		.amdhsa_uses_dynamic_stack 0
		.amdhsa_system_sgpr_private_segment_wavefront_offset 0
		.amdhsa_system_sgpr_workgroup_id_x 1
		.amdhsa_system_sgpr_workgroup_id_y 0
		.amdhsa_system_sgpr_workgroup_id_z 0
		.amdhsa_system_sgpr_workgroup_info 0
		.amdhsa_system_vgpr_workitem_id 0
		.amdhsa_next_free_vgpr 26
		.amdhsa_next_free_sgpr 63
		.amdhsa_reserve_vcc 1
		.amdhsa_reserve_flat_scratch 0
		.amdhsa_float_round_mode_32 0
		.amdhsa_float_round_mode_16_64 0
		.amdhsa_float_denorm_mode_32 3
		.amdhsa_float_denorm_mode_16_64 3
		.amdhsa_dx10_clamp 1
		.amdhsa_ieee_mode 1
		.amdhsa_fp16_overflow 0
		.amdhsa_exception_fp_ieee_invalid_op 0
		.amdhsa_exception_fp_denorm_src 0
		.amdhsa_exception_fp_ieee_div_zero 0
		.amdhsa_exception_fp_ieee_overflow 0
		.amdhsa_exception_fp_ieee_underflow 0
		.amdhsa_exception_fp_ieee_inexact 0
		.amdhsa_exception_int_div_zero 0
	.end_amdhsa_kernel
	.section	.text._ZN2at6native32elementwise_kernel_manual_unrollILi128ELi8EZNS0_22gpu_kernel_impl_nocastINS0_13AUnaryFunctorIiibNS0_12_GLOBAL__N_116CompareEqFunctorIiEEEEEEvRNS_18TensorIteratorBaseERKT_EUlibE_EEviT1_,"axG",@progbits,_ZN2at6native32elementwise_kernel_manual_unrollILi128ELi8EZNS0_22gpu_kernel_impl_nocastINS0_13AUnaryFunctorIiibNS0_12_GLOBAL__N_116CompareEqFunctorIiEEEEEEvRNS_18TensorIteratorBaseERKT_EUlibE_EEviT1_,comdat
.Lfunc_end45:
	.size	_ZN2at6native32elementwise_kernel_manual_unrollILi128ELi8EZNS0_22gpu_kernel_impl_nocastINS0_13AUnaryFunctorIiibNS0_12_GLOBAL__N_116CompareEqFunctorIiEEEEEEvRNS_18TensorIteratorBaseERKT_EUlibE_EEviT1_, .Lfunc_end45-_ZN2at6native32elementwise_kernel_manual_unrollILi128ELi8EZNS0_22gpu_kernel_impl_nocastINS0_13AUnaryFunctorIiibNS0_12_GLOBAL__N_116CompareEqFunctorIiEEEEEEvRNS_18TensorIteratorBaseERKT_EUlibE_EEviT1_
                                        ; -- End function
	.set _ZN2at6native32elementwise_kernel_manual_unrollILi128ELi8EZNS0_22gpu_kernel_impl_nocastINS0_13AUnaryFunctorIiibNS0_12_GLOBAL__N_116CompareEqFunctorIiEEEEEEvRNS_18TensorIteratorBaseERKT_EUlibE_EEviT1_.num_vgpr, 26
	.set _ZN2at6native32elementwise_kernel_manual_unrollILi128ELi8EZNS0_22gpu_kernel_impl_nocastINS0_13AUnaryFunctorIiibNS0_12_GLOBAL__N_116CompareEqFunctorIiEEEEEEvRNS_18TensorIteratorBaseERKT_EUlibE_EEviT1_.num_agpr, 0
	.set _ZN2at6native32elementwise_kernel_manual_unrollILi128ELi8EZNS0_22gpu_kernel_impl_nocastINS0_13AUnaryFunctorIiibNS0_12_GLOBAL__N_116CompareEqFunctorIiEEEEEEvRNS_18TensorIteratorBaseERKT_EUlibE_EEviT1_.numbered_sgpr, 63
	.set _ZN2at6native32elementwise_kernel_manual_unrollILi128ELi8EZNS0_22gpu_kernel_impl_nocastINS0_13AUnaryFunctorIiibNS0_12_GLOBAL__N_116CompareEqFunctorIiEEEEEEvRNS_18TensorIteratorBaseERKT_EUlibE_EEviT1_.num_named_barrier, 0
	.set _ZN2at6native32elementwise_kernel_manual_unrollILi128ELi8EZNS0_22gpu_kernel_impl_nocastINS0_13AUnaryFunctorIiibNS0_12_GLOBAL__N_116CompareEqFunctorIiEEEEEEvRNS_18TensorIteratorBaseERKT_EUlibE_EEviT1_.private_seg_size, 0
	.set _ZN2at6native32elementwise_kernel_manual_unrollILi128ELi8EZNS0_22gpu_kernel_impl_nocastINS0_13AUnaryFunctorIiibNS0_12_GLOBAL__N_116CompareEqFunctorIiEEEEEEvRNS_18TensorIteratorBaseERKT_EUlibE_EEviT1_.uses_vcc, 1
	.set _ZN2at6native32elementwise_kernel_manual_unrollILi128ELi8EZNS0_22gpu_kernel_impl_nocastINS0_13AUnaryFunctorIiibNS0_12_GLOBAL__N_116CompareEqFunctorIiEEEEEEvRNS_18TensorIteratorBaseERKT_EUlibE_EEviT1_.uses_flat_scratch, 0
	.set _ZN2at6native32elementwise_kernel_manual_unrollILi128ELi8EZNS0_22gpu_kernel_impl_nocastINS0_13AUnaryFunctorIiibNS0_12_GLOBAL__N_116CompareEqFunctorIiEEEEEEvRNS_18TensorIteratorBaseERKT_EUlibE_EEviT1_.has_dyn_sized_stack, 0
	.set _ZN2at6native32elementwise_kernel_manual_unrollILi128ELi8EZNS0_22gpu_kernel_impl_nocastINS0_13AUnaryFunctorIiibNS0_12_GLOBAL__N_116CompareEqFunctorIiEEEEEEvRNS_18TensorIteratorBaseERKT_EUlibE_EEviT1_.has_recursion, 0
	.set _ZN2at6native32elementwise_kernel_manual_unrollILi128ELi8EZNS0_22gpu_kernel_impl_nocastINS0_13AUnaryFunctorIiibNS0_12_GLOBAL__N_116CompareEqFunctorIiEEEEEEvRNS_18TensorIteratorBaseERKT_EUlibE_EEviT1_.has_indirect_call, 0
	.section	.AMDGPU.csdata,"",@progbits
; Kernel info:
; codeLenInByte = 11424
; TotalNumSgprs: 67
; NumVgprs: 26
; ScratchSize: 0
; MemoryBound: 0
; FloatMode: 240
; IeeeMode: 1
; LDSByteSize: 0 bytes/workgroup (compile time only)
; SGPRBlocks: 8
; VGPRBlocks: 6
; NumSGPRsForWavesPerEU: 67
; NumVGPRsForWavesPerEU: 26
; Occupancy: 9
; WaveLimiterHint : 1
; COMPUTE_PGM_RSRC2:SCRATCH_EN: 0
; COMPUTE_PGM_RSRC2:USER_SGPR: 6
; COMPUTE_PGM_RSRC2:TRAP_HANDLER: 0
; COMPUTE_PGM_RSRC2:TGID_X_EN: 1
; COMPUTE_PGM_RSRC2:TGID_Y_EN: 0
; COMPUTE_PGM_RSRC2:TGID_Z_EN: 0
; COMPUTE_PGM_RSRC2:TIDIG_COMP_CNT: 0
	.section	.text._ZN2at6native32elementwise_kernel_manual_unrollILi128ELi4EZNS0_15gpu_kernel_implINS0_13AUnaryFunctorIiibNS0_12_GLOBAL__N_116CompareEqFunctorIiEEEEEEvRNS_18TensorIteratorBaseERKT_EUlibE_EEviT1_,"axG",@progbits,_ZN2at6native32elementwise_kernel_manual_unrollILi128ELi4EZNS0_15gpu_kernel_implINS0_13AUnaryFunctorIiibNS0_12_GLOBAL__N_116CompareEqFunctorIiEEEEEEvRNS_18TensorIteratorBaseERKT_EUlibE_EEviT1_,comdat
	.globl	_ZN2at6native32elementwise_kernel_manual_unrollILi128ELi4EZNS0_15gpu_kernel_implINS0_13AUnaryFunctorIiibNS0_12_GLOBAL__N_116CompareEqFunctorIiEEEEEEvRNS_18TensorIteratorBaseERKT_EUlibE_EEviT1_ ; -- Begin function _ZN2at6native32elementwise_kernel_manual_unrollILi128ELi4EZNS0_15gpu_kernel_implINS0_13AUnaryFunctorIiibNS0_12_GLOBAL__N_116CompareEqFunctorIiEEEEEEvRNS_18TensorIteratorBaseERKT_EUlibE_EEviT1_
	.p2align	8
	.type	_ZN2at6native32elementwise_kernel_manual_unrollILi128ELi4EZNS0_15gpu_kernel_implINS0_13AUnaryFunctorIiibNS0_12_GLOBAL__N_116CompareEqFunctorIiEEEEEEvRNS_18TensorIteratorBaseERKT_EUlibE_EEviT1_,@function
_ZN2at6native32elementwise_kernel_manual_unrollILi128ELi4EZNS0_15gpu_kernel_implINS0_13AUnaryFunctorIiibNS0_12_GLOBAL__N_116CompareEqFunctorIiEEEEEEvRNS_18TensorIteratorBaseERKT_EUlibE_EEviT1_: ; @_ZN2at6native32elementwise_kernel_manual_unrollILi128ELi4EZNS0_15gpu_kernel_implINS0_13AUnaryFunctorIiibNS0_12_GLOBAL__N_116CompareEqFunctorIiEEEEEEvRNS_18TensorIteratorBaseERKT_EUlibE_EEviT1_
; %bb.0:
	s_load_dword s33, s[4:5], 0x28
	s_load_dword s42, s[4:5], 0x0
	s_load_dwordx8 s[8:15], s[4:5], 0x8
	v_lshl_or_b32 v2, s6, 9, v0
	v_or_b32_e32 v0, 0x180, v2
	s_waitcnt lgkmcnt(0)
	s_bfe_u32 s46, s33, 0x80008
	v_cmp_le_i32_e32 vcc, s42, v0
	s_mov_b64 s[2:3], 0
	s_mov_b64 s[6:7], 0
	s_and_saveexec_b64 s[0:1], vcc
	s_xor_b64 s[4:5], exec, s[0:1]
	s_cbranch_execz .LBB46_1011
; %bb.1:
	s_cmp_eq_u32 s14, 0
	s_cselect_b64 s[6:7], -1, 0
	v_cmp_gt_i32_e32 vcc, s42, v2
	s_mov_b64 s[22:23], -1
	s_mov_b64 s[24:25], 0
	s_mov_b64 s[18:19], 0
	;; [unrolled: 1-line block ×3, first 2 shown]
	s_and_saveexec_b64 s[20:21], vcc
	s_cbranch_execz .LBB46_248
; %bb.2:
	v_mul_lo_u32 v0, v2, s13
	v_mov_b32_e32 v1, s11
	s_and_b32 s22, 0xffff, s46
	s_cmp_lt_i32 s22, 11
	v_ashrrev_i32_e32 v3, 31, v0
	v_add_co_u32_e32 v0, vcc, s10, v0
	v_addc_co_u32_e32 v1, vcc, v1, v3, vcc
	s_cbranch_scc1 .LBB46_9
; %bb.3:
	s_cmp_gt_i32 s22, 25
	s_cbranch_scc0 .LBB46_18
; %bb.4:
	s_cmp_gt_i32 s22, 28
	s_cbranch_scc0 .LBB46_22
	;; [unrolled: 3-line block ×4, first 2 shown]
; %bb.7:
	s_cmp_eq_u32 s22, 46
	s_cbranch_scc0 .LBB46_28
; %bb.8:
	global_load_dword v3, v[0:1], off
	s_mov_b64 s[0:1], -1
	s_waitcnt vmcnt(0)
	v_lshlrev_b32_e32 v3, 16, v3
	v_cvt_i32_f32_e32 v3, v3
	s_branch .LBB46_30
.LBB46_9:
                                        ; implicit-def: $vgpr3
	s_mov_b64 s[0:1], 0
	s_cbranch_execnz .LBB46_199
.LBB46_10:
	s_andn2_b64 vcc, exec, s[0:1]
	s_cbranch_vccnz .LBB46_246
.LBB46_11:
	v_mul_lo_u32 v0, v2, s12
	s_waitcnt vmcnt(0)
	v_cmp_ne_u32_e32 vcc, s15, v3
	v_mov_b32_e32 v1, s9
	s_xor_b64 s[16:17], s[6:7], vcc
	v_ashrrev_i32_e32 v3, 31, v0
	s_and_b32 s30, s33, 0xff
	v_add_co_u32_e32 v0, vcc, s8, v0
	s_cmp_lt_i32 s30, 11
	v_addc_co_u32_e32 v1, vcc, v1, v3, vcc
	s_cbranch_scc1 .LBB46_19
; %bb.12:
	s_and_b32 s31, 0xffff, s30
	s_cmp_gt_i32 s31, 25
	s_cbranch_scc0 .LBB46_23
; %bb.13:
	s_cmp_gt_i32 s31, 28
	s_cbranch_scc0 .LBB46_25
; %bb.14:
	;; [unrolled: 3-line block ×4, first 2 shown]
	s_mov_b64 s[26:27], 0
	s_mov_b64 s[0:1], -1
	s_cmp_eq_u32 s31, 46
	s_mov_b64 s[22:23], 0
	s_cbranch_scc0 .LBB46_34
; %bb.17:
	v_cndmask_b32_e64 v3, 0, 1.0, s[16:17]
	v_bfe_u32 v4, v3, 16, 1
	s_movk_i32 s0, 0x7fff
	v_add3_u32 v3, v3, v4, s0
	v_lshrrev_b32_e32 v3, 16, v3
	global_store_dword v[0:1], v3, off
	s_mov_b64 s[22:23], -1
	s_mov_b64 s[0:1], 0
	s_branch .LBB46_34
.LBB46_18:
	s_mov_b64 s[0:1], 0
                                        ; implicit-def: $vgpr3
	s_cbranch_execnz .LBB46_166
	s_branch .LBB46_198
.LBB46_19:
	s_mov_b64 s[0:1], 0
	s_mov_b64 s[22:23], 0
	s_cbranch_execnz .LBB46_103
.LBB46_20:
	s_andn2_b64 vcc, exec, s[22:23]
	s_cbranch_vccnz .LBB46_141
.LBB46_21:
	v_add_u32_e32 v2, 0x80, v2
	s_mov_b64 s[22:23], -1
	s_branch .LBB46_247
.LBB46_22:
	s_mov_b64 s[16:17], -1
	s_mov_b64 s[0:1], 0
                                        ; implicit-def: $vgpr3
	s_branch .LBB46_149
.LBB46_23:
	s_mov_b64 s[26:27], -1
	s_mov_b64 s[0:1], 0
	s_mov_b64 s[22:23], 0
	s_branch .LBB46_61
.LBB46_24:
	s_mov_b64 s[16:17], -1
	s_mov_b64 s[0:1], 0
                                        ; implicit-def: $vgpr3
	s_branch .LBB46_144
.LBB46_25:
	s_mov_b64 s[26:27], -1
	s_mov_b64 s[0:1], 0
	s_mov_b64 s[22:23], 0
	s_branch .LBB46_44
.LBB46_26:
	s_mov_b64 s[16:17], -1
	s_branch .LBB46_29
.LBB46_27:
	s_mov_b64 s[26:27], -1
	s_mov_b64 s[0:1], 0
	s_mov_b64 s[22:23], 0
	s_branch .LBB46_40
.LBB46_28:
	s_mov_b64 s[18:19], -1
.LBB46_29:
	s_mov_b64 s[0:1], 0
                                        ; implicit-def: $vgpr3
.LBB46_30:
	s_and_b64 vcc, exec, s[16:17]
	s_cbranch_vccz .LBB46_143
; %bb.31:
	s_cmp_eq_u32 s22, 44
	s_cbranch_scc0 .LBB46_142
; %bb.32:
	global_load_ubyte v3, v[0:1], off
	s_mov_b64 s[0:1], -1
	s_mov_b64 s[18:19], 0
	s_waitcnt vmcnt(0)
	v_lshlrev_b32_e32 v4, 23, v3
	v_cvt_i32_f32_e32 v4, v4
	v_cmp_ne_u32_e32 vcc, 0, v3
	v_cndmask_b32_e32 v3, 0, v4, vcc
	s_branch .LBB46_143
.LBB46_33:
	s_mov_b64 s[26:27], -1
	s_mov_b64 s[0:1], 0
	s_mov_b64 s[22:23], 0
.LBB46_34:
	s_and_b64 vcc, exec, s[26:27]
	s_cbranch_vccz .LBB46_39
; %bb.35:
	s_cmp_eq_u32 s31, 44
	s_mov_b64 s[0:1], -1
	s_cbranch_scc0 .LBB46_39
; %bb.36:
	v_cndmask_b32_e64 v4, 0, 1.0, s[16:17]
	v_lshrrev_b32_e32 v3, 23, v4
	s_movk_i32 s0, 0xff
	v_cmp_ne_u32_e32 vcc, s0, v3
	v_mov_b32_e32 v5, 0xff
	s_and_saveexec_b64 s[22:23], vcc
; %bb.37:
	s_mov_b32 s0, 0x3fffff
	v_and_b32_e32 v5, 0x400000, v4
	v_and_or_b32 v4, v4, s0, v3
	v_cmp_ne_u32_e32 vcc, 0, v5
	v_cmp_ne_u32_e64 s[0:1], 0, v4
	s_and_b64 s[0:1], vcc, s[0:1]
	v_cndmask_b32_e64 v4, 0, 1, s[0:1]
	v_add_u32_e32 v5, v3, v4
; %bb.38:
	s_or_b64 exec, exec, s[22:23]
	s_mov_b64 s[22:23], -1
	s_mov_b64 s[0:1], 0
	global_store_byte v[0:1], v5, off
.LBB46_39:
	s_mov_b64 s[26:27], 0
.LBB46_40:
	s_and_b64 vcc, exec, s[26:27]
	s_cbranch_vccz .LBB46_43
; %bb.41:
	s_cmp_eq_u32 s31, 29
	s_mov_b64 s[0:1], -1
	s_cbranch_scc0 .LBB46_43
; %bb.42:
	s_mov_b32 s0, 0
	v_cndmask_b32_e64 v3, 0, 1, s[16:17]
	v_mov_b32_e32 v4, s0
	global_store_dwordx2 v[0:1], v[3:4], off
	s_mov_b64 s[22:23], -1
	s_mov_b64 s[0:1], 0
.LBB46_43:
	s_mov_b64 s[26:27], 0
.LBB46_44:
	s_and_b64 vcc, exec, s[26:27]
	s_cbranch_vccz .LBB46_60
; %bb.45:
	s_cmp_lt_i32 s31, 27
	s_mov_b64 s[22:23], -1
	s_cbranch_scc1 .LBB46_51
; %bb.46:
	s_cmp_gt_i32 s31, 27
	s_cbranch_scc0 .LBB46_48
; %bb.47:
	v_cndmask_b32_e64 v3, 0, 1, s[16:17]
	s_mov_b64 s[22:23], 0
	global_store_dword v[0:1], v3, off
.LBB46_48:
	s_andn2_b64 vcc, exec, s[22:23]
	s_cbranch_vccnz .LBB46_50
; %bb.49:
	v_cndmask_b32_e64 v3, 0, 1, s[16:17]
	global_store_short v[0:1], v3, off
.LBB46_50:
	s_mov_b64 s[22:23], 0
.LBB46_51:
	s_andn2_b64 vcc, exec, s[22:23]
	s_cbranch_vccnz .LBB46_59
; %bb.52:
	v_cndmask_b32_e64 v4, 0, 1.0, s[16:17]
	s_mov_b32 s22, 0x43800000
	v_cmp_gt_u32_e32 vcc, s22, v4
	v_mov_b32_e32 v5, 0x80
	s_and_saveexec_b64 s[22:23], vcc
	s_cbranch_execz .LBB46_58
; %bb.53:
	s_mov_b32 s26, 0x3bffffff
	v_cmp_lt_u32_e32 vcc, s26, v4
	s_mov_b64 s[26:27], 0
                                        ; implicit-def: $vgpr3
	s_and_saveexec_b64 s[28:29], vcc
	s_xor_b64 s[28:29], exec, s[28:29]
	s_cbranch_execz .LBB46_275
; %bb.54:
	v_bfe_u32 v3, v4, 20, 1
	s_mov_b32 s34, 0x487ffff
	v_add3_u32 v3, v4, v3, s34
	s_mov_b64 s[26:27], exec
	v_lshrrev_b32_e32 v3, 20, v3
                                        ; implicit-def: $vgpr4
	s_andn2_saveexec_b64 s[28:29], s[28:29]
	s_cbranch_execnz .LBB46_276
.LBB46_55:
	s_or_b64 exec, exec, s[28:29]
	v_mov_b32_e32 v5, 0
	s_and_saveexec_b64 s[28:29], s[26:27]
.LBB46_56:
	v_mov_b32_e32 v5, v3
.LBB46_57:
	s_or_b64 exec, exec, s[28:29]
.LBB46_58:
	s_or_b64 exec, exec, s[22:23]
	global_store_byte v[0:1], v5, off
.LBB46_59:
	s_mov_b64 s[22:23], -1
.LBB46_60:
	s_mov_b64 s[26:27], 0
.LBB46_61:
	s_and_b64 vcc, exec, s[26:27]
	s_cbranch_vccz .LBB46_102
; %bb.62:
	s_cmp_gt_i32 s31, 22
	s_mov_b64 s[26:27], -1
	s_cbranch_scc0 .LBB46_94
; %bb.63:
	s_cmp_lt_i32 s31, 24
	s_mov_b64 s[22:23], -1
	s_cbranch_scc1 .LBB46_83
; %bb.64:
	s_cmp_gt_i32 s31, 24
	s_cbranch_scc0 .LBB46_72
; %bb.65:
	v_cndmask_b32_e64 v4, 0, 1.0, s[16:17]
	s_mov_b32 s22, 0x47800000
	v_cmp_gt_u32_e32 vcc, s22, v4
	v_mov_b32_e32 v5, 0x80
	s_and_saveexec_b64 s[22:23], vcc
	s_cbranch_execz .LBB46_71
; %bb.66:
	s_mov_b32 s26, 0x37ffffff
	v_cmp_lt_u32_e32 vcc, s26, v4
	s_mov_b64 s[26:27], 0
                                        ; implicit-def: $vgpr3
	s_and_saveexec_b64 s[28:29], vcc
	s_xor_b64 s[28:29], exec, s[28:29]
	s_cbranch_execz .LBB46_279
; %bb.67:
	v_bfe_u32 v3, v4, 21, 1
	s_mov_b32 s34, 0x88fffff
	v_add3_u32 v3, v4, v3, s34
	s_mov_b64 s[26:27], exec
	v_lshrrev_b32_e32 v3, 21, v3
                                        ; implicit-def: $vgpr4
	s_andn2_saveexec_b64 s[28:29], s[28:29]
	s_cbranch_execnz .LBB46_280
.LBB46_68:
	s_or_b64 exec, exec, s[28:29]
	v_mov_b32_e32 v5, 0
	s_and_saveexec_b64 s[28:29], s[26:27]
.LBB46_69:
	v_mov_b32_e32 v5, v3
.LBB46_70:
	s_or_b64 exec, exec, s[28:29]
.LBB46_71:
	s_or_b64 exec, exec, s[22:23]
	s_mov_b64 s[22:23], 0
	global_store_byte v[0:1], v5, off
.LBB46_72:
	s_and_b64 vcc, exec, s[22:23]
	s_cbranch_vccz .LBB46_82
; %bb.73:
	v_cndmask_b32_e64 v3, 0, 1.0, s[16:17]
	s_mov_b32 s22, 0x43f00000
	v_cmp_gt_u32_e32 vcc, s22, v3
                                        ; implicit-def: $vgpr4
	s_and_saveexec_b64 s[22:23], vcc
	s_xor_b64 s[22:23], exec, s[22:23]
	s_cbranch_execz .LBB46_79
; %bb.74:
	s_mov_b32 s26, 0x3c7fffff
	v_cmp_lt_u32_e32 vcc, s26, v3
                                        ; implicit-def: $vgpr4
	s_and_saveexec_b64 s[26:27], vcc
	s_xor_b64 s[26:27], exec, s[26:27]
; %bb.75:
	v_bfe_u32 v4, v3, 20, 1
	s_mov_b32 s28, 0x407ffff
	v_add3_u32 v3, v3, v4, s28
	v_lshrrev_b32_e32 v4, 20, v3
	v_and_b32_e32 v3, 0xff00000, v3
	s_mov_b32 s28, 0x7f00000
	v_mov_b32_e32 v5, 0x7e
	v_cmp_ne_u32_e32 vcc, s28, v3
	v_cndmask_b32_e32 v4, v5, v4, vcc
                                        ; implicit-def: $vgpr3
; %bb.76:
	s_andn2_saveexec_b64 s[26:27], s[26:27]
; %bb.77:
	v_add_f32_e32 v4, 0x46800000, v3
; %bb.78:
	s_or_b64 exec, exec, s[26:27]
                                        ; implicit-def: $vgpr3
.LBB46_79:
	s_andn2_saveexec_b64 s[22:23], s[22:23]
; %bb.80:
	s_mov_b32 s26, 0x7f800000
	v_mov_b32_e32 v4, 0x7e
	v_mov_b32_e32 v5, 0x7f
	v_cmp_lt_u32_e32 vcc, s26, v3
	v_cndmask_b32_e32 v4, v4, v5, vcc
; %bb.81:
	s_or_b64 exec, exec, s[22:23]
	global_store_byte v[0:1], v4, off
.LBB46_82:
	s_mov_b64 s[22:23], 0
.LBB46_83:
	s_andn2_b64 vcc, exec, s[22:23]
	s_cbranch_vccnz .LBB46_93
; %bb.84:
	v_cndmask_b32_e64 v3, 0, 1.0, s[16:17]
	s_mov_b32 s22, 0x47800000
	v_cmp_gt_u32_e32 vcc, s22, v3
                                        ; implicit-def: $vgpr4
	s_and_saveexec_b64 s[22:23], vcc
	s_xor_b64 s[22:23], exec, s[22:23]
	s_cbranch_execz .LBB46_90
; %bb.85:
	s_mov_b32 s26, 0x387fffff
	v_cmp_lt_u32_e32 vcc, s26, v3
                                        ; implicit-def: $vgpr4
	s_and_saveexec_b64 s[26:27], vcc
	s_xor_b64 s[26:27], exec, s[26:27]
; %bb.86:
	v_bfe_u32 v4, v3, 21, 1
	s_mov_b32 s28, 0x80fffff
	v_add3_u32 v3, v3, v4, s28
	v_lshrrev_b32_e32 v4, 21, v3
                                        ; implicit-def: $vgpr3
; %bb.87:
	s_andn2_saveexec_b64 s[26:27], s[26:27]
; %bb.88:
	v_add_f32_e32 v4, 0x43000000, v3
; %bb.89:
	s_or_b64 exec, exec, s[26:27]
                                        ; implicit-def: $vgpr3
.LBB46_90:
	s_andn2_saveexec_b64 s[22:23], s[22:23]
; %bb.91:
	s_mov_b32 s26, 0x7f800000
	v_mov_b32_e32 v4, 0x7c
	v_mov_b32_e32 v5, 0x7f
	v_cmp_lt_u32_e32 vcc, s26, v3
	v_cndmask_b32_e32 v4, v4, v5, vcc
; %bb.92:
	s_or_b64 exec, exec, s[22:23]
	global_store_byte v[0:1], v4, off
.LBB46_93:
	s_mov_b64 s[26:27], 0
	s_mov_b64 s[22:23], -1
.LBB46_94:
	s_andn2_b64 vcc, exec, s[26:27]
	s_cbranch_vccnz .LBB46_102
; %bb.95:
	s_cmp_gt_i32 s31, 14
	s_mov_b64 s[26:27], -1
	s_cbranch_scc0 .LBB46_99
; %bb.96:
	s_cmp_eq_u32 s31, 15
	s_mov_b64 s[0:1], -1
	s_cbranch_scc0 .LBB46_98
; %bb.97:
	v_cndmask_b32_e64 v3, 0, 1.0, s[16:17]
	v_bfe_u32 v4, v3, 16, 1
	s_movk_i32 s0, 0x7fff
	v_add3_u32 v3, v3, v4, s0
	global_store_short_d16_hi v[0:1], v3, off
	s_mov_b64 s[22:23], -1
	s_mov_b64 s[0:1], 0
.LBB46_98:
	s_mov_b64 s[26:27], 0
.LBB46_99:
	s_and_b64 vcc, exec, s[26:27]
	s_cbranch_vccz .LBB46_102
; %bb.100:
	s_cmp_eq_u32 s31, 11
	s_mov_b64 s[0:1], -1
	s_cbranch_scc0 .LBB46_102
; %bb.101:
	v_cndmask_b32_e64 v3, 0, 1, s[16:17]
	s_mov_b64 s[22:23], -1
	s_mov_b64 s[0:1], 0
	global_store_byte v[0:1], v3, off
.LBB46_102:
	s_branch .LBB46_20
.LBB46_103:
	s_and_b32 s26, 0xffff, s30
	s_cmp_lt_i32 s26, 5
	s_mov_b64 s[22:23], -1
	s_cbranch_scc1 .LBB46_124
; %bb.104:
	s_cmp_lt_i32 s26, 8
	s_cbranch_scc1 .LBB46_114
; %bb.105:
	s_cmp_lt_i32 s26, 9
	s_cbranch_scc1 .LBB46_111
; %bb.106:
	s_cmp_gt_i32 s26, 9
	s_cbranch_scc0 .LBB46_108
; %bb.107:
	v_cndmask_b32_e64 v3, 0, 1, s[16:17]
	v_cvt_f64_u32_e32 v[3:4], v3
	v_mov_b32_e32 v5, 0
	v_mov_b32_e32 v6, v5
	s_mov_b64 s[22:23], 0
	global_store_dwordx4 v[0:1], v[3:6], off
.LBB46_108:
	s_andn2_b64 vcc, exec, s[22:23]
	s_cbranch_vccnz .LBB46_110
; %bb.109:
	v_cndmask_b32_e64 v3, 0, 1.0, s[16:17]
	v_mov_b32_e32 v4, 0
	global_store_dwordx2 v[0:1], v[3:4], off
.LBB46_110:
	s_mov_b64 s[22:23], 0
.LBB46_111:
	s_andn2_b64 vcc, exec, s[22:23]
	s_cbranch_vccnz .LBB46_113
; %bb.112:
	v_cndmask_b32_e64 v3, 0, 1.0, s[16:17]
	v_cvt_f16_f32_e32 v3, v3
	global_store_dword v[0:1], v3, off
.LBB46_113:
	s_mov_b64 s[22:23], 0
.LBB46_114:
	s_andn2_b64 vcc, exec, s[22:23]
	s_cbranch_vccnz .LBB46_123
; %bb.115:
	s_cmp_lt_i32 s26, 6
	s_mov_b64 s[22:23], -1
	s_cbranch_scc1 .LBB46_121
; %bb.116:
	s_cmp_gt_i32 s26, 6
	s_cbranch_scc0 .LBB46_118
; %bb.117:
	v_cndmask_b32_e64 v3, 0, 1, s[16:17]
	v_cvt_f64_u32_e32 v[3:4], v3
	s_mov_b64 s[22:23], 0
	global_store_dwordx2 v[0:1], v[3:4], off
.LBB46_118:
	s_andn2_b64 vcc, exec, s[22:23]
	s_cbranch_vccnz .LBB46_120
; %bb.119:
	v_cndmask_b32_e64 v3, 0, 1.0, s[16:17]
	global_store_dword v[0:1], v3, off
.LBB46_120:
	s_mov_b64 s[22:23], 0
.LBB46_121:
	s_andn2_b64 vcc, exec, s[22:23]
	s_cbranch_vccnz .LBB46_123
; %bb.122:
	v_cndmask_b32_e64 v3, 0, 1.0, s[16:17]
	v_cvt_f16_f32_e32 v3, v3
	global_store_short v[0:1], v3, off
.LBB46_123:
	s_mov_b64 s[22:23], 0
.LBB46_124:
	s_andn2_b64 vcc, exec, s[22:23]
	s_cbranch_vccnz .LBB46_140
; %bb.125:
	s_cmp_lt_i32 s26, 2
	s_mov_b64 s[22:23], -1
	s_cbranch_scc1 .LBB46_135
; %bb.126:
	s_cmp_lt_i32 s26, 3
	s_cbranch_scc1 .LBB46_132
; %bb.127:
	s_cmp_gt_i32 s26, 3
	s_cbranch_scc0 .LBB46_129
; %bb.128:
	s_mov_b32 s22, 0
	v_cndmask_b32_e64 v3, 0, 1, s[16:17]
	v_mov_b32_e32 v4, s22
	global_store_dwordx2 v[0:1], v[3:4], off
	s_mov_b64 s[22:23], 0
.LBB46_129:
	s_andn2_b64 vcc, exec, s[22:23]
	s_cbranch_vccnz .LBB46_131
; %bb.130:
	v_cndmask_b32_e64 v3, 0, 1, s[16:17]
	global_store_dword v[0:1], v3, off
.LBB46_131:
	s_mov_b64 s[22:23], 0
.LBB46_132:
	s_andn2_b64 vcc, exec, s[22:23]
	s_cbranch_vccnz .LBB46_134
; %bb.133:
	v_cndmask_b32_e64 v3, 0, 1, s[16:17]
	global_store_short v[0:1], v3, off
.LBB46_134:
	s_mov_b64 s[22:23], 0
.LBB46_135:
	s_andn2_b64 vcc, exec, s[22:23]
	s_cbranch_vccnz .LBB46_140
; %bb.136:
	s_mov_b64 s[22:23], -1
	s_cmp_gt_i32 s26, 0
	v_cndmask_b32_e64 v3, 0, 1, s[16:17]
	s_cbranch_scc0 .LBB46_138
; %bb.137:
	global_store_byte v[0:1], v3, off
	s_mov_b64 s[22:23], 0
.LBB46_138:
	s_andn2_b64 vcc, exec, s[22:23]
	s_cbranch_vccnz .LBB46_140
; %bb.139:
	global_store_byte v[0:1], v3, off
.LBB46_140:
	s_branch .LBB46_21
.LBB46_141:
	s_mov_b64 s[22:23], 0
                                        ; implicit-def: $vgpr2
	s_branch .LBB46_247
.LBB46_142:
	s_mov_b64 s[18:19], -1
                                        ; implicit-def: $vgpr3
.LBB46_143:
	s_mov_b64 s[16:17], 0
.LBB46_144:
	s_and_b64 vcc, exec, s[16:17]
	s_cbranch_vccz .LBB46_148
; %bb.145:
	s_cmp_eq_u32 s22, 29
	s_cbranch_scc0 .LBB46_147
; %bb.146:
	global_load_dword v3, v[0:1], off
	s_mov_b64 s[0:1], -1
	s_mov_b64 s[18:19], 0
	s_branch .LBB46_148
.LBB46_147:
	s_mov_b64 s[18:19], -1
                                        ; implicit-def: $vgpr3
.LBB46_148:
	s_mov_b64 s[16:17], 0
.LBB46_149:
	s_and_b64 vcc, exec, s[16:17]
	s_cbranch_vccz .LBB46_165
; %bb.150:
	s_cmp_lt_i32 s22, 27
	s_cbranch_scc1 .LBB46_153
; %bb.151:
	s_cmp_gt_i32 s22, 27
	s_cbranch_scc0 .LBB46_154
; %bb.152:
	global_load_dword v3, v[0:1], off
	s_mov_b64 s[0:1], 0
	s_branch .LBB46_155
.LBB46_153:
	s_mov_b64 s[0:1], -1
                                        ; implicit-def: $vgpr3
	s_branch .LBB46_158
.LBB46_154:
	s_mov_b64 s[0:1], -1
                                        ; implicit-def: $vgpr3
.LBB46_155:
	s_andn2_b64 vcc, exec, s[0:1]
	s_cbranch_vccnz .LBB46_157
; %bb.156:
	global_load_ushort v3, v[0:1], off
.LBB46_157:
	s_mov_b64 s[0:1], 0
.LBB46_158:
	s_andn2_b64 vcc, exec, s[0:1]
	s_cbranch_vccnz .LBB46_164
; %bb.159:
	global_load_ubyte v4, v[0:1], off
	s_movk_i32 s0, 0x7f
	s_mov_b64 s[16:17], 0
	s_waitcnt vmcnt(0)
	v_cmp_lt_i16_e32 vcc, s0, v4
	s_and_saveexec_b64 s[0:1], vcc
	s_xor_b64 s[0:1], exec, s[0:1]
	s_cbranch_execz .LBB46_175
; %bb.160:
	s_movk_i32 s16, 0x80
	v_cmp_ne_u16_e32 vcc, s16, v4
	s_and_b64 s[16:17], vcc, exec
	s_andn2_saveexec_b64 s[0:1], s[0:1]
	s_cbranch_execnz .LBB46_176
.LBB46_161:
	s_or_b64 exec, exec, s[0:1]
	v_mov_b32_e32 v3, 0
	s_and_saveexec_b64 s[0:1], s[16:17]
	s_cbranch_execz .LBB46_163
.LBB46_162:
	v_lshlrev_b32_e32 v3, 24, v4
	v_and_b32_e32 v4, 0xffff, v4
	v_and_b32_e32 v5, 7, v4
	v_ffbh_u32_e32 v7, v5
	v_min_u32_e32 v7, 32, v7
	v_subrev_u32_e32 v8, 28, v7
	v_bfe_u32 v6, v4, 3, 4
	v_lshlrev_b32_e32 v4, v8, v4
	v_sub_u32_e32 v7, 29, v7
	v_and_b32_e32 v4, 7, v4
	v_cmp_eq_u32_e32 vcc, 0, v6
	v_cndmask_b32_e32 v6, v6, v7, vcc
	v_cndmask_b32_e32 v4, v5, v4, vcc
	v_mov_b32_e32 v5, 0x3b800000
	v_lshlrev_b32_e32 v4, 20, v4
	v_and_b32_e32 v3, 0x80000000, v3
	v_lshl_add_u32 v5, v6, 23, v5
	v_or3_b32 v3, v3, v5, v4
	v_cvt_i32_f32_e32 v3, v3
.LBB46_163:
	s_or_b64 exec, exec, s[0:1]
.LBB46_164:
	s_mov_b64 s[0:1], -1
.LBB46_165:
	s_branch .LBB46_198
.LBB46_166:
	s_cmp_gt_i32 s22, 22
	s_cbranch_scc0 .LBB46_174
; %bb.167:
	s_cmp_lt_i32 s22, 24
	s_cbranch_scc1 .LBB46_177
; %bb.168:
	s_cmp_gt_i32 s22, 24
	s_cbranch_scc0 .LBB46_178
; %bb.169:
	global_load_ubyte v4, v[0:1], off
	s_movk_i32 s0, 0x7f
	s_mov_b64 s[16:17], 0
	s_waitcnt vmcnt(0)
	v_cmp_lt_i16_e32 vcc, s0, v4
	s_and_saveexec_b64 s[0:1], vcc
	s_xor_b64 s[0:1], exec, s[0:1]
	s_cbranch_execz .LBB46_190
; %bb.170:
	s_movk_i32 s16, 0x80
	v_cmp_ne_u16_e32 vcc, s16, v4
	s_and_b64 s[16:17], vcc, exec
	s_andn2_saveexec_b64 s[0:1], s[0:1]
	s_cbranch_execnz .LBB46_191
.LBB46_171:
	s_or_b64 exec, exec, s[0:1]
	v_mov_b32_e32 v3, 0
	s_and_saveexec_b64 s[0:1], s[16:17]
	s_cbranch_execz .LBB46_173
.LBB46_172:
	v_lshlrev_b32_e32 v3, 24, v4
	v_and_b32_e32 v4, 0xffff, v4
	v_and_b32_e32 v5, 3, v4
	v_ffbh_u32_e32 v7, v5
	v_min_u32_e32 v7, 32, v7
	v_subrev_u32_e32 v8, 29, v7
	v_bfe_u32 v6, v4, 2, 5
	v_lshlrev_b32_e32 v4, v8, v4
	v_sub_u32_e32 v7, 30, v7
	v_and_b32_e32 v4, 3, v4
	v_cmp_eq_u32_e32 vcc, 0, v6
	v_cndmask_b32_e32 v6, v6, v7, vcc
	v_cndmask_b32_e32 v4, v5, v4, vcc
	v_mov_b32_e32 v5, 0x37800000
	v_lshlrev_b32_e32 v4, 21, v4
	v_and_b32_e32 v3, 0x80000000, v3
	v_lshl_add_u32 v5, v6, 23, v5
	v_or3_b32 v3, v3, v5, v4
	v_cvt_i32_f32_e32 v3, v3
.LBB46_173:
	s_or_b64 exec, exec, s[0:1]
	s_mov_b64 s[0:1], 0
	s_branch .LBB46_179
.LBB46_174:
	s_mov_b64 s[16:17], -1
                                        ; implicit-def: $vgpr3
	s_branch .LBB46_185
.LBB46_175:
	s_andn2_saveexec_b64 s[0:1], s[0:1]
	s_cbranch_execz .LBB46_161
.LBB46_176:
	v_cmp_ne_u16_e32 vcc, 0, v4
	s_andn2_b64 s[16:17], s[16:17], exec
	s_and_b64 s[26:27], vcc, exec
	s_or_b64 s[16:17], s[16:17], s[26:27]
	s_or_b64 exec, exec, s[0:1]
	v_mov_b32_e32 v3, 0
	s_and_saveexec_b64 s[0:1], s[16:17]
	s_cbranch_execnz .LBB46_162
	s_branch .LBB46_163
.LBB46_177:
	s_mov_b64 s[0:1], -1
                                        ; implicit-def: $vgpr3
	s_branch .LBB46_182
.LBB46_178:
	s_mov_b64 s[0:1], -1
                                        ; implicit-def: $vgpr3
.LBB46_179:
	s_and_b64 vcc, exec, s[0:1]
	s_cbranch_vccz .LBB46_181
; %bb.180:
	global_load_ubyte v3, v[0:1], off
	s_mov_b32 s0, 0x7f800000
	s_waitcnt vmcnt(0)
	v_lshlrev_b32_e32 v3, 24, v3
	v_and_b32_e32 v4, 0x7f000000, v3
	v_ffbh_u32_e32 v5, v4
	v_min_u32_e32 v5, 32, v5
	v_sub_u32_e64 v5, v5, 4 clamp
	v_lshlrev_b32_e32 v7, v5, v4
	v_lshlrev_b32_e32 v5, 23, v5
	v_lshrrev_b32_e32 v7, 4, v7
	v_add_u32_e32 v6, 0x1000000, v4
	v_sub_u32_e32 v5, v7, v5
	v_ashrrev_i32_e32 v6, 8, v6
	v_add_u32_e32 v5, 0x3c000000, v5
	v_and_or_b32 v5, v6, s0, v5
	v_cmp_ne_u32_e32 vcc, 0, v4
	v_cndmask_b32_e32 v4, 0, v5, vcc
	s_brev_b32 s0, 1
	v_and_or_b32 v3, v3, s0, v4
	v_cvt_i32_f32_e32 v3, v3
.LBB46_181:
	s_mov_b64 s[0:1], 0
.LBB46_182:
	s_andn2_b64 vcc, exec, s[0:1]
	s_cbranch_vccnz .LBB46_184
; %bb.183:
	global_load_ubyte v3, v[0:1], off
	s_movk_i32 s0, 0x7f00
	s_brev_b32 s1, 16
	s_waitcnt vmcnt(0)
	v_lshlrev_b16_e32 v4, 8, v3
	v_lshlrev_b32_e32 v3, 25, v3
	v_lshrrev_b32_e32 v5, 4, v3
	v_and_or_b32 v6, v4, s0, 0.5
	v_or_b32_e32 v5, 0x70000000, v5
	v_add_f32_e32 v6, -0.5, v6
	v_mul_f32_e32 v5, 0x7800000, v5
	v_cmp_gt_u32_e32 vcc, s1, v3
	v_bfe_i32 v4, v4, 0, 16
	v_cndmask_b32_e32 v3, v5, v6, vcc
	s_brev_b32 s0, 1
	v_and_or_b32 v3, v4, s0, v3
	v_cvt_i32_f32_e32 v3, v3
.LBB46_184:
	s_mov_b64 s[16:17], 0
	s_mov_b64 s[0:1], -1
.LBB46_185:
	s_andn2_b64 vcc, exec, s[16:17]
	s_cbranch_vccnz .LBB46_198
; %bb.186:
	s_cmp_gt_i32 s22, 14
	s_cbranch_scc0 .LBB46_189
; %bb.187:
	s_cmp_eq_u32 s22, 15
	s_cbranch_scc0 .LBB46_192
; %bb.188:
	global_load_ushort v3, v[0:1], off
	s_mov_b64 s[0:1], -1
	s_mov_b64 s[18:19], 0
	s_waitcnt vmcnt(0)
	v_lshlrev_b32_e32 v3, 16, v3
	v_cvt_i32_f32_e32 v3, v3
	s_branch .LBB46_193
.LBB46_189:
	s_mov_b64 s[16:17], -1
                                        ; implicit-def: $vgpr3
	s_branch .LBB46_194
.LBB46_190:
	s_andn2_saveexec_b64 s[0:1], s[0:1]
	s_cbranch_execz .LBB46_171
.LBB46_191:
	v_cmp_ne_u16_e32 vcc, 0, v4
	s_andn2_b64 s[16:17], s[16:17], exec
	s_and_b64 s[26:27], vcc, exec
	s_or_b64 s[16:17], s[16:17], s[26:27]
	s_or_b64 exec, exec, s[0:1]
	v_mov_b32_e32 v3, 0
	s_and_saveexec_b64 s[0:1], s[16:17]
	s_cbranch_execnz .LBB46_172
	s_branch .LBB46_173
.LBB46_192:
	s_mov_b64 s[18:19], -1
                                        ; implicit-def: $vgpr3
.LBB46_193:
	s_mov_b64 s[16:17], 0
.LBB46_194:
	s_and_b64 vcc, exec, s[16:17]
	s_cbranch_vccz .LBB46_198
; %bb.195:
	s_cmp_eq_u32 s22, 11
	s_cbranch_scc0 .LBB46_197
; %bb.196:
	global_load_ubyte v3, v[0:1], off
	s_mov_b64 s[0:1], -1
	s_mov_b64 s[18:19], 0
	s_waitcnt vmcnt(0)
	v_cmp_ne_u16_e32 vcc, 0, v3
	v_cndmask_b32_e64 v3, 0, 1, vcc
	s_branch .LBB46_198
.LBB46_197:
	s_mov_b64 s[18:19], -1
                                        ; implicit-def: $vgpr3
.LBB46_198:
	s_branch .LBB46_10
.LBB46_199:
	s_cmp_lt_i32 s22, 5
	s_cbranch_scc1 .LBB46_204
; %bb.200:
	s_cmp_lt_i32 s22, 8
	s_cbranch_scc1 .LBB46_205
; %bb.201:
	;; [unrolled: 3-line block ×3, first 2 shown]
	s_cmp_gt_i32 s22, 9
	s_cbranch_scc0 .LBB46_207
; %bb.203:
	global_load_dwordx2 v[3:4], v[0:1], off
	s_mov_b64 s[0:1], 0
	s_waitcnt vmcnt(0)
	v_cvt_i32_f64_e32 v3, v[3:4]
	s_branch .LBB46_208
.LBB46_204:
                                        ; implicit-def: $vgpr3
	s_branch .LBB46_226
.LBB46_205:
	s_mov_b64 s[0:1], -1
                                        ; implicit-def: $vgpr3
	s_branch .LBB46_214
.LBB46_206:
	s_mov_b64 s[0:1], -1
                                        ; implicit-def: $vgpr3
	s_branch .LBB46_211
.LBB46_207:
	s_mov_b64 s[0:1], -1
                                        ; implicit-def: $vgpr3
.LBB46_208:
	s_andn2_b64 vcc, exec, s[0:1]
	s_cbranch_vccnz .LBB46_210
; %bb.209:
	global_load_dword v3, v[0:1], off
	s_waitcnt vmcnt(0)
	v_cvt_i32_f32_e32 v3, v3
.LBB46_210:
	s_mov_b64 s[0:1], 0
.LBB46_211:
	s_andn2_b64 vcc, exec, s[0:1]
	s_cbranch_vccnz .LBB46_213
; %bb.212:
	global_load_dword v3, v[0:1], off
	s_waitcnt vmcnt(0)
	v_cvt_f32_f16_e32 v3, v3
	v_cvt_i32_f32_e32 v3, v3
.LBB46_213:
	s_mov_b64 s[0:1], 0
.LBB46_214:
	s_andn2_b64 vcc, exec, s[0:1]
	s_cbranch_vccnz .LBB46_225
; %bb.215:
	s_cmp_lt_i32 s22, 6
	s_cbranch_scc1 .LBB46_218
; %bb.216:
	s_cmp_gt_i32 s22, 6
	s_cbranch_scc0 .LBB46_219
; %bb.217:
	global_load_dwordx2 v[3:4], v[0:1], off
	s_mov_b64 s[0:1], 0
	s_waitcnt vmcnt(0)
	v_cvt_i32_f64_e32 v3, v[3:4]
	s_branch .LBB46_220
.LBB46_218:
	s_mov_b64 s[0:1], -1
                                        ; implicit-def: $vgpr3
	s_branch .LBB46_223
.LBB46_219:
	s_mov_b64 s[0:1], -1
                                        ; implicit-def: $vgpr3
.LBB46_220:
	s_andn2_b64 vcc, exec, s[0:1]
	s_cbranch_vccnz .LBB46_222
; %bb.221:
	global_load_dword v3, v[0:1], off
	s_waitcnt vmcnt(0)
	v_cvt_i32_f32_e32 v3, v3
.LBB46_222:
	s_mov_b64 s[0:1], 0
.LBB46_223:
	s_andn2_b64 vcc, exec, s[0:1]
	s_cbranch_vccnz .LBB46_225
; %bb.224:
	global_load_ushort v3, v[0:1], off
	s_waitcnt vmcnt(0)
	v_cvt_f32_f16_e32 v3, v3
	v_cvt_i32_f32_e32 v3, v3
.LBB46_225:
	s_cbranch_execnz .LBB46_245
.LBB46_226:
	s_cmp_lt_i32 s22, 2
	s_cbranch_scc1 .LBB46_230
; %bb.227:
	s_cmp_lt_i32 s22, 3
	s_cbranch_scc1 .LBB46_231
; %bb.228:
	s_cmp_gt_i32 s22, 3
	s_cbranch_scc0 .LBB46_232
; %bb.229:
	global_load_dword v3, v[0:1], off
	s_mov_b64 s[0:1], 0
	s_branch .LBB46_233
.LBB46_230:
	s_mov_b64 s[0:1], -1
                                        ; implicit-def: $vgpr3
	s_branch .LBB46_239
.LBB46_231:
	s_mov_b64 s[0:1], -1
                                        ; implicit-def: $vgpr3
	s_branch .LBB46_236
.LBB46_232:
	s_mov_b64 s[0:1], -1
                                        ; implicit-def: $vgpr3
.LBB46_233:
	s_andn2_b64 vcc, exec, s[0:1]
	s_cbranch_vccnz .LBB46_235
; %bb.234:
	global_load_dword v3, v[0:1], off
.LBB46_235:
	s_mov_b64 s[0:1], 0
.LBB46_236:
	s_andn2_b64 vcc, exec, s[0:1]
	s_cbranch_vccnz .LBB46_238
; %bb.237:
	global_load_sshort v3, v[0:1], off
.LBB46_238:
	s_mov_b64 s[0:1], 0
.LBB46_239:
	s_andn2_b64 vcc, exec, s[0:1]
	s_cbranch_vccnz .LBB46_245
; %bb.240:
	s_cmp_gt_i32 s22, 0
	s_cbranch_scc0 .LBB46_242
; %bb.241:
	global_load_sbyte v3, v[0:1], off
	s_mov_b64 s[0:1], 0
	s_branch .LBB46_243
.LBB46_242:
	s_mov_b64 s[0:1], -1
                                        ; implicit-def: $vgpr3
.LBB46_243:
	s_andn2_b64 vcc, exec, s[0:1]
	s_cbranch_vccnz .LBB46_245
; %bb.244:
	global_load_ubyte v3, v[0:1], off
.LBB46_245:
	s_branch .LBB46_11
.LBB46_246:
	s_mov_b64 s[0:1], 0
                                        ; implicit-def: $vgpr2
	s_mov_b64 s[22:23], 0
.LBB46_247:
	s_and_b64 s[16:17], s[0:1], exec
	s_and_b64 s[18:19], s[18:19], exec
	s_orn2_b64 s[22:23], s[22:23], exec
.LBB46_248:
	s_or_b64 exec, exec, s[20:21]
	s_mov_b64 s[26:27], 0
	s_mov_b64 s[0:1], 0
                                        ; implicit-def: $vgpr0_vgpr1
                                        ; implicit-def: $vgpr3
	s_and_saveexec_b64 s[20:21], s[22:23]
	s_cbranch_execz .LBB46_257
; %bb.249:
	v_cmp_gt_i32_e32 vcc, s42, v2
	s_mov_b64 s[0:1], -1
	s_mov_b64 s[22:23], s[18:19]
	s_mov_b64 s[24:25], s[16:17]
	s_and_saveexec_b64 s[26:27], vcc
	s_cbranch_execz .LBB46_505
; %bb.250:
	v_mul_lo_u32 v0, v2, s13
	v_mov_b32_e32 v1, s11
	s_and_b32 s28, 0xffff, s46
	s_cmp_lt_i32 s28, 11
	s_waitcnt vmcnt(0)
	v_ashrrev_i32_e32 v3, 31, v0
	v_add_co_u32_e32 v0, vcc, s10, v0
	v_addc_co_u32_e32 v1, vcc, v1, v3, vcc
	s_cbranch_scc1 .LBB46_260
; %bb.251:
	s_cmp_gt_i32 s28, 25
	s_cbranch_scc0 .LBB46_269
; %bb.252:
	s_cmp_gt_i32 s28, 28
	s_cbranch_scc0 .LBB46_271
; %bb.253:
	s_cmp_gt_i32 s28, 43
	s_cbranch_scc0 .LBB46_273
; %bb.254:
	s_cmp_gt_i32 s28, 45
	s_cbranch_scc0 .LBB46_277
; %bb.255:
	s_cmp_eq_u32 s28, 46
	s_mov_b64 s[24:25], 0
	s_cbranch_scc0 .LBB46_281
; %bb.256:
	global_load_dword v3, v[0:1], off
	s_mov_b64 s[22:23], 0
	s_waitcnt vmcnt(0)
	v_lshlrev_b32_e32 v3, 16, v3
	v_cvt_i32_f32_e32 v3, v3
	s_branch .LBB46_282
.LBB46_257:
	s_or_b64 exec, exec, s[20:21]
	s_mov_b64 s[20:21], 0
	s_and_saveexec_b64 s[22:23], s[18:19]
	s_cbranch_execnz .LBB46_843
.LBB46_258:
	s_or_b64 exec, exec, s[22:23]
	s_and_saveexec_b64 s[18:19], s[24:25]
	s_xor_b64 s[18:19], exec, s[18:19]
	s_cbranch_execz .LBB46_844
.LBB46_259:
	global_load_ubyte v3, v[0:1], off
	s_or_b64 s[0:1], s[0:1], exec
	s_waitcnt vmcnt(0)
	v_cmp_ne_u16_e32 vcc, 0, v3
	v_cndmask_b32_e64 v3, 0, 1, vcc
	s_or_b64 exec, exec, s[18:19]
	s_and_saveexec_b64 s[18:19], s[26:27]
	s_cbranch_execz .LBB46_890
	s_branch .LBB46_845
.LBB46_260:
	s_mov_b64 s[0:1], 0
                                        ; implicit-def: $vgpr3
	s_mov_b64 s[22:23], s[18:19]
	s_cbranch_execnz .LBB46_455
.LBB46_261:
	s_andn2_b64 vcc, exec, s[0:1]
	s_cbranch_vccnz .LBB46_503
.LBB46_262:
	v_mul_lo_u32 v0, v2, s12
	s_waitcnt vmcnt(0)
	v_cmp_ne_u32_e32 vcc, s15, v3
	v_mov_b32_e32 v1, s9
	s_xor_b64 s[24:25], s[6:7], vcc
	v_ashrrev_i32_e32 v3, 31, v0
	s_and_b32 s36, s33, 0xff
	v_add_co_u32_e32 v0, vcc, s8, v0
	s_cmp_lt_i32 s36, 11
	v_addc_co_u32_e32 v1, vcc, v1, v3, vcc
	s_cbranch_scc1 .LBB46_270
; %bb.263:
	s_and_b32 s37, 0xffff, s36
	s_cmp_gt_i32 s37, 25
	s_cbranch_scc0 .LBB46_272
; %bb.264:
	s_cmp_gt_i32 s37, 28
	s_cbranch_scc0 .LBB46_274
; %bb.265:
	;; [unrolled: 3-line block ×4, first 2 shown]
	s_mov_b64 s[30:31], 0
	s_mov_b64 s[0:1], -1
	s_cmp_eq_u32 s37, 46
	s_mov_b64 s[28:29], 0
	s_cbranch_scc0 .LBB46_286
; %bb.268:
	v_cndmask_b32_e64 v3, 0, 1.0, s[24:25]
	v_bfe_u32 v4, v3, 16, 1
	s_movk_i32 s0, 0x7fff
	v_add3_u32 v3, v3, v4, s0
	v_lshrrev_b32_e32 v3, 16, v3
	global_store_dword v[0:1], v3, off
	s_mov_b64 s[28:29], -1
	s_mov_b64 s[0:1], 0
	s_branch .LBB46_286
.LBB46_269:
	s_mov_b64 s[24:25], -1
	s_mov_b64 s[0:1], 0
	s_mov_b64 s[22:23], s[18:19]
                                        ; implicit-def: $vgpr3
	s_branch .LBB46_421
.LBB46_270:
	s_mov_b64 s[30:31], -1
	s_mov_b64 s[28:29], 0
	s_mov_b64 s[0:1], s[16:17]
	s_branch .LBB46_355
.LBB46_271:
	s_mov_b64 s[24:25], -1
	s_mov_b64 s[0:1], 0
	s_mov_b64 s[22:23], s[18:19]
                                        ; implicit-def: $vgpr3
	s_branch .LBB46_404
.LBB46_272:
	s_mov_b64 s[30:31], -1
	s_mov_b64 s[28:29], 0
	s_mov_b64 s[0:1], s[16:17]
	s_branch .LBB46_313
.LBB46_273:
	s_mov_b64 s[24:25], -1
	s_mov_b64 s[0:1], 0
	s_mov_b64 s[22:23], s[18:19]
                                        ; implicit-def: $vgpr3
	s_branch .LBB46_399
.LBB46_274:
	s_mov_b64 s[30:31], -1
	s_mov_b64 s[28:29], 0
	s_mov_b64 s[0:1], s[16:17]
	s_branch .LBB46_296
.LBB46_275:
	s_andn2_saveexec_b64 s[28:29], s[28:29]
	s_cbranch_execz .LBB46_55
.LBB46_276:
	v_add_f32_e32 v3, 0x46000000, v4
	v_and_b32_e32 v3, 0xff, v3
	v_cmp_ne_u32_e32 vcc, 0, v3
	s_andn2_b64 s[26:27], s[26:27], exec
	s_and_b64 s[34:35], vcc, exec
	s_or_b64 s[26:27], s[26:27], s[34:35]
	s_or_b64 exec, exec, s[28:29]
	v_mov_b32_e32 v5, 0
	s_and_saveexec_b64 s[28:29], s[26:27]
	s_cbranch_execnz .LBB46_56
	s_branch .LBB46_57
.LBB46_277:
	s_mov_b64 s[24:25], -1
	s_mov_b64 s[0:1], 0
	s_mov_b64 s[22:23], s[18:19]
                                        ; implicit-def: $vgpr3
	s_branch .LBB46_282
.LBB46_278:
	s_mov_b64 s[30:31], -1
	s_mov_b64 s[28:29], 0
	s_mov_b64 s[0:1], s[16:17]
	s_branch .LBB46_292
.LBB46_279:
	s_andn2_saveexec_b64 s[28:29], s[28:29]
	s_cbranch_execz .LBB46_68
.LBB46_280:
	v_add_f32_e32 v3, 0x42800000, v4
	v_and_b32_e32 v3, 0xff, v3
	v_cmp_ne_u32_e32 vcc, 0, v3
	s_andn2_b64 s[26:27], s[26:27], exec
	s_and_b64 s[34:35], vcc, exec
	s_or_b64 s[26:27], s[26:27], s[34:35]
	s_or_b64 exec, exec, s[28:29]
	v_mov_b32_e32 v5, 0
	s_and_saveexec_b64 s[28:29], s[26:27]
	s_cbranch_execnz .LBB46_69
	s_branch .LBB46_70
.LBB46_281:
	s_mov_b64 s[22:23], -1
                                        ; implicit-def: $vgpr3
	s_mov_b64 s[0:1], 0
.LBB46_282:
	s_and_b64 vcc, exec, s[24:25]
	s_cbranch_vccz .LBB46_398
; %bb.283:
	s_cmp_eq_u32 s28, 44
	s_cbranch_scc0 .LBB46_397
; %bb.284:
	global_load_ubyte v3, v[0:1], off
	s_mov_b64 s[0:1], -1
	s_mov_b64 s[22:23], 0
	s_waitcnt vmcnt(0)
	v_lshlrev_b32_e32 v4, 23, v3
	v_cvt_i32_f32_e32 v4, v4
	v_cmp_ne_u32_e32 vcc, 0, v3
	v_cndmask_b32_e32 v3, 0, v4, vcc
	s_branch .LBB46_398
.LBB46_285:
	s_mov_b64 s[30:31], -1
	s_mov_b64 s[28:29], 0
	s_mov_b64 s[0:1], s[16:17]
.LBB46_286:
	s_and_b64 vcc, exec, s[30:31]
	s_cbranch_vccz .LBB46_291
; %bb.287:
	s_cmp_eq_u32 s37, 44
	s_mov_b64 s[0:1], -1
	s_cbranch_scc0 .LBB46_291
; %bb.288:
	v_cndmask_b32_e64 v4, 0, 1.0, s[24:25]
	v_lshrrev_b32_e32 v3, 23, v4
	s_movk_i32 s0, 0xff
	v_cmp_ne_u32_e32 vcc, s0, v3
	v_mov_b32_e32 v5, 0xff
	s_and_saveexec_b64 s[28:29], vcc
; %bb.289:
	s_mov_b32 s0, 0x3fffff
	v_and_b32_e32 v5, 0x400000, v4
	v_and_or_b32 v4, v4, s0, v3
	v_cmp_ne_u32_e32 vcc, 0, v5
	v_cmp_ne_u32_e64 s[0:1], 0, v4
	s_and_b64 s[0:1], vcc, s[0:1]
	v_cndmask_b32_e64 v4, 0, 1, s[0:1]
	v_add_u32_e32 v5, v3, v4
; %bb.290:
	s_or_b64 exec, exec, s[28:29]
	s_mov_b64 s[28:29], -1
	s_mov_b64 s[0:1], 0
	global_store_byte v[0:1], v5, off
.LBB46_291:
	s_mov_b64 s[30:31], 0
.LBB46_292:
	s_and_b64 vcc, exec, s[30:31]
	s_cbranch_vccz .LBB46_295
; %bb.293:
	s_cmp_eq_u32 s37, 29
	s_mov_b64 s[0:1], -1
	s_cbranch_scc0 .LBB46_295
; %bb.294:
	s_mov_b32 s0, 0
	v_cndmask_b32_e64 v3, 0, 1, s[24:25]
	v_mov_b32_e32 v4, s0
	global_store_dwordx2 v[0:1], v[3:4], off
	s_mov_b64 s[28:29], -1
	s_mov_b64 s[0:1], 0
.LBB46_295:
	s_mov_b64 s[30:31], 0
.LBB46_296:
	s_and_b64 vcc, exec, s[30:31]
	s_cbranch_vccz .LBB46_312
; %bb.297:
	s_cmp_lt_i32 s37, 27
	s_mov_b64 s[28:29], -1
	s_cbranch_scc1 .LBB46_303
; %bb.298:
	s_cmp_gt_i32 s37, 27
	s_cbranch_scc0 .LBB46_300
; %bb.299:
	v_cndmask_b32_e64 v3, 0, 1, s[24:25]
	s_mov_b64 s[28:29], 0
	global_store_dword v[0:1], v3, off
.LBB46_300:
	s_andn2_b64 vcc, exec, s[28:29]
	s_cbranch_vccnz .LBB46_302
; %bb.301:
	v_cndmask_b32_e64 v3, 0, 1, s[24:25]
	global_store_short v[0:1], v3, off
.LBB46_302:
	s_mov_b64 s[28:29], 0
.LBB46_303:
	s_andn2_b64 vcc, exec, s[28:29]
	s_cbranch_vccnz .LBB46_311
; %bb.304:
	v_cndmask_b32_e64 v4, 0, 1.0, s[24:25]
	s_mov_b32 s28, 0x43800000
	v_cmp_gt_u32_e32 vcc, s28, v4
	v_mov_b32_e32 v5, 0x80
	s_and_saveexec_b64 s[28:29], vcc
	s_cbranch_execz .LBB46_310
; %bb.305:
	s_mov_b32 s30, 0x3bffffff
	v_cmp_lt_u32_e32 vcc, s30, v4
	s_mov_b64 s[30:31], 0
                                        ; implicit-def: $vgpr3
	s_and_saveexec_b64 s[34:35], vcc
	s_xor_b64 s[34:35], exec, s[34:35]
	s_cbranch_execz .LBB46_518
; %bb.306:
	v_bfe_u32 v3, v4, 20, 1
	s_mov_b32 s38, 0x487ffff
	v_add3_u32 v3, v4, v3, s38
	s_mov_b64 s[30:31], exec
	v_lshrrev_b32_e32 v3, 20, v3
                                        ; implicit-def: $vgpr4
	s_andn2_saveexec_b64 s[34:35], s[34:35]
	s_cbranch_execnz .LBB46_519
.LBB46_307:
	s_or_b64 exec, exec, s[34:35]
	v_mov_b32_e32 v5, 0
	s_and_saveexec_b64 s[34:35], s[30:31]
.LBB46_308:
	v_mov_b32_e32 v5, v3
.LBB46_309:
	s_or_b64 exec, exec, s[34:35]
.LBB46_310:
	s_or_b64 exec, exec, s[28:29]
	global_store_byte v[0:1], v5, off
.LBB46_311:
	s_mov_b64 s[28:29], -1
.LBB46_312:
	s_mov_b64 s[30:31], 0
.LBB46_313:
	s_and_b64 vcc, exec, s[30:31]
	s_cbranch_vccz .LBB46_354
; %bb.314:
	s_cmp_gt_i32 s37, 22
	s_mov_b64 s[30:31], -1
	s_cbranch_scc0 .LBB46_346
; %bb.315:
	s_cmp_lt_i32 s37, 24
	s_mov_b64 s[28:29], -1
	s_cbranch_scc1 .LBB46_335
; %bb.316:
	s_cmp_gt_i32 s37, 24
	s_cbranch_scc0 .LBB46_324
; %bb.317:
	v_cndmask_b32_e64 v4, 0, 1.0, s[24:25]
	s_mov_b32 s28, 0x47800000
	v_cmp_gt_u32_e32 vcc, s28, v4
	v_mov_b32_e32 v5, 0x80
	s_and_saveexec_b64 s[28:29], vcc
	s_cbranch_execz .LBB46_323
; %bb.318:
	s_mov_b32 s30, 0x37ffffff
	v_cmp_lt_u32_e32 vcc, s30, v4
	s_mov_b64 s[30:31], 0
                                        ; implicit-def: $vgpr3
	s_and_saveexec_b64 s[34:35], vcc
	s_xor_b64 s[34:35], exec, s[34:35]
	s_cbranch_execz .LBB46_521
; %bb.319:
	v_bfe_u32 v3, v4, 21, 1
	s_mov_b32 s38, 0x88fffff
	v_add3_u32 v3, v4, v3, s38
	s_mov_b64 s[30:31], exec
	v_lshrrev_b32_e32 v3, 21, v3
                                        ; implicit-def: $vgpr4
	s_andn2_saveexec_b64 s[34:35], s[34:35]
	s_cbranch_execnz .LBB46_522
.LBB46_320:
	s_or_b64 exec, exec, s[34:35]
	v_mov_b32_e32 v5, 0
	s_and_saveexec_b64 s[34:35], s[30:31]
.LBB46_321:
	v_mov_b32_e32 v5, v3
.LBB46_322:
	s_or_b64 exec, exec, s[34:35]
.LBB46_323:
	s_or_b64 exec, exec, s[28:29]
	s_mov_b64 s[28:29], 0
	global_store_byte v[0:1], v5, off
.LBB46_324:
	s_and_b64 vcc, exec, s[28:29]
	s_cbranch_vccz .LBB46_334
; %bb.325:
	v_cndmask_b32_e64 v3, 0, 1.0, s[24:25]
	s_mov_b32 s28, 0x43f00000
	v_cmp_gt_u32_e32 vcc, s28, v3
                                        ; implicit-def: $vgpr4
	s_and_saveexec_b64 s[28:29], vcc
	s_xor_b64 s[28:29], exec, s[28:29]
	s_cbranch_execz .LBB46_331
; %bb.326:
	s_mov_b32 s30, 0x3c7fffff
	v_cmp_lt_u32_e32 vcc, s30, v3
                                        ; implicit-def: $vgpr4
	s_and_saveexec_b64 s[30:31], vcc
	s_xor_b64 s[30:31], exec, s[30:31]
; %bb.327:
	v_bfe_u32 v4, v3, 20, 1
	s_mov_b32 s34, 0x407ffff
	v_add3_u32 v3, v3, v4, s34
	v_lshrrev_b32_e32 v4, 20, v3
	v_and_b32_e32 v3, 0xff00000, v3
	s_mov_b32 s34, 0x7f00000
	v_mov_b32_e32 v5, 0x7e
	v_cmp_ne_u32_e32 vcc, s34, v3
	v_cndmask_b32_e32 v4, v5, v4, vcc
                                        ; implicit-def: $vgpr3
; %bb.328:
	s_andn2_saveexec_b64 s[30:31], s[30:31]
; %bb.329:
	v_add_f32_e32 v4, 0x46800000, v3
; %bb.330:
	s_or_b64 exec, exec, s[30:31]
                                        ; implicit-def: $vgpr3
.LBB46_331:
	s_andn2_saveexec_b64 s[28:29], s[28:29]
; %bb.332:
	s_mov_b32 s30, 0x7f800000
	v_mov_b32_e32 v4, 0x7e
	v_mov_b32_e32 v5, 0x7f
	v_cmp_lt_u32_e32 vcc, s30, v3
	v_cndmask_b32_e32 v4, v4, v5, vcc
; %bb.333:
	s_or_b64 exec, exec, s[28:29]
	global_store_byte v[0:1], v4, off
.LBB46_334:
	s_mov_b64 s[28:29], 0
.LBB46_335:
	s_andn2_b64 vcc, exec, s[28:29]
	s_cbranch_vccnz .LBB46_345
; %bb.336:
	v_cndmask_b32_e64 v3, 0, 1.0, s[24:25]
	s_mov_b32 s28, 0x47800000
	v_cmp_gt_u32_e32 vcc, s28, v3
                                        ; implicit-def: $vgpr4
	s_and_saveexec_b64 s[28:29], vcc
	s_xor_b64 s[28:29], exec, s[28:29]
	s_cbranch_execz .LBB46_342
; %bb.337:
	s_mov_b32 s30, 0x387fffff
	v_cmp_lt_u32_e32 vcc, s30, v3
                                        ; implicit-def: $vgpr4
	s_and_saveexec_b64 s[30:31], vcc
	s_xor_b64 s[30:31], exec, s[30:31]
; %bb.338:
	v_bfe_u32 v4, v3, 21, 1
	s_mov_b32 s34, 0x80fffff
	v_add3_u32 v3, v3, v4, s34
	v_lshrrev_b32_e32 v4, 21, v3
                                        ; implicit-def: $vgpr3
; %bb.339:
	s_andn2_saveexec_b64 s[30:31], s[30:31]
; %bb.340:
	v_add_f32_e32 v4, 0x43000000, v3
; %bb.341:
	s_or_b64 exec, exec, s[30:31]
                                        ; implicit-def: $vgpr3
.LBB46_342:
	s_andn2_saveexec_b64 s[28:29], s[28:29]
; %bb.343:
	s_mov_b32 s30, 0x7f800000
	v_mov_b32_e32 v4, 0x7c
	v_mov_b32_e32 v5, 0x7f
	v_cmp_lt_u32_e32 vcc, s30, v3
	v_cndmask_b32_e32 v4, v4, v5, vcc
; %bb.344:
	s_or_b64 exec, exec, s[28:29]
	global_store_byte v[0:1], v4, off
.LBB46_345:
	s_mov_b64 s[30:31], 0
	s_mov_b64 s[28:29], -1
.LBB46_346:
	s_andn2_b64 vcc, exec, s[30:31]
	s_cbranch_vccnz .LBB46_354
; %bb.347:
	s_cmp_gt_i32 s37, 14
	s_mov_b64 s[30:31], -1
	s_cbranch_scc0 .LBB46_351
; %bb.348:
	s_cmp_eq_u32 s37, 15
	s_mov_b64 s[0:1], -1
	s_cbranch_scc0 .LBB46_350
; %bb.349:
	v_cndmask_b32_e64 v3, 0, 1.0, s[24:25]
	v_bfe_u32 v4, v3, 16, 1
	s_movk_i32 s0, 0x7fff
	v_add3_u32 v3, v3, v4, s0
	global_store_short_d16_hi v[0:1], v3, off
	s_mov_b64 s[28:29], -1
	s_mov_b64 s[0:1], 0
.LBB46_350:
	s_mov_b64 s[30:31], 0
.LBB46_351:
	s_and_b64 vcc, exec, s[30:31]
	s_cbranch_vccz .LBB46_354
; %bb.352:
	s_cmp_eq_u32 s37, 11
	s_mov_b64 s[0:1], -1
	s_cbranch_scc0 .LBB46_354
; %bb.353:
	v_cndmask_b32_e64 v3, 0, 1, s[24:25]
	s_mov_b64 s[28:29], -1
	s_mov_b64 s[0:1], 0
	global_store_byte v[0:1], v3, off
.LBB46_354:
	s_mov_b64 s[30:31], 0
.LBB46_355:
	s_and_b64 vcc, exec, s[30:31]
	s_cbranch_vccz .LBB46_394
; %bb.356:
	s_and_b32 s30, 0xffff, s36
	s_cmp_lt_i32 s30, 5
	s_mov_b64 s[28:29], -1
	s_cbranch_scc1 .LBB46_377
; %bb.357:
	s_cmp_lt_i32 s30, 8
	s_cbranch_scc1 .LBB46_367
; %bb.358:
	s_cmp_lt_i32 s30, 9
	s_cbranch_scc1 .LBB46_364
; %bb.359:
	s_cmp_gt_i32 s30, 9
	s_cbranch_scc0 .LBB46_361
; %bb.360:
	v_cndmask_b32_e64 v3, 0, 1, s[24:25]
	v_cvt_f64_u32_e32 v[3:4], v3
	v_mov_b32_e32 v5, 0
	v_mov_b32_e32 v6, v5
	s_mov_b64 s[28:29], 0
	global_store_dwordx4 v[0:1], v[3:6], off
.LBB46_361:
	s_andn2_b64 vcc, exec, s[28:29]
	s_cbranch_vccnz .LBB46_363
; %bb.362:
	v_cndmask_b32_e64 v3, 0, 1.0, s[24:25]
	v_mov_b32_e32 v4, 0
	global_store_dwordx2 v[0:1], v[3:4], off
.LBB46_363:
	s_mov_b64 s[28:29], 0
.LBB46_364:
	s_andn2_b64 vcc, exec, s[28:29]
	s_cbranch_vccnz .LBB46_366
; %bb.365:
	v_cndmask_b32_e64 v3, 0, 1.0, s[24:25]
	v_cvt_f16_f32_e32 v3, v3
	global_store_dword v[0:1], v3, off
.LBB46_366:
	s_mov_b64 s[28:29], 0
.LBB46_367:
	s_andn2_b64 vcc, exec, s[28:29]
	s_cbranch_vccnz .LBB46_376
; %bb.368:
	s_cmp_lt_i32 s30, 6
	s_mov_b64 s[28:29], -1
	s_cbranch_scc1 .LBB46_374
; %bb.369:
	s_cmp_gt_i32 s30, 6
	s_cbranch_scc0 .LBB46_371
; %bb.370:
	v_cndmask_b32_e64 v3, 0, 1, s[24:25]
	v_cvt_f64_u32_e32 v[3:4], v3
	s_mov_b64 s[28:29], 0
	global_store_dwordx2 v[0:1], v[3:4], off
.LBB46_371:
	s_andn2_b64 vcc, exec, s[28:29]
	s_cbranch_vccnz .LBB46_373
; %bb.372:
	v_cndmask_b32_e64 v3, 0, 1.0, s[24:25]
	global_store_dword v[0:1], v3, off
.LBB46_373:
	s_mov_b64 s[28:29], 0
.LBB46_374:
	s_andn2_b64 vcc, exec, s[28:29]
	s_cbranch_vccnz .LBB46_376
; %bb.375:
	v_cndmask_b32_e64 v3, 0, 1.0, s[24:25]
	v_cvt_f16_f32_e32 v3, v3
	global_store_short v[0:1], v3, off
.LBB46_376:
	s_mov_b64 s[28:29], 0
.LBB46_377:
	s_andn2_b64 vcc, exec, s[28:29]
	s_cbranch_vccnz .LBB46_393
; %bb.378:
	s_cmp_lt_i32 s30, 2
	s_mov_b64 s[28:29], -1
	s_cbranch_scc1 .LBB46_388
; %bb.379:
	s_cmp_lt_i32 s30, 3
	s_cbranch_scc1 .LBB46_385
; %bb.380:
	s_cmp_gt_i32 s30, 3
	s_cbranch_scc0 .LBB46_382
; %bb.381:
	s_mov_b32 s28, 0
	v_cndmask_b32_e64 v3, 0, 1, s[24:25]
	v_mov_b32_e32 v4, s28
	s_mov_b64 s[28:29], 0
	global_store_dwordx2 v[0:1], v[3:4], off
.LBB46_382:
	s_andn2_b64 vcc, exec, s[28:29]
	s_cbranch_vccnz .LBB46_384
; %bb.383:
	v_cndmask_b32_e64 v3, 0, 1, s[24:25]
	global_store_dword v[0:1], v3, off
.LBB46_384:
	s_mov_b64 s[28:29], 0
.LBB46_385:
	s_andn2_b64 vcc, exec, s[28:29]
	s_cbranch_vccnz .LBB46_387
; %bb.386:
	v_cndmask_b32_e64 v3, 0, 1, s[24:25]
	global_store_short v[0:1], v3, off
.LBB46_387:
	s_mov_b64 s[28:29], 0
.LBB46_388:
	s_andn2_b64 vcc, exec, s[28:29]
	s_cbranch_vccnz .LBB46_393
; %bb.389:
	s_mov_b64 s[28:29], -1
	s_cmp_gt_i32 s30, 0
	v_cndmask_b32_e64 v3, 0, 1, s[24:25]
	s_cbranch_scc0 .LBB46_391
; %bb.390:
	s_mov_b64 s[28:29], 0
	global_store_byte v[0:1], v3, off
.LBB46_391:
	s_andn2_b64 vcc, exec, s[28:29]
	s_cbranch_vccnz .LBB46_393
; %bb.392:
	global_store_byte v[0:1], v3, off
.LBB46_393:
	s_mov_b64 s[28:29], -1
.LBB46_394:
	s_andn2_b64 vcc, exec, s[28:29]
	s_cbranch_vccnz .LBB46_396
; %bb.395:
	v_add_u32_e32 v2, 0x80, v2
	s_mov_b64 s[28:29], -1
	s_branch .LBB46_504
.LBB46_396:
	s_mov_b64 s[28:29], 0
                                        ; implicit-def: $vgpr2
	s_branch .LBB46_504
.LBB46_397:
	s_mov_b64 s[22:23], -1
                                        ; implicit-def: $vgpr3
.LBB46_398:
	s_mov_b64 s[24:25], 0
.LBB46_399:
	s_and_b64 vcc, exec, s[24:25]
	s_cbranch_vccz .LBB46_403
; %bb.400:
	s_cmp_eq_u32 s28, 29
	s_cbranch_scc0 .LBB46_402
; %bb.401:
	global_load_dword v3, v[0:1], off
	s_mov_b64 s[0:1], -1
	s_mov_b64 s[22:23], 0
	s_branch .LBB46_403
.LBB46_402:
	s_mov_b64 s[22:23], -1
                                        ; implicit-def: $vgpr3
.LBB46_403:
	s_mov_b64 s[24:25], 0
.LBB46_404:
	s_and_b64 vcc, exec, s[24:25]
	s_cbranch_vccz .LBB46_420
; %bb.405:
	s_cmp_lt_i32 s28, 27
	s_cbranch_scc1 .LBB46_408
; %bb.406:
	s_cmp_gt_i32 s28, 27
	s_cbranch_scc0 .LBB46_409
; %bb.407:
	global_load_dword v3, v[0:1], off
	s_mov_b64 s[0:1], 0
	s_branch .LBB46_410
.LBB46_408:
	s_mov_b64 s[0:1], -1
                                        ; implicit-def: $vgpr3
	s_branch .LBB46_413
.LBB46_409:
	s_mov_b64 s[0:1], -1
                                        ; implicit-def: $vgpr3
.LBB46_410:
	s_andn2_b64 vcc, exec, s[0:1]
	s_cbranch_vccnz .LBB46_412
; %bb.411:
	global_load_ushort v3, v[0:1], off
.LBB46_412:
	s_mov_b64 s[0:1], 0
.LBB46_413:
	s_andn2_b64 vcc, exec, s[0:1]
	s_cbranch_vccnz .LBB46_419
; %bb.414:
	global_load_ubyte v4, v[0:1], off
	s_movk_i32 s0, 0x7f
	s_mov_b64 s[24:25], 0
	s_waitcnt vmcnt(0)
	v_cmp_lt_i16_e32 vcc, s0, v4
	s_and_saveexec_b64 s[0:1], vcc
	s_xor_b64 s[0:1], exec, s[0:1]
	s_cbranch_execz .LBB46_431
; %bb.415:
	s_movk_i32 s24, 0x80
	v_cmp_ne_u16_e32 vcc, s24, v4
	s_and_b64 s[24:25], vcc, exec
	s_andn2_saveexec_b64 s[0:1], s[0:1]
	s_cbranch_execnz .LBB46_432
.LBB46_416:
	s_or_b64 exec, exec, s[0:1]
	v_mov_b32_e32 v3, 0
	s_and_saveexec_b64 s[0:1], s[24:25]
	s_cbranch_execz .LBB46_418
.LBB46_417:
	v_lshlrev_b32_e32 v3, 24, v4
	v_and_b32_e32 v4, 0xffff, v4
	v_and_b32_e32 v5, 7, v4
	v_ffbh_u32_e32 v7, v5
	v_min_u32_e32 v7, 32, v7
	v_subrev_u32_e32 v8, 28, v7
	v_bfe_u32 v6, v4, 3, 4
	v_lshlrev_b32_e32 v4, v8, v4
	v_sub_u32_e32 v7, 29, v7
	v_and_b32_e32 v4, 7, v4
	v_cmp_eq_u32_e32 vcc, 0, v6
	v_cndmask_b32_e32 v6, v6, v7, vcc
	v_cndmask_b32_e32 v4, v5, v4, vcc
	v_mov_b32_e32 v5, 0x3b800000
	v_lshlrev_b32_e32 v4, 20, v4
	v_and_b32_e32 v3, 0x80000000, v3
	v_lshl_add_u32 v5, v6, 23, v5
	v_or3_b32 v3, v3, v5, v4
	v_cvt_i32_f32_e32 v3, v3
.LBB46_418:
	s_or_b64 exec, exec, s[0:1]
.LBB46_419:
	s_mov_b64 s[0:1], -1
.LBB46_420:
	s_mov_b64 s[24:25], 0
.LBB46_421:
	s_and_b64 vcc, exec, s[24:25]
	s_cbranch_vccz .LBB46_454
; %bb.422:
	s_cmp_gt_i32 s28, 22
	s_cbranch_scc0 .LBB46_430
; %bb.423:
	s_cmp_lt_i32 s28, 24
	s_cbranch_scc1 .LBB46_433
; %bb.424:
	s_cmp_gt_i32 s28, 24
	s_cbranch_scc0 .LBB46_434
; %bb.425:
	global_load_ubyte v4, v[0:1], off
	s_movk_i32 s0, 0x7f
	s_mov_b64 s[24:25], 0
	s_waitcnt vmcnt(0)
	v_cmp_lt_i16_e32 vcc, s0, v4
	s_and_saveexec_b64 s[0:1], vcc
	s_xor_b64 s[0:1], exec, s[0:1]
	s_cbranch_execz .LBB46_446
; %bb.426:
	s_movk_i32 s24, 0x80
	v_cmp_ne_u16_e32 vcc, s24, v4
	s_and_b64 s[24:25], vcc, exec
	s_andn2_saveexec_b64 s[0:1], s[0:1]
	s_cbranch_execnz .LBB46_447
.LBB46_427:
	s_or_b64 exec, exec, s[0:1]
	v_mov_b32_e32 v3, 0
	s_and_saveexec_b64 s[0:1], s[24:25]
	s_cbranch_execz .LBB46_429
.LBB46_428:
	v_lshlrev_b32_e32 v3, 24, v4
	v_and_b32_e32 v4, 0xffff, v4
	v_and_b32_e32 v5, 3, v4
	v_ffbh_u32_e32 v7, v5
	v_min_u32_e32 v7, 32, v7
	v_subrev_u32_e32 v8, 29, v7
	v_bfe_u32 v6, v4, 2, 5
	v_lshlrev_b32_e32 v4, v8, v4
	v_sub_u32_e32 v7, 30, v7
	v_and_b32_e32 v4, 3, v4
	v_cmp_eq_u32_e32 vcc, 0, v6
	v_cndmask_b32_e32 v6, v6, v7, vcc
	v_cndmask_b32_e32 v4, v5, v4, vcc
	v_mov_b32_e32 v5, 0x37800000
	v_lshlrev_b32_e32 v4, 21, v4
	v_and_b32_e32 v3, 0x80000000, v3
	v_lshl_add_u32 v5, v6, 23, v5
	v_or3_b32 v3, v3, v5, v4
	v_cvt_i32_f32_e32 v3, v3
.LBB46_429:
	s_or_b64 exec, exec, s[0:1]
	s_mov_b64 s[0:1], 0
	s_branch .LBB46_435
.LBB46_430:
	s_mov_b64 s[24:25], -1
                                        ; implicit-def: $vgpr3
	s_branch .LBB46_441
.LBB46_431:
	s_andn2_saveexec_b64 s[0:1], s[0:1]
	s_cbranch_execz .LBB46_416
.LBB46_432:
	v_cmp_ne_u16_e32 vcc, 0, v4
	s_andn2_b64 s[24:25], s[24:25], exec
	s_and_b64 s[30:31], vcc, exec
	s_or_b64 s[24:25], s[24:25], s[30:31]
	s_or_b64 exec, exec, s[0:1]
	v_mov_b32_e32 v3, 0
	s_and_saveexec_b64 s[0:1], s[24:25]
	s_cbranch_execnz .LBB46_417
	s_branch .LBB46_418
.LBB46_433:
	s_mov_b64 s[0:1], -1
                                        ; implicit-def: $vgpr3
	s_branch .LBB46_438
.LBB46_434:
	s_mov_b64 s[0:1], -1
                                        ; implicit-def: $vgpr3
.LBB46_435:
	s_and_b64 vcc, exec, s[0:1]
	s_cbranch_vccz .LBB46_437
; %bb.436:
	global_load_ubyte v3, v[0:1], off
	s_mov_b32 s0, 0x7f800000
	s_waitcnt vmcnt(0)
	v_lshlrev_b32_e32 v3, 24, v3
	v_and_b32_e32 v4, 0x7f000000, v3
	v_ffbh_u32_e32 v5, v4
	v_min_u32_e32 v5, 32, v5
	v_sub_u32_e64 v5, v5, 4 clamp
	v_lshlrev_b32_e32 v7, v5, v4
	v_lshlrev_b32_e32 v5, 23, v5
	v_lshrrev_b32_e32 v7, 4, v7
	v_add_u32_e32 v6, 0x1000000, v4
	v_sub_u32_e32 v5, v7, v5
	v_ashrrev_i32_e32 v6, 8, v6
	v_add_u32_e32 v5, 0x3c000000, v5
	v_and_or_b32 v5, v6, s0, v5
	v_cmp_ne_u32_e32 vcc, 0, v4
	v_cndmask_b32_e32 v4, 0, v5, vcc
	s_brev_b32 s0, 1
	v_and_or_b32 v3, v3, s0, v4
	v_cvt_i32_f32_e32 v3, v3
.LBB46_437:
	s_mov_b64 s[0:1], 0
.LBB46_438:
	s_andn2_b64 vcc, exec, s[0:1]
	s_cbranch_vccnz .LBB46_440
; %bb.439:
	global_load_ubyte v3, v[0:1], off
	s_movk_i32 s0, 0x7f00
	s_brev_b32 s1, 16
	s_waitcnt vmcnt(0)
	v_lshlrev_b16_e32 v4, 8, v3
	v_lshlrev_b32_e32 v3, 25, v3
	v_lshrrev_b32_e32 v5, 4, v3
	v_and_or_b32 v6, v4, s0, 0.5
	v_or_b32_e32 v5, 0x70000000, v5
	v_add_f32_e32 v6, -0.5, v6
	v_mul_f32_e32 v5, 0x7800000, v5
	v_cmp_gt_u32_e32 vcc, s1, v3
	v_bfe_i32 v4, v4, 0, 16
	v_cndmask_b32_e32 v3, v5, v6, vcc
	s_brev_b32 s0, 1
	v_and_or_b32 v3, v4, s0, v3
	v_cvt_i32_f32_e32 v3, v3
.LBB46_440:
	s_mov_b64 s[24:25], 0
	s_mov_b64 s[0:1], -1
.LBB46_441:
	s_andn2_b64 vcc, exec, s[24:25]
	s_cbranch_vccnz .LBB46_454
; %bb.442:
	s_cmp_gt_i32 s28, 14
	s_cbranch_scc0 .LBB46_445
; %bb.443:
	s_cmp_eq_u32 s28, 15
	s_cbranch_scc0 .LBB46_448
; %bb.444:
	global_load_ushort v3, v[0:1], off
	s_mov_b64 s[0:1], -1
	s_mov_b64 s[22:23], 0
	s_waitcnt vmcnt(0)
	v_lshlrev_b32_e32 v3, 16, v3
	v_cvt_i32_f32_e32 v3, v3
	s_branch .LBB46_449
.LBB46_445:
	s_mov_b64 s[24:25], -1
                                        ; implicit-def: $vgpr3
	s_branch .LBB46_450
.LBB46_446:
	s_andn2_saveexec_b64 s[0:1], s[0:1]
	s_cbranch_execz .LBB46_427
.LBB46_447:
	v_cmp_ne_u16_e32 vcc, 0, v4
	s_andn2_b64 s[24:25], s[24:25], exec
	s_and_b64 s[30:31], vcc, exec
	s_or_b64 s[24:25], s[24:25], s[30:31]
	s_or_b64 exec, exec, s[0:1]
	v_mov_b32_e32 v3, 0
	s_and_saveexec_b64 s[0:1], s[24:25]
	s_cbranch_execnz .LBB46_428
	s_branch .LBB46_429
.LBB46_448:
	s_mov_b64 s[22:23], -1
                                        ; implicit-def: $vgpr3
.LBB46_449:
	s_mov_b64 s[24:25], 0
.LBB46_450:
	s_and_b64 vcc, exec, s[24:25]
	s_cbranch_vccz .LBB46_454
; %bb.451:
	s_cmp_eq_u32 s28, 11
	s_cbranch_scc0 .LBB46_453
; %bb.452:
	global_load_ubyte v3, v[0:1], off
	s_mov_b64 s[0:1], -1
	s_mov_b64 s[22:23], 0
	s_waitcnt vmcnt(0)
	v_cmp_ne_u16_e32 vcc, 0, v3
	v_cndmask_b32_e64 v3, 0, 1, vcc
	s_branch .LBB46_454
.LBB46_453:
	s_mov_b64 s[22:23], -1
                                        ; implicit-def: $vgpr3
.LBB46_454:
	s_branch .LBB46_261
.LBB46_455:
	s_cmp_lt_i32 s28, 5
	s_cbranch_scc1 .LBB46_460
; %bb.456:
	s_cmp_lt_i32 s28, 8
	s_cbranch_scc1 .LBB46_461
; %bb.457:
	;; [unrolled: 3-line block ×3, first 2 shown]
	s_cmp_gt_i32 s28, 9
	s_cbranch_scc0 .LBB46_463
; %bb.459:
	global_load_dwordx2 v[3:4], v[0:1], off
	s_mov_b64 s[0:1], 0
	s_waitcnt vmcnt(0)
	v_cvt_i32_f64_e32 v3, v[3:4]
	s_branch .LBB46_464
.LBB46_460:
	s_mov_b64 s[0:1], -1
                                        ; implicit-def: $vgpr3
	s_branch .LBB46_482
.LBB46_461:
	s_mov_b64 s[0:1], -1
                                        ; implicit-def: $vgpr3
	s_branch .LBB46_470
.LBB46_462:
	s_mov_b64 s[0:1], -1
                                        ; implicit-def: $vgpr3
	s_branch .LBB46_467
.LBB46_463:
	s_mov_b64 s[0:1], -1
                                        ; implicit-def: $vgpr3
.LBB46_464:
	s_andn2_b64 vcc, exec, s[0:1]
	s_cbranch_vccnz .LBB46_466
; %bb.465:
	global_load_dword v3, v[0:1], off
	s_waitcnt vmcnt(0)
	v_cvt_i32_f32_e32 v3, v3
.LBB46_466:
	s_mov_b64 s[0:1], 0
.LBB46_467:
	s_andn2_b64 vcc, exec, s[0:1]
	s_cbranch_vccnz .LBB46_469
; %bb.468:
	global_load_dword v3, v[0:1], off
	s_waitcnt vmcnt(0)
	v_cvt_f32_f16_e32 v3, v3
	v_cvt_i32_f32_e32 v3, v3
.LBB46_469:
	s_mov_b64 s[0:1], 0
.LBB46_470:
	s_andn2_b64 vcc, exec, s[0:1]
	s_cbranch_vccnz .LBB46_481
; %bb.471:
	s_cmp_lt_i32 s28, 6
	s_cbranch_scc1 .LBB46_474
; %bb.472:
	s_cmp_gt_i32 s28, 6
	s_cbranch_scc0 .LBB46_475
; %bb.473:
	global_load_dwordx2 v[3:4], v[0:1], off
	s_mov_b64 s[0:1], 0
	s_waitcnt vmcnt(0)
	v_cvt_i32_f64_e32 v3, v[3:4]
	s_branch .LBB46_476
.LBB46_474:
	s_mov_b64 s[0:1], -1
                                        ; implicit-def: $vgpr3
	s_branch .LBB46_479
.LBB46_475:
	s_mov_b64 s[0:1], -1
                                        ; implicit-def: $vgpr3
.LBB46_476:
	s_andn2_b64 vcc, exec, s[0:1]
	s_cbranch_vccnz .LBB46_478
; %bb.477:
	global_load_dword v3, v[0:1], off
	s_waitcnt vmcnt(0)
	v_cvt_i32_f32_e32 v3, v3
.LBB46_478:
	s_mov_b64 s[0:1], 0
.LBB46_479:
	s_andn2_b64 vcc, exec, s[0:1]
	s_cbranch_vccnz .LBB46_481
; %bb.480:
	global_load_ushort v3, v[0:1], off
	s_waitcnt vmcnt(0)
	v_cvt_f32_f16_e32 v3, v3
	v_cvt_i32_f32_e32 v3, v3
.LBB46_481:
	s_mov_b64 s[0:1], 0
.LBB46_482:
	s_andn2_b64 vcc, exec, s[0:1]
	s_cbranch_vccnz .LBB46_502
; %bb.483:
	s_cmp_lt_i32 s28, 2
	s_cbranch_scc1 .LBB46_487
; %bb.484:
	s_cmp_lt_i32 s28, 3
	s_cbranch_scc1 .LBB46_488
; %bb.485:
	s_cmp_gt_i32 s28, 3
	s_cbranch_scc0 .LBB46_489
; %bb.486:
	global_load_dword v3, v[0:1], off
	s_mov_b64 s[0:1], 0
	s_branch .LBB46_490
.LBB46_487:
	s_mov_b64 s[0:1], -1
                                        ; implicit-def: $vgpr3
	s_branch .LBB46_496
.LBB46_488:
	s_mov_b64 s[0:1], -1
                                        ; implicit-def: $vgpr3
	s_branch .LBB46_493
.LBB46_489:
	s_mov_b64 s[0:1], -1
                                        ; implicit-def: $vgpr3
.LBB46_490:
	s_andn2_b64 vcc, exec, s[0:1]
	s_cbranch_vccnz .LBB46_492
; %bb.491:
	global_load_dword v3, v[0:1], off
.LBB46_492:
	s_mov_b64 s[0:1], 0
.LBB46_493:
	s_andn2_b64 vcc, exec, s[0:1]
	s_cbranch_vccnz .LBB46_495
; %bb.494:
	global_load_sshort v3, v[0:1], off
.LBB46_495:
	s_mov_b64 s[0:1], 0
.LBB46_496:
	s_andn2_b64 vcc, exec, s[0:1]
	s_cbranch_vccnz .LBB46_502
; %bb.497:
	s_cmp_gt_i32 s28, 0
	s_cbranch_scc0 .LBB46_499
; %bb.498:
	global_load_sbyte v3, v[0:1], off
	s_mov_b64 s[0:1], 0
	s_branch .LBB46_500
.LBB46_499:
	s_mov_b64 s[0:1], -1
                                        ; implicit-def: $vgpr3
.LBB46_500:
	s_andn2_b64 vcc, exec, s[0:1]
	s_cbranch_vccnz .LBB46_502
; %bb.501:
	global_load_ubyte v3, v[0:1], off
.LBB46_502:
	s_branch .LBB46_262
.LBB46_503:
	s_mov_b64 s[28:29], 0
                                        ; implicit-def: $vgpr2
	s_mov_b64 s[0:1], s[16:17]
.LBB46_504:
	s_andn2_b64 s[24:25], s[16:17], exec
	s_and_b64 s[0:1], s[0:1], exec
	s_or_b64 s[24:25], s[24:25], s[0:1]
	s_andn2_b64 s[0:1], s[18:19], exec
	s_and_b64 s[22:23], s[22:23], exec
	s_or_b64 s[22:23], s[0:1], s[22:23]
	s_orn2_b64 s[0:1], s[28:29], exec
.LBB46_505:
	s_or_b64 exec, exec, s[26:27]
	s_mov_b64 s[28:29], 0
	s_mov_b64 s[30:31], 0
	;; [unrolled: 1-line block ×3, first 2 shown]
                                        ; implicit-def: $vgpr0_vgpr1
                                        ; implicit-def: $vgpr3
	s_and_saveexec_b64 s[26:27], s[0:1]
	s_cbranch_execz .LBB46_842
; %bb.506:
	v_cmp_gt_i32_e32 vcc, s42, v2
	s_mov_b64 s[38:39], -1
	s_mov_b64 s[0:1], s[22:23]
	s_mov_b64 s[34:35], s[24:25]
	s_and_saveexec_b64 s[28:29], vcc
	s_cbranch_execz .LBB46_760
; %bb.507:
	v_mul_lo_u32 v0, v2, s13
	v_mov_b32_e32 v1, s11
	s_and_b32 s36, 0xffff, s46
	s_cmp_lt_i32 s36, 11
	s_waitcnt vmcnt(0)
	v_ashrrev_i32_e32 v3, 31, v0
	v_add_co_u32_e32 v0, vcc, s10, v0
	v_addc_co_u32_e32 v1, vcc, v1, v3, vcc
	s_cbranch_scc1 .LBB46_514
; %bb.508:
	s_cmp_gt_i32 s36, 25
	s_cbranch_scc0 .LBB46_515
; %bb.509:
	s_cmp_gt_i32 s36, 28
	s_cbranch_scc0 .LBB46_516
	;; [unrolled: 3-line block ×4, first 2 shown]
; %bb.512:
	s_cmp_eq_u32 s36, 46
	s_mov_b64 s[34:35], 0
	s_cbranch_scc0 .LBB46_523
; %bb.513:
	global_load_dword v3, v[0:1], off
	s_mov_b64 s[0:1], -1
	s_waitcnt vmcnt(0)
	v_lshlrev_b32_e32 v3, 16, v3
	v_cvt_i32_f32_e32 v3, v3
	s_branch .LBB46_524
.LBB46_514:
	s_mov_b64 s[34:35], -1
	s_mov_b64 s[0:1], 0
                                        ; implicit-def: $vgpr3
	s_mov_b64 s[30:31], s[22:23]
	s_branch .LBB46_585
.LBB46_515:
	s_mov_b64 s[34:35], -1
	s_mov_b64 s[0:1], 0
	s_mov_b64 s[30:31], s[22:23]
                                        ; implicit-def: $vgpr3
	s_branch .LBB46_551
.LBB46_516:
	s_mov_b64 s[34:35], -1
	s_mov_b64 s[0:1], 0
	s_mov_b64 s[30:31], s[22:23]
                                        ; implicit-def: $vgpr3
	s_branch .LBB46_534
.LBB46_517:
	s_mov_b64 s[34:35], -1
	s_mov_b64 s[0:1], 0
	s_mov_b64 s[30:31], s[22:23]
                                        ; implicit-def: $vgpr3
	s_branch .LBB46_529
.LBB46_518:
	s_andn2_saveexec_b64 s[34:35], s[34:35]
	s_cbranch_execz .LBB46_307
.LBB46_519:
	v_add_f32_e32 v3, 0x46000000, v4
	v_and_b32_e32 v3, 0xff, v3
	v_cmp_ne_u32_e32 vcc, 0, v3
	s_andn2_b64 s[30:31], s[30:31], exec
	s_and_b64 s[38:39], vcc, exec
	s_or_b64 s[30:31], s[30:31], s[38:39]
	s_or_b64 exec, exec, s[34:35]
	v_mov_b32_e32 v5, 0
	s_and_saveexec_b64 s[34:35], s[30:31]
	s_cbranch_execnz .LBB46_308
	s_branch .LBB46_309
.LBB46_520:
	s_mov_b64 s[34:35], -1
	s_mov_b64 s[0:1], 0
	s_mov_b64 s[30:31], s[22:23]
                                        ; implicit-def: $vgpr3
	s_branch .LBB46_524
.LBB46_521:
	s_andn2_saveexec_b64 s[34:35], s[34:35]
	s_cbranch_execz .LBB46_320
.LBB46_522:
	v_add_f32_e32 v3, 0x42800000, v4
	v_and_b32_e32 v3, 0xff, v3
	v_cmp_ne_u32_e32 vcc, 0, v3
	s_andn2_b64 s[30:31], s[30:31], exec
	s_and_b64 s[38:39], vcc, exec
	s_or_b64 s[30:31], s[30:31], s[38:39]
	s_or_b64 exec, exec, s[34:35]
	v_mov_b32_e32 v5, 0
	s_and_saveexec_b64 s[34:35], s[30:31]
	s_cbranch_execnz .LBB46_321
	s_branch .LBB46_322
.LBB46_523:
	s_mov_b64 s[30:31], -1
                                        ; implicit-def: $vgpr3
	s_mov_b64 s[0:1], 0
.LBB46_524:
	s_and_b64 vcc, exec, s[34:35]
	s_cbranch_vccz .LBB46_528
; %bb.525:
	s_cmp_eq_u32 s36, 44
	s_cbranch_scc0 .LBB46_527
; %bb.526:
	global_load_ubyte v3, v[0:1], off
	s_mov_b64 s[0:1], -1
	s_mov_b64 s[30:31], 0
	s_waitcnt vmcnt(0)
	v_lshlrev_b32_e32 v4, 23, v3
	v_cvt_i32_f32_e32 v4, v4
	v_cmp_ne_u32_e32 vcc, 0, v3
	v_cndmask_b32_e32 v3, 0, v4, vcc
	s_branch .LBB46_528
.LBB46_527:
	s_mov_b64 s[30:31], -1
                                        ; implicit-def: $vgpr3
.LBB46_528:
	s_mov_b64 s[34:35], 0
.LBB46_529:
	s_and_b64 vcc, exec, s[34:35]
	s_cbranch_vccz .LBB46_533
; %bb.530:
	s_cmp_eq_u32 s36, 29
	s_cbranch_scc0 .LBB46_532
; %bb.531:
	global_load_dword v3, v[0:1], off
	s_mov_b64 s[0:1], -1
	s_mov_b64 s[30:31], 0
	s_branch .LBB46_533
.LBB46_532:
	s_mov_b64 s[30:31], -1
                                        ; implicit-def: $vgpr3
.LBB46_533:
	s_mov_b64 s[34:35], 0
.LBB46_534:
	s_and_b64 vcc, exec, s[34:35]
	s_cbranch_vccz .LBB46_550
; %bb.535:
	s_cmp_lt_i32 s36, 27
	s_cbranch_scc1 .LBB46_538
; %bb.536:
	s_cmp_gt_i32 s36, 27
	s_cbranch_scc0 .LBB46_539
; %bb.537:
	global_load_dword v3, v[0:1], off
	s_mov_b64 s[0:1], 0
	s_branch .LBB46_540
.LBB46_538:
	s_mov_b64 s[0:1], -1
                                        ; implicit-def: $vgpr3
	s_branch .LBB46_543
.LBB46_539:
	s_mov_b64 s[0:1], -1
                                        ; implicit-def: $vgpr3
.LBB46_540:
	s_andn2_b64 vcc, exec, s[0:1]
	s_cbranch_vccnz .LBB46_542
; %bb.541:
	global_load_ushort v3, v[0:1], off
.LBB46_542:
	s_mov_b64 s[0:1], 0
.LBB46_543:
	s_andn2_b64 vcc, exec, s[0:1]
	s_cbranch_vccnz .LBB46_549
; %bb.544:
	global_load_ubyte v4, v[0:1], off
	s_movk_i32 s0, 0x7f
	s_mov_b64 s[34:35], 0
	s_waitcnt vmcnt(0)
	v_cmp_lt_i16_e32 vcc, s0, v4
	s_and_saveexec_b64 s[0:1], vcc
	s_xor_b64 s[0:1], exec, s[0:1]
	s_cbranch_execz .LBB46_561
; %bb.545:
	s_movk_i32 s34, 0x80
	v_cmp_ne_u16_e32 vcc, s34, v4
	s_and_b64 s[34:35], vcc, exec
	s_andn2_saveexec_b64 s[0:1], s[0:1]
	s_cbranch_execnz .LBB46_562
.LBB46_546:
	s_or_b64 exec, exec, s[0:1]
	v_mov_b32_e32 v3, 0
	s_and_saveexec_b64 s[0:1], s[34:35]
	s_cbranch_execz .LBB46_548
.LBB46_547:
	v_lshlrev_b32_e32 v3, 24, v4
	v_and_b32_e32 v4, 0xffff, v4
	v_and_b32_e32 v5, 7, v4
	v_ffbh_u32_e32 v7, v5
	v_min_u32_e32 v7, 32, v7
	v_subrev_u32_e32 v8, 28, v7
	v_bfe_u32 v6, v4, 3, 4
	v_lshlrev_b32_e32 v4, v8, v4
	v_sub_u32_e32 v7, 29, v7
	v_and_b32_e32 v4, 7, v4
	v_cmp_eq_u32_e32 vcc, 0, v6
	v_cndmask_b32_e32 v6, v6, v7, vcc
	v_cndmask_b32_e32 v4, v5, v4, vcc
	v_mov_b32_e32 v5, 0x3b800000
	v_lshlrev_b32_e32 v4, 20, v4
	v_and_b32_e32 v3, 0x80000000, v3
	v_lshl_add_u32 v5, v6, 23, v5
	v_or3_b32 v3, v3, v5, v4
	v_cvt_i32_f32_e32 v3, v3
.LBB46_548:
	s_or_b64 exec, exec, s[0:1]
.LBB46_549:
	s_mov_b64 s[0:1], -1
.LBB46_550:
	s_mov_b64 s[34:35], 0
.LBB46_551:
	s_and_b64 vcc, exec, s[34:35]
	s_cbranch_vccz .LBB46_584
; %bb.552:
	s_cmp_gt_i32 s36, 22
	s_cbranch_scc0 .LBB46_560
; %bb.553:
	s_cmp_lt_i32 s36, 24
	s_cbranch_scc1 .LBB46_563
; %bb.554:
	s_cmp_gt_i32 s36, 24
	s_cbranch_scc0 .LBB46_564
; %bb.555:
	global_load_ubyte v4, v[0:1], off
	s_movk_i32 s0, 0x7f
	s_mov_b64 s[34:35], 0
	s_waitcnt vmcnt(0)
	v_cmp_lt_i16_e32 vcc, s0, v4
	s_and_saveexec_b64 s[0:1], vcc
	s_xor_b64 s[0:1], exec, s[0:1]
	s_cbranch_execz .LBB46_576
; %bb.556:
	s_movk_i32 s34, 0x80
	v_cmp_ne_u16_e32 vcc, s34, v4
	s_and_b64 s[34:35], vcc, exec
	s_andn2_saveexec_b64 s[0:1], s[0:1]
	s_cbranch_execnz .LBB46_577
.LBB46_557:
	s_or_b64 exec, exec, s[0:1]
	v_mov_b32_e32 v3, 0
	s_and_saveexec_b64 s[0:1], s[34:35]
	s_cbranch_execz .LBB46_559
.LBB46_558:
	v_lshlrev_b32_e32 v3, 24, v4
	v_and_b32_e32 v4, 0xffff, v4
	v_and_b32_e32 v5, 3, v4
	v_ffbh_u32_e32 v7, v5
	v_min_u32_e32 v7, 32, v7
	v_subrev_u32_e32 v8, 29, v7
	v_bfe_u32 v6, v4, 2, 5
	v_lshlrev_b32_e32 v4, v8, v4
	v_sub_u32_e32 v7, 30, v7
	v_and_b32_e32 v4, 3, v4
	v_cmp_eq_u32_e32 vcc, 0, v6
	v_cndmask_b32_e32 v6, v6, v7, vcc
	v_cndmask_b32_e32 v4, v5, v4, vcc
	v_mov_b32_e32 v5, 0x37800000
	v_lshlrev_b32_e32 v4, 21, v4
	v_and_b32_e32 v3, 0x80000000, v3
	v_lshl_add_u32 v5, v6, 23, v5
	v_or3_b32 v3, v3, v5, v4
	v_cvt_i32_f32_e32 v3, v3
.LBB46_559:
	s_or_b64 exec, exec, s[0:1]
	s_mov_b64 s[0:1], 0
	s_branch .LBB46_565
.LBB46_560:
	s_mov_b64 s[34:35], -1
                                        ; implicit-def: $vgpr3
	s_branch .LBB46_571
.LBB46_561:
	s_andn2_saveexec_b64 s[0:1], s[0:1]
	s_cbranch_execz .LBB46_546
.LBB46_562:
	v_cmp_ne_u16_e32 vcc, 0, v4
	s_andn2_b64 s[34:35], s[34:35], exec
	s_and_b64 s[38:39], vcc, exec
	s_or_b64 s[34:35], s[34:35], s[38:39]
	s_or_b64 exec, exec, s[0:1]
	v_mov_b32_e32 v3, 0
	s_and_saveexec_b64 s[0:1], s[34:35]
	s_cbranch_execnz .LBB46_547
	s_branch .LBB46_548
.LBB46_563:
	s_mov_b64 s[0:1], -1
                                        ; implicit-def: $vgpr3
	s_branch .LBB46_568
.LBB46_564:
	s_mov_b64 s[0:1], -1
                                        ; implicit-def: $vgpr3
.LBB46_565:
	s_and_b64 vcc, exec, s[0:1]
	s_cbranch_vccz .LBB46_567
; %bb.566:
	global_load_ubyte v3, v[0:1], off
	s_mov_b32 s0, 0x7f800000
	s_waitcnt vmcnt(0)
	v_lshlrev_b32_e32 v3, 24, v3
	v_and_b32_e32 v4, 0x7f000000, v3
	v_ffbh_u32_e32 v5, v4
	v_min_u32_e32 v5, 32, v5
	v_sub_u32_e64 v5, v5, 4 clamp
	v_lshlrev_b32_e32 v7, v5, v4
	v_lshlrev_b32_e32 v5, 23, v5
	v_lshrrev_b32_e32 v7, 4, v7
	v_add_u32_e32 v6, 0x1000000, v4
	v_sub_u32_e32 v5, v7, v5
	v_ashrrev_i32_e32 v6, 8, v6
	v_add_u32_e32 v5, 0x3c000000, v5
	v_and_or_b32 v5, v6, s0, v5
	v_cmp_ne_u32_e32 vcc, 0, v4
	v_cndmask_b32_e32 v4, 0, v5, vcc
	s_brev_b32 s0, 1
	v_and_or_b32 v3, v3, s0, v4
	v_cvt_i32_f32_e32 v3, v3
.LBB46_567:
	s_mov_b64 s[0:1], 0
.LBB46_568:
	s_andn2_b64 vcc, exec, s[0:1]
	s_cbranch_vccnz .LBB46_570
; %bb.569:
	global_load_ubyte v3, v[0:1], off
	s_movk_i32 s0, 0x7f00
	s_brev_b32 s1, 16
	s_waitcnt vmcnt(0)
	v_lshlrev_b16_e32 v4, 8, v3
	v_lshlrev_b32_e32 v3, 25, v3
	v_lshrrev_b32_e32 v5, 4, v3
	v_and_or_b32 v6, v4, s0, 0.5
	v_or_b32_e32 v5, 0x70000000, v5
	v_add_f32_e32 v6, -0.5, v6
	v_mul_f32_e32 v5, 0x7800000, v5
	v_cmp_gt_u32_e32 vcc, s1, v3
	v_bfe_i32 v4, v4, 0, 16
	v_cndmask_b32_e32 v3, v5, v6, vcc
	s_brev_b32 s0, 1
	v_and_or_b32 v3, v4, s0, v3
	v_cvt_i32_f32_e32 v3, v3
.LBB46_570:
	s_mov_b64 s[34:35], 0
	s_mov_b64 s[0:1], -1
.LBB46_571:
	s_andn2_b64 vcc, exec, s[34:35]
	s_cbranch_vccnz .LBB46_584
; %bb.572:
	s_cmp_gt_i32 s36, 14
	s_cbranch_scc0 .LBB46_575
; %bb.573:
	s_cmp_eq_u32 s36, 15
	s_cbranch_scc0 .LBB46_578
; %bb.574:
	global_load_ushort v3, v[0:1], off
	s_mov_b64 s[0:1], -1
	s_mov_b64 s[30:31], 0
	s_waitcnt vmcnt(0)
	v_lshlrev_b32_e32 v3, 16, v3
	v_cvt_i32_f32_e32 v3, v3
	s_branch .LBB46_579
.LBB46_575:
	s_mov_b64 s[34:35], -1
                                        ; implicit-def: $vgpr3
	s_branch .LBB46_580
.LBB46_576:
	s_andn2_saveexec_b64 s[0:1], s[0:1]
	s_cbranch_execz .LBB46_557
.LBB46_577:
	v_cmp_ne_u16_e32 vcc, 0, v4
	s_andn2_b64 s[34:35], s[34:35], exec
	s_and_b64 s[38:39], vcc, exec
	s_or_b64 s[34:35], s[34:35], s[38:39]
	s_or_b64 exec, exec, s[0:1]
	v_mov_b32_e32 v3, 0
	s_and_saveexec_b64 s[0:1], s[34:35]
	s_cbranch_execnz .LBB46_558
	s_branch .LBB46_559
.LBB46_578:
	s_mov_b64 s[30:31], -1
                                        ; implicit-def: $vgpr3
.LBB46_579:
	s_mov_b64 s[34:35], 0
.LBB46_580:
	s_and_b64 vcc, exec, s[34:35]
	s_cbranch_vccz .LBB46_584
; %bb.581:
	s_cmp_eq_u32 s36, 11
	s_cbranch_scc0 .LBB46_583
; %bb.582:
	global_load_ubyte v3, v[0:1], off
	s_mov_b64 s[0:1], -1
	s_mov_b64 s[30:31], 0
	s_waitcnt vmcnt(0)
	v_cmp_ne_u16_e32 vcc, 0, v3
	v_cndmask_b32_e64 v3, 0, 1, vcc
	s_branch .LBB46_584
.LBB46_583:
	s_mov_b64 s[30:31], -1
                                        ; implicit-def: $vgpr3
.LBB46_584:
	s_mov_b64 s[34:35], 0
.LBB46_585:
	s_and_b64 vcc, exec, s[34:35]
	s_cbranch_vccz .LBB46_634
; %bb.586:
	s_cmp_lt_i32 s36, 5
	s_cbranch_scc1 .LBB46_591
; %bb.587:
	s_cmp_lt_i32 s36, 8
	s_cbranch_scc1 .LBB46_592
	;; [unrolled: 3-line block ×3, first 2 shown]
; %bb.589:
	s_cmp_gt_i32 s36, 9
	s_cbranch_scc0 .LBB46_594
; %bb.590:
	global_load_dwordx2 v[3:4], v[0:1], off
	s_mov_b64 s[0:1], 0
	s_waitcnt vmcnt(0)
	v_cvt_i32_f64_e32 v3, v[3:4]
	s_branch .LBB46_595
.LBB46_591:
	s_mov_b64 s[0:1], -1
                                        ; implicit-def: $vgpr3
	s_branch .LBB46_613
.LBB46_592:
	s_mov_b64 s[0:1], -1
                                        ; implicit-def: $vgpr3
	s_branch .LBB46_601
.LBB46_593:
	s_mov_b64 s[0:1], -1
                                        ; implicit-def: $vgpr3
	s_branch .LBB46_598
.LBB46_594:
	s_mov_b64 s[0:1], -1
                                        ; implicit-def: $vgpr3
.LBB46_595:
	s_andn2_b64 vcc, exec, s[0:1]
	s_cbranch_vccnz .LBB46_597
; %bb.596:
	global_load_dword v3, v[0:1], off
	s_waitcnt vmcnt(0)
	v_cvt_i32_f32_e32 v3, v3
.LBB46_597:
	s_mov_b64 s[0:1], 0
.LBB46_598:
	s_andn2_b64 vcc, exec, s[0:1]
	s_cbranch_vccnz .LBB46_600
; %bb.599:
	global_load_dword v3, v[0:1], off
	s_waitcnt vmcnt(0)
	v_cvt_f32_f16_e32 v3, v3
	v_cvt_i32_f32_e32 v3, v3
.LBB46_600:
	s_mov_b64 s[0:1], 0
.LBB46_601:
	s_andn2_b64 vcc, exec, s[0:1]
	s_cbranch_vccnz .LBB46_612
; %bb.602:
	s_cmp_lt_i32 s36, 6
	s_cbranch_scc1 .LBB46_605
; %bb.603:
	s_cmp_gt_i32 s36, 6
	s_cbranch_scc0 .LBB46_606
; %bb.604:
	global_load_dwordx2 v[3:4], v[0:1], off
	s_mov_b64 s[0:1], 0
	s_waitcnt vmcnt(0)
	v_cvt_i32_f64_e32 v3, v[3:4]
	s_branch .LBB46_607
.LBB46_605:
	s_mov_b64 s[0:1], -1
                                        ; implicit-def: $vgpr3
	s_branch .LBB46_610
.LBB46_606:
	s_mov_b64 s[0:1], -1
                                        ; implicit-def: $vgpr3
.LBB46_607:
	s_andn2_b64 vcc, exec, s[0:1]
	s_cbranch_vccnz .LBB46_609
; %bb.608:
	global_load_dword v3, v[0:1], off
	s_waitcnt vmcnt(0)
	v_cvt_i32_f32_e32 v3, v3
.LBB46_609:
	s_mov_b64 s[0:1], 0
.LBB46_610:
	s_andn2_b64 vcc, exec, s[0:1]
	s_cbranch_vccnz .LBB46_612
; %bb.611:
	global_load_ushort v3, v[0:1], off
	s_waitcnt vmcnt(0)
	v_cvt_f32_f16_e32 v3, v3
	v_cvt_i32_f32_e32 v3, v3
.LBB46_612:
	s_mov_b64 s[0:1], 0
.LBB46_613:
	s_andn2_b64 vcc, exec, s[0:1]
	s_cbranch_vccnz .LBB46_633
; %bb.614:
	s_cmp_lt_i32 s36, 2
	s_cbranch_scc1 .LBB46_618
; %bb.615:
	s_cmp_lt_i32 s36, 3
	s_cbranch_scc1 .LBB46_619
; %bb.616:
	s_cmp_gt_i32 s36, 3
	s_cbranch_scc0 .LBB46_620
; %bb.617:
	global_load_dword v3, v[0:1], off
	s_mov_b64 s[0:1], 0
	s_branch .LBB46_621
.LBB46_618:
	s_mov_b64 s[0:1], -1
                                        ; implicit-def: $vgpr3
	s_branch .LBB46_627
.LBB46_619:
	s_mov_b64 s[0:1], -1
                                        ; implicit-def: $vgpr3
	s_branch .LBB46_624
.LBB46_620:
	s_mov_b64 s[0:1], -1
                                        ; implicit-def: $vgpr3
.LBB46_621:
	s_andn2_b64 vcc, exec, s[0:1]
	s_cbranch_vccnz .LBB46_623
; %bb.622:
	global_load_dword v3, v[0:1], off
.LBB46_623:
	s_mov_b64 s[0:1], 0
.LBB46_624:
	s_andn2_b64 vcc, exec, s[0:1]
	s_cbranch_vccnz .LBB46_626
; %bb.625:
	global_load_sshort v3, v[0:1], off
.LBB46_626:
	s_mov_b64 s[0:1], 0
.LBB46_627:
	s_andn2_b64 vcc, exec, s[0:1]
	s_cbranch_vccnz .LBB46_633
; %bb.628:
	s_cmp_gt_i32 s36, 0
	s_cbranch_scc0 .LBB46_630
; %bb.629:
	global_load_sbyte v3, v[0:1], off
	s_mov_b64 s[0:1], 0
	s_branch .LBB46_631
.LBB46_630:
	s_mov_b64 s[0:1], -1
                                        ; implicit-def: $vgpr3
.LBB46_631:
	s_andn2_b64 vcc, exec, s[0:1]
	s_cbranch_vccnz .LBB46_633
; %bb.632:
	global_load_ubyte v3, v[0:1], off
.LBB46_633:
	s_mov_b64 s[0:1], -1
.LBB46_634:
	s_andn2_b64 vcc, exec, s[0:1]
	s_cbranch_vccnz .LBB46_642
; %bb.635:
	v_mul_lo_u32 v0, v2, s12
	s_waitcnt vmcnt(0)
	v_cmp_ne_u32_e32 vcc, s15, v3
	v_mov_b32_e32 v1, s9
	s_xor_b64 s[34:35], s[6:7], vcc
	v_ashrrev_i32_e32 v3, 31, v0
	s_and_b32 s43, s33, 0xff
	v_add_co_u32_e32 v0, vcc, s8, v0
	s_cmp_lt_i32 s43, 11
	v_addc_co_u32_e32 v1, vcc, v1, v3, vcc
	s_cbranch_scc1 .LBB46_643
; %bb.636:
	s_and_b32 s44, 0xffff, s43
	s_cmp_gt_i32 s44, 25
	s_cbranch_scc0 .LBB46_644
; %bb.637:
	s_cmp_gt_i32 s44, 28
	s_cbranch_scc0 .LBB46_645
; %bb.638:
	;; [unrolled: 3-line block ×4, first 2 shown]
	s_mov_b64 s[38:39], 0
	s_mov_b64 s[0:1], -1
	s_cmp_eq_u32 s44, 46
	s_mov_b64 s[36:37], 0
	s_cbranch_scc0 .LBB46_648
; %bb.641:
	v_cndmask_b32_e64 v3, 0, 1.0, s[34:35]
	v_bfe_u32 v4, v3, 16, 1
	s_movk_i32 s0, 0x7fff
	v_add3_u32 v3, v3, v4, s0
	v_lshrrev_b32_e32 v3, 16, v3
	global_store_dword v[0:1], v3, off
	s_mov_b64 s[36:37], -1
	s_mov_b64 s[0:1], 0
	s_branch .LBB46_648
.LBB46_642:
	s_mov_b64 s[36:37], 0
                                        ; implicit-def: $vgpr2
	s_mov_b64 s[0:1], s[24:25]
	s_branch .LBB46_759
.LBB46_643:
	s_mov_b64 s[38:39], -1
	s_mov_b64 s[36:37], 0
	s_mov_b64 s[0:1], s[24:25]
	s_branch .LBB46_717
.LBB46_644:
	s_mov_b64 s[38:39], -1
	s_mov_b64 s[36:37], 0
	s_mov_b64 s[0:1], s[24:25]
	s_branch .LBB46_675
.LBB46_645:
	s_mov_b64 s[38:39], -1
	s_mov_b64 s[36:37], 0
	s_mov_b64 s[0:1], s[24:25]
	s_branch .LBB46_658
.LBB46_646:
	s_mov_b64 s[38:39], -1
	s_mov_b64 s[36:37], 0
	s_mov_b64 s[0:1], s[24:25]
	s_branch .LBB46_654
.LBB46_647:
	s_mov_b64 s[38:39], -1
	s_mov_b64 s[36:37], 0
	s_mov_b64 s[0:1], s[24:25]
.LBB46_648:
	s_and_b64 vcc, exec, s[38:39]
	s_cbranch_vccz .LBB46_653
; %bb.649:
	s_cmp_eq_u32 s44, 44
	s_mov_b64 s[0:1], -1
	s_cbranch_scc0 .LBB46_653
; %bb.650:
	v_cndmask_b32_e64 v4, 0, 1.0, s[34:35]
	v_lshrrev_b32_e32 v3, 23, v4
	s_movk_i32 s0, 0xff
	v_cmp_ne_u32_e32 vcc, s0, v3
	v_mov_b32_e32 v5, 0xff
	s_and_saveexec_b64 s[36:37], vcc
; %bb.651:
	s_mov_b32 s0, 0x3fffff
	v_and_b32_e32 v5, 0x400000, v4
	v_and_or_b32 v4, v4, s0, v3
	v_cmp_ne_u32_e32 vcc, 0, v5
	v_cmp_ne_u32_e64 s[0:1], 0, v4
	s_and_b64 s[0:1], vcc, s[0:1]
	v_cndmask_b32_e64 v4, 0, 1, s[0:1]
	v_add_u32_e32 v5, v3, v4
; %bb.652:
	s_or_b64 exec, exec, s[36:37]
	s_mov_b64 s[36:37], -1
	s_mov_b64 s[0:1], 0
	global_store_byte v[0:1], v5, off
.LBB46_653:
	s_mov_b64 s[38:39], 0
.LBB46_654:
	s_and_b64 vcc, exec, s[38:39]
	s_cbranch_vccz .LBB46_657
; %bb.655:
	s_cmp_eq_u32 s44, 29
	s_mov_b64 s[0:1], -1
	s_cbranch_scc0 .LBB46_657
; %bb.656:
	s_mov_b32 s0, 0
	v_cndmask_b32_e64 v3, 0, 1, s[34:35]
	v_mov_b32_e32 v4, s0
	global_store_dwordx2 v[0:1], v[3:4], off
	s_mov_b64 s[36:37], -1
	s_mov_b64 s[0:1], 0
.LBB46_657:
	s_mov_b64 s[38:39], 0
.LBB46_658:
	s_and_b64 vcc, exec, s[38:39]
	s_cbranch_vccz .LBB46_674
; %bb.659:
	s_cmp_lt_i32 s44, 27
	s_mov_b64 s[36:37], -1
	s_cbranch_scc1 .LBB46_665
; %bb.660:
	s_cmp_gt_i32 s44, 27
	s_cbranch_scc0 .LBB46_662
; %bb.661:
	v_cndmask_b32_e64 v3, 0, 1, s[34:35]
	s_mov_b64 s[36:37], 0
	global_store_dword v[0:1], v3, off
.LBB46_662:
	s_andn2_b64 vcc, exec, s[36:37]
	s_cbranch_vccnz .LBB46_664
; %bb.663:
	v_cndmask_b32_e64 v3, 0, 1, s[34:35]
	global_store_short v[0:1], v3, off
.LBB46_664:
	s_mov_b64 s[36:37], 0
.LBB46_665:
	s_andn2_b64 vcc, exec, s[36:37]
	s_cbranch_vccnz .LBB46_673
; %bb.666:
	v_cndmask_b32_e64 v4, 0, 1.0, s[34:35]
	s_mov_b32 s36, 0x43800000
	v_cmp_gt_u32_e32 vcc, s36, v4
	v_mov_b32_e32 v5, 0x80
	s_and_saveexec_b64 s[36:37], vcc
	s_cbranch_execz .LBB46_672
; %bb.667:
	s_mov_b32 s38, 0x3bffffff
	v_cmp_lt_u32_e32 vcc, s38, v4
	s_mov_b64 s[38:39], 0
                                        ; implicit-def: $vgpr3
	s_and_saveexec_b64 s[40:41], vcc
	s_xor_b64 s[40:41], exec, s[40:41]
	s_cbranch_execz .LBB46_773
; %bb.668:
	v_bfe_u32 v3, v4, 20, 1
	s_mov_b32 s45, 0x487ffff
	v_add3_u32 v3, v4, v3, s45
	s_mov_b64 s[38:39], exec
	v_lshrrev_b32_e32 v3, 20, v3
                                        ; implicit-def: $vgpr4
	s_andn2_saveexec_b64 s[40:41], s[40:41]
	s_cbranch_execnz .LBB46_774
.LBB46_669:
	s_or_b64 exec, exec, s[40:41]
	v_mov_b32_e32 v5, 0
	s_and_saveexec_b64 s[40:41], s[38:39]
.LBB46_670:
	v_mov_b32_e32 v5, v3
.LBB46_671:
	s_or_b64 exec, exec, s[40:41]
.LBB46_672:
	s_or_b64 exec, exec, s[36:37]
	global_store_byte v[0:1], v5, off
.LBB46_673:
	s_mov_b64 s[36:37], -1
.LBB46_674:
	s_mov_b64 s[38:39], 0
.LBB46_675:
	s_and_b64 vcc, exec, s[38:39]
	s_cbranch_vccz .LBB46_716
; %bb.676:
	s_cmp_gt_i32 s44, 22
	s_mov_b64 s[38:39], -1
	s_cbranch_scc0 .LBB46_708
; %bb.677:
	s_cmp_lt_i32 s44, 24
	s_mov_b64 s[36:37], -1
	s_cbranch_scc1 .LBB46_697
; %bb.678:
	s_cmp_gt_i32 s44, 24
	s_cbranch_scc0 .LBB46_686
; %bb.679:
	v_cndmask_b32_e64 v4, 0, 1.0, s[34:35]
	s_mov_b32 s36, 0x47800000
	v_cmp_gt_u32_e32 vcc, s36, v4
	v_mov_b32_e32 v5, 0x80
	s_and_saveexec_b64 s[36:37], vcc
	s_cbranch_execz .LBB46_685
; %bb.680:
	s_mov_b32 s38, 0x37ffffff
	v_cmp_lt_u32_e32 vcc, s38, v4
	s_mov_b64 s[38:39], 0
                                        ; implicit-def: $vgpr3
	s_and_saveexec_b64 s[40:41], vcc
	s_xor_b64 s[40:41], exec, s[40:41]
	s_cbranch_execz .LBB46_776
; %bb.681:
	v_bfe_u32 v3, v4, 21, 1
	s_mov_b32 s45, 0x88fffff
	v_add3_u32 v3, v4, v3, s45
	s_mov_b64 s[38:39], exec
	v_lshrrev_b32_e32 v3, 21, v3
                                        ; implicit-def: $vgpr4
	s_andn2_saveexec_b64 s[40:41], s[40:41]
	s_cbranch_execnz .LBB46_777
.LBB46_682:
	s_or_b64 exec, exec, s[40:41]
	v_mov_b32_e32 v5, 0
	s_and_saveexec_b64 s[40:41], s[38:39]
.LBB46_683:
	v_mov_b32_e32 v5, v3
.LBB46_684:
	s_or_b64 exec, exec, s[40:41]
.LBB46_685:
	s_or_b64 exec, exec, s[36:37]
	s_mov_b64 s[36:37], 0
	global_store_byte v[0:1], v5, off
.LBB46_686:
	s_and_b64 vcc, exec, s[36:37]
	s_cbranch_vccz .LBB46_696
; %bb.687:
	v_cndmask_b32_e64 v3, 0, 1.0, s[34:35]
	s_mov_b32 s36, 0x43f00000
	v_cmp_gt_u32_e32 vcc, s36, v3
                                        ; implicit-def: $vgpr4
	s_and_saveexec_b64 s[36:37], vcc
	s_xor_b64 s[36:37], exec, s[36:37]
	s_cbranch_execz .LBB46_693
; %bb.688:
	s_mov_b32 s38, 0x3c7fffff
	v_cmp_lt_u32_e32 vcc, s38, v3
                                        ; implicit-def: $vgpr4
	s_and_saveexec_b64 s[38:39], vcc
	s_xor_b64 s[38:39], exec, s[38:39]
; %bb.689:
	v_bfe_u32 v4, v3, 20, 1
	s_mov_b32 s40, 0x407ffff
	v_add3_u32 v3, v3, v4, s40
	v_lshrrev_b32_e32 v4, 20, v3
	v_and_b32_e32 v3, 0xff00000, v3
	s_mov_b32 s40, 0x7f00000
	v_mov_b32_e32 v5, 0x7e
	v_cmp_ne_u32_e32 vcc, s40, v3
	v_cndmask_b32_e32 v4, v5, v4, vcc
                                        ; implicit-def: $vgpr3
; %bb.690:
	s_andn2_saveexec_b64 s[38:39], s[38:39]
; %bb.691:
	v_add_f32_e32 v4, 0x46800000, v3
; %bb.692:
	s_or_b64 exec, exec, s[38:39]
                                        ; implicit-def: $vgpr3
.LBB46_693:
	s_andn2_saveexec_b64 s[36:37], s[36:37]
; %bb.694:
	s_mov_b32 s38, 0x7f800000
	v_mov_b32_e32 v4, 0x7e
	v_mov_b32_e32 v5, 0x7f
	v_cmp_lt_u32_e32 vcc, s38, v3
	v_cndmask_b32_e32 v4, v4, v5, vcc
; %bb.695:
	s_or_b64 exec, exec, s[36:37]
	global_store_byte v[0:1], v4, off
.LBB46_696:
	s_mov_b64 s[36:37], 0
.LBB46_697:
	s_andn2_b64 vcc, exec, s[36:37]
	s_cbranch_vccnz .LBB46_707
; %bb.698:
	v_cndmask_b32_e64 v3, 0, 1.0, s[34:35]
	s_mov_b32 s36, 0x47800000
	v_cmp_gt_u32_e32 vcc, s36, v3
                                        ; implicit-def: $vgpr4
	s_and_saveexec_b64 s[36:37], vcc
	s_xor_b64 s[36:37], exec, s[36:37]
	s_cbranch_execz .LBB46_704
; %bb.699:
	s_mov_b32 s38, 0x387fffff
	v_cmp_lt_u32_e32 vcc, s38, v3
                                        ; implicit-def: $vgpr4
	s_and_saveexec_b64 s[38:39], vcc
	s_xor_b64 s[38:39], exec, s[38:39]
; %bb.700:
	v_bfe_u32 v4, v3, 21, 1
	s_mov_b32 s40, 0x80fffff
	v_add3_u32 v3, v3, v4, s40
	v_lshrrev_b32_e32 v4, 21, v3
                                        ; implicit-def: $vgpr3
; %bb.701:
	s_andn2_saveexec_b64 s[38:39], s[38:39]
; %bb.702:
	v_add_f32_e32 v4, 0x43000000, v3
; %bb.703:
	s_or_b64 exec, exec, s[38:39]
                                        ; implicit-def: $vgpr3
.LBB46_704:
	s_andn2_saveexec_b64 s[36:37], s[36:37]
; %bb.705:
	s_mov_b32 s38, 0x7f800000
	v_mov_b32_e32 v4, 0x7c
	v_mov_b32_e32 v5, 0x7f
	v_cmp_lt_u32_e32 vcc, s38, v3
	v_cndmask_b32_e32 v4, v4, v5, vcc
; %bb.706:
	s_or_b64 exec, exec, s[36:37]
	global_store_byte v[0:1], v4, off
.LBB46_707:
	s_mov_b64 s[38:39], 0
	s_mov_b64 s[36:37], -1
.LBB46_708:
	s_andn2_b64 vcc, exec, s[38:39]
	s_cbranch_vccnz .LBB46_716
; %bb.709:
	s_cmp_gt_i32 s44, 14
	s_mov_b64 s[38:39], -1
	s_cbranch_scc0 .LBB46_713
; %bb.710:
	s_cmp_eq_u32 s44, 15
	s_mov_b64 s[0:1], -1
	s_cbranch_scc0 .LBB46_712
; %bb.711:
	v_cndmask_b32_e64 v3, 0, 1.0, s[34:35]
	v_bfe_u32 v4, v3, 16, 1
	s_movk_i32 s0, 0x7fff
	v_add3_u32 v3, v3, v4, s0
	global_store_short_d16_hi v[0:1], v3, off
	s_mov_b64 s[36:37], -1
	s_mov_b64 s[0:1], 0
.LBB46_712:
	s_mov_b64 s[38:39], 0
.LBB46_713:
	s_and_b64 vcc, exec, s[38:39]
	s_cbranch_vccz .LBB46_716
; %bb.714:
	s_cmp_eq_u32 s44, 11
	s_mov_b64 s[0:1], -1
	s_cbranch_scc0 .LBB46_716
; %bb.715:
	v_cndmask_b32_e64 v3, 0, 1, s[34:35]
	s_mov_b64 s[36:37], -1
	s_mov_b64 s[0:1], 0
	global_store_byte v[0:1], v3, off
.LBB46_716:
	s_mov_b64 s[38:39], 0
.LBB46_717:
	s_and_b64 vcc, exec, s[38:39]
	s_cbranch_vccz .LBB46_756
; %bb.718:
	s_and_b32 s38, 0xffff, s43
	s_cmp_lt_i32 s38, 5
	s_mov_b64 s[36:37], -1
	s_cbranch_scc1 .LBB46_739
; %bb.719:
	s_cmp_lt_i32 s38, 8
	s_cbranch_scc1 .LBB46_729
; %bb.720:
	s_cmp_lt_i32 s38, 9
	s_cbranch_scc1 .LBB46_726
; %bb.721:
	s_cmp_gt_i32 s38, 9
	s_cbranch_scc0 .LBB46_723
; %bb.722:
	v_cndmask_b32_e64 v3, 0, 1, s[34:35]
	v_cvt_f64_u32_e32 v[3:4], v3
	v_mov_b32_e32 v5, 0
	v_mov_b32_e32 v6, v5
	s_mov_b64 s[36:37], 0
	global_store_dwordx4 v[0:1], v[3:6], off
.LBB46_723:
	s_andn2_b64 vcc, exec, s[36:37]
	s_cbranch_vccnz .LBB46_725
; %bb.724:
	v_cndmask_b32_e64 v3, 0, 1.0, s[34:35]
	v_mov_b32_e32 v4, 0
	global_store_dwordx2 v[0:1], v[3:4], off
.LBB46_725:
	s_mov_b64 s[36:37], 0
.LBB46_726:
	s_andn2_b64 vcc, exec, s[36:37]
	s_cbranch_vccnz .LBB46_728
; %bb.727:
	v_cndmask_b32_e64 v3, 0, 1.0, s[34:35]
	v_cvt_f16_f32_e32 v3, v3
	global_store_dword v[0:1], v3, off
.LBB46_728:
	s_mov_b64 s[36:37], 0
.LBB46_729:
	s_andn2_b64 vcc, exec, s[36:37]
	s_cbranch_vccnz .LBB46_738
; %bb.730:
	s_cmp_lt_i32 s38, 6
	s_mov_b64 s[36:37], -1
	s_cbranch_scc1 .LBB46_736
; %bb.731:
	s_cmp_gt_i32 s38, 6
	s_cbranch_scc0 .LBB46_733
; %bb.732:
	v_cndmask_b32_e64 v3, 0, 1, s[34:35]
	v_cvt_f64_u32_e32 v[3:4], v3
	s_mov_b64 s[36:37], 0
	global_store_dwordx2 v[0:1], v[3:4], off
.LBB46_733:
	s_andn2_b64 vcc, exec, s[36:37]
	s_cbranch_vccnz .LBB46_735
; %bb.734:
	v_cndmask_b32_e64 v3, 0, 1.0, s[34:35]
	global_store_dword v[0:1], v3, off
.LBB46_735:
	s_mov_b64 s[36:37], 0
.LBB46_736:
	s_andn2_b64 vcc, exec, s[36:37]
	s_cbranch_vccnz .LBB46_738
; %bb.737:
	v_cndmask_b32_e64 v3, 0, 1.0, s[34:35]
	v_cvt_f16_f32_e32 v3, v3
	global_store_short v[0:1], v3, off
.LBB46_738:
	s_mov_b64 s[36:37], 0
.LBB46_739:
	s_andn2_b64 vcc, exec, s[36:37]
	s_cbranch_vccnz .LBB46_755
; %bb.740:
	s_cmp_lt_i32 s38, 2
	s_mov_b64 s[36:37], -1
	s_cbranch_scc1 .LBB46_750
; %bb.741:
	s_cmp_lt_i32 s38, 3
	s_cbranch_scc1 .LBB46_747
; %bb.742:
	s_cmp_gt_i32 s38, 3
	s_cbranch_scc0 .LBB46_744
; %bb.743:
	s_mov_b32 s36, 0
	v_cndmask_b32_e64 v3, 0, 1, s[34:35]
	v_mov_b32_e32 v4, s36
	s_mov_b64 s[36:37], 0
	global_store_dwordx2 v[0:1], v[3:4], off
.LBB46_744:
	s_andn2_b64 vcc, exec, s[36:37]
	s_cbranch_vccnz .LBB46_746
; %bb.745:
	v_cndmask_b32_e64 v3, 0, 1, s[34:35]
	global_store_dword v[0:1], v3, off
.LBB46_746:
	s_mov_b64 s[36:37], 0
.LBB46_747:
	s_andn2_b64 vcc, exec, s[36:37]
	s_cbranch_vccnz .LBB46_749
; %bb.748:
	v_cndmask_b32_e64 v3, 0, 1, s[34:35]
	global_store_short v[0:1], v3, off
.LBB46_749:
	s_mov_b64 s[36:37], 0
.LBB46_750:
	s_andn2_b64 vcc, exec, s[36:37]
	s_cbranch_vccnz .LBB46_755
; %bb.751:
	s_mov_b64 s[36:37], -1
	s_cmp_gt_i32 s38, 0
	v_cndmask_b32_e64 v3, 0, 1, s[34:35]
	s_cbranch_scc0 .LBB46_753
; %bb.752:
	s_mov_b64 s[36:37], 0
	global_store_byte v[0:1], v3, off
.LBB46_753:
	s_andn2_b64 vcc, exec, s[36:37]
	s_cbranch_vccnz .LBB46_755
; %bb.754:
	global_store_byte v[0:1], v3, off
.LBB46_755:
	s_mov_b64 s[36:37], -1
.LBB46_756:
	s_andn2_b64 vcc, exec, s[36:37]
	s_cbranch_vccnz .LBB46_758
; %bb.757:
	v_add_u32_e32 v2, 0x80, v2
	s_mov_b64 s[36:37], -1
	s_branch .LBB46_759
.LBB46_758:
	s_mov_b64 s[36:37], 0
                                        ; implicit-def: $vgpr2
.LBB46_759:
	s_andn2_b64 s[34:35], s[24:25], exec
	s_and_b64 s[0:1], s[0:1], exec
	s_or_b64 s[34:35], s[34:35], s[0:1]
	s_andn2_b64 s[0:1], s[22:23], exec
	s_and_b64 s[30:31], s[30:31], exec
	s_or_b64 s[0:1], s[0:1], s[30:31]
	s_orn2_b64 s[38:39], s[36:37], exec
.LBB46_760:
	s_or_b64 exec, exec, s[28:29]
	s_mov_b64 s[36:37], 0
	s_mov_b64 s[30:31], 0
	;; [unrolled: 1-line block ×3, first 2 shown]
                                        ; implicit-def: $vgpr0_vgpr1
                                        ; implicit-def: $vgpr3
	s_and_saveexec_b64 s[28:29], s[38:39]
	s_cbranch_execz .LBB46_841
; %bb.761:
	v_cmp_gt_i32_e32 vcc, s42, v2
	s_mov_b64 s[38:39], 0
	s_mov_b64 s[42:43], s[0:1]
	;; [unrolled: 1-line block ×3, first 2 shown]
                                        ; implicit-def: $vgpr0_vgpr1
                                        ; implicit-def: $vgpr3
	s_and_saveexec_b64 s[30:31], vcc
	s_cbranch_execz .LBB46_840
; %bb.762:
	v_mul_lo_u32 v0, v2, s13
	v_mov_b32_e32 v1, s11
	s_and_b32 s44, 0xffff, s46
	s_cmp_lt_i32 s44, 11
	s_waitcnt vmcnt(0)
	v_ashrrev_i32_e32 v3, 31, v0
	v_add_co_u32_e32 v0, vcc, s10, v0
	v_addc_co_u32_e32 v1, vcc, v1, v3, vcc
	s_cbranch_scc1 .LBB46_769
; %bb.763:
	s_cmp_gt_i32 s44, 25
	s_cbranch_scc0 .LBB46_770
; %bb.764:
	s_cmp_gt_i32 s44, 28
	s_cbranch_scc0 .LBB46_771
	;; [unrolled: 3-line block ×4, first 2 shown]
; %bb.767:
	s_cmp_eq_u32 s44, 46
	s_mov_b64 s[42:43], 0
	s_cbranch_scc0 .LBB46_778
; %bb.768:
	global_load_dword v3, v[0:1], off
	s_mov_b64 s[40:41], -1
	s_waitcnt vmcnt(0)
	v_lshlrev_b32_e32 v3, 16, v3
	v_cvt_i32_f32_e32 v3, v3
	s_branch .LBB46_780
.LBB46_769:
	s_mov_b64 s[42:43], -1
                                        ; implicit-def: $vgpr3
	s_mov_b64 s[36:37], s[0:1]
	s_branch .LBB46_839
.LBB46_770:
	s_mov_b64 s[42:43], -1
	s_mov_b64 s[36:37], s[0:1]
                                        ; implicit-def: $vgpr3
	s_branch .LBB46_807
.LBB46_771:
	s_mov_b64 s[42:43], -1
	s_mov_b64 s[36:37], s[0:1]
                                        ; implicit-def: $vgpr3
	s_branch .LBB46_790
.LBB46_772:
	s_mov_b64 s[42:43], -1
	s_mov_b64 s[36:37], s[0:1]
                                        ; implicit-def: $vgpr3
	s_branch .LBB46_785
.LBB46_773:
	s_andn2_saveexec_b64 s[40:41], s[40:41]
	s_cbranch_execz .LBB46_669
.LBB46_774:
	v_add_f32_e32 v3, 0x46000000, v4
	v_and_b32_e32 v3, 0xff, v3
	v_cmp_ne_u32_e32 vcc, 0, v3
	s_andn2_b64 s[38:39], s[38:39], exec
	s_and_b64 s[48:49], vcc, exec
	s_or_b64 s[38:39], s[38:39], s[48:49]
	s_or_b64 exec, exec, s[40:41]
	v_mov_b32_e32 v5, 0
	s_and_saveexec_b64 s[40:41], s[38:39]
	s_cbranch_execnz .LBB46_670
	s_branch .LBB46_671
.LBB46_775:
	s_mov_b64 s[42:43], -1
	s_mov_b64 s[36:37], s[0:1]
	s_branch .LBB46_779
.LBB46_776:
	s_andn2_saveexec_b64 s[40:41], s[40:41]
	s_cbranch_execz .LBB46_682
.LBB46_777:
	v_add_f32_e32 v3, 0x42800000, v4
	v_and_b32_e32 v3, 0xff, v3
	v_cmp_ne_u32_e32 vcc, 0, v3
	s_andn2_b64 s[38:39], s[38:39], exec
	s_and_b64 s[48:49], vcc, exec
	s_or_b64 s[38:39], s[38:39], s[48:49]
	s_or_b64 exec, exec, s[40:41]
	v_mov_b32_e32 v5, 0
	s_and_saveexec_b64 s[40:41], s[38:39]
	s_cbranch_execnz .LBB46_683
	s_branch .LBB46_684
.LBB46_778:
	s_mov_b64 s[36:37], -1
.LBB46_779:
                                        ; implicit-def: $vgpr3
.LBB46_780:
	s_and_b64 vcc, exec, s[42:43]
	s_cbranch_vccz .LBB46_784
; %bb.781:
	s_cmp_eq_u32 s44, 44
	s_cbranch_scc0 .LBB46_783
; %bb.782:
	global_load_ubyte v3, v[0:1], off
	s_mov_b64 s[36:37], 0
	s_mov_b64 s[40:41], -1
	s_waitcnt vmcnt(0)
	v_lshlrev_b32_e32 v4, 23, v3
	v_cvt_i32_f32_e32 v4, v4
	v_cmp_ne_u32_e32 vcc, 0, v3
	v_cndmask_b32_e32 v3, 0, v4, vcc
	s_branch .LBB46_784
.LBB46_783:
	s_mov_b64 s[36:37], -1
                                        ; implicit-def: $vgpr3
.LBB46_784:
	s_mov_b64 s[42:43], 0
.LBB46_785:
	s_and_b64 vcc, exec, s[42:43]
	s_cbranch_vccz .LBB46_789
; %bb.786:
	s_cmp_eq_u32 s44, 29
	s_cbranch_scc0 .LBB46_788
; %bb.787:
	global_load_dword v3, v[0:1], off
	s_mov_b64 s[36:37], 0
	s_mov_b64 s[40:41], -1
	s_branch .LBB46_789
.LBB46_788:
	s_mov_b64 s[36:37], -1
                                        ; implicit-def: $vgpr3
.LBB46_789:
	s_mov_b64 s[42:43], 0
.LBB46_790:
	s_and_b64 vcc, exec, s[42:43]
	s_cbranch_vccz .LBB46_806
; %bb.791:
	s_cmp_lt_i32 s44, 27
	s_cbranch_scc1 .LBB46_794
; %bb.792:
	s_cmp_gt_i32 s44, 27
	s_cbranch_scc0 .LBB46_795
; %bb.793:
	global_load_dword v3, v[0:1], off
	s_mov_b64 s[40:41], 0
	s_branch .LBB46_796
.LBB46_794:
	s_mov_b64 s[40:41], -1
                                        ; implicit-def: $vgpr3
	s_branch .LBB46_799
.LBB46_795:
	s_mov_b64 s[40:41], -1
                                        ; implicit-def: $vgpr3
.LBB46_796:
	s_andn2_b64 vcc, exec, s[40:41]
	s_cbranch_vccnz .LBB46_798
; %bb.797:
	global_load_ushort v3, v[0:1], off
.LBB46_798:
	s_mov_b64 s[40:41], 0
.LBB46_799:
	s_andn2_b64 vcc, exec, s[40:41]
	s_cbranch_vccnz .LBB46_805
; %bb.800:
	global_load_ubyte v4, v[0:1], off
	s_movk_i32 s40, 0x7f
	s_mov_b64 s[42:43], 0
	s_waitcnt vmcnt(0)
	v_cmp_lt_i16_e32 vcc, s40, v4
	s_and_saveexec_b64 s[40:41], vcc
	s_xor_b64 s[40:41], exec, s[40:41]
	s_cbranch_execz .LBB46_817
; %bb.801:
	s_movk_i32 s42, 0x80
	v_cmp_ne_u16_e32 vcc, s42, v4
	s_and_b64 s[42:43], vcc, exec
	s_andn2_saveexec_b64 s[40:41], s[40:41]
	s_cbranch_execnz .LBB46_818
.LBB46_802:
	s_or_b64 exec, exec, s[40:41]
	v_mov_b32_e32 v3, 0
	s_and_saveexec_b64 s[40:41], s[42:43]
	s_cbranch_execz .LBB46_804
.LBB46_803:
	v_lshlrev_b32_e32 v3, 24, v4
	v_and_b32_e32 v4, 0xffff, v4
	v_and_b32_e32 v5, 7, v4
	v_ffbh_u32_e32 v7, v5
	v_min_u32_e32 v7, 32, v7
	v_subrev_u32_e32 v8, 28, v7
	v_bfe_u32 v6, v4, 3, 4
	v_lshlrev_b32_e32 v4, v8, v4
	v_sub_u32_e32 v7, 29, v7
	v_and_b32_e32 v4, 7, v4
	v_cmp_eq_u32_e32 vcc, 0, v6
	v_cndmask_b32_e32 v6, v6, v7, vcc
	v_cndmask_b32_e32 v4, v5, v4, vcc
	v_mov_b32_e32 v5, 0x3b800000
	v_lshlrev_b32_e32 v4, 20, v4
	v_and_b32_e32 v3, 0x80000000, v3
	v_lshl_add_u32 v5, v6, 23, v5
	v_or3_b32 v3, v3, v5, v4
	v_cvt_i32_f32_e32 v3, v3
.LBB46_804:
	s_or_b64 exec, exec, s[40:41]
.LBB46_805:
	s_mov_b64 s[40:41], -1
.LBB46_806:
	s_mov_b64 s[42:43], 0
.LBB46_807:
	s_and_b64 vcc, exec, s[42:43]
	s_cbranch_vccz .LBB46_838
; %bb.808:
	s_cmp_gt_i32 s44, 22
	s_cbranch_scc0 .LBB46_816
; %bb.809:
	s_cmp_lt_i32 s44, 24
	s_cbranch_scc1 .LBB46_819
; %bb.810:
	s_cmp_gt_i32 s44, 24
	s_cbranch_scc0 .LBB46_820
; %bb.811:
	global_load_ubyte v4, v[0:1], off
	s_movk_i32 s38, 0x7f
	s_mov_b64 s[40:41], 0
	s_waitcnt vmcnt(0)
	v_cmp_lt_i16_e32 vcc, s38, v4
	s_and_saveexec_b64 s[38:39], vcc
	s_xor_b64 s[38:39], exec, s[38:39]
	s_cbranch_execz .LBB46_832
; %bb.812:
	s_movk_i32 s40, 0x80
	v_cmp_ne_u16_e32 vcc, s40, v4
	s_and_b64 s[40:41], vcc, exec
	s_andn2_saveexec_b64 s[38:39], s[38:39]
	s_cbranch_execnz .LBB46_833
.LBB46_813:
	s_or_b64 exec, exec, s[38:39]
	v_mov_b32_e32 v3, 0
	s_and_saveexec_b64 s[38:39], s[40:41]
	s_cbranch_execz .LBB46_815
.LBB46_814:
	v_lshlrev_b32_e32 v3, 24, v4
	v_and_b32_e32 v4, 0xffff, v4
	v_and_b32_e32 v5, 3, v4
	v_ffbh_u32_e32 v7, v5
	v_min_u32_e32 v7, 32, v7
	v_subrev_u32_e32 v8, 29, v7
	v_bfe_u32 v6, v4, 2, 5
	v_lshlrev_b32_e32 v4, v8, v4
	v_sub_u32_e32 v7, 30, v7
	v_and_b32_e32 v4, 3, v4
	v_cmp_eq_u32_e32 vcc, 0, v6
	v_cndmask_b32_e32 v6, v6, v7, vcc
	v_cndmask_b32_e32 v4, v5, v4, vcc
	v_mov_b32_e32 v5, 0x37800000
	v_lshlrev_b32_e32 v4, 21, v4
	v_and_b32_e32 v3, 0x80000000, v3
	v_lshl_add_u32 v5, v6, 23, v5
	v_or3_b32 v3, v3, v5, v4
	v_cvt_i32_f32_e32 v3, v3
.LBB46_815:
	s_or_b64 exec, exec, s[38:39]
	s_mov_b64 s[38:39], 0
	s_branch .LBB46_821
.LBB46_816:
	s_mov_b64 s[38:39], -1
                                        ; implicit-def: $vgpr3
	s_branch .LBB46_827
.LBB46_817:
	s_andn2_saveexec_b64 s[40:41], s[40:41]
	s_cbranch_execz .LBB46_802
.LBB46_818:
	v_cmp_ne_u16_e32 vcc, 0, v4
	s_andn2_b64 s[42:43], s[42:43], exec
	s_and_b64 s[48:49], vcc, exec
	s_or_b64 s[42:43], s[42:43], s[48:49]
	s_or_b64 exec, exec, s[40:41]
	v_mov_b32_e32 v3, 0
	s_and_saveexec_b64 s[40:41], s[42:43]
	s_cbranch_execnz .LBB46_803
	s_branch .LBB46_804
.LBB46_819:
	s_mov_b64 s[38:39], -1
                                        ; implicit-def: $vgpr3
	s_branch .LBB46_824
.LBB46_820:
	s_mov_b64 s[38:39], -1
                                        ; implicit-def: $vgpr3
.LBB46_821:
	s_and_b64 vcc, exec, s[38:39]
	s_cbranch_vccz .LBB46_823
; %bb.822:
	global_load_ubyte v3, v[0:1], off
	s_mov_b32 s38, 0x7f800000
	s_waitcnt vmcnt(0)
	v_lshlrev_b32_e32 v3, 24, v3
	v_and_b32_e32 v4, 0x7f000000, v3
	v_ffbh_u32_e32 v5, v4
	v_min_u32_e32 v5, 32, v5
	v_sub_u32_e64 v5, v5, 4 clamp
	v_lshlrev_b32_e32 v7, v5, v4
	v_lshlrev_b32_e32 v5, 23, v5
	v_lshrrev_b32_e32 v7, 4, v7
	v_add_u32_e32 v6, 0x1000000, v4
	v_sub_u32_e32 v5, v7, v5
	v_ashrrev_i32_e32 v6, 8, v6
	v_add_u32_e32 v5, 0x3c000000, v5
	v_and_or_b32 v5, v6, s38, v5
	v_cmp_ne_u32_e32 vcc, 0, v4
	v_cndmask_b32_e32 v4, 0, v5, vcc
	s_brev_b32 s38, 1
	v_and_or_b32 v3, v3, s38, v4
	v_cvt_i32_f32_e32 v3, v3
.LBB46_823:
	s_mov_b64 s[38:39], 0
.LBB46_824:
	s_andn2_b64 vcc, exec, s[38:39]
	s_cbranch_vccnz .LBB46_826
; %bb.825:
	global_load_ubyte v3, v[0:1], off
	s_movk_i32 s38, 0x7f00
	s_brev_b32 s39, 16
	s_waitcnt vmcnt(0)
	v_lshlrev_b16_e32 v4, 8, v3
	v_lshlrev_b32_e32 v3, 25, v3
	v_lshrrev_b32_e32 v5, 4, v3
	v_and_or_b32 v6, v4, s38, 0.5
	v_or_b32_e32 v5, 0x70000000, v5
	v_add_f32_e32 v6, -0.5, v6
	v_mul_f32_e32 v5, 0x7800000, v5
	v_cmp_gt_u32_e32 vcc, s39, v3
	v_bfe_i32 v4, v4, 0, 16
	v_cndmask_b32_e32 v3, v5, v6, vcc
	s_brev_b32 s38, 1
	v_and_or_b32 v3, v4, s38, v3
	v_cvt_i32_f32_e32 v3, v3
.LBB46_826:
	s_mov_b64 s[38:39], 0
	s_mov_b64 s[40:41], -1
.LBB46_827:
	s_andn2_b64 vcc, exec, s[38:39]
	s_mov_b64 s[38:39], 0
	s_cbranch_vccnz .LBB46_838
; %bb.828:
	s_cmp_gt_i32 s44, 14
	s_cbranch_scc0 .LBB46_831
; %bb.829:
	s_cmp_eq_u32 s44, 15
	s_cbranch_scc0 .LBB46_834
; %bb.830:
	global_load_ushort v3, v[0:1], off
	s_mov_b64 s[36:37], 0
	s_mov_b64 s[40:41], -1
	s_waitcnt vmcnt(0)
	v_lshlrev_b32_e32 v3, 16, v3
	v_cvt_i32_f32_e32 v3, v3
	s_branch .LBB46_835
.LBB46_831:
	s_mov_b64 s[42:43], -1
                                        ; implicit-def: $vgpr3
	s_branch .LBB46_836
.LBB46_832:
	s_andn2_saveexec_b64 s[38:39], s[38:39]
	s_cbranch_execz .LBB46_813
.LBB46_833:
	v_cmp_ne_u16_e32 vcc, 0, v4
	s_andn2_b64 s[40:41], s[40:41], exec
	s_and_b64 s[42:43], vcc, exec
	s_or_b64 s[40:41], s[40:41], s[42:43]
	s_or_b64 exec, exec, s[38:39]
	v_mov_b32_e32 v3, 0
	s_and_saveexec_b64 s[38:39], s[40:41]
	s_cbranch_execnz .LBB46_814
	s_branch .LBB46_815
.LBB46_834:
	s_mov_b64 s[36:37], -1
                                        ; implicit-def: $vgpr3
.LBB46_835:
	s_mov_b64 s[42:43], 0
.LBB46_836:
	s_and_b64 vcc, exec, s[42:43]
	s_cbranch_vccz .LBB46_838
; %bb.837:
	s_cmp_lg_u32 s44, 11
	s_cselect_b64 s[42:43], -1, 0
	s_andn2_b64 s[36:37], s[36:37], exec
	s_and_b64 s[42:43], s[42:43], exec
	s_mov_b64 s[38:39], -1
	s_or_b64 s[36:37], s[36:37], s[42:43]
.LBB46_838:
	s_mov_b64 s[42:43], 0
.LBB46_839:
	s_and_b64 s[44:45], s[42:43], exec
	s_andn2_b64 s[42:43], s[0:1], exec
	s_and_b64 s[36:37], s[36:37], exec
	s_and_b64 s[40:41], s[40:41], exec
	;; [unrolled: 1-line block ×3, first 2 shown]
	s_or_b64 s[42:43], s[42:43], s[36:37]
.LBB46_840:
	s_or_b64 exec, exec, s[30:31]
	s_and_b64 s[36:37], s[38:39], exec
	s_andn2_b64 s[0:1], s[0:1], exec
	s_and_b64 s[38:39], s[42:43], exec
	s_and_b64 s[40:41], s[40:41], exec
	;; [unrolled: 1-line block ×3, first 2 shown]
	s_or_b64 s[0:1], s[0:1], s[38:39]
.LBB46_841:
	s_or_b64 exec, exec, s[28:29]
	s_andn2_b64 s[24:25], s[24:25], exec
	s_and_b64 s[28:29], s[34:35], exec
	s_andn2_b64 s[22:23], s[22:23], exec
	s_and_b64 s[0:1], s[0:1], exec
	s_or_b64 s[24:25], s[24:25], s[28:29]
	s_and_b64 s[34:35], s[40:41], exec
	s_and_b64 s[30:31], s[30:31], exec
	;; [unrolled: 1-line block ×3, first 2 shown]
	s_or_b64 s[22:23], s[22:23], s[0:1]
.LBB46_842:
	s_or_b64 exec, exec, s[26:27]
	s_andn2_b64 s[0:1], s[16:17], exec
	s_and_b64 s[16:17], s[24:25], exec
	s_andn2_b64 s[18:19], s[18:19], exec
	s_and_b64 s[22:23], s[22:23], exec
	s_or_b64 s[16:17], s[0:1], s[16:17]
	s_and_b64 s[0:1], s[34:35], exec
	s_and_b64 s[26:27], s[30:31], exec
	;; [unrolled: 1-line block ×3, first 2 shown]
	s_or_b64 s[18:19], s[18:19], s[22:23]
	s_or_b64 exec, exec, s[20:21]
	s_mov_b64 s[20:21], 0
	s_and_saveexec_b64 s[22:23], s[18:19]
	s_cbranch_execz .LBB46_258
.LBB46_843:
	s_mov_b64 s[20:21], exec
	s_andn2_b64 s[24:25], s[24:25], exec
	s_trap 2
	s_or_b64 exec, exec, s[22:23]
	s_and_saveexec_b64 s[18:19], s[24:25]
	s_xor_b64 s[18:19], exec, s[18:19]
	s_cbranch_execnz .LBB46_259
.LBB46_844:
	s_or_b64 exec, exec, s[18:19]
	s_and_saveexec_b64 s[18:19], s[26:27]
	s_cbranch_execz .LBB46_890
.LBB46_845:
	s_sext_i32_i16 s22, s46
	s_cmp_lt_i32 s22, 5
	s_cbranch_scc1 .LBB46_850
; %bb.846:
	s_cmp_lt_i32 s22, 8
	s_cbranch_scc1 .LBB46_851
; %bb.847:
	;; [unrolled: 3-line block ×3, first 2 shown]
	s_cmp_gt_i32 s22, 9
	s_cbranch_scc0 .LBB46_853
; %bb.849:
	global_load_dwordx2 v[3:4], v[0:1], off
	s_mov_b64 s[22:23], 0
	s_waitcnt vmcnt(0)
	v_cvt_i32_f64_e32 v3, v[3:4]
	s_branch .LBB46_854
.LBB46_850:
                                        ; implicit-def: $vgpr3
	s_branch .LBB46_871
.LBB46_851:
                                        ; implicit-def: $vgpr3
	s_branch .LBB46_860
.LBB46_852:
	s_mov_b64 s[22:23], -1
                                        ; implicit-def: $vgpr3
	s_branch .LBB46_857
.LBB46_853:
	s_mov_b64 s[22:23], -1
                                        ; implicit-def: $vgpr3
.LBB46_854:
	s_andn2_b64 vcc, exec, s[22:23]
	s_cbranch_vccnz .LBB46_856
; %bb.855:
	global_load_dword v3, v[0:1], off
	s_waitcnt vmcnt(0)
	v_cvt_i32_f32_e32 v3, v3
.LBB46_856:
	s_mov_b64 s[22:23], 0
.LBB46_857:
	s_andn2_b64 vcc, exec, s[22:23]
	s_cbranch_vccnz .LBB46_859
; %bb.858:
	global_load_dword v3, v[0:1], off
	s_waitcnt vmcnt(0)
	v_cvt_f32_f16_e32 v3, v3
	v_cvt_i32_f32_e32 v3, v3
.LBB46_859:
	s_cbranch_execnz .LBB46_870
.LBB46_860:
	s_sext_i32_i16 s22, s46
	s_cmp_lt_i32 s22, 6
	s_cbranch_scc1 .LBB46_863
; %bb.861:
	s_cmp_gt_i32 s22, 6
	s_cbranch_scc0 .LBB46_864
; %bb.862:
	global_load_dwordx2 v[3:4], v[0:1], off
	s_mov_b64 s[22:23], 0
	s_waitcnt vmcnt(0)
	v_cvt_i32_f64_e32 v3, v[3:4]
	s_branch .LBB46_865
.LBB46_863:
	s_mov_b64 s[22:23], -1
                                        ; implicit-def: $vgpr3
	s_branch .LBB46_868
.LBB46_864:
	s_mov_b64 s[22:23], -1
                                        ; implicit-def: $vgpr3
.LBB46_865:
	s_andn2_b64 vcc, exec, s[22:23]
	s_cbranch_vccnz .LBB46_867
; %bb.866:
	global_load_dword v3, v[0:1], off
	s_waitcnt vmcnt(0)
	v_cvt_i32_f32_e32 v3, v3
.LBB46_867:
	s_mov_b64 s[22:23], 0
.LBB46_868:
	s_andn2_b64 vcc, exec, s[22:23]
	s_cbranch_vccnz .LBB46_870
; %bb.869:
	global_load_ushort v3, v[0:1], off
	s_waitcnt vmcnt(0)
	v_cvt_f32_f16_e32 v3, v3
	v_cvt_i32_f32_e32 v3, v3
.LBB46_870:
	s_cbranch_execnz .LBB46_889
.LBB46_871:
	s_sext_i32_i16 s22, s46
	s_cmp_lt_i32 s22, 2
	s_cbranch_scc1 .LBB46_875
; %bb.872:
	s_cmp_lt_i32 s22, 3
	s_cbranch_scc1 .LBB46_876
; %bb.873:
	s_cmp_gt_i32 s22, 3
	s_cbranch_scc0 .LBB46_877
; %bb.874:
	global_load_dword v3, v[0:1], off
	s_mov_b64 s[22:23], 0
	s_branch .LBB46_878
.LBB46_875:
                                        ; implicit-def: $vgpr3
	s_branch .LBB46_884
.LBB46_876:
	s_mov_b64 s[22:23], -1
                                        ; implicit-def: $vgpr3
	s_branch .LBB46_881
.LBB46_877:
	s_mov_b64 s[22:23], -1
                                        ; implicit-def: $vgpr3
.LBB46_878:
	s_andn2_b64 vcc, exec, s[22:23]
	s_cbranch_vccnz .LBB46_880
; %bb.879:
	global_load_dword v3, v[0:1], off
.LBB46_880:
	s_mov_b64 s[22:23], 0
.LBB46_881:
	s_andn2_b64 vcc, exec, s[22:23]
	s_cbranch_vccnz .LBB46_883
; %bb.882:
	global_load_sshort v3, v[0:1], off
.LBB46_883:
	s_cbranch_execnz .LBB46_889
.LBB46_884:
	s_sext_i32_i16 s22, s46
	s_cmp_gt_i32 s22, 0
	s_cbranch_scc0 .LBB46_886
; %bb.885:
	global_load_sbyte v3, v[0:1], off
	s_mov_b64 s[22:23], 0
	s_branch .LBB46_887
.LBB46_886:
	s_mov_b64 s[22:23], -1
                                        ; implicit-def: $vgpr3
.LBB46_887:
	s_andn2_b64 vcc, exec, s[22:23]
	s_cbranch_vccnz .LBB46_889
; %bb.888:
	global_load_ubyte v3, v[0:1], off
.LBB46_889:
	s_or_b64 s[0:1], s[0:1], exec
.LBB46_890:
	s_or_b64 exec, exec, s[18:19]
	s_mov_b64 s[26:27], 0
	s_mov_b64 s[24:25], 0
                                        ; implicit-def: $sgpr18_sgpr19
                                        ; implicit-def: $sgpr30
                                        ; implicit-def: $vgpr0_vgpr1
	s_and_saveexec_b64 s[22:23], s[0:1]
	s_cbranch_execz .LBB46_965
; %bb.891:
	v_mul_lo_u32 v0, v2, s12
	s_waitcnt vmcnt(0)
	v_cmp_ne_u32_e32 vcc, s15, v3
	v_mov_b32_e32 v1, s9
	s_xor_b64 s[18:19], s[6:7], vcc
	v_ashrrev_i32_e32 v2, 31, v0
	s_and_b32 s30, s33, 0xff
	v_add_co_u32_e32 v0, vcc, s8, v0
	s_cmp_lt_i32 s30, 11
	v_addc_co_u32_e32 v1, vcc, v1, v2, vcc
	s_cbranch_scc1 .LBB46_968
; %bb.892:
	s_and_b32 s31, 0xffff, s30
	s_mov_b64 s[24:25], -1
	s_cmp_gt_i32 s31, 25
	s_mov_b64 s[0:1], s[16:17]
	s_cbranch_scc0 .LBB46_925
; %bb.893:
	s_mov_b64 s[6:7], -1
	s_cmp_gt_i32 s31, 28
	s_mov_b64 s[0:1], s[16:17]
	s_cbranch_scc0 .LBB46_909
; %bb.894:
	s_cmp_gt_i32 s31, 43
	s_mov_b64 s[0:1], s[16:17]
	s_cbranch_scc0 .LBB46_905
; %bb.895:
	;; [unrolled: 4-line block ×3, first 2 shown]
	s_cmp_eq_u32 s31, 46
	s_mov_b64 s[0:1], -1
	s_cbranch_scc0 .LBB46_898
; %bb.897:
	v_cndmask_b32_e64 v2, 0, 1.0, s[18:19]
	v_bfe_u32 v3, v2, 16, 1
	s_movk_i32 s0, 0x7fff
	v_add3_u32 v2, v2, v3, s0
	v_lshrrev_b32_e32 v2, 16, v2
	global_store_dword v[0:1], v2, off
	s_mov_b64 s[0:1], 0
.LBB46_898:
	s_mov_b64 s[6:7], 0
.LBB46_899:
	s_and_b64 vcc, exec, s[6:7]
	s_cbranch_vccz .LBB46_904
; %bb.900:
	s_cmp_eq_u32 s31, 44
	s_mov_b64 s[0:1], -1
	s_cbranch_scc0 .LBB46_904
; %bb.901:
	v_cndmask_b32_e64 v3, 0, 1.0, s[18:19]
	v_lshrrev_b32_e32 v2, 23, v3
	s_movk_i32 s0, 0xff
	v_cmp_ne_u32_e32 vcc, s0, v2
	v_mov_b32_e32 v4, 0xff
	s_and_saveexec_b64 s[6:7], vcc
; %bb.902:
	s_mov_b32 s0, 0x3fffff
	v_and_b32_e32 v4, 0x400000, v3
	v_and_or_b32 v3, v3, s0, v2
	v_cmp_ne_u32_e32 vcc, 0, v4
	v_cmp_ne_u32_e64 s[0:1], 0, v3
	s_and_b64 s[0:1], vcc, s[0:1]
	v_cndmask_b32_e64 v3, 0, 1, s[0:1]
	v_add_u32_e32 v4, v2, v3
; %bb.903:
	s_or_b64 exec, exec, s[6:7]
	s_mov_b64 s[0:1], 0
	global_store_byte v[0:1], v4, off
.LBB46_904:
	s_mov_b64 s[6:7], 0
.LBB46_905:
	s_and_b64 vcc, exec, s[6:7]
	s_cbranch_vccz .LBB46_908
; %bb.906:
	s_cmp_eq_u32 s31, 29
	s_mov_b64 s[0:1], -1
	s_cbranch_scc0 .LBB46_908
; %bb.907:
	s_mov_b32 s0, 0
	v_cndmask_b32_e64 v2, 0, 1, s[18:19]
	v_mov_b32_e32 v3, s0
	global_store_dwordx2 v[0:1], v[2:3], off
	s_mov_b64 s[0:1], 0
.LBB46_908:
	s_mov_b64 s[6:7], 0
.LBB46_909:
	s_and_b64 vcc, exec, s[6:7]
	s_cbranch_vccz .LBB46_924
; %bb.910:
	s_cmp_lt_i32 s31, 27
	s_mov_b64 s[6:7], -1
	s_cbranch_scc1 .LBB46_916
; %bb.911:
	s_cmp_gt_i32 s31, 27
	v_cndmask_b32_e64 v2, 0, 1, s[18:19]
	s_cbranch_scc0 .LBB46_913
; %bb.912:
	s_mov_b64 s[6:7], 0
	global_store_dword v[0:1], v2, off
.LBB46_913:
	s_andn2_b64 vcc, exec, s[6:7]
	s_cbranch_vccnz .LBB46_915
; %bb.914:
	global_store_short v[0:1], v2, off
.LBB46_915:
	s_mov_b64 s[6:7], 0
.LBB46_916:
	s_andn2_b64 vcc, exec, s[6:7]
	s_cbranch_vccnz .LBB46_924
; %bb.917:
	v_cndmask_b32_e64 v3, 0, 1.0, s[18:19]
	s_mov_b32 s6, 0x43800000
	v_cmp_gt_u32_e32 vcc, s6, v3
	v_mov_b32_e32 v4, 0x80
	s_and_saveexec_b64 s[6:7], vcc
	s_cbranch_execz .LBB46_923
; %bb.918:
	s_mov_b32 s24, 0x3bffffff
	v_cmp_lt_u32_e32 vcc, s24, v3
	s_mov_b64 s[24:25], 0
                                        ; implicit-def: $vgpr2
	s_and_saveexec_b64 s[26:27], vcc
	s_xor_b64 s[26:27], exec, s[26:27]
	s_cbranch_execz .LBB46_1025
; %bb.919:
	v_bfe_u32 v2, v3, 20, 1
	s_mov_b32 s28, 0x487ffff
	v_add3_u32 v2, v3, v2, s28
	s_mov_b64 s[24:25], exec
	v_lshrrev_b32_e32 v2, 20, v2
                                        ; implicit-def: $vgpr3
	s_andn2_saveexec_b64 s[26:27], s[26:27]
	s_cbranch_execnz .LBB46_1026
.LBB46_920:
	s_or_b64 exec, exec, s[26:27]
	v_mov_b32_e32 v4, 0
	s_and_saveexec_b64 s[26:27], s[24:25]
.LBB46_921:
	v_mov_b32_e32 v4, v2
.LBB46_922:
	s_or_b64 exec, exec, s[26:27]
.LBB46_923:
	s_or_b64 exec, exec, s[6:7]
	global_store_byte v[0:1], v4, off
.LBB46_924:
	s_mov_b64 s[24:25], 0
.LBB46_925:
	s_mov_b64 s[6:7], 0
	s_and_b64 vcc, exec, s[24:25]
	s_cbranch_vccz .LBB46_969
; %bb.926:
	s_cmp_gt_i32 s31, 22
	s_mov_b64 s[24:25], -1
	s_cbranch_scc0 .LBB46_958
; %bb.927:
	s_cmp_lt_i32 s31, 24
	s_cbranch_scc1 .LBB46_947
; %bb.928:
	s_cmp_gt_i32 s31, 24
	s_cbranch_scc0 .LBB46_936
; %bb.929:
	v_cndmask_b32_e64 v3, 0, 1.0, s[18:19]
	s_mov_b32 s24, 0x47800000
	v_cmp_gt_u32_e32 vcc, s24, v3
	v_mov_b32_e32 v4, 0x80
	s_and_saveexec_b64 s[24:25], vcc
	s_cbranch_execz .LBB46_935
; %bb.930:
	s_mov_b32 s26, 0x37ffffff
	v_cmp_lt_u32_e32 vcc, s26, v3
	s_mov_b64 s[26:27], 0
                                        ; implicit-def: $vgpr2
	s_and_saveexec_b64 s[28:29], vcc
	s_xor_b64 s[28:29], exec, s[28:29]
	s_cbranch_execz .LBB46_1145
; %bb.931:
	v_bfe_u32 v2, v3, 21, 1
	s_mov_b32 s34, 0x88fffff
	v_add3_u32 v2, v3, v2, s34
	s_mov_b64 s[26:27], exec
	v_lshrrev_b32_e32 v2, 21, v2
                                        ; implicit-def: $vgpr3
	s_andn2_saveexec_b64 s[28:29], s[28:29]
	s_cbranch_execnz .LBB46_1146
.LBB46_932:
	s_or_b64 exec, exec, s[28:29]
	v_mov_b32_e32 v4, 0
	s_and_saveexec_b64 s[28:29], s[26:27]
.LBB46_933:
	v_mov_b32_e32 v4, v2
.LBB46_934:
	s_or_b64 exec, exec, s[28:29]
.LBB46_935:
	s_or_b64 exec, exec, s[24:25]
	s_mov_b64 s[24:25], 0
	global_store_byte v[0:1], v4, off
.LBB46_936:
	s_and_b64 vcc, exec, s[24:25]
	s_cbranch_vccz .LBB46_946
; %bb.937:
	v_cndmask_b32_e64 v2, 0, 1.0, s[18:19]
	s_mov_b32 s24, 0x43f00000
	v_cmp_gt_u32_e32 vcc, s24, v2
                                        ; implicit-def: $vgpr3
	s_and_saveexec_b64 s[24:25], vcc
	s_xor_b64 s[24:25], exec, s[24:25]
	s_cbranch_execz .LBB46_943
; %bb.938:
	s_mov_b32 s26, 0x3c7fffff
	v_cmp_lt_u32_e32 vcc, s26, v2
                                        ; implicit-def: $vgpr3
	s_and_saveexec_b64 s[26:27], vcc
	s_xor_b64 s[26:27], exec, s[26:27]
; %bb.939:
	v_bfe_u32 v3, v2, 20, 1
	s_mov_b32 s28, 0x407ffff
	v_add3_u32 v2, v2, v3, s28
	v_lshrrev_b32_e32 v3, 20, v2
	v_and_b32_e32 v2, 0xff00000, v2
	s_mov_b32 s28, 0x7f00000
	v_mov_b32_e32 v4, 0x7e
	v_cmp_ne_u32_e32 vcc, s28, v2
	v_cndmask_b32_e32 v3, v4, v3, vcc
                                        ; implicit-def: $vgpr2
; %bb.940:
	s_andn2_saveexec_b64 s[26:27], s[26:27]
; %bb.941:
	v_add_f32_e32 v3, 0x46800000, v2
; %bb.942:
	s_or_b64 exec, exec, s[26:27]
                                        ; implicit-def: $vgpr2
.LBB46_943:
	s_andn2_saveexec_b64 s[24:25], s[24:25]
; %bb.944:
	s_mov_b32 s26, 0x7f800000
	v_mov_b32_e32 v3, 0x7e
	v_mov_b32_e32 v4, 0x7f
	v_cmp_lt_u32_e32 vcc, s26, v2
	v_cndmask_b32_e32 v3, v3, v4, vcc
; %bb.945:
	s_or_b64 exec, exec, s[24:25]
	global_store_byte v[0:1], v3, off
.LBB46_946:
	s_mov_b64 s[24:25], 0
.LBB46_947:
	s_andn2_b64 vcc, exec, s[24:25]
	s_cbranch_vccnz .LBB46_957
; %bb.948:
	v_cndmask_b32_e64 v2, 0, 1.0, s[18:19]
	s_mov_b32 s24, 0x47800000
	v_cmp_gt_u32_e32 vcc, s24, v2
                                        ; implicit-def: $vgpr3
	s_and_saveexec_b64 s[24:25], vcc
	s_xor_b64 s[24:25], exec, s[24:25]
	s_cbranch_execz .LBB46_954
; %bb.949:
	s_mov_b32 s26, 0x387fffff
	v_cmp_lt_u32_e32 vcc, s26, v2
                                        ; implicit-def: $vgpr3
	s_and_saveexec_b64 s[26:27], vcc
	s_xor_b64 s[26:27], exec, s[26:27]
; %bb.950:
	v_bfe_u32 v3, v2, 21, 1
	s_mov_b32 s28, 0x80fffff
	v_add3_u32 v2, v2, v3, s28
	v_lshrrev_b32_e32 v3, 21, v2
                                        ; implicit-def: $vgpr2
; %bb.951:
	s_andn2_saveexec_b64 s[26:27], s[26:27]
; %bb.952:
	v_add_f32_e32 v3, 0x43000000, v2
; %bb.953:
	s_or_b64 exec, exec, s[26:27]
                                        ; implicit-def: $vgpr2
.LBB46_954:
	s_andn2_saveexec_b64 s[24:25], s[24:25]
; %bb.955:
	s_mov_b32 s26, 0x7f800000
	v_mov_b32_e32 v3, 0x7c
	v_mov_b32_e32 v4, 0x7f
	v_cmp_lt_u32_e32 vcc, s26, v2
	v_cndmask_b32_e32 v3, v3, v4, vcc
; %bb.956:
	s_or_b64 exec, exec, s[24:25]
	global_store_byte v[0:1], v3, off
.LBB46_957:
	s_mov_b64 s[24:25], 0
.LBB46_958:
	s_andn2_b64 vcc, exec, s[24:25]
	s_mov_b64 s[26:27], 0
	s_cbranch_vccnz .LBB46_970
; %bb.959:
	s_cmp_gt_i32 s31, 14
	s_mov_b64 s[24:25], -1
	s_cbranch_scc0 .LBB46_963
; %bb.960:
	s_cmp_eq_u32 s31, 15
	s_mov_b64 s[0:1], -1
	s_cbranch_scc0 .LBB46_962
; %bb.961:
	v_cndmask_b32_e64 v2, 0, 1.0, s[18:19]
	v_bfe_u32 v3, v2, 16, 1
	s_movk_i32 s0, 0x7fff
	v_add3_u32 v2, v2, v3, s0
	global_store_short_d16_hi v[0:1], v2, off
	s_mov_b64 s[0:1], 0
.LBB46_962:
	s_mov_b64 s[24:25], 0
.LBB46_963:
	s_and_b64 vcc, exec, s[24:25]
	s_cbranch_vccz .LBB46_970
; %bb.964:
	s_cmp_lg_u32 s31, 11
	s_cselect_b64 s[24:25], -1, 0
	s_andn2_b64 s[0:1], s[0:1], exec
	s_and_b64 s[24:25], s[24:25], exec
	s_mov_b64 s[26:27], -1
	s_or_b64 s[0:1], s[0:1], s[24:25]
	s_branch .LBB46_970
.LBB46_965:
	s_or_b64 exec, exec, s[22:23]
	s_and_saveexec_b64 s[0:1], s[16:17]
	s_cbranch_execnz .LBB46_971
.LBB46_966:
	s_or_b64 exec, exec, s[0:1]
	s_and_saveexec_b64 s[0:1], s[26:27]
	s_xor_b64 s[0:1], exec, s[0:1]
	s_cbranch_execz .LBB46_972
.LBB46_967:
	v_cndmask_b32_e64 v2, 0, 1, s[18:19]
	global_store_byte v[0:1], v2, off
	s_or_b64 exec, exec, s[0:1]
	s_and_saveexec_b64 s[0:1], s[24:25]
	s_xor_b64 s[0:1], exec, s[0:1]
	s_cbranch_execz .LBB46_1010
	s_branch .LBB46_973
.LBB46_968:
	s_mov_b64 s[6:7], -1
	s_mov_b64 s[0:1], s[16:17]
	s_branch .LBB46_970
.LBB46_969:
	s_mov_b64 s[26:27], 0
.LBB46_970:
	s_and_b64 s[24:25], s[6:7], exec
	s_andn2_b64 s[6:7], s[16:17], exec
	s_and_b64 s[0:1], s[0:1], exec
	s_and_b64 s[26:27], s[26:27], exec
	s_or_b64 s[16:17], s[6:7], s[0:1]
	s_or_b64 exec, exec, s[22:23]
	s_and_saveexec_b64 s[0:1], s[16:17]
	s_cbranch_execz .LBB46_966
.LBB46_971:
	s_or_b64 s[20:21], s[20:21], exec
	s_andn2_b64 s[26:27], s[26:27], exec
	s_trap 2
	s_or_b64 exec, exec, s[0:1]
	s_and_saveexec_b64 s[0:1], s[26:27]
	s_xor_b64 s[0:1], exec, s[0:1]
	s_cbranch_execnz .LBB46_967
.LBB46_972:
	s_or_b64 exec, exec, s[0:1]
	s_and_saveexec_b64 s[0:1], s[24:25]
	s_xor_b64 s[0:1], exec, s[0:1]
	s_cbranch_execz .LBB46_1010
.LBB46_973:
	s_sext_i32_i16 s16, s30
	s_cmp_lt_i32 s16, 5
	s_mov_b64 s[6:7], -1
	s_cbranch_scc1 .LBB46_994
; %bb.974:
	s_cmp_lt_i32 s16, 8
	s_cbranch_scc1 .LBB46_984
; %bb.975:
	s_cmp_lt_i32 s16, 9
	s_cbranch_scc1 .LBB46_981
; %bb.976:
	s_cmp_gt_i32 s16, 9
	s_cbranch_scc0 .LBB46_978
; %bb.977:
	v_cndmask_b32_e64 v2, 0, 1, s[18:19]
	s_waitcnt vmcnt(0)
	v_cvt_f64_u32_e32 v[2:3], v2
	v_mov_b32_e32 v4, 0
	v_mov_b32_e32 v5, v4
	s_mov_b64 s[6:7], 0
	global_store_dwordx4 v[0:1], v[2:5], off
.LBB46_978:
	s_andn2_b64 vcc, exec, s[6:7]
	s_cbranch_vccnz .LBB46_980
; %bb.979:
	v_cndmask_b32_e64 v2, 0, 1.0, s[18:19]
	s_waitcnt vmcnt(0)
	v_mov_b32_e32 v3, 0
	global_store_dwordx2 v[0:1], v[2:3], off
.LBB46_980:
	s_mov_b64 s[6:7], 0
.LBB46_981:
	s_andn2_b64 vcc, exec, s[6:7]
	s_cbranch_vccnz .LBB46_983
; %bb.982:
	v_cndmask_b32_e64 v2, 0, 1.0, s[18:19]
	v_cvt_f16_f32_e32 v2, v2
	global_store_dword v[0:1], v2, off
.LBB46_983:
	s_mov_b64 s[6:7], 0
.LBB46_984:
	s_andn2_b64 vcc, exec, s[6:7]
	s_cbranch_vccnz .LBB46_993
; %bb.985:
	s_sext_i32_i16 s16, s30
	s_cmp_lt_i32 s16, 6
	s_mov_b64 s[6:7], -1
	s_cbranch_scc1 .LBB46_991
; %bb.986:
	s_cmp_gt_i32 s16, 6
	s_cbranch_scc0 .LBB46_988
; %bb.987:
	v_cndmask_b32_e64 v2, 0, 1, s[18:19]
	s_waitcnt vmcnt(0)
	v_cvt_f64_u32_e32 v[2:3], v2
	s_mov_b64 s[6:7], 0
	global_store_dwordx2 v[0:1], v[2:3], off
.LBB46_988:
	s_andn2_b64 vcc, exec, s[6:7]
	s_cbranch_vccnz .LBB46_990
; %bb.989:
	v_cndmask_b32_e64 v2, 0, 1.0, s[18:19]
	global_store_dword v[0:1], v2, off
.LBB46_990:
	s_mov_b64 s[6:7], 0
.LBB46_991:
	s_andn2_b64 vcc, exec, s[6:7]
	s_cbranch_vccnz .LBB46_993
; %bb.992:
	v_cndmask_b32_e64 v2, 0, 1.0, s[18:19]
	v_cvt_f16_f32_e32 v2, v2
	global_store_short v[0:1], v2, off
.LBB46_993:
	s_mov_b64 s[6:7], 0
.LBB46_994:
	s_andn2_b64 vcc, exec, s[6:7]
	s_cbranch_vccnz .LBB46_1010
; %bb.995:
	s_sext_i32_i16 s16, s30
	s_cmp_lt_i32 s16, 2
	s_mov_b64 s[6:7], -1
	s_cbranch_scc1 .LBB46_1005
; %bb.996:
	s_cmp_lt_i32 s16, 3
	s_cbranch_scc1 .LBB46_1002
; %bb.997:
	s_cmp_gt_i32 s16, 3
	s_cbranch_scc0 .LBB46_999
; %bb.998:
	s_mov_b32 s6, 0
	v_cndmask_b32_e64 v2, 0, 1, s[18:19]
	s_waitcnt vmcnt(0)
	v_mov_b32_e32 v3, s6
	s_mov_b64 s[6:7], 0
	global_store_dwordx2 v[0:1], v[2:3], off
.LBB46_999:
	s_andn2_b64 vcc, exec, s[6:7]
	s_cbranch_vccnz .LBB46_1001
; %bb.1000:
	v_cndmask_b32_e64 v2, 0, 1, s[18:19]
	global_store_dword v[0:1], v2, off
.LBB46_1001:
	s_mov_b64 s[6:7], 0
.LBB46_1002:
	s_andn2_b64 vcc, exec, s[6:7]
	s_cbranch_vccnz .LBB46_1004
; %bb.1003:
	v_cndmask_b32_e64 v2, 0, 1, s[18:19]
	global_store_short v[0:1], v2, off
.LBB46_1004:
	s_mov_b64 s[6:7], 0
.LBB46_1005:
	s_andn2_b64 vcc, exec, s[6:7]
	s_cbranch_vccnz .LBB46_1010
; %bb.1006:
	s_sext_i32_i16 s16, s30
	s_mov_b64 s[6:7], -1
	s_cmp_gt_i32 s16, 0
	v_cndmask_b32_e64 v2, 0, 1, s[18:19]
	s_cbranch_scc0 .LBB46_1008
; %bb.1007:
	s_mov_b64 s[6:7], 0
	global_store_byte v[0:1], v2, off
.LBB46_1008:
	s_andn2_b64 vcc, exec, s[6:7]
	s_cbranch_vccnz .LBB46_1010
; %bb.1009:
	global_store_byte v[0:1], v2, off
.LBB46_1010:
	s_or_b64 exec, exec, s[0:1]
	s_and_b64 s[6:7], s[20:21], exec
                                        ; implicit-def: $vgpr2
.LBB46_1011:
	s_or_saveexec_b64 s[4:5], s[4:5]
	s_mov_b64 s[0:1], 0
                                        ; implicit-def: $sgpr18_sgpr19
                                        ; implicit-def: $sgpr26
                                        ; implicit-def: $vgpr0_vgpr1
	s_xor_b64 exec, exec, s[4:5]
	s_cbranch_execz .LBB46_1942
; %bb.1012:
	s_waitcnt vmcnt(0)
	v_mul_lo_u32 v3, s13, v2
	v_mov_b32_e32 v1, s11
	s_and_b32 s22, 0xffff, s46
	s_cmp_lt_i32 s22, 11
	v_ashrrev_i32_e32 v4, 31, v3
	v_add_co_u32_e32 v0, vcc, s10, v3
	v_addc_co_u32_e32 v1, vcc, v1, v4, vcc
	s_cbranch_scc1 .LBB46_1019
; %bb.1013:
	s_cmp_gt_i32 s22, 25
	s_cbranch_scc0 .LBB46_1021
; %bb.1014:
	s_cmp_gt_i32 s22, 28
	s_cbranch_scc0 .LBB46_1022
	;; [unrolled: 3-line block ×4, first 2 shown]
; %bb.1017:
	s_cmp_eq_u32 s22, 46
	s_mov_b64 s[16:17], 0
	s_cbranch_scc0 .LBB46_1027
; %bb.1018:
	global_load_dword v4, v[0:1], off
	s_mov_b64 s[18:19], -1
	s_waitcnt vmcnt(0)
	v_lshlrev_b32_e32 v4, 16, v4
	v_cvt_i32_f32_e32 v6, v4
	s_branch .LBB46_1028
.LBB46_1019:
	s_mov_b64 s[18:19], 0
                                        ; implicit-def: $vgpr6
	s_mov_b64 s[16:17], s[6:7]
	s_cbranch_execnz .LBB46_1086
.LBB46_1020:
	s_andn2_b64 vcc, exec, s[18:19]
	s_cbranch_vccz .LBB46_1131
	s_branch .LBB46_1940
.LBB46_1021:
	s_mov_b64 s[18:19], 0
                                        ; implicit-def: $vgpr6
	s_cbranch_execnz .LBB46_1053
	s_branch .LBB46_1082
.LBB46_1022:
	s_mov_b64 s[18:19], 0
                                        ; implicit-def: $vgpr6
	s_cbranch_execz .LBB46_1052
	s_branch .LBB46_1037
.LBB46_1023:
	s_mov_b64 s[18:19], 0
                                        ; implicit-def: $vgpr6
	s_cbranch_execnz .LBB46_1033
	s_branch .LBB46_1036
.LBB46_1024:
	s_mov_b64 s[16:17], -1
	s_mov_b64 s[18:19], 0
                                        ; implicit-def: $vgpr6
	s_branch .LBB46_1028
.LBB46_1025:
	s_andn2_saveexec_b64 s[26:27], s[26:27]
	s_cbranch_execz .LBB46_920
.LBB46_1026:
	v_add_f32_e32 v2, 0x46000000, v3
	v_and_b32_e32 v2, 0xff, v2
	v_cmp_ne_u32_e32 vcc, 0, v2
	s_andn2_b64 s[24:25], s[24:25], exec
	s_and_b64 s[28:29], vcc, exec
	s_or_b64 s[24:25], s[24:25], s[28:29]
	s_or_b64 exec, exec, s[26:27]
	v_mov_b32_e32 v4, 0
	s_and_saveexec_b64 s[26:27], s[24:25]
	s_cbranch_execnz .LBB46_921
	s_branch .LBB46_922
.LBB46_1027:
	s_mov_b64 s[0:1], -1
                                        ; implicit-def: $vgpr6
	s_mov_b64 s[18:19], 0
.LBB46_1028:
	s_and_b64 vcc, exec, s[16:17]
	s_cbranch_vccz .LBB46_1031
; %bb.1029:
	s_cmp_eq_u32 s22, 44
	s_cbranch_scc0 .LBB46_1032
; %bb.1030:
	global_load_ubyte v4, v[0:1], off
	s_mov_b64 s[0:1], 0
	s_mov_b64 s[18:19], -1
	s_waitcnt vmcnt(0)
	v_lshlrev_b32_e32 v5, 23, v4
	v_cvt_i32_f32_e32 v5, v5
	v_cmp_ne_u32_e32 vcc, 0, v4
	v_cndmask_b32_e32 v6, 0, v5, vcc
.LBB46_1031:
	s_branch .LBB46_1036
.LBB46_1032:
	s_mov_b64 s[0:1], -1
                                        ; implicit-def: $vgpr6
	s_branch .LBB46_1036
.LBB46_1033:
	s_cmp_eq_u32 s22, 29
	s_cbranch_scc0 .LBB46_1035
; %bb.1034:
	global_load_dword v6, v[0:1], off
	s_mov_b64 s[0:1], 0
	s_mov_b64 s[18:19], -1
	s_branch .LBB46_1036
.LBB46_1035:
	s_mov_b64 s[0:1], -1
                                        ; implicit-def: $vgpr6
.LBB46_1036:
	s_branch .LBB46_1052
.LBB46_1037:
	s_cmp_lt_i32 s22, 27
	s_cbranch_scc1 .LBB46_1040
; %bb.1038:
	s_cmp_gt_i32 s22, 27
	s_cbranch_scc0 .LBB46_1041
; %bb.1039:
	global_load_dword v6, v[0:1], off
	s_mov_b64 s[16:17], 0
	s_branch .LBB46_1042
.LBB46_1040:
	s_mov_b64 s[16:17], -1
                                        ; implicit-def: $vgpr6
	s_branch .LBB46_1045
.LBB46_1041:
	s_mov_b64 s[16:17], -1
                                        ; implicit-def: $vgpr6
.LBB46_1042:
	s_andn2_b64 vcc, exec, s[16:17]
	s_cbranch_vccnz .LBB46_1044
; %bb.1043:
	global_load_ushort v6, v[0:1], off
.LBB46_1044:
	s_mov_b64 s[16:17], 0
.LBB46_1045:
	s_andn2_b64 vcc, exec, s[16:17]
	s_cbranch_vccnz .LBB46_1051
; %bb.1046:
	global_load_ubyte v4, v[0:1], off
	s_movk_i32 s16, 0x7f
	s_mov_b64 s[18:19], 0
	s_waitcnt vmcnt(0)
	v_cmp_lt_i16_e32 vcc, s16, v4
	s_and_saveexec_b64 s[16:17], vcc
	s_xor_b64 s[16:17], exec, s[16:17]
	s_cbranch_execz .LBB46_1062
; %bb.1047:
	s_movk_i32 s18, 0x80
	v_cmp_ne_u16_e32 vcc, s18, v4
	s_and_b64 s[18:19], vcc, exec
	s_andn2_saveexec_b64 s[16:17], s[16:17]
	s_cbranch_execnz .LBB46_1063
.LBB46_1048:
	s_or_b64 exec, exec, s[16:17]
	v_mov_b32_e32 v6, 0
	s_and_saveexec_b64 s[16:17], s[18:19]
	s_cbranch_execz .LBB46_1050
.LBB46_1049:
	v_lshlrev_b32_e32 v5, 24, v4
	v_and_b32_e32 v4, 0xffff, v4
	v_and_b32_e32 v6, 7, v4
	v_ffbh_u32_e32 v8, v6
	v_min_u32_e32 v8, 32, v8
	v_subrev_u32_e32 v9, 28, v8
	v_bfe_u32 v7, v4, 3, 4
	v_lshlrev_b32_e32 v4, v9, v4
	v_sub_u32_e32 v8, 29, v8
	v_and_b32_e32 v4, 7, v4
	v_cmp_eq_u32_e32 vcc, 0, v7
	v_cndmask_b32_e32 v7, v7, v8, vcc
	v_cndmask_b32_e32 v4, v6, v4, vcc
	v_mov_b32_e32 v6, 0x3b800000
	v_lshlrev_b32_e32 v4, 20, v4
	v_and_b32_e32 v5, 0x80000000, v5
	v_lshl_add_u32 v6, v7, 23, v6
	v_or3_b32 v4, v5, v6, v4
	v_cvt_i32_f32_e32 v6, v4
.LBB46_1050:
	s_or_b64 exec, exec, s[16:17]
.LBB46_1051:
	s_mov_b64 s[18:19], -1
.LBB46_1052:
	s_branch .LBB46_1082
.LBB46_1053:
	s_cmp_gt_i32 s22, 22
	s_cbranch_scc0 .LBB46_1061
; %bb.1054:
	s_cmp_lt_i32 s22, 24
	s_cbranch_scc1 .LBB46_1064
; %bb.1055:
	s_cmp_gt_i32 s22, 24
	s_cbranch_scc0 .LBB46_1065
; %bb.1056:
	global_load_ubyte v4, v[0:1], off
	s_movk_i32 s2, 0x7f
	s_mov_b64 s[16:17], 0
	s_waitcnt vmcnt(0)
	v_cmp_lt_i16_e32 vcc, s2, v4
	s_and_saveexec_b64 s[2:3], vcc
	s_xor_b64 s[2:3], exec, s[2:3]
	s_cbranch_execz .LBB46_1076
; %bb.1057:
	s_movk_i32 s16, 0x80
	v_cmp_ne_u16_e32 vcc, s16, v4
	s_and_b64 s[16:17], vcc, exec
	s_andn2_saveexec_b64 s[2:3], s[2:3]
	s_cbranch_execnz .LBB46_1077
.LBB46_1058:
	s_or_b64 exec, exec, s[2:3]
	v_mov_b32_e32 v6, 0
	s_and_saveexec_b64 s[2:3], s[16:17]
	s_cbranch_execz .LBB46_1060
.LBB46_1059:
	v_lshlrev_b32_e32 v5, 24, v4
	v_and_b32_e32 v4, 0xffff, v4
	v_and_b32_e32 v6, 3, v4
	v_ffbh_u32_e32 v8, v6
	v_min_u32_e32 v8, 32, v8
	v_subrev_u32_e32 v9, 29, v8
	v_bfe_u32 v7, v4, 2, 5
	v_lshlrev_b32_e32 v4, v9, v4
	v_sub_u32_e32 v8, 30, v8
	v_and_b32_e32 v4, 3, v4
	v_cmp_eq_u32_e32 vcc, 0, v7
	v_cndmask_b32_e32 v7, v7, v8, vcc
	v_cndmask_b32_e32 v4, v6, v4, vcc
	v_mov_b32_e32 v6, 0x37800000
	v_lshlrev_b32_e32 v4, 21, v4
	v_and_b32_e32 v5, 0x80000000, v5
	v_lshl_add_u32 v6, v7, 23, v6
	v_or3_b32 v4, v5, v6, v4
	v_cvt_i32_f32_e32 v6, v4
.LBB46_1060:
	s_or_b64 exec, exec, s[2:3]
	s_mov_b64 s[2:3], 0
	s_branch .LBB46_1066
.LBB46_1061:
                                        ; implicit-def: $vgpr6
	s_mov_b64 s[2:3], 0
	s_branch .LBB46_1072
.LBB46_1062:
	s_andn2_saveexec_b64 s[16:17], s[16:17]
	s_cbranch_execz .LBB46_1048
.LBB46_1063:
	v_cmp_ne_u16_e32 vcc, 0, v4
	s_andn2_b64 s[18:19], s[18:19], exec
	s_and_b64 s[20:21], vcc, exec
	s_or_b64 s[18:19], s[18:19], s[20:21]
	s_or_b64 exec, exec, s[16:17]
	v_mov_b32_e32 v6, 0
	s_and_saveexec_b64 s[16:17], s[18:19]
	s_cbranch_execnz .LBB46_1049
	s_branch .LBB46_1050
.LBB46_1064:
	s_mov_b64 s[2:3], -1
                                        ; implicit-def: $vgpr6
	s_branch .LBB46_1069
.LBB46_1065:
	s_mov_b64 s[2:3], -1
                                        ; implicit-def: $vgpr6
.LBB46_1066:
	s_and_b64 vcc, exec, s[2:3]
	s_cbranch_vccz .LBB46_1068
; %bb.1067:
	global_load_ubyte v4, v[0:1], off
	s_mov_b32 s2, 0x7f800000
	s_waitcnt vmcnt(0)
	v_lshlrev_b32_e32 v4, 24, v4
	v_and_b32_e32 v5, 0x7f000000, v4
	v_ffbh_u32_e32 v6, v5
	v_min_u32_e32 v6, 32, v6
	v_sub_u32_e64 v6, v6, 4 clamp
	v_lshlrev_b32_e32 v8, v6, v5
	v_lshlrev_b32_e32 v6, 23, v6
	v_lshrrev_b32_e32 v8, 4, v8
	v_add_u32_e32 v7, 0x1000000, v5
	v_sub_u32_e32 v6, v8, v6
	v_ashrrev_i32_e32 v7, 8, v7
	v_add_u32_e32 v6, 0x3c000000, v6
	v_and_or_b32 v6, v7, s2, v6
	v_cmp_ne_u32_e32 vcc, 0, v5
	v_cndmask_b32_e32 v5, 0, v6, vcc
	s_brev_b32 s2, 1
	v_and_or_b32 v4, v4, s2, v5
	v_cvt_i32_f32_e32 v6, v4
.LBB46_1068:
	s_mov_b64 s[2:3], 0
.LBB46_1069:
	s_andn2_b64 vcc, exec, s[2:3]
	s_cbranch_vccnz .LBB46_1071
; %bb.1070:
	global_load_ubyte v4, v[0:1], off
	s_movk_i32 s2, 0x7f00
	s_brev_b32 s3, 16
	s_waitcnt vmcnt(0)
	v_lshlrev_b16_e32 v5, 8, v4
	v_lshlrev_b32_e32 v4, 25, v4
	v_lshrrev_b32_e32 v6, 4, v4
	v_and_or_b32 v7, v5, s2, 0.5
	v_or_b32_e32 v6, 0x70000000, v6
	v_add_f32_e32 v7, -0.5, v7
	v_mul_f32_e32 v6, 0x7800000, v6
	v_cmp_gt_u32_e32 vcc, s3, v4
	v_bfe_i32 v5, v5, 0, 16
	v_cndmask_b32_e32 v4, v6, v7, vcc
	s_brev_b32 s2, 1
	v_and_or_b32 v4, v5, s2, v4
	v_cvt_i32_f32_e32 v6, v4
.LBB46_1071:
	s_mov_b64 s[18:19], -1
	s_mov_b64 s[2:3], 0
	s_cbranch_execnz .LBB46_1082
.LBB46_1072:
	s_cmp_gt_i32 s22, 14
	s_cbranch_scc0 .LBB46_1075
; %bb.1073:
	s_cmp_eq_u32 s22, 15
	s_cbranch_scc0 .LBB46_1078
; %bb.1074:
	global_load_ushort v4, v[0:1], off
	s_mov_b64 s[0:1], 0
	s_mov_b64 s[18:19], -1
	s_waitcnt vmcnt(0)
	v_lshlrev_b32_e32 v4, 16, v4
	v_cvt_i32_f32_e32 v6, v4
	s_branch .LBB46_1079
.LBB46_1075:
	s_mov_b64 s[16:17], -1
                                        ; implicit-def: $vgpr6
	s_branch .LBB46_1080
.LBB46_1076:
	s_andn2_saveexec_b64 s[2:3], s[2:3]
	s_cbranch_execz .LBB46_1058
.LBB46_1077:
	v_cmp_ne_u16_e32 vcc, 0, v4
	s_andn2_b64 s[16:17], s[16:17], exec
	s_and_b64 s[18:19], vcc, exec
	s_or_b64 s[16:17], s[16:17], s[18:19]
	s_or_b64 exec, exec, s[2:3]
	v_mov_b32_e32 v6, 0
	s_and_saveexec_b64 s[2:3], s[16:17]
	s_cbranch_execnz .LBB46_1059
	s_branch .LBB46_1060
.LBB46_1078:
	s_mov_b64 s[0:1], -1
                                        ; implicit-def: $vgpr6
.LBB46_1079:
	s_mov_b64 s[16:17], 0
.LBB46_1080:
	s_and_b64 vcc, exec, s[16:17]
	s_cbranch_vccz .LBB46_1082
; %bb.1081:
	s_cmp_lg_u32 s22, 11
	s_mov_b64 s[2:3], -1
	s_cselect_b64 s[0:1], -1, 0
.LBB46_1082:
	s_and_b64 vcc, exec, s[0:1]
	s_mov_b64 s[16:17], s[6:7]
	s_cbranch_vccnz .LBB46_1143
; %bb.1083:
	s_andn2_b64 vcc, exec, s[2:3]
	s_cbranch_vccnz .LBB46_1085
.LBB46_1084:
	global_load_ubyte v4, v[0:1], off
	s_mov_b64 s[18:19], -1
	s_waitcnt vmcnt(0)
	v_cmp_ne_u16_e32 vcc, 0, v4
	v_cndmask_b32_e64 v6, 0, 1, vcc
.LBB46_1085:
	s_branch .LBB46_1020
.LBB46_1086:
	s_cmp_lt_i32 s22, 5
	s_cbranch_scc1 .LBB46_1091
; %bb.1087:
	s_cmp_lt_i32 s22, 8
	s_cbranch_scc1 .LBB46_1092
; %bb.1088:
	;; [unrolled: 3-line block ×3, first 2 shown]
	s_cmp_gt_i32 s22, 9
	s_cbranch_scc0 .LBB46_1094
; %bb.1090:
	global_load_dwordx2 v[4:5], v[0:1], off
	s_mov_b64 s[0:1], 0
	s_waitcnt vmcnt(0)
	v_cvt_i32_f64_e32 v6, v[4:5]
	s_branch .LBB46_1095
.LBB46_1091:
                                        ; implicit-def: $vgpr6
	s_branch .LBB46_1112
.LBB46_1092:
                                        ; implicit-def: $vgpr6
	s_branch .LBB46_1101
.LBB46_1093:
	s_mov_b64 s[0:1], -1
                                        ; implicit-def: $vgpr6
	s_branch .LBB46_1098
.LBB46_1094:
	s_mov_b64 s[0:1], -1
                                        ; implicit-def: $vgpr6
.LBB46_1095:
	s_andn2_b64 vcc, exec, s[0:1]
	s_cbranch_vccnz .LBB46_1097
; %bb.1096:
	global_load_dword v4, v[0:1], off
	s_waitcnt vmcnt(0)
	v_cvt_i32_f32_e32 v6, v4
.LBB46_1097:
	s_mov_b64 s[0:1], 0
.LBB46_1098:
	s_andn2_b64 vcc, exec, s[0:1]
	s_cbranch_vccnz .LBB46_1100
; %bb.1099:
	global_load_dword v4, v[0:1], off
	s_waitcnt vmcnt(0)
	v_cvt_f32_f16_e32 v4, v4
	v_cvt_i32_f32_e32 v6, v4
.LBB46_1100:
	s_cbranch_execnz .LBB46_1111
.LBB46_1101:
	s_cmp_lt_i32 s22, 6
	s_cbranch_scc1 .LBB46_1104
; %bb.1102:
	s_cmp_gt_i32 s22, 6
	s_cbranch_scc0 .LBB46_1105
; %bb.1103:
	global_load_dwordx2 v[4:5], v[0:1], off
	s_mov_b64 s[0:1], 0
	s_waitcnt vmcnt(0)
	v_cvt_i32_f64_e32 v6, v[4:5]
	s_branch .LBB46_1106
.LBB46_1104:
	s_mov_b64 s[0:1], -1
                                        ; implicit-def: $vgpr6
	s_branch .LBB46_1109
.LBB46_1105:
	s_mov_b64 s[0:1], -1
                                        ; implicit-def: $vgpr6
.LBB46_1106:
	s_andn2_b64 vcc, exec, s[0:1]
	s_cbranch_vccnz .LBB46_1108
; %bb.1107:
	global_load_dword v4, v[0:1], off
	s_waitcnt vmcnt(0)
	v_cvt_i32_f32_e32 v6, v4
.LBB46_1108:
	s_mov_b64 s[0:1], 0
.LBB46_1109:
	s_andn2_b64 vcc, exec, s[0:1]
	s_cbranch_vccnz .LBB46_1111
; %bb.1110:
	global_load_ushort v4, v[0:1], off
	s_waitcnt vmcnt(0)
	v_cvt_f32_f16_e32 v4, v4
	v_cvt_i32_f32_e32 v6, v4
.LBB46_1111:
	s_cbranch_execnz .LBB46_1130
.LBB46_1112:
	s_cmp_lt_i32 s22, 2
	s_cbranch_scc1 .LBB46_1116
; %bb.1113:
	s_cmp_lt_i32 s22, 3
	s_cbranch_scc1 .LBB46_1117
; %bb.1114:
	s_cmp_gt_i32 s22, 3
	s_cbranch_scc0 .LBB46_1118
; %bb.1115:
	global_load_dword v6, v[0:1], off
	s_mov_b64 s[0:1], 0
	s_branch .LBB46_1119
.LBB46_1116:
                                        ; implicit-def: $vgpr6
	s_branch .LBB46_1125
.LBB46_1117:
	s_mov_b64 s[0:1], -1
                                        ; implicit-def: $vgpr6
	s_branch .LBB46_1122
.LBB46_1118:
	s_mov_b64 s[0:1], -1
                                        ; implicit-def: $vgpr6
.LBB46_1119:
	s_andn2_b64 vcc, exec, s[0:1]
	s_cbranch_vccnz .LBB46_1121
; %bb.1120:
	global_load_dword v6, v[0:1], off
.LBB46_1121:
	s_mov_b64 s[0:1], 0
.LBB46_1122:
	s_andn2_b64 vcc, exec, s[0:1]
	s_cbranch_vccnz .LBB46_1124
; %bb.1123:
	global_load_sshort v6, v[0:1], off
.LBB46_1124:
	s_cbranch_execnz .LBB46_1130
.LBB46_1125:
	s_cmp_gt_i32 s22, 0
	s_cbranch_scc0 .LBB46_1127
; %bb.1126:
	global_load_sbyte v6, v[0:1], off
	s_mov_b64 s[0:1], 0
	s_branch .LBB46_1128
.LBB46_1127:
	s_mov_b64 s[0:1], -1
                                        ; implicit-def: $vgpr6
.LBB46_1128:
	s_andn2_b64 vcc, exec, s[0:1]
	s_cbranch_vccnz .LBB46_1130
; %bb.1129:
	global_load_ubyte v6, v[0:1], off
.LBB46_1130:
.LBB46_1131:
	s_lshl_b32 s13, s13, 7
	v_add_u32_e32 v3, s13, v3
	v_ashrrev_i32_e32 v1, 31, v3
	v_mov_b32_e32 v4, s11
	v_add_co_u32_e32 v0, vcc, s10, v3
	s_cmp_lt_i32 s22, 11
	v_addc_co_u32_e32 v1, vcc, v4, v1, vcc
	s_cbranch_scc1 .LBB46_1138
; %bb.1132:
	s_cmp_gt_i32 s22, 25
	s_mov_b64 s[2:3], 0
	s_cbranch_scc0 .LBB46_1140
; %bb.1133:
	s_cmp_gt_i32 s22, 28
	s_cbranch_scc0 .LBB46_1141
; %bb.1134:
	s_cmp_gt_i32 s22, 43
	s_cbranch_scc0 .LBB46_1142
; %bb.1135:
	s_cmp_gt_i32 s22, 45
	s_cbranch_scc0 .LBB46_1144
; %bb.1136:
	s_cmp_eq_u32 s22, 46
	s_mov_b64 s[20:21], 0
	s_cbranch_scc0 .LBB46_1147
; %bb.1137:
	global_load_dword v4, v[0:1], off
	s_mov_b64 s[0:1], 0
	s_mov_b64 s[18:19], -1
	s_waitcnt vmcnt(0)
	v_lshlrev_b32_e32 v4, 16, v4
	v_cvt_i32_f32_e32 v5, v4
	s_branch .LBB46_1148
.LBB46_1138:
	s_mov_b64 s[18:19], 0
                                        ; implicit-def: $vgpr5
	s_cbranch_execnz .LBB46_1209
.LBB46_1139:
	s_andn2_b64 vcc, exec, s[18:19]
	s_cbranch_vccnz .LBB46_1940
	s_branch .LBB46_1256
.LBB46_1140:
	s_mov_b64 s[18:19], 0
	s_mov_b64 s[0:1], 0
                                        ; implicit-def: $vgpr5
	s_cbranch_execnz .LBB46_1175
	s_branch .LBB46_1205
.LBB46_1141:
	s_mov_b64 s[20:21], -1
	s_mov_b64 s[18:19], 0
	s_mov_b64 s[0:1], 0
                                        ; implicit-def: $vgpr5
	s_branch .LBB46_1158
.LBB46_1142:
	s_mov_b64 s[20:21], -1
	s_mov_b64 s[18:19], 0
	s_mov_b64 s[0:1], 0
                                        ; implicit-def: $vgpr5
	s_branch .LBB46_1153
.LBB46_1143:
	s_or_b64 s[16:17], s[6:7], exec
	s_trap 2
	s_cbranch_execz .LBB46_1084
	s_branch .LBB46_1085
.LBB46_1144:
	s_mov_b64 s[20:21], -1
	s_mov_b64 s[18:19], 0
	s_mov_b64 s[0:1], 0
                                        ; implicit-def: $vgpr5
	s_branch .LBB46_1148
.LBB46_1145:
	s_andn2_saveexec_b64 s[28:29], s[28:29]
	s_cbranch_execz .LBB46_932
.LBB46_1146:
	v_add_f32_e32 v2, 0x42800000, v3
	v_and_b32_e32 v2, 0xff, v2
	v_cmp_ne_u32_e32 vcc, 0, v2
	s_andn2_b64 s[26:27], s[26:27], exec
	s_and_b64 s[34:35], vcc, exec
	s_or_b64 s[26:27], s[26:27], s[34:35]
	s_or_b64 exec, exec, s[28:29]
	v_mov_b32_e32 v4, 0
	s_and_saveexec_b64 s[28:29], s[26:27]
	s_cbranch_execnz .LBB46_933
	s_branch .LBB46_934
.LBB46_1147:
	s_mov_b64 s[0:1], -1
                                        ; implicit-def: $vgpr5
	s_mov_b64 s[18:19], 0
.LBB46_1148:
	s_and_b64 vcc, exec, s[20:21]
	s_cbranch_vccz .LBB46_1152
; %bb.1149:
	s_cmp_eq_u32 s22, 44
	s_cbranch_scc0 .LBB46_1151
; %bb.1150:
	global_load_ubyte v4, v[0:1], off
	s_mov_b64 s[0:1], 0
	s_mov_b64 s[18:19], -1
	s_waitcnt vmcnt(0)
	v_lshlrev_b32_e32 v5, 23, v4
	v_cvt_i32_f32_e32 v5, v5
	v_cmp_ne_u32_e32 vcc, 0, v4
	v_cndmask_b32_e32 v5, 0, v5, vcc
	s_branch .LBB46_1152
.LBB46_1151:
	s_mov_b64 s[0:1], -1
                                        ; implicit-def: $vgpr5
.LBB46_1152:
	s_mov_b64 s[20:21], 0
.LBB46_1153:
	s_and_b64 vcc, exec, s[20:21]
	s_cbranch_vccz .LBB46_1157
; %bb.1154:
	s_cmp_eq_u32 s22, 29
	s_cbranch_scc0 .LBB46_1156
; %bb.1155:
	global_load_dword v5, v[0:1], off
	s_mov_b64 s[0:1], 0
	s_mov_b64 s[18:19], -1
	s_branch .LBB46_1157
.LBB46_1156:
	s_mov_b64 s[0:1], -1
                                        ; implicit-def: $vgpr5
.LBB46_1157:
	s_mov_b64 s[20:21], 0
.LBB46_1158:
	s_and_b64 vcc, exec, s[20:21]
	s_cbranch_vccz .LBB46_1174
; %bb.1159:
	s_cmp_lt_i32 s22, 27
	s_cbranch_scc1 .LBB46_1162
; %bb.1160:
	s_cmp_gt_i32 s22, 27
	s_cbranch_scc0 .LBB46_1163
; %bb.1161:
	global_load_dword v5, v[0:1], off
	s_mov_b64 s[18:19], 0
	s_branch .LBB46_1164
.LBB46_1162:
	s_mov_b64 s[18:19], -1
                                        ; implicit-def: $vgpr5
	s_branch .LBB46_1167
.LBB46_1163:
	s_mov_b64 s[18:19], -1
                                        ; implicit-def: $vgpr5
.LBB46_1164:
	s_andn2_b64 vcc, exec, s[18:19]
	s_cbranch_vccnz .LBB46_1166
; %bb.1165:
	global_load_ushort v5, v[0:1], off
.LBB46_1166:
	s_mov_b64 s[18:19], 0
.LBB46_1167:
	s_andn2_b64 vcc, exec, s[18:19]
	s_cbranch_vccnz .LBB46_1173
; %bb.1168:
	global_load_ubyte v4, v[0:1], off
	s_movk_i32 s18, 0x7f
	s_mov_b64 s[20:21], 0
	s_waitcnt vmcnt(0)
	v_cmp_lt_i16_e32 vcc, s18, v4
	s_and_saveexec_b64 s[18:19], vcc
	s_xor_b64 s[18:19], exec, s[18:19]
	s_cbranch_execz .LBB46_1184
; %bb.1169:
	s_movk_i32 s20, 0x80
	v_cmp_ne_u16_e32 vcc, s20, v4
	s_and_b64 s[20:21], vcc, exec
	s_andn2_saveexec_b64 s[18:19], s[18:19]
	s_cbranch_execnz .LBB46_1185
.LBB46_1170:
	s_or_b64 exec, exec, s[18:19]
	v_mov_b32_e32 v5, 0
	s_and_saveexec_b64 s[18:19], s[20:21]
	s_cbranch_execz .LBB46_1172
.LBB46_1171:
	v_lshlrev_b32_e32 v5, 24, v4
	v_and_b32_e32 v4, 0xffff, v4
	v_and_b32_e32 v7, 7, v4
	v_ffbh_u32_e32 v9, v7
	v_min_u32_e32 v9, 32, v9
	v_subrev_u32_e32 v10, 28, v9
	v_bfe_u32 v8, v4, 3, 4
	v_lshlrev_b32_e32 v4, v10, v4
	v_sub_u32_e32 v9, 29, v9
	v_and_b32_e32 v4, 7, v4
	v_cmp_eq_u32_e32 vcc, 0, v8
	v_cndmask_b32_e32 v8, v8, v9, vcc
	v_cndmask_b32_e32 v4, v7, v4, vcc
	v_mov_b32_e32 v7, 0x3b800000
	v_lshlrev_b32_e32 v4, 20, v4
	v_and_b32_e32 v5, 0x80000000, v5
	v_lshl_add_u32 v7, v8, 23, v7
	v_or3_b32 v4, v5, v7, v4
	v_cvt_i32_f32_e32 v5, v4
.LBB46_1172:
	s_or_b64 exec, exec, s[18:19]
.LBB46_1173:
	s_mov_b64 s[18:19], -1
.LBB46_1174:
	s_branch .LBB46_1205
.LBB46_1175:
	s_cmp_gt_i32 s22, 22
	s_cbranch_scc0 .LBB46_1183
; %bb.1176:
	s_cmp_lt_i32 s22, 24
	s_cbranch_scc1 .LBB46_1186
; %bb.1177:
	s_cmp_gt_i32 s22, 24
	s_cbranch_scc0 .LBB46_1187
; %bb.1178:
	global_load_ubyte v4, v[0:1], off
	s_movk_i32 s2, 0x7f
	s_mov_b64 s[18:19], 0
	s_waitcnt vmcnt(0)
	v_cmp_lt_i16_e32 vcc, s2, v4
	s_and_saveexec_b64 s[2:3], vcc
	s_xor_b64 s[2:3], exec, s[2:3]
	s_cbranch_execz .LBB46_1199
; %bb.1179:
	s_movk_i32 s18, 0x80
	v_cmp_ne_u16_e32 vcc, s18, v4
	s_and_b64 s[18:19], vcc, exec
	s_andn2_saveexec_b64 s[2:3], s[2:3]
	s_cbranch_execnz .LBB46_1200
.LBB46_1180:
	s_or_b64 exec, exec, s[2:3]
	v_mov_b32_e32 v5, 0
	s_and_saveexec_b64 s[2:3], s[18:19]
	s_cbranch_execz .LBB46_1182
.LBB46_1181:
	v_lshlrev_b32_e32 v5, 24, v4
	v_and_b32_e32 v4, 0xffff, v4
	v_and_b32_e32 v7, 3, v4
	v_ffbh_u32_e32 v9, v7
	v_min_u32_e32 v9, 32, v9
	v_subrev_u32_e32 v10, 29, v9
	v_bfe_u32 v8, v4, 2, 5
	v_lshlrev_b32_e32 v4, v10, v4
	v_sub_u32_e32 v9, 30, v9
	v_and_b32_e32 v4, 3, v4
	v_cmp_eq_u32_e32 vcc, 0, v8
	v_cndmask_b32_e32 v8, v8, v9, vcc
	v_cndmask_b32_e32 v4, v7, v4, vcc
	v_mov_b32_e32 v7, 0x37800000
	v_lshlrev_b32_e32 v4, 21, v4
	v_and_b32_e32 v5, 0x80000000, v5
	v_lshl_add_u32 v7, v8, 23, v7
	v_or3_b32 v4, v5, v7, v4
	v_cvt_i32_f32_e32 v5, v4
.LBB46_1182:
	s_or_b64 exec, exec, s[2:3]
	s_mov_b64 s[2:3], 0
	s_branch .LBB46_1188
.LBB46_1183:
	s_mov_b64 s[2:3], -1
                                        ; implicit-def: $vgpr5
	s_branch .LBB46_1194
.LBB46_1184:
	s_andn2_saveexec_b64 s[18:19], s[18:19]
	s_cbranch_execz .LBB46_1170
.LBB46_1185:
	v_cmp_ne_u16_e32 vcc, 0, v4
	s_andn2_b64 s[20:21], s[20:21], exec
	s_and_b64 s[24:25], vcc, exec
	s_or_b64 s[20:21], s[20:21], s[24:25]
	s_or_b64 exec, exec, s[18:19]
	v_mov_b32_e32 v5, 0
	s_and_saveexec_b64 s[18:19], s[20:21]
	s_cbranch_execnz .LBB46_1171
	s_branch .LBB46_1172
.LBB46_1186:
	s_mov_b64 s[2:3], -1
                                        ; implicit-def: $vgpr5
	s_branch .LBB46_1191
.LBB46_1187:
	s_mov_b64 s[2:3], -1
                                        ; implicit-def: $vgpr5
.LBB46_1188:
	s_and_b64 vcc, exec, s[2:3]
	s_cbranch_vccz .LBB46_1190
; %bb.1189:
	global_load_ubyte v4, v[0:1], off
	s_mov_b32 s2, 0x7f800000
	s_waitcnt vmcnt(0)
	v_lshlrev_b32_e32 v4, 24, v4
	v_and_b32_e32 v5, 0x7f000000, v4
	v_ffbh_u32_e32 v7, v5
	v_min_u32_e32 v7, 32, v7
	v_sub_u32_e64 v7, v7, 4 clamp
	v_lshlrev_b32_e32 v9, v7, v5
	v_lshlrev_b32_e32 v7, 23, v7
	v_lshrrev_b32_e32 v9, 4, v9
	v_add_u32_e32 v8, 0x1000000, v5
	v_sub_u32_e32 v7, v9, v7
	v_ashrrev_i32_e32 v8, 8, v8
	v_add_u32_e32 v7, 0x3c000000, v7
	v_and_or_b32 v7, v8, s2, v7
	v_cmp_ne_u32_e32 vcc, 0, v5
	v_cndmask_b32_e32 v5, 0, v7, vcc
	s_brev_b32 s2, 1
	v_and_or_b32 v4, v4, s2, v5
	v_cvt_i32_f32_e32 v5, v4
.LBB46_1190:
	s_mov_b64 s[2:3], 0
.LBB46_1191:
	s_andn2_b64 vcc, exec, s[2:3]
	s_cbranch_vccnz .LBB46_1193
; %bb.1192:
	global_load_ubyte v4, v[0:1], off
	s_movk_i32 s2, 0x7f00
	s_brev_b32 s3, 16
	s_waitcnt vmcnt(0)
	v_lshlrev_b16_e32 v5, 8, v4
	v_lshlrev_b32_e32 v4, 25, v4
	v_lshrrev_b32_e32 v7, 4, v4
	v_and_or_b32 v8, v5, s2, 0.5
	v_or_b32_e32 v7, 0x70000000, v7
	v_add_f32_e32 v8, -0.5, v8
	v_mul_f32_e32 v7, 0x7800000, v7
	v_cmp_gt_u32_e32 vcc, s3, v4
	v_bfe_i32 v5, v5, 0, 16
	v_cndmask_b32_e32 v4, v7, v8, vcc
	s_brev_b32 s2, 1
	v_and_or_b32 v4, v5, s2, v4
	v_cvt_i32_f32_e32 v5, v4
.LBB46_1193:
	s_mov_b64 s[2:3], 0
	s_mov_b64 s[18:19], -1
.LBB46_1194:
	s_andn2_b64 vcc, exec, s[2:3]
	s_mov_b64 s[2:3], 0
	s_cbranch_vccnz .LBB46_1205
; %bb.1195:
	s_cmp_gt_i32 s22, 14
	s_cbranch_scc0 .LBB46_1198
; %bb.1196:
	s_cmp_eq_u32 s22, 15
	s_cbranch_scc0 .LBB46_1201
; %bb.1197:
	global_load_ushort v4, v[0:1], off
	s_mov_b64 s[0:1], 0
	s_mov_b64 s[18:19], -1
	s_waitcnt vmcnt(0)
	v_lshlrev_b32_e32 v4, 16, v4
	v_cvt_i32_f32_e32 v5, v4
	s_branch .LBB46_1202
.LBB46_1198:
	s_mov_b64 s[20:21], -1
                                        ; implicit-def: $vgpr5
	s_branch .LBB46_1203
.LBB46_1199:
	s_andn2_saveexec_b64 s[2:3], s[2:3]
	s_cbranch_execz .LBB46_1180
.LBB46_1200:
	v_cmp_ne_u16_e32 vcc, 0, v4
	s_andn2_b64 s[18:19], s[18:19], exec
	s_and_b64 s[20:21], vcc, exec
	s_or_b64 s[18:19], s[18:19], s[20:21]
	s_or_b64 exec, exec, s[2:3]
	v_mov_b32_e32 v5, 0
	s_and_saveexec_b64 s[2:3], s[18:19]
	s_cbranch_execnz .LBB46_1181
	s_branch .LBB46_1182
.LBB46_1201:
	s_mov_b64 s[0:1], -1
                                        ; implicit-def: $vgpr5
.LBB46_1202:
	s_mov_b64 s[20:21], 0
.LBB46_1203:
	s_and_b64 vcc, exec, s[20:21]
	s_cbranch_vccz .LBB46_1205
; %bb.1204:
	s_cmp_lg_u32 s22, 11
	s_mov_b64 s[2:3], -1
	s_cselect_b64 s[0:1], -1, 0
.LBB46_1205:
	s_and_b64 vcc, exec, s[0:1]
	s_cbranch_vccnz .LBB46_1268
; %bb.1206:
	s_andn2_b64 vcc, exec, s[2:3]
	s_cbranch_vccnz .LBB46_1208
.LBB46_1207:
	global_load_ubyte v4, v[0:1], off
	s_mov_b64 s[18:19], -1
	s_waitcnt vmcnt(0)
	v_cmp_ne_u16_e32 vcc, 0, v4
	v_cndmask_b32_e64 v5, 0, 1, vcc
.LBB46_1208:
	s_branch .LBB46_1139
.LBB46_1209:
	s_cmp_lt_i32 s22, 5
	s_cbranch_scc1 .LBB46_1214
; %bb.1210:
	s_cmp_lt_i32 s22, 8
	s_cbranch_scc1 .LBB46_1215
; %bb.1211:
	;; [unrolled: 3-line block ×3, first 2 shown]
	s_cmp_gt_i32 s22, 9
	s_cbranch_scc0 .LBB46_1217
; %bb.1213:
	global_load_dwordx2 v[4:5], v[0:1], off
	s_mov_b64 s[0:1], 0
	s_waitcnt vmcnt(0)
	v_cvt_i32_f64_e32 v5, v[4:5]
	s_branch .LBB46_1218
.LBB46_1214:
                                        ; implicit-def: $vgpr5
	s_branch .LBB46_1236
.LBB46_1215:
	s_mov_b64 s[0:1], -1
                                        ; implicit-def: $vgpr5
	s_branch .LBB46_1224
.LBB46_1216:
	s_mov_b64 s[0:1], -1
                                        ; implicit-def: $vgpr5
	s_branch .LBB46_1221
.LBB46_1217:
	s_mov_b64 s[0:1], -1
                                        ; implicit-def: $vgpr5
.LBB46_1218:
	s_andn2_b64 vcc, exec, s[0:1]
	s_cbranch_vccnz .LBB46_1220
; %bb.1219:
	global_load_dword v4, v[0:1], off
	s_waitcnt vmcnt(0)
	v_cvt_i32_f32_e32 v5, v4
.LBB46_1220:
	s_mov_b64 s[0:1], 0
.LBB46_1221:
	s_andn2_b64 vcc, exec, s[0:1]
	s_cbranch_vccnz .LBB46_1223
; %bb.1222:
	global_load_dword v4, v[0:1], off
	s_waitcnt vmcnt(0)
	v_cvt_f32_f16_e32 v4, v4
	v_cvt_i32_f32_e32 v5, v4
.LBB46_1223:
	s_mov_b64 s[0:1], 0
.LBB46_1224:
	s_andn2_b64 vcc, exec, s[0:1]
	s_cbranch_vccnz .LBB46_1235
; %bb.1225:
	s_cmp_lt_i32 s22, 6
	s_cbranch_scc1 .LBB46_1228
; %bb.1226:
	s_cmp_gt_i32 s22, 6
	s_cbranch_scc0 .LBB46_1229
; %bb.1227:
	global_load_dwordx2 v[4:5], v[0:1], off
	s_mov_b64 s[0:1], 0
	s_waitcnt vmcnt(0)
	v_cvt_i32_f64_e32 v5, v[4:5]
	s_branch .LBB46_1230
.LBB46_1228:
	s_mov_b64 s[0:1], -1
                                        ; implicit-def: $vgpr5
	s_branch .LBB46_1233
.LBB46_1229:
	s_mov_b64 s[0:1], -1
                                        ; implicit-def: $vgpr5
.LBB46_1230:
	s_andn2_b64 vcc, exec, s[0:1]
	s_cbranch_vccnz .LBB46_1232
; %bb.1231:
	global_load_dword v4, v[0:1], off
	s_waitcnt vmcnt(0)
	v_cvt_i32_f32_e32 v5, v4
.LBB46_1232:
	s_mov_b64 s[0:1], 0
.LBB46_1233:
	s_andn2_b64 vcc, exec, s[0:1]
	s_cbranch_vccnz .LBB46_1235
; %bb.1234:
	global_load_ushort v4, v[0:1], off
	s_waitcnt vmcnt(0)
	v_cvt_f32_f16_e32 v4, v4
	v_cvt_i32_f32_e32 v5, v4
.LBB46_1235:
	s_cbranch_execnz .LBB46_1255
.LBB46_1236:
	s_cmp_lt_i32 s22, 2
	s_cbranch_scc1 .LBB46_1240
; %bb.1237:
	s_cmp_lt_i32 s22, 3
	s_cbranch_scc1 .LBB46_1241
; %bb.1238:
	s_cmp_gt_i32 s22, 3
	s_cbranch_scc0 .LBB46_1242
; %bb.1239:
	global_load_dword v5, v[0:1], off
	s_mov_b64 s[0:1], 0
	s_branch .LBB46_1243
.LBB46_1240:
	s_mov_b64 s[0:1], -1
                                        ; implicit-def: $vgpr5
	s_branch .LBB46_1249
.LBB46_1241:
	s_mov_b64 s[0:1], -1
                                        ; implicit-def: $vgpr5
	s_branch .LBB46_1246
.LBB46_1242:
	s_mov_b64 s[0:1], -1
                                        ; implicit-def: $vgpr5
.LBB46_1243:
	s_andn2_b64 vcc, exec, s[0:1]
	s_cbranch_vccnz .LBB46_1245
; %bb.1244:
	global_load_dword v5, v[0:1], off
.LBB46_1245:
	s_mov_b64 s[0:1], 0
.LBB46_1246:
	s_andn2_b64 vcc, exec, s[0:1]
	s_cbranch_vccnz .LBB46_1248
; %bb.1247:
	global_load_sshort v5, v[0:1], off
.LBB46_1248:
	s_mov_b64 s[0:1], 0
.LBB46_1249:
	s_andn2_b64 vcc, exec, s[0:1]
	s_cbranch_vccnz .LBB46_1255
; %bb.1250:
	s_cmp_gt_i32 s22, 0
	s_cbranch_scc0 .LBB46_1252
; %bb.1251:
	global_load_sbyte v5, v[0:1], off
	s_mov_b64 s[0:1], 0
	s_branch .LBB46_1253
.LBB46_1252:
	s_mov_b64 s[0:1], -1
                                        ; implicit-def: $vgpr5
.LBB46_1253:
	s_andn2_b64 vcc, exec, s[0:1]
	s_cbranch_vccnz .LBB46_1255
; %bb.1254:
	global_load_ubyte v5, v[0:1], off
.LBB46_1255:
.LBB46_1256:
	v_add_u32_e32 v3, s13, v3
	v_ashrrev_i32_e32 v1, 31, v3
	v_mov_b32_e32 v4, s11
	v_add_co_u32_e32 v0, vcc, s10, v3
	s_cmp_lt_i32 s22, 11
	v_addc_co_u32_e32 v1, vcc, v4, v1, vcc
	s_cbranch_scc1 .LBB46_1263
; %bb.1257:
	s_cmp_gt_i32 s22, 25
	s_mov_b64 s[2:3], 0
	s_cbranch_scc0 .LBB46_1265
; %bb.1258:
	s_cmp_gt_i32 s22, 28
	s_cbranch_scc0 .LBB46_1266
; %bb.1259:
	s_cmp_gt_i32 s22, 43
	;; [unrolled: 3-line block ×3, first 2 shown]
	s_cbranch_scc0 .LBB46_1269
; %bb.1261:
	s_cmp_eq_u32 s22, 46
	s_mov_b64 s[20:21], 0
	s_cbranch_scc0 .LBB46_1270
; %bb.1262:
	global_load_dword v4, v[0:1], off
	s_mov_b64 s[0:1], 0
	s_mov_b64 s[18:19], -1
	s_waitcnt vmcnt(0)
	v_lshlrev_b32_e32 v4, 16, v4
	v_cvt_i32_f32_e32 v4, v4
	s_branch .LBB46_1271
.LBB46_1263:
	s_mov_b64 s[18:19], 0
                                        ; implicit-def: $vgpr4
	s_cbranch_execnz .LBB46_1333
.LBB46_1264:
	s_andn2_b64 vcc, exec, s[18:19]
	s_cbranch_vccnz .LBB46_1940
	s_branch .LBB46_1381
.LBB46_1265:
	s_mov_b64 s[20:21], -1
	s_mov_b64 s[18:19], 0
	s_mov_b64 s[0:1], 0
                                        ; implicit-def: $vgpr4
	s_branch .LBB46_1298
.LBB46_1266:
	s_mov_b64 s[20:21], -1
	s_mov_b64 s[18:19], 0
	s_mov_b64 s[0:1], 0
                                        ; implicit-def: $vgpr4
	s_branch .LBB46_1281
.LBB46_1267:
	s_mov_b64 s[20:21], -1
	s_mov_b64 s[18:19], 0
	s_mov_b64 s[0:1], 0
                                        ; implicit-def: $vgpr4
	s_branch .LBB46_1276
.LBB46_1268:
	s_trap 2
	s_or_b64 s[16:17], s[16:17], exec
	s_cbranch_execz .LBB46_1207
	s_branch .LBB46_1208
.LBB46_1269:
	s_mov_b64 s[20:21], -1
	s_mov_b64 s[18:19], 0
	s_mov_b64 s[0:1], 0
                                        ; implicit-def: $vgpr4
	s_branch .LBB46_1271
.LBB46_1270:
	s_mov_b64 s[0:1], -1
                                        ; implicit-def: $vgpr4
	s_mov_b64 s[18:19], 0
.LBB46_1271:
	s_and_b64 vcc, exec, s[20:21]
	s_cbranch_vccz .LBB46_1275
; %bb.1272:
	s_cmp_eq_u32 s22, 44
	s_cbranch_scc0 .LBB46_1274
; %bb.1273:
	global_load_ubyte v4, v[0:1], off
	s_mov_b64 s[0:1], 0
	s_mov_b64 s[18:19], -1
	s_waitcnt vmcnt(0)
	v_lshlrev_b32_e32 v7, 23, v4
	v_cvt_i32_f32_e32 v7, v7
	v_cmp_ne_u32_e32 vcc, 0, v4
	v_cndmask_b32_e32 v4, 0, v7, vcc
	s_branch .LBB46_1275
.LBB46_1274:
	s_mov_b64 s[0:1], -1
                                        ; implicit-def: $vgpr4
.LBB46_1275:
	s_mov_b64 s[20:21], 0
.LBB46_1276:
	s_and_b64 vcc, exec, s[20:21]
	s_cbranch_vccz .LBB46_1280
; %bb.1277:
	s_cmp_eq_u32 s22, 29
	s_cbranch_scc0 .LBB46_1279
; %bb.1278:
	global_load_dword v4, v[0:1], off
	s_mov_b64 s[0:1], 0
	s_mov_b64 s[18:19], -1
	s_branch .LBB46_1280
.LBB46_1279:
	s_mov_b64 s[0:1], -1
                                        ; implicit-def: $vgpr4
.LBB46_1280:
	s_mov_b64 s[20:21], 0
.LBB46_1281:
	s_and_b64 vcc, exec, s[20:21]
	s_cbranch_vccz .LBB46_1297
; %bb.1282:
	s_cmp_lt_i32 s22, 27
	s_cbranch_scc1 .LBB46_1285
; %bb.1283:
	s_cmp_gt_i32 s22, 27
	s_cbranch_scc0 .LBB46_1286
; %bb.1284:
	global_load_dword v4, v[0:1], off
	s_mov_b64 s[18:19], 0
	s_branch .LBB46_1287
.LBB46_1285:
	s_mov_b64 s[18:19], -1
                                        ; implicit-def: $vgpr4
	s_branch .LBB46_1290
.LBB46_1286:
	s_mov_b64 s[18:19], -1
                                        ; implicit-def: $vgpr4
.LBB46_1287:
	s_andn2_b64 vcc, exec, s[18:19]
	s_cbranch_vccnz .LBB46_1289
; %bb.1288:
	global_load_ushort v4, v[0:1], off
.LBB46_1289:
	s_mov_b64 s[18:19], 0
.LBB46_1290:
	s_andn2_b64 vcc, exec, s[18:19]
	s_cbranch_vccnz .LBB46_1296
; %bb.1291:
	global_load_ubyte v7, v[0:1], off
	s_movk_i32 s18, 0x7f
	s_mov_b64 s[20:21], 0
	s_waitcnt vmcnt(0)
	v_cmp_lt_i16_e32 vcc, s18, v7
	s_and_saveexec_b64 s[18:19], vcc
	s_xor_b64 s[18:19], exec, s[18:19]
	s_cbranch_execz .LBB46_1308
; %bb.1292:
	s_movk_i32 s20, 0x80
	v_cmp_ne_u16_e32 vcc, s20, v7
	s_and_b64 s[20:21], vcc, exec
	s_andn2_saveexec_b64 s[18:19], s[18:19]
	s_cbranch_execnz .LBB46_1309
.LBB46_1293:
	s_or_b64 exec, exec, s[18:19]
	v_mov_b32_e32 v4, 0
	s_and_saveexec_b64 s[18:19], s[20:21]
	s_cbranch_execz .LBB46_1295
.LBB46_1294:
	v_lshlrev_b32_e32 v4, 24, v7
	v_and_b32_e32 v7, 0xffff, v7
	v_and_b32_e32 v8, 7, v7
	v_ffbh_u32_e32 v10, v8
	v_min_u32_e32 v10, 32, v10
	v_subrev_u32_e32 v11, 28, v10
	v_bfe_u32 v9, v7, 3, 4
	v_lshlrev_b32_e32 v7, v11, v7
	v_sub_u32_e32 v10, 29, v10
	v_and_b32_e32 v7, 7, v7
	v_cmp_eq_u32_e32 vcc, 0, v9
	v_cndmask_b32_e32 v9, v9, v10, vcc
	v_cndmask_b32_e32 v7, v8, v7, vcc
	v_mov_b32_e32 v8, 0x3b800000
	v_lshlrev_b32_e32 v7, 20, v7
	v_and_b32_e32 v4, 0x80000000, v4
	v_lshl_add_u32 v8, v9, 23, v8
	v_or3_b32 v4, v4, v8, v7
	v_cvt_i32_f32_e32 v4, v4
.LBB46_1295:
	s_or_b64 exec, exec, s[18:19]
.LBB46_1296:
	s_mov_b64 s[18:19], -1
.LBB46_1297:
	s_mov_b64 s[20:21], 0
.LBB46_1298:
	s_and_b64 vcc, exec, s[20:21]
	s_cbranch_vccz .LBB46_1329
; %bb.1299:
	s_cmp_gt_i32 s22, 22
	s_cbranch_scc0 .LBB46_1307
; %bb.1300:
	s_cmp_lt_i32 s22, 24
	s_cbranch_scc1 .LBB46_1310
; %bb.1301:
	s_cmp_gt_i32 s22, 24
	s_cbranch_scc0 .LBB46_1311
; %bb.1302:
	global_load_ubyte v7, v[0:1], off
	s_movk_i32 s2, 0x7f
	s_mov_b64 s[18:19], 0
	s_waitcnt vmcnt(0)
	v_cmp_lt_i16_e32 vcc, s2, v7
	s_and_saveexec_b64 s[2:3], vcc
	s_xor_b64 s[2:3], exec, s[2:3]
	s_cbranch_execz .LBB46_1323
; %bb.1303:
	s_movk_i32 s18, 0x80
	v_cmp_ne_u16_e32 vcc, s18, v7
	s_and_b64 s[18:19], vcc, exec
	s_andn2_saveexec_b64 s[2:3], s[2:3]
	s_cbranch_execnz .LBB46_1324
.LBB46_1304:
	s_or_b64 exec, exec, s[2:3]
	v_mov_b32_e32 v4, 0
	s_and_saveexec_b64 s[2:3], s[18:19]
	s_cbranch_execz .LBB46_1306
.LBB46_1305:
	v_lshlrev_b32_e32 v4, 24, v7
	v_and_b32_e32 v7, 0xffff, v7
	v_and_b32_e32 v8, 3, v7
	v_ffbh_u32_e32 v10, v8
	v_min_u32_e32 v10, 32, v10
	v_subrev_u32_e32 v11, 29, v10
	v_bfe_u32 v9, v7, 2, 5
	v_lshlrev_b32_e32 v7, v11, v7
	v_sub_u32_e32 v10, 30, v10
	v_and_b32_e32 v7, 3, v7
	v_cmp_eq_u32_e32 vcc, 0, v9
	v_cndmask_b32_e32 v9, v9, v10, vcc
	v_cndmask_b32_e32 v7, v8, v7, vcc
	v_mov_b32_e32 v8, 0x37800000
	v_lshlrev_b32_e32 v7, 21, v7
	v_and_b32_e32 v4, 0x80000000, v4
	v_lshl_add_u32 v8, v9, 23, v8
	v_or3_b32 v4, v4, v8, v7
	v_cvt_i32_f32_e32 v4, v4
.LBB46_1306:
	s_or_b64 exec, exec, s[2:3]
	s_mov_b64 s[2:3], 0
	s_branch .LBB46_1312
.LBB46_1307:
	s_mov_b64 s[2:3], -1
                                        ; implicit-def: $vgpr4
	s_branch .LBB46_1318
.LBB46_1308:
	s_andn2_saveexec_b64 s[18:19], s[18:19]
	s_cbranch_execz .LBB46_1293
.LBB46_1309:
	v_cmp_ne_u16_e32 vcc, 0, v7
	s_andn2_b64 s[20:21], s[20:21], exec
	s_and_b64 s[24:25], vcc, exec
	s_or_b64 s[20:21], s[20:21], s[24:25]
	s_or_b64 exec, exec, s[18:19]
	v_mov_b32_e32 v4, 0
	s_and_saveexec_b64 s[18:19], s[20:21]
	s_cbranch_execnz .LBB46_1294
	s_branch .LBB46_1295
.LBB46_1310:
	s_mov_b64 s[2:3], -1
                                        ; implicit-def: $vgpr4
	s_branch .LBB46_1315
.LBB46_1311:
	s_mov_b64 s[2:3], -1
                                        ; implicit-def: $vgpr4
.LBB46_1312:
	s_and_b64 vcc, exec, s[2:3]
	s_cbranch_vccz .LBB46_1314
; %bb.1313:
	global_load_ubyte v4, v[0:1], off
	s_mov_b32 s2, 0x7f800000
	s_waitcnt vmcnt(0)
	v_lshlrev_b32_e32 v4, 24, v4
	v_and_b32_e32 v7, 0x7f000000, v4
	v_ffbh_u32_e32 v8, v7
	v_min_u32_e32 v8, 32, v8
	v_sub_u32_e64 v8, v8, 4 clamp
	v_lshlrev_b32_e32 v10, v8, v7
	v_lshlrev_b32_e32 v8, 23, v8
	v_lshrrev_b32_e32 v10, 4, v10
	v_add_u32_e32 v9, 0x1000000, v7
	v_sub_u32_e32 v8, v10, v8
	v_ashrrev_i32_e32 v9, 8, v9
	v_add_u32_e32 v8, 0x3c000000, v8
	v_and_or_b32 v8, v9, s2, v8
	v_cmp_ne_u32_e32 vcc, 0, v7
	v_cndmask_b32_e32 v7, 0, v8, vcc
	s_brev_b32 s2, 1
	v_and_or_b32 v4, v4, s2, v7
	v_cvt_i32_f32_e32 v4, v4
.LBB46_1314:
	s_mov_b64 s[2:3], 0
.LBB46_1315:
	s_andn2_b64 vcc, exec, s[2:3]
	s_cbranch_vccnz .LBB46_1317
; %bb.1316:
	global_load_ubyte v4, v[0:1], off
	s_movk_i32 s2, 0x7f00
	s_brev_b32 s3, 16
	s_waitcnt vmcnt(0)
	v_lshlrev_b16_e32 v7, 8, v4
	v_lshlrev_b32_e32 v4, 25, v4
	v_lshrrev_b32_e32 v8, 4, v4
	v_and_or_b32 v9, v7, s2, 0.5
	v_or_b32_e32 v8, 0x70000000, v8
	v_add_f32_e32 v9, -0.5, v9
	v_mul_f32_e32 v8, 0x7800000, v8
	v_cmp_gt_u32_e32 vcc, s3, v4
	v_bfe_i32 v7, v7, 0, 16
	v_cndmask_b32_e32 v4, v8, v9, vcc
	s_brev_b32 s2, 1
	v_and_or_b32 v4, v7, s2, v4
	v_cvt_i32_f32_e32 v4, v4
.LBB46_1317:
	s_mov_b64 s[2:3], 0
	s_mov_b64 s[18:19], -1
.LBB46_1318:
	s_andn2_b64 vcc, exec, s[2:3]
	s_mov_b64 s[2:3], 0
	s_cbranch_vccnz .LBB46_1329
; %bb.1319:
	s_cmp_gt_i32 s22, 14
	s_cbranch_scc0 .LBB46_1322
; %bb.1320:
	s_cmp_eq_u32 s22, 15
	s_cbranch_scc0 .LBB46_1325
; %bb.1321:
	global_load_ushort v4, v[0:1], off
	s_mov_b64 s[0:1], 0
	s_mov_b64 s[18:19], -1
	s_waitcnt vmcnt(0)
	v_lshlrev_b32_e32 v4, 16, v4
	v_cvt_i32_f32_e32 v4, v4
	s_branch .LBB46_1326
.LBB46_1322:
	s_mov_b64 s[20:21], -1
                                        ; implicit-def: $vgpr4
	s_branch .LBB46_1327
.LBB46_1323:
	s_andn2_saveexec_b64 s[2:3], s[2:3]
	s_cbranch_execz .LBB46_1304
.LBB46_1324:
	v_cmp_ne_u16_e32 vcc, 0, v7
	s_andn2_b64 s[18:19], s[18:19], exec
	s_and_b64 s[20:21], vcc, exec
	s_or_b64 s[18:19], s[18:19], s[20:21]
	s_or_b64 exec, exec, s[2:3]
	v_mov_b32_e32 v4, 0
	s_and_saveexec_b64 s[2:3], s[18:19]
	s_cbranch_execnz .LBB46_1305
	s_branch .LBB46_1306
.LBB46_1325:
	s_mov_b64 s[0:1], -1
                                        ; implicit-def: $vgpr4
.LBB46_1326:
	s_mov_b64 s[20:21], 0
.LBB46_1327:
	s_and_b64 vcc, exec, s[20:21]
	s_cbranch_vccz .LBB46_1329
; %bb.1328:
	s_cmp_lg_u32 s22, 11
	s_mov_b64 s[2:3], -1
	s_cselect_b64 s[0:1], -1, 0
.LBB46_1329:
	s_and_b64 vcc, exec, s[0:1]
	s_cbranch_vccnz .LBB46_1392
; %bb.1330:
	s_andn2_b64 vcc, exec, s[2:3]
	s_cbranch_vccnz .LBB46_1332
.LBB46_1331:
	global_load_ubyte v4, v[0:1], off
	s_mov_b64 s[18:19], -1
	s_waitcnt vmcnt(0)
	v_cmp_ne_u16_e32 vcc, 0, v4
	v_cndmask_b32_e64 v4, 0, 1, vcc
.LBB46_1332:
	s_branch .LBB46_1264
.LBB46_1333:
	s_cmp_lt_i32 s22, 5
	s_cbranch_scc1 .LBB46_1338
; %bb.1334:
	s_cmp_lt_i32 s22, 8
	s_cbranch_scc1 .LBB46_1339
; %bb.1335:
	;; [unrolled: 3-line block ×3, first 2 shown]
	s_cmp_gt_i32 s22, 9
	s_cbranch_scc0 .LBB46_1341
; %bb.1337:
	global_load_dwordx2 v[7:8], v[0:1], off
	s_mov_b64 s[0:1], 0
	s_waitcnt vmcnt(0)
	v_cvt_i32_f64_e32 v4, v[7:8]
	s_branch .LBB46_1342
.LBB46_1338:
	s_mov_b64 s[0:1], -1
                                        ; implicit-def: $vgpr4
	s_branch .LBB46_1360
.LBB46_1339:
	s_mov_b64 s[0:1], -1
                                        ; implicit-def: $vgpr4
	s_branch .LBB46_1348
.LBB46_1340:
	s_mov_b64 s[0:1], -1
                                        ; implicit-def: $vgpr4
	s_branch .LBB46_1345
.LBB46_1341:
	s_mov_b64 s[0:1], -1
                                        ; implicit-def: $vgpr4
.LBB46_1342:
	s_andn2_b64 vcc, exec, s[0:1]
	s_cbranch_vccnz .LBB46_1344
; %bb.1343:
	global_load_dword v4, v[0:1], off
	s_waitcnt vmcnt(0)
	v_cvt_i32_f32_e32 v4, v4
.LBB46_1344:
	s_mov_b64 s[0:1], 0
.LBB46_1345:
	s_andn2_b64 vcc, exec, s[0:1]
	s_cbranch_vccnz .LBB46_1347
; %bb.1346:
	global_load_dword v4, v[0:1], off
	s_waitcnt vmcnt(0)
	v_cvt_f32_f16_e32 v4, v4
	v_cvt_i32_f32_e32 v4, v4
.LBB46_1347:
	s_mov_b64 s[0:1], 0
.LBB46_1348:
	s_andn2_b64 vcc, exec, s[0:1]
	s_cbranch_vccnz .LBB46_1359
; %bb.1349:
	s_cmp_lt_i32 s22, 6
	s_cbranch_scc1 .LBB46_1352
; %bb.1350:
	s_cmp_gt_i32 s22, 6
	s_cbranch_scc0 .LBB46_1353
; %bb.1351:
	global_load_dwordx2 v[7:8], v[0:1], off
	s_mov_b64 s[0:1], 0
	s_waitcnt vmcnt(0)
	v_cvt_i32_f64_e32 v4, v[7:8]
	s_branch .LBB46_1354
.LBB46_1352:
	s_mov_b64 s[0:1], -1
                                        ; implicit-def: $vgpr4
	s_branch .LBB46_1357
.LBB46_1353:
	s_mov_b64 s[0:1], -1
                                        ; implicit-def: $vgpr4
.LBB46_1354:
	s_andn2_b64 vcc, exec, s[0:1]
	s_cbranch_vccnz .LBB46_1356
; %bb.1355:
	global_load_dword v4, v[0:1], off
	s_waitcnt vmcnt(0)
	v_cvt_i32_f32_e32 v4, v4
.LBB46_1356:
	s_mov_b64 s[0:1], 0
.LBB46_1357:
	s_andn2_b64 vcc, exec, s[0:1]
	s_cbranch_vccnz .LBB46_1359
; %bb.1358:
	global_load_ushort v4, v[0:1], off
	s_waitcnt vmcnt(0)
	v_cvt_f32_f16_e32 v4, v4
	v_cvt_i32_f32_e32 v4, v4
.LBB46_1359:
	s_mov_b64 s[0:1], 0
.LBB46_1360:
	s_andn2_b64 vcc, exec, s[0:1]
	s_cbranch_vccnz .LBB46_1380
; %bb.1361:
	s_cmp_lt_i32 s22, 2
	s_cbranch_scc1 .LBB46_1365
; %bb.1362:
	s_cmp_lt_i32 s22, 3
	s_cbranch_scc1 .LBB46_1366
; %bb.1363:
	s_cmp_gt_i32 s22, 3
	s_cbranch_scc0 .LBB46_1367
; %bb.1364:
	global_load_dword v4, v[0:1], off
	s_mov_b64 s[0:1], 0
	s_branch .LBB46_1368
.LBB46_1365:
	s_mov_b64 s[0:1], -1
                                        ; implicit-def: $vgpr4
	s_branch .LBB46_1374
.LBB46_1366:
	s_mov_b64 s[0:1], -1
                                        ; implicit-def: $vgpr4
	s_branch .LBB46_1371
.LBB46_1367:
	s_mov_b64 s[0:1], -1
                                        ; implicit-def: $vgpr4
.LBB46_1368:
	s_andn2_b64 vcc, exec, s[0:1]
	s_cbranch_vccnz .LBB46_1370
; %bb.1369:
	global_load_dword v4, v[0:1], off
.LBB46_1370:
	s_mov_b64 s[0:1], 0
.LBB46_1371:
	s_andn2_b64 vcc, exec, s[0:1]
	s_cbranch_vccnz .LBB46_1373
; %bb.1372:
	global_load_sshort v4, v[0:1], off
.LBB46_1373:
	s_mov_b64 s[0:1], 0
.LBB46_1374:
	s_andn2_b64 vcc, exec, s[0:1]
	s_cbranch_vccnz .LBB46_1380
; %bb.1375:
	s_cmp_gt_i32 s22, 0
	s_cbranch_scc0 .LBB46_1377
; %bb.1376:
	global_load_sbyte v4, v[0:1], off
	s_mov_b64 s[0:1], 0
	s_branch .LBB46_1378
.LBB46_1377:
	s_mov_b64 s[0:1], -1
                                        ; implicit-def: $vgpr4
.LBB46_1378:
	s_andn2_b64 vcc, exec, s[0:1]
	s_cbranch_vccnz .LBB46_1380
; %bb.1379:
	global_load_ubyte v4, v[0:1], off
.LBB46_1380:
.LBB46_1381:
	v_add_u32_e32 v0, s13, v3
	v_ashrrev_i32_e32 v1, 31, v0
	v_mov_b32_e32 v3, s11
	v_add_co_u32_e32 v0, vcc, s10, v0
	s_cmp_lt_i32 s22, 11
	v_addc_co_u32_e32 v1, vcc, v3, v1, vcc
	s_cbranch_scc1 .LBB46_1388
; %bb.1382:
	s_cmp_gt_i32 s22, 25
	s_mov_b64 s[2:3], 0
	s_cbranch_scc0 .LBB46_1389
; %bb.1383:
	s_cmp_gt_i32 s22, 28
	s_cbranch_scc0 .LBB46_1390
; %bb.1384:
	s_cmp_gt_i32 s22, 43
	;; [unrolled: 3-line block ×3, first 2 shown]
	s_cbranch_scc0 .LBB46_1393
; %bb.1386:
	s_cmp_eq_u32 s22, 46
	s_mov_b64 s[18:19], 0
	s_cbranch_scc0 .LBB46_1394
; %bb.1387:
	global_load_dword v3, v[0:1], off
	s_mov_b64 s[0:1], 0
	s_mov_b64 s[10:11], -1
	s_waitcnt vmcnt(0)
	v_lshlrev_b32_e32 v3, 16, v3
	v_cvt_i32_f32_e32 v3, v3
	s_branch .LBB46_1395
.LBB46_1388:
	s_mov_b64 s[0:1], -1
	s_mov_b64 s[10:11], 0
                                        ; implicit-def: $vgpr3
	s_branch .LBB46_1457
.LBB46_1389:
	s_mov_b64 s[18:19], -1
	s_mov_b64 s[10:11], 0
	s_mov_b64 s[0:1], 0
                                        ; implicit-def: $vgpr3
	s_branch .LBB46_1422
.LBB46_1390:
	s_mov_b64 s[18:19], -1
	s_mov_b64 s[10:11], 0
	s_mov_b64 s[0:1], 0
                                        ; implicit-def: $vgpr3
	s_branch .LBB46_1405
.LBB46_1391:
	s_mov_b64 s[18:19], -1
	s_mov_b64 s[10:11], 0
	s_mov_b64 s[0:1], 0
                                        ; implicit-def: $vgpr3
	s_branch .LBB46_1400
.LBB46_1392:
	s_trap 2
	s_or_b64 s[16:17], s[16:17], exec
	s_cbranch_execz .LBB46_1331
	s_branch .LBB46_1332
.LBB46_1393:
	s_mov_b64 s[18:19], -1
	s_mov_b64 s[10:11], 0
	s_mov_b64 s[0:1], 0
                                        ; implicit-def: $vgpr3
	s_branch .LBB46_1395
.LBB46_1394:
	s_mov_b64 s[0:1], -1
                                        ; implicit-def: $vgpr3
	s_mov_b64 s[10:11], 0
.LBB46_1395:
	s_and_b64 vcc, exec, s[18:19]
	s_cbranch_vccz .LBB46_1399
; %bb.1396:
	s_cmp_eq_u32 s22, 44
	s_cbranch_scc0 .LBB46_1398
; %bb.1397:
	global_load_ubyte v3, v[0:1], off
	s_mov_b64 s[0:1], 0
	s_mov_b64 s[10:11], -1
	s_waitcnt vmcnt(0)
	v_lshlrev_b32_e32 v7, 23, v3
	v_cvt_i32_f32_e32 v7, v7
	v_cmp_ne_u32_e32 vcc, 0, v3
	v_cndmask_b32_e32 v3, 0, v7, vcc
	s_branch .LBB46_1399
.LBB46_1398:
	s_mov_b64 s[0:1], -1
                                        ; implicit-def: $vgpr3
.LBB46_1399:
	s_mov_b64 s[18:19], 0
.LBB46_1400:
	s_and_b64 vcc, exec, s[18:19]
	s_cbranch_vccz .LBB46_1404
; %bb.1401:
	s_cmp_eq_u32 s22, 29
	s_cbranch_scc0 .LBB46_1403
; %bb.1402:
	global_load_dword v3, v[0:1], off
	s_mov_b64 s[0:1], 0
	s_mov_b64 s[10:11], -1
	s_branch .LBB46_1404
.LBB46_1403:
	s_mov_b64 s[0:1], -1
                                        ; implicit-def: $vgpr3
.LBB46_1404:
	s_mov_b64 s[18:19], 0
.LBB46_1405:
	s_and_b64 vcc, exec, s[18:19]
	s_cbranch_vccz .LBB46_1421
; %bb.1406:
	s_cmp_lt_i32 s22, 27
	s_cbranch_scc1 .LBB46_1409
; %bb.1407:
	s_cmp_gt_i32 s22, 27
	s_cbranch_scc0 .LBB46_1410
; %bb.1408:
	global_load_dword v3, v[0:1], off
	s_mov_b64 s[10:11], 0
	s_branch .LBB46_1411
.LBB46_1409:
	s_mov_b64 s[10:11], -1
                                        ; implicit-def: $vgpr3
	s_branch .LBB46_1414
.LBB46_1410:
	s_mov_b64 s[10:11], -1
                                        ; implicit-def: $vgpr3
.LBB46_1411:
	s_andn2_b64 vcc, exec, s[10:11]
	s_cbranch_vccnz .LBB46_1413
; %bb.1412:
	global_load_ushort v3, v[0:1], off
.LBB46_1413:
	s_mov_b64 s[10:11], 0
.LBB46_1414:
	s_andn2_b64 vcc, exec, s[10:11]
	s_cbranch_vccnz .LBB46_1420
; %bb.1415:
	global_load_ubyte v7, v[0:1], off
	s_movk_i32 s10, 0x7f
	s_mov_b64 s[18:19], 0
	s_waitcnt vmcnt(0)
	v_cmp_lt_i16_e32 vcc, s10, v7
	s_and_saveexec_b64 s[10:11], vcc
	s_xor_b64 s[10:11], exec, s[10:11]
	s_cbranch_execz .LBB46_1432
; %bb.1416:
	s_movk_i32 s13, 0x80
	v_cmp_ne_u16_e32 vcc, s13, v7
	s_and_b64 s[18:19], vcc, exec
	s_andn2_saveexec_b64 s[10:11], s[10:11]
	s_cbranch_execnz .LBB46_1433
.LBB46_1417:
	s_or_b64 exec, exec, s[10:11]
	v_mov_b32_e32 v3, 0
	s_and_saveexec_b64 s[10:11], s[18:19]
	s_cbranch_execz .LBB46_1419
.LBB46_1418:
	v_lshlrev_b32_e32 v3, 24, v7
	v_and_b32_e32 v7, 0xffff, v7
	v_and_b32_e32 v8, 7, v7
	v_ffbh_u32_e32 v10, v8
	v_min_u32_e32 v10, 32, v10
	v_subrev_u32_e32 v11, 28, v10
	v_bfe_u32 v9, v7, 3, 4
	v_lshlrev_b32_e32 v7, v11, v7
	v_sub_u32_e32 v10, 29, v10
	v_and_b32_e32 v7, 7, v7
	v_cmp_eq_u32_e32 vcc, 0, v9
	v_cndmask_b32_e32 v9, v9, v10, vcc
	v_cndmask_b32_e32 v7, v8, v7, vcc
	v_mov_b32_e32 v8, 0x3b800000
	v_lshlrev_b32_e32 v7, 20, v7
	v_and_b32_e32 v3, 0x80000000, v3
	v_lshl_add_u32 v8, v9, 23, v8
	v_or3_b32 v3, v3, v8, v7
	v_cvt_i32_f32_e32 v3, v3
.LBB46_1419:
	s_or_b64 exec, exec, s[10:11]
.LBB46_1420:
	s_mov_b64 s[10:11], -1
.LBB46_1421:
	s_mov_b64 s[18:19], 0
.LBB46_1422:
	s_and_b64 vcc, exec, s[18:19]
	s_cbranch_vccz .LBB46_1453
; %bb.1423:
	s_cmp_gt_i32 s22, 22
	s_cbranch_scc0 .LBB46_1431
; %bb.1424:
	s_cmp_lt_i32 s22, 24
	s_cbranch_scc1 .LBB46_1434
; %bb.1425:
	s_cmp_gt_i32 s22, 24
	s_cbranch_scc0 .LBB46_1435
; %bb.1426:
	global_load_ubyte v7, v[0:1], off
	s_movk_i32 s2, 0x7f
	s_mov_b64 s[10:11], 0
	s_waitcnt vmcnt(0)
	v_cmp_lt_i16_e32 vcc, s2, v7
	s_and_saveexec_b64 s[2:3], vcc
	s_xor_b64 s[2:3], exec, s[2:3]
	s_cbranch_execz .LBB46_1447
; %bb.1427:
	s_movk_i32 s10, 0x80
	v_cmp_ne_u16_e32 vcc, s10, v7
	s_and_b64 s[10:11], vcc, exec
	s_andn2_saveexec_b64 s[2:3], s[2:3]
	s_cbranch_execnz .LBB46_1448
.LBB46_1428:
	s_or_b64 exec, exec, s[2:3]
	v_mov_b32_e32 v3, 0
	s_and_saveexec_b64 s[2:3], s[10:11]
	s_cbranch_execz .LBB46_1430
.LBB46_1429:
	v_lshlrev_b32_e32 v3, 24, v7
	v_and_b32_e32 v7, 0xffff, v7
	v_and_b32_e32 v8, 3, v7
	v_ffbh_u32_e32 v10, v8
	v_min_u32_e32 v10, 32, v10
	v_subrev_u32_e32 v11, 29, v10
	v_bfe_u32 v9, v7, 2, 5
	v_lshlrev_b32_e32 v7, v11, v7
	v_sub_u32_e32 v10, 30, v10
	v_and_b32_e32 v7, 3, v7
	v_cmp_eq_u32_e32 vcc, 0, v9
	v_cndmask_b32_e32 v9, v9, v10, vcc
	v_cndmask_b32_e32 v7, v8, v7, vcc
	v_mov_b32_e32 v8, 0x37800000
	v_lshlrev_b32_e32 v7, 21, v7
	v_and_b32_e32 v3, 0x80000000, v3
	v_lshl_add_u32 v8, v9, 23, v8
	v_or3_b32 v3, v3, v8, v7
	v_cvt_i32_f32_e32 v3, v3
.LBB46_1430:
	s_or_b64 exec, exec, s[2:3]
	s_mov_b64 s[2:3], 0
	s_branch .LBB46_1436
.LBB46_1431:
	s_mov_b64 s[2:3], -1
                                        ; implicit-def: $vgpr3
	s_branch .LBB46_1442
.LBB46_1432:
	s_andn2_saveexec_b64 s[10:11], s[10:11]
	s_cbranch_execz .LBB46_1417
.LBB46_1433:
	v_cmp_ne_u16_e32 vcc, 0, v7
	s_andn2_b64 s[18:19], s[18:19], exec
	s_and_b64 s[20:21], vcc, exec
	s_or_b64 s[18:19], s[18:19], s[20:21]
	s_or_b64 exec, exec, s[10:11]
	v_mov_b32_e32 v3, 0
	s_and_saveexec_b64 s[10:11], s[18:19]
	s_cbranch_execnz .LBB46_1418
	s_branch .LBB46_1419
.LBB46_1434:
	s_mov_b64 s[2:3], -1
                                        ; implicit-def: $vgpr3
	s_branch .LBB46_1439
.LBB46_1435:
	s_mov_b64 s[2:3], -1
                                        ; implicit-def: $vgpr3
.LBB46_1436:
	s_and_b64 vcc, exec, s[2:3]
	s_cbranch_vccz .LBB46_1438
; %bb.1437:
	global_load_ubyte v3, v[0:1], off
	s_mov_b32 s2, 0x7f800000
	s_waitcnt vmcnt(0)
	v_lshlrev_b32_e32 v3, 24, v3
	v_and_b32_e32 v7, 0x7f000000, v3
	v_ffbh_u32_e32 v8, v7
	v_min_u32_e32 v8, 32, v8
	v_sub_u32_e64 v8, v8, 4 clamp
	v_lshlrev_b32_e32 v10, v8, v7
	v_lshlrev_b32_e32 v8, 23, v8
	v_lshrrev_b32_e32 v10, 4, v10
	v_add_u32_e32 v9, 0x1000000, v7
	v_sub_u32_e32 v8, v10, v8
	v_ashrrev_i32_e32 v9, 8, v9
	v_add_u32_e32 v8, 0x3c000000, v8
	v_and_or_b32 v8, v9, s2, v8
	v_cmp_ne_u32_e32 vcc, 0, v7
	v_cndmask_b32_e32 v7, 0, v8, vcc
	s_brev_b32 s2, 1
	v_and_or_b32 v3, v3, s2, v7
	v_cvt_i32_f32_e32 v3, v3
.LBB46_1438:
	s_mov_b64 s[2:3], 0
.LBB46_1439:
	s_andn2_b64 vcc, exec, s[2:3]
	s_cbranch_vccnz .LBB46_1441
; %bb.1440:
	global_load_ubyte v3, v[0:1], off
	s_movk_i32 s2, 0x7f00
	s_brev_b32 s3, 16
	s_waitcnt vmcnt(0)
	v_lshlrev_b16_e32 v7, 8, v3
	v_lshlrev_b32_e32 v3, 25, v3
	v_lshrrev_b32_e32 v8, 4, v3
	v_and_or_b32 v9, v7, s2, 0.5
	v_or_b32_e32 v8, 0x70000000, v8
	v_add_f32_e32 v9, -0.5, v9
	v_mul_f32_e32 v8, 0x7800000, v8
	v_cmp_gt_u32_e32 vcc, s3, v3
	v_bfe_i32 v7, v7, 0, 16
	v_cndmask_b32_e32 v3, v8, v9, vcc
	s_brev_b32 s2, 1
	v_and_or_b32 v3, v7, s2, v3
	v_cvt_i32_f32_e32 v3, v3
.LBB46_1441:
	s_mov_b64 s[2:3], 0
	s_mov_b64 s[10:11], -1
.LBB46_1442:
	s_andn2_b64 vcc, exec, s[2:3]
	s_mov_b64 s[2:3], 0
	s_cbranch_vccnz .LBB46_1453
; %bb.1443:
	s_cmp_gt_i32 s22, 14
	s_cbranch_scc0 .LBB46_1446
; %bb.1444:
	s_cmp_eq_u32 s22, 15
	s_cbranch_scc0 .LBB46_1449
; %bb.1445:
	global_load_ushort v3, v[0:1], off
	s_mov_b64 s[0:1], 0
	s_mov_b64 s[10:11], -1
	s_waitcnt vmcnt(0)
	v_lshlrev_b32_e32 v3, 16, v3
	v_cvt_i32_f32_e32 v3, v3
	s_branch .LBB46_1450
.LBB46_1446:
	s_mov_b64 s[18:19], -1
                                        ; implicit-def: $vgpr3
	s_branch .LBB46_1451
.LBB46_1447:
	s_andn2_saveexec_b64 s[2:3], s[2:3]
	s_cbranch_execz .LBB46_1428
.LBB46_1448:
	v_cmp_ne_u16_e32 vcc, 0, v7
	s_andn2_b64 s[10:11], s[10:11], exec
	s_and_b64 s[18:19], vcc, exec
	s_or_b64 s[10:11], s[10:11], s[18:19]
	s_or_b64 exec, exec, s[2:3]
	v_mov_b32_e32 v3, 0
	s_and_saveexec_b64 s[2:3], s[10:11]
	s_cbranch_execnz .LBB46_1429
	s_branch .LBB46_1430
.LBB46_1449:
	s_mov_b64 s[0:1], -1
                                        ; implicit-def: $vgpr3
.LBB46_1450:
	s_mov_b64 s[18:19], 0
.LBB46_1451:
	s_and_b64 vcc, exec, s[18:19]
	s_cbranch_vccz .LBB46_1453
; %bb.1452:
	s_cmp_lg_u32 s22, 11
	s_mov_b64 s[2:3], -1
	s_cselect_b64 s[0:1], -1, 0
.LBB46_1453:
	s_and_b64 vcc, exec, s[0:1]
	s_cbranch_vccnz .LBB46_1986
; %bb.1454:
	s_andn2_b64 vcc, exec, s[2:3]
	s_cbranch_vccnz .LBB46_1456
.LBB46_1455:
	global_load_ubyte v3, v[0:1], off
	s_mov_b64 s[10:11], -1
	s_waitcnt vmcnt(0)
	v_cmp_ne_u16_e32 vcc, 0, v3
	v_cndmask_b32_e64 v3, 0, 1, vcc
.LBB46_1456:
	s_mov_b64 s[0:1], 0
.LBB46_1457:
	s_and_b64 vcc, exec, s[0:1]
	s_cbranch_vccz .LBB46_1506
; %bb.1458:
	s_cmp_lt_i32 s22, 5
	s_cbranch_scc1 .LBB46_1463
; %bb.1459:
	s_cmp_lt_i32 s22, 8
	s_cbranch_scc1 .LBB46_1464
	;; [unrolled: 3-line block ×3, first 2 shown]
; %bb.1461:
	s_cmp_gt_i32 s22, 9
	s_cbranch_scc0 .LBB46_1466
; %bb.1462:
	global_load_dwordx2 v[7:8], v[0:1], off
	s_mov_b64 s[0:1], 0
	s_waitcnt vmcnt(0)
	v_cvt_i32_f64_e32 v3, v[7:8]
	s_branch .LBB46_1467
.LBB46_1463:
	s_mov_b64 s[0:1], -1
                                        ; implicit-def: $vgpr3
	s_branch .LBB46_1485
.LBB46_1464:
	s_mov_b64 s[0:1], -1
                                        ; implicit-def: $vgpr3
	s_branch .LBB46_1473
.LBB46_1465:
	s_mov_b64 s[0:1], -1
                                        ; implicit-def: $vgpr3
	s_branch .LBB46_1470
.LBB46_1466:
	s_mov_b64 s[0:1], -1
                                        ; implicit-def: $vgpr3
.LBB46_1467:
	s_andn2_b64 vcc, exec, s[0:1]
	s_cbranch_vccnz .LBB46_1469
; %bb.1468:
	global_load_dword v3, v[0:1], off
	s_waitcnt vmcnt(0)
	v_cvt_i32_f32_e32 v3, v3
.LBB46_1469:
	s_mov_b64 s[0:1], 0
.LBB46_1470:
	s_andn2_b64 vcc, exec, s[0:1]
	s_cbranch_vccnz .LBB46_1472
; %bb.1471:
	global_load_dword v3, v[0:1], off
	s_waitcnt vmcnt(0)
	v_cvt_f32_f16_e32 v3, v3
	v_cvt_i32_f32_e32 v3, v3
.LBB46_1472:
	s_mov_b64 s[0:1], 0
.LBB46_1473:
	s_andn2_b64 vcc, exec, s[0:1]
	s_cbranch_vccnz .LBB46_1484
; %bb.1474:
	s_cmp_lt_i32 s22, 6
	s_cbranch_scc1 .LBB46_1477
; %bb.1475:
	s_cmp_gt_i32 s22, 6
	s_cbranch_scc0 .LBB46_1478
; %bb.1476:
	global_load_dwordx2 v[7:8], v[0:1], off
	s_mov_b64 s[0:1], 0
	s_waitcnt vmcnt(0)
	v_cvt_i32_f64_e32 v3, v[7:8]
	s_branch .LBB46_1479
.LBB46_1477:
	s_mov_b64 s[0:1], -1
                                        ; implicit-def: $vgpr3
	s_branch .LBB46_1482
.LBB46_1478:
	s_mov_b64 s[0:1], -1
                                        ; implicit-def: $vgpr3
.LBB46_1479:
	s_andn2_b64 vcc, exec, s[0:1]
	s_cbranch_vccnz .LBB46_1481
; %bb.1480:
	global_load_dword v3, v[0:1], off
	s_waitcnt vmcnt(0)
	v_cvt_i32_f32_e32 v3, v3
.LBB46_1481:
	s_mov_b64 s[0:1], 0
.LBB46_1482:
	s_andn2_b64 vcc, exec, s[0:1]
	s_cbranch_vccnz .LBB46_1484
; %bb.1483:
	global_load_ushort v3, v[0:1], off
	s_waitcnt vmcnt(0)
	v_cvt_f32_f16_e32 v3, v3
	v_cvt_i32_f32_e32 v3, v3
.LBB46_1484:
	s_mov_b64 s[0:1], 0
.LBB46_1485:
	s_andn2_b64 vcc, exec, s[0:1]
	s_cbranch_vccnz .LBB46_1505
; %bb.1486:
	s_cmp_lt_i32 s22, 2
	s_cbranch_scc1 .LBB46_1490
; %bb.1487:
	s_cmp_lt_i32 s22, 3
	s_cbranch_scc1 .LBB46_1491
; %bb.1488:
	s_cmp_gt_i32 s22, 3
	s_cbranch_scc0 .LBB46_1492
; %bb.1489:
	global_load_dword v3, v[0:1], off
	s_mov_b64 s[0:1], 0
	s_branch .LBB46_1493
.LBB46_1490:
	s_mov_b64 s[0:1], -1
                                        ; implicit-def: $vgpr3
	s_branch .LBB46_1499
.LBB46_1491:
	s_mov_b64 s[0:1], -1
                                        ; implicit-def: $vgpr3
	s_branch .LBB46_1496
.LBB46_1492:
	s_mov_b64 s[0:1], -1
                                        ; implicit-def: $vgpr3
.LBB46_1493:
	s_andn2_b64 vcc, exec, s[0:1]
	s_cbranch_vccnz .LBB46_1495
; %bb.1494:
	global_load_dword v3, v[0:1], off
.LBB46_1495:
	s_mov_b64 s[0:1], 0
.LBB46_1496:
	s_andn2_b64 vcc, exec, s[0:1]
	s_cbranch_vccnz .LBB46_1498
; %bb.1497:
	global_load_sshort v3, v[0:1], off
.LBB46_1498:
	s_mov_b64 s[0:1], 0
.LBB46_1499:
	s_andn2_b64 vcc, exec, s[0:1]
	s_cbranch_vccnz .LBB46_1505
; %bb.1500:
	s_cmp_gt_i32 s22, 0
	s_cbranch_scc0 .LBB46_1502
; %bb.1501:
	global_load_sbyte v3, v[0:1], off
	s_mov_b64 s[0:1], 0
	s_branch .LBB46_1503
.LBB46_1502:
	s_mov_b64 s[0:1], -1
                                        ; implicit-def: $vgpr3
.LBB46_1503:
	s_andn2_b64 vcc, exec, s[0:1]
	s_cbranch_vccnz .LBB46_1505
; %bb.1504:
	global_load_ubyte v3, v[0:1], off
.LBB46_1505:
	s_mov_b64 s[10:11], -1
.LBB46_1506:
	s_andn2_b64 vcc, exec, s[10:11]
	s_cbranch_vccnz .LBB46_1940
; %bb.1507:
	v_mul_lo_u32 v2, s12, v2
	s_cmp_eq_u32 s14, 0
	s_cselect_b64 s[2:3], -1, 0
	s_waitcnt vmcnt(0)
	v_cmp_ne_u32_e32 vcc, s15, v6
	s_xor_b64 s[10:11], s[2:3], vcc
	v_ashrrev_i32_e32 v1, 31, v2
	v_mov_b32_e32 v6, s9
	s_and_b32 s26, s33, 0xff
	v_add_co_u32_e32 v0, vcc, s8, v2
	s_cmp_lt_i32 s26, 11
	v_addc_co_u32_e32 v1, vcc, v6, v1, vcc
	s_cbranch_scc1 .LBB46_1585
; %bb.1508:
	s_and_b32 s13, 0xffff, s26
	s_mov_b64 s[22:23], -1
	s_mov_b64 s[18:19], 0
	s_cmp_gt_i32 s13, 25
	s_mov_b64 s[20:21], 0
	s_mov_b64 s[0:1], 0
	s_cbranch_scc0 .LBB46_1541
; %bb.1509:
	s_cmp_gt_i32 s13, 28
	s_cbranch_scc0 .LBB46_1524
; %bb.1510:
	s_cmp_gt_i32 s13, 43
	;; [unrolled: 3-line block ×3, first 2 shown]
	s_cbranch_scc0 .LBB46_1514
; %bb.1512:
	s_mov_b64 s[0:1], -1
	s_mov_b64 s[22:23], 0
	s_cmp_eq_u32 s13, 46
	s_cbranch_scc0 .LBB46_1514
; %bb.1513:
	v_cndmask_b32_e64 v6, 0, 1.0, s[10:11]
	v_bfe_u32 v7, v6, 16, 1
	s_movk_i32 s0, 0x7fff
	v_add3_u32 v6, v6, v7, s0
	v_lshrrev_b32_e32 v6, 16, v6
	global_store_dword v[0:1], v6, off
	s_mov_b64 s[0:1], 0
	s_mov_b64 s[20:21], -1
.LBB46_1514:
	s_and_b64 vcc, exec, s[22:23]
	s_cbranch_vccz .LBB46_1519
; %bb.1515:
	s_cmp_eq_u32 s13, 44
	s_mov_b64 s[0:1], -1
	s_cbranch_scc0 .LBB46_1519
; %bb.1516:
	v_cndmask_b32_e64 v7, 0, 1.0, s[10:11]
	v_lshrrev_b32_e32 v6, 23, v7
	s_movk_i32 s0, 0xff
	v_cmp_ne_u32_e32 vcc, s0, v6
	v_mov_b32_e32 v8, 0xff
	s_and_saveexec_b64 s[20:21], vcc
; %bb.1517:
	s_mov_b32 s0, 0x3fffff
	v_and_b32_e32 v8, 0x400000, v7
	v_and_or_b32 v7, v7, s0, v6
	v_cmp_ne_u32_e32 vcc, 0, v8
	v_cmp_ne_u32_e64 s[0:1], 0, v7
	s_and_b64 s[0:1], vcc, s[0:1]
	v_cndmask_b32_e64 v7, 0, 1, s[0:1]
	v_add_u32_e32 v8, v6, v7
; %bb.1518:
	s_or_b64 exec, exec, s[20:21]
	s_mov_b64 s[0:1], 0
	s_mov_b64 s[20:21], -1
	global_store_byte v[0:1], v8, off
.LBB46_1519:
	s_mov_b64 s[22:23], 0
.LBB46_1520:
	s_and_b64 vcc, exec, s[22:23]
	s_cbranch_vccz .LBB46_1523
; %bb.1521:
	s_cmp_eq_u32 s13, 29
	s_mov_b64 s[0:1], -1
	s_cbranch_scc0 .LBB46_1523
; %bb.1522:
	s_mov_b32 s0, 0
	v_cndmask_b32_e64 v6, 0, 1, s[10:11]
	v_mov_b32_e32 v7, s0
	global_store_dwordx2 v[0:1], v[6:7], off
	s_mov_b64 s[0:1], 0
	s_mov_b64 s[20:21], -1
.LBB46_1523:
	s_mov_b64 s[22:23], 0
.LBB46_1524:
	s_and_b64 vcc, exec, s[22:23]
	s_cbranch_vccz .LBB46_1540
; %bb.1525:
	s_cmp_lt_i32 s13, 27
	s_mov_b64 s[20:21], -1
	s_cbranch_scc1 .LBB46_1531
; %bb.1526:
	s_cmp_gt_i32 s13, 27
	s_cbranch_scc0 .LBB46_1528
; %bb.1527:
	v_cndmask_b32_e64 v6, 0, 1, s[10:11]
	s_mov_b64 s[20:21], 0
	global_store_dword v[0:1], v6, off
.LBB46_1528:
	s_andn2_b64 vcc, exec, s[20:21]
	s_cbranch_vccnz .LBB46_1530
; %bb.1529:
	v_cndmask_b32_e64 v6, 0, 1, s[10:11]
	global_store_short v[0:1], v6, off
.LBB46_1530:
	s_mov_b64 s[20:21], 0
.LBB46_1531:
	s_andn2_b64 vcc, exec, s[20:21]
	s_cbranch_vccnz .LBB46_1539
; %bb.1532:
	v_cndmask_b32_e64 v7, 0, 1.0, s[10:11]
	s_mov_b32 s14, 0x43800000
	v_cmp_gt_u32_e32 vcc, s14, v7
	v_mov_b32_e32 v8, 0x80
	s_and_saveexec_b64 s[20:21], vcc
	s_cbranch_execz .LBB46_1538
; %bb.1533:
	s_mov_b32 s14, 0x3bffffff
	v_cmp_lt_u32_e32 vcc, s14, v7
	s_mov_b64 s[22:23], 0
                                        ; implicit-def: $vgpr6
	s_and_saveexec_b64 s[24:25], vcc
	s_xor_b64 s[24:25], exec, s[24:25]
	s_cbranch_execz .LBB46_1987
; %bb.1534:
	v_bfe_u32 v6, v7, 20, 1
	s_mov_b32 s14, 0x487ffff
	v_add3_u32 v6, v7, v6, s14
	s_mov_b64 s[22:23], exec
	v_lshrrev_b32_e32 v6, 20, v6
                                        ; implicit-def: $vgpr7
	s_andn2_saveexec_b64 s[24:25], s[24:25]
	s_cbranch_execnz .LBB46_1988
.LBB46_1535:
	s_or_b64 exec, exec, s[24:25]
	v_mov_b32_e32 v8, 0
	s_and_saveexec_b64 s[24:25], s[22:23]
.LBB46_1536:
	v_mov_b32_e32 v8, v6
.LBB46_1537:
	s_or_b64 exec, exec, s[24:25]
.LBB46_1538:
	s_or_b64 exec, exec, s[20:21]
	global_store_byte v[0:1], v8, off
.LBB46_1539:
	s_mov_b64 s[20:21], -1
.LBB46_1540:
	s_mov_b64 s[22:23], 0
.LBB46_1541:
	s_and_b64 vcc, exec, s[22:23]
	s_cbranch_vccz .LBB46_1581
; %bb.1542:
	s_cmp_gt_i32 s13, 22
	s_mov_b64 s[18:19], -1
	s_cbranch_scc0 .LBB46_1574
; %bb.1543:
	s_cmp_lt_i32 s13, 24
	s_cbranch_scc1 .LBB46_1563
; %bb.1544:
	s_cmp_gt_i32 s13, 24
	s_cbranch_scc0 .LBB46_1552
; %bb.1545:
	v_cndmask_b32_e64 v7, 0, 1.0, s[10:11]
	s_mov_b32 s14, 0x47800000
	v_cmp_gt_u32_e32 vcc, s14, v7
	v_mov_b32_e32 v8, 0x80
	s_and_saveexec_b64 s[18:19], vcc
	s_cbranch_execz .LBB46_1551
; %bb.1546:
	s_mov_b32 s14, 0x37ffffff
	v_cmp_lt_u32_e32 vcc, s14, v7
	s_mov_b64 s[20:21], 0
                                        ; implicit-def: $vgpr6
	s_and_saveexec_b64 s[22:23], vcc
	s_xor_b64 s[22:23], exec, s[22:23]
	s_cbranch_execz .LBB46_1990
; %bb.1547:
	v_bfe_u32 v6, v7, 21, 1
	s_mov_b32 s14, 0x88fffff
	v_add3_u32 v6, v7, v6, s14
	s_mov_b64 s[20:21], exec
	v_lshrrev_b32_e32 v6, 21, v6
                                        ; implicit-def: $vgpr7
	s_andn2_saveexec_b64 s[22:23], s[22:23]
	s_cbranch_execnz .LBB46_1991
.LBB46_1548:
	s_or_b64 exec, exec, s[22:23]
	v_mov_b32_e32 v8, 0
	s_and_saveexec_b64 s[22:23], s[20:21]
.LBB46_1549:
	v_mov_b32_e32 v8, v6
.LBB46_1550:
	s_or_b64 exec, exec, s[22:23]
.LBB46_1551:
	s_or_b64 exec, exec, s[18:19]
	s_mov_b64 s[18:19], 0
	global_store_byte v[0:1], v8, off
.LBB46_1552:
	s_and_b64 vcc, exec, s[18:19]
	s_cbranch_vccz .LBB46_1562
; %bb.1553:
	v_cndmask_b32_e64 v6, 0, 1.0, s[10:11]
	s_mov_b32 s14, 0x43f00000
	v_cmp_gt_u32_e32 vcc, s14, v6
                                        ; implicit-def: $vgpr7
	s_and_saveexec_b64 s[18:19], vcc
	s_xor_b64 s[18:19], exec, s[18:19]
	s_cbranch_execz .LBB46_1559
; %bb.1554:
	s_mov_b32 s14, 0x3c7fffff
	v_cmp_lt_u32_e32 vcc, s14, v6
                                        ; implicit-def: $vgpr7
	s_and_saveexec_b64 s[20:21], vcc
	s_xor_b64 s[20:21], exec, s[20:21]
; %bb.1555:
	v_bfe_u32 v7, v6, 20, 1
	s_mov_b32 s14, 0x407ffff
	v_add3_u32 v6, v6, v7, s14
	v_lshrrev_b32_e32 v7, 20, v6
	v_and_b32_e32 v6, 0xff00000, v6
	s_mov_b32 s14, 0x7f00000
	v_mov_b32_e32 v8, 0x7e
	v_cmp_ne_u32_e32 vcc, s14, v6
	v_cndmask_b32_e32 v7, v8, v7, vcc
                                        ; implicit-def: $vgpr6
; %bb.1556:
	s_andn2_saveexec_b64 s[20:21], s[20:21]
; %bb.1557:
	v_add_f32_e32 v7, 0x46800000, v6
; %bb.1558:
	s_or_b64 exec, exec, s[20:21]
                                        ; implicit-def: $vgpr6
.LBB46_1559:
	s_andn2_saveexec_b64 s[18:19], s[18:19]
; %bb.1560:
	s_mov_b32 s14, 0x7f800000
	v_mov_b32_e32 v7, 0x7e
	v_mov_b32_e32 v8, 0x7f
	v_cmp_lt_u32_e32 vcc, s14, v6
	v_cndmask_b32_e32 v7, v7, v8, vcc
; %bb.1561:
	s_or_b64 exec, exec, s[18:19]
	global_store_byte v[0:1], v7, off
.LBB46_1562:
	s_mov_b64 s[18:19], 0
.LBB46_1563:
	s_andn2_b64 vcc, exec, s[18:19]
	s_cbranch_vccnz .LBB46_1573
; %bb.1564:
	v_cndmask_b32_e64 v6, 0, 1.0, s[10:11]
	s_mov_b32 s14, 0x47800000
	v_cmp_gt_u32_e32 vcc, s14, v6
                                        ; implicit-def: $vgpr7
	s_and_saveexec_b64 s[18:19], vcc
	s_xor_b64 s[18:19], exec, s[18:19]
	s_cbranch_execz .LBB46_1570
; %bb.1565:
	s_mov_b32 s14, 0x387fffff
	v_cmp_lt_u32_e32 vcc, s14, v6
                                        ; implicit-def: $vgpr7
	s_and_saveexec_b64 s[20:21], vcc
	s_xor_b64 s[20:21], exec, s[20:21]
; %bb.1566:
	v_bfe_u32 v7, v6, 21, 1
	s_mov_b32 s14, 0x80fffff
	v_add3_u32 v6, v6, v7, s14
	v_lshrrev_b32_e32 v7, 21, v6
                                        ; implicit-def: $vgpr6
; %bb.1567:
	s_andn2_saveexec_b64 s[20:21], s[20:21]
; %bb.1568:
	v_add_f32_e32 v7, 0x43000000, v6
; %bb.1569:
	s_or_b64 exec, exec, s[20:21]
                                        ; implicit-def: $vgpr6
.LBB46_1570:
	s_andn2_saveexec_b64 s[18:19], s[18:19]
; %bb.1571:
	s_mov_b32 s14, 0x7f800000
	v_mov_b32_e32 v7, 0x7c
	v_mov_b32_e32 v8, 0x7f
	v_cmp_lt_u32_e32 vcc, s14, v6
	v_cndmask_b32_e32 v7, v7, v8, vcc
; %bb.1572:
	s_or_b64 exec, exec, s[18:19]
	global_store_byte v[0:1], v7, off
.LBB46_1573:
	s_mov_b64 s[18:19], 0
	s_mov_b64 s[20:21], -1
.LBB46_1574:
	s_andn2_b64 vcc, exec, s[18:19]
	s_mov_b64 s[18:19], 0
	s_cbranch_vccnz .LBB46_1581
; %bb.1575:
	s_cmp_gt_i32 s13, 14
	s_mov_b64 s[22:23], -1
	s_cbranch_scc0 .LBB46_1579
; %bb.1576:
	s_cmp_eq_u32 s13, 15
	s_mov_b64 s[0:1], -1
	s_cbranch_scc0 .LBB46_1578
; %bb.1577:
	v_cndmask_b32_e64 v6, 0, 1.0, s[10:11]
	v_bfe_u32 v7, v6, 16, 1
	s_movk_i32 s0, 0x7fff
	v_add3_u32 v6, v6, v7, s0
	global_store_short_d16_hi v[0:1], v6, off
	s_mov_b64 s[0:1], 0
	s_mov_b64 s[20:21], -1
.LBB46_1578:
	s_mov_b64 s[22:23], 0
.LBB46_1579:
	s_and_b64 vcc, exec, s[22:23]
	s_cbranch_vccz .LBB46_1581
; %bb.1580:
	s_cmp_lg_u32 s13, 11
	s_mov_b64 s[18:19], -1
	s_cselect_b64 s[0:1], -1, 0
.LBB46_1581:
	s_and_b64 vcc, exec, s[0:1]
	s_cbranch_vccnz .LBB46_1989
; %bb.1582:
	s_andn2_b64 vcc, exec, s[18:19]
	s_cbranch_vccnz .LBB46_1584
.LBB46_1583:
	v_cndmask_b32_e64 v6, 0, 1, s[10:11]
	s_mov_b64 s[20:21], -1
	global_store_byte v[0:1], v6, off
.LBB46_1584:
	s_mov_b64 s[0:1], 0
	s_branch .LBB46_1586
.LBB46_1585:
	s_mov_b64 s[0:1], -1
	s_mov_b64 s[20:21], 0
.LBB46_1586:
	s_and_b64 vcc, exec, s[0:1]
	s_cbranch_vccz .LBB46_1625
; %bb.1587:
	s_and_b32 s13, 0xffff, s26
	s_cmp_lt_i32 s13, 5
	s_mov_b64 s[0:1], -1
	s_cbranch_scc1 .LBB46_1608
; %bb.1588:
	s_cmp_lt_i32 s13, 8
	s_cbranch_scc1 .LBB46_1598
; %bb.1589:
	s_cmp_lt_i32 s13, 9
	s_cbranch_scc1 .LBB46_1595
; %bb.1590:
	s_cmp_gt_i32 s13, 9
	s_cbranch_scc0 .LBB46_1592
; %bb.1591:
	v_cndmask_b32_e64 v6, 0, 1, s[10:11]
	v_cvt_f64_u32_e32 v[6:7], v6
	v_mov_b32_e32 v8, 0
	v_mov_b32_e32 v9, v8
	s_mov_b64 s[0:1], 0
	global_store_dwordx4 v[0:1], v[6:9], off
.LBB46_1592:
	s_andn2_b64 vcc, exec, s[0:1]
	s_cbranch_vccnz .LBB46_1594
; %bb.1593:
	v_cndmask_b32_e64 v6, 0, 1.0, s[10:11]
	v_mov_b32_e32 v7, 0
	global_store_dwordx2 v[0:1], v[6:7], off
.LBB46_1594:
	s_mov_b64 s[0:1], 0
.LBB46_1595:
	s_andn2_b64 vcc, exec, s[0:1]
	s_cbranch_vccnz .LBB46_1597
; %bb.1596:
	v_cndmask_b32_e64 v6, 0, 1.0, s[10:11]
	v_cvt_f16_f32_e32 v6, v6
	global_store_dword v[0:1], v6, off
.LBB46_1597:
	s_mov_b64 s[0:1], 0
.LBB46_1598:
	s_andn2_b64 vcc, exec, s[0:1]
	s_cbranch_vccnz .LBB46_1607
; %bb.1599:
	s_cmp_lt_i32 s13, 6
	s_mov_b64 s[0:1], -1
	s_cbranch_scc1 .LBB46_1605
; %bb.1600:
	s_cmp_gt_i32 s13, 6
	s_cbranch_scc0 .LBB46_1602
; %bb.1601:
	v_cndmask_b32_e64 v6, 0, 1, s[10:11]
	v_cvt_f64_u32_e32 v[6:7], v6
	s_mov_b64 s[0:1], 0
	global_store_dwordx2 v[0:1], v[6:7], off
.LBB46_1602:
	s_andn2_b64 vcc, exec, s[0:1]
	s_cbranch_vccnz .LBB46_1604
; %bb.1603:
	v_cndmask_b32_e64 v6, 0, 1.0, s[10:11]
	global_store_dword v[0:1], v6, off
.LBB46_1604:
	s_mov_b64 s[0:1], 0
.LBB46_1605:
	s_andn2_b64 vcc, exec, s[0:1]
	s_cbranch_vccnz .LBB46_1607
; %bb.1606:
	v_cndmask_b32_e64 v6, 0, 1.0, s[10:11]
	v_cvt_f16_f32_e32 v6, v6
	global_store_short v[0:1], v6, off
.LBB46_1607:
	s_mov_b64 s[0:1], 0
.LBB46_1608:
	s_andn2_b64 vcc, exec, s[0:1]
	s_cbranch_vccnz .LBB46_1624
; %bb.1609:
	s_cmp_lt_i32 s13, 2
	s_mov_b64 s[0:1], -1
	s_cbranch_scc1 .LBB46_1619
; %bb.1610:
	s_cmp_lt_i32 s13, 3
	s_cbranch_scc1 .LBB46_1616
; %bb.1611:
	s_cmp_gt_i32 s13, 3
	s_cbranch_scc0 .LBB46_1613
; %bb.1612:
	s_mov_b32 s0, 0
	v_cndmask_b32_e64 v6, 0, 1, s[10:11]
	v_mov_b32_e32 v7, s0
	global_store_dwordx2 v[0:1], v[6:7], off
	s_mov_b64 s[0:1], 0
.LBB46_1613:
	s_andn2_b64 vcc, exec, s[0:1]
	s_cbranch_vccnz .LBB46_1615
; %bb.1614:
	v_cndmask_b32_e64 v6, 0, 1, s[10:11]
	global_store_dword v[0:1], v6, off
.LBB46_1615:
	s_mov_b64 s[0:1], 0
.LBB46_1616:
	s_andn2_b64 vcc, exec, s[0:1]
	s_cbranch_vccnz .LBB46_1618
; %bb.1617:
	v_cndmask_b32_e64 v6, 0, 1, s[10:11]
	global_store_short v[0:1], v6, off
.LBB46_1618:
	s_mov_b64 s[0:1], 0
.LBB46_1619:
	s_andn2_b64 vcc, exec, s[0:1]
	s_cbranch_vccnz .LBB46_1624
; %bb.1620:
	s_mov_b64 s[0:1], -1
	s_cmp_gt_i32 s13, 0
	v_cndmask_b32_e64 v6, 0, 1, s[10:11]
	s_cbranch_scc0 .LBB46_1622
; %bb.1621:
	global_store_byte v[0:1], v6, off
	s_mov_b64 s[0:1], 0
.LBB46_1622:
	s_andn2_b64 vcc, exec, s[0:1]
	s_cbranch_vccnz .LBB46_1624
; %bb.1623:
	global_store_byte v[0:1], v6, off
.LBB46_1624:
	s_mov_b64 s[20:21], -1
.LBB46_1625:
	s_andn2_b64 vcc, exec, s[20:21]
	s_cbranch_vccnz .LBB46_1940
; %bb.1626:
	s_lshl_b32 s14, s12, 7
	v_cmp_ne_u32_e32 vcc, s15, v5
	v_add_u32_e32 v2, s14, v2
	s_xor_b64 s[10:11], s[2:3], vcc
	v_ashrrev_i32_e32 v1, 31, v2
	v_mov_b32_e32 v5, s9
	v_add_co_u32_e32 v0, vcc, s8, v2
	s_cmp_lt_i32 s26, 11
	v_addc_co_u32_e32 v1, vcc, v5, v1, vcc
	s_cbranch_scc1 .LBB46_1704
; %bb.1627:
	s_and_b32 s24, 0xffff, s26
	s_mov_b64 s[20:21], -1
	s_mov_b64 s[12:13], 0
	s_cmp_gt_i32 s24, 25
	s_mov_b64 s[18:19], 0
	s_mov_b64 s[0:1], 0
	s_cbranch_scc0 .LBB46_1660
; %bb.1628:
	s_cmp_gt_i32 s24, 28
	s_cbranch_scc0 .LBB46_1643
; %bb.1629:
	s_cmp_gt_i32 s24, 43
	;; [unrolled: 3-line block ×3, first 2 shown]
	s_cbranch_scc0 .LBB46_1633
; %bb.1631:
	s_mov_b64 s[0:1], -1
	s_mov_b64 s[20:21], 0
	s_cmp_eq_u32 s24, 46
	s_cbranch_scc0 .LBB46_1633
; %bb.1632:
	v_cndmask_b32_e64 v5, 0, 1.0, s[10:11]
	v_bfe_u32 v6, v5, 16, 1
	s_movk_i32 s0, 0x7fff
	v_add3_u32 v5, v5, v6, s0
	v_lshrrev_b32_e32 v5, 16, v5
	global_store_dword v[0:1], v5, off
	s_mov_b64 s[0:1], 0
	s_mov_b64 s[18:19], -1
.LBB46_1633:
	s_and_b64 vcc, exec, s[20:21]
	s_cbranch_vccz .LBB46_1638
; %bb.1634:
	s_cmp_eq_u32 s24, 44
	s_mov_b64 s[0:1], -1
	s_cbranch_scc0 .LBB46_1638
; %bb.1635:
	v_cndmask_b32_e64 v6, 0, 1.0, s[10:11]
	v_lshrrev_b32_e32 v5, 23, v6
	s_movk_i32 s0, 0xff
	v_cmp_ne_u32_e32 vcc, s0, v5
	v_mov_b32_e32 v7, 0xff
	s_and_saveexec_b64 s[18:19], vcc
; %bb.1636:
	s_mov_b32 s0, 0x3fffff
	v_and_b32_e32 v7, 0x400000, v6
	v_and_or_b32 v6, v6, s0, v5
	v_cmp_ne_u32_e32 vcc, 0, v7
	v_cmp_ne_u32_e64 s[0:1], 0, v6
	s_and_b64 s[0:1], vcc, s[0:1]
	v_cndmask_b32_e64 v6, 0, 1, s[0:1]
	v_add_u32_e32 v7, v5, v6
; %bb.1637:
	s_or_b64 exec, exec, s[18:19]
	s_mov_b64 s[0:1], 0
	s_mov_b64 s[18:19], -1
	global_store_byte v[0:1], v7, off
.LBB46_1638:
	s_mov_b64 s[20:21], 0
.LBB46_1639:
	s_and_b64 vcc, exec, s[20:21]
	s_cbranch_vccz .LBB46_1642
; %bb.1640:
	s_cmp_eq_u32 s24, 29
	s_mov_b64 s[0:1], -1
	s_cbranch_scc0 .LBB46_1642
; %bb.1641:
	s_mov_b32 s0, 0
	v_cndmask_b32_e64 v5, 0, 1, s[10:11]
	v_mov_b32_e32 v6, s0
	global_store_dwordx2 v[0:1], v[5:6], off
	s_mov_b64 s[0:1], 0
	s_mov_b64 s[18:19], -1
.LBB46_1642:
	s_mov_b64 s[20:21], 0
.LBB46_1643:
	s_and_b64 vcc, exec, s[20:21]
	s_cbranch_vccz .LBB46_1659
; %bb.1644:
	s_cmp_lt_i32 s24, 27
	s_mov_b64 s[18:19], -1
	s_cbranch_scc1 .LBB46_1650
; %bb.1645:
	s_cmp_gt_i32 s24, 27
	s_cbranch_scc0 .LBB46_1647
; %bb.1646:
	v_cndmask_b32_e64 v5, 0, 1, s[10:11]
	s_mov_b64 s[18:19], 0
	global_store_dword v[0:1], v5, off
.LBB46_1647:
	s_andn2_b64 vcc, exec, s[18:19]
	s_cbranch_vccnz .LBB46_1649
; %bb.1648:
	v_cndmask_b32_e64 v5, 0, 1, s[10:11]
	global_store_short v[0:1], v5, off
.LBB46_1649:
	s_mov_b64 s[18:19], 0
.LBB46_1650:
	s_andn2_b64 vcc, exec, s[18:19]
	s_cbranch_vccnz .LBB46_1658
; %bb.1651:
	v_cndmask_b32_e64 v6, 0, 1.0, s[10:11]
	s_mov_b32 s18, 0x43800000
	v_cmp_gt_u32_e32 vcc, s18, v6
	v_mov_b32_e32 v7, 0x80
	s_and_saveexec_b64 s[18:19], vcc
	s_cbranch_execz .LBB46_1657
; %bb.1652:
	s_mov_b32 s20, 0x3bffffff
	v_cmp_lt_u32_e32 vcc, s20, v6
	s_mov_b64 s[20:21], 0
                                        ; implicit-def: $vgpr5
	s_and_saveexec_b64 s[22:23], vcc
	s_xor_b64 s[22:23], exec, s[22:23]
	s_cbranch_execz .LBB46_1992
; %bb.1653:
	v_bfe_u32 v5, v6, 20, 1
	s_mov_b32 s25, 0x487ffff
	v_add3_u32 v5, v6, v5, s25
	s_mov_b64 s[20:21], exec
	v_lshrrev_b32_e32 v5, 20, v5
                                        ; implicit-def: $vgpr6
	s_andn2_saveexec_b64 s[22:23], s[22:23]
	s_cbranch_execnz .LBB46_1993
.LBB46_1654:
	s_or_b64 exec, exec, s[22:23]
	v_mov_b32_e32 v7, 0
	s_and_saveexec_b64 s[22:23], s[20:21]
.LBB46_1655:
	v_mov_b32_e32 v7, v5
.LBB46_1656:
	s_or_b64 exec, exec, s[22:23]
.LBB46_1657:
	s_or_b64 exec, exec, s[18:19]
	global_store_byte v[0:1], v7, off
.LBB46_1658:
	s_mov_b64 s[18:19], -1
.LBB46_1659:
	s_mov_b64 s[20:21], 0
.LBB46_1660:
	s_and_b64 vcc, exec, s[20:21]
	s_cbranch_vccz .LBB46_1700
; %bb.1661:
	s_cmp_gt_i32 s24, 22
	s_mov_b64 s[12:13], -1
	s_cbranch_scc0 .LBB46_1693
; %bb.1662:
	s_cmp_lt_i32 s24, 24
	s_cbranch_scc1 .LBB46_1682
; %bb.1663:
	s_cmp_gt_i32 s24, 24
	s_cbranch_scc0 .LBB46_1671
; %bb.1664:
	v_cndmask_b32_e64 v6, 0, 1.0, s[10:11]
	s_mov_b32 s12, 0x47800000
	v_cmp_gt_u32_e32 vcc, s12, v6
	v_mov_b32_e32 v7, 0x80
	s_and_saveexec_b64 s[12:13], vcc
	s_cbranch_execz .LBB46_1670
; %bb.1665:
	s_mov_b32 s18, 0x37ffffff
	v_cmp_lt_u32_e32 vcc, s18, v6
	s_mov_b64 s[18:19], 0
                                        ; implicit-def: $vgpr5
	s_and_saveexec_b64 s[20:21], vcc
	s_xor_b64 s[20:21], exec, s[20:21]
	s_cbranch_execz .LBB46_1995
; %bb.1666:
	v_bfe_u32 v5, v6, 21, 1
	s_mov_b32 s22, 0x88fffff
	v_add3_u32 v5, v6, v5, s22
	s_mov_b64 s[18:19], exec
	v_lshrrev_b32_e32 v5, 21, v5
                                        ; implicit-def: $vgpr6
	s_andn2_saveexec_b64 s[20:21], s[20:21]
	s_cbranch_execnz .LBB46_1996
.LBB46_1667:
	s_or_b64 exec, exec, s[20:21]
	v_mov_b32_e32 v7, 0
	s_and_saveexec_b64 s[20:21], s[18:19]
.LBB46_1668:
	v_mov_b32_e32 v7, v5
.LBB46_1669:
	s_or_b64 exec, exec, s[20:21]
.LBB46_1670:
	s_or_b64 exec, exec, s[12:13]
	s_mov_b64 s[12:13], 0
	global_store_byte v[0:1], v7, off
.LBB46_1671:
	s_and_b64 vcc, exec, s[12:13]
	s_cbranch_vccz .LBB46_1681
; %bb.1672:
	v_cndmask_b32_e64 v5, 0, 1.0, s[10:11]
	s_mov_b32 s12, 0x43f00000
	v_cmp_gt_u32_e32 vcc, s12, v5
                                        ; implicit-def: $vgpr6
	s_and_saveexec_b64 s[12:13], vcc
	s_xor_b64 s[12:13], exec, s[12:13]
	s_cbranch_execz .LBB46_1678
; %bb.1673:
	s_mov_b32 s18, 0x3c7fffff
	v_cmp_lt_u32_e32 vcc, s18, v5
                                        ; implicit-def: $vgpr6
	s_and_saveexec_b64 s[18:19], vcc
	s_xor_b64 s[18:19], exec, s[18:19]
; %bb.1674:
	v_bfe_u32 v6, v5, 20, 1
	s_mov_b32 s20, 0x407ffff
	v_add3_u32 v5, v5, v6, s20
	v_lshrrev_b32_e32 v6, 20, v5
	v_and_b32_e32 v5, 0xff00000, v5
	s_mov_b32 s20, 0x7f00000
	v_mov_b32_e32 v7, 0x7e
	v_cmp_ne_u32_e32 vcc, s20, v5
	v_cndmask_b32_e32 v6, v7, v6, vcc
                                        ; implicit-def: $vgpr5
; %bb.1675:
	s_andn2_saveexec_b64 s[18:19], s[18:19]
; %bb.1676:
	v_add_f32_e32 v6, 0x46800000, v5
; %bb.1677:
	s_or_b64 exec, exec, s[18:19]
                                        ; implicit-def: $vgpr5
.LBB46_1678:
	s_andn2_saveexec_b64 s[12:13], s[12:13]
; %bb.1679:
	s_mov_b32 s18, 0x7f800000
	v_mov_b32_e32 v6, 0x7e
	v_mov_b32_e32 v7, 0x7f
	v_cmp_lt_u32_e32 vcc, s18, v5
	v_cndmask_b32_e32 v6, v6, v7, vcc
; %bb.1680:
	s_or_b64 exec, exec, s[12:13]
	global_store_byte v[0:1], v6, off
.LBB46_1681:
	s_mov_b64 s[12:13], 0
.LBB46_1682:
	s_andn2_b64 vcc, exec, s[12:13]
	s_cbranch_vccnz .LBB46_1692
; %bb.1683:
	v_cndmask_b32_e64 v5, 0, 1.0, s[10:11]
	s_mov_b32 s12, 0x47800000
	v_cmp_gt_u32_e32 vcc, s12, v5
                                        ; implicit-def: $vgpr6
	s_and_saveexec_b64 s[12:13], vcc
	s_xor_b64 s[12:13], exec, s[12:13]
	s_cbranch_execz .LBB46_1689
; %bb.1684:
	s_mov_b32 s18, 0x387fffff
	v_cmp_lt_u32_e32 vcc, s18, v5
                                        ; implicit-def: $vgpr6
	s_and_saveexec_b64 s[18:19], vcc
	s_xor_b64 s[18:19], exec, s[18:19]
; %bb.1685:
	v_bfe_u32 v6, v5, 21, 1
	s_mov_b32 s20, 0x80fffff
	v_add3_u32 v5, v5, v6, s20
	v_lshrrev_b32_e32 v6, 21, v5
                                        ; implicit-def: $vgpr5
; %bb.1686:
	s_andn2_saveexec_b64 s[18:19], s[18:19]
; %bb.1687:
	v_add_f32_e32 v6, 0x43000000, v5
; %bb.1688:
	s_or_b64 exec, exec, s[18:19]
                                        ; implicit-def: $vgpr5
.LBB46_1689:
	s_andn2_saveexec_b64 s[12:13], s[12:13]
; %bb.1690:
	s_mov_b32 s18, 0x7f800000
	v_mov_b32_e32 v6, 0x7c
	v_mov_b32_e32 v7, 0x7f
	v_cmp_lt_u32_e32 vcc, s18, v5
	v_cndmask_b32_e32 v6, v6, v7, vcc
; %bb.1691:
	s_or_b64 exec, exec, s[12:13]
	global_store_byte v[0:1], v6, off
.LBB46_1692:
	s_mov_b64 s[12:13], 0
	s_mov_b64 s[18:19], -1
.LBB46_1693:
	s_andn2_b64 vcc, exec, s[12:13]
	s_mov_b64 s[12:13], 0
	s_cbranch_vccnz .LBB46_1700
; %bb.1694:
	s_cmp_gt_i32 s24, 14
	s_mov_b64 s[20:21], -1
	s_cbranch_scc0 .LBB46_1698
; %bb.1695:
	s_cmp_eq_u32 s24, 15
	s_mov_b64 s[0:1], -1
	s_cbranch_scc0 .LBB46_1697
; %bb.1696:
	v_cndmask_b32_e64 v5, 0, 1.0, s[10:11]
	v_bfe_u32 v6, v5, 16, 1
	s_movk_i32 s0, 0x7fff
	v_add3_u32 v5, v5, v6, s0
	global_store_short_d16_hi v[0:1], v5, off
	s_mov_b64 s[0:1], 0
	s_mov_b64 s[18:19], -1
.LBB46_1697:
	s_mov_b64 s[20:21], 0
.LBB46_1698:
	s_and_b64 vcc, exec, s[20:21]
	s_cbranch_vccz .LBB46_1700
; %bb.1699:
	s_cmp_lg_u32 s24, 11
	s_mov_b64 s[12:13], -1
	s_cselect_b64 s[0:1], -1, 0
.LBB46_1700:
	s_and_b64 vcc, exec, s[0:1]
	s_cbranch_vccnz .LBB46_1994
; %bb.1701:
	s_andn2_b64 vcc, exec, s[12:13]
	s_cbranch_vccnz .LBB46_1703
.LBB46_1702:
	v_cndmask_b32_e64 v5, 0, 1, s[10:11]
	s_mov_b64 s[18:19], -1
	global_store_byte v[0:1], v5, off
.LBB46_1703:
	s_mov_b64 s[0:1], 0
	s_branch .LBB46_1705
.LBB46_1704:
	s_mov_b64 s[0:1], -1
	s_mov_b64 s[18:19], 0
.LBB46_1705:
	s_and_b64 vcc, exec, s[0:1]
	s_cbranch_vccz .LBB46_1744
; %bb.1706:
	s_and_b32 s12, 0xffff, s26
	s_cmp_lt_i32 s12, 5
	s_mov_b64 s[0:1], -1
	s_cbranch_scc1 .LBB46_1727
; %bb.1707:
	s_cmp_lt_i32 s12, 8
	s_cbranch_scc1 .LBB46_1717
; %bb.1708:
	s_cmp_lt_i32 s12, 9
	s_cbranch_scc1 .LBB46_1714
; %bb.1709:
	s_cmp_gt_i32 s12, 9
	s_cbranch_scc0 .LBB46_1711
; %bb.1710:
	v_cndmask_b32_e64 v5, 0, 1, s[10:11]
	v_cvt_f64_u32_e32 v[5:6], v5
	v_mov_b32_e32 v7, 0
	v_mov_b32_e32 v8, v7
	s_mov_b64 s[0:1], 0
	global_store_dwordx4 v[0:1], v[5:8], off
.LBB46_1711:
	s_andn2_b64 vcc, exec, s[0:1]
	s_cbranch_vccnz .LBB46_1713
; %bb.1712:
	v_cndmask_b32_e64 v5, 0, 1.0, s[10:11]
	v_mov_b32_e32 v6, 0
	global_store_dwordx2 v[0:1], v[5:6], off
.LBB46_1713:
	s_mov_b64 s[0:1], 0
.LBB46_1714:
	s_andn2_b64 vcc, exec, s[0:1]
	s_cbranch_vccnz .LBB46_1716
; %bb.1715:
	v_cndmask_b32_e64 v5, 0, 1.0, s[10:11]
	v_cvt_f16_f32_e32 v5, v5
	global_store_dword v[0:1], v5, off
.LBB46_1716:
	s_mov_b64 s[0:1], 0
.LBB46_1717:
	s_andn2_b64 vcc, exec, s[0:1]
	s_cbranch_vccnz .LBB46_1726
; %bb.1718:
	s_cmp_lt_i32 s12, 6
	s_mov_b64 s[0:1], -1
	s_cbranch_scc1 .LBB46_1724
; %bb.1719:
	s_cmp_gt_i32 s12, 6
	s_cbranch_scc0 .LBB46_1721
; %bb.1720:
	v_cndmask_b32_e64 v5, 0, 1, s[10:11]
	v_cvt_f64_u32_e32 v[5:6], v5
	s_mov_b64 s[0:1], 0
	global_store_dwordx2 v[0:1], v[5:6], off
.LBB46_1721:
	s_andn2_b64 vcc, exec, s[0:1]
	s_cbranch_vccnz .LBB46_1723
; %bb.1722:
	v_cndmask_b32_e64 v5, 0, 1.0, s[10:11]
	global_store_dword v[0:1], v5, off
.LBB46_1723:
	s_mov_b64 s[0:1], 0
.LBB46_1724:
	s_andn2_b64 vcc, exec, s[0:1]
	s_cbranch_vccnz .LBB46_1726
; %bb.1725:
	v_cndmask_b32_e64 v5, 0, 1.0, s[10:11]
	v_cvt_f16_f32_e32 v5, v5
	global_store_short v[0:1], v5, off
.LBB46_1726:
	s_mov_b64 s[0:1], 0
.LBB46_1727:
	s_andn2_b64 vcc, exec, s[0:1]
	s_cbranch_vccnz .LBB46_1743
; %bb.1728:
	s_cmp_lt_i32 s12, 2
	s_mov_b64 s[0:1], -1
	s_cbranch_scc1 .LBB46_1738
; %bb.1729:
	s_cmp_lt_i32 s12, 3
	s_cbranch_scc1 .LBB46_1735
; %bb.1730:
	s_cmp_gt_i32 s12, 3
	s_cbranch_scc0 .LBB46_1732
; %bb.1731:
	s_mov_b32 s0, 0
	v_cndmask_b32_e64 v5, 0, 1, s[10:11]
	v_mov_b32_e32 v6, s0
	global_store_dwordx2 v[0:1], v[5:6], off
	s_mov_b64 s[0:1], 0
.LBB46_1732:
	s_andn2_b64 vcc, exec, s[0:1]
	s_cbranch_vccnz .LBB46_1734
; %bb.1733:
	v_cndmask_b32_e64 v5, 0, 1, s[10:11]
	global_store_dword v[0:1], v5, off
.LBB46_1734:
	s_mov_b64 s[0:1], 0
.LBB46_1735:
	s_andn2_b64 vcc, exec, s[0:1]
	s_cbranch_vccnz .LBB46_1737
; %bb.1736:
	v_cndmask_b32_e64 v5, 0, 1, s[10:11]
	global_store_short v[0:1], v5, off
.LBB46_1737:
	s_mov_b64 s[0:1], 0
.LBB46_1738:
	s_andn2_b64 vcc, exec, s[0:1]
	s_cbranch_vccnz .LBB46_1743
; %bb.1739:
	s_mov_b64 s[0:1], -1
	s_cmp_gt_i32 s12, 0
	v_cndmask_b32_e64 v5, 0, 1, s[10:11]
	s_cbranch_scc0 .LBB46_1741
; %bb.1740:
	global_store_byte v[0:1], v5, off
	s_mov_b64 s[0:1], 0
.LBB46_1741:
	s_andn2_b64 vcc, exec, s[0:1]
	s_cbranch_vccnz .LBB46_1743
; %bb.1742:
	global_store_byte v[0:1], v5, off
.LBB46_1743:
	s_mov_b64 s[18:19], -1
.LBB46_1744:
	s_andn2_b64 vcc, exec, s[18:19]
	s_cbranch_vccnz .LBB46_1940
; %bb.1745:
	v_cmp_ne_u32_e32 vcc, s15, v4
	v_add_u32_e32 v2, s14, v2
	s_xor_b64 s[10:11], s[2:3], vcc
	v_ashrrev_i32_e32 v1, 31, v2
	v_mov_b32_e32 v4, s9
	v_add_co_u32_e32 v0, vcc, s8, v2
	s_cmp_lt_i32 s26, 11
	v_addc_co_u32_e32 v1, vcc, v4, v1, vcc
	s_cbranch_scc1 .LBB46_1823
; %bb.1746:
	s_and_b32 s24, 0xffff, s26
	s_mov_b64 s[20:21], -1
	s_mov_b64 s[12:13], 0
	s_cmp_gt_i32 s24, 25
	s_mov_b64 s[18:19], 0
	s_mov_b64 s[0:1], 0
	s_cbranch_scc0 .LBB46_1779
; %bb.1747:
	s_cmp_gt_i32 s24, 28
	s_cbranch_scc0 .LBB46_1762
; %bb.1748:
	s_cmp_gt_i32 s24, 43
	;; [unrolled: 3-line block ×3, first 2 shown]
	s_cbranch_scc0 .LBB46_1752
; %bb.1750:
	s_mov_b64 s[0:1], -1
	s_mov_b64 s[20:21], 0
	s_cmp_eq_u32 s24, 46
	s_cbranch_scc0 .LBB46_1752
; %bb.1751:
	v_cndmask_b32_e64 v4, 0, 1.0, s[10:11]
	v_bfe_u32 v5, v4, 16, 1
	s_movk_i32 s0, 0x7fff
	v_add3_u32 v4, v4, v5, s0
	v_lshrrev_b32_e32 v4, 16, v4
	global_store_dword v[0:1], v4, off
	s_mov_b64 s[0:1], 0
	s_mov_b64 s[18:19], -1
.LBB46_1752:
	s_and_b64 vcc, exec, s[20:21]
	s_cbranch_vccz .LBB46_1757
; %bb.1753:
	s_cmp_eq_u32 s24, 44
	s_mov_b64 s[0:1], -1
	s_cbranch_scc0 .LBB46_1757
; %bb.1754:
	v_cndmask_b32_e64 v5, 0, 1.0, s[10:11]
	v_lshrrev_b32_e32 v4, 23, v5
	s_movk_i32 s0, 0xff
	v_cmp_ne_u32_e32 vcc, s0, v4
	v_mov_b32_e32 v6, 0xff
	s_and_saveexec_b64 s[18:19], vcc
; %bb.1755:
	s_mov_b32 s0, 0x3fffff
	v_and_b32_e32 v6, 0x400000, v5
	v_and_or_b32 v5, v5, s0, v4
	v_cmp_ne_u32_e32 vcc, 0, v6
	v_cmp_ne_u32_e64 s[0:1], 0, v5
	s_and_b64 s[0:1], vcc, s[0:1]
	v_cndmask_b32_e64 v5, 0, 1, s[0:1]
	v_add_u32_e32 v6, v4, v5
; %bb.1756:
	s_or_b64 exec, exec, s[18:19]
	s_mov_b64 s[0:1], 0
	s_mov_b64 s[18:19], -1
	global_store_byte v[0:1], v6, off
.LBB46_1757:
	s_mov_b64 s[20:21], 0
.LBB46_1758:
	s_and_b64 vcc, exec, s[20:21]
	s_cbranch_vccz .LBB46_1761
; %bb.1759:
	s_cmp_eq_u32 s24, 29
	s_mov_b64 s[0:1], -1
	s_cbranch_scc0 .LBB46_1761
; %bb.1760:
	s_mov_b32 s0, 0
	v_cndmask_b32_e64 v4, 0, 1, s[10:11]
	v_mov_b32_e32 v5, s0
	global_store_dwordx2 v[0:1], v[4:5], off
	s_mov_b64 s[0:1], 0
	s_mov_b64 s[18:19], -1
.LBB46_1761:
	s_mov_b64 s[20:21], 0
.LBB46_1762:
	s_and_b64 vcc, exec, s[20:21]
	s_cbranch_vccz .LBB46_1778
; %bb.1763:
	s_cmp_lt_i32 s24, 27
	s_mov_b64 s[18:19], -1
	s_cbranch_scc1 .LBB46_1769
; %bb.1764:
	s_cmp_gt_i32 s24, 27
	s_cbranch_scc0 .LBB46_1766
; %bb.1765:
	v_cndmask_b32_e64 v4, 0, 1, s[10:11]
	s_mov_b64 s[18:19], 0
	global_store_dword v[0:1], v4, off
.LBB46_1766:
	s_andn2_b64 vcc, exec, s[18:19]
	s_cbranch_vccnz .LBB46_1768
; %bb.1767:
	v_cndmask_b32_e64 v4, 0, 1, s[10:11]
	global_store_short v[0:1], v4, off
.LBB46_1768:
	s_mov_b64 s[18:19], 0
.LBB46_1769:
	s_andn2_b64 vcc, exec, s[18:19]
	s_cbranch_vccnz .LBB46_1777
; %bb.1770:
	v_cndmask_b32_e64 v5, 0, 1.0, s[10:11]
	s_mov_b32 s18, 0x43800000
	v_cmp_gt_u32_e32 vcc, s18, v5
	v_mov_b32_e32 v6, 0x80
	s_and_saveexec_b64 s[18:19], vcc
	s_cbranch_execz .LBB46_1776
; %bb.1771:
	s_mov_b32 s20, 0x3bffffff
	v_cmp_lt_u32_e32 vcc, s20, v5
	s_mov_b64 s[20:21], 0
                                        ; implicit-def: $vgpr4
	s_and_saveexec_b64 s[22:23], vcc
	s_xor_b64 s[22:23], exec, s[22:23]
	s_cbranch_execz .LBB46_1997
; %bb.1772:
	v_bfe_u32 v4, v5, 20, 1
	s_mov_b32 s25, 0x487ffff
	v_add3_u32 v4, v5, v4, s25
	s_mov_b64 s[20:21], exec
	v_lshrrev_b32_e32 v4, 20, v4
                                        ; implicit-def: $vgpr5
	s_andn2_saveexec_b64 s[22:23], s[22:23]
	s_cbranch_execnz .LBB46_1998
.LBB46_1773:
	s_or_b64 exec, exec, s[22:23]
	v_mov_b32_e32 v6, 0
	s_and_saveexec_b64 s[22:23], s[20:21]
.LBB46_1774:
	v_mov_b32_e32 v6, v4
.LBB46_1775:
	s_or_b64 exec, exec, s[22:23]
.LBB46_1776:
	s_or_b64 exec, exec, s[18:19]
	global_store_byte v[0:1], v6, off
.LBB46_1777:
	s_mov_b64 s[18:19], -1
.LBB46_1778:
	s_mov_b64 s[20:21], 0
.LBB46_1779:
	s_and_b64 vcc, exec, s[20:21]
	s_cbranch_vccz .LBB46_1819
; %bb.1780:
	s_cmp_gt_i32 s24, 22
	s_mov_b64 s[12:13], -1
	s_cbranch_scc0 .LBB46_1812
; %bb.1781:
	s_cmp_lt_i32 s24, 24
	s_cbranch_scc1 .LBB46_1801
; %bb.1782:
	s_cmp_gt_i32 s24, 24
	s_cbranch_scc0 .LBB46_1790
; %bb.1783:
	v_cndmask_b32_e64 v5, 0, 1.0, s[10:11]
	s_mov_b32 s12, 0x47800000
	v_cmp_gt_u32_e32 vcc, s12, v5
	v_mov_b32_e32 v6, 0x80
	s_and_saveexec_b64 s[12:13], vcc
	s_cbranch_execz .LBB46_1789
; %bb.1784:
	s_mov_b32 s18, 0x37ffffff
	v_cmp_lt_u32_e32 vcc, s18, v5
	s_mov_b64 s[18:19], 0
                                        ; implicit-def: $vgpr4
	s_and_saveexec_b64 s[20:21], vcc
	s_xor_b64 s[20:21], exec, s[20:21]
	s_cbranch_execz .LBB46_2000
; %bb.1785:
	v_bfe_u32 v4, v5, 21, 1
	s_mov_b32 s22, 0x88fffff
	v_add3_u32 v4, v5, v4, s22
	s_mov_b64 s[18:19], exec
	v_lshrrev_b32_e32 v4, 21, v4
                                        ; implicit-def: $vgpr5
	s_andn2_saveexec_b64 s[20:21], s[20:21]
	s_cbranch_execnz .LBB46_2001
.LBB46_1786:
	s_or_b64 exec, exec, s[20:21]
	v_mov_b32_e32 v6, 0
	s_and_saveexec_b64 s[20:21], s[18:19]
.LBB46_1787:
	v_mov_b32_e32 v6, v4
.LBB46_1788:
	s_or_b64 exec, exec, s[20:21]
.LBB46_1789:
	s_or_b64 exec, exec, s[12:13]
	s_mov_b64 s[12:13], 0
	global_store_byte v[0:1], v6, off
.LBB46_1790:
	s_and_b64 vcc, exec, s[12:13]
	s_cbranch_vccz .LBB46_1800
; %bb.1791:
	v_cndmask_b32_e64 v4, 0, 1.0, s[10:11]
	s_mov_b32 s12, 0x43f00000
	v_cmp_gt_u32_e32 vcc, s12, v4
                                        ; implicit-def: $vgpr5
	s_and_saveexec_b64 s[12:13], vcc
	s_xor_b64 s[12:13], exec, s[12:13]
	s_cbranch_execz .LBB46_1797
; %bb.1792:
	s_mov_b32 s18, 0x3c7fffff
	v_cmp_lt_u32_e32 vcc, s18, v4
                                        ; implicit-def: $vgpr5
	s_and_saveexec_b64 s[18:19], vcc
	s_xor_b64 s[18:19], exec, s[18:19]
; %bb.1793:
	v_bfe_u32 v5, v4, 20, 1
	s_mov_b32 s20, 0x407ffff
	v_add3_u32 v4, v4, v5, s20
	v_lshrrev_b32_e32 v5, 20, v4
	v_and_b32_e32 v4, 0xff00000, v4
	s_mov_b32 s20, 0x7f00000
	v_mov_b32_e32 v6, 0x7e
	v_cmp_ne_u32_e32 vcc, s20, v4
	v_cndmask_b32_e32 v5, v6, v5, vcc
                                        ; implicit-def: $vgpr4
; %bb.1794:
	s_andn2_saveexec_b64 s[18:19], s[18:19]
; %bb.1795:
	v_add_f32_e32 v5, 0x46800000, v4
; %bb.1796:
	s_or_b64 exec, exec, s[18:19]
                                        ; implicit-def: $vgpr4
.LBB46_1797:
	s_andn2_saveexec_b64 s[12:13], s[12:13]
; %bb.1798:
	s_mov_b32 s18, 0x7f800000
	v_mov_b32_e32 v5, 0x7e
	v_mov_b32_e32 v6, 0x7f
	v_cmp_lt_u32_e32 vcc, s18, v4
	v_cndmask_b32_e32 v5, v5, v6, vcc
; %bb.1799:
	s_or_b64 exec, exec, s[12:13]
	global_store_byte v[0:1], v5, off
.LBB46_1800:
	s_mov_b64 s[12:13], 0
.LBB46_1801:
	s_andn2_b64 vcc, exec, s[12:13]
	s_cbranch_vccnz .LBB46_1811
; %bb.1802:
	v_cndmask_b32_e64 v4, 0, 1.0, s[10:11]
	s_mov_b32 s12, 0x47800000
	v_cmp_gt_u32_e32 vcc, s12, v4
                                        ; implicit-def: $vgpr5
	s_and_saveexec_b64 s[12:13], vcc
	s_xor_b64 s[12:13], exec, s[12:13]
	s_cbranch_execz .LBB46_1808
; %bb.1803:
	s_mov_b32 s18, 0x387fffff
	v_cmp_lt_u32_e32 vcc, s18, v4
                                        ; implicit-def: $vgpr5
	s_and_saveexec_b64 s[18:19], vcc
	s_xor_b64 s[18:19], exec, s[18:19]
; %bb.1804:
	v_bfe_u32 v5, v4, 21, 1
	s_mov_b32 s20, 0x80fffff
	v_add3_u32 v4, v4, v5, s20
	v_lshrrev_b32_e32 v5, 21, v4
                                        ; implicit-def: $vgpr4
; %bb.1805:
	s_andn2_saveexec_b64 s[18:19], s[18:19]
; %bb.1806:
	v_add_f32_e32 v5, 0x43000000, v4
; %bb.1807:
	s_or_b64 exec, exec, s[18:19]
                                        ; implicit-def: $vgpr4
.LBB46_1808:
	s_andn2_saveexec_b64 s[12:13], s[12:13]
; %bb.1809:
	s_mov_b32 s18, 0x7f800000
	v_mov_b32_e32 v5, 0x7c
	v_mov_b32_e32 v6, 0x7f
	v_cmp_lt_u32_e32 vcc, s18, v4
	v_cndmask_b32_e32 v5, v5, v6, vcc
; %bb.1810:
	s_or_b64 exec, exec, s[12:13]
	global_store_byte v[0:1], v5, off
.LBB46_1811:
	s_mov_b64 s[12:13], 0
	s_mov_b64 s[18:19], -1
.LBB46_1812:
	s_andn2_b64 vcc, exec, s[12:13]
	s_mov_b64 s[12:13], 0
	s_cbranch_vccnz .LBB46_1819
; %bb.1813:
	s_cmp_gt_i32 s24, 14
	s_mov_b64 s[20:21], -1
	s_cbranch_scc0 .LBB46_1817
; %bb.1814:
	s_cmp_eq_u32 s24, 15
	s_mov_b64 s[0:1], -1
	s_cbranch_scc0 .LBB46_1816
; %bb.1815:
	v_cndmask_b32_e64 v4, 0, 1.0, s[10:11]
	v_bfe_u32 v5, v4, 16, 1
	s_movk_i32 s0, 0x7fff
	v_add3_u32 v4, v4, v5, s0
	global_store_short_d16_hi v[0:1], v4, off
	s_mov_b64 s[0:1], 0
	s_mov_b64 s[18:19], -1
.LBB46_1816:
	s_mov_b64 s[20:21], 0
.LBB46_1817:
	s_and_b64 vcc, exec, s[20:21]
	s_cbranch_vccz .LBB46_1819
; %bb.1818:
	s_cmp_lg_u32 s24, 11
	s_mov_b64 s[12:13], -1
	s_cselect_b64 s[0:1], -1, 0
.LBB46_1819:
	s_and_b64 vcc, exec, s[0:1]
	s_cbranch_vccnz .LBB46_1999
; %bb.1820:
	s_andn2_b64 vcc, exec, s[12:13]
	s_cbranch_vccnz .LBB46_1822
.LBB46_1821:
	v_cndmask_b32_e64 v4, 0, 1, s[10:11]
	s_mov_b64 s[18:19], -1
	global_store_byte v[0:1], v4, off
.LBB46_1822:
	s_mov_b64 s[0:1], 0
	s_branch .LBB46_1824
.LBB46_1823:
	s_mov_b64 s[0:1], -1
	s_mov_b64 s[18:19], 0
.LBB46_1824:
	s_and_b64 vcc, exec, s[0:1]
	s_cbranch_vccz .LBB46_1863
; %bb.1825:
	s_and_b32 s12, 0xffff, s26
	s_cmp_lt_i32 s12, 5
	s_mov_b64 s[0:1], -1
	s_cbranch_scc1 .LBB46_1846
; %bb.1826:
	s_cmp_lt_i32 s12, 8
	s_cbranch_scc1 .LBB46_1836
; %bb.1827:
	s_cmp_lt_i32 s12, 9
	s_cbranch_scc1 .LBB46_1833
; %bb.1828:
	s_cmp_gt_i32 s12, 9
	s_cbranch_scc0 .LBB46_1830
; %bb.1829:
	v_cndmask_b32_e64 v4, 0, 1, s[10:11]
	v_cvt_f64_u32_e32 v[4:5], v4
	v_mov_b32_e32 v6, 0
	v_mov_b32_e32 v7, v6
	s_mov_b64 s[0:1], 0
	global_store_dwordx4 v[0:1], v[4:7], off
.LBB46_1830:
	s_andn2_b64 vcc, exec, s[0:1]
	s_cbranch_vccnz .LBB46_1832
; %bb.1831:
	v_cndmask_b32_e64 v4, 0, 1.0, s[10:11]
	v_mov_b32_e32 v5, 0
	global_store_dwordx2 v[0:1], v[4:5], off
.LBB46_1832:
	s_mov_b64 s[0:1], 0
.LBB46_1833:
	s_andn2_b64 vcc, exec, s[0:1]
	s_cbranch_vccnz .LBB46_1835
; %bb.1834:
	v_cndmask_b32_e64 v4, 0, 1.0, s[10:11]
	v_cvt_f16_f32_e32 v4, v4
	global_store_dword v[0:1], v4, off
.LBB46_1835:
	s_mov_b64 s[0:1], 0
.LBB46_1836:
	s_andn2_b64 vcc, exec, s[0:1]
	s_cbranch_vccnz .LBB46_1845
; %bb.1837:
	s_cmp_lt_i32 s12, 6
	s_mov_b64 s[0:1], -1
	s_cbranch_scc1 .LBB46_1843
; %bb.1838:
	s_cmp_gt_i32 s12, 6
	s_cbranch_scc0 .LBB46_1840
; %bb.1839:
	v_cndmask_b32_e64 v4, 0, 1, s[10:11]
	v_cvt_f64_u32_e32 v[4:5], v4
	s_mov_b64 s[0:1], 0
	global_store_dwordx2 v[0:1], v[4:5], off
.LBB46_1840:
	s_andn2_b64 vcc, exec, s[0:1]
	s_cbranch_vccnz .LBB46_1842
; %bb.1841:
	v_cndmask_b32_e64 v4, 0, 1.0, s[10:11]
	global_store_dword v[0:1], v4, off
.LBB46_1842:
	s_mov_b64 s[0:1], 0
.LBB46_1843:
	s_andn2_b64 vcc, exec, s[0:1]
	s_cbranch_vccnz .LBB46_1845
; %bb.1844:
	v_cndmask_b32_e64 v4, 0, 1.0, s[10:11]
	v_cvt_f16_f32_e32 v4, v4
	global_store_short v[0:1], v4, off
.LBB46_1845:
	s_mov_b64 s[0:1], 0
.LBB46_1846:
	s_andn2_b64 vcc, exec, s[0:1]
	s_cbranch_vccnz .LBB46_1862
; %bb.1847:
	s_cmp_lt_i32 s12, 2
	s_mov_b64 s[0:1], -1
	s_cbranch_scc1 .LBB46_1857
; %bb.1848:
	s_cmp_lt_i32 s12, 3
	s_cbranch_scc1 .LBB46_1854
; %bb.1849:
	s_cmp_gt_i32 s12, 3
	s_cbranch_scc0 .LBB46_1851
; %bb.1850:
	s_mov_b32 s0, 0
	v_cndmask_b32_e64 v4, 0, 1, s[10:11]
	v_mov_b32_e32 v5, s0
	global_store_dwordx2 v[0:1], v[4:5], off
	s_mov_b64 s[0:1], 0
.LBB46_1851:
	s_andn2_b64 vcc, exec, s[0:1]
	s_cbranch_vccnz .LBB46_1853
; %bb.1852:
	v_cndmask_b32_e64 v4, 0, 1, s[10:11]
	global_store_dword v[0:1], v4, off
.LBB46_1853:
	s_mov_b64 s[0:1], 0
.LBB46_1854:
	s_andn2_b64 vcc, exec, s[0:1]
	s_cbranch_vccnz .LBB46_1856
; %bb.1855:
	v_cndmask_b32_e64 v4, 0, 1, s[10:11]
	global_store_short v[0:1], v4, off
.LBB46_1856:
	s_mov_b64 s[0:1], 0
.LBB46_1857:
	s_andn2_b64 vcc, exec, s[0:1]
	s_cbranch_vccnz .LBB46_1862
; %bb.1858:
	s_mov_b64 s[0:1], -1
	s_cmp_gt_i32 s12, 0
	v_cndmask_b32_e64 v4, 0, 1, s[10:11]
	s_cbranch_scc0 .LBB46_1860
; %bb.1859:
	global_store_byte v[0:1], v4, off
	s_mov_b64 s[0:1], 0
.LBB46_1860:
	s_andn2_b64 vcc, exec, s[0:1]
	s_cbranch_vccnz .LBB46_1862
; %bb.1861:
	global_store_byte v[0:1], v4, off
.LBB46_1862:
	s_mov_b64 s[18:19], -1
.LBB46_1863:
	s_andn2_b64 vcc, exec, s[18:19]
	s_cbranch_vccnz .LBB46_1940
; %bb.1864:
	v_cmp_ne_u32_e32 vcc, s15, v3
	v_add_u32_e32 v0, s14, v2
	s_xor_b64 s[18:19], s[2:3], vcc
	v_ashrrev_i32_e32 v1, 31, v0
	v_mov_b32_e32 v2, s9
	v_add_co_u32_e32 v0, vcc, s8, v0
	s_cmp_lt_i32 s26, 11
	v_addc_co_u32_e32 v1, vcc, v2, v1, vcc
	s_cbranch_scc1 .LBB46_1985
; %bb.1865:
	s_and_b32 s14, 0xffff, s26
	s_mov_b64 s[8:9], -1
	s_mov_b64 s[2:3], 0
	s_cmp_gt_i32 s14, 25
	s_mov_b64 s[0:1], 0
	s_cbranch_scc0 .LBB46_1898
; %bb.1866:
	s_cmp_gt_i32 s14, 28
	s_cbranch_scc0 .LBB46_1882
; %bb.1867:
	s_cmp_gt_i32 s14, 43
	s_cbranch_scc0 .LBB46_1878
; %bb.1868:
	s_cmp_gt_i32 s14, 45
	s_cbranch_scc0 .LBB46_1872
; %bb.1869:
	s_cmp_eq_u32 s14, 46
	s_mov_b64 s[0:1], -1
	s_cbranch_scc0 .LBB46_1871
; %bb.1870:
	v_cndmask_b32_e64 v2, 0, 1.0, s[18:19]
	v_bfe_u32 v3, v2, 16, 1
	s_movk_i32 s0, 0x7fff
	v_add3_u32 v2, v2, v3, s0
	v_lshrrev_b32_e32 v2, 16, v2
	global_store_dword v[0:1], v2, off
	s_mov_b64 s[0:1], 0
.LBB46_1871:
	s_mov_b64 s[8:9], 0
.LBB46_1872:
	s_and_b64 vcc, exec, s[8:9]
	s_cbranch_vccz .LBB46_1877
; %bb.1873:
	s_cmp_eq_u32 s14, 44
	s_mov_b64 s[0:1], -1
	s_cbranch_scc0 .LBB46_1877
; %bb.1874:
	v_cndmask_b32_e64 v3, 0, 1.0, s[18:19]
	v_lshrrev_b32_e32 v2, 23, v3
	s_movk_i32 s0, 0xff
	v_cmp_ne_u32_e32 vcc, s0, v2
	v_mov_b32_e32 v4, 0xff
	s_and_saveexec_b64 s[8:9], vcc
; %bb.1875:
	s_mov_b32 s0, 0x3fffff
	v_and_b32_e32 v4, 0x400000, v3
	v_and_or_b32 v3, v3, s0, v2
	v_cmp_ne_u32_e32 vcc, 0, v4
	v_cmp_ne_u32_e64 s[0:1], 0, v3
	s_and_b64 s[0:1], vcc, s[0:1]
	v_cndmask_b32_e64 v3, 0, 1, s[0:1]
	v_add_u32_e32 v4, v2, v3
; %bb.1876:
	s_or_b64 exec, exec, s[8:9]
	s_mov_b64 s[0:1], 0
	global_store_byte v[0:1], v4, off
.LBB46_1877:
	s_mov_b64 s[8:9], 0
.LBB46_1878:
	s_and_b64 vcc, exec, s[8:9]
	s_cbranch_vccz .LBB46_1881
; %bb.1879:
	s_cmp_eq_u32 s14, 29
	s_mov_b64 s[0:1], -1
	s_cbranch_scc0 .LBB46_1881
; %bb.1880:
	s_mov_b32 s0, 0
	v_cndmask_b32_e64 v2, 0, 1, s[18:19]
	v_mov_b32_e32 v3, s0
	global_store_dwordx2 v[0:1], v[2:3], off
	s_mov_b64 s[0:1], 0
.LBB46_1881:
	s_mov_b64 s[8:9], 0
.LBB46_1882:
	s_and_b64 vcc, exec, s[8:9]
	s_cbranch_vccz .LBB46_1897
; %bb.1883:
	s_cmp_lt_i32 s14, 27
	s_mov_b64 s[8:9], -1
	s_cbranch_scc1 .LBB46_1889
; %bb.1884:
	s_cmp_gt_i32 s14, 27
	v_cndmask_b32_e64 v2, 0, 1, s[18:19]
	s_cbranch_scc0 .LBB46_1886
; %bb.1885:
	global_store_dword v[0:1], v2, off
	s_mov_b64 s[8:9], 0
.LBB46_1886:
	s_andn2_b64 vcc, exec, s[8:9]
	s_cbranch_vccnz .LBB46_1888
; %bb.1887:
	global_store_short v[0:1], v2, off
.LBB46_1888:
	s_mov_b64 s[8:9], 0
.LBB46_1889:
	s_andn2_b64 vcc, exec, s[8:9]
	s_cbranch_vccnz .LBB46_1897
; %bb.1890:
	v_cndmask_b32_e64 v3, 0, 1.0, s[18:19]
	s_mov_b32 s8, 0x43800000
	v_cmp_gt_u32_e32 vcc, s8, v3
	v_mov_b32_e32 v4, 0x80
	s_and_saveexec_b64 s[8:9], vcc
	s_cbranch_execz .LBB46_1896
; %bb.1891:
	s_mov_b32 s10, 0x3bffffff
	v_cmp_lt_u32_e32 vcc, s10, v3
	s_mov_b64 s[10:11], 0
                                        ; implicit-def: $vgpr2
	s_and_saveexec_b64 s[12:13], vcc
	s_xor_b64 s[12:13], exec, s[12:13]
	s_cbranch_execz .LBB46_2002
; %bb.1892:
	v_bfe_u32 v2, v3, 20, 1
	s_mov_b32 s15, 0x487ffff
	v_add3_u32 v2, v3, v2, s15
	s_mov_b64 s[10:11], exec
	v_lshrrev_b32_e32 v2, 20, v2
                                        ; implicit-def: $vgpr3
	s_andn2_saveexec_b64 s[12:13], s[12:13]
	s_cbranch_execnz .LBB46_2003
.LBB46_1893:
	s_or_b64 exec, exec, s[12:13]
	v_mov_b32_e32 v4, 0
	s_and_saveexec_b64 s[12:13], s[10:11]
.LBB46_1894:
	v_mov_b32_e32 v4, v2
.LBB46_1895:
	s_or_b64 exec, exec, s[12:13]
.LBB46_1896:
	s_or_b64 exec, exec, s[8:9]
	global_store_byte v[0:1], v4, off
.LBB46_1897:
	s_mov_b64 s[8:9], 0
.LBB46_1898:
	s_and_b64 vcc, exec, s[8:9]
	s_cbranch_vccz .LBB46_1938
; %bb.1899:
	s_cmp_gt_i32 s14, 22
	s_mov_b64 s[2:3], -1
	s_cbranch_scc0 .LBB46_1931
; %bb.1900:
	s_cmp_lt_i32 s14, 24
	s_cbranch_scc1 .LBB46_1920
; %bb.1901:
	s_cmp_gt_i32 s14, 24
	s_cbranch_scc0 .LBB46_1909
; %bb.1902:
	v_cndmask_b32_e64 v3, 0, 1.0, s[18:19]
	s_mov_b32 s2, 0x47800000
	v_cmp_gt_u32_e32 vcc, s2, v3
	v_mov_b32_e32 v4, 0x80
	s_and_saveexec_b64 s[2:3], vcc
	s_cbranch_execz .LBB46_1908
; %bb.1903:
	s_mov_b32 s8, 0x37ffffff
	v_cmp_lt_u32_e32 vcc, s8, v3
	s_mov_b64 s[8:9], 0
                                        ; implicit-def: $vgpr2
	s_and_saveexec_b64 s[10:11], vcc
	s_xor_b64 s[10:11], exec, s[10:11]
	s_cbranch_execz .LBB46_2005
; %bb.1904:
	v_bfe_u32 v2, v3, 21, 1
	s_mov_b32 s12, 0x88fffff
	v_add3_u32 v2, v3, v2, s12
	s_mov_b64 s[8:9], exec
	v_lshrrev_b32_e32 v2, 21, v2
                                        ; implicit-def: $vgpr3
	s_andn2_saveexec_b64 s[10:11], s[10:11]
	s_cbranch_execnz .LBB46_2006
.LBB46_1905:
	s_or_b64 exec, exec, s[10:11]
	v_mov_b32_e32 v4, 0
	s_and_saveexec_b64 s[10:11], s[8:9]
.LBB46_1906:
	v_mov_b32_e32 v4, v2
.LBB46_1907:
	s_or_b64 exec, exec, s[10:11]
.LBB46_1908:
	s_or_b64 exec, exec, s[2:3]
	s_mov_b64 s[2:3], 0
	global_store_byte v[0:1], v4, off
.LBB46_1909:
	s_and_b64 vcc, exec, s[2:3]
	s_cbranch_vccz .LBB46_1919
; %bb.1910:
	v_cndmask_b32_e64 v2, 0, 1.0, s[18:19]
	s_mov_b32 s2, 0x43f00000
	v_cmp_gt_u32_e32 vcc, s2, v2
                                        ; implicit-def: $vgpr3
	s_and_saveexec_b64 s[2:3], vcc
	s_xor_b64 s[2:3], exec, s[2:3]
	s_cbranch_execz .LBB46_1916
; %bb.1911:
	s_mov_b32 s8, 0x3c7fffff
	v_cmp_lt_u32_e32 vcc, s8, v2
                                        ; implicit-def: $vgpr3
	s_and_saveexec_b64 s[8:9], vcc
	s_xor_b64 s[8:9], exec, s[8:9]
; %bb.1912:
	v_bfe_u32 v3, v2, 20, 1
	s_mov_b32 s10, 0x407ffff
	v_add3_u32 v2, v2, v3, s10
	v_lshrrev_b32_e32 v3, 20, v2
	v_and_b32_e32 v2, 0xff00000, v2
	s_mov_b32 s10, 0x7f00000
	v_mov_b32_e32 v4, 0x7e
	v_cmp_ne_u32_e32 vcc, s10, v2
	v_cndmask_b32_e32 v3, v4, v3, vcc
                                        ; implicit-def: $vgpr2
; %bb.1913:
	s_andn2_saveexec_b64 s[8:9], s[8:9]
; %bb.1914:
	v_add_f32_e32 v3, 0x46800000, v2
; %bb.1915:
	s_or_b64 exec, exec, s[8:9]
                                        ; implicit-def: $vgpr2
.LBB46_1916:
	s_andn2_saveexec_b64 s[2:3], s[2:3]
; %bb.1917:
	s_mov_b32 s8, 0x7f800000
	v_mov_b32_e32 v3, 0x7e
	v_mov_b32_e32 v4, 0x7f
	v_cmp_lt_u32_e32 vcc, s8, v2
	v_cndmask_b32_e32 v3, v3, v4, vcc
; %bb.1918:
	s_or_b64 exec, exec, s[2:3]
	global_store_byte v[0:1], v3, off
.LBB46_1919:
	s_mov_b64 s[2:3], 0
.LBB46_1920:
	s_andn2_b64 vcc, exec, s[2:3]
	s_cbranch_vccnz .LBB46_1930
; %bb.1921:
	v_cndmask_b32_e64 v2, 0, 1.0, s[18:19]
	s_mov_b32 s2, 0x47800000
	v_cmp_gt_u32_e32 vcc, s2, v2
                                        ; implicit-def: $vgpr3
	s_and_saveexec_b64 s[2:3], vcc
	s_xor_b64 s[2:3], exec, s[2:3]
	s_cbranch_execz .LBB46_1927
; %bb.1922:
	s_mov_b32 s8, 0x387fffff
	v_cmp_lt_u32_e32 vcc, s8, v2
                                        ; implicit-def: $vgpr3
	s_and_saveexec_b64 s[8:9], vcc
	s_xor_b64 s[8:9], exec, s[8:9]
; %bb.1923:
	v_bfe_u32 v3, v2, 21, 1
	s_mov_b32 s10, 0x80fffff
	v_add3_u32 v2, v2, v3, s10
	v_lshrrev_b32_e32 v3, 21, v2
                                        ; implicit-def: $vgpr2
; %bb.1924:
	s_andn2_saveexec_b64 s[8:9], s[8:9]
; %bb.1925:
	v_add_f32_e32 v3, 0x43000000, v2
; %bb.1926:
	s_or_b64 exec, exec, s[8:9]
                                        ; implicit-def: $vgpr2
.LBB46_1927:
	s_andn2_saveexec_b64 s[2:3], s[2:3]
; %bb.1928:
	s_mov_b32 s8, 0x7f800000
	v_mov_b32_e32 v3, 0x7c
	v_mov_b32_e32 v4, 0x7f
	v_cmp_lt_u32_e32 vcc, s8, v2
	v_cndmask_b32_e32 v3, v3, v4, vcc
; %bb.1929:
	s_or_b64 exec, exec, s[2:3]
	global_store_byte v[0:1], v3, off
.LBB46_1930:
	s_mov_b64 s[2:3], 0
.LBB46_1931:
	s_andn2_b64 vcc, exec, s[2:3]
	s_mov_b64 s[2:3], 0
	s_cbranch_vccnz .LBB46_1938
; %bb.1932:
	s_cmp_gt_i32 s14, 14
	s_mov_b64 s[8:9], -1
	s_cbranch_scc0 .LBB46_1936
; %bb.1933:
	s_cmp_eq_u32 s14, 15
	s_mov_b64 s[0:1], -1
	s_cbranch_scc0 .LBB46_1935
; %bb.1934:
	v_cndmask_b32_e64 v2, 0, 1.0, s[18:19]
	v_bfe_u32 v3, v2, 16, 1
	s_movk_i32 s0, 0x7fff
	v_add3_u32 v2, v2, v3, s0
	global_store_short_d16_hi v[0:1], v2, off
	s_mov_b64 s[0:1], 0
.LBB46_1935:
	s_mov_b64 s[8:9], 0
.LBB46_1936:
	s_and_b64 vcc, exec, s[8:9]
	s_cbranch_vccz .LBB46_1938
; %bb.1937:
	s_cmp_lg_u32 s14, 11
	s_mov_b64 s[2:3], -1
	s_cselect_b64 s[0:1], -1, 0
.LBB46_1938:
	s_and_b64 vcc, exec, s[0:1]
	s_cbranch_vccnz .LBB46_2004
.LBB46_1939:
	s_mov_b64 s[0:1], 0
	s_branch .LBB46_1941
.LBB46_1940:
	s_mov_b64 s[0:1], 0
	s_mov_b64 s[2:3], 0
                                        ; implicit-def: $sgpr18_sgpr19
                                        ; implicit-def: $sgpr26
                                        ; implicit-def: $vgpr0_vgpr1
.LBB46_1941:
	s_andn2_b64 s[6:7], s[6:7], exec
	s_and_b64 s[8:9], s[16:17], exec
	s_and_b64 s[0:1], s[0:1], exec
	;; [unrolled: 1-line block ×3, first 2 shown]
	s_or_b64 s[6:7], s[6:7], s[8:9]
.LBB46_1942:
	s_or_b64 exec, exec, s[4:5]
	s_and_saveexec_b64 s[4:5], s[6:7]
	s_cbranch_execz .LBB46_1945
; %bb.1943:
	; divergent unreachable
	s_or_b64 exec, exec, s[4:5]
	s_and_saveexec_b64 s[4:5], s[2:3]
	s_xor_b64 s[2:3], exec, s[4:5]
	s_cbranch_execnz .LBB46_1946
.LBB46_1944:
	s_or_b64 exec, exec, s[2:3]
	s_and_saveexec_b64 s[2:3], s[0:1]
	s_cbranch_execnz .LBB46_1947
	s_branch .LBB46_1984
.LBB46_1945:
	s_or_b64 exec, exec, s[4:5]
	s_and_saveexec_b64 s[4:5], s[2:3]
	s_xor_b64 s[2:3], exec, s[4:5]
	s_cbranch_execz .LBB46_1944
.LBB46_1946:
	v_cndmask_b32_e64 v2, 0, 1, s[18:19]
	global_store_byte v[0:1], v2, off
	s_or_b64 exec, exec, s[2:3]
	s_and_saveexec_b64 s[2:3], s[0:1]
	s_cbranch_execz .LBB46_1984
.LBB46_1947:
	s_sext_i32_i16 s2, s26
	s_cmp_lt_i32 s2, 5
	s_mov_b64 s[0:1], -1
	s_cbranch_scc1 .LBB46_1968
; %bb.1948:
	s_cmp_lt_i32 s2, 8
	s_cbranch_scc1 .LBB46_1958
; %bb.1949:
	s_cmp_lt_i32 s2, 9
	s_cbranch_scc1 .LBB46_1955
; %bb.1950:
	s_cmp_gt_i32 s2, 9
	s_cbranch_scc0 .LBB46_1952
; %bb.1951:
	v_cndmask_b32_e64 v2, 0, 1, s[18:19]
	s_waitcnt vmcnt(0)
	v_cvt_f64_u32_e32 v[2:3], v2
	v_mov_b32_e32 v4, 0
	v_mov_b32_e32 v5, v4
	s_mov_b64 s[0:1], 0
	global_store_dwordx4 v[0:1], v[2:5], off
.LBB46_1952:
	s_andn2_b64 vcc, exec, s[0:1]
	s_cbranch_vccnz .LBB46_1954
; %bb.1953:
	v_cndmask_b32_e64 v2, 0, 1.0, s[18:19]
	s_waitcnt vmcnt(0)
	v_mov_b32_e32 v3, 0
	global_store_dwordx2 v[0:1], v[2:3], off
.LBB46_1954:
	s_mov_b64 s[0:1], 0
.LBB46_1955:
	s_andn2_b64 vcc, exec, s[0:1]
	s_cbranch_vccnz .LBB46_1957
; %bb.1956:
	v_cndmask_b32_e64 v2, 0, 1.0, s[18:19]
	v_cvt_f16_f32_e32 v2, v2
	global_store_dword v[0:1], v2, off
.LBB46_1957:
	s_mov_b64 s[0:1], 0
.LBB46_1958:
	s_andn2_b64 vcc, exec, s[0:1]
	s_cbranch_vccnz .LBB46_1967
; %bb.1959:
	s_sext_i32_i16 s2, s26
	s_cmp_lt_i32 s2, 6
	s_mov_b64 s[0:1], -1
	s_cbranch_scc1 .LBB46_1965
; %bb.1960:
	s_cmp_gt_i32 s2, 6
	s_cbranch_scc0 .LBB46_1962
; %bb.1961:
	v_cndmask_b32_e64 v2, 0, 1, s[18:19]
	s_waitcnt vmcnt(0)
	v_cvt_f64_u32_e32 v[2:3], v2
	s_mov_b64 s[0:1], 0
	global_store_dwordx2 v[0:1], v[2:3], off
.LBB46_1962:
	s_andn2_b64 vcc, exec, s[0:1]
	s_cbranch_vccnz .LBB46_1964
; %bb.1963:
	v_cndmask_b32_e64 v2, 0, 1.0, s[18:19]
	global_store_dword v[0:1], v2, off
.LBB46_1964:
	s_mov_b64 s[0:1], 0
.LBB46_1965:
	s_andn2_b64 vcc, exec, s[0:1]
	s_cbranch_vccnz .LBB46_1967
; %bb.1966:
	v_cndmask_b32_e64 v2, 0, 1.0, s[18:19]
	v_cvt_f16_f32_e32 v2, v2
	global_store_short v[0:1], v2, off
.LBB46_1967:
	s_mov_b64 s[0:1], 0
.LBB46_1968:
	s_andn2_b64 vcc, exec, s[0:1]
	s_cbranch_vccnz .LBB46_1984
; %bb.1969:
	s_sext_i32_i16 s2, s26
	s_cmp_lt_i32 s2, 2
	s_mov_b64 s[0:1], -1
	s_cbranch_scc1 .LBB46_1979
; %bb.1970:
	s_cmp_lt_i32 s2, 3
	s_cbranch_scc1 .LBB46_1976
; %bb.1971:
	s_cmp_gt_i32 s2, 3
	s_cbranch_scc0 .LBB46_1973
; %bb.1972:
	s_mov_b32 s0, 0
	v_cndmask_b32_e64 v2, 0, 1, s[18:19]
	s_waitcnt vmcnt(0)
	v_mov_b32_e32 v3, s0
	global_store_dwordx2 v[0:1], v[2:3], off
	s_mov_b64 s[0:1], 0
.LBB46_1973:
	s_andn2_b64 vcc, exec, s[0:1]
	s_cbranch_vccnz .LBB46_1975
; %bb.1974:
	v_cndmask_b32_e64 v2, 0, 1, s[18:19]
	global_store_dword v[0:1], v2, off
.LBB46_1975:
	s_mov_b64 s[0:1], 0
.LBB46_1976:
	s_andn2_b64 vcc, exec, s[0:1]
	s_cbranch_vccnz .LBB46_1978
; %bb.1977:
	v_cndmask_b32_e64 v2, 0, 1, s[18:19]
	global_store_short v[0:1], v2, off
.LBB46_1978:
	s_mov_b64 s[0:1], 0
.LBB46_1979:
	s_andn2_b64 vcc, exec, s[0:1]
	s_cbranch_vccnz .LBB46_1984
; %bb.1980:
	s_sext_i32_i16 s2, s26
	s_mov_b64 s[0:1], -1
	s_cmp_gt_i32 s2, 0
	v_cndmask_b32_e64 v2, 0, 1, s[18:19]
	s_cbranch_scc0 .LBB46_1982
; %bb.1981:
	global_store_byte v[0:1], v2, off
	s_mov_b64 s[0:1], 0
.LBB46_1982:
	s_andn2_b64 vcc, exec, s[0:1]
	s_cbranch_vccnz .LBB46_1984
; %bb.1983:
	global_store_byte v[0:1], v2, off
	s_endpgm
.LBB46_1984:
	s_endpgm
.LBB46_1985:
	s_mov_b64 s[2:3], 0
	s_mov_b64 s[0:1], -1
	s_branch .LBB46_1941
.LBB46_1986:
	s_trap 2
	s_or_b64 s[16:17], s[16:17], exec
	s_cbranch_execz .LBB46_1455
	s_branch .LBB46_1456
.LBB46_1987:
	s_andn2_saveexec_b64 s[24:25], s[24:25]
	s_cbranch_execz .LBB46_1535
.LBB46_1988:
	v_add_f32_e32 v6, 0x46000000, v7
	v_and_b32_e32 v6, 0xff, v6
	v_cmp_ne_u32_e32 vcc, 0, v6
	s_andn2_b64 s[22:23], s[22:23], exec
	s_and_b64 s[28:29], vcc, exec
	s_or_b64 s[22:23], s[22:23], s[28:29]
	s_or_b64 exec, exec, s[24:25]
	v_mov_b32_e32 v8, 0
	s_and_saveexec_b64 s[24:25], s[22:23]
	s_cbranch_execnz .LBB46_1536
	s_branch .LBB46_1537
.LBB46_1989:
	s_trap 2
	s_or_b64 s[16:17], s[16:17], exec
	s_cbranch_execz .LBB46_1583
	s_branch .LBB46_1584
.LBB46_1990:
	s_andn2_saveexec_b64 s[22:23], s[22:23]
	s_cbranch_execz .LBB46_1548
.LBB46_1991:
	v_add_f32_e32 v6, 0x42800000, v7
	v_and_b32_e32 v6, 0xff, v6
	v_cmp_ne_u32_e32 vcc, 0, v6
	s_andn2_b64 s[20:21], s[20:21], exec
	s_and_b64 s[24:25], vcc, exec
	s_or_b64 s[20:21], s[20:21], s[24:25]
	s_or_b64 exec, exec, s[22:23]
	v_mov_b32_e32 v8, 0
	s_and_saveexec_b64 s[22:23], s[20:21]
	s_cbranch_execnz .LBB46_1549
	s_branch .LBB46_1550
.LBB46_1992:
	s_andn2_saveexec_b64 s[22:23], s[22:23]
	s_cbranch_execz .LBB46_1654
.LBB46_1993:
	v_add_f32_e32 v5, 0x46000000, v6
	v_and_b32_e32 v5, 0xff, v5
	v_cmp_ne_u32_e32 vcc, 0, v5
	s_andn2_b64 s[20:21], s[20:21], exec
	s_and_b64 s[28:29], vcc, exec
	s_or_b64 s[20:21], s[20:21], s[28:29]
	s_or_b64 exec, exec, s[22:23]
	v_mov_b32_e32 v7, 0
	s_and_saveexec_b64 s[22:23], s[20:21]
	s_cbranch_execnz .LBB46_1655
	s_branch .LBB46_1656
.LBB46_1994:
	s_trap 2
	s_or_b64 s[16:17], s[16:17], exec
	s_cbranch_execz .LBB46_1702
	s_branch .LBB46_1703
.LBB46_1995:
	s_andn2_saveexec_b64 s[20:21], s[20:21]
	s_cbranch_execz .LBB46_1667
.LBB46_1996:
	v_add_f32_e32 v5, 0x42800000, v6
	v_and_b32_e32 v5, 0xff, v5
	v_cmp_ne_u32_e32 vcc, 0, v5
	s_andn2_b64 s[18:19], s[18:19], exec
	s_and_b64 s[22:23], vcc, exec
	s_or_b64 s[18:19], s[18:19], s[22:23]
	s_or_b64 exec, exec, s[20:21]
	v_mov_b32_e32 v7, 0
	s_and_saveexec_b64 s[20:21], s[18:19]
	s_cbranch_execnz .LBB46_1668
	s_branch .LBB46_1669
.LBB46_1997:
	s_andn2_saveexec_b64 s[22:23], s[22:23]
	s_cbranch_execz .LBB46_1773
.LBB46_1998:
	v_add_f32_e32 v4, 0x46000000, v5
	v_and_b32_e32 v4, 0xff, v4
	v_cmp_ne_u32_e32 vcc, 0, v4
	s_andn2_b64 s[20:21], s[20:21], exec
	s_and_b64 s[28:29], vcc, exec
	s_or_b64 s[20:21], s[20:21], s[28:29]
	s_or_b64 exec, exec, s[22:23]
	v_mov_b32_e32 v6, 0
	s_and_saveexec_b64 s[22:23], s[20:21]
	s_cbranch_execnz .LBB46_1774
	s_branch .LBB46_1775
.LBB46_1999:
	s_trap 2
	s_or_b64 s[16:17], s[16:17], exec
	s_cbranch_execz .LBB46_1821
	s_branch .LBB46_1822
.LBB46_2000:
	s_andn2_saveexec_b64 s[20:21], s[20:21]
	s_cbranch_execz .LBB46_1786
.LBB46_2001:
	v_add_f32_e32 v4, 0x42800000, v5
	v_and_b32_e32 v4, 0xff, v4
	v_cmp_ne_u32_e32 vcc, 0, v4
	s_andn2_b64 s[18:19], s[18:19], exec
	s_and_b64 s[22:23], vcc, exec
	s_or_b64 s[18:19], s[18:19], s[22:23]
	s_or_b64 exec, exec, s[20:21]
	v_mov_b32_e32 v6, 0
	s_and_saveexec_b64 s[20:21], s[18:19]
	s_cbranch_execnz .LBB46_1787
	s_branch .LBB46_1788
.LBB46_2002:
	s_andn2_saveexec_b64 s[12:13], s[12:13]
	s_cbranch_execz .LBB46_1893
.LBB46_2003:
	v_add_f32_e32 v2, 0x46000000, v3
	v_and_b32_e32 v2, 0xff, v2
	v_cmp_ne_u32_e32 vcc, 0, v2
	s_andn2_b64 s[10:11], s[10:11], exec
	s_and_b64 s[20:21], vcc, exec
	s_or_b64 s[10:11], s[10:11], s[20:21]
	s_or_b64 exec, exec, s[12:13]
	v_mov_b32_e32 v4, 0
	s_and_saveexec_b64 s[12:13], s[10:11]
	s_cbranch_execnz .LBB46_1894
	s_branch .LBB46_1895
.LBB46_2004:
	s_mov_b64 s[2:3], 0
	s_or_b64 s[16:17], s[16:17], exec
	s_trap 2
	s_branch .LBB46_1939
.LBB46_2005:
	s_andn2_saveexec_b64 s[10:11], s[10:11]
	s_cbranch_execz .LBB46_1905
.LBB46_2006:
	v_add_f32_e32 v2, 0x42800000, v3
	v_and_b32_e32 v2, 0xff, v2
	v_cmp_ne_u32_e32 vcc, 0, v2
	s_andn2_b64 s[8:9], s[8:9], exec
	s_and_b64 s[12:13], vcc, exec
	s_or_b64 s[8:9], s[8:9], s[12:13]
	s_or_b64 exec, exec, s[10:11]
	v_mov_b32_e32 v4, 0
	s_and_saveexec_b64 s[10:11], s[8:9]
	s_cbranch_execnz .LBB46_1906
	s_branch .LBB46_1907
	.section	.rodata,"a",@progbits
	.p2align	6, 0x0
	.amdhsa_kernel _ZN2at6native32elementwise_kernel_manual_unrollILi128ELi4EZNS0_15gpu_kernel_implINS0_13AUnaryFunctorIiibNS0_12_GLOBAL__N_116CompareEqFunctorIiEEEEEEvRNS_18TensorIteratorBaseERKT_EUlibE_EEviT1_
		.amdhsa_group_segment_fixed_size 0
		.amdhsa_private_segment_fixed_size 0
		.amdhsa_kernarg_size 48
		.amdhsa_user_sgpr_count 6
		.amdhsa_user_sgpr_private_segment_buffer 1
		.amdhsa_user_sgpr_dispatch_ptr 0
		.amdhsa_user_sgpr_queue_ptr 0
		.amdhsa_user_sgpr_kernarg_segment_ptr 1
		.amdhsa_user_sgpr_dispatch_id 0
		.amdhsa_user_sgpr_flat_scratch_init 0
		.amdhsa_user_sgpr_private_segment_size 0
		.amdhsa_uses_dynamic_stack 0
		.amdhsa_system_sgpr_private_segment_wavefront_offset 0
		.amdhsa_system_sgpr_workgroup_id_x 1
		.amdhsa_system_sgpr_workgroup_id_y 0
		.amdhsa_system_sgpr_workgroup_id_z 0
		.amdhsa_system_sgpr_workgroup_info 0
		.amdhsa_system_vgpr_workitem_id 0
		.amdhsa_next_free_vgpr 12
		.amdhsa_next_free_sgpr 50
		.amdhsa_reserve_vcc 1
		.amdhsa_reserve_flat_scratch 0
		.amdhsa_float_round_mode_32 0
		.amdhsa_float_round_mode_16_64 0
		.amdhsa_float_denorm_mode_32 3
		.amdhsa_float_denorm_mode_16_64 3
		.amdhsa_dx10_clamp 1
		.amdhsa_ieee_mode 1
		.amdhsa_fp16_overflow 0
		.amdhsa_exception_fp_ieee_invalid_op 0
		.amdhsa_exception_fp_denorm_src 0
		.amdhsa_exception_fp_ieee_div_zero 0
		.amdhsa_exception_fp_ieee_overflow 0
		.amdhsa_exception_fp_ieee_underflow 0
		.amdhsa_exception_fp_ieee_inexact 0
		.amdhsa_exception_int_div_zero 0
	.end_amdhsa_kernel
	.section	.text._ZN2at6native32elementwise_kernel_manual_unrollILi128ELi4EZNS0_15gpu_kernel_implINS0_13AUnaryFunctorIiibNS0_12_GLOBAL__N_116CompareEqFunctorIiEEEEEEvRNS_18TensorIteratorBaseERKT_EUlibE_EEviT1_,"axG",@progbits,_ZN2at6native32elementwise_kernel_manual_unrollILi128ELi4EZNS0_15gpu_kernel_implINS0_13AUnaryFunctorIiibNS0_12_GLOBAL__N_116CompareEqFunctorIiEEEEEEvRNS_18TensorIteratorBaseERKT_EUlibE_EEviT1_,comdat
.Lfunc_end46:
	.size	_ZN2at6native32elementwise_kernel_manual_unrollILi128ELi4EZNS0_15gpu_kernel_implINS0_13AUnaryFunctorIiibNS0_12_GLOBAL__N_116CompareEqFunctorIiEEEEEEvRNS_18TensorIteratorBaseERKT_EUlibE_EEviT1_, .Lfunc_end46-_ZN2at6native32elementwise_kernel_manual_unrollILi128ELi4EZNS0_15gpu_kernel_implINS0_13AUnaryFunctorIiibNS0_12_GLOBAL__N_116CompareEqFunctorIiEEEEEEvRNS_18TensorIteratorBaseERKT_EUlibE_EEviT1_
                                        ; -- End function
	.set _ZN2at6native32elementwise_kernel_manual_unrollILi128ELi4EZNS0_15gpu_kernel_implINS0_13AUnaryFunctorIiibNS0_12_GLOBAL__N_116CompareEqFunctorIiEEEEEEvRNS_18TensorIteratorBaseERKT_EUlibE_EEviT1_.num_vgpr, 12
	.set _ZN2at6native32elementwise_kernel_manual_unrollILi128ELi4EZNS0_15gpu_kernel_implINS0_13AUnaryFunctorIiibNS0_12_GLOBAL__N_116CompareEqFunctorIiEEEEEEvRNS_18TensorIteratorBaseERKT_EUlibE_EEviT1_.num_agpr, 0
	.set _ZN2at6native32elementwise_kernel_manual_unrollILi128ELi4EZNS0_15gpu_kernel_implINS0_13AUnaryFunctorIiibNS0_12_GLOBAL__N_116CompareEqFunctorIiEEEEEEvRNS_18TensorIteratorBaseERKT_EUlibE_EEviT1_.numbered_sgpr, 50
	.set _ZN2at6native32elementwise_kernel_manual_unrollILi128ELi4EZNS0_15gpu_kernel_implINS0_13AUnaryFunctorIiibNS0_12_GLOBAL__N_116CompareEqFunctorIiEEEEEEvRNS_18TensorIteratorBaseERKT_EUlibE_EEviT1_.num_named_barrier, 0
	.set _ZN2at6native32elementwise_kernel_manual_unrollILi128ELi4EZNS0_15gpu_kernel_implINS0_13AUnaryFunctorIiibNS0_12_GLOBAL__N_116CompareEqFunctorIiEEEEEEvRNS_18TensorIteratorBaseERKT_EUlibE_EEviT1_.private_seg_size, 0
	.set _ZN2at6native32elementwise_kernel_manual_unrollILi128ELi4EZNS0_15gpu_kernel_implINS0_13AUnaryFunctorIiibNS0_12_GLOBAL__N_116CompareEqFunctorIiEEEEEEvRNS_18TensorIteratorBaseERKT_EUlibE_EEviT1_.uses_vcc, 1
	.set _ZN2at6native32elementwise_kernel_manual_unrollILi128ELi4EZNS0_15gpu_kernel_implINS0_13AUnaryFunctorIiibNS0_12_GLOBAL__N_116CompareEqFunctorIiEEEEEEvRNS_18TensorIteratorBaseERKT_EUlibE_EEviT1_.uses_flat_scratch, 0
	.set _ZN2at6native32elementwise_kernel_manual_unrollILi128ELi4EZNS0_15gpu_kernel_implINS0_13AUnaryFunctorIiibNS0_12_GLOBAL__N_116CompareEqFunctorIiEEEEEEvRNS_18TensorIteratorBaseERKT_EUlibE_EEviT1_.has_dyn_sized_stack, 0
	.set _ZN2at6native32elementwise_kernel_manual_unrollILi128ELi4EZNS0_15gpu_kernel_implINS0_13AUnaryFunctorIiibNS0_12_GLOBAL__N_116CompareEqFunctorIiEEEEEEvRNS_18TensorIteratorBaseERKT_EUlibE_EEviT1_.has_recursion, 0
	.set _ZN2at6native32elementwise_kernel_manual_unrollILi128ELi4EZNS0_15gpu_kernel_implINS0_13AUnaryFunctorIiibNS0_12_GLOBAL__N_116CompareEqFunctorIiEEEEEEvRNS_18TensorIteratorBaseERKT_EUlibE_EEviT1_.has_indirect_call, 0
	.section	.AMDGPU.csdata,"",@progbits
; Kernel info:
; codeLenInByte = 29184
; TotalNumSgprs: 54
; NumVgprs: 12
; ScratchSize: 0
; MemoryBound: 1
; FloatMode: 240
; IeeeMode: 1
; LDSByteSize: 0 bytes/workgroup (compile time only)
; SGPRBlocks: 6
; VGPRBlocks: 2
; NumSGPRsForWavesPerEU: 54
; NumVGPRsForWavesPerEU: 12
; Occupancy: 10
; WaveLimiterHint : 0
; COMPUTE_PGM_RSRC2:SCRATCH_EN: 0
; COMPUTE_PGM_RSRC2:USER_SGPR: 6
; COMPUTE_PGM_RSRC2:TRAP_HANDLER: 0
; COMPUTE_PGM_RSRC2:TGID_X_EN: 1
; COMPUTE_PGM_RSRC2:TGID_Y_EN: 0
; COMPUTE_PGM_RSRC2:TGID_Z_EN: 0
; COMPUTE_PGM_RSRC2:TIDIG_COMP_CNT: 0
	.section	.text._ZN2at6native32elementwise_kernel_manual_unrollILi128ELi4EZNS0_15gpu_kernel_implINS0_13AUnaryFunctorIiibNS0_12_GLOBAL__N_116CompareEqFunctorIiEEEEEEvRNS_18TensorIteratorBaseERKT_EUlibE0_EEviT1_,"axG",@progbits,_ZN2at6native32elementwise_kernel_manual_unrollILi128ELi4EZNS0_15gpu_kernel_implINS0_13AUnaryFunctorIiibNS0_12_GLOBAL__N_116CompareEqFunctorIiEEEEEEvRNS_18TensorIteratorBaseERKT_EUlibE0_EEviT1_,comdat
	.globl	_ZN2at6native32elementwise_kernel_manual_unrollILi128ELi4EZNS0_15gpu_kernel_implINS0_13AUnaryFunctorIiibNS0_12_GLOBAL__N_116CompareEqFunctorIiEEEEEEvRNS_18TensorIteratorBaseERKT_EUlibE0_EEviT1_ ; -- Begin function _ZN2at6native32elementwise_kernel_manual_unrollILi128ELi4EZNS0_15gpu_kernel_implINS0_13AUnaryFunctorIiibNS0_12_GLOBAL__N_116CompareEqFunctorIiEEEEEEvRNS_18TensorIteratorBaseERKT_EUlibE0_EEviT1_
	.p2align	8
	.type	_ZN2at6native32elementwise_kernel_manual_unrollILi128ELi4EZNS0_15gpu_kernel_implINS0_13AUnaryFunctorIiibNS0_12_GLOBAL__N_116CompareEqFunctorIiEEEEEEvRNS_18TensorIteratorBaseERKT_EUlibE0_EEviT1_,@function
_ZN2at6native32elementwise_kernel_manual_unrollILi128ELi4EZNS0_15gpu_kernel_implINS0_13AUnaryFunctorIiibNS0_12_GLOBAL__N_116CompareEqFunctorIiEEEEEEvRNS_18TensorIteratorBaseERKT_EUlibE0_EEviT1_: ; @_ZN2at6native32elementwise_kernel_manual_unrollILi128ELi4EZNS0_15gpu_kernel_implINS0_13AUnaryFunctorIiibNS0_12_GLOBAL__N_116CompareEqFunctorIiEEEEEEvRNS_18TensorIteratorBaseERKT_EUlibE0_EEviT1_
; %bb.0:
	s_load_dword s74, s[4:5], 0x0
	s_load_dword s33, s[4:5], 0x8
	s_add_u32 s34, s4, 8
	s_addc_u32 s35, s5, 0
	v_lshl_or_b32 v8, s6, 9, v0
	v_or_b32_e32 v15, 0x180, v8
	s_waitcnt lgkmcnt(0)
	s_add_i32 s76, s33, -1
	s_cmp_gt_u32 s76, 1
	v_cmp_le_i32_e32 vcc, s74, v15
	s_cselect_b64 s[40:41], -1, 0
	s_mov_b64 s[6:7], 0
	s_mov_b64 s[28:29], 0
	s_and_saveexec_b64 s[0:1], vcc
	s_xor_b64 s[42:43], exec, s[0:1]
	s_cbranch_execz .LBB47_1070
; %bb.1:
	s_load_dwordx4 s[28:31], s[34:35], 0x4
	s_load_dwordx2 s[48:49], s[34:35], 0x14
	s_load_dwordx2 s[44:45], s[34:35], 0x158
	s_load_dword s77, s[34:35], 0x160
	s_cmp_lg_u32 s33, 0
	s_cselect_b64 s[54:55], -1, 0
	s_add_u32 s52, s34, 0xc4
	s_addc_u32 s53, s35, 0
	s_min_u32 s79, s76, 15
	s_load_dwordx4 s[36:39], s[34:35], 0xc4
	s_load_dwordx4 s[24:27], s[34:35], 0x148
	s_cmp_gt_u32 s33, 1
	s_cselect_b64 s[50:51], -1, 0
	s_waitcnt lgkmcnt(0)
	s_bfe_u32 s78, s77, 0x80008
	s_cmp_eq_u32 s44, 0
	s_cselect_b64 s[46:47], -1, 0
	v_cmp_gt_i32_e32 vcc, s74, v8
	s_mov_b64 s[2:3], -1
	s_mov_b64 s[64:65], 0
	s_mov_b64 s[58:59], 0
	;; [unrolled: 1-line block ×3, first 2 shown]
	s_and_saveexec_b64 s[60:61], vcc
	s_cbranch_execz .LBB47_262
; %bb.2:
	s_andn2_b64 vcc, exec, s[40:41]
	s_cbranch_vccnz .LBB47_7
; %bb.3:
	s_andn2_b64 vcc, exec, s[54:55]
	s_cbranch_vccnz .LBB47_8
; %bb.4:
	s_add_i32 s62, s79, 1
	s_cmp_eq_u32 s76, 2
	s_cbranch_scc1 .LBB47_9
; %bb.5:
	s_and_b32 s44, s62, 28
	v_mov_b32_e32 v2, 0
	s_mov_b32 s63, 0
	s_mov_b64 s[56:57], s[34:35]
	s_mov_b64 s[58:59], s[52:53]
	v_mov_b32_e32 v0, 0
	v_mov_b32_e32 v1, v8
.LBB47_6:                               ; =>This Inner Loop Header: Depth=1
	s_load_dwordx8 s[16:23], s[56:57], 0x4
	s_load_dwordx4 s[0:3], s[56:57], 0x24
	s_load_dwordx8 s[8:15], s[58:59], 0x0
	s_add_u32 s56, s56, 48
	s_addc_u32 s57, s57, 0
	s_waitcnt lgkmcnt(0)
	v_mul_hi_u32 v3, s17, v1
	s_add_i32 s63, s63, 4
	s_add_u32 s58, s58, 32
	s_addc_u32 s59, s59, 0
	v_add_u32_e32 v3, v1, v3
	v_lshrrev_b32_e32 v3, s18, v3
	v_mul_lo_u32 v4, v3, s16
	v_mul_hi_u32 v5, s20, v3
	s_cmp_lg_u32 s44, s63
	v_sub_u32_e32 v1, v1, v4
	v_add_u32_e32 v4, v3, v5
	v_mul_lo_u32 v5, v1, s8
	v_mul_lo_u32 v6, v1, s9
	v_lshrrev_b32_e32 v1, s21, v4
	v_mul_lo_u32 v4, v1, s19
	v_mul_hi_u32 v7, s23, v1
	v_sub_u32_e32 v3, v3, v4
	v_add_u32_e32 v4, v1, v7
	v_lshrrev_b32_e32 v4, s0, v4
	v_mul_hi_u32 v9, s2, v4
	v_mul_lo_u32 v10, v4, s22
	v_mul_lo_u32 v7, v3, s10
	;; [unrolled: 1-line block ×3, first 2 shown]
	v_sub_u32_e32 v10, v1, v10
	v_add_u32_e32 v1, v4, v9
	v_lshrrev_b32_e32 v1, s3, v1
	v_mul_lo_u32 v9, v1, s1
	v_mul_lo_u32 v11, v10, s12
	;; [unrolled: 1-line block ×3, first 2 shown]
	v_add3_u32 v0, v5, v0, v7
	v_sub_u32_e32 v4, v4, v9
	v_mul_lo_u32 v9, v4, s14
	v_mul_lo_u32 v4, v4, s15
	v_add3_u32 v2, v6, v2, v3
	v_add3_u32 v0, v11, v0, v9
	;; [unrolled: 1-line block ×3, first 2 shown]
	s_cbranch_scc1 .LBB47_6
	s_branch .LBB47_10
.LBB47_7:
                                        ; implicit-def: $vgpr0
                                        ; implicit-def: $vgpr2
	s_branch .LBB47_14
.LBB47_8:
	v_mov_b32_e32 v0, 0
	v_mov_b32_e32 v2, 0
	s_branch .LBB47_13
.LBB47_9:
	s_mov_b32 s44, 0
	v_mov_b32_e32 v0, 0
	v_mov_b32_e32 v2, 0
	;; [unrolled: 1-line block ×3, first 2 shown]
.LBB47_10:
	s_and_b32 s8, s62, 3
	s_cmp_eq_u32 s8, 0
	s_cbranch_scc1 .LBB47_13
; %bb.11:
	s_lshl_b32 s0, s44, 3
	s_add_u32 s0, s34, s0
	s_addc_u32 s1, s35, 0
	s_add_u32 s0, s0, 0xc4
	s_addc_u32 s1, s1, 0
	s_mul_i32 s2, s44, 12
	s_add_u32 s2, s34, s2
	s_addc_u32 s3, s35, 0
.LBB47_12:                              ; =>This Inner Loop Header: Depth=1
	s_load_dwordx2 s[10:11], s[2:3], 0x4
	s_load_dword s9, s[2:3], 0xc
	s_load_dwordx2 s[12:13], s[0:1], 0x0
	s_add_u32 s2, s2, 12
	s_addc_u32 s3, s3, 0
	s_waitcnt lgkmcnt(0)
	v_mul_hi_u32 v3, s11, v1
	s_add_u32 s0, s0, 8
	s_addc_u32 s1, s1, 0
	s_add_i32 s8, s8, -1
	v_add_u32_e32 v3, v1, v3
	v_lshrrev_b32_e32 v4, s9, v3
	v_mul_lo_u32 v3, v4, s10
	s_cmp_lg_u32 s8, 0
	v_sub_u32_e32 v3, v1, v3
	v_mad_u64_u32 v[0:1], s[10:11], v3, s12, v[0:1]
	v_mad_u64_u32 v[2:3], s[10:11], v3, s13, v[2:3]
	v_mov_b32_e32 v1, v4
	s_cbranch_scc1 .LBB47_12
.LBB47_13:
	s_cbranch_execnz .LBB47_16
.LBB47_14:
	v_mul_hi_u32 v0, s29, v8
	s_andn2_b64 vcc, exec, s[50:51]
	v_add_u32_e32 v0, v8, v0
	v_lshrrev_b32_e32 v1, s30, v0
	v_mul_lo_u32 v0, v1, s28
	v_sub_u32_e32 v2, v8, v0
	v_mul_lo_u32 v0, v2, s36
	v_mul_lo_u32 v2, v2, s37
	s_cbranch_vccnz .LBB47_16
; %bb.15:
	v_mul_hi_u32 v3, s48, v1
	v_add_u32_e32 v3, v1, v3
	v_lshrrev_b32_e32 v3, s49, v3
	v_mul_lo_u32 v3, v3, s31
	v_sub_u32_e32 v3, v1, v3
	v_mad_u64_u32 v[0:1], s[0:1], v3, s38, v[0:1]
	v_mad_u64_u32 v[2:3], s[0:1], v3, s39, v[2:3]
.LBB47_16:
	v_mov_b32_e32 v3, s27
	s_and_b32 s10, 0xffff, s78
	v_add_co_u32_e32 v1, vcc, s26, v2
	s_cmp_lt_i32 s10, 11
	v_addc_co_u32_e32 v2, vcc, 0, v3, vcc
	s_cbranch_scc1 .LBB47_23
; %bb.17:
	s_cmp_gt_i32 s10, 25
	s_cbranch_scc0 .LBB47_32
; %bb.18:
	s_cmp_gt_i32 s10, 28
	s_cbranch_scc0 .LBB47_35
	;; [unrolled: 3-line block ×4, first 2 shown]
; %bb.21:
	s_cmp_eq_u32 s10, 46
	s_mov_b64 s[8:9], 0
	s_cbranch_scc0 .LBB47_41
; %bb.22:
	global_load_dword v3, v[1:2], off
	s_mov_b64 s[0:1], -1
	s_mov_b64 s[2:3], 0
	s_waitcnt vmcnt(0)
	v_lshlrev_b32_e32 v3, 16, v3
	v_cvt_i32_f32_e32 v3, v3
	s_branch .LBB47_43
.LBB47_23:
	s_mov_b64 s[2:3], 0
                                        ; implicit-def: $vgpr3
	s_mov_b64 s[0:1], 0
	s_cbranch_execnz .LBB47_212
.LBB47_24:
	s_andn2_b64 vcc, exec, s[0:1]
	s_cbranch_vccnz .LBB47_259
.LBB47_25:
	s_waitcnt vmcnt(0)
	v_cmp_ne_u32_e32 vcc, s45, v3
	s_xor_b64 s[8:9], s[46:47], vcc
	v_mov_b32_e32 v1, s25
	s_and_b32 s16, s77, 0xff
	v_add_co_u32_e32 v0, vcc, s24, v0
	s_cmp_lt_i32 s16, 11
	v_addc_co_u32_e32 v1, vcc, 0, v1, vcc
	s_cbranch_scc1 .LBB47_33
; %bb.26:
	s_and_b32 s17, 0xffff, s16
	s_cmp_gt_i32 s17, 25
	s_cbranch_scc0 .LBB47_36
; %bb.27:
	s_cmp_gt_i32 s17, 28
	s_cbranch_scc0 .LBB47_38
; %bb.28:
	;; [unrolled: 3-line block ×4, first 2 shown]
	s_mov_b64 s[12:13], 0
	s_mov_b64 s[0:1], -1
	s_cmp_eq_u32 s17, 46
	s_mov_b64 s[10:11], 0
	s_cbranch_scc0 .LBB47_47
; %bb.31:
	v_cndmask_b32_e64 v2, 0, 1.0, s[8:9]
	v_bfe_u32 v3, v2, 16, 1
	s_movk_i32 s0, 0x7fff
	v_add3_u32 v2, v2, v3, s0
	v_lshrrev_b32_e32 v2, 16, v2
	global_store_dword v[0:1], v2, off
	s_mov_b64 s[10:11], -1
	s_mov_b64 s[0:1], 0
	s_branch .LBB47_47
.LBB47_32:
	s_mov_b64 s[2:3], 0
	s_mov_b64 s[0:1], 0
                                        ; implicit-def: $vgpr3
	s_cbranch_execnz .LBB47_179
	s_branch .LBB47_211
.LBB47_33:
	s_mov_b64 s[0:1], 0
	s_mov_b64 s[10:11], 0
	s_cbranch_execnz .LBB47_116
.LBB47_34:
	s_andn2_b64 vcc, exec, s[10:11]
	s_cbranch_vccnz .LBB47_260
	s_branch .LBB47_154
.LBB47_35:
	s_mov_b64 s[8:9], -1
	s_mov_b64 s[2:3], 0
	s_mov_b64 s[0:1], 0
                                        ; implicit-def: $vgpr3
	s_branch .LBB47_162
.LBB47_36:
	s_mov_b64 s[12:13], -1
	s_mov_b64 s[0:1], 0
	s_mov_b64 s[10:11], 0
	s_branch .LBB47_74
.LBB47_37:
	s_mov_b64 s[8:9], -1
	s_mov_b64 s[2:3], 0
	s_mov_b64 s[0:1], 0
                                        ; implicit-def: $vgpr3
	s_branch .LBB47_157
.LBB47_38:
	s_mov_b64 s[12:13], -1
	s_mov_b64 s[0:1], 0
	s_mov_b64 s[10:11], 0
	s_branch .LBB47_57
.LBB47_39:
	s_mov_b64 s[8:9], -1
	s_mov_b64 s[2:3], 0
	s_branch .LBB47_42
.LBB47_40:
	s_mov_b64 s[12:13], -1
	s_mov_b64 s[0:1], 0
	s_mov_b64 s[10:11], 0
	s_branch .LBB47_53
.LBB47_41:
	s_mov_b64 s[2:3], -1
.LBB47_42:
	s_mov_b64 s[0:1], 0
                                        ; implicit-def: $vgpr3
.LBB47_43:
	s_and_b64 vcc, exec, s[8:9]
	s_cbranch_vccz .LBB47_156
; %bb.44:
	s_cmp_eq_u32 s10, 44
	s_cbranch_scc0 .LBB47_155
; %bb.45:
	global_load_ubyte v3, v[1:2], off
	s_mov_b64 s[0:1], -1
	s_mov_b64 s[2:3], 0
	s_waitcnt vmcnt(0)
	v_lshlrev_b32_e32 v4, 23, v3
	v_cvt_i32_f32_e32 v4, v4
	v_cmp_ne_u32_e32 vcc, 0, v3
	v_cndmask_b32_e32 v3, 0, v4, vcc
	s_branch .LBB47_156
.LBB47_46:
	s_mov_b64 s[12:13], -1
	s_mov_b64 s[0:1], 0
	s_mov_b64 s[10:11], 0
.LBB47_47:
	s_and_b64 vcc, exec, s[12:13]
	s_cbranch_vccz .LBB47_52
; %bb.48:
	s_cmp_eq_u32 s17, 44
	s_mov_b64 s[0:1], -1
	s_cbranch_scc0 .LBB47_52
; %bb.49:
	v_cndmask_b32_e64 v3, 0, 1.0, s[8:9]
	v_lshrrev_b32_e32 v2, 23, v3
	s_movk_i32 s0, 0xff
	v_cmp_ne_u32_e32 vcc, s0, v2
	v_mov_b32_e32 v4, 0xff
	s_and_saveexec_b64 s[10:11], vcc
; %bb.50:
	s_mov_b32 s0, 0x3fffff
	v_and_b32_e32 v4, 0x400000, v3
	v_and_or_b32 v3, v3, s0, v2
	v_cmp_ne_u32_e32 vcc, 0, v4
	v_cmp_ne_u32_e64 s[0:1], 0, v3
	s_and_b64 s[0:1], vcc, s[0:1]
	v_cndmask_b32_e64 v3, 0, 1, s[0:1]
	v_add_u32_e32 v4, v2, v3
; %bb.51:
	s_or_b64 exec, exec, s[10:11]
	s_mov_b64 s[10:11], -1
	s_mov_b64 s[0:1], 0
	global_store_byte v[0:1], v4, off
.LBB47_52:
	s_mov_b64 s[12:13], 0
.LBB47_53:
	s_and_b64 vcc, exec, s[12:13]
	s_cbranch_vccz .LBB47_56
; %bb.54:
	s_cmp_eq_u32 s17, 29
	s_mov_b64 s[0:1], -1
	s_cbranch_scc0 .LBB47_56
; %bb.55:
	s_mov_b32 s0, 0
	v_cndmask_b32_e64 v2, 0, 1, s[8:9]
	v_mov_b32_e32 v3, s0
	global_store_dwordx2 v[0:1], v[2:3], off
	s_mov_b64 s[10:11], -1
	s_mov_b64 s[0:1], 0
.LBB47_56:
	s_mov_b64 s[12:13], 0
.LBB47_57:
	s_and_b64 vcc, exec, s[12:13]
	s_cbranch_vccz .LBB47_73
; %bb.58:
	s_cmp_lt_i32 s17, 27
	s_mov_b64 s[10:11], -1
	s_cbranch_scc1 .LBB47_64
; %bb.59:
	s_cmp_gt_i32 s17, 27
	s_cbranch_scc0 .LBB47_61
; %bb.60:
	v_cndmask_b32_e64 v2, 0, 1, s[8:9]
	s_mov_b64 s[10:11], 0
	global_store_dword v[0:1], v2, off
.LBB47_61:
	s_andn2_b64 vcc, exec, s[10:11]
	s_cbranch_vccnz .LBB47_63
; %bb.62:
	v_cndmask_b32_e64 v2, 0, 1, s[8:9]
	global_store_short v[0:1], v2, off
.LBB47_63:
	s_mov_b64 s[10:11], 0
.LBB47_64:
	s_andn2_b64 vcc, exec, s[10:11]
	s_cbranch_vccnz .LBB47_72
; %bb.65:
	v_cndmask_b32_e64 v3, 0, 1.0, s[8:9]
	s_mov_b32 s10, 0x43800000
	v_cmp_gt_u32_e32 vcc, s10, v3
	v_mov_b32_e32 v4, 0x80
	s_and_saveexec_b64 s[10:11], vcc
	s_cbranch_execz .LBB47_71
; %bb.66:
	s_mov_b32 s12, 0x3bffffff
	v_cmp_lt_u32_e32 vcc, s12, v3
	s_mov_b64 s[12:13], 0
                                        ; implicit-def: $vgpr2
	s_and_saveexec_b64 s[14:15], vcc
	s_xor_b64 s[14:15], exec, s[14:15]
	s_cbranch_execz .LBB47_303
; %bb.67:
	v_bfe_u32 v2, v3, 20, 1
	s_mov_b32 s18, 0x487ffff
	v_add3_u32 v2, v3, v2, s18
	s_mov_b64 s[12:13], exec
	v_lshrrev_b32_e32 v2, 20, v2
                                        ; implicit-def: $vgpr3
	s_andn2_saveexec_b64 s[14:15], s[14:15]
	s_cbranch_execnz .LBB47_304
.LBB47_68:
	s_or_b64 exec, exec, s[14:15]
	v_mov_b32_e32 v4, 0
	s_and_saveexec_b64 s[14:15], s[12:13]
.LBB47_69:
	v_mov_b32_e32 v4, v2
.LBB47_70:
	s_or_b64 exec, exec, s[14:15]
.LBB47_71:
	s_or_b64 exec, exec, s[10:11]
	global_store_byte v[0:1], v4, off
.LBB47_72:
	s_mov_b64 s[10:11], -1
.LBB47_73:
	s_mov_b64 s[12:13], 0
.LBB47_74:
	s_and_b64 vcc, exec, s[12:13]
	s_cbranch_vccz .LBB47_115
; %bb.75:
	s_cmp_gt_i32 s17, 22
	s_mov_b64 s[12:13], -1
	s_cbranch_scc0 .LBB47_107
; %bb.76:
	s_cmp_lt_i32 s17, 24
	s_mov_b64 s[10:11], -1
	s_cbranch_scc1 .LBB47_96
; %bb.77:
	s_cmp_gt_i32 s17, 24
	s_cbranch_scc0 .LBB47_85
; %bb.78:
	v_cndmask_b32_e64 v3, 0, 1.0, s[8:9]
	s_mov_b32 s10, 0x47800000
	v_cmp_gt_u32_e32 vcc, s10, v3
	v_mov_b32_e32 v4, 0x80
	s_and_saveexec_b64 s[10:11], vcc
	s_cbranch_execz .LBB47_84
; %bb.79:
	s_mov_b32 s12, 0x37ffffff
	v_cmp_lt_u32_e32 vcc, s12, v3
	s_mov_b64 s[12:13], 0
                                        ; implicit-def: $vgpr2
	s_and_saveexec_b64 s[14:15], vcc
	s_xor_b64 s[14:15], exec, s[14:15]
	s_cbranch_execz .LBB47_307
; %bb.80:
	v_bfe_u32 v2, v3, 21, 1
	s_mov_b32 s18, 0x88fffff
	v_add3_u32 v2, v3, v2, s18
	s_mov_b64 s[12:13], exec
	v_lshrrev_b32_e32 v2, 21, v2
                                        ; implicit-def: $vgpr3
	s_andn2_saveexec_b64 s[14:15], s[14:15]
	s_cbranch_execnz .LBB47_308
.LBB47_81:
	s_or_b64 exec, exec, s[14:15]
	v_mov_b32_e32 v4, 0
	s_and_saveexec_b64 s[14:15], s[12:13]
.LBB47_82:
	v_mov_b32_e32 v4, v2
.LBB47_83:
	s_or_b64 exec, exec, s[14:15]
.LBB47_84:
	s_or_b64 exec, exec, s[10:11]
	s_mov_b64 s[10:11], 0
	global_store_byte v[0:1], v4, off
.LBB47_85:
	s_and_b64 vcc, exec, s[10:11]
	s_cbranch_vccz .LBB47_95
; %bb.86:
	v_cndmask_b32_e64 v2, 0, 1.0, s[8:9]
	s_mov_b32 s10, 0x43f00000
	v_cmp_gt_u32_e32 vcc, s10, v2
                                        ; implicit-def: $vgpr3
	s_and_saveexec_b64 s[10:11], vcc
	s_xor_b64 s[10:11], exec, s[10:11]
	s_cbranch_execz .LBB47_92
; %bb.87:
	s_mov_b32 s12, 0x3c7fffff
	v_cmp_lt_u32_e32 vcc, s12, v2
                                        ; implicit-def: $vgpr3
	s_and_saveexec_b64 s[12:13], vcc
	s_xor_b64 s[12:13], exec, s[12:13]
; %bb.88:
	v_bfe_u32 v3, v2, 20, 1
	s_mov_b32 s14, 0x407ffff
	v_add3_u32 v2, v2, v3, s14
	v_lshrrev_b32_e32 v3, 20, v2
	v_and_b32_e32 v2, 0xff00000, v2
	s_mov_b32 s14, 0x7f00000
	v_mov_b32_e32 v4, 0x7e
	v_cmp_ne_u32_e32 vcc, s14, v2
	v_cndmask_b32_e32 v3, v4, v3, vcc
                                        ; implicit-def: $vgpr2
; %bb.89:
	s_andn2_saveexec_b64 s[12:13], s[12:13]
; %bb.90:
	v_add_f32_e32 v3, 0x46800000, v2
; %bb.91:
	s_or_b64 exec, exec, s[12:13]
                                        ; implicit-def: $vgpr2
.LBB47_92:
	s_andn2_saveexec_b64 s[10:11], s[10:11]
; %bb.93:
	s_mov_b32 s12, 0x7f800000
	v_mov_b32_e32 v3, 0x7e
	v_mov_b32_e32 v4, 0x7f
	v_cmp_lt_u32_e32 vcc, s12, v2
	v_cndmask_b32_e32 v3, v3, v4, vcc
; %bb.94:
	s_or_b64 exec, exec, s[10:11]
	global_store_byte v[0:1], v3, off
.LBB47_95:
	s_mov_b64 s[10:11], 0
.LBB47_96:
	s_andn2_b64 vcc, exec, s[10:11]
	s_cbranch_vccnz .LBB47_106
; %bb.97:
	v_cndmask_b32_e64 v2, 0, 1.0, s[8:9]
	s_mov_b32 s10, 0x47800000
	v_cmp_gt_u32_e32 vcc, s10, v2
                                        ; implicit-def: $vgpr3
	s_and_saveexec_b64 s[10:11], vcc
	s_xor_b64 s[10:11], exec, s[10:11]
	s_cbranch_execz .LBB47_103
; %bb.98:
	s_mov_b32 s12, 0x387fffff
	v_cmp_lt_u32_e32 vcc, s12, v2
                                        ; implicit-def: $vgpr3
	s_and_saveexec_b64 s[12:13], vcc
	s_xor_b64 s[12:13], exec, s[12:13]
; %bb.99:
	v_bfe_u32 v3, v2, 21, 1
	s_mov_b32 s14, 0x80fffff
	v_add3_u32 v2, v2, v3, s14
	v_lshrrev_b32_e32 v3, 21, v2
                                        ; implicit-def: $vgpr2
; %bb.100:
	s_andn2_saveexec_b64 s[12:13], s[12:13]
; %bb.101:
	v_add_f32_e32 v3, 0x43000000, v2
; %bb.102:
	s_or_b64 exec, exec, s[12:13]
                                        ; implicit-def: $vgpr2
.LBB47_103:
	s_andn2_saveexec_b64 s[10:11], s[10:11]
; %bb.104:
	s_mov_b32 s12, 0x7f800000
	v_mov_b32_e32 v3, 0x7c
	v_mov_b32_e32 v4, 0x7f
	v_cmp_lt_u32_e32 vcc, s12, v2
	v_cndmask_b32_e32 v3, v3, v4, vcc
; %bb.105:
	s_or_b64 exec, exec, s[10:11]
	global_store_byte v[0:1], v3, off
.LBB47_106:
	s_mov_b64 s[12:13], 0
	s_mov_b64 s[10:11], -1
.LBB47_107:
	s_andn2_b64 vcc, exec, s[12:13]
	s_cbranch_vccnz .LBB47_115
; %bb.108:
	s_cmp_gt_i32 s17, 14
	s_mov_b64 s[12:13], -1
	s_cbranch_scc0 .LBB47_112
; %bb.109:
	s_cmp_eq_u32 s17, 15
	s_mov_b64 s[0:1], -1
	s_cbranch_scc0 .LBB47_111
; %bb.110:
	v_cndmask_b32_e64 v2, 0, 1.0, s[8:9]
	v_bfe_u32 v3, v2, 16, 1
	s_movk_i32 s0, 0x7fff
	v_add3_u32 v2, v2, v3, s0
	global_store_short_d16_hi v[0:1], v2, off
	s_mov_b64 s[10:11], -1
	s_mov_b64 s[0:1], 0
.LBB47_111:
	s_mov_b64 s[12:13], 0
.LBB47_112:
	s_and_b64 vcc, exec, s[12:13]
	s_cbranch_vccz .LBB47_115
; %bb.113:
	s_cmp_eq_u32 s17, 11
	s_mov_b64 s[0:1], -1
	s_cbranch_scc0 .LBB47_115
; %bb.114:
	v_cndmask_b32_e64 v2, 0, 1, s[8:9]
	s_mov_b64 s[10:11], -1
	s_mov_b64 s[0:1], 0
	global_store_byte v[0:1], v2, off
.LBB47_115:
	s_branch .LBB47_34
.LBB47_116:
	s_and_b32 s12, 0xffff, s16
	s_cmp_lt_i32 s12, 5
	s_mov_b64 s[10:11], -1
	s_cbranch_scc1 .LBB47_137
; %bb.117:
	s_cmp_lt_i32 s12, 8
	s_cbranch_scc1 .LBB47_127
; %bb.118:
	s_cmp_lt_i32 s12, 9
	s_cbranch_scc1 .LBB47_124
; %bb.119:
	s_cmp_gt_i32 s12, 9
	s_cbranch_scc0 .LBB47_121
; %bb.120:
	v_cndmask_b32_e64 v2, 0, 1, s[8:9]
	v_cvt_f64_u32_e32 v[2:3], v2
	v_mov_b32_e32 v4, 0
	v_mov_b32_e32 v5, v4
	s_mov_b64 s[10:11], 0
	global_store_dwordx4 v[0:1], v[2:5], off
.LBB47_121:
	s_andn2_b64 vcc, exec, s[10:11]
	s_cbranch_vccnz .LBB47_123
; %bb.122:
	v_cndmask_b32_e64 v2, 0, 1.0, s[8:9]
	v_mov_b32_e32 v3, 0
	global_store_dwordx2 v[0:1], v[2:3], off
.LBB47_123:
	s_mov_b64 s[10:11], 0
.LBB47_124:
	s_andn2_b64 vcc, exec, s[10:11]
	s_cbranch_vccnz .LBB47_126
; %bb.125:
	v_cndmask_b32_e64 v2, 0, 1.0, s[8:9]
	v_cvt_f16_f32_e32 v2, v2
	global_store_dword v[0:1], v2, off
.LBB47_126:
	s_mov_b64 s[10:11], 0
.LBB47_127:
	s_andn2_b64 vcc, exec, s[10:11]
	s_cbranch_vccnz .LBB47_136
; %bb.128:
	s_cmp_lt_i32 s12, 6
	s_mov_b64 s[10:11], -1
	s_cbranch_scc1 .LBB47_134
; %bb.129:
	s_cmp_gt_i32 s12, 6
	s_cbranch_scc0 .LBB47_131
; %bb.130:
	v_cndmask_b32_e64 v2, 0, 1, s[8:9]
	v_cvt_f64_u32_e32 v[2:3], v2
	s_mov_b64 s[10:11], 0
	global_store_dwordx2 v[0:1], v[2:3], off
.LBB47_131:
	s_andn2_b64 vcc, exec, s[10:11]
	s_cbranch_vccnz .LBB47_133
; %bb.132:
	v_cndmask_b32_e64 v2, 0, 1.0, s[8:9]
	global_store_dword v[0:1], v2, off
.LBB47_133:
	s_mov_b64 s[10:11], 0
.LBB47_134:
	s_andn2_b64 vcc, exec, s[10:11]
	s_cbranch_vccnz .LBB47_136
; %bb.135:
	v_cndmask_b32_e64 v2, 0, 1.0, s[8:9]
	v_cvt_f16_f32_e32 v2, v2
	global_store_short v[0:1], v2, off
.LBB47_136:
	s_mov_b64 s[10:11], 0
.LBB47_137:
	s_andn2_b64 vcc, exec, s[10:11]
	s_cbranch_vccnz .LBB47_153
; %bb.138:
	s_cmp_lt_i32 s12, 2
	s_mov_b64 s[10:11], -1
	s_cbranch_scc1 .LBB47_148
; %bb.139:
	s_cmp_lt_i32 s12, 3
	s_cbranch_scc1 .LBB47_145
; %bb.140:
	s_cmp_gt_i32 s12, 3
	s_cbranch_scc0 .LBB47_142
; %bb.141:
	s_mov_b32 s10, 0
	v_cndmask_b32_e64 v2, 0, 1, s[8:9]
	v_mov_b32_e32 v3, s10
	global_store_dwordx2 v[0:1], v[2:3], off
	s_mov_b64 s[10:11], 0
.LBB47_142:
	s_andn2_b64 vcc, exec, s[10:11]
	s_cbranch_vccnz .LBB47_144
; %bb.143:
	v_cndmask_b32_e64 v2, 0, 1, s[8:9]
	global_store_dword v[0:1], v2, off
.LBB47_144:
	s_mov_b64 s[10:11], 0
.LBB47_145:
	s_andn2_b64 vcc, exec, s[10:11]
	s_cbranch_vccnz .LBB47_147
; %bb.146:
	v_cndmask_b32_e64 v2, 0, 1, s[8:9]
	global_store_short v[0:1], v2, off
.LBB47_147:
	s_mov_b64 s[10:11], 0
.LBB47_148:
	s_andn2_b64 vcc, exec, s[10:11]
	s_cbranch_vccnz .LBB47_153
; %bb.149:
	s_cmp_gt_i32 s12, 0
	s_mov_b64 s[10:11], -1
	s_cbranch_scc0 .LBB47_151
; %bb.150:
	v_cndmask_b32_e64 v2, 0, 1, s[8:9]
	global_store_byte v[0:1], v2, off
	s_mov_b64 s[10:11], 0
.LBB47_151:
	s_andn2_b64 vcc, exec, s[10:11]
	s_cbranch_vccnz .LBB47_153
; %bb.152:
	v_cndmask_b32_e64 v2, 0, 1, s[8:9]
	global_store_byte v[0:1], v2, off
.LBB47_153:
.LBB47_154:
	v_add_u32_e32 v8, 0x80, v8
	s_mov_b64 s[8:9], -1
	s_branch .LBB47_261
.LBB47_155:
	s_mov_b64 s[2:3], -1
                                        ; implicit-def: $vgpr3
.LBB47_156:
	s_mov_b64 s[8:9], 0
.LBB47_157:
	s_and_b64 vcc, exec, s[8:9]
	s_cbranch_vccz .LBB47_161
; %bb.158:
	s_cmp_eq_u32 s10, 29
	s_cbranch_scc0 .LBB47_160
; %bb.159:
	global_load_dword v3, v[1:2], off
	s_mov_b64 s[0:1], -1
	s_mov_b64 s[2:3], 0
	s_branch .LBB47_161
.LBB47_160:
	s_mov_b64 s[2:3], -1
                                        ; implicit-def: $vgpr3
.LBB47_161:
	s_mov_b64 s[8:9], 0
.LBB47_162:
	s_and_b64 vcc, exec, s[8:9]
	s_cbranch_vccz .LBB47_178
; %bb.163:
	s_cmp_lt_i32 s10, 27
	s_cbranch_scc1 .LBB47_166
; %bb.164:
	s_cmp_gt_i32 s10, 27
	s_cbranch_scc0 .LBB47_167
; %bb.165:
	global_load_dword v3, v[1:2], off
	s_mov_b64 s[0:1], 0
	s_branch .LBB47_168
.LBB47_166:
	s_mov_b64 s[0:1], -1
                                        ; implicit-def: $vgpr3
	s_branch .LBB47_171
.LBB47_167:
	s_mov_b64 s[0:1], -1
                                        ; implicit-def: $vgpr3
.LBB47_168:
	s_andn2_b64 vcc, exec, s[0:1]
	s_cbranch_vccnz .LBB47_170
; %bb.169:
	global_load_ushort v3, v[1:2], off
.LBB47_170:
	s_mov_b64 s[0:1], 0
.LBB47_171:
	s_andn2_b64 vcc, exec, s[0:1]
	s_cbranch_vccnz .LBB47_177
; %bb.172:
	global_load_ubyte v4, v[1:2], off
	s_movk_i32 s0, 0x7f
	s_mov_b64 s[8:9], 0
	s_waitcnt vmcnt(0)
	v_cmp_lt_i16_e32 vcc, s0, v4
	s_and_saveexec_b64 s[0:1], vcc
	s_xor_b64 s[0:1], exec, s[0:1]
	s_cbranch_execz .LBB47_188
; %bb.173:
	s_movk_i32 s8, 0x80
	v_cmp_ne_u16_e32 vcc, s8, v4
	s_and_b64 s[8:9], vcc, exec
	s_andn2_saveexec_b64 s[0:1], s[0:1]
	s_cbranch_execnz .LBB47_189
.LBB47_174:
	s_or_b64 exec, exec, s[0:1]
	v_mov_b32_e32 v3, 0
	s_and_saveexec_b64 s[0:1], s[8:9]
	s_cbranch_execz .LBB47_176
.LBB47_175:
	v_lshlrev_b32_e32 v3, 24, v4
	v_and_b32_e32 v4, 0xffff, v4
	v_and_b32_e32 v5, 7, v4
	v_ffbh_u32_e32 v7, v5
	v_min_u32_e32 v7, 32, v7
	v_subrev_u32_e32 v9, 28, v7
	v_bfe_u32 v6, v4, 3, 4
	v_lshlrev_b32_e32 v4, v9, v4
	v_sub_u32_e32 v7, 29, v7
	v_and_b32_e32 v4, 7, v4
	v_cmp_eq_u32_e32 vcc, 0, v6
	v_cndmask_b32_e32 v6, v6, v7, vcc
	v_cndmask_b32_e32 v4, v5, v4, vcc
	v_mov_b32_e32 v5, 0x3b800000
	v_lshlrev_b32_e32 v4, 20, v4
	v_and_b32_e32 v3, 0x80000000, v3
	v_lshl_add_u32 v5, v6, 23, v5
	v_or3_b32 v3, v3, v5, v4
	v_cvt_i32_f32_e32 v3, v3
.LBB47_176:
	s_or_b64 exec, exec, s[0:1]
.LBB47_177:
	s_mov_b64 s[0:1], -1
.LBB47_178:
	s_branch .LBB47_211
.LBB47_179:
	s_cmp_gt_i32 s10, 22
	s_cbranch_scc0 .LBB47_187
; %bb.180:
	s_cmp_lt_i32 s10, 24
	s_cbranch_scc1 .LBB47_190
; %bb.181:
	s_cmp_gt_i32 s10, 24
	s_cbranch_scc0 .LBB47_191
; %bb.182:
	global_load_ubyte v4, v[1:2], off
	s_movk_i32 s0, 0x7f
	s_mov_b64 s[8:9], 0
	s_waitcnt vmcnt(0)
	v_cmp_lt_i16_e32 vcc, s0, v4
	s_and_saveexec_b64 s[0:1], vcc
	s_xor_b64 s[0:1], exec, s[0:1]
	s_cbranch_execz .LBB47_203
; %bb.183:
	s_movk_i32 s8, 0x80
	v_cmp_ne_u16_e32 vcc, s8, v4
	s_and_b64 s[8:9], vcc, exec
	s_andn2_saveexec_b64 s[0:1], s[0:1]
	s_cbranch_execnz .LBB47_204
.LBB47_184:
	s_or_b64 exec, exec, s[0:1]
	v_mov_b32_e32 v3, 0
	s_and_saveexec_b64 s[0:1], s[8:9]
	s_cbranch_execz .LBB47_186
.LBB47_185:
	v_lshlrev_b32_e32 v3, 24, v4
	v_and_b32_e32 v4, 0xffff, v4
	v_and_b32_e32 v5, 3, v4
	v_ffbh_u32_e32 v7, v5
	v_min_u32_e32 v7, 32, v7
	v_subrev_u32_e32 v9, 29, v7
	v_bfe_u32 v6, v4, 2, 5
	v_lshlrev_b32_e32 v4, v9, v4
	v_sub_u32_e32 v7, 30, v7
	v_and_b32_e32 v4, 3, v4
	v_cmp_eq_u32_e32 vcc, 0, v6
	v_cndmask_b32_e32 v6, v6, v7, vcc
	v_cndmask_b32_e32 v4, v5, v4, vcc
	v_mov_b32_e32 v5, 0x37800000
	v_lshlrev_b32_e32 v4, 21, v4
	v_and_b32_e32 v3, 0x80000000, v3
	v_lshl_add_u32 v5, v6, 23, v5
	v_or3_b32 v3, v3, v5, v4
	v_cvt_i32_f32_e32 v3, v3
.LBB47_186:
	s_or_b64 exec, exec, s[0:1]
	s_mov_b64 s[0:1], 0
	s_branch .LBB47_192
.LBB47_187:
	s_mov_b64 s[8:9], -1
                                        ; implicit-def: $vgpr3
	s_branch .LBB47_198
.LBB47_188:
	s_andn2_saveexec_b64 s[0:1], s[0:1]
	s_cbranch_execz .LBB47_174
.LBB47_189:
	v_cmp_ne_u16_e32 vcc, 0, v4
	s_andn2_b64 s[8:9], s[8:9], exec
	s_and_b64 s[12:13], vcc, exec
	s_or_b64 s[8:9], s[8:9], s[12:13]
	s_or_b64 exec, exec, s[0:1]
	v_mov_b32_e32 v3, 0
	s_and_saveexec_b64 s[0:1], s[8:9]
	s_cbranch_execnz .LBB47_175
	s_branch .LBB47_176
.LBB47_190:
	s_mov_b64 s[0:1], -1
                                        ; implicit-def: $vgpr3
	s_branch .LBB47_195
.LBB47_191:
	s_mov_b64 s[0:1], -1
                                        ; implicit-def: $vgpr3
.LBB47_192:
	s_and_b64 vcc, exec, s[0:1]
	s_cbranch_vccz .LBB47_194
; %bb.193:
	global_load_ubyte v3, v[1:2], off
	s_mov_b32 s0, 0x7f800000
	s_waitcnt vmcnt(0)
	v_lshlrev_b32_e32 v3, 24, v3
	v_and_b32_e32 v4, 0x7f000000, v3
	v_ffbh_u32_e32 v5, v4
	v_min_u32_e32 v5, 32, v5
	v_sub_u32_e64 v5, v5, 4 clamp
	v_lshlrev_b32_e32 v7, v5, v4
	v_lshlrev_b32_e32 v5, 23, v5
	v_lshrrev_b32_e32 v7, 4, v7
	v_add_u32_e32 v6, 0x1000000, v4
	v_sub_u32_e32 v5, v7, v5
	v_ashrrev_i32_e32 v6, 8, v6
	v_add_u32_e32 v5, 0x3c000000, v5
	v_and_or_b32 v5, v6, s0, v5
	v_cmp_ne_u32_e32 vcc, 0, v4
	v_cndmask_b32_e32 v4, 0, v5, vcc
	s_brev_b32 s0, 1
	v_and_or_b32 v3, v3, s0, v4
	v_cvt_i32_f32_e32 v3, v3
.LBB47_194:
	s_mov_b64 s[0:1], 0
.LBB47_195:
	s_andn2_b64 vcc, exec, s[0:1]
	s_cbranch_vccnz .LBB47_197
; %bb.196:
	global_load_ubyte v3, v[1:2], off
	s_movk_i32 s0, 0x7f00
	s_brev_b32 s1, 16
	s_waitcnt vmcnt(0)
	v_lshlrev_b16_e32 v4, 8, v3
	v_lshlrev_b32_e32 v3, 25, v3
	v_lshrrev_b32_e32 v5, 4, v3
	v_and_or_b32 v6, v4, s0, 0.5
	v_or_b32_e32 v5, 0x70000000, v5
	v_add_f32_e32 v6, -0.5, v6
	v_mul_f32_e32 v5, 0x7800000, v5
	v_cmp_gt_u32_e32 vcc, s1, v3
	v_bfe_i32 v4, v4, 0, 16
	v_cndmask_b32_e32 v3, v5, v6, vcc
	s_brev_b32 s0, 1
	v_and_or_b32 v3, v4, s0, v3
	v_cvt_i32_f32_e32 v3, v3
.LBB47_197:
	s_mov_b64 s[8:9], 0
	s_mov_b64 s[0:1], -1
.LBB47_198:
	s_andn2_b64 vcc, exec, s[8:9]
	s_cbranch_vccnz .LBB47_211
; %bb.199:
	s_cmp_gt_i32 s10, 14
	s_cbranch_scc0 .LBB47_202
; %bb.200:
	s_cmp_eq_u32 s10, 15
	s_cbranch_scc0 .LBB47_205
; %bb.201:
	global_load_ushort v3, v[1:2], off
	s_mov_b64 s[0:1], -1
	s_mov_b64 s[2:3], 0
	s_waitcnt vmcnt(0)
	v_lshlrev_b32_e32 v3, 16, v3
	v_cvt_i32_f32_e32 v3, v3
	s_branch .LBB47_206
.LBB47_202:
	s_mov_b64 s[8:9], -1
                                        ; implicit-def: $vgpr3
	s_branch .LBB47_207
.LBB47_203:
	s_andn2_saveexec_b64 s[0:1], s[0:1]
	s_cbranch_execz .LBB47_184
.LBB47_204:
	v_cmp_ne_u16_e32 vcc, 0, v4
	s_andn2_b64 s[8:9], s[8:9], exec
	s_and_b64 s[12:13], vcc, exec
	s_or_b64 s[8:9], s[8:9], s[12:13]
	s_or_b64 exec, exec, s[0:1]
	v_mov_b32_e32 v3, 0
	s_and_saveexec_b64 s[0:1], s[8:9]
	s_cbranch_execnz .LBB47_185
	s_branch .LBB47_186
.LBB47_205:
	s_mov_b64 s[2:3], -1
                                        ; implicit-def: $vgpr3
.LBB47_206:
	s_mov_b64 s[8:9], 0
.LBB47_207:
	s_and_b64 vcc, exec, s[8:9]
	s_cbranch_vccz .LBB47_211
; %bb.208:
	s_cmp_eq_u32 s10, 11
	s_cbranch_scc0 .LBB47_210
; %bb.209:
	global_load_ubyte v3, v[1:2], off
	s_mov_b64 s[0:1], -1
	s_mov_b64 s[2:3], 0
	s_waitcnt vmcnt(0)
	v_cmp_ne_u16_e32 vcc, 0, v3
	v_cndmask_b32_e64 v3, 0, 1, vcc
	s_branch .LBB47_211
.LBB47_210:
	s_mov_b64 s[2:3], -1
                                        ; implicit-def: $vgpr3
.LBB47_211:
	s_branch .LBB47_24
.LBB47_212:
	s_cmp_lt_i32 s10, 5
	s_cbranch_scc1 .LBB47_217
; %bb.213:
	s_cmp_lt_i32 s10, 8
	s_cbranch_scc1 .LBB47_218
; %bb.214:
	s_cmp_lt_i32 s10, 9
	s_cbranch_scc1 .LBB47_219
; %bb.215:
	s_cmp_gt_i32 s10, 9
	s_cbranch_scc0 .LBB47_220
; %bb.216:
	global_load_dwordx2 v[3:4], v[1:2], off
	s_mov_b64 s[0:1], 0
	s_waitcnt vmcnt(0)
	v_cvt_i32_f64_e32 v3, v[3:4]
	s_branch .LBB47_221
.LBB47_217:
                                        ; implicit-def: $vgpr3
	s_branch .LBB47_239
.LBB47_218:
	s_mov_b64 s[0:1], -1
                                        ; implicit-def: $vgpr3
	s_branch .LBB47_227
.LBB47_219:
	s_mov_b64 s[0:1], -1
                                        ; implicit-def: $vgpr3
	s_branch .LBB47_224
.LBB47_220:
	s_mov_b64 s[0:1], -1
                                        ; implicit-def: $vgpr3
.LBB47_221:
	s_andn2_b64 vcc, exec, s[0:1]
	s_cbranch_vccnz .LBB47_223
; %bb.222:
	global_load_dword v3, v[1:2], off
	s_waitcnt vmcnt(0)
	v_cvt_i32_f32_e32 v3, v3
.LBB47_223:
	s_mov_b64 s[0:1], 0
.LBB47_224:
	s_andn2_b64 vcc, exec, s[0:1]
	s_cbranch_vccnz .LBB47_226
; %bb.225:
	global_load_dword v3, v[1:2], off
	s_waitcnt vmcnt(0)
	v_cvt_f32_f16_e32 v3, v3
	v_cvt_i32_f32_e32 v3, v3
.LBB47_226:
	s_mov_b64 s[0:1], 0
.LBB47_227:
	s_andn2_b64 vcc, exec, s[0:1]
	s_cbranch_vccnz .LBB47_238
; %bb.228:
	s_cmp_lt_i32 s10, 6
	s_cbranch_scc1 .LBB47_231
; %bb.229:
	s_cmp_gt_i32 s10, 6
	s_cbranch_scc0 .LBB47_232
; %bb.230:
	global_load_dwordx2 v[3:4], v[1:2], off
	s_mov_b64 s[0:1], 0
	s_waitcnt vmcnt(0)
	v_cvt_i32_f64_e32 v3, v[3:4]
	s_branch .LBB47_233
.LBB47_231:
	s_mov_b64 s[0:1], -1
                                        ; implicit-def: $vgpr3
	s_branch .LBB47_236
.LBB47_232:
	s_mov_b64 s[0:1], -1
                                        ; implicit-def: $vgpr3
.LBB47_233:
	s_andn2_b64 vcc, exec, s[0:1]
	s_cbranch_vccnz .LBB47_235
; %bb.234:
	global_load_dword v3, v[1:2], off
	s_waitcnt vmcnt(0)
	v_cvt_i32_f32_e32 v3, v3
.LBB47_235:
	s_mov_b64 s[0:1], 0
.LBB47_236:
	s_andn2_b64 vcc, exec, s[0:1]
	s_cbranch_vccnz .LBB47_238
; %bb.237:
	global_load_ushort v3, v[1:2], off
	s_waitcnt vmcnt(0)
	v_cvt_f32_f16_e32 v3, v3
	v_cvt_i32_f32_e32 v3, v3
.LBB47_238:
	s_cbranch_execnz .LBB47_258
.LBB47_239:
	s_cmp_lt_i32 s10, 2
	s_cbranch_scc1 .LBB47_243
; %bb.240:
	s_cmp_lt_i32 s10, 3
	s_cbranch_scc1 .LBB47_244
; %bb.241:
	s_cmp_gt_i32 s10, 3
	s_cbranch_scc0 .LBB47_245
; %bb.242:
	global_load_dword v3, v[1:2], off
	s_mov_b64 s[0:1], 0
	s_branch .LBB47_246
.LBB47_243:
	s_mov_b64 s[0:1], -1
                                        ; implicit-def: $vgpr3
	s_branch .LBB47_252
.LBB47_244:
	s_mov_b64 s[0:1], -1
                                        ; implicit-def: $vgpr3
	s_branch .LBB47_249
.LBB47_245:
	s_mov_b64 s[0:1], -1
                                        ; implicit-def: $vgpr3
.LBB47_246:
	s_andn2_b64 vcc, exec, s[0:1]
	s_cbranch_vccnz .LBB47_248
; %bb.247:
	global_load_dword v3, v[1:2], off
.LBB47_248:
	s_mov_b64 s[0:1], 0
.LBB47_249:
	s_andn2_b64 vcc, exec, s[0:1]
	s_cbranch_vccnz .LBB47_251
; %bb.250:
	global_load_sshort v3, v[1:2], off
.LBB47_251:
	s_mov_b64 s[0:1], 0
.LBB47_252:
	s_andn2_b64 vcc, exec, s[0:1]
	s_cbranch_vccnz .LBB47_258
; %bb.253:
	s_cmp_gt_i32 s10, 0
	s_cbranch_scc0 .LBB47_255
; %bb.254:
	global_load_sbyte v3, v[1:2], off
	s_mov_b64 s[0:1], 0
	s_branch .LBB47_256
.LBB47_255:
	s_mov_b64 s[0:1], -1
                                        ; implicit-def: $vgpr3
.LBB47_256:
	s_andn2_b64 vcc, exec, s[0:1]
	s_cbranch_vccnz .LBB47_258
; %bb.257:
	global_load_ubyte v3, v[1:2], off
.LBB47_258:
	s_branch .LBB47_25
.LBB47_259:
	s_mov_b64 s[0:1], 0
.LBB47_260:
	s_mov_b64 s[8:9], 0
                                        ; implicit-def: $vgpr8
.LBB47_261:
	s_and_b64 s[56:57], s[0:1], exec
	s_and_b64 s[58:59], s[2:3], exec
	s_orn2_b64 s[2:3], s[8:9], exec
.LBB47_262:
	s_or_b64 exec, exec, s[60:61]
	s_mov_b64 s[10:11], 0
	s_mov_b64 s[0:1], 0
                                        ; implicit-def: $vgpr1_vgpr2
                                        ; implicit-def: $vgpr0
                                        ; implicit-def: $vgpr3
	s_and_saveexec_b64 s[60:61], s[2:3]
	s_cbranch_execz .LBB47_269
; %bb.263:
	v_cmp_gt_i32_e32 vcc, s74, v8
	s_mov_b64 s[0:1], -1
	s_mov_b64 s[62:63], s[58:59]
	s_mov_b64 s[64:65], s[56:57]
	s_and_saveexec_b64 s[66:67], vcc
	s_cbranch_execz .LBB47_534
; %bb.264:
	s_andn2_b64 vcc, exec, s[40:41]
	s_cbranch_vccnz .LBB47_272
; %bb.265:
	s_andn2_b64 vcc, exec, s[54:55]
	s_cbranch_vccnz .LBB47_273
; %bb.266:
	s_add_i32 s68, s79, 1
	s_cmp_eq_u32 s76, 2
	s_cbranch_scc1 .LBB47_274
; %bb.267:
	s_and_b32 s44, s68, 28
	v_mov_b32_e32 v2, 0
	s_mov_b32 s69, 0
	s_mov_b64 s[62:63], s[34:35]
	s_mov_b64 s[64:65], s[52:53]
	v_mov_b32_e32 v0, 0
	v_mov_b32_e32 v1, v8
.LBB47_268:                             ; =>This Inner Loop Header: Depth=1
	s_load_dwordx8 s[16:23], s[62:63], 0x4
	s_load_dwordx4 s[0:3], s[62:63], 0x24
	s_load_dwordx8 s[8:15], s[64:65], 0x0
	s_add_u32 s62, s62, 48
	s_addc_u32 s63, s63, 0
	s_waitcnt vmcnt(0) lgkmcnt(0)
	v_mul_hi_u32 v3, s17, v1
	s_add_i32 s69, s69, 4
	s_add_u32 s64, s64, 32
	s_addc_u32 s65, s65, 0
	v_add_u32_e32 v3, v1, v3
	v_lshrrev_b32_e32 v3, s18, v3
	v_mul_lo_u32 v4, v3, s16
	v_mul_hi_u32 v5, s20, v3
	s_cmp_eq_u32 s44, s69
	v_sub_u32_e32 v1, v1, v4
	v_add_u32_e32 v4, v3, v5
	v_mul_lo_u32 v5, v1, s8
	v_mul_lo_u32 v6, v1, s9
	v_lshrrev_b32_e32 v1, s21, v4
	v_mul_lo_u32 v4, v1, s19
	v_mul_hi_u32 v7, s23, v1
	v_sub_u32_e32 v3, v3, v4
	v_add_u32_e32 v4, v1, v7
	v_lshrrev_b32_e32 v4, s0, v4
	v_mul_hi_u32 v9, s2, v4
	v_mul_lo_u32 v10, v4, s22
	v_mul_lo_u32 v7, v3, s10
	;; [unrolled: 1-line block ×3, first 2 shown]
	v_sub_u32_e32 v10, v1, v10
	v_add_u32_e32 v1, v4, v9
	v_lshrrev_b32_e32 v1, s3, v1
	v_mul_lo_u32 v9, v1, s1
	v_mul_lo_u32 v11, v10, s12
	v_mul_lo_u32 v10, v10, s13
	v_add3_u32 v0, v5, v0, v7
	v_sub_u32_e32 v4, v4, v9
	v_mul_lo_u32 v9, v4, s14
	v_mul_lo_u32 v4, v4, s15
	v_add3_u32 v2, v6, v2, v3
	v_add3_u32 v0, v11, v0, v9
	;; [unrolled: 1-line block ×3, first 2 shown]
	s_cbranch_scc0 .LBB47_268
	s_branch .LBB47_275
.LBB47_269:
	s_or_b64 exec, exec, s[60:61]
	s_mov_b64 s[2:3], 0
	s_and_saveexec_b64 s[8:9], s[58:59]
	s_cbranch_execnz .LBB47_902
.LBB47_270:
	s_or_b64 exec, exec, s[8:9]
	s_and_saveexec_b64 s[8:9], s[64:65]
	s_xor_b64 s[8:9], exec, s[8:9]
	s_cbranch_execz .LBB47_903
.LBB47_271:
	global_load_ubyte v3, v[1:2], off
	s_or_b64 s[0:1], s[0:1], exec
	s_waitcnt vmcnt(0)
	v_cmp_ne_u16_e32 vcc, 0, v3
	v_cndmask_b32_e64 v3, 0, 1, vcc
	s_or_b64 exec, exec, s[8:9]
	s_and_saveexec_b64 s[8:9], s[10:11]
	s_cbranch_execz .LBB47_949
	s_branch .LBB47_904
.LBB47_272:
                                        ; implicit-def: $vgpr0
                                        ; implicit-def: $vgpr2
	s_andn2_b64 vcc, exec, s[0:1]
	s_cbranch_vccz .LBB47_279
	s_branch .LBB47_281
.LBB47_273:
	v_mov_b32_e32 v0, 0
	v_mov_b32_e32 v2, 0
	s_branch .LBB47_278
.LBB47_274:
	s_mov_b32 s44, 0
	v_mov_b32_e32 v0, 0
	v_mov_b32_e32 v2, 0
	;; [unrolled: 1-line block ×3, first 2 shown]
.LBB47_275:
	s_and_b32 s8, s68, 3
	s_cmp_eq_u32 s8, 0
	s_cbranch_scc1 .LBB47_278
; %bb.276:
	s_lshl_b32 s0, s44, 3
	s_add_u32 s0, s34, s0
	s_addc_u32 s1, s35, 0
	s_add_u32 s0, s0, 0xc4
	s_addc_u32 s1, s1, 0
	s_mul_i32 s2, s44, 12
	s_add_u32 s2, s34, s2
	s_addc_u32 s3, s35, 0
.LBB47_277:                             ; =>This Inner Loop Header: Depth=1
	s_load_dwordx2 s[10:11], s[2:3], 0x4
	s_load_dword s9, s[2:3], 0xc
	s_load_dwordx2 s[12:13], s[0:1], 0x0
	s_add_u32 s2, s2, 12
	s_addc_u32 s3, s3, 0
	s_waitcnt vmcnt(0) lgkmcnt(0)
	v_mul_hi_u32 v3, s11, v1
	s_add_u32 s0, s0, 8
	s_addc_u32 s1, s1, 0
	s_add_i32 s8, s8, -1
	v_add_u32_e32 v3, v1, v3
	v_lshrrev_b32_e32 v4, s9, v3
	v_mul_lo_u32 v3, v4, s10
	s_cmp_lg_u32 s8, 0
	v_sub_u32_e32 v3, v1, v3
	v_mad_u64_u32 v[0:1], s[10:11], v3, s12, v[0:1]
	v_mad_u64_u32 v[2:3], s[10:11], v3, s13, v[2:3]
	v_mov_b32_e32 v1, v4
	s_cbranch_scc1 .LBB47_277
.LBB47_278:
	s_cbranch_execnz .LBB47_281
.LBB47_279:
	v_mul_hi_u32 v0, s29, v8
	s_andn2_b64 vcc, exec, s[50:51]
	v_add_u32_e32 v0, v8, v0
	v_lshrrev_b32_e32 v1, s30, v0
	v_mul_lo_u32 v0, v1, s28
	v_sub_u32_e32 v2, v8, v0
	v_mul_lo_u32 v0, v2, s36
	v_mul_lo_u32 v2, v2, s37
	s_cbranch_vccnz .LBB47_281
; %bb.280:
	s_waitcnt vmcnt(0)
	v_mul_hi_u32 v3, s48, v1
	v_add_u32_e32 v3, v1, v3
	v_lshrrev_b32_e32 v3, s49, v3
	v_mul_lo_u32 v3, v3, s31
	v_sub_u32_e32 v3, v1, v3
	v_mad_u64_u32 v[0:1], s[0:1], v3, s38, v[0:1]
	v_mad_u64_u32 v[2:3], s[0:1], v3, s39, v[2:3]
.LBB47_281:
	s_waitcnt vmcnt(0)
	v_mov_b32_e32 v3, s27
	s_and_b32 s10, 0xffff, s78
	v_add_co_u32_e32 v1, vcc, s26, v2
	s_cmp_lt_i32 s10, 11
	v_addc_co_u32_e32 v2, vcc, 0, v3, vcc
	s_cbranch_scc1 .LBB47_288
; %bb.282:
	s_cmp_gt_i32 s10, 25
	s_cbranch_scc0 .LBB47_297
; %bb.283:
	s_cmp_gt_i32 s10, 28
	s_cbranch_scc0 .LBB47_299
	;; [unrolled: 3-line block ×4, first 2 shown]
; %bb.286:
	s_cmp_eq_u32 s10, 46
	s_mov_b64 s[8:9], 0
	s_cbranch_scc0 .LBB47_309
; %bb.287:
	global_load_dword v3, v[1:2], off
	s_mov_b64 s[0:1], -1
	s_mov_b64 s[2:3], 0
	s_waitcnt vmcnt(0)
	v_lshlrev_b32_e32 v3, 16, v3
	v_cvt_i32_f32_e32 v3, v3
	s_branch .LBB47_310
.LBB47_288:
	s_mov_b64 s[0:1], 0
                                        ; implicit-def: $vgpr3
	s_mov_b64 s[2:3], s[58:59]
	s_cbranch_execnz .LBB47_483
.LBB47_289:
	s_andn2_b64 vcc, exec, s[0:1]
	s_cbranch_vccnz .LBB47_531
.LBB47_290:
	s_waitcnt vmcnt(0)
	v_cmp_ne_u32_e32 vcc, s45, v3
	s_xor_b64 s[8:9], s[46:47], vcc
	v_mov_b32_e32 v1, s25
	s_and_b32 s16, s77, 0xff
	v_add_co_u32_e32 v0, vcc, s24, v0
	s_cmp_lt_i32 s16, 11
	v_addc_co_u32_e32 v1, vcc, 0, v1, vcc
	s_cbranch_scc1 .LBB47_298
; %bb.291:
	s_and_b32 s17, 0xffff, s16
	s_cmp_gt_i32 s17, 25
	s_cbranch_scc0 .LBB47_300
; %bb.292:
	s_cmp_gt_i32 s17, 28
	s_cbranch_scc0 .LBB47_302
; %bb.293:
	;; [unrolled: 3-line block ×4, first 2 shown]
	s_mov_b64 s[12:13], 0
	s_mov_b64 s[0:1], -1
	s_cmp_eq_u32 s17, 46
	s_mov_b64 s[10:11], 0
	s_cbranch_scc0 .LBB47_314
; %bb.296:
	v_cndmask_b32_e64 v2, 0, 1.0, s[8:9]
	v_bfe_u32 v3, v2, 16, 1
	s_movk_i32 s0, 0x7fff
	v_add3_u32 v2, v2, v3, s0
	v_lshrrev_b32_e32 v2, 16, v2
	global_store_dword v[0:1], v2, off
	s_mov_b64 s[10:11], -1
	s_mov_b64 s[0:1], 0
	s_branch .LBB47_314
.LBB47_297:
	s_mov_b64 s[8:9], -1
	s_mov_b64 s[0:1], 0
	s_mov_b64 s[2:3], s[58:59]
                                        ; implicit-def: $vgpr3
	s_branch .LBB47_449
.LBB47_298:
	s_mov_b64 s[12:13], -1
	s_mov_b64 s[10:11], 0
	s_mov_b64 s[0:1], s[56:57]
	s_branch .LBB47_383
.LBB47_299:
	s_mov_b64 s[8:9], -1
	s_mov_b64 s[0:1], 0
	s_mov_b64 s[2:3], s[58:59]
                                        ; implicit-def: $vgpr3
	s_branch .LBB47_432
.LBB47_300:
	s_mov_b64 s[12:13], -1
	s_mov_b64 s[10:11], 0
	s_mov_b64 s[0:1], s[56:57]
	s_branch .LBB47_341
.LBB47_301:
	s_mov_b64 s[8:9], -1
	s_mov_b64 s[0:1], 0
	s_mov_b64 s[2:3], s[58:59]
                                        ; implicit-def: $vgpr3
	s_branch .LBB47_427
.LBB47_302:
	s_mov_b64 s[12:13], -1
	s_mov_b64 s[10:11], 0
	s_mov_b64 s[0:1], s[56:57]
	s_branch .LBB47_324
.LBB47_303:
	s_andn2_saveexec_b64 s[14:15], s[14:15]
	s_cbranch_execz .LBB47_68
.LBB47_304:
	v_add_f32_e32 v2, 0x46000000, v3
	v_and_b32_e32 v2, 0xff, v2
	v_cmp_ne_u32_e32 vcc, 0, v2
	s_andn2_b64 s[12:13], s[12:13], exec
	s_and_b64 s[18:19], vcc, exec
	s_or_b64 s[12:13], s[12:13], s[18:19]
	s_or_b64 exec, exec, s[14:15]
	v_mov_b32_e32 v4, 0
	s_and_saveexec_b64 s[14:15], s[12:13]
	s_cbranch_execnz .LBB47_69
	s_branch .LBB47_70
.LBB47_305:
	s_mov_b64 s[8:9], -1
	s_mov_b64 s[0:1], 0
	s_mov_b64 s[2:3], s[58:59]
                                        ; implicit-def: $vgpr3
	s_branch .LBB47_310
.LBB47_306:
	s_mov_b64 s[12:13], -1
	s_mov_b64 s[10:11], 0
	s_mov_b64 s[0:1], s[56:57]
	s_branch .LBB47_320
.LBB47_307:
	s_andn2_saveexec_b64 s[14:15], s[14:15]
	s_cbranch_execz .LBB47_81
.LBB47_308:
	v_add_f32_e32 v2, 0x42800000, v3
	v_and_b32_e32 v2, 0xff, v2
	v_cmp_ne_u32_e32 vcc, 0, v2
	s_andn2_b64 s[12:13], s[12:13], exec
	s_and_b64 s[18:19], vcc, exec
	s_or_b64 s[12:13], s[12:13], s[18:19]
	s_or_b64 exec, exec, s[14:15]
	v_mov_b32_e32 v4, 0
	s_and_saveexec_b64 s[14:15], s[12:13]
	s_cbranch_execnz .LBB47_82
	s_branch .LBB47_83
.LBB47_309:
	s_mov_b64 s[2:3], -1
                                        ; implicit-def: $vgpr3
	s_mov_b64 s[0:1], 0
.LBB47_310:
	s_and_b64 vcc, exec, s[8:9]
	s_cbranch_vccz .LBB47_426
; %bb.311:
	s_cmp_eq_u32 s10, 44
	s_cbranch_scc0 .LBB47_425
; %bb.312:
	global_load_ubyte v3, v[1:2], off
	s_mov_b64 s[0:1], -1
	s_mov_b64 s[2:3], 0
	s_waitcnt vmcnt(0)
	v_lshlrev_b32_e32 v4, 23, v3
	v_cvt_i32_f32_e32 v4, v4
	v_cmp_ne_u32_e32 vcc, 0, v3
	v_cndmask_b32_e32 v3, 0, v4, vcc
	s_branch .LBB47_426
.LBB47_313:
	s_mov_b64 s[12:13], -1
	s_mov_b64 s[10:11], 0
	s_mov_b64 s[0:1], s[56:57]
.LBB47_314:
	s_and_b64 vcc, exec, s[12:13]
	s_cbranch_vccz .LBB47_319
; %bb.315:
	s_cmp_eq_u32 s17, 44
	s_mov_b64 s[0:1], -1
	s_cbranch_scc0 .LBB47_319
; %bb.316:
	v_cndmask_b32_e64 v3, 0, 1.0, s[8:9]
	v_lshrrev_b32_e32 v2, 23, v3
	s_movk_i32 s0, 0xff
	v_cmp_ne_u32_e32 vcc, s0, v2
	v_mov_b32_e32 v4, 0xff
	s_and_saveexec_b64 s[10:11], vcc
; %bb.317:
	s_mov_b32 s0, 0x3fffff
	v_and_b32_e32 v4, 0x400000, v3
	v_and_or_b32 v3, v3, s0, v2
	v_cmp_ne_u32_e32 vcc, 0, v4
	v_cmp_ne_u32_e64 s[0:1], 0, v3
	s_and_b64 s[0:1], vcc, s[0:1]
	v_cndmask_b32_e64 v3, 0, 1, s[0:1]
	v_add_u32_e32 v4, v2, v3
; %bb.318:
	s_or_b64 exec, exec, s[10:11]
	s_mov_b64 s[10:11], -1
	s_mov_b64 s[0:1], 0
	global_store_byte v[0:1], v4, off
.LBB47_319:
	s_mov_b64 s[12:13], 0
.LBB47_320:
	s_and_b64 vcc, exec, s[12:13]
	s_cbranch_vccz .LBB47_323
; %bb.321:
	s_cmp_eq_u32 s17, 29
	s_mov_b64 s[0:1], -1
	s_cbranch_scc0 .LBB47_323
; %bb.322:
	s_mov_b32 s0, 0
	v_cndmask_b32_e64 v2, 0, 1, s[8:9]
	v_mov_b32_e32 v3, s0
	global_store_dwordx2 v[0:1], v[2:3], off
	s_mov_b64 s[10:11], -1
	s_mov_b64 s[0:1], 0
.LBB47_323:
	s_mov_b64 s[12:13], 0
.LBB47_324:
	s_and_b64 vcc, exec, s[12:13]
	s_cbranch_vccz .LBB47_340
; %bb.325:
	s_cmp_lt_i32 s17, 27
	s_mov_b64 s[10:11], -1
	s_cbranch_scc1 .LBB47_331
; %bb.326:
	s_cmp_gt_i32 s17, 27
	s_cbranch_scc0 .LBB47_328
; %bb.327:
	v_cndmask_b32_e64 v2, 0, 1, s[8:9]
	s_mov_b64 s[10:11], 0
	global_store_dword v[0:1], v2, off
.LBB47_328:
	s_andn2_b64 vcc, exec, s[10:11]
	s_cbranch_vccnz .LBB47_330
; %bb.329:
	v_cndmask_b32_e64 v2, 0, 1, s[8:9]
	global_store_short v[0:1], v2, off
.LBB47_330:
	s_mov_b64 s[10:11], 0
.LBB47_331:
	s_andn2_b64 vcc, exec, s[10:11]
	s_cbranch_vccnz .LBB47_339
; %bb.332:
	v_cndmask_b32_e64 v3, 0, 1.0, s[8:9]
	s_mov_b32 s10, 0x43800000
	v_cmp_gt_u32_e32 vcc, s10, v3
	v_mov_b32_e32 v4, 0x80
	s_and_saveexec_b64 s[10:11], vcc
	s_cbranch_execz .LBB47_338
; %bb.333:
	s_mov_b32 s12, 0x3bffffff
	v_cmp_lt_u32_e32 vcc, s12, v3
	s_mov_b64 s[12:13], 0
                                        ; implicit-def: $vgpr2
	s_and_saveexec_b64 s[14:15], vcc
	s_xor_b64 s[14:15], exec, s[14:15]
	s_cbranch_execz .LBB47_562
; %bb.334:
	v_bfe_u32 v2, v3, 20, 1
	s_mov_b32 s18, 0x487ffff
	v_add3_u32 v2, v3, v2, s18
	s_mov_b64 s[12:13], exec
	v_lshrrev_b32_e32 v2, 20, v2
                                        ; implicit-def: $vgpr3
	s_andn2_saveexec_b64 s[14:15], s[14:15]
	s_cbranch_execnz .LBB47_563
.LBB47_335:
	s_or_b64 exec, exec, s[14:15]
	v_mov_b32_e32 v4, 0
	s_and_saveexec_b64 s[14:15], s[12:13]
.LBB47_336:
	v_mov_b32_e32 v4, v2
.LBB47_337:
	s_or_b64 exec, exec, s[14:15]
.LBB47_338:
	s_or_b64 exec, exec, s[10:11]
	global_store_byte v[0:1], v4, off
.LBB47_339:
	s_mov_b64 s[10:11], -1
.LBB47_340:
	s_mov_b64 s[12:13], 0
.LBB47_341:
	s_and_b64 vcc, exec, s[12:13]
	s_cbranch_vccz .LBB47_382
; %bb.342:
	s_cmp_gt_i32 s17, 22
	s_mov_b64 s[12:13], -1
	s_cbranch_scc0 .LBB47_374
; %bb.343:
	s_cmp_lt_i32 s17, 24
	s_mov_b64 s[10:11], -1
	s_cbranch_scc1 .LBB47_363
; %bb.344:
	s_cmp_gt_i32 s17, 24
	s_cbranch_scc0 .LBB47_352
; %bb.345:
	v_cndmask_b32_e64 v3, 0, 1.0, s[8:9]
	s_mov_b32 s10, 0x47800000
	v_cmp_gt_u32_e32 vcc, s10, v3
	v_mov_b32_e32 v4, 0x80
	s_and_saveexec_b64 s[10:11], vcc
	s_cbranch_execz .LBB47_351
; %bb.346:
	s_mov_b32 s12, 0x37ffffff
	v_cmp_lt_u32_e32 vcc, s12, v3
	s_mov_b64 s[12:13], 0
                                        ; implicit-def: $vgpr2
	s_and_saveexec_b64 s[14:15], vcc
	s_xor_b64 s[14:15], exec, s[14:15]
	s_cbranch_execz .LBB47_565
; %bb.347:
	v_bfe_u32 v2, v3, 21, 1
	s_mov_b32 s18, 0x88fffff
	v_add3_u32 v2, v3, v2, s18
	s_mov_b64 s[12:13], exec
	v_lshrrev_b32_e32 v2, 21, v2
                                        ; implicit-def: $vgpr3
	s_andn2_saveexec_b64 s[14:15], s[14:15]
	s_cbranch_execnz .LBB47_566
.LBB47_348:
	s_or_b64 exec, exec, s[14:15]
	v_mov_b32_e32 v4, 0
	s_and_saveexec_b64 s[14:15], s[12:13]
.LBB47_349:
	v_mov_b32_e32 v4, v2
.LBB47_350:
	s_or_b64 exec, exec, s[14:15]
.LBB47_351:
	s_or_b64 exec, exec, s[10:11]
	s_mov_b64 s[10:11], 0
	global_store_byte v[0:1], v4, off
.LBB47_352:
	s_and_b64 vcc, exec, s[10:11]
	s_cbranch_vccz .LBB47_362
; %bb.353:
	v_cndmask_b32_e64 v2, 0, 1.0, s[8:9]
	s_mov_b32 s10, 0x43f00000
	v_cmp_gt_u32_e32 vcc, s10, v2
                                        ; implicit-def: $vgpr3
	s_and_saveexec_b64 s[10:11], vcc
	s_xor_b64 s[10:11], exec, s[10:11]
	s_cbranch_execz .LBB47_359
; %bb.354:
	s_mov_b32 s12, 0x3c7fffff
	v_cmp_lt_u32_e32 vcc, s12, v2
                                        ; implicit-def: $vgpr3
	s_and_saveexec_b64 s[12:13], vcc
	s_xor_b64 s[12:13], exec, s[12:13]
; %bb.355:
	v_bfe_u32 v3, v2, 20, 1
	s_mov_b32 s14, 0x407ffff
	v_add3_u32 v2, v2, v3, s14
	v_lshrrev_b32_e32 v3, 20, v2
	v_and_b32_e32 v2, 0xff00000, v2
	s_mov_b32 s14, 0x7f00000
	v_mov_b32_e32 v4, 0x7e
	v_cmp_ne_u32_e32 vcc, s14, v2
	v_cndmask_b32_e32 v3, v4, v3, vcc
                                        ; implicit-def: $vgpr2
; %bb.356:
	s_andn2_saveexec_b64 s[12:13], s[12:13]
; %bb.357:
	v_add_f32_e32 v3, 0x46800000, v2
; %bb.358:
	s_or_b64 exec, exec, s[12:13]
                                        ; implicit-def: $vgpr2
.LBB47_359:
	s_andn2_saveexec_b64 s[10:11], s[10:11]
; %bb.360:
	s_mov_b32 s12, 0x7f800000
	v_mov_b32_e32 v3, 0x7e
	v_mov_b32_e32 v4, 0x7f
	v_cmp_lt_u32_e32 vcc, s12, v2
	v_cndmask_b32_e32 v3, v3, v4, vcc
; %bb.361:
	s_or_b64 exec, exec, s[10:11]
	global_store_byte v[0:1], v3, off
.LBB47_362:
	s_mov_b64 s[10:11], 0
.LBB47_363:
	s_andn2_b64 vcc, exec, s[10:11]
	s_cbranch_vccnz .LBB47_373
; %bb.364:
	v_cndmask_b32_e64 v2, 0, 1.0, s[8:9]
	s_mov_b32 s10, 0x47800000
	v_cmp_gt_u32_e32 vcc, s10, v2
                                        ; implicit-def: $vgpr3
	s_and_saveexec_b64 s[10:11], vcc
	s_xor_b64 s[10:11], exec, s[10:11]
	s_cbranch_execz .LBB47_370
; %bb.365:
	s_mov_b32 s12, 0x387fffff
	v_cmp_lt_u32_e32 vcc, s12, v2
                                        ; implicit-def: $vgpr3
	s_and_saveexec_b64 s[12:13], vcc
	s_xor_b64 s[12:13], exec, s[12:13]
; %bb.366:
	v_bfe_u32 v3, v2, 21, 1
	s_mov_b32 s14, 0x80fffff
	v_add3_u32 v2, v2, v3, s14
	v_lshrrev_b32_e32 v3, 21, v2
                                        ; implicit-def: $vgpr2
; %bb.367:
	s_andn2_saveexec_b64 s[12:13], s[12:13]
; %bb.368:
	v_add_f32_e32 v3, 0x43000000, v2
; %bb.369:
	s_or_b64 exec, exec, s[12:13]
                                        ; implicit-def: $vgpr2
.LBB47_370:
	s_andn2_saveexec_b64 s[10:11], s[10:11]
; %bb.371:
	s_mov_b32 s12, 0x7f800000
	v_mov_b32_e32 v3, 0x7c
	v_mov_b32_e32 v4, 0x7f
	v_cmp_lt_u32_e32 vcc, s12, v2
	v_cndmask_b32_e32 v3, v3, v4, vcc
; %bb.372:
	s_or_b64 exec, exec, s[10:11]
	global_store_byte v[0:1], v3, off
.LBB47_373:
	s_mov_b64 s[12:13], 0
	s_mov_b64 s[10:11], -1
.LBB47_374:
	s_andn2_b64 vcc, exec, s[12:13]
	s_cbranch_vccnz .LBB47_382
; %bb.375:
	s_cmp_gt_i32 s17, 14
	s_mov_b64 s[12:13], -1
	s_cbranch_scc0 .LBB47_379
; %bb.376:
	s_cmp_eq_u32 s17, 15
	s_mov_b64 s[0:1], -1
	s_cbranch_scc0 .LBB47_378
; %bb.377:
	v_cndmask_b32_e64 v2, 0, 1.0, s[8:9]
	v_bfe_u32 v3, v2, 16, 1
	s_movk_i32 s0, 0x7fff
	v_add3_u32 v2, v2, v3, s0
	global_store_short_d16_hi v[0:1], v2, off
	s_mov_b64 s[10:11], -1
	s_mov_b64 s[0:1], 0
.LBB47_378:
	s_mov_b64 s[12:13], 0
.LBB47_379:
	s_and_b64 vcc, exec, s[12:13]
	s_cbranch_vccz .LBB47_382
; %bb.380:
	s_cmp_eq_u32 s17, 11
	s_mov_b64 s[0:1], -1
	s_cbranch_scc0 .LBB47_382
; %bb.381:
	v_cndmask_b32_e64 v2, 0, 1, s[8:9]
	s_mov_b64 s[10:11], -1
	s_mov_b64 s[0:1], 0
	global_store_byte v[0:1], v2, off
.LBB47_382:
	s_mov_b64 s[12:13], 0
.LBB47_383:
	s_and_b64 vcc, exec, s[12:13]
	s_cbranch_vccz .LBB47_422
; %bb.384:
	s_and_b32 s12, 0xffff, s16
	s_cmp_lt_i32 s12, 5
	s_mov_b64 s[10:11], -1
	s_cbranch_scc1 .LBB47_405
; %bb.385:
	s_cmp_lt_i32 s12, 8
	s_cbranch_scc1 .LBB47_395
; %bb.386:
	s_cmp_lt_i32 s12, 9
	s_cbranch_scc1 .LBB47_392
; %bb.387:
	s_cmp_gt_i32 s12, 9
	s_cbranch_scc0 .LBB47_389
; %bb.388:
	v_cndmask_b32_e64 v2, 0, 1, s[8:9]
	v_cvt_f64_u32_e32 v[2:3], v2
	v_mov_b32_e32 v4, 0
	v_mov_b32_e32 v5, v4
	s_mov_b64 s[10:11], 0
	global_store_dwordx4 v[0:1], v[2:5], off
.LBB47_389:
	s_andn2_b64 vcc, exec, s[10:11]
	s_cbranch_vccnz .LBB47_391
; %bb.390:
	v_cndmask_b32_e64 v2, 0, 1.0, s[8:9]
	v_mov_b32_e32 v3, 0
	global_store_dwordx2 v[0:1], v[2:3], off
.LBB47_391:
	s_mov_b64 s[10:11], 0
.LBB47_392:
	s_andn2_b64 vcc, exec, s[10:11]
	s_cbranch_vccnz .LBB47_394
; %bb.393:
	v_cndmask_b32_e64 v2, 0, 1.0, s[8:9]
	v_cvt_f16_f32_e32 v2, v2
	global_store_dword v[0:1], v2, off
.LBB47_394:
	s_mov_b64 s[10:11], 0
.LBB47_395:
	s_andn2_b64 vcc, exec, s[10:11]
	s_cbranch_vccnz .LBB47_404
; %bb.396:
	s_cmp_lt_i32 s12, 6
	s_mov_b64 s[10:11], -1
	s_cbranch_scc1 .LBB47_402
; %bb.397:
	s_cmp_gt_i32 s12, 6
	s_cbranch_scc0 .LBB47_399
; %bb.398:
	v_cndmask_b32_e64 v2, 0, 1, s[8:9]
	v_cvt_f64_u32_e32 v[2:3], v2
	s_mov_b64 s[10:11], 0
	global_store_dwordx2 v[0:1], v[2:3], off
.LBB47_399:
	s_andn2_b64 vcc, exec, s[10:11]
	s_cbranch_vccnz .LBB47_401
; %bb.400:
	v_cndmask_b32_e64 v2, 0, 1.0, s[8:9]
	global_store_dword v[0:1], v2, off
.LBB47_401:
	s_mov_b64 s[10:11], 0
.LBB47_402:
	s_andn2_b64 vcc, exec, s[10:11]
	s_cbranch_vccnz .LBB47_404
; %bb.403:
	v_cndmask_b32_e64 v2, 0, 1.0, s[8:9]
	v_cvt_f16_f32_e32 v2, v2
	global_store_short v[0:1], v2, off
.LBB47_404:
	s_mov_b64 s[10:11], 0
.LBB47_405:
	s_andn2_b64 vcc, exec, s[10:11]
	s_cbranch_vccnz .LBB47_421
; %bb.406:
	s_cmp_lt_i32 s12, 2
	s_mov_b64 s[10:11], -1
	s_cbranch_scc1 .LBB47_416
; %bb.407:
	s_cmp_lt_i32 s12, 3
	s_cbranch_scc1 .LBB47_413
; %bb.408:
	s_cmp_gt_i32 s12, 3
	s_cbranch_scc0 .LBB47_410
; %bb.409:
	s_mov_b32 s10, 0
	v_cndmask_b32_e64 v2, 0, 1, s[8:9]
	v_mov_b32_e32 v3, s10
	s_mov_b64 s[10:11], 0
	global_store_dwordx2 v[0:1], v[2:3], off
.LBB47_410:
	s_andn2_b64 vcc, exec, s[10:11]
	s_cbranch_vccnz .LBB47_412
; %bb.411:
	v_cndmask_b32_e64 v2, 0, 1, s[8:9]
	global_store_dword v[0:1], v2, off
.LBB47_412:
	s_mov_b64 s[10:11], 0
.LBB47_413:
	s_andn2_b64 vcc, exec, s[10:11]
	s_cbranch_vccnz .LBB47_415
; %bb.414:
	v_cndmask_b32_e64 v2, 0, 1, s[8:9]
	global_store_short v[0:1], v2, off
.LBB47_415:
	s_mov_b64 s[10:11], 0
.LBB47_416:
	s_andn2_b64 vcc, exec, s[10:11]
	s_cbranch_vccnz .LBB47_421
; %bb.417:
	s_mov_b64 s[10:11], -1
	s_cmp_gt_i32 s12, 0
	v_cndmask_b32_e64 v2, 0, 1, s[8:9]
	s_cbranch_scc0 .LBB47_419
; %bb.418:
	s_mov_b64 s[10:11], 0
	global_store_byte v[0:1], v2, off
.LBB47_419:
	s_andn2_b64 vcc, exec, s[10:11]
	s_cbranch_vccnz .LBB47_421
; %bb.420:
	global_store_byte v[0:1], v2, off
.LBB47_421:
	s_mov_b64 s[10:11], -1
.LBB47_422:
	s_andn2_b64 vcc, exec, s[10:11]
	s_cbranch_vccnz .LBB47_424
; %bb.423:
	v_add_u32_e32 v8, 0x80, v8
	s_mov_b64 s[8:9], -1
	s_branch .LBB47_533
.LBB47_424:
	s_mov_b64 s[8:9], 0
	s_branch .LBB47_532
.LBB47_425:
	s_mov_b64 s[2:3], -1
                                        ; implicit-def: $vgpr3
.LBB47_426:
	s_mov_b64 s[8:9], 0
.LBB47_427:
	s_and_b64 vcc, exec, s[8:9]
	s_cbranch_vccz .LBB47_431
; %bb.428:
	s_cmp_eq_u32 s10, 29
	s_cbranch_scc0 .LBB47_430
; %bb.429:
	global_load_dword v3, v[1:2], off
	s_mov_b64 s[0:1], -1
	s_mov_b64 s[2:3], 0
	s_branch .LBB47_431
.LBB47_430:
	s_mov_b64 s[2:3], -1
                                        ; implicit-def: $vgpr3
.LBB47_431:
	s_mov_b64 s[8:9], 0
.LBB47_432:
	s_and_b64 vcc, exec, s[8:9]
	s_cbranch_vccz .LBB47_448
; %bb.433:
	s_cmp_lt_i32 s10, 27
	s_cbranch_scc1 .LBB47_436
; %bb.434:
	s_cmp_gt_i32 s10, 27
	s_cbranch_scc0 .LBB47_437
; %bb.435:
	global_load_dword v3, v[1:2], off
	s_mov_b64 s[0:1], 0
	s_branch .LBB47_438
.LBB47_436:
	s_mov_b64 s[0:1], -1
                                        ; implicit-def: $vgpr3
	s_branch .LBB47_441
.LBB47_437:
	s_mov_b64 s[0:1], -1
                                        ; implicit-def: $vgpr3
.LBB47_438:
	s_andn2_b64 vcc, exec, s[0:1]
	s_cbranch_vccnz .LBB47_440
; %bb.439:
	global_load_ushort v3, v[1:2], off
.LBB47_440:
	s_mov_b64 s[0:1], 0
.LBB47_441:
	s_andn2_b64 vcc, exec, s[0:1]
	s_cbranch_vccnz .LBB47_447
; %bb.442:
	global_load_ubyte v4, v[1:2], off
	s_movk_i32 s0, 0x7f
	s_mov_b64 s[8:9], 0
	s_waitcnt vmcnt(0)
	v_cmp_lt_i16_e32 vcc, s0, v4
	s_and_saveexec_b64 s[0:1], vcc
	s_xor_b64 s[0:1], exec, s[0:1]
	s_cbranch_execz .LBB47_459
; %bb.443:
	s_movk_i32 s8, 0x80
	v_cmp_ne_u16_e32 vcc, s8, v4
	s_and_b64 s[8:9], vcc, exec
	s_andn2_saveexec_b64 s[0:1], s[0:1]
	s_cbranch_execnz .LBB47_460
.LBB47_444:
	s_or_b64 exec, exec, s[0:1]
	v_mov_b32_e32 v3, 0
	s_and_saveexec_b64 s[0:1], s[8:9]
	s_cbranch_execz .LBB47_446
.LBB47_445:
	v_lshlrev_b32_e32 v3, 24, v4
	v_and_b32_e32 v4, 0xffff, v4
	v_and_b32_e32 v5, 7, v4
	v_ffbh_u32_e32 v7, v5
	v_min_u32_e32 v7, 32, v7
	v_subrev_u32_e32 v9, 28, v7
	v_bfe_u32 v6, v4, 3, 4
	v_lshlrev_b32_e32 v4, v9, v4
	v_sub_u32_e32 v7, 29, v7
	v_and_b32_e32 v4, 7, v4
	v_cmp_eq_u32_e32 vcc, 0, v6
	v_cndmask_b32_e32 v6, v6, v7, vcc
	v_cndmask_b32_e32 v4, v5, v4, vcc
	v_mov_b32_e32 v5, 0x3b800000
	v_lshlrev_b32_e32 v4, 20, v4
	v_and_b32_e32 v3, 0x80000000, v3
	v_lshl_add_u32 v5, v6, 23, v5
	v_or3_b32 v3, v3, v5, v4
	v_cvt_i32_f32_e32 v3, v3
.LBB47_446:
	s_or_b64 exec, exec, s[0:1]
.LBB47_447:
	s_mov_b64 s[0:1], -1
.LBB47_448:
	s_mov_b64 s[8:9], 0
.LBB47_449:
	s_and_b64 vcc, exec, s[8:9]
	s_cbranch_vccz .LBB47_482
; %bb.450:
	s_cmp_gt_i32 s10, 22
	s_cbranch_scc0 .LBB47_458
; %bb.451:
	s_cmp_lt_i32 s10, 24
	s_cbranch_scc1 .LBB47_461
; %bb.452:
	s_cmp_gt_i32 s10, 24
	s_cbranch_scc0 .LBB47_462
; %bb.453:
	global_load_ubyte v4, v[1:2], off
	s_movk_i32 s0, 0x7f
	s_mov_b64 s[8:9], 0
	s_waitcnt vmcnt(0)
	v_cmp_lt_i16_e32 vcc, s0, v4
	s_and_saveexec_b64 s[0:1], vcc
	s_xor_b64 s[0:1], exec, s[0:1]
	s_cbranch_execz .LBB47_474
; %bb.454:
	s_movk_i32 s8, 0x80
	v_cmp_ne_u16_e32 vcc, s8, v4
	s_and_b64 s[8:9], vcc, exec
	s_andn2_saveexec_b64 s[0:1], s[0:1]
	s_cbranch_execnz .LBB47_475
.LBB47_455:
	s_or_b64 exec, exec, s[0:1]
	v_mov_b32_e32 v3, 0
	s_and_saveexec_b64 s[0:1], s[8:9]
	s_cbranch_execz .LBB47_457
.LBB47_456:
	v_lshlrev_b32_e32 v3, 24, v4
	v_and_b32_e32 v4, 0xffff, v4
	v_and_b32_e32 v5, 3, v4
	v_ffbh_u32_e32 v7, v5
	v_min_u32_e32 v7, 32, v7
	v_subrev_u32_e32 v9, 29, v7
	v_bfe_u32 v6, v4, 2, 5
	v_lshlrev_b32_e32 v4, v9, v4
	v_sub_u32_e32 v7, 30, v7
	v_and_b32_e32 v4, 3, v4
	v_cmp_eq_u32_e32 vcc, 0, v6
	v_cndmask_b32_e32 v6, v6, v7, vcc
	v_cndmask_b32_e32 v4, v5, v4, vcc
	v_mov_b32_e32 v5, 0x37800000
	v_lshlrev_b32_e32 v4, 21, v4
	v_and_b32_e32 v3, 0x80000000, v3
	v_lshl_add_u32 v5, v6, 23, v5
	v_or3_b32 v3, v3, v5, v4
	v_cvt_i32_f32_e32 v3, v3
.LBB47_457:
	s_or_b64 exec, exec, s[0:1]
	s_mov_b64 s[0:1], 0
	s_branch .LBB47_463
.LBB47_458:
	s_mov_b64 s[8:9], -1
                                        ; implicit-def: $vgpr3
	s_branch .LBB47_469
.LBB47_459:
	s_andn2_saveexec_b64 s[0:1], s[0:1]
	s_cbranch_execz .LBB47_444
.LBB47_460:
	v_cmp_ne_u16_e32 vcc, 0, v4
	s_andn2_b64 s[8:9], s[8:9], exec
	s_and_b64 s[12:13], vcc, exec
	s_or_b64 s[8:9], s[8:9], s[12:13]
	s_or_b64 exec, exec, s[0:1]
	v_mov_b32_e32 v3, 0
	s_and_saveexec_b64 s[0:1], s[8:9]
	s_cbranch_execnz .LBB47_445
	s_branch .LBB47_446
.LBB47_461:
	s_mov_b64 s[0:1], -1
                                        ; implicit-def: $vgpr3
	s_branch .LBB47_466
.LBB47_462:
	s_mov_b64 s[0:1], -1
                                        ; implicit-def: $vgpr3
.LBB47_463:
	s_and_b64 vcc, exec, s[0:1]
	s_cbranch_vccz .LBB47_465
; %bb.464:
	global_load_ubyte v3, v[1:2], off
	s_mov_b32 s0, 0x7f800000
	s_waitcnt vmcnt(0)
	v_lshlrev_b32_e32 v3, 24, v3
	v_and_b32_e32 v4, 0x7f000000, v3
	v_ffbh_u32_e32 v5, v4
	v_min_u32_e32 v5, 32, v5
	v_sub_u32_e64 v5, v5, 4 clamp
	v_lshlrev_b32_e32 v7, v5, v4
	v_lshlrev_b32_e32 v5, 23, v5
	v_lshrrev_b32_e32 v7, 4, v7
	v_add_u32_e32 v6, 0x1000000, v4
	v_sub_u32_e32 v5, v7, v5
	v_ashrrev_i32_e32 v6, 8, v6
	v_add_u32_e32 v5, 0x3c000000, v5
	v_and_or_b32 v5, v6, s0, v5
	v_cmp_ne_u32_e32 vcc, 0, v4
	v_cndmask_b32_e32 v4, 0, v5, vcc
	s_brev_b32 s0, 1
	v_and_or_b32 v3, v3, s0, v4
	v_cvt_i32_f32_e32 v3, v3
.LBB47_465:
	s_mov_b64 s[0:1], 0
.LBB47_466:
	s_andn2_b64 vcc, exec, s[0:1]
	s_cbranch_vccnz .LBB47_468
; %bb.467:
	global_load_ubyte v3, v[1:2], off
	s_movk_i32 s0, 0x7f00
	s_brev_b32 s1, 16
	s_waitcnt vmcnt(0)
	v_lshlrev_b16_e32 v4, 8, v3
	v_lshlrev_b32_e32 v3, 25, v3
	v_lshrrev_b32_e32 v5, 4, v3
	v_and_or_b32 v6, v4, s0, 0.5
	v_or_b32_e32 v5, 0x70000000, v5
	v_add_f32_e32 v6, -0.5, v6
	v_mul_f32_e32 v5, 0x7800000, v5
	v_cmp_gt_u32_e32 vcc, s1, v3
	v_bfe_i32 v4, v4, 0, 16
	v_cndmask_b32_e32 v3, v5, v6, vcc
	s_brev_b32 s0, 1
	v_and_or_b32 v3, v4, s0, v3
	v_cvt_i32_f32_e32 v3, v3
.LBB47_468:
	s_mov_b64 s[8:9], 0
	s_mov_b64 s[0:1], -1
.LBB47_469:
	s_andn2_b64 vcc, exec, s[8:9]
	s_cbranch_vccnz .LBB47_482
; %bb.470:
	s_cmp_gt_i32 s10, 14
	s_cbranch_scc0 .LBB47_473
; %bb.471:
	s_cmp_eq_u32 s10, 15
	s_cbranch_scc0 .LBB47_476
; %bb.472:
	global_load_ushort v3, v[1:2], off
	s_mov_b64 s[0:1], -1
	s_mov_b64 s[2:3], 0
	s_waitcnt vmcnt(0)
	v_lshlrev_b32_e32 v3, 16, v3
	v_cvt_i32_f32_e32 v3, v3
	s_branch .LBB47_477
.LBB47_473:
	s_mov_b64 s[8:9], -1
                                        ; implicit-def: $vgpr3
	s_branch .LBB47_478
.LBB47_474:
	s_andn2_saveexec_b64 s[0:1], s[0:1]
	s_cbranch_execz .LBB47_455
.LBB47_475:
	v_cmp_ne_u16_e32 vcc, 0, v4
	s_andn2_b64 s[8:9], s[8:9], exec
	s_and_b64 s[12:13], vcc, exec
	s_or_b64 s[8:9], s[8:9], s[12:13]
	s_or_b64 exec, exec, s[0:1]
	v_mov_b32_e32 v3, 0
	s_and_saveexec_b64 s[0:1], s[8:9]
	s_cbranch_execnz .LBB47_456
	s_branch .LBB47_457
.LBB47_476:
	s_mov_b64 s[2:3], -1
                                        ; implicit-def: $vgpr3
.LBB47_477:
	s_mov_b64 s[8:9], 0
.LBB47_478:
	s_and_b64 vcc, exec, s[8:9]
	s_cbranch_vccz .LBB47_482
; %bb.479:
	s_cmp_eq_u32 s10, 11
	s_cbranch_scc0 .LBB47_481
; %bb.480:
	global_load_ubyte v3, v[1:2], off
	s_mov_b64 s[0:1], -1
	s_mov_b64 s[2:3], 0
	s_waitcnt vmcnt(0)
	v_cmp_ne_u16_e32 vcc, 0, v3
	v_cndmask_b32_e64 v3, 0, 1, vcc
	s_branch .LBB47_482
.LBB47_481:
	s_mov_b64 s[2:3], -1
                                        ; implicit-def: $vgpr3
.LBB47_482:
	s_branch .LBB47_289
.LBB47_483:
	s_cmp_lt_i32 s10, 5
	s_cbranch_scc1 .LBB47_488
; %bb.484:
	s_cmp_lt_i32 s10, 8
	s_cbranch_scc1 .LBB47_489
; %bb.485:
	;; [unrolled: 3-line block ×3, first 2 shown]
	s_cmp_gt_i32 s10, 9
	s_cbranch_scc0 .LBB47_491
; %bb.487:
	global_load_dwordx2 v[3:4], v[1:2], off
	s_mov_b64 s[0:1], 0
	s_waitcnt vmcnt(0)
	v_cvt_i32_f64_e32 v3, v[3:4]
	s_branch .LBB47_492
.LBB47_488:
	s_mov_b64 s[0:1], -1
                                        ; implicit-def: $vgpr3
	s_branch .LBB47_510
.LBB47_489:
	s_mov_b64 s[0:1], -1
                                        ; implicit-def: $vgpr3
	s_branch .LBB47_498
.LBB47_490:
	s_mov_b64 s[0:1], -1
                                        ; implicit-def: $vgpr3
	s_branch .LBB47_495
.LBB47_491:
	s_mov_b64 s[0:1], -1
                                        ; implicit-def: $vgpr3
.LBB47_492:
	s_andn2_b64 vcc, exec, s[0:1]
	s_cbranch_vccnz .LBB47_494
; %bb.493:
	global_load_dword v3, v[1:2], off
	s_waitcnt vmcnt(0)
	v_cvt_i32_f32_e32 v3, v3
.LBB47_494:
	s_mov_b64 s[0:1], 0
.LBB47_495:
	s_andn2_b64 vcc, exec, s[0:1]
	s_cbranch_vccnz .LBB47_497
; %bb.496:
	global_load_dword v3, v[1:2], off
	s_waitcnt vmcnt(0)
	v_cvt_f32_f16_e32 v3, v3
	v_cvt_i32_f32_e32 v3, v3
.LBB47_497:
	s_mov_b64 s[0:1], 0
.LBB47_498:
	s_andn2_b64 vcc, exec, s[0:1]
	s_cbranch_vccnz .LBB47_509
; %bb.499:
	s_cmp_lt_i32 s10, 6
	s_cbranch_scc1 .LBB47_502
; %bb.500:
	s_cmp_gt_i32 s10, 6
	s_cbranch_scc0 .LBB47_503
; %bb.501:
	global_load_dwordx2 v[3:4], v[1:2], off
	s_mov_b64 s[0:1], 0
	s_waitcnt vmcnt(0)
	v_cvt_i32_f64_e32 v3, v[3:4]
	s_branch .LBB47_504
.LBB47_502:
	s_mov_b64 s[0:1], -1
                                        ; implicit-def: $vgpr3
	s_branch .LBB47_507
.LBB47_503:
	s_mov_b64 s[0:1], -1
                                        ; implicit-def: $vgpr3
.LBB47_504:
	s_andn2_b64 vcc, exec, s[0:1]
	s_cbranch_vccnz .LBB47_506
; %bb.505:
	global_load_dword v3, v[1:2], off
	s_waitcnt vmcnt(0)
	v_cvt_i32_f32_e32 v3, v3
.LBB47_506:
	s_mov_b64 s[0:1], 0
.LBB47_507:
	s_andn2_b64 vcc, exec, s[0:1]
	s_cbranch_vccnz .LBB47_509
; %bb.508:
	global_load_ushort v3, v[1:2], off
	s_waitcnt vmcnt(0)
	v_cvt_f32_f16_e32 v3, v3
	v_cvt_i32_f32_e32 v3, v3
.LBB47_509:
	s_mov_b64 s[0:1], 0
.LBB47_510:
	s_andn2_b64 vcc, exec, s[0:1]
	s_cbranch_vccnz .LBB47_530
; %bb.511:
	s_cmp_lt_i32 s10, 2
	s_cbranch_scc1 .LBB47_515
; %bb.512:
	s_cmp_lt_i32 s10, 3
	s_cbranch_scc1 .LBB47_516
; %bb.513:
	s_cmp_gt_i32 s10, 3
	s_cbranch_scc0 .LBB47_517
; %bb.514:
	global_load_dword v3, v[1:2], off
	s_mov_b64 s[0:1], 0
	s_branch .LBB47_518
.LBB47_515:
	s_mov_b64 s[0:1], -1
                                        ; implicit-def: $vgpr3
	s_branch .LBB47_524
.LBB47_516:
	s_mov_b64 s[0:1], -1
                                        ; implicit-def: $vgpr3
	s_branch .LBB47_521
.LBB47_517:
	s_mov_b64 s[0:1], -1
                                        ; implicit-def: $vgpr3
.LBB47_518:
	s_andn2_b64 vcc, exec, s[0:1]
	s_cbranch_vccnz .LBB47_520
; %bb.519:
	global_load_dword v3, v[1:2], off
.LBB47_520:
	s_mov_b64 s[0:1], 0
.LBB47_521:
	s_andn2_b64 vcc, exec, s[0:1]
	s_cbranch_vccnz .LBB47_523
; %bb.522:
	global_load_sshort v3, v[1:2], off
.LBB47_523:
	s_mov_b64 s[0:1], 0
.LBB47_524:
	s_andn2_b64 vcc, exec, s[0:1]
	s_cbranch_vccnz .LBB47_530
; %bb.525:
	s_cmp_gt_i32 s10, 0
	s_cbranch_scc0 .LBB47_527
; %bb.526:
	global_load_sbyte v3, v[1:2], off
	s_mov_b64 s[0:1], 0
	s_branch .LBB47_528
.LBB47_527:
	s_mov_b64 s[0:1], -1
                                        ; implicit-def: $vgpr3
.LBB47_528:
	s_andn2_b64 vcc, exec, s[0:1]
	s_cbranch_vccnz .LBB47_530
; %bb.529:
	global_load_ubyte v3, v[1:2], off
.LBB47_530:
	s_branch .LBB47_290
.LBB47_531:
	s_mov_b64 s[8:9], 0
	s_mov_b64 s[0:1], s[56:57]
.LBB47_532:
                                        ; implicit-def: $vgpr8
.LBB47_533:
	s_andn2_b64 s[10:11], s[56:57], exec
	s_and_b64 s[0:1], s[0:1], exec
	s_or_b64 s[64:65], s[10:11], s[0:1]
	s_andn2_b64 s[0:1], s[58:59], exec
	s_and_b64 s[2:3], s[2:3], exec
	s_or_b64 s[62:63], s[0:1], s[2:3]
	s_orn2_b64 s[0:1], s[8:9], exec
.LBB47_534:
	s_or_b64 exec, exec, s[66:67]
	s_mov_b64 s[2:3], 0
	s_mov_b64 s[8:9], 0
	;; [unrolled: 1-line block ×3, first 2 shown]
                                        ; implicit-def: $vgpr1_vgpr2
                                        ; implicit-def: $vgpr0
                                        ; implicit-def: $vgpr3
	s_and_saveexec_b64 s[66:67], s[0:1]
	s_cbranch_execz .LBB47_901
; %bb.535:
	v_cmp_gt_i32_e32 vcc, s74, v8
	s_mov_b64 s[2:3], -1
	s_mov_b64 s[70:71], s[62:63]
	s_mov_b64 s[72:73], s[64:65]
	s_and_saveexec_b64 s[68:69], vcc
	s_cbranch_execz .LBB47_805
; %bb.536:
	s_andn2_b64 vcc, exec, s[40:41]
	s_cbranch_vccnz .LBB47_541
; %bb.537:
	s_andn2_b64 vcc, exec, s[54:55]
	s_cbranch_vccnz .LBB47_542
; %bb.538:
	s_add_i32 s75, s79, 1
	s_cmp_eq_u32 s76, 2
	s_cbranch_scc1 .LBB47_543
; %bb.539:
	s_and_b32 s44, s75, 28
	v_mov_b32_e32 v2, 0
	s_mov_b32 s80, 0
	s_mov_b64 s[70:71], s[34:35]
	s_mov_b64 s[72:73], s[52:53]
	v_mov_b32_e32 v0, 0
	v_mov_b32_e32 v1, v8
.LBB47_540:                             ; =>This Inner Loop Header: Depth=1
	s_load_dwordx8 s[16:23], s[70:71], 0x4
	s_load_dwordx4 s[0:3], s[70:71], 0x24
	s_load_dwordx8 s[8:15], s[72:73], 0x0
	s_add_u32 s70, s70, 48
	s_addc_u32 s71, s71, 0
	s_waitcnt vmcnt(0) lgkmcnt(0)
	v_mul_hi_u32 v3, s17, v1
	s_add_i32 s80, s80, 4
	s_add_u32 s72, s72, 32
	s_addc_u32 s73, s73, 0
	v_add_u32_e32 v3, v1, v3
	v_lshrrev_b32_e32 v3, s18, v3
	v_mul_lo_u32 v4, v3, s16
	v_mul_hi_u32 v5, s20, v3
	s_cmp_eq_u32 s44, s80
	v_sub_u32_e32 v1, v1, v4
	v_add_u32_e32 v4, v3, v5
	v_mul_lo_u32 v5, v1, s8
	v_mul_lo_u32 v6, v1, s9
	v_lshrrev_b32_e32 v1, s21, v4
	v_mul_lo_u32 v4, v1, s19
	v_mul_hi_u32 v7, s23, v1
	v_sub_u32_e32 v3, v3, v4
	v_add_u32_e32 v4, v1, v7
	v_lshrrev_b32_e32 v4, s0, v4
	v_mul_hi_u32 v9, s2, v4
	v_mul_lo_u32 v10, v4, s22
	v_mul_lo_u32 v7, v3, s10
	;; [unrolled: 1-line block ×3, first 2 shown]
	v_sub_u32_e32 v10, v1, v10
	v_add_u32_e32 v1, v4, v9
	v_lshrrev_b32_e32 v1, s3, v1
	v_mul_lo_u32 v9, v1, s1
	v_mul_lo_u32 v11, v10, s12
	;; [unrolled: 1-line block ×3, first 2 shown]
	v_add3_u32 v0, v5, v0, v7
	v_sub_u32_e32 v4, v4, v9
	v_mul_lo_u32 v9, v4, s14
	v_mul_lo_u32 v4, v4, s15
	v_add3_u32 v2, v6, v2, v3
	v_add3_u32 v0, v11, v0, v9
	;; [unrolled: 1-line block ×3, first 2 shown]
	s_cbranch_scc0 .LBB47_540
	s_branch .LBB47_544
.LBB47_541:
	s_mov_b64 s[0:1], -1
                                        ; implicit-def: $vgpr0
                                        ; implicit-def: $vgpr2
	s_branch .LBB47_548
.LBB47_542:
	v_mov_b32_e32 v0, 0
	v_mov_b32_e32 v2, 0
	s_branch .LBB47_547
.LBB47_543:
	s_mov_b32 s44, 0
	v_mov_b32_e32 v0, 0
	v_mov_b32_e32 v2, 0
	v_mov_b32_e32 v1, v8
.LBB47_544:
	s_and_b32 s8, s75, 3
	s_cmp_eq_u32 s8, 0
	s_cbranch_scc1 .LBB47_547
; %bb.545:
	s_lshl_b32 s0, s44, 3
	s_add_u32 s0, s34, s0
	s_addc_u32 s1, s35, 0
	s_add_u32 s0, s0, 0xc4
	s_addc_u32 s1, s1, 0
	s_mul_i32 s2, s44, 12
	s_add_u32 s2, s34, s2
	s_addc_u32 s3, s35, 0
.LBB47_546:                             ; =>This Inner Loop Header: Depth=1
	s_load_dwordx2 s[10:11], s[2:3], 0x4
	s_load_dword s9, s[2:3], 0xc
	s_load_dwordx2 s[12:13], s[0:1], 0x0
	s_add_u32 s2, s2, 12
	s_addc_u32 s3, s3, 0
	s_waitcnt vmcnt(0) lgkmcnt(0)
	v_mul_hi_u32 v3, s11, v1
	s_add_u32 s0, s0, 8
	s_addc_u32 s1, s1, 0
	s_add_i32 s8, s8, -1
	v_add_u32_e32 v3, v1, v3
	v_lshrrev_b32_e32 v4, s9, v3
	v_mul_lo_u32 v3, v4, s10
	s_cmp_lg_u32 s8, 0
	v_sub_u32_e32 v3, v1, v3
	v_mad_u64_u32 v[0:1], s[10:11], v3, s12, v[0:1]
	v_mad_u64_u32 v[2:3], s[10:11], v3, s13, v[2:3]
	v_mov_b32_e32 v1, v4
	s_cbranch_scc1 .LBB47_546
.LBB47_547:
	s_mov_b64 s[0:1], 0
.LBB47_548:
	s_andn2_b64 vcc, exec, s[0:1]
	s_cbranch_vccnz .LBB47_551
; %bb.549:
	v_mul_hi_u32 v0, s29, v8
	s_andn2_b64 vcc, exec, s[50:51]
	v_add_u32_e32 v0, v8, v0
	v_lshrrev_b32_e32 v1, s30, v0
	v_mul_lo_u32 v0, v1, s28
	v_sub_u32_e32 v2, v8, v0
	v_mul_lo_u32 v0, v2, s36
	v_mul_lo_u32 v2, v2, s37
	s_cbranch_vccnz .LBB47_551
; %bb.550:
	s_waitcnt vmcnt(0)
	v_mul_hi_u32 v3, s48, v1
	v_add_u32_e32 v3, v1, v3
	v_lshrrev_b32_e32 v3, s49, v3
	v_mul_lo_u32 v3, v3, s31
	v_sub_u32_e32 v3, v1, v3
	v_mad_u64_u32 v[0:1], s[0:1], v3, s38, v[0:1]
	v_mad_u64_u32 v[2:3], s[0:1], v3, s39, v[2:3]
.LBB47_551:
	s_waitcnt vmcnt(0)
	v_mov_b32_e32 v3, s27
	s_and_b32 s10, 0xffff, s78
	v_add_co_u32_e32 v1, vcc, s26, v2
	s_cmp_lt_i32 s10, 11
	v_addc_co_u32_e32 v2, vcc, 0, v3, vcc
	s_cbranch_scc1 .LBB47_558
; %bb.552:
	s_cmp_gt_i32 s10, 25
	s_cbranch_scc0 .LBB47_559
; %bb.553:
	s_cmp_gt_i32 s10, 28
	s_cbranch_scc0 .LBB47_560
	;; [unrolled: 3-line block ×4, first 2 shown]
; %bb.556:
	s_cmp_eq_u32 s10, 46
	s_mov_b64 s[8:9], 0
	s_cbranch_scc0 .LBB47_567
; %bb.557:
	global_load_dword v3, v[1:2], off
	s_mov_b64 s[0:1], -1
	s_mov_b64 s[2:3], 0
	s_waitcnt vmcnt(0)
	v_lshlrev_b32_e32 v3, 16, v3
	v_cvt_i32_f32_e32 v3, v3
	s_branch .LBB47_568
.LBB47_558:
	s_mov_b64 s[8:9], -1
	s_mov_b64 s[0:1], 0
                                        ; implicit-def: $vgpr3
	s_mov_b64 s[2:3], s[62:63]
	s_branch .LBB47_629
.LBB47_559:
	s_mov_b64 s[8:9], -1
	s_mov_b64 s[0:1], 0
	s_mov_b64 s[2:3], s[62:63]
                                        ; implicit-def: $vgpr3
	s_branch .LBB47_595
.LBB47_560:
	s_mov_b64 s[8:9], -1
	s_mov_b64 s[0:1], 0
	s_mov_b64 s[2:3], s[62:63]
                                        ; implicit-def: $vgpr3
	s_branch .LBB47_578
.LBB47_561:
	s_mov_b64 s[8:9], -1
	s_mov_b64 s[0:1], 0
	s_mov_b64 s[2:3], s[62:63]
                                        ; implicit-def: $vgpr3
	s_branch .LBB47_573
.LBB47_562:
	s_andn2_saveexec_b64 s[14:15], s[14:15]
	s_cbranch_execz .LBB47_335
.LBB47_563:
	v_add_f32_e32 v2, 0x46000000, v3
	v_and_b32_e32 v2, 0xff, v2
	v_cmp_ne_u32_e32 vcc, 0, v2
	s_andn2_b64 s[12:13], s[12:13], exec
	s_and_b64 s[18:19], vcc, exec
	s_or_b64 s[12:13], s[12:13], s[18:19]
	s_or_b64 exec, exec, s[14:15]
	v_mov_b32_e32 v4, 0
	s_and_saveexec_b64 s[14:15], s[12:13]
	s_cbranch_execnz .LBB47_336
	s_branch .LBB47_337
.LBB47_564:
	s_mov_b64 s[8:9], -1
	s_mov_b64 s[0:1], 0
	s_mov_b64 s[2:3], s[62:63]
                                        ; implicit-def: $vgpr3
	s_branch .LBB47_568
.LBB47_565:
	s_andn2_saveexec_b64 s[14:15], s[14:15]
	s_cbranch_execz .LBB47_348
.LBB47_566:
	v_add_f32_e32 v2, 0x42800000, v3
	v_and_b32_e32 v2, 0xff, v2
	v_cmp_ne_u32_e32 vcc, 0, v2
	s_andn2_b64 s[12:13], s[12:13], exec
	s_and_b64 s[18:19], vcc, exec
	s_or_b64 s[12:13], s[12:13], s[18:19]
	s_or_b64 exec, exec, s[14:15]
	v_mov_b32_e32 v4, 0
	s_and_saveexec_b64 s[14:15], s[12:13]
	s_cbranch_execnz .LBB47_349
	s_branch .LBB47_350
.LBB47_567:
	s_mov_b64 s[2:3], -1
                                        ; implicit-def: $vgpr3
	s_mov_b64 s[0:1], 0
.LBB47_568:
	s_and_b64 vcc, exec, s[8:9]
	s_cbranch_vccz .LBB47_572
; %bb.569:
	s_cmp_eq_u32 s10, 44
	s_cbranch_scc0 .LBB47_571
; %bb.570:
	global_load_ubyte v3, v[1:2], off
	s_mov_b64 s[0:1], -1
	s_mov_b64 s[2:3], 0
	s_waitcnt vmcnt(0)
	v_lshlrev_b32_e32 v4, 23, v3
	v_cvt_i32_f32_e32 v4, v4
	v_cmp_ne_u32_e32 vcc, 0, v3
	v_cndmask_b32_e32 v3, 0, v4, vcc
	s_branch .LBB47_572
.LBB47_571:
	s_mov_b64 s[2:3], -1
                                        ; implicit-def: $vgpr3
.LBB47_572:
	s_mov_b64 s[8:9], 0
.LBB47_573:
	s_and_b64 vcc, exec, s[8:9]
	s_cbranch_vccz .LBB47_577
; %bb.574:
	s_cmp_eq_u32 s10, 29
	s_cbranch_scc0 .LBB47_576
; %bb.575:
	global_load_dword v3, v[1:2], off
	s_mov_b64 s[0:1], -1
	s_mov_b64 s[2:3], 0
	s_branch .LBB47_577
.LBB47_576:
	s_mov_b64 s[2:3], -1
                                        ; implicit-def: $vgpr3
.LBB47_577:
	s_mov_b64 s[8:9], 0
.LBB47_578:
	s_and_b64 vcc, exec, s[8:9]
	s_cbranch_vccz .LBB47_594
; %bb.579:
	s_cmp_lt_i32 s10, 27
	s_cbranch_scc1 .LBB47_582
; %bb.580:
	s_cmp_gt_i32 s10, 27
	s_cbranch_scc0 .LBB47_583
; %bb.581:
	global_load_dword v3, v[1:2], off
	s_mov_b64 s[0:1], 0
	s_branch .LBB47_584
.LBB47_582:
	s_mov_b64 s[0:1], -1
                                        ; implicit-def: $vgpr3
	s_branch .LBB47_587
.LBB47_583:
	s_mov_b64 s[0:1], -1
                                        ; implicit-def: $vgpr3
.LBB47_584:
	s_andn2_b64 vcc, exec, s[0:1]
	s_cbranch_vccnz .LBB47_586
; %bb.585:
	global_load_ushort v3, v[1:2], off
.LBB47_586:
	s_mov_b64 s[0:1], 0
.LBB47_587:
	s_andn2_b64 vcc, exec, s[0:1]
	s_cbranch_vccnz .LBB47_593
; %bb.588:
	global_load_ubyte v4, v[1:2], off
	s_movk_i32 s0, 0x7f
	s_mov_b64 s[8:9], 0
	s_waitcnt vmcnt(0)
	v_cmp_lt_i16_e32 vcc, s0, v4
	s_and_saveexec_b64 s[0:1], vcc
	s_xor_b64 s[0:1], exec, s[0:1]
	s_cbranch_execz .LBB47_605
; %bb.589:
	s_movk_i32 s8, 0x80
	v_cmp_ne_u16_e32 vcc, s8, v4
	s_and_b64 s[8:9], vcc, exec
	s_andn2_saveexec_b64 s[0:1], s[0:1]
	s_cbranch_execnz .LBB47_606
.LBB47_590:
	s_or_b64 exec, exec, s[0:1]
	v_mov_b32_e32 v3, 0
	s_and_saveexec_b64 s[0:1], s[8:9]
	s_cbranch_execz .LBB47_592
.LBB47_591:
	v_lshlrev_b32_e32 v3, 24, v4
	v_and_b32_e32 v4, 0xffff, v4
	v_and_b32_e32 v5, 7, v4
	v_ffbh_u32_e32 v7, v5
	v_min_u32_e32 v7, 32, v7
	v_subrev_u32_e32 v9, 28, v7
	v_bfe_u32 v6, v4, 3, 4
	v_lshlrev_b32_e32 v4, v9, v4
	v_sub_u32_e32 v7, 29, v7
	v_and_b32_e32 v4, 7, v4
	v_cmp_eq_u32_e32 vcc, 0, v6
	v_cndmask_b32_e32 v6, v6, v7, vcc
	v_cndmask_b32_e32 v4, v5, v4, vcc
	v_mov_b32_e32 v5, 0x3b800000
	v_lshlrev_b32_e32 v4, 20, v4
	v_and_b32_e32 v3, 0x80000000, v3
	v_lshl_add_u32 v5, v6, 23, v5
	v_or3_b32 v3, v3, v5, v4
	v_cvt_i32_f32_e32 v3, v3
.LBB47_592:
	s_or_b64 exec, exec, s[0:1]
.LBB47_593:
	s_mov_b64 s[0:1], -1
.LBB47_594:
	s_mov_b64 s[8:9], 0
.LBB47_595:
	s_and_b64 vcc, exec, s[8:9]
	s_cbranch_vccz .LBB47_628
; %bb.596:
	s_cmp_gt_i32 s10, 22
	s_cbranch_scc0 .LBB47_604
; %bb.597:
	s_cmp_lt_i32 s10, 24
	s_cbranch_scc1 .LBB47_607
; %bb.598:
	s_cmp_gt_i32 s10, 24
	s_cbranch_scc0 .LBB47_608
; %bb.599:
	global_load_ubyte v4, v[1:2], off
	s_movk_i32 s0, 0x7f
	s_mov_b64 s[8:9], 0
	s_waitcnt vmcnt(0)
	v_cmp_lt_i16_e32 vcc, s0, v4
	s_and_saveexec_b64 s[0:1], vcc
	s_xor_b64 s[0:1], exec, s[0:1]
	s_cbranch_execz .LBB47_620
; %bb.600:
	s_movk_i32 s8, 0x80
	v_cmp_ne_u16_e32 vcc, s8, v4
	s_and_b64 s[8:9], vcc, exec
	s_andn2_saveexec_b64 s[0:1], s[0:1]
	s_cbranch_execnz .LBB47_621
.LBB47_601:
	s_or_b64 exec, exec, s[0:1]
	v_mov_b32_e32 v3, 0
	s_and_saveexec_b64 s[0:1], s[8:9]
	s_cbranch_execz .LBB47_603
.LBB47_602:
	v_lshlrev_b32_e32 v3, 24, v4
	v_and_b32_e32 v4, 0xffff, v4
	v_and_b32_e32 v5, 3, v4
	v_ffbh_u32_e32 v7, v5
	v_min_u32_e32 v7, 32, v7
	v_subrev_u32_e32 v9, 29, v7
	v_bfe_u32 v6, v4, 2, 5
	v_lshlrev_b32_e32 v4, v9, v4
	v_sub_u32_e32 v7, 30, v7
	v_and_b32_e32 v4, 3, v4
	v_cmp_eq_u32_e32 vcc, 0, v6
	v_cndmask_b32_e32 v6, v6, v7, vcc
	v_cndmask_b32_e32 v4, v5, v4, vcc
	v_mov_b32_e32 v5, 0x37800000
	v_lshlrev_b32_e32 v4, 21, v4
	v_and_b32_e32 v3, 0x80000000, v3
	v_lshl_add_u32 v5, v6, 23, v5
	v_or3_b32 v3, v3, v5, v4
	v_cvt_i32_f32_e32 v3, v3
.LBB47_603:
	s_or_b64 exec, exec, s[0:1]
	s_mov_b64 s[0:1], 0
	s_branch .LBB47_609
.LBB47_604:
	s_mov_b64 s[8:9], -1
                                        ; implicit-def: $vgpr3
	s_branch .LBB47_615
.LBB47_605:
	s_andn2_saveexec_b64 s[0:1], s[0:1]
	s_cbranch_execz .LBB47_590
.LBB47_606:
	v_cmp_ne_u16_e32 vcc, 0, v4
	s_andn2_b64 s[8:9], s[8:9], exec
	s_and_b64 s[12:13], vcc, exec
	s_or_b64 s[8:9], s[8:9], s[12:13]
	s_or_b64 exec, exec, s[0:1]
	v_mov_b32_e32 v3, 0
	s_and_saveexec_b64 s[0:1], s[8:9]
	s_cbranch_execnz .LBB47_591
	s_branch .LBB47_592
.LBB47_607:
	s_mov_b64 s[0:1], -1
                                        ; implicit-def: $vgpr3
	s_branch .LBB47_612
.LBB47_608:
	s_mov_b64 s[0:1], -1
                                        ; implicit-def: $vgpr3
.LBB47_609:
	s_and_b64 vcc, exec, s[0:1]
	s_cbranch_vccz .LBB47_611
; %bb.610:
	global_load_ubyte v3, v[1:2], off
	s_mov_b32 s0, 0x7f800000
	s_waitcnt vmcnt(0)
	v_lshlrev_b32_e32 v3, 24, v3
	v_and_b32_e32 v4, 0x7f000000, v3
	v_ffbh_u32_e32 v5, v4
	v_min_u32_e32 v5, 32, v5
	v_sub_u32_e64 v5, v5, 4 clamp
	v_lshlrev_b32_e32 v7, v5, v4
	v_lshlrev_b32_e32 v5, 23, v5
	v_lshrrev_b32_e32 v7, 4, v7
	v_add_u32_e32 v6, 0x1000000, v4
	v_sub_u32_e32 v5, v7, v5
	v_ashrrev_i32_e32 v6, 8, v6
	v_add_u32_e32 v5, 0x3c000000, v5
	v_and_or_b32 v5, v6, s0, v5
	v_cmp_ne_u32_e32 vcc, 0, v4
	v_cndmask_b32_e32 v4, 0, v5, vcc
	s_brev_b32 s0, 1
	v_and_or_b32 v3, v3, s0, v4
	v_cvt_i32_f32_e32 v3, v3
.LBB47_611:
	s_mov_b64 s[0:1], 0
.LBB47_612:
	s_andn2_b64 vcc, exec, s[0:1]
	s_cbranch_vccnz .LBB47_614
; %bb.613:
	global_load_ubyte v3, v[1:2], off
	s_movk_i32 s0, 0x7f00
	s_brev_b32 s1, 16
	s_waitcnt vmcnt(0)
	v_lshlrev_b16_e32 v4, 8, v3
	v_lshlrev_b32_e32 v3, 25, v3
	v_lshrrev_b32_e32 v5, 4, v3
	v_and_or_b32 v6, v4, s0, 0.5
	v_or_b32_e32 v5, 0x70000000, v5
	v_add_f32_e32 v6, -0.5, v6
	v_mul_f32_e32 v5, 0x7800000, v5
	v_cmp_gt_u32_e32 vcc, s1, v3
	v_bfe_i32 v4, v4, 0, 16
	v_cndmask_b32_e32 v3, v5, v6, vcc
	s_brev_b32 s0, 1
	v_and_or_b32 v3, v4, s0, v3
	v_cvt_i32_f32_e32 v3, v3
.LBB47_614:
	s_mov_b64 s[8:9], 0
	s_mov_b64 s[0:1], -1
.LBB47_615:
	s_andn2_b64 vcc, exec, s[8:9]
	s_cbranch_vccnz .LBB47_628
; %bb.616:
	s_cmp_gt_i32 s10, 14
	s_cbranch_scc0 .LBB47_619
; %bb.617:
	s_cmp_eq_u32 s10, 15
	s_cbranch_scc0 .LBB47_622
; %bb.618:
	global_load_ushort v3, v[1:2], off
	s_mov_b64 s[0:1], -1
	s_mov_b64 s[2:3], 0
	s_waitcnt vmcnt(0)
	v_lshlrev_b32_e32 v3, 16, v3
	v_cvt_i32_f32_e32 v3, v3
	s_branch .LBB47_623
.LBB47_619:
	s_mov_b64 s[8:9], -1
                                        ; implicit-def: $vgpr3
	s_branch .LBB47_624
.LBB47_620:
	s_andn2_saveexec_b64 s[0:1], s[0:1]
	s_cbranch_execz .LBB47_601
.LBB47_621:
	v_cmp_ne_u16_e32 vcc, 0, v4
	s_andn2_b64 s[8:9], s[8:9], exec
	s_and_b64 s[12:13], vcc, exec
	s_or_b64 s[8:9], s[8:9], s[12:13]
	s_or_b64 exec, exec, s[0:1]
	v_mov_b32_e32 v3, 0
	s_and_saveexec_b64 s[0:1], s[8:9]
	s_cbranch_execnz .LBB47_602
	s_branch .LBB47_603
.LBB47_622:
	s_mov_b64 s[2:3], -1
                                        ; implicit-def: $vgpr3
.LBB47_623:
	s_mov_b64 s[8:9], 0
.LBB47_624:
	s_and_b64 vcc, exec, s[8:9]
	s_cbranch_vccz .LBB47_628
; %bb.625:
	s_cmp_eq_u32 s10, 11
	s_cbranch_scc0 .LBB47_627
; %bb.626:
	global_load_ubyte v3, v[1:2], off
	s_mov_b64 s[0:1], -1
	s_mov_b64 s[2:3], 0
	s_waitcnt vmcnt(0)
	v_cmp_ne_u16_e32 vcc, 0, v3
	v_cndmask_b32_e64 v3, 0, 1, vcc
	s_branch .LBB47_628
.LBB47_627:
	s_mov_b64 s[2:3], -1
                                        ; implicit-def: $vgpr3
.LBB47_628:
	s_mov_b64 s[8:9], 0
.LBB47_629:
	s_and_b64 vcc, exec, s[8:9]
	s_cbranch_vccz .LBB47_678
; %bb.630:
	s_cmp_lt_i32 s10, 5
	s_cbranch_scc1 .LBB47_635
; %bb.631:
	s_cmp_lt_i32 s10, 8
	s_cbranch_scc1 .LBB47_636
	;; [unrolled: 3-line block ×3, first 2 shown]
; %bb.633:
	s_cmp_gt_i32 s10, 9
	s_cbranch_scc0 .LBB47_638
; %bb.634:
	global_load_dwordx2 v[3:4], v[1:2], off
	s_mov_b64 s[0:1], 0
	s_waitcnt vmcnt(0)
	v_cvt_i32_f64_e32 v3, v[3:4]
	s_branch .LBB47_639
.LBB47_635:
	s_mov_b64 s[0:1], -1
                                        ; implicit-def: $vgpr3
	s_branch .LBB47_657
.LBB47_636:
	s_mov_b64 s[0:1], -1
                                        ; implicit-def: $vgpr3
	s_branch .LBB47_645
.LBB47_637:
	s_mov_b64 s[0:1], -1
                                        ; implicit-def: $vgpr3
	s_branch .LBB47_642
.LBB47_638:
	s_mov_b64 s[0:1], -1
                                        ; implicit-def: $vgpr3
.LBB47_639:
	s_andn2_b64 vcc, exec, s[0:1]
	s_cbranch_vccnz .LBB47_641
; %bb.640:
	global_load_dword v3, v[1:2], off
	s_waitcnt vmcnt(0)
	v_cvt_i32_f32_e32 v3, v3
.LBB47_641:
	s_mov_b64 s[0:1], 0
.LBB47_642:
	s_andn2_b64 vcc, exec, s[0:1]
	s_cbranch_vccnz .LBB47_644
; %bb.643:
	global_load_dword v3, v[1:2], off
	s_waitcnt vmcnt(0)
	v_cvt_f32_f16_e32 v3, v3
	v_cvt_i32_f32_e32 v3, v3
.LBB47_644:
	s_mov_b64 s[0:1], 0
.LBB47_645:
	s_andn2_b64 vcc, exec, s[0:1]
	s_cbranch_vccnz .LBB47_656
; %bb.646:
	s_cmp_lt_i32 s10, 6
	s_cbranch_scc1 .LBB47_649
; %bb.647:
	s_cmp_gt_i32 s10, 6
	s_cbranch_scc0 .LBB47_650
; %bb.648:
	global_load_dwordx2 v[3:4], v[1:2], off
	s_mov_b64 s[0:1], 0
	s_waitcnt vmcnt(0)
	v_cvt_i32_f64_e32 v3, v[3:4]
	s_branch .LBB47_651
.LBB47_649:
	s_mov_b64 s[0:1], -1
                                        ; implicit-def: $vgpr3
	s_branch .LBB47_654
.LBB47_650:
	s_mov_b64 s[0:1], -1
                                        ; implicit-def: $vgpr3
.LBB47_651:
	s_andn2_b64 vcc, exec, s[0:1]
	s_cbranch_vccnz .LBB47_653
; %bb.652:
	global_load_dword v3, v[1:2], off
	s_waitcnt vmcnt(0)
	v_cvt_i32_f32_e32 v3, v3
.LBB47_653:
	s_mov_b64 s[0:1], 0
.LBB47_654:
	s_andn2_b64 vcc, exec, s[0:1]
	s_cbranch_vccnz .LBB47_656
; %bb.655:
	global_load_ushort v3, v[1:2], off
	s_waitcnt vmcnt(0)
	v_cvt_f32_f16_e32 v3, v3
	v_cvt_i32_f32_e32 v3, v3
.LBB47_656:
	s_mov_b64 s[0:1], 0
.LBB47_657:
	s_andn2_b64 vcc, exec, s[0:1]
	s_cbranch_vccnz .LBB47_677
; %bb.658:
	s_cmp_lt_i32 s10, 2
	s_cbranch_scc1 .LBB47_662
; %bb.659:
	s_cmp_lt_i32 s10, 3
	s_cbranch_scc1 .LBB47_663
; %bb.660:
	s_cmp_gt_i32 s10, 3
	s_cbranch_scc0 .LBB47_664
; %bb.661:
	global_load_dword v3, v[1:2], off
	s_mov_b64 s[0:1], 0
	s_branch .LBB47_665
.LBB47_662:
	s_mov_b64 s[0:1], -1
                                        ; implicit-def: $vgpr3
	s_branch .LBB47_671
.LBB47_663:
	s_mov_b64 s[0:1], -1
                                        ; implicit-def: $vgpr3
	s_branch .LBB47_668
.LBB47_664:
	s_mov_b64 s[0:1], -1
                                        ; implicit-def: $vgpr3
.LBB47_665:
	s_andn2_b64 vcc, exec, s[0:1]
	s_cbranch_vccnz .LBB47_667
; %bb.666:
	global_load_dword v3, v[1:2], off
.LBB47_667:
	s_mov_b64 s[0:1], 0
.LBB47_668:
	s_andn2_b64 vcc, exec, s[0:1]
	s_cbranch_vccnz .LBB47_670
; %bb.669:
	global_load_sshort v3, v[1:2], off
.LBB47_670:
	s_mov_b64 s[0:1], 0
.LBB47_671:
	s_andn2_b64 vcc, exec, s[0:1]
	s_cbranch_vccnz .LBB47_677
; %bb.672:
	s_cmp_gt_i32 s10, 0
	s_cbranch_scc0 .LBB47_674
; %bb.673:
	global_load_sbyte v3, v[1:2], off
	s_mov_b64 s[0:1], 0
	s_branch .LBB47_675
.LBB47_674:
	s_mov_b64 s[0:1], -1
                                        ; implicit-def: $vgpr3
.LBB47_675:
	s_andn2_b64 vcc, exec, s[0:1]
	s_cbranch_vccnz .LBB47_677
; %bb.676:
	global_load_ubyte v3, v[1:2], off
.LBB47_677:
	s_mov_b64 s[0:1], -1
.LBB47_678:
	s_andn2_b64 vcc, exec, s[0:1]
	s_cbranch_vccnz .LBB47_686
; %bb.679:
	s_waitcnt vmcnt(0)
	v_cmp_ne_u32_e32 vcc, s45, v3
	s_xor_b64 s[8:9], s[46:47], vcc
	v_mov_b32_e32 v1, s25
	s_and_b32 s16, s77, 0xff
	v_add_co_u32_e32 v0, vcc, s24, v0
	s_cmp_lt_i32 s16, 11
	v_addc_co_u32_e32 v1, vcc, 0, v1, vcc
	s_cbranch_scc1 .LBB47_687
; %bb.680:
	s_and_b32 s17, 0xffff, s16
	s_cmp_gt_i32 s17, 25
	s_cbranch_scc0 .LBB47_688
; %bb.681:
	s_cmp_gt_i32 s17, 28
	s_cbranch_scc0 .LBB47_689
; %bb.682:
	s_cmp_gt_i32 s17, 43
	s_cbranch_scc0 .LBB47_690
; %bb.683:
	s_cmp_gt_i32 s17, 45
	s_cbranch_scc0 .LBB47_691
; %bb.684:
	s_mov_b64 s[12:13], 0
	s_mov_b64 s[0:1], -1
	s_cmp_eq_u32 s17, 46
	s_mov_b64 s[10:11], 0
	s_cbranch_scc0 .LBB47_692
; %bb.685:
	v_cndmask_b32_e64 v2, 0, 1.0, s[8:9]
	v_bfe_u32 v3, v2, 16, 1
	s_movk_i32 s0, 0x7fff
	v_add3_u32 v2, v2, v3, s0
	v_lshrrev_b32_e32 v2, 16, v2
	global_store_dword v[0:1], v2, off
	s_mov_b64 s[10:11], -1
	s_mov_b64 s[0:1], 0
	s_branch .LBB47_692
.LBB47_686:
	s_mov_b64 s[8:9], 0
	s_mov_b64 s[0:1], s[64:65]
	s_branch .LBB47_803
.LBB47_687:
	s_mov_b64 s[12:13], -1
	s_mov_b64 s[10:11], 0
	s_mov_b64 s[0:1], s[64:65]
	s_branch .LBB47_761
.LBB47_688:
	s_mov_b64 s[12:13], -1
	s_mov_b64 s[10:11], 0
	s_mov_b64 s[0:1], s[64:65]
	s_branch .LBB47_719
.LBB47_689:
	s_mov_b64 s[12:13], -1
	s_mov_b64 s[10:11], 0
	s_mov_b64 s[0:1], s[64:65]
	s_branch .LBB47_702
.LBB47_690:
	s_mov_b64 s[12:13], -1
	s_mov_b64 s[10:11], 0
	s_mov_b64 s[0:1], s[64:65]
	s_branch .LBB47_698
.LBB47_691:
	s_mov_b64 s[12:13], -1
	s_mov_b64 s[10:11], 0
	s_mov_b64 s[0:1], s[64:65]
.LBB47_692:
	s_and_b64 vcc, exec, s[12:13]
	s_cbranch_vccz .LBB47_697
; %bb.693:
	s_cmp_eq_u32 s17, 44
	s_mov_b64 s[0:1], -1
	s_cbranch_scc0 .LBB47_697
; %bb.694:
	v_cndmask_b32_e64 v3, 0, 1.0, s[8:9]
	v_lshrrev_b32_e32 v2, 23, v3
	s_movk_i32 s0, 0xff
	v_cmp_ne_u32_e32 vcc, s0, v2
	v_mov_b32_e32 v4, 0xff
	s_and_saveexec_b64 s[10:11], vcc
; %bb.695:
	s_mov_b32 s0, 0x3fffff
	v_and_b32_e32 v4, 0x400000, v3
	v_and_or_b32 v3, v3, s0, v2
	v_cmp_ne_u32_e32 vcc, 0, v4
	v_cmp_ne_u32_e64 s[0:1], 0, v3
	s_and_b64 s[0:1], vcc, s[0:1]
	v_cndmask_b32_e64 v3, 0, 1, s[0:1]
	v_add_u32_e32 v4, v2, v3
; %bb.696:
	s_or_b64 exec, exec, s[10:11]
	s_mov_b64 s[10:11], -1
	s_mov_b64 s[0:1], 0
	global_store_byte v[0:1], v4, off
.LBB47_697:
	s_mov_b64 s[12:13], 0
.LBB47_698:
	s_and_b64 vcc, exec, s[12:13]
	s_cbranch_vccz .LBB47_701
; %bb.699:
	s_cmp_eq_u32 s17, 29
	s_mov_b64 s[0:1], -1
	s_cbranch_scc0 .LBB47_701
; %bb.700:
	s_mov_b32 s0, 0
	v_cndmask_b32_e64 v2, 0, 1, s[8:9]
	v_mov_b32_e32 v3, s0
	global_store_dwordx2 v[0:1], v[2:3], off
	s_mov_b64 s[10:11], -1
	s_mov_b64 s[0:1], 0
.LBB47_701:
	s_mov_b64 s[12:13], 0
.LBB47_702:
	s_and_b64 vcc, exec, s[12:13]
	s_cbranch_vccz .LBB47_718
; %bb.703:
	s_cmp_lt_i32 s17, 27
	s_mov_b64 s[10:11], -1
	s_cbranch_scc1 .LBB47_709
; %bb.704:
	s_cmp_gt_i32 s17, 27
	s_cbranch_scc0 .LBB47_706
; %bb.705:
	v_cndmask_b32_e64 v2, 0, 1, s[8:9]
	s_mov_b64 s[10:11], 0
	global_store_dword v[0:1], v2, off
.LBB47_706:
	s_andn2_b64 vcc, exec, s[10:11]
	s_cbranch_vccnz .LBB47_708
; %bb.707:
	v_cndmask_b32_e64 v2, 0, 1, s[8:9]
	global_store_short v[0:1], v2, off
.LBB47_708:
	s_mov_b64 s[10:11], 0
.LBB47_709:
	s_andn2_b64 vcc, exec, s[10:11]
	s_cbranch_vccnz .LBB47_717
; %bb.710:
	v_cndmask_b32_e64 v3, 0, 1.0, s[8:9]
	s_mov_b32 s10, 0x43800000
	v_cmp_gt_u32_e32 vcc, s10, v3
	v_mov_b32_e32 v4, 0x80
	s_and_saveexec_b64 s[10:11], vcc
	s_cbranch_execz .LBB47_716
; %bb.711:
	s_mov_b32 s12, 0x3bffffff
	v_cmp_lt_u32_e32 vcc, s12, v3
	s_mov_b64 s[12:13], 0
                                        ; implicit-def: $vgpr2
	s_and_saveexec_b64 s[14:15], vcc
	s_xor_b64 s[14:15], exec, s[14:15]
	s_cbranch_execz .LBB47_833
; %bb.712:
	v_bfe_u32 v2, v3, 20, 1
	s_mov_b32 s18, 0x487ffff
	v_add3_u32 v2, v3, v2, s18
	s_mov_b64 s[12:13], exec
	v_lshrrev_b32_e32 v2, 20, v2
                                        ; implicit-def: $vgpr3
	s_andn2_saveexec_b64 s[14:15], s[14:15]
	s_cbranch_execnz .LBB47_834
.LBB47_713:
	s_or_b64 exec, exec, s[14:15]
	v_mov_b32_e32 v4, 0
	s_and_saveexec_b64 s[14:15], s[12:13]
.LBB47_714:
	v_mov_b32_e32 v4, v2
.LBB47_715:
	s_or_b64 exec, exec, s[14:15]
.LBB47_716:
	s_or_b64 exec, exec, s[10:11]
	global_store_byte v[0:1], v4, off
.LBB47_717:
	s_mov_b64 s[10:11], -1
.LBB47_718:
	s_mov_b64 s[12:13], 0
.LBB47_719:
	s_and_b64 vcc, exec, s[12:13]
	s_cbranch_vccz .LBB47_760
; %bb.720:
	s_cmp_gt_i32 s17, 22
	s_mov_b64 s[12:13], -1
	s_cbranch_scc0 .LBB47_752
; %bb.721:
	s_cmp_lt_i32 s17, 24
	s_mov_b64 s[10:11], -1
	s_cbranch_scc1 .LBB47_741
; %bb.722:
	s_cmp_gt_i32 s17, 24
	s_cbranch_scc0 .LBB47_730
; %bb.723:
	v_cndmask_b32_e64 v3, 0, 1.0, s[8:9]
	s_mov_b32 s10, 0x47800000
	v_cmp_gt_u32_e32 vcc, s10, v3
	v_mov_b32_e32 v4, 0x80
	s_and_saveexec_b64 s[10:11], vcc
	s_cbranch_execz .LBB47_729
; %bb.724:
	s_mov_b32 s12, 0x37ffffff
	v_cmp_lt_u32_e32 vcc, s12, v3
	s_mov_b64 s[12:13], 0
                                        ; implicit-def: $vgpr2
	s_and_saveexec_b64 s[14:15], vcc
	s_xor_b64 s[14:15], exec, s[14:15]
	s_cbranch_execz .LBB47_836
; %bb.725:
	v_bfe_u32 v2, v3, 21, 1
	s_mov_b32 s18, 0x88fffff
	v_add3_u32 v2, v3, v2, s18
	s_mov_b64 s[12:13], exec
	v_lshrrev_b32_e32 v2, 21, v2
                                        ; implicit-def: $vgpr3
	s_andn2_saveexec_b64 s[14:15], s[14:15]
	s_cbranch_execnz .LBB47_837
.LBB47_726:
	s_or_b64 exec, exec, s[14:15]
	v_mov_b32_e32 v4, 0
	s_and_saveexec_b64 s[14:15], s[12:13]
.LBB47_727:
	v_mov_b32_e32 v4, v2
.LBB47_728:
	s_or_b64 exec, exec, s[14:15]
.LBB47_729:
	s_or_b64 exec, exec, s[10:11]
	s_mov_b64 s[10:11], 0
	global_store_byte v[0:1], v4, off
.LBB47_730:
	s_and_b64 vcc, exec, s[10:11]
	s_cbranch_vccz .LBB47_740
; %bb.731:
	v_cndmask_b32_e64 v2, 0, 1.0, s[8:9]
	s_mov_b32 s10, 0x43f00000
	v_cmp_gt_u32_e32 vcc, s10, v2
                                        ; implicit-def: $vgpr3
	s_and_saveexec_b64 s[10:11], vcc
	s_xor_b64 s[10:11], exec, s[10:11]
	s_cbranch_execz .LBB47_737
; %bb.732:
	s_mov_b32 s12, 0x3c7fffff
	v_cmp_lt_u32_e32 vcc, s12, v2
                                        ; implicit-def: $vgpr3
	s_and_saveexec_b64 s[12:13], vcc
	s_xor_b64 s[12:13], exec, s[12:13]
; %bb.733:
	v_bfe_u32 v3, v2, 20, 1
	s_mov_b32 s14, 0x407ffff
	v_add3_u32 v2, v2, v3, s14
	v_lshrrev_b32_e32 v3, 20, v2
	v_and_b32_e32 v2, 0xff00000, v2
	s_mov_b32 s14, 0x7f00000
	v_mov_b32_e32 v4, 0x7e
	v_cmp_ne_u32_e32 vcc, s14, v2
	v_cndmask_b32_e32 v3, v4, v3, vcc
                                        ; implicit-def: $vgpr2
; %bb.734:
	s_andn2_saveexec_b64 s[12:13], s[12:13]
; %bb.735:
	v_add_f32_e32 v3, 0x46800000, v2
; %bb.736:
	s_or_b64 exec, exec, s[12:13]
                                        ; implicit-def: $vgpr2
.LBB47_737:
	s_andn2_saveexec_b64 s[10:11], s[10:11]
; %bb.738:
	s_mov_b32 s12, 0x7f800000
	v_mov_b32_e32 v3, 0x7e
	v_mov_b32_e32 v4, 0x7f
	v_cmp_lt_u32_e32 vcc, s12, v2
	v_cndmask_b32_e32 v3, v3, v4, vcc
; %bb.739:
	s_or_b64 exec, exec, s[10:11]
	global_store_byte v[0:1], v3, off
.LBB47_740:
	s_mov_b64 s[10:11], 0
.LBB47_741:
	s_andn2_b64 vcc, exec, s[10:11]
	s_cbranch_vccnz .LBB47_751
; %bb.742:
	v_cndmask_b32_e64 v2, 0, 1.0, s[8:9]
	s_mov_b32 s10, 0x47800000
	v_cmp_gt_u32_e32 vcc, s10, v2
                                        ; implicit-def: $vgpr3
	s_and_saveexec_b64 s[10:11], vcc
	s_xor_b64 s[10:11], exec, s[10:11]
	s_cbranch_execz .LBB47_748
; %bb.743:
	s_mov_b32 s12, 0x387fffff
	v_cmp_lt_u32_e32 vcc, s12, v2
                                        ; implicit-def: $vgpr3
	s_and_saveexec_b64 s[12:13], vcc
	s_xor_b64 s[12:13], exec, s[12:13]
; %bb.744:
	v_bfe_u32 v3, v2, 21, 1
	s_mov_b32 s14, 0x80fffff
	v_add3_u32 v2, v2, v3, s14
	v_lshrrev_b32_e32 v3, 21, v2
                                        ; implicit-def: $vgpr2
; %bb.745:
	s_andn2_saveexec_b64 s[12:13], s[12:13]
; %bb.746:
	v_add_f32_e32 v3, 0x43000000, v2
; %bb.747:
	s_or_b64 exec, exec, s[12:13]
                                        ; implicit-def: $vgpr2
.LBB47_748:
	s_andn2_saveexec_b64 s[10:11], s[10:11]
; %bb.749:
	s_mov_b32 s12, 0x7f800000
	v_mov_b32_e32 v3, 0x7c
	v_mov_b32_e32 v4, 0x7f
	v_cmp_lt_u32_e32 vcc, s12, v2
	v_cndmask_b32_e32 v3, v3, v4, vcc
; %bb.750:
	s_or_b64 exec, exec, s[10:11]
	global_store_byte v[0:1], v3, off
.LBB47_751:
	s_mov_b64 s[12:13], 0
	s_mov_b64 s[10:11], -1
.LBB47_752:
	s_andn2_b64 vcc, exec, s[12:13]
	s_cbranch_vccnz .LBB47_760
; %bb.753:
	s_cmp_gt_i32 s17, 14
	s_mov_b64 s[12:13], -1
	s_cbranch_scc0 .LBB47_757
; %bb.754:
	s_cmp_eq_u32 s17, 15
	s_mov_b64 s[0:1], -1
	s_cbranch_scc0 .LBB47_756
; %bb.755:
	v_cndmask_b32_e64 v2, 0, 1.0, s[8:9]
	v_bfe_u32 v3, v2, 16, 1
	s_movk_i32 s0, 0x7fff
	v_add3_u32 v2, v2, v3, s0
	global_store_short_d16_hi v[0:1], v2, off
	s_mov_b64 s[10:11], -1
	s_mov_b64 s[0:1], 0
.LBB47_756:
	s_mov_b64 s[12:13], 0
.LBB47_757:
	s_and_b64 vcc, exec, s[12:13]
	s_cbranch_vccz .LBB47_760
; %bb.758:
	s_cmp_eq_u32 s17, 11
	s_mov_b64 s[0:1], -1
	s_cbranch_scc0 .LBB47_760
; %bb.759:
	v_cndmask_b32_e64 v2, 0, 1, s[8:9]
	s_mov_b64 s[10:11], -1
	s_mov_b64 s[0:1], 0
	global_store_byte v[0:1], v2, off
.LBB47_760:
	s_mov_b64 s[12:13], 0
.LBB47_761:
	s_and_b64 vcc, exec, s[12:13]
	s_cbranch_vccz .LBB47_800
; %bb.762:
	s_and_b32 s12, 0xffff, s16
	s_cmp_lt_i32 s12, 5
	s_mov_b64 s[10:11], -1
	s_cbranch_scc1 .LBB47_783
; %bb.763:
	s_cmp_lt_i32 s12, 8
	s_cbranch_scc1 .LBB47_773
; %bb.764:
	s_cmp_lt_i32 s12, 9
	s_cbranch_scc1 .LBB47_770
; %bb.765:
	s_cmp_gt_i32 s12, 9
	s_cbranch_scc0 .LBB47_767
; %bb.766:
	v_cndmask_b32_e64 v2, 0, 1, s[8:9]
	v_cvt_f64_u32_e32 v[2:3], v2
	v_mov_b32_e32 v4, 0
	v_mov_b32_e32 v5, v4
	s_mov_b64 s[10:11], 0
	global_store_dwordx4 v[0:1], v[2:5], off
.LBB47_767:
	s_andn2_b64 vcc, exec, s[10:11]
	s_cbranch_vccnz .LBB47_769
; %bb.768:
	v_cndmask_b32_e64 v2, 0, 1.0, s[8:9]
	v_mov_b32_e32 v3, 0
	global_store_dwordx2 v[0:1], v[2:3], off
.LBB47_769:
	s_mov_b64 s[10:11], 0
.LBB47_770:
	s_andn2_b64 vcc, exec, s[10:11]
	s_cbranch_vccnz .LBB47_772
; %bb.771:
	v_cndmask_b32_e64 v2, 0, 1.0, s[8:9]
	v_cvt_f16_f32_e32 v2, v2
	global_store_dword v[0:1], v2, off
.LBB47_772:
	s_mov_b64 s[10:11], 0
.LBB47_773:
	s_andn2_b64 vcc, exec, s[10:11]
	s_cbranch_vccnz .LBB47_782
; %bb.774:
	s_cmp_lt_i32 s12, 6
	s_mov_b64 s[10:11], -1
	s_cbranch_scc1 .LBB47_780
; %bb.775:
	s_cmp_gt_i32 s12, 6
	s_cbranch_scc0 .LBB47_777
; %bb.776:
	v_cndmask_b32_e64 v2, 0, 1, s[8:9]
	v_cvt_f64_u32_e32 v[2:3], v2
	s_mov_b64 s[10:11], 0
	global_store_dwordx2 v[0:1], v[2:3], off
.LBB47_777:
	s_andn2_b64 vcc, exec, s[10:11]
	s_cbranch_vccnz .LBB47_779
; %bb.778:
	v_cndmask_b32_e64 v2, 0, 1.0, s[8:9]
	global_store_dword v[0:1], v2, off
.LBB47_779:
	s_mov_b64 s[10:11], 0
.LBB47_780:
	s_andn2_b64 vcc, exec, s[10:11]
	s_cbranch_vccnz .LBB47_782
; %bb.781:
	v_cndmask_b32_e64 v2, 0, 1.0, s[8:9]
	v_cvt_f16_f32_e32 v2, v2
	global_store_short v[0:1], v2, off
.LBB47_782:
	s_mov_b64 s[10:11], 0
.LBB47_783:
	s_andn2_b64 vcc, exec, s[10:11]
	s_cbranch_vccnz .LBB47_799
; %bb.784:
	s_cmp_lt_i32 s12, 2
	s_mov_b64 s[10:11], -1
	s_cbranch_scc1 .LBB47_794
; %bb.785:
	s_cmp_lt_i32 s12, 3
	s_cbranch_scc1 .LBB47_791
; %bb.786:
	s_cmp_gt_i32 s12, 3
	s_cbranch_scc0 .LBB47_788
; %bb.787:
	s_mov_b32 s10, 0
	v_cndmask_b32_e64 v2, 0, 1, s[8:9]
	v_mov_b32_e32 v3, s10
	s_mov_b64 s[10:11], 0
	global_store_dwordx2 v[0:1], v[2:3], off
.LBB47_788:
	s_andn2_b64 vcc, exec, s[10:11]
	s_cbranch_vccnz .LBB47_790
; %bb.789:
	v_cndmask_b32_e64 v2, 0, 1, s[8:9]
	global_store_dword v[0:1], v2, off
.LBB47_790:
	s_mov_b64 s[10:11], 0
.LBB47_791:
	s_andn2_b64 vcc, exec, s[10:11]
	s_cbranch_vccnz .LBB47_793
; %bb.792:
	v_cndmask_b32_e64 v2, 0, 1, s[8:9]
	global_store_short v[0:1], v2, off
.LBB47_793:
	s_mov_b64 s[10:11], 0
.LBB47_794:
	s_andn2_b64 vcc, exec, s[10:11]
	s_cbranch_vccnz .LBB47_799
; %bb.795:
	s_mov_b64 s[10:11], -1
	s_cmp_gt_i32 s12, 0
	v_cndmask_b32_e64 v2, 0, 1, s[8:9]
	s_cbranch_scc0 .LBB47_797
; %bb.796:
	s_mov_b64 s[10:11], 0
	global_store_byte v[0:1], v2, off
.LBB47_797:
	s_andn2_b64 vcc, exec, s[10:11]
	s_cbranch_vccnz .LBB47_799
; %bb.798:
	global_store_byte v[0:1], v2, off
.LBB47_799:
	s_mov_b64 s[10:11], -1
.LBB47_800:
	s_andn2_b64 vcc, exec, s[10:11]
	s_cbranch_vccnz .LBB47_802
; %bb.801:
	v_add_u32_e32 v8, 0x80, v8
	s_mov_b64 s[8:9], -1
	s_branch .LBB47_804
.LBB47_802:
	s_mov_b64 s[8:9], 0
.LBB47_803:
                                        ; implicit-def: $vgpr8
.LBB47_804:
	s_andn2_b64 s[10:11], s[64:65], exec
	s_and_b64 s[0:1], s[0:1], exec
	s_or_b64 s[72:73], s[10:11], s[0:1]
	s_andn2_b64 s[0:1], s[62:63], exec
	s_and_b64 s[2:3], s[2:3], exec
	s_or_b64 s[70:71], s[0:1], s[2:3]
	s_orn2_b64 s[2:3], s[8:9], exec
.LBB47_805:
	s_or_b64 exec, exec, s[68:69]
	s_mov_b64 s[0:1], 0
	s_mov_b64 s[8:9], 0
	;; [unrolled: 1-line block ×3, first 2 shown]
                                        ; implicit-def: $vgpr1_vgpr2
                                        ; implicit-def: $vgpr0
                                        ; implicit-def: $vgpr3
	s_and_saveexec_b64 s[68:69], s[2:3]
	s_cbranch_execz .LBB47_900
; %bb.806:
	v_cmp_gt_i32_e32 vcc, s74, v8
	s_mov_b64 s[2:3], 0
	s_mov_b64 s[12:13], s[70:71]
                                        ; implicit-def: $vgpr1_vgpr2
                                        ; implicit-def: $vgpr0
                                        ; implicit-def: $vgpr3
	s_and_saveexec_b64 s[74:75], vcc
	s_cbranch_execz .LBB47_899
; %bb.807:
	s_andn2_b64 vcc, exec, s[40:41]
	s_cbranch_vccnz .LBB47_812
; %bb.808:
	s_andn2_b64 vcc, exec, s[54:55]
	s_cbranch_vccnz .LBB47_813
; %bb.809:
	s_add_i32 s79, s79, 1
	s_cmp_eq_u32 s76, 2
	s_cbranch_scc1 .LBB47_814
; %bb.810:
	s_and_b32 s44, s79, 28
	v_mov_b32_e32 v2, 0
	s_mov_b32 s80, 0
	s_mov_b64 s[54:55], s[34:35]
	v_mov_b32_e32 v0, 0
	v_mov_b32_e32 v1, v8
.LBB47_811:                             ; =>This Inner Loop Header: Depth=1
	s_load_dwordx8 s[16:23], s[54:55], 0x4
	s_load_dwordx4 s[0:3], s[54:55], 0x24
	s_load_dwordx8 s[8:15], s[52:53], 0x0
	s_add_u32 s54, s54, 48
	s_addc_u32 s55, s55, 0
	s_waitcnt vmcnt(0) lgkmcnt(0)
	v_mul_hi_u32 v3, s17, v1
	s_add_i32 s80, s80, 4
	s_add_u32 s52, s52, 32
	s_addc_u32 s53, s53, 0
	v_add_u32_e32 v3, v1, v3
	v_lshrrev_b32_e32 v3, s18, v3
	v_mul_lo_u32 v4, v3, s16
	v_mul_hi_u32 v5, s20, v3
	s_cmp_eq_u32 s44, s80
	v_sub_u32_e32 v1, v1, v4
	v_add_u32_e32 v4, v3, v5
	v_mul_lo_u32 v5, v1, s8
	v_mul_lo_u32 v6, v1, s9
	v_lshrrev_b32_e32 v1, s21, v4
	v_mul_lo_u32 v4, v1, s19
	v_mul_hi_u32 v7, s23, v1
	v_sub_u32_e32 v3, v3, v4
	v_add_u32_e32 v4, v1, v7
	v_lshrrev_b32_e32 v4, s0, v4
	v_mul_hi_u32 v9, s2, v4
	v_mul_lo_u32 v10, v4, s22
	v_mul_lo_u32 v7, v3, s10
	;; [unrolled: 1-line block ×3, first 2 shown]
	v_sub_u32_e32 v10, v1, v10
	v_add_u32_e32 v1, v4, v9
	v_lshrrev_b32_e32 v1, s3, v1
	v_mul_lo_u32 v9, v1, s1
	v_mul_lo_u32 v11, v10, s12
	v_mul_lo_u32 v10, v10, s13
	v_add3_u32 v0, v5, v0, v7
	v_sub_u32_e32 v4, v4, v9
	v_mul_lo_u32 v9, v4, s14
	v_mul_lo_u32 v4, v4, s15
	v_add3_u32 v2, v6, v2, v3
	v_add3_u32 v0, v11, v0, v9
	;; [unrolled: 1-line block ×3, first 2 shown]
	s_cbranch_scc0 .LBB47_811
	s_branch .LBB47_815
.LBB47_812:
	s_mov_b64 s[0:1], -1
                                        ; implicit-def: $vgpr0
                                        ; implicit-def: $vgpr2
	s_branch .LBB47_819
.LBB47_813:
	v_mov_b32_e32 v0, 0
	v_mov_b32_e32 v2, 0
	s_branch .LBB47_818
.LBB47_814:
	s_mov_b32 s44, 0
	v_mov_b32_e32 v0, 0
	v_mov_b32_e32 v2, 0
	;; [unrolled: 1-line block ×3, first 2 shown]
.LBB47_815:
	s_and_b32 s8, s79, 3
	s_cmp_eq_u32 s8, 0
	s_cbranch_scc1 .LBB47_818
; %bb.816:
	s_lshl_b32 s0, s44, 3
	s_add_u32 s0, s34, s0
	s_addc_u32 s1, s35, 0
	s_add_u32 s0, s0, 0xc4
	s_addc_u32 s1, s1, 0
	s_mul_i32 s2, s44, 12
	s_add_u32 s2, s34, s2
	s_addc_u32 s3, s35, 0
.LBB47_817:                             ; =>This Inner Loop Header: Depth=1
	s_load_dwordx2 s[10:11], s[2:3], 0x4
	s_load_dword s9, s[2:3], 0xc
	s_load_dwordx2 s[12:13], s[0:1], 0x0
	s_add_u32 s2, s2, 12
	s_addc_u32 s3, s3, 0
	s_waitcnt vmcnt(0) lgkmcnt(0)
	v_mul_hi_u32 v3, s11, v1
	s_add_u32 s0, s0, 8
	s_addc_u32 s1, s1, 0
	s_add_i32 s8, s8, -1
	v_add_u32_e32 v3, v1, v3
	v_lshrrev_b32_e32 v4, s9, v3
	v_mul_lo_u32 v3, v4, s10
	s_cmp_lg_u32 s8, 0
	v_sub_u32_e32 v3, v1, v3
	v_mad_u64_u32 v[0:1], s[10:11], v3, s12, v[0:1]
	v_mad_u64_u32 v[2:3], s[10:11], v3, s13, v[2:3]
	v_mov_b32_e32 v1, v4
	s_cbranch_scc1 .LBB47_817
.LBB47_818:
	s_mov_b64 s[0:1], 0
.LBB47_819:
	s_andn2_b64 vcc, exec, s[0:1]
	s_cbranch_vccnz .LBB47_822
; %bb.820:
	v_mul_hi_u32 v0, s29, v8
	s_andn2_b64 vcc, exec, s[50:51]
	v_add_u32_e32 v0, v8, v0
	v_lshrrev_b32_e32 v1, s30, v0
	v_mul_lo_u32 v0, v1, s28
	v_sub_u32_e32 v2, v8, v0
	v_mul_lo_u32 v0, v2, s36
	v_mul_lo_u32 v2, v2, s37
	s_cbranch_vccnz .LBB47_822
; %bb.821:
	s_waitcnt vmcnt(0)
	v_mul_hi_u32 v3, s48, v1
	v_add_u32_e32 v3, v1, v3
	v_lshrrev_b32_e32 v3, s49, v3
	v_mul_lo_u32 v3, v3, s31
	v_sub_u32_e32 v3, v1, v3
	v_mad_u64_u32 v[0:1], s[0:1], v3, s38, v[0:1]
	v_mad_u64_u32 v[2:3], s[0:1], v3, s39, v[2:3]
.LBB47_822:
	s_waitcnt vmcnt(0)
	v_mov_b32_e32 v3, s27
	s_and_b32 s12, 0xffff, s78
	v_add_co_u32_e32 v1, vcc, s26, v2
	s_cmp_lt_i32 s12, 11
	v_addc_co_u32_e32 v2, vcc, 0, v3, vcc
	s_cbranch_scc1 .LBB47_829
; %bb.823:
	s_cmp_gt_i32 s12, 25
	s_mov_b64 s[2:3], 0
	s_cbranch_scc0 .LBB47_830
; %bb.824:
	s_cmp_gt_i32 s12, 28
	s_cbranch_scc0 .LBB47_831
; %bb.825:
	s_cmp_gt_i32 s12, 43
	s_cbranch_scc0 .LBB47_832
; %bb.826:
	s_cmp_gt_i32 s12, 45
	s_cbranch_scc0 .LBB47_835
; %bb.827:
	s_cmp_eq_u32 s12, 46
	s_mov_b64 s[10:11], 0
	s_cbranch_scc0 .LBB47_838
; %bb.828:
	global_load_dword v3, v[1:2], off
	s_mov_b64 s[0:1], 0
	s_mov_b64 s[8:9], -1
	s_waitcnt vmcnt(0)
	v_lshlrev_b32_e32 v3, 16, v3
	v_cvt_i32_f32_e32 v3, v3
	s_branch .LBB47_839
.LBB47_829:
	s_mov_b64 s[12:13], -1
	s_mov_b64 s[8:9], 0
	s_mov_b64 s[2:3], 0
	;; [unrolled: 1-line block ×3, first 2 shown]
                                        ; implicit-def: $vgpr3
	s_branch .LBB47_898
.LBB47_830:
	s_mov_b64 s[10:11], -1
	s_mov_b64 s[8:9], 0
	s_mov_b64 s[0:1], s[70:71]
                                        ; implicit-def: $vgpr3
	s_branch .LBB47_866
.LBB47_831:
	s_mov_b64 s[10:11], -1
	s_mov_b64 s[8:9], 0
	s_mov_b64 s[0:1], s[70:71]
                                        ; implicit-def: $vgpr3
	s_branch .LBB47_849
.LBB47_832:
	s_mov_b64 s[10:11], -1
	s_mov_b64 s[8:9], 0
	s_mov_b64 s[0:1], s[70:71]
                                        ; implicit-def: $vgpr3
	s_branch .LBB47_844
.LBB47_833:
	s_andn2_saveexec_b64 s[14:15], s[14:15]
	s_cbranch_execz .LBB47_713
.LBB47_834:
	v_add_f32_e32 v2, 0x46000000, v3
	v_and_b32_e32 v2, 0xff, v2
	v_cmp_ne_u32_e32 vcc, 0, v2
	s_andn2_b64 s[12:13], s[12:13], exec
	s_and_b64 s[18:19], vcc, exec
	s_or_b64 s[12:13], s[12:13], s[18:19]
	s_or_b64 exec, exec, s[14:15]
	v_mov_b32_e32 v4, 0
	s_and_saveexec_b64 s[14:15], s[12:13]
	s_cbranch_execnz .LBB47_714
	s_branch .LBB47_715
.LBB47_835:
	s_mov_b64 s[10:11], -1
	s_mov_b64 s[8:9], 0
	s_mov_b64 s[0:1], s[70:71]
                                        ; implicit-def: $vgpr3
	s_branch .LBB47_839
.LBB47_836:
	s_andn2_saveexec_b64 s[14:15], s[14:15]
	s_cbranch_execz .LBB47_726
.LBB47_837:
	v_add_f32_e32 v2, 0x42800000, v3
	v_and_b32_e32 v2, 0xff, v2
	v_cmp_ne_u32_e32 vcc, 0, v2
	s_andn2_b64 s[12:13], s[12:13], exec
	s_and_b64 s[18:19], vcc, exec
	s_or_b64 s[12:13], s[12:13], s[18:19]
	s_or_b64 exec, exec, s[14:15]
	v_mov_b32_e32 v4, 0
	s_and_saveexec_b64 s[14:15], s[12:13]
	s_cbranch_execnz .LBB47_727
	s_branch .LBB47_728
.LBB47_838:
	s_mov_b64 s[0:1], -1
                                        ; implicit-def: $vgpr3
	s_mov_b64 s[8:9], 0
.LBB47_839:
	s_and_b64 vcc, exec, s[10:11]
	s_cbranch_vccz .LBB47_843
; %bb.840:
	s_cmp_eq_u32 s12, 44
	s_cbranch_scc0 .LBB47_842
; %bb.841:
	global_load_ubyte v3, v[1:2], off
	s_mov_b64 s[0:1], 0
	s_mov_b64 s[8:9], -1
	s_waitcnt vmcnt(0)
	v_lshlrev_b32_e32 v4, 23, v3
	v_cvt_i32_f32_e32 v4, v4
	v_cmp_ne_u32_e32 vcc, 0, v3
	v_cndmask_b32_e32 v3, 0, v4, vcc
	s_branch .LBB47_843
.LBB47_842:
	s_mov_b64 s[0:1], -1
                                        ; implicit-def: $vgpr3
.LBB47_843:
	s_mov_b64 s[10:11], 0
.LBB47_844:
	s_and_b64 vcc, exec, s[10:11]
	s_cbranch_vccz .LBB47_848
; %bb.845:
	s_cmp_eq_u32 s12, 29
	s_cbranch_scc0 .LBB47_847
; %bb.846:
	global_load_dword v3, v[1:2], off
	s_mov_b64 s[0:1], 0
	s_mov_b64 s[8:9], -1
	s_branch .LBB47_848
.LBB47_847:
	s_mov_b64 s[0:1], -1
                                        ; implicit-def: $vgpr3
.LBB47_848:
	s_mov_b64 s[10:11], 0
.LBB47_849:
	s_and_b64 vcc, exec, s[10:11]
	s_cbranch_vccz .LBB47_865
; %bb.850:
	s_cmp_lt_i32 s12, 27
	s_cbranch_scc1 .LBB47_853
; %bb.851:
	s_cmp_gt_i32 s12, 27
	s_cbranch_scc0 .LBB47_854
; %bb.852:
	global_load_dword v3, v[1:2], off
	s_mov_b64 s[8:9], 0
	s_branch .LBB47_855
.LBB47_853:
	s_mov_b64 s[8:9], -1
                                        ; implicit-def: $vgpr3
	s_branch .LBB47_858
.LBB47_854:
	s_mov_b64 s[8:9], -1
                                        ; implicit-def: $vgpr3
.LBB47_855:
	s_andn2_b64 vcc, exec, s[8:9]
	s_cbranch_vccnz .LBB47_857
; %bb.856:
	global_load_ushort v3, v[1:2], off
.LBB47_857:
	s_mov_b64 s[8:9], 0
.LBB47_858:
	s_andn2_b64 vcc, exec, s[8:9]
	s_cbranch_vccnz .LBB47_864
; %bb.859:
	global_load_ubyte v4, v[1:2], off
	s_movk_i32 s8, 0x7f
	s_mov_b64 s[10:11], 0
	s_waitcnt vmcnt(0)
	v_cmp_lt_i16_e32 vcc, s8, v4
	s_and_saveexec_b64 s[8:9], vcc
	s_xor_b64 s[8:9], exec, s[8:9]
	s_cbranch_execz .LBB47_876
; %bb.860:
	s_movk_i32 s10, 0x80
	v_cmp_ne_u16_e32 vcc, s10, v4
	s_and_b64 s[10:11], vcc, exec
	s_andn2_saveexec_b64 s[8:9], s[8:9]
	s_cbranch_execnz .LBB47_877
.LBB47_861:
	s_or_b64 exec, exec, s[8:9]
	v_mov_b32_e32 v3, 0
	s_and_saveexec_b64 s[8:9], s[10:11]
	s_cbranch_execz .LBB47_863
.LBB47_862:
	v_lshlrev_b32_e32 v3, 24, v4
	v_and_b32_e32 v4, 0xffff, v4
	v_and_b32_e32 v5, 7, v4
	v_ffbh_u32_e32 v7, v5
	v_min_u32_e32 v7, 32, v7
	v_subrev_u32_e32 v8, 28, v7
	v_bfe_u32 v6, v4, 3, 4
	v_lshlrev_b32_e32 v4, v8, v4
	v_sub_u32_e32 v7, 29, v7
	v_and_b32_e32 v4, 7, v4
	v_cmp_eq_u32_e32 vcc, 0, v6
	v_cndmask_b32_e32 v6, v6, v7, vcc
	v_cndmask_b32_e32 v4, v5, v4, vcc
	v_mov_b32_e32 v5, 0x3b800000
	v_lshlrev_b32_e32 v4, 20, v4
	v_and_b32_e32 v3, 0x80000000, v3
	v_lshl_add_u32 v5, v6, 23, v5
	v_or3_b32 v3, v3, v5, v4
	v_cvt_i32_f32_e32 v3, v3
.LBB47_863:
	s_or_b64 exec, exec, s[8:9]
.LBB47_864:
	s_mov_b64 s[8:9], -1
.LBB47_865:
	s_mov_b64 s[10:11], 0
.LBB47_866:
	s_and_b64 vcc, exec, s[10:11]
	s_cbranch_vccz .LBB47_897
; %bb.867:
	s_cmp_gt_i32 s12, 22
	s_cbranch_scc0 .LBB47_875
; %bb.868:
	s_cmp_lt_i32 s12, 24
	s_cbranch_scc1 .LBB47_878
; %bb.869:
	s_cmp_gt_i32 s12, 24
	s_cbranch_scc0 .LBB47_879
; %bb.870:
	global_load_ubyte v4, v[1:2], off
	s_movk_i32 s2, 0x7f
	s_mov_b64 s[8:9], 0
	s_waitcnt vmcnt(0)
	v_cmp_lt_i16_e32 vcc, s2, v4
	s_and_saveexec_b64 s[2:3], vcc
	s_xor_b64 s[2:3], exec, s[2:3]
	s_cbranch_execz .LBB47_891
; %bb.871:
	s_movk_i32 s8, 0x80
	v_cmp_ne_u16_e32 vcc, s8, v4
	s_and_b64 s[8:9], vcc, exec
	s_andn2_saveexec_b64 s[2:3], s[2:3]
	s_cbranch_execnz .LBB47_892
.LBB47_872:
	s_or_b64 exec, exec, s[2:3]
	v_mov_b32_e32 v3, 0
	s_and_saveexec_b64 s[2:3], s[8:9]
	s_cbranch_execz .LBB47_874
.LBB47_873:
	v_lshlrev_b32_e32 v3, 24, v4
	v_and_b32_e32 v4, 0xffff, v4
	v_and_b32_e32 v5, 3, v4
	v_ffbh_u32_e32 v7, v5
	v_min_u32_e32 v7, 32, v7
	v_subrev_u32_e32 v8, 29, v7
	v_bfe_u32 v6, v4, 2, 5
	v_lshlrev_b32_e32 v4, v8, v4
	v_sub_u32_e32 v7, 30, v7
	v_and_b32_e32 v4, 3, v4
	v_cmp_eq_u32_e32 vcc, 0, v6
	v_cndmask_b32_e32 v6, v6, v7, vcc
	v_cndmask_b32_e32 v4, v5, v4, vcc
	v_mov_b32_e32 v5, 0x37800000
	v_lshlrev_b32_e32 v4, 21, v4
	v_and_b32_e32 v3, 0x80000000, v3
	v_lshl_add_u32 v5, v6, 23, v5
	v_or3_b32 v3, v3, v5, v4
	v_cvt_i32_f32_e32 v3, v3
.LBB47_874:
	s_or_b64 exec, exec, s[2:3]
	s_mov_b64 s[2:3], 0
	s_branch .LBB47_880
.LBB47_875:
	s_mov_b64 s[2:3], -1
                                        ; implicit-def: $vgpr3
	s_branch .LBB47_886
.LBB47_876:
	s_andn2_saveexec_b64 s[8:9], s[8:9]
	s_cbranch_execz .LBB47_861
.LBB47_877:
	v_cmp_ne_u16_e32 vcc, 0, v4
	s_andn2_b64 s[10:11], s[10:11], exec
	s_and_b64 s[14:15], vcc, exec
	s_or_b64 s[10:11], s[10:11], s[14:15]
	s_or_b64 exec, exec, s[8:9]
	v_mov_b32_e32 v3, 0
	s_and_saveexec_b64 s[8:9], s[10:11]
	s_cbranch_execnz .LBB47_862
	s_branch .LBB47_863
.LBB47_878:
	s_mov_b64 s[2:3], -1
                                        ; implicit-def: $vgpr3
	s_branch .LBB47_883
.LBB47_879:
	s_mov_b64 s[2:3], -1
                                        ; implicit-def: $vgpr3
.LBB47_880:
	s_and_b64 vcc, exec, s[2:3]
	s_cbranch_vccz .LBB47_882
; %bb.881:
	global_load_ubyte v3, v[1:2], off
	s_mov_b32 s2, 0x7f800000
	s_waitcnt vmcnt(0)
	v_lshlrev_b32_e32 v3, 24, v3
	v_and_b32_e32 v4, 0x7f000000, v3
	v_ffbh_u32_e32 v5, v4
	v_min_u32_e32 v5, 32, v5
	v_sub_u32_e64 v5, v5, 4 clamp
	v_lshlrev_b32_e32 v7, v5, v4
	v_lshlrev_b32_e32 v5, 23, v5
	v_lshrrev_b32_e32 v7, 4, v7
	v_add_u32_e32 v6, 0x1000000, v4
	v_sub_u32_e32 v5, v7, v5
	v_ashrrev_i32_e32 v6, 8, v6
	v_add_u32_e32 v5, 0x3c000000, v5
	v_and_or_b32 v5, v6, s2, v5
	v_cmp_ne_u32_e32 vcc, 0, v4
	v_cndmask_b32_e32 v4, 0, v5, vcc
	s_brev_b32 s2, 1
	v_and_or_b32 v3, v3, s2, v4
	v_cvt_i32_f32_e32 v3, v3
.LBB47_882:
	s_mov_b64 s[2:3], 0
.LBB47_883:
	s_andn2_b64 vcc, exec, s[2:3]
	s_cbranch_vccnz .LBB47_885
; %bb.884:
	global_load_ubyte v3, v[1:2], off
	s_movk_i32 s2, 0x7f00
	s_brev_b32 s3, 16
	s_waitcnt vmcnt(0)
	v_lshlrev_b16_e32 v4, 8, v3
	v_lshlrev_b32_e32 v3, 25, v3
	v_lshrrev_b32_e32 v5, 4, v3
	v_and_or_b32 v6, v4, s2, 0.5
	v_or_b32_e32 v5, 0x70000000, v5
	v_add_f32_e32 v6, -0.5, v6
	v_mul_f32_e32 v5, 0x7800000, v5
	v_cmp_gt_u32_e32 vcc, s3, v3
	v_bfe_i32 v4, v4, 0, 16
	v_cndmask_b32_e32 v3, v5, v6, vcc
	s_brev_b32 s2, 1
	v_and_or_b32 v3, v4, s2, v3
	v_cvt_i32_f32_e32 v3, v3
.LBB47_885:
	s_mov_b64 s[2:3], 0
	s_mov_b64 s[8:9], -1
.LBB47_886:
	s_andn2_b64 vcc, exec, s[2:3]
	s_mov_b64 s[2:3], 0
	s_cbranch_vccnz .LBB47_897
; %bb.887:
	s_cmp_gt_i32 s12, 14
	s_cbranch_scc0 .LBB47_890
; %bb.888:
	s_cmp_eq_u32 s12, 15
	s_cbranch_scc0 .LBB47_893
; %bb.889:
	global_load_ushort v3, v[1:2], off
	s_mov_b64 s[0:1], 0
	s_mov_b64 s[8:9], -1
	s_waitcnt vmcnt(0)
	v_lshlrev_b32_e32 v3, 16, v3
	v_cvt_i32_f32_e32 v3, v3
	s_branch .LBB47_894
.LBB47_890:
	s_mov_b64 s[10:11], -1
                                        ; implicit-def: $vgpr3
	s_branch .LBB47_895
.LBB47_891:
	s_andn2_saveexec_b64 s[2:3], s[2:3]
	s_cbranch_execz .LBB47_872
.LBB47_892:
	v_cmp_ne_u16_e32 vcc, 0, v4
	s_andn2_b64 s[8:9], s[8:9], exec
	s_and_b64 s[10:11], vcc, exec
	s_or_b64 s[8:9], s[8:9], s[10:11]
	s_or_b64 exec, exec, s[2:3]
	v_mov_b32_e32 v3, 0
	s_and_saveexec_b64 s[2:3], s[8:9]
	s_cbranch_execnz .LBB47_873
	s_branch .LBB47_874
.LBB47_893:
	s_mov_b64 s[0:1], -1
                                        ; implicit-def: $vgpr3
.LBB47_894:
	s_mov_b64 s[10:11], 0
.LBB47_895:
	s_and_b64 vcc, exec, s[10:11]
	s_cbranch_vccz .LBB47_897
; %bb.896:
	s_cmp_lg_u32 s12, 11
	s_cselect_b64 s[10:11], -1, 0
	s_andn2_b64 s[0:1], s[0:1], exec
	s_and_b64 s[10:11], s[10:11], exec
	s_mov_b64 s[2:3], -1
	s_or_b64 s[0:1], s[0:1], s[10:11]
.LBB47_897:
	s_mov_b64 s[12:13], 0
.LBB47_898:
	s_and_b64 s[10:11], s[8:9], exec
	s_and_b64 s[8:9], s[12:13], exec
	s_andn2_b64 s[12:13], s[70:71], exec
	s_and_b64 s[0:1], s[0:1], exec
	s_and_b64 s[2:3], s[2:3], exec
	s_or_b64 s[12:13], s[12:13], s[0:1]
.LBB47_899:
	s_or_b64 exec, exec, s[74:75]
	s_and_b64 s[0:1], s[2:3], exec
	s_andn2_b64 s[2:3], s[70:71], exec
	s_and_b64 s[12:13], s[12:13], exec
	s_and_b64 s[10:11], s[10:11], exec
	s_and_b64 s[8:9], s[8:9], exec
	s_or_b64 s[70:71], s[2:3], s[12:13]
.LBB47_900:
	s_or_b64 exec, exec, s[68:69]
	s_andn2_b64 s[2:3], s[64:65], exec
	s_and_b64 s[12:13], s[72:73], exec
	s_or_b64 s[64:65], s[2:3], s[12:13]
	s_and_b64 s[2:3], s[0:1], exec
	s_andn2_b64 s[0:1], s[62:63], exec
	s_and_b64 s[12:13], s[70:71], exec
	s_and_b64 s[10:11], s[10:11], exec
	;; [unrolled: 1-line block ×3, first 2 shown]
	s_or_b64 s[62:63], s[0:1], s[12:13]
.LBB47_901:
	s_or_b64 exec, exec, s[66:67]
	s_andn2_b64 s[0:1], s[56:57], exec
	s_and_b64 s[12:13], s[64:65], exec
	s_or_b64 s[56:57], s[0:1], s[12:13]
	s_and_b64 s[0:1], s[10:11], exec
	s_and_b64 s[10:11], s[8:9], exec
	;; [unrolled: 1-line block ×3, first 2 shown]
	s_andn2_b64 s[2:3], s[58:59], exec
	s_and_b64 s[8:9], s[62:63], exec
	s_or_b64 s[58:59], s[2:3], s[8:9]
	s_or_b64 exec, exec, s[60:61]
	s_mov_b64 s[2:3], 0
	s_and_saveexec_b64 s[8:9], s[58:59]
	s_cbranch_execz .LBB47_270
.LBB47_902:
	s_mov_b64 s[2:3], exec
	s_andn2_b64 s[64:65], s[64:65], exec
	s_trap 2
	s_or_b64 exec, exec, s[8:9]
	s_and_saveexec_b64 s[8:9], s[64:65]
	s_xor_b64 s[8:9], exec, s[8:9]
	s_cbranch_execnz .LBB47_271
.LBB47_903:
	s_or_b64 exec, exec, s[8:9]
	s_and_saveexec_b64 s[8:9], s[10:11]
	s_cbranch_execz .LBB47_949
.LBB47_904:
	s_sext_i32_i16 s10, s78
	s_cmp_lt_i32 s10, 5
	s_cbranch_scc1 .LBB47_909
; %bb.905:
	s_cmp_lt_i32 s10, 8
	s_cbranch_scc1 .LBB47_910
; %bb.906:
	;; [unrolled: 3-line block ×3, first 2 shown]
	s_cmp_gt_i32 s10, 9
	s_cbranch_scc0 .LBB47_912
; %bb.908:
	global_load_dwordx2 v[3:4], v[1:2], off
	s_mov_b64 s[10:11], 0
	s_waitcnt vmcnt(0)
	v_cvt_i32_f64_e32 v3, v[3:4]
	s_branch .LBB47_913
.LBB47_909:
                                        ; implicit-def: $vgpr3
	s_branch .LBB47_930
.LBB47_910:
                                        ; implicit-def: $vgpr3
	s_branch .LBB47_919
.LBB47_911:
	s_mov_b64 s[10:11], -1
                                        ; implicit-def: $vgpr3
	s_branch .LBB47_916
.LBB47_912:
	s_mov_b64 s[10:11], -1
                                        ; implicit-def: $vgpr3
.LBB47_913:
	s_andn2_b64 vcc, exec, s[10:11]
	s_cbranch_vccnz .LBB47_915
; %bb.914:
	global_load_dword v3, v[1:2], off
	s_waitcnt vmcnt(0)
	v_cvt_i32_f32_e32 v3, v3
.LBB47_915:
	s_mov_b64 s[10:11], 0
.LBB47_916:
	s_andn2_b64 vcc, exec, s[10:11]
	s_cbranch_vccnz .LBB47_918
; %bb.917:
	global_load_dword v3, v[1:2], off
	s_waitcnt vmcnt(0)
	v_cvt_f32_f16_e32 v3, v3
	v_cvt_i32_f32_e32 v3, v3
.LBB47_918:
	s_cbranch_execnz .LBB47_929
.LBB47_919:
	s_sext_i32_i16 s10, s78
	s_cmp_lt_i32 s10, 6
	s_cbranch_scc1 .LBB47_922
; %bb.920:
	s_cmp_gt_i32 s10, 6
	s_cbranch_scc0 .LBB47_923
; %bb.921:
	global_load_dwordx2 v[3:4], v[1:2], off
	s_mov_b64 s[10:11], 0
	s_waitcnt vmcnt(0)
	v_cvt_i32_f64_e32 v3, v[3:4]
	s_branch .LBB47_924
.LBB47_922:
	s_mov_b64 s[10:11], -1
                                        ; implicit-def: $vgpr3
	s_branch .LBB47_927
.LBB47_923:
	s_mov_b64 s[10:11], -1
                                        ; implicit-def: $vgpr3
.LBB47_924:
	s_andn2_b64 vcc, exec, s[10:11]
	s_cbranch_vccnz .LBB47_926
; %bb.925:
	global_load_dword v3, v[1:2], off
	s_waitcnt vmcnt(0)
	v_cvt_i32_f32_e32 v3, v3
.LBB47_926:
	s_mov_b64 s[10:11], 0
.LBB47_927:
	s_andn2_b64 vcc, exec, s[10:11]
	s_cbranch_vccnz .LBB47_929
; %bb.928:
	global_load_ushort v3, v[1:2], off
	s_waitcnt vmcnt(0)
	v_cvt_f32_f16_e32 v3, v3
	v_cvt_i32_f32_e32 v3, v3
.LBB47_929:
	s_cbranch_execnz .LBB47_948
.LBB47_930:
	s_sext_i32_i16 s10, s78
	s_cmp_lt_i32 s10, 2
	s_cbranch_scc1 .LBB47_934
; %bb.931:
	s_cmp_lt_i32 s10, 3
	s_cbranch_scc1 .LBB47_935
; %bb.932:
	s_cmp_gt_i32 s10, 3
	s_cbranch_scc0 .LBB47_936
; %bb.933:
	global_load_dword v3, v[1:2], off
	s_mov_b64 s[10:11], 0
	s_branch .LBB47_937
.LBB47_934:
                                        ; implicit-def: $vgpr3
	s_branch .LBB47_943
.LBB47_935:
	s_mov_b64 s[10:11], -1
                                        ; implicit-def: $vgpr3
	s_branch .LBB47_940
.LBB47_936:
	s_mov_b64 s[10:11], -1
                                        ; implicit-def: $vgpr3
.LBB47_937:
	s_andn2_b64 vcc, exec, s[10:11]
	s_cbranch_vccnz .LBB47_939
; %bb.938:
	global_load_dword v3, v[1:2], off
.LBB47_939:
	s_mov_b64 s[10:11], 0
.LBB47_940:
	s_andn2_b64 vcc, exec, s[10:11]
	s_cbranch_vccnz .LBB47_942
; %bb.941:
	global_load_sshort v3, v[1:2], off
.LBB47_942:
	s_cbranch_execnz .LBB47_948
.LBB47_943:
	s_sext_i32_i16 s10, s78
	s_cmp_gt_i32 s10, 0
	s_cbranch_scc0 .LBB47_945
; %bb.944:
	global_load_sbyte v3, v[1:2], off
	s_mov_b64 s[10:11], 0
	s_branch .LBB47_946
.LBB47_945:
	s_mov_b64 s[10:11], -1
                                        ; implicit-def: $vgpr3
.LBB47_946:
	s_andn2_b64 vcc, exec, s[10:11]
	s_cbranch_vccnz .LBB47_948
; %bb.947:
	global_load_ubyte v3, v[1:2], off
.LBB47_948:
	s_or_b64 s[0:1], s[0:1], exec
.LBB47_949:
	s_or_b64 exec, exec, s[8:9]
	s_mov_b64 s[14:15], 0
	s_mov_b64 s[12:13], 0
                                        ; implicit-def: $sgpr8_sgpr9
                                        ; implicit-def: $sgpr20
                                        ; implicit-def: $vgpr1_vgpr2
	s_and_saveexec_b64 s[10:11], s[0:1]
	s_cbranch_execz .LBB47_1024
; %bb.950:
	s_waitcnt vmcnt(0)
	v_cmp_ne_u32_e32 vcc, s45, v3
	s_xor_b64 s[8:9], s[46:47], vcc
	v_mov_b32_e32 v2, s25
	s_and_b32 s20, s77, 0xff
	v_add_co_u32_e32 v1, vcc, s24, v0
	s_cmp_lt_i32 s20, 11
	v_addc_co_u32_e32 v2, vcc, 0, v2, vcc
	s_cbranch_scc1 .LBB47_1027
; %bb.951:
	s_and_b32 s21, 0xffff, s20
	s_mov_b64 s[14:15], -1
	s_cmp_gt_i32 s21, 25
	s_mov_b64 s[0:1], s[56:57]
	s_cbranch_scc0 .LBB47_984
; %bb.952:
	s_mov_b64 s[12:13], -1
	s_cmp_gt_i32 s21, 28
	s_mov_b64 s[0:1], s[56:57]
	s_cbranch_scc0 .LBB47_968
; %bb.953:
	s_cmp_gt_i32 s21, 43
	s_mov_b64 s[0:1], s[56:57]
	s_cbranch_scc0 .LBB47_964
; %bb.954:
	;; [unrolled: 4-line block ×3, first 2 shown]
	s_cmp_eq_u32 s21, 46
	s_mov_b64 s[0:1], -1
	s_cbranch_scc0 .LBB47_957
; %bb.956:
	v_cndmask_b32_e64 v0, 0, 1.0, s[8:9]
	v_bfe_u32 v3, v0, 16, 1
	s_movk_i32 s0, 0x7fff
	v_add3_u32 v0, v0, v3, s0
	v_lshrrev_b32_e32 v0, 16, v0
	global_store_dword v[1:2], v0, off
	s_mov_b64 s[0:1], 0
.LBB47_957:
	s_mov_b64 s[12:13], 0
.LBB47_958:
	s_and_b64 vcc, exec, s[12:13]
	s_cbranch_vccz .LBB47_963
; %bb.959:
	s_cmp_eq_u32 s21, 44
	s_mov_b64 s[0:1], -1
	s_cbranch_scc0 .LBB47_963
; %bb.960:
	v_cndmask_b32_e64 v3, 0, 1.0, s[8:9]
	v_lshrrev_b32_e32 v0, 23, v3
	s_movk_i32 s0, 0xff
	v_cmp_ne_u32_e32 vcc, s0, v0
	v_mov_b32_e32 v4, 0xff
	s_and_saveexec_b64 s[12:13], vcc
; %bb.961:
	s_mov_b32 s0, 0x3fffff
	v_and_b32_e32 v4, 0x400000, v3
	v_and_or_b32 v3, v3, s0, v0
	v_cmp_ne_u32_e32 vcc, 0, v4
	v_cmp_ne_u32_e64 s[0:1], 0, v3
	s_and_b64 s[0:1], vcc, s[0:1]
	v_cndmask_b32_e64 v3, 0, 1, s[0:1]
	v_add_u32_e32 v4, v0, v3
; %bb.962:
	s_or_b64 exec, exec, s[12:13]
	s_mov_b64 s[0:1], 0
	global_store_byte v[1:2], v4, off
.LBB47_963:
	s_mov_b64 s[12:13], 0
.LBB47_964:
	s_and_b64 vcc, exec, s[12:13]
	s_cbranch_vccz .LBB47_967
; %bb.965:
	s_cmp_eq_u32 s21, 29
	s_mov_b64 s[0:1], -1
	s_cbranch_scc0 .LBB47_967
; %bb.966:
	s_mov_b32 s0, 0
	v_cndmask_b32_e64 v3, 0, 1, s[8:9]
	v_mov_b32_e32 v4, s0
	global_store_dwordx2 v[1:2], v[3:4], off
	s_mov_b64 s[0:1], 0
.LBB47_967:
	s_mov_b64 s[12:13], 0
.LBB47_968:
	s_and_b64 vcc, exec, s[12:13]
	s_cbranch_vccz .LBB47_983
; %bb.969:
	s_cmp_lt_i32 s21, 27
	s_mov_b64 s[12:13], -1
	s_cbranch_scc1 .LBB47_975
; %bb.970:
	s_cmp_gt_i32 s21, 27
	s_cbranch_scc0 .LBB47_972
; %bb.971:
	v_cndmask_b32_e64 v0, 0, 1, s[8:9]
	s_mov_b64 s[12:13], 0
	global_store_dword v[1:2], v0, off
.LBB47_972:
	s_andn2_b64 vcc, exec, s[12:13]
	s_cbranch_vccnz .LBB47_974
; %bb.973:
	v_cndmask_b32_e64 v0, 0, 1, s[8:9]
	global_store_short v[1:2], v0, off
.LBB47_974:
	s_mov_b64 s[12:13], 0
.LBB47_975:
	s_andn2_b64 vcc, exec, s[12:13]
	s_cbranch_vccnz .LBB47_983
; %bb.976:
	v_cndmask_b32_e64 v3, 0, 1.0, s[8:9]
	s_mov_b32 s12, 0x43800000
	v_cmp_gt_u32_e32 vcc, s12, v3
	v_mov_b32_e32 v4, 0x80
	s_and_saveexec_b64 s[12:13], vcc
	s_cbranch_execz .LBB47_982
; %bb.977:
	s_mov_b32 s14, 0x3bffffff
	v_cmp_lt_u32_e32 vcc, s14, v3
	s_mov_b64 s[14:15], 0
                                        ; implicit-def: $vgpr0
	s_and_saveexec_b64 s[16:17], vcc
	s_xor_b64 s[16:17], exec, s[16:17]
	s_cbranch_execz .LBB47_1140
; %bb.978:
	v_bfe_u32 v0, v3, 20, 1
	s_mov_b32 s18, 0x487ffff
	v_add3_u32 v0, v3, v0, s18
	s_mov_b64 s[14:15], exec
	v_lshrrev_b32_e32 v0, 20, v0
                                        ; implicit-def: $vgpr3
	s_andn2_saveexec_b64 s[16:17], s[16:17]
	s_cbranch_execnz .LBB47_1141
.LBB47_979:
	s_or_b64 exec, exec, s[16:17]
	v_mov_b32_e32 v4, 0
	s_and_saveexec_b64 s[16:17], s[14:15]
.LBB47_980:
	v_mov_b32_e32 v4, v0
.LBB47_981:
	s_or_b64 exec, exec, s[16:17]
.LBB47_982:
	s_or_b64 exec, exec, s[12:13]
	global_store_byte v[1:2], v4, off
.LBB47_983:
	s_mov_b64 s[14:15], 0
.LBB47_984:
	s_mov_b64 s[12:13], 0
	s_and_b64 vcc, exec, s[14:15]
	s_cbranch_vccz .LBB47_1028
; %bb.985:
	s_cmp_gt_i32 s21, 22
	s_mov_b64 s[14:15], -1
	s_cbranch_scc0 .LBB47_1017
; %bb.986:
	s_cmp_lt_i32 s21, 24
	s_cbranch_scc1 .LBB47_1006
; %bb.987:
	s_cmp_gt_i32 s21, 24
	s_cbranch_scc0 .LBB47_995
; %bb.988:
	v_cndmask_b32_e64 v3, 0, 1.0, s[8:9]
	s_mov_b32 s14, 0x47800000
	v_cmp_gt_u32_e32 vcc, s14, v3
	v_mov_b32_e32 v4, 0x80
	s_and_saveexec_b64 s[14:15], vcc
	s_cbranch_execz .LBB47_994
; %bb.989:
	s_mov_b32 s16, 0x37ffffff
	v_cmp_lt_u32_e32 vcc, s16, v3
	s_mov_b64 s[16:17], 0
                                        ; implicit-def: $vgpr0
	s_and_saveexec_b64 s[18:19], vcc
	s_xor_b64 s[18:19], exec, s[18:19]
	s_cbranch_execz .LBB47_1260
; %bb.990:
	v_bfe_u32 v0, v3, 21, 1
	s_mov_b32 s22, 0x88fffff
	v_add3_u32 v0, v3, v0, s22
	s_mov_b64 s[16:17], exec
	v_lshrrev_b32_e32 v0, 21, v0
                                        ; implicit-def: $vgpr3
	s_andn2_saveexec_b64 s[18:19], s[18:19]
	s_cbranch_execnz .LBB47_1261
.LBB47_991:
	s_or_b64 exec, exec, s[18:19]
	v_mov_b32_e32 v4, 0
	s_and_saveexec_b64 s[18:19], s[16:17]
.LBB47_992:
	v_mov_b32_e32 v4, v0
.LBB47_993:
	s_or_b64 exec, exec, s[18:19]
.LBB47_994:
	s_or_b64 exec, exec, s[14:15]
	s_mov_b64 s[14:15], 0
	global_store_byte v[1:2], v4, off
.LBB47_995:
	s_and_b64 vcc, exec, s[14:15]
	s_cbranch_vccz .LBB47_1005
; %bb.996:
	v_cndmask_b32_e64 v0, 0, 1.0, s[8:9]
	s_mov_b32 s14, 0x43f00000
	v_cmp_gt_u32_e32 vcc, s14, v0
                                        ; implicit-def: $vgpr3
	s_and_saveexec_b64 s[14:15], vcc
	s_xor_b64 s[14:15], exec, s[14:15]
	s_cbranch_execz .LBB47_1002
; %bb.997:
	s_mov_b32 s16, 0x3c7fffff
	v_cmp_lt_u32_e32 vcc, s16, v0
                                        ; implicit-def: $vgpr3
	s_and_saveexec_b64 s[16:17], vcc
	s_xor_b64 s[16:17], exec, s[16:17]
; %bb.998:
	v_bfe_u32 v3, v0, 20, 1
	s_mov_b32 s18, 0x407ffff
	v_add3_u32 v0, v0, v3, s18
	v_lshrrev_b32_e32 v3, 20, v0
	v_and_b32_e32 v0, 0xff00000, v0
	s_mov_b32 s18, 0x7f00000
	v_mov_b32_e32 v4, 0x7e
	v_cmp_ne_u32_e32 vcc, s18, v0
	v_cndmask_b32_e32 v3, v4, v3, vcc
                                        ; implicit-def: $vgpr0
; %bb.999:
	s_andn2_saveexec_b64 s[16:17], s[16:17]
; %bb.1000:
	v_add_f32_e32 v3, 0x46800000, v0
; %bb.1001:
	s_or_b64 exec, exec, s[16:17]
                                        ; implicit-def: $vgpr0
.LBB47_1002:
	s_andn2_saveexec_b64 s[14:15], s[14:15]
; %bb.1003:
	s_mov_b32 s16, 0x7f800000
	v_mov_b32_e32 v3, 0x7e
	v_mov_b32_e32 v4, 0x7f
	v_cmp_lt_u32_e32 vcc, s16, v0
	v_cndmask_b32_e32 v3, v3, v4, vcc
; %bb.1004:
	s_or_b64 exec, exec, s[14:15]
	global_store_byte v[1:2], v3, off
.LBB47_1005:
	s_mov_b64 s[14:15], 0
.LBB47_1006:
	s_andn2_b64 vcc, exec, s[14:15]
	s_cbranch_vccnz .LBB47_1016
; %bb.1007:
	v_cndmask_b32_e64 v0, 0, 1.0, s[8:9]
	s_mov_b32 s14, 0x47800000
	v_cmp_gt_u32_e32 vcc, s14, v0
                                        ; implicit-def: $vgpr3
	s_and_saveexec_b64 s[14:15], vcc
	s_xor_b64 s[14:15], exec, s[14:15]
	s_cbranch_execz .LBB47_1013
; %bb.1008:
	s_mov_b32 s16, 0x387fffff
	v_cmp_lt_u32_e32 vcc, s16, v0
                                        ; implicit-def: $vgpr3
	s_and_saveexec_b64 s[16:17], vcc
	s_xor_b64 s[16:17], exec, s[16:17]
; %bb.1009:
	v_bfe_u32 v3, v0, 21, 1
	s_mov_b32 s18, 0x80fffff
	v_add3_u32 v0, v0, v3, s18
	v_lshrrev_b32_e32 v3, 21, v0
                                        ; implicit-def: $vgpr0
; %bb.1010:
	s_andn2_saveexec_b64 s[16:17], s[16:17]
; %bb.1011:
	v_add_f32_e32 v3, 0x43000000, v0
; %bb.1012:
	s_or_b64 exec, exec, s[16:17]
                                        ; implicit-def: $vgpr0
.LBB47_1013:
	s_andn2_saveexec_b64 s[14:15], s[14:15]
; %bb.1014:
	s_mov_b32 s16, 0x7f800000
	v_mov_b32_e32 v3, 0x7c
	v_mov_b32_e32 v4, 0x7f
	v_cmp_lt_u32_e32 vcc, s16, v0
	v_cndmask_b32_e32 v3, v3, v4, vcc
; %bb.1015:
	s_or_b64 exec, exec, s[14:15]
	global_store_byte v[1:2], v3, off
.LBB47_1016:
	s_mov_b64 s[14:15], 0
.LBB47_1017:
	s_andn2_b64 vcc, exec, s[14:15]
	s_mov_b64 s[14:15], 0
	s_cbranch_vccnz .LBB47_1029
; %bb.1018:
	s_cmp_gt_i32 s21, 14
	s_mov_b64 s[16:17], -1
	s_cbranch_scc0 .LBB47_1022
; %bb.1019:
	s_cmp_eq_u32 s21, 15
	s_mov_b64 s[0:1], -1
	s_cbranch_scc0 .LBB47_1021
; %bb.1020:
	v_cndmask_b32_e64 v0, 0, 1.0, s[8:9]
	v_bfe_u32 v3, v0, 16, 1
	s_movk_i32 s0, 0x7fff
	v_add3_u32 v0, v0, v3, s0
	global_store_short_d16_hi v[1:2], v0, off
	s_mov_b64 s[0:1], 0
.LBB47_1021:
	s_mov_b64 s[16:17], 0
.LBB47_1022:
	s_and_b64 vcc, exec, s[16:17]
	s_cbranch_vccz .LBB47_1029
; %bb.1023:
	s_cmp_lg_u32 s21, 11
	s_cselect_b64 s[16:17], -1, 0
	s_andn2_b64 s[0:1], s[0:1], exec
	s_and_b64 s[16:17], s[16:17], exec
	s_mov_b64 s[14:15], -1
	s_or_b64 s[0:1], s[0:1], s[16:17]
	s_branch .LBB47_1029
.LBB47_1024:
	s_or_b64 exec, exec, s[10:11]
	s_and_saveexec_b64 s[0:1], s[56:57]
	s_cbranch_execnz .LBB47_1030
.LBB47_1025:
	s_or_b64 exec, exec, s[0:1]
	s_and_saveexec_b64 s[0:1], s[14:15]
	s_xor_b64 s[0:1], exec, s[0:1]
	s_cbranch_execz .LBB47_1031
.LBB47_1026:
	v_cndmask_b32_e64 v0, 0, 1, s[8:9]
	global_store_byte v[1:2], v0, off
	s_or_b64 exec, exec, s[0:1]
	s_and_saveexec_b64 s[0:1], s[12:13]
	s_xor_b64 s[0:1], exec, s[0:1]
	s_cbranch_execz .LBB47_1069
	s_branch .LBB47_1032
.LBB47_1027:
	s_mov_b64 s[12:13], -1
	s_mov_b64 s[0:1], s[56:57]
	s_branch .LBB47_1029
.LBB47_1028:
	s_mov_b64 s[14:15], 0
.LBB47_1029:
	s_andn2_b64 s[16:17], s[56:57], exec
	s_and_b64 s[0:1], s[0:1], exec
	s_and_b64 s[12:13], s[12:13], exec
	;; [unrolled: 1-line block ×3, first 2 shown]
	s_or_b64 s[56:57], s[16:17], s[0:1]
	s_or_b64 exec, exec, s[10:11]
	s_and_saveexec_b64 s[0:1], s[56:57]
	s_cbranch_execz .LBB47_1025
.LBB47_1030:
	s_or_b64 s[2:3], s[2:3], exec
	s_andn2_b64 s[14:15], s[14:15], exec
	s_trap 2
	s_or_b64 exec, exec, s[0:1]
	s_and_saveexec_b64 s[0:1], s[14:15]
	s_xor_b64 s[0:1], exec, s[0:1]
	s_cbranch_execnz .LBB47_1026
.LBB47_1031:
	s_or_b64 exec, exec, s[0:1]
	s_and_saveexec_b64 s[0:1], s[12:13]
	s_xor_b64 s[0:1], exec, s[0:1]
	s_cbranch_execz .LBB47_1069
.LBB47_1032:
	s_sext_i32_i16 s12, s20
	s_cmp_lt_i32 s12, 5
	s_mov_b64 s[10:11], -1
	s_cbranch_scc1 .LBB47_1053
; %bb.1033:
	s_cmp_lt_i32 s12, 8
	s_cbranch_scc1 .LBB47_1043
; %bb.1034:
	s_cmp_lt_i32 s12, 9
	s_cbranch_scc1 .LBB47_1040
; %bb.1035:
	s_cmp_gt_i32 s12, 9
	s_cbranch_scc0 .LBB47_1037
; %bb.1036:
	v_cndmask_b32_e64 v0, 0, 1, s[8:9]
	s_waitcnt vmcnt(0)
	v_cvt_f64_u32_e32 v[3:4], v0
	v_mov_b32_e32 v5, 0
	v_mov_b32_e32 v6, v5
	s_mov_b64 s[10:11], 0
	global_store_dwordx4 v[1:2], v[3:6], off
.LBB47_1037:
	s_andn2_b64 vcc, exec, s[10:11]
	s_cbranch_vccnz .LBB47_1039
; %bb.1038:
	s_waitcnt vmcnt(0)
	v_cndmask_b32_e64 v3, 0, 1.0, s[8:9]
	v_mov_b32_e32 v4, 0
	global_store_dwordx2 v[1:2], v[3:4], off
.LBB47_1039:
	s_mov_b64 s[10:11], 0
.LBB47_1040:
	s_andn2_b64 vcc, exec, s[10:11]
	s_cbranch_vccnz .LBB47_1042
; %bb.1041:
	v_cndmask_b32_e64 v0, 0, 1.0, s[8:9]
	v_cvt_f16_f32_e32 v0, v0
	global_store_dword v[1:2], v0, off
.LBB47_1042:
	s_mov_b64 s[10:11], 0
.LBB47_1043:
	s_andn2_b64 vcc, exec, s[10:11]
	s_cbranch_vccnz .LBB47_1052
; %bb.1044:
	s_sext_i32_i16 s12, s20
	s_cmp_lt_i32 s12, 6
	s_mov_b64 s[10:11], -1
	s_cbranch_scc1 .LBB47_1050
; %bb.1045:
	s_cmp_gt_i32 s12, 6
	s_cbranch_scc0 .LBB47_1047
; %bb.1046:
	v_cndmask_b32_e64 v0, 0, 1, s[8:9]
	s_waitcnt vmcnt(0)
	v_cvt_f64_u32_e32 v[3:4], v0
	s_mov_b64 s[10:11], 0
	global_store_dwordx2 v[1:2], v[3:4], off
.LBB47_1047:
	s_andn2_b64 vcc, exec, s[10:11]
	s_cbranch_vccnz .LBB47_1049
; %bb.1048:
	v_cndmask_b32_e64 v0, 0, 1.0, s[8:9]
	global_store_dword v[1:2], v0, off
.LBB47_1049:
	s_mov_b64 s[10:11], 0
.LBB47_1050:
	s_andn2_b64 vcc, exec, s[10:11]
	s_cbranch_vccnz .LBB47_1052
; %bb.1051:
	v_cndmask_b32_e64 v0, 0, 1.0, s[8:9]
	v_cvt_f16_f32_e32 v0, v0
	global_store_short v[1:2], v0, off
.LBB47_1052:
	s_mov_b64 s[10:11], 0
.LBB47_1053:
	s_andn2_b64 vcc, exec, s[10:11]
	s_cbranch_vccnz .LBB47_1069
; %bb.1054:
	s_sext_i32_i16 s12, s20
	s_cmp_lt_i32 s12, 2
	s_mov_b64 s[10:11], -1
	s_cbranch_scc1 .LBB47_1064
; %bb.1055:
	s_cmp_lt_i32 s12, 3
	s_cbranch_scc1 .LBB47_1061
; %bb.1056:
	s_cmp_gt_i32 s12, 3
	s_cbranch_scc0 .LBB47_1058
; %bb.1057:
	s_mov_b32 s10, 0
	s_waitcnt vmcnt(0)
	v_cndmask_b32_e64 v3, 0, 1, s[8:9]
	v_mov_b32_e32 v4, s10
	s_mov_b64 s[10:11], 0
	global_store_dwordx2 v[1:2], v[3:4], off
.LBB47_1058:
	s_andn2_b64 vcc, exec, s[10:11]
	s_cbranch_vccnz .LBB47_1060
; %bb.1059:
	v_cndmask_b32_e64 v0, 0, 1, s[8:9]
	global_store_dword v[1:2], v0, off
.LBB47_1060:
	s_mov_b64 s[10:11], 0
.LBB47_1061:
	s_andn2_b64 vcc, exec, s[10:11]
	s_cbranch_vccnz .LBB47_1063
; %bb.1062:
	v_cndmask_b32_e64 v0, 0, 1, s[8:9]
	global_store_short v[1:2], v0, off
.LBB47_1063:
	s_mov_b64 s[10:11], 0
.LBB47_1064:
	s_andn2_b64 vcc, exec, s[10:11]
	s_cbranch_vccnz .LBB47_1069
; %bb.1065:
	s_sext_i32_i16 s10, s20
	s_cmp_gt_i32 s10, 0
	s_mov_b64 s[10:11], -1
	s_cbranch_scc0 .LBB47_1067
; %bb.1066:
	v_cndmask_b32_e64 v0, 0, 1, s[8:9]
	s_mov_b64 s[10:11], 0
	global_store_byte v[1:2], v0, off
.LBB47_1067:
	s_andn2_b64 vcc, exec, s[10:11]
	s_cbranch_vccnz .LBB47_1069
; %bb.1068:
	v_cndmask_b32_e64 v0, 0, 1, s[8:9]
	global_store_byte v[1:2], v0, off
.LBB47_1069:
	s_or_b64 exec, exec, s[0:1]
	s_and_b64 s[28:29], s[2:3], exec
                                        ; implicit-def: $vgpr15
                                        ; implicit-def: $vgpr8
.LBB47_1070:
	s_or_saveexec_b64 s[30:31], s[42:43]
	s_mov_b64 s[0:1], 0
                                        ; implicit-def: $sgpr10_sgpr11
                                        ; implicit-def: $vgpr0_vgpr1
                                        ; implicit-def: $sgpr20
	s_xor_b64 exec, exec, s[30:31]
	s_cbranch_execz .LBB47_2057
; %bb.1071:
	v_cndmask_b32_e64 v0, 0, 1, s[40:41]
	v_cmp_ne_u32_e64 s[0:1], 1, v0
	s_andn2_b64 vcc, exec, s[40:41]
	s_cbranch_vccnz .LBB47_1077
; %bb.1072:
	s_cmp_lg_u32 s33, 0
	s_mov_b32 s36, 0
	s_cbranch_scc0 .LBB47_1078
; %bb.1073:
	s_min_u32 s37, s76, 15
	s_add_i32 s37, s37, 1
	s_cmp_eq_u32 s76, 2
	s_cbranch_scc1 .LBB47_1079
; %bb.1074:
	s_and_b32 s36, s37, 28
	s_add_u32 s2, s34, 0xc4
	s_addc_u32 s3, s35, 0
	v_mov_b32_e32 v13, 0
	s_mov_b32 s38, 0
	s_mov_b64 s[6:7], s[34:35]
	v_mov_b32_e32 v6, 0
	v_mov_b32_e32 v0, v8
.LBB47_1075:                            ; =>This Inner Loop Header: Depth=1
	s_load_dwordx8 s[16:23], s[6:7], 0x4
	s_load_dwordx4 s[24:27], s[6:7], 0x24
	s_load_dwordx8 s[8:15], s[2:3], 0x0
	s_add_u32 s6, s6, 48
	s_addc_u32 s7, s7, 0
	s_waitcnt lgkmcnt(0)
	v_mul_hi_u32 v1, s17, v0
	s_add_i32 s38, s38, 4
	s_add_u32 s2, s2, 32
	s_addc_u32 s3, s3, 0
	v_add_u32_e32 v1, v0, v1
	v_lshrrev_b32_e32 v1, s18, v1
	v_mul_lo_u32 v2, v1, s16
	s_waitcnt vmcnt(0)
	v_mul_hi_u32 v3, s20, v1
	s_cmp_lg_u32 s36, s38
	v_sub_u32_e32 v0, v0, v2
	v_add_u32_e32 v2, v1, v3
	v_mul_lo_u32 v3, v0, s8
	v_mul_lo_u32 v4, v0, s9
	v_lshrrev_b32_e32 v0, s21, v2
	v_mul_lo_u32 v2, v0, s19
	v_mul_hi_u32 v5, s23, v0
	v_sub_u32_e32 v1, v1, v2
	v_add_u32_e32 v2, v0, v5
	v_lshrrev_b32_e32 v2, s24, v2
	v_mul_hi_u32 v7, s26, v2
	v_mul_lo_u32 v9, v2, s22
	v_mul_lo_u32 v5, v1, s10
	;; [unrolled: 1-line block ×3, first 2 shown]
	v_sub_u32_e32 v9, v0, v9
	v_add_u32_e32 v0, v2, v7
	v_lshrrev_b32_e32 v0, s27, v0
	v_mul_lo_u32 v7, v0, s25
	v_mul_lo_u32 v10, v9, s12
	v_mul_lo_u32 v9, v9, s13
	v_add3_u32 v3, v3, v6, v5
	v_sub_u32_e32 v2, v2, v7
	v_mul_lo_u32 v7, v2, s14
	v_mul_lo_u32 v2, v2, s15
	v_add3_u32 v1, v4, v13, v1
	v_add3_u32 v6, v10, v3, v7
	v_add3_u32 v13, v9, v1, v2
	s_cbranch_scc1 .LBB47_1075
; %bb.1076:
	s_and_b32 s8, s37, 3
	s_cmp_eq_u32 s8, 0
	s_cbranch_scc0 .LBB47_1080
	s_branch .LBB47_1082
.LBB47_1077:
                                        ; implicit-def: $vgpr6
                                        ; implicit-def: $vgpr13
	s_branch .LBB47_1083
.LBB47_1078:
	v_mov_b32_e32 v6, 0
	v_mov_b32_e32 v13, 0
	s_branch .LBB47_1082
.LBB47_1079:
	v_mov_b32_e32 v6, 0
	v_mov_b32_e32 v13, 0
	;; [unrolled: 1-line block ×3, first 2 shown]
	s_and_b32 s8, s37, 3
	s_cmp_eq_u32 s8, 0
	s_cbranch_scc1 .LBB47_1082
.LBB47_1080:
	s_lshl_b32 s2, s36, 3
	s_add_u32 s2, s34, s2
	s_addc_u32 s3, s35, 0
	s_add_u32 s2, s2, 0xc4
	s_addc_u32 s3, s3, 0
	s_mul_i32 s6, s36, 12
	s_add_u32 s6, s34, s6
	s_addc_u32 s7, s35, 0
.LBB47_1081:                            ; =>This Inner Loop Header: Depth=1
	s_load_dwordx2 s[10:11], s[6:7], 0x4
	s_load_dword s9, s[6:7], 0xc
	s_load_dwordx2 s[12:13], s[2:3], 0x0
	s_add_u32 s6, s6, 12
	s_addc_u32 s7, s7, 0
	s_waitcnt lgkmcnt(0)
	v_mul_hi_u32 v1, s11, v0
	s_add_u32 s2, s2, 8
	s_addc_u32 s3, s3, 0
	s_add_i32 s8, s8, -1
	v_add_u32_e32 v1, v0, v1
	v_lshrrev_b32_e32 v1, s9, v1
	v_mul_lo_u32 v2, v1, s10
	s_cmp_lg_u32 s8, 0
	v_sub_u32_e32 v0, v0, v2
	v_mad_u64_u32 v[6:7], s[10:11], v0, s12, v[6:7]
	v_mad_u64_u32 v[13:14], s[10:11], v0, s13, v[13:14]
	v_mov_b32_e32 v0, v1
	s_cbranch_scc1 .LBB47_1081
.LBB47_1082:
	s_cbranch_execnz .LBB47_1085
.LBB47_1083:
	s_load_dwordx4 s[8:11], s[34:35], 0x4
	s_load_dwordx2 s[2:3], s[34:35], 0xc4
	s_cmp_lt_u32 s33, 2
	s_waitcnt lgkmcnt(0)
	v_mul_hi_u32 v0, s9, v8
	v_add_u32_e32 v0, v8, v0
	v_lshrrev_b32_e32 v0, s10, v0
	v_mul_lo_u32 v1, v0, s8
	v_sub_u32_e32 v1, v8, v1
	v_mul_lo_u32 v6, v1, s2
	v_mul_lo_u32 v13, v1, s3
	s_cbranch_scc1 .LBB47_1085
; %bb.1084:
	s_load_dwordx4 s[8:11], s[34:35], 0x10
	s_load_dwordx2 s[2:3], s[34:35], 0xcc
	s_waitcnt lgkmcnt(0)
	v_mul_hi_u32 v1, s9, v0
	v_add_u32_e32 v1, v0, v1
	v_lshrrev_b32_e32 v1, s10, v1
	v_mul_lo_u32 v1, v1, s8
	v_sub_u32_e32 v0, v0, v1
	v_mad_u64_u32 v[6:7], s[6:7], v0, s2, v[6:7]
	v_mad_u64_u32 v[13:14], s[2:3], v0, s3, v[13:14]
.LBB47_1085:
	s_and_b64 vcc, exec, s[0:1]
	v_add_u32_e32 v0, 0x80, v8
	s_cbranch_vccnz .LBB47_1091
; %bb.1086:
	s_cmp_lg_u32 s33, 0
	s_mov_b32 s36, 0
	s_cbranch_scc0 .LBB47_1092
; %bb.1087:
	s_min_u32 s37, s76, 15
	s_add_i32 s37, s37, 1
	s_cmp_eq_u32 s76, 2
	s_cbranch_scc1 .LBB47_1093
; %bb.1088:
	s_and_b32 s36, s37, 28
	s_add_u32 s2, s34, 0xc4
	s_addc_u32 s3, s35, 0
	v_mov_b32_e32 v11, 0
	s_mov_b32 s38, 0
	s_mov_b64 s[6:7], s[34:35]
	v_mov_b32_e32 v4, 0
	v_mov_b32_e32 v1, v0
.LBB47_1089:                            ; =>This Inner Loop Header: Depth=1
	s_load_dwordx8 s[16:23], s[6:7], 0x4
	s_load_dwordx4 s[24:27], s[6:7], 0x24
	s_load_dwordx8 s[8:15], s[2:3], 0x0
	s_add_u32 s6, s6, 48
	s_addc_u32 s7, s7, 0
	s_waitcnt lgkmcnt(0)
	v_mul_hi_u32 v2, s17, v1
	s_add_i32 s38, s38, 4
	s_add_u32 s2, s2, 32
	s_addc_u32 s3, s3, 0
	v_add_u32_e32 v2, v1, v2
	v_lshrrev_b32_e32 v2, s18, v2
	s_waitcnt vmcnt(0)
	v_mul_lo_u32 v3, v2, s16
	v_mul_hi_u32 v5, s20, v2
	s_cmp_lg_u32 s36, s38
	v_sub_u32_e32 v1, v1, v3
	v_add_u32_e32 v3, v2, v5
	v_mul_lo_u32 v5, v1, s8
	v_mul_lo_u32 v7, v1, s9
	v_lshrrev_b32_e32 v1, s21, v3
	v_mul_lo_u32 v3, v1, s19
	v_mul_hi_u32 v9, s23, v1
	v_sub_u32_e32 v2, v2, v3
	v_add_u32_e32 v3, v1, v9
	v_lshrrev_b32_e32 v3, s24, v3
	v_mul_hi_u32 v10, s26, v3
	v_mul_lo_u32 v12, v3, s22
	v_mul_lo_u32 v9, v2, s10
	;; [unrolled: 1-line block ×3, first 2 shown]
	v_sub_u32_e32 v12, v1, v12
	v_add_u32_e32 v1, v3, v10
	v_lshrrev_b32_e32 v1, s27, v1
	v_mul_lo_u32 v10, v1, s25
	v_mul_lo_u32 v14, v12, s12
	;; [unrolled: 1-line block ×3, first 2 shown]
	v_add3_u32 v4, v5, v4, v9
	v_sub_u32_e32 v3, v3, v10
	v_mul_lo_u32 v10, v3, s14
	v_mul_lo_u32 v3, v3, s15
	v_add3_u32 v2, v7, v11, v2
	v_add3_u32 v4, v14, v4, v10
	;; [unrolled: 1-line block ×3, first 2 shown]
	s_cbranch_scc1 .LBB47_1089
; %bb.1090:
	s_and_b32 s8, s37, 3
	s_cmp_eq_u32 s8, 0
	s_cbranch_scc0 .LBB47_1094
	s_branch .LBB47_1096
.LBB47_1091:
                                        ; implicit-def: $vgpr4
                                        ; implicit-def: $vgpr11
	s_branch .LBB47_1097
.LBB47_1092:
	v_mov_b32_e32 v4, 0
	v_mov_b32_e32 v11, 0
	s_branch .LBB47_1096
.LBB47_1093:
	v_mov_b32_e32 v4, 0
	v_mov_b32_e32 v11, 0
	;; [unrolled: 1-line block ×3, first 2 shown]
	s_and_b32 s8, s37, 3
	s_cmp_eq_u32 s8, 0
	s_cbranch_scc1 .LBB47_1096
.LBB47_1094:
	s_lshl_b32 s2, s36, 3
	s_add_u32 s2, s34, s2
	s_addc_u32 s3, s35, 0
	s_add_u32 s2, s2, 0xc4
	s_addc_u32 s3, s3, 0
	s_mul_i32 s6, s36, 12
	s_add_u32 s6, s34, s6
	s_addc_u32 s7, s35, 0
.LBB47_1095:                            ; =>This Inner Loop Header: Depth=1
	s_load_dwordx2 s[10:11], s[6:7], 0x4
	s_load_dword s9, s[6:7], 0xc
	s_load_dwordx2 s[12:13], s[2:3], 0x0
	s_add_u32 s6, s6, 12
	s_addc_u32 s7, s7, 0
	s_waitcnt lgkmcnt(0)
	v_mul_hi_u32 v2, s11, v1
	s_add_u32 s2, s2, 8
	s_addc_u32 s3, s3, 0
	s_add_i32 s8, s8, -1
	v_add_u32_e32 v2, v1, v2
	v_lshrrev_b32_e32 v2, s9, v2
	s_waitcnt vmcnt(0)
	v_mul_lo_u32 v3, v2, s10
	s_cmp_lg_u32 s8, 0
	v_sub_u32_e32 v1, v1, v3
	v_mad_u64_u32 v[4:5], s[10:11], v1, s12, v[4:5]
	v_mad_u64_u32 v[11:12], s[10:11], v1, s13, v[11:12]
	v_mov_b32_e32 v1, v2
	s_cbranch_scc1 .LBB47_1095
.LBB47_1096:
	s_cbranch_execnz .LBB47_1099
.LBB47_1097:
	s_load_dwordx4 s[8:11], s[34:35], 0x4
	s_load_dwordx2 s[2:3], s[34:35], 0xc4
	s_cmp_lt_u32 s33, 2
	s_waitcnt lgkmcnt(0)
	v_mul_hi_u32 v1, s9, v0
	v_add_u32_e32 v1, v0, v1
	v_lshrrev_b32_e32 v1, s10, v1
	v_mul_lo_u32 v2, v1, s8
	v_sub_u32_e32 v0, v0, v2
	v_mul_lo_u32 v4, v0, s2
	v_mul_lo_u32 v11, v0, s3
	s_cbranch_scc1 .LBB47_1099
; %bb.1098:
	s_load_dwordx4 s[8:11], s[34:35], 0x10
	s_load_dwordx2 s[2:3], s[34:35], 0xcc
	s_waitcnt lgkmcnt(0)
	v_mul_hi_u32 v0, s9, v1
	v_add_u32_e32 v0, v1, v0
	v_lshrrev_b32_e32 v0, s10, v0
	v_mul_lo_u32 v0, v0, s8
	v_sub_u32_e32 v0, v1, v0
	v_mad_u64_u32 v[4:5], s[6:7], v0, s2, v[4:5]
	v_mad_u64_u32 v[11:12], s[2:3], v0, s3, v[11:12]
.LBB47_1099:
	s_and_b64 vcc, exec, s[0:1]
	v_add_u32_e32 v0, 0x100, v8
	s_cbranch_vccnz .LBB47_1105
; %bb.1100:
	s_cmp_lg_u32 s33, 0
	s_mov_b32 s36, 0
	s_cbranch_scc0 .LBB47_1106
; %bb.1101:
	s_min_u32 s37, s76, 15
	s_add_i32 s37, s37, 1
	s_cmp_eq_u32 s76, 2
	s_cbranch_scc1 .LBB47_1107
; %bb.1102:
	s_and_b32 s36, s37, 28
	s_add_u32 s2, s34, 0xc4
	s_addc_u32 s3, s35, 0
	v_mov_b32_e32 v9, 0
	s_mov_b32 s38, 0
	s_mov_b64 s[6:7], s[34:35]
	v_mov_b32_e32 v2, 0
	v_mov_b32_e32 v1, v0
.LBB47_1103:                            ; =>This Inner Loop Header: Depth=1
	s_load_dwordx8 s[16:23], s[6:7], 0x4
	s_load_dwordx4 s[24:27], s[6:7], 0x24
	s_load_dwordx8 s[8:15], s[2:3], 0x0
	s_add_u32 s6, s6, 48
	s_addc_u32 s7, s7, 0
	s_waitcnt vmcnt(0) lgkmcnt(0)
	v_mul_hi_u32 v3, s17, v1
	s_add_i32 s38, s38, 4
	s_add_u32 s2, s2, 32
	s_addc_u32 s3, s3, 0
	v_add_u32_e32 v3, v1, v3
	v_lshrrev_b32_e32 v3, s18, v3
	v_mul_lo_u32 v5, v3, s16
	v_mul_hi_u32 v7, s20, v3
	s_cmp_lg_u32 s36, s38
	v_sub_u32_e32 v1, v1, v5
	v_add_u32_e32 v5, v3, v7
	v_mul_lo_u32 v7, v1, s8
	v_mul_lo_u32 v8, v1, s9
	v_lshrrev_b32_e32 v1, s21, v5
	v_mul_lo_u32 v5, v1, s19
	v_mul_hi_u32 v10, s23, v1
	v_sub_u32_e32 v3, v3, v5
	v_add_u32_e32 v5, v1, v10
	v_lshrrev_b32_e32 v5, s24, v5
	v_mul_hi_u32 v12, s26, v5
	v_mul_lo_u32 v14, v5, s22
	v_mul_lo_u32 v10, v3, s10
	;; [unrolled: 1-line block ×3, first 2 shown]
	v_sub_u32_e32 v14, v1, v14
	v_add_u32_e32 v1, v5, v12
	v_lshrrev_b32_e32 v1, s27, v1
	v_mul_lo_u32 v12, v1, s25
	v_mul_lo_u32 v16, v14, s12
	;; [unrolled: 1-line block ×3, first 2 shown]
	v_add3_u32 v2, v7, v2, v10
	v_sub_u32_e32 v5, v5, v12
	v_mul_lo_u32 v12, v5, s14
	v_mul_lo_u32 v5, v5, s15
	v_add3_u32 v3, v8, v9, v3
	v_add3_u32 v2, v16, v2, v12
	;; [unrolled: 1-line block ×3, first 2 shown]
	s_cbranch_scc1 .LBB47_1103
; %bb.1104:
	s_and_b32 s8, s37, 3
	s_cmp_eq_u32 s8, 0
	s_cbranch_scc0 .LBB47_1108
	s_branch .LBB47_1110
.LBB47_1105:
                                        ; implicit-def: $vgpr2
                                        ; implicit-def: $vgpr9
	s_branch .LBB47_1111
.LBB47_1106:
	v_mov_b32_e32 v2, 0
	v_mov_b32_e32 v9, 0
	s_branch .LBB47_1110
.LBB47_1107:
	v_mov_b32_e32 v2, 0
	v_mov_b32_e32 v9, 0
	;; [unrolled: 1-line block ×3, first 2 shown]
	s_and_b32 s8, s37, 3
	s_cmp_eq_u32 s8, 0
	s_cbranch_scc1 .LBB47_1110
.LBB47_1108:
	s_lshl_b32 s2, s36, 3
	s_add_u32 s2, s34, s2
	s_addc_u32 s3, s35, 0
	s_add_u32 s2, s2, 0xc4
	s_addc_u32 s3, s3, 0
	s_mul_i32 s6, s36, 12
	s_add_u32 s6, s34, s6
	s_addc_u32 s7, s35, 0
.LBB47_1109:                            ; =>This Inner Loop Header: Depth=1
	s_load_dwordx2 s[10:11], s[6:7], 0x4
	s_load_dword s9, s[6:7], 0xc
	s_load_dwordx2 s[12:13], s[2:3], 0x0
	s_add_u32 s6, s6, 12
	s_addc_u32 s7, s7, 0
	s_waitcnt vmcnt(0) lgkmcnt(0)
	v_mul_hi_u32 v3, s11, v1
	s_add_u32 s2, s2, 8
	s_addc_u32 s3, s3, 0
	s_add_i32 s8, s8, -1
	v_add_u32_e32 v3, v1, v3
	v_lshrrev_b32_e32 v5, s9, v3
	v_mul_lo_u32 v3, v5, s10
	s_cmp_lg_u32 s8, 0
	v_sub_u32_e32 v1, v1, v3
	v_mad_u64_u32 v[2:3], s[10:11], v1, s12, v[2:3]
	v_mad_u64_u32 v[9:10], s[10:11], v1, s13, v[9:10]
	v_mov_b32_e32 v1, v5
	s_cbranch_scc1 .LBB47_1109
.LBB47_1110:
	s_cbranch_execnz .LBB47_1113
.LBB47_1111:
	s_load_dwordx4 s[8:11], s[34:35], 0x4
	s_load_dwordx2 s[2:3], s[34:35], 0xc4
	s_cmp_lt_u32 s33, 2
	s_waitcnt lgkmcnt(0)
	v_mul_hi_u32 v1, s9, v0
	v_add_u32_e32 v1, v0, v1
	v_lshrrev_b32_e32 v1, s10, v1
	v_mul_lo_u32 v2, v1, s8
	v_sub_u32_e32 v0, v0, v2
	v_mul_lo_u32 v2, v0, s2
	v_mul_lo_u32 v9, v0, s3
	s_cbranch_scc1 .LBB47_1113
; %bb.1112:
	s_load_dwordx4 s[8:11], s[34:35], 0x10
	s_load_dwordx2 s[2:3], s[34:35], 0xcc
	s_waitcnt lgkmcnt(0)
	v_mul_hi_u32 v0, s9, v1
	v_add_u32_e32 v0, v1, v0
	v_lshrrev_b32_e32 v0, s10, v0
	v_mul_lo_u32 v0, v0, s8
	v_sub_u32_e32 v0, v1, v0
	s_waitcnt vmcnt(0)
	v_mad_u64_u32 v[2:3], s[6:7], v0, s2, v[2:3]
	v_mad_u64_u32 v[9:10], s[2:3], v0, s3, v[9:10]
.LBB47_1113:
	s_and_b64 vcc, exec, s[0:1]
	s_cbranch_vccnz .LBB47_1119
; %bb.1114:
	s_cmp_lg_u32 s33, 0
	s_mov_b32 s26, 0
	s_cbranch_scc0 .LBB47_1120
; %bb.1115:
	s_min_u32 s27, s76, 15
	s_add_i32 s27, s27, 1
	s_cmp_eq_u32 s76, 2
	s_cbranch_scc1 .LBB47_1121
; %bb.1116:
	s_and_b32 s26, s27, 28
	s_add_u32 s6, s34, 0xc4
	s_addc_u32 s7, s35, 0
	v_mov_b32_e32 v7, 0
	s_mov_b32 s36, 0
	s_mov_b64 s[24:25], s[34:35]
	v_mov_b32_e32 v0, 0
	v_mov_b32_e32 v1, v15
.LBB47_1117:                            ; =>This Inner Loop Header: Depth=1
	s_load_dwordx8 s[16:23], s[24:25], 0x4
	s_load_dwordx4 s[0:3], s[24:25], 0x24
	s_load_dwordx8 s[8:15], s[6:7], 0x0
	s_add_u32 s24, s24, 48
	s_addc_u32 s25, s25, 0
	s_waitcnt vmcnt(0) lgkmcnt(0)
	v_mul_hi_u32 v3, s17, v1
	s_add_i32 s36, s36, 4
	s_add_u32 s6, s6, 32
	s_addc_u32 s7, s7, 0
	v_add_u32_e32 v3, v1, v3
	v_lshrrev_b32_e32 v3, s18, v3
	v_mul_lo_u32 v5, v3, s16
	v_mul_hi_u32 v8, s20, v3
	s_cmp_lg_u32 s26, s36
	v_sub_u32_e32 v1, v1, v5
	v_add_u32_e32 v5, v3, v8
	v_mul_lo_u32 v8, v1, s8
	v_mul_lo_u32 v10, v1, s9
	v_lshrrev_b32_e32 v1, s21, v5
	v_mul_lo_u32 v5, v1, s19
	v_mul_hi_u32 v12, s23, v1
	v_sub_u32_e32 v3, v3, v5
	v_add_u32_e32 v5, v1, v12
	v_lshrrev_b32_e32 v5, s0, v5
	v_mul_hi_u32 v14, s2, v5
	v_mul_lo_u32 v16, v5, s22
	v_mul_lo_u32 v12, v3, s10
	;; [unrolled: 1-line block ×3, first 2 shown]
	v_sub_u32_e32 v16, v1, v16
	v_add_u32_e32 v1, v5, v14
	v_lshrrev_b32_e32 v1, s3, v1
	v_mul_lo_u32 v14, v1, s1
	v_mul_lo_u32 v17, v16, s12
	;; [unrolled: 1-line block ×3, first 2 shown]
	v_add3_u32 v0, v8, v0, v12
	v_sub_u32_e32 v5, v5, v14
	v_mul_lo_u32 v14, v5, s14
	v_mul_lo_u32 v5, v5, s15
	v_add3_u32 v3, v10, v7, v3
	v_add3_u32 v0, v17, v0, v14
	;; [unrolled: 1-line block ×3, first 2 shown]
	s_cbranch_scc1 .LBB47_1117
; %bb.1118:
	s_and_b32 s6, s27, 3
	s_cmp_eq_u32 s6, 0
	s_cbranch_scc0 .LBB47_1122
	s_branch .LBB47_1124
.LBB47_1119:
                                        ; implicit-def: $vgpr0
                                        ; implicit-def: $vgpr7
	s_branch .LBB47_1125
.LBB47_1120:
	v_mov_b32_e32 v0, 0
	v_mov_b32_e32 v7, 0
	s_branch .LBB47_1124
.LBB47_1121:
	v_mov_b32_e32 v0, 0
	v_mov_b32_e32 v7, 0
	;; [unrolled: 1-line block ×3, first 2 shown]
	s_and_b32 s6, s27, 3
	s_cmp_eq_u32 s6, 0
	s_cbranch_scc1 .LBB47_1124
.LBB47_1122:
	s_lshl_b32 s0, s26, 3
	s_add_u32 s0, s34, s0
	s_addc_u32 s1, s35, 0
	s_add_u32 s0, s0, 0xc4
	s_addc_u32 s1, s1, 0
	s_mul_i32 s2, s26, 12
	s_add_u32 s2, s34, s2
	s_addc_u32 s3, s35, 0
.LBB47_1123:                            ; =>This Inner Loop Header: Depth=1
	s_load_dwordx2 s[8:9], s[2:3], 0x4
	s_load_dword s7, s[2:3], 0xc
	s_load_dwordx2 s[10:11], s[0:1], 0x0
	s_add_u32 s2, s2, 12
	s_addc_u32 s3, s3, 0
	s_waitcnt vmcnt(0) lgkmcnt(0)
	v_mul_hi_u32 v3, s9, v1
	s_add_u32 s0, s0, 8
	s_addc_u32 s1, s1, 0
	s_add_i32 s6, s6, -1
	v_add_u32_e32 v3, v1, v3
	v_lshrrev_b32_e32 v3, s7, v3
	v_mul_lo_u32 v5, v3, s8
	s_cmp_lg_u32 s6, 0
	v_sub_u32_e32 v5, v1, v5
	v_mad_u64_u32 v[0:1], s[8:9], v5, s10, v[0:1]
	v_mad_u64_u32 v[7:8], s[8:9], v5, s11, v[7:8]
	v_mov_b32_e32 v1, v3
	s_cbranch_scc1 .LBB47_1123
.LBB47_1124:
	s_cbranch_execnz .LBB47_1127
.LBB47_1125:
	s_load_dwordx4 s[0:3], s[34:35], 0x4
	s_load_dwordx2 s[6:7], s[34:35], 0xc4
	s_cmp_lt_u32 s33, 2
	s_waitcnt lgkmcnt(0)
	v_mul_hi_u32 v0, s1, v15
	v_add_u32_e32 v0, v15, v0
	v_lshrrev_b32_e32 v1, s2, v0
	v_mul_lo_u32 v0, v1, s0
	s_waitcnt vmcnt(0)
	v_sub_u32_e32 v3, v15, v0
	v_mul_lo_u32 v0, v3, s6
	v_mul_lo_u32 v7, v3, s7
	s_cbranch_scc1 .LBB47_1127
; %bb.1126:
	s_load_dwordx4 s[0:3], s[34:35], 0x10
	s_load_dwordx2 s[6:7], s[34:35], 0xcc
	s_waitcnt lgkmcnt(0)
	v_mul_hi_u32 v3, s1, v1
	v_add_u32_e32 v3, v1, v3
	v_lshrrev_b32_e32 v3, s2, v3
	v_mul_lo_u32 v3, v3, s0
	v_sub_u32_e32 v3, v1, v3
	v_mad_u64_u32 v[0:1], s[0:1], v3, s6, v[0:1]
	v_mad_u64_u32 v[7:8], s[0:1], v3, s7, v[7:8]
.LBB47_1127:
	s_load_dwordx4 s[8:11], s[34:35], 0x148
	s_load_dword s12, s[4:5], 0x168
	s_waitcnt lgkmcnt(0)
	v_mov_b32_e32 v1, s11
	s_bfe_u32 s13, s12, 0x80008
	v_add_co_u32_e32 v12, vcc, s10, v13
	s_cmp_lt_i32 s13, 11
	v_addc_co_u32_e32 v13, vcc, 0, v1, vcc
	s_cbranch_scc1 .LBB47_1134
; %bb.1128:
	s_and_b32 s14, 0xffff, s13
	s_cmp_gt_i32 s14, 25
	s_mov_b64 s[4:5], 0
	s_cbranch_scc0 .LBB47_1136
; %bb.1129:
	s_cmp_gt_i32 s14, 28
	s_cbranch_scc0 .LBB47_1137
; %bb.1130:
	s_cmp_gt_i32 s14, 43
	s_cbranch_scc0 .LBB47_1138
; %bb.1131:
	s_cmp_gt_i32 s14, 45
	s_cbranch_scc0 .LBB47_1139
; %bb.1132:
	s_cmp_eq_u32 s14, 46
	s_mov_b64 s[2:3], 0
	s_cbranch_scc0 .LBB47_1142
; %bb.1133:
	global_load_dword v1, v[12:13], off
	s_mov_b64 s[0:1], 0
	s_mov_b64 s[6:7], -1
	s_waitcnt vmcnt(0)
	v_lshlrev_b32_e32 v1, 16, v1
	v_cvt_i32_f32_e32 v5, v1
	s_branch .LBB47_1143
.LBB47_1134:
	s_mov_b64 s[6:7], 0
                                        ; implicit-def: $vgpr5
	s_mov_b64 s[2:3], s[28:29]
	s_cbranch_execnz .LBB47_1201
.LBB47_1135:
	s_andn2_b64 vcc, exec, s[6:7]
	s_cbranch_vccz .LBB47_1246
	s_branch .LBB47_2055
.LBB47_1136:
	s_mov_b64 s[6:7], 0
	s_mov_b64 s[0:1], 0
                                        ; implicit-def: $vgpr5
	s_cbranch_execnz .LBB47_1168
	s_branch .LBB47_1197
.LBB47_1137:
	s_mov_b64 s[6:7], 0
	s_mov_b64 s[0:1], 0
                                        ; implicit-def: $vgpr5
	s_cbranch_execz .LBB47_1167
	s_branch .LBB47_1152
.LBB47_1138:
	s_mov_b64 s[6:7], 0
	s_mov_b64 s[0:1], 0
                                        ; implicit-def: $vgpr5
	s_cbranch_execnz .LBB47_1148
	s_branch .LBB47_1151
.LBB47_1139:
	s_mov_b64 s[2:3], -1
	s_mov_b64 s[6:7], 0
	s_mov_b64 s[0:1], 0
                                        ; implicit-def: $vgpr5
	s_branch .LBB47_1143
.LBB47_1140:
	s_andn2_saveexec_b64 s[16:17], s[16:17]
	s_cbranch_execz .LBB47_979
.LBB47_1141:
	v_add_f32_e32 v0, 0x46000000, v3
	v_and_b32_e32 v0, 0xff, v0
	v_cmp_ne_u32_e32 vcc, 0, v0
	s_andn2_b64 s[14:15], s[14:15], exec
	s_and_b64 s[18:19], vcc, exec
	s_or_b64 s[14:15], s[14:15], s[18:19]
	s_or_b64 exec, exec, s[16:17]
	v_mov_b32_e32 v4, 0
	s_and_saveexec_b64 s[16:17], s[14:15]
	s_cbranch_execnz .LBB47_980
	s_branch .LBB47_981
.LBB47_1142:
	s_mov_b64 s[0:1], -1
                                        ; implicit-def: $vgpr5
	s_mov_b64 s[6:7], 0
.LBB47_1143:
	s_and_b64 vcc, exec, s[2:3]
	s_cbranch_vccz .LBB47_1146
; %bb.1144:
	s_cmp_eq_u32 s14, 44
	s_cbranch_scc0 .LBB47_1147
; %bb.1145:
	global_load_ubyte v1, v[12:13], off
	s_mov_b64 s[0:1], 0
	s_mov_b64 s[6:7], -1
	s_waitcnt vmcnt(0)
	v_lshlrev_b32_e32 v3, 23, v1
	v_cvt_i32_f32_e32 v3, v3
	v_cmp_ne_u32_e32 vcc, 0, v1
	v_cndmask_b32_e32 v5, 0, v3, vcc
.LBB47_1146:
	s_branch .LBB47_1151
.LBB47_1147:
	s_mov_b64 s[0:1], -1
                                        ; implicit-def: $vgpr5
	s_branch .LBB47_1151
.LBB47_1148:
	s_cmp_eq_u32 s14, 29
	s_cbranch_scc0 .LBB47_1150
; %bb.1149:
	global_load_dword v5, v[12:13], off
	s_mov_b64 s[0:1], 0
	s_mov_b64 s[6:7], -1
	s_branch .LBB47_1151
.LBB47_1150:
	s_mov_b64 s[0:1], -1
                                        ; implicit-def: $vgpr5
.LBB47_1151:
	s_branch .LBB47_1167
.LBB47_1152:
	s_cmp_lt_i32 s14, 27
	s_cbranch_scc1 .LBB47_1155
; %bb.1153:
	s_cmp_gt_i32 s14, 27
	s_cbranch_scc0 .LBB47_1156
; %bb.1154:
	global_load_dword v5, v[12:13], off
	s_mov_b64 s[2:3], 0
	s_branch .LBB47_1157
.LBB47_1155:
	s_mov_b64 s[2:3], -1
                                        ; implicit-def: $vgpr5
	s_branch .LBB47_1160
.LBB47_1156:
	s_mov_b64 s[2:3], -1
                                        ; implicit-def: $vgpr5
.LBB47_1157:
	s_andn2_b64 vcc, exec, s[2:3]
	s_cbranch_vccnz .LBB47_1159
; %bb.1158:
	global_load_ushort v5, v[12:13], off
.LBB47_1159:
	s_mov_b64 s[2:3], 0
.LBB47_1160:
	s_andn2_b64 vcc, exec, s[2:3]
	s_cbranch_vccnz .LBB47_1166
; %bb.1161:
	global_load_ubyte v1, v[12:13], off
	s_movk_i32 s2, 0x7f
	s_mov_b64 s[6:7], 0
	s_waitcnt vmcnt(0)
	v_cmp_lt_i16_e32 vcc, s2, v1
	s_and_saveexec_b64 s[2:3], vcc
	s_xor_b64 s[2:3], exec, s[2:3]
	s_cbranch_execz .LBB47_1177
; %bb.1162:
	s_movk_i32 s6, 0x80
	v_cmp_ne_u16_e32 vcc, s6, v1
	s_and_b64 s[6:7], vcc, exec
	s_andn2_saveexec_b64 s[2:3], s[2:3]
	s_cbranch_execnz .LBB47_1178
.LBB47_1163:
	s_or_b64 exec, exec, s[2:3]
	v_mov_b32_e32 v5, 0
	s_and_saveexec_b64 s[2:3], s[6:7]
	s_cbranch_execz .LBB47_1165
.LBB47_1164:
	v_lshlrev_b32_e32 v3, 24, v1
	v_and_b32_e32 v1, 0xffff, v1
	v_and_b32_e32 v5, 7, v1
	v_ffbh_u32_e32 v10, v5
	v_min_u32_e32 v10, 32, v10
	v_subrev_u32_e32 v14, 28, v10
	v_bfe_u32 v8, v1, 3, 4
	v_lshlrev_b32_e32 v1, v14, v1
	v_sub_u32_e32 v10, 29, v10
	v_and_b32_e32 v1, 7, v1
	v_cmp_eq_u32_e32 vcc, 0, v8
	v_cndmask_b32_e32 v8, v8, v10, vcc
	v_cndmask_b32_e32 v1, v5, v1, vcc
	v_mov_b32_e32 v5, 0x3b800000
	v_lshlrev_b32_e32 v1, 20, v1
	v_and_b32_e32 v3, 0x80000000, v3
	v_lshl_add_u32 v5, v8, 23, v5
	v_or3_b32 v1, v3, v5, v1
	v_cvt_i32_f32_e32 v5, v1
.LBB47_1165:
	s_or_b64 exec, exec, s[2:3]
.LBB47_1166:
	s_mov_b64 s[6:7], -1
.LBB47_1167:
	s_branch .LBB47_1197
.LBB47_1168:
	s_cmp_gt_i32 s14, 22
	s_cbranch_scc0 .LBB47_1176
; %bb.1169:
	s_cmp_lt_i32 s14, 24
	s_cbranch_scc1 .LBB47_1179
; %bb.1170:
	s_cmp_gt_i32 s14, 24
	s_cbranch_scc0 .LBB47_1180
; %bb.1171:
	global_load_ubyte v1, v[12:13], off
	s_movk_i32 s2, 0x7f
	s_waitcnt vmcnt(0)
	v_cmp_lt_i16_e32 vcc, s2, v1
	s_and_saveexec_b64 s[2:3], vcc
	s_xor_b64 s[2:3], exec, s[2:3]
	s_cbranch_execz .LBB47_1191
; %bb.1172:
	s_movk_i32 s4, 0x80
	v_cmp_ne_u16_e32 vcc, s4, v1
	s_and_b64 s[4:5], vcc, exec
	s_andn2_saveexec_b64 s[2:3], s[2:3]
	s_cbranch_execnz .LBB47_1192
.LBB47_1173:
	s_or_b64 exec, exec, s[2:3]
	v_mov_b32_e32 v5, 0
	s_and_saveexec_b64 s[2:3], s[4:5]
	s_cbranch_execz .LBB47_1175
.LBB47_1174:
	v_lshlrev_b32_e32 v3, 24, v1
	v_and_b32_e32 v1, 0xffff, v1
	v_and_b32_e32 v5, 3, v1
	v_ffbh_u32_e32 v10, v5
	v_min_u32_e32 v10, 32, v10
	v_subrev_u32_e32 v14, 29, v10
	v_bfe_u32 v8, v1, 2, 5
	v_lshlrev_b32_e32 v1, v14, v1
	v_sub_u32_e32 v10, 30, v10
	v_and_b32_e32 v1, 3, v1
	v_cmp_eq_u32_e32 vcc, 0, v8
	v_cndmask_b32_e32 v8, v8, v10, vcc
	v_cndmask_b32_e32 v1, v5, v1, vcc
	v_mov_b32_e32 v5, 0x37800000
	v_lshlrev_b32_e32 v1, 21, v1
	v_and_b32_e32 v3, 0x80000000, v3
	v_lshl_add_u32 v5, v8, 23, v5
	v_or3_b32 v1, v3, v5, v1
	v_cvt_i32_f32_e32 v5, v1
.LBB47_1175:
	s_or_b64 exec, exec, s[2:3]
	s_mov_b64 s[2:3], 0
	s_branch .LBB47_1181
.LBB47_1176:
                                        ; implicit-def: $vgpr5
	s_mov_b64 s[4:5], 0
	s_branch .LBB47_1187
.LBB47_1177:
	s_andn2_saveexec_b64 s[2:3], s[2:3]
	s_cbranch_execz .LBB47_1163
.LBB47_1178:
	v_cmp_ne_u16_e32 vcc, 0, v1
	s_andn2_b64 s[6:7], s[6:7], exec
	s_and_b64 s[16:17], vcc, exec
	s_or_b64 s[6:7], s[6:7], s[16:17]
	s_or_b64 exec, exec, s[2:3]
	v_mov_b32_e32 v5, 0
	s_and_saveexec_b64 s[2:3], s[6:7]
	s_cbranch_execnz .LBB47_1164
	s_branch .LBB47_1165
.LBB47_1179:
	s_mov_b64 s[2:3], -1
                                        ; implicit-def: $vgpr5
	s_branch .LBB47_1184
.LBB47_1180:
	s_mov_b64 s[2:3], -1
                                        ; implicit-def: $vgpr5
.LBB47_1181:
	s_and_b64 vcc, exec, s[2:3]
	s_cbranch_vccz .LBB47_1183
; %bb.1182:
	global_load_ubyte v1, v[12:13], off
	s_mov_b32 s2, 0x7f800000
	s_waitcnt vmcnt(0)
	v_lshlrev_b32_e32 v1, 24, v1
	v_and_b32_e32 v3, 0x7f000000, v1
	v_ffbh_u32_e32 v5, v3
	v_min_u32_e32 v5, 32, v5
	v_sub_u32_e64 v5, v5, 4 clamp
	v_lshlrev_b32_e32 v10, v5, v3
	v_lshlrev_b32_e32 v5, 23, v5
	v_lshrrev_b32_e32 v10, 4, v10
	v_add_u32_e32 v8, 0x1000000, v3
	v_sub_u32_e32 v5, v10, v5
	v_ashrrev_i32_e32 v8, 8, v8
	v_add_u32_e32 v5, 0x3c000000, v5
	v_and_or_b32 v5, v8, s2, v5
	v_cmp_ne_u32_e32 vcc, 0, v3
	v_cndmask_b32_e32 v3, 0, v5, vcc
	s_brev_b32 s2, 1
	v_and_or_b32 v1, v1, s2, v3
	v_cvt_i32_f32_e32 v5, v1
.LBB47_1183:
	s_mov_b64 s[2:3], 0
.LBB47_1184:
	s_andn2_b64 vcc, exec, s[2:3]
	s_cbranch_vccnz .LBB47_1186
; %bb.1185:
	global_load_ubyte v1, v[12:13], off
	s_movk_i32 s2, 0x7f00
	s_brev_b32 s3, 16
	s_waitcnt vmcnt(0)
	v_lshlrev_b16_e32 v3, 8, v1
	v_lshlrev_b32_e32 v1, 25, v1
	v_lshrrev_b32_e32 v5, 4, v1
	v_and_or_b32 v8, v3, s2, 0.5
	v_or_b32_e32 v5, 0x70000000, v5
	v_add_f32_e32 v8, -0.5, v8
	v_mul_f32_e32 v5, 0x7800000, v5
	v_cmp_gt_u32_e32 vcc, s3, v1
	v_bfe_i32 v3, v3, 0, 16
	v_cndmask_b32_e32 v1, v5, v8, vcc
	s_brev_b32 s2, 1
	v_and_or_b32 v1, v3, s2, v1
	v_cvt_i32_f32_e32 v5, v1
.LBB47_1186:
	s_mov_b64 s[6:7], -1
	s_mov_b64 s[4:5], 0
	s_cbranch_execnz .LBB47_1197
.LBB47_1187:
	s_cmp_gt_i32 s14, 14
	s_cbranch_scc0 .LBB47_1190
; %bb.1188:
	s_cmp_eq_u32 s14, 15
	s_cbranch_scc0 .LBB47_1193
; %bb.1189:
	global_load_ushort v1, v[12:13], off
	s_mov_b64 s[0:1], 0
	s_mov_b64 s[6:7], -1
	s_waitcnt vmcnt(0)
	v_lshlrev_b32_e32 v1, 16, v1
	v_cvt_i32_f32_e32 v5, v1
	s_branch .LBB47_1194
.LBB47_1190:
	s_mov_b64 s[2:3], -1
                                        ; implicit-def: $vgpr5
	s_branch .LBB47_1195
.LBB47_1191:
	s_andn2_saveexec_b64 s[2:3], s[2:3]
	s_cbranch_execz .LBB47_1173
.LBB47_1192:
	v_cmp_ne_u16_e32 vcc, 0, v1
	s_andn2_b64 s[4:5], s[4:5], exec
	s_and_b64 s[6:7], vcc, exec
	s_or_b64 s[4:5], s[4:5], s[6:7]
	s_or_b64 exec, exec, s[2:3]
	v_mov_b32_e32 v5, 0
	s_and_saveexec_b64 s[2:3], s[4:5]
	s_cbranch_execnz .LBB47_1174
	s_branch .LBB47_1175
.LBB47_1193:
	s_mov_b64 s[0:1], -1
                                        ; implicit-def: $vgpr5
.LBB47_1194:
	s_mov_b64 s[2:3], 0
.LBB47_1195:
	s_and_b64 vcc, exec, s[2:3]
	s_cbranch_vccz .LBB47_1197
; %bb.1196:
	s_cmp_lg_u32 s14, 11
	s_mov_b64 s[4:5], -1
	s_cselect_b64 s[0:1], -1, 0
.LBB47_1197:
	s_and_b64 vcc, exec, s[0:1]
	s_mov_b64 s[2:3], s[28:29]
	s_cbranch_vccnz .LBB47_1258
; %bb.1198:
	s_andn2_b64 vcc, exec, s[4:5]
	s_cbranch_vccnz .LBB47_1200
.LBB47_1199:
	global_load_ubyte v1, v[12:13], off
	s_mov_b64 s[6:7], -1
	s_waitcnt vmcnt(0)
	v_cmp_ne_u16_e32 vcc, 0, v1
	v_cndmask_b32_e64 v5, 0, 1, vcc
.LBB47_1200:
	s_branch .LBB47_1135
.LBB47_1201:
	s_and_b32 s4, 0xffff, s13
	s_cmp_lt_i32 s4, 5
	s_cbranch_scc1 .LBB47_1206
; %bb.1202:
	s_cmp_lt_i32 s4, 8
	s_cbranch_scc1 .LBB47_1207
; %bb.1203:
	;; [unrolled: 3-line block ×3, first 2 shown]
	s_cmp_gt_i32 s4, 9
	s_cbranch_scc0 .LBB47_1209
; %bb.1205:
	global_load_dwordx2 v[14:15], v[12:13], off
	s_mov_b64 s[0:1], 0
	s_waitcnt vmcnt(0)
	v_cvt_i32_f64_e32 v5, v[14:15]
	s_branch .LBB47_1210
.LBB47_1206:
                                        ; implicit-def: $vgpr5
	s_branch .LBB47_1227
.LBB47_1207:
                                        ; implicit-def: $vgpr5
	s_branch .LBB47_1216
.LBB47_1208:
	s_mov_b64 s[0:1], -1
                                        ; implicit-def: $vgpr5
	s_branch .LBB47_1213
.LBB47_1209:
	s_mov_b64 s[0:1], -1
                                        ; implicit-def: $vgpr5
.LBB47_1210:
	s_andn2_b64 vcc, exec, s[0:1]
	s_cbranch_vccnz .LBB47_1212
; %bb.1211:
	global_load_dword v1, v[12:13], off
	s_waitcnt vmcnt(0)
	v_cvt_i32_f32_e32 v5, v1
.LBB47_1212:
	s_mov_b64 s[0:1], 0
.LBB47_1213:
	s_andn2_b64 vcc, exec, s[0:1]
	s_cbranch_vccnz .LBB47_1215
; %bb.1214:
	global_load_dword v1, v[12:13], off
	s_waitcnt vmcnt(0)
	v_cvt_f32_f16_e32 v1, v1
	v_cvt_i32_f32_e32 v5, v1
.LBB47_1215:
	s_cbranch_execnz .LBB47_1226
.LBB47_1216:
	s_cmp_lt_i32 s4, 6
	s_cbranch_scc1 .LBB47_1219
; %bb.1217:
	s_cmp_gt_i32 s4, 6
	s_cbranch_scc0 .LBB47_1220
; %bb.1218:
	global_load_dwordx2 v[14:15], v[12:13], off
	s_mov_b64 s[0:1], 0
	s_waitcnt vmcnt(0)
	v_cvt_i32_f64_e32 v5, v[14:15]
	s_branch .LBB47_1221
.LBB47_1219:
	s_mov_b64 s[0:1], -1
                                        ; implicit-def: $vgpr5
	s_branch .LBB47_1224
.LBB47_1220:
	s_mov_b64 s[0:1], -1
                                        ; implicit-def: $vgpr5
.LBB47_1221:
	s_andn2_b64 vcc, exec, s[0:1]
	s_cbranch_vccnz .LBB47_1223
; %bb.1222:
	global_load_dword v1, v[12:13], off
	s_waitcnt vmcnt(0)
	v_cvt_i32_f32_e32 v5, v1
.LBB47_1223:
	s_mov_b64 s[0:1], 0
.LBB47_1224:
	s_andn2_b64 vcc, exec, s[0:1]
	s_cbranch_vccnz .LBB47_1226
; %bb.1225:
	global_load_ushort v1, v[12:13], off
	s_waitcnt vmcnt(0)
	v_cvt_f32_f16_e32 v1, v1
	v_cvt_i32_f32_e32 v5, v1
.LBB47_1226:
	s_cbranch_execnz .LBB47_1245
.LBB47_1227:
	s_cmp_lt_i32 s4, 2
	s_cbranch_scc1 .LBB47_1231
; %bb.1228:
	s_cmp_lt_i32 s4, 3
	s_cbranch_scc1 .LBB47_1232
; %bb.1229:
	s_cmp_gt_i32 s4, 3
	s_cbranch_scc0 .LBB47_1233
; %bb.1230:
	global_load_dword v5, v[12:13], off
	s_mov_b64 s[0:1], 0
	s_branch .LBB47_1234
.LBB47_1231:
                                        ; implicit-def: $vgpr5
	s_branch .LBB47_1240
.LBB47_1232:
	s_mov_b64 s[0:1], -1
                                        ; implicit-def: $vgpr5
	s_branch .LBB47_1237
.LBB47_1233:
	s_mov_b64 s[0:1], -1
                                        ; implicit-def: $vgpr5
.LBB47_1234:
	s_andn2_b64 vcc, exec, s[0:1]
	s_cbranch_vccnz .LBB47_1236
; %bb.1235:
	global_load_dword v5, v[12:13], off
.LBB47_1236:
	s_mov_b64 s[0:1], 0
.LBB47_1237:
	s_andn2_b64 vcc, exec, s[0:1]
	s_cbranch_vccnz .LBB47_1239
; %bb.1238:
	global_load_sshort v5, v[12:13], off
.LBB47_1239:
	s_cbranch_execnz .LBB47_1245
.LBB47_1240:
	s_cmp_gt_i32 s4, 0
	s_cbranch_scc0 .LBB47_1242
; %bb.1241:
	global_load_sbyte v5, v[12:13], off
	s_mov_b64 s[0:1], 0
	s_branch .LBB47_1243
.LBB47_1242:
	s_mov_b64 s[0:1], -1
                                        ; implicit-def: $vgpr5
.LBB47_1243:
	s_andn2_b64 vcc, exec, s[0:1]
	s_cbranch_vccnz .LBB47_1245
; %bb.1244:
	global_load_ubyte v5, v[12:13], off
.LBB47_1245:
.LBB47_1246:
	s_lshr_b32 s0, s12, 8
	v_mov_b32_e32 v1, s11
	s_and_b32 s14, s0, 0xff
	v_add_co_u32_e32 v10, vcc, s10, v11
	s_cmp_lt_i32 s14, 11
	v_addc_co_u32_e32 v11, vcc, 0, v1, vcc
	s_cbranch_scc1 .LBB47_1253
; %bb.1247:
	s_and_b32 s15, 0xffff, s14
	s_cmp_gt_i32 s15, 25
	s_mov_b64 s[4:5], 0
	s_cbranch_scc0 .LBB47_1255
; %bb.1248:
	s_cmp_gt_i32 s15, 28
	s_cbranch_scc0 .LBB47_1256
; %bb.1249:
	s_cmp_gt_i32 s15, 43
	;; [unrolled: 3-line block ×3, first 2 shown]
	s_cbranch_scc0 .LBB47_1259
; %bb.1251:
	s_cmp_eq_u32 s15, 46
	s_mov_b64 s[12:13], 0
	s_cbranch_scc0 .LBB47_1262
; %bb.1252:
	global_load_dword v1, v[10:11], off
	s_mov_b64 s[0:1], 0
	s_mov_b64 s[6:7], -1
	s_waitcnt vmcnt(0)
	v_lshlrev_b32_e32 v1, 16, v1
	v_cvt_i32_f32_e32 v3, v1
	s_branch .LBB47_1263
.LBB47_1253:
	s_mov_b64 s[6:7], 0
                                        ; implicit-def: $vgpr3
	s_cbranch_execnz .LBB47_1324
.LBB47_1254:
	s_andn2_b64 vcc, exec, s[6:7]
	s_cbranch_vccnz .LBB47_2055
	s_branch .LBB47_1371
.LBB47_1255:
	s_mov_b64 s[6:7], 0
	s_mov_b64 s[0:1], 0
                                        ; implicit-def: $vgpr3
	s_cbranch_execnz .LBB47_1290
	s_branch .LBB47_1320
.LBB47_1256:
	s_mov_b64 s[12:13], -1
	s_mov_b64 s[6:7], 0
	s_mov_b64 s[0:1], 0
                                        ; implicit-def: $vgpr3
	s_branch .LBB47_1273
.LBB47_1257:
	s_mov_b64 s[12:13], -1
	s_mov_b64 s[6:7], 0
	s_mov_b64 s[0:1], 0
                                        ; implicit-def: $vgpr3
	s_branch .LBB47_1268
.LBB47_1258:
	s_or_b64 s[2:3], s[28:29], exec
	s_trap 2
	s_cbranch_execz .LBB47_1199
	s_branch .LBB47_1200
.LBB47_1259:
	s_mov_b64 s[12:13], -1
	s_mov_b64 s[6:7], 0
	s_mov_b64 s[0:1], 0
                                        ; implicit-def: $vgpr3
	s_branch .LBB47_1263
.LBB47_1260:
	s_andn2_saveexec_b64 s[18:19], s[18:19]
	s_cbranch_execz .LBB47_991
.LBB47_1261:
	v_add_f32_e32 v0, 0x42800000, v3
	v_and_b32_e32 v0, 0xff, v0
	v_cmp_ne_u32_e32 vcc, 0, v0
	s_andn2_b64 s[16:17], s[16:17], exec
	s_and_b64 s[22:23], vcc, exec
	s_or_b64 s[16:17], s[16:17], s[22:23]
	s_or_b64 exec, exec, s[18:19]
	v_mov_b32_e32 v4, 0
	s_and_saveexec_b64 s[18:19], s[16:17]
	s_cbranch_execnz .LBB47_992
	s_branch .LBB47_993
.LBB47_1262:
	s_mov_b64 s[0:1], -1
                                        ; implicit-def: $vgpr3
	s_mov_b64 s[6:7], 0
.LBB47_1263:
	s_and_b64 vcc, exec, s[12:13]
	s_cbranch_vccz .LBB47_1267
; %bb.1264:
	s_cmp_eq_u32 s15, 44
	s_cbranch_scc0 .LBB47_1266
; %bb.1265:
	global_load_ubyte v1, v[10:11], off
	s_mov_b64 s[0:1], 0
	s_mov_b64 s[6:7], -1
	s_waitcnt vmcnt(0)
	v_lshlrev_b32_e32 v3, 23, v1
	v_cvt_i32_f32_e32 v3, v3
	v_cmp_ne_u32_e32 vcc, 0, v1
	v_cndmask_b32_e32 v3, 0, v3, vcc
	s_branch .LBB47_1267
.LBB47_1266:
	s_mov_b64 s[0:1], -1
                                        ; implicit-def: $vgpr3
.LBB47_1267:
	s_mov_b64 s[12:13], 0
.LBB47_1268:
	s_and_b64 vcc, exec, s[12:13]
	s_cbranch_vccz .LBB47_1272
; %bb.1269:
	s_cmp_eq_u32 s15, 29
	s_cbranch_scc0 .LBB47_1271
; %bb.1270:
	global_load_dword v3, v[10:11], off
	s_mov_b64 s[0:1], 0
	s_mov_b64 s[6:7], -1
	s_branch .LBB47_1272
.LBB47_1271:
	s_mov_b64 s[0:1], -1
                                        ; implicit-def: $vgpr3
.LBB47_1272:
	s_mov_b64 s[12:13], 0
.LBB47_1273:
	s_and_b64 vcc, exec, s[12:13]
	s_cbranch_vccz .LBB47_1289
; %bb.1274:
	s_cmp_lt_i32 s15, 27
	s_cbranch_scc1 .LBB47_1277
; %bb.1275:
	s_cmp_gt_i32 s15, 27
	s_cbranch_scc0 .LBB47_1278
; %bb.1276:
	global_load_dword v3, v[10:11], off
	s_mov_b64 s[6:7], 0
	s_branch .LBB47_1279
.LBB47_1277:
	s_mov_b64 s[6:7], -1
                                        ; implicit-def: $vgpr3
	s_branch .LBB47_1282
.LBB47_1278:
	s_mov_b64 s[6:7], -1
                                        ; implicit-def: $vgpr3
.LBB47_1279:
	s_andn2_b64 vcc, exec, s[6:7]
	s_cbranch_vccnz .LBB47_1281
; %bb.1280:
	global_load_ushort v3, v[10:11], off
.LBB47_1281:
	s_mov_b64 s[6:7], 0
.LBB47_1282:
	s_andn2_b64 vcc, exec, s[6:7]
	s_cbranch_vccnz .LBB47_1288
; %bb.1283:
	global_load_ubyte v1, v[10:11], off
	s_movk_i32 s6, 0x7f
	s_mov_b64 s[12:13], 0
	s_waitcnt vmcnt(0)
	v_cmp_lt_i16_e32 vcc, s6, v1
	s_and_saveexec_b64 s[6:7], vcc
	s_xor_b64 s[6:7], exec, s[6:7]
	s_cbranch_execz .LBB47_1299
; %bb.1284:
	s_movk_i32 s12, 0x80
	v_cmp_ne_u16_e32 vcc, s12, v1
	s_and_b64 s[12:13], vcc, exec
	s_andn2_saveexec_b64 s[6:7], s[6:7]
	s_cbranch_execnz .LBB47_1300
.LBB47_1285:
	s_or_b64 exec, exec, s[6:7]
	v_mov_b32_e32 v3, 0
	s_and_saveexec_b64 s[6:7], s[12:13]
	s_cbranch_execz .LBB47_1287
.LBB47_1286:
	v_lshlrev_b32_e32 v3, 24, v1
	v_and_b32_e32 v1, 0xffff, v1
	v_and_b32_e32 v8, 7, v1
	v_ffbh_u32_e32 v13, v8
	v_min_u32_e32 v13, 32, v13
	v_subrev_u32_e32 v14, 28, v13
	v_bfe_u32 v12, v1, 3, 4
	v_lshlrev_b32_e32 v1, v14, v1
	v_sub_u32_e32 v13, 29, v13
	v_and_b32_e32 v1, 7, v1
	v_cmp_eq_u32_e32 vcc, 0, v12
	v_cndmask_b32_e32 v12, v12, v13, vcc
	v_cndmask_b32_e32 v1, v8, v1, vcc
	v_mov_b32_e32 v8, 0x3b800000
	v_lshlrev_b32_e32 v1, 20, v1
	v_and_b32_e32 v3, 0x80000000, v3
	v_lshl_add_u32 v8, v12, 23, v8
	v_or3_b32 v1, v3, v8, v1
	v_cvt_i32_f32_e32 v3, v1
.LBB47_1287:
	s_or_b64 exec, exec, s[6:7]
.LBB47_1288:
	s_mov_b64 s[6:7], -1
.LBB47_1289:
	s_branch .LBB47_1320
.LBB47_1290:
	s_cmp_gt_i32 s15, 22
	s_cbranch_scc0 .LBB47_1298
; %bb.1291:
	s_cmp_lt_i32 s15, 24
	s_cbranch_scc1 .LBB47_1301
; %bb.1292:
	s_cmp_gt_i32 s15, 24
	s_cbranch_scc0 .LBB47_1302
; %bb.1293:
	global_load_ubyte v1, v[10:11], off
	s_movk_i32 s4, 0x7f
	s_mov_b64 s[6:7], 0
	s_waitcnt vmcnt(0)
	v_cmp_lt_i16_e32 vcc, s4, v1
	s_and_saveexec_b64 s[4:5], vcc
	s_xor_b64 s[4:5], exec, s[4:5]
	s_cbranch_execz .LBB47_1314
; %bb.1294:
	s_movk_i32 s6, 0x80
	v_cmp_ne_u16_e32 vcc, s6, v1
	s_and_b64 s[6:7], vcc, exec
	s_andn2_saveexec_b64 s[4:5], s[4:5]
	s_cbranch_execnz .LBB47_1315
.LBB47_1295:
	s_or_b64 exec, exec, s[4:5]
	v_mov_b32_e32 v3, 0
	s_and_saveexec_b64 s[4:5], s[6:7]
	s_cbranch_execz .LBB47_1297
.LBB47_1296:
	v_lshlrev_b32_e32 v3, 24, v1
	v_and_b32_e32 v1, 0xffff, v1
	v_and_b32_e32 v8, 3, v1
	v_ffbh_u32_e32 v13, v8
	v_min_u32_e32 v13, 32, v13
	v_subrev_u32_e32 v14, 29, v13
	v_bfe_u32 v12, v1, 2, 5
	v_lshlrev_b32_e32 v1, v14, v1
	v_sub_u32_e32 v13, 30, v13
	v_and_b32_e32 v1, 3, v1
	v_cmp_eq_u32_e32 vcc, 0, v12
	v_cndmask_b32_e32 v12, v12, v13, vcc
	v_cndmask_b32_e32 v1, v8, v1, vcc
	v_mov_b32_e32 v8, 0x37800000
	v_lshlrev_b32_e32 v1, 21, v1
	v_and_b32_e32 v3, 0x80000000, v3
	v_lshl_add_u32 v8, v12, 23, v8
	v_or3_b32 v1, v3, v8, v1
	v_cvt_i32_f32_e32 v3, v1
.LBB47_1297:
	s_or_b64 exec, exec, s[4:5]
	s_mov_b64 s[4:5], 0
	s_branch .LBB47_1303
.LBB47_1298:
	s_mov_b64 s[4:5], -1
                                        ; implicit-def: $vgpr3
	s_branch .LBB47_1309
.LBB47_1299:
	s_andn2_saveexec_b64 s[6:7], s[6:7]
	s_cbranch_execz .LBB47_1285
.LBB47_1300:
	v_cmp_ne_u16_e32 vcc, 0, v1
	s_andn2_b64 s[12:13], s[12:13], exec
	s_and_b64 s[16:17], vcc, exec
	s_or_b64 s[12:13], s[12:13], s[16:17]
	s_or_b64 exec, exec, s[6:7]
	v_mov_b32_e32 v3, 0
	s_and_saveexec_b64 s[6:7], s[12:13]
	s_cbranch_execnz .LBB47_1286
	s_branch .LBB47_1287
.LBB47_1301:
	s_mov_b64 s[4:5], -1
                                        ; implicit-def: $vgpr3
	s_branch .LBB47_1306
.LBB47_1302:
	s_mov_b64 s[4:5], -1
                                        ; implicit-def: $vgpr3
.LBB47_1303:
	s_and_b64 vcc, exec, s[4:5]
	s_cbranch_vccz .LBB47_1305
; %bb.1304:
	global_load_ubyte v1, v[10:11], off
	s_mov_b32 s4, 0x7f800000
	s_waitcnt vmcnt(0)
	v_lshlrev_b32_e32 v1, 24, v1
	v_and_b32_e32 v3, 0x7f000000, v1
	v_ffbh_u32_e32 v8, v3
	v_min_u32_e32 v8, 32, v8
	v_sub_u32_e64 v8, v8, 4 clamp
	v_lshlrev_b32_e32 v13, v8, v3
	v_lshlrev_b32_e32 v8, 23, v8
	v_lshrrev_b32_e32 v13, 4, v13
	v_add_u32_e32 v12, 0x1000000, v3
	v_sub_u32_e32 v8, v13, v8
	v_ashrrev_i32_e32 v12, 8, v12
	v_add_u32_e32 v8, 0x3c000000, v8
	v_and_or_b32 v8, v12, s4, v8
	v_cmp_ne_u32_e32 vcc, 0, v3
	v_cndmask_b32_e32 v3, 0, v8, vcc
	s_brev_b32 s4, 1
	v_and_or_b32 v1, v1, s4, v3
	v_cvt_i32_f32_e32 v3, v1
.LBB47_1305:
	s_mov_b64 s[4:5], 0
.LBB47_1306:
	s_andn2_b64 vcc, exec, s[4:5]
	s_cbranch_vccnz .LBB47_1308
; %bb.1307:
	global_load_ubyte v1, v[10:11], off
	s_movk_i32 s4, 0x7f00
	s_brev_b32 s5, 16
	s_waitcnt vmcnt(0)
	v_lshlrev_b16_e32 v3, 8, v1
	v_lshlrev_b32_e32 v1, 25, v1
	v_lshrrev_b32_e32 v8, 4, v1
	v_and_or_b32 v12, v3, s4, 0.5
	v_or_b32_e32 v8, 0x70000000, v8
	v_add_f32_e32 v12, -0.5, v12
	v_mul_f32_e32 v8, 0x7800000, v8
	v_cmp_gt_u32_e32 vcc, s5, v1
	v_bfe_i32 v3, v3, 0, 16
	v_cndmask_b32_e32 v1, v8, v12, vcc
	s_brev_b32 s4, 1
	v_and_or_b32 v1, v3, s4, v1
	v_cvt_i32_f32_e32 v3, v1
.LBB47_1308:
	s_mov_b64 s[4:5], 0
	s_mov_b64 s[6:7], -1
.LBB47_1309:
	s_andn2_b64 vcc, exec, s[4:5]
	s_mov_b64 s[4:5], 0
	s_cbranch_vccnz .LBB47_1320
; %bb.1310:
	s_cmp_gt_i32 s15, 14
	s_cbranch_scc0 .LBB47_1313
; %bb.1311:
	s_cmp_eq_u32 s15, 15
	s_cbranch_scc0 .LBB47_1316
; %bb.1312:
	global_load_ushort v1, v[10:11], off
	s_mov_b64 s[0:1], 0
	s_mov_b64 s[6:7], -1
	s_waitcnt vmcnt(0)
	v_lshlrev_b32_e32 v1, 16, v1
	v_cvt_i32_f32_e32 v3, v1
	s_branch .LBB47_1317
.LBB47_1313:
	s_mov_b64 s[12:13], -1
                                        ; implicit-def: $vgpr3
	s_branch .LBB47_1318
.LBB47_1314:
	s_andn2_saveexec_b64 s[4:5], s[4:5]
	s_cbranch_execz .LBB47_1295
.LBB47_1315:
	v_cmp_ne_u16_e32 vcc, 0, v1
	s_andn2_b64 s[6:7], s[6:7], exec
	s_and_b64 s[12:13], vcc, exec
	s_or_b64 s[6:7], s[6:7], s[12:13]
	s_or_b64 exec, exec, s[4:5]
	v_mov_b32_e32 v3, 0
	s_and_saveexec_b64 s[4:5], s[6:7]
	s_cbranch_execnz .LBB47_1296
	s_branch .LBB47_1297
.LBB47_1316:
	s_mov_b64 s[0:1], -1
                                        ; implicit-def: $vgpr3
.LBB47_1317:
	s_mov_b64 s[12:13], 0
.LBB47_1318:
	s_and_b64 vcc, exec, s[12:13]
	s_cbranch_vccz .LBB47_1320
; %bb.1319:
	s_cmp_lg_u32 s15, 11
	s_mov_b64 s[4:5], -1
	s_cselect_b64 s[0:1], -1, 0
.LBB47_1320:
	s_and_b64 vcc, exec, s[0:1]
	s_cbranch_vccnz .LBB47_1383
; %bb.1321:
	s_andn2_b64 vcc, exec, s[4:5]
	s_cbranch_vccnz .LBB47_1323
.LBB47_1322:
	global_load_ubyte v1, v[10:11], off
	s_mov_b64 s[6:7], -1
	s_waitcnt vmcnt(0)
	v_cmp_ne_u16_e32 vcc, 0, v1
	v_cndmask_b32_e64 v3, 0, 1, vcc
.LBB47_1323:
	s_branch .LBB47_1254
.LBB47_1324:
	s_and_b32 s4, 0xffff, s14
	s_cmp_lt_i32 s4, 5
	s_cbranch_scc1 .LBB47_1329
; %bb.1325:
	s_cmp_lt_i32 s4, 8
	s_cbranch_scc1 .LBB47_1330
; %bb.1326:
	;; [unrolled: 3-line block ×3, first 2 shown]
	s_cmp_gt_i32 s4, 9
	s_cbranch_scc0 .LBB47_1332
; %bb.1328:
	global_load_dwordx2 v[12:13], v[10:11], off
	s_mov_b64 s[0:1], 0
	s_waitcnt vmcnt(0)
	v_cvt_i32_f64_e32 v3, v[12:13]
	s_branch .LBB47_1333
.LBB47_1329:
                                        ; implicit-def: $vgpr3
	s_branch .LBB47_1351
.LBB47_1330:
	s_mov_b64 s[0:1], -1
                                        ; implicit-def: $vgpr3
	s_branch .LBB47_1339
.LBB47_1331:
	s_mov_b64 s[0:1], -1
                                        ; implicit-def: $vgpr3
	s_branch .LBB47_1336
.LBB47_1332:
	s_mov_b64 s[0:1], -1
                                        ; implicit-def: $vgpr3
.LBB47_1333:
	s_andn2_b64 vcc, exec, s[0:1]
	s_cbranch_vccnz .LBB47_1335
; %bb.1334:
	global_load_dword v1, v[10:11], off
	s_waitcnt vmcnt(0)
	v_cvt_i32_f32_e32 v3, v1
.LBB47_1335:
	s_mov_b64 s[0:1], 0
.LBB47_1336:
	s_andn2_b64 vcc, exec, s[0:1]
	s_cbranch_vccnz .LBB47_1338
; %bb.1337:
	global_load_dword v1, v[10:11], off
	s_waitcnt vmcnt(0)
	v_cvt_f32_f16_e32 v1, v1
	v_cvt_i32_f32_e32 v3, v1
.LBB47_1338:
	s_mov_b64 s[0:1], 0
.LBB47_1339:
	s_andn2_b64 vcc, exec, s[0:1]
	s_cbranch_vccnz .LBB47_1350
; %bb.1340:
	s_cmp_lt_i32 s4, 6
	s_cbranch_scc1 .LBB47_1343
; %bb.1341:
	s_cmp_gt_i32 s4, 6
	s_cbranch_scc0 .LBB47_1344
; %bb.1342:
	global_load_dwordx2 v[12:13], v[10:11], off
	s_mov_b64 s[0:1], 0
	s_waitcnt vmcnt(0)
	v_cvt_i32_f64_e32 v3, v[12:13]
	s_branch .LBB47_1345
.LBB47_1343:
	s_mov_b64 s[0:1], -1
                                        ; implicit-def: $vgpr3
	s_branch .LBB47_1348
.LBB47_1344:
	s_mov_b64 s[0:1], -1
                                        ; implicit-def: $vgpr3
.LBB47_1345:
	s_andn2_b64 vcc, exec, s[0:1]
	s_cbranch_vccnz .LBB47_1347
; %bb.1346:
	global_load_dword v1, v[10:11], off
	s_waitcnt vmcnt(0)
	v_cvt_i32_f32_e32 v3, v1
.LBB47_1347:
	s_mov_b64 s[0:1], 0
.LBB47_1348:
	s_andn2_b64 vcc, exec, s[0:1]
	s_cbranch_vccnz .LBB47_1350
; %bb.1349:
	global_load_ushort v1, v[10:11], off
	s_waitcnt vmcnt(0)
	v_cvt_f32_f16_e32 v1, v1
	v_cvt_i32_f32_e32 v3, v1
.LBB47_1350:
	s_cbranch_execnz .LBB47_1370
.LBB47_1351:
	s_cmp_lt_i32 s4, 2
	s_cbranch_scc1 .LBB47_1355
; %bb.1352:
	s_cmp_lt_i32 s4, 3
	s_cbranch_scc1 .LBB47_1356
; %bb.1353:
	s_cmp_gt_i32 s4, 3
	s_cbranch_scc0 .LBB47_1357
; %bb.1354:
	global_load_dword v3, v[10:11], off
	s_mov_b64 s[0:1], 0
	s_branch .LBB47_1358
.LBB47_1355:
	s_mov_b64 s[0:1], -1
                                        ; implicit-def: $vgpr3
	s_branch .LBB47_1364
.LBB47_1356:
	s_mov_b64 s[0:1], -1
                                        ; implicit-def: $vgpr3
	s_branch .LBB47_1361
.LBB47_1357:
	s_mov_b64 s[0:1], -1
                                        ; implicit-def: $vgpr3
.LBB47_1358:
	s_andn2_b64 vcc, exec, s[0:1]
	s_cbranch_vccnz .LBB47_1360
; %bb.1359:
	global_load_dword v3, v[10:11], off
.LBB47_1360:
	s_mov_b64 s[0:1], 0
.LBB47_1361:
	s_andn2_b64 vcc, exec, s[0:1]
	s_cbranch_vccnz .LBB47_1363
; %bb.1362:
	global_load_sshort v3, v[10:11], off
.LBB47_1363:
	s_mov_b64 s[0:1], 0
.LBB47_1364:
	s_andn2_b64 vcc, exec, s[0:1]
	s_cbranch_vccnz .LBB47_1370
; %bb.1365:
	s_cmp_gt_i32 s4, 0
	s_cbranch_scc0 .LBB47_1367
; %bb.1366:
	global_load_sbyte v3, v[10:11], off
	s_mov_b64 s[0:1], 0
	s_branch .LBB47_1368
.LBB47_1367:
	s_mov_b64 s[0:1], -1
                                        ; implicit-def: $vgpr3
.LBB47_1368:
	s_andn2_b64 vcc, exec, s[0:1]
	s_cbranch_vccnz .LBB47_1370
; %bb.1369:
	global_load_ubyte v3, v[10:11], off
.LBB47_1370:
.LBB47_1371:
	v_mov_b32_e32 v1, s11
	v_add_co_u32_e32 v8, vcc, s10, v9
	s_cmp_lt_i32 s14, 11
	v_addc_co_u32_e32 v9, vcc, 0, v1, vcc
	s_cbranch_scc1 .LBB47_1378
; %bb.1372:
	s_and_b32 s15, 0xffff, s14
	s_cmp_gt_i32 s15, 25
	s_mov_b64 s[4:5], 0
	s_cbranch_scc0 .LBB47_1380
; %bb.1373:
	s_cmp_gt_i32 s15, 28
	s_cbranch_scc0 .LBB47_1381
; %bb.1374:
	s_cmp_gt_i32 s15, 43
	;; [unrolled: 3-line block ×3, first 2 shown]
	s_cbranch_scc0 .LBB47_1384
; %bb.1376:
	s_cmp_eq_u32 s15, 46
	s_mov_b64 s[12:13], 0
	s_cbranch_scc0 .LBB47_1385
; %bb.1377:
	global_load_dword v1, v[8:9], off
	s_mov_b64 s[0:1], 0
	s_mov_b64 s[6:7], -1
	s_waitcnt vmcnt(0)
	v_lshlrev_b32_e32 v1, 16, v1
	v_cvt_i32_f32_e32 v1, v1
	s_branch .LBB47_1386
.LBB47_1378:
	s_mov_b64 s[6:7], 0
                                        ; implicit-def: $vgpr1
	s_cbranch_execnz .LBB47_1448
.LBB47_1379:
	s_andn2_b64 vcc, exec, s[6:7]
	s_cbranch_vccnz .LBB47_2055
	s_branch .LBB47_1496
.LBB47_1380:
	s_mov_b64 s[12:13], -1
	s_mov_b64 s[6:7], 0
	s_mov_b64 s[0:1], 0
                                        ; implicit-def: $vgpr1
	s_branch .LBB47_1413
.LBB47_1381:
	s_mov_b64 s[12:13], -1
	s_mov_b64 s[6:7], 0
	s_mov_b64 s[0:1], 0
                                        ; implicit-def: $vgpr1
	s_branch .LBB47_1396
.LBB47_1382:
	s_mov_b64 s[12:13], -1
	s_mov_b64 s[6:7], 0
	s_mov_b64 s[0:1], 0
                                        ; implicit-def: $vgpr1
	s_branch .LBB47_1391
.LBB47_1383:
	s_trap 2
	s_or_b64 s[2:3], s[2:3], exec
	s_cbranch_execz .LBB47_1322
	s_branch .LBB47_1323
.LBB47_1384:
	s_mov_b64 s[12:13], -1
	s_mov_b64 s[6:7], 0
	s_mov_b64 s[0:1], 0
                                        ; implicit-def: $vgpr1
	s_branch .LBB47_1386
.LBB47_1385:
	s_mov_b64 s[0:1], -1
                                        ; implicit-def: $vgpr1
	s_mov_b64 s[6:7], 0
.LBB47_1386:
	s_and_b64 vcc, exec, s[12:13]
	s_cbranch_vccz .LBB47_1390
; %bb.1387:
	s_cmp_eq_u32 s15, 44
	s_cbranch_scc0 .LBB47_1389
; %bb.1388:
	global_load_ubyte v1, v[8:9], off
	s_mov_b64 s[0:1], 0
	s_mov_b64 s[6:7], -1
	s_waitcnt vmcnt(0)
	v_lshlrev_b32_e32 v10, 23, v1
	v_cvt_i32_f32_e32 v10, v10
	v_cmp_ne_u32_e32 vcc, 0, v1
	v_cndmask_b32_e32 v1, 0, v10, vcc
	s_branch .LBB47_1390
.LBB47_1389:
	s_mov_b64 s[0:1], -1
                                        ; implicit-def: $vgpr1
.LBB47_1390:
	s_mov_b64 s[12:13], 0
.LBB47_1391:
	s_and_b64 vcc, exec, s[12:13]
	s_cbranch_vccz .LBB47_1395
; %bb.1392:
	s_cmp_eq_u32 s15, 29
	s_cbranch_scc0 .LBB47_1394
; %bb.1393:
	global_load_dword v1, v[8:9], off
	s_mov_b64 s[0:1], 0
	s_mov_b64 s[6:7], -1
	s_branch .LBB47_1395
.LBB47_1394:
	s_mov_b64 s[0:1], -1
                                        ; implicit-def: $vgpr1
.LBB47_1395:
	s_mov_b64 s[12:13], 0
.LBB47_1396:
	s_and_b64 vcc, exec, s[12:13]
	s_cbranch_vccz .LBB47_1412
; %bb.1397:
	s_cmp_lt_i32 s15, 27
	s_cbranch_scc1 .LBB47_1400
; %bb.1398:
	s_cmp_gt_i32 s15, 27
	s_cbranch_scc0 .LBB47_1401
; %bb.1399:
	global_load_dword v1, v[8:9], off
	s_mov_b64 s[6:7], 0
	s_branch .LBB47_1402
.LBB47_1400:
	s_mov_b64 s[6:7], -1
                                        ; implicit-def: $vgpr1
	s_branch .LBB47_1405
.LBB47_1401:
	s_mov_b64 s[6:7], -1
                                        ; implicit-def: $vgpr1
.LBB47_1402:
	s_andn2_b64 vcc, exec, s[6:7]
	s_cbranch_vccnz .LBB47_1404
; %bb.1403:
	global_load_ushort v1, v[8:9], off
.LBB47_1404:
	s_mov_b64 s[6:7], 0
.LBB47_1405:
	s_andn2_b64 vcc, exec, s[6:7]
	s_cbranch_vccnz .LBB47_1411
; %bb.1406:
	global_load_ubyte v10, v[8:9], off
	s_movk_i32 s6, 0x7f
	s_mov_b64 s[12:13], 0
	s_waitcnt vmcnt(0)
	v_cmp_lt_i16_e32 vcc, s6, v10
	s_and_saveexec_b64 s[6:7], vcc
	s_xor_b64 s[6:7], exec, s[6:7]
	s_cbranch_execz .LBB47_1423
; %bb.1407:
	s_movk_i32 s12, 0x80
	v_cmp_ne_u16_e32 vcc, s12, v10
	s_and_b64 s[12:13], vcc, exec
	s_andn2_saveexec_b64 s[6:7], s[6:7]
	s_cbranch_execnz .LBB47_1424
.LBB47_1408:
	s_or_b64 exec, exec, s[6:7]
	v_mov_b32_e32 v1, 0
	s_and_saveexec_b64 s[6:7], s[12:13]
	s_cbranch_execz .LBB47_1410
.LBB47_1409:
	v_lshlrev_b32_e32 v1, 24, v10
	v_and_b32_e32 v10, 0xffff, v10
	v_and_b32_e32 v11, 7, v10
	v_ffbh_u32_e32 v13, v11
	v_min_u32_e32 v13, 32, v13
	v_subrev_u32_e32 v14, 28, v13
	v_bfe_u32 v12, v10, 3, 4
	v_lshlrev_b32_e32 v10, v14, v10
	v_sub_u32_e32 v13, 29, v13
	v_and_b32_e32 v10, 7, v10
	v_cmp_eq_u32_e32 vcc, 0, v12
	v_cndmask_b32_e32 v12, v12, v13, vcc
	v_cndmask_b32_e32 v10, v11, v10, vcc
	v_mov_b32_e32 v11, 0x3b800000
	v_lshlrev_b32_e32 v10, 20, v10
	v_and_b32_e32 v1, 0x80000000, v1
	v_lshl_add_u32 v11, v12, 23, v11
	v_or3_b32 v1, v1, v11, v10
	v_cvt_i32_f32_e32 v1, v1
.LBB47_1410:
	s_or_b64 exec, exec, s[6:7]
.LBB47_1411:
	s_mov_b64 s[6:7], -1
.LBB47_1412:
	s_mov_b64 s[12:13], 0
.LBB47_1413:
	s_and_b64 vcc, exec, s[12:13]
	s_cbranch_vccz .LBB47_1444
; %bb.1414:
	s_cmp_gt_i32 s15, 22
	s_cbranch_scc0 .LBB47_1422
; %bb.1415:
	s_cmp_lt_i32 s15, 24
	s_cbranch_scc1 .LBB47_1425
; %bb.1416:
	s_cmp_gt_i32 s15, 24
	s_cbranch_scc0 .LBB47_1426
; %bb.1417:
	global_load_ubyte v10, v[8:9], off
	s_movk_i32 s4, 0x7f
	s_mov_b64 s[6:7], 0
	s_waitcnt vmcnt(0)
	v_cmp_lt_i16_e32 vcc, s4, v10
	s_and_saveexec_b64 s[4:5], vcc
	s_xor_b64 s[4:5], exec, s[4:5]
	s_cbranch_execz .LBB47_1438
; %bb.1418:
	s_movk_i32 s6, 0x80
	v_cmp_ne_u16_e32 vcc, s6, v10
	s_and_b64 s[6:7], vcc, exec
	s_andn2_saveexec_b64 s[4:5], s[4:5]
	s_cbranch_execnz .LBB47_1439
.LBB47_1419:
	s_or_b64 exec, exec, s[4:5]
	v_mov_b32_e32 v1, 0
	s_and_saveexec_b64 s[4:5], s[6:7]
	s_cbranch_execz .LBB47_1421
.LBB47_1420:
	v_lshlrev_b32_e32 v1, 24, v10
	v_and_b32_e32 v10, 0xffff, v10
	v_and_b32_e32 v11, 3, v10
	v_ffbh_u32_e32 v13, v11
	v_min_u32_e32 v13, 32, v13
	v_subrev_u32_e32 v14, 29, v13
	v_bfe_u32 v12, v10, 2, 5
	v_lshlrev_b32_e32 v10, v14, v10
	v_sub_u32_e32 v13, 30, v13
	v_and_b32_e32 v10, 3, v10
	v_cmp_eq_u32_e32 vcc, 0, v12
	v_cndmask_b32_e32 v12, v12, v13, vcc
	v_cndmask_b32_e32 v10, v11, v10, vcc
	v_mov_b32_e32 v11, 0x37800000
	v_lshlrev_b32_e32 v10, 21, v10
	v_and_b32_e32 v1, 0x80000000, v1
	v_lshl_add_u32 v11, v12, 23, v11
	v_or3_b32 v1, v1, v11, v10
	v_cvt_i32_f32_e32 v1, v1
.LBB47_1421:
	s_or_b64 exec, exec, s[4:5]
	s_mov_b64 s[4:5], 0
	s_branch .LBB47_1427
.LBB47_1422:
	s_mov_b64 s[4:5], -1
                                        ; implicit-def: $vgpr1
	s_branch .LBB47_1433
.LBB47_1423:
	s_andn2_saveexec_b64 s[6:7], s[6:7]
	s_cbranch_execz .LBB47_1408
.LBB47_1424:
	v_cmp_ne_u16_e32 vcc, 0, v10
	s_andn2_b64 s[12:13], s[12:13], exec
	s_and_b64 s[16:17], vcc, exec
	s_or_b64 s[12:13], s[12:13], s[16:17]
	s_or_b64 exec, exec, s[6:7]
	v_mov_b32_e32 v1, 0
	s_and_saveexec_b64 s[6:7], s[12:13]
	s_cbranch_execnz .LBB47_1409
	s_branch .LBB47_1410
.LBB47_1425:
	s_mov_b64 s[4:5], -1
                                        ; implicit-def: $vgpr1
	s_branch .LBB47_1430
.LBB47_1426:
	s_mov_b64 s[4:5], -1
                                        ; implicit-def: $vgpr1
.LBB47_1427:
	s_and_b64 vcc, exec, s[4:5]
	s_cbranch_vccz .LBB47_1429
; %bb.1428:
	global_load_ubyte v1, v[8:9], off
	s_mov_b32 s4, 0x7f800000
	s_waitcnt vmcnt(0)
	v_lshlrev_b32_e32 v1, 24, v1
	v_and_b32_e32 v10, 0x7f000000, v1
	v_ffbh_u32_e32 v11, v10
	v_min_u32_e32 v11, 32, v11
	v_sub_u32_e64 v11, v11, 4 clamp
	v_lshlrev_b32_e32 v13, v11, v10
	v_lshlrev_b32_e32 v11, 23, v11
	v_lshrrev_b32_e32 v13, 4, v13
	v_add_u32_e32 v12, 0x1000000, v10
	v_sub_u32_e32 v11, v13, v11
	v_ashrrev_i32_e32 v12, 8, v12
	v_add_u32_e32 v11, 0x3c000000, v11
	v_and_or_b32 v11, v12, s4, v11
	v_cmp_ne_u32_e32 vcc, 0, v10
	v_cndmask_b32_e32 v10, 0, v11, vcc
	s_brev_b32 s4, 1
	v_and_or_b32 v1, v1, s4, v10
	v_cvt_i32_f32_e32 v1, v1
.LBB47_1429:
	s_mov_b64 s[4:5], 0
.LBB47_1430:
	s_andn2_b64 vcc, exec, s[4:5]
	s_cbranch_vccnz .LBB47_1432
; %bb.1431:
	global_load_ubyte v1, v[8:9], off
	s_movk_i32 s4, 0x7f00
	s_brev_b32 s5, 16
	s_waitcnt vmcnt(0)
	v_lshlrev_b16_e32 v10, 8, v1
	v_lshlrev_b32_e32 v1, 25, v1
	v_lshrrev_b32_e32 v11, 4, v1
	v_and_or_b32 v12, v10, s4, 0.5
	v_or_b32_e32 v11, 0x70000000, v11
	v_add_f32_e32 v12, -0.5, v12
	v_mul_f32_e32 v11, 0x7800000, v11
	v_cmp_gt_u32_e32 vcc, s5, v1
	v_bfe_i32 v10, v10, 0, 16
	v_cndmask_b32_e32 v1, v11, v12, vcc
	s_brev_b32 s4, 1
	v_and_or_b32 v1, v10, s4, v1
	v_cvt_i32_f32_e32 v1, v1
.LBB47_1432:
	s_mov_b64 s[4:5], 0
	s_mov_b64 s[6:7], -1
.LBB47_1433:
	s_andn2_b64 vcc, exec, s[4:5]
	s_mov_b64 s[4:5], 0
	s_cbranch_vccnz .LBB47_1444
; %bb.1434:
	s_cmp_gt_i32 s15, 14
	s_cbranch_scc0 .LBB47_1437
; %bb.1435:
	s_cmp_eq_u32 s15, 15
	s_cbranch_scc0 .LBB47_1440
; %bb.1436:
	global_load_ushort v1, v[8:9], off
	s_mov_b64 s[0:1], 0
	s_mov_b64 s[6:7], -1
	s_waitcnt vmcnt(0)
	v_lshlrev_b32_e32 v1, 16, v1
	v_cvt_i32_f32_e32 v1, v1
	s_branch .LBB47_1441
.LBB47_1437:
	s_mov_b64 s[12:13], -1
                                        ; implicit-def: $vgpr1
	s_branch .LBB47_1442
.LBB47_1438:
	s_andn2_saveexec_b64 s[4:5], s[4:5]
	s_cbranch_execz .LBB47_1419
.LBB47_1439:
	v_cmp_ne_u16_e32 vcc, 0, v10
	s_andn2_b64 s[6:7], s[6:7], exec
	s_and_b64 s[12:13], vcc, exec
	s_or_b64 s[6:7], s[6:7], s[12:13]
	s_or_b64 exec, exec, s[4:5]
	v_mov_b32_e32 v1, 0
	s_and_saveexec_b64 s[4:5], s[6:7]
	s_cbranch_execnz .LBB47_1420
	s_branch .LBB47_1421
.LBB47_1440:
	s_mov_b64 s[0:1], -1
                                        ; implicit-def: $vgpr1
.LBB47_1441:
	s_mov_b64 s[12:13], 0
.LBB47_1442:
	s_and_b64 vcc, exec, s[12:13]
	s_cbranch_vccz .LBB47_1444
; %bb.1443:
	s_cmp_lg_u32 s15, 11
	s_mov_b64 s[4:5], -1
	s_cselect_b64 s[0:1], -1, 0
.LBB47_1444:
	s_and_b64 vcc, exec, s[0:1]
	s_cbranch_vccnz .LBB47_1507
; %bb.1445:
	s_andn2_b64 vcc, exec, s[4:5]
	s_cbranch_vccnz .LBB47_1447
.LBB47_1446:
	global_load_ubyte v1, v[8:9], off
	s_mov_b64 s[6:7], -1
	s_waitcnt vmcnt(0)
	v_cmp_ne_u16_e32 vcc, 0, v1
	v_cndmask_b32_e64 v1, 0, 1, vcc
.LBB47_1447:
	s_branch .LBB47_1379
.LBB47_1448:
	s_and_b32 s4, 0xffff, s14
	s_cmp_lt_i32 s4, 5
	s_cbranch_scc1 .LBB47_1453
; %bb.1449:
	s_cmp_lt_i32 s4, 8
	s_cbranch_scc1 .LBB47_1454
; %bb.1450:
	;; [unrolled: 3-line block ×3, first 2 shown]
	s_cmp_gt_i32 s4, 9
	s_cbranch_scc0 .LBB47_1456
; %bb.1452:
	global_load_dwordx2 v[10:11], v[8:9], off
	s_mov_b64 s[0:1], 0
	s_waitcnt vmcnt(0)
	v_cvt_i32_f64_e32 v1, v[10:11]
	s_branch .LBB47_1457
.LBB47_1453:
	s_mov_b64 s[0:1], -1
                                        ; implicit-def: $vgpr1
	s_branch .LBB47_1475
.LBB47_1454:
	s_mov_b64 s[0:1], -1
                                        ; implicit-def: $vgpr1
	s_branch .LBB47_1463
.LBB47_1455:
	s_mov_b64 s[0:1], -1
                                        ; implicit-def: $vgpr1
	s_branch .LBB47_1460
.LBB47_1456:
	s_mov_b64 s[0:1], -1
                                        ; implicit-def: $vgpr1
.LBB47_1457:
	s_andn2_b64 vcc, exec, s[0:1]
	s_cbranch_vccnz .LBB47_1459
; %bb.1458:
	global_load_dword v1, v[8:9], off
	s_waitcnt vmcnt(0)
	v_cvt_i32_f32_e32 v1, v1
.LBB47_1459:
	s_mov_b64 s[0:1], 0
.LBB47_1460:
	s_andn2_b64 vcc, exec, s[0:1]
	s_cbranch_vccnz .LBB47_1462
; %bb.1461:
	global_load_dword v1, v[8:9], off
	s_waitcnt vmcnt(0)
	v_cvt_f32_f16_e32 v1, v1
	v_cvt_i32_f32_e32 v1, v1
.LBB47_1462:
	s_mov_b64 s[0:1], 0
.LBB47_1463:
	s_andn2_b64 vcc, exec, s[0:1]
	s_cbranch_vccnz .LBB47_1474
; %bb.1464:
	s_cmp_lt_i32 s4, 6
	s_cbranch_scc1 .LBB47_1467
; %bb.1465:
	s_cmp_gt_i32 s4, 6
	s_cbranch_scc0 .LBB47_1468
; %bb.1466:
	global_load_dwordx2 v[10:11], v[8:9], off
	s_mov_b64 s[0:1], 0
	s_waitcnt vmcnt(0)
	v_cvt_i32_f64_e32 v1, v[10:11]
	s_branch .LBB47_1469
.LBB47_1467:
	s_mov_b64 s[0:1], -1
                                        ; implicit-def: $vgpr1
	s_branch .LBB47_1472
.LBB47_1468:
	s_mov_b64 s[0:1], -1
                                        ; implicit-def: $vgpr1
.LBB47_1469:
	s_andn2_b64 vcc, exec, s[0:1]
	s_cbranch_vccnz .LBB47_1471
; %bb.1470:
	global_load_dword v1, v[8:9], off
	s_waitcnt vmcnt(0)
	v_cvt_i32_f32_e32 v1, v1
.LBB47_1471:
	s_mov_b64 s[0:1], 0
.LBB47_1472:
	s_andn2_b64 vcc, exec, s[0:1]
	s_cbranch_vccnz .LBB47_1474
; %bb.1473:
	global_load_ushort v1, v[8:9], off
	s_waitcnt vmcnt(0)
	v_cvt_f32_f16_e32 v1, v1
	v_cvt_i32_f32_e32 v1, v1
.LBB47_1474:
	s_mov_b64 s[0:1], 0
.LBB47_1475:
	s_andn2_b64 vcc, exec, s[0:1]
	s_cbranch_vccnz .LBB47_1495
; %bb.1476:
	s_cmp_lt_i32 s4, 2
	s_cbranch_scc1 .LBB47_1480
; %bb.1477:
	s_cmp_lt_i32 s4, 3
	s_cbranch_scc1 .LBB47_1481
; %bb.1478:
	s_cmp_gt_i32 s4, 3
	s_cbranch_scc0 .LBB47_1482
; %bb.1479:
	global_load_dword v1, v[8:9], off
	s_mov_b64 s[0:1], 0
	s_branch .LBB47_1483
.LBB47_1480:
	s_mov_b64 s[0:1], -1
                                        ; implicit-def: $vgpr1
	s_branch .LBB47_1489
.LBB47_1481:
	s_mov_b64 s[0:1], -1
                                        ; implicit-def: $vgpr1
	s_branch .LBB47_1486
.LBB47_1482:
	s_mov_b64 s[0:1], -1
                                        ; implicit-def: $vgpr1
.LBB47_1483:
	s_andn2_b64 vcc, exec, s[0:1]
	s_cbranch_vccnz .LBB47_1485
; %bb.1484:
	global_load_dword v1, v[8:9], off
.LBB47_1485:
	s_mov_b64 s[0:1], 0
.LBB47_1486:
	s_andn2_b64 vcc, exec, s[0:1]
	s_cbranch_vccnz .LBB47_1488
; %bb.1487:
	global_load_sshort v1, v[8:9], off
.LBB47_1488:
	s_mov_b64 s[0:1], 0
.LBB47_1489:
	s_andn2_b64 vcc, exec, s[0:1]
	s_cbranch_vccnz .LBB47_1495
; %bb.1490:
	s_cmp_gt_i32 s4, 0
	s_cbranch_scc0 .LBB47_1492
; %bb.1491:
	global_load_sbyte v1, v[8:9], off
	s_mov_b64 s[0:1], 0
	s_branch .LBB47_1493
.LBB47_1492:
	s_mov_b64 s[0:1], -1
                                        ; implicit-def: $vgpr1
.LBB47_1493:
	s_andn2_b64 vcc, exec, s[0:1]
	s_cbranch_vccnz .LBB47_1495
; %bb.1494:
	global_load_ubyte v1, v[8:9], off
.LBB47_1495:
.LBB47_1496:
	v_mov_b32_e32 v8, s11
	v_add_co_u32_e32 v7, vcc, s10, v7
	s_cmp_lt_i32 s14, 11
	v_addc_co_u32_e32 v8, vcc, 0, v8, vcc
	s_cbranch_scc1 .LBB47_1503
; %bb.1497:
	s_and_b32 s12, 0xffff, s14
	s_cmp_gt_i32 s12, 25
	s_mov_b64 s[4:5], 0
	s_cbranch_scc0 .LBB47_1504
; %bb.1498:
	s_cmp_gt_i32 s12, 28
	s_cbranch_scc0 .LBB47_1505
; %bb.1499:
	s_cmp_gt_i32 s12, 43
	;; [unrolled: 3-line block ×3, first 2 shown]
	s_cbranch_scc0 .LBB47_1508
; %bb.1501:
	s_cmp_eq_u32 s12, 46
	s_mov_b64 s[10:11], 0
	s_cbranch_scc0 .LBB47_1509
; %bb.1502:
	global_load_dword v9, v[7:8], off
	s_mov_b64 s[0:1], 0
	s_mov_b64 s[6:7], -1
	s_waitcnt vmcnt(0)
	v_lshlrev_b32_e32 v9, 16, v9
	v_cvt_i32_f32_e32 v9, v9
	s_branch .LBB47_1510
.LBB47_1503:
	s_mov_b64 s[0:1], -1
	s_mov_b64 s[6:7], 0
                                        ; implicit-def: $vgpr9
	s_branch .LBB47_1572
.LBB47_1504:
	s_mov_b64 s[10:11], -1
	s_mov_b64 s[6:7], 0
	s_mov_b64 s[0:1], 0
                                        ; implicit-def: $vgpr9
	s_branch .LBB47_1537
.LBB47_1505:
	s_mov_b64 s[10:11], -1
	s_mov_b64 s[6:7], 0
	s_mov_b64 s[0:1], 0
                                        ; implicit-def: $vgpr9
	s_branch .LBB47_1520
.LBB47_1506:
	s_mov_b64 s[10:11], -1
	s_mov_b64 s[6:7], 0
	s_mov_b64 s[0:1], 0
                                        ; implicit-def: $vgpr9
	s_branch .LBB47_1515
.LBB47_1507:
	s_trap 2
	s_or_b64 s[2:3], s[2:3], exec
	s_cbranch_execz .LBB47_1446
	s_branch .LBB47_1447
.LBB47_1508:
	s_mov_b64 s[10:11], -1
	s_mov_b64 s[6:7], 0
	s_mov_b64 s[0:1], 0
                                        ; implicit-def: $vgpr9
	s_branch .LBB47_1510
.LBB47_1509:
	s_mov_b64 s[0:1], -1
                                        ; implicit-def: $vgpr9
	s_mov_b64 s[6:7], 0
.LBB47_1510:
	s_and_b64 vcc, exec, s[10:11]
	s_cbranch_vccz .LBB47_1514
; %bb.1511:
	s_cmp_eq_u32 s12, 44
	s_cbranch_scc0 .LBB47_1513
; %bb.1512:
	global_load_ubyte v9, v[7:8], off
	s_mov_b64 s[0:1], 0
	s_mov_b64 s[6:7], -1
	s_waitcnt vmcnt(0)
	v_lshlrev_b32_e32 v10, 23, v9
	v_cvt_i32_f32_e32 v10, v10
	v_cmp_ne_u32_e32 vcc, 0, v9
	v_cndmask_b32_e32 v9, 0, v10, vcc
	s_branch .LBB47_1514
.LBB47_1513:
	s_mov_b64 s[0:1], -1
                                        ; implicit-def: $vgpr9
.LBB47_1514:
	s_mov_b64 s[10:11], 0
.LBB47_1515:
	s_and_b64 vcc, exec, s[10:11]
	s_cbranch_vccz .LBB47_1519
; %bb.1516:
	s_cmp_eq_u32 s12, 29
	s_cbranch_scc0 .LBB47_1518
; %bb.1517:
	global_load_dword v9, v[7:8], off
	s_mov_b64 s[0:1], 0
	s_mov_b64 s[6:7], -1
	s_branch .LBB47_1519
.LBB47_1518:
	s_mov_b64 s[0:1], -1
                                        ; implicit-def: $vgpr9
.LBB47_1519:
	s_mov_b64 s[10:11], 0
.LBB47_1520:
	s_and_b64 vcc, exec, s[10:11]
	s_cbranch_vccz .LBB47_1536
; %bb.1521:
	s_cmp_lt_i32 s12, 27
	s_cbranch_scc1 .LBB47_1524
; %bb.1522:
	s_cmp_gt_i32 s12, 27
	s_cbranch_scc0 .LBB47_1525
; %bb.1523:
	global_load_dword v9, v[7:8], off
	s_mov_b64 s[6:7], 0
	s_branch .LBB47_1526
.LBB47_1524:
	s_mov_b64 s[6:7], -1
                                        ; implicit-def: $vgpr9
	s_branch .LBB47_1529
.LBB47_1525:
	s_mov_b64 s[6:7], -1
                                        ; implicit-def: $vgpr9
.LBB47_1526:
	s_andn2_b64 vcc, exec, s[6:7]
	s_cbranch_vccnz .LBB47_1528
; %bb.1527:
	global_load_ushort v9, v[7:8], off
.LBB47_1528:
	s_mov_b64 s[6:7], 0
.LBB47_1529:
	s_andn2_b64 vcc, exec, s[6:7]
	s_cbranch_vccnz .LBB47_1535
; %bb.1530:
	global_load_ubyte v10, v[7:8], off
	s_movk_i32 s6, 0x7f
	s_mov_b64 s[10:11], 0
	s_waitcnt vmcnt(0)
	v_cmp_lt_i16_e32 vcc, s6, v10
	s_and_saveexec_b64 s[6:7], vcc
	s_xor_b64 s[6:7], exec, s[6:7]
	s_cbranch_execz .LBB47_1547
; %bb.1531:
	s_movk_i32 s10, 0x80
	v_cmp_ne_u16_e32 vcc, s10, v10
	s_and_b64 s[10:11], vcc, exec
	s_andn2_saveexec_b64 s[6:7], s[6:7]
	s_cbranch_execnz .LBB47_1548
.LBB47_1532:
	s_or_b64 exec, exec, s[6:7]
	v_mov_b32_e32 v9, 0
	s_and_saveexec_b64 s[6:7], s[10:11]
	s_cbranch_execz .LBB47_1534
.LBB47_1533:
	v_lshlrev_b32_e32 v9, 24, v10
	v_and_b32_e32 v10, 0xffff, v10
	v_and_b32_e32 v11, 7, v10
	v_ffbh_u32_e32 v13, v11
	v_min_u32_e32 v13, 32, v13
	v_subrev_u32_e32 v14, 28, v13
	v_bfe_u32 v12, v10, 3, 4
	v_lshlrev_b32_e32 v10, v14, v10
	v_sub_u32_e32 v13, 29, v13
	v_and_b32_e32 v10, 7, v10
	v_cmp_eq_u32_e32 vcc, 0, v12
	v_cndmask_b32_e32 v12, v12, v13, vcc
	v_cndmask_b32_e32 v10, v11, v10, vcc
	v_mov_b32_e32 v11, 0x3b800000
	v_lshlrev_b32_e32 v10, 20, v10
	v_and_b32_e32 v9, 0x80000000, v9
	v_lshl_add_u32 v11, v12, 23, v11
	v_or3_b32 v9, v9, v11, v10
	v_cvt_i32_f32_e32 v9, v9
.LBB47_1534:
	s_or_b64 exec, exec, s[6:7]
.LBB47_1535:
	s_mov_b64 s[6:7], -1
.LBB47_1536:
	s_mov_b64 s[10:11], 0
.LBB47_1537:
	s_and_b64 vcc, exec, s[10:11]
	s_cbranch_vccz .LBB47_1568
; %bb.1538:
	s_cmp_gt_i32 s12, 22
	s_cbranch_scc0 .LBB47_1546
; %bb.1539:
	s_cmp_lt_i32 s12, 24
	s_cbranch_scc1 .LBB47_1549
; %bb.1540:
	s_cmp_gt_i32 s12, 24
	s_cbranch_scc0 .LBB47_1550
; %bb.1541:
	global_load_ubyte v10, v[7:8], off
	s_movk_i32 s4, 0x7f
	s_mov_b64 s[6:7], 0
	s_waitcnt vmcnt(0)
	v_cmp_lt_i16_e32 vcc, s4, v10
	s_and_saveexec_b64 s[4:5], vcc
	s_xor_b64 s[4:5], exec, s[4:5]
	s_cbranch_execz .LBB47_1562
; %bb.1542:
	s_movk_i32 s6, 0x80
	v_cmp_ne_u16_e32 vcc, s6, v10
	s_and_b64 s[6:7], vcc, exec
	s_andn2_saveexec_b64 s[4:5], s[4:5]
	s_cbranch_execnz .LBB47_1563
.LBB47_1543:
	s_or_b64 exec, exec, s[4:5]
	v_mov_b32_e32 v9, 0
	s_and_saveexec_b64 s[4:5], s[6:7]
	s_cbranch_execz .LBB47_1545
.LBB47_1544:
	v_lshlrev_b32_e32 v9, 24, v10
	v_and_b32_e32 v10, 0xffff, v10
	v_and_b32_e32 v11, 3, v10
	v_ffbh_u32_e32 v13, v11
	v_min_u32_e32 v13, 32, v13
	v_subrev_u32_e32 v14, 29, v13
	v_bfe_u32 v12, v10, 2, 5
	v_lshlrev_b32_e32 v10, v14, v10
	v_sub_u32_e32 v13, 30, v13
	v_and_b32_e32 v10, 3, v10
	v_cmp_eq_u32_e32 vcc, 0, v12
	v_cndmask_b32_e32 v12, v12, v13, vcc
	v_cndmask_b32_e32 v10, v11, v10, vcc
	v_mov_b32_e32 v11, 0x37800000
	v_lshlrev_b32_e32 v10, 21, v10
	v_and_b32_e32 v9, 0x80000000, v9
	v_lshl_add_u32 v11, v12, 23, v11
	v_or3_b32 v9, v9, v11, v10
	v_cvt_i32_f32_e32 v9, v9
.LBB47_1545:
	s_or_b64 exec, exec, s[4:5]
	s_mov_b64 s[4:5], 0
	s_branch .LBB47_1551
.LBB47_1546:
	s_mov_b64 s[4:5], -1
                                        ; implicit-def: $vgpr9
	s_branch .LBB47_1557
.LBB47_1547:
	s_andn2_saveexec_b64 s[6:7], s[6:7]
	s_cbranch_execz .LBB47_1532
.LBB47_1548:
	v_cmp_ne_u16_e32 vcc, 0, v10
	s_andn2_b64 s[10:11], s[10:11], exec
	s_and_b64 s[16:17], vcc, exec
	s_or_b64 s[10:11], s[10:11], s[16:17]
	s_or_b64 exec, exec, s[6:7]
	v_mov_b32_e32 v9, 0
	s_and_saveexec_b64 s[6:7], s[10:11]
	s_cbranch_execnz .LBB47_1533
	s_branch .LBB47_1534
.LBB47_1549:
	s_mov_b64 s[4:5], -1
                                        ; implicit-def: $vgpr9
	s_branch .LBB47_1554
.LBB47_1550:
	s_mov_b64 s[4:5], -1
                                        ; implicit-def: $vgpr9
.LBB47_1551:
	s_and_b64 vcc, exec, s[4:5]
	s_cbranch_vccz .LBB47_1553
; %bb.1552:
	global_load_ubyte v9, v[7:8], off
	s_mov_b32 s4, 0x7f800000
	s_waitcnt vmcnt(0)
	v_lshlrev_b32_e32 v9, 24, v9
	v_and_b32_e32 v10, 0x7f000000, v9
	v_ffbh_u32_e32 v11, v10
	v_min_u32_e32 v11, 32, v11
	v_sub_u32_e64 v11, v11, 4 clamp
	v_lshlrev_b32_e32 v13, v11, v10
	v_lshlrev_b32_e32 v11, 23, v11
	v_lshrrev_b32_e32 v13, 4, v13
	v_add_u32_e32 v12, 0x1000000, v10
	v_sub_u32_e32 v11, v13, v11
	v_ashrrev_i32_e32 v12, 8, v12
	v_add_u32_e32 v11, 0x3c000000, v11
	v_and_or_b32 v11, v12, s4, v11
	v_cmp_ne_u32_e32 vcc, 0, v10
	v_cndmask_b32_e32 v10, 0, v11, vcc
	s_brev_b32 s4, 1
	v_and_or_b32 v9, v9, s4, v10
	v_cvt_i32_f32_e32 v9, v9
.LBB47_1553:
	s_mov_b64 s[4:5], 0
.LBB47_1554:
	s_andn2_b64 vcc, exec, s[4:5]
	s_cbranch_vccnz .LBB47_1556
; %bb.1555:
	global_load_ubyte v9, v[7:8], off
	s_movk_i32 s4, 0x7f00
	s_brev_b32 s5, 16
	s_waitcnt vmcnt(0)
	v_lshlrev_b16_e32 v10, 8, v9
	v_lshlrev_b32_e32 v9, 25, v9
	v_lshrrev_b32_e32 v11, 4, v9
	v_and_or_b32 v12, v10, s4, 0.5
	v_or_b32_e32 v11, 0x70000000, v11
	v_add_f32_e32 v12, -0.5, v12
	v_mul_f32_e32 v11, 0x7800000, v11
	v_cmp_gt_u32_e32 vcc, s5, v9
	v_bfe_i32 v10, v10, 0, 16
	v_cndmask_b32_e32 v9, v11, v12, vcc
	s_brev_b32 s4, 1
	v_and_or_b32 v9, v10, s4, v9
	v_cvt_i32_f32_e32 v9, v9
.LBB47_1556:
	s_mov_b64 s[4:5], 0
	s_mov_b64 s[6:7], -1
.LBB47_1557:
	s_andn2_b64 vcc, exec, s[4:5]
	s_mov_b64 s[4:5], 0
	s_cbranch_vccnz .LBB47_1568
; %bb.1558:
	s_cmp_gt_i32 s12, 14
	s_cbranch_scc0 .LBB47_1561
; %bb.1559:
	s_cmp_eq_u32 s12, 15
	s_cbranch_scc0 .LBB47_1564
; %bb.1560:
	global_load_ushort v9, v[7:8], off
	s_mov_b64 s[0:1], 0
	s_mov_b64 s[6:7], -1
	s_waitcnt vmcnt(0)
	v_lshlrev_b32_e32 v9, 16, v9
	v_cvt_i32_f32_e32 v9, v9
	s_branch .LBB47_1565
.LBB47_1561:
	s_mov_b64 s[10:11], -1
                                        ; implicit-def: $vgpr9
	s_branch .LBB47_1566
.LBB47_1562:
	s_andn2_saveexec_b64 s[4:5], s[4:5]
	s_cbranch_execz .LBB47_1543
.LBB47_1563:
	v_cmp_ne_u16_e32 vcc, 0, v10
	s_andn2_b64 s[6:7], s[6:7], exec
	s_and_b64 s[10:11], vcc, exec
	s_or_b64 s[6:7], s[6:7], s[10:11]
	s_or_b64 exec, exec, s[4:5]
	v_mov_b32_e32 v9, 0
	s_and_saveexec_b64 s[4:5], s[6:7]
	s_cbranch_execnz .LBB47_1544
	s_branch .LBB47_1545
.LBB47_1564:
	s_mov_b64 s[0:1], -1
                                        ; implicit-def: $vgpr9
.LBB47_1565:
	s_mov_b64 s[10:11], 0
.LBB47_1566:
	s_and_b64 vcc, exec, s[10:11]
	s_cbranch_vccz .LBB47_1568
; %bb.1567:
	s_cmp_lg_u32 s12, 11
	s_mov_b64 s[4:5], -1
	s_cselect_b64 s[0:1], -1, 0
.LBB47_1568:
	s_and_b64 vcc, exec, s[0:1]
	s_cbranch_vccnz .LBB47_2101
; %bb.1569:
	s_andn2_b64 vcc, exec, s[4:5]
	s_cbranch_vccnz .LBB47_1571
.LBB47_1570:
	global_load_ubyte v9, v[7:8], off
	s_mov_b64 s[6:7], -1
	s_waitcnt vmcnt(0)
	v_cmp_ne_u16_e32 vcc, 0, v9
	v_cndmask_b32_e64 v9, 0, 1, vcc
.LBB47_1571:
	s_mov_b64 s[0:1], 0
.LBB47_1572:
	s_and_b64 vcc, exec, s[0:1]
	s_cbranch_vccz .LBB47_1621
; %bb.1573:
	s_and_b32 s4, 0xffff, s14
	s_cmp_lt_i32 s4, 5
	s_cbranch_scc1 .LBB47_1578
; %bb.1574:
	s_cmp_lt_i32 s4, 8
	s_cbranch_scc1 .LBB47_1579
; %bb.1575:
	;; [unrolled: 3-line block ×3, first 2 shown]
	s_cmp_gt_i32 s4, 9
	s_cbranch_scc0 .LBB47_1581
; %bb.1577:
	global_load_dwordx2 v[9:10], v[7:8], off
	s_mov_b64 s[0:1], 0
	s_waitcnt vmcnt(0)
	v_cvt_i32_f64_e32 v9, v[9:10]
	s_branch .LBB47_1582
.LBB47_1578:
	s_mov_b64 s[0:1], -1
                                        ; implicit-def: $vgpr9
	s_branch .LBB47_1600
.LBB47_1579:
	s_mov_b64 s[0:1], -1
                                        ; implicit-def: $vgpr9
	s_branch .LBB47_1588
.LBB47_1580:
	s_mov_b64 s[0:1], -1
                                        ; implicit-def: $vgpr9
	s_branch .LBB47_1585
.LBB47_1581:
	s_mov_b64 s[0:1], -1
                                        ; implicit-def: $vgpr9
.LBB47_1582:
	s_andn2_b64 vcc, exec, s[0:1]
	s_cbranch_vccnz .LBB47_1584
; %bb.1583:
	global_load_dword v9, v[7:8], off
	s_waitcnt vmcnt(0)
	v_cvt_i32_f32_e32 v9, v9
.LBB47_1584:
	s_mov_b64 s[0:1], 0
.LBB47_1585:
	s_andn2_b64 vcc, exec, s[0:1]
	s_cbranch_vccnz .LBB47_1587
; %bb.1586:
	global_load_dword v9, v[7:8], off
	s_waitcnt vmcnt(0)
	v_cvt_f32_f16_e32 v9, v9
	v_cvt_i32_f32_e32 v9, v9
.LBB47_1587:
	s_mov_b64 s[0:1], 0
.LBB47_1588:
	s_andn2_b64 vcc, exec, s[0:1]
	s_cbranch_vccnz .LBB47_1599
; %bb.1589:
	s_cmp_lt_i32 s4, 6
	s_cbranch_scc1 .LBB47_1592
; %bb.1590:
	s_cmp_gt_i32 s4, 6
	s_cbranch_scc0 .LBB47_1593
; %bb.1591:
	global_load_dwordx2 v[9:10], v[7:8], off
	s_mov_b64 s[0:1], 0
	s_waitcnt vmcnt(0)
	v_cvt_i32_f64_e32 v9, v[9:10]
	s_branch .LBB47_1594
.LBB47_1592:
	s_mov_b64 s[0:1], -1
                                        ; implicit-def: $vgpr9
	s_branch .LBB47_1597
.LBB47_1593:
	s_mov_b64 s[0:1], -1
                                        ; implicit-def: $vgpr9
.LBB47_1594:
	s_andn2_b64 vcc, exec, s[0:1]
	s_cbranch_vccnz .LBB47_1596
; %bb.1595:
	global_load_dword v9, v[7:8], off
	s_waitcnt vmcnt(0)
	v_cvt_i32_f32_e32 v9, v9
.LBB47_1596:
	s_mov_b64 s[0:1], 0
.LBB47_1597:
	s_andn2_b64 vcc, exec, s[0:1]
	s_cbranch_vccnz .LBB47_1599
; %bb.1598:
	global_load_ushort v9, v[7:8], off
	s_waitcnt vmcnt(0)
	v_cvt_f32_f16_e32 v9, v9
	v_cvt_i32_f32_e32 v9, v9
.LBB47_1599:
	s_mov_b64 s[0:1], 0
.LBB47_1600:
	s_andn2_b64 vcc, exec, s[0:1]
	s_cbranch_vccnz .LBB47_1620
; %bb.1601:
	s_cmp_lt_i32 s4, 2
	s_cbranch_scc1 .LBB47_1605
; %bb.1602:
	s_cmp_lt_i32 s4, 3
	s_cbranch_scc1 .LBB47_1606
; %bb.1603:
	s_cmp_gt_i32 s4, 3
	s_cbranch_scc0 .LBB47_1607
; %bb.1604:
	global_load_dword v9, v[7:8], off
	s_mov_b64 s[0:1], 0
	s_branch .LBB47_1608
.LBB47_1605:
	s_mov_b64 s[0:1], -1
                                        ; implicit-def: $vgpr9
	s_branch .LBB47_1614
.LBB47_1606:
	s_mov_b64 s[0:1], -1
                                        ; implicit-def: $vgpr9
	s_branch .LBB47_1611
.LBB47_1607:
	s_mov_b64 s[0:1], -1
                                        ; implicit-def: $vgpr9
.LBB47_1608:
	s_andn2_b64 vcc, exec, s[0:1]
	s_cbranch_vccnz .LBB47_1610
; %bb.1609:
	global_load_dword v9, v[7:8], off
.LBB47_1610:
	s_mov_b64 s[0:1], 0
.LBB47_1611:
	s_andn2_b64 vcc, exec, s[0:1]
	s_cbranch_vccnz .LBB47_1613
; %bb.1612:
	global_load_sshort v9, v[7:8], off
.LBB47_1613:
	s_mov_b64 s[0:1], 0
.LBB47_1614:
	s_andn2_b64 vcc, exec, s[0:1]
	s_cbranch_vccnz .LBB47_1620
; %bb.1615:
	s_cmp_gt_i32 s4, 0
	s_cbranch_scc0 .LBB47_1617
; %bb.1616:
	global_load_sbyte v9, v[7:8], off
	s_mov_b64 s[0:1], 0
	s_branch .LBB47_1618
.LBB47_1617:
	s_mov_b64 s[0:1], -1
                                        ; implicit-def: $vgpr9
.LBB47_1618:
	s_andn2_b64 vcc, exec, s[0:1]
	s_cbranch_vccnz .LBB47_1620
; %bb.1619:
	global_load_ubyte v9, v[7:8], off
.LBB47_1620:
	s_mov_b64 s[6:7], -1
.LBB47_1621:
	s_andn2_b64 vcc, exec, s[6:7]
	s_cbranch_vccnz .LBB47_2055
; %bb.1622:
	s_load_dwordx2 s[4:5], s[34:35], 0x158
	s_load_dword s0, s[34:35], 0x160
	v_mov_b32_e32 v7, s9
	s_waitcnt lgkmcnt(0)
	s_cmp_eq_u32 s4, 0
	s_waitcnt vmcnt(0)
	v_cmp_ne_u32_e32 vcc, s5, v5
	s_cselect_b64 s[6:7], -1, 0
	s_and_b32 s20, s0, 0xff
	s_xor_b64 s[10:11], s[6:7], vcc
	v_add_co_u32_e32 v5, vcc, s8, v6
	s_cmp_lt_i32 s20, 11
	v_addc_co_u32_e32 v6, vcc, 0, v7, vcc
	s_cbranch_scc1 .LBB47_1700
; %bb.1623:
	s_and_b32 s4, 0xffff, s20
	s_mov_b64 s[16:17], -1
	s_mov_b64 s[12:13], 0
	s_cmp_gt_i32 s4, 25
	s_mov_b64 s[14:15], 0
	s_mov_b64 s[0:1], 0
	s_cbranch_scc0 .LBB47_1656
; %bb.1624:
	s_cmp_gt_i32 s4, 28
	s_cbranch_scc0 .LBB47_1639
; %bb.1625:
	s_cmp_gt_i32 s4, 43
	;; [unrolled: 3-line block ×3, first 2 shown]
	s_cbranch_scc0 .LBB47_1629
; %bb.1627:
	s_mov_b64 s[0:1], -1
	s_mov_b64 s[16:17], 0
	s_cmp_eq_u32 s4, 46
	s_cbranch_scc0 .LBB47_1629
; %bb.1628:
	v_cndmask_b32_e64 v7, 0, 1.0, s[10:11]
	v_bfe_u32 v8, v7, 16, 1
	s_movk_i32 s0, 0x7fff
	v_add3_u32 v7, v7, v8, s0
	v_lshrrev_b32_e32 v7, 16, v7
	global_store_dword v[5:6], v7, off
	s_mov_b64 s[0:1], 0
	s_mov_b64 s[14:15], -1
.LBB47_1629:
	s_and_b64 vcc, exec, s[16:17]
	s_cbranch_vccz .LBB47_1634
; %bb.1630:
	s_cmp_eq_u32 s4, 44
	s_mov_b64 s[0:1], -1
	s_cbranch_scc0 .LBB47_1634
; %bb.1631:
	v_cndmask_b32_e64 v8, 0, 1.0, s[10:11]
	v_lshrrev_b32_e32 v7, 23, v8
	s_movk_i32 s0, 0xff
	v_cmp_ne_u32_e32 vcc, s0, v7
	v_mov_b32_e32 v10, 0xff
	s_and_saveexec_b64 s[14:15], vcc
; %bb.1632:
	s_mov_b32 s0, 0x3fffff
	v_and_b32_e32 v10, 0x400000, v8
	v_and_or_b32 v8, v8, s0, v7
	v_cmp_ne_u32_e32 vcc, 0, v10
	v_cmp_ne_u32_e64 s[0:1], 0, v8
	s_and_b64 s[0:1], vcc, s[0:1]
	v_cndmask_b32_e64 v8, 0, 1, s[0:1]
	v_add_u32_e32 v10, v7, v8
; %bb.1633:
	s_or_b64 exec, exec, s[14:15]
	s_mov_b64 s[0:1], 0
	s_mov_b64 s[14:15], -1
	global_store_byte v[5:6], v10, off
.LBB47_1634:
	s_mov_b64 s[16:17], 0
.LBB47_1635:
	s_and_b64 vcc, exec, s[16:17]
	s_cbranch_vccz .LBB47_1638
; %bb.1636:
	s_cmp_eq_u32 s4, 29
	s_mov_b64 s[0:1], -1
	s_cbranch_scc0 .LBB47_1638
; %bb.1637:
	s_mov_b32 s0, 0
	v_cndmask_b32_e64 v7, 0, 1, s[10:11]
	v_mov_b32_e32 v8, s0
	global_store_dwordx2 v[5:6], v[7:8], off
	s_mov_b64 s[0:1], 0
	s_mov_b64 s[14:15], -1
.LBB47_1638:
	s_mov_b64 s[16:17], 0
.LBB47_1639:
	s_and_b64 vcc, exec, s[16:17]
	s_cbranch_vccz .LBB47_1655
; %bb.1640:
	s_cmp_lt_i32 s4, 27
	s_mov_b64 s[14:15], -1
	s_cbranch_scc1 .LBB47_1646
; %bb.1641:
	s_cmp_gt_i32 s4, 27
	s_cbranch_scc0 .LBB47_1643
; %bb.1642:
	v_cndmask_b32_e64 v7, 0, 1, s[10:11]
	s_mov_b64 s[14:15], 0
	global_store_dword v[5:6], v7, off
.LBB47_1643:
	s_andn2_b64 vcc, exec, s[14:15]
	s_cbranch_vccnz .LBB47_1645
; %bb.1644:
	v_cndmask_b32_e64 v7, 0, 1, s[10:11]
	global_store_short v[5:6], v7, off
.LBB47_1645:
	s_mov_b64 s[14:15], 0
.LBB47_1646:
	s_andn2_b64 vcc, exec, s[14:15]
	s_cbranch_vccnz .LBB47_1654
; %bb.1647:
	v_cndmask_b32_e64 v8, 0, 1.0, s[10:11]
	s_mov_b32 s14, 0x43800000
	v_cmp_gt_u32_e32 vcc, s14, v8
	v_mov_b32_e32 v10, 0x80
	s_and_saveexec_b64 s[14:15], vcc
	s_cbranch_execz .LBB47_1653
; %bb.1648:
	s_mov_b32 s16, 0x3bffffff
	v_cmp_lt_u32_e32 vcc, s16, v8
	s_mov_b64 s[16:17], 0
                                        ; implicit-def: $vgpr7
	s_and_saveexec_b64 s[18:19], vcc
	s_xor_b64 s[18:19], exec, s[18:19]
	s_cbranch_execz .LBB47_2102
; %bb.1649:
	v_bfe_u32 v7, v8, 20, 1
	s_mov_b32 s21, 0x487ffff
	v_add3_u32 v7, v8, v7, s21
	s_mov_b64 s[16:17], exec
	v_lshrrev_b32_e32 v7, 20, v7
                                        ; implicit-def: $vgpr8
	s_andn2_saveexec_b64 s[18:19], s[18:19]
	s_cbranch_execnz .LBB47_2103
.LBB47_1650:
	s_or_b64 exec, exec, s[18:19]
	v_mov_b32_e32 v10, 0
	s_and_saveexec_b64 s[18:19], s[16:17]
.LBB47_1651:
	v_mov_b32_e32 v10, v7
.LBB47_1652:
	s_or_b64 exec, exec, s[18:19]
.LBB47_1653:
	s_or_b64 exec, exec, s[14:15]
	global_store_byte v[5:6], v10, off
.LBB47_1654:
	s_mov_b64 s[14:15], -1
.LBB47_1655:
	s_mov_b64 s[16:17], 0
.LBB47_1656:
	s_and_b64 vcc, exec, s[16:17]
	s_cbranch_vccz .LBB47_1696
; %bb.1657:
	s_cmp_gt_i32 s4, 22
	s_mov_b64 s[12:13], -1
	s_cbranch_scc0 .LBB47_1689
; %bb.1658:
	s_cmp_lt_i32 s4, 24
	s_cbranch_scc1 .LBB47_1678
; %bb.1659:
	s_cmp_gt_i32 s4, 24
	s_cbranch_scc0 .LBB47_1667
; %bb.1660:
	v_cndmask_b32_e64 v8, 0, 1.0, s[10:11]
	s_mov_b32 s12, 0x47800000
	v_cmp_gt_u32_e32 vcc, s12, v8
	v_mov_b32_e32 v10, 0x80
	s_and_saveexec_b64 s[12:13], vcc
	s_cbranch_execz .LBB47_1666
; %bb.1661:
	s_mov_b32 s14, 0x37ffffff
	v_cmp_lt_u32_e32 vcc, s14, v8
	s_mov_b64 s[14:15], 0
                                        ; implicit-def: $vgpr7
	s_and_saveexec_b64 s[16:17], vcc
	s_xor_b64 s[16:17], exec, s[16:17]
	s_cbranch_execz .LBB47_2105
; %bb.1662:
	v_bfe_u32 v7, v8, 21, 1
	s_mov_b32 s18, 0x88fffff
	v_add3_u32 v7, v8, v7, s18
	s_mov_b64 s[14:15], exec
	v_lshrrev_b32_e32 v7, 21, v7
                                        ; implicit-def: $vgpr8
	s_andn2_saveexec_b64 s[16:17], s[16:17]
	s_cbranch_execnz .LBB47_2106
.LBB47_1663:
	s_or_b64 exec, exec, s[16:17]
	v_mov_b32_e32 v10, 0
	s_and_saveexec_b64 s[16:17], s[14:15]
.LBB47_1664:
	v_mov_b32_e32 v10, v7
.LBB47_1665:
	s_or_b64 exec, exec, s[16:17]
.LBB47_1666:
	s_or_b64 exec, exec, s[12:13]
	s_mov_b64 s[12:13], 0
	global_store_byte v[5:6], v10, off
.LBB47_1667:
	s_and_b64 vcc, exec, s[12:13]
	s_cbranch_vccz .LBB47_1677
; %bb.1668:
	v_cndmask_b32_e64 v7, 0, 1.0, s[10:11]
	s_mov_b32 s12, 0x43f00000
	v_cmp_gt_u32_e32 vcc, s12, v7
                                        ; implicit-def: $vgpr8
	s_and_saveexec_b64 s[12:13], vcc
	s_xor_b64 s[12:13], exec, s[12:13]
	s_cbranch_execz .LBB47_1674
; %bb.1669:
	s_mov_b32 s14, 0x3c7fffff
	v_cmp_lt_u32_e32 vcc, s14, v7
                                        ; implicit-def: $vgpr8
	s_and_saveexec_b64 s[14:15], vcc
	s_xor_b64 s[14:15], exec, s[14:15]
; %bb.1670:
	v_bfe_u32 v8, v7, 20, 1
	s_mov_b32 s16, 0x407ffff
	v_add3_u32 v7, v7, v8, s16
	v_lshrrev_b32_e32 v8, 20, v7
	v_and_b32_e32 v7, 0xff00000, v7
	s_mov_b32 s16, 0x7f00000
	v_mov_b32_e32 v10, 0x7e
	v_cmp_ne_u32_e32 vcc, s16, v7
	v_cndmask_b32_e32 v8, v10, v8, vcc
                                        ; implicit-def: $vgpr7
; %bb.1671:
	s_andn2_saveexec_b64 s[14:15], s[14:15]
; %bb.1672:
	v_add_f32_e32 v8, 0x46800000, v7
; %bb.1673:
	s_or_b64 exec, exec, s[14:15]
                                        ; implicit-def: $vgpr7
.LBB47_1674:
	s_andn2_saveexec_b64 s[12:13], s[12:13]
; %bb.1675:
	s_mov_b32 s14, 0x7f800000
	v_mov_b32_e32 v8, 0x7e
	v_mov_b32_e32 v10, 0x7f
	v_cmp_lt_u32_e32 vcc, s14, v7
	v_cndmask_b32_e32 v8, v8, v10, vcc
; %bb.1676:
	s_or_b64 exec, exec, s[12:13]
	global_store_byte v[5:6], v8, off
.LBB47_1677:
	s_mov_b64 s[12:13], 0
.LBB47_1678:
	s_andn2_b64 vcc, exec, s[12:13]
	s_cbranch_vccnz .LBB47_1688
; %bb.1679:
	v_cndmask_b32_e64 v7, 0, 1.0, s[10:11]
	s_mov_b32 s12, 0x47800000
	v_cmp_gt_u32_e32 vcc, s12, v7
                                        ; implicit-def: $vgpr8
	s_and_saveexec_b64 s[12:13], vcc
	s_xor_b64 s[12:13], exec, s[12:13]
	s_cbranch_execz .LBB47_1685
; %bb.1680:
	s_mov_b32 s14, 0x387fffff
	v_cmp_lt_u32_e32 vcc, s14, v7
                                        ; implicit-def: $vgpr8
	s_and_saveexec_b64 s[14:15], vcc
	s_xor_b64 s[14:15], exec, s[14:15]
; %bb.1681:
	v_bfe_u32 v8, v7, 21, 1
	s_mov_b32 s16, 0x80fffff
	v_add3_u32 v7, v7, v8, s16
	v_lshrrev_b32_e32 v8, 21, v7
                                        ; implicit-def: $vgpr7
; %bb.1682:
	s_andn2_saveexec_b64 s[14:15], s[14:15]
; %bb.1683:
	v_add_f32_e32 v8, 0x43000000, v7
; %bb.1684:
	s_or_b64 exec, exec, s[14:15]
                                        ; implicit-def: $vgpr7
.LBB47_1685:
	s_andn2_saveexec_b64 s[12:13], s[12:13]
; %bb.1686:
	s_mov_b32 s14, 0x7f800000
	v_mov_b32_e32 v8, 0x7c
	v_mov_b32_e32 v10, 0x7f
	v_cmp_lt_u32_e32 vcc, s14, v7
	v_cndmask_b32_e32 v8, v8, v10, vcc
; %bb.1687:
	s_or_b64 exec, exec, s[12:13]
	global_store_byte v[5:6], v8, off
.LBB47_1688:
	s_mov_b64 s[12:13], 0
	s_mov_b64 s[14:15], -1
.LBB47_1689:
	s_andn2_b64 vcc, exec, s[12:13]
	s_mov_b64 s[12:13], 0
	s_cbranch_vccnz .LBB47_1696
; %bb.1690:
	s_cmp_gt_i32 s4, 14
	s_mov_b64 s[16:17], -1
	s_cbranch_scc0 .LBB47_1694
; %bb.1691:
	s_cmp_eq_u32 s4, 15
	s_mov_b64 s[0:1], -1
	s_cbranch_scc0 .LBB47_1693
; %bb.1692:
	v_cndmask_b32_e64 v7, 0, 1.0, s[10:11]
	v_bfe_u32 v8, v7, 16, 1
	s_movk_i32 s0, 0x7fff
	v_add3_u32 v7, v7, v8, s0
	global_store_short_d16_hi v[5:6], v7, off
	s_mov_b64 s[0:1], 0
	s_mov_b64 s[14:15], -1
.LBB47_1693:
	s_mov_b64 s[16:17], 0
.LBB47_1694:
	s_and_b64 vcc, exec, s[16:17]
	s_cbranch_vccz .LBB47_1696
; %bb.1695:
	s_cmp_lg_u32 s4, 11
	s_mov_b64 s[12:13], -1
	s_cselect_b64 s[0:1], -1, 0
.LBB47_1696:
	s_and_b64 vcc, exec, s[0:1]
	s_cbranch_vccnz .LBB47_2104
; %bb.1697:
	s_andn2_b64 vcc, exec, s[12:13]
	s_cbranch_vccnz .LBB47_1699
.LBB47_1698:
	v_cndmask_b32_e64 v7, 0, 1, s[10:11]
	s_mov_b64 s[14:15], -1
	global_store_byte v[5:6], v7, off
.LBB47_1699:
	s_mov_b64 s[0:1], 0
	s_branch .LBB47_1701
.LBB47_1700:
	s_mov_b64 s[0:1], -1
	s_mov_b64 s[14:15], 0
.LBB47_1701:
	s_and_b64 vcc, exec, s[0:1]
	s_cbranch_vccz .LBB47_1740
; %bb.1702:
	s_and_b32 s4, 0xffff, s20
	s_cmp_lt_i32 s4, 5
	s_mov_b64 s[0:1], -1
	s_cbranch_scc1 .LBB47_1723
; %bb.1703:
	s_cmp_lt_i32 s4, 8
	s_cbranch_scc1 .LBB47_1713
; %bb.1704:
	s_cmp_lt_i32 s4, 9
	s_cbranch_scc1 .LBB47_1710
; %bb.1705:
	s_cmp_gt_i32 s4, 9
	s_cbranch_scc0 .LBB47_1707
; %bb.1706:
	v_cndmask_b32_e64 v7, 0, 1, s[10:11]
	v_cvt_f64_u32_e32 v[10:11], v7
	v_mov_b32_e32 v12, 0
	v_mov_b32_e32 v13, v12
	s_mov_b64 s[0:1], 0
	global_store_dwordx4 v[5:6], v[10:13], off
.LBB47_1707:
	s_andn2_b64 vcc, exec, s[0:1]
	s_cbranch_vccnz .LBB47_1709
; %bb.1708:
	v_cndmask_b32_e64 v7, 0, 1.0, s[10:11]
	v_mov_b32_e32 v8, 0
	global_store_dwordx2 v[5:6], v[7:8], off
.LBB47_1709:
	s_mov_b64 s[0:1], 0
.LBB47_1710:
	s_andn2_b64 vcc, exec, s[0:1]
	s_cbranch_vccnz .LBB47_1712
; %bb.1711:
	v_cndmask_b32_e64 v7, 0, 1.0, s[10:11]
	v_cvt_f16_f32_e32 v7, v7
	global_store_dword v[5:6], v7, off
.LBB47_1712:
	s_mov_b64 s[0:1], 0
.LBB47_1713:
	s_andn2_b64 vcc, exec, s[0:1]
	s_cbranch_vccnz .LBB47_1722
; %bb.1714:
	s_cmp_lt_i32 s4, 6
	s_mov_b64 s[0:1], -1
	s_cbranch_scc1 .LBB47_1720
; %bb.1715:
	s_cmp_gt_i32 s4, 6
	s_cbranch_scc0 .LBB47_1717
; %bb.1716:
	v_cndmask_b32_e64 v7, 0, 1, s[10:11]
	v_cvt_f64_u32_e32 v[7:8], v7
	s_mov_b64 s[0:1], 0
	global_store_dwordx2 v[5:6], v[7:8], off
.LBB47_1717:
	s_andn2_b64 vcc, exec, s[0:1]
	s_cbranch_vccnz .LBB47_1719
; %bb.1718:
	v_cndmask_b32_e64 v7, 0, 1.0, s[10:11]
	global_store_dword v[5:6], v7, off
.LBB47_1719:
	s_mov_b64 s[0:1], 0
.LBB47_1720:
	s_andn2_b64 vcc, exec, s[0:1]
	s_cbranch_vccnz .LBB47_1722
; %bb.1721:
	v_cndmask_b32_e64 v7, 0, 1.0, s[10:11]
	v_cvt_f16_f32_e32 v7, v7
	global_store_short v[5:6], v7, off
.LBB47_1722:
	s_mov_b64 s[0:1], 0
.LBB47_1723:
	s_andn2_b64 vcc, exec, s[0:1]
	s_cbranch_vccnz .LBB47_1739
; %bb.1724:
	s_cmp_lt_i32 s4, 2
	s_mov_b64 s[0:1], -1
	s_cbranch_scc1 .LBB47_1734
; %bb.1725:
	s_cmp_lt_i32 s4, 3
	s_cbranch_scc1 .LBB47_1731
; %bb.1726:
	s_cmp_gt_i32 s4, 3
	s_cbranch_scc0 .LBB47_1728
; %bb.1727:
	s_mov_b32 s0, 0
	v_cndmask_b32_e64 v7, 0, 1, s[10:11]
	v_mov_b32_e32 v8, s0
	global_store_dwordx2 v[5:6], v[7:8], off
	s_mov_b64 s[0:1], 0
.LBB47_1728:
	s_andn2_b64 vcc, exec, s[0:1]
	s_cbranch_vccnz .LBB47_1730
; %bb.1729:
	v_cndmask_b32_e64 v7, 0, 1, s[10:11]
	global_store_dword v[5:6], v7, off
.LBB47_1730:
	s_mov_b64 s[0:1], 0
.LBB47_1731:
	s_andn2_b64 vcc, exec, s[0:1]
	s_cbranch_vccnz .LBB47_1733
; %bb.1732:
	v_cndmask_b32_e64 v7, 0, 1, s[10:11]
	global_store_short v[5:6], v7, off
.LBB47_1733:
	s_mov_b64 s[0:1], 0
.LBB47_1734:
	s_andn2_b64 vcc, exec, s[0:1]
	s_cbranch_vccnz .LBB47_1739
; %bb.1735:
	s_mov_b64 s[0:1], -1
	s_cmp_gt_i32 s4, 0
	v_cndmask_b32_e64 v7, 0, 1, s[10:11]
	s_cbranch_scc0 .LBB47_1737
; %bb.1736:
	global_store_byte v[5:6], v7, off
	s_mov_b64 s[0:1], 0
.LBB47_1737:
	s_andn2_b64 vcc, exec, s[0:1]
	s_cbranch_vccnz .LBB47_1739
; %bb.1738:
	global_store_byte v[5:6], v7, off
.LBB47_1739:
	s_mov_b64 s[14:15], -1
.LBB47_1740:
	s_andn2_b64 vcc, exec, s[14:15]
	s_cbranch_vccnz .LBB47_2055
; %bb.1741:
	v_cmp_ne_u32_e32 vcc, s5, v3
	s_xor_b64 s[10:11], s[6:7], vcc
	v_mov_b32_e32 v5, s9
	s_and_b32 s21, 0xffff, s20
	v_add_co_u32_e32 v3, vcc, s8, v4
	s_cmp_lt_i32 s21, 11
	v_addc_co_u32_e32 v4, vcc, 0, v5, vcc
	s_cbranch_scc1 .LBB47_1819
; %bb.1742:
	s_mov_b64 s[16:17], -1
	s_mov_b64 s[12:13], 0
	s_cmp_gt_i32 s21, 25
	s_mov_b64 s[14:15], 0
	s_mov_b64 s[0:1], 0
	s_cbranch_scc0 .LBB47_1775
; %bb.1743:
	s_cmp_gt_i32 s21, 28
	s_cbranch_scc0 .LBB47_1758
; %bb.1744:
	s_cmp_gt_i32 s21, 43
	;; [unrolled: 3-line block ×3, first 2 shown]
	s_cbranch_scc0 .LBB47_1748
; %bb.1746:
	s_mov_b64 s[0:1], -1
	s_mov_b64 s[16:17], 0
	s_cmp_eq_u32 s21, 46
	s_cbranch_scc0 .LBB47_1748
; %bb.1747:
	v_cndmask_b32_e64 v5, 0, 1.0, s[10:11]
	v_bfe_u32 v6, v5, 16, 1
	s_movk_i32 s0, 0x7fff
	v_add3_u32 v5, v5, v6, s0
	v_lshrrev_b32_e32 v5, 16, v5
	global_store_dword v[3:4], v5, off
	s_mov_b64 s[0:1], 0
	s_mov_b64 s[14:15], -1
.LBB47_1748:
	s_and_b64 vcc, exec, s[16:17]
	s_cbranch_vccz .LBB47_1753
; %bb.1749:
	s_cmp_eq_u32 s21, 44
	s_mov_b64 s[0:1], -1
	s_cbranch_scc0 .LBB47_1753
; %bb.1750:
	v_cndmask_b32_e64 v6, 0, 1.0, s[10:11]
	v_lshrrev_b32_e32 v5, 23, v6
	s_movk_i32 s0, 0xff
	v_cmp_ne_u32_e32 vcc, s0, v5
	v_mov_b32_e32 v7, 0xff
	s_and_saveexec_b64 s[14:15], vcc
; %bb.1751:
	s_mov_b32 s0, 0x3fffff
	v_and_b32_e32 v7, 0x400000, v6
	v_and_or_b32 v6, v6, s0, v5
	v_cmp_ne_u32_e32 vcc, 0, v7
	v_cmp_ne_u32_e64 s[0:1], 0, v6
	s_and_b64 s[0:1], vcc, s[0:1]
	v_cndmask_b32_e64 v6, 0, 1, s[0:1]
	v_add_u32_e32 v7, v5, v6
; %bb.1752:
	s_or_b64 exec, exec, s[14:15]
	s_mov_b64 s[0:1], 0
	s_mov_b64 s[14:15], -1
	global_store_byte v[3:4], v7, off
.LBB47_1753:
	s_mov_b64 s[16:17], 0
.LBB47_1754:
	s_and_b64 vcc, exec, s[16:17]
	s_cbranch_vccz .LBB47_1757
; %bb.1755:
	s_cmp_eq_u32 s21, 29
	s_mov_b64 s[0:1], -1
	s_cbranch_scc0 .LBB47_1757
; %bb.1756:
	s_mov_b32 s0, 0
	v_cndmask_b32_e64 v5, 0, 1, s[10:11]
	v_mov_b32_e32 v6, s0
	global_store_dwordx2 v[3:4], v[5:6], off
	s_mov_b64 s[0:1], 0
	s_mov_b64 s[14:15], -1
.LBB47_1757:
	s_mov_b64 s[16:17], 0
.LBB47_1758:
	s_and_b64 vcc, exec, s[16:17]
	s_cbranch_vccz .LBB47_1774
; %bb.1759:
	s_cmp_lt_i32 s21, 27
	s_mov_b64 s[14:15], -1
	s_cbranch_scc1 .LBB47_1765
; %bb.1760:
	s_cmp_gt_i32 s21, 27
	s_cbranch_scc0 .LBB47_1762
; %bb.1761:
	v_cndmask_b32_e64 v5, 0, 1, s[10:11]
	s_mov_b64 s[14:15], 0
	global_store_dword v[3:4], v5, off
.LBB47_1762:
	s_andn2_b64 vcc, exec, s[14:15]
	s_cbranch_vccnz .LBB47_1764
; %bb.1763:
	v_cndmask_b32_e64 v5, 0, 1, s[10:11]
	global_store_short v[3:4], v5, off
.LBB47_1764:
	s_mov_b64 s[14:15], 0
.LBB47_1765:
	s_andn2_b64 vcc, exec, s[14:15]
	s_cbranch_vccnz .LBB47_1773
; %bb.1766:
	v_cndmask_b32_e64 v6, 0, 1.0, s[10:11]
	s_mov_b32 s4, 0x43800000
	v_cmp_gt_u32_e32 vcc, s4, v6
	v_mov_b32_e32 v7, 0x80
	s_and_saveexec_b64 s[14:15], vcc
	s_cbranch_execz .LBB47_1772
; %bb.1767:
	s_mov_b32 s4, 0x3bffffff
	v_cmp_lt_u32_e32 vcc, s4, v6
	s_mov_b64 s[16:17], 0
                                        ; implicit-def: $vgpr5
	s_and_saveexec_b64 s[18:19], vcc
	s_xor_b64 s[18:19], exec, s[18:19]
	s_cbranch_execz .LBB47_2107
; %bb.1768:
	v_bfe_u32 v5, v6, 20, 1
	s_mov_b32 s4, 0x487ffff
	v_add3_u32 v5, v6, v5, s4
	s_mov_b64 s[16:17], exec
	v_lshrrev_b32_e32 v5, 20, v5
                                        ; implicit-def: $vgpr6
	s_andn2_saveexec_b64 s[18:19], s[18:19]
	s_cbranch_execnz .LBB47_2108
.LBB47_1769:
	s_or_b64 exec, exec, s[18:19]
	v_mov_b32_e32 v7, 0
	s_and_saveexec_b64 s[18:19], s[16:17]
.LBB47_1770:
	v_mov_b32_e32 v7, v5
.LBB47_1771:
	s_or_b64 exec, exec, s[18:19]
.LBB47_1772:
	s_or_b64 exec, exec, s[14:15]
	global_store_byte v[3:4], v7, off
.LBB47_1773:
	s_mov_b64 s[14:15], -1
.LBB47_1774:
	s_mov_b64 s[16:17], 0
.LBB47_1775:
	s_and_b64 vcc, exec, s[16:17]
	s_cbranch_vccz .LBB47_1815
; %bb.1776:
	s_cmp_gt_i32 s21, 22
	s_mov_b64 s[12:13], -1
	s_cbranch_scc0 .LBB47_1808
; %bb.1777:
	s_cmp_lt_i32 s21, 24
	s_cbranch_scc1 .LBB47_1797
; %bb.1778:
	s_cmp_gt_i32 s21, 24
	s_cbranch_scc0 .LBB47_1786
; %bb.1779:
	v_cndmask_b32_e64 v6, 0, 1.0, s[10:11]
	s_mov_b32 s4, 0x47800000
	v_cmp_gt_u32_e32 vcc, s4, v6
	v_mov_b32_e32 v7, 0x80
	s_and_saveexec_b64 s[12:13], vcc
	s_cbranch_execz .LBB47_1785
; %bb.1780:
	s_mov_b32 s4, 0x37ffffff
	v_cmp_lt_u32_e32 vcc, s4, v6
	s_mov_b64 s[14:15], 0
                                        ; implicit-def: $vgpr5
	s_and_saveexec_b64 s[16:17], vcc
	s_xor_b64 s[16:17], exec, s[16:17]
	s_cbranch_execz .LBB47_2110
; %bb.1781:
	v_bfe_u32 v5, v6, 21, 1
	s_mov_b32 s4, 0x88fffff
	v_add3_u32 v5, v6, v5, s4
	s_mov_b64 s[14:15], exec
	v_lshrrev_b32_e32 v5, 21, v5
                                        ; implicit-def: $vgpr6
	s_andn2_saveexec_b64 s[16:17], s[16:17]
	s_cbranch_execnz .LBB47_2111
.LBB47_1782:
	s_or_b64 exec, exec, s[16:17]
	v_mov_b32_e32 v7, 0
	s_and_saveexec_b64 s[16:17], s[14:15]
.LBB47_1783:
	v_mov_b32_e32 v7, v5
.LBB47_1784:
	s_or_b64 exec, exec, s[16:17]
.LBB47_1785:
	s_or_b64 exec, exec, s[12:13]
	s_mov_b64 s[12:13], 0
	global_store_byte v[3:4], v7, off
.LBB47_1786:
	s_and_b64 vcc, exec, s[12:13]
	s_cbranch_vccz .LBB47_1796
; %bb.1787:
	v_cndmask_b32_e64 v5, 0, 1.0, s[10:11]
	s_mov_b32 s4, 0x43f00000
	v_cmp_gt_u32_e32 vcc, s4, v5
                                        ; implicit-def: $vgpr6
	s_and_saveexec_b64 s[12:13], vcc
	s_xor_b64 s[12:13], exec, s[12:13]
	s_cbranch_execz .LBB47_1793
; %bb.1788:
	s_mov_b32 s4, 0x3c7fffff
	v_cmp_lt_u32_e32 vcc, s4, v5
                                        ; implicit-def: $vgpr6
	s_and_saveexec_b64 s[14:15], vcc
	s_xor_b64 s[14:15], exec, s[14:15]
; %bb.1789:
	v_bfe_u32 v6, v5, 20, 1
	s_mov_b32 s4, 0x407ffff
	v_add3_u32 v5, v5, v6, s4
	v_lshrrev_b32_e32 v6, 20, v5
	v_and_b32_e32 v5, 0xff00000, v5
	s_mov_b32 s4, 0x7f00000
	v_mov_b32_e32 v7, 0x7e
	v_cmp_ne_u32_e32 vcc, s4, v5
	v_cndmask_b32_e32 v6, v7, v6, vcc
                                        ; implicit-def: $vgpr5
; %bb.1790:
	s_andn2_saveexec_b64 s[14:15], s[14:15]
; %bb.1791:
	v_add_f32_e32 v6, 0x46800000, v5
; %bb.1792:
	s_or_b64 exec, exec, s[14:15]
                                        ; implicit-def: $vgpr5
.LBB47_1793:
	s_andn2_saveexec_b64 s[12:13], s[12:13]
; %bb.1794:
	s_mov_b32 s4, 0x7f800000
	v_mov_b32_e32 v6, 0x7e
	v_mov_b32_e32 v7, 0x7f
	v_cmp_lt_u32_e32 vcc, s4, v5
	v_cndmask_b32_e32 v6, v6, v7, vcc
; %bb.1795:
	s_or_b64 exec, exec, s[12:13]
	global_store_byte v[3:4], v6, off
.LBB47_1796:
	s_mov_b64 s[12:13], 0
.LBB47_1797:
	s_andn2_b64 vcc, exec, s[12:13]
	s_cbranch_vccnz .LBB47_1807
; %bb.1798:
	v_cndmask_b32_e64 v5, 0, 1.0, s[10:11]
	s_mov_b32 s4, 0x47800000
	v_cmp_gt_u32_e32 vcc, s4, v5
                                        ; implicit-def: $vgpr6
	s_and_saveexec_b64 s[12:13], vcc
	s_xor_b64 s[12:13], exec, s[12:13]
	s_cbranch_execz .LBB47_1804
; %bb.1799:
	s_mov_b32 s4, 0x387fffff
	v_cmp_lt_u32_e32 vcc, s4, v5
                                        ; implicit-def: $vgpr6
	s_and_saveexec_b64 s[14:15], vcc
	s_xor_b64 s[14:15], exec, s[14:15]
; %bb.1800:
	v_bfe_u32 v6, v5, 21, 1
	s_mov_b32 s4, 0x80fffff
	v_add3_u32 v5, v5, v6, s4
	v_lshrrev_b32_e32 v6, 21, v5
                                        ; implicit-def: $vgpr5
; %bb.1801:
	s_andn2_saveexec_b64 s[14:15], s[14:15]
; %bb.1802:
	v_add_f32_e32 v6, 0x43000000, v5
; %bb.1803:
	s_or_b64 exec, exec, s[14:15]
                                        ; implicit-def: $vgpr5
.LBB47_1804:
	s_andn2_saveexec_b64 s[12:13], s[12:13]
; %bb.1805:
	s_mov_b32 s4, 0x7f800000
	v_mov_b32_e32 v6, 0x7c
	v_mov_b32_e32 v7, 0x7f
	v_cmp_lt_u32_e32 vcc, s4, v5
	v_cndmask_b32_e32 v6, v6, v7, vcc
; %bb.1806:
	s_or_b64 exec, exec, s[12:13]
	global_store_byte v[3:4], v6, off
.LBB47_1807:
	s_mov_b64 s[12:13], 0
	s_mov_b64 s[14:15], -1
.LBB47_1808:
	s_andn2_b64 vcc, exec, s[12:13]
	s_mov_b64 s[12:13], 0
	s_cbranch_vccnz .LBB47_1815
; %bb.1809:
	s_cmp_gt_i32 s21, 14
	s_mov_b64 s[16:17], -1
	s_cbranch_scc0 .LBB47_1813
; %bb.1810:
	s_cmp_eq_u32 s21, 15
	s_mov_b64 s[0:1], -1
	s_cbranch_scc0 .LBB47_1812
; %bb.1811:
	v_cndmask_b32_e64 v5, 0, 1.0, s[10:11]
	v_bfe_u32 v6, v5, 16, 1
	s_movk_i32 s0, 0x7fff
	v_add3_u32 v5, v5, v6, s0
	global_store_short_d16_hi v[3:4], v5, off
	s_mov_b64 s[0:1], 0
	s_mov_b64 s[14:15], -1
.LBB47_1812:
	s_mov_b64 s[16:17], 0
.LBB47_1813:
	s_and_b64 vcc, exec, s[16:17]
	s_cbranch_vccz .LBB47_1815
; %bb.1814:
	s_cmp_lg_u32 s21, 11
	s_mov_b64 s[12:13], -1
	s_cselect_b64 s[0:1], -1, 0
.LBB47_1815:
	s_and_b64 vcc, exec, s[0:1]
	s_cbranch_vccnz .LBB47_2109
; %bb.1816:
	s_andn2_b64 vcc, exec, s[12:13]
	s_cbranch_vccnz .LBB47_1818
.LBB47_1817:
	v_cndmask_b32_e64 v5, 0, 1, s[10:11]
	s_mov_b64 s[14:15], -1
	global_store_byte v[3:4], v5, off
.LBB47_1818:
	s_mov_b64 s[0:1], 0
	s_branch .LBB47_1820
.LBB47_1819:
	s_mov_b64 s[0:1], -1
	s_mov_b64 s[14:15], 0
.LBB47_1820:
	s_and_b64 vcc, exec, s[0:1]
	s_cbranch_vccz .LBB47_1859
; %bb.1821:
	s_cmp_lt_i32 s21, 5
	s_mov_b64 s[0:1], -1
	s_cbranch_scc1 .LBB47_1842
; %bb.1822:
	s_cmp_lt_i32 s21, 8
	s_cbranch_scc1 .LBB47_1832
; %bb.1823:
	s_cmp_lt_i32 s21, 9
	s_cbranch_scc1 .LBB47_1829
; %bb.1824:
	s_cmp_gt_i32 s21, 9
	s_cbranch_scc0 .LBB47_1826
; %bb.1825:
	v_cndmask_b32_e64 v5, 0, 1, s[10:11]
	v_cvt_f64_u32_e32 v[5:6], v5
	v_mov_b32_e32 v7, 0
	v_mov_b32_e32 v8, v7
	s_mov_b64 s[0:1], 0
	global_store_dwordx4 v[3:4], v[5:8], off
.LBB47_1826:
	s_andn2_b64 vcc, exec, s[0:1]
	s_cbranch_vccnz .LBB47_1828
; %bb.1827:
	v_cndmask_b32_e64 v5, 0, 1.0, s[10:11]
	v_mov_b32_e32 v6, 0
	global_store_dwordx2 v[3:4], v[5:6], off
.LBB47_1828:
	s_mov_b64 s[0:1], 0
.LBB47_1829:
	s_andn2_b64 vcc, exec, s[0:1]
	s_cbranch_vccnz .LBB47_1831
; %bb.1830:
	v_cndmask_b32_e64 v5, 0, 1.0, s[10:11]
	v_cvt_f16_f32_e32 v5, v5
	global_store_dword v[3:4], v5, off
.LBB47_1831:
	s_mov_b64 s[0:1], 0
.LBB47_1832:
	s_andn2_b64 vcc, exec, s[0:1]
	s_cbranch_vccnz .LBB47_1841
; %bb.1833:
	s_cmp_lt_i32 s21, 6
	s_mov_b64 s[0:1], -1
	s_cbranch_scc1 .LBB47_1839
; %bb.1834:
	s_cmp_gt_i32 s21, 6
	s_cbranch_scc0 .LBB47_1836
; %bb.1835:
	v_cndmask_b32_e64 v5, 0, 1, s[10:11]
	v_cvt_f64_u32_e32 v[5:6], v5
	s_mov_b64 s[0:1], 0
	global_store_dwordx2 v[3:4], v[5:6], off
.LBB47_1836:
	s_andn2_b64 vcc, exec, s[0:1]
	s_cbranch_vccnz .LBB47_1838
; %bb.1837:
	v_cndmask_b32_e64 v5, 0, 1.0, s[10:11]
	global_store_dword v[3:4], v5, off
.LBB47_1838:
	s_mov_b64 s[0:1], 0
.LBB47_1839:
	s_andn2_b64 vcc, exec, s[0:1]
	s_cbranch_vccnz .LBB47_1841
; %bb.1840:
	v_cndmask_b32_e64 v5, 0, 1.0, s[10:11]
	v_cvt_f16_f32_e32 v5, v5
	global_store_short v[3:4], v5, off
.LBB47_1841:
	s_mov_b64 s[0:1], 0
.LBB47_1842:
	s_andn2_b64 vcc, exec, s[0:1]
	s_cbranch_vccnz .LBB47_1858
; %bb.1843:
	s_cmp_lt_i32 s21, 2
	s_mov_b64 s[0:1], -1
	s_cbranch_scc1 .LBB47_1853
; %bb.1844:
	s_cmp_lt_i32 s21, 3
	s_cbranch_scc1 .LBB47_1850
; %bb.1845:
	s_cmp_gt_i32 s21, 3
	s_cbranch_scc0 .LBB47_1847
; %bb.1846:
	s_mov_b32 s0, 0
	v_cndmask_b32_e64 v5, 0, 1, s[10:11]
	v_mov_b32_e32 v6, s0
	global_store_dwordx2 v[3:4], v[5:6], off
	s_mov_b64 s[0:1], 0
.LBB47_1847:
	s_andn2_b64 vcc, exec, s[0:1]
	s_cbranch_vccnz .LBB47_1849
; %bb.1848:
	v_cndmask_b32_e64 v5, 0, 1, s[10:11]
	global_store_dword v[3:4], v5, off
.LBB47_1849:
	s_mov_b64 s[0:1], 0
.LBB47_1850:
	s_andn2_b64 vcc, exec, s[0:1]
	s_cbranch_vccnz .LBB47_1852
; %bb.1851:
	v_cndmask_b32_e64 v5, 0, 1, s[10:11]
	global_store_short v[3:4], v5, off
.LBB47_1852:
	s_mov_b64 s[0:1], 0
.LBB47_1853:
	s_andn2_b64 vcc, exec, s[0:1]
	s_cbranch_vccnz .LBB47_1858
; %bb.1854:
	s_mov_b64 s[0:1], -1
	s_cmp_gt_i32 s21, 0
	v_cndmask_b32_e64 v5, 0, 1, s[10:11]
	s_cbranch_scc0 .LBB47_1856
; %bb.1855:
	global_store_byte v[3:4], v5, off
	s_mov_b64 s[0:1], 0
.LBB47_1856:
	s_andn2_b64 vcc, exec, s[0:1]
	s_cbranch_vccnz .LBB47_1858
; %bb.1857:
	global_store_byte v[3:4], v5, off
.LBB47_1858:
	s_mov_b64 s[14:15], -1
.LBB47_1859:
	s_andn2_b64 vcc, exec, s[14:15]
	s_cbranch_vccnz .LBB47_2055
; %bb.1860:
	v_cmp_ne_u32_e32 vcc, s5, v1
	s_xor_b64 s[10:11], s[6:7], vcc
	v_mov_b32_e32 v3, s9
	v_add_co_u32_e32 v1, vcc, s8, v2
	s_cmp_lt_i32 s21, 11
	v_addc_co_u32_e32 v2, vcc, 0, v3, vcc
	s_cbranch_scc1 .LBB47_1938
; %bb.1861:
	s_mov_b64 s[16:17], -1
	s_mov_b64 s[12:13], 0
	s_cmp_gt_i32 s21, 25
	s_mov_b64 s[14:15], 0
	s_mov_b64 s[0:1], 0
	s_cbranch_scc0 .LBB47_1894
; %bb.1862:
	s_cmp_gt_i32 s21, 28
	s_cbranch_scc0 .LBB47_1877
; %bb.1863:
	s_cmp_gt_i32 s21, 43
	;; [unrolled: 3-line block ×3, first 2 shown]
	s_cbranch_scc0 .LBB47_1867
; %bb.1865:
	s_mov_b64 s[0:1], -1
	s_mov_b64 s[16:17], 0
	s_cmp_eq_u32 s21, 46
	s_cbranch_scc0 .LBB47_1867
; %bb.1866:
	v_cndmask_b32_e64 v3, 0, 1.0, s[10:11]
	v_bfe_u32 v4, v3, 16, 1
	s_movk_i32 s0, 0x7fff
	v_add3_u32 v3, v3, v4, s0
	v_lshrrev_b32_e32 v3, 16, v3
	global_store_dword v[1:2], v3, off
	s_mov_b64 s[0:1], 0
	s_mov_b64 s[14:15], -1
.LBB47_1867:
	s_and_b64 vcc, exec, s[16:17]
	s_cbranch_vccz .LBB47_1872
; %bb.1868:
	s_cmp_eq_u32 s21, 44
	s_mov_b64 s[0:1], -1
	s_cbranch_scc0 .LBB47_1872
; %bb.1869:
	v_cndmask_b32_e64 v4, 0, 1.0, s[10:11]
	v_lshrrev_b32_e32 v3, 23, v4
	s_movk_i32 s0, 0xff
	v_cmp_ne_u32_e32 vcc, s0, v3
	v_mov_b32_e32 v5, 0xff
	s_and_saveexec_b64 s[14:15], vcc
; %bb.1870:
	s_mov_b32 s0, 0x3fffff
	v_and_b32_e32 v5, 0x400000, v4
	v_and_or_b32 v4, v4, s0, v3
	v_cmp_ne_u32_e32 vcc, 0, v5
	v_cmp_ne_u32_e64 s[0:1], 0, v4
	s_and_b64 s[0:1], vcc, s[0:1]
	v_cndmask_b32_e64 v4, 0, 1, s[0:1]
	v_add_u32_e32 v5, v3, v4
; %bb.1871:
	s_or_b64 exec, exec, s[14:15]
	s_mov_b64 s[0:1], 0
	s_mov_b64 s[14:15], -1
	global_store_byte v[1:2], v5, off
.LBB47_1872:
	s_mov_b64 s[16:17], 0
.LBB47_1873:
	s_and_b64 vcc, exec, s[16:17]
	s_cbranch_vccz .LBB47_1876
; %bb.1874:
	s_cmp_eq_u32 s21, 29
	s_mov_b64 s[0:1], -1
	s_cbranch_scc0 .LBB47_1876
; %bb.1875:
	s_mov_b32 s0, 0
	v_cndmask_b32_e64 v3, 0, 1, s[10:11]
	v_mov_b32_e32 v4, s0
	global_store_dwordx2 v[1:2], v[3:4], off
	s_mov_b64 s[0:1], 0
	s_mov_b64 s[14:15], -1
.LBB47_1876:
	s_mov_b64 s[16:17], 0
.LBB47_1877:
	s_and_b64 vcc, exec, s[16:17]
	s_cbranch_vccz .LBB47_1893
; %bb.1878:
	s_cmp_lt_i32 s21, 27
	s_mov_b64 s[14:15], -1
	s_cbranch_scc1 .LBB47_1884
; %bb.1879:
	s_cmp_gt_i32 s21, 27
	s_cbranch_scc0 .LBB47_1881
; %bb.1880:
	v_cndmask_b32_e64 v3, 0, 1, s[10:11]
	s_mov_b64 s[14:15], 0
	global_store_dword v[1:2], v3, off
.LBB47_1881:
	s_andn2_b64 vcc, exec, s[14:15]
	s_cbranch_vccnz .LBB47_1883
; %bb.1882:
	v_cndmask_b32_e64 v3, 0, 1, s[10:11]
	global_store_short v[1:2], v3, off
.LBB47_1883:
	s_mov_b64 s[14:15], 0
.LBB47_1884:
	s_andn2_b64 vcc, exec, s[14:15]
	s_cbranch_vccnz .LBB47_1892
; %bb.1885:
	v_cndmask_b32_e64 v4, 0, 1.0, s[10:11]
	s_mov_b32 s4, 0x43800000
	v_cmp_gt_u32_e32 vcc, s4, v4
	v_mov_b32_e32 v5, 0x80
	s_and_saveexec_b64 s[14:15], vcc
	s_cbranch_execz .LBB47_1891
; %bb.1886:
	s_mov_b32 s4, 0x3bffffff
	v_cmp_lt_u32_e32 vcc, s4, v4
	s_mov_b64 s[16:17], 0
                                        ; implicit-def: $vgpr3
	s_and_saveexec_b64 s[18:19], vcc
	s_xor_b64 s[18:19], exec, s[18:19]
	s_cbranch_execz .LBB47_2112
; %bb.1887:
	v_bfe_u32 v3, v4, 20, 1
	s_mov_b32 s4, 0x487ffff
	v_add3_u32 v3, v4, v3, s4
	s_mov_b64 s[16:17], exec
	v_lshrrev_b32_e32 v3, 20, v3
                                        ; implicit-def: $vgpr4
	s_andn2_saveexec_b64 s[18:19], s[18:19]
	s_cbranch_execnz .LBB47_2113
.LBB47_1888:
	s_or_b64 exec, exec, s[18:19]
	v_mov_b32_e32 v5, 0
	s_and_saveexec_b64 s[18:19], s[16:17]
.LBB47_1889:
	v_mov_b32_e32 v5, v3
.LBB47_1890:
	s_or_b64 exec, exec, s[18:19]
.LBB47_1891:
	s_or_b64 exec, exec, s[14:15]
	global_store_byte v[1:2], v5, off
.LBB47_1892:
	s_mov_b64 s[14:15], -1
.LBB47_1893:
	s_mov_b64 s[16:17], 0
.LBB47_1894:
	s_and_b64 vcc, exec, s[16:17]
	s_cbranch_vccz .LBB47_1934
; %bb.1895:
	s_cmp_gt_i32 s21, 22
	s_mov_b64 s[12:13], -1
	s_cbranch_scc0 .LBB47_1927
; %bb.1896:
	s_cmp_lt_i32 s21, 24
	s_cbranch_scc1 .LBB47_1916
; %bb.1897:
	s_cmp_gt_i32 s21, 24
	s_cbranch_scc0 .LBB47_1905
; %bb.1898:
	v_cndmask_b32_e64 v4, 0, 1.0, s[10:11]
	s_mov_b32 s4, 0x47800000
	v_cmp_gt_u32_e32 vcc, s4, v4
	v_mov_b32_e32 v5, 0x80
	s_and_saveexec_b64 s[12:13], vcc
	s_cbranch_execz .LBB47_1904
; %bb.1899:
	s_mov_b32 s4, 0x37ffffff
	v_cmp_lt_u32_e32 vcc, s4, v4
	s_mov_b64 s[14:15], 0
                                        ; implicit-def: $vgpr3
	s_and_saveexec_b64 s[16:17], vcc
	s_xor_b64 s[16:17], exec, s[16:17]
	s_cbranch_execz .LBB47_2115
; %bb.1900:
	v_bfe_u32 v3, v4, 21, 1
	s_mov_b32 s4, 0x88fffff
	v_add3_u32 v3, v4, v3, s4
	s_mov_b64 s[14:15], exec
	v_lshrrev_b32_e32 v3, 21, v3
                                        ; implicit-def: $vgpr4
	s_andn2_saveexec_b64 s[16:17], s[16:17]
	s_cbranch_execnz .LBB47_2116
.LBB47_1901:
	s_or_b64 exec, exec, s[16:17]
	v_mov_b32_e32 v5, 0
	s_and_saveexec_b64 s[16:17], s[14:15]
.LBB47_1902:
	v_mov_b32_e32 v5, v3
.LBB47_1903:
	s_or_b64 exec, exec, s[16:17]
.LBB47_1904:
	s_or_b64 exec, exec, s[12:13]
	s_mov_b64 s[12:13], 0
	global_store_byte v[1:2], v5, off
.LBB47_1905:
	s_and_b64 vcc, exec, s[12:13]
	s_cbranch_vccz .LBB47_1915
; %bb.1906:
	v_cndmask_b32_e64 v3, 0, 1.0, s[10:11]
	s_mov_b32 s4, 0x43f00000
	v_cmp_gt_u32_e32 vcc, s4, v3
                                        ; implicit-def: $vgpr4
	s_and_saveexec_b64 s[12:13], vcc
	s_xor_b64 s[12:13], exec, s[12:13]
	s_cbranch_execz .LBB47_1912
; %bb.1907:
	s_mov_b32 s4, 0x3c7fffff
	v_cmp_lt_u32_e32 vcc, s4, v3
                                        ; implicit-def: $vgpr4
	s_and_saveexec_b64 s[14:15], vcc
	s_xor_b64 s[14:15], exec, s[14:15]
; %bb.1908:
	v_bfe_u32 v4, v3, 20, 1
	s_mov_b32 s4, 0x407ffff
	v_add3_u32 v3, v3, v4, s4
	v_lshrrev_b32_e32 v4, 20, v3
	v_and_b32_e32 v3, 0xff00000, v3
	s_mov_b32 s4, 0x7f00000
	v_mov_b32_e32 v5, 0x7e
	v_cmp_ne_u32_e32 vcc, s4, v3
	v_cndmask_b32_e32 v4, v5, v4, vcc
                                        ; implicit-def: $vgpr3
; %bb.1909:
	s_andn2_saveexec_b64 s[14:15], s[14:15]
; %bb.1910:
	v_add_f32_e32 v4, 0x46800000, v3
; %bb.1911:
	s_or_b64 exec, exec, s[14:15]
                                        ; implicit-def: $vgpr3
.LBB47_1912:
	s_andn2_saveexec_b64 s[12:13], s[12:13]
; %bb.1913:
	s_mov_b32 s4, 0x7f800000
	v_mov_b32_e32 v4, 0x7e
	v_mov_b32_e32 v5, 0x7f
	v_cmp_lt_u32_e32 vcc, s4, v3
	v_cndmask_b32_e32 v4, v4, v5, vcc
; %bb.1914:
	s_or_b64 exec, exec, s[12:13]
	global_store_byte v[1:2], v4, off
.LBB47_1915:
	s_mov_b64 s[12:13], 0
.LBB47_1916:
	s_andn2_b64 vcc, exec, s[12:13]
	s_cbranch_vccnz .LBB47_1926
; %bb.1917:
	v_cndmask_b32_e64 v3, 0, 1.0, s[10:11]
	s_mov_b32 s4, 0x47800000
	v_cmp_gt_u32_e32 vcc, s4, v3
                                        ; implicit-def: $vgpr4
	s_and_saveexec_b64 s[12:13], vcc
	s_xor_b64 s[12:13], exec, s[12:13]
	s_cbranch_execz .LBB47_1923
; %bb.1918:
	s_mov_b32 s4, 0x387fffff
	v_cmp_lt_u32_e32 vcc, s4, v3
                                        ; implicit-def: $vgpr4
	s_and_saveexec_b64 s[14:15], vcc
	s_xor_b64 s[14:15], exec, s[14:15]
; %bb.1919:
	v_bfe_u32 v4, v3, 21, 1
	s_mov_b32 s4, 0x80fffff
	v_add3_u32 v3, v3, v4, s4
	v_lshrrev_b32_e32 v4, 21, v3
                                        ; implicit-def: $vgpr3
; %bb.1920:
	s_andn2_saveexec_b64 s[14:15], s[14:15]
; %bb.1921:
	v_add_f32_e32 v4, 0x43000000, v3
; %bb.1922:
	s_or_b64 exec, exec, s[14:15]
                                        ; implicit-def: $vgpr3
.LBB47_1923:
	s_andn2_saveexec_b64 s[12:13], s[12:13]
; %bb.1924:
	s_mov_b32 s4, 0x7f800000
	v_mov_b32_e32 v4, 0x7c
	v_mov_b32_e32 v5, 0x7f
	v_cmp_lt_u32_e32 vcc, s4, v3
	v_cndmask_b32_e32 v4, v4, v5, vcc
; %bb.1925:
	s_or_b64 exec, exec, s[12:13]
	global_store_byte v[1:2], v4, off
.LBB47_1926:
	s_mov_b64 s[12:13], 0
	s_mov_b64 s[14:15], -1
.LBB47_1927:
	s_andn2_b64 vcc, exec, s[12:13]
	s_mov_b64 s[12:13], 0
	s_cbranch_vccnz .LBB47_1934
; %bb.1928:
	s_cmp_gt_i32 s21, 14
	s_mov_b64 s[16:17], -1
	s_cbranch_scc0 .LBB47_1932
; %bb.1929:
	s_cmp_eq_u32 s21, 15
	s_mov_b64 s[0:1], -1
	s_cbranch_scc0 .LBB47_1931
; %bb.1930:
	v_cndmask_b32_e64 v3, 0, 1.0, s[10:11]
	v_bfe_u32 v4, v3, 16, 1
	s_movk_i32 s0, 0x7fff
	v_add3_u32 v3, v3, v4, s0
	global_store_short_d16_hi v[1:2], v3, off
	s_mov_b64 s[0:1], 0
	s_mov_b64 s[14:15], -1
.LBB47_1931:
	s_mov_b64 s[16:17], 0
.LBB47_1932:
	s_and_b64 vcc, exec, s[16:17]
	s_cbranch_vccz .LBB47_1934
; %bb.1933:
	s_cmp_lg_u32 s21, 11
	s_mov_b64 s[12:13], -1
	s_cselect_b64 s[0:1], -1, 0
.LBB47_1934:
	s_and_b64 vcc, exec, s[0:1]
	s_cbranch_vccnz .LBB47_2114
; %bb.1935:
	s_andn2_b64 vcc, exec, s[12:13]
	s_cbranch_vccnz .LBB47_1937
.LBB47_1936:
	v_cndmask_b32_e64 v3, 0, 1, s[10:11]
	s_mov_b64 s[14:15], -1
	global_store_byte v[1:2], v3, off
.LBB47_1937:
	s_mov_b64 s[0:1], 0
	s_branch .LBB47_1939
.LBB47_1938:
	s_mov_b64 s[0:1], -1
	s_mov_b64 s[14:15], 0
.LBB47_1939:
	s_and_b64 vcc, exec, s[0:1]
	s_cbranch_vccz .LBB47_1978
; %bb.1940:
	s_cmp_lt_i32 s21, 5
	s_mov_b64 s[0:1], -1
	s_cbranch_scc1 .LBB47_1961
; %bb.1941:
	s_cmp_lt_i32 s21, 8
	s_cbranch_scc1 .LBB47_1951
; %bb.1942:
	s_cmp_lt_i32 s21, 9
	s_cbranch_scc1 .LBB47_1948
; %bb.1943:
	s_cmp_gt_i32 s21, 9
	s_cbranch_scc0 .LBB47_1945
; %bb.1944:
	v_cndmask_b32_e64 v3, 0, 1, s[10:11]
	v_cvt_f64_u32_e32 v[3:4], v3
	v_mov_b32_e32 v5, 0
	v_mov_b32_e32 v6, v5
	s_mov_b64 s[0:1], 0
	global_store_dwordx4 v[1:2], v[3:6], off
.LBB47_1945:
	s_andn2_b64 vcc, exec, s[0:1]
	s_cbranch_vccnz .LBB47_1947
; %bb.1946:
	v_cndmask_b32_e64 v3, 0, 1.0, s[10:11]
	v_mov_b32_e32 v4, 0
	global_store_dwordx2 v[1:2], v[3:4], off
.LBB47_1947:
	s_mov_b64 s[0:1], 0
.LBB47_1948:
	s_andn2_b64 vcc, exec, s[0:1]
	s_cbranch_vccnz .LBB47_1950
; %bb.1949:
	v_cndmask_b32_e64 v3, 0, 1.0, s[10:11]
	v_cvt_f16_f32_e32 v3, v3
	global_store_dword v[1:2], v3, off
.LBB47_1950:
	s_mov_b64 s[0:1], 0
.LBB47_1951:
	s_andn2_b64 vcc, exec, s[0:1]
	s_cbranch_vccnz .LBB47_1960
; %bb.1952:
	s_cmp_lt_i32 s21, 6
	s_mov_b64 s[0:1], -1
	s_cbranch_scc1 .LBB47_1958
; %bb.1953:
	s_cmp_gt_i32 s21, 6
	s_cbranch_scc0 .LBB47_1955
; %bb.1954:
	v_cndmask_b32_e64 v3, 0, 1, s[10:11]
	v_cvt_f64_u32_e32 v[3:4], v3
	s_mov_b64 s[0:1], 0
	global_store_dwordx2 v[1:2], v[3:4], off
.LBB47_1955:
	s_andn2_b64 vcc, exec, s[0:1]
	s_cbranch_vccnz .LBB47_1957
; %bb.1956:
	v_cndmask_b32_e64 v3, 0, 1.0, s[10:11]
	global_store_dword v[1:2], v3, off
.LBB47_1957:
	s_mov_b64 s[0:1], 0
.LBB47_1958:
	s_andn2_b64 vcc, exec, s[0:1]
	s_cbranch_vccnz .LBB47_1960
; %bb.1959:
	v_cndmask_b32_e64 v3, 0, 1.0, s[10:11]
	v_cvt_f16_f32_e32 v3, v3
	global_store_short v[1:2], v3, off
.LBB47_1960:
	s_mov_b64 s[0:1], 0
.LBB47_1961:
	s_andn2_b64 vcc, exec, s[0:1]
	s_cbranch_vccnz .LBB47_1977
; %bb.1962:
	s_cmp_lt_i32 s21, 2
	s_mov_b64 s[0:1], -1
	s_cbranch_scc1 .LBB47_1972
; %bb.1963:
	s_cmp_lt_i32 s21, 3
	s_cbranch_scc1 .LBB47_1969
; %bb.1964:
	s_cmp_gt_i32 s21, 3
	s_cbranch_scc0 .LBB47_1966
; %bb.1965:
	s_mov_b32 s0, 0
	v_cndmask_b32_e64 v3, 0, 1, s[10:11]
	v_mov_b32_e32 v4, s0
	global_store_dwordx2 v[1:2], v[3:4], off
	s_mov_b64 s[0:1], 0
.LBB47_1966:
	s_andn2_b64 vcc, exec, s[0:1]
	s_cbranch_vccnz .LBB47_1968
; %bb.1967:
	v_cndmask_b32_e64 v3, 0, 1, s[10:11]
	global_store_dword v[1:2], v3, off
.LBB47_1968:
	s_mov_b64 s[0:1], 0
.LBB47_1969:
	s_andn2_b64 vcc, exec, s[0:1]
	s_cbranch_vccnz .LBB47_1971
; %bb.1970:
	v_cndmask_b32_e64 v3, 0, 1, s[10:11]
	global_store_short v[1:2], v3, off
.LBB47_1971:
	s_mov_b64 s[0:1], 0
.LBB47_1972:
	s_andn2_b64 vcc, exec, s[0:1]
	s_cbranch_vccnz .LBB47_1977
; %bb.1973:
	s_cmp_gt_i32 s21, 0
	s_mov_b64 s[0:1], -1
	s_cbranch_scc0 .LBB47_1975
; %bb.1974:
	v_cndmask_b32_e64 v3, 0, 1, s[10:11]
	global_store_byte v[1:2], v3, off
	s_mov_b64 s[0:1], 0
.LBB47_1975:
	s_andn2_b64 vcc, exec, s[0:1]
	s_cbranch_vccnz .LBB47_1977
; %bb.1976:
	v_cndmask_b32_e64 v3, 0, 1, s[10:11]
	global_store_byte v[1:2], v3, off
.LBB47_1977:
	s_mov_b64 s[14:15], -1
.LBB47_1978:
	s_andn2_b64 vcc, exec, s[14:15]
	s_cbranch_vccnz .LBB47_2055
; %bb.1979:
	v_cmp_ne_u32_e32 vcc, s5, v9
	s_xor_b64 s[10:11], s[6:7], vcc
	v_mov_b32_e32 v1, s9
	v_add_co_u32_e32 v0, vcc, s8, v0
	s_cmp_lt_i32 s21, 11
	v_addc_co_u32_e32 v1, vcc, 0, v1, vcc
	s_cbranch_scc1 .LBB47_2100
; %bb.1980:
	s_mov_b64 s[6:7], -1
	s_mov_b64 s[4:5], 0
	s_cmp_gt_i32 s21, 25
	s_mov_b64 s[0:1], 0
	s_cbranch_scc0 .LBB47_2013
; %bb.1981:
	s_cmp_gt_i32 s21, 28
	s_cbranch_scc0 .LBB47_1997
; %bb.1982:
	s_cmp_gt_i32 s21, 43
	;; [unrolled: 3-line block ×3, first 2 shown]
	s_cbranch_scc0 .LBB47_1987
; %bb.1984:
	s_cmp_eq_u32 s21, 46
	s_mov_b64 s[0:1], -1
	s_cbranch_scc0 .LBB47_1986
; %bb.1985:
	v_cndmask_b32_e64 v2, 0, 1.0, s[10:11]
	v_bfe_u32 v3, v2, 16, 1
	s_movk_i32 s0, 0x7fff
	v_add3_u32 v2, v2, v3, s0
	v_lshrrev_b32_e32 v2, 16, v2
	global_store_dword v[0:1], v2, off
	s_mov_b64 s[0:1], 0
.LBB47_1986:
	s_mov_b64 s[6:7], 0
.LBB47_1987:
	s_and_b64 vcc, exec, s[6:7]
	s_cbranch_vccz .LBB47_1992
; %bb.1988:
	s_cmp_eq_u32 s21, 44
	s_mov_b64 s[0:1], -1
	s_cbranch_scc0 .LBB47_1992
; %bb.1989:
	v_cndmask_b32_e64 v3, 0, 1.0, s[10:11]
	v_lshrrev_b32_e32 v2, 23, v3
	s_movk_i32 s0, 0xff
	v_cmp_ne_u32_e32 vcc, s0, v2
	v_mov_b32_e32 v4, 0xff
	s_and_saveexec_b64 s[6:7], vcc
; %bb.1990:
	s_mov_b32 s0, 0x3fffff
	v_and_b32_e32 v4, 0x400000, v3
	v_and_or_b32 v3, v3, s0, v2
	v_cmp_ne_u32_e32 vcc, 0, v4
	v_cmp_ne_u32_e64 s[0:1], 0, v3
	s_and_b64 s[0:1], vcc, s[0:1]
	v_cndmask_b32_e64 v3, 0, 1, s[0:1]
	v_add_u32_e32 v4, v2, v3
; %bb.1991:
	s_or_b64 exec, exec, s[6:7]
	s_mov_b64 s[0:1], 0
	global_store_byte v[0:1], v4, off
.LBB47_1992:
	s_mov_b64 s[6:7], 0
.LBB47_1993:
	s_and_b64 vcc, exec, s[6:7]
	s_cbranch_vccz .LBB47_1996
; %bb.1994:
	s_cmp_eq_u32 s21, 29
	s_mov_b64 s[0:1], -1
	s_cbranch_scc0 .LBB47_1996
; %bb.1995:
	s_mov_b32 s0, 0
	v_cndmask_b32_e64 v2, 0, 1, s[10:11]
	v_mov_b32_e32 v3, s0
	global_store_dwordx2 v[0:1], v[2:3], off
	s_mov_b64 s[0:1], 0
.LBB47_1996:
	s_mov_b64 s[6:7], 0
.LBB47_1997:
	s_and_b64 vcc, exec, s[6:7]
	s_cbranch_vccz .LBB47_2012
; %bb.1998:
	s_cmp_lt_i32 s21, 27
	s_mov_b64 s[6:7], -1
	s_cbranch_scc1 .LBB47_2004
; %bb.1999:
	s_cmp_gt_i32 s21, 27
	s_cbranch_scc0 .LBB47_2001
; %bb.2000:
	v_cndmask_b32_e64 v2, 0, 1, s[10:11]
	global_store_dword v[0:1], v2, off
	s_mov_b64 s[6:7], 0
.LBB47_2001:
	s_andn2_b64 vcc, exec, s[6:7]
	s_cbranch_vccnz .LBB47_2003
; %bb.2002:
	v_cndmask_b32_e64 v2, 0, 1, s[10:11]
	global_store_short v[0:1], v2, off
.LBB47_2003:
	s_mov_b64 s[6:7], 0
.LBB47_2004:
	s_andn2_b64 vcc, exec, s[6:7]
	s_cbranch_vccnz .LBB47_2012
; %bb.2005:
	v_cndmask_b32_e64 v3, 0, 1.0, s[10:11]
	s_mov_b32 s6, 0x43800000
	v_cmp_gt_u32_e32 vcc, s6, v3
	v_mov_b32_e32 v4, 0x80
	s_and_saveexec_b64 s[6:7], vcc
	s_cbranch_execz .LBB47_2011
; %bb.2006:
	s_mov_b32 s8, 0x3bffffff
	v_cmp_lt_u32_e32 vcc, s8, v3
	s_mov_b64 s[8:9], 0
                                        ; implicit-def: $vgpr2
	s_and_saveexec_b64 s[12:13], vcc
	s_xor_b64 s[12:13], exec, s[12:13]
	s_cbranch_execz .LBB47_2117
; %bb.2007:
	v_bfe_u32 v2, v3, 20, 1
	s_mov_b32 s14, 0x487ffff
	v_add3_u32 v2, v3, v2, s14
	s_mov_b64 s[8:9], exec
	v_lshrrev_b32_e32 v2, 20, v2
                                        ; implicit-def: $vgpr3
	s_andn2_saveexec_b64 s[12:13], s[12:13]
	s_cbranch_execnz .LBB47_2118
.LBB47_2008:
	s_or_b64 exec, exec, s[12:13]
	v_mov_b32_e32 v4, 0
	s_and_saveexec_b64 s[12:13], s[8:9]
.LBB47_2009:
	v_mov_b32_e32 v4, v2
.LBB47_2010:
	s_or_b64 exec, exec, s[12:13]
.LBB47_2011:
	s_or_b64 exec, exec, s[6:7]
	global_store_byte v[0:1], v4, off
.LBB47_2012:
	s_mov_b64 s[6:7], 0
.LBB47_2013:
	s_and_b64 vcc, exec, s[6:7]
	s_cbranch_vccz .LBB47_2053
; %bb.2014:
	s_cmp_gt_i32 s21, 22
	s_mov_b64 s[4:5], -1
	s_cbranch_scc0 .LBB47_2046
; %bb.2015:
	s_cmp_lt_i32 s21, 24
	s_cbranch_scc1 .LBB47_2035
; %bb.2016:
	s_cmp_gt_i32 s21, 24
	s_cbranch_scc0 .LBB47_2024
; %bb.2017:
	v_cndmask_b32_e64 v3, 0, 1.0, s[10:11]
	s_mov_b32 s4, 0x47800000
	v_cmp_gt_u32_e32 vcc, s4, v3
	v_mov_b32_e32 v4, 0x80
	s_and_saveexec_b64 s[4:5], vcc
	s_cbranch_execz .LBB47_2023
; %bb.2018:
	s_mov_b32 s6, 0x37ffffff
	v_cmp_lt_u32_e32 vcc, s6, v3
	s_mov_b64 s[6:7], 0
                                        ; implicit-def: $vgpr2
	s_and_saveexec_b64 s[8:9], vcc
	s_xor_b64 s[8:9], exec, s[8:9]
	s_cbranch_execz .LBB47_2120
; %bb.2019:
	v_bfe_u32 v2, v3, 21, 1
	s_mov_b32 s12, 0x88fffff
	v_add3_u32 v2, v3, v2, s12
	s_mov_b64 s[6:7], exec
	v_lshrrev_b32_e32 v2, 21, v2
                                        ; implicit-def: $vgpr3
	s_andn2_saveexec_b64 s[8:9], s[8:9]
	s_cbranch_execnz .LBB47_2121
.LBB47_2020:
	s_or_b64 exec, exec, s[8:9]
	v_mov_b32_e32 v4, 0
	s_and_saveexec_b64 s[8:9], s[6:7]
.LBB47_2021:
	v_mov_b32_e32 v4, v2
.LBB47_2022:
	s_or_b64 exec, exec, s[8:9]
.LBB47_2023:
	s_or_b64 exec, exec, s[4:5]
	s_mov_b64 s[4:5], 0
	global_store_byte v[0:1], v4, off
.LBB47_2024:
	s_and_b64 vcc, exec, s[4:5]
	s_cbranch_vccz .LBB47_2034
; %bb.2025:
	v_cndmask_b32_e64 v2, 0, 1.0, s[10:11]
	s_mov_b32 s4, 0x43f00000
	v_cmp_gt_u32_e32 vcc, s4, v2
                                        ; implicit-def: $vgpr3
	s_and_saveexec_b64 s[4:5], vcc
	s_xor_b64 s[4:5], exec, s[4:5]
	s_cbranch_execz .LBB47_2031
; %bb.2026:
	s_mov_b32 s6, 0x3c7fffff
	v_cmp_lt_u32_e32 vcc, s6, v2
                                        ; implicit-def: $vgpr3
	s_and_saveexec_b64 s[6:7], vcc
	s_xor_b64 s[6:7], exec, s[6:7]
; %bb.2027:
	v_bfe_u32 v3, v2, 20, 1
	s_mov_b32 s8, 0x407ffff
	v_add3_u32 v2, v2, v3, s8
	v_lshrrev_b32_e32 v3, 20, v2
	v_and_b32_e32 v2, 0xff00000, v2
	s_mov_b32 s8, 0x7f00000
	v_mov_b32_e32 v4, 0x7e
	v_cmp_ne_u32_e32 vcc, s8, v2
	v_cndmask_b32_e32 v3, v4, v3, vcc
                                        ; implicit-def: $vgpr2
; %bb.2028:
	s_andn2_saveexec_b64 s[6:7], s[6:7]
; %bb.2029:
	v_add_f32_e32 v3, 0x46800000, v2
; %bb.2030:
	s_or_b64 exec, exec, s[6:7]
                                        ; implicit-def: $vgpr2
.LBB47_2031:
	s_andn2_saveexec_b64 s[4:5], s[4:5]
; %bb.2032:
	s_mov_b32 s6, 0x7f800000
	v_mov_b32_e32 v3, 0x7e
	v_mov_b32_e32 v4, 0x7f
	v_cmp_lt_u32_e32 vcc, s6, v2
	v_cndmask_b32_e32 v3, v3, v4, vcc
; %bb.2033:
	s_or_b64 exec, exec, s[4:5]
	global_store_byte v[0:1], v3, off
.LBB47_2034:
	s_mov_b64 s[4:5], 0
.LBB47_2035:
	s_andn2_b64 vcc, exec, s[4:5]
	s_cbranch_vccnz .LBB47_2045
; %bb.2036:
	v_cndmask_b32_e64 v2, 0, 1.0, s[10:11]
	s_mov_b32 s4, 0x47800000
	v_cmp_gt_u32_e32 vcc, s4, v2
                                        ; implicit-def: $vgpr3
	s_and_saveexec_b64 s[4:5], vcc
	s_xor_b64 s[4:5], exec, s[4:5]
	s_cbranch_execz .LBB47_2042
; %bb.2037:
	s_mov_b32 s6, 0x387fffff
	v_cmp_lt_u32_e32 vcc, s6, v2
                                        ; implicit-def: $vgpr3
	s_and_saveexec_b64 s[6:7], vcc
	s_xor_b64 s[6:7], exec, s[6:7]
; %bb.2038:
	v_bfe_u32 v3, v2, 21, 1
	s_mov_b32 s8, 0x80fffff
	v_add3_u32 v2, v2, v3, s8
	v_lshrrev_b32_e32 v3, 21, v2
                                        ; implicit-def: $vgpr2
; %bb.2039:
	s_andn2_saveexec_b64 s[6:7], s[6:7]
; %bb.2040:
	v_add_f32_e32 v3, 0x43000000, v2
; %bb.2041:
	s_or_b64 exec, exec, s[6:7]
                                        ; implicit-def: $vgpr2
.LBB47_2042:
	s_andn2_saveexec_b64 s[4:5], s[4:5]
; %bb.2043:
	s_mov_b32 s6, 0x7f800000
	v_mov_b32_e32 v3, 0x7c
	v_mov_b32_e32 v4, 0x7f
	v_cmp_lt_u32_e32 vcc, s6, v2
	v_cndmask_b32_e32 v3, v3, v4, vcc
; %bb.2044:
	s_or_b64 exec, exec, s[4:5]
	global_store_byte v[0:1], v3, off
.LBB47_2045:
	s_mov_b64 s[4:5], 0
.LBB47_2046:
	s_andn2_b64 vcc, exec, s[4:5]
	s_mov_b64 s[4:5], 0
	s_cbranch_vccnz .LBB47_2053
; %bb.2047:
	s_cmp_gt_i32 s21, 14
	s_mov_b64 s[6:7], -1
	s_cbranch_scc0 .LBB47_2051
; %bb.2048:
	s_cmp_eq_u32 s21, 15
	s_mov_b64 s[0:1], -1
	s_cbranch_scc0 .LBB47_2050
; %bb.2049:
	v_cndmask_b32_e64 v2, 0, 1.0, s[10:11]
	v_bfe_u32 v3, v2, 16, 1
	s_movk_i32 s0, 0x7fff
	v_add3_u32 v2, v2, v3, s0
	global_store_short_d16_hi v[0:1], v2, off
	s_mov_b64 s[0:1], 0
.LBB47_2050:
	s_mov_b64 s[6:7], 0
.LBB47_2051:
	s_and_b64 vcc, exec, s[6:7]
	s_cbranch_vccz .LBB47_2053
; %bb.2052:
	s_cmp_lg_u32 s21, 11
	s_mov_b64 s[4:5], -1
	s_cselect_b64 s[0:1], -1, 0
.LBB47_2053:
	s_and_b64 vcc, exec, s[0:1]
	s_cbranch_vccnz .LBB47_2119
.LBB47_2054:
	s_mov_b64 s[0:1], 0
	s_branch .LBB47_2056
.LBB47_2055:
	s_mov_b64 s[0:1], 0
	s_mov_b64 s[4:5], 0
                                        ; implicit-def: $sgpr10_sgpr11
                                        ; implicit-def: $vgpr0_vgpr1
                                        ; implicit-def: $sgpr20
.LBB47_2056:
	s_and_b64 s[6:7], s[4:5], exec
	s_andn2_b64 s[4:5], s[28:29], exec
	s_and_b64 s[2:3], s[2:3], exec
	s_and_b64 s[0:1], s[0:1], exec
	s_or_b64 s[28:29], s[4:5], s[2:3]
.LBB47_2057:
	s_or_b64 exec, exec, s[30:31]
	s_and_saveexec_b64 s[2:3], s[28:29]
	s_cbranch_execz .LBB47_2060
; %bb.2058:
	; divergent unreachable
	s_or_b64 exec, exec, s[2:3]
	s_and_saveexec_b64 s[2:3], s[6:7]
	s_xor_b64 s[2:3], exec, s[2:3]
	s_cbranch_execnz .LBB47_2061
.LBB47_2059:
	s_or_b64 exec, exec, s[2:3]
	s_and_saveexec_b64 s[2:3], s[0:1]
	s_cbranch_execnz .LBB47_2062
	s_branch .LBB47_2099
.LBB47_2060:
	s_or_b64 exec, exec, s[2:3]
	s_and_saveexec_b64 s[2:3], s[6:7]
	s_xor_b64 s[2:3], exec, s[2:3]
	s_cbranch_execz .LBB47_2059
.LBB47_2061:
	v_cndmask_b32_e64 v2, 0, 1, s[10:11]
	s_waitcnt vmcnt(0)
	global_store_byte v[0:1], v2, off
	s_or_b64 exec, exec, s[2:3]
	s_and_saveexec_b64 s[2:3], s[0:1]
	s_cbranch_execz .LBB47_2099
.LBB47_2062:
	s_sext_i32_i16 s2, s20
	s_cmp_lt_i32 s2, 5
	s_mov_b64 s[0:1], -1
	s_cbranch_scc1 .LBB47_2083
; %bb.2063:
	s_cmp_lt_i32 s2, 8
	s_cbranch_scc1 .LBB47_2073
; %bb.2064:
	s_cmp_lt_i32 s2, 9
	s_cbranch_scc1 .LBB47_2070
; %bb.2065:
	s_cmp_gt_i32 s2, 9
	s_cbranch_scc0 .LBB47_2067
; %bb.2066:
	v_cndmask_b32_e64 v2, 0, 1, s[10:11]
	s_waitcnt vmcnt(0)
	v_cvt_f64_u32_e32 v[2:3], v2
	v_mov_b32_e32 v4, 0
	v_mov_b32_e32 v5, v4
	s_mov_b64 s[0:1], 0
	global_store_dwordx4 v[0:1], v[2:5], off
.LBB47_2067:
	s_andn2_b64 vcc, exec, s[0:1]
	s_cbranch_vccnz .LBB47_2069
; %bb.2068:
	v_cndmask_b32_e64 v2, 0, 1.0, s[10:11]
	s_waitcnt vmcnt(0)
	v_mov_b32_e32 v3, 0
	global_store_dwordx2 v[0:1], v[2:3], off
.LBB47_2069:
	s_mov_b64 s[0:1], 0
.LBB47_2070:
	s_andn2_b64 vcc, exec, s[0:1]
	s_cbranch_vccnz .LBB47_2072
; %bb.2071:
	v_cndmask_b32_e64 v2, 0, 1.0, s[10:11]
	v_cvt_f16_f32_e32 v2, v2
	s_waitcnt vmcnt(0)
	global_store_dword v[0:1], v2, off
.LBB47_2072:
	s_mov_b64 s[0:1], 0
.LBB47_2073:
	s_andn2_b64 vcc, exec, s[0:1]
	s_cbranch_vccnz .LBB47_2082
; %bb.2074:
	s_sext_i32_i16 s2, s20
	s_cmp_lt_i32 s2, 6
	s_mov_b64 s[0:1], -1
	s_cbranch_scc1 .LBB47_2080
; %bb.2075:
	s_cmp_gt_i32 s2, 6
	s_cbranch_scc0 .LBB47_2077
; %bb.2076:
	v_cndmask_b32_e64 v2, 0, 1, s[10:11]
	s_waitcnt vmcnt(0)
	v_cvt_f64_u32_e32 v[2:3], v2
	s_mov_b64 s[0:1], 0
	global_store_dwordx2 v[0:1], v[2:3], off
.LBB47_2077:
	s_andn2_b64 vcc, exec, s[0:1]
	s_cbranch_vccnz .LBB47_2079
; %bb.2078:
	v_cndmask_b32_e64 v2, 0, 1.0, s[10:11]
	s_waitcnt vmcnt(0)
	global_store_dword v[0:1], v2, off
.LBB47_2079:
	s_mov_b64 s[0:1], 0
.LBB47_2080:
	s_andn2_b64 vcc, exec, s[0:1]
	s_cbranch_vccnz .LBB47_2082
; %bb.2081:
	v_cndmask_b32_e64 v2, 0, 1.0, s[10:11]
	v_cvt_f16_f32_e32 v2, v2
	s_waitcnt vmcnt(0)
	global_store_short v[0:1], v2, off
.LBB47_2082:
	s_mov_b64 s[0:1], 0
.LBB47_2083:
	s_andn2_b64 vcc, exec, s[0:1]
	s_cbranch_vccnz .LBB47_2099
; %bb.2084:
	s_sext_i32_i16 s2, s20
	s_cmp_lt_i32 s2, 2
	s_mov_b64 s[0:1], -1
	s_cbranch_scc1 .LBB47_2094
; %bb.2085:
	s_cmp_lt_i32 s2, 3
	s_cbranch_scc1 .LBB47_2091
; %bb.2086:
	s_cmp_gt_i32 s2, 3
	s_cbranch_scc0 .LBB47_2088
; %bb.2087:
	s_mov_b32 s0, 0
	v_cndmask_b32_e64 v2, 0, 1, s[10:11]
	s_waitcnt vmcnt(0)
	v_mov_b32_e32 v3, s0
	global_store_dwordx2 v[0:1], v[2:3], off
	s_mov_b64 s[0:1], 0
.LBB47_2088:
	s_andn2_b64 vcc, exec, s[0:1]
	s_cbranch_vccnz .LBB47_2090
; %bb.2089:
	v_cndmask_b32_e64 v2, 0, 1, s[10:11]
	s_waitcnt vmcnt(0)
	global_store_dword v[0:1], v2, off
.LBB47_2090:
	s_mov_b64 s[0:1], 0
.LBB47_2091:
	s_andn2_b64 vcc, exec, s[0:1]
	s_cbranch_vccnz .LBB47_2093
; %bb.2092:
	v_cndmask_b32_e64 v2, 0, 1, s[10:11]
	s_waitcnt vmcnt(0)
	global_store_short v[0:1], v2, off
.LBB47_2093:
	s_mov_b64 s[0:1], 0
.LBB47_2094:
	s_andn2_b64 vcc, exec, s[0:1]
	s_cbranch_vccnz .LBB47_2099
; %bb.2095:
	s_sext_i32_i16 s0, s20
	s_cmp_gt_i32 s0, 0
	s_mov_b64 s[0:1], -1
	s_cbranch_scc0 .LBB47_2097
; %bb.2096:
	v_cndmask_b32_e64 v2, 0, 1, s[10:11]
	s_waitcnt vmcnt(0)
	global_store_byte v[0:1], v2, off
	s_mov_b64 s[0:1], 0
.LBB47_2097:
	s_andn2_b64 vcc, exec, s[0:1]
	s_cbranch_vccnz .LBB47_2099
; %bb.2098:
	v_cndmask_b32_e64 v2, 0, 1, s[10:11]
	s_waitcnt vmcnt(0)
	global_store_byte v[0:1], v2, off
	s_endpgm
.LBB47_2099:
	s_endpgm
.LBB47_2100:
	s_mov_b64 s[4:5], 0
	s_mov_b64 s[0:1], -1
	s_branch .LBB47_2056
.LBB47_2101:
	s_trap 2
	s_or_b64 s[2:3], s[2:3], exec
	s_cbranch_execz .LBB47_1570
	s_branch .LBB47_1571
.LBB47_2102:
	s_andn2_saveexec_b64 s[18:19], s[18:19]
	s_cbranch_execz .LBB47_1650
.LBB47_2103:
	v_add_f32_e32 v7, 0x46000000, v8
	v_and_b32_e32 v7, 0xff, v7
	v_cmp_ne_u32_e32 vcc, 0, v7
	s_andn2_b64 s[16:17], s[16:17], exec
	s_and_b64 s[22:23], vcc, exec
	s_or_b64 s[16:17], s[16:17], s[22:23]
	s_or_b64 exec, exec, s[18:19]
	v_mov_b32_e32 v10, 0
	s_and_saveexec_b64 s[18:19], s[16:17]
	s_cbranch_execnz .LBB47_1651
	s_branch .LBB47_1652
.LBB47_2104:
	s_trap 2
	s_or_b64 s[2:3], s[2:3], exec
	s_cbranch_execz .LBB47_1698
	s_branch .LBB47_1699
.LBB47_2105:
	s_andn2_saveexec_b64 s[16:17], s[16:17]
	s_cbranch_execz .LBB47_1663
.LBB47_2106:
	v_add_f32_e32 v7, 0x42800000, v8
	v_and_b32_e32 v7, 0xff, v7
	v_cmp_ne_u32_e32 vcc, 0, v7
	s_andn2_b64 s[14:15], s[14:15], exec
	s_and_b64 s[18:19], vcc, exec
	s_or_b64 s[14:15], s[14:15], s[18:19]
	s_or_b64 exec, exec, s[16:17]
	v_mov_b32_e32 v10, 0
	s_and_saveexec_b64 s[16:17], s[14:15]
	s_cbranch_execnz .LBB47_1664
	s_branch .LBB47_1665
.LBB47_2107:
	s_andn2_saveexec_b64 s[18:19], s[18:19]
	s_cbranch_execz .LBB47_1769
.LBB47_2108:
	v_add_f32_e32 v5, 0x46000000, v6
	v_and_b32_e32 v5, 0xff, v5
	v_cmp_ne_u32_e32 vcc, 0, v5
	s_andn2_b64 s[16:17], s[16:17], exec
	s_and_b64 s[22:23], vcc, exec
	s_or_b64 s[16:17], s[16:17], s[22:23]
	s_or_b64 exec, exec, s[18:19]
	v_mov_b32_e32 v7, 0
	s_and_saveexec_b64 s[18:19], s[16:17]
	s_cbranch_execnz .LBB47_1770
	s_branch .LBB47_1771
.LBB47_2109:
	s_trap 2
	s_or_b64 s[2:3], s[2:3], exec
	s_cbranch_execz .LBB47_1817
	s_branch .LBB47_1818
.LBB47_2110:
	s_andn2_saveexec_b64 s[16:17], s[16:17]
	s_cbranch_execz .LBB47_1782
.LBB47_2111:
	v_add_f32_e32 v5, 0x42800000, v6
	v_and_b32_e32 v5, 0xff, v5
	v_cmp_ne_u32_e32 vcc, 0, v5
	s_andn2_b64 s[14:15], s[14:15], exec
	s_and_b64 s[18:19], vcc, exec
	s_or_b64 s[14:15], s[14:15], s[18:19]
	s_or_b64 exec, exec, s[16:17]
	v_mov_b32_e32 v7, 0
	s_and_saveexec_b64 s[16:17], s[14:15]
	s_cbranch_execnz .LBB47_1783
	s_branch .LBB47_1784
.LBB47_2112:
	s_andn2_saveexec_b64 s[18:19], s[18:19]
	s_cbranch_execz .LBB47_1888
.LBB47_2113:
	v_add_f32_e32 v3, 0x46000000, v4
	v_and_b32_e32 v3, 0xff, v3
	v_cmp_ne_u32_e32 vcc, 0, v3
	s_andn2_b64 s[16:17], s[16:17], exec
	s_and_b64 s[22:23], vcc, exec
	s_or_b64 s[16:17], s[16:17], s[22:23]
	s_or_b64 exec, exec, s[18:19]
	v_mov_b32_e32 v5, 0
	s_and_saveexec_b64 s[18:19], s[16:17]
	s_cbranch_execnz .LBB47_1889
	s_branch .LBB47_1890
.LBB47_2114:
	s_trap 2
	s_or_b64 s[2:3], s[2:3], exec
	s_cbranch_execz .LBB47_1936
	s_branch .LBB47_1937
.LBB47_2115:
	s_andn2_saveexec_b64 s[16:17], s[16:17]
	s_cbranch_execz .LBB47_1901
.LBB47_2116:
	v_add_f32_e32 v3, 0x42800000, v4
	v_and_b32_e32 v3, 0xff, v3
	v_cmp_ne_u32_e32 vcc, 0, v3
	s_andn2_b64 s[14:15], s[14:15], exec
	s_and_b64 s[18:19], vcc, exec
	s_or_b64 s[14:15], s[14:15], s[18:19]
	s_or_b64 exec, exec, s[16:17]
	v_mov_b32_e32 v5, 0
	s_and_saveexec_b64 s[16:17], s[14:15]
	s_cbranch_execnz .LBB47_1902
	s_branch .LBB47_1903
.LBB47_2117:
	s_andn2_saveexec_b64 s[12:13], s[12:13]
	s_cbranch_execz .LBB47_2008
.LBB47_2118:
	v_add_f32_e32 v2, 0x46000000, v3
	v_and_b32_e32 v2, 0xff, v2
	v_cmp_ne_u32_e32 vcc, 0, v2
	s_andn2_b64 s[8:9], s[8:9], exec
	s_and_b64 s[14:15], vcc, exec
	s_or_b64 s[8:9], s[8:9], s[14:15]
	s_or_b64 exec, exec, s[12:13]
	v_mov_b32_e32 v4, 0
	s_and_saveexec_b64 s[12:13], s[8:9]
	s_cbranch_execnz .LBB47_2009
	s_branch .LBB47_2010
.LBB47_2119:
	s_mov_b64 s[4:5], 0
	s_or_b64 s[2:3], s[2:3], exec
	s_trap 2
	s_branch .LBB47_2054
.LBB47_2120:
	s_andn2_saveexec_b64 s[8:9], s[8:9]
	s_cbranch_execz .LBB47_2020
.LBB47_2121:
	v_add_f32_e32 v2, 0x42800000, v3
	v_and_b32_e32 v2, 0xff, v2
	v_cmp_ne_u32_e32 vcc, 0, v2
	s_andn2_b64 s[6:7], s[6:7], exec
	s_and_b64 s[12:13], vcc, exec
	s_or_b64 s[6:7], s[6:7], s[12:13]
	s_or_b64 exec, exec, s[8:9]
	v_mov_b32_e32 v4, 0
	s_and_saveexec_b64 s[8:9], s[6:7]
	s_cbranch_execnz .LBB47_2021
	s_branch .LBB47_2022
	.section	.rodata,"a",@progbits
	.p2align	6, 0x0
	.amdhsa_kernel _ZN2at6native32elementwise_kernel_manual_unrollILi128ELi4EZNS0_15gpu_kernel_implINS0_13AUnaryFunctorIiibNS0_12_GLOBAL__N_116CompareEqFunctorIiEEEEEEvRNS_18TensorIteratorBaseERKT_EUlibE0_EEviT1_
		.amdhsa_group_segment_fixed_size 0
		.amdhsa_private_segment_fixed_size 0
		.amdhsa_kernarg_size 368
		.amdhsa_user_sgpr_count 6
		.amdhsa_user_sgpr_private_segment_buffer 1
		.amdhsa_user_sgpr_dispatch_ptr 0
		.amdhsa_user_sgpr_queue_ptr 0
		.amdhsa_user_sgpr_kernarg_segment_ptr 1
		.amdhsa_user_sgpr_dispatch_id 0
		.amdhsa_user_sgpr_flat_scratch_init 0
		.amdhsa_user_sgpr_private_segment_size 0
		.amdhsa_uses_dynamic_stack 0
		.amdhsa_system_sgpr_private_segment_wavefront_offset 0
		.amdhsa_system_sgpr_workgroup_id_x 1
		.amdhsa_system_sgpr_workgroup_id_y 0
		.amdhsa_system_sgpr_workgroup_id_z 0
		.amdhsa_system_sgpr_workgroup_info 0
		.amdhsa_system_vgpr_workitem_id 0
		.amdhsa_next_free_vgpr 18
		.amdhsa_next_free_sgpr 81
		.amdhsa_reserve_vcc 1
		.amdhsa_reserve_flat_scratch 0
		.amdhsa_float_round_mode_32 0
		.amdhsa_float_round_mode_16_64 0
		.amdhsa_float_denorm_mode_32 3
		.amdhsa_float_denorm_mode_16_64 3
		.amdhsa_dx10_clamp 1
		.amdhsa_ieee_mode 1
		.amdhsa_fp16_overflow 0
		.amdhsa_exception_fp_ieee_invalid_op 0
		.amdhsa_exception_fp_denorm_src 0
		.amdhsa_exception_fp_ieee_div_zero 0
		.amdhsa_exception_fp_ieee_overflow 0
		.amdhsa_exception_fp_ieee_underflow 0
		.amdhsa_exception_fp_ieee_inexact 0
		.amdhsa_exception_int_div_zero 0
	.end_amdhsa_kernel
	.section	.text._ZN2at6native32elementwise_kernel_manual_unrollILi128ELi4EZNS0_15gpu_kernel_implINS0_13AUnaryFunctorIiibNS0_12_GLOBAL__N_116CompareEqFunctorIiEEEEEEvRNS_18TensorIteratorBaseERKT_EUlibE0_EEviT1_,"axG",@progbits,_ZN2at6native32elementwise_kernel_manual_unrollILi128ELi4EZNS0_15gpu_kernel_implINS0_13AUnaryFunctorIiibNS0_12_GLOBAL__N_116CompareEqFunctorIiEEEEEEvRNS_18TensorIteratorBaseERKT_EUlibE0_EEviT1_,comdat
.Lfunc_end47:
	.size	_ZN2at6native32elementwise_kernel_manual_unrollILi128ELi4EZNS0_15gpu_kernel_implINS0_13AUnaryFunctorIiibNS0_12_GLOBAL__N_116CompareEqFunctorIiEEEEEEvRNS_18TensorIteratorBaseERKT_EUlibE0_EEviT1_, .Lfunc_end47-_ZN2at6native32elementwise_kernel_manual_unrollILi128ELi4EZNS0_15gpu_kernel_implINS0_13AUnaryFunctorIiibNS0_12_GLOBAL__N_116CompareEqFunctorIiEEEEEEvRNS_18TensorIteratorBaseERKT_EUlibE0_EEviT1_
                                        ; -- End function
	.set _ZN2at6native32elementwise_kernel_manual_unrollILi128ELi4EZNS0_15gpu_kernel_implINS0_13AUnaryFunctorIiibNS0_12_GLOBAL__N_116CompareEqFunctorIiEEEEEEvRNS_18TensorIteratorBaseERKT_EUlibE0_EEviT1_.num_vgpr, 18
	.set _ZN2at6native32elementwise_kernel_manual_unrollILi128ELi4EZNS0_15gpu_kernel_implINS0_13AUnaryFunctorIiibNS0_12_GLOBAL__N_116CompareEqFunctorIiEEEEEEvRNS_18TensorIteratorBaseERKT_EUlibE0_EEviT1_.num_agpr, 0
	.set _ZN2at6native32elementwise_kernel_manual_unrollILi128ELi4EZNS0_15gpu_kernel_implINS0_13AUnaryFunctorIiibNS0_12_GLOBAL__N_116CompareEqFunctorIiEEEEEEvRNS_18TensorIteratorBaseERKT_EUlibE0_EEviT1_.numbered_sgpr, 81
	.set _ZN2at6native32elementwise_kernel_manual_unrollILi128ELi4EZNS0_15gpu_kernel_implINS0_13AUnaryFunctorIiibNS0_12_GLOBAL__N_116CompareEqFunctorIiEEEEEEvRNS_18TensorIteratorBaseERKT_EUlibE0_EEviT1_.num_named_barrier, 0
	.set _ZN2at6native32elementwise_kernel_manual_unrollILi128ELi4EZNS0_15gpu_kernel_implINS0_13AUnaryFunctorIiibNS0_12_GLOBAL__N_116CompareEqFunctorIiEEEEEEvRNS_18TensorIteratorBaseERKT_EUlibE0_EEviT1_.private_seg_size, 0
	.set _ZN2at6native32elementwise_kernel_manual_unrollILi128ELi4EZNS0_15gpu_kernel_implINS0_13AUnaryFunctorIiibNS0_12_GLOBAL__N_116CompareEqFunctorIiEEEEEEvRNS_18TensorIteratorBaseERKT_EUlibE0_EEviT1_.uses_vcc, 1
	.set _ZN2at6native32elementwise_kernel_manual_unrollILi128ELi4EZNS0_15gpu_kernel_implINS0_13AUnaryFunctorIiibNS0_12_GLOBAL__N_116CompareEqFunctorIiEEEEEEvRNS_18TensorIteratorBaseERKT_EUlibE0_EEviT1_.uses_flat_scratch, 0
	.set _ZN2at6native32elementwise_kernel_manual_unrollILi128ELi4EZNS0_15gpu_kernel_implINS0_13AUnaryFunctorIiibNS0_12_GLOBAL__N_116CompareEqFunctorIiEEEEEEvRNS_18TensorIteratorBaseERKT_EUlibE0_EEviT1_.has_dyn_sized_stack, 0
	.set _ZN2at6native32elementwise_kernel_manual_unrollILi128ELi4EZNS0_15gpu_kernel_implINS0_13AUnaryFunctorIiibNS0_12_GLOBAL__N_116CompareEqFunctorIiEEEEEEvRNS_18TensorIteratorBaseERKT_EUlibE0_EEviT1_.has_recursion, 0
	.set _ZN2at6native32elementwise_kernel_manual_unrollILi128ELi4EZNS0_15gpu_kernel_implINS0_13AUnaryFunctorIiibNS0_12_GLOBAL__N_116CompareEqFunctorIiEEEEEEvRNS_18TensorIteratorBaseERKT_EUlibE0_EEviT1_.has_indirect_call, 0
	.section	.AMDGPU.csdata,"",@progbits
; Kernel info:
; codeLenInByte = 34556
; TotalNumSgprs: 85
; NumVgprs: 18
; ScratchSize: 0
; MemoryBound: 1
; FloatMode: 240
; IeeeMode: 1
; LDSByteSize: 0 bytes/workgroup (compile time only)
; SGPRBlocks: 10
; VGPRBlocks: 4
; NumSGPRsForWavesPerEU: 85
; NumVGPRsForWavesPerEU: 18
; Occupancy: 9
; WaveLimiterHint : 1
; COMPUTE_PGM_RSRC2:SCRATCH_EN: 0
; COMPUTE_PGM_RSRC2:USER_SGPR: 6
; COMPUTE_PGM_RSRC2:TRAP_HANDLER: 0
; COMPUTE_PGM_RSRC2:TGID_X_EN: 1
; COMPUTE_PGM_RSRC2:TGID_Y_EN: 0
; COMPUTE_PGM_RSRC2:TGID_Z_EN: 0
; COMPUTE_PGM_RSRC2:TIDIG_COMP_CNT: 0
	.section	.text._ZN2at6native29vectorized_elementwise_kernelILi16ENS0_13BinaryFunctorIllbNS0_12_GLOBAL__N_116CompareEqFunctorIlEEEESt5arrayIPcLm3EEEEviT0_T1_,"axG",@progbits,_ZN2at6native29vectorized_elementwise_kernelILi16ENS0_13BinaryFunctorIllbNS0_12_GLOBAL__N_116CompareEqFunctorIlEEEESt5arrayIPcLm3EEEEviT0_T1_,comdat
	.globl	_ZN2at6native29vectorized_elementwise_kernelILi16ENS0_13BinaryFunctorIllbNS0_12_GLOBAL__N_116CompareEqFunctorIlEEEESt5arrayIPcLm3EEEEviT0_T1_ ; -- Begin function _ZN2at6native29vectorized_elementwise_kernelILi16ENS0_13BinaryFunctorIllbNS0_12_GLOBAL__N_116CompareEqFunctorIlEEEESt5arrayIPcLm3EEEEviT0_T1_
	.p2align	8
	.type	_ZN2at6native29vectorized_elementwise_kernelILi16ENS0_13BinaryFunctorIllbNS0_12_GLOBAL__N_116CompareEqFunctorIlEEEESt5arrayIPcLm3EEEEviT0_T1_,@function
_ZN2at6native29vectorized_elementwise_kernelILi16ENS0_13BinaryFunctorIllbNS0_12_GLOBAL__N_116CompareEqFunctorIlEEEESt5arrayIPcLm3EEEEviT0_T1_: ; @_ZN2at6native29vectorized_elementwise_kernelILi16ENS0_13BinaryFunctorIllbNS0_12_GLOBAL__N_116CompareEqFunctorIlEEEESt5arrayIPcLm3EEEEviT0_T1_
; %bb.0:
	s_load_dwordx2 s[34:35], s[4:5], 0x0
	s_load_dwordx4 s[36:39], s[4:5], 0x8
	s_load_dwordx2 s[40:41], s[4:5], 0x18
	s_lshl_b32 s30, s6, 12
	s_mov_b64 s[0:1], -1
	s_waitcnt lgkmcnt(0)
	s_sub_i32 s33, s34, s30
	s_cmpk_gt_i32 s33, 0xfff
	s_cbranch_scc0 .LBB48_2
; %bb.1:
	s_ashr_i32 s31, s30, 31
	s_lshl_b64 s[0:1], s[30:31], 3
	s_add_u32 s22, s38, s0
	s_addc_u32 s23, s39, s1
	s_add_u32 s24, s40, s0
	v_lshlrev_b32_e32 v17, 7, v0
	s_addc_u32 s25, s41, s1
	global_load_dwordx4 v[1:4], v17, s[24:25]
	global_load_dwordx4 v[5:8], v17, s[22:23]
	global_load_dwordx4 v[9:12], v17, s[22:23] offset:16
	global_load_dwordx4 v[13:16], v17, s[24:25] offset:16
	s_cmp_eq_u32 s35, 0
	s_cselect_b64 s[42:43], -1, 0
	s_add_u32 s44, s36, s30
	s_addc_u32 s45, s37, s31
	s_waitcnt vmcnt(2)
	v_cmp_ne_u64_e32 vcc, v[7:8], v[3:4]
	v_cmp_ne_u64_e64 s[0:1], v[5:6], v[1:2]
	global_load_dwordx4 v[1:4], v17, s[22:23] offset:32
	global_load_dwordx4 v[5:8], v17, s[24:25] offset:32
	s_waitcnt vmcnt(2)
	v_cmp_ne_u64_e64 s[2:3], v[11:12], v[15:16]
	v_cmp_ne_u64_e64 s[4:5], v[9:10], v[13:14]
	global_load_dwordx4 v[9:12], v17, s[22:23] offset:48
	global_load_dwordx4 v[13:16], v17, s[24:25] offset:48
	s_xor_b64 s[0:1], s[42:43], s[0:1]
	s_xor_b64 s[46:47], s[42:43], vcc
	s_waitcnt vmcnt(2)
	v_cmp_ne_u64_e64 s[6:7], v[3:4], v[7:8]
	v_cmp_ne_u64_e64 s[8:9], v[1:2], v[5:6]
	global_load_dwordx4 v[1:4], v17, s[22:23] offset:64
	global_load_dwordx4 v[5:8], v17, s[24:25] offset:64
	s_waitcnt vmcnt(2)
	v_cmp_ne_u64_e64 s[10:11], v[11:12], v[15:16]
	v_cmp_ne_u64_e64 s[12:13], v[9:10], v[13:14]
	global_load_dwordx4 v[9:12], v17, s[22:23] offset:80
	global_load_dwordx4 v[13:16], v17, s[24:25] offset:80
	s_waitcnt vmcnt(2)
	v_cmp_ne_u64_e64 s[14:15], v[3:4], v[7:8]
	v_cmp_ne_u64_e64 s[16:17], v[1:2], v[5:6]
	global_load_dwordx4 v[1:4], v17, s[24:25] offset:96
	s_waitcnt vmcnt(1)
	v_cmp_ne_u64_e64 s[18:19], v[11:12], v[15:16]
	v_cmp_ne_u64_e64 s[20:21], v[9:10], v[13:14]
	global_load_dwordx4 v[5:8], v17, s[22:23] offset:96
	global_load_dwordx4 v[9:12], v17, s[22:23] offset:112
	;; [unrolled: 1-line block ×3, first 2 shown]
	v_lshlrev_b32_e32 v17, 4, v0
	s_waitcnt vmcnt(2)
	v_cmp_ne_u64_e64 s[24:25], v[5:6], v[1:2]
	v_cndmask_b32_e64 v2, 0, 1, s[0:1]
	s_xor_b64 s[0:1], s[42:43], s[2:3]
	v_cmp_ne_u64_e64 s[22:23], v[7:8], v[3:4]
	v_cndmask_b32_e64 v3, 0, 1, s[0:1]
	s_xor_b64 s[0:1], s[42:43], s[4:5]
	v_cndmask_b32_e64 v4, 0, 1, s[0:1]
	s_xor_b64 s[0:1], s[42:43], s[6:7]
	v_cndmask_b32_e64 v5, 0, 1, s[0:1]
	s_xor_b64 s[0:1], s[42:43], s[8:9]
	v_cndmask_b32_e64 v6, 0, 1, s[0:1]
	s_xor_b64 s[0:1], s[42:43], s[10:11]
	v_cndmask_b32_e64 v7, 0, 1, s[0:1]
	s_xor_b64 s[0:1], s[42:43], s[12:13]
	v_cndmask_b32_e64 v8, 0, 1, s[0:1]
	s_xor_b64 s[0:1], s[42:43], s[14:15]
	s_waitcnt vmcnt(0)
	v_cmp_ne_u64_e64 s[28:29], v[9:10], v[13:14]
	v_cndmask_b32_e64 v9, 0, 1, s[0:1]
	s_xor_b64 s[0:1], s[42:43], s[16:17]
	v_cndmask_b32_e64 v10, 0, 1, s[0:1]
	s_xor_b64 s[0:1], s[42:43], s[18:19]
	v_cmp_ne_u64_e64 s[26:27], v[11:12], v[15:16]
	v_cndmask_b32_e64 v11, 0, 1, s[0:1]
	s_xor_b64 s[0:1], s[42:43], s[20:21]
	v_cndmask_b32_e64 v12, 0, 1, s[0:1]
	s_xor_b64 s[0:1], s[42:43], s[22:23]
	v_cndmask_b32_e64 v1, 0, 1, s[46:47]
	v_cndmask_b32_e64 v13, 0, 1, s[0:1]
	s_xor_b64 s[0:1], s[42:43], s[24:25]
	v_cndmask_b32_e64 v14, 0, 1, s[0:1]
	s_xor_b64 s[0:1], s[42:43], s[26:27]
	v_lshlrev_b16_e32 v1, 8, v1
	v_lshlrev_b16_e32 v3, 8, v3
	v_lshlrev_b16_e32 v5, 8, v5
	v_lshlrev_b16_e32 v7, 8, v7
	v_cndmask_b32_e64 v15, 0, 1, s[0:1]
	v_or_b32_e32 v1, v2, v1
	v_or_b32_sdwa v2, v4, v3 dst_sel:WORD_1 dst_unused:UNUSED_PAD src0_sel:DWORD src1_sel:DWORD
	v_or_b32_e32 v3, v6, v5
	v_or_b32_sdwa v4, v8, v7 dst_sel:WORD_1 dst_unused:UNUSED_PAD src0_sel:DWORD src1_sel:DWORD
	s_xor_b64 s[0:1], s[42:43], s[28:29]
	v_lshlrev_b16_e32 v9, 8, v9
	v_lshlrev_b16_e32 v11, 8, v11
	;; [unrolled: 1-line block ×4, first 2 shown]
	v_or_b32_sdwa v1, v1, v2 dst_sel:DWORD dst_unused:UNUSED_PAD src0_sel:WORD_0 src1_sel:DWORD
	v_or_b32_sdwa v2, v3, v4 dst_sel:DWORD dst_unused:UNUSED_PAD src0_sel:WORD_0 src1_sel:DWORD
	v_cndmask_b32_e64 v4, 0, 1, s[0:1]
	v_or_b32_e32 v5, v10, v9
	v_or_b32_sdwa v6, v12, v11 dst_sel:WORD_1 dst_unused:UNUSED_PAD src0_sel:DWORD src1_sel:DWORD
	v_or_b32_e32 v7, v14, v13
	v_or_b32_sdwa v4, v4, v15 dst_sel:WORD_1 dst_unused:UNUSED_PAD src0_sel:DWORD src1_sel:DWORD
	v_or_b32_sdwa v3, v5, v6 dst_sel:DWORD dst_unused:UNUSED_PAD src0_sel:WORD_0 src1_sel:DWORD
	v_or_b32_sdwa v4, v7, v4 dst_sel:DWORD dst_unused:UNUSED_PAD src0_sel:WORD_0 src1_sel:DWORD
	global_store_dwordx4 v17, v[1:4], s[44:45]
	s_mov_b64 s[0:1], 0
.LBB48_2:
	s_andn2_b64 vcc, exec, s[0:1]
	s_cbranch_vccnz .LBB48_52
; %bb.3:
	v_cmp_gt_i32_e32 vcc, s33, v0
	s_mov_b64 s[2:3], 0
	v_or_b32_e32 v1, s30, v0
	s_mov_b64 s[4:5], 0
	v_mov_b32_e32 v2, v0
	s_and_saveexec_b64 s[6:7], vcc
	s_cbranch_execz .LBB48_5
; %bb.4:
	v_mov_b32_e32 v2, 0
	v_lshlrev_b64 v[2:3], 3, v[1:2]
	v_mov_b32_e32 v5, s41
	v_add_co_u32_e64 v4, s[0:1], s40, v2
	v_addc_co_u32_e64 v5, s[0:1], v5, v3, s[0:1]
	v_mov_b32_e32 v6, s39
	v_add_co_u32_e64 v2, s[0:1], s38, v2
	v_addc_co_u32_e64 v3, s[0:1], v6, v3, s[0:1]
	global_load_dwordx2 v[6:7], v[2:3], off
	global_load_dwordx2 v[8:9], v[4:5], off
	v_or_b32_e32 v2, 0x100, v0
	s_waitcnt vmcnt(0)
	v_cmp_ne_u64_e64 s[0:1], v[6:7], v[8:9]
	s_and_b64 s[4:5], s[0:1], exec
.LBB48_5:
	s_or_b64 exec, exec, s[6:7]
	v_cmp_gt_i32_e64 s[0:1], s33, v2
	s_and_saveexec_b64 s[6:7], s[0:1]
	s_cbranch_execz .LBB48_7
; %bb.6:
	v_add_u32_e32 v3, s30, v2
	v_mov_b32_e32 v4, 0
	v_lshlrev_b64 v[3:4], 3, v[3:4]
	v_mov_b32_e32 v6, s41
	v_add_co_u32_e64 v5, s[0:1], s40, v3
	v_addc_co_u32_e64 v6, s[0:1], v6, v4, s[0:1]
	v_mov_b32_e32 v7, s39
	v_add_co_u32_e64 v3, s[0:1], s38, v3
	v_addc_co_u32_e64 v4, s[0:1], v7, v4, s[0:1]
	global_load_dwordx2 v[7:8], v[3:4], off
	global_load_dwordx2 v[9:10], v[5:6], off
	v_add_u32_e32 v2, 0x100, v2
	s_waitcnt vmcnt(0)
	v_cmp_ne_u64_e64 s[0:1], v[7:8], v[9:10]
	s_and_b64 s[2:3], s[0:1], exec
.LBB48_7:
	s_or_b64 exec, exec, s[6:7]
	v_cmp_gt_i32_e64 s[0:1], s33, v2
	s_mov_b64 s[6:7], 0
	s_mov_b64 s[8:9], 0
	s_and_saveexec_b64 s[10:11], s[0:1]
	s_cbranch_execz .LBB48_9
; %bb.8:
	v_add_u32_e32 v3, s30, v2
	v_mov_b32_e32 v4, 0
	v_lshlrev_b64 v[3:4], 3, v[3:4]
	v_mov_b32_e32 v6, s41
	v_add_co_u32_e64 v5, s[0:1], s40, v3
	v_addc_co_u32_e64 v6, s[0:1], v6, v4, s[0:1]
	v_mov_b32_e32 v7, s39
	v_add_co_u32_e64 v3, s[0:1], s38, v3
	v_addc_co_u32_e64 v4, s[0:1], v7, v4, s[0:1]
	global_load_dwordx2 v[7:8], v[3:4], off
	global_load_dwordx2 v[9:10], v[5:6], off
	v_add_u32_e32 v2, 0x100, v2
	s_waitcnt vmcnt(0)
	v_cmp_ne_u64_e64 s[0:1], v[7:8], v[9:10]
	s_and_b64 s[8:9], s[0:1], exec
.LBB48_9:
	s_or_b64 exec, exec, s[10:11]
	v_cmp_gt_i32_e64 s[0:1], s33, v2
	s_and_saveexec_b64 s[10:11], s[0:1]
	s_cbranch_execz .LBB48_11
; %bb.10:
	v_add_u32_e32 v3, s30, v2
	v_mov_b32_e32 v4, 0
	v_lshlrev_b64 v[3:4], 3, v[3:4]
	v_mov_b32_e32 v6, s41
	v_add_co_u32_e64 v5, s[0:1], s40, v3
	v_addc_co_u32_e64 v6, s[0:1], v6, v4, s[0:1]
	v_mov_b32_e32 v7, s39
	v_add_co_u32_e64 v3, s[0:1], s38, v3
	v_addc_co_u32_e64 v4, s[0:1], v7, v4, s[0:1]
	global_load_dwordx2 v[7:8], v[3:4], off
	global_load_dwordx2 v[9:10], v[5:6], off
	v_add_u32_e32 v2, 0x100, v2
	s_waitcnt vmcnt(0)
	v_cmp_ne_u64_e64 s[0:1], v[7:8], v[9:10]
	s_and_b64 s[6:7], s[0:1], exec
.LBB48_11:
	s_or_b64 exec, exec, s[10:11]
	v_cmp_gt_i32_e64 s[0:1], s33, v2
	s_mov_b64 s[10:11], 0
	s_mov_b64 s[12:13], 0
	s_and_saveexec_b64 s[14:15], s[0:1]
	s_cbranch_execz .LBB48_13
; %bb.12:
	v_add_u32_e32 v3, s30, v2
	v_mov_b32_e32 v4, 0
	v_lshlrev_b64 v[3:4], 3, v[3:4]
	v_mov_b32_e32 v6, s41
	v_add_co_u32_e64 v5, s[0:1], s40, v3
	v_addc_co_u32_e64 v6, s[0:1], v6, v4, s[0:1]
	v_mov_b32_e32 v7, s39
	v_add_co_u32_e64 v3, s[0:1], s38, v3
	v_addc_co_u32_e64 v4, s[0:1], v7, v4, s[0:1]
	global_load_dwordx2 v[7:8], v[3:4], off
	global_load_dwordx2 v[9:10], v[5:6], off
	v_add_u32_e32 v2, 0x100, v2
	s_waitcnt vmcnt(0)
	v_cmp_ne_u64_e64 s[0:1], v[7:8], v[9:10]
	s_and_b64 s[12:13], s[0:1], exec
.LBB48_13:
	;; [unrolled: 44-line block ×7, first 2 shown]
	s_or_b64 exec, exec, s[46:47]
	v_cmp_gt_i32_e64 s[0:1], s33, v2
	s_and_saveexec_b64 s[46:47], s[0:1]
	s_cbranch_execz .LBB48_35
; %bb.34:
	v_add_u32_e32 v2, s30, v2
	v_mov_b32_e32 v3, 0
	v_lshlrev_b64 v[2:3], 3, v[2:3]
	v_mov_b32_e32 v5, s41
	v_add_co_u32_e64 v4, s[0:1], s40, v2
	v_addc_co_u32_e64 v5, s[0:1], v5, v3, s[0:1]
	v_mov_b32_e32 v6, s39
	v_add_co_u32_e64 v2, s[0:1], s38, v2
	v_addc_co_u32_e64 v3, s[0:1], v6, v3, s[0:1]
	global_load_dwordx2 v[6:7], v[2:3], off
	global_load_dwordx2 v[8:9], v[4:5], off
	s_waitcnt vmcnt(0)
	v_cmp_ne_u64_e64 s[0:1], v[6:7], v[8:9]
	s_and_b64 s[42:43], s[0:1], exec
.LBB48_35:
	s_or_b64 exec, exec, s[46:47]
	s_cmp_eq_u32 s35, 0
	s_cselect_b64 s[0:1], -1, 0
	s_and_saveexec_b64 s[34:35], vcc
	s_cbranch_execnz .LBB48_53
; %bb.36:
	s_or_b64 exec, exec, s[34:35]
	v_cmp_gt_i32_e32 vcc, s33, v0
	s_and_saveexec_b64 s[4:5], vcc
	s_cbranch_execnz .LBB48_54
.LBB48_37:
	s_or_b64 exec, exec, s[4:5]
	v_cmp_gt_i32_e32 vcc, s33, v0
	s_and_saveexec_b64 s[2:3], vcc
	s_cbranch_execnz .LBB48_55
.LBB48_38:
	s_or_b64 exec, exec, s[2:3]
	v_cmp_gt_i32_e32 vcc, s33, v0
	s_and_saveexec_b64 s[2:3], vcc
	s_cbranch_execnz .LBB48_56
.LBB48_39:
	s_or_b64 exec, exec, s[2:3]
	v_cmp_gt_i32_e32 vcc, s33, v0
	s_and_saveexec_b64 s[2:3], vcc
	s_cbranch_execnz .LBB48_57
.LBB48_40:
	s_or_b64 exec, exec, s[2:3]
	v_cmp_gt_i32_e32 vcc, s33, v0
	s_and_saveexec_b64 s[2:3], vcc
	s_cbranch_execnz .LBB48_58
.LBB48_41:
	s_or_b64 exec, exec, s[2:3]
	v_cmp_gt_i32_e32 vcc, s33, v0
	s_and_saveexec_b64 s[2:3], vcc
	s_cbranch_execnz .LBB48_59
.LBB48_42:
	s_or_b64 exec, exec, s[2:3]
	v_cmp_gt_i32_e32 vcc, s33, v0
	s_and_saveexec_b64 s[2:3], vcc
	s_cbranch_execnz .LBB48_60
.LBB48_43:
	s_or_b64 exec, exec, s[2:3]
	v_cmp_gt_i32_e32 vcc, s33, v0
	s_and_saveexec_b64 s[2:3], vcc
	s_cbranch_execnz .LBB48_61
.LBB48_44:
	s_or_b64 exec, exec, s[2:3]
	v_cmp_gt_i32_e32 vcc, s33, v0
	s_and_saveexec_b64 s[2:3], vcc
	s_cbranch_execnz .LBB48_62
.LBB48_45:
	s_or_b64 exec, exec, s[2:3]
	v_cmp_gt_i32_e32 vcc, s33, v0
	s_and_saveexec_b64 s[2:3], vcc
	s_cbranch_execnz .LBB48_63
.LBB48_46:
	s_or_b64 exec, exec, s[2:3]
	v_cmp_gt_i32_e32 vcc, s33, v0
	s_and_saveexec_b64 s[2:3], vcc
	s_cbranch_execnz .LBB48_64
.LBB48_47:
	s_or_b64 exec, exec, s[2:3]
	v_cmp_gt_i32_e32 vcc, s33, v0
	s_and_saveexec_b64 s[2:3], vcc
	s_cbranch_execnz .LBB48_65
.LBB48_48:
	s_or_b64 exec, exec, s[2:3]
	v_cmp_gt_i32_e32 vcc, s33, v0
	s_and_saveexec_b64 s[2:3], vcc
	s_cbranch_execnz .LBB48_66
.LBB48_49:
	s_or_b64 exec, exec, s[2:3]
	v_cmp_gt_i32_e32 vcc, s33, v0
	s_and_saveexec_b64 s[2:3], vcc
	s_cbranch_execnz .LBB48_67
.LBB48_50:
	s_or_b64 exec, exec, s[2:3]
	v_cmp_gt_i32_e32 vcc, s33, v0
	s_and_saveexec_b64 s[2:3], vcc
	s_cbranch_execz .LBB48_52
.LBB48_51:
	s_xor_b64 s[0:1], s[0:1], s[42:43]
	v_cndmask_b32_e64 v1, 0, 1, s[0:1]
	v_add_u32_e32 v0, s30, v0
	global_store_byte v0, v1, s[36:37]
.LBB48_52:
	s_endpgm
.LBB48_53:
	s_xor_b64 s[4:5], s[0:1], s[4:5]
	v_or_b32_e32 v0, 0x100, v0
	v_cndmask_b32_e64 v2, 0, 1, s[4:5]
	global_store_byte v1, v2, s[36:37]
	s_or_b64 exec, exec, s[34:35]
	v_cmp_gt_i32_e32 vcc, s33, v0
	s_and_saveexec_b64 s[4:5], vcc
	s_cbranch_execz .LBB48_37
.LBB48_54:
	s_xor_b64 s[2:3], s[0:1], s[2:3]
	v_cndmask_b32_e64 v1, 0, 1, s[2:3]
	v_add_u32_e32 v2, s30, v0
	v_add_u32_e32 v0, 0x100, v0
	global_store_byte v2, v1, s[36:37]
	s_or_b64 exec, exec, s[4:5]
	v_cmp_gt_i32_e32 vcc, s33, v0
	s_and_saveexec_b64 s[2:3], vcc
	s_cbranch_execz .LBB48_38
.LBB48_55:
	s_xor_b64 s[4:5], s[0:1], s[8:9]
	v_cndmask_b32_e64 v1, 0, 1, s[4:5]
	v_add_u32_e32 v2, s30, v0
	v_add_u32_e32 v0, 0x100, v0
	global_store_byte v2, v1, s[36:37]
	s_or_b64 exec, exec, s[2:3]
	v_cmp_gt_i32_e32 vcc, s33, v0
	s_and_saveexec_b64 s[2:3], vcc
	s_cbranch_execz .LBB48_39
.LBB48_56:
	s_xor_b64 s[4:5], s[0:1], s[6:7]
	v_cndmask_b32_e64 v1, 0, 1, s[4:5]
	v_add_u32_e32 v2, s30, v0
	v_add_u32_e32 v0, 0x100, v0
	global_store_byte v2, v1, s[36:37]
	s_or_b64 exec, exec, s[2:3]
	v_cmp_gt_i32_e32 vcc, s33, v0
	s_and_saveexec_b64 s[2:3], vcc
	s_cbranch_execz .LBB48_40
.LBB48_57:
	s_xor_b64 s[4:5], s[0:1], s[12:13]
	v_cndmask_b32_e64 v1, 0, 1, s[4:5]
	v_add_u32_e32 v2, s30, v0
	v_add_u32_e32 v0, 0x100, v0
	global_store_byte v2, v1, s[36:37]
	s_or_b64 exec, exec, s[2:3]
	v_cmp_gt_i32_e32 vcc, s33, v0
	s_and_saveexec_b64 s[2:3], vcc
	s_cbranch_execz .LBB48_41
.LBB48_58:
	s_xor_b64 s[4:5], s[0:1], s[10:11]
	v_cndmask_b32_e64 v1, 0, 1, s[4:5]
	v_add_u32_e32 v2, s30, v0
	v_add_u32_e32 v0, 0x100, v0
	global_store_byte v2, v1, s[36:37]
	s_or_b64 exec, exec, s[2:3]
	v_cmp_gt_i32_e32 vcc, s33, v0
	s_and_saveexec_b64 s[2:3], vcc
	s_cbranch_execz .LBB48_42
.LBB48_59:
	s_xor_b64 s[4:5], s[0:1], s[16:17]
	v_cndmask_b32_e64 v1, 0, 1, s[4:5]
	v_add_u32_e32 v2, s30, v0
	v_add_u32_e32 v0, 0x100, v0
	global_store_byte v2, v1, s[36:37]
	s_or_b64 exec, exec, s[2:3]
	v_cmp_gt_i32_e32 vcc, s33, v0
	s_and_saveexec_b64 s[2:3], vcc
	s_cbranch_execz .LBB48_43
.LBB48_60:
	s_xor_b64 s[4:5], s[0:1], s[14:15]
	v_cndmask_b32_e64 v1, 0, 1, s[4:5]
	v_add_u32_e32 v2, s30, v0
	v_add_u32_e32 v0, 0x100, v0
	global_store_byte v2, v1, s[36:37]
	s_or_b64 exec, exec, s[2:3]
	v_cmp_gt_i32_e32 vcc, s33, v0
	s_and_saveexec_b64 s[2:3], vcc
	s_cbranch_execz .LBB48_44
.LBB48_61:
	s_xor_b64 s[4:5], s[0:1], s[20:21]
	v_cndmask_b32_e64 v1, 0, 1, s[4:5]
	v_add_u32_e32 v2, s30, v0
	v_add_u32_e32 v0, 0x100, v0
	global_store_byte v2, v1, s[36:37]
	s_or_b64 exec, exec, s[2:3]
	v_cmp_gt_i32_e32 vcc, s33, v0
	s_and_saveexec_b64 s[2:3], vcc
	s_cbranch_execz .LBB48_45
.LBB48_62:
	s_xor_b64 s[4:5], s[0:1], s[18:19]
	v_cndmask_b32_e64 v1, 0, 1, s[4:5]
	v_add_u32_e32 v2, s30, v0
	v_add_u32_e32 v0, 0x100, v0
	global_store_byte v2, v1, s[36:37]
	s_or_b64 exec, exec, s[2:3]
	v_cmp_gt_i32_e32 vcc, s33, v0
	s_and_saveexec_b64 s[2:3], vcc
	s_cbranch_execz .LBB48_46
.LBB48_63:
	s_xor_b64 s[4:5], s[0:1], s[24:25]
	v_cndmask_b32_e64 v1, 0, 1, s[4:5]
	v_add_u32_e32 v2, s30, v0
	v_add_u32_e32 v0, 0x100, v0
	global_store_byte v2, v1, s[36:37]
	s_or_b64 exec, exec, s[2:3]
	v_cmp_gt_i32_e32 vcc, s33, v0
	s_and_saveexec_b64 s[2:3], vcc
	s_cbranch_execz .LBB48_47
.LBB48_64:
	s_xor_b64 s[4:5], s[0:1], s[22:23]
	v_cndmask_b32_e64 v1, 0, 1, s[4:5]
	v_add_u32_e32 v2, s30, v0
	v_add_u32_e32 v0, 0x100, v0
	global_store_byte v2, v1, s[36:37]
	s_or_b64 exec, exec, s[2:3]
	v_cmp_gt_i32_e32 vcc, s33, v0
	s_and_saveexec_b64 s[2:3], vcc
	s_cbranch_execz .LBB48_48
.LBB48_65:
	s_xor_b64 s[4:5], s[0:1], s[28:29]
	v_cndmask_b32_e64 v1, 0, 1, s[4:5]
	v_add_u32_e32 v2, s30, v0
	v_add_u32_e32 v0, 0x100, v0
	global_store_byte v2, v1, s[36:37]
	s_or_b64 exec, exec, s[2:3]
	v_cmp_gt_i32_e32 vcc, s33, v0
	s_and_saveexec_b64 s[2:3], vcc
	s_cbranch_execz .LBB48_49
.LBB48_66:
	s_xor_b64 s[4:5], s[0:1], s[26:27]
	v_cndmask_b32_e64 v1, 0, 1, s[4:5]
	v_add_u32_e32 v2, s30, v0
	v_add_u32_e32 v0, 0x100, v0
	global_store_byte v2, v1, s[36:37]
	s_or_b64 exec, exec, s[2:3]
	v_cmp_gt_i32_e32 vcc, s33, v0
	s_and_saveexec_b64 s[2:3], vcc
	s_cbranch_execz .LBB48_50
.LBB48_67:
	s_xor_b64 s[4:5], s[0:1], s[44:45]
	v_cndmask_b32_e64 v1, 0, 1, s[4:5]
	v_add_u32_e32 v2, s30, v0
	v_add_u32_e32 v0, 0x100, v0
	global_store_byte v2, v1, s[36:37]
	s_or_b64 exec, exec, s[2:3]
	v_cmp_gt_i32_e32 vcc, s33, v0
	s_and_saveexec_b64 s[2:3], vcc
	s_cbranch_execnz .LBB48_51
	s_branch .LBB48_52
	.section	.rodata,"a",@progbits
	.p2align	6, 0x0
	.amdhsa_kernel _ZN2at6native29vectorized_elementwise_kernelILi16ENS0_13BinaryFunctorIllbNS0_12_GLOBAL__N_116CompareEqFunctorIlEEEESt5arrayIPcLm3EEEEviT0_T1_
		.amdhsa_group_segment_fixed_size 0
		.amdhsa_private_segment_fixed_size 0
		.amdhsa_kernarg_size 32
		.amdhsa_user_sgpr_count 6
		.amdhsa_user_sgpr_private_segment_buffer 1
		.amdhsa_user_sgpr_dispatch_ptr 0
		.amdhsa_user_sgpr_queue_ptr 0
		.amdhsa_user_sgpr_kernarg_segment_ptr 1
		.amdhsa_user_sgpr_dispatch_id 0
		.amdhsa_user_sgpr_flat_scratch_init 0
		.amdhsa_user_sgpr_private_segment_size 0
		.amdhsa_uses_dynamic_stack 0
		.amdhsa_system_sgpr_private_segment_wavefront_offset 0
		.amdhsa_system_sgpr_workgroup_id_x 1
		.amdhsa_system_sgpr_workgroup_id_y 0
		.amdhsa_system_sgpr_workgroup_id_z 0
		.amdhsa_system_sgpr_workgroup_info 0
		.amdhsa_system_vgpr_workitem_id 0
		.amdhsa_next_free_vgpr 18
		.amdhsa_next_free_sgpr 48
		.amdhsa_reserve_vcc 1
		.amdhsa_reserve_flat_scratch 0
		.amdhsa_float_round_mode_32 0
		.amdhsa_float_round_mode_16_64 0
		.amdhsa_float_denorm_mode_32 3
		.amdhsa_float_denorm_mode_16_64 3
		.amdhsa_dx10_clamp 1
		.amdhsa_ieee_mode 1
		.amdhsa_fp16_overflow 0
		.amdhsa_exception_fp_ieee_invalid_op 0
		.amdhsa_exception_fp_denorm_src 0
		.amdhsa_exception_fp_ieee_div_zero 0
		.amdhsa_exception_fp_ieee_overflow 0
		.amdhsa_exception_fp_ieee_underflow 0
		.amdhsa_exception_fp_ieee_inexact 0
		.amdhsa_exception_int_div_zero 0
	.end_amdhsa_kernel
	.section	.text._ZN2at6native29vectorized_elementwise_kernelILi16ENS0_13BinaryFunctorIllbNS0_12_GLOBAL__N_116CompareEqFunctorIlEEEESt5arrayIPcLm3EEEEviT0_T1_,"axG",@progbits,_ZN2at6native29vectorized_elementwise_kernelILi16ENS0_13BinaryFunctorIllbNS0_12_GLOBAL__N_116CompareEqFunctorIlEEEESt5arrayIPcLm3EEEEviT0_T1_,comdat
.Lfunc_end48:
	.size	_ZN2at6native29vectorized_elementwise_kernelILi16ENS0_13BinaryFunctorIllbNS0_12_GLOBAL__N_116CompareEqFunctorIlEEEESt5arrayIPcLm3EEEEviT0_T1_, .Lfunc_end48-_ZN2at6native29vectorized_elementwise_kernelILi16ENS0_13BinaryFunctorIllbNS0_12_GLOBAL__N_116CompareEqFunctorIlEEEESt5arrayIPcLm3EEEEviT0_T1_
                                        ; -- End function
	.set _ZN2at6native29vectorized_elementwise_kernelILi16ENS0_13BinaryFunctorIllbNS0_12_GLOBAL__N_116CompareEqFunctorIlEEEESt5arrayIPcLm3EEEEviT0_T1_.num_vgpr, 18
	.set _ZN2at6native29vectorized_elementwise_kernelILi16ENS0_13BinaryFunctorIllbNS0_12_GLOBAL__N_116CompareEqFunctorIlEEEESt5arrayIPcLm3EEEEviT0_T1_.num_agpr, 0
	.set _ZN2at6native29vectorized_elementwise_kernelILi16ENS0_13BinaryFunctorIllbNS0_12_GLOBAL__N_116CompareEqFunctorIlEEEESt5arrayIPcLm3EEEEviT0_T1_.numbered_sgpr, 48
	.set _ZN2at6native29vectorized_elementwise_kernelILi16ENS0_13BinaryFunctorIllbNS0_12_GLOBAL__N_116CompareEqFunctorIlEEEESt5arrayIPcLm3EEEEviT0_T1_.num_named_barrier, 0
	.set _ZN2at6native29vectorized_elementwise_kernelILi16ENS0_13BinaryFunctorIllbNS0_12_GLOBAL__N_116CompareEqFunctorIlEEEESt5arrayIPcLm3EEEEviT0_T1_.private_seg_size, 0
	.set _ZN2at6native29vectorized_elementwise_kernelILi16ENS0_13BinaryFunctorIllbNS0_12_GLOBAL__N_116CompareEqFunctorIlEEEESt5arrayIPcLm3EEEEviT0_T1_.uses_vcc, 1
	.set _ZN2at6native29vectorized_elementwise_kernelILi16ENS0_13BinaryFunctorIllbNS0_12_GLOBAL__N_116CompareEqFunctorIlEEEESt5arrayIPcLm3EEEEviT0_T1_.uses_flat_scratch, 0
	.set _ZN2at6native29vectorized_elementwise_kernelILi16ENS0_13BinaryFunctorIllbNS0_12_GLOBAL__N_116CompareEqFunctorIlEEEESt5arrayIPcLm3EEEEviT0_T1_.has_dyn_sized_stack, 0
	.set _ZN2at6native29vectorized_elementwise_kernelILi16ENS0_13BinaryFunctorIllbNS0_12_GLOBAL__N_116CompareEqFunctorIlEEEESt5arrayIPcLm3EEEEviT0_T1_.has_recursion, 0
	.set _ZN2at6native29vectorized_elementwise_kernelILi16ENS0_13BinaryFunctorIllbNS0_12_GLOBAL__N_116CompareEqFunctorIlEEEESt5arrayIPcLm3EEEEviT0_T1_.has_indirect_call, 0
	.section	.AMDGPU.csdata,"",@progbits
; Kernel info:
; codeLenInByte = 3620
; TotalNumSgprs: 52
; NumVgprs: 18
; ScratchSize: 0
; MemoryBound: 1
; FloatMode: 240
; IeeeMode: 1
; LDSByteSize: 0 bytes/workgroup (compile time only)
; SGPRBlocks: 6
; VGPRBlocks: 4
; NumSGPRsForWavesPerEU: 52
; NumVGPRsForWavesPerEU: 18
; Occupancy: 10
; WaveLimiterHint : 0
; COMPUTE_PGM_RSRC2:SCRATCH_EN: 0
; COMPUTE_PGM_RSRC2:USER_SGPR: 6
; COMPUTE_PGM_RSRC2:TRAP_HANDLER: 0
; COMPUTE_PGM_RSRC2:TGID_X_EN: 1
; COMPUTE_PGM_RSRC2:TGID_Y_EN: 0
; COMPUTE_PGM_RSRC2:TGID_Z_EN: 0
; COMPUTE_PGM_RSRC2:TIDIG_COMP_CNT: 0
	.section	.text._ZN2at6native29vectorized_elementwise_kernelILi8ENS0_13BinaryFunctorIllbNS0_12_GLOBAL__N_116CompareEqFunctorIlEEEESt5arrayIPcLm3EEEEviT0_T1_,"axG",@progbits,_ZN2at6native29vectorized_elementwise_kernelILi8ENS0_13BinaryFunctorIllbNS0_12_GLOBAL__N_116CompareEqFunctorIlEEEESt5arrayIPcLm3EEEEviT0_T1_,comdat
	.globl	_ZN2at6native29vectorized_elementwise_kernelILi8ENS0_13BinaryFunctorIllbNS0_12_GLOBAL__N_116CompareEqFunctorIlEEEESt5arrayIPcLm3EEEEviT0_T1_ ; -- Begin function _ZN2at6native29vectorized_elementwise_kernelILi8ENS0_13BinaryFunctorIllbNS0_12_GLOBAL__N_116CompareEqFunctorIlEEEESt5arrayIPcLm3EEEEviT0_T1_
	.p2align	8
	.type	_ZN2at6native29vectorized_elementwise_kernelILi8ENS0_13BinaryFunctorIllbNS0_12_GLOBAL__N_116CompareEqFunctorIlEEEESt5arrayIPcLm3EEEEviT0_T1_,@function
_ZN2at6native29vectorized_elementwise_kernelILi8ENS0_13BinaryFunctorIllbNS0_12_GLOBAL__N_116CompareEqFunctorIlEEEESt5arrayIPcLm3EEEEviT0_T1_: ; @_ZN2at6native29vectorized_elementwise_kernelILi8ENS0_13BinaryFunctorIllbNS0_12_GLOBAL__N_116CompareEqFunctorIlEEEESt5arrayIPcLm3EEEEviT0_T1_
; %bb.0:
	s_load_dwordx2 s[34:35], s[4:5], 0x0
	s_load_dwordx4 s[28:31], s[4:5], 0x8
	s_load_dwordx2 s[36:37], s[4:5], 0x18
	s_lshl_b32 s26, s6, 12
	s_mov_b64 s[0:1], -1
	s_waitcnt lgkmcnt(0)
	s_sub_i32 s33, s34, s26
	s_cmpk_gt_i32 s33, 0xfff
	s_cbranch_scc0 .LBB49_2
; %bb.1:
	s_ashr_i32 s27, s26, 31
	s_lshl_b64 s[0:1], s[26:27], 3
	s_add_u32 s6, s30, s0
	s_addc_u32 s7, s31, s1
	s_add_u32 s10, s36, s0
	v_lshlrev_b32_e32 v19, 6, v0
	s_addc_u32 s11, s37, s1
	global_load_dwordx4 v[1:4], v19, s[10:11]
	global_load_dwordx4 v[5:8], v19, s[6:7]
	global_load_dwordx4 v[9:12], v19, s[6:7] offset:16
	global_load_dwordx4 v[13:16], v19, s[10:11] offset:16
	s_movk_i32 s12, 0x4000
	s_cmp_eq_u32 s35, 0
	s_cselect_b64 s[38:39], -1, 0
	s_waitcnt vmcnt(2)
	v_cmp_ne_u64_e32 vcc, v[5:6], v[1:2]
	v_cmp_ne_u64_e64 s[0:1], v[7:8], v[3:4]
	global_load_dwordx4 v[1:4], v19, s[10:11] offset:32
	s_waitcnt vmcnt(1)
	v_cmp_ne_u64_e64 s[2:3], v[9:10], v[13:14]
	v_cmp_ne_u64_e64 s[4:5], v[11:12], v[15:16]
	global_load_dwordx4 v[5:8], v19, s[6:7] offset:32
	global_load_dwordx4 v[9:12], v19, s[6:7] offset:48
	v_mov_b32_e32 v13, s7
	v_add_co_u32_e64 v14, s[6:7], s6, v19
	v_addc_co_u32_e64 v13, s[6:7], 0, v13, s[6:7]
	v_add_co_u32_e64 v17, s[6:7], s12, v14
	v_addc_co_u32_e64 v18, s[6:7], 0, v13, s[6:7]
	global_load_dwordx4 v[13:16], v19, s[10:11] offset:48
	s_xor_b64 s[40:41], s[38:39], vcc
	s_xor_b64 vcc, s[38:39], s[0:1]
	s_waitcnt vmcnt(2)
	v_cmp_ne_u64_e64 s[6:7], v[5:6], v[1:2]
	v_mov_b32_e32 v1, s11
	v_add_co_u32_e64 v2, s[10:11], s10, v19
	v_addc_co_u32_e64 v1, s[10:11], 0, v1, s[10:11]
	v_add_co_u32_e64 v19, s[10:11], s12, v2
	v_addc_co_u32_e64 v20, s[10:11], 0, v1, s[10:11]
	v_cmp_ne_u64_e64 s[8:9], v[7:8], v[3:4]
	global_load_dwordx4 v[1:4], v[19:20], off
	s_waitcnt vmcnt(1)
	v_cmp_ne_u64_e64 s[10:11], v[9:10], v[13:14]
	v_cmp_ne_u64_e64 s[12:13], v[11:12], v[15:16]
	global_load_dwordx4 v[5:8], v[17:18], off
	global_load_dwordx4 v[9:12], v[17:18], off offset:16
	global_load_dwordx4 v[13:16], v[19:20], off offset:16
	s_xor_b64 s[0:1], s[38:39], s[6:7]
	s_waitcnt vmcnt(2)
	v_cmp_ne_u64_e64 s[14:15], v[5:6], v[1:2]
	v_cmp_ne_u64_e64 s[16:17], v[7:8], v[3:4]
	global_load_dwordx4 v[1:4], v[19:20], off offset:32
	s_waitcnt vmcnt(1)
	v_cmp_ne_u64_e64 s[18:19], v[9:10], v[13:14]
	v_cmp_ne_u64_e64 s[20:21], v[11:12], v[15:16]
	global_load_dwordx4 v[5:8], v[17:18], off offset:32
	global_load_dwordx4 v[9:12], v[17:18], off offset:48
	;; [unrolled: 1-line block ×3, first 2 shown]
	v_mov_b32_e32 v17, 0x100
	v_mov_b32_e32 v18, 0x10000
	;; [unrolled: 1-line block ×3, first 2 shown]
	s_waitcnt vmcnt(2)
	v_cmp_ne_u64_e64 s[22:23], v[5:6], v[1:2]
	v_cndmask_b32_e32 v2, 0, v17, vcc
	s_xor_b64 vcc, s[38:39], s[2:3]
	v_cmp_ne_u64_e64 s[24:25], v[7:8], v[3:4]
	v_cndmask_b32_e32 v4, 0, v18, vcc
	s_xor_b64 vcc, s[38:39], s[4:5]
	v_cndmask_b32_e32 v5, 0, v19, vcc
	s_xor_b64 vcc, s[38:39], s[8:9]
	;; [unrolled: 2-line block ×3, first 2 shown]
	v_cndmask_b32_e64 v1, 0, 1, s[40:41]
	v_cndmask_b32_e32 v8, 0, v18, vcc
	s_xor_b64 vcc, s[38:39], s[12:13]
	v_or3_b32 v3, 0, 0, 0
	v_cndmask_b32_e64 v6, 0, 1, s[0:1]
	v_or_b32_e32 v1, v2, v1
	v_cndmask_b32_e32 v2, 0, v19, vcc
	s_xor_b64 vcc, s[38:39], s[16:17]
	v_or3_b32 v6, v3, v6, v7
	v_or3_b32 v1, v1, v4, v5
	v_cndmask_b32_e32 v5, 0, v17, vcc
	s_xor_b64 vcc, s[38:39], s[18:19]
	v_or3_b32 v2, v6, v8, v2
	v_cndmask_b32_e32 v6, 0, v18, vcc
	s_xor_b64 vcc, s[38:39], s[20:21]
	s_xor_b64 s[0:1], s[38:39], s[14:15]
	v_cndmask_b32_e32 v7, 0, v19, vcc
	s_waitcnt vmcnt(0)
	v_cmp_ne_u64_e32 vcc, v[9:10], v[13:14]
	v_cndmask_b32_e64 v4, 0, 1, s[0:1]
	v_or_b32_e32 v4, v5, v4
	s_xor_b64 vcc, s[38:39], vcc
	v_or3_b32 v4, v4, v6, v7
	s_xor_b64 s[0:1], s[38:39], s[22:23]
	v_cndmask_b32_e32 v7, 0, v18, vcc
	v_cmp_ne_u64_e32 vcc, v[11:12], v[15:16]
	v_cndmask_b32_e64 v5, 0, 1, s[0:1]
	s_xor_b64 s[0:1], s[38:39], s[24:25]
	v_cndmask_b32_e64 v6, 0, v17, s[0:1]
	s_xor_b64 vcc, s[38:39], vcc
	v_or3_b32 v1, v1, 0, 0
	v_or3_b32 v3, v3, v5, v6
	;; [unrolled: 1-line block ×3, first 2 shown]
	v_cndmask_b32_e32 v4, 0, v19, vcc
	s_add_u32 s0, s28, s26
	v_or3_b32 v1, v1, 0, 0
	v_or3_b32 v4, v3, v7, v4
	;; [unrolled: 1-line block ×3, first 2 shown]
	s_addc_u32 s1, s29, s27
	v_lshlrev_b32_e32 v5, 3, v0
	global_store_dwordx2 v5, v[1:2], s[0:1]
	global_store_dwordx2 v5, v[3:4], s[0:1] offset:2048
	s_mov_b64 s[0:1], 0
.LBB49_2:
	s_andn2_b64 vcc, exec, s[0:1]
	s_cbranch_vccnz .LBB49_52
; %bb.3:
	v_cmp_gt_i32_e32 vcc, s33, v0
	s_mov_b64 s[2:3], 0
	v_or_b32_e32 v1, s26, v0
	s_mov_b64 s[4:5], 0
	v_mov_b32_e32 v2, v0
	s_and_saveexec_b64 s[6:7], vcc
	s_cbranch_execz .LBB49_5
; %bb.4:
	v_mov_b32_e32 v2, 0
	v_lshlrev_b64 v[2:3], 3, v[1:2]
	v_mov_b32_e32 v5, s37
	v_add_co_u32_e64 v4, s[0:1], s36, v2
	v_addc_co_u32_e64 v5, s[0:1], v5, v3, s[0:1]
	v_mov_b32_e32 v6, s31
	v_add_co_u32_e64 v2, s[0:1], s30, v2
	v_addc_co_u32_e64 v3, s[0:1], v6, v3, s[0:1]
	global_load_dwordx2 v[6:7], v[2:3], off
	global_load_dwordx2 v[8:9], v[4:5], off
	v_or_b32_e32 v2, 0x100, v0
	s_waitcnt vmcnt(0)
	v_cmp_ne_u64_e64 s[0:1], v[6:7], v[8:9]
	s_and_b64 s[4:5], s[0:1], exec
.LBB49_5:
	s_or_b64 exec, exec, s[6:7]
	v_cmp_gt_i32_e64 s[0:1], s33, v2
	s_and_saveexec_b64 s[6:7], s[0:1]
	s_cbranch_execz .LBB49_7
; %bb.6:
	v_add_u32_e32 v3, s26, v2
	v_mov_b32_e32 v4, 0
	v_lshlrev_b64 v[3:4], 3, v[3:4]
	v_mov_b32_e32 v6, s37
	v_add_co_u32_e64 v5, s[0:1], s36, v3
	v_addc_co_u32_e64 v6, s[0:1], v6, v4, s[0:1]
	v_mov_b32_e32 v7, s31
	v_add_co_u32_e64 v3, s[0:1], s30, v3
	v_addc_co_u32_e64 v4, s[0:1], v7, v4, s[0:1]
	global_load_dwordx2 v[7:8], v[3:4], off
	global_load_dwordx2 v[9:10], v[5:6], off
	v_add_u32_e32 v2, 0x100, v2
	s_waitcnt vmcnt(0)
	v_cmp_ne_u64_e64 s[0:1], v[7:8], v[9:10]
	s_and_b64 s[2:3], s[0:1], exec
.LBB49_7:
	s_or_b64 exec, exec, s[6:7]
	v_cmp_gt_i32_e64 s[0:1], s33, v2
	s_mov_b64 s[6:7], 0
	s_mov_b64 s[8:9], 0
	s_and_saveexec_b64 s[10:11], s[0:1]
	s_cbranch_execz .LBB49_9
; %bb.8:
	v_add_u32_e32 v3, s26, v2
	v_mov_b32_e32 v4, 0
	v_lshlrev_b64 v[3:4], 3, v[3:4]
	v_mov_b32_e32 v6, s37
	v_add_co_u32_e64 v5, s[0:1], s36, v3
	v_addc_co_u32_e64 v6, s[0:1], v6, v4, s[0:1]
	v_mov_b32_e32 v7, s31
	v_add_co_u32_e64 v3, s[0:1], s30, v3
	v_addc_co_u32_e64 v4, s[0:1], v7, v4, s[0:1]
	global_load_dwordx2 v[7:8], v[3:4], off
	global_load_dwordx2 v[9:10], v[5:6], off
	v_add_u32_e32 v2, 0x100, v2
	s_waitcnt vmcnt(0)
	v_cmp_ne_u64_e64 s[0:1], v[7:8], v[9:10]
	s_and_b64 s[8:9], s[0:1], exec
.LBB49_9:
	s_or_b64 exec, exec, s[10:11]
	v_cmp_gt_i32_e64 s[0:1], s33, v2
	s_and_saveexec_b64 s[10:11], s[0:1]
	s_cbranch_execz .LBB49_11
; %bb.10:
	v_add_u32_e32 v3, s26, v2
	v_mov_b32_e32 v4, 0
	v_lshlrev_b64 v[3:4], 3, v[3:4]
	v_mov_b32_e32 v6, s37
	v_add_co_u32_e64 v5, s[0:1], s36, v3
	v_addc_co_u32_e64 v6, s[0:1], v6, v4, s[0:1]
	v_mov_b32_e32 v7, s31
	v_add_co_u32_e64 v3, s[0:1], s30, v3
	v_addc_co_u32_e64 v4, s[0:1], v7, v4, s[0:1]
	global_load_dwordx2 v[7:8], v[3:4], off
	global_load_dwordx2 v[9:10], v[5:6], off
	v_add_u32_e32 v2, 0x100, v2
	s_waitcnt vmcnt(0)
	v_cmp_ne_u64_e64 s[0:1], v[7:8], v[9:10]
	s_and_b64 s[6:7], s[0:1], exec
.LBB49_11:
	s_or_b64 exec, exec, s[10:11]
	v_cmp_gt_i32_e64 s[0:1], s33, v2
	s_mov_b64 s[10:11], 0
	s_mov_b64 s[12:13], 0
	s_and_saveexec_b64 s[14:15], s[0:1]
	s_cbranch_execz .LBB49_13
; %bb.12:
	v_add_u32_e32 v3, s26, v2
	v_mov_b32_e32 v4, 0
	v_lshlrev_b64 v[3:4], 3, v[3:4]
	v_mov_b32_e32 v6, s37
	v_add_co_u32_e64 v5, s[0:1], s36, v3
	v_addc_co_u32_e64 v6, s[0:1], v6, v4, s[0:1]
	v_mov_b32_e32 v7, s31
	v_add_co_u32_e64 v3, s[0:1], s30, v3
	v_addc_co_u32_e64 v4, s[0:1], v7, v4, s[0:1]
	global_load_dwordx2 v[7:8], v[3:4], off
	global_load_dwordx2 v[9:10], v[5:6], off
	v_add_u32_e32 v2, 0x100, v2
	s_waitcnt vmcnt(0)
	v_cmp_ne_u64_e64 s[0:1], v[7:8], v[9:10]
	s_and_b64 s[12:13], s[0:1], exec
.LBB49_13:
	;; [unrolled: 44-line block ×7, first 2 shown]
	s_or_b64 exec, exec, s[46:47]
	v_cmp_gt_i32_e64 s[0:1], s33, v2
	s_and_saveexec_b64 s[46:47], s[0:1]
	s_cbranch_execz .LBB49_35
; %bb.34:
	v_add_u32_e32 v2, s26, v2
	v_mov_b32_e32 v3, 0
	v_lshlrev_b64 v[2:3], 3, v[2:3]
	v_mov_b32_e32 v5, s37
	v_add_co_u32_e64 v4, s[0:1], s36, v2
	v_addc_co_u32_e64 v5, s[0:1], v5, v3, s[0:1]
	v_mov_b32_e32 v6, s31
	v_add_co_u32_e64 v2, s[0:1], s30, v2
	v_addc_co_u32_e64 v3, s[0:1], v6, v3, s[0:1]
	global_load_dwordx2 v[6:7], v[2:3], off
	global_load_dwordx2 v[8:9], v[4:5], off
	s_waitcnt vmcnt(0)
	v_cmp_ne_u64_e64 s[0:1], v[6:7], v[8:9]
	s_and_b64 s[42:43], s[0:1], exec
.LBB49_35:
	s_or_b64 exec, exec, s[46:47]
	s_cmp_eq_u32 s35, 0
	s_cselect_b64 s[0:1], -1, 0
	s_and_saveexec_b64 s[30:31], vcc
	s_cbranch_execnz .LBB49_53
; %bb.36:
	s_or_b64 exec, exec, s[30:31]
	v_cmp_gt_i32_e32 vcc, s33, v0
	s_and_saveexec_b64 s[4:5], vcc
	s_cbranch_execnz .LBB49_54
.LBB49_37:
	s_or_b64 exec, exec, s[4:5]
	v_cmp_gt_i32_e32 vcc, s33, v0
	s_and_saveexec_b64 s[2:3], vcc
	s_cbranch_execnz .LBB49_55
.LBB49_38:
	s_or_b64 exec, exec, s[2:3]
	v_cmp_gt_i32_e32 vcc, s33, v0
	s_and_saveexec_b64 s[2:3], vcc
	s_cbranch_execnz .LBB49_56
.LBB49_39:
	s_or_b64 exec, exec, s[2:3]
	v_cmp_gt_i32_e32 vcc, s33, v0
	s_and_saveexec_b64 s[2:3], vcc
	s_cbranch_execnz .LBB49_57
.LBB49_40:
	s_or_b64 exec, exec, s[2:3]
	v_cmp_gt_i32_e32 vcc, s33, v0
	s_and_saveexec_b64 s[2:3], vcc
	s_cbranch_execnz .LBB49_58
.LBB49_41:
	s_or_b64 exec, exec, s[2:3]
	v_cmp_gt_i32_e32 vcc, s33, v0
	s_and_saveexec_b64 s[2:3], vcc
	s_cbranch_execnz .LBB49_59
.LBB49_42:
	s_or_b64 exec, exec, s[2:3]
	v_cmp_gt_i32_e32 vcc, s33, v0
	s_and_saveexec_b64 s[2:3], vcc
	s_cbranch_execnz .LBB49_60
.LBB49_43:
	s_or_b64 exec, exec, s[2:3]
	v_cmp_gt_i32_e32 vcc, s33, v0
	s_and_saveexec_b64 s[2:3], vcc
	s_cbranch_execnz .LBB49_61
.LBB49_44:
	s_or_b64 exec, exec, s[2:3]
	v_cmp_gt_i32_e32 vcc, s33, v0
	s_and_saveexec_b64 s[2:3], vcc
	s_cbranch_execnz .LBB49_62
.LBB49_45:
	s_or_b64 exec, exec, s[2:3]
	v_cmp_gt_i32_e32 vcc, s33, v0
	s_and_saveexec_b64 s[2:3], vcc
	s_cbranch_execnz .LBB49_63
.LBB49_46:
	s_or_b64 exec, exec, s[2:3]
	v_cmp_gt_i32_e32 vcc, s33, v0
	s_and_saveexec_b64 s[2:3], vcc
	s_cbranch_execnz .LBB49_64
.LBB49_47:
	s_or_b64 exec, exec, s[2:3]
	v_cmp_gt_i32_e32 vcc, s33, v0
	s_and_saveexec_b64 s[2:3], vcc
	s_cbranch_execnz .LBB49_65
.LBB49_48:
	s_or_b64 exec, exec, s[2:3]
	v_cmp_gt_i32_e32 vcc, s33, v0
	s_and_saveexec_b64 s[2:3], vcc
	s_cbranch_execnz .LBB49_66
.LBB49_49:
	s_or_b64 exec, exec, s[2:3]
	v_cmp_gt_i32_e32 vcc, s33, v0
	s_and_saveexec_b64 s[2:3], vcc
	s_cbranch_execnz .LBB49_67
.LBB49_50:
	s_or_b64 exec, exec, s[2:3]
	v_cmp_gt_i32_e32 vcc, s33, v0
	s_and_saveexec_b64 s[2:3], vcc
	s_cbranch_execz .LBB49_52
.LBB49_51:
	s_xor_b64 s[0:1], s[0:1], s[42:43]
	v_cndmask_b32_e64 v1, 0, 1, s[0:1]
	v_add_u32_e32 v0, s26, v0
	global_store_byte v0, v1, s[28:29]
.LBB49_52:
	s_endpgm
.LBB49_53:
	s_xor_b64 s[4:5], s[0:1], s[4:5]
	v_or_b32_e32 v0, 0x100, v0
	v_cndmask_b32_e64 v2, 0, 1, s[4:5]
	global_store_byte v1, v2, s[28:29]
	s_or_b64 exec, exec, s[30:31]
	v_cmp_gt_i32_e32 vcc, s33, v0
	s_and_saveexec_b64 s[4:5], vcc
	s_cbranch_execz .LBB49_37
.LBB49_54:
	s_xor_b64 s[2:3], s[0:1], s[2:3]
	v_cndmask_b32_e64 v1, 0, 1, s[2:3]
	v_add_u32_e32 v2, s26, v0
	v_add_u32_e32 v0, 0x100, v0
	global_store_byte v2, v1, s[28:29]
	s_or_b64 exec, exec, s[4:5]
	v_cmp_gt_i32_e32 vcc, s33, v0
	s_and_saveexec_b64 s[2:3], vcc
	s_cbranch_execz .LBB49_38
.LBB49_55:
	s_xor_b64 s[4:5], s[0:1], s[8:9]
	v_cndmask_b32_e64 v1, 0, 1, s[4:5]
	v_add_u32_e32 v2, s26, v0
	v_add_u32_e32 v0, 0x100, v0
	global_store_byte v2, v1, s[28:29]
	s_or_b64 exec, exec, s[2:3]
	v_cmp_gt_i32_e32 vcc, s33, v0
	s_and_saveexec_b64 s[2:3], vcc
	s_cbranch_execz .LBB49_39
.LBB49_56:
	s_xor_b64 s[4:5], s[0:1], s[6:7]
	v_cndmask_b32_e64 v1, 0, 1, s[4:5]
	v_add_u32_e32 v2, s26, v0
	v_add_u32_e32 v0, 0x100, v0
	global_store_byte v2, v1, s[28:29]
	s_or_b64 exec, exec, s[2:3]
	v_cmp_gt_i32_e32 vcc, s33, v0
	s_and_saveexec_b64 s[2:3], vcc
	s_cbranch_execz .LBB49_40
.LBB49_57:
	s_xor_b64 s[4:5], s[0:1], s[12:13]
	v_cndmask_b32_e64 v1, 0, 1, s[4:5]
	v_add_u32_e32 v2, s26, v0
	v_add_u32_e32 v0, 0x100, v0
	global_store_byte v2, v1, s[28:29]
	s_or_b64 exec, exec, s[2:3]
	v_cmp_gt_i32_e32 vcc, s33, v0
	s_and_saveexec_b64 s[2:3], vcc
	s_cbranch_execz .LBB49_41
.LBB49_58:
	s_xor_b64 s[4:5], s[0:1], s[10:11]
	v_cndmask_b32_e64 v1, 0, 1, s[4:5]
	v_add_u32_e32 v2, s26, v0
	v_add_u32_e32 v0, 0x100, v0
	global_store_byte v2, v1, s[28:29]
	s_or_b64 exec, exec, s[2:3]
	v_cmp_gt_i32_e32 vcc, s33, v0
	s_and_saveexec_b64 s[2:3], vcc
	s_cbranch_execz .LBB49_42
.LBB49_59:
	s_xor_b64 s[4:5], s[0:1], s[16:17]
	v_cndmask_b32_e64 v1, 0, 1, s[4:5]
	v_add_u32_e32 v2, s26, v0
	v_add_u32_e32 v0, 0x100, v0
	global_store_byte v2, v1, s[28:29]
	s_or_b64 exec, exec, s[2:3]
	v_cmp_gt_i32_e32 vcc, s33, v0
	s_and_saveexec_b64 s[2:3], vcc
	s_cbranch_execz .LBB49_43
.LBB49_60:
	s_xor_b64 s[4:5], s[0:1], s[14:15]
	v_cndmask_b32_e64 v1, 0, 1, s[4:5]
	v_add_u32_e32 v2, s26, v0
	v_add_u32_e32 v0, 0x100, v0
	global_store_byte v2, v1, s[28:29]
	s_or_b64 exec, exec, s[2:3]
	v_cmp_gt_i32_e32 vcc, s33, v0
	s_and_saveexec_b64 s[2:3], vcc
	s_cbranch_execz .LBB49_44
.LBB49_61:
	s_xor_b64 s[4:5], s[0:1], s[20:21]
	v_cndmask_b32_e64 v1, 0, 1, s[4:5]
	v_add_u32_e32 v2, s26, v0
	v_add_u32_e32 v0, 0x100, v0
	global_store_byte v2, v1, s[28:29]
	s_or_b64 exec, exec, s[2:3]
	v_cmp_gt_i32_e32 vcc, s33, v0
	s_and_saveexec_b64 s[2:3], vcc
	s_cbranch_execz .LBB49_45
.LBB49_62:
	s_xor_b64 s[4:5], s[0:1], s[18:19]
	v_cndmask_b32_e64 v1, 0, 1, s[4:5]
	v_add_u32_e32 v2, s26, v0
	v_add_u32_e32 v0, 0x100, v0
	global_store_byte v2, v1, s[28:29]
	s_or_b64 exec, exec, s[2:3]
	v_cmp_gt_i32_e32 vcc, s33, v0
	s_and_saveexec_b64 s[2:3], vcc
	s_cbranch_execz .LBB49_46
.LBB49_63:
	s_xor_b64 s[4:5], s[0:1], s[24:25]
	v_cndmask_b32_e64 v1, 0, 1, s[4:5]
	v_add_u32_e32 v2, s26, v0
	v_add_u32_e32 v0, 0x100, v0
	global_store_byte v2, v1, s[28:29]
	s_or_b64 exec, exec, s[2:3]
	v_cmp_gt_i32_e32 vcc, s33, v0
	s_and_saveexec_b64 s[2:3], vcc
	s_cbranch_execz .LBB49_47
.LBB49_64:
	s_xor_b64 s[4:5], s[0:1], s[22:23]
	v_cndmask_b32_e64 v1, 0, 1, s[4:5]
	v_add_u32_e32 v2, s26, v0
	v_add_u32_e32 v0, 0x100, v0
	global_store_byte v2, v1, s[28:29]
	s_or_b64 exec, exec, s[2:3]
	v_cmp_gt_i32_e32 vcc, s33, v0
	s_and_saveexec_b64 s[2:3], vcc
	s_cbranch_execz .LBB49_48
.LBB49_65:
	s_xor_b64 s[4:5], s[0:1], s[40:41]
	v_cndmask_b32_e64 v1, 0, 1, s[4:5]
	v_add_u32_e32 v2, s26, v0
	v_add_u32_e32 v0, 0x100, v0
	global_store_byte v2, v1, s[28:29]
	s_or_b64 exec, exec, s[2:3]
	v_cmp_gt_i32_e32 vcc, s33, v0
	s_and_saveexec_b64 s[2:3], vcc
	s_cbranch_execz .LBB49_49
.LBB49_66:
	s_xor_b64 s[4:5], s[0:1], s[38:39]
	v_cndmask_b32_e64 v1, 0, 1, s[4:5]
	v_add_u32_e32 v2, s26, v0
	v_add_u32_e32 v0, 0x100, v0
	global_store_byte v2, v1, s[28:29]
	s_or_b64 exec, exec, s[2:3]
	v_cmp_gt_i32_e32 vcc, s33, v0
	s_and_saveexec_b64 s[2:3], vcc
	s_cbranch_execz .LBB49_50
.LBB49_67:
	s_xor_b64 s[4:5], s[0:1], s[44:45]
	v_cndmask_b32_e64 v1, 0, 1, s[4:5]
	v_add_u32_e32 v2, s26, v0
	v_add_u32_e32 v0, 0x100, v0
	global_store_byte v2, v1, s[28:29]
	s_or_b64 exec, exec, s[2:3]
	v_cmp_gt_i32_e32 vcc, s33, v0
	s_and_saveexec_b64 s[2:3], vcc
	s_cbranch_execnz .LBB49_51
	s_branch .LBB49_52
	.section	.rodata,"a",@progbits
	.p2align	6, 0x0
	.amdhsa_kernel _ZN2at6native29vectorized_elementwise_kernelILi8ENS0_13BinaryFunctorIllbNS0_12_GLOBAL__N_116CompareEqFunctorIlEEEESt5arrayIPcLm3EEEEviT0_T1_
		.amdhsa_group_segment_fixed_size 0
		.amdhsa_private_segment_fixed_size 0
		.amdhsa_kernarg_size 32
		.amdhsa_user_sgpr_count 6
		.amdhsa_user_sgpr_private_segment_buffer 1
		.amdhsa_user_sgpr_dispatch_ptr 0
		.amdhsa_user_sgpr_queue_ptr 0
		.amdhsa_user_sgpr_kernarg_segment_ptr 1
		.amdhsa_user_sgpr_dispatch_id 0
		.amdhsa_user_sgpr_flat_scratch_init 0
		.amdhsa_user_sgpr_private_segment_size 0
		.amdhsa_uses_dynamic_stack 0
		.amdhsa_system_sgpr_private_segment_wavefront_offset 0
		.amdhsa_system_sgpr_workgroup_id_x 1
		.amdhsa_system_sgpr_workgroup_id_y 0
		.amdhsa_system_sgpr_workgroup_id_z 0
		.amdhsa_system_sgpr_workgroup_info 0
		.amdhsa_system_vgpr_workitem_id 0
		.amdhsa_next_free_vgpr 21
		.amdhsa_next_free_sgpr 48
		.amdhsa_reserve_vcc 1
		.amdhsa_reserve_flat_scratch 0
		.amdhsa_float_round_mode_32 0
		.amdhsa_float_round_mode_16_64 0
		.amdhsa_float_denorm_mode_32 3
		.amdhsa_float_denorm_mode_16_64 3
		.amdhsa_dx10_clamp 1
		.amdhsa_ieee_mode 1
		.amdhsa_fp16_overflow 0
		.amdhsa_exception_fp_ieee_invalid_op 0
		.amdhsa_exception_fp_denorm_src 0
		.amdhsa_exception_fp_ieee_div_zero 0
		.amdhsa_exception_fp_ieee_overflow 0
		.amdhsa_exception_fp_ieee_underflow 0
		.amdhsa_exception_fp_ieee_inexact 0
		.amdhsa_exception_int_div_zero 0
	.end_amdhsa_kernel
	.section	.text._ZN2at6native29vectorized_elementwise_kernelILi8ENS0_13BinaryFunctorIllbNS0_12_GLOBAL__N_116CompareEqFunctorIlEEEESt5arrayIPcLm3EEEEviT0_T1_,"axG",@progbits,_ZN2at6native29vectorized_elementwise_kernelILi8ENS0_13BinaryFunctorIllbNS0_12_GLOBAL__N_116CompareEqFunctorIlEEEESt5arrayIPcLm3EEEEviT0_T1_,comdat
.Lfunc_end49:
	.size	_ZN2at6native29vectorized_elementwise_kernelILi8ENS0_13BinaryFunctorIllbNS0_12_GLOBAL__N_116CompareEqFunctorIlEEEESt5arrayIPcLm3EEEEviT0_T1_, .Lfunc_end49-_ZN2at6native29vectorized_elementwise_kernelILi8ENS0_13BinaryFunctorIllbNS0_12_GLOBAL__N_116CompareEqFunctorIlEEEESt5arrayIPcLm3EEEEviT0_T1_
                                        ; -- End function
	.set _ZN2at6native29vectorized_elementwise_kernelILi8ENS0_13BinaryFunctorIllbNS0_12_GLOBAL__N_116CompareEqFunctorIlEEEESt5arrayIPcLm3EEEEviT0_T1_.num_vgpr, 21
	.set _ZN2at6native29vectorized_elementwise_kernelILi8ENS0_13BinaryFunctorIllbNS0_12_GLOBAL__N_116CompareEqFunctorIlEEEESt5arrayIPcLm3EEEEviT0_T1_.num_agpr, 0
	.set _ZN2at6native29vectorized_elementwise_kernelILi8ENS0_13BinaryFunctorIllbNS0_12_GLOBAL__N_116CompareEqFunctorIlEEEESt5arrayIPcLm3EEEEviT0_T1_.numbered_sgpr, 48
	.set _ZN2at6native29vectorized_elementwise_kernelILi8ENS0_13BinaryFunctorIllbNS0_12_GLOBAL__N_116CompareEqFunctorIlEEEESt5arrayIPcLm3EEEEviT0_T1_.num_named_barrier, 0
	.set _ZN2at6native29vectorized_elementwise_kernelILi8ENS0_13BinaryFunctorIllbNS0_12_GLOBAL__N_116CompareEqFunctorIlEEEESt5arrayIPcLm3EEEEviT0_T1_.private_seg_size, 0
	.set _ZN2at6native29vectorized_elementwise_kernelILi8ENS0_13BinaryFunctorIllbNS0_12_GLOBAL__N_116CompareEqFunctorIlEEEESt5arrayIPcLm3EEEEviT0_T1_.uses_vcc, 1
	.set _ZN2at6native29vectorized_elementwise_kernelILi8ENS0_13BinaryFunctorIllbNS0_12_GLOBAL__N_116CompareEqFunctorIlEEEESt5arrayIPcLm3EEEEviT0_T1_.uses_flat_scratch, 0
	.set _ZN2at6native29vectorized_elementwise_kernelILi8ENS0_13BinaryFunctorIllbNS0_12_GLOBAL__N_116CompareEqFunctorIlEEEESt5arrayIPcLm3EEEEviT0_T1_.has_dyn_sized_stack, 0
	.set _ZN2at6native29vectorized_elementwise_kernelILi8ENS0_13BinaryFunctorIllbNS0_12_GLOBAL__N_116CompareEqFunctorIlEEEESt5arrayIPcLm3EEEEviT0_T1_.has_recursion, 0
	.set _ZN2at6native29vectorized_elementwise_kernelILi8ENS0_13BinaryFunctorIllbNS0_12_GLOBAL__N_116CompareEqFunctorIlEEEESt5arrayIPcLm3EEEEviT0_T1_.has_indirect_call, 0
	.section	.AMDGPU.csdata,"",@progbits
; Kernel info:
; codeLenInByte = 3660
; TotalNumSgprs: 52
; NumVgprs: 21
; ScratchSize: 0
; MemoryBound: 1
; FloatMode: 240
; IeeeMode: 1
; LDSByteSize: 0 bytes/workgroup (compile time only)
; SGPRBlocks: 6
; VGPRBlocks: 5
; NumSGPRsForWavesPerEU: 52
; NumVGPRsForWavesPerEU: 21
; Occupancy: 10
; WaveLimiterHint : 1
; COMPUTE_PGM_RSRC2:SCRATCH_EN: 0
; COMPUTE_PGM_RSRC2:USER_SGPR: 6
; COMPUTE_PGM_RSRC2:TRAP_HANDLER: 0
; COMPUTE_PGM_RSRC2:TGID_X_EN: 1
; COMPUTE_PGM_RSRC2:TGID_Y_EN: 0
; COMPUTE_PGM_RSRC2:TGID_Z_EN: 0
; COMPUTE_PGM_RSRC2:TIDIG_COMP_CNT: 0
	.section	.text._ZN2at6native29vectorized_elementwise_kernelILi4ENS0_13BinaryFunctorIllbNS0_12_GLOBAL__N_116CompareEqFunctorIlEEEESt5arrayIPcLm3EEEEviT0_T1_,"axG",@progbits,_ZN2at6native29vectorized_elementwise_kernelILi4ENS0_13BinaryFunctorIllbNS0_12_GLOBAL__N_116CompareEqFunctorIlEEEESt5arrayIPcLm3EEEEviT0_T1_,comdat
	.globl	_ZN2at6native29vectorized_elementwise_kernelILi4ENS0_13BinaryFunctorIllbNS0_12_GLOBAL__N_116CompareEqFunctorIlEEEESt5arrayIPcLm3EEEEviT0_T1_ ; -- Begin function _ZN2at6native29vectorized_elementwise_kernelILi4ENS0_13BinaryFunctorIllbNS0_12_GLOBAL__N_116CompareEqFunctorIlEEEESt5arrayIPcLm3EEEEviT0_T1_
	.p2align	8
	.type	_ZN2at6native29vectorized_elementwise_kernelILi4ENS0_13BinaryFunctorIllbNS0_12_GLOBAL__N_116CompareEqFunctorIlEEEESt5arrayIPcLm3EEEEviT0_T1_,@function
_ZN2at6native29vectorized_elementwise_kernelILi4ENS0_13BinaryFunctorIllbNS0_12_GLOBAL__N_116CompareEqFunctorIlEEEESt5arrayIPcLm3EEEEviT0_T1_: ; @_ZN2at6native29vectorized_elementwise_kernelILi4ENS0_13BinaryFunctorIllbNS0_12_GLOBAL__N_116CompareEqFunctorIlEEEESt5arrayIPcLm3EEEEviT0_T1_
; %bb.0:
	s_load_dwordx2 s[34:35], s[4:5], 0x0
	s_load_dwordx4 s[28:31], s[4:5], 0x8
	s_load_dwordx2 s[36:37], s[4:5], 0x18
	s_lshl_b32 s26, s6, 12
	s_mov_b64 s[0:1], -1
	s_waitcnt lgkmcnt(0)
	s_sub_i32 s33, s34, s26
	s_cmpk_gt_i32 s33, 0xfff
	s_cbranch_scc0 .LBB50_2
; %bb.1:
	s_ashr_i32 s27, s26, 31
	s_lshl_b64 s[0:1], s[26:27], 3
	s_add_u32 s2, s30, s0
	s_addc_u32 s3, s31, s1
	s_add_u32 s4, s36, s0
	v_lshlrev_b32_e32 v19, 5, v0
	s_addc_u32 s5, s37, s1
	global_load_dwordx4 v[1:4], v19, s[4:5]
	global_load_dwordx4 v[5:8], v19, s[2:3]
	global_load_dwordx4 v[9:12], v19, s[2:3] offset:16
	global_load_dwordx4 v[13:16], v19, s[4:5] offset:16
	s_movk_i32 s6, 0x2000
	v_mov_b32_e32 v17, s3
	v_add_co_u32_e32 v21, vcc, s2, v19
	v_addc_co_u32_e32 v22, vcc, 0, v17, vcc
	v_add_co_u32_e64 v17, s[2:3], s6, v21
	v_addc_co_u32_e64 v18, s[2:3], 0, v22, s[2:3]
	v_add_co_u32_e64 v23, s[2:3], s4, v19
	s_movk_i32 s12, 0x4000
	s_movk_i32 s20, 0x6000
	s_cmp_eq_u32 s35, 0
	s_cselect_b64 s[38:39], -1, 0
	s_waitcnt vmcnt(2)
	v_cmp_ne_u64_e32 vcc, v[5:6], v[1:2]
	v_mov_b32_e32 v1, s5
	v_addc_co_u32_e64 v24, s[2:3], 0, v1, s[2:3]
	v_add_co_u32_e64 v19, s[2:3], s6, v23
	v_addc_co_u32_e64 v20, s[2:3], 0, v24, s[2:3]
	v_cmp_ne_u64_e64 s[0:1], v[7:8], v[3:4]
	s_waitcnt vmcnt(0)
	v_cmp_ne_u64_e64 s[2:3], v[9:10], v[13:14]
	v_cmp_ne_u64_e64 s[4:5], v[11:12], v[15:16]
	global_load_dwordx4 v[1:4], v[19:20], off
	global_load_dwordx4 v[5:8], v[17:18], off
	global_load_dwordx4 v[9:12], v[17:18], off offset:16
	global_load_dwordx4 v[13:16], v[19:20], off offset:16
	v_add_co_u32_e64 v17, s[10:11], s12, v21
	v_addc_co_u32_e64 v18, s[10:11], 0, v22, s[10:11]
	v_add_co_u32_e64 v19, s[10:11], s12, v23
	v_addc_co_u32_e64 v20, s[10:11], 0, v24, s[10:11]
	s_xor_b64 s[40:41], s[38:39], vcc
	s_xor_b64 vcc, s[38:39], s[0:1]
	s_waitcnt vmcnt(2)
	v_cmp_ne_u64_e64 s[6:7], v[5:6], v[1:2]
	v_cmp_ne_u64_e64 s[8:9], v[7:8], v[3:4]
	s_waitcnt vmcnt(0)
	v_cmp_ne_u64_e64 s[10:11], v[9:10], v[13:14]
	v_cmp_ne_u64_e64 s[12:13], v[11:12], v[15:16]
	global_load_dwordx4 v[1:4], v[19:20], off
	global_load_dwordx4 v[5:8], v[17:18], off
	global_load_dwordx4 v[9:12], v[17:18], off offset:16
	global_load_dwordx4 v[13:16], v[19:20], off offset:16
	v_add_co_u32_e64 v17, s[18:19], s20, v21
	v_addc_co_u32_e64 v18, s[18:19], 0, v22, s[18:19]
	v_add_co_u32_e64 v19, s[18:19], s20, v23
	v_addc_co_u32_e64 v20, s[18:19], 0, v24, s[18:19]
	s_xor_b64 s[0:1], s[38:39], s[6:7]
	s_waitcnt vmcnt(2)
	v_cmp_ne_u64_e64 s[14:15], v[5:6], v[1:2]
	v_cmp_ne_u64_e64 s[16:17], v[7:8], v[3:4]
	global_load_dwordx4 v[1:4], v[19:20], off
	s_waitcnt vmcnt(1)
	v_cmp_ne_u64_e64 s[18:19], v[9:10], v[13:14]
	v_cmp_ne_u64_e64 s[20:21], v[11:12], v[15:16]
	global_load_dwordx4 v[5:8], v[17:18], off
	global_load_dwordx4 v[9:12], v[17:18], off offset:16
	global_load_dwordx4 v[13:16], v[19:20], off offset:16
	v_mov_b32_e32 v17, 0x100
	v_mov_b32_e32 v18, 0x10000
	v_mov_b32_e32 v19, 0x1000000
	s_waitcnt vmcnt(2)
	v_cmp_ne_u64_e64 s[22:23], v[5:6], v[1:2]
	v_cndmask_b32_e32 v2, 0, v17, vcc
	s_xor_b64 vcc, s[38:39], s[2:3]
	v_cmp_ne_u64_e64 s[24:25], v[7:8], v[3:4]
	v_cndmask_b32_e64 v1, 0, 1, s[40:41]
	v_cndmask_b32_e32 v3, 0, v18, vcc
	s_xor_b64 vcc, s[38:39], s[4:5]
	v_cndmask_b32_e32 v4, 0, v19, vcc
	v_or_b32_e32 v1, v2, v1
	s_xor_b64 vcc, s[38:39], s[8:9]
	v_or3_b32 v1, v1, v3, v4
	v_cndmask_b32_e64 v2, 0, 1, s[0:1]
	v_cndmask_b32_e32 v3, 0, v17, vcc
	s_xor_b64 vcc, s[38:39], s[10:11]
	v_or_b32_e32 v2, v3, v2
	v_cndmask_b32_e32 v3, 0, v18, vcc
	s_xor_b64 vcc, s[38:39], s[12:13]
	v_cndmask_b32_e32 v4, 0, v19, vcc
	s_xor_b64 s[0:1], s[38:39], s[14:15]
	s_xor_b64 vcc, s[38:39], s[16:17]
	v_or3_b32 v2, v2, v3, v4
	v_cndmask_b32_e64 v3, 0, 1, s[0:1]
	v_cndmask_b32_e32 v4, 0, v17, vcc
	s_xor_b64 vcc, s[38:39], s[18:19]
	v_or_b32_e32 v3, v4, v3
	v_cndmask_b32_e32 v4, 0, v18, vcc
	s_xor_b64 vcc, s[38:39], s[20:21]
	v_cndmask_b32_e32 v5, 0, v19, vcc
	s_xor_b64 vcc, s[38:39], s[24:25]
	v_or3_b32 v3, v3, v4, v5
	s_xor_b64 s[0:1], s[38:39], s[22:23]
	v_cndmask_b32_e32 v5, 0, v17, vcc
	s_waitcnt vmcnt(0)
	v_cmp_ne_u64_e32 vcc, v[9:10], v[13:14]
	v_cndmask_b32_e64 v4, 0, 1, s[0:1]
	v_cmp_ne_u64_e64 s[0:1], v[11:12], v[15:16]
	s_xor_b64 vcc, s[38:39], vcc
	v_or_b32_e32 v4, v5, v4
	v_cndmask_b32_e32 v5, 0, v18, vcc
	s_xor_b64 vcc, s[38:39], s[0:1]
	v_cndmask_b32_e32 v6, 0, v19, vcc
	s_add_u32 s0, s28, s26
	v_or3_b32 v4, v4, v5, v6
	s_addc_u32 s1, s29, s27
	v_lshlrev_b32_e32 v5, 2, v0
	global_store_dword v5, v1, s[0:1]
	global_store_dword v5, v2, s[0:1] offset:1024
	global_store_dword v5, v3, s[0:1] offset:2048
	;; [unrolled: 1-line block ×3, first 2 shown]
	s_mov_b64 s[0:1], 0
.LBB50_2:
	s_andn2_b64 vcc, exec, s[0:1]
	s_cbranch_vccnz .LBB50_52
; %bb.3:
	v_cmp_gt_i32_e32 vcc, s33, v0
	s_mov_b64 s[2:3], 0
	v_or_b32_e32 v1, s26, v0
	s_mov_b64 s[4:5], 0
	v_mov_b32_e32 v2, v0
	s_and_saveexec_b64 s[6:7], vcc
	s_cbranch_execz .LBB50_5
; %bb.4:
	v_mov_b32_e32 v2, 0
	v_lshlrev_b64 v[2:3], 3, v[1:2]
	v_mov_b32_e32 v5, s37
	v_add_co_u32_e64 v4, s[0:1], s36, v2
	v_addc_co_u32_e64 v5, s[0:1], v5, v3, s[0:1]
	v_mov_b32_e32 v6, s31
	v_add_co_u32_e64 v2, s[0:1], s30, v2
	v_addc_co_u32_e64 v3, s[0:1], v6, v3, s[0:1]
	global_load_dwordx2 v[6:7], v[2:3], off
	global_load_dwordx2 v[8:9], v[4:5], off
	v_or_b32_e32 v2, 0x100, v0
	s_waitcnt vmcnt(0)
	v_cmp_ne_u64_e64 s[0:1], v[6:7], v[8:9]
	s_and_b64 s[4:5], s[0:1], exec
.LBB50_5:
	s_or_b64 exec, exec, s[6:7]
	v_cmp_gt_i32_e64 s[0:1], s33, v2
	s_and_saveexec_b64 s[6:7], s[0:1]
	s_cbranch_execz .LBB50_7
; %bb.6:
	v_add_u32_e32 v3, s26, v2
	v_mov_b32_e32 v4, 0
	v_lshlrev_b64 v[3:4], 3, v[3:4]
	v_mov_b32_e32 v6, s37
	v_add_co_u32_e64 v5, s[0:1], s36, v3
	v_addc_co_u32_e64 v6, s[0:1], v6, v4, s[0:1]
	v_mov_b32_e32 v7, s31
	v_add_co_u32_e64 v3, s[0:1], s30, v3
	v_addc_co_u32_e64 v4, s[0:1], v7, v4, s[0:1]
	global_load_dwordx2 v[7:8], v[3:4], off
	global_load_dwordx2 v[9:10], v[5:6], off
	v_add_u32_e32 v2, 0x100, v2
	s_waitcnt vmcnt(0)
	v_cmp_ne_u64_e64 s[0:1], v[7:8], v[9:10]
	s_and_b64 s[2:3], s[0:1], exec
.LBB50_7:
	s_or_b64 exec, exec, s[6:7]
	v_cmp_gt_i32_e64 s[0:1], s33, v2
	s_mov_b64 s[6:7], 0
	s_mov_b64 s[8:9], 0
	s_and_saveexec_b64 s[10:11], s[0:1]
	s_cbranch_execz .LBB50_9
; %bb.8:
	v_add_u32_e32 v3, s26, v2
	v_mov_b32_e32 v4, 0
	v_lshlrev_b64 v[3:4], 3, v[3:4]
	v_mov_b32_e32 v6, s37
	v_add_co_u32_e64 v5, s[0:1], s36, v3
	v_addc_co_u32_e64 v6, s[0:1], v6, v4, s[0:1]
	v_mov_b32_e32 v7, s31
	v_add_co_u32_e64 v3, s[0:1], s30, v3
	v_addc_co_u32_e64 v4, s[0:1], v7, v4, s[0:1]
	global_load_dwordx2 v[7:8], v[3:4], off
	global_load_dwordx2 v[9:10], v[5:6], off
	v_add_u32_e32 v2, 0x100, v2
	s_waitcnt vmcnt(0)
	v_cmp_ne_u64_e64 s[0:1], v[7:8], v[9:10]
	s_and_b64 s[8:9], s[0:1], exec
.LBB50_9:
	s_or_b64 exec, exec, s[10:11]
	v_cmp_gt_i32_e64 s[0:1], s33, v2
	s_and_saveexec_b64 s[10:11], s[0:1]
	s_cbranch_execz .LBB50_11
; %bb.10:
	v_add_u32_e32 v3, s26, v2
	v_mov_b32_e32 v4, 0
	v_lshlrev_b64 v[3:4], 3, v[3:4]
	v_mov_b32_e32 v6, s37
	v_add_co_u32_e64 v5, s[0:1], s36, v3
	v_addc_co_u32_e64 v6, s[0:1], v6, v4, s[0:1]
	v_mov_b32_e32 v7, s31
	v_add_co_u32_e64 v3, s[0:1], s30, v3
	v_addc_co_u32_e64 v4, s[0:1], v7, v4, s[0:1]
	global_load_dwordx2 v[7:8], v[3:4], off
	global_load_dwordx2 v[9:10], v[5:6], off
	v_add_u32_e32 v2, 0x100, v2
	s_waitcnt vmcnt(0)
	v_cmp_ne_u64_e64 s[0:1], v[7:8], v[9:10]
	s_and_b64 s[6:7], s[0:1], exec
.LBB50_11:
	s_or_b64 exec, exec, s[10:11]
	v_cmp_gt_i32_e64 s[0:1], s33, v2
	s_mov_b64 s[10:11], 0
	s_mov_b64 s[12:13], 0
	s_and_saveexec_b64 s[14:15], s[0:1]
	s_cbranch_execz .LBB50_13
; %bb.12:
	v_add_u32_e32 v3, s26, v2
	v_mov_b32_e32 v4, 0
	v_lshlrev_b64 v[3:4], 3, v[3:4]
	v_mov_b32_e32 v6, s37
	v_add_co_u32_e64 v5, s[0:1], s36, v3
	v_addc_co_u32_e64 v6, s[0:1], v6, v4, s[0:1]
	v_mov_b32_e32 v7, s31
	v_add_co_u32_e64 v3, s[0:1], s30, v3
	v_addc_co_u32_e64 v4, s[0:1], v7, v4, s[0:1]
	global_load_dwordx2 v[7:8], v[3:4], off
	global_load_dwordx2 v[9:10], v[5:6], off
	v_add_u32_e32 v2, 0x100, v2
	s_waitcnt vmcnt(0)
	v_cmp_ne_u64_e64 s[0:1], v[7:8], v[9:10]
	s_and_b64 s[12:13], s[0:1], exec
.LBB50_13:
	;; [unrolled: 44-line block ×7, first 2 shown]
	s_or_b64 exec, exec, s[46:47]
	v_cmp_gt_i32_e64 s[0:1], s33, v2
	s_and_saveexec_b64 s[46:47], s[0:1]
	s_cbranch_execz .LBB50_35
; %bb.34:
	v_add_u32_e32 v2, s26, v2
	v_mov_b32_e32 v3, 0
	v_lshlrev_b64 v[2:3], 3, v[2:3]
	v_mov_b32_e32 v5, s37
	v_add_co_u32_e64 v4, s[0:1], s36, v2
	v_addc_co_u32_e64 v5, s[0:1], v5, v3, s[0:1]
	v_mov_b32_e32 v6, s31
	v_add_co_u32_e64 v2, s[0:1], s30, v2
	v_addc_co_u32_e64 v3, s[0:1], v6, v3, s[0:1]
	global_load_dwordx2 v[6:7], v[2:3], off
	global_load_dwordx2 v[8:9], v[4:5], off
	s_waitcnt vmcnt(0)
	v_cmp_ne_u64_e64 s[0:1], v[6:7], v[8:9]
	s_and_b64 s[42:43], s[0:1], exec
.LBB50_35:
	s_or_b64 exec, exec, s[46:47]
	s_cmp_eq_u32 s35, 0
	s_cselect_b64 s[0:1], -1, 0
	s_and_saveexec_b64 s[30:31], vcc
	s_cbranch_execnz .LBB50_53
; %bb.36:
	s_or_b64 exec, exec, s[30:31]
	v_cmp_gt_i32_e32 vcc, s33, v0
	s_and_saveexec_b64 s[4:5], vcc
	s_cbranch_execnz .LBB50_54
.LBB50_37:
	s_or_b64 exec, exec, s[4:5]
	v_cmp_gt_i32_e32 vcc, s33, v0
	s_and_saveexec_b64 s[2:3], vcc
	s_cbranch_execnz .LBB50_55
.LBB50_38:
	s_or_b64 exec, exec, s[2:3]
	v_cmp_gt_i32_e32 vcc, s33, v0
	s_and_saveexec_b64 s[2:3], vcc
	s_cbranch_execnz .LBB50_56
.LBB50_39:
	s_or_b64 exec, exec, s[2:3]
	v_cmp_gt_i32_e32 vcc, s33, v0
	s_and_saveexec_b64 s[2:3], vcc
	s_cbranch_execnz .LBB50_57
.LBB50_40:
	s_or_b64 exec, exec, s[2:3]
	v_cmp_gt_i32_e32 vcc, s33, v0
	s_and_saveexec_b64 s[2:3], vcc
	s_cbranch_execnz .LBB50_58
.LBB50_41:
	s_or_b64 exec, exec, s[2:3]
	v_cmp_gt_i32_e32 vcc, s33, v0
	s_and_saveexec_b64 s[2:3], vcc
	s_cbranch_execnz .LBB50_59
.LBB50_42:
	s_or_b64 exec, exec, s[2:3]
	v_cmp_gt_i32_e32 vcc, s33, v0
	s_and_saveexec_b64 s[2:3], vcc
	s_cbranch_execnz .LBB50_60
.LBB50_43:
	s_or_b64 exec, exec, s[2:3]
	v_cmp_gt_i32_e32 vcc, s33, v0
	s_and_saveexec_b64 s[2:3], vcc
	s_cbranch_execnz .LBB50_61
.LBB50_44:
	s_or_b64 exec, exec, s[2:3]
	v_cmp_gt_i32_e32 vcc, s33, v0
	s_and_saveexec_b64 s[2:3], vcc
	s_cbranch_execnz .LBB50_62
.LBB50_45:
	s_or_b64 exec, exec, s[2:3]
	v_cmp_gt_i32_e32 vcc, s33, v0
	s_and_saveexec_b64 s[2:3], vcc
	s_cbranch_execnz .LBB50_63
.LBB50_46:
	s_or_b64 exec, exec, s[2:3]
	v_cmp_gt_i32_e32 vcc, s33, v0
	s_and_saveexec_b64 s[2:3], vcc
	s_cbranch_execnz .LBB50_64
.LBB50_47:
	s_or_b64 exec, exec, s[2:3]
	v_cmp_gt_i32_e32 vcc, s33, v0
	s_and_saveexec_b64 s[2:3], vcc
	s_cbranch_execnz .LBB50_65
.LBB50_48:
	s_or_b64 exec, exec, s[2:3]
	v_cmp_gt_i32_e32 vcc, s33, v0
	s_and_saveexec_b64 s[2:3], vcc
	s_cbranch_execnz .LBB50_66
.LBB50_49:
	s_or_b64 exec, exec, s[2:3]
	v_cmp_gt_i32_e32 vcc, s33, v0
	s_and_saveexec_b64 s[2:3], vcc
	s_cbranch_execnz .LBB50_67
.LBB50_50:
	s_or_b64 exec, exec, s[2:3]
	v_cmp_gt_i32_e32 vcc, s33, v0
	s_and_saveexec_b64 s[2:3], vcc
	s_cbranch_execz .LBB50_52
.LBB50_51:
	s_xor_b64 s[0:1], s[0:1], s[42:43]
	v_cndmask_b32_e64 v1, 0, 1, s[0:1]
	v_add_u32_e32 v0, s26, v0
	global_store_byte v0, v1, s[28:29]
.LBB50_52:
	s_endpgm
.LBB50_53:
	s_xor_b64 s[4:5], s[0:1], s[4:5]
	v_or_b32_e32 v0, 0x100, v0
	v_cndmask_b32_e64 v2, 0, 1, s[4:5]
	global_store_byte v1, v2, s[28:29]
	s_or_b64 exec, exec, s[30:31]
	v_cmp_gt_i32_e32 vcc, s33, v0
	s_and_saveexec_b64 s[4:5], vcc
	s_cbranch_execz .LBB50_37
.LBB50_54:
	s_xor_b64 s[2:3], s[0:1], s[2:3]
	v_cndmask_b32_e64 v1, 0, 1, s[2:3]
	v_add_u32_e32 v2, s26, v0
	v_add_u32_e32 v0, 0x100, v0
	global_store_byte v2, v1, s[28:29]
	s_or_b64 exec, exec, s[4:5]
	v_cmp_gt_i32_e32 vcc, s33, v0
	s_and_saveexec_b64 s[2:3], vcc
	s_cbranch_execz .LBB50_38
.LBB50_55:
	s_xor_b64 s[4:5], s[0:1], s[8:9]
	v_cndmask_b32_e64 v1, 0, 1, s[4:5]
	v_add_u32_e32 v2, s26, v0
	v_add_u32_e32 v0, 0x100, v0
	global_store_byte v2, v1, s[28:29]
	s_or_b64 exec, exec, s[2:3]
	v_cmp_gt_i32_e32 vcc, s33, v0
	s_and_saveexec_b64 s[2:3], vcc
	s_cbranch_execz .LBB50_39
.LBB50_56:
	s_xor_b64 s[4:5], s[0:1], s[6:7]
	v_cndmask_b32_e64 v1, 0, 1, s[4:5]
	v_add_u32_e32 v2, s26, v0
	v_add_u32_e32 v0, 0x100, v0
	global_store_byte v2, v1, s[28:29]
	s_or_b64 exec, exec, s[2:3]
	v_cmp_gt_i32_e32 vcc, s33, v0
	s_and_saveexec_b64 s[2:3], vcc
	s_cbranch_execz .LBB50_40
.LBB50_57:
	s_xor_b64 s[4:5], s[0:1], s[12:13]
	v_cndmask_b32_e64 v1, 0, 1, s[4:5]
	v_add_u32_e32 v2, s26, v0
	v_add_u32_e32 v0, 0x100, v0
	global_store_byte v2, v1, s[28:29]
	s_or_b64 exec, exec, s[2:3]
	v_cmp_gt_i32_e32 vcc, s33, v0
	s_and_saveexec_b64 s[2:3], vcc
	s_cbranch_execz .LBB50_41
.LBB50_58:
	s_xor_b64 s[4:5], s[0:1], s[10:11]
	v_cndmask_b32_e64 v1, 0, 1, s[4:5]
	v_add_u32_e32 v2, s26, v0
	v_add_u32_e32 v0, 0x100, v0
	global_store_byte v2, v1, s[28:29]
	s_or_b64 exec, exec, s[2:3]
	v_cmp_gt_i32_e32 vcc, s33, v0
	s_and_saveexec_b64 s[2:3], vcc
	s_cbranch_execz .LBB50_42
.LBB50_59:
	s_xor_b64 s[4:5], s[0:1], s[16:17]
	v_cndmask_b32_e64 v1, 0, 1, s[4:5]
	v_add_u32_e32 v2, s26, v0
	v_add_u32_e32 v0, 0x100, v0
	global_store_byte v2, v1, s[28:29]
	s_or_b64 exec, exec, s[2:3]
	v_cmp_gt_i32_e32 vcc, s33, v0
	s_and_saveexec_b64 s[2:3], vcc
	s_cbranch_execz .LBB50_43
.LBB50_60:
	s_xor_b64 s[4:5], s[0:1], s[14:15]
	v_cndmask_b32_e64 v1, 0, 1, s[4:5]
	v_add_u32_e32 v2, s26, v0
	v_add_u32_e32 v0, 0x100, v0
	global_store_byte v2, v1, s[28:29]
	s_or_b64 exec, exec, s[2:3]
	v_cmp_gt_i32_e32 vcc, s33, v0
	s_and_saveexec_b64 s[2:3], vcc
	s_cbranch_execz .LBB50_44
.LBB50_61:
	s_xor_b64 s[4:5], s[0:1], s[20:21]
	v_cndmask_b32_e64 v1, 0, 1, s[4:5]
	v_add_u32_e32 v2, s26, v0
	v_add_u32_e32 v0, 0x100, v0
	global_store_byte v2, v1, s[28:29]
	s_or_b64 exec, exec, s[2:3]
	v_cmp_gt_i32_e32 vcc, s33, v0
	s_and_saveexec_b64 s[2:3], vcc
	s_cbranch_execz .LBB50_45
.LBB50_62:
	s_xor_b64 s[4:5], s[0:1], s[18:19]
	v_cndmask_b32_e64 v1, 0, 1, s[4:5]
	v_add_u32_e32 v2, s26, v0
	v_add_u32_e32 v0, 0x100, v0
	global_store_byte v2, v1, s[28:29]
	s_or_b64 exec, exec, s[2:3]
	v_cmp_gt_i32_e32 vcc, s33, v0
	s_and_saveexec_b64 s[2:3], vcc
	s_cbranch_execz .LBB50_46
.LBB50_63:
	s_xor_b64 s[4:5], s[0:1], s[24:25]
	v_cndmask_b32_e64 v1, 0, 1, s[4:5]
	v_add_u32_e32 v2, s26, v0
	v_add_u32_e32 v0, 0x100, v0
	global_store_byte v2, v1, s[28:29]
	s_or_b64 exec, exec, s[2:3]
	v_cmp_gt_i32_e32 vcc, s33, v0
	s_and_saveexec_b64 s[2:3], vcc
	s_cbranch_execz .LBB50_47
.LBB50_64:
	s_xor_b64 s[4:5], s[0:1], s[22:23]
	v_cndmask_b32_e64 v1, 0, 1, s[4:5]
	v_add_u32_e32 v2, s26, v0
	v_add_u32_e32 v0, 0x100, v0
	global_store_byte v2, v1, s[28:29]
	s_or_b64 exec, exec, s[2:3]
	v_cmp_gt_i32_e32 vcc, s33, v0
	s_and_saveexec_b64 s[2:3], vcc
	s_cbranch_execz .LBB50_48
.LBB50_65:
	s_xor_b64 s[4:5], s[0:1], s[40:41]
	v_cndmask_b32_e64 v1, 0, 1, s[4:5]
	v_add_u32_e32 v2, s26, v0
	v_add_u32_e32 v0, 0x100, v0
	global_store_byte v2, v1, s[28:29]
	s_or_b64 exec, exec, s[2:3]
	v_cmp_gt_i32_e32 vcc, s33, v0
	s_and_saveexec_b64 s[2:3], vcc
	s_cbranch_execz .LBB50_49
.LBB50_66:
	s_xor_b64 s[4:5], s[0:1], s[38:39]
	v_cndmask_b32_e64 v1, 0, 1, s[4:5]
	v_add_u32_e32 v2, s26, v0
	v_add_u32_e32 v0, 0x100, v0
	global_store_byte v2, v1, s[28:29]
	s_or_b64 exec, exec, s[2:3]
	v_cmp_gt_i32_e32 vcc, s33, v0
	s_and_saveexec_b64 s[2:3], vcc
	s_cbranch_execz .LBB50_50
.LBB50_67:
	s_xor_b64 s[4:5], s[0:1], s[44:45]
	v_cndmask_b32_e64 v1, 0, 1, s[4:5]
	v_add_u32_e32 v2, s26, v0
	v_add_u32_e32 v0, 0x100, v0
	global_store_byte v2, v1, s[28:29]
	s_or_b64 exec, exec, s[2:3]
	v_cmp_gt_i32_e32 vcc, s33, v0
	s_and_saveexec_b64 s[2:3], vcc
	s_cbranch_execnz .LBB50_51
	s_branch .LBB50_52
	.section	.rodata,"a",@progbits
	.p2align	6, 0x0
	.amdhsa_kernel _ZN2at6native29vectorized_elementwise_kernelILi4ENS0_13BinaryFunctorIllbNS0_12_GLOBAL__N_116CompareEqFunctorIlEEEESt5arrayIPcLm3EEEEviT0_T1_
		.amdhsa_group_segment_fixed_size 0
		.amdhsa_private_segment_fixed_size 0
		.amdhsa_kernarg_size 32
		.amdhsa_user_sgpr_count 6
		.amdhsa_user_sgpr_private_segment_buffer 1
		.amdhsa_user_sgpr_dispatch_ptr 0
		.amdhsa_user_sgpr_queue_ptr 0
		.amdhsa_user_sgpr_kernarg_segment_ptr 1
		.amdhsa_user_sgpr_dispatch_id 0
		.amdhsa_user_sgpr_flat_scratch_init 0
		.amdhsa_user_sgpr_private_segment_size 0
		.amdhsa_uses_dynamic_stack 0
		.amdhsa_system_sgpr_private_segment_wavefront_offset 0
		.amdhsa_system_sgpr_workgroup_id_x 1
		.amdhsa_system_sgpr_workgroup_id_y 0
		.amdhsa_system_sgpr_workgroup_id_z 0
		.amdhsa_system_sgpr_workgroup_info 0
		.amdhsa_system_vgpr_workitem_id 0
		.amdhsa_next_free_vgpr 25
		.amdhsa_next_free_sgpr 48
		.amdhsa_reserve_vcc 1
		.amdhsa_reserve_flat_scratch 0
		.amdhsa_float_round_mode_32 0
		.amdhsa_float_round_mode_16_64 0
		.amdhsa_float_denorm_mode_32 3
		.amdhsa_float_denorm_mode_16_64 3
		.amdhsa_dx10_clamp 1
		.amdhsa_ieee_mode 1
		.amdhsa_fp16_overflow 0
		.amdhsa_exception_fp_ieee_invalid_op 0
		.amdhsa_exception_fp_denorm_src 0
		.amdhsa_exception_fp_ieee_div_zero 0
		.amdhsa_exception_fp_ieee_overflow 0
		.amdhsa_exception_fp_ieee_underflow 0
		.amdhsa_exception_fp_ieee_inexact 0
		.amdhsa_exception_int_div_zero 0
	.end_amdhsa_kernel
	.section	.text._ZN2at6native29vectorized_elementwise_kernelILi4ENS0_13BinaryFunctorIllbNS0_12_GLOBAL__N_116CompareEqFunctorIlEEEESt5arrayIPcLm3EEEEviT0_T1_,"axG",@progbits,_ZN2at6native29vectorized_elementwise_kernelILi4ENS0_13BinaryFunctorIllbNS0_12_GLOBAL__N_116CompareEqFunctorIlEEEESt5arrayIPcLm3EEEEviT0_T1_,comdat
.Lfunc_end50:
	.size	_ZN2at6native29vectorized_elementwise_kernelILi4ENS0_13BinaryFunctorIllbNS0_12_GLOBAL__N_116CompareEqFunctorIlEEEESt5arrayIPcLm3EEEEviT0_T1_, .Lfunc_end50-_ZN2at6native29vectorized_elementwise_kernelILi4ENS0_13BinaryFunctorIllbNS0_12_GLOBAL__N_116CompareEqFunctorIlEEEESt5arrayIPcLm3EEEEviT0_T1_
                                        ; -- End function
	.set _ZN2at6native29vectorized_elementwise_kernelILi4ENS0_13BinaryFunctorIllbNS0_12_GLOBAL__N_116CompareEqFunctorIlEEEESt5arrayIPcLm3EEEEviT0_T1_.num_vgpr, 25
	.set _ZN2at6native29vectorized_elementwise_kernelILi4ENS0_13BinaryFunctorIllbNS0_12_GLOBAL__N_116CompareEqFunctorIlEEEESt5arrayIPcLm3EEEEviT0_T1_.num_agpr, 0
	.set _ZN2at6native29vectorized_elementwise_kernelILi4ENS0_13BinaryFunctorIllbNS0_12_GLOBAL__N_116CompareEqFunctorIlEEEESt5arrayIPcLm3EEEEviT0_T1_.numbered_sgpr, 48
	.set _ZN2at6native29vectorized_elementwise_kernelILi4ENS0_13BinaryFunctorIllbNS0_12_GLOBAL__N_116CompareEqFunctorIlEEEESt5arrayIPcLm3EEEEviT0_T1_.num_named_barrier, 0
	.set _ZN2at6native29vectorized_elementwise_kernelILi4ENS0_13BinaryFunctorIllbNS0_12_GLOBAL__N_116CompareEqFunctorIlEEEESt5arrayIPcLm3EEEEviT0_T1_.private_seg_size, 0
	.set _ZN2at6native29vectorized_elementwise_kernelILi4ENS0_13BinaryFunctorIllbNS0_12_GLOBAL__N_116CompareEqFunctorIlEEEESt5arrayIPcLm3EEEEviT0_T1_.uses_vcc, 1
	.set _ZN2at6native29vectorized_elementwise_kernelILi4ENS0_13BinaryFunctorIllbNS0_12_GLOBAL__N_116CompareEqFunctorIlEEEESt5arrayIPcLm3EEEEviT0_T1_.uses_flat_scratch, 0
	.set _ZN2at6native29vectorized_elementwise_kernelILi4ENS0_13BinaryFunctorIllbNS0_12_GLOBAL__N_116CompareEqFunctorIlEEEESt5arrayIPcLm3EEEEviT0_T1_.has_dyn_sized_stack, 0
	.set _ZN2at6native29vectorized_elementwise_kernelILi4ENS0_13BinaryFunctorIllbNS0_12_GLOBAL__N_116CompareEqFunctorIlEEEESt5arrayIPcLm3EEEEviT0_T1_.has_recursion, 0
	.set _ZN2at6native29vectorized_elementwise_kernelILi4ENS0_13BinaryFunctorIllbNS0_12_GLOBAL__N_116CompareEqFunctorIlEEEESt5arrayIPcLm3EEEEviT0_T1_.has_indirect_call, 0
	.section	.AMDGPU.csdata,"",@progbits
; Kernel info:
; codeLenInByte = 3692
; TotalNumSgprs: 52
; NumVgprs: 25
; ScratchSize: 0
; MemoryBound: 0
; FloatMode: 240
; IeeeMode: 1
; LDSByteSize: 0 bytes/workgroup (compile time only)
; SGPRBlocks: 6
; VGPRBlocks: 6
; NumSGPRsForWavesPerEU: 52
; NumVGPRsForWavesPerEU: 25
; Occupancy: 9
; WaveLimiterHint : 1
; COMPUTE_PGM_RSRC2:SCRATCH_EN: 0
; COMPUTE_PGM_RSRC2:USER_SGPR: 6
; COMPUTE_PGM_RSRC2:TRAP_HANDLER: 0
; COMPUTE_PGM_RSRC2:TGID_X_EN: 1
; COMPUTE_PGM_RSRC2:TGID_Y_EN: 0
; COMPUTE_PGM_RSRC2:TGID_Z_EN: 0
; COMPUTE_PGM_RSRC2:TIDIG_COMP_CNT: 0
	.section	.text._ZN2at6native29vectorized_elementwise_kernelILi2ENS0_13BinaryFunctorIllbNS0_12_GLOBAL__N_116CompareEqFunctorIlEEEESt5arrayIPcLm3EEEEviT0_T1_,"axG",@progbits,_ZN2at6native29vectorized_elementwise_kernelILi2ENS0_13BinaryFunctorIllbNS0_12_GLOBAL__N_116CompareEqFunctorIlEEEESt5arrayIPcLm3EEEEviT0_T1_,comdat
	.globl	_ZN2at6native29vectorized_elementwise_kernelILi2ENS0_13BinaryFunctorIllbNS0_12_GLOBAL__N_116CompareEqFunctorIlEEEESt5arrayIPcLm3EEEEviT0_T1_ ; -- Begin function _ZN2at6native29vectorized_elementwise_kernelILi2ENS0_13BinaryFunctorIllbNS0_12_GLOBAL__N_116CompareEqFunctorIlEEEESt5arrayIPcLm3EEEEviT0_T1_
	.p2align	8
	.type	_ZN2at6native29vectorized_elementwise_kernelILi2ENS0_13BinaryFunctorIllbNS0_12_GLOBAL__N_116CompareEqFunctorIlEEEESt5arrayIPcLm3EEEEviT0_T1_,@function
_ZN2at6native29vectorized_elementwise_kernelILi2ENS0_13BinaryFunctorIllbNS0_12_GLOBAL__N_116CompareEqFunctorIlEEEESt5arrayIPcLm3EEEEviT0_T1_: ; @_ZN2at6native29vectorized_elementwise_kernelILi2ENS0_13BinaryFunctorIllbNS0_12_GLOBAL__N_116CompareEqFunctorIlEEEESt5arrayIPcLm3EEEEviT0_T1_
; %bb.0:
	s_load_dwordx2 s[34:35], s[4:5], 0x0
	s_load_dwordx4 s[36:39], s[4:5], 0x8
	s_load_dwordx2 s[40:41], s[4:5], 0x18
	s_lshl_b32 s30, s6, 12
	s_mov_b64 s[0:1], -1
	s_waitcnt lgkmcnt(0)
	s_sub_i32 s33, s34, s30
	s_cmpk_gt_i32 s33, 0xfff
	s_cbranch_scc0 .LBB51_2
; %bb.1:
	s_ashr_i32 s31, s30, 31
	s_lshl_b64 s[2:3], s[30:31], 3
	s_add_u32 s0, s38, s2
	s_addc_u32 s1, s39, s3
	v_lshlrev_b32_e32 v10, 4, v0
	s_add_u32 s8, s40, s2
	s_addc_u32 s9, s41, s3
	global_load_dwordx4 v[1:4], v10, s[0:1]
	global_load_dwordx4 v[5:8], v10, s[8:9]
	v_add_co_u32_e64 v12, s[4:5], s0, v10
	v_mov_b32_e32 v11, s1
	v_add_co_u32_e32 v9, vcc, 0x1000, v12
	s_mov_b64 s[6:7], vcc
	v_addc_co_u32_e64 v24, vcc, 0, v11, s[4:5]
	v_add_co_u32_e32 v11, vcc, 0x2000, v12
	s_mov_b64 s[12:13], vcc
	v_add_co_u32_e64 v25, s[4:5], s8, v10
	v_addc_co_u32_e64 v10, vcc, 0, v24, s[6:7]
	v_add_co_u32_e32 v13, vcc, 0x3000, v12
	s_mov_b64 s[6:7], vcc
	s_movk_i32 s10, 0x2000
	s_movk_i32 s26, 0x6000
	;; [unrolled: 1-line block ×3, first 2 shown]
	s_cmp_eq_u32 s35, 0
	s_waitcnt vmcnt(0)
	v_cmp_ne_u64_e64 s[0:1], v[1:2], v[5:6]
	v_mov_b32_e32 v1, s9
	v_addc_co_u32_e64 v26, vcc, 0, v1, s[4:5]
	v_add_co_u32_e32 v15, vcc, 0x4000, v12
	s_mov_b64 s[14:15], vcc
	v_add_co_u32_e32 v17, vcc, 0x5000, v12
	s_mov_b64 s[20:21], vcc
	;; [unrolled: 2-line block ×4, first 2 shown]
	v_add_co_u32_e32 v22, vcc, s10, v25
	v_cmp_ne_u64_e64 s[2:3], v[3:4], v[7:8]
	v_addc_co_u32_e32 v23, vcc, 0, v26, vcc
	global_load_dwordx4 v[1:4], v[9:10], off
	global_load_dwordx4 v[5:8], v[22:23], off offset:-4096
	v_addc_co_u32_e64 v12, vcc, 0, v24, s[12:13]
	s_movk_i32 s12, 0x4000
	v_addc_co_u32_e64 v14, vcc, 0, v24, s[6:7]
	v_add_co_u32_e32 v9, vcc, s12, v25
	v_addc_co_u32_e32 v10, vcc, 0, v26, vcc
	v_addc_co_u32_e64 v16, vcc, 0, v24, s[14:15]
	v_addc_co_u32_e64 v18, vcc, 0, v24, s[20:21]
	s_waitcnt vmcnt(0)
	v_cmp_ne_u64_e64 s[8:9], v[1:2], v[5:6]
	v_cmp_ne_u64_e64 s[10:11], v[3:4], v[7:8]
	global_load_dwordx4 v[1:4], v[11:12], off
	global_load_dwordx4 v[5:8], v[22:23], off
	s_waitcnt vmcnt(0)
	v_cmp_ne_u64_e64 s[16:17], v[1:2], v[5:6]
	v_cmp_ne_u64_e64 s[18:19], v[3:4], v[7:8]
	global_load_dwordx4 v[1:4], v[13:14], off
	global_load_dwordx4 v[5:8], v[9:10], off offset:-4096
	s_waitcnt vmcnt(0)
	v_cmp_ne_u64_e64 s[24:25], v[1:2], v[5:6]
	v_cmp_ne_u64_e64 s[6:7], v[3:4], v[7:8]
	global_load_dwordx4 v[1:4], v[15:16], off
	global_load_dwordx4 v[5:8], v[9:10], off
	v_add_co_u32_e32 v9, vcc, s26, v25
	v_addc_co_u32_e32 v10, vcc, 0, v26, vcc
	v_addc_co_u32_e64 v20, vcc, 0, v24, s[22:23]
	s_waitcnt vmcnt(0)
	v_cmp_ne_u64_e64 s[12:13], v[1:2], v[5:6]
	v_cmp_ne_u64_e64 s[14:15], v[3:4], v[7:8]
	global_load_dwordx4 v[1:4], v[17:18], off
	global_load_dwordx4 v[5:8], v[9:10], off offset:-4096
	s_waitcnt vmcnt(0)
	v_cmp_ne_u64_e64 s[20:21], v[1:2], v[5:6]
	v_cmp_ne_u64_e64 s[26:27], v[3:4], v[7:8]
	global_load_dwordx4 v[1:4], v[19:20], off
	global_load_dwordx4 v[5:8], v[9:10], off
	v_mov_b32_e32 v9, 0x100
	s_waitcnt vmcnt(0)
	v_cmp_ne_u64_e64 s[22:23], v[1:2], v[5:6]
	v_add_co_u32_e32 v1, vcc, s34, v25
	v_addc_co_u32_e32 v2, vcc, 0, v26, vcc
	v_addc_co_u32_e64 v22, vcc, 0, v24, s[4:5]
	s_cselect_b64 s[4:5], -1, 0
	s_xor_b64 s[0:1], s[4:5], s[0:1]
	s_xor_b64 vcc, s[4:5], s[2:3]
	v_cndmask_b32_e64 v5, 0, 1, s[0:1]
	v_cndmask_b32_e32 v6, 0, v9, vcc
	s_xor_b64 s[0:1], s[4:5], s[8:9]
	s_xor_b64 vcc, s[4:5], s[10:11]
	v_or_b32_e32 v10, v6, v5
	v_cndmask_b32_e64 v5, 0, 1, s[0:1]
	v_cndmask_b32_e32 v6, 0, v9, vcc
	s_xor_b64 s[0:1], s[4:5], s[16:17]
	s_xor_b64 vcc, s[4:5], s[18:19]
	v_or_b32_e32 v11, v6, v5
	v_cndmask_b32_e64 v5, 0, 1, s[0:1]
	v_cndmask_b32_e32 v6, 0, v9, vcc
	v_cmp_ne_u64_e64 s[28:29], v[3:4], v[7:8]
	global_load_dwordx4 v[1:4], v[1:2], off
	v_or_b32_e32 v12, v6, v5
	global_load_dwordx4 v[5:8], v[21:22], off
	s_xor_b64 s[2:3], s[4:5], s[24:25]
	s_waitcnt vmcnt(0)
	v_cmp_ne_u64_e32 vcc, v[5:6], v[1:2]
	v_cndmask_b32_e64 v1, 0, 1, s[2:3]
	s_xor_b64 s[2:3], s[4:5], s[6:7]
	v_cndmask_b32_e64 v2, 0, v9, s[2:3]
	s_xor_b64 s[2:3], s[4:5], s[12:13]
	v_or_b32_e32 v1, v2, v1
	v_cndmask_b32_e64 v2, 0, 1, s[2:3]
	s_xor_b64 s[2:3], s[4:5], s[14:15]
	v_cmp_ne_u64_e64 s[0:1], v[7:8], v[3:4]
	v_cndmask_b32_e64 v3, 0, v9, s[2:3]
	s_xor_b64 s[2:3], s[4:5], s[20:21]
	v_or_b32_e32 v2, v3, v2
	v_cndmask_b32_e64 v3, 0, 1, s[2:3]
	s_xor_b64 s[2:3], s[4:5], s[26:27]
	v_cndmask_b32_e64 v4, 0, v9, s[2:3]
	s_xor_b64 s[2:3], s[4:5], s[22:23]
	v_or_b32_e32 v3, v4, v3
	v_cndmask_b32_e64 v4, 0, 1, s[2:3]
	s_xor_b64 s[2:3], s[4:5], s[28:29]
	v_cndmask_b32_e64 v5, 0, v9, s[2:3]
	s_xor_b64 s[2:3], s[4:5], vcc
	s_xor_b64 vcc, s[4:5], s[0:1]
	v_or_b32_e32 v4, v5, v4
	v_cndmask_b32_e64 v5, 0, 1, s[2:3]
	v_cndmask_b32_e32 v6, 0, v9, vcc
	s_add_u32 s0, s36, s30
	v_or_b32_e32 v5, v6, v5
	s_addc_u32 s1, s37, s31
	v_lshlrev_b32_e32 v6, 1, v0
	global_store_short v6, v10, s[0:1]
	global_store_short v6, v11, s[0:1] offset:512
	global_store_short v6, v12, s[0:1] offset:1024
	;; [unrolled: 1-line block ×7, first 2 shown]
	s_mov_b64 s[0:1], 0
.LBB51_2:
	s_andn2_b64 vcc, exec, s[0:1]
	s_cbranch_vccnz .LBB51_52
; %bb.3:
	v_cmp_gt_i32_e32 vcc, s33, v0
	s_mov_b64 s[2:3], 0
	v_or_b32_e32 v1, s30, v0
	s_mov_b64 s[4:5], 0
	v_mov_b32_e32 v2, v0
	s_and_saveexec_b64 s[6:7], vcc
	s_cbranch_execz .LBB51_5
; %bb.4:
	v_mov_b32_e32 v2, 0
	v_lshlrev_b64 v[2:3], 3, v[1:2]
	v_mov_b32_e32 v5, s41
	v_add_co_u32_e64 v4, s[0:1], s40, v2
	v_addc_co_u32_e64 v5, s[0:1], v5, v3, s[0:1]
	v_mov_b32_e32 v6, s39
	v_add_co_u32_e64 v2, s[0:1], s38, v2
	v_addc_co_u32_e64 v3, s[0:1], v6, v3, s[0:1]
	global_load_dwordx2 v[6:7], v[2:3], off
	global_load_dwordx2 v[8:9], v[4:5], off
	v_or_b32_e32 v2, 0x100, v0
	s_waitcnt vmcnt(0)
	v_cmp_ne_u64_e64 s[0:1], v[6:7], v[8:9]
	s_and_b64 s[4:5], s[0:1], exec
.LBB51_5:
	s_or_b64 exec, exec, s[6:7]
	v_cmp_gt_i32_e64 s[0:1], s33, v2
	s_and_saveexec_b64 s[6:7], s[0:1]
	s_cbranch_execz .LBB51_7
; %bb.6:
	v_add_u32_e32 v3, s30, v2
	v_mov_b32_e32 v4, 0
	v_lshlrev_b64 v[3:4], 3, v[3:4]
	v_mov_b32_e32 v6, s41
	v_add_co_u32_e64 v5, s[0:1], s40, v3
	v_addc_co_u32_e64 v6, s[0:1], v6, v4, s[0:1]
	v_mov_b32_e32 v7, s39
	v_add_co_u32_e64 v3, s[0:1], s38, v3
	v_addc_co_u32_e64 v4, s[0:1], v7, v4, s[0:1]
	global_load_dwordx2 v[7:8], v[3:4], off
	global_load_dwordx2 v[9:10], v[5:6], off
	v_add_u32_e32 v2, 0x100, v2
	s_waitcnt vmcnt(0)
	v_cmp_ne_u64_e64 s[0:1], v[7:8], v[9:10]
	s_and_b64 s[2:3], s[0:1], exec
.LBB51_7:
	s_or_b64 exec, exec, s[6:7]
	v_cmp_gt_i32_e64 s[0:1], s33, v2
	s_mov_b64 s[6:7], 0
	s_mov_b64 s[8:9], 0
	s_and_saveexec_b64 s[10:11], s[0:1]
	s_cbranch_execz .LBB51_9
; %bb.8:
	v_add_u32_e32 v3, s30, v2
	v_mov_b32_e32 v4, 0
	v_lshlrev_b64 v[3:4], 3, v[3:4]
	v_mov_b32_e32 v6, s41
	v_add_co_u32_e64 v5, s[0:1], s40, v3
	v_addc_co_u32_e64 v6, s[0:1], v6, v4, s[0:1]
	v_mov_b32_e32 v7, s39
	v_add_co_u32_e64 v3, s[0:1], s38, v3
	v_addc_co_u32_e64 v4, s[0:1], v7, v4, s[0:1]
	global_load_dwordx2 v[7:8], v[3:4], off
	global_load_dwordx2 v[9:10], v[5:6], off
	v_add_u32_e32 v2, 0x100, v2
	s_waitcnt vmcnt(0)
	v_cmp_ne_u64_e64 s[0:1], v[7:8], v[9:10]
	s_and_b64 s[8:9], s[0:1], exec
.LBB51_9:
	s_or_b64 exec, exec, s[10:11]
	v_cmp_gt_i32_e64 s[0:1], s33, v2
	s_and_saveexec_b64 s[10:11], s[0:1]
	s_cbranch_execz .LBB51_11
; %bb.10:
	v_add_u32_e32 v3, s30, v2
	v_mov_b32_e32 v4, 0
	v_lshlrev_b64 v[3:4], 3, v[3:4]
	v_mov_b32_e32 v6, s41
	v_add_co_u32_e64 v5, s[0:1], s40, v3
	v_addc_co_u32_e64 v6, s[0:1], v6, v4, s[0:1]
	v_mov_b32_e32 v7, s39
	v_add_co_u32_e64 v3, s[0:1], s38, v3
	v_addc_co_u32_e64 v4, s[0:1], v7, v4, s[0:1]
	global_load_dwordx2 v[7:8], v[3:4], off
	global_load_dwordx2 v[9:10], v[5:6], off
	v_add_u32_e32 v2, 0x100, v2
	s_waitcnt vmcnt(0)
	v_cmp_ne_u64_e64 s[0:1], v[7:8], v[9:10]
	s_and_b64 s[6:7], s[0:1], exec
.LBB51_11:
	s_or_b64 exec, exec, s[10:11]
	v_cmp_gt_i32_e64 s[0:1], s33, v2
	s_mov_b64 s[10:11], 0
	s_mov_b64 s[12:13], 0
	s_and_saveexec_b64 s[14:15], s[0:1]
	s_cbranch_execz .LBB51_13
; %bb.12:
	v_add_u32_e32 v3, s30, v2
	v_mov_b32_e32 v4, 0
	v_lshlrev_b64 v[3:4], 3, v[3:4]
	v_mov_b32_e32 v6, s41
	v_add_co_u32_e64 v5, s[0:1], s40, v3
	v_addc_co_u32_e64 v6, s[0:1], v6, v4, s[0:1]
	v_mov_b32_e32 v7, s39
	v_add_co_u32_e64 v3, s[0:1], s38, v3
	v_addc_co_u32_e64 v4, s[0:1], v7, v4, s[0:1]
	global_load_dwordx2 v[7:8], v[3:4], off
	global_load_dwordx2 v[9:10], v[5:6], off
	v_add_u32_e32 v2, 0x100, v2
	s_waitcnt vmcnt(0)
	v_cmp_ne_u64_e64 s[0:1], v[7:8], v[9:10]
	s_and_b64 s[12:13], s[0:1], exec
.LBB51_13:
	;; [unrolled: 44-line block ×7, first 2 shown]
	s_or_b64 exec, exec, s[46:47]
	v_cmp_gt_i32_e64 s[0:1], s33, v2
	s_and_saveexec_b64 s[46:47], s[0:1]
	s_cbranch_execz .LBB51_35
; %bb.34:
	v_add_u32_e32 v2, s30, v2
	v_mov_b32_e32 v3, 0
	v_lshlrev_b64 v[2:3], 3, v[2:3]
	v_mov_b32_e32 v5, s41
	v_add_co_u32_e64 v4, s[0:1], s40, v2
	v_addc_co_u32_e64 v5, s[0:1], v5, v3, s[0:1]
	v_mov_b32_e32 v6, s39
	v_add_co_u32_e64 v2, s[0:1], s38, v2
	v_addc_co_u32_e64 v3, s[0:1], v6, v3, s[0:1]
	global_load_dwordx2 v[6:7], v[2:3], off
	global_load_dwordx2 v[8:9], v[4:5], off
	s_waitcnt vmcnt(0)
	v_cmp_ne_u64_e64 s[0:1], v[6:7], v[8:9]
	s_and_b64 s[42:43], s[0:1], exec
.LBB51_35:
	s_or_b64 exec, exec, s[46:47]
	s_cmp_eq_u32 s35, 0
	s_cselect_b64 s[0:1], -1, 0
	s_and_saveexec_b64 s[34:35], vcc
	s_cbranch_execnz .LBB51_53
; %bb.36:
	s_or_b64 exec, exec, s[34:35]
	v_cmp_gt_i32_e32 vcc, s33, v0
	s_and_saveexec_b64 s[4:5], vcc
	s_cbranch_execnz .LBB51_54
.LBB51_37:
	s_or_b64 exec, exec, s[4:5]
	v_cmp_gt_i32_e32 vcc, s33, v0
	s_and_saveexec_b64 s[2:3], vcc
	s_cbranch_execnz .LBB51_55
.LBB51_38:
	s_or_b64 exec, exec, s[2:3]
	v_cmp_gt_i32_e32 vcc, s33, v0
	s_and_saveexec_b64 s[2:3], vcc
	s_cbranch_execnz .LBB51_56
.LBB51_39:
	s_or_b64 exec, exec, s[2:3]
	v_cmp_gt_i32_e32 vcc, s33, v0
	s_and_saveexec_b64 s[2:3], vcc
	s_cbranch_execnz .LBB51_57
.LBB51_40:
	s_or_b64 exec, exec, s[2:3]
	v_cmp_gt_i32_e32 vcc, s33, v0
	s_and_saveexec_b64 s[2:3], vcc
	s_cbranch_execnz .LBB51_58
.LBB51_41:
	s_or_b64 exec, exec, s[2:3]
	v_cmp_gt_i32_e32 vcc, s33, v0
	s_and_saveexec_b64 s[2:3], vcc
	s_cbranch_execnz .LBB51_59
.LBB51_42:
	s_or_b64 exec, exec, s[2:3]
	v_cmp_gt_i32_e32 vcc, s33, v0
	s_and_saveexec_b64 s[2:3], vcc
	s_cbranch_execnz .LBB51_60
.LBB51_43:
	s_or_b64 exec, exec, s[2:3]
	v_cmp_gt_i32_e32 vcc, s33, v0
	s_and_saveexec_b64 s[2:3], vcc
	s_cbranch_execnz .LBB51_61
.LBB51_44:
	s_or_b64 exec, exec, s[2:3]
	v_cmp_gt_i32_e32 vcc, s33, v0
	s_and_saveexec_b64 s[2:3], vcc
	s_cbranch_execnz .LBB51_62
.LBB51_45:
	s_or_b64 exec, exec, s[2:3]
	v_cmp_gt_i32_e32 vcc, s33, v0
	s_and_saveexec_b64 s[2:3], vcc
	s_cbranch_execnz .LBB51_63
.LBB51_46:
	s_or_b64 exec, exec, s[2:3]
	v_cmp_gt_i32_e32 vcc, s33, v0
	s_and_saveexec_b64 s[2:3], vcc
	s_cbranch_execnz .LBB51_64
.LBB51_47:
	s_or_b64 exec, exec, s[2:3]
	v_cmp_gt_i32_e32 vcc, s33, v0
	s_and_saveexec_b64 s[2:3], vcc
	s_cbranch_execnz .LBB51_65
.LBB51_48:
	s_or_b64 exec, exec, s[2:3]
	v_cmp_gt_i32_e32 vcc, s33, v0
	s_and_saveexec_b64 s[2:3], vcc
	s_cbranch_execnz .LBB51_66
.LBB51_49:
	s_or_b64 exec, exec, s[2:3]
	v_cmp_gt_i32_e32 vcc, s33, v0
	s_and_saveexec_b64 s[2:3], vcc
	s_cbranch_execnz .LBB51_67
.LBB51_50:
	s_or_b64 exec, exec, s[2:3]
	v_cmp_gt_i32_e32 vcc, s33, v0
	s_and_saveexec_b64 s[2:3], vcc
	s_cbranch_execz .LBB51_52
.LBB51_51:
	s_xor_b64 s[0:1], s[0:1], s[42:43]
	v_cndmask_b32_e64 v1, 0, 1, s[0:1]
	v_add_u32_e32 v0, s30, v0
	global_store_byte v0, v1, s[36:37]
.LBB51_52:
	s_endpgm
.LBB51_53:
	s_xor_b64 s[4:5], s[0:1], s[4:5]
	v_or_b32_e32 v0, 0x100, v0
	v_cndmask_b32_e64 v2, 0, 1, s[4:5]
	global_store_byte v1, v2, s[36:37]
	s_or_b64 exec, exec, s[34:35]
	v_cmp_gt_i32_e32 vcc, s33, v0
	s_and_saveexec_b64 s[4:5], vcc
	s_cbranch_execz .LBB51_37
.LBB51_54:
	s_xor_b64 s[2:3], s[0:1], s[2:3]
	v_cndmask_b32_e64 v1, 0, 1, s[2:3]
	v_add_u32_e32 v2, s30, v0
	v_add_u32_e32 v0, 0x100, v0
	global_store_byte v2, v1, s[36:37]
	s_or_b64 exec, exec, s[4:5]
	v_cmp_gt_i32_e32 vcc, s33, v0
	s_and_saveexec_b64 s[2:3], vcc
	s_cbranch_execz .LBB51_38
.LBB51_55:
	s_xor_b64 s[4:5], s[0:1], s[8:9]
	v_cndmask_b32_e64 v1, 0, 1, s[4:5]
	v_add_u32_e32 v2, s30, v0
	v_add_u32_e32 v0, 0x100, v0
	global_store_byte v2, v1, s[36:37]
	s_or_b64 exec, exec, s[2:3]
	v_cmp_gt_i32_e32 vcc, s33, v0
	s_and_saveexec_b64 s[2:3], vcc
	s_cbranch_execz .LBB51_39
.LBB51_56:
	s_xor_b64 s[4:5], s[0:1], s[6:7]
	v_cndmask_b32_e64 v1, 0, 1, s[4:5]
	v_add_u32_e32 v2, s30, v0
	v_add_u32_e32 v0, 0x100, v0
	global_store_byte v2, v1, s[36:37]
	s_or_b64 exec, exec, s[2:3]
	v_cmp_gt_i32_e32 vcc, s33, v0
	s_and_saveexec_b64 s[2:3], vcc
	s_cbranch_execz .LBB51_40
.LBB51_57:
	s_xor_b64 s[4:5], s[0:1], s[12:13]
	v_cndmask_b32_e64 v1, 0, 1, s[4:5]
	v_add_u32_e32 v2, s30, v0
	v_add_u32_e32 v0, 0x100, v0
	global_store_byte v2, v1, s[36:37]
	s_or_b64 exec, exec, s[2:3]
	v_cmp_gt_i32_e32 vcc, s33, v0
	s_and_saveexec_b64 s[2:3], vcc
	s_cbranch_execz .LBB51_41
.LBB51_58:
	s_xor_b64 s[4:5], s[0:1], s[10:11]
	v_cndmask_b32_e64 v1, 0, 1, s[4:5]
	v_add_u32_e32 v2, s30, v0
	v_add_u32_e32 v0, 0x100, v0
	global_store_byte v2, v1, s[36:37]
	s_or_b64 exec, exec, s[2:3]
	v_cmp_gt_i32_e32 vcc, s33, v0
	s_and_saveexec_b64 s[2:3], vcc
	s_cbranch_execz .LBB51_42
.LBB51_59:
	s_xor_b64 s[4:5], s[0:1], s[16:17]
	v_cndmask_b32_e64 v1, 0, 1, s[4:5]
	v_add_u32_e32 v2, s30, v0
	v_add_u32_e32 v0, 0x100, v0
	global_store_byte v2, v1, s[36:37]
	s_or_b64 exec, exec, s[2:3]
	v_cmp_gt_i32_e32 vcc, s33, v0
	s_and_saveexec_b64 s[2:3], vcc
	s_cbranch_execz .LBB51_43
.LBB51_60:
	s_xor_b64 s[4:5], s[0:1], s[14:15]
	v_cndmask_b32_e64 v1, 0, 1, s[4:5]
	v_add_u32_e32 v2, s30, v0
	v_add_u32_e32 v0, 0x100, v0
	global_store_byte v2, v1, s[36:37]
	s_or_b64 exec, exec, s[2:3]
	v_cmp_gt_i32_e32 vcc, s33, v0
	s_and_saveexec_b64 s[2:3], vcc
	s_cbranch_execz .LBB51_44
.LBB51_61:
	s_xor_b64 s[4:5], s[0:1], s[20:21]
	v_cndmask_b32_e64 v1, 0, 1, s[4:5]
	v_add_u32_e32 v2, s30, v0
	v_add_u32_e32 v0, 0x100, v0
	global_store_byte v2, v1, s[36:37]
	s_or_b64 exec, exec, s[2:3]
	v_cmp_gt_i32_e32 vcc, s33, v0
	s_and_saveexec_b64 s[2:3], vcc
	s_cbranch_execz .LBB51_45
.LBB51_62:
	s_xor_b64 s[4:5], s[0:1], s[18:19]
	v_cndmask_b32_e64 v1, 0, 1, s[4:5]
	v_add_u32_e32 v2, s30, v0
	v_add_u32_e32 v0, 0x100, v0
	global_store_byte v2, v1, s[36:37]
	s_or_b64 exec, exec, s[2:3]
	v_cmp_gt_i32_e32 vcc, s33, v0
	s_and_saveexec_b64 s[2:3], vcc
	s_cbranch_execz .LBB51_46
.LBB51_63:
	s_xor_b64 s[4:5], s[0:1], s[24:25]
	v_cndmask_b32_e64 v1, 0, 1, s[4:5]
	v_add_u32_e32 v2, s30, v0
	v_add_u32_e32 v0, 0x100, v0
	global_store_byte v2, v1, s[36:37]
	s_or_b64 exec, exec, s[2:3]
	v_cmp_gt_i32_e32 vcc, s33, v0
	s_and_saveexec_b64 s[2:3], vcc
	s_cbranch_execz .LBB51_47
.LBB51_64:
	s_xor_b64 s[4:5], s[0:1], s[22:23]
	v_cndmask_b32_e64 v1, 0, 1, s[4:5]
	v_add_u32_e32 v2, s30, v0
	v_add_u32_e32 v0, 0x100, v0
	global_store_byte v2, v1, s[36:37]
	s_or_b64 exec, exec, s[2:3]
	v_cmp_gt_i32_e32 vcc, s33, v0
	s_and_saveexec_b64 s[2:3], vcc
	s_cbranch_execz .LBB51_48
.LBB51_65:
	s_xor_b64 s[4:5], s[0:1], s[28:29]
	v_cndmask_b32_e64 v1, 0, 1, s[4:5]
	v_add_u32_e32 v2, s30, v0
	v_add_u32_e32 v0, 0x100, v0
	global_store_byte v2, v1, s[36:37]
	s_or_b64 exec, exec, s[2:3]
	v_cmp_gt_i32_e32 vcc, s33, v0
	s_and_saveexec_b64 s[2:3], vcc
	s_cbranch_execz .LBB51_49
.LBB51_66:
	s_xor_b64 s[4:5], s[0:1], s[26:27]
	v_cndmask_b32_e64 v1, 0, 1, s[4:5]
	v_add_u32_e32 v2, s30, v0
	v_add_u32_e32 v0, 0x100, v0
	global_store_byte v2, v1, s[36:37]
	s_or_b64 exec, exec, s[2:3]
	v_cmp_gt_i32_e32 vcc, s33, v0
	s_and_saveexec_b64 s[2:3], vcc
	s_cbranch_execz .LBB51_50
.LBB51_67:
	s_xor_b64 s[4:5], s[0:1], s[44:45]
	v_cndmask_b32_e64 v1, 0, 1, s[4:5]
	v_add_u32_e32 v2, s30, v0
	v_add_u32_e32 v0, 0x100, v0
	global_store_byte v2, v1, s[36:37]
	s_or_b64 exec, exec, s[2:3]
	v_cmp_gt_i32_e32 vcc, s33, v0
	s_and_saveexec_b64 s[2:3], vcc
	s_cbranch_execnz .LBB51_51
	s_branch .LBB51_52
	.section	.rodata,"a",@progbits
	.p2align	6, 0x0
	.amdhsa_kernel _ZN2at6native29vectorized_elementwise_kernelILi2ENS0_13BinaryFunctorIllbNS0_12_GLOBAL__N_116CompareEqFunctorIlEEEESt5arrayIPcLm3EEEEviT0_T1_
		.amdhsa_group_segment_fixed_size 0
		.amdhsa_private_segment_fixed_size 0
		.amdhsa_kernarg_size 32
		.amdhsa_user_sgpr_count 6
		.amdhsa_user_sgpr_private_segment_buffer 1
		.amdhsa_user_sgpr_dispatch_ptr 0
		.amdhsa_user_sgpr_queue_ptr 0
		.amdhsa_user_sgpr_kernarg_segment_ptr 1
		.amdhsa_user_sgpr_dispatch_id 0
		.amdhsa_user_sgpr_flat_scratch_init 0
		.amdhsa_user_sgpr_private_segment_size 0
		.amdhsa_uses_dynamic_stack 0
		.amdhsa_system_sgpr_private_segment_wavefront_offset 0
		.amdhsa_system_sgpr_workgroup_id_x 1
		.amdhsa_system_sgpr_workgroup_id_y 0
		.amdhsa_system_sgpr_workgroup_id_z 0
		.amdhsa_system_sgpr_workgroup_info 0
		.amdhsa_system_vgpr_workitem_id 0
		.amdhsa_next_free_vgpr 27
		.amdhsa_next_free_sgpr 48
		.amdhsa_reserve_vcc 1
		.amdhsa_reserve_flat_scratch 0
		.amdhsa_float_round_mode_32 0
		.amdhsa_float_round_mode_16_64 0
		.amdhsa_float_denorm_mode_32 3
		.amdhsa_float_denorm_mode_16_64 3
		.amdhsa_dx10_clamp 1
		.amdhsa_ieee_mode 1
		.amdhsa_fp16_overflow 0
		.amdhsa_exception_fp_ieee_invalid_op 0
		.amdhsa_exception_fp_denorm_src 0
		.amdhsa_exception_fp_ieee_div_zero 0
		.amdhsa_exception_fp_ieee_overflow 0
		.amdhsa_exception_fp_ieee_underflow 0
		.amdhsa_exception_fp_ieee_inexact 0
		.amdhsa_exception_int_div_zero 0
	.end_amdhsa_kernel
	.section	.text._ZN2at6native29vectorized_elementwise_kernelILi2ENS0_13BinaryFunctorIllbNS0_12_GLOBAL__N_116CompareEqFunctorIlEEEESt5arrayIPcLm3EEEEviT0_T1_,"axG",@progbits,_ZN2at6native29vectorized_elementwise_kernelILi2ENS0_13BinaryFunctorIllbNS0_12_GLOBAL__N_116CompareEqFunctorIlEEEESt5arrayIPcLm3EEEEviT0_T1_,comdat
.Lfunc_end51:
	.size	_ZN2at6native29vectorized_elementwise_kernelILi2ENS0_13BinaryFunctorIllbNS0_12_GLOBAL__N_116CompareEqFunctorIlEEEESt5arrayIPcLm3EEEEviT0_T1_, .Lfunc_end51-_ZN2at6native29vectorized_elementwise_kernelILi2ENS0_13BinaryFunctorIllbNS0_12_GLOBAL__N_116CompareEqFunctorIlEEEESt5arrayIPcLm3EEEEviT0_T1_
                                        ; -- End function
	.set _ZN2at6native29vectorized_elementwise_kernelILi2ENS0_13BinaryFunctorIllbNS0_12_GLOBAL__N_116CompareEqFunctorIlEEEESt5arrayIPcLm3EEEEviT0_T1_.num_vgpr, 27
	.set _ZN2at6native29vectorized_elementwise_kernelILi2ENS0_13BinaryFunctorIllbNS0_12_GLOBAL__N_116CompareEqFunctorIlEEEESt5arrayIPcLm3EEEEviT0_T1_.num_agpr, 0
	.set _ZN2at6native29vectorized_elementwise_kernelILi2ENS0_13BinaryFunctorIllbNS0_12_GLOBAL__N_116CompareEqFunctorIlEEEESt5arrayIPcLm3EEEEviT0_T1_.numbered_sgpr, 48
	.set _ZN2at6native29vectorized_elementwise_kernelILi2ENS0_13BinaryFunctorIllbNS0_12_GLOBAL__N_116CompareEqFunctorIlEEEESt5arrayIPcLm3EEEEviT0_T1_.num_named_barrier, 0
	.set _ZN2at6native29vectorized_elementwise_kernelILi2ENS0_13BinaryFunctorIllbNS0_12_GLOBAL__N_116CompareEqFunctorIlEEEESt5arrayIPcLm3EEEEviT0_T1_.private_seg_size, 0
	.set _ZN2at6native29vectorized_elementwise_kernelILi2ENS0_13BinaryFunctorIllbNS0_12_GLOBAL__N_116CompareEqFunctorIlEEEESt5arrayIPcLm3EEEEviT0_T1_.uses_vcc, 1
	.set _ZN2at6native29vectorized_elementwise_kernelILi2ENS0_13BinaryFunctorIllbNS0_12_GLOBAL__N_116CompareEqFunctorIlEEEESt5arrayIPcLm3EEEEviT0_T1_.uses_flat_scratch, 0
	.set _ZN2at6native29vectorized_elementwise_kernelILi2ENS0_13BinaryFunctorIllbNS0_12_GLOBAL__N_116CompareEqFunctorIlEEEESt5arrayIPcLm3EEEEviT0_T1_.has_dyn_sized_stack, 0
	.set _ZN2at6native29vectorized_elementwise_kernelILi2ENS0_13BinaryFunctorIllbNS0_12_GLOBAL__N_116CompareEqFunctorIlEEEESt5arrayIPcLm3EEEEviT0_T1_.has_recursion, 0
	.set _ZN2at6native29vectorized_elementwise_kernelILi2ENS0_13BinaryFunctorIllbNS0_12_GLOBAL__N_116CompareEqFunctorIlEEEESt5arrayIPcLm3EEEEviT0_T1_.has_indirect_call, 0
	.section	.AMDGPU.csdata,"",@progbits
; Kernel info:
; codeLenInByte = 3816
; TotalNumSgprs: 52
; NumVgprs: 27
; ScratchSize: 0
; MemoryBound: 0
; FloatMode: 240
; IeeeMode: 1
; LDSByteSize: 0 bytes/workgroup (compile time only)
; SGPRBlocks: 6
; VGPRBlocks: 6
; NumSGPRsForWavesPerEU: 52
; NumVGPRsForWavesPerEU: 27
; Occupancy: 9
; WaveLimiterHint : 1
; COMPUTE_PGM_RSRC2:SCRATCH_EN: 0
; COMPUTE_PGM_RSRC2:USER_SGPR: 6
; COMPUTE_PGM_RSRC2:TRAP_HANDLER: 0
; COMPUTE_PGM_RSRC2:TGID_X_EN: 1
; COMPUTE_PGM_RSRC2:TGID_Y_EN: 0
; COMPUTE_PGM_RSRC2:TGID_Z_EN: 0
; COMPUTE_PGM_RSRC2:TIDIG_COMP_CNT: 0
	.section	.text._ZN2at6native27unrolled_elementwise_kernelINS0_13BinaryFunctorIllbNS0_12_GLOBAL__N_116CompareEqFunctorIlEEEESt5arrayIPcLm3EELi4E23TrivialOffsetCalculatorILi2EjESA_ILi1EjENS0_6memory15LoadWithoutCastENSD_16StoreWithoutCastEEEviT_T0_T2_T3_T4_T5_,"axG",@progbits,_ZN2at6native27unrolled_elementwise_kernelINS0_13BinaryFunctorIllbNS0_12_GLOBAL__N_116CompareEqFunctorIlEEEESt5arrayIPcLm3EELi4E23TrivialOffsetCalculatorILi2EjESA_ILi1EjENS0_6memory15LoadWithoutCastENSD_16StoreWithoutCastEEEviT_T0_T2_T3_T4_T5_,comdat
	.globl	_ZN2at6native27unrolled_elementwise_kernelINS0_13BinaryFunctorIllbNS0_12_GLOBAL__N_116CompareEqFunctorIlEEEESt5arrayIPcLm3EELi4E23TrivialOffsetCalculatorILi2EjESA_ILi1EjENS0_6memory15LoadWithoutCastENSD_16StoreWithoutCastEEEviT_T0_T2_T3_T4_T5_ ; -- Begin function _ZN2at6native27unrolled_elementwise_kernelINS0_13BinaryFunctorIllbNS0_12_GLOBAL__N_116CompareEqFunctorIlEEEESt5arrayIPcLm3EELi4E23TrivialOffsetCalculatorILi2EjESA_ILi1EjENS0_6memory15LoadWithoutCastENSD_16StoreWithoutCastEEEviT_T0_T2_T3_T4_T5_
	.p2align	8
	.type	_ZN2at6native27unrolled_elementwise_kernelINS0_13BinaryFunctorIllbNS0_12_GLOBAL__N_116CompareEqFunctorIlEEEESt5arrayIPcLm3EELi4E23TrivialOffsetCalculatorILi2EjESA_ILi1EjENS0_6memory15LoadWithoutCastENSD_16StoreWithoutCastEEEviT_T0_T2_T3_T4_T5_,@function
_ZN2at6native27unrolled_elementwise_kernelINS0_13BinaryFunctorIllbNS0_12_GLOBAL__N_116CompareEqFunctorIlEEEESt5arrayIPcLm3EELi4E23TrivialOffsetCalculatorILi2EjESA_ILi1EjENS0_6memory15LoadWithoutCastENSD_16StoreWithoutCastEEEviT_T0_T2_T3_T4_T5_: ; @_ZN2at6native27unrolled_elementwise_kernelINS0_13BinaryFunctorIllbNS0_12_GLOBAL__N_116CompareEqFunctorIlEEEESt5arrayIPcLm3EELi4E23TrivialOffsetCalculatorILi2EjESA_ILi1EjENS0_6memory15LoadWithoutCastENSD_16StoreWithoutCastEEEviT_T0_T2_T3_T4_T5_
; %bb.0:
	s_load_dwordx2 s[2:3], s[4:5], 0x0
	s_load_dwordx4 s[8:11], s[4:5], 0x8
	s_load_dwordx2 s[12:13], s[4:5], 0x18
	s_lshl_b32 s20, s6, 10
	s_mov_b64 s[4:5], 0
	s_waitcnt lgkmcnt(0)
	s_sub_i32 s21, s2, s20
	v_cmp_gt_i32_e32 vcc, s21, v0
	v_or_b32_e32 v1, s20, v0
	s_mov_b64 s[6:7], 0
	v_mov_b32_e32 v2, v0
	s_and_saveexec_b64 s[14:15], vcc
	s_cbranch_execz .LBB52_2
; %bb.1:
	v_mov_b32_e32 v2, 0
	v_lshlrev_b64 v[2:3], 3, v[1:2]
	v_mov_b32_e32 v5, s11
	v_add_co_u32_e64 v4, s[0:1], s10, v2
	v_addc_co_u32_e64 v5, s[0:1], v5, v3, s[0:1]
	v_mov_b32_e32 v6, s13
	v_add_co_u32_e64 v2, s[0:1], s12, v2
	v_addc_co_u32_e64 v3, s[0:1], v6, v3, s[0:1]
	global_load_dwordx2 v[6:7], v[4:5], off
	global_load_dwordx2 v[8:9], v[2:3], off
	v_or_b32_e32 v2, 0x100, v0
	s_waitcnt vmcnt(0)
	v_cmp_ne_u64_e64 s[0:1], v[6:7], v[8:9]
	s_and_b64 s[6:7], s[0:1], exec
.LBB52_2:
	s_or_b64 exec, exec, s[14:15]
	v_cmp_gt_i32_e64 s[0:1], s21, v2
	s_and_saveexec_b64 s[14:15], s[0:1]
	s_cbranch_execz .LBB52_4
; %bb.3:
	v_add_u32_e32 v3, s20, v2
	v_mov_b32_e32 v4, 0
	v_lshlrev_b64 v[3:4], 3, v[3:4]
	v_mov_b32_e32 v6, s11
	v_add_co_u32_e64 v5, s[0:1], s10, v3
	v_addc_co_u32_e64 v6, s[0:1], v6, v4, s[0:1]
	v_mov_b32_e32 v7, s13
	v_add_co_u32_e64 v3, s[0:1], s12, v3
	v_addc_co_u32_e64 v4, s[0:1], v7, v4, s[0:1]
	global_load_dwordx2 v[7:8], v[5:6], off
	global_load_dwordx2 v[9:10], v[3:4], off
	v_add_u32_e32 v2, 0x100, v2
	s_waitcnt vmcnt(0)
	v_cmp_ne_u64_e64 s[0:1], v[7:8], v[9:10]
	s_and_b64 s[4:5], s[0:1], exec
.LBB52_4:
	s_or_b64 exec, exec, s[14:15]
	v_cmp_gt_i32_e64 s[0:1], s21, v2
	s_mov_b64 s[14:15], 0
	s_mov_b64 s[16:17], 0
	s_and_saveexec_b64 s[18:19], s[0:1]
	s_cbranch_execz .LBB52_6
; %bb.5:
	v_add_u32_e32 v3, s20, v2
	v_mov_b32_e32 v4, 0
	v_lshlrev_b64 v[3:4], 3, v[3:4]
	v_mov_b32_e32 v6, s11
	v_add_co_u32_e64 v5, s[0:1], s10, v3
	v_addc_co_u32_e64 v6, s[0:1], v6, v4, s[0:1]
	v_mov_b32_e32 v7, s13
	v_add_co_u32_e64 v3, s[0:1], s12, v3
	v_addc_co_u32_e64 v4, s[0:1], v7, v4, s[0:1]
	global_load_dwordx2 v[7:8], v[5:6], off
	global_load_dwordx2 v[9:10], v[3:4], off
	v_add_u32_e32 v2, 0x100, v2
	s_waitcnt vmcnt(0)
	v_cmp_ne_u64_e64 s[0:1], v[7:8], v[9:10]
	s_and_b64 s[16:17], s[0:1], exec
.LBB52_6:
	s_or_b64 exec, exec, s[18:19]
	v_cmp_gt_i32_e64 s[0:1], s21, v2
	s_and_saveexec_b64 s[18:19], s[0:1]
	s_cbranch_execz .LBB52_8
; %bb.7:
	v_add_u32_e32 v2, s20, v2
	v_mov_b32_e32 v3, 0
	v_lshlrev_b64 v[2:3], 3, v[2:3]
	v_mov_b32_e32 v5, s11
	v_add_co_u32_e64 v4, s[0:1], s10, v2
	v_addc_co_u32_e64 v5, s[0:1], v5, v3, s[0:1]
	v_mov_b32_e32 v6, s13
	v_add_co_u32_e64 v2, s[0:1], s12, v2
	v_addc_co_u32_e64 v3, s[0:1], v6, v3, s[0:1]
	global_load_dwordx2 v[6:7], v[4:5], off
	global_load_dwordx2 v[8:9], v[2:3], off
	s_waitcnt vmcnt(0)
	v_cmp_ne_u64_e64 s[0:1], v[6:7], v[8:9]
	s_and_b64 s[14:15], s[0:1], exec
.LBB52_8:
	s_or_b64 exec, exec, s[18:19]
	s_cmp_eq_u32 s3, 0
	s_cselect_b64 s[0:1], -1, 0
	s_and_saveexec_b64 s[2:3], vcc
	s_cbranch_execnz .LBB52_13
; %bb.9:
	s_or_b64 exec, exec, s[2:3]
	v_cmp_gt_i32_e32 vcc, s21, v0
	s_and_saveexec_b64 s[2:3], vcc
	s_cbranch_execnz .LBB52_14
.LBB52_10:
	s_or_b64 exec, exec, s[2:3]
	v_cmp_gt_i32_e32 vcc, s21, v0
	s_and_saveexec_b64 s[2:3], vcc
	s_cbranch_execnz .LBB52_15
.LBB52_11:
	s_or_b64 exec, exec, s[2:3]
	v_cmp_gt_i32_e32 vcc, s21, v0
	s_and_saveexec_b64 s[2:3], vcc
	s_cbranch_execnz .LBB52_16
.LBB52_12:
	s_endpgm
.LBB52_13:
	s_xor_b64 s[6:7], s[0:1], s[6:7]
	v_or_b32_e32 v0, 0x100, v0
	v_cndmask_b32_e64 v2, 0, 1, s[6:7]
	global_store_byte v1, v2, s[8:9]
	s_or_b64 exec, exec, s[2:3]
	v_cmp_gt_i32_e32 vcc, s21, v0
	s_and_saveexec_b64 s[2:3], vcc
	s_cbranch_execz .LBB52_10
.LBB52_14:
	s_xor_b64 s[4:5], s[0:1], s[4:5]
	v_cndmask_b32_e64 v1, 0, 1, s[4:5]
	v_add_u32_e32 v2, 0x100, v0
	v_add_u32_e32 v0, s20, v0
	global_store_byte v0, v1, s[8:9]
	v_mov_b32_e32 v0, v2
	s_or_b64 exec, exec, s[2:3]
	v_cmp_gt_i32_e32 vcc, s21, v0
	s_and_saveexec_b64 s[2:3], vcc
	s_cbranch_execz .LBB52_11
.LBB52_15:
	s_xor_b64 s[4:5], s[0:1], s[16:17]
	v_cndmask_b32_e64 v1, 0, 1, s[4:5]
	v_add_u32_e32 v2, 0x100, v0
	v_add_u32_e32 v0, s20, v0
	global_store_byte v0, v1, s[8:9]
	v_mov_b32_e32 v0, v2
	s_or_b64 exec, exec, s[2:3]
	v_cmp_gt_i32_e32 vcc, s21, v0
	s_and_saveexec_b64 s[2:3], vcc
	s_cbranch_execz .LBB52_12
.LBB52_16:
	s_xor_b64 s[0:1], s[0:1], s[14:15]
	v_cndmask_b32_e64 v1, 0, 1, s[0:1]
	v_add_u32_e32 v0, s20, v0
	global_store_byte v0, v1, s[8:9]
	s_endpgm
	.section	.rodata,"a",@progbits
	.p2align	6, 0x0
	.amdhsa_kernel _ZN2at6native27unrolled_elementwise_kernelINS0_13BinaryFunctorIllbNS0_12_GLOBAL__N_116CompareEqFunctorIlEEEESt5arrayIPcLm3EELi4E23TrivialOffsetCalculatorILi2EjESA_ILi1EjENS0_6memory15LoadWithoutCastENSD_16StoreWithoutCastEEEviT_T0_T2_T3_T4_T5_
		.amdhsa_group_segment_fixed_size 0
		.amdhsa_private_segment_fixed_size 0
		.amdhsa_kernarg_size 36
		.amdhsa_user_sgpr_count 6
		.amdhsa_user_sgpr_private_segment_buffer 1
		.amdhsa_user_sgpr_dispatch_ptr 0
		.amdhsa_user_sgpr_queue_ptr 0
		.amdhsa_user_sgpr_kernarg_segment_ptr 1
		.amdhsa_user_sgpr_dispatch_id 0
		.amdhsa_user_sgpr_flat_scratch_init 0
		.amdhsa_user_sgpr_private_segment_size 0
		.amdhsa_uses_dynamic_stack 0
		.amdhsa_system_sgpr_private_segment_wavefront_offset 0
		.amdhsa_system_sgpr_workgroup_id_x 1
		.amdhsa_system_sgpr_workgroup_id_y 0
		.amdhsa_system_sgpr_workgroup_id_z 0
		.amdhsa_system_sgpr_workgroup_info 0
		.amdhsa_system_vgpr_workitem_id 0
		.amdhsa_next_free_vgpr 11
		.amdhsa_next_free_sgpr 22
		.amdhsa_reserve_vcc 1
		.amdhsa_reserve_flat_scratch 0
		.amdhsa_float_round_mode_32 0
		.amdhsa_float_round_mode_16_64 0
		.amdhsa_float_denorm_mode_32 3
		.amdhsa_float_denorm_mode_16_64 3
		.amdhsa_dx10_clamp 1
		.amdhsa_ieee_mode 1
		.amdhsa_fp16_overflow 0
		.amdhsa_exception_fp_ieee_invalid_op 0
		.amdhsa_exception_fp_denorm_src 0
		.amdhsa_exception_fp_ieee_div_zero 0
		.amdhsa_exception_fp_ieee_overflow 0
		.amdhsa_exception_fp_ieee_underflow 0
		.amdhsa_exception_fp_ieee_inexact 0
		.amdhsa_exception_int_div_zero 0
	.end_amdhsa_kernel
	.section	.text._ZN2at6native27unrolled_elementwise_kernelINS0_13BinaryFunctorIllbNS0_12_GLOBAL__N_116CompareEqFunctorIlEEEESt5arrayIPcLm3EELi4E23TrivialOffsetCalculatorILi2EjESA_ILi1EjENS0_6memory15LoadWithoutCastENSD_16StoreWithoutCastEEEviT_T0_T2_T3_T4_T5_,"axG",@progbits,_ZN2at6native27unrolled_elementwise_kernelINS0_13BinaryFunctorIllbNS0_12_GLOBAL__N_116CompareEqFunctorIlEEEESt5arrayIPcLm3EELi4E23TrivialOffsetCalculatorILi2EjESA_ILi1EjENS0_6memory15LoadWithoutCastENSD_16StoreWithoutCastEEEviT_T0_T2_T3_T4_T5_,comdat
.Lfunc_end52:
	.size	_ZN2at6native27unrolled_elementwise_kernelINS0_13BinaryFunctorIllbNS0_12_GLOBAL__N_116CompareEqFunctorIlEEEESt5arrayIPcLm3EELi4E23TrivialOffsetCalculatorILi2EjESA_ILi1EjENS0_6memory15LoadWithoutCastENSD_16StoreWithoutCastEEEviT_T0_T2_T3_T4_T5_, .Lfunc_end52-_ZN2at6native27unrolled_elementwise_kernelINS0_13BinaryFunctorIllbNS0_12_GLOBAL__N_116CompareEqFunctorIlEEEESt5arrayIPcLm3EELi4E23TrivialOffsetCalculatorILi2EjESA_ILi1EjENS0_6memory15LoadWithoutCastENSD_16StoreWithoutCastEEEviT_T0_T2_T3_T4_T5_
                                        ; -- End function
	.set _ZN2at6native27unrolled_elementwise_kernelINS0_13BinaryFunctorIllbNS0_12_GLOBAL__N_116CompareEqFunctorIlEEEESt5arrayIPcLm3EELi4E23TrivialOffsetCalculatorILi2EjESA_ILi1EjENS0_6memory15LoadWithoutCastENSD_16StoreWithoutCastEEEviT_T0_T2_T3_T4_T5_.num_vgpr, 11
	.set _ZN2at6native27unrolled_elementwise_kernelINS0_13BinaryFunctorIllbNS0_12_GLOBAL__N_116CompareEqFunctorIlEEEESt5arrayIPcLm3EELi4E23TrivialOffsetCalculatorILi2EjESA_ILi1EjENS0_6memory15LoadWithoutCastENSD_16StoreWithoutCastEEEviT_T0_T2_T3_T4_T5_.num_agpr, 0
	.set _ZN2at6native27unrolled_elementwise_kernelINS0_13BinaryFunctorIllbNS0_12_GLOBAL__N_116CompareEqFunctorIlEEEESt5arrayIPcLm3EELi4E23TrivialOffsetCalculatorILi2EjESA_ILi1EjENS0_6memory15LoadWithoutCastENSD_16StoreWithoutCastEEEviT_T0_T2_T3_T4_T5_.numbered_sgpr, 22
	.set _ZN2at6native27unrolled_elementwise_kernelINS0_13BinaryFunctorIllbNS0_12_GLOBAL__N_116CompareEqFunctorIlEEEESt5arrayIPcLm3EELi4E23TrivialOffsetCalculatorILi2EjESA_ILi1EjENS0_6memory15LoadWithoutCastENSD_16StoreWithoutCastEEEviT_T0_T2_T3_T4_T5_.num_named_barrier, 0
	.set _ZN2at6native27unrolled_elementwise_kernelINS0_13BinaryFunctorIllbNS0_12_GLOBAL__N_116CompareEqFunctorIlEEEESt5arrayIPcLm3EELi4E23TrivialOffsetCalculatorILi2EjESA_ILi1EjENS0_6memory15LoadWithoutCastENSD_16StoreWithoutCastEEEviT_T0_T2_T3_T4_T5_.private_seg_size, 0
	.set _ZN2at6native27unrolled_elementwise_kernelINS0_13BinaryFunctorIllbNS0_12_GLOBAL__N_116CompareEqFunctorIlEEEESt5arrayIPcLm3EELi4E23TrivialOffsetCalculatorILi2EjESA_ILi1EjENS0_6memory15LoadWithoutCastENSD_16StoreWithoutCastEEEviT_T0_T2_T3_T4_T5_.uses_vcc, 1
	.set _ZN2at6native27unrolled_elementwise_kernelINS0_13BinaryFunctorIllbNS0_12_GLOBAL__N_116CompareEqFunctorIlEEEESt5arrayIPcLm3EELi4E23TrivialOffsetCalculatorILi2EjESA_ILi1EjENS0_6memory15LoadWithoutCastENSD_16StoreWithoutCastEEEviT_T0_T2_T3_T4_T5_.uses_flat_scratch, 0
	.set _ZN2at6native27unrolled_elementwise_kernelINS0_13BinaryFunctorIllbNS0_12_GLOBAL__N_116CompareEqFunctorIlEEEESt5arrayIPcLm3EELi4E23TrivialOffsetCalculatorILi2EjESA_ILi1EjENS0_6memory15LoadWithoutCastENSD_16StoreWithoutCastEEEviT_T0_T2_T3_T4_T5_.has_dyn_sized_stack, 0
	.set _ZN2at6native27unrolled_elementwise_kernelINS0_13BinaryFunctorIllbNS0_12_GLOBAL__N_116CompareEqFunctorIlEEEESt5arrayIPcLm3EELi4E23TrivialOffsetCalculatorILi2EjESA_ILi1EjENS0_6memory15LoadWithoutCastENSD_16StoreWithoutCastEEEviT_T0_T2_T3_T4_T5_.has_recursion, 0
	.set _ZN2at6native27unrolled_elementwise_kernelINS0_13BinaryFunctorIllbNS0_12_GLOBAL__N_116CompareEqFunctorIlEEEESt5arrayIPcLm3EELi4E23TrivialOffsetCalculatorILi2EjESA_ILi1EjENS0_6memory15LoadWithoutCastENSD_16StoreWithoutCastEEEviT_T0_T2_T3_T4_T5_.has_indirect_call, 0
	.section	.AMDGPU.csdata,"",@progbits
; Kernel info:
; codeLenInByte = 752
; TotalNumSgprs: 26
; NumVgprs: 11
; ScratchSize: 0
; MemoryBound: 0
; FloatMode: 240
; IeeeMode: 1
; LDSByteSize: 0 bytes/workgroup (compile time only)
; SGPRBlocks: 3
; VGPRBlocks: 2
; NumSGPRsForWavesPerEU: 26
; NumVGPRsForWavesPerEU: 11
; Occupancy: 10
; WaveLimiterHint : 0
; COMPUTE_PGM_RSRC2:SCRATCH_EN: 0
; COMPUTE_PGM_RSRC2:USER_SGPR: 6
; COMPUTE_PGM_RSRC2:TRAP_HANDLER: 0
; COMPUTE_PGM_RSRC2:TGID_X_EN: 1
; COMPUTE_PGM_RSRC2:TGID_Y_EN: 0
; COMPUTE_PGM_RSRC2:TGID_Z_EN: 0
; COMPUTE_PGM_RSRC2:TIDIG_COMP_CNT: 0
	.section	.text._ZN2at6native32elementwise_kernel_manual_unrollILi128ELi8EZNS0_22gpu_kernel_impl_nocastINS0_13BinaryFunctorIllbNS0_12_GLOBAL__N_116CompareEqFunctorIlEEEEEEvRNS_18TensorIteratorBaseERKT_EUlibE_EEviT1_,"axG",@progbits,_ZN2at6native32elementwise_kernel_manual_unrollILi128ELi8EZNS0_22gpu_kernel_impl_nocastINS0_13BinaryFunctorIllbNS0_12_GLOBAL__N_116CompareEqFunctorIlEEEEEEvRNS_18TensorIteratorBaseERKT_EUlibE_EEviT1_,comdat
	.globl	_ZN2at6native32elementwise_kernel_manual_unrollILi128ELi8EZNS0_22gpu_kernel_impl_nocastINS0_13BinaryFunctorIllbNS0_12_GLOBAL__N_116CompareEqFunctorIlEEEEEEvRNS_18TensorIteratorBaseERKT_EUlibE_EEviT1_ ; -- Begin function _ZN2at6native32elementwise_kernel_manual_unrollILi128ELi8EZNS0_22gpu_kernel_impl_nocastINS0_13BinaryFunctorIllbNS0_12_GLOBAL__N_116CompareEqFunctorIlEEEEEEvRNS_18TensorIteratorBaseERKT_EUlibE_EEviT1_
	.p2align	8
	.type	_ZN2at6native32elementwise_kernel_manual_unrollILi128ELi8EZNS0_22gpu_kernel_impl_nocastINS0_13BinaryFunctorIllbNS0_12_GLOBAL__N_116CompareEqFunctorIlEEEEEEvRNS_18TensorIteratorBaseERKT_EUlibE_EEviT1_,@function
_ZN2at6native32elementwise_kernel_manual_unrollILi128ELi8EZNS0_22gpu_kernel_impl_nocastINS0_13BinaryFunctorIllbNS0_12_GLOBAL__N_116CompareEqFunctorIlEEEEEEvRNS_18TensorIteratorBaseERKT_EUlibE_EEviT1_: ; @_ZN2at6native32elementwise_kernel_manual_unrollILi128ELi8EZNS0_22gpu_kernel_impl_nocastINS0_13BinaryFunctorIllbNS0_12_GLOBAL__N_116CompareEqFunctorIlEEEEEEvRNS_18TensorIteratorBaseERKT_EUlibE_EEviT1_
; %bb.0:
	s_load_dword s38, s[4:5], 0x0
	s_load_dword s33, s[4:5], 0x8
	s_add_u32 s12, s4, 8
	s_addc_u32 s13, s5, 0
	v_lshl_or_b32 v31, s6, 10, v0
	v_or_b32_e32 v41, 0x380, v31
	s_waitcnt lgkmcnt(0)
	s_add_i32 s36, s33, -1
	s_cmp_gt_u32 s36, 1
	v_cmp_le_i32_e32 vcc, s38, v41
	s_cselect_b64 s[14:15], -1, 0
	s_and_saveexec_b64 s[0:1], vcc
	s_xor_b64 s[16:17], exec, s[0:1]
	s_cbranch_execz .LBB53_106
; %bb.1:
	s_load_dwordx4 s[8:11], s[12:13], 0x4
	s_load_dwordx2 s[24:25], s[12:13], 0x14
	s_load_dwordx4 s[4:7], s[12:13], 0xc4
	s_load_dwordx2 s[22:23], s[12:13], 0xd4
	s_load_dword s20, s[12:13], 0x1a0
	s_cmp_lg_u32 s33, 0
	s_load_dwordx2 s[18:19], s[12:13], 0x198
	s_load_dwordx4 s[0:3], s[12:13], 0x188
	s_cselect_b64 s[28:29], -1, 0
	s_min_u32 s37, s36, 15
	s_cmp_gt_u32 s33, 1
	s_cselect_b64 s[26:27], -1, 0
	s_waitcnt lgkmcnt(0)
	s_cmp_eq_u32 s20, 0
	s_cselect_b64 s[20:21], -1, 0
	v_cmp_gt_i32_e32 vcc, s38, v31
	s_and_saveexec_b64 s[30:31], vcc
	s_cbranch_execnz .LBB53_9
; %bb.2:
	s_or_b64 exec, exec, s[30:31]
	v_cmp_gt_i32_e32 vcc, s38, v31
	s_and_saveexec_b64 s[30:31], vcc
	s_cbranch_execnz .LBB53_21
.LBB53_3:
	s_or_b64 exec, exec, s[30:31]
	v_cmp_gt_i32_e32 vcc, s38, v31
	s_and_saveexec_b64 s[30:31], vcc
	s_cbranch_execnz .LBB53_33
.LBB53_4:
	s_or_b64 exec, exec, s[30:31]
	v_cmp_gt_i32_e32 vcc, s38, v31
	s_and_saveexec_b64 s[30:31], vcc
	s_cbranch_execnz .LBB53_45
.LBB53_5:
	s_or_b64 exec, exec, s[30:31]
	v_cmp_gt_i32_e32 vcc, s38, v31
	s_and_saveexec_b64 s[30:31], vcc
	s_cbranch_execnz .LBB53_57
.LBB53_6:
	s_or_b64 exec, exec, s[30:31]
	v_cmp_gt_i32_e32 vcc, s38, v31
	s_and_saveexec_b64 s[30:31], vcc
	s_cbranch_execnz .LBB53_69
.LBB53_7:
	s_or_b64 exec, exec, s[30:31]
	v_cmp_gt_i32_e32 vcc, s38, v31
	s_and_saveexec_b64 s[30:31], vcc
	s_cbranch_execnz .LBB53_81
.LBB53_8:
	s_or_b64 exec, exec, s[30:31]
	v_cmp_gt_i32_e32 vcc, s38, v31
	s_and_saveexec_b64 s[30:31], vcc
	s_cbranch_execnz .LBB53_93
	s_branch .LBB53_105
.LBB53_9:
	s_andn2_b64 vcc, exec, s[14:15]
	s_cbranch_vccnz .LBB53_15
; %bb.10:
	s_andn2_b64 vcc, exec, s[28:29]
	s_cbranch_vccnz .LBB53_16
; %bb.11:
	s_add_i32 s34, s37, 1
	s_and_b32 s39, s34, 30
	s_add_u32 s34, s12, 0xffffffe8
	s_addc_u32 s35, s13, -1
	v_mov_b32_e32 v2, 0
	v_mov_b32_e32 v4, 0
	;; [unrolled: 1-line block ×4, first 2 shown]
.LBB53_12:                              ; =>This Inner Loop Header: Depth=1
	s_load_dwordx4 s[40:43], s[34:35], 0x1c
	s_load_dwordx2 s[48:49], s[34:35], 0x2c
	s_load_dwordx2 s[50:51], s[34:35], 0xec
	s_load_dwordx4 s[44:47], s[34:35], 0xdc
	s_add_u32 s34, s34, 24
	s_waitcnt lgkmcnt(0)
	v_mul_hi_u32 v3, s41, v1
	s_addc_u32 s35, s35, 0
	s_add_i32 s39, s39, -2
	s_cmp_lg_u32 s39, 0
	v_add_u32_e32 v3, v1, v3
	v_lshrrev_b32_e32 v3, s42, v3
	v_mul_lo_u32 v5, v3, s40
	v_mul_hi_u32 v6, s48, v3
	v_sub_u32_e32 v5, v1, v5
	v_add_u32_e32 v1, v3, v6
	v_lshrrev_b32_e32 v1, s49, v1
	v_mul_lo_u32 v8, v1, s43
	v_mul_lo_u32 v6, v5, s44
	;; [unrolled: 1-line block ×4, first 2 shown]
	v_sub_u32_e32 v3, v3, v8
	v_mul_lo_u32 v8, v3, s47
	v_mul_lo_u32 v9, v3, s50
	;; [unrolled: 1-line block ×3, first 2 shown]
	v_add3_u32 v0, v6, v0, v8
	v_add3_u32 v4, v7, v4, v9
	;; [unrolled: 1-line block ×3, first 2 shown]
	s_cbranch_scc1 .LBB53_12
; %bb.13:
	s_bitcmp1_b32 s37, 0
	s_cselect_b64 s[40:41], -1, 0
	s_and_b64 vcc, exec, s[40:41]
	s_cbranch_vccnz .LBB53_17
; %bb.14:
	s_load_dwordx2 s[40:41], s[34:35], 0x1c
	s_load_dword s39, s[34:35], 0x24
	s_load_dwordx2 s[42:43], s[34:35], 0xdc
	s_waitcnt lgkmcnt(0)
	v_mul_hi_u32 v3, s41, v1
	v_add_u32_e32 v3, v1, v3
	v_lshrrev_b32_e32 v3, s39, v3
	v_mul_lo_u32 v3, v3, s40
	s_load_dword s39, s[34:35], 0xe4
	v_sub_u32_e32 v3, v1, v3
	v_mad_u64_u32 v[0:1], s[34:35], v3, s42, v[0:1]
	v_mad_u64_u32 v[4:5], s[34:35], v3, s43, v[4:5]
	s_waitcnt lgkmcnt(0)
	v_mad_u64_u32 v[2:3], s[34:35], v3, s39, v[2:3]
	s_cbranch_execz .LBB53_18
	s_branch .LBB53_20
.LBB53_15:
                                        ; implicit-def: $vgpr0
                                        ; implicit-def: $vgpr4
                                        ; implicit-def: $vgpr2
	s_branch .LBB53_18
.LBB53_16:
	v_mov_b32_e32 v0, 0
	v_mov_b32_e32 v4, 0
	;; [unrolled: 1-line block ×3, first 2 shown]
.LBB53_17:
	s_cbranch_execnz .LBB53_20
.LBB53_18:
	v_mul_hi_u32 v0, s9, v31
	s_andn2_b64 vcc, exec, s[26:27]
	v_add_u32_e32 v0, v31, v0
	v_lshrrev_b32_e32 v1, s10, v0
	v_mul_lo_u32 v0, v1, s8
	v_sub_u32_e32 v2, v31, v0
	v_mul_lo_u32 v0, v2, s4
	v_mul_lo_u32 v4, v2, s5
	v_mul_lo_u32 v2, v2, s6
	s_cbranch_vccnz .LBB53_20
; %bb.19:
	v_mul_hi_u32 v3, s24, v1
	v_add_u32_e32 v3, v1, v3
	v_lshrrev_b32_e32 v3, s25, v3
	v_mul_lo_u32 v3, v3, s11
	v_sub_u32_e32 v3, v1, v3
	v_mad_u64_u32 v[0:1], s[34:35], v3, s7, v[0:1]
	v_mad_u64_u32 v[4:5], s[34:35], v3, s22, v[4:5]
	;; [unrolled: 1-line block ×3, first 2 shown]
.LBB53_20:
	global_load_dwordx2 v[5:6], v4, s[2:3]
	global_load_dwordx2 v[7:8], v2, s[18:19]
	v_add_u32_e32 v31, 0x80, v31
	s_waitcnt vmcnt(0)
	v_cmp_ne_u64_e32 vcc, v[5:6], v[7:8]
	s_xor_b64 s[34:35], s[20:21], vcc
	v_cndmask_b32_e64 v1, 0, 1, s[34:35]
	global_store_byte v0, v1, s[0:1]
	s_or_b64 exec, exec, s[30:31]
	v_cmp_gt_i32_e32 vcc, s38, v31
	s_and_saveexec_b64 s[30:31], vcc
	s_cbranch_execz .LBB53_3
.LBB53_21:
	s_andn2_b64 vcc, exec, s[14:15]
	s_cbranch_vccnz .LBB53_27
; %bb.22:
	s_andn2_b64 vcc, exec, s[28:29]
	s_cbranch_vccnz .LBB53_28
; %bb.23:
	s_add_i32 s34, s37, 1
	s_and_b32 s39, s34, 30
	s_add_u32 s34, s12, 0xffffffe8
	s_addc_u32 s35, s13, -1
	v_mov_b32_e32 v2, 0
	v_mov_b32_e32 v4, 0
	;; [unrolled: 1-line block ×4, first 2 shown]
.LBB53_24:                              ; =>This Inner Loop Header: Depth=1
	s_load_dwordx4 s[40:43], s[34:35], 0x1c
	s_load_dwordx2 s[48:49], s[34:35], 0x2c
	s_load_dwordx2 s[50:51], s[34:35], 0xec
	s_load_dwordx4 s[44:47], s[34:35], 0xdc
	s_add_u32 s34, s34, 24
	s_waitcnt lgkmcnt(0)
	v_mul_hi_u32 v3, s41, v1
	s_addc_u32 s35, s35, 0
	s_add_i32 s39, s39, -2
	s_cmp_eq_u32 s39, 0
	v_add_u32_e32 v3, v1, v3
	v_lshrrev_b32_e32 v3, s42, v3
	v_mul_lo_u32 v5, v3, s40
	v_mul_hi_u32 v6, s48, v3
	v_sub_u32_e32 v5, v1, v5
	v_add_u32_e32 v1, v3, v6
	v_lshrrev_b32_e32 v1, s49, v1
	v_mul_lo_u32 v8, v1, s43
	v_mul_lo_u32 v6, v5, s44
	;; [unrolled: 1-line block ×4, first 2 shown]
	v_sub_u32_e32 v3, v3, v8
	v_mul_lo_u32 v8, v3, s47
	v_mul_lo_u32 v9, v3, s50
	;; [unrolled: 1-line block ×3, first 2 shown]
	v_add3_u32 v0, v6, v0, v8
	v_add3_u32 v4, v7, v4, v9
	;; [unrolled: 1-line block ×3, first 2 shown]
	s_cbranch_scc0 .LBB53_24
; %bb.25:
	s_bitcmp1_b32 s37, 0
	s_cselect_b64 s[40:41], -1, 0
	s_and_b64 vcc, exec, s[40:41]
	s_cbranch_vccnz .LBB53_29
; %bb.26:
	s_load_dwordx2 s[40:41], s[34:35], 0x1c
	s_load_dword s39, s[34:35], 0x24
	s_load_dwordx2 s[42:43], s[34:35], 0xdc
	s_waitcnt lgkmcnt(0)
	v_mul_hi_u32 v3, s41, v1
	v_add_u32_e32 v3, v1, v3
	v_lshrrev_b32_e32 v3, s39, v3
	v_mul_lo_u32 v3, v3, s40
	s_load_dword s39, s[34:35], 0xe4
	v_sub_u32_e32 v3, v1, v3
	v_mad_u64_u32 v[0:1], s[34:35], v3, s42, v[0:1]
	v_mad_u64_u32 v[4:5], s[34:35], v3, s43, v[4:5]
	s_waitcnt lgkmcnt(0)
	v_mad_u64_u32 v[2:3], s[34:35], v3, s39, v[2:3]
	s_branch .LBB53_29
.LBB53_27:
                                        ; implicit-def: $vgpr0
                                        ; implicit-def: $vgpr4
                                        ; implicit-def: $vgpr2
	s_branch .LBB53_30
.LBB53_28:
	v_mov_b32_e32 v0, 0
	v_mov_b32_e32 v4, 0
	;; [unrolled: 1-line block ×3, first 2 shown]
.LBB53_29:
	s_cbranch_execnz .LBB53_32
.LBB53_30:
	v_mul_hi_u32 v0, s9, v31
	s_andn2_b64 vcc, exec, s[26:27]
	v_add_u32_e32 v0, v31, v0
	v_lshrrev_b32_e32 v1, s10, v0
	v_mul_lo_u32 v0, v1, s8
	v_sub_u32_e32 v2, v31, v0
	v_mul_lo_u32 v0, v2, s4
	v_mul_lo_u32 v4, v2, s5
	;; [unrolled: 1-line block ×3, first 2 shown]
	s_cbranch_vccnz .LBB53_32
; %bb.31:
	v_mul_hi_u32 v3, s24, v1
	v_add_u32_e32 v3, v1, v3
	v_lshrrev_b32_e32 v3, s25, v3
	v_mul_lo_u32 v3, v3, s11
	v_sub_u32_e32 v3, v1, v3
	v_mad_u64_u32 v[0:1], s[34:35], v3, s7, v[0:1]
	v_mad_u64_u32 v[4:5], s[34:35], v3, s22, v[4:5]
	v_mad_u64_u32 v[2:3], s[34:35], v3, s23, v[2:3]
.LBB53_32:
	global_load_dwordx2 v[5:6], v4, s[2:3]
	global_load_dwordx2 v[7:8], v2, s[18:19]
	v_add_u32_e32 v31, 0x80, v31
	s_waitcnt vmcnt(0)
	v_cmp_ne_u64_e32 vcc, v[5:6], v[7:8]
	s_xor_b64 s[34:35], s[20:21], vcc
	v_cndmask_b32_e64 v1, 0, 1, s[34:35]
	global_store_byte v0, v1, s[0:1]
	s_or_b64 exec, exec, s[30:31]
	v_cmp_gt_i32_e32 vcc, s38, v31
	s_and_saveexec_b64 s[30:31], vcc
	s_cbranch_execz .LBB53_4
.LBB53_33:
	s_andn2_b64 vcc, exec, s[14:15]
	s_cbranch_vccnz .LBB53_39
; %bb.34:
	s_andn2_b64 vcc, exec, s[28:29]
	s_cbranch_vccnz .LBB53_40
; %bb.35:
	s_add_i32 s34, s37, 1
	s_and_b32 s39, s34, 30
	s_add_u32 s34, s12, 0xffffffe8
	s_addc_u32 s35, s13, -1
	v_mov_b32_e32 v2, 0
	v_mov_b32_e32 v4, 0
	;; [unrolled: 1-line block ×4, first 2 shown]
.LBB53_36:                              ; =>This Inner Loop Header: Depth=1
	s_load_dwordx4 s[40:43], s[34:35], 0x1c
	s_load_dwordx2 s[48:49], s[34:35], 0x2c
	s_load_dwordx2 s[50:51], s[34:35], 0xec
	s_load_dwordx4 s[44:47], s[34:35], 0xdc
	s_add_u32 s34, s34, 24
	s_waitcnt lgkmcnt(0)
	v_mul_hi_u32 v3, s41, v1
	s_addc_u32 s35, s35, 0
	s_add_i32 s39, s39, -2
	s_cmp_eq_u32 s39, 0
	v_add_u32_e32 v3, v1, v3
	v_lshrrev_b32_e32 v3, s42, v3
	v_mul_lo_u32 v5, v3, s40
	v_mul_hi_u32 v6, s48, v3
	v_sub_u32_e32 v5, v1, v5
	v_add_u32_e32 v1, v3, v6
	v_lshrrev_b32_e32 v1, s49, v1
	v_mul_lo_u32 v8, v1, s43
	v_mul_lo_u32 v6, v5, s44
	;; [unrolled: 1-line block ×4, first 2 shown]
	v_sub_u32_e32 v3, v3, v8
	v_mul_lo_u32 v8, v3, s47
	v_mul_lo_u32 v9, v3, s50
	;; [unrolled: 1-line block ×3, first 2 shown]
	v_add3_u32 v0, v6, v0, v8
	v_add3_u32 v4, v7, v4, v9
	;; [unrolled: 1-line block ×3, first 2 shown]
	s_cbranch_scc0 .LBB53_36
; %bb.37:
	s_bitcmp1_b32 s37, 0
	s_cselect_b64 s[40:41], -1, 0
	s_and_b64 vcc, exec, s[40:41]
	s_cbranch_vccnz .LBB53_41
; %bb.38:
	s_load_dwordx2 s[40:41], s[34:35], 0x1c
	s_load_dword s39, s[34:35], 0x24
	s_load_dwordx2 s[42:43], s[34:35], 0xdc
	s_waitcnt lgkmcnt(0)
	v_mul_hi_u32 v3, s41, v1
	v_add_u32_e32 v3, v1, v3
	v_lshrrev_b32_e32 v3, s39, v3
	v_mul_lo_u32 v3, v3, s40
	s_load_dword s39, s[34:35], 0xe4
	v_sub_u32_e32 v3, v1, v3
	v_mad_u64_u32 v[0:1], s[34:35], v3, s42, v[0:1]
	v_mad_u64_u32 v[4:5], s[34:35], v3, s43, v[4:5]
	s_waitcnt lgkmcnt(0)
	v_mad_u64_u32 v[2:3], s[34:35], v3, s39, v[2:3]
	s_branch .LBB53_41
.LBB53_39:
                                        ; implicit-def: $vgpr0
                                        ; implicit-def: $vgpr4
                                        ; implicit-def: $vgpr2
	s_branch .LBB53_42
.LBB53_40:
	v_mov_b32_e32 v0, 0
	v_mov_b32_e32 v4, 0
	;; [unrolled: 1-line block ×3, first 2 shown]
.LBB53_41:
	s_cbranch_execnz .LBB53_44
.LBB53_42:
	v_mul_hi_u32 v0, s9, v31
	s_andn2_b64 vcc, exec, s[26:27]
	v_add_u32_e32 v0, v31, v0
	v_lshrrev_b32_e32 v1, s10, v0
	v_mul_lo_u32 v0, v1, s8
	v_sub_u32_e32 v2, v31, v0
	v_mul_lo_u32 v0, v2, s4
	v_mul_lo_u32 v4, v2, s5
	v_mul_lo_u32 v2, v2, s6
	s_cbranch_vccnz .LBB53_44
; %bb.43:
	v_mul_hi_u32 v3, s24, v1
	v_add_u32_e32 v3, v1, v3
	v_lshrrev_b32_e32 v3, s25, v3
	v_mul_lo_u32 v3, v3, s11
	v_sub_u32_e32 v3, v1, v3
	v_mad_u64_u32 v[0:1], s[34:35], v3, s7, v[0:1]
	v_mad_u64_u32 v[4:5], s[34:35], v3, s22, v[4:5]
	;; [unrolled: 1-line block ×3, first 2 shown]
.LBB53_44:
	global_load_dwordx2 v[5:6], v4, s[2:3]
	global_load_dwordx2 v[7:8], v2, s[18:19]
	v_add_u32_e32 v31, 0x80, v31
	s_waitcnt vmcnt(0)
	v_cmp_ne_u64_e32 vcc, v[5:6], v[7:8]
	s_xor_b64 s[34:35], s[20:21], vcc
	v_cndmask_b32_e64 v1, 0, 1, s[34:35]
	global_store_byte v0, v1, s[0:1]
	s_or_b64 exec, exec, s[30:31]
	v_cmp_gt_i32_e32 vcc, s38, v31
	s_and_saveexec_b64 s[30:31], vcc
	s_cbranch_execz .LBB53_5
.LBB53_45:
	s_andn2_b64 vcc, exec, s[14:15]
	s_cbranch_vccnz .LBB53_51
; %bb.46:
	s_andn2_b64 vcc, exec, s[28:29]
	s_cbranch_vccnz .LBB53_52
; %bb.47:
	s_add_i32 s34, s37, 1
	s_and_b32 s39, s34, 30
	s_add_u32 s34, s12, 0xffffffe8
	s_addc_u32 s35, s13, -1
	v_mov_b32_e32 v2, 0
	v_mov_b32_e32 v4, 0
	v_mov_b32_e32 v0, 0
	v_mov_b32_e32 v1, v31
.LBB53_48:                              ; =>This Inner Loop Header: Depth=1
	s_load_dwordx4 s[40:43], s[34:35], 0x1c
	s_load_dwordx2 s[48:49], s[34:35], 0x2c
	s_load_dwordx2 s[50:51], s[34:35], 0xec
	s_load_dwordx4 s[44:47], s[34:35], 0xdc
	s_add_u32 s34, s34, 24
	s_waitcnt lgkmcnt(0)
	v_mul_hi_u32 v3, s41, v1
	s_addc_u32 s35, s35, 0
	s_add_i32 s39, s39, -2
	s_cmp_eq_u32 s39, 0
	v_add_u32_e32 v3, v1, v3
	v_lshrrev_b32_e32 v3, s42, v3
	v_mul_lo_u32 v5, v3, s40
	v_mul_hi_u32 v6, s48, v3
	v_sub_u32_e32 v5, v1, v5
	v_add_u32_e32 v1, v3, v6
	v_lshrrev_b32_e32 v1, s49, v1
	v_mul_lo_u32 v8, v1, s43
	v_mul_lo_u32 v6, v5, s44
	;; [unrolled: 1-line block ×4, first 2 shown]
	v_sub_u32_e32 v3, v3, v8
	v_mul_lo_u32 v8, v3, s47
	v_mul_lo_u32 v9, v3, s50
	;; [unrolled: 1-line block ×3, first 2 shown]
	v_add3_u32 v0, v6, v0, v8
	v_add3_u32 v4, v7, v4, v9
	v_add3_u32 v2, v5, v2, v3
	s_cbranch_scc0 .LBB53_48
; %bb.49:
	s_bitcmp1_b32 s37, 0
	s_cselect_b64 s[40:41], -1, 0
	s_and_b64 vcc, exec, s[40:41]
	s_cbranch_vccnz .LBB53_53
; %bb.50:
	s_load_dwordx2 s[40:41], s[34:35], 0x1c
	s_load_dword s39, s[34:35], 0x24
	s_load_dwordx2 s[42:43], s[34:35], 0xdc
	s_waitcnt lgkmcnt(0)
	v_mul_hi_u32 v3, s41, v1
	v_add_u32_e32 v3, v1, v3
	v_lshrrev_b32_e32 v3, s39, v3
	v_mul_lo_u32 v3, v3, s40
	s_load_dword s39, s[34:35], 0xe4
	v_sub_u32_e32 v3, v1, v3
	v_mad_u64_u32 v[0:1], s[34:35], v3, s42, v[0:1]
	v_mad_u64_u32 v[4:5], s[34:35], v3, s43, v[4:5]
	s_waitcnt lgkmcnt(0)
	v_mad_u64_u32 v[2:3], s[34:35], v3, s39, v[2:3]
	s_branch .LBB53_53
.LBB53_51:
                                        ; implicit-def: $vgpr0
                                        ; implicit-def: $vgpr4
                                        ; implicit-def: $vgpr2
	s_branch .LBB53_54
.LBB53_52:
	v_mov_b32_e32 v0, 0
	v_mov_b32_e32 v4, 0
	;; [unrolled: 1-line block ×3, first 2 shown]
.LBB53_53:
	s_cbranch_execnz .LBB53_56
.LBB53_54:
	v_mul_hi_u32 v0, s9, v31
	s_andn2_b64 vcc, exec, s[26:27]
	v_add_u32_e32 v0, v31, v0
	v_lshrrev_b32_e32 v1, s10, v0
	v_mul_lo_u32 v0, v1, s8
	v_sub_u32_e32 v2, v31, v0
	v_mul_lo_u32 v0, v2, s4
	v_mul_lo_u32 v4, v2, s5
	;; [unrolled: 1-line block ×3, first 2 shown]
	s_cbranch_vccnz .LBB53_56
; %bb.55:
	v_mul_hi_u32 v3, s24, v1
	v_add_u32_e32 v3, v1, v3
	v_lshrrev_b32_e32 v3, s25, v3
	v_mul_lo_u32 v3, v3, s11
	v_sub_u32_e32 v3, v1, v3
	v_mad_u64_u32 v[0:1], s[34:35], v3, s7, v[0:1]
	v_mad_u64_u32 v[4:5], s[34:35], v3, s22, v[4:5]
	;; [unrolled: 1-line block ×3, first 2 shown]
.LBB53_56:
	global_load_dwordx2 v[5:6], v4, s[2:3]
	global_load_dwordx2 v[7:8], v2, s[18:19]
	v_add_u32_e32 v31, 0x80, v31
	s_waitcnt vmcnt(0)
	v_cmp_ne_u64_e32 vcc, v[5:6], v[7:8]
	s_xor_b64 s[34:35], s[20:21], vcc
	v_cndmask_b32_e64 v1, 0, 1, s[34:35]
	global_store_byte v0, v1, s[0:1]
	s_or_b64 exec, exec, s[30:31]
	v_cmp_gt_i32_e32 vcc, s38, v31
	s_and_saveexec_b64 s[30:31], vcc
	s_cbranch_execz .LBB53_6
.LBB53_57:
	s_andn2_b64 vcc, exec, s[14:15]
	s_cbranch_vccnz .LBB53_63
; %bb.58:
	s_andn2_b64 vcc, exec, s[28:29]
	s_cbranch_vccnz .LBB53_64
; %bb.59:
	s_add_i32 s34, s37, 1
	s_and_b32 s39, s34, 30
	s_add_u32 s34, s12, 0xffffffe8
	s_addc_u32 s35, s13, -1
	v_mov_b32_e32 v2, 0
	v_mov_b32_e32 v4, 0
	;; [unrolled: 1-line block ×4, first 2 shown]
.LBB53_60:                              ; =>This Inner Loop Header: Depth=1
	s_load_dwordx4 s[40:43], s[34:35], 0x1c
	s_load_dwordx2 s[48:49], s[34:35], 0x2c
	s_load_dwordx2 s[50:51], s[34:35], 0xec
	s_load_dwordx4 s[44:47], s[34:35], 0xdc
	s_add_u32 s34, s34, 24
	s_waitcnt lgkmcnt(0)
	v_mul_hi_u32 v3, s41, v1
	s_addc_u32 s35, s35, 0
	s_add_i32 s39, s39, -2
	s_cmp_eq_u32 s39, 0
	v_add_u32_e32 v3, v1, v3
	v_lshrrev_b32_e32 v3, s42, v3
	v_mul_lo_u32 v5, v3, s40
	v_mul_hi_u32 v6, s48, v3
	v_sub_u32_e32 v5, v1, v5
	v_add_u32_e32 v1, v3, v6
	v_lshrrev_b32_e32 v1, s49, v1
	v_mul_lo_u32 v8, v1, s43
	v_mul_lo_u32 v6, v5, s44
	;; [unrolled: 1-line block ×4, first 2 shown]
	v_sub_u32_e32 v3, v3, v8
	v_mul_lo_u32 v8, v3, s47
	v_mul_lo_u32 v9, v3, s50
	v_mul_lo_u32 v3, v3, s51
	v_add3_u32 v0, v6, v0, v8
	v_add3_u32 v4, v7, v4, v9
	;; [unrolled: 1-line block ×3, first 2 shown]
	s_cbranch_scc0 .LBB53_60
; %bb.61:
	s_bitcmp1_b32 s37, 0
	s_cselect_b64 s[40:41], -1, 0
	s_and_b64 vcc, exec, s[40:41]
	s_cbranch_vccnz .LBB53_65
; %bb.62:
	s_load_dwordx2 s[40:41], s[34:35], 0x1c
	s_load_dword s39, s[34:35], 0x24
	s_load_dwordx2 s[42:43], s[34:35], 0xdc
	s_waitcnt lgkmcnt(0)
	v_mul_hi_u32 v3, s41, v1
	v_add_u32_e32 v3, v1, v3
	v_lshrrev_b32_e32 v3, s39, v3
	v_mul_lo_u32 v3, v3, s40
	s_load_dword s39, s[34:35], 0xe4
	v_sub_u32_e32 v3, v1, v3
	v_mad_u64_u32 v[0:1], s[34:35], v3, s42, v[0:1]
	v_mad_u64_u32 v[4:5], s[34:35], v3, s43, v[4:5]
	s_waitcnt lgkmcnt(0)
	v_mad_u64_u32 v[2:3], s[34:35], v3, s39, v[2:3]
	s_branch .LBB53_65
.LBB53_63:
                                        ; implicit-def: $vgpr0
                                        ; implicit-def: $vgpr4
                                        ; implicit-def: $vgpr2
	s_branch .LBB53_66
.LBB53_64:
	v_mov_b32_e32 v0, 0
	v_mov_b32_e32 v4, 0
	;; [unrolled: 1-line block ×3, first 2 shown]
.LBB53_65:
	s_cbranch_execnz .LBB53_68
.LBB53_66:
	v_mul_hi_u32 v0, s9, v31
	s_andn2_b64 vcc, exec, s[26:27]
	v_add_u32_e32 v0, v31, v0
	v_lshrrev_b32_e32 v1, s10, v0
	v_mul_lo_u32 v0, v1, s8
	v_sub_u32_e32 v2, v31, v0
	v_mul_lo_u32 v0, v2, s4
	v_mul_lo_u32 v4, v2, s5
	;; [unrolled: 1-line block ×3, first 2 shown]
	s_cbranch_vccnz .LBB53_68
; %bb.67:
	v_mul_hi_u32 v3, s24, v1
	v_add_u32_e32 v3, v1, v3
	v_lshrrev_b32_e32 v3, s25, v3
	v_mul_lo_u32 v3, v3, s11
	v_sub_u32_e32 v3, v1, v3
	v_mad_u64_u32 v[0:1], s[34:35], v3, s7, v[0:1]
	v_mad_u64_u32 v[4:5], s[34:35], v3, s22, v[4:5]
	;; [unrolled: 1-line block ×3, first 2 shown]
.LBB53_68:
	global_load_dwordx2 v[5:6], v4, s[2:3]
	global_load_dwordx2 v[7:8], v2, s[18:19]
	v_add_u32_e32 v31, 0x80, v31
	s_waitcnt vmcnt(0)
	v_cmp_ne_u64_e32 vcc, v[5:6], v[7:8]
	s_xor_b64 s[34:35], s[20:21], vcc
	v_cndmask_b32_e64 v1, 0, 1, s[34:35]
	global_store_byte v0, v1, s[0:1]
	s_or_b64 exec, exec, s[30:31]
	v_cmp_gt_i32_e32 vcc, s38, v31
	s_and_saveexec_b64 s[30:31], vcc
	s_cbranch_execz .LBB53_7
.LBB53_69:
	s_andn2_b64 vcc, exec, s[14:15]
	s_cbranch_vccnz .LBB53_75
; %bb.70:
	s_andn2_b64 vcc, exec, s[28:29]
	s_cbranch_vccnz .LBB53_76
; %bb.71:
	s_add_i32 s34, s37, 1
	s_and_b32 s39, s34, 30
	s_add_u32 s34, s12, 0xffffffe8
	s_addc_u32 s35, s13, -1
	v_mov_b32_e32 v2, 0
	v_mov_b32_e32 v4, 0
	v_mov_b32_e32 v0, 0
	v_mov_b32_e32 v1, v31
.LBB53_72:                              ; =>This Inner Loop Header: Depth=1
	s_load_dwordx4 s[40:43], s[34:35], 0x1c
	s_load_dwordx2 s[48:49], s[34:35], 0x2c
	s_load_dwordx2 s[50:51], s[34:35], 0xec
	s_load_dwordx4 s[44:47], s[34:35], 0xdc
	s_add_u32 s34, s34, 24
	s_waitcnt lgkmcnt(0)
	v_mul_hi_u32 v3, s41, v1
	s_addc_u32 s35, s35, 0
	s_add_i32 s39, s39, -2
	s_cmp_eq_u32 s39, 0
	v_add_u32_e32 v3, v1, v3
	v_lshrrev_b32_e32 v3, s42, v3
	v_mul_lo_u32 v5, v3, s40
	v_mul_hi_u32 v6, s48, v3
	v_sub_u32_e32 v5, v1, v5
	v_add_u32_e32 v1, v3, v6
	v_lshrrev_b32_e32 v1, s49, v1
	v_mul_lo_u32 v8, v1, s43
	v_mul_lo_u32 v6, v5, s44
	;; [unrolled: 1-line block ×4, first 2 shown]
	v_sub_u32_e32 v3, v3, v8
	v_mul_lo_u32 v8, v3, s47
	v_mul_lo_u32 v9, v3, s50
	;; [unrolled: 1-line block ×3, first 2 shown]
	v_add3_u32 v0, v6, v0, v8
	v_add3_u32 v4, v7, v4, v9
	;; [unrolled: 1-line block ×3, first 2 shown]
	s_cbranch_scc0 .LBB53_72
; %bb.73:
	s_bitcmp1_b32 s37, 0
	s_cselect_b64 s[40:41], -1, 0
	s_and_b64 vcc, exec, s[40:41]
	s_cbranch_vccnz .LBB53_77
; %bb.74:
	s_load_dwordx2 s[40:41], s[34:35], 0x1c
	s_load_dword s39, s[34:35], 0x24
	s_load_dwordx2 s[42:43], s[34:35], 0xdc
	s_waitcnt lgkmcnt(0)
	v_mul_hi_u32 v3, s41, v1
	v_add_u32_e32 v3, v1, v3
	v_lshrrev_b32_e32 v3, s39, v3
	v_mul_lo_u32 v3, v3, s40
	s_load_dword s39, s[34:35], 0xe4
	v_sub_u32_e32 v3, v1, v3
	v_mad_u64_u32 v[0:1], s[34:35], v3, s42, v[0:1]
	v_mad_u64_u32 v[4:5], s[34:35], v3, s43, v[4:5]
	s_waitcnt lgkmcnt(0)
	v_mad_u64_u32 v[2:3], s[34:35], v3, s39, v[2:3]
	s_branch .LBB53_77
.LBB53_75:
                                        ; implicit-def: $vgpr0
                                        ; implicit-def: $vgpr4
                                        ; implicit-def: $vgpr2
	s_branch .LBB53_78
.LBB53_76:
	v_mov_b32_e32 v0, 0
	v_mov_b32_e32 v4, 0
	;; [unrolled: 1-line block ×3, first 2 shown]
.LBB53_77:
	s_cbranch_execnz .LBB53_80
.LBB53_78:
	v_mul_hi_u32 v0, s9, v31
	s_andn2_b64 vcc, exec, s[26:27]
	v_add_u32_e32 v0, v31, v0
	v_lshrrev_b32_e32 v1, s10, v0
	v_mul_lo_u32 v0, v1, s8
	v_sub_u32_e32 v2, v31, v0
	v_mul_lo_u32 v0, v2, s4
	v_mul_lo_u32 v4, v2, s5
	;; [unrolled: 1-line block ×3, first 2 shown]
	s_cbranch_vccnz .LBB53_80
; %bb.79:
	v_mul_hi_u32 v3, s24, v1
	v_add_u32_e32 v3, v1, v3
	v_lshrrev_b32_e32 v3, s25, v3
	v_mul_lo_u32 v3, v3, s11
	v_sub_u32_e32 v3, v1, v3
	v_mad_u64_u32 v[0:1], s[34:35], v3, s7, v[0:1]
	v_mad_u64_u32 v[4:5], s[34:35], v3, s22, v[4:5]
	;; [unrolled: 1-line block ×3, first 2 shown]
.LBB53_80:
	global_load_dwordx2 v[5:6], v4, s[2:3]
	global_load_dwordx2 v[7:8], v2, s[18:19]
	v_add_u32_e32 v31, 0x80, v31
	s_waitcnt vmcnt(0)
	v_cmp_ne_u64_e32 vcc, v[5:6], v[7:8]
	s_xor_b64 s[34:35], s[20:21], vcc
	v_cndmask_b32_e64 v1, 0, 1, s[34:35]
	global_store_byte v0, v1, s[0:1]
	s_or_b64 exec, exec, s[30:31]
	v_cmp_gt_i32_e32 vcc, s38, v31
	s_and_saveexec_b64 s[30:31], vcc
	s_cbranch_execz .LBB53_8
.LBB53_81:
	s_andn2_b64 vcc, exec, s[14:15]
	s_cbranch_vccnz .LBB53_87
; %bb.82:
	s_andn2_b64 vcc, exec, s[28:29]
	s_cbranch_vccnz .LBB53_88
; %bb.83:
	s_add_i32 s34, s37, 1
	s_and_b32 s39, s34, 30
	s_add_u32 s34, s12, 0xffffffe8
	s_addc_u32 s35, s13, -1
	v_mov_b32_e32 v2, 0
	v_mov_b32_e32 v4, 0
	;; [unrolled: 1-line block ×4, first 2 shown]
.LBB53_84:                              ; =>This Inner Loop Header: Depth=1
	s_load_dwordx4 s[40:43], s[34:35], 0x1c
	s_load_dwordx2 s[48:49], s[34:35], 0x2c
	s_load_dwordx2 s[50:51], s[34:35], 0xec
	s_load_dwordx4 s[44:47], s[34:35], 0xdc
	s_add_u32 s34, s34, 24
	s_waitcnt lgkmcnt(0)
	v_mul_hi_u32 v3, s41, v1
	s_addc_u32 s35, s35, 0
	s_add_i32 s39, s39, -2
	s_cmp_eq_u32 s39, 0
	v_add_u32_e32 v3, v1, v3
	v_lshrrev_b32_e32 v3, s42, v3
	v_mul_lo_u32 v5, v3, s40
	v_mul_hi_u32 v6, s48, v3
	v_sub_u32_e32 v5, v1, v5
	v_add_u32_e32 v1, v3, v6
	v_lshrrev_b32_e32 v1, s49, v1
	v_mul_lo_u32 v8, v1, s43
	v_mul_lo_u32 v6, v5, s44
	;; [unrolled: 1-line block ×4, first 2 shown]
	v_sub_u32_e32 v3, v3, v8
	v_mul_lo_u32 v8, v3, s47
	v_mul_lo_u32 v9, v3, s50
	;; [unrolled: 1-line block ×3, first 2 shown]
	v_add3_u32 v0, v6, v0, v8
	v_add3_u32 v4, v7, v4, v9
	;; [unrolled: 1-line block ×3, first 2 shown]
	s_cbranch_scc0 .LBB53_84
; %bb.85:
	s_bitcmp1_b32 s37, 0
	s_cselect_b64 s[40:41], -1, 0
	s_and_b64 vcc, exec, s[40:41]
	s_cbranch_vccnz .LBB53_89
; %bb.86:
	s_load_dwordx2 s[40:41], s[34:35], 0x1c
	s_load_dword s39, s[34:35], 0x24
	s_load_dwordx2 s[42:43], s[34:35], 0xdc
	s_waitcnt lgkmcnt(0)
	v_mul_hi_u32 v3, s41, v1
	v_add_u32_e32 v3, v1, v3
	v_lshrrev_b32_e32 v3, s39, v3
	v_mul_lo_u32 v3, v3, s40
	s_load_dword s39, s[34:35], 0xe4
	v_sub_u32_e32 v3, v1, v3
	v_mad_u64_u32 v[0:1], s[34:35], v3, s42, v[0:1]
	v_mad_u64_u32 v[4:5], s[34:35], v3, s43, v[4:5]
	s_waitcnt lgkmcnt(0)
	v_mad_u64_u32 v[2:3], s[34:35], v3, s39, v[2:3]
	s_branch .LBB53_89
.LBB53_87:
                                        ; implicit-def: $vgpr0
                                        ; implicit-def: $vgpr4
                                        ; implicit-def: $vgpr2
	s_branch .LBB53_90
.LBB53_88:
	v_mov_b32_e32 v0, 0
	v_mov_b32_e32 v4, 0
	;; [unrolled: 1-line block ×3, first 2 shown]
.LBB53_89:
	s_cbranch_execnz .LBB53_92
.LBB53_90:
	v_mul_hi_u32 v0, s9, v31
	s_andn2_b64 vcc, exec, s[26:27]
	v_add_u32_e32 v0, v31, v0
	v_lshrrev_b32_e32 v1, s10, v0
	v_mul_lo_u32 v0, v1, s8
	v_sub_u32_e32 v2, v31, v0
	v_mul_lo_u32 v0, v2, s4
	v_mul_lo_u32 v4, v2, s5
	v_mul_lo_u32 v2, v2, s6
	s_cbranch_vccnz .LBB53_92
; %bb.91:
	v_mul_hi_u32 v3, s24, v1
	v_add_u32_e32 v3, v1, v3
	v_lshrrev_b32_e32 v3, s25, v3
	v_mul_lo_u32 v3, v3, s11
	v_sub_u32_e32 v3, v1, v3
	v_mad_u64_u32 v[0:1], s[34:35], v3, s7, v[0:1]
	v_mad_u64_u32 v[4:5], s[34:35], v3, s22, v[4:5]
	;; [unrolled: 1-line block ×3, first 2 shown]
.LBB53_92:
	global_load_dwordx2 v[5:6], v4, s[2:3]
	global_load_dwordx2 v[7:8], v2, s[18:19]
	v_add_u32_e32 v31, 0x80, v31
	s_waitcnt vmcnt(0)
	v_cmp_ne_u64_e32 vcc, v[5:6], v[7:8]
	s_xor_b64 s[34:35], s[20:21], vcc
	v_cndmask_b32_e64 v1, 0, 1, s[34:35]
	global_store_byte v0, v1, s[0:1]
	s_or_b64 exec, exec, s[30:31]
	v_cmp_gt_i32_e32 vcc, s38, v31
	s_and_saveexec_b64 s[30:31], vcc
	s_cbranch_execz .LBB53_105
.LBB53_93:
	s_andn2_b64 vcc, exec, s[14:15]
	s_cbranch_vccnz .LBB53_99
; %bb.94:
	s_andn2_b64 vcc, exec, s[28:29]
	s_cbranch_vccnz .LBB53_100
; %bb.95:
	s_add_i32 s28, s37, 1
	s_and_b32 s34, s28, 30
	s_add_u32 s28, s12, 0xffffffe8
	s_addc_u32 s29, s13, -1
	v_mov_b32_e32 v4, 0
	v_mov_b32_e32 v2, 0
	;; [unrolled: 1-line block ×4, first 2 shown]
.LBB53_96:                              ; =>This Inner Loop Header: Depth=1
	s_load_dwordx4 s[40:43], s[28:29], 0x1c
	s_load_dwordx2 s[38:39], s[28:29], 0x2c
	s_load_dwordx2 s[48:49], s[28:29], 0xec
	s_load_dwordx4 s[44:47], s[28:29], 0xdc
	s_add_u32 s28, s28, 24
	s_waitcnt lgkmcnt(0)
	v_mul_hi_u32 v3, s41, v1
	s_addc_u32 s29, s29, 0
	s_add_i32 s34, s34, -2
	s_cmp_eq_u32 s34, 0
	v_add_u32_e32 v3, v1, v3
	v_lshrrev_b32_e32 v3, s42, v3
	v_mul_lo_u32 v5, v3, s40
	v_mul_hi_u32 v6, s38, v3
	v_sub_u32_e32 v5, v1, v5
	v_add_u32_e32 v1, v3, v6
	v_lshrrev_b32_e32 v1, s39, v1
	v_mul_lo_u32 v8, v1, s43
	v_mul_lo_u32 v6, v5, s44
	;; [unrolled: 1-line block ×4, first 2 shown]
	v_sub_u32_e32 v3, v3, v8
	v_mul_lo_u32 v8, v3, s47
	v_mul_lo_u32 v9, v3, s48
	;; [unrolled: 1-line block ×3, first 2 shown]
	v_add3_u32 v0, v6, v0, v8
	v_add3_u32 v2, v7, v2, v9
	v_add3_u32 v4, v5, v4, v3
	s_cbranch_scc0 .LBB53_96
; %bb.97:
	s_bitcmp1_b32 s37, 0
	s_cselect_b64 s[34:35], -1, 0
	s_and_b64 vcc, exec, s[34:35]
	s_cbranch_vccnz .LBB53_101
; %bb.98:
	s_load_dwordx2 s[34:35], s[28:29], 0x1c
	s_load_dword s37, s[28:29], 0x24
	s_load_dwordx2 s[38:39], s[28:29], 0xdc
	s_waitcnt lgkmcnt(0)
	v_mul_hi_u32 v3, s35, v1
	v_add_u32_e32 v3, v1, v3
	v_lshrrev_b32_e32 v3, s37, v3
	v_mul_lo_u32 v3, v3, s34
	s_load_dword s34, s[28:29], 0xe4
	v_sub_u32_e32 v5, v1, v3
	v_mad_u64_u32 v[0:1], s[28:29], v5, s38, v[0:1]
	v_mad_u64_u32 v[2:3], s[28:29], v5, s39, v[2:3]
	s_waitcnt lgkmcnt(0)
	v_mad_u64_u32 v[4:5], s[28:29], v5, s34, v[4:5]
	s_branch .LBB53_101
.LBB53_99:
                                        ; implicit-def: $vgpr0
                                        ; implicit-def: $vgpr2
                                        ; implicit-def: $vgpr4
	s_branch .LBB53_102
.LBB53_100:
	v_mov_b32_e32 v0, 0
	v_mov_b32_e32 v2, 0
	;; [unrolled: 1-line block ×3, first 2 shown]
.LBB53_101:
	s_cbranch_execnz .LBB53_104
.LBB53_102:
	v_mul_hi_u32 v0, s9, v31
	s_andn2_b64 vcc, exec, s[26:27]
	v_add_u32_e32 v0, v31, v0
	v_lshrrev_b32_e32 v1, s10, v0
	v_mul_lo_u32 v0, v1, s8
	v_sub_u32_e32 v3, v31, v0
	v_mul_lo_u32 v0, v3, s4
	v_mul_lo_u32 v2, v3, s5
	;; [unrolled: 1-line block ×3, first 2 shown]
	s_cbranch_vccnz .LBB53_104
; %bb.103:
	v_mul_hi_u32 v3, s24, v1
	v_add_u32_e32 v3, v1, v3
	v_lshrrev_b32_e32 v3, s25, v3
	v_mul_lo_u32 v3, v3, s11
	v_sub_u32_e32 v5, v1, v3
	v_mad_u64_u32 v[0:1], s[4:5], v5, s7, v[0:1]
	v_mad_u64_u32 v[2:3], s[4:5], v5, s22, v[2:3]
	;; [unrolled: 1-line block ×3, first 2 shown]
.LBB53_104:
	global_load_dwordx2 v[5:6], v2, s[2:3]
	global_load_dwordx2 v[7:8], v4, s[18:19]
	s_waitcnt vmcnt(0)
	v_cmp_ne_u64_e32 vcc, v[5:6], v[7:8]
	s_xor_b64 s[2:3], s[20:21], vcc
	v_cndmask_b32_e64 v1, 0, 1, s[2:3]
	global_store_byte v0, v1, s[0:1]
.LBB53_105:
	s_or_b64 exec, exec, s[30:31]
                                        ; implicit-def: $vgpr41
                                        ; implicit-def: $vgpr31
.LBB53_106:
	s_andn2_saveexec_b64 s[0:1], s[16:17]
	s_cbranch_execz .LBB53_113
; %bb.107:
	v_cndmask_b32_e64 v0, 0, 1, s[14:15]
	v_cmp_ne_u32_e64 s[0:1], 1, v0
	s_andn2_b64 vcc, exec, s[14:15]
	s_cbranch_vccnz .LBB53_114
; %bb.108:
	s_cmp_lg_u32 s33, 0
	s_cbranch_scc0 .LBB53_115
; %bb.109:
	s_min_u32 s4, s36, 15
	s_add_i32 s2, s4, 1
	s_and_b32 s5, s2, 30
	s_add_u32 s2, s12, 0xffffffe8
	s_addc_u32 s3, s13, -1
	v_mov_b32_e32 v2, 0
	v_mov_b32_e32 v4, 0
	;; [unrolled: 1-line block ×4, first 2 shown]
.LBB53_110:                             ; =>This Inner Loop Header: Depth=1
	s_load_dwordx4 s[8:11], s[2:3], 0x1c
	s_load_dwordx2 s[6:7], s[2:3], 0x2c
	s_load_dwordx2 s[14:15], s[2:3], 0xec
	s_load_dwordx4 s[16:19], s[2:3], 0xdc
	s_add_u32 s2, s2, 24
	s_waitcnt lgkmcnt(0)
	v_mul_hi_u32 v3, s9, v1
	s_addc_u32 s3, s3, 0
	s_add_i32 s5, s5, -2
	s_cmp_lg_u32 s5, 0
	v_add_u32_e32 v3, v1, v3
	v_lshrrev_b32_e32 v3, s10, v3
	v_mul_lo_u32 v5, v3, s8
	v_mul_hi_u32 v6, s6, v3
	v_sub_u32_e32 v5, v1, v5
	v_add_u32_e32 v1, v3, v6
	v_lshrrev_b32_e32 v1, s7, v1
	v_mul_lo_u32 v8, v1, s11
	v_mul_lo_u32 v6, v5, s16
	;; [unrolled: 1-line block ×4, first 2 shown]
	v_sub_u32_e32 v3, v3, v8
	v_mul_lo_u32 v8, v3, s19
	v_mul_lo_u32 v9, v3, s14
	;; [unrolled: 1-line block ×3, first 2 shown]
	v_add3_u32 v0, v6, v0, v8
	v_add3_u32 v4, v7, v4, v9
	;; [unrolled: 1-line block ×3, first 2 shown]
	s_cbranch_scc1 .LBB53_110
; %bb.111:
	s_bitcmp1_b32 s4, 0
	s_cselect_b64 s[4:5], -1, 0
	s_and_b64 vcc, exec, s[4:5]
	s_cbranch_vccnz .LBB53_116
; %bb.112:
	s_load_dwordx2 s[4:5], s[2:3], 0x1c
	s_load_dword s8, s[2:3], 0x24
	s_load_dwordx2 s[6:7], s[2:3], 0xdc
	s_waitcnt lgkmcnt(0)
	v_mul_hi_u32 v3, s5, v1
	v_add_u32_e32 v3, v1, v3
	v_lshrrev_b32_e32 v3, s8, v3
	v_mul_lo_u32 v3, v3, s4
	s_load_dword s4, s[2:3], 0xe4
	v_sub_u32_e32 v3, v1, v3
	v_mad_u64_u32 v[0:1], s[2:3], v3, s6, v[0:1]
	v_mad_u64_u32 v[4:5], s[2:3], v3, s7, v[4:5]
	s_waitcnt lgkmcnt(0)
	v_mad_u64_u32 v[2:3], s[2:3], v3, s4, v[2:3]
	s_cbranch_execz .LBB53_117
	s_branch .LBB53_119
.LBB53_113:
	s_endpgm
.LBB53_114:
                                        ; implicit-def: $vgpr0
                                        ; implicit-def: $vgpr4
                                        ; implicit-def: $vgpr2
	s_branch .LBB53_117
.LBB53_115:
	v_mov_b32_e32 v0, 0
	v_mov_b32_e32 v4, 0
	;; [unrolled: 1-line block ×3, first 2 shown]
.LBB53_116:
	s_cbranch_execnz .LBB53_119
.LBB53_117:
	s_load_dwordx4 s[4:7], s[12:13], 0x4
	s_load_dwordx4 s[8:11], s[12:13], 0xc4
	s_cmp_lt_u32 s33, 2
	s_waitcnt lgkmcnt(0)
	v_mul_hi_u32 v0, s5, v31
	v_add_u32_e32 v0, v31, v0
	v_lshrrev_b32_e32 v1, s6, v0
	v_mul_lo_u32 v0, v1, s4
	v_sub_u32_e32 v2, v31, v0
	v_mul_lo_u32 v0, v2, s8
	v_mul_lo_u32 v4, v2, s9
	;; [unrolled: 1-line block ×3, first 2 shown]
	s_cbranch_scc1 .LBB53_119
; %bb.118:
	s_load_dwordx4 s[4:7], s[12:13], 0x10
	s_load_dwordx4 s[8:11], s[12:13], 0xd0
	s_waitcnt lgkmcnt(0)
	v_mul_hi_u32 v3, s5, v1
	v_add_u32_e32 v3, v1, v3
	v_lshrrev_b32_e32 v3, s6, v3
	v_mul_lo_u32 v3, v3, s4
	v_sub_u32_e32 v3, v1, v3
	v_mad_u64_u32 v[0:1], s[2:3], v3, s8, v[0:1]
	v_mad_u64_u32 v[4:5], s[2:3], v3, s9, v[4:5]
	;; [unrolled: 1-line block ×3, first 2 shown]
.LBB53_119:
	s_and_b64 vcc, exec, s[0:1]
	v_add_u32_e32 v1, 0x80, v31
	s_cbranch_vccnz .LBB53_125
; %bb.120:
	s_cmp_lg_u32 s33, 0
	s_cbranch_scc0 .LBB53_126
; %bb.121:
	s_min_u32 s4, s36, 15
	s_add_i32 s2, s4, 1
	s_and_b32 s5, s2, 30
	s_add_u32 s2, s12, 0xffffffe8
	s_addc_u32 s3, s13, -1
	v_mov_b32_e32 v7, 0
	v_mov_b32_e32 v9, 0
	;; [unrolled: 1-line block ×4, first 2 shown]
.LBB53_122:                             ; =>This Inner Loop Header: Depth=1
	s_load_dwordx4 s[8:11], s[2:3], 0x1c
	s_load_dwordx2 s[6:7], s[2:3], 0x2c
	s_load_dwordx2 s[14:15], s[2:3], 0xec
	s_load_dwordx4 s[16:19], s[2:3], 0xdc
	s_add_u32 s2, s2, 24
	s_waitcnt lgkmcnt(0)
	v_mul_hi_u32 v6, s9, v3
	s_addc_u32 s3, s3, 0
	s_add_i32 s5, s5, -2
	s_cmp_lg_u32 s5, 0
	v_add_u32_e32 v6, v3, v6
	v_lshrrev_b32_e32 v6, s10, v6
	v_mul_lo_u32 v8, v6, s8
	v_mul_hi_u32 v10, s6, v6
	v_sub_u32_e32 v8, v3, v8
	v_add_u32_e32 v3, v6, v10
	v_lshrrev_b32_e32 v3, s7, v3
	v_mul_lo_u32 v12, v3, s11
	v_mul_lo_u32 v10, v8, s16
	;; [unrolled: 1-line block ×4, first 2 shown]
	v_sub_u32_e32 v6, v6, v12
	v_mul_lo_u32 v12, v6, s19
	v_mul_lo_u32 v13, v6, s14
	;; [unrolled: 1-line block ×3, first 2 shown]
	v_add3_u32 v5, v10, v5, v12
	v_add3_u32 v9, v11, v9, v13
	;; [unrolled: 1-line block ×3, first 2 shown]
	s_cbranch_scc1 .LBB53_122
; %bb.123:
	s_bitcmp1_b32 s4, 0
	s_cselect_b64 s[4:5], -1, 0
	s_and_b64 vcc, exec, s[4:5]
	s_cbranch_vccnz .LBB53_127
; %bb.124:
	s_load_dwordx2 s[4:5], s[2:3], 0x1c
	s_load_dword s8, s[2:3], 0x24
	s_load_dwordx2 s[6:7], s[2:3], 0xdc
	s_waitcnt lgkmcnt(0)
	v_mul_hi_u32 v6, s5, v3
	v_add_u32_e32 v6, v3, v6
	v_lshrrev_b32_e32 v6, s8, v6
	v_mul_lo_u32 v6, v6, s4
	s_load_dword s4, s[2:3], 0xe4
	v_sub_u32_e32 v3, v3, v6
	v_mad_u64_u32 v[5:6], s[2:3], v3, s6, v[5:6]
	v_mad_u64_u32 v[9:10], s[2:3], v3, s7, v[9:10]
	s_waitcnt lgkmcnt(0)
	v_mad_u64_u32 v[7:8], s[2:3], v3, s4, v[7:8]
	s_cbranch_execz .LBB53_128
	s_branch .LBB53_130
.LBB53_125:
                                        ; implicit-def: $vgpr5
                                        ; implicit-def: $vgpr9
                                        ; implicit-def: $vgpr7
	s_branch .LBB53_128
.LBB53_126:
	v_mov_b32_e32 v5, 0
	v_mov_b32_e32 v9, 0
	;; [unrolled: 1-line block ×3, first 2 shown]
.LBB53_127:
	s_cbranch_execnz .LBB53_130
.LBB53_128:
	s_load_dwordx4 s[4:7], s[12:13], 0x4
	s_load_dwordx4 s[8:11], s[12:13], 0xc4
	s_cmp_lt_u32 s33, 2
	s_waitcnt lgkmcnt(0)
	v_mul_hi_u32 v3, s5, v1
	v_add_u32_e32 v3, v1, v3
	v_lshrrev_b32_e32 v3, s6, v3
	v_mul_lo_u32 v5, v3, s4
	v_sub_u32_e32 v1, v1, v5
	v_mul_lo_u32 v5, v1, s8
	v_mul_lo_u32 v9, v1, s9
	;; [unrolled: 1-line block ×3, first 2 shown]
	s_cbranch_scc1 .LBB53_130
; %bb.129:
	s_load_dwordx4 s[4:7], s[12:13], 0x10
	s_load_dwordx4 s[8:11], s[12:13], 0xd0
	s_waitcnt lgkmcnt(0)
	v_mul_hi_u32 v1, s5, v3
	v_add_u32_e32 v1, v3, v1
	v_lshrrev_b32_e32 v1, s6, v1
	v_mul_lo_u32 v1, v1, s4
	v_sub_u32_e32 v1, v3, v1
	v_mad_u64_u32 v[5:6], s[2:3], v1, s8, v[5:6]
	v_mad_u64_u32 v[9:10], s[2:3], v1, s9, v[9:10]
	;; [unrolled: 1-line block ×3, first 2 shown]
.LBB53_130:
	s_and_b64 vcc, exec, s[0:1]
	v_add_u32_e32 v1, 0x100, v31
	s_cbranch_vccnz .LBB53_136
; %bb.131:
	s_cmp_lg_u32 s33, 0
	s_cbranch_scc0 .LBB53_137
; %bb.132:
	s_min_u32 s4, s36, 15
	s_add_i32 s2, s4, 1
	s_and_b32 s5, s2, 30
	s_add_u32 s2, s12, 0xffffffe8
	s_addc_u32 s3, s13, -1
	v_mov_b32_e32 v12, 0
	v_mov_b32_e32 v14, 0
	;; [unrolled: 1-line block ×4, first 2 shown]
.LBB53_133:                             ; =>This Inner Loop Header: Depth=1
	s_load_dwordx4 s[8:11], s[2:3], 0x1c
	s_load_dwordx2 s[6:7], s[2:3], 0x2c
	s_load_dwordx2 s[14:15], s[2:3], 0xec
	s_load_dwordx4 s[16:19], s[2:3], 0xdc
	s_add_u32 s2, s2, 24
	s_waitcnt lgkmcnt(0)
	v_mul_hi_u32 v6, s9, v3
	s_addc_u32 s3, s3, 0
	s_add_i32 s5, s5, -2
	s_cmp_lg_u32 s5, 0
	v_add_u32_e32 v6, v3, v6
	v_lshrrev_b32_e32 v6, s10, v6
	v_mul_lo_u32 v8, v6, s8
	v_mul_hi_u32 v11, s6, v6
	v_sub_u32_e32 v8, v3, v8
	v_add_u32_e32 v3, v6, v11
	v_lshrrev_b32_e32 v3, s7, v3
	v_mul_lo_u32 v15, v3, s11
	v_mul_lo_u32 v11, v8, s16
	;; [unrolled: 1-line block ×4, first 2 shown]
	v_sub_u32_e32 v6, v6, v15
	v_mul_lo_u32 v15, v6, s19
	v_mul_lo_u32 v16, v6, s14
	;; [unrolled: 1-line block ×3, first 2 shown]
	v_add3_u32 v10, v11, v10, v15
	v_add3_u32 v14, v13, v14, v16
	;; [unrolled: 1-line block ×3, first 2 shown]
	s_cbranch_scc1 .LBB53_133
; %bb.134:
	s_bitcmp1_b32 s4, 0
	s_cselect_b64 s[4:5], -1, 0
	s_and_b64 vcc, exec, s[4:5]
	s_cbranch_vccnz .LBB53_138
; %bb.135:
	s_load_dwordx2 s[4:5], s[2:3], 0x1c
	s_load_dword s8, s[2:3], 0x24
	s_load_dwordx2 s[6:7], s[2:3], 0xdc
	s_waitcnt lgkmcnt(0)
	v_mul_hi_u32 v6, s5, v3
	v_add_u32_e32 v6, v3, v6
	v_lshrrev_b32_e32 v6, s8, v6
	v_mul_lo_u32 v6, v6, s4
	s_load_dword s4, s[2:3], 0xe4
	v_sub_u32_e32 v3, v3, v6
	v_mad_u64_u32 v[10:11], s[2:3], v3, s6, v[10:11]
	v_mad_u64_u32 v[14:15], s[2:3], v3, s7, v[14:15]
	s_waitcnt lgkmcnt(0)
	v_mad_u64_u32 v[12:13], s[2:3], v3, s4, v[12:13]
	s_cbranch_execz .LBB53_139
	s_branch .LBB53_141
.LBB53_136:
                                        ; implicit-def: $vgpr10
                                        ; implicit-def: $vgpr14
                                        ; implicit-def: $vgpr12
	s_branch .LBB53_139
.LBB53_137:
	v_mov_b32_e32 v10, 0
	v_mov_b32_e32 v14, 0
	;; [unrolled: 1-line block ×3, first 2 shown]
.LBB53_138:
	s_cbranch_execnz .LBB53_141
.LBB53_139:
	s_load_dwordx4 s[4:7], s[12:13], 0x4
	s_load_dwordx4 s[8:11], s[12:13], 0xc4
	s_cmp_lt_u32 s33, 2
	s_waitcnt lgkmcnt(0)
	v_mul_hi_u32 v3, s5, v1
	v_add_u32_e32 v3, v1, v3
	v_lshrrev_b32_e32 v3, s6, v3
	v_mul_lo_u32 v6, v3, s4
	v_sub_u32_e32 v1, v1, v6
	v_mul_lo_u32 v10, v1, s8
	v_mul_lo_u32 v14, v1, s9
	;; [unrolled: 1-line block ×3, first 2 shown]
	s_cbranch_scc1 .LBB53_141
; %bb.140:
	s_load_dwordx4 s[4:7], s[12:13], 0x10
	s_load_dwordx4 s[8:11], s[12:13], 0xd0
	s_waitcnt lgkmcnt(0)
	v_mul_hi_u32 v1, s5, v3
	v_add_u32_e32 v1, v3, v1
	v_lshrrev_b32_e32 v1, s6, v1
	v_mul_lo_u32 v1, v1, s4
	v_sub_u32_e32 v1, v3, v1
	v_mad_u64_u32 v[10:11], s[2:3], v1, s8, v[10:11]
	v_mad_u64_u32 v[14:15], s[2:3], v1, s9, v[14:15]
	;; [unrolled: 1-line block ×3, first 2 shown]
.LBB53_141:
	s_and_b64 vcc, exec, s[0:1]
	v_add_u32_e32 v1, 0x180, v31
	s_cbranch_vccnz .LBB53_147
; %bb.142:
	s_cmp_lg_u32 s33, 0
	s_cbranch_scc0 .LBB53_148
; %bb.143:
	s_min_u32 s4, s36, 15
	s_add_i32 s2, s4, 1
	s_and_b32 s5, s2, 30
	s_add_u32 s2, s12, 0xffffffe8
	s_addc_u32 s3, s13, -1
	v_mov_b32_e32 v17, 0
	v_mov_b32_e32 v19, 0
	;; [unrolled: 1-line block ×4, first 2 shown]
.LBB53_144:                             ; =>This Inner Loop Header: Depth=1
	s_load_dwordx4 s[8:11], s[2:3], 0x1c
	s_load_dwordx2 s[6:7], s[2:3], 0x2c
	s_load_dwordx2 s[14:15], s[2:3], 0xec
	s_load_dwordx4 s[16:19], s[2:3], 0xdc
	s_add_u32 s2, s2, 24
	s_waitcnt lgkmcnt(0)
	v_mul_hi_u32 v6, s9, v3
	s_addc_u32 s3, s3, 0
	s_add_i32 s5, s5, -2
	s_cmp_lg_u32 s5, 0
	v_add_u32_e32 v6, v3, v6
	v_lshrrev_b32_e32 v6, s10, v6
	v_mul_lo_u32 v8, v6, s8
	v_mul_hi_u32 v11, s6, v6
	v_sub_u32_e32 v8, v3, v8
	v_add_u32_e32 v3, v6, v11
	v_lshrrev_b32_e32 v3, s7, v3
	v_mul_lo_u32 v16, v3, s11
	v_mul_lo_u32 v11, v8, s16
	;; [unrolled: 1-line block ×4, first 2 shown]
	v_sub_u32_e32 v6, v6, v16
	v_mul_lo_u32 v16, v6, s19
	v_mul_lo_u32 v18, v6, s14
	;; [unrolled: 1-line block ×3, first 2 shown]
	v_add3_u32 v15, v11, v15, v16
	v_add3_u32 v19, v13, v19, v18
	v_add3_u32 v17, v8, v17, v6
	s_cbranch_scc1 .LBB53_144
; %bb.145:
	s_bitcmp1_b32 s4, 0
	s_cselect_b64 s[4:5], -1, 0
	s_and_b64 vcc, exec, s[4:5]
	s_cbranch_vccnz .LBB53_149
; %bb.146:
	s_load_dwordx2 s[4:5], s[2:3], 0x1c
	s_load_dword s8, s[2:3], 0x24
	s_load_dwordx2 s[6:7], s[2:3], 0xdc
	s_waitcnt lgkmcnt(0)
	v_mul_hi_u32 v6, s5, v3
	v_add_u32_e32 v6, v3, v6
	v_lshrrev_b32_e32 v6, s8, v6
	v_mul_lo_u32 v6, v6, s4
	s_load_dword s4, s[2:3], 0xe4
	v_sub_u32_e32 v3, v3, v6
	v_mad_u64_u32 v[15:16], s[2:3], v3, s6, v[15:16]
	v_mad_u64_u32 v[19:20], s[2:3], v3, s7, v[19:20]
	s_waitcnt lgkmcnt(0)
	v_mad_u64_u32 v[17:18], s[2:3], v3, s4, v[17:18]
	s_cbranch_execz .LBB53_150
	s_branch .LBB53_152
.LBB53_147:
                                        ; implicit-def: $vgpr15
                                        ; implicit-def: $vgpr19
                                        ; implicit-def: $vgpr17
	s_branch .LBB53_150
.LBB53_148:
	v_mov_b32_e32 v15, 0
	v_mov_b32_e32 v19, 0
	;; [unrolled: 1-line block ×3, first 2 shown]
.LBB53_149:
	s_cbranch_execnz .LBB53_152
.LBB53_150:
	s_load_dwordx4 s[4:7], s[12:13], 0x4
	s_load_dwordx4 s[8:11], s[12:13], 0xc4
	s_cmp_lt_u32 s33, 2
	s_waitcnt lgkmcnt(0)
	v_mul_hi_u32 v3, s5, v1
	v_add_u32_e32 v3, v1, v3
	v_lshrrev_b32_e32 v3, s6, v3
	v_mul_lo_u32 v6, v3, s4
	v_sub_u32_e32 v1, v1, v6
	v_mul_lo_u32 v15, v1, s8
	v_mul_lo_u32 v19, v1, s9
	;; [unrolled: 1-line block ×3, first 2 shown]
	s_cbranch_scc1 .LBB53_152
; %bb.151:
	s_load_dwordx4 s[4:7], s[12:13], 0x10
	s_load_dwordx4 s[8:11], s[12:13], 0xd0
	s_waitcnt lgkmcnt(0)
	v_mul_hi_u32 v1, s5, v3
	v_add_u32_e32 v1, v3, v1
	v_lshrrev_b32_e32 v1, s6, v1
	v_mul_lo_u32 v1, v1, s4
	v_sub_u32_e32 v1, v3, v1
	v_mad_u64_u32 v[15:16], s[2:3], v1, s8, v[15:16]
	v_mad_u64_u32 v[19:20], s[2:3], v1, s9, v[19:20]
	;; [unrolled: 1-line block ×3, first 2 shown]
.LBB53_152:
	s_and_b64 vcc, exec, s[0:1]
	v_add_u32_e32 v1, 0x200, v31
	s_cbranch_vccnz .LBB53_158
; %bb.153:
	s_cmp_lg_u32 s33, 0
	s_cbranch_scc0 .LBB53_159
; %bb.154:
	s_min_u32 s4, s36, 15
	s_add_i32 s2, s4, 1
	s_and_b32 s5, s2, 30
	s_add_u32 s2, s12, 0xffffffe8
	s_addc_u32 s3, s13, -1
	v_mov_b32_e32 v22, 0
	v_mov_b32_e32 v24, 0
	;; [unrolled: 1-line block ×4, first 2 shown]
.LBB53_155:                             ; =>This Inner Loop Header: Depth=1
	s_load_dwordx4 s[8:11], s[2:3], 0x1c
	s_load_dwordx2 s[6:7], s[2:3], 0x2c
	s_load_dwordx2 s[14:15], s[2:3], 0xec
	s_load_dwordx4 s[16:19], s[2:3], 0xdc
	s_add_u32 s2, s2, 24
	s_waitcnt lgkmcnt(0)
	v_mul_hi_u32 v6, s9, v3
	s_addc_u32 s3, s3, 0
	s_add_i32 s5, s5, -2
	s_cmp_lg_u32 s5, 0
	v_add_u32_e32 v6, v3, v6
	v_lshrrev_b32_e32 v6, s10, v6
	v_mul_lo_u32 v8, v6, s8
	v_mul_hi_u32 v11, s6, v6
	v_sub_u32_e32 v8, v3, v8
	v_add_u32_e32 v3, v6, v11
	v_lshrrev_b32_e32 v3, s7, v3
	v_mul_lo_u32 v16, v3, s11
	v_mul_lo_u32 v11, v8, s16
	;; [unrolled: 1-line block ×4, first 2 shown]
	v_sub_u32_e32 v6, v6, v16
	v_mul_lo_u32 v16, v6, s19
	v_mul_lo_u32 v18, v6, s14
	;; [unrolled: 1-line block ×3, first 2 shown]
	v_add3_u32 v20, v11, v20, v16
	v_add3_u32 v24, v13, v24, v18
	;; [unrolled: 1-line block ×3, first 2 shown]
	s_cbranch_scc1 .LBB53_155
; %bb.156:
	s_bitcmp1_b32 s4, 0
	s_cselect_b64 s[4:5], -1, 0
	s_and_b64 vcc, exec, s[4:5]
	s_cbranch_vccnz .LBB53_160
; %bb.157:
	s_load_dwordx2 s[4:5], s[2:3], 0x1c
	s_load_dword s8, s[2:3], 0x24
	s_load_dwordx2 s[6:7], s[2:3], 0xdc
	s_waitcnt lgkmcnt(0)
	v_mul_hi_u32 v6, s5, v3
	v_add_u32_e32 v6, v3, v6
	v_lshrrev_b32_e32 v6, s8, v6
	v_mul_lo_u32 v6, v6, s4
	s_load_dword s4, s[2:3], 0xe4
	v_sub_u32_e32 v3, v3, v6
	v_mad_u64_u32 v[20:21], s[2:3], v3, s6, v[20:21]
	v_mad_u64_u32 v[24:25], s[2:3], v3, s7, v[24:25]
	s_waitcnt lgkmcnt(0)
	v_mad_u64_u32 v[22:23], s[2:3], v3, s4, v[22:23]
	s_cbranch_execz .LBB53_161
	s_branch .LBB53_163
.LBB53_158:
                                        ; implicit-def: $vgpr20
                                        ; implicit-def: $vgpr24
                                        ; implicit-def: $vgpr22
	s_branch .LBB53_161
.LBB53_159:
	v_mov_b32_e32 v20, 0
	v_mov_b32_e32 v24, 0
	;; [unrolled: 1-line block ×3, first 2 shown]
.LBB53_160:
	s_cbranch_execnz .LBB53_163
.LBB53_161:
	s_load_dwordx4 s[4:7], s[12:13], 0x4
	s_load_dwordx4 s[8:11], s[12:13], 0xc4
	s_cmp_lt_u32 s33, 2
	s_waitcnt lgkmcnt(0)
	v_mul_hi_u32 v3, s5, v1
	v_add_u32_e32 v3, v1, v3
	v_lshrrev_b32_e32 v3, s6, v3
	v_mul_lo_u32 v6, v3, s4
	v_sub_u32_e32 v1, v1, v6
	v_mul_lo_u32 v20, v1, s8
	v_mul_lo_u32 v24, v1, s9
	;; [unrolled: 1-line block ×3, first 2 shown]
	s_cbranch_scc1 .LBB53_163
; %bb.162:
	s_load_dwordx4 s[4:7], s[12:13], 0x10
	s_load_dwordx4 s[8:11], s[12:13], 0xd0
	s_waitcnt lgkmcnt(0)
	v_mul_hi_u32 v1, s5, v3
	v_add_u32_e32 v1, v3, v1
	v_lshrrev_b32_e32 v1, s6, v1
	v_mul_lo_u32 v1, v1, s4
	v_sub_u32_e32 v1, v3, v1
	v_mad_u64_u32 v[20:21], s[2:3], v1, s8, v[20:21]
	v_mad_u64_u32 v[24:25], s[2:3], v1, s9, v[24:25]
	;; [unrolled: 1-line block ×3, first 2 shown]
.LBB53_163:
	s_and_b64 vcc, exec, s[0:1]
	v_add_u32_e32 v1, 0x280, v31
	s_cbranch_vccnz .LBB53_169
; %bb.164:
	s_cmp_lg_u32 s33, 0
	s_cbranch_scc0 .LBB53_170
; %bb.165:
	s_min_u32 s4, s36, 15
	s_add_i32 s2, s4, 1
	s_and_b32 s5, s2, 30
	s_add_u32 s2, s12, 0xffffffe8
	s_addc_u32 s3, s13, -1
	v_mov_b32_e32 v27, 0
	v_mov_b32_e32 v29, 0
	;; [unrolled: 1-line block ×4, first 2 shown]
.LBB53_166:                             ; =>This Inner Loop Header: Depth=1
	s_load_dwordx4 s[8:11], s[2:3], 0x1c
	s_load_dwordx2 s[6:7], s[2:3], 0x2c
	s_load_dwordx2 s[14:15], s[2:3], 0xec
	s_load_dwordx4 s[16:19], s[2:3], 0xdc
	s_add_u32 s2, s2, 24
	s_waitcnt lgkmcnt(0)
	v_mul_hi_u32 v6, s9, v3
	s_addc_u32 s3, s3, 0
	s_add_i32 s5, s5, -2
	s_cmp_lg_u32 s5, 0
	v_add_u32_e32 v6, v3, v6
	v_lshrrev_b32_e32 v6, s10, v6
	v_mul_lo_u32 v8, v6, s8
	v_mul_hi_u32 v11, s6, v6
	v_sub_u32_e32 v8, v3, v8
	v_add_u32_e32 v3, v6, v11
	v_lshrrev_b32_e32 v3, s7, v3
	v_mul_lo_u32 v16, v3, s11
	v_mul_lo_u32 v11, v8, s16
	;; [unrolled: 1-line block ×4, first 2 shown]
	v_sub_u32_e32 v6, v6, v16
	v_mul_lo_u32 v16, v6, s19
	v_mul_lo_u32 v18, v6, s14
	;; [unrolled: 1-line block ×3, first 2 shown]
	v_add3_u32 v25, v11, v25, v16
	v_add3_u32 v29, v13, v29, v18
	;; [unrolled: 1-line block ×3, first 2 shown]
	s_cbranch_scc1 .LBB53_166
; %bb.167:
	s_bitcmp1_b32 s4, 0
	s_cselect_b64 s[4:5], -1, 0
	s_and_b64 vcc, exec, s[4:5]
	s_cbranch_vccnz .LBB53_171
; %bb.168:
	s_load_dwordx2 s[4:5], s[2:3], 0x1c
	s_load_dword s8, s[2:3], 0x24
	s_load_dwordx2 s[6:7], s[2:3], 0xdc
	s_waitcnt lgkmcnt(0)
	v_mul_hi_u32 v6, s5, v3
	v_add_u32_e32 v6, v3, v6
	v_lshrrev_b32_e32 v6, s8, v6
	v_mul_lo_u32 v6, v6, s4
	s_load_dword s4, s[2:3], 0xe4
	v_sub_u32_e32 v3, v3, v6
	v_mad_u64_u32 v[25:26], s[2:3], v3, s6, v[25:26]
	v_mad_u64_u32 v[29:30], s[2:3], v3, s7, v[29:30]
	s_waitcnt lgkmcnt(0)
	v_mad_u64_u32 v[27:28], s[2:3], v3, s4, v[27:28]
	s_cbranch_execz .LBB53_172
	s_branch .LBB53_174
.LBB53_169:
                                        ; implicit-def: $vgpr25
                                        ; implicit-def: $vgpr29
                                        ; implicit-def: $vgpr27
	s_branch .LBB53_172
.LBB53_170:
	v_mov_b32_e32 v25, 0
	v_mov_b32_e32 v29, 0
	;; [unrolled: 1-line block ×3, first 2 shown]
.LBB53_171:
	s_cbranch_execnz .LBB53_174
.LBB53_172:
	s_load_dwordx4 s[4:7], s[12:13], 0x4
	s_load_dwordx4 s[8:11], s[12:13], 0xc4
	s_cmp_lt_u32 s33, 2
	s_waitcnt lgkmcnt(0)
	v_mul_hi_u32 v3, s5, v1
	v_add_u32_e32 v3, v1, v3
	v_lshrrev_b32_e32 v3, s6, v3
	v_mul_lo_u32 v6, v3, s4
	v_sub_u32_e32 v1, v1, v6
	v_mul_lo_u32 v25, v1, s8
	v_mul_lo_u32 v29, v1, s9
	;; [unrolled: 1-line block ×3, first 2 shown]
	s_cbranch_scc1 .LBB53_174
; %bb.173:
	s_load_dwordx4 s[4:7], s[12:13], 0x10
	s_load_dwordx4 s[8:11], s[12:13], 0xd0
	s_waitcnt lgkmcnt(0)
	v_mul_hi_u32 v1, s5, v3
	v_add_u32_e32 v1, v3, v1
	v_lshrrev_b32_e32 v1, s6, v1
	v_mul_lo_u32 v1, v1, s4
	v_sub_u32_e32 v1, v3, v1
	v_mad_u64_u32 v[25:26], s[2:3], v1, s8, v[25:26]
	v_mad_u64_u32 v[29:30], s[2:3], v1, s9, v[29:30]
	;; [unrolled: 1-line block ×3, first 2 shown]
.LBB53_174:
	s_and_b64 vcc, exec, s[0:1]
	v_add_u32_e32 v1, 0x300, v31
	s_cbranch_vccnz .LBB53_180
; %bb.175:
	s_cmp_lg_u32 s33, 0
	s_cbranch_scc0 .LBB53_181
; %bb.176:
	s_min_u32 s4, s36, 15
	s_add_i32 s2, s4, 1
	s_and_b32 s5, s2, 30
	s_add_u32 s2, s12, 0xffffffe8
	s_addc_u32 s3, s13, -1
	v_mov_b32_e32 v34, 0
	v_mov_b32_e32 v32, 0
	;; [unrolled: 1-line block ×4, first 2 shown]
.LBB53_177:                             ; =>This Inner Loop Header: Depth=1
	s_load_dwordx4 s[8:11], s[2:3], 0x1c
	s_load_dwordx2 s[6:7], s[2:3], 0x2c
	s_load_dwordx2 s[14:15], s[2:3], 0xec
	s_load_dwordx4 s[16:19], s[2:3], 0xdc
	s_add_u32 s2, s2, 24
	s_waitcnt lgkmcnt(0)
	v_mul_hi_u32 v6, s9, v3
	s_addc_u32 s3, s3, 0
	s_add_i32 s5, s5, -2
	s_cmp_lg_u32 s5, 0
	v_add_u32_e32 v6, v3, v6
	v_lshrrev_b32_e32 v6, s10, v6
	v_mul_lo_u32 v8, v6, s8
	v_mul_hi_u32 v11, s6, v6
	v_sub_u32_e32 v8, v3, v8
	v_add_u32_e32 v3, v6, v11
	v_lshrrev_b32_e32 v3, s7, v3
	v_mul_lo_u32 v16, v3, s11
	v_mul_lo_u32 v11, v8, s16
	;; [unrolled: 1-line block ×4, first 2 shown]
	v_sub_u32_e32 v6, v6, v16
	v_mul_lo_u32 v16, v6, s19
	v_mul_lo_u32 v18, v6, s14
	;; [unrolled: 1-line block ×3, first 2 shown]
	v_add3_u32 v30, v11, v30, v16
	v_add3_u32 v32, v13, v32, v18
	;; [unrolled: 1-line block ×3, first 2 shown]
	s_cbranch_scc1 .LBB53_177
; %bb.178:
	s_bitcmp1_b32 s4, 0
	s_cselect_b64 s[4:5], -1, 0
	s_and_b64 vcc, exec, s[4:5]
	s_cbranch_vccnz .LBB53_182
; %bb.179:
	s_load_dwordx2 s[4:5], s[2:3], 0x1c
	s_load_dword s8, s[2:3], 0x24
	s_load_dwordx2 s[6:7], s[2:3], 0xdc
	s_waitcnt lgkmcnt(0)
	v_mul_hi_u32 v6, s5, v3
	v_add_u32_e32 v6, v3, v6
	v_lshrrev_b32_e32 v6, s8, v6
	v_mul_lo_u32 v6, v6, s4
	s_load_dword s4, s[2:3], 0xe4
	v_sub_u32_e32 v3, v3, v6
	v_mad_u64_u32 v[30:31], s[2:3], v3, s6, v[30:31]
	v_mad_u64_u32 v[32:33], s[2:3], v3, s7, v[32:33]
	s_waitcnt lgkmcnt(0)
	v_mad_u64_u32 v[34:35], s[2:3], v3, s4, v[34:35]
	s_cbranch_execz .LBB53_183
	s_branch .LBB53_185
.LBB53_180:
                                        ; implicit-def: $vgpr30
                                        ; implicit-def: $vgpr32
                                        ; implicit-def: $vgpr34
	s_branch .LBB53_183
.LBB53_181:
	v_mov_b32_e32 v30, 0
	v_mov_b32_e32 v32, 0
	;; [unrolled: 1-line block ×3, first 2 shown]
.LBB53_182:
	s_cbranch_execnz .LBB53_185
.LBB53_183:
	s_load_dwordx4 s[4:7], s[12:13], 0x4
	s_load_dwordx4 s[8:11], s[12:13], 0xc4
	s_cmp_lt_u32 s33, 2
	s_waitcnt lgkmcnt(0)
	v_mul_hi_u32 v3, s5, v1
	v_add_u32_e32 v3, v1, v3
	v_lshrrev_b32_e32 v3, s6, v3
	v_mul_lo_u32 v6, v3, s4
	v_sub_u32_e32 v1, v1, v6
	v_mul_lo_u32 v30, v1, s8
	v_mul_lo_u32 v32, v1, s9
	v_mul_lo_u32 v34, v1, s10
	s_cbranch_scc1 .LBB53_185
; %bb.184:
	s_load_dwordx4 s[4:7], s[12:13], 0x10
	s_load_dwordx4 s[8:11], s[12:13], 0xd0
	s_waitcnt lgkmcnt(0)
	v_mul_hi_u32 v1, s5, v3
	v_add_u32_e32 v1, v3, v1
	v_lshrrev_b32_e32 v1, s6, v1
	v_mul_lo_u32 v1, v1, s4
	v_sub_u32_e32 v1, v3, v1
	v_mad_u64_u32 v[30:31], s[2:3], v1, s8, v[30:31]
	v_mad_u64_u32 v[32:33], s[2:3], v1, s9, v[32:33]
	v_mad_u64_u32 v[34:35], s[2:3], v1, s10, v[34:35]
.LBB53_185:
	s_and_b64 vcc, exec, s[0:1]
	s_cbranch_vccnz .LBB53_191
; %bb.186:
	s_cmp_lg_u32 s33, 0
	s_cbranch_scc0 .LBB53_192
; %bb.187:
	s_min_u32 s2, s36, 15
	s_add_i32 s0, s2, 1
	s_and_b32 s3, s0, 30
	s_add_u32 s0, s12, 0xffffffe8
	s_addc_u32 s1, s13, -1
	v_mov_b32_e32 v39, 0
	v_mov_b32_e32 v37, 0
	;; [unrolled: 1-line block ×4, first 2 shown]
.LBB53_188:                             ; =>This Inner Loop Header: Depth=1
	s_load_dwordx4 s[4:7], s[0:1], 0x1c
	s_load_dwordx2 s[14:15], s[0:1], 0x2c
	s_load_dwordx2 s[16:17], s[0:1], 0xec
	s_load_dwordx4 s[8:11], s[0:1], 0xdc
	s_add_u32 s0, s0, 24
	s_waitcnt lgkmcnt(0)
	v_mul_hi_u32 v3, s5, v1
	s_addc_u32 s1, s1, 0
	s_add_i32 s3, s3, -2
	s_cmp_lg_u32 s3, 0
	v_add_u32_e32 v3, v1, v3
	v_lshrrev_b32_e32 v3, s6, v3
	v_mul_lo_u32 v6, v3, s4
	v_mul_hi_u32 v8, s14, v3
	v_sub_u32_e32 v6, v1, v6
	v_add_u32_e32 v1, v3, v8
	v_lshrrev_b32_e32 v1, s15, v1
	v_mul_lo_u32 v13, v1, s7
	v_mul_lo_u32 v8, v6, s8
	;; [unrolled: 1-line block ×4, first 2 shown]
	v_sub_u32_e32 v3, v3, v13
	v_mul_lo_u32 v13, v3, s11
	v_mul_lo_u32 v16, v3, s16
	;; [unrolled: 1-line block ×3, first 2 shown]
	v_add3_u32 v35, v8, v35, v13
	v_add3_u32 v37, v11, v37, v16
	;; [unrolled: 1-line block ×3, first 2 shown]
	s_cbranch_scc1 .LBB53_188
; %bb.189:
	s_bitcmp1_b32 s2, 0
	s_cselect_b64 s[2:3], -1, 0
	s_and_b64 vcc, exec, s[2:3]
	s_cbranch_vccnz .LBB53_193
; %bb.190:
	s_load_dwordx2 s[2:3], s[0:1], 0x1c
	s_load_dword s6, s[0:1], 0x24
	s_load_dwordx2 s[4:5], s[0:1], 0xdc
	s_waitcnt lgkmcnt(0)
	v_mul_hi_u32 v3, s3, v1
	v_add_u32_e32 v3, v1, v3
	v_lshrrev_b32_e32 v3, s6, v3
	v_mul_lo_u32 v3, v3, s2
	s_load_dword s2, s[0:1], 0xe4
	v_sub_u32_e32 v1, v1, v3
	v_mad_u64_u32 v[35:36], s[0:1], v1, s4, v[35:36]
	v_mad_u64_u32 v[37:38], s[0:1], v1, s5, v[37:38]
	s_waitcnt lgkmcnt(0)
	v_mad_u64_u32 v[39:40], s[0:1], v1, s2, v[39:40]
	s_cbranch_execz .LBB53_194
	s_branch .LBB53_196
.LBB53_191:
                                        ; implicit-def: $vgpr35
                                        ; implicit-def: $vgpr37
                                        ; implicit-def: $vgpr39
	s_branch .LBB53_194
.LBB53_192:
	v_mov_b32_e32 v35, 0
	v_mov_b32_e32 v37, 0
	;; [unrolled: 1-line block ×3, first 2 shown]
.LBB53_193:
	s_cbranch_execnz .LBB53_196
.LBB53_194:
	s_load_dwordx4 s[0:3], s[12:13], 0x4
	s_load_dwordx4 s[4:7], s[12:13], 0xc4
	s_cmp_lt_u32 s33, 2
	s_waitcnt lgkmcnt(0)
	v_mul_hi_u32 v1, s1, v41
	v_add_u32_e32 v1, v41, v1
	v_lshrrev_b32_e32 v1, s2, v1
	v_mul_lo_u32 v3, v1, s0
	v_sub_u32_e32 v3, v41, v3
	v_mul_lo_u32 v35, v3, s4
	v_mul_lo_u32 v37, v3, s5
	;; [unrolled: 1-line block ×3, first 2 shown]
	s_cbranch_scc1 .LBB53_196
; %bb.195:
	s_load_dwordx4 s[0:3], s[12:13], 0x10
	s_load_dwordx4 s[4:7], s[12:13], 0xd0
	s_waitcnt lgkmcnt(0)
	v_mul_hi_u32 v3, s1, v1
	v_add_u32_e32 v3, v1, v3
	v_lshrrev_b32_e32 v3, s2, v3
	v_mul_lo_u32 v3, v3, s0
	v_sub_u32_e32 v1, v1, v3
	v_mad_u64_u32 v[35:36], s[0:1], v1, s4, v[35:36]
	v_mad_u64_u32 v[37:38], s[0:1], v1, s5, v[37:38]
	;; [unrolled: 1-line block ×3, first 2 shown]
.LBB53_196:
	s_load_dwordx4 s[16:19], s[12:13], 0x188
	s_load_dwordx2 s[6:7], s[12:13], 0x198
	s_waitcnt lgkmcnt(0)
	global_load_dwordx2 v[40:41], v4, s[18:19]
	global_load_dwordx2 v[42:43], v2, s[6:7]
	s_nop 0
	global_load_dwordx2 v[1:2], v9, s[18:19]
	global_load_dwordx2 v[3:4], v7, s[6:7]
	s_waitcnt vmcnt(2)
	v_cmp_ne_u64_e32 vcc, v[40:41], v[42:43]
	s_waitcnt vmcnt(0)
	v_cmp_ne_u64_e64 s[0:1], v[1:2], v[3:4]
	global_load_dwordx2 v[1:2], v14, s[18:19]
	global_load_dwordx2 v[3:4], v12, s[6:7]
	s_waitcnt vmcnt(0)
	v_cmp_ne_u64_e64 s[2:3], v[1:2], v[3:4]
	global_load_dwordx2 v[1:2], v19, s[18:19]
	global_load_dwordx2 v[3:4], v17, s[6:7]
	;; [unrolled: 4-line block ×3, first 2 shown]
	global_load_dwordx2 v[6:7], v29, s[18:19]
	global_load_dwordx2 v[8:9], v27, s[6:7]
	;; [unrolled: 1-line block ×6, first 2 shown]
	s_load_dword s6, s[12:13], 0x1a0
	s_waitcnt lgkmcnt(0)
	s_cmp_eq_u32 s6, 0
	s_cselect_b64 s[14:15], -1, 0
	s_xor_b64 s[0:1], s[14:15], s[0:1]
	s_xor_b64 s[18:19], s[14:15], vcc
	s_waitcnt vmcnt(6)
	v_cmp_ne_u64_e64 s[6:7], v[1:2], v[3:4]
	v_cndmask_b32_e64 v2, 0, 1, s[0:1]
	s_xor_b64 s[0:1], s[14:15], s[2:3]
	s_waitcnt vmcnt(4)
	v_cmp_ne_u64_e64 s[8:9], v[6:7], v[8:9]
	v_cndmask_b32_e64 v3, 0, 1, s[0:1]
	s_xor_b64 s[0:1], s[14:15], s[4:5]
	;; [unrolled: 4-line block ×4, first 2 shown]
	v_cndmask_b32_e64 v7, 0, 1, s[0:1]
	s_xor_b64 s[0:1], s[14:15], s[10:11]
	v_cndmask_b32_e64 v1, 0, 1, s[18:19]
	v_cndmask_b32_e64 v8, 0, 1, s[0:1]
	s_xor_b64 s[0:1], s[14:15], s[12:13]
	v_cndmask_b32_e64 v9, 0, 1, s[0:1]
	global_store_byte v0, v1, s[16:17]
	global_store_byte v5, v2, s[16:17]
	;; [unrolled: 1-line block ×8, first 2 shown]
	s_endpgm
	.section	.rodata,"a",@progbits
	.p2align	6, 0x0
	.amdhsa_kernel _ZN2at6native32elementwise_kernel_manual_unrollILi128ELi8EZNS0_22gpu_kernel_impl_nocastINS0_13BinaryFunctorIllbNS0_12_GLOBAL__N_116CompareEqFunctorIlEEEEEEvRNS_18TensorIteratorBaseERKT_EUlibE_EEviT1_
		.amdhsa_group_segment_fixed_size 0
		.amdhsa_private_segment_fixed_size 0
		.amdhsa_kernarg_size 432
		.amdhsa_user_sgpr_count 6
		.amdhsa_user_sgpr_private_segment_buffer 1
		.amdhsa_user_sgpr_dispatch_ptr 0
		.amdhsa_user_sgpr_queue_ptr 0
		.amdhsa_user_sgpr_kernarg_segment_ptr 1
		.amdhsa_user_sgpr_dispatch_id 0
		.amdhsa_user_sgpr_flat_scratch_init 0
		.amdhsa_user_sgpr_private_segment_size 0
		.amdhsa_uses_dynamic_stack 0
		.amdhsa_system_sgpr_private_segment_wavefront_offset 0
		.amdhsa_system_sgpr_workgroup_id_x 1
		.amdhsa_system_sgpr_workgroup_id_y 0
		.amdhsa_system_sgpr_workgroup_id_z 0
		.amdhsa_system_sgpr_workgroup_info 0
		.amdhsa_system_vgpr_workitem_id 0
		.amdhsa_next_free_vgpr 44
		.amdhsa_next_free_sgpr 52
		.amdhsa_reserve_vcc 1
		.amdhsa_reserve_flat_scratch 0
		.amdhsa_float_round_mode_32 0
		.amdhsa_float_round_mode_16_64 0
		.amdhsa_float_denorm_mode_32 3
		.amdhsa_float_denorm_mode_16_64 3
		.amdhsa_dx10_clamp 1
		.amdhsa_ieee_mode 1
		.amdhsa_fp16_overflow 0
		.amdhsa_exception_fp_ieee_invalid_op 0
		.amdhsa_exception_fp_denorm_src 0
		.amdhsa_exception_fp_ieee_div_zero 0
		.amdhsa_exception_fp_ieee_overflow 0
		.amdhsa_exception_fp_ieee_underflow 0
		.amdhsa_exception_fp_ieee_inexact 0
		.amdhsa_exception_int_div_zero 0
	.end_amdhsa_kernel
	.section	.text._ZN2at6native32elementwise_kernel_manual_unrollILi128ELi8EZNS0_22gpu_kernel_impl_nocastINS0_13BinaryFunctorIllbNS0_12_GLOBAL__N_116CompareEqFunctorIlEEEEEEvRNS_18TensorIteratorBaseERKT_EUlibE_EEviT1_,"axG",@progbits,_ZN2at6native32elementwise_kernel_manual_unrollILi128ELi8EZNS0_22gpu_kernel_impl_nocastINS0_13BinaryFunctorIllbNS0_12_GLOBAL__N_116CompareEqFunctorIlEEEEEEvRNS_18TensorIteratorBaseERKT_EUlibE_EEviT1_,comdat
.Lfunc_end53:
	.size	_ZN2at6native32elementwise_kernel_manual_unrollILi128ELi8EZNS0_22gpu_kernel_impl_nocastINS0_13BinaryFunctorIllbNS0_12_GLOBAL__N_116CompareEqFunctorIlEEEEEEvRNS_18TensorIteratorBaseERKT_EUlibE_EEviT1_, .Lfunc_end53-_ZN2at6native32elementwise_kernel_manual_unrollILi128ELi8EZNS0_22gpu_kernel_impl_nocastINS0_13BinaryFunctorIllbNS0_12_GLOBAL__N_116CompareEqFunctorIlEEEEEEvRNS_18TensorIteratorBaseERKT_EUlibE_EEviT1_
                                        ; -- End function
	.set _ZN2at6native32elementwise_kernel_manual_unrollILi128ELi8EZNS0_22gpu_kernel_impl_nocastINS0_13BinaryFunctorIllbNS0_12_GLOBAL__N_116CompareEqFunctorIlEEEEEEvRNS_18TensorIteratorBaseERKT_EUlibE_EEviT1_.num_vgpr, 44
	.set _ZN2at6native32elementwise_kernel_manual_unrollILi128ELi8EZNS0_22gpu_kernel_impl_nocastINS0_13BinaryFunctorIllbNS0_12_GLOBAL__N_116CompareEqFunctorIlEEEEEEvRNS_18TensorIteratorBaseERKT_EUlibE_EEviT1_.num_agpr, 0
	.set _ZN2at6native32elementwise_kernel_manual_unrollILi128ELi8EZNS0_22gpu_kernel_impl_nocastINS0_13BinaryFunctorIllbNS0_12_GLOBAL__N_116CompareEqFunctorIlEEEEEEvRNS_18TensorIteratorBaseERKT_EUlibE_EEviT1_.numbered_sgpr, 52
	.set _ZN2at6native32elementwise_kernel_manual_unrollILi128ELi8EZNS0_22gpu_kernel_impl_nocastINS0_13BinaryFunctorIllbNS0_12_GLOBAL__N_116CompareEqFunctorIlEEEEEEvRNS_18TensorIteratorBaseERKT_EUlibE_EEviT1_.num_named_barrier, 0
	.set _ZN2at6native32elementwise_kernel_manual_unrollILi128ELi8EZNS0_22gpu_kernel_impl_nocastINS0_13BinaryFunctorIllbNS0_12_GLOBAL__N_116CompareEqFunctorIlEEEEEEvRNS_18TensorIteratorBaseERKT_EUlibE_EEviT1_.private_seg_size, 0
	.set _ZN2at6native32elementwise_kernel_manual_unrollILi128ELi8EZNS0_22gpu_kernel_impl_nocastINS0_13BinaryFunctorIllbNS0_12_GLOBAL__N_116CompareEqFunctorIlEEEEEEvRNS_18TensorIteratorBaseERKT_EUlibE_EEviT1_.uses_vcc, 1
	.set _ZN2at6native32elementwise_kernel_manual_unrollILi128ELi8EZNS0_22gpu_kernel_impl_nocastINS0_13BinaryFunctorIllbNS0_12_GLOBAL__N_116CompareEqFunctorIlEEEEEEvRNS_18TensorIteratorBaseERKT_EUlibE_EEviT1_.uses_flat_scratch, 0
	.set _ZN2at6native32elementwise_kernel_manual_unrollILi128ELi8EZNS0_22gpu_kernel_impl_nocastINS0_13BinaryFunctorIllbNS0_12_GLOBAL__N_116CompareEqFunctorIlEEEEEEvRNS_18TensorIteratorBaseERKT_EUlibE_EEviT1_.has_dyn_sized_stack, 0
	.set _ZN2at6native32elementwise_kernel_manual_unrollILi128ELi8EZNS0_22gpu_kernel_impl_nocastINS0_13BinaryFunctorIllbNS0_12_GLOBAL__N_116CompareEqFunctorIlEEEEEEvRNS_18TensorIteratorBaseERKT_EUlibE_EEviT1_.has_recursion, 0
	.set _ZN2at6native32elementwise_kernel_manual_unrollILi128ELi8EZNS0_22gpu_kernel_impl_nocastINS0_13BinaryFunctorIllbNS0_12_GLOBAL__N_116CompareEqFunctorIlEEEEEEvRNS_18TensorIteratorBaseERKT_EUlibE_EEviT1_.has_indirect_call, 0
	.section	.AMDGPU.csdata,"",@progbits
; Kernel info:
; codeLenInByte = 9384
; TotalNumSgprs: 56
; NumVgprs: 44
; ScratchSize: 0
; MemoryBound: 0
; FloatMode: 240
; IeeeMode: 1
; LDSByteSize: 0 bytes/workgroup (compile time only)
; SGPRBlocks: 6
; VGPRBlocks: 10
; NumSGPRsForWavesPerEU: 56
; NumVGPRsForWavesPerEU: 44
; Occupancy: 5
; WaveLimiterHint : 1
; COMPUTE_PGM_RSRC2:SCRATCH_EN: 0
; COMPUTE_PGM_RSRC2:USER_SGPR: 6
; COMPUTE_PGM_RSRC2:TRAP_HANDLER: 0
; COMPUTE_PGM_RSRC2:TGID_X_EN: 1
; COMPUTE_PGM_RSRC2:TGID_Y_EN: 0
; COMPUTE_PGM_RSRC2:TGID_Z_EN: 0
; COMPUTE_PGM_RSRC2:TIDIG_COMP_CNT: 0
	.section	.text._ZN2at6native32elementwise_kernel_manual_unrollILi128ELi4EZNS0_15gpu_kernel_implINS0_13BinaryFunctorIllbNS0_12_GLOBAL__N_116CompareEqFunctorIlEEEEEEvRNS_18TensorIteratorBaseERKT_EUlibE_EEviT1_,"axG",@progbits,_ZN2at6native32elementwise_kernel_manual_unrollILi128ELi4EZNS0_15gpu_kernel_implINS0_13BinaryFunctorIllbNS0_12_GLOBAL__N_116CompareEqFunctorIlEEEEEEvRNS_18TensorIteratorBaseERKT_EUlibE_EEviT1_,comdat
	.globl	_ZN2at6native32elementwise_kernel_manual_unrollILi128ELi4EZNS0_15gpu_kernel_implINS0_13BinaryFunctorIllbNS0_12_GLOBAL__N_116CompareEqFunctorIlEEEEEEvRNS_18TensorIteratorBaseERKT_EUlibE_EEviT1_ ; -- Begin function _ZN2at6native32elementwise_kernel_manual_unrollILi128ELi4EZNS0_15gpu_kernel_implINS0_13BinaryFunctorIllbNS0_12_GLOBAL__N_116CompareEqFunctorIlEEEEEEvRNS_18TensorIteratorBaseERKT_EUlibE_EEviT1_
	.p2align	8
	.type	_ZN2at6native32elementwise_kernel_manual_unrollILi128ELi4EZNS0_15gpu_kernel_implINS0_13BinaryFunctorIllbNS0_12_GLOBAL__N_116CompareEqFunctorIlEEEEEEvRNS_18TensorIteratorBaseERKT_EUlibE_EEviT1_,@function
_ZN2at6native32elementwise_kernel_manual_unrollILi128ELi4EZNS0_15gpu_kernel_implINS0_13BinaryFunctorIllbNS0_12_GLOBAL__N_116CompareEqFunctorIlEEEEEEvRNS_18TensorIteratorBaseERKT_EUlibE_EEviT1_: ; @_ZN2at6native32elementwise_kernel_manual_unrollILi128ELi4EZNS0_15gpu_kernel_implINS0_13BinaryFunctorIllbNS0_12_GLOBAL__N_116CompareEqFunctorIlEEEEEEvRNS_18TensorIteratorBaseERKT_EUlibE_EEviT1_
; %bb.0:
	s_load_dword s33, s[4:5], 0x30
	s_load_dword s50, s[4:5], 0x0
	s_load_dwordx4 s[8:11], s[4:5], 0x8
	s_load_dwordx2 s[2:3], s[4:5], 0x18
	s_load_dwordx4 s[12:15], s[4:5], 0x20
	v_lshl_or_b32 v18, s6, 9, v0
	v_or_b32_e32 v0, 0x180, v18
	s_waitcnt lgkmcnt(0)
	s_lshr_b32 s57, s33, 8
	s_lshr_b32 s56, s33, 16
	v_cmp_le_i32_e32 vcc, s50, v0
	s_mov_b64 s[4:5], 0
	s_mov_b64 s[16:17], 0
	s_and_saveexec_b64 s[0:1], vcc
	s_xor_b64 s[6:7], exec, s[0:1]
	s_cbranch_execz .LBB54_1512
; %bb.1:
	s_cmp_eq_u32 s15, 0
	s_cselect_b64 s[16:17], -1, 0
	v_cmp_gt_i32_e32 vcc, s50, v18
	s_mov_b64 s[0:1], -1
	s_mov_b64 s[28:29], 0
	s_mov_b64 s[22:23], 0
	s_mov_b64 s[20:21], 0
	s_mov_b64 s[18:19], 0
	s_and_saveexec_b64 s[24:25], vcc
	s_cbranch_execz .LBB54_375
; %bb.2:
	v_mul_lo_u32 v0, v18, s13
	v_mov_b32_e32 v1, s11
	s_and_b32 s20, s57, 0xff
	s_cmp_lt_i32 s20, 11
	v_ashrrev_i32_e32 v3, 31, v0
	v_add_co_u32_e32 v2, vcc, s10, v0
	v_addc_co_u32_e32 v3, vcc, v1, v3, vcc
	s_cbranch_scc1 .LBB54_9
; %bb.3:
	s_and_b32 s21, 0xffff, s20
	s_cmp_gt_i32 s21, 25
	s_cbranch_scc0 .LBB54_18
; %bb.4:
	s_cmp_gt_i32 s21, 28
	s_cbranch_scc0 .LBB54_28
; %bb.5:
	s_cmp_gt_i32 s21, 43
	s_cbranch_scc0 .LBB54_31
; %bb.6:
	s_cmp_gt_i32 s21, 45
	s_cbranch_scc0 .LBB54_34
; %bb.7:
	s_cmp_eq_u32 s21, 46
	s_cbranch_scc0 .LBB54_37
; %bb.8:
	global_load_dword v0, v[2:3], off
	s_mov_b32 s0, 0x2f800000
	s_mov_b32 s1, 0xcf800000
	s_waitcnt vmcnt(0)
	v_lshlrev_b32_e32 v0, 16, v0
	v_trunc_f32_e32 v0, v0
	v_mul_f32_e64 v1, |v0|, s0
	v_floor_f32_e32 v1, v1
	v_fma_f32 v4, v1, s1, |v0|
	v_cvt_u32_f32_e32 v4, v4
	v_cvt_u32_f32_e32 v1, v1
	v_ashrrev_i32_e32 v5, 31, v0
	s_mov_b64 s[0:1], -1
	v_xor_b32_e32 v0, v4, v5
	v_xor_b32_e32 v1, v1, v5
	v_sub_co_u32_e32 v0, vcc, v0, v5
	v_subb_co_u32_e32 v1, vcc, v1, v5, vcc
	s_branch .LBB54_39
.LBB54_9:
                                        ; implicit-def: $vgpr0_vgpr1
	s_mov_b64 s[0:1], 0
	s_cbranch_execnz .LBB54_101
.LBB54_10:
	s_andn2_b64 vcc, exec, s[0:1]
	s_cbranch_vccnz .LBB54_148
.LBB54_11:
	v_mul_lo_u32 v2, v18, s14
	v_mov_b32_e32 v3, s3
	s_and_b32 s26, s56, 0xff
	s_cmp_lt_i32 s26, 11
	v_ashrrev_i32_e32 v4, 31, v2
	v_add_co_u32_e32 v2, vcc, s2, v2
	v_addc_co_u32_e32 v3, vcc, v3, v4, vcc
	s_cbranch_scc1 .LBB54_19
; %bb.12:
	s_and_b32 s27, 0xffff, s26
	s_cmp_gt_i32 s27, 25
	s_cbranch_scc0 .LBB54_29
; %bb.13:
	s_cmp_gt_i32 s27, 28
	s_cbranch_scc0 .LBB54_32
; %bb.14:
	;; [unrolled: 3-line block ×4, first 2 shown]
	s_cmp_eq_u32 s27, 46
	s_mov_b64 s[18:19], 0
	s_cbranch_scc0 .LBB54_149
; %bb.17:
	global_load_dword v4, v[2:3], off
	s_mov_b32 s0, 0x2f800000
	s_mov_b32 s1, 0xcf800000
	s_mov_b64 s[20:21], 0
	s_waitcnt vmcnt(0)
	v_lshlrev_b32_e32 v4, 16, v4
	v_trunc_f32_e32 v4, v4
	v_mul_f32_e64 v5, |v4|, s0
	v_floor_f32_e32 v5, v5
	v_fma_f32 v6, v5, s1, |v4|
	v_cvt_u32_f32_e32 v6, v6
	v_cvt_u32_f32_e32 v5, v5
	v_ashrrev_i32_e32 v7, 31, v4
	s_mov_b64 s[0:1], -1
	v_xor_b32_e32 v4, v6, v7
	v_xor_b32_e32 v5, v5, v7
	v_sub_co_u32_e32 v4, vcc, v4, v7
	v_subb_co_u32_e32 v5, vcc, v5, v7, vcc
	s_branch .LBB54_151
.LBB54_18:
	s_mov_b64 s[0:1], 0
                                        ; implicit-def: $vgpr0_vgpr1
	s_cbranch_execnz .LBB54_70
	s_branch .LBB54_100
.LBB54_19:
	s_mov_b64 s[20:21], 0
                                        ; implicit-def: $vgpr4_vgpr5
	s_mov_b64 s[0:1], 0
	s_cbranch_execnz .LBB54_324
.LBB54_20:
	s_andn2_b64 vcc, exec, s[0:1]
	s_cbranch_vccnz .LBB54_372
.LBB54_21:
	v_mul_lo_u32 v2, v18, s12
	s_waitcnt vmcnt(0)
	v_cmp_ne_u64_e32 vcc, v[0:1], v[4:5]
	v_mov_b32_e32 v1, s9
	s_xor_b64 s[18:19], s[16:17], vcc
	v_ashrrev_i32_e32 v3, 31, v2
	s_and_b32 s36, s33, 0xff
	v_add_co_u32_e32 v0, vcc, s8, v2
	s_cmp_lt_i32 s36, 11
	v_addc_co_u32_e32 v1, vcc, v1, v3, vcc
	s_cbranch_scc1 .LBB54_30
; %bb.22:
	s_and_b32 s37, 0xffff, s36
	s_cmp_gt_i32 s37, 25
	s_cbranch_scc0 .LBB54_33
; %bb.23:
	s_cmp_gt_i32 s37, 28
	s_cbranch_scc0 .LBB54_36
; %bb.24:
	;; [unrolled: 3-line block ×4, first 2 shown]
	s_mov_b64 s[30:31], 0
	s_mov_b64 s[0:1], -1
	s_cmp_eq_u32 s37, 46
	s_mov_b64 s[26:27], 0
	s_cbranch_scc0 .LBB54_155
; %bb.27:
	v_cndmask_b32_e64 v2, 0, 1.0, s[18:19]
	v_bfe_u32 v3, v2, 16, 1
	s_movk_i32 s0, 0x7fff
	v_add3_u32 v2, v2, v3, s0
	v_lshrrev_b32_e32 v2, 16, v2
	global_store_dword v[0:1], v2, off
	s_mov_b64 s[26:27], -1
	s_mov_b64 s[0:1], 0
	s_branch .LBB54_155
.LBB54_28:
	s_mov_b64 s[18:19], -1
	s_mov_b64 s[0:1], 0
                                        ; implicit-def: $vgpr0_vgpr1
	s_branch .LBB54_51
.LBB54_29:
	s_mov_b64 s[18:19], -1
	s_mov_b64 s[20:21], 0
	s_mov_b64 s[0:1], 0
                                        ; implicit-def: $vgpr4_vgpr5
	s_branch .LBB54_292
.LBB54_30:
	s_mov_b64 s[30:31], -1
	s_mov_b64 s[0:1], 0
	s_mov_b64 s[26:27], 0
	s_branch .LBB54_224
.LBB54_31:
	s_mov_b64 s[18:19], -1
	s_mov_b64 s[0:1], 0
                                        ; implicit-def: $vgpr0_vgpr1
	s_branch .LBB54_46
.LBB54_32:
	s_mov_b64 s[18:19], -1
	s_mov_b64 s[20:21], 0
	s_mov_b64 s[0:1], 0
                                        ; implicit-def: $vgpr4_vgpr5
	s_branch .LBB54_273
.LBB54_33:
	s_mov_b64 s[30:31], -1
	s_mov_b64 s[0:1], 0
	s_mov_b64 s[26:27], 0
	s_branch .LBB54_182
.LBB54_34:
	s_mov_b64 s[18:19], -1
	s_branch .LBB54_38
.LBB54_35:
	s_mov_b64 s[18:19], -1
	s_mov_b64 s[20:21], 0
	s_mov_b64 s[0:1], 0
                                        ; implicit-def: $vgpr4_vgpr5
	s_branch .LBB54_268
.LBB54_36:
	s_mov_b64 s[30:31], -1
	s_mov_b64 s[0:1], 0
	s_mov_b64 s[26:27], 0
	s_branch .LBB54_165
.LBB54_37:
	s_mov_b64 s[22:23], -1
.LBB54_38:
	s_mov_b64 s[0:1], 0
                                        ; implicit-def: $vgpr0_vgpr1
.LBB54_39:
	s_and_b64 vcc, exec, s[18:19]
	s_cbranch_vccz .LBB54_45
; %bb.40:
	s_cmp_eq_u32 s21, 44
	s_cbranch_scc0 .LBB54_44
; %bb.41:
	global_load_ubyte v0, v[2:3], off
	s_mov_b32 s0, 0x2f800000
	s_mov_b32 s1, 0xcf800000
	s_mov_b64 s[22:23], 0
	s_waitcnt vmcnt(0)
	v_lshlrev_b32_e32 v1, 23, v0
	v_trunc_f32_e32 v1, v1
	v_mul_f32_e64 v4, |v1|, s0
	v_floor_f32_e32 v4, v4
	v_fma_f32 v5, v4, s1, |v1|
	v_cvt_u32_f32_e32 v5, v5
	v_cvt_u32_f32_e32 v4, v4
	v_ashrrev_i32_e32 v1, 31, v1
	s_mov_b64 s[0:1], -1
	v_xor_b32_e32 v5, v5, v1
	v_xor_b32_e32 v4, v4, v1
	v_sub_co_u32_e32 v5, vcc, v5, v1
	v_subb_co_u32_e32 v1, vcc, v4, v1, vcc
	v_cmp_ne_u32_e32 vcc, 0, v0
	v_cndmask_b32_e32 v1, 0, v1, vcc
	v_cndmask_b32_e32 v0, 0, v5, vcc
	s_branch .LBB54_45
.LBB54_42:
	s_mov_b64 s[18:19], -1
	s_mov_b64 s[20:21], 0
	s_branch .LBB54_150
.LBB54_43:
	s_mov_b64 s[30:31], -1
	s_mov_b64 s[0:1], 0
	s_mov_b64 s[26:27], 0
	s_branch .LBB54_161
.LBB54_44:
	s_mov_b64 s[22:23], -1
                                        ; implicit-def: $vgpr0_vgpr1
.LBB54_45:
	s_mov_b64 s[18:19], 0
.LBB54_46:
	s_and_b64 vcc, exec, s[18:19]
	s_cbranch_vccz .LBB54_50
; %bb.47:
	s_cmp_eq_u32 s21, 29
	s_cbranch_scc0 .LBB54_49
; %bb.48:
	global_load_dwordx2 v[0:1], v[2:3], off
	s_mov_b64 s[0:1], -1
	s_mov_b64 s[22:23], 0
	s_branch .LBB54_50
.LBB54_49:
	s_mov_b64 s[22:23], -1
                                        ; implicit-def: $vgpr0_vgpr1
.LBB54_50:
	s_mov_b64 s[18:19], 0
.LBB54_51:
	s_and_b64 vcc, exec, s[18:19]
	s_cbranch_vccz .LBB54_69
; %bb.52:
	s_cmp_lt_i32 s21, 27
	s_cbranch_scc1 .LBB54_55
; %bb.53:
	s_cmp_gt_i32 s21, 27
	s_cbranch_scc0 .LBB54_56
; %bb.54:
	global_load_dword v0, v[2:3], off
	s_waitcnt vmcnt(1)
	v_mov_b32_e32 v1, 0
	s_mov_b64 s[0:1], 0
	s_branch .LBB54_57
.LBB54_55:
	s_mov_b64 s[0:1], -1
                                        ; implicit-def: $vgpr0_vgpr1
	s_branch .LBB54_60
.LBB54_56:
	s_mov_b64 s[0:1], -1
                                        ; implicit-def: $vgpr0_vgpr1
.LBB54_57:
	s_andn2_b64 vcc, exec, s[0:1]
	s_cbranch_vccnz .LBB54_59
; %bb.58:
	global_load_ushort v0, v[2:3], off
	s_mov_b32 s0, 0
	s_waitcnt vmcnt(1)
	v_mov_b32_e32 v1, s0
	s_waitcnt vmcnt(0)
	v_and_b32_e32 v0, 0xffff, v0
.LBB54_59:
	s_mov_b64 s[0:1], 0
.LBB54_60:
	s_andn2_b64 vcc, exec, s[0:1]
	s_cbranch_vccnz .LBB54_68
; %bb.61:
	global_load_ubyte v4, v[2:3], off
	s_movk_i32 s0, 0x7f
	s_mov_b64 s[18:19], 0
	s_waitcnt vmcnt(0)
	v_cmp_lt_i16_e32 vcc, s0, v4
	s_and_saveexec_b64 s[0:1], vcc
	s_xor_b64 s[0:1], exec, s[0:1]
; %bb.62:
	s_movk_i32 s18, 0x80
	v_cmp_ne_u16_e32 vcc, s18, v4
	s_and_b64 s[18:19], vcc, exec
; %bb.63:
	s_andn2_saveexec_b64 s[0:1], s[0:1]
; %bb.64:
	v_cmp_ne_u16_e32 vcc, 0, v4
	s_andn2_b64 s[18:19], s[18:19], exec
	s_and_b64 s[26:27], vcc, exec
	s_or_b64 s[18:19], s[18:19], s[26:27]
; %bb.65:
	s_or_b64 exec, exec, s[0:1]
	v_mov_b32_e32 v0, 0
	v_mov_b32_e32 v1, 0
	s_and_saveexec_b64 s[0:1], s[18:19]
	s_cbranch_execz .LBB54_67
; %bb.66:
	v_and_b32_e32 v1, 0xffff, v4
	v_lshlrev_b32_e32 v0, 24, v4
	v_and_b32_e32 v4, 7, v1
	v_ffbh_u32_e32 v6, v4
	v_min_u32_e32 v6, 32, v6
	v_subrev_u32_e32 v7, 28, v6
	v_bfe_u32 v5, v1, 3, 4
	v_lshlrev_b32_e32 v1, v7, v1
	v_sub_u32_e32 v6, 29, v6
	v_and_b32_e32 v1, 7, v1
	v_cmp_eq_u32_e32 vcc, 0, v5
	v_cndmask_b32_e32 v5, v5, v6, vcc
	v_cndmask_b32_e32 v1, v4, v1, vcc
	v_mov_b32_e32 v4, 0x3b800000
	v_lshlrev_b32_e32 v1, 20, v1
	v_and_b32_e32 v0, 0x80000000, v0
	v_lshl_add_u32 v4, v5, 23, v4
	v_or3_b32 v0, v0, v4, v1
	v_trunc_f32_e32 v0, v0
	s_mov_b32 s18, 0x2f800000
	v_mul_f32_e64 v1, |v0|, s18
	v_floor_f32_e32 v1, v1
	s_mov_b32 s18, 0xcf800000
	v_fma_f32 v4, v1, s18, |v0|
	v_cvt_u32_f32_e32 v4, v4
	v_cvt_u32_f32_e32 v1, v1
	v_ashrrev_i32_e32 v5, 31, v0
	v_xor_b32_e32 v0, v4, v5
	v_xor_b32_e32 v1, v1, v5
	v_sub_co_u32_e32 v0, vcc, v0, v5
	v_subb_co_u32_e32 v1, vcc, v1, v5, vcc
.LBB54_67:
	s_or_b64 exec, exec, s[0:1]
.LBB54_68:
	s_mov_b64 s[0:1], -1
.LBB54_69:
	s_branch .LBB54_100
.LBB54_70:
	s_cmp_gt_i32 s21, 22
	s_cbranch_scc0 .LBB54_80
; %bb.71:
	s_cmp_lt_i32 s21, 24
	s_cbranch_scc1 .LBB54_81
; %bb.72:
	s_cmp_gt_i32 s21, 24
	s_cbranch_scc0 .LBB54_82
; %bb.73:
	global_load_ubyte v4, v[2:3], off
	s_movk_i32 s0, 0x7f
	s_mov_b64 s[18:19], 0
	s_waitcnt vmcnt(0)
	v_cmp_lt_i16_e32 vcc, s0, v4
	s_and_saveexec_b64 s[0:1], vcc
	s_xor_b64 s[0:1], exec, s[0:1]
; %bb.74:
	s_movk_i32 s18, 0x80
	v_cmp_ne_u16_e32 vcc, s18, v4
	s_and_b64 s[18:19], vcc, exec
; %bb.75:
	s_andn2_saveexec_b64 s[0:1], s[0:1]
; %bb.76:
	v_cmp_ne_u16_e32 vcc, 0, v4
	s_andn2_b64 s[18:19], s[18:19], exec
	s_and_b64 s[26:27], vcc, exec
	s_or_b64 s[18:19], s[18:19], s[26:27]
; %bb.77:
	s_or_b64 exec, exec, s[0:1]
	v_mov_b32_e32 v0, 0
	v_mov_b32_e32 v1, 0
	s_and_saveexec_b64 s[0:1], s[18:19]
	s_cbranch_execz .LBB54_79
; %bb.78:
	v_and_b32_e32 v1, 0xffff, v4
	v_lshlrev_b32_e32 v0, 24, v4
	v_and_b32_e32 v4, 3, v1
	v_ffbh_u32_e32 v6, v4
	v_min_u32_e32 v6, 32, v6
	v_subrev_u32_e32 v7, 29, v6
	v_bfe_u32 v5, v1, 2, 5
	v_lshlrev_b32_e32 v1, v7, v1
	v_sub_u32_e32 v6, 30, v6
	v_and_b32_e32 v1, 3, v1
	v_cmp_eq_u32_e32 vcc, 0, v5
	v_cndmask_b32_e32 v5, v5, v6, vcc
	v_cndmask_b32_e32 v1, v4, v1, vcc
	v_mov_b32_e32 v4, 0x37800000
	v_lshlrev_b32_e32 v1, 21, v1
	v_and_b32_e32 v0, 0x80000000, v0
	v_lshl_add_u32 v4, v5, 23, v4
	v_or3_b32 v0, v0, v4, v1
	v_trunc_f32_e32 v0, v0
	s_mov_b32 s18, 0x2f800000
	v_mul_f32_e64 v1, |v0|, s18
	v_floor_f32_e32 v1, v1
	s_mov_b32 s18, 0xcf800000
	v_fma_f32 v4, v1, s18, |v0|
	v_cvt_u32_f32_e32 v4, v4
	v_cvt_u32_f32_e32 v1, v1
	v_ashrrev_i32_e32 v5, 31, v0
	v_xor_b32_e32 v0, v4, v5
	v_xor_b32_e32 v1, v1, v5
	v_sub_co_u32_e32 v0, vcc, v0, v5
	v_subb_co_u32_e32 v1, vcc, v1, v5, vcc
.LBB54_79:
	s_or_b64 exec, exec, s[0:1]
	s_mov_b64 s[0:1], 0
	s_branch .LBB54_83
.LBB54_80:
	s_mov_b64 s[18:19], -1
                                        ; implicit-def: $vgpr0_vgpr1
	s_branch .LBB54_89
.LBB54_81:
	s_mov_b64 s[0:1], -1
                                        ; implicit-def: $vgpr0_vgpr1
	s_branch .LBB54_86
.LBB54_82:
	s_mov_b64 s[0:1], -1
                                        ; implicit-def: $vgpr0_vgpr1
.LBB54_83:
	s_and_b64 vcc, exec, s[0:1]
	s_cbranch_vccz .LBB54_85
; %bb.84:
	global_load_ubyte v0, v[2:3], off
	s_mov_b32 s0, 0x7f800000
	s_brev_b32 s1, 1
	s_mov_b32 s18, 0x2f800000
	s_mov_b32 s19, 0xcf800000
	s_waitcnt vmcnt(0)
	v_lshlrev_b32_e32 v0, 24, v0
	v_and_b32_e32 v1, 0x7f000000, v0
	v_ffbh_u32_e32 v4, v1
	v_min_u32_e32 v4, 32, v4
	v_sub_u32_e64 v4, v4, 4 clamp
	v_lshlrev_b32_e32 v6, v4, v1
	v_lshlrev_b32_e32 v4, 23, v4
	v_lshrrev_b32_e32 v6, 4, v6
	v_add_u32_e32 v5, 0x1000000, v1
	v_sub_u32_e32 v4, v6, v4
	v_ashrrev_i32_e32 v5, 8, v5
	v_add_u32_e32 v4, 0x3c000000, v4
	v_and_or_b32 v4, v5, s0, v4
	v_cmp_ne_u32_e32 vcc, 0, v1
	v_cndmask_b32_e32 v1, 0, v4, vcc
	v_and_or_b32 v0, v0, s1, v1
	v_trunc_f32_e32 v0, v0
	v_mul_f32_e64 v1, |v0|, s18
	v_floor_f32_e32 v1, v1
	v_fma_f32 v4, v1, s19, |v0|
	v_cvt_u32_f32_e32 v4, v4
	v_cvt_u32_f32_e32 v1, v1
	v_ashrrev_i32_e32 v5, 31, v0
	v_xor_b32_e32 v0, v4, v5
	v_xor_b32_e32 v1, v1, v5
	v_sub_co_u32_e32 v0, vcc, v0, v5
	v_subb_co_u32_e32 v1, vcc, v1, v5, vcc
.LBB54_85:
	s_mov_b64 s[0:1], 0
.LBB54_86:
	s_andn2_b64 vcc, exec, s[0:1]
	s_cbranch_vccnz .LBB54_88
; %bb.87:
	global_load_ubyte v0, v[2:3], off
	s_movk_i32 s0, 0x7f00
	s_brev_b32 s1, 16
	s_brev_b32 s18, 1
	s_mov_b32 s19, 0x2f800000
	s_mov_b32 s26, 0xcf800000
	s_waitcnt vmcnt(0)
	v_lshlrev_b16_e32 v1, 8, v0
	v_lshlrev_b32_e32 v0, 25, v0
	v_lshrrev_b32_e32 v4, 4, v0
	v_and_or_b32 v5, v1, s0, 0.5
	v_or_b32_e32 v4, 0x70000000, v4
	v_add_f32_e32 v5, -0.5, v5
	v_mul_f32_e32 v4, 0x7800000, v4
	v_cmp_gt_u32_e32 vcc, s1, v0
	v_bfe_i32 v1, v1, 0, 16
	v_cndmask_b32_e32 v0, v4, v5, vcc
	v_and_or_b32 v0, v1, s18, v0
	v_trunc_f32_e32 v0, v0
	v_mul_f32_e64 v1, |v0|, s19
	v_floor_f32_e32 v1, v1
	v_fma_f32 v4, v1, s26, |v0|
	v_cvt_u32_f32_e32 v4, v4
	v_cvt_u32_f32_e32 v1, v1
	v_ashrrev_i32_e32 v5, 31, v0
	v_xor_b32_e32 v0, v4, v5
	v_xor_b32_e32 v1, v1, v5
	v_sub_co_u32_e32 v0, vcc, v0, v5
	v_subb_co_u32_e32 v1, vcc, v1, v5, vcc
.LBB54_88:
	s_mov_b64 s[18:19], 0
	s_mov_b64 s[0:1], -1
.LBB54_89:
	s_andn2_b64 vcc, exec, s[18:19]
	s_cbranch_vccnz .LBB54_100
; %bb.90:
	s_cmp_gt_i32 s21, 14
	s_cbranch_scc0 .LBB54_93
; %bb.91:
	s_cmp_eq_u32 s21, 15
	s_cbranch_scc0 .LBB54_94
; %bb.92:
	global_load_ushort v0, v[2:3], off
	s_mov_b32 s0, 0x2f800000
	s_mov_b32 s1, 0xcf800000
	s_mov_b64 s[22:23], 0
	s_waitcnt vmcnt(0)
	v_lshlrev_b32_e32 v0, 16, v0
	v_trunc_f32_e32 v0, v0
	v_mul_f32_e64 v1, |v0|, s0
	v_floor_f32_e32 v1, v1
	v_fma_f32 v4, v1, s1, |v0|
	v_cvt_u32_f32_e32 v4, v4
	v_cvt_u32_f32_e32 v1, v1
	v_ashrrev_i32_e32 v5, 31, v0
	s_mov_b64 s[0:1], -1
	v_xor_b32_e32 v0, v4, v5
	v_xor_b32_e32 v1, v1, v5
	v_sub_co_u32_e32 v0, vcc, v0, v5
	v_subb_co_u32_e32 v1, vcc, v1, v5, vcc
	s_branch .LBB54_95
.LBB54_93:
	s_mov_b64 s[18:19], -1
                                        ; implicit-def: $vgpr0_vgpr1
	s_branch .LBB54_96
.LBB54_94:
	s_mov_b64 s[22:23], -1
                                        ; implicit-def: $vgpr0_vgpr1
.LBB54_95:
	s_mov_b64 s[18:19], 0
.LBB54_96:
	s_and_b64 vcc, exec, s[18:19]
	s_cbranch_vccz .LBB54_100
; %bb.97:
	s_cmp_eq_u32 s21, 11
	s_cbranch_scc0 .LBB54_99
; %bb.98:
	global_load_ubyte v0, v[2:3], off
	s_mov_b32 s18, 0
	s_mov_b64 s[0:1], -1
	s_waitcnt vmcnt(1)
	v_mov_b32_e32 v1, s18
	s_mov_b64 s[22:23], 0
	s_waitcnt vmcnt(0)
	v_cmp_ne_u16_e32 vcc, 0, v0
	v_cndmask_b32_e64 v0, 0, 1, vcc
	s_branch .LBB54_100
.LBB54_99:
	s_mov_b64 s[22:23], -1
                                        ; implicit-def: $vgpr0_vgpr1
.LBB54_100:
	s_branch .LBB54_10
.LBB54_101:
	s_and_b32 s18, 0xffff, s20
	s_cmp_lt_i32 s18, 5
	s_cbranch_scc1 .LBB54_106
; %bb.102:
	s_cmp_lt_i32 s18, 8
	s_cbranch_scc1 .LBB54_107
; %bb.103:
	;; [unrolled: 3-line block ×3, first 2 shown]
	s_cmp_gt_i32 s18, 9
	s_cbranch_scc0 .LBB54_109
; %bb.105:
	global_load_dwordx2 v[0:1], v[2:3], off
	s_movk_i32 s0, 0xffe0
	s_waitcnt vmcnt(0)
	v_trunc_f64_e32 v[0:1], v[0:1]
	v_ldexp_f64 v[4:5], v[0:1], s0
	s_mov_b32 s0, 0
	s_mov_b32 s1, 0xc1f00000
	v_floor_f64_e32 v[4:5], v[4:5]
	v_fma_f64 v[6:7], v[4:5], s[0:1], v[0:1]
	v_cvt_i32_f64_e32 v1, v[4:5]
	s_mov_b64 s[0:1], 0
	v_cvt_u32_f64_e32 v0, v[6:7]
	s_branch .LBB54_110
.LBB54_106:
                                        ; implicit-def: $vgpr0_vgpr1
	s_branch .LBB54_128
.LBB54_107:
	s_mov_b64 s[0:1], -1
                                        ; implicit-def: $vgpr0_vgpr1
	s_branch .LBB54_116
.LBB54_108:
	s_mov_b64 s[0:1], -1
                                        ; implicit-def: $vgpr0_vgpr1
	s_branch .LBB54_113
.LBB54_109:
	s_mov_b64 s[0:1], -1
                                        ; implicit-def: $vgpr0_vgpr1
.LBB54_110:
	s_andn2_b64 vcc, exec, s[0:1]
	s_cbranch_vccnz .LBB54_112
; %bb.111:
	global_load_dword v0, v[2:3], off
	s_mov_b32 s0, 0x2f800000
	s_mov_b32 s1, 0xcf800000
	s_waitcnt vmcnt(0)
	v_trunc_f32_e32 v0, v0
	v_mul_f32_e64 v1, |v0|, s0
	v_floor_f32_e32 v1, v1
	v_cvt_u32_f32_e32 v4, v1
	v_fma_f32 v1, v1, s1, |v0|
	v_cvt_u32_f32_e32 v1, v1
	v_ashrrev_i32_e32 v5, 31, v0
	v_xor_b32_e32 v4, v4, v5
	v_xor_b32_e32 v0, v1, v5
	v_sub_co_u32_e32 v0, vcc, v0, v5
	v_subb_co_u32_e32 v1, vcc, v4, v5, vcc
.LBB54_112:
	s_mov_b64 s[0:1], 0
.LBB54_113:
	s_andn2_b64 vcc, exec, s[0:1]
	s_cbranch_vccnz .LBB54_115
; %bb.114:
	global_load_dword v0, v[2:3], off
	s_waitcnt vmcnt(0)
	v_cvt_f32_f16_e32 v0, v0
	v_cvt_i32_f32_e32 v0, v0
	v_ashrrev_i32_e32 v1, 31, v0
.LBB54_115:
	s_mov_b64 s[0:1], 0
.LBB54_116:
	s_andn2_b64 vcc, exec, s[0:1]
	s_cbranch_vccnz .LBB54_127
; %bb.117:
	s_cmp_lt_i32 s18, 6
	s_cbranch_scc1 .LBB54_120
; %bb.118:
	s_cmp_gt_i32 s18, 6
	s_cbranch_scc0 .LBB54_121
; %bb.119:
	global_load_dwordx2 v[0:1], v[2:3], off
	s_movk_i32 s0, 0xffe0
	s_waitcnt vmcnt(0)
	v_trunc_f64_e32 v[0:1], v[0:1]
	v_ldexp_f64 v[4:5], v[0:1], s0
	s_mov_b32 s0, 0
	s_mov_b32 s1, 0xc1f00000
	v_floor_f64_e32 v[4:5], v[4:5]
	v_fma_f64 v[6:7], v[4:5], s[0:1], v[0:1]
	v_cvt_i32_f64_e32 v1, v[4:5]
	s_mov_b64 s[0:1], 0
	v_cvt_u32_f64_e32 v0, v[6:7]
	s_branch .LBB54_122
.LBB54_120:
	s_mov_b64 s[0:1], -1
                                        ; implicit-def: $vgpr0_vgpr1
	s_branch .LBB54_125
.LBB54_121:
	s_mov_b64 s[0:1], -1
                                        ; implicit-def: $vgpr0_vgpr1
.LBB54_122:
	s_andn2_b64 vcc, exec, s[0:1]
	s_cbranch_vccnz .LBB54_124
; %bb.123:
	global_load_dword v0, v[2:3], off
	s_mov_b32 s0, 0x2f800000
	s_mov_b32 s1, 0xcf800000
	s_waitcnt vmcnt(0)
	v_trunc_f32_e32 v0, v0
	v_mul_f32_e64 v1, |v0|, s0
	v_floor_f32_e32 v1, v1
	v_cvt_u32_f32_e32 v4, v1
	v_fma_f32 v1, v1, s1, |v0|
	v_cvt_u32_f32_e32 v1, v1
	v_ashrrev_i32_e32 v5, 31, v0
	v_xor_b32_e32 v4, v4, v5
	v_xor_b32_e32 v0, v1, v5
	v_sub_co_u32_e32 v0, vcc, v0, v5
	v_subb_co_u32_e32 v1, vcc, v4, v5, vcc
.LBB54_124:
	s_mov_b64 s[0:1], 0
.LBB54_125:
	s_andn2_b64 vcc, exec, s[0:1]
	s_cbranch_vccnz .LBB54_127
; %bb.126:
	global_load_ushort v0, v[2:3], off
	s_waitcnt vmcnt(0)
	v_cvt_f32_f16_e32 v0, v0
	v_cvt_i32_f32_e32 v0, v0
	v_ashrrev_i32_e32 v1, 31, v0
.LBB54_127:
	s_cbranch_execnz .LBB54_147
.LBB54_128:
	s_cmp_lt_i32 s18, 2
	s_cbranch_scc1 .LBB54_132
; %bb.129:
	s_cmp_lt_i32 s18, 3
	s_cbranch_scc1 .LBB54_133
; %bb.130:
	s_cmp_gt_i32 s18, 3
	s_cbranch_scc0 .LBB54_134
; %bb.131:
	global_load_dwordx2 v[0:1], v[2:3], off
	s_mov_b64 s[0:1], 0
	s_branch .LBB54_135
.LBB54_132:
	s_mov_b64 s[0:1], -1
                                        ; implicit-def: $vgpr0_vgpr1
	s_branch .LBB54_141
.LBB54_133:
	s_mov_b64 s[0:1], -1
                                        ; implicit-def: $vgpr0_vgpr1
	s_branch .LBB54_138
.LBB54_134:
	s_mov_b64 s[0:1], -1
                                        ; implicit-def: $vgpr0_vgpr1
.LBB54_135:
	s_andn2_b64 vcc, exec, s[0:1]
	s_cbranch_vccnz .LBB54_137
; %bb.136:
	global_load_dword v0, v[2:3], off
	s_waitcnt vmcnt(0)
	v_ashrrev_i32_e32 v1, 31, v0
.LBB54_137:
	s_mov_b64 s[0:1], 0
.LBB54_138:
	s_andn2_b64 vcc, exec, s[0:1]
	s_cbranch_vccnz .LBB54_140
; %bb.139:
	global_load_ushort v0, v[2:3], off
	s_waitcnt vmcnt(0)
	v_bfe_i32 v0, v0, 0, 16
	v_ashrrev_i32_e32 v1, 31, v0
.LBB54_140:
	s_mov_b64 s[0:1], 0
.LBB54_141:
	s_andn2_b64 vcc, exec, s[0:1]
	s_cbranch_vccnz .LBB54_147
; %bb.142:
	s_cmp_gt_i32 s18, 0
	s_cbranch_scc0 .LBB54_144
; %bb.143:
	global_load_sbyte v0, v[2:3], off
	s_mov_b64 s[0:1], 0
	s_waitcnt vmcnt(0)
	v_bfe_i32 v0, v0, 0, 16
	v_ashrrev_i32_e32 v1, 31, v0
	s_branch .LBB54_145
.LBB54_144:
	s_mov_b64 s[0:1], -1
                                        ; implicit-def: $vgpr0_vgpr1
.LBB54_145:
	s_andn2_b64 vcc, exec, s[0:1]
	s_cbranch_vccnz .LBB54_147
; %bb.146:
	global_load_ubyte v0, v[2:3], off
	s_mov_b32 s0, 0
	s_waitcnt vmcnt(1)
	v_mov_b32_e32 v1, s0
	s_waitcnt vmcnt(0)
	v_and_b32_e32 v0, 0xffff, v0
.LBB54_147:
	s_branch .LBB54_11
.LBB54_148:
	s_mov_b64 s[0:1], 0
	s_mov_b64 s[20:21], 0
	s_branch .LBB54_373
.LBB54_149:
	s_mov_b64 s[20:21], -1
.LBB54_150:
	s_mov_b64 s[0:1], 0
                                        ; implicit-def: $vgpr4_vgpr5
.LBB54_151:
	s_and_b64 vcc, exec, s[18:19]
	s_cbranch_vccz .LBB54_267
; %bb.152:
	s_cmp_eq_u32 s27, 44
	s_cbranch_scc0 .LBB54_266
; %bb.153:
	global_load_ubyte v4, v[2:3], off
	s_mov_b32 s0, 0x2f800000
	s_mov_b32 s1, 0xcf800000
	s_mov_b64 s[20:21], 0
	s_waitcnt vmcnt(0)
	v_lshlrev_b32_e32 v5, 23, v4
	v_trunc_f32_e32 v5, v5
	v_mul_f32_e64 v6, |v5|, s0
	v_floor_f32_e32 v6, v6
	v_fma_f32 v7, v6, s1, |v5|
	v_cvt_u32_f32_e32 v7, v7
	v_cvt_u32_f32_e32 v6, v6
	v_ashrrev_i32_e32 v5, 31, v5
	s_mov_b64 s[0:1], -1
	v_xor_b32_e32 v7, v7, v5
	v_xor_b32_e32 v6, v6, v5
	v_sub_co_u32_e32 v7, vcc, v7, v5
	v_subb_co_u32_e32 v5, vcc, v6, v5, vcc
	v_cmp_ne_u32_e32 vcc, 0, v4
	v_cndmask_b32_e32 v5, 0, v5, vcc
	v_cndmask_b32_e32 v4, 0, v7, vcc
	s_branch .LBB54_267
.LBB54_154:
	s_mov_b64 s[30:31], -1
	s_mov_b64 s[0:1], 0
	s_mov_b64 s[26:27], 0
.LBB54_155:
	s_and_b64 vcc, exec, s[30:31]
	s_cbranch_vccz .LBB54_160
; %bb.156:
	s_cmp_eq_u32 s37, 44
	s_mov_b64 s[0:1], -1
	s_cbranch_scc0 .LBB54_160
; %bb.157:
	v_cndmask_b32_e64 v3, 0, 1.0, s[18:19]
	v_lshrrev_b32_e32 v2, 23, v3
	s_movk_i32 s0, 0xff
	v_cmp_ne_u32_e32 vcc, s0, v2
	v_mov_b32_e32 v4, 0xff
	s_and_saveexec_b64 s[26:27], vcc
; %bb.158:
	s_mov_b32 s0, 0x3fffff
	v_and_b32_e32 v4, 0x400000, v3
	v_and_or_b32 v3, v3, s0, v2
	v_cmp_ne_u32_e32 vcc, 0, v4
	v_cmp_ne_u32_e64 s[0:1], 0, v3
	s_and_b64 s[0:1], vcc, s[0:1]
	v_cndmask_b32_e64 v3, 0, 1, s[0:1]
	v_add_u32_e32 v4, v2, v3
; %bb.159:
	s_or_b64 exec, exec, s[26:27]
	s_mov_b64 s[26:27], -1
	s_mov_b64 s[0:1], 0
	global_store_byte v[0:1], v4, off
.LBB54_160:
	s_mov_b64 s[30:31], 0
.LBB54_161:
	s_and_b64 vcc, exec, s[30:31]
	s_cbranch_vccz .LBB54_164
; %bb.162:
	s_cmp_eq_u32 s37, 29
	s_mov_b64 s[0:1], -1
	s_cbranch_scc0 .LBB54_164
; %bb.163:
	s_mov_b32 s0, 0
	v_cndmask_b32_e64 v2, 0, 1, s[18:19]
	v_mov_b32_e32 v3, s0
	global_store_dwordx2 v[0:1], v[2:3], off
	s_mov_b64 s[26:27], -1
	s_mov_b64 s[0:1], 0
.LBB54_164:
	s_mov_b64 s[30:31], 0
.LBB54_165:
	s_and_b64 vcc, exec, s[30:31]
	s_cbranch_vccz .LBB54_181
; %bb.166:
	s_cmp_lt_i32 s37, 27
	s_mov_b64 s[26:27], -1
	s_cbranch_scc1 .LBB54_172
; %bb.167:
	s_cmp_gt_i32 s37, 27
	s_cbranch_scc0 .LBB54_169
; %bb.168:
	v_cndmask_b32_e64 v2, 0, 1, s[18:19]
	s_mov_b64 s[26:27], 0
	global_store_dword v[0:1], v2, off
.LBB54_169:
	s_andn2_b64 vcc, exec, s[26:27]
	s_cbranch_vccnz .LBB54_171
; %bb.170:
	v_cndmask_b32_e64 v2, 0, 1, s[18:19]
	global_store_short v[0:1], v2, off
.LBB54_171:
	s_mov_b64 s[26:27], 0
.LBB54_172:
	s_andn2_b64 vcc, exec, s[26:27]
	s_cbranch_vccnz .LBB54_180
; %bb.173:
	v_cndmask_b32_e64 v3, 0, 1.0, s[18:19]
	s_mov_b32 s26, 0x43800000
	v_cmp_gt_u32_e32 vcc, s26, v3
	v_mov_b32_e32 v4, 0x80
	s_and_saveexec_b64 s[26:27], vcc
	s_cbranch_execz .LBB54_179
; %bb.174:
	s_mov_b32 s30, 0x3bffffff
	v_cmp_lt_u32_e32 vcc, s30, v3
	s_mov_b64 s[30:31], 0
                                        ; implicit-def: $vgpr2
	s_and_saveexec_b64 s[34:35], vcc
	s_xor_b64 s[34:35], exec, s[34:35]
	s_cbranch_execz .LBB54_404
; %bb.175:
	v_bfe_u32 v2, v3, 20, 1
	s_mov_b32 s38, 0x487ffff
	v_add3_u32 v2, v3, v2, s38
	s_mov_b64 s[30:31], exec
	v_lshrrev_b32_e32 v2, 20, v2
                                        ; implicit-def: $vgpr3
	s_andn2_saveexec_b64 s[34:35], s[34:35]
	s_cbranch_execnz .LBB54_405
.LBB54_176:
	s_or_b64 exec, exec, s[34:35]
	v_mov_b32_e32 v4, 0
	s_and_saveexec_b64 s[34:35], s[30:31]
.LBB54_177:
	v_mov_b32_e32 v4, v2
.LBB54_178:
	s_or_b64 exec, exec, s[34:35]
.LBB54_179:
	s_or_b64 exec, exec, s[26:27]
	global_store_byte v[0:1], v4, off
.LBB54_180:
	s_mov_b64 s[26:27], -1
.LBB54_181:
	s_mov_b64 s[30:31], 0
.LBB54_182:
	s_and_b64 vcc, exec, s[30:31]
	s_cbranch_vccz .LBB54_223
; %bb.183:
	s_cmp_gt_i32 s37, 22
	s_mov_b64 s[30:31], -1
	s_cbranch_scc0 .LBB54_215
; %bb.184:
	s_cmp_lt_i32 s37, 24
	s_mov_b64 s[26:27], -1
	s_cbranch_scc1 .LBB54_204
; %bb.185:
	s_cmp_gt_i32 s37, 24
	s_cbranch_scc0 .LBB54_193
; %bb.186:
	v_cndmask_b32_e64 v3, 0, 1.0, s[18:19]
	s_mov_b32 s26, 0x47800000
	v_cmp_gt_u32_e32 vcc, s26, v3
	v_mov_b32_e32 v4, 0x80
	s_and_saveexec_b64 s[26:27], vcc
	s_cbranch_execz .LBB54_192
; %bb.187:
	s_mov_b32 s30, 0x37ffffff
	v_cmp_lt_u32_e32 vcc, s30, v3
	s_mov_b64 s[30:31], 0
                                        ; implicit-def: $vgpr2
	s_and_saveexec_b64 s[34:35], vcc
	s_xor_b64 s[34:35], exec, s[34:35]
	s_cbranch_execz .LBB54_519
; %bb.188:
	v_bfe_u32 v2, v3, 21, 1
	s_mov_b32 s38, 0x88fffff
	v_add3_u32 v2, v3, v2, s38
	s_mov_b64 s[30:31], exec
	v_lshrrev_b32_e32 v2, 21, v2
                                        ; implicit-def: $vgpr3
	s_andn2_saveexec_b64 s[34:35], s[34:35]
	s_cbranch_execnz .LBB54_520
.LBB54_189:
	s_or_b64 exec, exec, s[34:35]
	v_mov_b32_e32 v4, 0
	s_and_saveexec_b64 s[34:35], s[30:31]
.LBB54_190:
	v_mov_b32_e32 v4, v2
.LBB54_191:
	s_or_b64 exec, exec, s[34:35]
.LBB54_192:
	s_or_b64 exec, exec, s[26:27]
	s_mov_b64 s[26:27], 0
	global_store_byte v[0:1], v4, off
.LBB54_193:
	s_and_b64 vcc, exec, s[26:27]
	s_cbranch_vccz .LBB54_203
; %bb.194:
	v_cndmask_b32_e64 v2, 0, 1.0, s[18:19]
	s_mov_b32 s26, 0x43f00000
	v_cmp_gt_u32_e32 vcc, s26, v2
                                        ; implicit-def: $vgpr3
	s_and_saveexec_b64 s[26:27], vcc
	s_xor_b64 s[26:27], exec, s[26:27]
	s_cbranch_execz .LBB54_200
; %bb.195:
	s_mov_b32 s30, 0x3c7fffff
	v_cmp_lt_u32_e32 vcc, s30, v2
                                        ; implicit-def: $vgpr3
	s_and_saveexec_b64 s[30:31], vcc
	s_xor_b64 s[30:31], exec, s[30:31]
; %bb.196:
	v_bfe_u32 v3, v2, 20, 1
	s_mov_b32 s34, 0x407ffff
	v_add3_u32 v2, v2, v3, s34
	v_lshrrev_b32_e32 v3, 20, v2
	v_and_b32_e32 v2, 0xff00000, v2
	s_mov_b32 s34, 0x7f00000
	v_mov_b32_e32 v4, 0x7e
	v_cmp_ne_u32_e32 vcc, s34, v2
	v_cndmask_b32_e32 v3, v4, v3, vcc
                                        ; implicit-def: $vgpr2
; %bb.197:
	s_andn2_saveexec_b64 s[30:31], s[30:31]
; %bb.198:
	v_add_f32_e32 v3, 0x46800000, v2
; %bb.199:
	s_or_b64 exec, exec, s[30:31]
                                        ; implicit-def: $vgpr2
.LBB54_200:
	s_andn2_saveexec_b64 s[26:27], s[26:27]
; %bb.201:
	s_mov_b32 s30, 0x7f800000
	v_mov_b32_e32 v3, 0x7e
	v_mov_b32_e32 v4, 0x7f
	v_cmp_lt_u32_e32 vcc, s30, v2
	v_cndmask_b32_e32 v3, v3, v4, vcc
; %bb.202:
	s_or_b64 exec, exec, s[26:27]
	global_store_byte v[0:1], v3, off
.LBB54_203:
	s_mov_b64 s[26:27], 0
.LBB54_204:
	s_andn2_b64 vcc, exec, s[26:27]
	s_cbranch_vccnz .LBB54_214
; %bb.205:
	v_cndmask_b32_e64 v2, 0, 1.0, s[18:19]
	s_mov_b32 s26, 0x47800000
	v_cmp_gt_u32_e32 vcc, s26, v2
                                        ; implicit-def: $vgpr3
	s_and_saveexec_b64 s[26:27], vcc
	s_xor_b64 s[26:27], exec, s[26:27]
	s_cbranch_execz .LBB54_211
; %bb.206:
	s_mov_b32 s30, 0x387fffff
	v_cmp_lt_u32_e32 vcc, s30, v2
                                        ; implicit-def: $vgpr3
	s_and_saveexec_b64 s[30:31], vcc
	s_xor_b64 s[30:31], exec, s[30:31]
; %bb.207:
	v_bfe_u32 v3, v2, 21, 1
	s_mov_b32 s34, 0x80fffff
	v_add3_u32 v2, v2, v3, s34
	v_lshrrev_b32_e32 v3, 21, v2
                                        ; implicit-def: $vgpr2
; %bb.208:
	s_andn2_saveexec_b64 s[30:31], s[30:31]
; %bb.209:
	v_add_f32_e32 v3, 0x43000000, v2
; %bb.210:
	s_or_b64 exec, exec, s[30:31]
                                        ; implicit-def: $vgpr2
.LBB54_211:
	s_andn2_saveexec_b64 s[26:27], s[26:27]
; %bb.212:
	s_mov_b32 s30, 0x7f800000
	v_mov_b32_e32 v3, 0x7c
	v_mov_b32_e32 v4, 0x7f
	v_cmp_lt_u32_e32 vcc, s30, v2
	v_cndmask_b32_e32 v3, v3, v4, vcc
; %bb.213:
	s_or_b64 exec, exec, s[26:27]
	global_store_byte v[0:1], v3, off
.LBB54_214:
	s_mov_b64 s[30:31], 0
	s_mov_b64 s[26:27], -1
.LBB54_215:
	s_andn2_b64 vcc, exec, s[30:31]
	s_cbranch_vccnz .LBB54_223
; %bb.216:
	s_cmp_gt_i32 s37, 14
	s_mov_b64 s[30:31], -1
	s_cbranch_scc0 .LBB54_220
; %bb.217:
	s_cmp_eq_u32 s37, 15
	s_mov_b64 s[0:1], -1
	s_cbranch_scc0 .LBB54_219
; %bb.218:
	v_cndmask_b32_e64 v2, 0, 1.0, s[18:19]
	v_bfe_u32 v3, v2, 16, 1
	s_movk_i32 s0, 0x7fff
	v_add3_u32 v2, v2, v3, s0
	global_store_short_d16_hi v[0:1], v2, off
	s_mov_b64 s[26:27], -1
	s_mov_b64 s[0:1], 0
.LBB54_219:
	s_mov_b64 s[30:31], 0
.LBB54_220:
	s_and_b64 vcc, exec, s[30:31]
	s_cbranch_vccz .LBB54_223
; %bb.221:
	s_cmp_eq_u32 s37, 11
	s_mov_b64 s[0:1], -1
	s_cbranch_scc0 .LBB54_223
; %bb.222:
	v_cndmask_b32_e64 v2, 0, 1, s[18:19]
	s_mov_b64 s[26:27], -1
	s_mov_b64 s[0:1], 0
	global_store_byte v[0:1], v2, off
.LBB54_223:
	s_mov_b64 s[30:31], 0
.LBB54_224:
	s_and_b64 vcc, exec, s[30:31]
	s_cbranch_vccz .LBB54_263
; %bb.225:
	s_and_b32 s30, 0xffff, s36
	s_cmp_lt_i32 s30, 5
	s_mov_b64 s[26:27], -1
	s_cbranch_scc1 .LBB54_246
; %bb.226:
	s_cmp_lt_i32 s30, 8
	s_cbranch_scc1 .LBB54_236
; %bb.227:
	s_cmp_lt_i32 s30, 9
	s_cbranch_scc1 .LBB54_233
; %bb.228:
	s_cmp_gt_i32 s30, 9
	s_cbranch_scc0 .LBB54_230
; %bb.229:
	v_cndmask_b32_e64 v2, 0, 1, s[18:19]
	v_cvt_f64_u32_e32 v[2:3], v2
	v_mov_b32_e32 v4, 0
	v_mov_b32_e32 v5, v4
	s_mov_b64 s[26:27], 0
	global_store_dwordx4 v[0:1], v[2:5], off
.LBB54_230:
	s_andn2_b64 vcc, exec, s[26:27]
	s_cbranch_vccnz .LBB54_232
; %bb.231:
	v_cndmask_b32_e64 v2, 0, 1.0, s[18:19]
	v_mov_b32_e32 v3, 0
	global_store_dwordx2 v[0:1], v[2:3], off
.LBB54_232:
	s_mov_b64 s[26:27], 0
.LBB54_233:
	s_andn2_b64 vcc, exec, s[26:27]
	s_cbranch_vccnz .LBB54_235
; %bb.234:
	v_cndmask_b32_e64 v2, 0, 1.0, s[18:19]
	v_cvt_f16_f32_e32 v2, v2
	global_store_dword v[0:1], v2, off
.LBB54_235:
	s_mov_b64 s[26:27], 0
.LBB54_236:
	s_andn2_b64 vcc, exec, s[26:27]
	s_cbranch_vccnz .LBB54_245
; %bb.237:
	s_cmp_lt_i32 s30, 6
	s_mov_b64 s[26:27], -1
	s_cbranch_scc1 .LBB54_243
; %bb.238:
	s_cmp_gt_i32 s30, 6
	s_cbranch_scc0 .LBB54_240
; %bb.239:
	v_cndmask_b32_e64 v2, 0, 1, s[18:19]
	v_cvt_f64_u32_e32 v[2:3], v2
	s_mov_b64 s[26:27], 0
	global_store_dwordx2 v[0:1], v[2:3], off
.LBB54_240:
	s_andn2_b64 vcc, exec, s[26:27]
	s_cbranch_vccnz .LBB54_242
; %bb.241:
	v_cndmask_b32_e64 v2, 0, 1.0, s[18:19]
	global_store_dword v[0:1], v2, off
.LBB54_242:
	s_mov_b64 s[26:27], 0
.LBB54_243:
	s_andn2_b64 vcc, exec, s[26:27]
	s_cbranch_vccnz .LBB54_245
; %bb.244:
	v_cndmask_b32_e64 v2, 0, 1.0, s[18:19]
	v_cvt_f16_f32_e32 v2, v2
	global_store_short v[0:1], v2, off
.LBB54_245:
	s_mov_b64 s[26:27], 0
.LBB54_246:
	s_andn2_b64 vcc, exec, s[26:27]
	s_cbranch_vccnz .LBB54_262
; %bb.247:
	s_cmp_lt_i32 s30, 2
	s_mov_b64 s[26:27], -1
	s_cbranch_scc1 .LBB54_257
; %bb.248:
	s_cmp_lt_i32 s30, 3
	s_cbranch_scc1 .LBB54_254
; %bb.249:
	s_cmp_gt_i32 s30, 3
	s_cbranch_scc0 .LBB54_251
; %bb.250:
	s_mov_b32 s26, 0
	v_cndmask_b32_e64 v2, 0, 1, s[18:19]
	v_mov_b32_e32 v3, s26
	global_store_dwordx2 v[0:1], v[2:3], off
	s_mov_b64 s[26:27], 0
.LBB54_251:
	s_andn2_b64 vcc, exec, s[26:27]
	s_cbranch_vccnz .LBB54_253
; %bb.252:
	v_cndmask_b32_e64 v2, 0, 1, s[18:19]
	global_store_dword v[0:1], v2, off
.LBB54_253:
	s_mov_b64 s[26:27], 0
.LBB54_254:
	s_andn2_b64 vcc, exec, s[26:27]
	s_cbranch_vccnz .LBB54_256
; %bb.255:
	v_cndmask_b32_e64 v2, 0, 1, s[18:19]
	global_store_short v[0:1], v2, off
.LBB54_256:
	s_mov_b64 s[26:27], 0
.LBB54_257:
	s_andn2_b64 vcc, exec, s[26:27]
	s_cbranch_vccnz .LBB54_262
; %bb.258:
	s_mov_b64 s[26:27], -1
	s_cmp_gt_i32 s30, 0
	v_cndmask_b32_e64 v2, 0, 1, s[18:19]
	s_cbranch_scc0 .LBB54_260
; %bb.259:
	global_store_byte v[0:1], v2, off
	s_mov_b64 s[26:27], 0
.LBB54_260:
	s_andn2_b64 vcc, exec, s[26:27]
	s_cbranch_vccnz .LBB54_262
; %bb.261:
	global_store_byte v[0:1], v2, off
.LBB54_262:
	s_mov_b64 s[26:27], -1
.LBB54_263:
	s_andn2_b64 vcc, exec, s[26:27]
	s_cbranch_vccnz .LBB54_265
; %bb.264:
	v_add_u32_e32 v18, 0x80, v18
	s_mov_b64 s[26:27], -1
	s_branch .LBB54_374
.LBB54_265:
	s_mov_b64 s[26:27], 0
                                        ; implicit-def: $vgpr18
	s_branch .LBB54_374
.LBB54_266:
	s_mov_b64 s[20:21], -1
                                        ; implicit-def: $vgpr4_vgpr5
.LBB54_267:
	s_mov_b64 s[18:19], 0
.LBB54_268:
	s_and_b64 vcc, exec, s[18:19]
	s_cbranch_vccz .LBB54_272
; %bb.269:
	s_cmp_eq_u32 s27, 29
	s_cbranch_scc0 .LBB54_271
; %bb.270:
	global_load_dwordx2 v[4:5], v[2:3], off
	s_mov_b64 s[0:1], -1
	s_mov_b64 s[20:21], 0
	s_branch .LBB54_272
.LBB54_271:
	s_mov_b64 s[20:21], -1
                                        ; implicit-def: $vgpr4_vgpr5
.LBB54_272:
	s_mov_b64 s[18:19], 0
.LBB54_273:
	s_and_b64 vcc, exec, s[18:19]
	s_cbranch_vccz .LBB54_291
; %bb.274:
	s_cmp_lt_i32 s27, 27
	s_cbranch_scc1 .LBB54_277
; %bb.275:
	s_cmp_gt_i32 s27, 27
	s_cbranch_scc0 .LBB54_278
; %bb.276:
	global_load_dword v4, v[2:3], off
	s_waitcnt vmcnt(1)
	v_mov_b32_e32 v5, 0
	s_mov_b64 s[0:1], 0
	s_branch .LBB54_279
.LBB54_277:
	s_mov_b64 s[0:1], -1
                                        ; implicit-def: $vgpr4_vgpr5
	s_branch .LBB54_282
.LBB54_278:
	s_mov_b64 s[0:1], -1
                                        ; implicit-def: $vgpr4_vgpr5
.LBB54_279:
	s_andn2_b64 vcc, exec, s[0:1]
	s_cbranch_vccnz .LBB54_281
; %bb.280:
	global_load_ushort v4, v[2:3], off
	s_mov_b32 s0, 0
	s_waitcnt vmcnt(1)
	v_mov_b32_e32 v5, s0
	s_waitcnt vmcnt(0)
	v_and_b32_e32 v4, 0xffff, v4
.LBB54_281:
	s_mov_b64 s[0:1], 0
.LBB54_282:
	s_andn2_b64 vcc, exec, s[0:1]
	s_cbranch_vccnz .LBB54_290
; %bb.283:
	global_load_ubyte v6, v[2:3], off
	s_movk_i32 s0, 0x7f
	s_mov_b64 s[18:19], 0
	s_waitcnt vmcnt(0)
	v_cmp_lt_i16_e32 vcc, s0, v6
	s_and_saveexec_b64 s[0:1], vcc
	s_xor_b64 s[0:1], exec, s[0:1]
; %bb.284:
	s_movk_i32 s18, 0x80
	v_cmp_ne_u16_e32 vcc, s18, v6
	s_and_b64 s[18:19], vcc, exec
; %bb.285:
	s_andn2_saveexec_b64 s[0:1], s[0:1]
; %bb.286:
	v_cmp_ne_u16_e32 vcc, 0, v6
	s_andn2_b64 s[18:19], s[18:19], exec
	s_and_b64 s[30:31], vcc, exec
	s_or_b64 s[18:19], s[18:19], s[30:31]
; %bb.287:
	s_or_b64 exec, exec, s[0:1]
	v_mov_b32_e32 v4, 0
	v_mov_b32_e32 v5, 0
	s_and_saveexec_b64 s[0:1], s[18:19]
	s_cbranch_execz .LBB54_289
; %bb.288:
	v_and_b32_e32 v5, 0xffff, v6
	v_lshlrev_b32_e32 v4, 24, v6
	v_and_b32_e32 v6, 7, v5
	v_ffbh_u32_e32 v8, v6
	v_min_u32_e32 v8, 32, v8
	v_subrev_u32_e32 v9, 28, v8
	v_bfe_u32 v7, v5, 3, 4
	v_lshlrev_b32_e32 v5, v9, v5
	v_sub_u32_e32 v8, 29, v8
	v_and_b32_e32 v5, 7, v5
	v_cmp_eq_u32_e32 vcc, 0, v7
	v_cndmask_b32_e32 v7, v7, v8, vcc
	v_cndmask_b32_e32 v5, v6, v5, vcc
	v_mov_b32_e32 v6, 0x3b800000
	v_lshlrev_b32_e32 v5, 20, v5
	v_and_b32_e32 v4, 0x80000000, v4
	v_lshl_add_u32 v6, v7, 23, v6
	v_or3_b32 v4, v4, v6, v5
	v_trunc_f32_e32 v4, v4
	s_mov_b32 s18, 0x2f800000
	v_mul_f32_e64 v5, |v4|, s18
	v_floor_f32_e32 v5, v5
	s_mov_b32 s18, 0xcf800000
	v_fma_f32 v6, v5, s18, |v4|
	v_cvt_u32_f32_e32 v6, v6
	v_cvt_u32_f32_e32 v5, v5
	v_ashrrev_i32_e32 v7, 31, v4
	v_xor_b32_e32 v4, v6, v7
	v_xor_b32_e32 v5, v5, v7
	v_sub_co_u32_e32 v4, vcc, v4, v7
	v_subb_co_u32_e32 v5, vcc, v5, v7, vcc
.LBB54_289:
	s_or_b64 exec, exec, s[0:1]
.LBB54_290:
	s_mov_b64 s[0:1], -1
.LBB54_291:
	s_mov_b64 s[18:19], 0
.LBB54_292:
	s_and_b64 vcc, exec, s[18:19]
	s_cbranch_vccz .LBB54_323
; %bb.293:
	s_cmp_gt_i32 s27, 22
	s_cbranch_scc0 .LBB54_303
; %bb.294:
	s_cmp_lt_i32 s27, 24
	s_cbranch_scc1 .LBB54_304
; %bb.295:
	s_cmp_gt_i32 s27, 24
	s_cbranch_scc0 .LBB54_305
; %bb.296:
	global_load_ubyte v6, v[2:3], off
	s_movk_i32 s0, 0x7f
	s_mov_b64 s[18:19], 0
	s_waitcnt vmcnt(0)
	v_cmp_lt_i16_e32 vcc, s0, v6
	s_and_saveexec_b64 s[0:1], vcc
	s_xor_b64 s[0:1], exec, s[0:1]
; %bb.297:
	s_movk_i32 s18, 0x80
	v_cmp_ne_u16_e32 vcc, s18, v6
	s_and_b64 s[18:19], vcc, exec
; %bb.298:
	s_andn2_saveexec_b64 s[0:1], s[0:1]
; %bb.299:
	v_cmp_ne_u16_e32 vcc, 0, v6
	s_andn2_b64 s[18:19], s[18:19], exec
	s_and_b64 s[30:31], vcc, exec
	s_or_b64 s[18:19], s[18:19], s[30:31]
; %bb.300:
	s_or_b64 exec, exec, s[0:1]
	v_mov_b32_e32 v4, 0
	v_mov_b32_e32 v5, 0
	s_and_saveexec_b64 s[0:1], s[18:19]
	s_cbranch_execz .LBB54_302
; %bb.301:
	v_and_b32_e32 v5, 0xffff, v6
	v_lshlrev_b32_e32 v4, 24, v6
	v_and_b32_e32 v6, 3, v5
	v_ffbh_u32_e32 v8, v6
	v_min_u32_e32 v8, 32, v8
	v_subrev_u32_e32 v9, 29, v8
	v_bfe_u32 v7, v5, 2, 5
	v_lshlrev_b32_e32 v5, v9, v5
	v_sub_u32_e32 v8, 30, v8
	v_and_b32_e32 v5, 3, v5
	v_cmp_eq_u32_e32 vcc, 0, v7
	v_cndmask_b32_e32 v7, v7, v8, vcc
	v_cndmask_b32_e32 v5, v6, v5, vcc
	v_mov_b32_e32 v6, 0x37800000
	v_lshlrev_b32_e32 v5, 21, v5
	v_and_b32_e32 v4, 0x80000000, v4
	v_lshl_add_u32 v6, v7, 23, v6
	v_or3_b32 v4, v4, v6, v5
	v_trunc_f32_e32 v4, v4
	s_mov_b32 s18, 0x2f800000
	v_mul_f32_e64 v5, |v4|, s18
	v_floor_f32_e32 v5, v5
	s_mov_b32 s18, 0xcf800000
	v_fma_f32 v6, v5, s18, |v4|
	v_cvt_u32_f32_e32 v6, v6
	v_cvt_u32_f32_e32 v5, v5
	v_ashrrev_i32_e32 v7, 31, v4
	v_xor_b32_e32 v4, v6, v7
	v_xor_b32_e32 v5, v5, v7
	v_sub_co_u32_e32 v4, vcc, v4, v7
	v_subb_co_u32_e32 v5, vcc, v5, v7, vcc
.LBB54_302:
	s_or_b64 exec, exec, s[0:1]
	s_mov_b64 s[0:1], 0
	s_branch .LBB54_306
.LBB54_303:
	s_mov_b64 s[18:19], -1
                                        ; implicit-def: $vgpr4_vgpr5
	s_branch .LBB54_312
.LBB54_304:
	s_mov_b64 s[0:1], -1
                                        ; implicit-def: $vgpr4_vgpr5
	s_branch .LBB54_309
.LBB54_305:
	s_mov_b64 s[0:1], -1
                                        ; implicit-def: $vgpr4_vgpr5
.LBB54_306:
	s_and_b64 vcc, exec, s[0:1]
	s_cbranch_vccz .LBB54_308
; %bb.307:
	global_load_ubyte v4, v[2:3], off
	s_mov_b32 s0, 0x7f800000
	s_brev_b32 s1, 1
	s_mov_b32 s18, 0x2f800000
	s_mov_b32 s19, 0xcf800000
	s_waitcnt vmcnt(0)
	v_lshlrev_b32_e32 v4, 24, v4
	v_and_b32_e32 v5, 0x7f000000, v4
	v_ffbh_u32_e32 v6, v5
	v_min_u32_e32 v6, 32, v6
	v_sub_u32_e64 v6, v6, 4 clamp
	v_lshlrev_b32_e32 v8, v6, v5
	v_lshlrev_b32_e32 v6, 23, v6
	v_lshrrev_b32_e32 v8, 4, v8
	v_add_u32_e32 v7, 0x1000000, v5
	v_sub_u32_e32 v6, v8, v6
	v_ashrrev_i32_e32 v7, 8, v7
	v_add_u32_e32 v6, 0x3c000000, v6
	v_and_or_b32 v6, v7, s0, v6
	v_cmp_ne_u32_e32 vcc, 0, v5
	v_cndmask_b32_e32 v5, 0, v6, vcc
	v_and_or_b32 v4, v4, s1, v5
	v_trunc_f32_e32 v4, v4
	v_mul_f32_e64 v5, |v4|, s18
	v_floor_f32_e32 v5, v5
	v_fma_f32 v6, v5, s19, |v4|
	v_cvt_u32_f32_e32 v6, v6
	v_cvt_u32_f32_e32 v5, v5
	v_ashrrev_i32_e32 v7, 31, v4
	v_xor_b32_e32 v4, v6, v7
	v_xor_b32_e32 v5, v5, v7
	v_sub_co_u32_e32 v4, vcc, v4, v7
	v_subb_co_u32_e32 v5, vcc, v5, v7, vcc
.LBB54_308:
	s_mov_b64 s[0:1], 0
.LBB54_309:
	s_andn2_b64 vcc, exec, s[0:1]
	s_cbranch_vccnz .LBB54_311
; %bb.310:
	global_load_ubyte v4, v[2:3], off
	s_movk_i32 s0, 0x7f00
	s_brev_b32 s1, 16
	s_brev_b32 s18, 1
	s_mov_b32 s19, 0x2f800000
	s_mov_b32 s30, 0xcf800000
	s_waitcnt vmcnt(0)
	v_lshlrev_b16_e32 v5, 8, v4
	v_lshlrev_b32_e32 v4, 25, v4
	v_lshrrev_b32_e32 v6, 4, v4
	v_and_or_b32 v7, v5, s0, 0.5
	v_or_b32_e32 v6, 0x70000000, v6
	v_add_f32_e32 v7, -0.5, v7
	v_mul_f32_e32 v6, 0x7800000, v6
	v_cmp_gt_u32_e32 vcc, s1, v4
	v_bfe_i32 v5, v5, 0, 16
	v_cndmask_b32_e32 v4, v6, v7, vcc
	v_and_or_b32 v4, v5, s18, v4
	v_trunc_f32_e32 v4, v4
	v_mul_f32_e64 v5, |v4|, s19
	v_floor_f32_e32 v5, v5
	v_fma_f32 v6, v5, s30, |v4|
	v_cvt_u32_f32_e32 v6, v6
	v_cvt_u32_f32_e32 v5, v5
	v_ashrrev_i32_e32 v7, 31, v4
	v_xor_b32_e32 v4, v6, v7
	v_xor_b32_e32 v5, v5, v7
	v_sub_co_u32_e32 v4, vcc, v4, v7
	v_subb_co_u32_e32 v5, vcc, v5, v7, vcc
.LBB54_311:
	s_mov_b64 s[18:19], 0
	s_mov_b64 s[0:1], -1
.LBB54_312:
	s_andn2_b64 vcc, exec, s[18:19]
	s_cbranch_vccnz .LBB54_323
; %bb.313:
	s_cmp_gt_i32 s27, 14
	s_cbranch_scc0 .LBB54_316
; %bb.314:
	s_cmp_eq_u32 s27, 15
	s_cbranch_scc0 .LBB54_317
; %bb.315:
	global_load_ushort v4, v[2:3], off
	s_mov_b32 s0, 0x2f800000
	s_mov_b32 s1, 0xcf800000
	s_mov_b64 s[20:21], 0
	s_waitcnt vmcnt(0)
	v_lshlrev_b32_e32 v4, 16, v4
	v_trunc_f32_e32 v4, v4
	v_mul_f32_e64 v5, |v4|, s0
	v_floor_f32_e32 v5, v5
	v_fma_f32 v6, v5, s1, |v4|
	v_cvt_u32_f32_e32 v6, v6
	v_cvt_u32_f32_e32 v5, v5
	v_ashrrev_i32_e32 v7, 31, v4
	s_mov_b64 s[0:1], -1
	v_xor_b32_e32 v4, v6, v7
	v_xor_b32_e32 v5, v5, v7
	v_sub_co_u32_e32 v4, vcc, v4, v7
	v_subb_co_u32_e32 v5, vcc, v5, v7, vcc
	s_branch .LBB54_318
.LBB54_316:
	s_mov_b64 s[18:19], -1
                                        ; implicit-def: $vgpr4_vgpr5
	s_branch .LBB54_319
.LBB54_317:
	s_mov_b64 s[20:21], -1
                                        ; implicit-def: $vgpr4_vgpr5
.LBB54_318:
	s_mov_b64 s[18:19], 0
.LBB54_319:
	s_and_b64 vcc, exec, s[18:19]
	s_cbranch_vccz .LBB54_323
; %bb.320:
	s_cmp_eq_u32 s27, 11
	s_cbranch_scc0 .LBB54_322
; %bb.321:
	global_load_ubyte v4, v[2:3], off
	s_mov_b32 s18, 0
	s_mov_b64 s[0:1], -1
	s_waitcnt vmcnt(1)
	v_mov_b32_e32 v5, s18
	s_mov_b64 s[20:21], 0
	s_waitcnt vmcnt(0)
	v_cmp_ne_u16_e32 vcc, 0, v4
	v_cndmask_b32_e64 v4, 0, 1, vcc
	s_branch .LBB54_323
.LBB54_322:
	s_mov_b64 s[20:21], -1
                                        ; implicit-def: $vgpr4_vgpr5
.LBB54_323:
	s_branch .LBB54_20
.LBB54_324:
	s_and_b32 s18, 0xffff, s26
	s_cmp_lt_i32 s18, 5
	s_cbranch_scc1 .LBB54_329
; %bb.325:
	s_cmp_lt_i32 s18, 8
	s_cbranch_scc1 .LBB54_330
; %bb.326:
	;; [unrolled: 3-line block ×3, first 2 shown]
	s_cmp_gt_i32 s18, 9
	s_cbranch_scc0 .LBB54_332
; %bb.328:
	global_load_dwordx2 v[4:5], v[2:3], off
	s_movk_i32 s0, 0xffe0
	s_waitcnt vmcnt(0)
	v_trunc_f64_e32 v[4:5], v[4:5]
	v_ldexp_f64 v[6:7], v[4:5], s0
	s_mov_b32 s0, 0
	s_mov_b32 s1, 0xc1f00000
	v_floor_f64_e32 v[6:7], v[6:7]
	v_fma_f64 v[8:9], v[6:7], s[0:1], v[4:5]
	v_cvt_i32_f64_e32 v5, v[6:7]
	s_mov_b64 s[0:1], 0
	v_cvt_u32_f64_e32 v4, v[8:9]
	s_branch .LBB54_333
.LBB54_329:
	s_mov_b64 s[0:1], -1
                                        ; implicit-def: $vgpr4_vgpr5
	s_branch .LBB54_351
.LBB54_330:
	s_mov_b64 s[0:1], -1
                                        ; implicit-def: $vgpr4_vgpr5
	s_branch .LBB54_339
.LBB54_331:
	s_mov_b64 s[0:1], -1
                                        ; implicit-def: $vgpr4_vgpr5
	s_branch .LBB54_336
.LBB54_332:
	s_mov_b64 s[0:1], -1
                                        ; implicit-def: $vgpr4_vgpr5
.LBB54_333:
	s_andn2_b64 vcc, exec, s[0:1]
	s_cbranch_vccnz .LBB54_335
; %bb.334:
	global_load_dword v4, v[2:3], off
	s_mov_b32 s0, 0x2f800000
	s_mov_b32 s1, 0xcf800000
	s_waitcnt vmcnt(0)
	v_trunc_f32_e32 v4, v4
	v_mul_f32_e64 v5, |v4|, s0
	v_floor_f32_e32 v5, v5
	v_cvt_u32_f32_e32 v6, v5
	v_fma_f32 v5, v5, s1, |v4|
	v_cvt_u32_f32_e32 v5, v5
	v_ashrrev_i32_e32 v7, 31, v4
	v_xor_b32_e32 v6, v6, v7
	v_xor_b32_e32 v4, v5, v7
	v_sub_co_u32_e32 v4, vcc, v4, v7
	v_subb_co_u32_e32 v5, vcc, v6, v7, vcc
.LBB54_335:
	s_mov_b64 s[0:1], 0
.LBB54_336:
	s_andn2_b64 vcc, exec, s[0:1]
	s_cbranch_vccnz .LBB54_338
; %bb.337:
	global_load_dword v4, v[2:3], off
	s_waitcnt vmcnt(0)
	v_cvt_f32_f16_e32 v4, v4
	v_cvt_i32_f32_e32 v4, v4
	v_ashrrev_i32_e32 v5, 31, v4
.LBB54_338:
	s_mov_b64 s[0:1], 0
.LBB54_339:
	s_andn2_b64 vcc, exec, s[0:1]
	s_cbranch_vccnz .LBB54_350
; %bb.340:
	s_cmp_lt_i32 s18, 6
	s_cbranch_scc1 .LBB54_343
; %bb.341:
	s_cmp_gt_i32 s18, 6
	s_cbranch_scc0 .LBB54_344
; %bb.342:
	global_load_dwordx2 v[4:5], v[2:3], off
	s_movk_i32 s0, 0xffe0
	s_waitcnt vmcnt(0)
	v_trunc_f64_e32 v[4:5], v[4:5]
	v_ldexp_f64 v[6:7], v[4:5], s0
	s_mov_b32 s0, 0
	s_mov_b32 s1, 0xc1f00000
	v_floor_f64_e32 v[6:7], v[6:7]
	v_fma_f64 v[8:9], v[6:7], s[0:1], v[4:5]
	v_cvt_i32_f64_e32 v5, v[6:7]
	s_mov_b64 s[0:1], 0
	v_cvt_u32_f64_e32 v4, v[8:9]
	s_branch .LBB54_345
.LBB54_343:
	s_mov_b64 s[0:1], -1
                                        ; implicit-def: $vgpr4_vgpr5
	s_branch .LBB54_348
.LBB54_344:
	s_mov_b64 s[0:1], -1
                                        ; implicit-def: $vgpr4_vgpr5
.LBB54_345:
	s_andn2_b64 vcc, exec, s[0:1]
	s_cbranch_vccnz .LBB54_347
; %bb.346:
	global_load_dword v4, v[2:3], off
	s_mov_b32 s0, 0x2f800000
	s_mov_b32 s1, 0xcf800000
	s_waitcnt vmcnt(0)
	v_trunc_f32_e32 v4, v4
	v_mul_f32_e64 v5, |v4|, s0
	v_floor_f32_e32 v5, v5
	v_cvt_u32_f32_e32 v6, v5
	v_fma_f32 v5, v5, s1, |v4|
	v_cvt_u32_f32_e32 v5, v5
	v_ashrrev_i32_e32 v7, 31, v4
	v_xor_b32_e32 v6, v6, v7
	v_xor_b32_e32 v4, v5, v7
	v_sub_co_u32_e32 v4, vcc, v4, v7
	v_subb_co_u32_e32 v5, vcc, v6, v7, vcc
.LBB54_347:
	s_mov_b64 s[0:1], 0
.LBB54_348:
	s_andn2_b64 vcc, exec, s[0:1]
	s_cbranch_vccnz .LBB54_350
; %bb.349:
	global_load_ushort v4, v[2:3], off
	s_waitcnt vmcnt(0)
	v_cvt_f32_f16_e32 v4, v4
	v_cvt_i32_f32_e32 v4, v4
	v_ashrrev_i32_e32 v5, 31, v4
.LBB54_350:
	s_mov_b64 s[0:1], 0
.LBB54_351:
	s_andn2_b64 vcc, exec, s[0:1]
	s_cbranch_vccnz .LBB54_371
; %bb.352:
	s_cmp_lt_i32 s18, 2
	s_cbranch_scc1 .LBB54_356
; %bb.353:
	s_cmp_lt_i32 s18, 3
	s_cbranch_scc1 .LBB54_357
; %bb.354:
	s_cmp_gt_i32 s18, 3
	s_cbranch_scc0 .LBB54_358
; %bb.355:
	global_load_dwordx2 v[4:5], v[2:3], off
	s_mov_b64 s[0:1], 0
	s_branch .LBB54_359
.LBB54_356:
	s_mov_b64 s[0:1], -1
                                        ; implicit-def: $vgpr4_vgpr5
	s_branch .LBB54_365
.LBB54_357:
	s_mov_b64 s[0:1], -1
                                        ; implicit-def: $vgpr4_vgpr5
	s_branch .LBB54_362
.LBB54_358:
	s_mov_b64 s[0:1], -1
                                        ; implicit-def: $vgpr4_vgpr5
.LBB54_359:
	s_andn2_b64 vcc, exec, s[0:1]
	s_cbranch_vccnz .LBB54_361
; %bb.360:
	global_load_dword v4, v[2:3], off
	s_waitcnt vmcnt(0)
	v_ashrrev_i32_e32 v5, 31, v4
.LBB54_361:
	s_mov_b64 s[0:1], 0
.LBB54_362:
	s_andn2_b64 vcc, exec, s[0:1]
	s_cbranch_vccnz .LBB54_364
; %bb.363:
	global_load_ushort v4, v[2:3], off
	s_waitcnt vmcnt(0)
	v_bfe_i32 v4, v4, 0, 16
	v_ashrrev_i32_e32 v5, 31, v4
.LBB54_364:
	s_mov_b64 s[0:1], 0
.LBB54_365:
	s_andn2_b64 vcc, exec, s[0:1]
	s_cbranch_vccnz .LBB54_371
; %bb.366:
	s_cmp_gt_i32 s18, 0
	s_cbranch_scc0 .LBB54_368
; %bb.367:
	global_load_sbyte v4, v[2:3], off
	s_mov_b64 s[0:1], 0
	s_waitcnt vmcnt(0)
	v_bfe_i32 v4, v4, 0, 16
	v_ashrrev_i32_e32 v5, 31, v4
	s_branch .LBB54_369
.LBB54_368:
	s_mov_b64 s[0:1], -1
                                        ; implicit-def: $vgpr4_vgpr5
.LBB54_369:
	s_andn2_b64 vcc, exec, s[0:1]
	s_cbranch_vccnz .LBB54_371
; %bb.370:
	global_load_ubyte v2, v[2:3], off
	s_mov_b32 s0, 0
	s_waitcnt vmcnt(1)
	v_mov_b32_e32 v5, s0
	s_waitcnt vmcnt(0)
	v_and_b32_e32 v4, 0xffff, v2
.LBB54_371:
	s_branch .LBB54_21
.LBB54_372:
	s_mov_b64 s[0:1], 0
.LBB54_373:
                                        ; implicit-def: $vgpr18
	s_mov_b64 s[26:27], 0
.LBB54_374:
	s_and_b64 s[18:19], s[0:1], exec
	s_and_b64 s[20:21], s[20:21], exec
	;; [unrolled: 1-line block ×3, first 2 shown]
	s_orn2_b64 s[0:1], s[26:27], exec
.LBB54_375:
	s_or_b64 exec, exec, s[24:25]
	s_mov_b64 s[34:35], 0
	s_mov_b64 s[30:31], 0
                                        ; implicit-def: $sgpr58
                                        ; implicit-def: $vgpr2_vgpr3
                                        ; implicit-def: $vgpr0_vgpr1
	s_and_saveexec_b64 s[24:25], s[0:1]
	s_cbranch_execz .LBB54_384
; %bb.376:
	v_cmp_gt_i32_e32 vcc, s50, v18
	s_mov_b64 s[0:1], -1
	s_mov_b64 s[26:27], s[22:23]
	s_mov_b64 s[28:29], s[20:21]
	;; [unrolled: 1-line block ×3, first 2 shown]
	s_and_saveexec_b64 s[34:35], vcc
	s_cbranch_execz .LBB54_757
; %bb.377:
	s_waitcnt vmcnt(0)
	v_mul_lo_u32 v0, v18, s13
	v_mov_b32_e32 v1, s11
	s_and_b32 s30, s57, 0xff
	s_cmp_lt_i32 s30, 11
	v_ashrrev_i32_e32 v3, 31, v0
	v_add_co_u32_e32 v2, vcc, s10, v0
	v_addc_co_u32_e32 v3, vcc, v1, v3, vcc
	s_cbranch_scc1 .LBB54_387
; %bb.378:
	s_and_b32 s31, 0xffff, s30
	s_cmp_gt_i32 s31, 25
	s_cbranch_scc0 .LBB54_396
; %bb.379:
	s_cmp_gt_i32 s31, 28
	s_cbranch_scc0 .LBB54_398
; %bb.380:
	;; [unrolled: 3-line block ×4, first 2 shown]
	s_cmp_eq_u32 s31, 46
	s_mov_b64 s[28:29], 0
	s_cbranch_scc0 .LBB54_406
; %bb.383:
	global_load_dword v0, v[2:3], off
	s_mov_b32 s0, 0x2f800000
	s_mov_b32 s1, 0xcf800000
	s_mov_b64 s[26:27], 0
	s_waitcnt vmcnt(0)
	v_lshlrev_b32_e32 v0, 16, v0
	v_trunc_f32_e32 v0, v0
	v_mul_f32_e64 v1, |v0|, s0
	v_floor_f32_e32 v1, v1
	v_fma_f32 v4, v1, s1, |v0|
	v_cvt_u32_f32_e32 v4, v4
	v_cvt_u32_f32_e32 v1, v1
	v_ashrrev_i32_e32 v5, 31, v0
	s_mov_b64 s[0:1], -1
	v_xor_b32_e32 v0, v4, v5
	v_xor_b32_e32 v1, v1, v5
	v_sub_co_u32_e32 v0, vcc, v0, v5
	v_subb_co_u32_e32 v1, vcc, v1, v5, vcc
	s_branch .LBB54_407
.LBB54_384:
	s_or_b64 exec, exec, s[24:25]
	s_mov_b64 s[24:25], 0
	s_and_saveexec_b64 s[0:1], s[22:23]
	s_cbranch_execnz .LBB54_1220
.LBB54_385:
	s_or_b64 exec, exec, s[0:1]
	s_and_saveexec_b64 s[0:1], s[28:29]
	s_xor_b64 s[0:1], exec, s[0:1]
	s_cbranch_execz .LBB54_1221
.LBB54_386:
	global_load_ubyte v0, v[2:3], off
	s_mov_b32 s22, 0
	s_waitcnt vmcnt(1)
	v_mov_b32_e32 v1, s22
	s_or_b64 s[30:31], s[30:31], exec
	s_waitcnt vmcnt(0)
	v_cmp_ne_u16_e32 vcc, 0, v0
	v_cndmask_b32_e64 v0, 0, 1, vcc
	s_or_b64 exec, exec, s[0:1]
	s_and_saveexec_b64 s[0:1], s[34:35]
	s_cbranch_execz .LBB54_1267
	s_branch .LBB54_1222
.LBB54_387:
	s_mov_b64 s[0:1], 0
                                        ; implicit-def: $vgpr0_vgpr1
	s_mov_b64 s[26:27], s[22:23]
	s_cbranch_execnz .LBB54_469
.LBB54_388:
	s_andn2_b64 vcc, exec, s[0:1]
	s_cbranch_vccnz .LBB54_517
.LBB54_389:
	v_mul_lo_u32 v2, v18, s14
	v_mov_b32_e32 v3, s3
	s_and_b32 s36, s56, 0xff
	s_cmp_lt_i32 s36, 11
	v_ashrrev_i32_e32 v4, 31, v2
	v_add_co_u32_e32 v2, vcc, s2, v2
	v_addc_co_u32_e32 v3, vcc, v3, v4, vcc
	s_cbranch_scc1 .LBB54_397
; %bb.390:
	s_and_b32 s37, 0xffff, s36
	s_cmp_gt_i32 s37, 25
	s_cbranch_scc0 .LBB54_399
; %bb.391:
	s_cmp_gt_i32 s37, 28
	s_cbranch_scc0 .LBB54_401
; %bb.392:
	;; [unrolled: 3-line block ×4, first 2 shown]
	s_cmp_eq_u32 s37, 46
	s_mov_b64 s[30:31], 0
	s_cbranch_scc0 .LBB54_521
; %bb.395:
	global_load_dword v4, v[2:3], off
	s_mov_b32 s0, 0x2f800000
	s_mov_b32 s1, 0xcf800000
	s_mov_b64 s[28:29], 0
	s_waitcnt vmcnt(0)
	v_lshlrev_b32_e32 v4, 16, v4
	v_trunc_f32_e32 v4, v4
	v_mul_f32_e64 v5, |v4|, s0
	v_floor_f32_e32 v5, v5
	v_fma_f32 v6, v5, s1, |v4|
	v_cvt_u32_f32_e32 v6, v6
	v_cvt_u32_f32_e32 v5, v5
	v_ashrrev_i32_e32 v7, 31, v4
	s_mov_b64 s[0:1], -1
	v_xor_b32_e32 v4, v6, v7
	v_xor_b32_e32 v5, v5, v7
	v_sub_co_u32_e32 v4, vcc, v4, v7
	v_subb_co_u32_e32 v5, vcc, v5, v7, vcc
	s_branch .LBB54_522
.LBB54_396:
	s_mov_b64 s[28:29], -1
	s_mov_b64 s[0:1], 0
	s_mov_b64 s[26:27], s[22:23]
                                        ; implicit-def: $vgpr0_vgpr1
	s_branch .LBB54_437
.LBB54_397:
	s_mov_b64 s[30:31], -1
	s_mov_b64 s[0:1], 0
                                        ; implicit-def: $vgpr4_vgpr5
	s_mov_b64 s[28:29], s[20:21]
	s_branch .LBB54_583
.LBB54_398:
	s_mov_b64 s[28:29], -1
	s_mov_b64 s[0:1], 0
	s_mov_b64 s[26:27], s[22:23]
                                        ; implicit-def: $vgpr0_vgpr1
	s_branch .LBB54_418
.LBB54_399:
	s_mov_b64 s[30:31], -1
	s_mov_b64 s[0:1], 0
	s_mov_b64 s[28:29], s[20:21]
                                        ; implicit-def: $vgpr4_vgpr5
	s_branch .LBB54_551
.LBB54_400:
	s_mov_b64 s[28:29], -1
	s_mov_b64 s[0:1], 0
	s_mov_b64 s[26:27], s[22:23]
                                        ; implicit-def: $vgpr0_vgpr1
	s_branch .LBB54_413
.LBB54_401:
	s_mov_b64 s[30:31], -1
	s_mov_b64 s[0:1], 0
	s_mov_b64 s[28:29], s[20:21]
                                        ; implicit-def: $vgpr4_vgpr5
	s_branch .LBB54_532
.LBB54_402:
	s_mov_b64 s[28:29], -1
	s_mov_b64 s[0:1], 0
	s_mov_b64 s[26:27], s[22:23]
                                        ; implicit-def: $vgpr0_vgpr1
	s_branch .LBB54_407
.LBB54_403:
	s_mov_b64 s[30:31], -1
	s_mov_b64 s[0:1], 0
	s_mov_b64 s[28:29], s[20:21]
                                        ; implicit-def: $vgpr4_vgpr5
	s_branch .LBB54_527
.LBB54_404:
	s_andn2_saveexec_b64 s[34:35], s[34:35]
	s_cbranch_execz .LBB54_176
.LBB54_405:
	v_add_f32_e32 v2, 0x46000000, v3
	v_and_b32_e32 v2, 0xff, v2
	v_cmp_ne_u32_e32 vcc, 0, v2
	s_andn2_b64 s[30:31], s[30:31], exec
	s_and_b64 s[38:39], vcc, exec
	s_or_b64 s[30:31], s[30:31], s[38:39]
	s_or_b64 exec, exec, s[34:35]
	v_mov_b32_e32 v4, 0
	s_and_saveexec_b64 s[34:35], s[30:31]
	s_cbranch_execnz .LBB54_177
	s_branch .LBB54_178
.LBB54_406:
	s_mov_b64 s[26:27], -1
                                        ; implicit-def: $vgpr0_vgpr1
	s_mov_b64 s[0:1], 0
.LBB54_407:
	s_and_b64 vcc, exec, s[28:29]
	s_cbranch_vccz .LBB54_412
; %bb.408:
	s_cmp_eq_u32 s31, 44
	s_cbranch_scc0 .LBB54_411
; %bb.409:
	global_load_ubyte v0, v[2:3], off
	s_mov_b32 s0, 0x2f800000
	s_mov_b32 s1, 0xcf800000
	s_mov_b64 s[26:27], 0
	s_waitcnt vmcnt(0)
	v_lshlrev_b32_e32 v1, 23, v0
	v_trunc_f32_e32 v1, v1
	v_mul_f32_e64 v4, |v1|, s0
	v_floor_f32_e32 v4, v4
	v_fma_f32 v5, v4, s1, |v1|
	v_cvt_u32_f32_e32 v5, v5
	v_cvt_u32_f32_e32 v4, v4
	v_ashrrev_i32_e32 v1, 31, v1
	s_mov_b64 s[0:1], -1
	v_xor_b32_e32 v5, v5, v1
	v_xor_b32_e32 v4, v4, v1
	v_sub_co_u32_e32 v5, vcc, v5, v1
	v_subb_co_u32_e32 v1, vcc, v4, v1, vcc
	v_cmp_ne_u32_e32 vcc, 0, v0
	v_cndmask_b32_e32 v1, 0, v1, vcc
	v_cndmask_b32_e32 v0, 0, v5, vcc
	s_branch .LBB54_412
.LBB54_410:
	s_mov_b64 s[30:31], -1
	s_mov_b64 s[0:1], 0
	s_mov_b64 s[28:29], s[20:21]
                                        ; implicit-def: $vgpr4_vgpr5
	s_branch .LBB54_522
.LBB54_411:
	s_mov_b64 s[26:27], -1
                                        ; implicit-def: $vgpr0_vgpr1
.LBB54_412:
	s_mov_b64 s[28:29], 0
.LBB54_413:
	s_and_b64 vcc, exec, s[28:29]
	s_cbranch_vccz .LBB54_417
; %bb.414:
	s_cmp_eq_u32 s31, 29
	s_cbranch_scc0 .LBB54_416
; %bb.415:
	global_load_dwordx2 v[0:1], v[2:3], off
	s_mov_b64 s[0:1], -1
	s_mov_b64 s[26:27], 0
	s_branch .LBB54_417
.LBB54_416:
	s_mov_b64 s[26:27], -1
                                        ; implicit-def: $vgpr0_vgpr1
.LBB54_417:
	s_mov_b64 s[28:29], 0
.LBB54_418:
	s_and_b64 vcc, exec, s[28:29]
	s_cbranch_vccz .LBB54_436
; %bb.419:
	s_cmp_lt_i32 s31, 27
	s_cbranch_scc1 .LBB54_422
; %bb.420:
	s_cmp_gt_i32 s31, 27
	s_cbranch_scc0 .LBB54_423
; %bb.421:
	global_load_dword v0, v[2:3], off
	s_waitcnt vmcnt(1)
	v_mov_b32_e32 v1, 0
	s_mov_b64 s[0:1], 0
	s_branch .LBB54_424
.LBB54_422:
	s_mov_b64 s[0:1], -1
                                        ; implicit-def: $vgpr0_vgpr1
	s_branch .LBB54_427
.LBB54_423:
	s_mov_b64 s[0:1], -1
                                        ; implicit-def: $vgpr0_vgpr1
.LBB54_424:
	s_andn2_b64 vcc, exec, s[0:1]
	s_cbranch_vccnz .LBB54_426
; %bb.425:
	global_load_ushort v0, v[2:3], off
	s_mov_b32 s0, 0
	s_waitcnt vmcnt(1)
	v_mov_b32_e32 v1, s0
	s_waitcnt vmcnt(0)
	v_and_b32_e32 v0, 0xffff, v0
.LBB54_426:
	s_mov_b64 s[0:1], 0
.LBB54_427:
	s_andn2_b64 vcc, exec, s[0:1]
	s_cbranch_vccnz .LBB54_435
; %bb.428:
	global_load_ubyte v4, v[2:3], off
	s_movk_i32 s0, 0x7f
	s_mov_b64 s[28:29], 0
	s_waitcnt vmcnt(0)
	v_cmp_lt_i16_e32 vcc, s0, v4
	s_and_saveexec_b64 s[0:1], vcc
	s_xor_b64 s[0:1], exec, s[0:1]
; %bb.429:
	s_movk_i32 s28, 0x80
	v_cmp_ne_u16_e32 vcc, s28, v4
	s_and_b64 s[28:29], vcc, exec
; %bb.430:
	s_andn2_saveexec_b64 s[0:1], s[0:1]
; %bb.431:
	v_cmp_ne_u16_e32 vcc, 0, v4
	s_andn2_b64 s[28:29], s[28:29], exec
	s_and_b64 s[36:37], vcc, exec
	s_or_b64 s[28:29], s[28:29], s[36:37]
; %bb.432:
	s_or_b64 exec, exec, s[0:1]
	v_mov_b32_e32 v0, 0
	v_mov_b32_e32 v1, 0
	s_and_saveexec_b64 s[0:1], s[28:29]
	s_cbranch_execz .LBB54_434
; %bb.433:
	v_and_b32_e32 v1, 0xffff, v4
	v_lshlrev_b32_e32 v0, 24, v4
	v_and_b32_e32 v4, 7, v1
	v_ffbh_u32_e32 v6, v4
	v_min_u32_e32 v6, 32, v6
	v_subrev_u32_e32 v7, 28, v6
	v_bfe_u32 v5, v1, 3, 4
	v_lshlrev_b32_e32 v1, v7, v1
	v_sub_u32_e32 v6, 29, v6
	v_and_b32_e32 v1, 7, v1
	v_cmp_eq_u32_e32 vcc, 0, v5
	v_cndmask_b32_e32 v5, v5, v6, vcc
	v_cndmask_b32_e32 v1, v4, v1, vcc
	v_mov_b32_e32 v4, 0x3b800000
	v_lshlrev_b32_e32 v1, 20, v1
	v_and_b32_e32 v0, 0x80000000, v0
	v_lshl_add_u32 v4, v5, 23, v4
	v_or3_b32 v0, v0, v4, v1
	v_trunc_f32_e32 v0, v0
	s_mov_b32 s28, 0x2f800000
	v_mul_f32_e64 v1, |v0|, s28
	v_floor_f32_e32 v1, v1
	s_mov_b32 s28, 0xcf800000
	v_fma_f32 v4, v1, s28, |v0|
	v_cvt_u32_f32_e32 v4, v4
	v_cvt_u32_f32_e32 v1, v1
	v_ashrrev_i32_e32 v5, 31, v0
	v_xor_b32_e32 v0, v4, v5
	v_xor_b32_e32 v1, v1, v5
	v_sub_co_u32_e32 v0, vcc, v0, v5
	v_subb_co_u32_e32 v1, vcc, v1, v5, vcc
.LBB54_434:
	s_or_b64 exec, exec, s[0:1]
.LBB54_435:
	s_mov_b64 s[0:1], -1
.LBB54_436:
	s_mov_b64 s[28:29], 0
.LBB54_437:
	s_and_b64 vcc, exec, s[28:29]
	s_cbranch_vccz .LBB54_468
; %bb.438:
	s_cmp_gt_i32 s31, 22
	s_cbranch_scc0 .LBB54_448
; %bb.439:
	s_cmp_lt_i32 s31, 24
	s_cbranch_scc1 .LBB54_449
; %bb.440:
	s_cmp_gt_i32 s31, 24
	s_cbranch_scc0 .LBB54_450
; %bb.441:
	global_load_ubyte v4, v[2:3], off
	s_movk_i32 s0, 0x7f
	s_mov_b64 s[28:29], 0
	s_waitcnt vmcnt(0)
	v_cmp_lt_i16_e32 vcc, s0, v4
	s_and_saveexec_b64 s[0:1], vcc
	s_xor_b64 s[0:1], exec, s[0:1]
; %bb.442:
	s_movk_i32 s28, 0x80
	v_cmp_ne_u16_e32 vcc, s28, v4
	s_and_b64 s[28:29], vcc, exec
; %bb.443:
	s_andn2_saveexec_b64 s[0:1], s[0:1]
; %bb.444:
	v_cmp_ne_u16_e32 vcc, 0, v4
	s_andn2_b64 s[28:29], s[28:29], exec
	s_and_b64 s[36:37], vcc, exec
	s_or_b64 s[28:29], s[28:29], s[36:37]
; %bb.445:
	s_or_b64 exec, exec, s[0:1]
	v_mov_b32_e32 v0, 0
	v_mov_b32_e32 v1, 0
	s_and_saveexec_b64 s[0:1], s[28:29]
	s_cbranch_execz .LBB54_447
; %bb.446:
	v_and_b32_e32 v1, 0xffff, v4
	v_lshlrev_b32_e32 v0, 24, v4
	v_and_b32_e32 v4, 3, v1
	v_ffbh_u32_e32 v6, v4
	v_min_u32_e32 v6, 32, v6
	v_subrev_u32_e32 v7, 29, v6
	v_bfe_u32 v5, v1, 2, 5
	v_lshlrev_b32_e32 v1, v7, v1
	v_sub_u32_e32 v6, 30, v6
	v_and_b32_e32 v1, 3, v1
	v_cmp_eq_u32_e32 vcc, 0, v5
	v_cndmask_b32_e32 v5, v5, v6, vcc
	v_cndmask_b32_e32 v1, v4, v1, vcc
	v_mov_b32_e32 v4, 0x37800000
	v_lshlrev_b32_e32 v1, 21, v1
	v_and_b32_e32 v0, 0x80000000, v0
	v_lshl_add_u32 v4, v5, 23, v4
	v_or3_b32 v0, v0, v4, v1
	v_trunc_f32_e32 v0, v0
	s_mov_b32 s28, 0x2f800000
	v_mul_f32_e64 v1, |v0|, s28
	v_floor_f32_e32 v1, v1
	s_mov_b32 s28, 0xcf800000
	v_fma_f32 v4, v1, s28, |v0|
	v_cvt_u32_f32_e32 v4, v4
	v_cvt_u32_f32_e32 v1, v1
	v_ashrrev_i32_e32 v5, 31, v0
	v_xor_b32_e32 v0, v4, v5
	v_xor_b32_e32 v1, v1, v5
	v_sub_co_u32_e32 v0, vcc, v0, v5
	v_subb_co_u32_e32 v1, vcc, v1, v5, vcc
.LBB54_447:
	s_or_b64 exec, exec, s[0:1]
	s_mov_b64 s[0:1], 0
	s_branch .LBB54_451
.LBB54_448:
	s_mov_b64 s[28:29], -1
                                        ; implicit-def: $vgpr0_vgpr1
	s_branch .LBB54_457
.LBB54_449:
	s_mov_b64 s[0:1], -1
                                        ; implicit-def: $vgpr0_vgpr1
	s_branch .LBB54_454
.LBB54_450:
	s_mov_b64 s[0:1], -1
                                        ; implicit-def: $vgpr0_vgpr1
.LBB54_451:
	s_and_b64 vcc, exec, s[0:1]
	s_cbranch_vccz .LBB54_453
; %bb.452:
	global_load_ubyte v0, v[2:3], off
	s_mov_b32 s0, 0x7f800000
	s_brev_b32 s1, 1
	s_mov_b32 s28, 0x2f800000
	s_mov_b32 s29, 0xcf800000
	s_waitcnt vmcnt(0)
	v_lshlrev_b32_e32 v0, 24, v0
	v_and_b32_e32 v1, 0x7f000000, v0
	v_ffbh_u32_e32 v4, v1
	v_min_u32_e32 v4, 32, v4
	v_sub_u32_e64 v4, v4, 4 clamp
	v_lshlrev_b32_e32 v6, v4, v1
	v_lshlrev_b32_e32 v4, 23, v4
	v_lshrrev_b32_e32 v6, 4, v6
	v_add_u32_e32 v5, 0x1000000, v1
	v_sub_u32_e32 v4, v6, v4
	v_ashrrev_i32_e32 v5, 8, v5
	v_add_u32_e32 v4, 0x3c000000, v4
	v_and_or_b32 v4, v5, s0, v4
	v_cmp_ne_u32_e32 vcc, 0, v1
	v_cndmask_b32_e32 v1, 0, v4, vcc
	v_and_or_b32 v0, v0, s1, v1
	v_trunc_f32_e32 v0, v0
	v_mul_f32_e64 v1, |v0|, s28
	v_floor_f32_e32 v1, v1
	v_fma_f32 v4, v1, s29, |v0|
	v_cvt_u32_f32_e32 v4, v4
	v_cvt_u32_f32_e32 v1, v1
	v_ashrrev_i32_e32 v5, 31, v0
	v_xor_b32_e32 v0, v4, v5
	v_xor_b32_e32 v1, v1, v5
	v_sub_co_u32_e32 v0, vcc, v0, v5
	v_subb_co_u32_e32 v1, vcc, v1, v5, vcc
.LBB54_453:
	s_mov_b64 s[0:1], 0
.LBB54_454:
	s_andn2_b64 vcc, exec, s[0:1]
	s_cbranch_vccnz .LBB54_456
; %bb.455:
	global_load_ubyte v0, v[2:3], off
	s_movk_i32 s0, 0x7f00
	s_brev_b32 s1, 16
	s_brev_b32 s28, 1
	s_mov_b32 s29, 0x2f800000
	s_mov_b32 s36, 0xcf800000
	s_waitcnt vmcnt(0)
	v_lshlrev_b16_e32 v1, 8, v0
	v_lshlrev_b32_e32 v0, 25, v0
	v_lshrrev_b32_e32 v4, 4, v0
	v_and_or_b32 v5, v1, s0, 0.5
	v_or_b32_e32 v4, 0x70000000, v4
	v_add_f32_e32 v5, -0.5, v5
	v_mul_f32_e32 v4, 0x7800000, v4
	v_cmp_gt_u32_e32 vcc, s1, v0
	v_bfe_i32 v1, v1, 0, 16
	v_cndmask_b32_e32 v0, v4, v5, vcc
	v_and_or_b32 v0, v1, s28, v0
	v_trunc_f32_e32 v0, v0
	v_mul_f32_e64 v1, |v0|, s29
	v_floor_f32_e32 v1, v1
	v_fma_f32 v4, v1, s36, |v0|
	v_cvt_u32_f32_e32 v4, v4
	v_cvt_u32_f32_e32 v1, v1
	v_ashrrev_i32_e32 v5, 31, v0
	v_xor_b32_e32 v0, v4, v5
	v_xor_b32_e32 v1, v1, v5
	v_sub_co_u32_e32 v0, vcc, v0, v5
	v_subb_co_u32_e32 v1, vcc, v1, v5, vcc
.LBB54_456:
	s_mov_b64 s[28:29], 0
	s_mov_b64 s[0:1], -1
.LBB54_457:
	s_andn2_b64 vcc, exec, s[28:29]
	s_cbranch_vccnz .LBB54_468
; %bb.458:
	s_cmp_gt_i32 s31, 14
	s_cbranch_scc0 .LBB54_461
; %bb.459:
	s_cmp_eq_u32 s31, 15
	s_cbranch_scc0 .LBB54_462
; %bb.460:
	global_load_ushort v0, v[2:3], off
	s_mov_b32 s0, 0x2f800000
	s_mov_b32 s1, 0xcf800000
	s_mov_b64 s[26:27], 0
	s_waitcnt vmcnt(0)
	v_lshlrev_b32_e32 v0, 16, v0
	v_trunc_f32_e32 v0, v0
	v_mul_f32_e64 v1, |v0|, s0
	v_floor_f32_e32 v1, v1
	v_fma_f32 v4, v1, s1, |v0|
	v_cvt_u32_f32_e32 v4, v4
	v_cvt_u32_f32_e32 v1, v1
	v_ashrrev_i32_e32 v5, 31, v0
	s_mov_b64 s[0:1], -1
	v_xor_b32_e32 v0, v4, v5
	v_xor_b32_e32 v1, v1, v5
	v_sub_co_u32_e32 v0, vcc, v0, v5
	v_subb_co_u32_e32 v1, vcc, v1, v5, vcc
	s_branch .LBB54_463
.LBB54_461:
	s_mov_b64 s[28:29], -1
                                        ; implicit-def: $vgpr0_vgpr1
	s_branch .LBB54_464
.LBB54_462:
	s_mov_b64 s[26:27], -1
                                        ; implicit-def: $vgpr0_vgpr1
.LBB54_463:
	s_mov_b64 s[28:29], 0
.LBB54_464:
	s_and_b64 vcc, exec, s[28:29]
	s_cbranch_vccz .LBB54_468
; %bb.465:
	s_cmp_eq_u32 s31, 11
	s_cbranch_scc0 .LBB54_467
; %bb.466:
	global_load_ubyte v0, v[2:3], off
	s_mov_b32 s26, 0
	s_mov_b64 s[0:1], -1
	s_waitcnt vmcnt(1)
	v_mov_b32_e32 v1, s26
	s_mov_b64 s[26:27], 0
	s_waitcnt vmcnt(0)
	v_cmp_ne_u16_e32 vcc, 0, v0
	v_cndmask_b32_e64 v0, 0, 1, vcc
	s_branch .LBB54_468
.LBB54_467:
	s_mov_b64 s[26:27], -1
                                        ; implicit-def: $vgpr0_vgpr1
.LBB54_468:
	s_branch .LBB54_388
.LBB54_469:
	s_and_b32 s28, 0xffff, s30
	s_cmp_lt_i32 s28, 5
	s_cbranch_scc1 .LBB54_474
; %bb.470:
	s_cmp_lt_i32 s28, 8
	s_cbranch_scc1 .LBB54_475
; %bb.471:
	;; [unrolled: 3-line block ×3, first 2 shown]
	s_cmp_gt_i32 s28, 9
	s_cbranch_scc0 .LBB54_477
; %bb.473:
	global_load_dwordx2 v[0:1], v[2:3], off
	s_movk_i32 s0, 0xffe0
	s_waitcnt vmcnt(0)
	v_trunc_f64_e32 v[0:1], v[0:1]
	v_ldexp_f64 v[4:5], v[0:1], s0
	s_mov_b32 s0, 0
	s_mov_b32 s1, 0xc1f00000
	v_floor_f64_e32 v[4:5], v[4:5]
	v_fma_f64 v[6:7], v[4:5], s[0:1], v[0:1]
	v_cvt_i32_f64_e32 v1, v[4:5]
	s_mov_b64 s[0:1], 0
	v_cvt_u32_f64_e32 v0, v[6:7]
	s_branch .LBB54_478
.LBB54_474:
	s_mov_b64 s[0:1], -1
                                        ; implicit-def: $vgpr0_vgpr1
	s_branch .LBB54_496
.LBB54_475:
	s_mov_b64 s[0:1], -1
                                        ; implicit-def: $vgpr0_vgpr1
	s_branch .LBB54_484
.LBB54_476:
	s_mov_b64 s[0:1], -1
                                        ; implicit-def: $vgpr0_vgpr1
	s_branch .LBB54_481
.LBB54_477:
	s_mov_b64 s[0:1], -1
                                        ; implicit-def: $vgpr0_vgpr1
.LBB54_478:
	s_andn2_b64 vcc, exec, s[0:1]
	s_cbranch_vccnz .LBB54_480
; %bb.479:
	global_load_dword v0, v[2:3], off
	s_mov_b32 s0, 0x2f800000
	s_mov_b32 s1, 0xcf800000
	s_waitcnt vmcnt(0)
	v_trunc_f32_e32 v0, v0
	v_mul_f32_e64 v1, |v0|, s0
	v_floor_f32_e32 v1, v1
	v_cvt_u32_f32_e32 v4, v1
	v_fma_f32 v1, v1, s1, |v0|
	v_cvt_u32_f32_e32 v1, v1
	v_ashrrev_i32_e32 v5, 31, v0
	v_xor_b32_e32 v4, v4, v5
	v_xor_b32_e32 v0, v1, v5
	v_sub_co_u32_e32 v0, vcc, v0, v5
	v_subb_co_u32_e32 v1, vcc, v4, v5, vcc
.LBB54_480:
	s_mov_b64 s[0:1], 0
.LBB54_481:
	s_andn2_b64 vcc, exec, s[0:1]
	s_cbranch_vccnz .LBB54_483
; %bb.482:
	global_load_dword v0, v[2:3], off
	s_waitcnt vmcnt(0)
	v_cvt_f32_f16_e32 v0, v0
	v_cvt_i32_f32_e32 v0, v0
	v_ashrrev_i32_e32 v1, 31, v0
.LBB54_483:
	s_mov_b64 s[0:1], 0
.LBB54_484:
	s_andn2_b64 vcc, exec, s[0:1]
	s_cbranch_vccnz .LBB54_495
; %bb.485:
	s_cmp_lt_i32 s28, 6
	s_cbranch_scc1 .LBB54_488
; %bb.486:
	s_cmp_gt_i32 s28, 6
	s_cbranch_scc0 .LBB54_489
; %bb.487:
	global_load_dwordx2 v[0:1], v[2:3], off
	s_movk_i32 s0, 0xffe0
	s_waitcnt vmcnt(0)
	v_trunc_f64_e32 v[0:1], v[0:1]
	v_ldexp_f64 v[4:5], v[0:1], s0
	s_mov_b32 s0, 0
	s_mov_b32 s1, 0xc1f00000
	v_floor_f64_e32 v[4:5], v[4:5]
	v_fma_f64 v[6:7], v[4:5], s[0:1], v[0:1]
	v_cvt_i32_f64_e32 v1, v[4:5]
	s_mov_b64 s[0:1], 0
	v_cvt_u32_f64_e32 v0, v[6:7]
	s_branch .LBB54_490
.LBB54_488:
	s_mov_b64 s[0:1], -1
                                        ; implicit-def: $vgpr0_vgpr1
	s_branch .LBB54_493
.LBB54_489:
	s_mov_b64 s[0:1], -1
                                        ; implicit-def: $vgpr0_vgpr1
.LBB54_490:
	s_andn2_b64 vcc, exec, s[0:1]
	s_cbranch_vccnz .LBB54_492
; %bb.491:
	global_load_dword v0, v[2:3], off
	s_mov_b32 s0, 0x2f800000
	s_mov_b32 s1, 0xcf800000
	s_waitcnt vmcnt(0)
	v_trunc_f32_e32 v0, v0
	v_mul_f32_e64 v1, |v0|, s0
	v_floor_f32_e32 v1, v1
	v_cvt_u32_f32_e32 v4, v1
	v_fma_f32 v1, v1, s1, |v0|
	v_cvt_u32_f32_e32 v1, v1
	v_ashrrev_i32_e32 v5, 31, v0
	v_xor_b32_e32 v4, v4, v5
	v_xor_b32_e32 v0, v1, v5
	v_sub_co_u32_e32 v0, vcc, v0, v5
	v_subb_co_u32_e32 v1, vcc, v4, v5, vcc
.LBB54_492:
	s_mov_b64 s[0:1], 0
.LBB54_493:
	s_andn2_b64 vcc, exec, s[0:1]
	s_cbranch_vccnz .LBB54_495
; %bb.494:
	global_load_ushort v0, v[2:3], off
	s_waitcnt vmcnt(0)
	v_cvt_f32_f16_e32 v0, v0
	v_cvt_i32_f32_e32 v0, v0
	v_ashrrev_i32_e32 v1, 31, v0
.LBB54_495:
	s_mov_b64 s[0:1], 0
.LBB54_496:
	s_andn2_b64 vcc, exec, s[0:1]
	s_cbranch_vccnz .LBB54_516
; %bb.497:
	s_cmp_lt_i32 s28, 2
	s_cbranch_scc1 .LBB54_501
; %bb.498:
	s_cmp_lt_i32 s28, 3
	s_cbranch_scc1 .LBB54_502
; %bb.499:
	s_cmp_gt_i32 s28, 3
	s_cbranch_scc0 .LBB54_503
; %bb.500:
	global_load_dwordx2 v[0:1], v[2:3], off
	s_mov_b64 s[0:1], 0
	s_branch .LBB54_504
.LBB54_501:
	s_mov_b64 s[0:1], -1
                                        ; implicit-def: $vgpr0_vgpr1
	s_branch .LBB54_510
.LBB54_502:
	s_mov_b64 s[0:1], -1
                                        ; implicit-def: $vgpr0_vgpr1
	s_branch .LBB54_507
.LBB54_503:
	s_mov_b64 s[0:1], -1
                                        ; implicit-def: $vgpr0_vgpr1
.LBB54_504:
	s_andn2_b64 vcc, exec, s[0:1]
	s_cbranch_vccnz .LBB54_506
; %bb.505:
	global_load_dword v0, v[2:3], off
	s_waitcnt vmcnt(0)
	v_ashrrev_i32_e32 v1, 31, v0
.LBB54_506:
	s_mov_b64 s[0:1], 0
.LBB54_507:
	s_andn2_b64 vcc, exec, s[0:1]
	s_cbranch_vccnz .LBB54_509
; %bb.508:
	global_load_ushort v0, v[2:3], off
	s_waitcnt vmcnt(0)
	v_bfe_i32 v0, v0, 0, 16
	v_ashrrev_i32_e32 v1, 31, v0
.LBB54_509:
	s_mov_b64 s[0:1], 0
.LBB54_510:
	s_andn2_b64 vcc, exec, s[0:1]
	s_cbranch_vccnz .LBB54_516
; %bb.511:
	s_cmp_gt_i32 s28, 0
	s_cbranch_scc0 .LBB54_513
; %bb.512:
	global_load_sbyte v0, v[2:3], off
	s_mov_b64 s[0:1], 0
	s_waitcnt vmcnt(0)
	v_bfe_i32 v0, v0, 0, 16
	v_ashrrev_i32_e32 v1, 31, v0
	s_branch .LBB54_514
.LBB54_513:
	s_mov_b64 s[0:1], -1
                                        ; implicit-def: $vgpr0_vgpr1
.LBB54_514:
	s_andn2_b64 vcc, exec, s[0:1]
	s_cbranch_vccnz .LBB54_516
; %bb.515:
	global_load_ubyte v0, v[2:3], off
	s_mov_b32 s0, 0
	s_waitcnt vmcnt(1)
	v_mov_b32_e32 v1, s0
	s_waitcnt vmcnt(0)
	v_and_b32_e32 v0, 0xffff, v0
.LBB54_516:
	s_branch .LBB54_389
.LBB54_517:
	s_mov_b64 s[36:37], 0
	s_mov_b64 s[0:1], s[18:19]
	;; [unrolled: 1-line block ×3, first 2 shown]
.LBB54_518:
                                        ; implicit-def: $vgpr18
	s_branch .LBB54_756
.LBB54_519:
	s_andn2_saveexec_b64 s[34:35], s[34:35]
	s_cbranch_execz .LBB54_189
.LBB54_520:
	v_add_f32_e32 v2, 0x42800000, v3
	v_and_b32_e32 v2, 0xff, v2
	v_cmp_ne_u32_e32 vcc, 0, v2
	s_andn2_b64 s[30:31], s[30:31], exec
	s_and_b64 s[38:39], vcc, exec
	s_or_b64 s[30:31], s[30:31], s[38:39]
	s_or_b64 exec, exec, s[34:35]
	v_mov_b32_e32 v4, 0
	s_and_saveexec_b64 s[34:35], s[30:31]
	s_cbranch_execnz .LBB54_190
	s_branch .LBB54_191
.LBB54_521:
	s_mov_b64 s[28:29], -1
                                        ; implicit-def: $vgpr4_vgpr5
	s_mov_b64 s[0:1], 0
.LBB54_522:
	s_and_b64 vcc, exec, s[30:31]
	s_cbranch_vccz .LBB54_526
; %bb.523:
	s_cmp_eq_u32 s37, 44
	s_cbranch_scc0 .LBB54_525
; %bb.524:
	global_load_ubyte v4, v[2:3], off
	s_mov_b32 s0, 0x2f800000
	s_mov_b32 s1, 0xcf800000
	s_mov_b64 s[28:29], 0
	s_waitcnt vmcnt(0)
	v_lshlrev_b32_e32 v5, 23, v4
	v_trunc_f32_e32 v5, v5
	v_mul_f32_e64 v6, |v5|, s0
	v_floor_f32_e32 v6, v6
	v_fma_f32 v7, v6, s1, |v5|
	v_cvt_u32_f32_e32 v7, v7
	v_cvt_u32_f32_e32 v6, v6
	v_ashrrev_i32_e32 v5, 31, v5
	s_mov_b64 s[0:1], -1
	v_xor_b32_e32 v7, v7, v5
	v_xor_b32_e32 v6, v6, v5
	v_sub_co_u32_e32 v7, vcc, v7, v5
	v_subb_co_u32_e32 v5, vcc, v6, v5, vcc
	v_cmp_ne_u32_e32 vcc, 0, v4
	v_cndmask_b32_e32 v5, 0, v5, vcc
	v_cndmask_b32_e32 v4, 0, v7, vcc
	s_branch .LBB54_526
.LBB54_525:
	s_mov_b64 s[28:29], -1
                                        ; implicit-def: $vgpr4_vgpr5
.LBB54_526:
	s_mov_b64 s[30:31], 0
.LBB54_527:
	s_and_b64 vcc, exec, s[30:31]
	s_cbranch_vccz .LBB54_531
; %bb.528:
	s_cmp_eq_u32 s37, 29
	s_cbranch_scc0 .LBB54_530
; %bb.529:
	global_load_dwordx2 v[4:5], v[2:3], off
	s_mov_b64 s[0:1], -1
	s_mov_b64 s[28:29], 0
	s_branch .LBB54_531
.LBB54_530:
	s_mov_b64 s[28:29], -1
                                        ; implicit-def: $vgpr4_vgpr5
.LBB54_531:
	s_mov_b64 s[30:31], 0
.LBB54_532:
	s_and_b64 vcc, exec, s[30:31]
	s_cbranch_vccz .LBB54_550
; %bb.533:
	s_cmp_lt_i32 s37, 27
	s_cbranch_scc1 .LBB54_536
; %bb.534:
	s_cmp_gt_i32 s37, 27
	s_cbranch_scc0 .LBB54_537
; %bb.535:
	global_load_dword v4, v[2:3], off
	s_waitcnt vmcnt(1)
	v_mov_b32_e32 v5, 0
	s_mov_b64 s[0:1], 0
	s_branch .LBB54_538
.LBB54_536:
	s_mov_b64 s[0:1], -1
                                        ; implicit-def: $vgpr4_vgpr5
	s_branch .LBB54_541
.LBB54_537:
	s_mov_b64 s[0:1], -1
                                        ; implicit-def: $vgpr4_vgpr5
.LBB54_538:
	s_andn2_b64 vcc, exec, s[0:1]
	s_cbranch_vccnz .LBB54_540
; %bb.539:
	global_load_ushort v4, v[2:3], off
	s_mov_b32 s0, 0
	s_waitcnt vmcnt(1)
	v_mov_b32_e32 v5, s0
	s_waitcnt vmcnt(0)
	v_and_b32_e32 v4, 0xffff, v4
.LBB54_540:
	s_mov_b64 s[0:1], 0
.LBB54_541:
	s_andn2_b64 vcc, exec, s[0:1]
	s_cbranch_vccnz .LBB54_549
; %bb.542:
	global_load_ubyte v6, v[2:3], off
	s_movk_i32 s0, 0x7f
	s_mov_b64 s[30:31], 0
	s_waitcnt vmcnt(0)
	v_cmp_lt_i16_e32 vcc, s0, v6
	s_and_saveexec_b64 s[0:1], vcc
	s_xor_b64 s[0:1], exec, s[0:1]
; %bb.543:
	s_movk_i32 s30, 0x80
	v_cmp_ne_u16_e32 vcc, s30, v6
	s_and_b64 s[30:31], vcc, exec
; %bb.544:
	s_andn2_saveexec_b64 s[0:1], s[0:1]
; %bb.545:
	v_cmp_ne_u16_e32 vcc, 0, v6
	s_andn2_b64 s[30:31], s[30:31], exec
	s_and_b64 s[38:39], vcc, exec
	s_or_b64 s[30:31], s[30:31], s[38:39]
; %bb.546:
	s_or_b64 exec, exec, s[0:1]
	v_mov_b32_e32 v4, 0
	v_mov_b32_e32 v5, 0
	s_and_saveexec_b64 s[0:1], s[30:31]
	s_cbranch_execz .LBB54_548
; %bb.547:
	v_and_b32_e32 v5, 0xffff, v6
	v_lshlrev_b32_e32 v4, 24, v6
	v_and_b32_e32 v6, 7, v5
	v_ffbh_u32_e32 v8, v6
	v_min_u32_e32 v8, 32, v8
	v_subrev_u32_e32 v9, 28, v8
	v_bfe_u32 v7, v5, 3, 4
	v_lshlrev_b32_e32 v5, v9, v5
	v_sub_u32_e32 v8, 29, v8
	v_and_b32_e32 v5, 7, v5
	v_cmp_eq_u32_e32 vcc, 0, v7
	v_cndmask_b32_e32 v7, v7, v8, vcc
	v_cndmask_b32_e32 v5, v6, v5, vcc
	v_mov_b32_e32 v6, 0x3b800000
	v_lshlrev_b32_e32 v5, 20, v5
	v_and_b32_e32 v4, 0x80000000, v4
	v_lshl_add_u32 v6, v7, 23, v6
	v_or3_b32 v4, v4, v6, v5
	v_trunc_f32_e32 v4, v4
	s_mov_b32 s30, 0x2f800000
	v_mul_f32_e64 v5, |v4|, s30
	v_floor_f32_e32 v5, v5
	s_mov_b32 s30, 0xcf800000
	v_fma_f32 v6, v5, s30, |v4|
	v_cvt_u32_f32_e32 v6, v6
	v_cvt_u32_f32_e32 v5, v5
	v_ashrrev_i32_e32 v7, 31, v4
	v_xor_b32_e32 v4, v6, v7
	v_xor_b32_e32 v5, v5, v7
	v_sub_co_u32_e32 v4, vcc, v4, v7
	v_subb_co_u32_e32 v5, vcc, v5, v7, vcc
.LBB54_548:
	s_or_b64 exec, exec, s[0:1]
.LBB54_549:
	s_mov_b64 s[0:1], -1
.LBB54_550:
	s_mov_b64 s[30:31], 0
.LBB54_551:
	s_and_b64 vcc, exec, s[30:31]
	s_cbranch_vccz .LBB54_582
; %bb.552:
	s_cmp_gt_i32 s37, 22
	s_cbranch_scc0 .LBB54_562
; %bb.553:
	s_cmp_lt_i32 s37, 24
	s_cbranch_scc1 .LBB54_563
; %bb.554:
	s_cmp_gt_i32 s37, 24
	s_cbranch_scc0 .LBB54_564
; %bb.555:
	global_load_ubyte v6, v[2:3], off
	s_movk_i32 s0, 0x7f
	s_mov_b64 s[30:31], 0
	s_waitcnt vmcnt(0)
	v_cmp_lt_i16_e32 vcc, s0, v6
	s_and_saveexec_b64 s[0:1], vcc
	s_xor_b64 s[0:1], exec, s[0:1]
; %bb.556:
	s_movk_i32 s30, 0x80
	v_cmp_ne_u16_e32 vcc, s30, v6
	s_and_b64 s[30:31], vcc, exec
; %bb.557:
	s_andn2_saveexec_b64 s[0:1], s[0:1]
; %bb.558:
	v_cmp_ne_u16_e32 vcc, 0, v6
	s_andn2_b64 s[30:31], s[30:31], exec
	s_and_b64 s[38:39], vcc, exec
	s_or_b64 s[30:31], s[30:31], s[38:39]
; %bb.559:
	s_or_b64 exec, exec, s[0:1]
	v_mov_b32_e32 v4, 0
	v_mov_b32_e32 v5, 0
	s_and_saveexec_b64 s[0:1], s[30:31]
	s_cbranch_execz .LBB54_561
; %bb.560:
	v_and_b32_e32 v5, 0xffff, v6
	v_lshlrev_b32_e32 v4, 24, v6
	v_and_b32_e32 v6, 3, v5
	v_ffbh_u32_e32 v8, v6
	v_min_u32_e32 v8, 32, v8
	v_subrev_u32_e32 v9, 29, v8
	v_bfe_u32 v7, v5, 2, 5
	v_lshlrev_b32_e32 v5, v9, v5
	v_sub_u32_e32 v8, 30, v8
	v_and_b32_e32 v5, 3, v5
	v_cmp_eq_u32_e32 vcc, 0, v7
	v_cndmask_b32_e32 v7, v7, v8, vcc
	v_cndmask_b32_e32 v5, v6, v5, vcc
	v_mov_b32_e32 v6, 0x37800000
	v_lshlrev_b32_e32 v5, 21, v5
	v_and_b32_e32 v4, 0x80000000, v4
	v_lshl_add_u32 v6, v7, 23, v6
	v_or3_b32 v4, v4, v6, v5
	v_trunc_f32_e32 v4, v4
	s_mov_b32 s30, 0x2f800000
	v_mul_f32_e64 v5, |v4|, s30
	v_floor_f32_e32 v5, v5
	s_mov_b32 s30, 0xcf800000
	v_fma_f32 v6, v5, s30, |v4|
	v_cvt_u32_f32_e32 v6, v6
	v_cvt_u32_f32_e32 v5, v5
	v_ashrrev_i32_e32 v7, 31, v4
	v_xor_b32_e32 v4, v6, v7
	v_xor_b32_e32 v5, v5, v7
	v_sub_co_u32_e32 v4, vcc, v4, v7
	v_subb_co_u32_e32 v5, vcc, v5, v7, vcc
.LBB54_561:
	s_or_b64 exec, exec, s[0:1]
	s_mov_b64 s[0:1], 0
	s_branch .LBB54_565
.LBB54_562:
	s_mov_b64 s[30:31], -1
                                        ; implicit-def: $vgpr4_vgpr5
	s_branch .LBB54_571
.LBB54_563:
	s_mov_b64 s[0:1], -1
                                        ; implicit-def: $vgpr4_vgpr5
	s_branch .LBB54_568
.LBB54_564:
	s_mov_b64 s[0:1], -1
                                        ; implicit-def: $vgpr4_vgpr5
.LBB54_565:
	s_and_b64 vcc, exec, s[0:1]
	s_cbranch_vccz .LBB54_567
; %bb.566:
	global_load_ubyte v4, v[2:3], off
	s_mov_b32 s0, 0x7f800000
	s_brev_b32 s1, 1
	s_mov_b32 s30, 0x2f800000
	s_mov_b32 s31, 0xcf800000
	s_waitcnt vmcnt(0)
	v_lshlrev_b32_e32 v4, 24, v4
	v_and_b32_e32 v5, 0x7f000000, v4
	v_ffbh_u32_e32 v6, v5
	v_min_u32_e32 v6, 32, v6
	v_sub_u32_e64 v6, v6, 4 clamp
	v_lshlrev_b32_e32 v8, v6, v5
	v_lshlrev_b32_e32 v6, 23, v6
	v_lshrrev_b32_e32 v8, 4, v8
	v_add_u32_e32 v7, 0x1000000, v5
	v_sub_u32_e32 v6, v8, v6
	v_ashrrev_i32_e32 v7, 8, v7
	v_add_u32_e32 v6, 0x3c000000, v6
	v_and_or_b32 v6, v7, s0, v6
	v_cmp_ne_u32_e32 vcc, 0, v5
	v_cndmask_b32_e32 v5, 0, v6, vcc
	v_and_or_b32 v4, v4, s1, v5
	v_trunc_f32_e32 v4, v4
	v_mul_f32_e64 v5, |v4|, s30
	v_floor_f32_e32 v5, v5
	v_fma_f32 v6, v5, s31, |v4|
	v_cvt_u32_f32_e32 v6, v6
	v_cvt_u32_f32_e32 v5, v5
	v_ashrrev_i32_e32 v7, 31, v4
	v_xor_b32_e32 v4, v6, v7
	v_xor_b32_e32 v5, v5, v7
	v_sub_co_u32_e32 v4, vcc, v4, v7
	v_subb_co_u32_e32 v5, vcc, v5, v7, vcc
.LBB54_567:
	s_mov_b64 s[0:1], 0
.LBB54_568:
	s_andn2_b64 vcc, exec, s[0:1]
	s_cbranch_vccnz .LBB54_570
; %bb.569:
	global_load_ubyte v4, v[2:3], off
	s_movk_i32 s0, 0x7f00
	s_brev_b32 s1, 16
	s_brev_b32 s30, 1
	s_mov_b32 s31, 0x2f800000
	s_mov_b32 s38, 0xcf800000
	s_waitcnt vmcnt(0)
	v_lshlrev_b16_e32 v5, 8, v4
	v_lshlrev_b32_e32 v4, 25, v4
	v_lshrrev_b32_e32 v6, 4, v4
	v_and_or_b32 v7, v5, s0, 0.5
	v_or_b32_e32 v6, 0x70000000, v6
	v_add_f32_e32 v7, -0.5, v7
	v_mul_f32_e32 v6, 0x7800000, v6
	v_cmp_gt_u32_e32 vcc, s1, v4
	v_bfe_i32 v5, v5, 0, 16
	v_cndmask_b32_e32 v4, v6, v7, vcc
	v_and_or_b32 v4, v5, s30, v4
	v_trunc_f32_e32 v4, v4
	v_mul_f32_e64 v5, |v4|, s31
	v_floor_f32_e32 v5, v5
	v_fma_f32 v6, v5, s38, |v4|
	v_cvt_u32_f32_e32 v6, v6
	v_cvt_u32_f32_e32 v5, v5
	v_ashrrev_i32_e32 v7, 31, v4
	v_xor_b32_e32 v4, v6, v7
	v_xor_b32_e32 v5, v5, v7
	v_sub_co_u32_e32 v4, vcc, v4, v7
	v_subb_co_u32_e32 v5, vcc, v5, v7, vcc
.LBB54_570:
	s_mov_b64 s[30:31], 0
	s_mov_b64 s[0:1], -1
.LBB54_571:
	s_andn2_b64 vcc, exec, s[30:31]
	s_cbranch_vccnz .LBB54_582
; %bb.572:
	s_cmp_gt_i32 s37, 14
	s_cbranch_scc0 .LBB54_575
; %bb.573:
	s_cmp_eq_u32 s37, 15
	s_cbranch_scc0 .LBB54_576
; %bb.574:
	global_load_ushort v4, v[2:3], off
	s_mov_b32 s0, 0x2f800000
	s_mov_b32 s1, 0xcf800000
	s_mov_b64 s[28:29], 0
	s_waitcnt vmcnt(0)
	v_lshlrev_b32_e32 v4, 16, v4
	v_trunc_f32_e32 v4, v4
	v_mul_f32_e64 v5, |v4|, s0
	v_floor_f32_e32 v5, v5
	v_fma_f32 v6, v5, s1, |v4|
	v_cvt_u32_f32_e32 v6, v6
	v_cvt_u32_f32_e32 v5, v5
	v_ashrrev_i32_e32 v7, 31, v4
	s_mov_b64 s[0:1], -1
	v_xor_b32_e32 v4, v6, v7
	v_xor_b32_e32 v5, v5, v7
	v_sub_co_u32_e32 v4, vcc, v4, v7
	v_subb_co_u32_e32 v5, vcc, v5, v7, vcc
	s_branch .LBB54_577
.LBB54_575:
	s_mov_b64 s[30:31], -1
                                        ; implicit-def: $vgpr4_vgpr5
	s_branch .LBB54_578
.LBB54_576:
	s_mov_b64 s[28:29], -1
                                        ; implicit-def: $vgpr4_vgpr5
.LBB54_577:
	s_mov_b64 s[30:31], 0
.LBB54_578:
	s_and_b64 vcc, exec, s[30:31]
	s_cbranch_vccz .LBB54_582
; %bb.579:
	s_cmp_eq_u32 s37, 11
	s_cbranch_scc0 .LBB54_581
; %bb.580:
	global_load_ubyte v4, v[2:3], off
	s_mov_b32 s28, 0
	s_mov_b64 s[0:1], -1
	s_waitcnt vmcnt(1)
	v_mov_b32_e32 v5, s28
	s_mov_b64 s[28:29], 0
	s_waitcnt vmcnt(0)
	v_cmp_ne_u16_e32 vcc, 0, v4
	v_cndmask_b32_e64 v4, 0, 1, vcc
	s_branch .LBB54_582
.LBB54_581:
	s_mov_b64 s[28:29], -1
                                        ; implicit-def: $vgpr4_vgpr5
.LBB54_582:
	s_mov_b64 s[30:31], 0
.LBB54_583:
	s_and_b64 vcc, exec, s[30:31]
	s_cbranch_vccz .LBB54_632
; %bb.584:
	s_and_b32 s30, 0xffff, s36
	s_cmp_lt_i32 s30, 5
	s_cbranch_scc1 .LBB54_589
; %bb.585:
	s_cmp_lt_i32 s30, 8
	s_cbranch_scc1 .LBB54_590
; %bb.586:
	;; [unrolled: 3-line block ×3, first 2 shown]
	s_cmp_gt_i32 s30, 9
	s_cbranch_scc0 .LBB54_592
; %bb.588:
	global_load_dwordx2 v[4:5], v[2:3], off
	s_movk_i32 s0, 0xffe0
	s_waitcnt vmcnt(0)
	v_trunc_f64_e32 v[4:5], v[4:5]
	v_ldexp_f64 v[6:7], v[4:5], s0
	s_mov_b32 s0, 0
	s_mov_b32 s1, 0xc1f00000
	v_floor_f64_e32 v[6:7], v[6:7]
	v_fma_f64 v[8:9], v[6:7], s[0:1], v[4:5]
	v_cvt_i32_f64_e32 v5, v[6:7]
	s_mov_b64 s[0:1], 0
	v_cvt_u32_f64_e32 v4, v[8:9]
	s_branch .LBB54_593
.LBB54_589:
	s_mov_b64 s[0:1], -1
                                        ; implicit-def: $vgpr4_vgpr5
	s_branch .LBB54_611
.LBB54_590:
	s_mov_b64 s[0:1], -1
                                        ; implicit-def: $vgpr4_vgpr5
	s_branch .LBB54_599
.LBB54_591:
	s_mov_b64 s[0:1], -1
                                        ; implicit-def: $vgpr4_vgpr5
	s_branch .LBB54_596
.LBB54_592:
	s_mov_b64 s[0:1], -1
                                        ; implicit-def: $vgpr4_vgpr5
.LBB54_593:
	s_andn2_b64 vcc, exec, s[0:1]
	s_cbranch_vccnz .LBB54_595
; %bb.594:
	global_load_dword v4, v[2:3], off
	s_mov_b32 s0, 0x2f800000
	s_mov_b32 s1, 0xcf800000
	s_waitcnt vmcnt(0)
	v_trunc_f32_e32 v4, v4
	v_mul_f32_e64 v5, |v4|, s0
	v_floor_f32_e32 v5, v5
	v_cvt_u32_f32_e32 v6, v5
	v_fma_f32 v5, v5, s1, |v4|
	v_cvt_u32_f32_e32 v5, v5
	v_ashrrev_i32_e32 v7, 31, v4
	v_xor_b32_e32 v6, v6, v7
	v_xor_b32_e32 v4, v5, v7
	v_sub_co_u32_e32 v4, vcc, v4, v7
	v_subb_co_u32_e32 v5, vcc, v6, v7, vcc
.LBB54_595:
	s_mov_b64 s[0:1], 0
.LBB54_596:
	s_andn2_b64 vcc, exec, s[0:1]
	s_cbranch_vccnz .LBB54_598
; %bb.597:
	global_load_dword v4, v[2:3], off
	s_waitcnt vmcnt(0)
	v_cvt_f32_f16_e32 v4, v4
	v_cvt_i32_f32_e32 v4, v4
	v_ashrrev_i32_e32 v5, 31, v4
.LBB54_598:
	s_mov_b64 s[0:1], 0
.LBB54_599:
	s_andn2_b64 vcc, exec, s[0:1]
	s_cbranch_vccnz .LBB54_610
; %bb.600:
	s_cmp_lt_i32 s30, 6
	s_cbranch_scc1 .LBB54_603
; %bb.601:
	s_cmp_gt_i32 s30, 6
	s_cbranch_scc0 .LBB54_604
; %bb.602:
	global_load_dwordx2 v[4:5], v[2:3], off
	s_movk_i32 s0, 0xffe0
	s_waitcnt vmcnt(0)
	v_trunc_f64_e32 v[4:5], v[4:5]
	v_ldexp_f64 v[6:7], v[4:5], s0
	s_mov_b32 s0, 0
	s_mov_b32 s1, 0xc1f00000
	v_floor_f64_e32 v[6:7], v[6:7]
	v_fma_f64 v[8:9], v[6:7], s[0:1], v[4:5]
	v_cvt_i32_f64_e32 v5, v[6:7]
	s_mov_b64 s[0:1], 0
	v_cvt_u32_f64_e32 v4, v[8:9]
	s_branch .LBB54_605
.LBB54_603:
	s_mov_b64 s[0:1], -1
                                        ; implicit-def: $vgpr4_vgpr5
	s_branch .LBB54_608
.LBB54_604:
	s_mov_b64 s[0:1], -1
                                        ; implicit-def: $vgpr4_vgpr5
.LBB54_605:
	s_andn2_b64 vcc, exec, s[0:1]
	s_cbranch_vccnz .LBB54_607
; %bb.606:
	global_load_dword v4, v[2:3], off
	s_mov_b32 s0, 0x2f800000
	s_mov_b32 s1, 0xcf800000
	s_waitcnt vmcnt(0)
	v_trunc_f32_e32 v4, v4
	v_mul_f32_e64 v5, |v4|, s0
	v_floor_f32_e32 v5, v5
	v_cvt_u32_f32_e32 v6, v5
	v_fma_f32 v5, v5, s1, |v4|
	v_cvt_u32_f32_e32 v5, v5
	v_ashrrev_i32_e32 v7, 31, v4
	v_xor_b32_e32 v6, v6, v7
	v_xor_b32_e32 v4, v5, v7
	v_sub_co_u32_e32 v4, vcc, v4, v7
	v_subb_co_u32_e32 v5, vcc, v6, v7, vcc
.LBB54_607:
	s_mov_b64 s[0:1], 0
.LBB54_608:
	s_andn2_b64 vcc, exec, s[0:1]
	s_cbranch_vccnz .LBB54_610
; %bb.609:
	global_load_ushort v4, v[2:3], off
	s_waitcnt vmcnt(0)
	v_cvt_f32_f16_e32 v4, v4
	v_cvt_i32_f32_e32 v4, v4
	v_ashrrev_i32_e32 v5, 31, v4
.LBB54_610:
	s_mov_b64 s[0:1], 0
.LBB54_611:
	s_andn2_b64 vcc, exec, s[0:1]
	s_cbranch_vccnz .LBB54_631
; %bb.612:
	s_cmp_lt_i32 s30, 2
	s_cbranch_scc1 .LBB54_616
; %bb.613:
	s_cmp_lt_i32 s30, 3
	s_cbranch_scc1 .LBB54_617
; %bb.614:
	s_cmp_gt_i32 s30, 3
	s_cbranch_scc0 .LBB54_618
; %bb.615:
	global_load_dwordx2 v[4:5], v[2:3], off
	s_mov_b64 s[0:1], 0
	s_branch .LBB54_619
.LBB54_616:
	s_mov_b64 s[0:1], -1
                                        ; implicit-def: $vgpr4_vgpr5
	s_branch .LBB54_625
.LBB54_617:
	s_mov_b64 s[0:1], -1
                                        ; implicit-def: $vgpr4_vgpr5
	s_branch .LBB54_622
.LBB54_618:
	s_mov_b64 s[0:1], -1
                                        ; implicit-def: $vgpr4_vgpr5
.LBB54_619:
	s_andn2_b64 vcc, exec, s[0:1]
	s_cbranch_vccnz .LBB54_621
; %bb.620:
	global_load_dword v4, v[2:3], off
	s_waitcnt vmcnt(0)
	v_ashrrev_i32_e32 v5, 31, v4
.LBB54_621:
	s_mov_b64 s[0:1], 0
.LBB54_622:
	s_andn2_b64 vcc, exec, s[0:1]
	s_cbranch_vccnz .LBB54_624
; %bb.623:
	global_load_ushort v4, v[2:3], off
	s_waitcnt vmcnt(0)
	v_bfe_i32 v4, v4, 0, 16
	v_ashrrev_i32_e32 v5, 31, v4
.LBB54_624:
	s_mov_b64 s[0:1], 0
.LBB54_625:
	s_andn2_b64 vcc, exec, s[0:1]
	s_cbranch_vccnz .LBB54_631
; %bb.626:
	s_cmp_gt_i32 s30, 0
	s_cbranch_scc0 .LBB54_628
; %bb.627:
	global_load_sbyte v4, v[2:3], off
	s_mov_b64 s[0:1], 0
	s_waitcnt vmcnt(0)
	v_bfe_i32 v4, v4, 0, 16
	v_ashrrev_i32_e32 v5, 31, v4
	s_branch .LBB54_629
.LBB54_628:
	s_mov_b64 s[0:1], -1
                                        ; implicit-def: $vgpr4_vgpr5
.LBB54_629:
	s_andn2_b64 vcc, exec, s[0:1]
	s_cbranch_vccnz .LBB54_631
; %bb.630:
	global_load_ubyte v2, v[2:3], off
	s_mov_b32 s0, 0
	s_waitcnt vmcnt(1)
	v_mov_b32_e32 v5, s0
	s_waitcnt vmcnt(0)
	v_and_b32_e32 v4, 0xffff, v2
.LBB54_631:
	s_mov_b64 s[0:1], -1
.LBB54_632:
	s_andn2_b64 vcc, exec, s[0:1]
	s_cbranch_vccnz .LBB54_640
; %bb.633:
	v_mul_lo_u32 v2, v18, s12
	s_waitcnt vmcnt(0)
	v_cmp_ne_u64_e32 vcc, v[0:1], v[4:5]
	v_mov_b32_e32 v1, s9
	s_xor_b64 s[30:31], s[16:17], vcc
	v_ashrrev_i32_e32 v3, 31, v2
	s_and_b32 s42, s33, 0xff
	v_add_co_u32_e32 v0, vcc, s8, v2
	s_cmp_lt_i32 s42, 11
	v_addc_co_u32_e32 v1, vcc, v1, v3, vcc
	s_cbranch_scc1 .LBB54_641
; %bb.634:
	s_and_b32 s43, 0xffff, s42
	s_cmp_gt_i32 s43, 25
	s_cbranch_scc0 .LBB54_642
; %bb.635:
	s_cmp_gt_i32 s43, 28
	s_cbranch_scc0 .LBB54_643
; %bb.636:
	;; [unrolled: 3-line block ×4, first 2 shown]
	s_mov_b64 s[38:39], 0
	s_mov_b64 s[0:1], -1
	s_cmp_eq_u32 s43, 46
	s_mov_b64 s[36:37], 0
	s_cbranch_scc0 .LBB54_646
; %bb.639:
	v_cndmask_b32_e64 v2, 0, 1.0, s[30:31]
	v_bfe_u32 v3, v2, 16, 1
	s_movk_i32 s0, 0x7fff
	v_add3_u32 v2, v2, v3, s0
	v_lshrrev_b32_e32 v2, 16, v2
	global_store_dword v[0:1], v2, off
	s_mov_b64 s[36:37], -1
	s_mov_b64 s[0:1], 0
	s_branch .LBB54_646
.LBB54_640:
	s_mov_b64 s[36:37], 0
                                        ; implicit-def: $vgpr18
	s_mov_b64 s[0:1], s[18:19]
	s_branch .LBB54_756
.LBB54_641:
	s_mov_b64 s[38:39], -1
	s_mov_b64 s[36:37], 0
	s_mov_b64 s[0:1], s[18:19]
	s_branch .LBB54_715
.LBB54_642:
	s_mov_b64 s[38:39], -1
	s_mov_b64 s[36:37], 0
	s_mov_b64 s[0:1], s[18:19]
	s_branch .LBB54_673
.LBB54_643:
	s_mov_b64 s[38:39], -1
	s_mov_b64 s[36:37], 0
	s_mov_b64 s[0:1], s[18:19]
	s_branch .LBB54_656
.LBB54_644:
	s_mov_b64 s[38:39], -1
	s_mov_b64 s[36:37], 0
	s_mov_b64 s[0:1], s[18:19]
	s_branch .LBB54_652
.LBB54_645:
	s_mov_b64 s[38:39], -1
	s_mov_b64 s[36:37], 0
	s_mov_b64 s[0:1], s[18:19]
.LBB54_646:
	s_and_b64 vcc, exec, s[38:39]
	s_cbranch_vccz .LBB54_651
; %bb.647:
	s_cmp_eq_u32 s43, 44
	s_mov_b64 s[0:1], -1
	s_cbranch_scc0 .LBB54_651
; %bb.648:
	v_cndmask_b32_e64 v3, 0, 1.0, s[30:31]
	v_lshrrev_b32_e32 v2, 23, v3
	s_movk_i32 s0, 0xff
	v_cmp_ne_u32_e32 vcc, s0, v2
	v_mov_b32_e32 v4, 0xff
	s_and_saveexec_b64 s[36:37], vcc
; %bb.649:
	s_mov_b32 s0, 0x3fffff
	v_and_b32_e32 v4, 0x400000, v3
	v_and_or_b32 v3, v3, s0, v2
	v_cmp_ne_u32_e32 vcc, 0, v4
	v_cmp_ne_u32_e64 s[0:1], 0, v3
	s_and_b64 s[0:1], vcc, s[0:1]
	v_cndmask_b32_e64 v3, 0, 1, s[0:1]
	v_add_u32_e32 v4, v2, v3
; %bb.650:
	s_or_b64 exec, exec, s[36:37]
	s_mov_b64 s[36:37], -1
	s_mov_b64 s[0:1], 0
	global_store_byte v[0:1], v4, off
.LBB54_651:
	s_mov_b64 s[38:39], 0
.LBB54_652:
	s_and_b64 vcc, exec, s[38:39]
	s_cbranch_vccz .LBB54_655
; %bb.653:
	s_cmp_eq_u32 s43, 29
	s_mov_b64 s[0:1], -1
	s_cbranch_scc0 .LBB54_655
; %bb.654:
	s_mov_b32 s0, 0
	v_cndmask_b32_e64 v2, 0, 1, s[30:31]
	v_mov_b32_e32 v3, s0
	global_store_dwordx2 v[0:1], v[2:3], off
	s_mov_b64 s[36:37], -1
	s_mov_b64 s[0:1], 0
.LBB54_655:
	s_mov_b64 s[38:39], 0
.LBB54_656:
	s_and_b64 vcc, exec, s[38:39]
	s_cbranch_vccz .LBB54_672
; %bb.657:
	s_cmp_lt_i32 s43, 27
	s_mov_b64 s[36:37], -1
	s_cbranch_scc1 .LBB54_663
; %bb.658:
	s_cmp_gt_i32 s43, 27
	s_cbranch_scc0 .LBB54_660
; %bb.659:
	v_cndmask_b32_e64 v2, 0, 1, s[30:31]
	s_mov_b64 s[36:37], 0
	global_store_dword v[0:1], v2, off
.LBB54_660:
	s_andn2_b64 vcc, exec, s[36:37]
	s_cbranch_vccnz .LBB54_662
; %bb.661:
	v_cndmask_b32_e64 v2, 0, 1, s[30:31]
	global_store_short v[0:1], v2, off
.LBB54_662:
	s_mov_b64 s[36:37], 0
.LBB54_663:
	s_andn2_b64 vcc, exec, s[36:37]
	s_cbranch_vccnz .LBB54_671
; %bb.664:
	v_cndmask_b32_e64 v3, 0, 1.0, s[30:31]
	s_mov_b32 s36, 0x43800000
	v_cmp_gt_u32_e32 vcc, s36, v3
	v_mov_b32_e32 v4, 0x80
	s_and_saveexec_b64 s[36:37], vcc
	s_cbranch_execz .LBB54_670
; %bb.665:
	s_mov_b32 s38, 0x3bffffff
	v_cmp_lt_u32_e32 vcc, s38, v3
	s_mov_b64 s[38:39], 0
                                        ; implicit-def: $vgpr2
	s_and_saveexec_b64 s[40:41], vcc
	s_xor_b64 s[40:41], exec, s[40:41]
	s_cbranch_execz .LBB54_772
; %bb.666:
	v_bfe_u32 v2, v3, 20, 1
	s_mov_b32 s44, 0x487ffff
	v_add3_u32 v2, v3, v2, s44
	s_mov_b64 s[38:39], exec
	v_lshrrev_b32_e32 v2, 20, v2
                                        ; implicit-def: $vgpr3
	s_andn2_saveexec_b64 s[40:41], s[40:41]
	s_cbranch_execnz .LBB54_773
.LBB54_667:
	s_or_b64 exec, exec, s[40:41]
	v_mov_b32_e32 v4, 0
	s_and_saveexec_b64 s[40:41], s[38:39]
.LBB54_668:
	v_mov_b32_e32 v4, v2
.LBB54_669:
	s_or_b64 exec, exec, s[40:41]
.LBB54_670:
	s_or_b64 exec, exec, s[36:37]
	global_store_byte v[0:1], v4, off
.LBB54_671:
	s_mov_b64 s[36:37], -1
.LBB54_672:
	s_mov_b64 s[38:39], 0
.LBB54_673:
	s_and_b64 vcc, exec, s[38:39]
	s_cbranch_vccz .LBB54_714
; %bb.674:
	s_cmp_gt_i32 s43, 22
	s_mov_b64 s[38:39], -1
	s_cbranch_scc0 .LBB54_706
; %bb.675:
	s_cmp_lt_i32 s43, 24
	s_mov_b64 s[36:37], -1
	s_cbranch_scc1 .LBB54_695
; %bb.676:
	s_cmp_gt_i32 s43, 24
	s_cbranch_scc0 .LBB54_684
; %bb.677:
	v_cndmask_b32_e64 v3, 0, 1.0, s[30:31]
	s_mov_b32 s36, 0x47800000
	v_cmp_gt_u32_e32 vcc, s36, v3
	v_mov_b32_e32 v4, 0x80
	s_and_saveexec_b64 s[36:37], vcc
	s_cbranch_execz .LBB54_683
; %bb.678:
	s_mov_b32 s38, 0x37ffffff
	v_cmp_lt_u32_e32 vcc, s38, v3
	s_mov_b64 s[38:39], 0
                                        ; implicit-def: $vgpr2
	s_and_saveexec_b64 s[40:41], vcc
	s_xor_b64 s[40:41], exec, s[40:41]
	s_cbranch_execz .LBB54_900
; %bb.679:
	v_bfe_u32 v2, v3, 21, 1
	s_mov_b32 s44, 0x88fffff
	v_add3_u32 v2, v3, v2, s44
	s_mov_b64 s[38:39], exec
	v_lshrrev_b32_e32 v2, 21, v2
                                        ; implicit-def: $vgpr3
	s_andn2_saveexec_b64 s[40:41], s[40:41]
	s_cbranch_execnz .LBB54_901
.LBB54_680:
	s_or_b64 exec, exec, s[40:41]
	v_mov_b32_e32 v4, 0
	s_and_saveexec_b64 s[40:41], s[38:39]
.LBB54_681:
	v_mov_b32_e32 v4, v2
.LBB54_682:
	s_or_b64 exec, exec, s[40:41]
.LBB54_683:
	s_or_b64 exec, exec, s[36:37]
	s_mov_b64 s[36:37], 0
	global_store_byte v[0:1], v4, off
.LBB54_684:
	s_and_b64 vcc, exec, s[36:37]
	s_cbranch_vccz .LBB54_694
; %bb.685:
	v_cndmask_b32_e64 v2, 0, 1.0, s[30:31]
	s_mov_b32 s36, 0x43f00000
	v_cmp_gt_u32_e32 vcc, s36, v2
                                        ; implicit-def: $vgpr3
	s_and_saveexec_b64 s[36:37], vcc
	s_xor_b64 s[36:37], exec, s[36:37]
	s_cbranch_execz .LBB54_691
; %bb.686:
	s_mov_b32 s38, 0x3c7fffff
	v_cmp_lt_u32_e32 vcc, s38, v2
                                        ; implicit-def: $vgpr3
	s_and_saveexec_b64 s[38:39], vcc
	s_xor_b64 s[38:39], exec, s[38:39]
; %bb.687:
	v_bfe_u32 v3, v2, 20, 1
	s_mov_b32 s40, 0x407ffff
	v_add3_u32 v2, v2, v3, s40
	v_lshrrev_b32_e32 v3, 20, v2
	v_and_b32_e32 v2, 0xff00000, v2
	s_mov_b32 s40, 0x7f00000
	v_mov_b32_e32 v4, 0x7e
	v_cmp_ne_u32_e32 vcc, s40, v2
	v_cndmask_b32_e32 v3, v4, v3, vcc
                                        ; implicit-def: $vgpr2
; %bb.688:
	s_andn2_saveexec_b64 s[38:39], s[38:39]
; %bb.689:
	v_add_f32_e32 v3, 0x46800000, v2
; %bb.690:
	s_or_b64 exec, exec, s[38:39]
                                        ; implicit-def: $vgpr2
.LBB54_691:
	s_andn2_saveexec_b64 s[36:37], s[36:37]
; %bb.692:
	s_mov_b32 s38, 0x7f800000
	v_mov_b32_e32 v3, 0x7e
	v_mov_b32_e32 v4, 0x7f
	v_cmp_lt_u32_e32 vcc, s38, v2
	v_cndmask_b32_e32 v3, v3, v4, vcc
; %bb.693:
	s_or_b64 exec, exec, s[36:37]
	global_store_byte v[0:1], v3, off
.LBB54_694:
	s_mov_b64 s[36:37], 0
.LBB54_695:
	s_andn2_b64 vcc, exec, s[36:37]
	s_cbranch_vccnz .LBB54_705
; %bb.696:
	v_cndmask_b32_e64 v2, 0, 1.0, s[30:31]
	s_mov_b32 s36, 0x47800000
	v_cmp_gt_u32_e32 vcc, s36, v2
                                        ; implicit-def: $vgpr3
	s_and_saveexec_b64 s[36:37], vcc
	s_xor_b64 s[36:37], exec, s[36:37]
	s_cbranch_execz .LBB54_702
; %bb.697:
	s_mov_b32 s38, 0x387fffff
	v_cmp_lt_u32_e32 vcc, s38, v2
                                        ; implicit-def: $vgpr3
	s_and_saveexec_b64 s[38:39], vcc
	s_xor_b64 s[38:39], exec, s[38:39]
; %bb.698:
	v_bfe_u32 v3, v2, 21, 1
	s_mov_b32 s40, 0x80fffff
	v_add3_u32 v2, v2, v3, s40
	v_lshrrev_b32_e32 v3, 21, v2
                                        ; implicit-def: $vgpr2
; %bb.699:
	s_andn2_saveexec_b64 s[38:39], s[38:39]
; %bb.700:
	v_add_f32_e32 v3, 0x43000000, v2
; %bb.701:
	s_or_b64 exec, exec, s[38:39]
                                        ; implicit-def: $vgpr2
.LBB54_702:
	s_andn2_saveexec_b64 s[36:37], s[36:37]
; %bb.703:
	s_mov_b32 s38, 0x7f800000
	v_mov_b32_e32 v3, 0x7c
	v_mov_b32_e32 v4, 0x7f
	v_cmp_lt_u32_e32 vcc, s38, v2
	v_cndmask_b32_e32 v3, v3, v4, vcc
; %bb.704:
	s_or_b64 exec, exec, s[36:37]
	global_store_byte v[0:1], v3, off
.LBB54_705:
	s_mov_b64 s[38:39], 0
	s_mov_b64 s[36:37], -1
.LBB54_706:
	s_andn2_b64 vcc, exec, s[38:39]
	s_cbranch_vccnz .LBB54_714
; %bb.707:
	s_cmp_gt_i32 s43, 14
	s_mov_b64 s[38:39], -1
	s_cbranch_scc0 .LBB54_711
; %bb.708:
	s_cmp_eq_u32 s43, 15
	s_mov_b64 s[0:1], -1
	s_cbranch_scc0 .LBB54_710
; %bb.709:
	v_cndmask_b32_e64 v2, 0, 1.0, s[30:31]
	v_bfe_u32 v3, v2, 16, 1
	s_movk_i32 s0, 0x7fff
	v_add3_u32 v2, v2, v3, s0
	global_store_short_d16_hi v[0:1], v2, off
	s_mov_b64 s[36:37], -1
	s_mov_b64 s[0:1], 0
.LBB54_710:
	s_mov_b64 s[38:39], 0
.LBB54_711:
	s_and_b64 vcc, exec, s[38:39]
	s_cbranch_vccz .LBB54_714
; %bb.712:
	s_cmp_eq_u32 s43, 11
	s_mov_b64 s[0:1], -1
	s_cbranch_scc0 .LBB54_714
; %bb.713:
	v_cndmask_b32_e64 v2, 0, 1, s[30:31]
	s_mov_b64 s[36:37], -1
	s_mov_b64 s[0:1], 0
	global_store_byte v[0:1], v2, off
.LBB54_714:
	s_mov_b64 s[38:39], 0
.LBB54_715:
	s_and_b64 vcc, exec, s[38:39]
	s_cbranch_vccz .LBB54_754
; %bb.716:
	s_and_b32 s38, 0xffff, s42
	s_cmp_lt_i32 s38, 5
	s_mov_b64 s[36:37], -1
	s_cbranch_scc1 .LBB54_737
; %bb.717:
	s_cmp_lt_i32 s38, 8
	s_cbranch_scc1 .LBB54_727
; %bb.718:
	s_cmp_lt_i32 s38, 9
	s_cbranch_scc1 .LBB54_724
; %bb.719:
	s_cmp_gt_i32 s38, 9
	s_cbranch_scc0 .LBB54_721
; %bb.720:
	v_cndmask_b32_e64 v2, 0, 1, s[30:31]
	v_cvt_f64_u32_e32 v[2:3], v2
	v_mov_b32_e32 v4, 0
	v_mov_b32_e32 v5, v4
	s_mov_b64 s[36:37], 0
	global_store_dwordx4 v[0:1], v[2:5], off
.LBB54_721:
	s_andn2_b64 vcc, exec, s[36:37]
	s_cbranch_vccnz .LBB54_723
; %bb.722:
	v_cndmask_b32_e64 v2, 0, 1.0, s[30:31]
	v_mov_b32_e32 v3, 0
	global_store_dwordx2 v[0:1], v[2:3], off
.LBB54_723:
	s_mov_b64 s[36:37], 0
.LBB54_724:
	s_andn2_b64 vcc, exec, s[36:37]
	s_cbranch_vccnz .LBB54_726
; %bb.725:
	v_cndmask_b32_e64 v2, 0, 1.0, s[30:31]
	v_cvt_f16_f32_e32 v2, v2
	global_store_dword v[0:1], v2, off
.LBB54_726:
	s_mov_b64 s[36:37], 0
.LBB54_727:
	s_andn2_b64 vcc, exec, s[36:37]
	s_cbranch_vccnz .LBB54_736
; %bb.728:
	s_cmp_lt_i32 s38, 6
	s_mov_b64 s[36:37], -1
	s_cbranch_scc1 .LBB54_734
; %bb.729:
	s_cmp_gt_i32 s38, 6
	s_cbranch_scc0 .LBB54_731
; %bb.730:
	v_cndmask_b32_e64 v2, 0, 1, s[30:31]
	v_cvt_f64_u32_e32 v[2:3], v2
	s_mov_b64 s[36:37], 0
	global_store_dwordx2 v[0:1], v[2:3], off
.LBB54_731:
	s_andn2_b64 vcc, exec, s[36:37]
	s_cbranch_vccnz .LBB54_733
; %bb.732:
	v_cndmask_b32_e64 v2, 0, 1.0, s[30:31]
	global_store_dword v[0:1], v2, off
.LBB54_733:
	s_mov_b64 s[36:37], 0
.LBB54_734:
	s_andn2_b64 vcc, exec, s[36:37]
	s_cbranch_vccnz .LBB54_736
; %bb.735:
	v_cndmask_b32_e64 v2, 0, 1.0, s[30:31]
	v_cvt_f16_f32_e32 v2, v2
	global_store_short v[0:1], v2, off
.LBB54_736:
	s_mov_b64 s[36:37], 0
.LBB54_737:
	s_andn2_b64 vcc, exec, s[36:37]
	s_cbranch_vccnz .LBB54_753
; %bb.738:
	s_cmp_lt_i32 s38, 2
	s_mov_b64 s[36:37], -1
	s_cbranch_scc1 .LBB54_748
; %bb.739:
	s_cmp_lt_i32 s38, 3
	s_cbranch_scc1 .LBB54_745
; %bb.740:
	s_cmp_gt_i32 s38, 3
	s_cbranch_scc0 .LBB54_742
; %bb.741:
	s_mov_b32 s36, 0
	v_cndmask_b32_e64 v2, 0, 1, s[30:31]
	v_mov_b32_e32 v3, s36
	s_mov_b64 s[36:37], 0
	global_store_dwordx2 v[0:1], v[2:3], off
.LBB54_742:
	s_andn2_b64 vcc, exec, s[36:37]
	s_cbranch_vccnz .LBB54_744
; %bb.743:
	v_cndmask_b32_e64 v2, 0, 1, s[30:31]
	global_store_dword v[0:1], v2, off
.LBB54_744:
	s_mov_b64 s[36:37], 0
.LBB54_745:
	s_andn2_b64 vcc, exec, s[36:37]
	s_cbranch_vccnz .LBB54_747
; %bb.746:
	v_cndmask_b32_e64 v2, 0, 1, s[30:31]
	global_store_short v[0:1], v2, off
.LBB54_747:
	s_mov_b64 s[36:37], 0
.LBB54_748:
	s_andn2_b64 vcc, exec, s[36:37]
	s_cbranch_vccnz .LBB54_753
; %bb.749:
	s_mov_b64 s[36:37], -1
	s_cmp_gt_i32 s38, 0
	v_cndmask_b32_e64 v2, 0, 1, s[30:31]
	s_cbranch_scc0 .LBB54_751
; %bb.750:
	s_mov_b64 s[36:37], 0
	global_store_byte v[0:1], v2, off
.LBB54_751:
	s_andn2_b64 vcc, exec, s[36:37]
	s_cbranch_vccnz .LBB54_753
; %bb.752:
	global_store_byte v[0:1], v2, off
.LBB54_753:
	s_mov_b64 s[36:37], -1
.LBB54_754:
	s_andn2_b64 vcc, exec, s[36:37]
	s_cbranch_vccnz .LBB54_767
; %bb.755:
	v_add_u32_e32 v18, 0x80, v18
	s_mov_b64 s[36:37], -1
.LBB54_756:
	s_andn2_b64 s[30:31], s[18:19], exec
	s_and_b64 s[0:1], s[0:1], exec
	s_or_b64 s[30:31], s[30:31], s[0:1]
	s_andn2_b64 s[0:1], s[20:21], exec
	s_and_b64 s[28:29], s[28:29], exec
	s_or_b64 s[28:29], s[0:1], s[28:29]
	;; [unrolled: 3-line block ×3, first 2 shown]
	s_orn2_b64 s[0:1], s[36:37], exec
.LBB54_757:
	s_or_b64 exec, exec, s[34:35]
	s_mov_b64 s[36:37], 0
	s_mov_b64 s[38:39], 0
	;; [unrolled: 1-line block ×3, first 2 shown]
                                        ; implicit-def: $sgpr58
                                        ; implicit-def: $vgpr2_vgpr3
                                        ; implicit-def: $vgpr0_vgpr1
	s_and_saveexec_b64 s[34:35], s[0:1]
	s_cbranch_execz .LBB54_1219
; %bb.758:
	v_cmp_gt_i32_e32 vcc, s50, v18
	s_mov_b64 s[48:49], -1
	s_mov_b64 s[0:1], s[26:27]
	s_mov_b64 s[40:41], s[28:29]
	;; [unrolled: 1-line block ×3, first 2 shown]
	s_and_saveexec_b64 s[36:37], vcc
	s_cbranch_execz .LBB54_1138
; %bb.759:
	s_waitcnt vmcnt(0)
	v_mul_lo_u32 v0, v18, s13
	v_mov_b32_e32 v1, s11
	s_and_b32 s42, s57, 0xff
	s_cmp_lt_i32 s42, 11
	v_ashrrev_i32_e32 v3, 31, v0
	v_add_co_u32_e32 v2, vcc, s10, v0
	v_addc_co_u32_e32 v3, vcc, v1, v3, vcc
	s_cbranch_scc1 .LBB54_766
; %bb.760:
	s_and_b32 s43, 0xffff, s42
	s_cmp_gt_i32 s43, 25
	s_cbranch_scc0 .LBB54_768
; %bb.761:
	s_cmp_gt_i32 s43, 28
	s_cbranch_scc0 .LBB54_769
; %bb.762:
	;; [unrolled: 3-line block ×4, first 2 shown]
	s_cmp_eq_u32 s43, 46
	s_mov_b64 s[40:41], 0
	s_cbranch_scc0 .LBB54_774
; %bb.765:
	global_load_dword v0, v[2:3], off
	s_mov_b32 s0, 0x2f800000
	s_mov_b32 s1, 0xcf800000
	s_waitcnt vmcnt(0)
	v_lshlrev_b32_e32 v0, 16, v0
	v_trunc_f32_e32 v0, v0
	v_mul_f32_e64 v1, |v0|, s0
	v_floor_f32_e32 v1, v1
	v_fma_f32 v4, v1, s1, |v0|
	v_cvt_u32_f32_e32 v4, v4
	v_cvt_u32_f32_e32 v1, v1
	v_ashrrev_i32_e32 v5, 31, v0
	s_mov_b64 s[0:1], -1
	v_xor_b32_e32 v0, v4, v5
	v_xor_b32_e32 v1, v1, v5
	v_sub_co_u32_e32 v0, vcc, v0, v5
	v_subb_co_u32_e32 v1, vcc, v1, v5, vcc
	s_branch .LBB54_775
.LBB54_766:
	s_mov_b64 s[40:41], -1
	s_mov_b64 s[0:1], 0
                                        ; implicit-def: $vgpr0_vgpr1
	s_mov_b64 s[38:39], s[26:27]
	s_branch .LBB54_836
.LBB54_767:
	s_mov_b64 s[36:37], 0
	s_branch .LBB54_518
.LBB54_768:
	s_mov_b64 s[40:41], -1
	s_mov_b64 s[0:1], 0
	s_mov_b64 s[38:39], s[26:27]
                                        ; implicit-def: $vgpr0_vgpr1
	s_branch .LBB54_804
.LBB54_769:
	s_mov_b64 s[40:41], -1
	s_mov_b64 s[0:1], 0
	s_mov_b64 s[38:39], s[26:27]
                                        ; implicit-def: $vgpr0_vgpr1
	s_branch .LBB54_785
.LBB54_770:
	s_mov_b64 s[40:41], -1
	s_mov_b64 s[0:1], 0
	s_mov_b64 s[38:39], s[26:27]
                                        ; implicit-def: $vgpr0_vgpr1
	s_branch .LBB54_780
.LBB54_771:
	s_mov_b64 s[40:41], -1
	s_mov_b64 s[0:1], 0
	s_mov_b64 s[38:39], s[26:27]
                                        ; implicit-def: $vgpr0_vgpr1
	s_branch .LBB54_775
.LBB54_772:
	s_andn2_saveexec_b64 s[40:41], s[40:41]
	s_cbranch_execz .LBB54_667
.LBB54_773:
	v_add_f32_e32 v2, 0x46000000, v3
	v_and_b32_e32 v2, 0xff, v2
	v_cmp_ne_u32_e32 vcc, 0, v2
	s_andn2_b64 s[38:39], s[38:39], exec
	s_and_b64 s[44:45], vcc, exec
	s_or_b64 s[38:39], s[38:39], s[44:45]
	s_or_b64 exec, exec, s[40:41]
	v_mov_b32_e32 v4, 0
	s_and_saveexec_b64 s[40:41], s[38:39]
	s_cbranch_execnz .LBB54_668
	s_branch .LBB54_669
.LBB54_774:
	s_mov_b64 s[38:39], -1
                                        ; implicit-def: $vgpr0_vgpr1
	s_mov_b64 s[0:1], 0
.LBB54_775:
	s_and_b64 vcc, exec, s[40:41]
	s_cbranch_vccz .LBB54_779
; %bb.776:
	s_cmp_eq_u32 s43, 44
	s_cbranch_scc0 .LBB54_778
; %bb.777:
	global_load_ubyte v0, v[2:3], off
	s_mov_b32 s0, 0x2f800000
	s_mov_b32 s1, 0xcf800000
	s_mov_b64 s[38:39], 0
	s_waitcnt vmcnt(0)
	v_lshlrev_b32_e32 v1, 23, v0
	v_trunc_f32_e32 v1, v1
	v_mul_f32_e64 v4, |v1|, s0
	v_floor_f32_e32 v4, v4
	v_fma_f32 v5, v4, s1, |v1|
	v_cvt_u32_f32_e32 v5, v5
	v_cvt_u32_f32_e32 v4, v4
	v_ashrrev_i32_e32 v1, 31, v1
	s_mov_b64 s[0:1], -1
	v_xor_b32_e32 v5, v5, v1
	v_xor_b32_e32 v4, v4, v1
	v_sub_co_u32_e32 v5, vcc, v5, v1
	v_subb_co_u32_e32 v1, vcc, v4, v1, vcc
	v_cmp_ne_u32_e32 vcc, 0, v0
	v_cndmask_b32_e32 v1, 0, v1, vcc
	v_cndmask_b32_e32 v0, 0, v5, vcc
	s_branch .LBB54_779
.LBB54_778:
	s_mov_b64 s[38:39], -1
                                        ; implicit-def: $vgpr0_vgpr1
.LBB54_779:
	s_mov_b64 s[40:41], 0
.LBB54_780:
	s_and_b64 vcc, exec, s[40:41]
	s_cbranch_vccz .LBB54_784
; %bb.781:
	s_cmp_eq_u32 s43, 29
	s_cbranch_scc0 .LBB54_783
; %bb.782:
	global_load_dwordx2 v[0:1], v[2:3], off
	s_mov_b64 s[0:1], -1
	s_mov_b64 s[38:39], 0
	s_branch .LBB54_784
.LBB54_783:
	s_mov_b64 s[38:39], -1
                                        ; implicit-def: $vgpr0_vgpr1
.LBB54_784:
	s_mov_b64 s[40:41], 0
.LBB54_785:
	s_and_b64 vcc, exec, s[40:41]
	s_cbranch_vccz .LBB54_803
; %bb.786:
	s_cmp_lt_i32 s43, 27
	s_cbranch_scc1 .LBB54_789
; %bb.787:
	s_cmp_gt_i32 s43, 27
	s_cbranch_scc0 .LBB54_790
; %bb.788:
	global_load_dword v0, v[2:3], off
	s_waitcnt vmcnt(1)
	v_mov_b32_e32 v1, 0
	s_mov_b64 s[0:1], 0
	s_branch .LBB54_791
.LBB54_789:
	s_mov_b64 s[0:1], -1
                                        ; implicit-def: $vgpr0_vgpr1
	s_branch .LBB54_794
.LBB54_790:
	s_mov_b64 s[0:1], -1
                                        ; implicit-def: $vgpr0_vgpr1
.LBB54_791:
	s_andn2_b64 vcc, exec, s[0:1]
	s_cbranch_vccnz .LBB54_793
; %bb.792:
	global_load_ushort v0, v[2:3], off
	s_mov_b32 s0, 0
	s_waitcnt vmcnt(1)
	v_mov_b32_e32 v1, s0
	s_waitcnt vmcnt(0)
	v_and_b32_e32 v0, 0xffff, v0
.LBB54_793:
	s_mov_b64 s[0:1], 0
.LBB54_794:
	s_andn2_b64 vcc, exec, s[0:1]
	s_cbranch_vccnz .LBB54_802
; %bb.795:
	global_load_ubyte v4, v[2:3], off
	s_movk_i32 s0, 0x7f
	s_mov_b64 s[40:41], 0
	s_waitcnt vmcnt(0)
	v_cmp_lt_i16_e32 vcc, s0, v4
	s_and_saveexec_b64 s[0:1], vcc
	s_xor_b64 s[0:1], exec, s[0:1]
; %bb.796:
	s_movk_i32 s40, 0x80
	v_cmp_ne_u16_e32 vcc, s40, v4
	s_and_b64 s[40:41], vcc, exec
; %bb.797:
	s_andn2_saveexec_b64 s[0:1], s[0:1]
; %bb.798:
	v_cmp_ne_u16_e32 vcc, 0, v4
	s_andn2_b64 s[40:41], s[40:41], exec
	s_and_b64 s[44:45], vcc, exec
	s_or_b64 s[40:41], s[40:41], s[44:45]
; %bb.799:
	s_or_b64 exec, exec, s[0:1]
	v_mov_b32_e32 v0, 0
	v_mov_b32_e32 v1, 0
	s_and_saveexec_b64 s[0:1], s[40:41]
	s_cbranch_execz .LBB54_801
; %bb.800:
	v_and_b32_e32 v1, 0xffff, v4
	v_lshlrev_b32_e32 v0, 24, v4
	v_and_b32_e32 v4, 7, v1
	v_ffbh_u32_e32 v6, v4
	v_min_u32_e32 v6, 32, v6
	v_subrev_u32_e32 v7, 28, v6
	v_bfe_u32 v5, v1, 3, 4
	v_lshlrev_b32_e32 v1, v7, v1
	v_sub_u32_e32 v6, 29, v6
	v_and_b32_e32 v1, 7, v1
	v_cmp_eq_u32_e32 vcc, 0, v5
	v_cndmask_b32_e32 v5, v5, v6, vcc
	v_cndmask_b32_e32 v1, v4, v1, vcc
	v_mov_b32_e32 v4, 0x3b800000
	v_lshlrev_b32_e32 v1, 20, v1
	v_and_b32_e32 v0, 0x80000000, v0
	v_lshl_add_u32 v4, v5, 23, v4
	v_or3_b32 v0, v0, v4, v1
	v_trunc_f32_e32 v0, v0
	s_mov_b32 s40, 0x2f800000
	v_mul_f32_e64 v1, |v0|, s40
	v_floor_f32_e32 v1, v1
	s_mov_b32 s40, 0xcf800000
	v_fma_f32 v4, v1, s40, |v0|
	v_cvt_u32_f32_e32 v4, v4
	v_cvt_u32_f32_e32 v1, v1
	v_ashrrev_i32_e32 v5, 31, v0
	v_xor_b32_e32 v0, v4, v5
	v_xor_b32_e32 v1, v1, v5
	v_sub_co_u32_e32 v0, vcc, v0, v5
	v_subb_co_u32_e32 v1, vcc, v1, v5, vcc
.LBB54_801:
	s_or_b64 exec, exec, s[0:1]
.LBB54_802:
	s_mov_b64 s[0:1], -1
.LBB54_803:
	s_mov_b64 s[40:41], 0
.LBB54_804:
	s_and_b64 vcc, exec, s[40:41]
	s_cbranch_vccz .LBB54_835
; %bb.805:
	s_cmp_gt_i32 s43, 22
	s_cbranch_scc0 .LBB54_815
; %bb.806:
	s_cmp_lt_i32 s43, 24
	s_cbranch_scc1 .LBB54_816
; %bb.807:
	s_cmp_gt_i32 s43, 24
	s_cbranch_scc0 .LBB54_817
; %bb.808:
	global_load_ubyte v4, v[2:3], off
	s_movk_i32 s0, 0x7f
	s_mov_b64 s[40:41], 0
	s_waitcnt vmcnt(0)
	v_cmp_lt_i16_e32 vcc, s0, v4
	s_and_saveexec_b64 s[0:1], vcc
	s_xor_b64 s[0:1], exec, s[0:1]
; %bb.809:
	s_movk_i32 s40, 0x80
	v_cmp_ne_u16_e32 vcc, s40, v4
	s_and_b64 s[40:41], vcc, exec
; %bb.810:
	s_andn2_saveexec_b64 s[0:1], s[0:1]
; %bb.811:
	v_cmp_ne_u16_e32 vcc, 0, v4
	s_andn2_b64 s[40:41], s[40:41], exec
	s_and_b64 s[44:45], vcc, exec
	s_or_b64 s[40:41], s[40:41], s[44:45]
; %bb.812:
	s_or_b64 exec, exec, s[0:1]
	v_mov_b32_e32 v0, 0
	v_mov_b32_e32 v1, 0
	s_and_saveexec_b64 s[0:1], s[40:41]
	s_cbranch_execz .LBB54_814
; %bb.813:
	v_and_b32_e32 v1, 0xffff, v4
	v_lshlrev_b32_e32 v0, 24, v4
	v_and_b32_e32 v4, 3, v1
	v_ffbh_u32_e32 v6, v4
	v_min_u32_e32 v6, 32, v6
	v_subrev_u32_e32 v7, 29, v6
	v_bfe_u32 v5, v1, 2, 5
	v_lshlrev_b32_e32 v1, v7, v1
	v_sub_u32_e32 v6, 30, v6
	v_and_b32_e32 v1, 3, v1
	v_cmp_eq_u32_e32 vcc, 0, v5
	v_cndmask_b32_e32 v5, v5, v6, vcc
	v_cndmask_b32_e32 v1, v4, v1, vcc
	v_mov_b32_e32 v4, 0x37800000
	v_lshlrev_b32_e32 v1, 21, v1
	v_and_b32_e32 v0, 0x80000000, v0
	v_lshl_add_u32 v4, v5, 23, v4
	v_or3_b32 v0, v0, v4, v1
	v_trunc_f32_e32 v0, v0
	s_mov_b32 s40, 0x2f800000
	v_mul_f32_e64 v1, |v0|, s40
	v_floor_f32_e32 v1, v1
	s_mov_b32 s40, 0xcf800000
	v_fma_f32 v4, v1, s40, |v0|
	v_cvt_u32_f32_e32 v4, v4
	v_cvt_u32_f32_e32 v1, v1
	v_ashrrev_i32_e32 v5, 31, v0
	v_xor_b32_e32 v0, v4, v5
	v_xor_b32_e32 v1, v1, v5
	v_sub_co_u32_e32 v0, vcc, v0, v5
	v_subb_co_u32_e32 v1, vcc, v1, v5, vcc
.LBB54_814:
	s_or_b64 exec, exec, s[0:1]
	s_mov_b64 s[0:1], 0
	s_branch .LBB54_818
.LBB54_815:
	s_mov_b64 s[40:41], -1
                                        ; implicit-def: $vgpr0_vgpr1
	s_branch .LBB54_824
.LBB54_816:
	s_mov_b64 s[0:1], -1
                                        ; implicit-def: $vgpr0_vgpr1
	s_branch .LBB54_821
.LBB54_817:
	s_mov_b64 s[0:1], -1
                                        ; implicit-def: $vgpr0_vgpr1
.LBB54_818:
	s_and_b64 vcc, exec, s[0:1]
	s_cbranch_vccz .LBB54_820
; %bb.819:
	global_load_ubyte v0, v[2:3], off
	s_mov_b32 s0, 0x7f800000
	s_brev_b32 s1, 1
	s_mov_b32 s40, 0x2f800000
	s_mov_b32 s41, 0xcf800000
	s_waitcnt vmcnt(0)
	v_lshlrev_b32_e32 v0, 24, v0
	v_and_b32_e32 v1, 0x7f000000, v0
	v_ffbh_u32_e32 v4, v1
	v_min_u32_e32 v4, 32, v4
	v_sub_u32_e64 v4, v4, 4 clamp
	v_lshlrev_b32_e32 v6, v4, v1
	v_lshlrev_b32_e32 v4, 23, v4
	v_lshrrev_b32_e32 v6, 4, v6
	v_add_u32_e32 v5, 0x1000000, v1
	v_sub_u32_e32 v4, v6, v4
	v_ashrrev_i32_e32 v5, 8, v5
	v_add_u32_e32 v4, 0x3c000000, v4
	v_and_or_b32 v4, v5, s0, v4
	v_cmp_ne_u32_e32 vcc, 0, v1
	v_cndmask_b32_e32 v1, 0, v4, vcc
	v_and_or_b32 v0, v0, s1, v1
	v_trunc_f32_e32 v0, v0
	v_mul_f32_e64 v1, |v0|, s40
	v_floor_f32_e32 v1, v1
	v_fma_f32 v4, v1, s41, |v0|
	v_cvt_u32_f32_e32 v4, v4
	v_cvt_u32_f32_e32 v1, v1
	v_ashrrev_i32_e32 v5, 31, v0
	v_xor_b32_e32 v0, v4, v5
	v_xor_b32_e32 v1, v1, v5
	v_sub_co_u32_e32 v0, vcc, v0, v5
	v_subb_co_u32_e32 v1, vcc, v1, v5, vcc
.LBB54_820:
	s_mov_b64 s[0:1], 0
.LBB54_821:
	s_andn2_b64 vcc, exec, s[0:1]
	s_cbranch_vccnz .LBB54_823
; %bb.822:
	global_load_ubyte v0, v[2:3], off
	s_movk_i32 s0, 0x7f00
	s_brev_b32 s1, 16
	s_brev_b32 s40, 1
	s_mov_b32 s41, 0x2f800000
	s_mov_b32 s44, 0xcf800000
	s_waitcnt vmcnt(0)
	v_lshlrev_b16_e32 v1, 8, v0
	v_lshlrev_b32_e32 v0, 25, v0
	v_lshrrev_b32_e32 v4, 4, v0
	v_and_or_b32 v5, v1, s0, 0.5
	v_or_b32_e32 v4, 0x70000000, v4
	v_add_f32_e32 v5, -0.5, v5
	v_mul_f32_e32 v4, 0x7800000, v4
	v_cmp_gt_u32_e32 vcc, s1, v0
	v_bfe_i32 v1, v1, 0, 16
	v_cndmask_b32_e32 v0, v4, v5, vcc
	v_and_or_b32 v0, v1, s40, v0
	v_trunc_f32_e32 v0, v0
	v_mul_f32_e64 v1, |v0|, s41
	v_floor_f32_e32 v1, v1
	v_fma_f32 v4, v1, s44, |v0|
	v_cvt_u32_f32_e32 v4, v4
	v_cvt_u32_f32_e32 v1, v1
	v_ashrrev_i32_e32 v5, 31, v0
	v_xor_b32_e32 v0, v4, v5
	v_xor_b32_e32 v1, v1, v5
	v_sub_co_u32_e32 v0, vcc, v0, v5
	v_subb_co_u32_e32 v1, vcc, v1, v5, vcc
.LBB54_823:
	s_mov_b64 s[40:41], 0
	s_mov_b64 s[0:1], -1
.LBB54_824:
	s_andn2_b64 vcc, exec, s[40:41]
	s_cbranch_vccnz .LBB54_835
; %bb.825:
	s_cmp_gt_i32 s43, 14
	s_cbranch_scc0 .LBB54_828
; %bb.826:
	s_cmp_eq_u32 s43, 15
	s_cbranch_scc0 .LBB54_829
; %bb.827:
	global_load_ushort v0, v[2:3], off
	s_mov_b32 s0, 0x2f800000
	s_mov_b32 s1, 0xcf800000
	s_mov_b64 s[38:39], 0
	s_waitcnt vmcnt(0)
	v_lshlrev_b32_e32 v0, 16, v0
	v_trunc_f32_e32 v0, v0
	v_mul_f32_e64 v1, |v0|, s0
	v_floor_f32_e32 v1, v1
	v_fma_f32 v4, v1, s1, |v0|
	v_cvt_u32_f32_e32 v4, v4
	v_cvt_u32_f32_e32 v1, v1
	v_ashrrev_i32_e32 v5, 31, v0
	s_mov_b64 s[0:1], -1
	v_xor_b32_e32 v0, v4, v5
	v_xor_b32_e32 v1, v1, v5
	v_sub_co_u32_e32 v0, vcc, v0, v5
	v_subb_co_u32_e32 v1, vcc, v1, v5, vcc
	s_branch .LBB54_830
.LBB54_828:
	s_mov_b64 s[40:41], -1
                                        ; implicit-def: $vgpr0_vgpr1
	s_branch .LBB54_831
.LBB54_829:
	s_mov_b64 s[38:39], -1
                                        ; implicit-def: $vgpr0_vgpr1
.LBB54_830:
	s_mov_b64 s[40:41], 0
.LBB54_831:
	s_and_b64 vcc, exec, s[40:41]
	s_cbranch_vccz .LBB54_835
; %bb.832:
	s_cmp_eq_u32 s43, 11
	s_cbranch_scc0 .LBB54_834
; %bb.833:
	global_load_ubyte v0, v[2:3], off
	s_mov_b32 s38, 0
	s_mov_b64 s[0:1], -1
	s_waitcnt vmcnt(1)
	v_mov_b32_e32 v1, s38
	s_mov_b64 s[38:39], 0
	s_waitcnt vmcnt(0)
	v_cmp_ne_u16_e32 vcc, 0, v0
	v_cndmask_b32_e64 v0, 0, 1, vcc
	s_branch .LBB54_835
.LBB54_834:
	s_mov_b64 s[38:39], -1
                                        ; implicit-def: $vgpr0_vgpr1
.LBB54_835:
	s_mov_b64 s[40:41], 0
.LBB54_836:
	s_and_b64 vcc, exec, s[40:41]
	s_cbranch_vccz .LBB54_885
; %bb.837:
	s_and_b32 s40, 0xffff, s42
	s_cmp_lt_i32 s40, 5
	s_cbranch_scc1 .LBB54_842
; %bb.838:
	s_cmp_lt_i32 s40, 8
	s_cbranch_scc1 .LBB54_843
; %bb.839:
	;; [unrolled: 3-line block ×3, first 2 shown]
	s_cmp_gt_i32 s40, 9
	s_cbranch_scc0 .LBB54_845
; %bb.841:
	global_load_dwordx2 v[0:1], v[2:3], off
	s_movk_i32 s0, 0xffe0
	s_waitcnt vmcnt(0)
	v_trunc_f64_e32 v[0:1], v[0:1]
	v_ldexp_f64 v[4:5], v[0:1], s0
	s_mov_b32 s0, 0
	s_mov_b32 s1, 0xc1f00000
	v_floor_f64_e32 v[4:5], v[4:5]
	v_fma_f64 v[6:7], v[4:5], s[0:1], v[0:1]
	v_cvt_i32_f64_e32 v1, v[4:5]
	s_mov_b64 s[0:1], 0
	v_cvt_u32_f64_e32 v0, v[6:7]
	s_branch .LBB54_846
.LBB54_842:
	s_mov_b64 s[0:1], -1
                                        ; implicit-def: $vgpr0_vgpr1
	s_branch .LBB54_864
.LBB54_843:
	s_mov_b64 s[0:1], -1
                                        ; implicit-def: $vgpr0_vgpr1
	s_branch .LBB54_852
.LBB54_844:
	s_mov_b64 s[0:1], -1
                                        ; implicit-def: $vgpr0_vgpr1
	s_branch .LBB54_849
.LBB54_845:
	s_mov_b64 s[0:1], -1
                                        ; implicit-def: $vgpr0_vgpr1
.LBB54_846:
	s_andn2_b64 vcc, exec, s[0:1]
	s_cbranch_vccnz .LBB54_848
; %bb.847:
	global_load_dword v0, v[2:3], off
	s_mov_b32 s0, 0x2f800000
	s_mov_b32 s1, 0xcf800000
	s_waitcnt vmcnt(0)
	v_trunc_f32_e32 v0, v0
	v_mul_f32_e64 v1, |v0|, s0
	v_floor_f32_e32 v1, v1
	v_cvt_u32_f32_e32 v4, v1
	v_fma_f32 v1, v1, s1, |v0|
	v_cvt_u32_f32_e32 v1, v1
	v_ashrrev_i32_e32 v5, 31, v0
	v_xor_b32_e32 v4, v4, v5
	v_xor_b32_e32 v0, v1, v5
	v_sub_co_u32_e32 v0, vcc, v0, v5
	v_subb_co_u32_e32 v1, vcc, v4, v5, vcc
.LBB54_848:
	s_mov_b64 s[0:1], 0
.LBB54_849:
	s_andn2_b64 vcc, exec, s[0:1]
	s_cbranch_vccnz .LBB54_851
; %bb.850:
	global_load_dword v0, v[2:3], off
	s_waitcnt vmcnt(0)
	v_cvt_f32_f16_e32 v0, v0
	v_cvt_i32_f32_e32 v0, v0
	v_ashrrev_i32_e32 v1, 31, v0
.LBB54_851:
	s_mov_b64 s[0:1], 0
.LBB54_852:
	s_andn2_b64 vcc, exec, s[0:1]
	s_cbranch_vccnz .LBB54_863
; %bb.853:
	s_cmp_lt_i32 s40, 6
	s_cbranch_scc1 .LBB54_856
; %bb.854:
	s_cmp_gt_i32 s40, 6
	s_cbranch_scc0 .LBB54_857
; %bb.855:
	global_load_dwordx2 v[0:1], v[2:3], off
	s_movk_i32 s0, 0xffe0
	s_waitcnt vmcnt(0)
	v_trunc_f64_e32 v[0:1], v[0:1]
	v_ldexp_f64 v[4:5], v[0:1], s0
	s_mov_b32 s0, 0
	s_mov_b32 s1, 0xc1f00000
	v_floor_f64_e32 v[4:5], v[4:5]
	v_fma_f64 v[6:7], v[4:5], s[0:1], v[0:1]
	v_cvt_i32_f64_e32 v1, v[4:5]
	s_mov_b64 s[0:1], 0
	v_cvt_u32_f64_e32 v0, v[6:7]
	s_branch .LBB54_858
.LBB54_856:
	s_mov_b64 s[0:1], -1
                                        ; implicit-def: $vgpr0_vgpr1
	s_branch .LBB54_861
.LBB54_857:
	s_mov_b64 s[0:1], -1
                                        ; implicit-def: $vgpr0_vgpr1
.LBB54_858:
	s_andn2_b64 vcc, exec, s[0:1]
	s_cbranch_vccnz .LBB54_860
; %bb.859:
	global_load_dword v0, v[2:3], off
	s_mov_b32 s0, 0x2f800000
	s_mov_b32 s1, 0xcf800000
	s_waitcnt vmcnt(0)
	v_trunc_f32_e32 v0, v0
	v_mul_f32_e64 v1, |v0|, s0
	v_floor_f32_e32 v1, v1
	v_cvt_u32_f32_e32 v4, v1
	v_fma_f32 v1, v1, s1, |v0|
	v_cvt_u32_f32_e32 v1, v1
	v_ashrrev_i32_e32 v5, 31, v0
	v_xor_b32_e32 v4, v4, v5
	v_xor_b32_e32 v0, v1, v5
	v_sub_co_u32_e32 v0, vcc, v0, v5
	v_subb_co_u32_e32 v1, vcc, v4, v5, vcc
.LBB54_860:
	s_mov_b64 s[0:1], 0
.LBB54_861:
	s_andn2_b64 vcc, exec, s[0:1]
	s_cbranch_vccnz .LBB54_863
; %bb.862:
	global_load_ushort v0, v[2:3], off
	s_waitcnt vmcnt(0)
	v_cvt_f32_f16_e32 v0, v0
	v_cvt_i32_f32_e32 v0, v0
	v_ashrrev_i32_e32 v1, 31, v0
.LBB54_863:
	s_mov_b64 s[0:1], 0
.LBB54_864:
	s_andn2_b64 vcc, exec, s[0:1]
	s_cbranch_vccnz .LBB54_884
; %bb.865:
	s_cmp_lt_i32 s40, 2
	s_cbranch_scc1 .LBB54_869
; %bb.866:
	s_cmp_lt_i32 s40, 3
	s_cbranch_scc1 .LBB54_870
; %bb.867:
	s_cmp_gt_i32 s40, 3
	s_cbranch_scc0 .LBB54_871
; %bb.868:
	global_load_dwordx2 v[0:1], v[2:3], off
	s_mov_b64 s[0:1], 0
	s_branch .LBB54_872
.LBB54_869:
	s_mov_b64 s[0:1], -1
                                        ; implicit-def: $vgpr0_vgpr1
	s_branch .LBB54_878
.LBB54_870:
	s_mov_b64 s[0:1], -1
                                        ; implicit-def: $vgpr0_vgpr1
	s_branch .LBB54_875
.LBB54_871:
	s_mov_b64 s[0:1], -1
                                        ; implicit-def: $vgpr0_vgpr1
.LBB54_872:
	s_andn2_b64 vcc, exec, s[0:1]
	s_cbranch_vccnz .LBB54_874
; %bb.873:
	global_load_dword v0, v[2:3], off
	s_waitcnt vmcnt(0)
	v_ashrrev_i32_e32 v1, 31, v0
.LBB54_874:
	s_mov_b64 s[0:1], 0
.LBB54_875:
	s_andn2_b64 vcc, exec, s[0:1]
	s_cbranch_vccnz .LBB54_877
; %bb.876:
	global_load_ushort v0, v[2:3], off
	s_waitcnt vmcnt(0)
	v_bfe_i32 v0, v0, 0, 16
	v_ashrrev_i32_e32 v1, 31, v0
.LBB54_877:
	s_mov_b64 s[0:1], 0
.LBB54_878:
	s_andn2_b64 vcc, exec, s[0:1]
	s_cbranch_vccnz .LBB54_884
; %bb.879:
	s_cmp_gt_i32 s40, 0
	s_cbranch_scc0 .LBB54_881
; %bb.880:
	global_load_sbyte v0, v[2:3], off
	s_mov_b64 s[0:1], 0
	s_waitcnt vmcnt(0)
	v_bfe_i32 v0, v0, 0, 16
	v_ashrrev_i32_e32 v1, 31, v0
	s_branch .LBB54_882
.LBB54_881:
	s_mov_b64 s[0:1], -1
                                        ; implicit-def: $vgpr0_vgpr1
.LBB54_882:
	s_andn2_b64 vcc, exec, s[0:1]
	s_cbranch_vccnz .LBB54_884
; %bb.883:
	global_load_ubyte v0, v[2:3], off
	s_mov_b32 s0, 0
	s_waitcnt vmcnt(1)
	v_mov_b32_e32 v1, s0
	s_waitcnt vmcnt(0)
	v_and_b32_e32 v0, 0xffff, v0
.LBB54_884:
	s_mov_b64 s[0:1], -1
.LBB54_885:
	s_andn2_b64 vcc, exec, s[0:1]
	s_cbranch_vccnz .LBB54_893
; %bb.886:
	v_mul_lo_u32 v2, v18, s14
	v_mov_b32_e32 v3, s3
	s_and_b32 s44, s56, 0xff
	s_cmp_lt_i32 s44, 11
	v_ashrrev_i32_e32 v4, 31, v2
	v_add_co_u32_e32 v2, vcc, s2, v2
	v_addc_co_u32_e32 v3, vcc, v3, v4, vcc
	s_cbranch_scc1 .LBB54_895
; %bb.887:
	s_and_b32 s45, 0xffff, s44
	s_cmp_gt_i32 s45, 25
	s_cbranch_scc0 .LBB54_896
; %bb.888:
	s_cmp_gt_i32 s45, 28
	s_cbranch_scc0 .LBB54_897
; %bb.889:
	;; [unrolled: 3-line block ×4, first 2 shown]
	s_cmp_eq_u32 s45, 46
	s_mov_b64 s[42:43], 0
	s_cbranch_scc0 .LBB54_902
; %bb.892:
	global_load_dword v4, v[2:3], off
	s_mov_b32 s0, 0x2f800000
	s_mov_b32 s1, 0xcf800000
	s_mov_b64 s[40:41], 0
	s_waitcnt vmcnt(0)
	v_lshlrev_b32_e32 v4, 16, v4
	v_trunc_f32_e32 v4, v4
	v_mul_f32_e64 v5, |v4|, s0
	v_floor_f32_e32 v5, v5
	v_fma_f32 v6, v5, s1, |v4|
	v_cvt_u32_f32_e32 v6, v6
	v_cvt_u32_f32_e32 v5, v5
	v_ashrrev_i32_e32 v7, 31, v4
	s_mov_b64 s[0:1], -1
	v_xor_b32_e32 v4, v6, v7
	v_xor_b32_e32 v5, v5, v7
	v_sub_co_u32_e32 v4, vcc, v4, v7
	v_subb_co_u32_e32 v5, vcc, v5, v7, vcc
	s_branch .LBB54_903
.LBB54_893:
	s_mov_b64 s[44:45], 0
	s_mov_b64 s[0:1], s[30:31]
	;; [unrolled: 1-line block ×3, first 2 shown]
.LBB54_894:
                                        ; implicit-def: $vgpr18
	s_branch .LBB54_1137
.LBB54_895:
	s_mov_b64 s[42:43], -1
	s_mov_b64 s[0:1], 0
                                        ; implicit-def: $vgpr4_vgpr5
	s_mov_b64 s[40:41], s[28:29]
	s_branch .LBB54_964
.LBB54_896:
	s_mov_b64 s[42:43], -1
	s_mov_b64 s[0:1], 0
	s_mov_b64 s[40:41], s[28:29]
                                        ; implicit-def: $vgpr4_vgpr5
	s_branch .LBB54_932
.LBB54_897:
	s_mov_b64 s[42:43], -1
	s_mov_b64 s[0:1], 0
	s_mov_b64 s[40:41], s[28:29]
                                        ; implicit-def: $vgpr4_vgpr5
	s_branch .LBB54_913
.LBB54_898:
	s_mov_b64 s[42:43], -1
	s_mov_b64 s[0:1], 0
	s_mov_b64 s[40:41], s[28:29]
                                        ; implicit-def: $vgpr4_vgpr5
	s_branch .LBB54_908
.LBB54_899:
	s_mov_b64 s[42:43], -1
	s_mov_b64 s[0:1], 0
	s_mov_b64 s[40:41], s[28:29]
                                        ; implicit-def: $vgpr4_vgpr5
	s_branch .LBB54_903
.LBB54_900:
	s_andn2_saveexec_b64 s[40:41], s[40:41]
	s_cbranch_execz .LBB54_680
.LBB54_901:
	v_add_f32_e32 v2, 0x42800000, v3
	v_and_b32_e32 v2, 0xff, v2
	v_cmp_ne_u32_e32 vcc, 0, v2
	s_andn2_b64 s[38:39], s[38:39], exec
	s_and_b64 s[44:45], vcc, exec
	s_or_b64 s[38:39], s[38:39], s[44:45]
	s_or_b64 exec, exec, s[40:41]
	v_mov_b32_e32 v4, 0
	s_and_saveexec_b64 s[40:41], s[38:39]
	s_cbranch_execnz .LBB54_681
	s_branch .LBB54_682
.LBB54_902:
	s_mov_b64 s[40:41], -1
                                        ; implicit-def: $vgpr4_vgpr5
	s_mov_b64 s[0:1], 0
.LBB54_903:
	s_and_b64 vcc, exec, s[42:43]
	s_cbranch_vccz .LBB54_907
; %bb.904:
	s_cmp_eq_u32 s45, 44
	s_cbranch_scc0 .LBB54_906
; %bb.905:
	global_load_ubyte v4, v[2:3], off
	s_mov_b32 s0, 0x2f800000
	s_mov_b32 s1, 0xcf800000
	s_mov_b64 s[40:41], 0
	s_waitcnt vmcnt(0)
	v_lshlrev_b32_e32 v5, 23, v4
	v_trunc_f32_e32 v5, v5
	v_mul_f32_e64 v6, |v5|, s0
	v_floor_f32_e32 v6, v6
	v_fma_f32 v7, v6, s1, |v5|
	v_cvt_u32_f32_e32 v7, v7
	v_cvt_u32_f32_e32 v6, v6
	v_ashrrev_i32_e32 v5, 31, v5
	s_mov_b64 s[0:1], -1
	v_xor_b32_e32 v7, v7, v5
	v_xor_b32_e32 v6, v6, v5
	v_sub_co_u32_e32 v7, vcc, v7, v5
	v_subb_co_u32_e32 v5, vcc, v6, v5, vcc
	v_cmp_ne_u32_e32 vcc, 0, v4
	v_cndmask_b32_e32 v5, 0, v5, vcc
	v_cndmask_b32_e32 v4, 0, v7, vcc
	s_branch .LBB54_907
.LBB54_906:
	s_mov_b64 s[40:41], -1
                                        ; implicit-def: $vgpr4_vgpr5
.LBB54_907:
	s_mov_b64 s[42:43], 0
.LBB54_908:
	s_and_b64 vcc, exec, s[42:43]
	s_cbranch_vccz .LBB54_912
; %bb.909:
	s_cmp_eq_u32 s45, 29
	s_cbranch_scc0 .LBB54_911
; %bb.910:
	global_load_dwordx2 v[4:5], v[2:3], off
	s_mov_b64 s[0:1], -1
	s_mov_b64 s[40:41], 0
	s_branch .LBB54_912
.LBB54_911:
	s_mov_b64 s[40:41], -1
                                        ; implicit-def: $vgpr4_vgpr5
.LBB54_912:
	s_mov_b64 s[42:43], 0
.LBB54_913:
	s_and_b64 vcc, exec, s[42:43]
	s_cbranch_vccz .LBB54_931
; %bb.914:
	s_cmp_lt_i32 s45, 27
	s_cbranch_scc1 .LBB54_917
; %bb.915:
	s_cmp_gt_i32 s45, 27
	s_cbranch_scc0 .LBB54_918
; %bb.916:
	global_load_dword v4, v[2:3], off
	s_waitcnt vmcnt(1)
	v_mov_b32_e32 v5, 0
	s_mov_b64 s[0:1], 0
	s_branch .LBB54_919
.LBB54_917:
	s_mov_b64 s[0:1], -1
                                        ; implicit-def: $vgpr4_vgpr5
	s_branch .LBB54_922
.LBB54_918:
	s_mov_b64 s[0:1], -1
                                        ; implicit-def: $vgpr4_vgpr5
.LBB54_919:
	s_andn2_b64 vcc, exec, s[0:1]
	s_cbranch_vccnz .LBB54_921
; %bb.920:
	global_load_ushort v4, v[2:3], off
	s_mov_b32 s0, 0
	s_waitcnt vmcnt(1)
	v_mov_b32_e32 v5, s0
	s_waitcnt vmcnt(0)
	v_and_b32_e32 v4, 0xffff, v4
.LBB54_921:
	s_mov_b64 s[0:1], 0
.LBB54_922:
	s_andn2_b64 vcc, exec, s[0:1]
	s_cbranch_vccnz .LBB54_930
; %bb.923:
	global_load_ubyte v6, v[2:3], off
	s_movk_i32 s0, 0x7f
	s_mov_b64 s[42:43], 0
	s_waitcnt vmcnt(0)
	v_cmp_lt_i16_e32 vcc, s0, v6
	s_and_saveexec_b64 s[0:1], vcc
	s_xor_b64 s[0:1], exec, s[0:1]
; %bb.924:
	s_movk_i32 s42, 0x80
	v_cmp_ne_u16_e32 vcc, s42, v6
	s_and_b64 s[42:43], vcc, exec
; %bb.925:
	s_andn2_saveexec_b64 s[0:1], s[0:1]
; %bb.926:
	v_cmp_ne_u16_e32 vcc, 0, v6
	s_andn2_b64 s[42:43], s[42:43], exec
	s_and_b64 s[46:47], vcc, exec
	s_or_b64 s[42:43], s[42:43], s[46:47]
; %bb.927:
	s_or_b64 exec, exec, s[0:1]
	v_mov_b32_e32 v4, 0
	v_mov_b32_e32 v5, 0
	s_and_saveexec_b64 s[0:1], s[42:43]
	s_cbranch_execz .LBB54_929
; %bb.928:
	v_and_b32_e32 v5, 0xffff, v6
	v_lshlrev_b32_e32 v4, 24, v6
	v_and_b32_e32 v6, 7, v5
	v_ffbh_u32_e32 v8, v6
	v_min_u32_e32 v8, 32, v8
	v_subrev_u32_e32 v9, 28, v8
	v_bfe_u32 v7, v5, 3, 4
	v_lshlrev_b32_e32 v5, v9, v5
	v_sub_u32_e32 v8, 29, v8
	v_and_b32_e32 v5, 7, v5
	v_cmp_eq_u32_e32 vcc, 0, v7
	v_cndmask_b32_e32 v7, v7, v8, vcc
	v_cndmask_b32_e32 v5, v6, v5, vcc
	v_mov_b32_e32 v6, 0x3b800000
	v_lshlrev_b32_e32 v5, 20, v5
	v_and_b32_e32 v4, 0x80000000, v4
	v_lshl_add_u32 v6, v7, 23, v6
	v_or3_b32 v4, v4, v6, v5
	v_trunc_f32_e32 v4, v4
	s_mov_b32 s42, 0x2f800000
	v_mul_f32_e64 v5, |v4|, s42
	v_floor_f32_e32 v5, v5
	s_mov_b32 s42, 0xcf800000
	v_fma_f32 v6, v5, s42, |v4|
	v_cvt_u32_f32_e32 v6, v6
	v_cvt_u32_f32_e32 v5, v5
	v_ashrrev_i32_e32 v7, 31, v4
	v_xor_b32_e32 v4, v6, v7
	v_xor_b32_e32 v5, v5, v7
	v_sub_co_u32_e32 v4, vcc, v4, v7
	v_subb_co_u32_e32 v5, vcc, v5, v7, vcc
.LBB54_929:
	s_or_b64 exec, exec, s[0:1]
.LBB54_930:
	s_mov_b64 s[0:1], -1
.LBB54_931:
	s_mov_b64 s[42:43], 0
.LBB54_932:
	s_and_b64 vcc, exec, s[42:43]
	s_cbranch_vccz .LBB54_963
; %bb.933:
	s_cmp_gt_i32 s45, 22
	s_cbranch_scc0 .LBB54_943
; %bb.934:
	s_cmp_lt_i32 s45, 24
	s_cbranch_scc1 .LBB54_944
; %bb.935:
	s_cmp_gt_i32 s45, 24
	s_cbranch_scc0 .LBB54_945
; %bb.936:
	global_load_ubyte v6, v[2:3], off
	s_movk_i32 s0, 0x7f
	s_mov_b64 s[42:43], 0
	s_waitcnt vmcnt(0)
	v_cmp_lt_i16_e32 vcc, s0, v6
	s_and_saveexec_b64 s[0:1], vcc
	s_xor_b64 s[0:1], exec, s[0:1]
; %bb.937:
	s_movk_i32 s42, 0x80
	v_cmp_ne_u16_e32 vcc, s42, v6
	s_and_b64 s[42:43], vcc, exec
; %bb.938:
	s_andn2_saveexec_b64 s[0:1], s[0:1]
; %bb.939:
	v_cmp_ne_u16_e32 vcc, 0, v6
	s_andn2_b64 s[42:43], s[42:43], exec
	s_and_b64 s[46:47], vcc, exec
	s_or_b64 s[42:43], s[42:43], s[46:47]
; %bb.940:
	s_or_b64 exec, exec, s[0:1]
	v_mov_b32_e32 v4, 0
	v_mov_b32_e32 v5, 0
	s_and_saveexec_b64 s[0:1], s[42:43]
	s_cbranch_execz .LBB54_942
; %bb.941:
	v_and_b32_e32 v5, 0xffff, v6
	v_lshlrev_b32_e32 v4, 24, v6
	v_and_b32_e32 v6, 3, v5
	v_ffbh_u32_e32 v8, v6
	v_min_u32_e32 v8, 32, v8
	v_subrev_u32_e32 v9, 29, v8
	v_bfe_u32 v7, v5, 2, 5
	v_lshlrev_b32_e32 v5, v9, v5
	v_sub_u32_e32 v8, 30, v8
	v_and_b32_e32 v5, 3, v5
	v_cmp_eq_u32_e32 vcc, 0, v7
	v_cndmask_b32_e32 v7, v7, v8, vcc
	v_cndmask_b32_e32 v5, v6, v5, vcc
	v_mov_b32_e32 v6, 0x37800000
	v_lshlrev_b32_e32 v5, 21, v5
	v_and_b32_e32 v4, 0x80000000, v4
	v_lshl_add_u32 v6, v7, 23, v6
	v_or3_b32 v4, v4, v6, v5
	v_trunc_f32_e32 v4, v4
	s_mov_b32 s42, 0x2f800000
	v_mul_f32_e64 v5, |v4|, s42
	v_floor_f32_e32 v5, v5
	s_mov_b32 s42, 0xcf800000
	v_fma_f32 v6, v5, s42, |v4|
	v_cvt_u32_f32_e32 v6, v6
	v_cvt_u32_f32_e32 v5, v5
	v_ashrrev_i32_e32 v7, 31, v4
	v_xor_b32_e32 v4, v6, v7
	v_xor_b32_e32 v5, v5, v7
	v_sub_co_u32_e32 v4, vcc, v4, v7
	v_subb_co_u32_e32 v5, vcc, v5, v7, vcc
.LBB54_942:
	s_or_b64 exec, exec, s[0:1]
	s_mov_b64 s[0:1], 0
	s_branch .LBB54_946
.LBB54_943:
	s_mov_b64 s[42:43], -1
                                        ; implicit-def: $vgpr4_vgpr5
	s_branch .LBB54_952
.LBB54_944:
	s_mov_b64 s[0:1], -1
                                        ; implicit-def: $vgpr4_vgpr5
	s_branch .LBB54_949
.LBB54_945:
	s_mov_b64 s[0:1], -1
                                        ; implicit-def: $vgpr4_vgpr5
.LBB54_946:
	s_and_b64 vcc, exec, s[0:1]
	s_cbranch_vccz .LBB54_948
; %bb.947:
	global_load_ubyte v4, v[2:3], off
	s_mov_b32 s0, 0x7f800000
	s_brev_b32 s1, 1
	s_mov_b32 s42, 0x2f800000
	s_mov_b32 s43, 0xcf800000
	s_waitcnt vmcnt(0)
	v_lshlrev_b32_e32 v4, 24, v4
	v_and_b32_e32 v5, 0x7f000000, v4
	v_ffbh_u32_e32 v6, v5
	v_min_u32_e32 v6, 32, v6
	v_sub_u32_e64 v6, v6, 4 clamp
	v_lshlrev_b32_e32 v8, v6, v5
	v_lshlrev_b32_e32 v6, 23, v6
	v_lshrrev_b32_e32 v8, 4, v8
	v_add_u32_e32 v7, 0x1000000, v5
	v_sub_u32_e32 v6, v8, v6
	v_ashrrev_i32_e32 v7, 8, v7
	v_add_u32_e32 v6, 0x3c000000, v6
	v_and_or_b32 v6, v7, s0, v6
	v_cmp_ne_u32_e32 vcc, 0, v5
	v_cndmask_b32_e32 v5, 0, v6, vcc
	v_and_or_b32 v4, v4, s1, v5
	v_trunc_f32_e32 v4, v4
	v_mul_f32_e64 v5, |v4|, s42
	v_floor_f32_e32 v5, v5
	v_fma_f32 v6, v5, s43, |v4|
	v_cvt_u32_f32_e32 v6, v6
	v_cvt_u32_f32_e32 v5, v5
	v_ashrrev_i32_e32 v7, 31, v4
	v_xor_b32_e32 v4, v6, v7
	v_xor_b32_e32 v5, v5, v7
	v_sub_co_u32_e32 v4, vcc, v4, v7
	v_subb_co_u32_e32 v5, vcc, v5, v7, vcc
.LBB54_948:
	s_mov_b64 s[0:1], 0
.LBB54_949:
	s_andn2_b64 vcc, exec, s[0:1]
	s_cbranch_vccnz .LBB54_951
; %bb.950:
	global_load_ubyte v4, v[2:3], off
	s_movk_i32 s0, 0x7f00
	s_brev_b32 s1, 16
	s_brev_b32 s42, 1
	s_mov_b32 s43, 0x2f800000
	s_mov_b32 s46, 0xcf800000
	s_waitcnt vmcnt(0)
	v_lshlrev_b16_e32 v5, 8, v4
	v_lshlrev_b32_e32 v4, 25, v4
	v_lshrrev_b32_e32 v6, 4, v4
	v_and_or_b32 v7, v5, s0, 0.5
	v_or_b32_e32 v6, 0x70000000, v6
	v_add_f32_e32 v7, -0.5, v7
	v_mul_f32_e32 v6, 0x7800000, v6
	v_cmp_gt_u32_e32 vcc, s1, v4
	v_bfe_i32 v5, v5, 0, 16
	v_cndmask_b32_e32 v4, v6, v7, vcc
	v_and_or_b32 v4, v5, s42, v4
	v_trunc_f32_e32 v4, v4
	v_mul_f32_e64 v5, |v4|, s43
	v_floor_f32_e32 v5, v5
	v_fma_f32 v6, v5, s46, |v4|
	v_cvt_u32_f32_e32 v6, v6
	v_cvt_u32_f32_e32 v5, v5
	v_ashrrev_i32_e32 v7, 31, v4
	v_xor_b32_e32 v4, v6, v7
	v_xor_b32_e32 v5, v5, v7
	v_sub_co_u32_e32 v4, vcc, v4, v7
	v_subb_co_u32_e32 v5, vcc, v5, v7, vcc
.LBB54_951:
	s_mov_b64 s[42:43], 0
	s_mov_b64 s[0:1], -1
.LBB54_952:
	s_andn2_b64 vcc, exec, s[42:43]
	s_cbranch_vccnz .LBB54_963
; %bb.953:
	s_cmp_gt_i32 s45, 14
	s_cbranch_scc0 .LBB54_956
; %bb.954:
	s_cmp_eq_u32 s45, 15
	s_cbranch_scc0 .LBB54_957
; %bb.955:
	global_load_ushort v4, v[2:3], off
	s_mov_b32 s0, 0x2f800000
	s_mov_b32 s1, 0xcf800000
	s_mov_b64 s[40:41], 0
	s_waitcnt vmcnt(0)
	v_lshlrev_b32_e32 v4, 16, v4
	v_trunc_f32_e32 v4, v4
	v_mul_f32_e64 v5, |v4|, s0
	v_floor_f32_e32 v5, v5
	v_fma_f32 v6, v5, s1, |v4|
	v_cvt_u32_f32_e32 v6, v6
	v_cvt_u32_f32_e32 v5, v5
	v_ashrrev_i32_e32 v7, 31, v4
	s_mov_b64 s[0:1], -1
	v_xor_b32_e32 v4, v6, v7
	v_xor_b32_e32 v5, v5, v7
	v_sub_co_u32_e32 v4, vcc, v4, v7
	v_subb_co_u32_e32 v5, vcc, v5, v7, vcc
	s_branch .LBB54_958
.LBB54_956:
	s_mov_b64 s[42:43], -1
                                        ; implicit-def: $vgpr4_vgpr5
	s_branch .LBB54_959
.LBB54_957:
	s_mov_b64 s[40:41], -1
                                        ; implicit-def: $vgpr4_vgpr5
.LBB54_958:
	s_mov_b64 s[42:43], 0
.LBB54_959:
	s_and_b64 vcc, exec, s[42:43]
	s_cbranch_vccz .LBB54_963
; %bb.960:
	s_cmp_eq_u32 s45, 11
	s_cbranch_scc0 .LBB54_962
; %bb.961:
	global_load_ubyte v4, v[2:3], off
	s_mov_b32 s40, 0
	s_mov_b64 s[0:1], -1
	s_waitcnt vmcnt(1)
	v_mov_b32_e32 v5, s40
	s_mov_b64 s[40:41], 0
	s_waitcnt vmcnt(0)
	v_cmp_ne_u16_e32 vcc, 0, v4
	v_cndmask_b32_e64 v4, 0, 1, vcc
	s_branch .LBB54_963
.LBB54_962:
	s_mov_b64 s[40:41], -1
                                        ; implicit-def: $vgpr4_vgpr5
.LBB54_963:
	s_mov_b64 s[42:43], 0
.LBB54_964:
	s_and_b64 vcc, exec, s[42:43]
	s_cbranch_vccz .LBB54_1013
; %bb.965:
	s_and_b32 s42, 0xffff, s44
	s_cmp_lt_i32 s42, 5
	s_cbranch_scc1 .LBB54_970
; %bb.966:
	s_cmp_lt_i32 s42, 8
	s_cbranch_scc1 .LBB54_971
; %bb.967:
	;; [unrolled: 3-line block ×3, first 2 shown]
	s_cmp_gt_i32 s42, 9
	s_cbranch_scc0 .LBB54_973
; %bb.969:
	global_load_dwordx2 v[4:5], v[2:3], off
	s_movk_i32 s0, 0xffe0
	s_waitcnt vmcnt(0)
	v_trunc_f64_e32 v[4:5], v[4:5]
	v_ldexp_f64 v[6:7], v[4:5], s0
	s_mov_b32 s0, 0
	s_mov_b32 s1, 0xc1f00000
	v_floor_f64_e32 v[6:7], v[6:7]
	v_fma_f64 v[8:9], v[6:7], s[0:1], v[4:5]
	v_cvt_i32_f64_e32 v5, v[6:7]
	s_mov_b64 s[0:1], 0
	v_cvt_u32_f64_e32 v4, v[8:9]
	s_branch .LBB54_974
.LBB54_970:
	s_mov_b64 s[0:1], -1
                                        ; implicit-def: $vgpr4_vgpr5
	s_branch .LBB54_992
.LBB54_971:
	s_mov_b64 s[0:1], -1
                                        ; implicit-def: $vgpr4_vgpr5
	s_branch .LBB54_980
.LBB54_972:
	s_mov_b64 s[0:1], -1
                                        ; implicit-def: $vgpr4_vgpr5
	s_branch .LBB54_977
.LBB54_973:
	s_mov_b64 s[0:1], -1
                                        ; implicit-def: $vgpr4_vgpr5
.LBB54_974:
	s_andn2_b64 vcc, exec, s[0:1]
	s_cbranch_vccnz .LBB54_976
; %bb.975:
	global_load_dword v4, v[2:3], off
	s_mov_b32 s0, 0x2f800000
	s_mov_b32 s1, 0xcf800000
	s_waitcnt vmcnt(0)
	v_trunc_f32_e32 v4, v4
	v_mul_f32_e64 v5, |v4|, s0
	v_floor_f32_e32 v5, v5
	v_cvt_u32_f32_e32 v6, v5
	v_fma_f32 v5, v5, s1, |v4|
	v_cvt_u32_f32_e32 v5, v5
	v_ashrrev_i32_e32 v7, 31, v4
	v_xor_b32_e32 v6, v6, v7
	v_xor_b32_e32 v4, v5, v7
	v_sub_co_u32_e32 v4, vcc, v4, v7
	v_subb_co_u32_e32 v5, vcc, v6, v7, vcc
.LBB54_976:
	s_mov_b64 s[0:1], 0
.LBB54_977:
	s_andn2_b64 vcc, exec, s[0:1]
	s_cbranch_vccnz .LBB54_979
; %bb.978:
	global_load_dword v4, v[2:3], off
	s_waitcnt vmcnt(0)
	v_cvt_f32_f16_e32 v4, v4
	v_cvt_i32_f32_e32 v4, v4
	v_ashrrev_i32_e32 v5, 31, v4
.LBB54_979:
	s_mov_b64 s[0:1], 0
.LBB54_980:
	s_andn2_b64 vcc, exec, s[0:1]
	s_cbranch_vccnz .LBB54_991
; %bb.981:
	s_cmp_lt_i32 s42, 6
	s_cbranch_scc1 .LBB54_984
; %bb.982:
	s_cmp_gt_i32 s42, 6
	s_cbranch_scc0 .LBB54_985
; %bb.983:
	global_load_dwordx2 v[4:5], v[2:3], off
	s_movk_i32 s0, 0xffe0
	s_waitcnt vmcnt(0)
	v_trunc_f64_e32 v[4:5], v[4:5]
	v_ldexp_f64 v[6:7], v[4:5], s0
	s_mov_b32 s0, 0
	s_mov_b32 s1, 0xc1f00000
	v_floor_f64_e32 v[6:7], v[6:7]
	v_fma_f64 v[8:9], v[6:7], s[0:1], v[4:5]
	v_cvt_i32_f64_e32 v5, v[6:7]
	s_mov_b64 s[0:1], 0
	v_cvt_u32_f64_e32 v4, v[8:9]
	s_branch .LBB54_986
.LBB54_984:
	s_mov_b64 s[0:1], -1
                                        ; implicit-def: $vgpr4_vgpr5
	s_branch .LBB54_989
.LBB54_985:
	s_mov_b64 s[0:1], -1
                                        ; implicit-def: $vgpr4_vgpr5
.LBB54_986:
	s_andn2_b64 vcc, exec, s[0:1]
	s_cbranch_vccnz .LBB54_988
; %bb.987:
	global_load_dword v4, v[2:3], off
	s_mov_b32 s0, 0x2f800000
	s_mov_b32 s1, 0xcf800000
	s_waitcnt vmcnt(0)
	v_trunc_f32_e32 v4, v4
	v_mul_f32_e64 v5, |v4|, s0
	v_floor_f32_e32 v5, v5
	v_cvt_u32_f32_e32 v6, v5
	v_fma_f32 v5, v5, s1, |v4|
	v_cvt_u32_f32_e32 v5, v5
	v_ashrrev_i32_e32 v7, 31, v4
	v_xor_b32_e32 v6, v6, v7
	v_xor_b32_e32 v4, v5, v7
	v_sub_co_u32_e32 v4, vcc, v4, v7
	v_subb_co_u32_e32 v5, vcc, v6, v7, vcc
.LBB54_988:
	s_mov_b64 s[0:1], 0
.LBB54_989:
	s_andn2_b64 vcc, exec, s[0:1]
	s_cbranch_vccnz .LBB54_991
; %bb.990:
	global_load_ushort v4, v[2:3], off
	s_waitcnt vmcnt(0)
	v_cvt_f32_f16_e32 v4, v4
	v_cvt_i32_f32_e32 v4, v4
	v_ashrrev_i32_e32 v5, 31, v4
.LBB54_991:
	s_mov_b64 s[0:1], 0
.LBB54_992:
	s_andn2_b64 vcc, exec, s[0:1]
	s_cbranch_vccnz .LBB54_1012
; %bb.993:
	s_cmp_lt_i32 s42, 2
	s_cbranch_scc1 .LBB54_997
; %bb.994:
	s_cmp_lt_i32 s42, 3
	s_cbranch_scc1 .LBB54_998
; %bb.995:
	s_cmp_gt_i32 s42, 3
	s_cbranch_scc0 .LBB54_999
; %bb.996:
	global_load_dwordx2 v[4:5], v[2:3], off
	s_mov_b64 s[0:1], 0
	s_branch .LBB54_1000
.LBB54_997:
	s_mov_b64 s[0:1], -1
                                        ; implicit-def: $vgpr4_vgpr5
	s_branch .LBB54_1006
.LBB54_998:
	s_mov_b64 s[0:1], -1
                                        ; implicit-def: $vgpr4_vgpr5
	s_branch .LBB54_1003
.LBB54_999:
	s_mov_b64 s[0:1], -1
                                        ; implicit-def: $vgpr4_vgpr5
.LBB54_1000:
	s_andn2_b64 vcc, exec, s[0:1]
	s_cbranch_vccnz .LBB54_1002
; %bb.1001:
	global_load_dword v4, v[2:3], off
	s_waitcnt vmcnt(0)
	v_ashrrev_i32_e32 v5, 31, v4
.LBB54_1002:
	s_mov_b64 s[0:1], 0
.LBB54_1003:
	s_andn2_b64 vcc, exec, s[0:1]
	s_cbranch_vccnz .LBB54_1005
; %bb.1004:
	global_load_ushort v4, v[2:3], off
	s_waitcnt vmcnt(0)
	v_bfe_i32 v4, v4, 0, 16
	v_ashrrev_i32_e32 v5, 31, v4
.LBB54_1005:
	s_mov_b64 s[0:1], 0
.LBB54_1006:
	s_andn2_b64 vcc, exec, s[0:1]
	s_cbranch_vccnz .LBB54_1012
; %bb.1007:
	s_cmp_gt_i32 s42, 0
	s_cbranch_scc0 .LBB54_1009
; %bb.1008:
	global_load_sbyte v4, v[2:3], off
	s_mov_b64 s[0:1], 0
	s_waitcnt vmcnt(0)
	v_bfe_i32 v4, v4, 0, 16
	v_ashrrev_i32_e32 v5, 31, v4
	s_branch .LBB54_1010
.LBB54_1009:
	s_mov_b64 s[0:1], -1
                                        ; implicit-def: $vgpr4_vgpr5
.LBB54_1010:
	s_andn2_b64 vcc, exec, s[0:1]
	s_cbranch_vccnz .LBB54_1012
; %bb.1011:
	global_load_ubyte v2, v[2:3], off
	s_mov_b32 s0, 0
	s_waitcnt vmcnt(1)
	v_mov_b32_e32 v5, s0
	s_waitcnt vmcnt(0)
	v_and_b32_e32 v4, 0xffff, v2
.LBB54_1012:
	s_mov_b64 s[0:1], -1
.LBB54_1013:
	s_andn2_b64 vcc, exec, s[0:1]
	s_cbranch_vccnz .LBB54_1021
; %bb.1014:
	v_mul_lo_u32 v2, v18, s12
	s_waitcnt vmcnt(0)
	v_cmp_ne_u64_e32 vcc, v[0:1], v[4:5]
	v_mov_b32_e32 v1, s9
	s_xor_b64 s[42:43], s[16:17], vcc
	v_ashrrev_i32_e32 v3, 31, v2
	s_and_b32 s51, s33, 0xff
	v_add_co_u32_e32 v0, vcc, s8, v2
	s_cmp_lt_i32 s51, 11
	v_addc_co_u32_e32 v1, vcc, v1, v3, vcc
	s_cbranch_scc1 .LBB54_1022
; %bb.1015:
	s_and_b32 s52, 0xffff, s51
	s_cmp_gt_i32 s52, 25
	s_cbranch_scc0 .LBB54_1023
; %bb.1016:
	s_cmp_gt_i32 s52, 28
	s_cbranch_scc0 .LBB54_1024
; %bb.1017:
	;; [unrolled: 3-line block ×4, first 2 shown]
	s_mov_b64 s[46:47], 0
	s_mov_b64 s[0:1], -1
	s_cmp_eq_u32 s52, 46
	s_mov_b64 s[44:45], 0
	s_cbranch_scc0 .LBB54_1027
; %bb.1020:
	v_cndmask_b32_e64 v2, 0, 1.0, s[42:43]
	v_bfe_u32 v3, v2, 16, 1
	s_movk_i32 s0, 0x7fff
	v_add3_u32 v2, v2, v3, s0
	v_lshrrev_b32_e32 v2, 16, v2
	global_store_dword v[0:1], v2, off
	s_mov_b64 s[44:45], -1
	s_mov_b64 s[0:1], 0
	s_branch .LBB54_1027
.LBB54_1021:
	s_mov_b64 s[44:45], 0
                                        ; implicit-def: $vgpr18
	s_mov_b64 s[0:1], s[30:31]
	s_branch .LBB54_1137
.LBB54_1022:
	s_mov_b64 s[46:47], -1
	s_mov_b64 s[44:45], 0
	s_mov_b64 s[0:1], s[30:31]
	s_branch .LBB54_1096
.LBB54_1023:
	s_mov_b64 s[46:47], -1
	s_mov_b64 s[44:45], 0
	s_mov_b64 s[0:1], s[30:31]
	s_branch .LBB54_1054
.LBB54_1024:
	s_mov_b64 s[46:47], -1
	s_mov_b64 s[44:45], 0
	s_mov_b64 s[0:1], s[30:31]
	s_branch .LBB54_1037
.LBB54_1025:
	s_mov_b64 s[46:47], -1
	s_mov_b64 s[44:45], 0
	s_mov_b64 s[0:1], s[30:31]
	s_branch .LBB54_1033
.LBB54_1026:
	s_mov_b64 s[46:47], -1
	s_mov_b64 s[44:45], 0
	s_mov_b64 s[0:1], s[30:31]
.LBB54_1027:
	s_and_b64 vcc, exec, s[46:47]
	s_cbranch_vccz .LBB54_1032
; %bb.1028:
	s_cmp_eq_u32 s52, 44
	s_mov_b64 s[0:1], -1
	s_cbranch_scc0 .LBB54_1032
; %bb.1029:
	v_cndmask_b32_e64 v3, 0, 1.0, s[42:43]
	v_lshrrev_b32_e32 v2, 23, v3
	s_movk_i32 s0, 0xff
	v_cmp_ne_u32_e32 vcc, s0, v2
	v_mov_b32_e32 v4, 0xff
	s_and_saveexec_b64 s[44:45], vcc
; %bb.1030:
	s_mov_b32 s0, 0x3fffff
	v_and_b32_e32 v4, 0x400000, v3
	v_and_or_b32 v3, v3, s0, v2
	v_cmp_ne_u32_e32 vcc, 0, v4
	v_cmp_ne_u32_e64 s[0:1], 0, v3
	s_and_b64 s[0:1], vcc, s[0:1]
	v_cndmask_b32_e64 v3, 0, 1, s[0:1]
	v_add_u32_e32 v4, v2, v3
; %bb.1031:
	s_or_b64 exec, exec, s[44:45]
	s_mov_b64 s[44:45], -1
	s_mov_b64 s[0:1], 0
	global_store_byte v[0:1], v4, off
.LBB54_1032:
	s_mov_b64 s[46:47], 0
.LBB54_1033:
	s_and_b64 vcc, exec, s[46:47]
	s_cbranch_vccz .LBB54_1036
; %bb.1034:
	s_cmp_eq_u32 s52, 29
	s_mov_b64 s[0:1], -1
	s_cbranch_scc0 .LBB54_1036
; %bb.1035:
	s_mov_b32 s0, 0
	v_cndmask_b32_e64 v2, 0, 1, s[42:43]
	v_mov_b32_e32 v3, s0
	global_store_dwordx2 v[0:1], v[2:3], off
	s_mov_b64 s[44:45], -1
	s_mov_b64 s[0:1], 0
.LBB54_1036:
	s_mov_b64 s[46:47], 0
.LBB54_1037:
	s_and_b64 vcc, exec, s[46:47]
	s_cbranch_vccz .LBB54_1053
; %bb.1038:
	s_cmp_lt_i32 s52, 27
	s_mov_b64 s[44:45], -1
	s_cbranch_scc1 .LBB54_1044
; %bb.1039:
	s_cmp_gt_i32 s52, 27
	s_cbranch_scc0 .LBB54_1041
; %bb.1040:
	v_cndmask_b32_e64 v2, 0, 1, s[42:43]
	s_mov_b64 s[44:45], 0
	global_store_dword v[0:1], v2, off
.LBB54_1041:
	s_andn2_b64 vcc, exec, s[44:45]
	s_cbranch_vccnz .LBB54_1043
; %bb.1042:
	v_cndmask_b32_e64 v2, 0, 1, s[42:43]
	global_store_short v[0:1], v2, off
.LBB54_1043:
	s_mov_b64 s[44:45], 0
.LBB54_1044:
	s_andn2_b64 vcc, exec, s[44:45]
	s_cbranch_vccnz .LBB54_1052
; %bb.1045:
	v_cndmask_b32_e64 v3, 0, 1.0, s[42:43]
	s_mov_b32 s44, 0x43800000
	v_cmp_gt_u32_e32 vcc, s44, v3
	v_mov_b32_e32 v4, 0x80
	s_and_saveexec_b64 s[44:45], vcc
	s_cbranch_execz .LBB54_1051
; %bb.1046:
	s_mov_b32 s46, 0x3bffffff
	v_cmp_lt_u32_e32 vcc, s46, v3
	s_mov_b64 s[46:47], 0
                                        ; implicit-def: $vgpr2
	s_and_saveexec_b64 s[48:49], vcc
	s_xor_b64 s[48:49], exec, s[48:49]
	s_cbranch_execz .LBB54_1153
; %bb.1047:
	v_bfe_u32 v2, v3, 20, 1
	s_mov_b32 s53, 0x487ffff
	v_add3_u32 v2, v3, v2, s53
	s_mov_b64 s[46:47], exec
	v_lshrrev_b32_e32 v2, 20, v2
                                        ; implicit-def: $vgpr3
	s_andn2_saveexec_b64 s[48:49], s[48:49]
	s_cbranch_execnz .LBB54_1154
.LBB54_1048:
	s_or_b64 exec, exec, s[48:49]
	v_mov_b32_e32 v4, 0
	s_and_saveexec_b64 s[48:49], s[46:47]
.LBB54_1049:
	v_mov_b32_e32 v4, v2
.LBB54_1050:
	s_or_b64 exec, exec, s[48:49]
.LBB54_1051:
	s_or_b64 exec, exec, s[44:45]
	global_store_byte v[0:1], v4, off
.LBB54_1052:
	s_mov_b64 s[44:45], -1
.LBB54_1053:
	s_mov_b64 s[46:47], 0
.LBB54_1054:
	s_and_b64 vcc, exec, s[46:47]
	s_cbranch_vccz .LBB54_1095
; %bb.1055:
	s_cmp_gt_i32 s52, 22
	s_mov_b64 s[46:47], -1
	s_cbranch_scc0 .LBB54_1087
; %bb.1056:
	s_cmp_lt_i32 s52, 24
	s_mov_b64 s[44:45], -1
	s_cbranch_scc1 .LBB54_1076
; %bb.1057:
	s_cmp_gt_i32 s52, 24
	s_cbranch_scc0 .LBB54_1065
; %bb.1058:
	v_cndmask_b32_e64 v3, 0, 1.0, s[42:43]
	s_mov_b32 s44, 0x47800000
	v_cmp_gt_u32_e32 vcc, s44, v3
	v_mov_b32_e32 v4, 0x80
	s_and_saveexec_b64 s[44:45], vcc
	s_cbranch_execz .LBB54_1064
; %bb.1059:
	s_mov_b32 s46, 0x37ffffff
	v_cmp_lt_u32_e32 vcc, s46, v3
	s_mov_b64 s[46:47], 0
                                        ; implicit-def: $vgpr2
	s_and_saveexec_b64 s[48:49], vcc
	s_xor_b64 s[48:49], exec, s[48:49]
	s_cbranch_execz .LBB54_2147
; %bb.1060:
	v_bfe_u32 v2, v3, 21, 1
	s_mov_b32 s53, 0x88fffff
	v_add3_u32 v2, v3, v2, s53
	s_mov_b64 s[46:47], exec
	v_lshrrev_b32_e32 v2, 21, v2
                                        ; implicit-def: $vgpr3
	s_andn2_saveexec_b64 s[48:49], s[48:49]
	s_cbranch_execnz .LBB54_2148
.LBB54_1061:
	s_or_b64 exec, exec, s[48:49]
	v_mov_b32_e32 v4, 0
	s_and_saveexec_b64 s[48:49], s[46:47]
.LBB54_1062:
	v_mov_b32_e32 v4, v2
.LBB54_1063:
	s_or_b64 exec, exec, s[48:49]
.LBB54_1064:
	s_or_b64 exec, exec, s[44:45]
	s_mov_b64 s[44:45], 0
	global_store_byte v[0:1], v4, off
.LBB54_1065:
	s_and_b64 vcc, exec, s[44:45]
	s_cbranch_vccz .LBB54_1075
; %bb.1066:
	v_cndmask_b32_e64 v2, 0, 1.0, s[42:43]
	s_mov_b32 s44, 0x43f00000
	v_cmp_gt_u32_e32 vcc, s44, v2
                                        ; implicit-def: $vgpr3
	s_and_saveexec_b64 s[44:45], vcc
	s_xor_b64 s[44:45], exec, s[44:45]
	s_cbranch_execz .LBB54_1072
; %bb.1067:
	s_mov_b32 s46, 0x3c7fffff
	v_cmp_lt_u32_e32 vcc, s46, v2
                                        ; implicit-def: $vgpr3
	s_and_saveexec_b64 s[46:47], vcc
	s_xor_b64 s[46:47], exec, s[46:47]
; %bb.1068:
	v_bfe_u32 v3, v2, 20, 1
	s_mov_b32 s48, 0x407ffff
	v_add3_u32 v2, v2, v3, s48
	v_lshrrev_b32_e32 v3, 20, v2
	v_and_b32_e32 v2, 0xff00000, v2
	s_mov_b32 s48, 0x7f00000
	v_mov_b32_e32 v4, 0x7e
	v_cmp_ne_u32_e32 vcc, s48, v2
	v_cndmask_b32_e32 v3, v4, v3, vcc
                                        ; implicit-def: $vgpr2
; %bb.1069:
	s_andn2_saveexec_b64 s[46:47], s[46:47]
; %bb.1070:
	v_add_f32_e32 v3, 0x46800000, v2
; %bb.1071:
	s_or_b64 exec, exec, s[46:47]
                                        ; implicit-def: $vgpr2
.LBB54_1072:
	s_andn2_saveexec_b64 s[44:45], s[44:45]
; %bb.1073:
	s_mov_b32 s46, 0x7f800000
	v_mov_b32_e32 v3, 0x7e
	v_mov_b32_e32 v4, 0x7f
	v_cmp_lt_u32_e32 vcc, s46, v2
	v_cndmask_b32_e32 v3, v3, v4, vcc
; %bb.1074:
	s_or_b64 exec, exec, s[44:45]
	global_store_byte v[0:1], v3, off
.LBB54_1075:
	s_mov_b64 s[44:45], 0
.LBB54_1076:
	s_andn2_b64 vcc, exec, s[44:45]
	s_cbranch_vccnz .LBB54_1086
; %bb.1077:
	v_cndmask_b32_e64 v2, 0, 1.0, s[42:43]
	s_mov_b32 s44, 0x47800000
	v_cmp_gt_u32_e32 vcc, s44, v2
                                        ; implicit-def: $vgpr3
	s_and_saveexec_b64 s[44:45], vcc
	s_xor_b64 s[44:45], exec, s[44:45]
	s_cbranch_execz .LBB54_1083
; %bb.1078:
	s_mov_b32 s46, 0x387fffff
	v_cmp_lt_u32_e32 vcc, s46, v2
                                        ; implicit-def: $vgpr3
	s_and_saveexec_b64 s[46:47], vcc
	s_xor_b64 s[46:47], exec, s[46:47]
; %bb.1079:
	v_bfe_u32 v3, v2, 21, 1
	s_mov_b32 s48, 0x80fffff
	v_add3_u32 v2, v2, v3, s48
	v_lshrrev_b32_e32 v3, 21, v2
                                        ; implicit-def: $vgpr2
; %bb.1080:
	s_andn2_saveexec_b64 s[46:47], s[46:47]
; %bb.1081:
	v_add_f32_e32 v3, 0x43000000, v2
; %bb.1082:
	s_or_b64 exec, exec, s[46:47]
                                        ; implicit-def: $vgpr2
.LBB54_1083:
	s_andn2_saveexec_b64 s[44:45], s[44:45]
; %bb.1084:
	s_mov_b32 s46, 0x7f800000
	v_mov_b32_e32 v3, 0x7c
	v_mov_b32_e32 v4, 0x7f
	v_cmp_lt_u32_e32 vcc, s46, v2
	v_cndmask_b32_e32 v3, v3, v4, vcc
; %bb.1085:
	s_or_b64 exec, exec, s[44:45]
	global_store_byte v[0:1], v3, off
.LBB54_1086:
	s_mov_b64 s[46:47], 0
	s_mov_b64 s[44:45], -1
.LBB54_1087:
	s_andn2_b64 vcc, exec, s[46:47]
	s_cbranch_vccnz .LBB54_1095
; %bb.1088:
	s_cmp_gt_i32 s52, 14
	s_mov_b64 s[46:47], -1
	s_cbranch_scc0 .LBB54_1092
; %bb.1089:
	s_cmp_eq_u32 s52, 15
	s_mov_b64 s[0:1], -1
	s_cbranch_scc0 .LBB54_1091
; %bb.1090:
	v_cndmask_b32_e64 v2, 0, 1.0, s[42:43]
	v_bfe_u32 v3, v2, 16, 1
	s_movk_i32 s0, 0x7fff
	v_add3_u32 v2, v2, v3, s0
	global_store_short_d16_hi v[0:1], v2, off
	s_mov_b64 s[44:45], -1
	s_mov_b64 s[0:1], 0
.LBB54_1091:
	s_mov_b64 s[46:47], 0
.LBB54_1092:
	s_and_b64 vcc, exec, s[46:47]
	s_cbranch_vccz .LBB54_1095
; %bb.1093:
	s_cmp_eq_u32 s52, 11
	s_mov_b64 s[0:1], -1
	s_cbranch_scc0 .LBB54_1095
; %bb.1094:
	v_cndmask_b32_e64 v2, 0, 1, s[42:43]
	s_mov_b64 s[44:45], -1
	s_mov_b64 s[0:1], 0
	global_store_byte v[0:1], v2, off
.LBB54_1095:
	s_mov_b64 s[46:47], 0
.LBB54_1096:
	s_and_b64 vcc, exec, s[46:47]
	s_cbranch_vccz .LBB54_1135
; %bb.1097:
	s_and_b32 s46, 0xffff, s51
	s_cmp_lt_i32 s46, 5
	s_mov_b64 s[44:45], -1
	s_cbranch_scc1 .LBB54_1118
; %bb.1098:
	s_cmp_lt_i32 s46, 8
	s_cbranch_scc1 .LBB54_1108
; %bb.1099:
	s_cmp_lt_i32 s46, 9
	s_cbranch_scc1 .LBB54_1105
; %bb.1100:
	s_cmp_gt_i32 s46, 9
	s_cbranch_scc0 .LBB54_1102
; %bb.1101:
	v_cndmask_b32_e64 v2, 0, 1, s[42:43]
	v_cvt_f64_u32_e32 v[2:3], v2
	v_mov_b32_e32 v4, 0
	v_mov_b32_e32 v5, v4
	s_mov_b64 s[44:45], 0
	global_store_dwordx4 v[0:1], v[2:5], off
.LBB54_1102:
	s_andn2_b64 vcc, exec, s[44:45]
	s_cbranch_vccnz .LBB54_1104
; %bb.1103:
	v_cndmask_b32_e64 v2, 0, 1.0, s[42:43]
	v_mov_b32_e32 v3, 0
	global_store_dwordx2 v[0:1], v[2:3], off
.LBB54_1104:
	s_mov_b64 s[44:45], 0
.LBB54_1105:
	s_andn2_b64 vcc, exec, s[44:45]
	s_cbranch_vccnz .LBB54_1107
; %bb.1106:
	v_cndmask_b32_e64 v2, 0, 1.0, s[42:43]
	v_cvt_f16_f32_e32 v2, v2
	global_store_dword v[0:1], v2, off
.LBB54_1107:
	s_mov_b64 s[44:45], 0
.LBB54_1108:
	s_andn2_b64 vcc, exec, s[44:45]
	s_cbranch_vccnz .LBB54_1117
; %bb.1109:
	s_cmp_lt_i32 s46, 6
	s_mov_b64 s[44:45], -1
	s_cbranch_scc1 .LBB54_1115
; %bb.1110:
	s_cmp_gt_i32 s46, 6
	s_cbranch_scc0 .LBB54_1112
; %bb.1111:
	v_cndmask_b32_e64 v2, 0, 1, s[42:43]
	v_cvt_f64_u32_e32 v[2:3], v2
	s_mov_b64 s[44:45], 0
	global_store_dwordx2 v[0:1], v[2:3], off
.LBB54_1112:
	s_andn2_b64 vcc, exec, s[44:45]
	s_cbranch_vccnz .LBB54_1114
; %bb.1113:
	v_cndmask_b32_e64 v2, 0, 1.0, s[42:43]
	global_store_dword v[0:1], v2, off
.LBB54_1114:
	s_mov_b64 s[44:45], 0
.LBB54_1115:
	s_andn2_b64 vcc, exec, s[44:45]
	s_cbranch_vccnz .LBB54_1117
; %bb.1116:
	v_cndmask_b32_e64 v2, 0, 1.0, s[42:43]
	v_cvt_f16_f32_e32 v2, v2
	global_store_short v[0:1], v2, off
.LBB54_1117:
	s_mov_b64 s[44:45], 0
.LBB54_1118:
	s_andn2_b64 vcc, exec, s[44:45]
	s_cbranch_vccnz .LBB54_1134
; %bb.1119:
	s_cmp_lt_i32 s46, 2
	s_mov_b64 s[44:45], -1
	s_cbranch_scc1 .LBB54_1129
; %bb.1120:
	s_cmp_lt_i32 s46, 3
	s_cbranch_scc1 .LBB54_1126
; %bb.1121:
	s_cmp_gt_i32 s46, 3
	s_cbranch_scc0 .LBB54_1123
; %bb.1122:
	s_mov_b32 s44, 0
	v_cndmask_b32_e64 v2, 0, 1, s[42:43]
	v_mov_b32_e32 v3, s44
	s_mov_b64 s[44:45], 0
	global_store_dwordx2 v[0:1], v[2:3], off
.LBB54_1123:
	s_andn2_b64 vcc, exec, s[44:45]
	s_cbranch_vccnz .LBB54_1125
; %bb.1124:
	v_cndmask_b32_e64 v2, 0, 1, s[42:43]
	global_store_dword v[0:1], v2, off
.LBB54_1125:
	s_mov_b64 s[44:45], 0
.LBB54_1126:
	s_andn2_b64 vcc, exec, s[44:45]
	s_cbranch_vccnz .LBB54_1128
; %bb.1127:
	v_cndmask_b32_e64 v2, 0, 1, s[42:43]
	global_store_short v[0:1], v2, off
.LBB54_1128:
	s_mov_b64 s[44:45], 0
.LBB54_1129:
	s_andn2_b64 vcc, exec, s[44:45]
	s_cbranch_vccnz .LBB54_1134
; %bb.1130:
	s_mov_b64 s[44:45], -1
	s_cmp_gt_i32 s46, 0
	v_cndmask_b32_e64 v2, 0, 1, s[42:43]
	s_cbranch_scc0 .LBB54_1132
; %bb.1131:
	s_mov_b64 s[44:45], 0
	global_store_byte v[0:1], v2, off
.LBB54_1132:
	s_andn2_b64 vcc, exec, s[44:45]
	s_cbranch_vccnz .LBB54_1134
; %bb.1133:
	global_store_byte v[0:1], v2, off
.LBB54_1134:
	s_mov_b64 s[44:45], -1
.LBB54_1135:
	s_andn2_b64 vcc, exec, s[44:45]
	s_cbranch_vccnz .LBB54_1148
; %bb.1136:
	v_add_u32_e32 v18, 0x80, v18
	s_mov_b64 s[44:45], -1
.LBB54_1137:
	s_andn2_b64 s[42:43], s[30:31], exec
	s_and_b64 s[0:1], s[0:1], exec
	s_or_b64 s[42:43], s[42:43], s[0:1]
	s_andn2_b64 s[0:1], s[28:29], exec
	s_and_b64 s[40:41], s[40:41], exec
	s_or_b64 s[40:41], s[0:1], s[40:41]
	;; [unrolled: 3-line block ×3, first 2 shown]
	s_orn2_b64 s[48:49], s[44:45], exec
.LBB54_1138:
	s_or_b64 exec, exec, s[36:37]
	s_mov_b64 s[44:45], 0
	s_mov_b64 s[38:39], 0
	;; [unrolled: 1-line block ×3, first 2 shown]
                                        ; implicit-def: $sgpr58
                                        ; implicit-def: $vgpr2_vgpr3
                                        ; implicit-def: $vgpr0_vgpr1
	s_and_saveexec_b64 s[36:37], s[48:49]
	s_cbranch_execz .LBB54_1218
; %bb.1139:
	v_cmp_gt_i32_e32 vcc, s50, v18
	s_mov_b64 s[48:49], 0
	s_mov_b64 s[50:51], s[0:1]
	;; [unrolled: 1-line block ×4, first 2 shown]
                                        ; implicit-def: $sgpr58
                                        ; implicit-def: $vgpr2_vgpr3
                                        ; implicit-def: $vgpr0_vgpr1
	s_and_saveexec_b64 s[38:39], vcc
	s_cbranch_execz .LBB54_1217
; %bb.1140:
	s_waitcnt vmcnt(0)
	v_mul_lo_u32 v0, v18, s13
	v_mov_b32_e32 v1, s11
	s_and_b32 s58, s57, 0xff
	s_cmp_lt_i32 s58, 11
	v_ashrrev_i32_e32 v3, 31, v0
	v_add_co_u32_e32 v2, vcc, s10, v0
	v_addc_co_u32_e32 v3, vcc, v1, v3, vcc
	s_cbranch_scc1 .LBB54_1147
; %bb.1141:
	s_and_b32 s52, 0xffff, s58
	s_cmp_gt_i32 s52, 25
	s_cbranch_scc0 .LBB54_1149
; %bb.1142:
	s_cmp_gt_i32 s52, 28
	s_cbranch_scc0 .LBB54_1150
; %bb.1143:
	;; [unrolled: 3-line block ×4, first 2 shown]
	s_cmp_eq_u32 s52, 46
	s_mov_b64 s[50:51], 0
	s_cbranch_scc0 .LBB54_1155
; %bb.1146:
	global_load_dword v0, v[2:3], off
	s_mov_b32 s44, 0x2f800000
	s_mov_b32 s45, 0xcf800000
	s_mov_b64 s[48:49], -1
	s_waitcnt vmcnt(0)
	v_lshlrev_b32_e32 v0, 16, v0
	v_trunc_f32_e32 v0, v0
	v_mul_f32_e64 v1, |v0|, s44
	v_floor_f32_e32 v1, v1
	v_fma_f32 v4, v1, s45, |v0|
	v_cvt_u32_f32_e32 v4, v4
	v_cvt_u32_f32_e32 v1, v1
	v_ashrrev_i32_e32 v5, 31, v0
	s_mov_b64 s[44:45], 0
	v_xor_b32_e32 v0, v4, v5
	v_xor_b32_e32 v1, v1, v5
	v_sub_co_u32_e32 v0, vcc, v0, v5
	v_subb_co_u32_e32 v1, vcc, v1, v5, vcc
	s_branch .LBB54_1157
.LBB54_1147:
	s_mov_b64 s[50:51], -1
                                        ; implicit-def: $vgpr0_vgpr1
	s_mov_b64 s[44:45], s[0:1]
	s_branch .LBB54_1216
.LBB54_1148:
	s_mov_b64 s[44:45], 0
	s_branch .LBB54_894
.LBB54_1149:
	s_mov_b64 s[50:51], -1
	s_mov_b64 s[44:45], s[0:1]
                                        ; implicit-def: $vgpr0_vgpr1
	s_branch .LBB54_1186
.LBB54_1150:
	s_mov_b64 s[50:51], -1
	s_mov_b64 s[44:45], s[0:1]
                                        ; implicit-def: $vgpr0_vgpr1
	s_branch .LBB54_1167
.LBB54_1151:
	s_mov_b64 s[50:51], -1
	s_mov_b64 s[44:45], s[0:1]
                                        ; implicit-def: $vgpr0_vgpr1
	s_branch .LBB54_1162
.LBB54_1152:
	s_mov_b64 s[50:51], -1
	s_mov_b64 s[44:45], s[0:1]
	s_branch .LBB54_1156
.LBB54_1153:
	s_andn2_saveexec_b64 s[48:49], s[48:49]
	s_cbranch_execz .LBB54_1048
.LBB54_1154:
	v_add_f32_e32 v2, 0x46000000, v3
	v_and_b32_e32 v2, 0xff, v2
	v_cmp_ne_u32_e32 vcc, 0, v2
	s_andn2_b64 s[46:47], s[46:47], exec
	s_and_b64 s[54:55], vcc, exec
	s_or_b64 s[46:47], s[46:47], s[54:55]
	s_or_b64 exec, exec, s[48:49]
	v_mov_b32_e32 v4, 0
	s_and_saveexec_b64 s[48:49], s[46:47]
	s_cbranch_execnz .LBB54_1049
	s_branch .LBB54_1050
.LBB54_1155:
	s_mov_b64 s[44:45], -1
.LBB54_1156:
                                        ; implicit-def: $vgpr0_vgpr1
.LBB54_1157:
	s_and_b64 vcc, exec, s[50:51]
	s_cbranch_vccz .LBB54_1161
; %bb.1158:
	s_cmp_eq_u32 s52, 44
	s_cbranch_scc0 .LBB54_1160
; %bb.1159:
	global_load_ubyte v0, v[2:3], off
	s_mov_b32 s44, 0x2f800000
	s_mov_b32 s45, 0xcf800000
	s_mov_b64 s[48:49], -1
	s_waitcnt vmcnt(0)
	v_lshlrev_b32_e32 v1, 23, v0
	v_trunc_f32_e32 v1, v1
	v_mul_f32_e64 v4, |v1|, s44
	v_floor_f32_e32 v4, v4
	v_fma_f32 v5, v4, s45, |v1|
	v_cvt_u32_f32_e32 v5, v5
	v_cvt_u32_f32_e32 v4, v4
	v_ashrrev_i32_e32 v1, 31, v1
	s_mov_b64 s[44:45], 0
	v_xor_b32_e32 v5, v5, v1
	v_xor_b32_e32 v4, v4, v1
	v_sub_co_u32_e32 v5, vcc, v5, v1
	v_subb_co_u32_e32 v1, vcc, v4, v1, vcc
	v_cmp_ne_u32_e32 vcc, 0, v0
	v_cndmask_b32_e32 v1, 0, v1, vcc
	v_cndmask_b32_e32 v0, 0, v5, vcc
	s_branch .LBB54_1161
.LBB54_1160:
	s_mov_b64 s[44:45], -1
                                        ; implicit-def: $vgpr0_vgpr1
.LBB54_1161:
	s_mov_b64 s[50:51], 0
.LBB54_1162:
	s_and_b64 vcc, exec, s[50:51]
	s_cbranch_vccz .LBB54_1166
; %bb.1163:
	s_cmp_eq_u32 s52, 29
	s_cbranch_scc0 .LBB54_1165
; %bb.1164:
	global_load_dwordx2 v[0:1], v[2:3], off
	s_mov_b64 s[44:45], 0
	s_mov_b64 s[48:49], -1
	s_branch .LBB54_1166
.LBB54_1165:
	s_mov_b64 s[44:45], -1
                                        ; implicit-def: $vgpr0_vgpr1
.LBB54_1166:
	s_mov_b64 s[50:51], 0
.LBB54_1167:
	s_and_b64 vcc, exec, s[50:51]
	s_cbranch_vccz .LBB54_1185
; %bb.1168:
	s_cmp_lt_i32 s52, 27
	s_cbranch_scc1 .LBB54_1171
; %bb.1169:
	s_cmp_gt_i32 s52, 27
	s_cbranch_scc0 .LBB54_1172
; %bb.1170:
	global_load_dword v0, v[2:3], off
	s_waitcnt vmcnt(1)
	v_mov_b32_e32 v1, 0
	s_mov_b64 s[48:49], 0
	s_branch .LBB54_1173
.LBB54_1171:
	s_mov_b64 s[48:49], -1
                                        ; implicit-def: $vgpr0_vgpr1
	s_branch .LBB54_1176
.LBB54_1172:
	s_mov_b64 s[48:49], -1
                                        ; implicit-def: $vgpr0_vgpr1
.LBB54_1173:
	s_andn2_b64 vcc, exec, s[48:49]
	s_cbranch_vccnz .LBB54_1175
; %bb.1174:
	global_load_ushort v0, v[2:3], off
	s_mov_b32 s48, 0
	s_waitcnt vmcnt(1)
	v_mov_b32_e32 v1, s48
	s_waitcnt vmcnt(0)
	v_and_b32_e32 v0, 0xffff, v0
.LBB54_1175:
	s_mov_b64 s[48:49], 0
.LBB54_1176:
	s_andn2_b64 vcc, exec, s[48:49]
	s_cbranch_vccnz .LBB54_1184
; %bb.1177:
	global_load_ubyte v4, v[2:3], off
	s_movk_i32 s48, 0x7f
	s_mov_b64 s[50:51], 0
	s_waitcnt vmcnt(0)
	v_cmp_lt_i16_e32 vcc, s48, v4
	s_and_saveexec_b64 s[48:49], vcc
	s_xor_b64 s[48:49], exec, s[48:49]
; %bb.1178:
	s_movk_i32 s50, 0x80
	v_cmp_ne_u16_e32 vcc, s50, v4
	s_and_b64 s[50:51], vcc, exec
; %bb.1179:
	s_andn2_saveexec_b64 s[48:49], s[48:49]
; %bb.1180:
	v_cmp_ne_u16_e32 vcc, 0, v4
	s_andn2_b64 s[50:51], s[50:51], exec
	s_and_b64 s[54:55], vcc, exec
	s_or_b64 s[50:51], s[50:51], s[54:55]
; %bb.1181:
	s_or_b64 exec, exec, s[48:49]
	v_mov_b32_e32 v0, 0
	v_mov_b32_e32 v1, 0
	s_and_saveexec_b64 s[48:49], s[50:51]
	s_cbranch_execz .LBB54_1183
; %bb.1182:
	v_and_b32_e32 v1, 0xffff, v4
	v_lshlrev_b32_e32 v0, 24, v4
	v_and_b32_e32 v4, 7, v1
	v_ffbh_u32_e32 v6, v4
	v_min_u32_e32 v6, 32, v6
	v_subrev_u32_e32 v7, 28, v6
	v_bfe_u32 v5, v1, 3, 4
	v_lshlrev_b32_e32 v1, v7, v1
	v_sub_u32_e32 v6, 29, v6
	v_and_b32_e32 v1, 7, v1
	v_cmp_eq_u32_e32 vcc, 0, v5
	v_cndmask_b32_e32 v5, v5, v6, vcc
	v_cndmask_b32_e32 v1, v4, v1, vcc
	v_mov_b32_e32 v4, 0x3b800000
	v_lshlrev_b32_e32 v1, 20, v1
	v_and_b32_e32 v0, 0x80000000, v0
	v_lshl_add_u32 v4, v5, 23, v4
	v_or3_b32 v0, v0, v4, v1
	v_trunc_f32_e32 v0, v0
	s_mov_b32 s50, 0x2f800000
	v_mul_f32_e64 v1, |v0|, s50
	v_floor_f32_e32 v1, v1
	s_mov_b32 s50, 0xcf800000
	v_fma_f32 v4, v1, s50, |v0|
	v_cvt_u32_f32_e32 v4, v4
	v_cvt_u32_f32_e32 v1, v1
	v_ashrrev_i32_e32 v5, 31, v0
	v_xor_b32_e32 v0, v4, v5
	v_xor_b32_e32 v1, v1, v5
	v_sub_co_u32_e32 v0, vcc, v0, v5
	v_subb_co_u32_e32 v1, vcc, v1, v5, vcc
.LBB54_1183:
	s_or_b64 exec, exec, s[48:49]
.LBB54_1184:
	s_mov_b64 s[48:49], -1
.LBB54_1185:
	s_mov_b64 s[50:51], 0
.LBB54_1186:
	s_and_b64 vcc, exec, s[50:51]
	s_cbranch_vccz .LBB54_1215
; %bb.1187:
	s_cmp_gt_i32 s52, 22
	s_cbranch_scc0 .LBB54_1197
; %bb.1188:
	s_cmp_lt_i32 s52, 24
	s_cbranch_scc1 .LBB54_1198
; %bb.1189:
	s_cmp_gt_i32 s52, 24
	s_cbranch_scc0 .LBB54_1199
; %bb.1190:
	global_load_ubyte v4, v[2:3], off
	s_movk_i32 s46, 0x7f
	s_mov_b64 s[48:49], 0
	s_waitcnt vmcnt(0)
	v_cmp_lt_i16_e32 vcc, s46, v4
	s_and_saveexec_b64 s[46:47], vcc
	s_xor_b64 s[46:47], exec, s[46:47]
; %bb.1191:
	s_movk_i32 s48, 0x80
	v_cmp_ne_u16_e32 vcc, s48, v4
	s_and_b64 s[48:49], vcc, exec
; %bb.1192:
	s_andn2_saveexec_b64 s[46:47], s[46:47]
; %bb.1193:
	v_cmp_ne_u16_e32 vcc, 0, v4
	s_andn2_b64 s[48:49], s[48:49], exec
	s_and_b64 s[50:51], vcc, exec
	s_or_b64 s[48:49], s[48:49], s[50:51]
; %bb.1194:
	s_or_b64 exec, exec, s[46:47]
	v_mov_b32_e32 v0, 0
	v_mov_b32_e32 v1, 0
	s_and_saveexec_b64 s[46:47], s[48:49]
	s_cbranch_execz .LBB54_1196
; %bb.1195:
	v_and_b32_e32 v1, 0xffff, v4
	v_lshlrev_b32_e32 v0, 24, v4
	v_and_b32_e32 v4, 3, v1
	v_ffbh_u32_e32 v6, v4
	v_min_u32_e32 v6, 32, v6
	v_subrev_u32_e32 v7, 29, v6
	v_bfe_u32 v5, v1, 2, 5
	v_lshlrev_b32_e32 v1, v7, v1
	v_sub_u32_e32 v6, 30, v6
	v_and_b32_e32 v1, 3, v1
	v_cmp_eq_u32_e32 vcc, 0, v5
	v_cndmask_b32_e32 v5, v5, v6, vcc
	v_cndmask_b32_e32 v1, v4, v1, vcc
	v_mov_b32_e32 v4, 0x37800000
	v_lshlrev_b32_e32 v1, 21, v1
	v_and_b32_e32 v0, 0x80000000, v0
	v_lshl_add_u32 v4, v5, 23, v4
	v_or3_b32 v0, v0, v4, v1
	v_trunc_f32_e32 v0, v0
	s_mov_b32 s48, 0x2f800000
	v_mul_f32_e64 v1, |v0|, s48
	v_floor_f32_e32 v1, v1
	s_mov_b32 s48, 0xcf800000
	v_fma_f32 v4, v1, s48, |v0|
	v_cvt_u32_f32_e32 v4, v4
	v_cvt_u32_f32_e32 v1, v1
	v_ashrrev_i32_e32 v5, 31, v0
	v_xor_b32_e32 v0, v4, v5
	v_xor_b32_e32 v1, v1, v5
	v_sub_co_u32_e32 v0, vcc, v0, v5
	v_subb_co_u32_e32 v1, vcc, v1, v5, vcc
.LBB54_1196:
	s_or_b64 exec, exec, s[46:47]
	s_mov_b64 s[46:47], 0
	s_branch .LBB54_1200
.LBB54_1197:
	s_mov_b64 s[46:47], -1
                                        ; implicit-def: $vgpr0_vgpr1
	s_branch .LBB54_1206
.LBB54_1198:
	s_mov_b64 s[46:47], -1
                                        ; implicit-def: $vgpr0_vgpr1
	s_branch .LBB54_1203
.LBB54_1199:
	s_mov_b64 s[46:47], -1
                                        ; implicit-def: $vgpr0_vgpr1
.LBB54_1200:
	s_and_b64 vcc, exec, s[46:47]
	s_cbranch_vccz .LBB54_1202
; %bb.1201:
	global_load_ubyte v0, v[2:3], off
	s_mov_b32 s46, 0x7f800000
	s_brev_b32 s47, 1
	s_mov_b32 s48, 0x2f800000
	s_mov_b32 s49, 0xcf800000
	s_waitcnt vmcnt(0)
	v_lshlrev_b32_e32 v0, 24, v0
	v_and_b32_e32 v1, 0x7f000000, v0
	v_ffbh_u32_e32 v4, v1
	v_min_u32_e32 v4, 32, v4
	v_sub_u32_e64 v4, v4, 4 clamp
	v_lshlrev_b32_e32 v6, v4, v1
	v_lshlrev_b32_e32 v4, 23, v4
	v_lshrrev_b32_e32 v6, 4, v6
	v_add_u32_e32 v5, 0x1000000, v1
	v_sub_u32_e32 v4, v6, v4
	v_ashrrev_i32_e32 v5, 8, v5
	v_add_u32_e32 v4, 0x3c000000, v4
	v_and_or_b32 v4, v5, s46, v4
	v_cmp_ne_u32_e32 vcc, 0, v1
	v_cndmask_b32_e32 v1, 0, v4, vcc
	v_and_or_b32 v0, v0, s47, v1
	v_trunc_f32_e32 v0, v0
	v_mul_f32_e64 v1, |v0|, s48
	v_floor_f32_e32 v1, v1
	v_fma_f32 v4, v1, s49, |v0|
	v_cvt_u32_f32_e32 v4, v4
	v_cvt_u32_f32_e32 v1, v1
	v_ashrrev_i32_e32 v5, 31, v0
	v_xor_b32_e32 v0, v4, v5
	v_xor_b32_e32 v1, v1, v5
	v_sub_co_u32_e32 v0, vcc, v0, v5
	v_subb_co_u32_e32 v1, vcc, v1, v5, vcc
.LBB54_1202:
	s_mov_b64 s[46:47], 0
.LBB54_1203:
	s_andn2_b64 vcc, exec, s[46:47]
	s_cbranch_vccnz .LBB54_1205
; %bb.1204:
	global_load_ubyte v0, v[2:3], off
	s_movk_i32 s46, 0x7f00
	s_brev_b32 s47, 16
	s_brev_b32 s48, 1
	s_mov_b32 s49, 0x2f800000
	s_mov_b32 s50, 0xcf800000
	s_waitcnt vmcnt(0)
	v_lshlrev_b16_e32 v1, 8, v0
	v_lshlrev_b32_e32 v0, 25, v0
	v_lshrrev_b32_e32 v4, 4, v0
	v_and_or_b32 v5, v1, s46, 0.5
	v_or_b32_e32 v4, 0x70000000, v4
	v_add_f32_e32 v5, -0.5, v5
	v_mul_f32_e32 v4, 0x7800000, v4
	v_cmp_gt_u32_e32 vcc, s47, v0
	v_bfe_i32 v1, v1, 0, 16
	v_cndmask_b32_e32 v0, v4, v5, vcc
	v_and_or_b32 v0, v1, s48, v0
	v_trunc_f32_e32 v0, v0
	v_mul_f32_e64 v1, |v0|, s49
	v_floor_f32_e32 v1, v1
	v_fma_f32 v4, v1, s50, |v0|
	v_cvt_u32_f32_e32 v4, v4
	v_cvt_u32_f32_e32 v1, v1
	v_ashrrev_i32_e32 v5, 31, v0
	v_xor_b32_e32 v0, v4, v5
	v_xor_b32_e32 v1, v1, v5
	v_sub_co_u32_e32 v0, vcc, v0, v5
	v_subb_co_u32_e32 v1, vcc, v1, v5, vcc
.LBB54_1205:
	s_mov_b64 s[46:47], 0
	s_mov_b64 s[48:49], -1
.LBB54_1206:
	s_andn2_b64 vcc, exec, s[46:47]
	s_mov_b64 s[46:47], 0
	s_cbranch_vccnz .LBB54_1215
; %bb.1207:
	s_cmp_gt_i32 s52, 14
	s_cbranch_scc0 .LBB54_1210
; %bb.1208:
	s_cmp_eq_u32 s52, 15
	s_cbranch_scc0 .LBB54_1211
; %bb.1209:
	global_load_ushort v0, v[2:3], off
	s_mov_b32 s44, 0x2f800000
	s_mov_b32 s45, 0xcf800000
	s_mov_b64 s[48:49], -1
	s_waitcnt vmcnt(0)
	v_lshlrev_b32_e32 v0, 16, v0
	v_trunc_f32_e32 v0, v0
	v_mul_f32_e64 v1, |v0|, s44
	v_floor_f32_e32 v1, v1
	v_fma_f32 v4, v1, s45, |v0|
	v_cvt_u32_f32_e32 v4, v4
	v_cvt_u32_f32_e32 v1, v1
	v_ashrrev_i32_e32 v5, 31, v0
	s_mov_b64 s[44:45], 0
	v_xor_b32_e32 v0, v4, v5
	v_xor_b32_e32 v1, v1, v5
	v_sub_co_u32_e32 v0, vcc, v0, v5
	v_subb_co_u32_e32 v1, vcc, v1, v5, vcc
	s_branch .LBB54_1212
.LBB54_1210:
	s_mov_b64 s[50:51], -1
                                        ; implicit-def: $vgpr0_vgpr1
	s_branch .LBB54_1213
.LBB54_1211:
	s_mov_b64 s[44:45], -1
                                        ; implicit-def: $vgpr0_vgpr1
.LBB54_1212:
	s_mov_b64 s[50:51], 0
.LBB54_1213:
	s_and_b64 vcc, exec, s[50:51]
	s_cbranch_vccz .LBB54_1215
; %bb.1214:
	s_cmp_lg_u32 s52, 11
	s_cselect_b64 s[50:51], -1, 0
	s_andn2_b64 s[44:45], s[44:45], exec
	s_and_b64 s[50:51], s[50:51], exec
	s_mov_b64 s[46:47], -1
	s_or_b64 s[44:45], s[44:45], s[50:51]
.LBB54_1215:
	s_mov_b64 s[50:51], 0
.LBB54_1216:
	s_and_b64 s[54:55], s[48:49], exec
	s_and_b64 s[48:49], s[46:47], exec
	s_andn2_b64 s[46:47], s[0:1], exec
	s_and_b64 s[44:45], s[44:45], exec
	s_and_b64 s[52:53], s[50:51], exec
	s_or_b64 s[50:51], s[46:47], s[44:45]
.LBB54_1217:
	s_or_b64 exec, exec, s[38:39]
	s_and_b64 s[44:45], s[48:49], exec
	s_andn2_b64 s[0:1], s[0:1], exec
	s_and_b64 s[48:49], s[50:51], exec
	s_and_b64 s[46:47], s[54:55], exec
	;; [unrolled: 1-line block ×3, first 2 shown]
	s_or_b64 s[0:1], s[0:1], s[48:49]
.LBB54_1218:
	s_or_b64 exec, exec, s[36:37]
	s_andn2_b64 s[30:31], s[30:31], exec
	s_and_b64 s[36:37], s[42:43], exec
	s_or_b64 s[30:31], s[30:31], s[36:37]
	s_andn2_b64 s[28:29], s[28:29], exec
	s_and_b64 s[36:37], s[40:41], exec
	s_andn2_b64 s[26:27], s[26:27], exec
	s_and_b64 s[0:1], s[0:1], exec
	s_or_b64 s[28:29], s[28:29], s[36:37]
	s_and_b64 s[40:41], s[46:47], exec
	s_and_b64 s[38:39], s[38:39], exec
	;; [unrolled: 1-line block ×3, first 2 shown]
	s_or_b64 s[26:27], s[26:27], s[0:1]
.LBB54_1219:
	s_or_b64 exec, exec, s[34:35]
	s_andn2_b64 s[0:1], s[18:19], exec
	s_and_b64 s[18:19], s[30:31], exec
	s_or_b64 s[18:19], s[0:1], s[18:19]
	s_andn2_b64 s[0:1], s[20:21], exec
	s_and_b64 s[20:21], s[28:29], exec
	s_or_b64 s[20:21], s[0:1], s[20:21]
	s_andn2_b64 s[0:1], s[22:23], exec
	s_and_b64 s[22:23], s[26:27], exec
	s_and_b64 s[30:31], s[40:41], exec
	;; [unrolled: 1-line block ×4, first 2 shown]
	s_or_b64 s[22:23], s[0:1], s[22:23]
	s_or_b64 exec, exec, s[24:25]
	s_mov_b64 s[24:25], 0
	s_and_saveexec_b64 s[0:1], s[22:23]
	s_cbranch_execz .LBB54_385
.LBB54_1220:
	s_mov_b64 s[24:25], exec
	s_andn2_b64 s[28:29], s[28:29], exec
	s_trap 2
	s_or_b64 exec, exec, s[0:1]
	s_and_saveexec_b64 s[0:1], s[28:29]
	s_xor_b64 s[0:1], exec, s[0:1]
	s_cbranch_execnz .LBB54_386
.LBB54_1221:
	s_or_b64 exec, exec, s[0:1]
	s_and_saveexec_b64 s[0:1], s[34:35]
	s_cbranch_execz .LBB54_1267
.LBB54_1222:
	s_sext_i32_i16 s22, s58
	s_cmp_lt_i32 s22, 5
	s_cbranch_scc1 .LBB54_1227
; %bb.1223:
	s_cmp_lt_i32 s22, 8
	s_cbranch_scc1 .LBB54_1228
; %bb.1224:
	;; [unrolled: 3-line block ×3, first 2 shown]
	s_cmp_gt_i32 s22, 9
	s_cbranch_scc0 .LBB54_1230
; %bb.1226:
	global_load_dwordx2 v[0:1], v[2:3], off
	s_movk_i32 s22, 0xffe0
	s_waitcnt vmcnt(0)
	v_trunc_f64_e32 v[0:1], v[0:1]
	v_ldexp_f64 v[4:5], v[0:1], s22
	s_mov_b32 s22, 0
	s_mov_b32 s23, 0xc1f00000
	v_floor_f64_e32 v[4:5], v[4:5]
	v_fma_f64 v[6:7], v[4:5], s[22:23], v[0:1]
	v_cvt_i32_f64_e32 v1, v[4:5]
	s_mov_b64 s[22:23], 0
	v_cvt_u32_f64_e32 v0, v[6:7]
	s_branch .LBB54_1231
.LBB54_1227:
                                        ; implicit-def: $vgpr0_vgpr1
	s_branch .LBB54_1248
.LBB54_1228:
                                        ; implicit-def: $vgpr0_vgpr1
	s_branch .LBB54_1237
.LBB54_1229:
	s_mov_b64 s[22:23], -1
                                        ; implicit-def: $vgpr0_vgpr1
	s_branch .LBB54_1234
.LBB54_1230:
	s_mov_b64 s[22:23], -1
                                        ; implicit-def: $vgpr0_vgpr1
.LBB54_1231:
	s_andn2_b64 vcc, exec, s[22:23]
	s_cbranch_vccnz .LBB54_1233
; %bb.1232:
	global_load_dword v0, v[2:3], off
	s_mov_b32 s22, 0x2f800000
	s_mov_b32 s23, 0xcf800000
	s_waitcnt vmcnt(0)
	v_trunc_f32_e32 v0, v0
	v_mul_f32_e64 v1, |v0|, s22
	v_floor_f32_e32 v1, v1
	v_cvt_u32_f32_e32 v4, v1
	v_fma_f32 v1, v1, s23, |v0|
	v_cvt_u32_f32_e32 v1, v1
	v_ashrrev_i32_e32 v5, 31, v0
	v_xor_b32_e32 v4, v4, v5
	v_xor_b32_e32 v0, v1, v5
	v_sub_co_u32_e32 v0, vcc, v0, v5
	v_subb_co_u32_e32 v1, vcc, v4, v5, vcc
.LBB54_1233:
	s_mov_b64 s[22:23], 0
.LBB54_1234:
	s_andn2_b64 vcc, exec, s[22:23]
	s_cbranch_vccnz .LBB54_1236
; %bb.1235:
	global_load_dword v0, v[2:3], off
	s_waitcnt vmcnt(0)
	v_cvt_f32_f16_e32 v0, v0
	v_cvt_i32_f32_e32 v0, v0
	v_ashrrev_i32_e32 v1, 31, v0
.LBB54_1236:
	s_cbranch_execnz .LBB54_1247
.LBB54_1237:
	s_sext_i32_i16 s22, s58
	s_cmp_lt_i32 s22, 6
	s_cbranch_scc1 .LBB54_1240
; %bb.1238:
	s_cmp_gt_i32 s22, 6
	s_cbranch_scc0 .LBB54_1241
; %bb.1239:
	global_load_dwordx2 v[0:1], v[2:3], off
	s_movk_i32 s22, 0xffe0
	s_waitcnt vmcnt(0)
	v_trunc_f64_e32 v[0:1], v[0:1]
	v_ldexp_f64 v[4:5], v[0:1], s22
	s_mov_b32 s22, 0
	s_mov_b32 s23, 0xc1f00000
	v_floor_f64_e32 v[4:5], v[4:5]
	v_fma_f64 v[6:7], v[4:5], s[22:23], v[0:1]
	v_cvt_i32_f64_e32 v1, v[4:5]
	s_mov_b64 s[22:23], 0
	v_cvt_u32_f64_e32 v0, v[6:7]
	s_branch .LBB54_1242
.LBB54_1240:
	s_mov_b64 s[22:23], -1
                                        ; implicit-def: $vgpr0_vgpr1
	s_branch .LBB54_1245
.LBB54_1241:
	s_mov_b64 s[22:23], -1
                                        ; implicit-def: $vgpr0_vgpr1
.LBB54_1242:
	s_andn2_b64 vcc, exec, s[22:23]
	s_cbranch_vccnz .LBB54_1244
; %bb.1243:
	global_load_dword v0, v[2:3], off
	s_mov_b32 s22, 0x2f800000
	s_mov_b32 s23, 0xcf800000
	s_waitcnt vmcnt(0)
	v_trunc_f32_e32 v0, v0
	v_mul_f32_e64 v1, |v0|, s22
	v_floor_f32_e32 v1, v1
	v_cvt_u32_f32_e32 v4, v1
	v_fma_f32 v1, v1, s23, |v0|
	v_cvt_u32_f32_e32 v1, v1
	v_ashrrev_i32_e32 v5, 31, v0
	v_xor_b32_e32 v4, v4, v5
	v_xor_b32_e32 v0, v1, v5
	v_sub_co_u32_e32 v0, vcc, v0, v5
	v_subb_co_u32_e32 v1, vcc, v4, v5, vcc
.LBB54_1244:
	s_mov_b64 s[22:23], 0
.LBB54_1245:
	s_andn2_b64 vcc, exec, s[22:23]
	s_cbranch_vccnz .LBB54_1247
; %bb.1246:
	global_load_ushort v0, v[2:3], off
	s_waitcnt vmcnt(0)
	v_cvt_f32_f16_e32 v0, v0
	v_cvt_i32_f32_e32 v0, v0
	v_ashrrev_i32_e32 v1, 31, v0
.LBB54_1247:
	s_cbranch_execnz .LBB54_1266
.LBB54_1248:
	s_sext_i32_i16 s22, s58
	s_cmp_lt_i32 s22, 2
	s_cbranch_scc1 .LBB54_1252
; %bb.1249:
	s_cmp_lt_i32 s22, 3
	s_cbranch_scc1 .LBB54_1253
; %bb.1250:
	s_cmp_gt_i32 s22, 3
	s_cbranch_scc0 .LBB54_1254
; %bb.1251:
	global_load_dwordx2 v[0:1], v[2:3], off
	s_mov_b64 s[22:23], 0
	s_branch .LBB54_1255
.LBB54_1252:
                                        ; implicit-def: $vgpr0_vgpr1
	s_branch .LBB54_1261
.LBB54_1253:
	s_mov_b64 s[22:23], -1
                                        ; implicit-def: $vgpr0_vgpr1
	s_branch .LBB54_1258
.LBB54_1254:
	s_mov_b64 s[22:23], -1
                                        ; implicit-def: $vgpr0_vgpr1
.LBB54_1255:
	s_andn2_b64 vcc, exec, s[22:23]
	s_cbranch_vccnz .LBB54_1257
; %bb.1256:
	global_load_dword v0, v[2:3], off
	s_waitcnt vmcnt(0)
	v_ashrrev_i32_e32 v1, 31, v0
.LBB54_1257:
	s_mov_b64 s[22:23], 0
.LBB54_1258:
	s_andn2_b64 vcc, exec, s[22:23]
	s_cbranch_vccnz .LBB54_1260
; %bb.1259:
	global_load_ushort v0, v[2:3], off
	s_waitcnt vmcnt(0)
	v_bfe_i32 v0, v0, 0, 16
	v_ashrrev_i32_e32 v1, 31, v0
.LBB54_1260:
	s_cbranch_execnz .LBB54_1266
.LBB54_1261:
	s_sext_i32_i16 s22, s58
	s_cmp_gt_i32 s22, 0
	s_cbranch_scc0 .LBB54_1263
; %bb.1262:
	global_load_sbyte v0, v[2:3], off
	s_mov_b64 s[22:23], 0
	s_waitcnt vmcnt(0)
	v_bfe_i32 v0, v0, 0, 16
	v_ashrrev_i32_e32 v1, 31, v0
	s_branch .LBB54_1264
.LBB54_1263:
	s_mov_b64 s[22:23], -1
                                        ; implicit-def: $vgpr0_vgpr1
.LBB54_1264:
	s_andn2_b64 vcc, exec, s[22:23]
	s_cbranch_vccnz .LBB54_1266
; %bb.1265:
	global_load_ubyte v0, v[2:3], off
	s_mov_b32 s22, 0
	s_waitcnt vmcnt(1)
	v_mov_b32_e32 v1, s22
	s_waitcnt vmcnt(0)
	v_and_b32_e32 v0, 0xffff, v0
.LBB54_1266:
	s_or_b64 s[30:31], s[30:31], exec
.LBB54_1267:
	s_or_b64 exec, exec, s[0:1]
	s_mov_b64 s[28:29], 0
	s_mov_b64 s[34:35], 0
	;; [unrolled: 1-line block ×3, first 2 shown]
                                        ; implicit-def: $sgpr36
                                        ; implicit-def: $vgpr2_vgpr3
                                        ; implicit-def: $vgpr4_vgpr5
	s_and_saveexec_b64 s[0:1], s[30:31]
	s_cbranch_execz .LBB54_1275
; %bb.1268:
	v_mul_lo_u32 v2, v18, s14
	v_mov_b32_e32 v3, s3
	s_and_b32 s36, s56, 0xff
	s_cmp_lt_i32 s36, 11
	s_waitcnt vmcnt(0)
	v_ashrrev_i32_e32 v4, 31, v2
	v_add_co_u32_e32 v2, vcc, s2, v2
	v_addc_co_u32_e32 v3, vcc, v3, v4, vcc
	s_cbranch_scc1 .LBB54_1278
; %bb.1269:
	s_and_b32 s34, 0xffff, s36
	s_cmp_gt_i32 s34, 25
	s_cbranch_scc0 .LBB54_1279
; %bb.1270:
	s_cmp_gt_i32 s34, 28
	s_cbranch_scc0 .LBB54_1280
; %bb.1271:
	;; [unrolled: 3-line block ×4, first 2 shown]
	s_cmp_eq_u32 s34, 46
	s_mov_b64 s[30:31], 0
	s_cbranch_scc0 .LBB54_1283
; %bb.1274:
	global_load_dword v4, v[2:3], off
	s_mov_b32 s22, 0x2f800000
	s_mov_b32 s23, 0xcf800000
	s_mov_b64 s[26:27], -1
	s_waitcnt vmcnt(0)
	v_lshlrev_b32_e32 v4, 16, v4
	v_trunc_f32_e32 v4, v4
	v_mul_f32_e64 v5, |v4|, s22
	v_floor_f32_e32 v5, v5
	v_fma_f32 v6, v5, s23, |v4|
	v_cvt_u32_f32_e32 v6, v6
	v_cvt_u32_f32_e32 v5, v5
	v_ashrrev_i32_e32 v7, 31, v4
	s_mov_b64 s[22:23], 0
	v_xor_b32_e32 v4, v6, v7
	v_xor_b32_e32 v5, v5, v7
	v_sub_co_u32_e32 v4, vcc, v4, v7
	v_subb_co_u32_e32 v5, vcc, v5, v7, vcc
	s_branch .LBB54_1285
.LBB54_1275:
	s_or_b64 exec, exec, s[0:1]
	s_and_saveexec_b64 s[0:1], s[20:21]
	s_cbranch_execnz .LBB54_1344
.LBB54_1276:
	s_or_b64 exec, exec, s[0:1]
	s_and_saveexec_b64 s[0:1], s[28:29]
	s_xor_b64 s[0:1], exec, s[0:1]
	s_cbranch_execz .LBB54_1345
.LBB54_1277:
	global_load_ubyte v4, v[2:3], off
	s_mov_b32 s20, 0
	s_waitcnt vmcnt(1)
	v_mov_b32_e32 v5, s20
	s_or_b64 s[26:27], s[26:27], exec
	s_waitcnt vmcnt(0)
	v_cmp_ne_u16_e32 vcc, 0, v4
	v_cndmask_b32_e64 v4, 0, 1, vcc
	s_or_b64 exec, exec, s[0:1]
	s_and_saveexec_b64 s[0:1], s[34:35]
	s_cbranch_execz .LBB54_1391
	s_branch .LBB54_1346
.LBB54_1278:
	s_mov_b64 s[30:31], -1
                                        ; implicit-def: $vgpr4_vgpr5
	s_mov_b64 s[22:23], s[20:21]
	s_branch .LBB54_1343
.LBB54_1279:
	s_mov_b64 s[22:23], s[20:21]
                                        ; implicit-def: $vgpr4_vgpr5
	s_cbranch_execnz .LBB54_1314
	s_branch .LBB54_1342
.LBB54_1280:
	s_mov_b64 s[30:31], -1
	s_mov_b64 s[22:23], s[20:21]
                                        ; implicit-def: $vgpr4_vgpr5
	s_branch .LBB54_1295
.LBB54_1281:
	s_mov_b64 s[30:31], -1
	s_mov_b64 s[22:23], s[20:21]
                                        ; implicit-def: $vgpr4_vgpr5
	s_branch .LBB54_1290
.LBB54_1282:
	s_mov_b64 s[30:31], -1
	s_mov_b64 s[22:23], s[20:21]
	s_branch .LBB54_1284
.LBB54_1283:
	s_mov_b64 s[22:23], -1
.LBB54_1284:
                                        ; implicit-def: $vgpr4_vgpr5
.LBB54_1285:
	s_and_b64 vcc, exec, s[30:31]
	s_cbranch_vccz .LBB54_1289
; %bb.1286:
	s_cmp_eq_u32 s34, 44
	s_cbranch_scc0 .LBB54_1288
; %bb.1287:
	global_load_ubyte v4, v[2:3], off
	s_mov_b32 s22, 0x2f800000
	s_mov_b32 s23, 0xcf800000
	s_mov_b64 s[26:27], -1
	s_waitcnt vmcnt(0)
	v_lshlrev_b32_e32 v5, 23, v4
	v_trunc_f32_e32 v5, v5
	v_mul_f32_e64 v6, |v5|, s22
	v_floor_f32_e32 v6, v6
	v_fma_f32 v7, v6, s23, |v5|
	v_cvt_u32_f32_e32 v7, v7
	v_cvt_u32_f32_e32 v6, v6
	v_ashrrev_i32_e32 v5, 31, v5
	s_mov_b64 s[22:23], 0
	v_xor_b32_e32 v7, v7, v5
	v_xor_b32_e32 v6, v6, v5
	v_sub_co_u32_e32 v7, vcc, v7, v5
	v_subb_co_u32_e32 v5, vcc, v6, v5, vcc
	v_cmp_ne_u32_e32 vcc, 0, v4
	v_cndmask_b32_e32 v5, 0, v5, vcc
	v_cndmask_b32_e32 v4, 0, v7, vcc
	s_branch .LBB54_1289
.LBB54_1288:
	s_mov_b64 s[22:23], -1
                                        ; implicit-def: $vgpr4_vgpr5
.LBB54_1289:
	s_mov_b64 s[30:31], 0
.LBB54_1290:
	s_and_b64 vcc, exec, s[30:31]
	s_cbranch_vccz .LBB54_1294
; %bb.1291:
	s_cmp_eq_u32 s34, 29
	s_cbranch_scc0 .LBB54_1293
; %bb.1292:
	global_load_dwordx2 v[4:5], v[2:3], off
	s_mov_b64 s[22:23], 0
	s_mov_b64 s[26:27], -1
	s_branch .LBB54_1294
.LBB54_1293:
	s_mov_b64 s[22:23], -1
                                        ; implicit-def: $vgpr4_vgpr5
.LBB54_1294:
	s_mov_b64 s[30:31], 0
.LBB54_1295:
	s_and_b64 vcc, exec, s[30:31]
	s_cbranch_vccz .LBB54_1313
; %bb.1296:
	s_cmp_lt_i32 s34, 27
	s_cbranch_scc1 .LBB54_1299
; %bb.1297:
	s_cmp_gt_i32 s34, 27
	s_cbranch_scc0 .LBB54_1300
; %bb.1298:
	global_load_dword v4, v[2:3], off
	s_waitcnt vmcnt(1)
	v_mov_b32_e32 v5, 0
	s_mov_b64 s[26:27], 0
	s_branch .LBB54_1301
.LBB54_1299:
	s_mov_b64 s[26:27], -1
                                        ; implicit-def: $vgpr4_vgpr5
	s_branch .LBB54_1304
.LBB54_1300:
	s_mov_b64 s[26:27], -1
                                        ; implicit-def: $vgpr4_vgpr5
.LBB54_1301:
	s_andn2_b64 vcc, exec, s[26:27]
	s_cbranch_vccnz .LBB54_1303
; %bb.1302:
	global_load_ushort v4, v[2:3], off
	s_mov_b32 s26, 0
	s_waitcnt vmcnt(1)
	v_mov_b32_e32 v5, s26
	s_waitcnt vmcnt(0)
	v_and_b32_e32 v4, 0xffff, v4
.LBB54_1303:
	s_mov_b64 s[26:27], 0
.LBB54_1304:
	s_andn2_b64 vcc, exec, s[26:27]
	s_cbranch_vccnz .LBB54_1312
; %bb.1305:
	global_load_ubyte v6, v[2:3], off
	s_movk_i32 s26, 0x7f
	s_mov_b64 s[30:31], 0
	s_waitcnt vmcnt(0)
	v_cmp_lt_i16_e32 vcc, s26, v6
	s_and_saveexec_b64 s[26:27], vcc
	s_xor_b64 s[26:27], exec, s[26:27]
; %bb.1306:
	s_movk_i32 s30, 0x80
	v_cmp_ne_u16_e32 vcc, s30, v6
	s_and_b64 s[30:31], vcc, exec
; %bb.1307:
	s_andn2_saveexec_b64 s[26:27], s[26:27]
; %bb.1308:
	v_cmp_ne_u16_e32 vcc, 0, v6
	s_andn2_b64 s[30:31], s[30:31], exec
	s_and_b64 s[38:39], vcc, exec
	s_or_b64 s[30:31], s[30:31], s[38:39]
; %bb.1309:
	s_or_b64 exec, exec, s[26:27]
	v_mov_b32_e32 v4, 0
	v_mov_b32_e32 v5, 0
	s_and_saveexec_b64 s[26:27], s[30:31]
	s_cbranch_execz .LBB54_1311
; %bb.1310:
	v_and_b32_e32 v5, 0xffff, v6
	v_lshlrev_b32_e32 v4, 24, v6
	v_and_b32_e32 v6, 7, v5
	v_ffbh_u32_e32 v8, v6
	v_min_u32_e32 v8, 32, v8
	v_subrev_u32_e32 v9, 28, v8
	v_bfe_u32 v7, v5, 3, 4
	v_lshlrev_b32_e32 v5, v9, v5
	v_sub_u32_e32 v8, 29, v8
	v_and_b32_e32 v5, 7, v5
	v_cmp_eq_u32_e32 vcc, 0, v7
	v_cndmask_b32_e32 v7, v7, v8, vcc
	v_cndmask_b32_e32 v5, v6, v5, vcc
	v_mov_b32_e32 v6, 0x3b800000
	v_lshlrev_b32_e32 v5, 20, v5
	v_and_b32_e32 v4, 0x80000000, v4
	v_lshl_add_u32 v6, v7, 23, v6
	v_or3_b32 v4, v4, v6, v5
	v_trunc_f32_e32 v4, v4
	s_mov_b32 s30, 0x2f800000
	v_mul_f32_e64 v5, |v4|, s30
	v_floor_f32_e32 v5, v5
	s_mov_b32 s30, 0xcf800000
	v_fma_f32 v6, v5, s30, |v4|
	v_cvt_u32_f32_e32 v6, v6
	v_cvt_u32_f32_e32 v5, v5
	v_ashrrev_i32_e32 v7, 31, v4
	v_xor_b32_e32 v4, v6, v7
	v_xor_b32_e32 v5, v5, v7
	v_sub_co_u32_e32 v4, vcc, v4, v7
	v_subb_co_u32_e32 v5, vcc, v5, v7, vcc
.LBB54_1311:
	s_or_b64 exec, exec, s[26:27]
.LBB54_1312:
	s_mov_b64 s[26:27], -1
.LBB54_1313:
	s_branch .LBB54_1342
.LBB54_1314:
	s_cmp_gt_i32 s34, 22
	s_cbranch_scc0 .LBB54_1324
; %bb.1315:
	s_cmp_lt_i32 s34, 24
	s_cbranch_scc1 .LBB54_1325
; %bb.1316:
	s_cmp_gt_i32 s34, 24
	s_cbranch_scc0 .LBB54_1326
; %bb.1317:
	global_load_ubyte v6, v[2:3], off
	s_movk_i32 s26, 0x7f
	s_waitcnt vmcnt(0)
	v_cmp_lt_i16_e32 vcc, s26, v6
	s_and_saveexec_b64 s[26:27], vcc
	s_xor_b64 s[26:27], exec, s[26:27]
; %bb.1318:
	s_movk_i32 s28, 0x80
	v_cmp_ne_u16_e32 vcc, s28, v6
	s_and_b64 s[28:29], vcc, exec
; %bb.1319:
	s_andn2_saveexec_b64 s[26:27], s[26:27]
; %bb.1320:
	v_cmp_ne_u16_e32 vcc, 0, v6
	s_andn2_b64 s[28:29], s[28:29], exec
	s_and_b64 s[30:31], vcc, exec
	s_or_b64 s[28:29], s[28:29], s[30:31]
; %bb.1321:
	s_or_b64 exec, exec, s[26:27]
	v_mov_b32_e32 v4, 0
	v_mov_b32_e32 v5, 0
	s_and_saveexec_b64 s[26:27], s[28:29]
	s_cbranch_execz .LBB54_1323
; %bb.1322:
	v_and_b32_e32 v5, 0xffff, v6
	v_lshlrev_b32_e32 v4, 24, v6
	v_and_b32_e32 v6, 3, v5
	v_ffbh_u32_e32 v8, v6
	v_min_u32_e32 v8, 32, v8
	v_subrev_u32_e32 v9, 29, v8
	v_bfe_u32 v7, v5, 2, 5
	v_lshlrev_b32_e32 v5, v9, v5
	v_sub_u32_e32 v8, 30, v8
	v_and_b32_e32 v5, 3, v5
	v_cmp_eq_u32_e32 vcc, 0, v7
	v_cndmask_b32_e32 v7, v7, v8, vcc
	v_cndmask_b32_e32 v5, v6, v5, vcc
	v_mov_b32_e32 v6, 0x37800000
	v_lshlrev_b32_e32 v5, 21, v5
	v_and_b32_e32 v4, 0x80000000, v4
	v_lshl_add_u32 v6, v7, 23, v6
	v_or3_b32 v4, v4, v6, v5
	v_trunc_f32_e32 v4, v4
	s_mov_b32 s28, 0x2f800000
	v_mul_f32_e64 v5, |v4|, s28
	v_floor_f32_e32 v5, v5
	s_mov_b32 s28, 0xcf800000
	v_fma_f32 v6, v5, s28, |v4|
	v_cvt_u32_f32_e32 v6, v6
	v_cvt_u32_f32_e32 v5, v5
	v_ashrrev_i32_e32 v7, 31, v4
	v_xor_b32_e32 v4, v6, v7
	v_xor_b32_e32 v5, v5, v7
	v_sub_co_u32_e32 v4, vcc, v4, v7
	v_subb_co_u32_e32 v5, vcc, v5, v7, vcc
.LBB54_1323:
	s_or_b64 exec, exec, s[26:27]
	s_mov_b64 s[26:27], 0
	s_branch .LBB54_1327
.LBB54_1324:
	s_mov_b64 s[28:29], -1
                                        ; implicit-def: $vgpr4_vgpr5
	s_branch .LBB54_1333
.LBB54_1325:
	s_mov_b64 s[26:27], -1
                                        ; implicit-def: $vgpr4_vgpr5
	s_branch .LBB54_1330
.LBB54_1326:
	s_mov_b64 s[26:27], -1
                                        ; implicit-def: $vgpr4_vgpr5
.LBB54_1327:
	s_and_b64 vcc, exec, s[26:27]
	s_cbranch_vccz .LBB54_1329
; %bb.1328:
	global_load_ubyte v4, v[2:3], off
	s_mov_b32 s26, 0x7f800000
	s_brev_b32 s27, 1
	s_mov_b32 s28, 0x2f800000
	s_mov_b32 s29, 0xcf800000
	s_waitcnt vmcnt(0)
	v_lshlrev_b32_e32 v4, 24, v4
	v_and_b32_e32 v5, 0x7f000000, v4
	v_ffbh_u32_e32 v6, v5
	v_min_u32_e32 v6, 32, v6
	v_sub_u32_e64 v6, v6, 4 clamp
	v_lshlrev_b32_e32 v8, v6, v5
	v_lshlrev_b32_e32 v6, 23, v6
	v_lshrrev_b32_e32 v8, 4, v8
	v_add_u32_e32 v7, 0x1000000, v5
	v_sub_u32_e32 v6, v8, v6
	v_ashrrev_i32_e32 v7, 8, v7
	v_add_u32_e32 v6, 0x3c000000, v6
	v_and_or_b32 v6, v7, s26, v6
	v_cmp_ne_u32_e32 vcc, 0, v5
	v_cndmask_b32_e32 v5, 0, v6, vcc
	v_and_or_b32 v4, v4, s27, v5
	v_trunc_f32_e32 v4, v4
	v_mul_f32_e64 v5, |v4|, s28
	v_floor_f32_e32 v5, v5
	v_fma_f32 v6, v5, s29, |v4|
	v_cvt_u32_f32_e32 v6, v6
	v_cvt_u32_f32_e32 v5, v5
	v_ashrrev_i32_e32 v7, 31, v4
	v_xor_b32_e32 v4, v6, v7
	v_xor_b32_e32 v5, v5, v7
	v_sub_co_u32_e32 v4, vcc, v4, v7
	v_subb_co_u32_e32 v5, vcc, v5, v7, vcc
.LBB54_1329:
	s_mov_b64 s[26:27], 0
.LBB54_1330:
	s_andn2_b64 vcc, exec, s[26:27]
	s_cbranch_vccnz .LBB54_1332
; %bb.1331:
	global_load_ubyte v4, v[2:3], off
	s_movk_i32 s26, 0x7f00
	s_brev_b32 s27, 16
	s_brev_b32 s28, 1
	s_mov_b32 s29, 0x2f800000
	s_mov_b32 s30, 0xcf800000
	s_waitcnt vmcnt(0)
	v_lshlrev_b16_e32 v5, 8, v4
	v_lshlrev_b32_e32 v4, 25, v4
	v_lshrrev_b32_e32 v6, 4, v4
	v_and_or_b32 v7, v5, s26, 0.5
	v_or_b32_e32 v6, 0x70000000, v6
	v_add_f32_e32 v7, -0.5, v7
	v_mul_f32_e32 v6, 0x7800000, v6
	v_cmp_gt_u32_e32 vcc, s27, v4
	v_bfe_i32 v5, v5, 0, 16
	v_cndmask_b32_e32 v4, v6, v7, vcc
	v_and_or_b32 v4, v5, s28, v4
	v_trunc_f32_e32 v4, v4
	v_mul_f32_e64 v5, |v4|, s29
	v_floor_f32_e32 v5, v5
	v_fma_f32 v6, v5, s30, |v4|
	v_cvt_u32_f32_e32 v6, v6
	v_cvt_u32_f32_e32 v5, v5
	v_ashrrev_i32_e32 v7, 31, v4
	v_xor_b32_e32 v4, v6, v7
	v_xor_b32_e32 v5, v5, v7
	v_sub_co_u32_e32 v4, vcc, v4, v7
	v_subb_co_u32_e32 v5, vcc, v5, v7, vcc
.LBB54_1332:
	s_mov_b64 s[28:29], 0
	s_mov_b64 s[26:27], -1
.LBB54_1333:
	s_andn2_b64 vcc, exec, s[28:29]
	s_mov_b64 s[28:29], 0
	s_cbranch_vccnz .LBB54_1342
; %bb.1334:
	s_cmp_gt_i32 s34, 14
	s_cbranch_scc0 .LBB54_1337
; %bb.1335:
	s_cmp_eq_u32 s34, 15
	s_cbranch_scc0 .LBB54_1338
; %bb.1336:
	global_load_ushort v4, v[2:3], off
	s_mov_b32 s22, 0x2f800000
	s_mov_b32 s23, 0xcf800000
	s_mov_b64 s[26:27], -1
	s_waitcnt vmcnt(0)
	v_lshlrev_b32_e32 v4, 16, v4
	v_trunc_f32_e32 v4, v4
	v_mul_f32_e64 v5, |v4|, s22
	v_floor_f32_e32 v5, v5
	v_fma_f32 v6, v5, s23, |v4|
	v_cvt_u32_f32_e32 v6, v6
	v_cvt_u32_f32_e32 v5, v5
	v_ashrrev_i32_e32 v7, 31, v4
	s_mov_b64 s[22:23], 0
	v_xor_b32_e32 v4, v6, v7
	v_xor_b32_e32 v5, v5, v7
	v_sub_co_u32_e32 v4, vcc, v4, v7
	v_subb_co_u32_e32 v5, vcc, v5, v7, vcc
	s_branch .LBB54_1339
.LBB54_1337:
	s_mov_b64 s[30:31], -1
                                        ; implicit-def: $vgpr4_vgpr5
	s_branch .LBB54_1340
.LBB54_1338:
	s_mov_b64 s[22:23], -1
                                        ; implicit-def: $vgpr4_vgpr5
.LBB54_1339:
	s_mov_b64 s[30:31], 0
.LBB54_1340:
	s_and_b64 vcc, exec, s[30:31]
	s_cbranch_vccz .LBB54_1342
; %bb.1341:
	s_cmp_lg_u32 s34, 11
	s_cselect_b64 s[30:31], -1, 0
	s_andn2_b64 s[22:23], s[22:23], exec
	s_and_b64 s[30:31], s[30:31], exec
	s_mov_b64 s[28:29], -1
	s_or_b64 s[22:23], s[22:23], s[30:31]
.LBB54_1342:
	s_mov_b64 s[30:31], 0
.LBB54_1343:
	s_andn2_b64 s[20:21], s[20:21], exec
	s_and_b64 s[22:23], s[22:23], exec
	s_and_b64 s[26:27], s[26:27], exec
	;; [unrolled: 1-line block ×4, first 2 shown]
	s_or_b64 s[20:21], s[20:21], s[22:23]
	s_or_b64 exec, exec, s[0:1]
	s_and_saveexec_b64 s[0:1], s[20:21]
	s_cbranch_execz .LBB54_1276
.LBB54_1344:
	s_or_b64 s[24:25], s[24:25], exec
	s_andn2_b64 s[28:29], s[28:29], exec
	s_trap 2
	s_or_b64 exec, exec, s[0:1]
	s_and_saveexec_b64 s[0:1], s[28:29]
	s_xor_b64 s[0:1], exec, s[0:1]
	s_cbranch_execnz .LBB54_1277
.LBB54_1345:
	s_or_b64 exec, exec, s[0:1]
	s_and_saveexec_b64 s[0:1], s[34:35]
	s_cbranch_execz .LBB54_1391
.LBB54_1346:
	s_sext_i32_i16 s20, s36
	s_cmp_lt_i32 s20, 5
	s_cbranch_scc1 .LBB54_1351
; %bb.1347:
	s_cmp_lt_i32 s20, 8
	s_cbranch_scc1 .LBB54_1352
; %bb.1348:
	;; [unrolled: 3-line block ×3, first 2 shown]
	s_cmp_gt_i32 s20, 9
	s_cbranch_scc0 .LBB54_1354
; %bb.1350:
	global_load_dwordx2 v[4:5], v[2:3], off
	s_movk_i32 s20, 0xffe0
	s_waitcnt vmcnt(0)
	v_trunc_f64_e32 v[4:5], v[4:5]
	v_ldexp_f64 v[6:7], v[4:5], s20
	s_mov_b32 s20, 0
	s_mov_b32 s21, 0xc1f00000
	v_floor_f64_e32 v[6:7], v[6:7]
	v_fma_f64 v[8:9], v[6:7], s[20:21], v[4:5]
	v_cvt_i32_f64_e32 v5, v[6:7]
	s_mov_b64 s[20:21], 0
	v_cvt_u32_f64_e32 v4, v[8:9]
	s_branch .LBB54_1355
.LBB54_1351:
                                        ; implicit-def: $vgpr4_vgpr5
	s_branch .LBB54_1372
.LBB54_1352:
                                        ; implicit-def: $vgpr4_vgpr5
	s_branch .LBB54_1361
.LBB54_1353:
	s_mov_b64 s[20:21], -1
                                        ; implicit-def: $vgpr4_vgpr5
	s_branch .LBB54_1358
.LBB54_1354:
	s_mov_b64 s[20:21], -1
                                        ; implicit-def: $vgpr4_vgpr5
.LBB54_1355:
	s_andn2_b64 vcc, exec, s[20:21]
	s_cbranch_vccnz .LBB54_1357
; %bb.1356:
	global_load_dword v4, v[2:3], off
	s_mov_b32 s20, 0x2f800000
	s_mov_b32 s21, 0xcf800000
	s_waitcnt vmcnt(0)
	v_trunc_f32_e32 v4, v4
	v_mul_f32_e64 v5, |v4|, s20
	v_floor_f32_e32 v5, v5
	v_cvt_u32_f32_e32 v6, v5
	v_fma_f32 v5, v5, s21, |v4|
	v_cvt_u32_f32_e32 v5, v5
	v_ashrrev_i32_e32 v7, 31, v4
	v_xor_b32_e32 v6, v6, v7
	v_xor_b32_e32 v4, v5, v7
	v_sub_co_u32_e32 v4, vcc, v4, v7
	v_subb_co_u32_e32 v5, vcc, v6, v7, vcc
.LBB54_1357:
	s_mov_b64 s[20:21], 0
.LBB54_1358:
	s_andn2_b64 vcc, exec, s[20:21]
	s_cbranch_vccnz .LBB54_1360
; %bb.1359:
	global_load_dword v4, v[2:3], off
	s_waitcnt vmcnt(0)
	v_cvt_f32_f16_e32 v4, v4
	v_cvt_i32_f32_e32 v4, v4
	v_ashrrev_i32_e32 v5, 31, v4
.LBB54_1360:
	s_cbranch_execnz .LBB54_1371
.LBB54_1361:
	s_sext_i32_i16 s20, s36
	s_cmp_lt_i32 s20, 6
	s_cbranch_scc1 .LBB54_1364
; %bb.1362:
	s_cmp_gt_i32 s20, 6
	s_cbranch_scc0 .LBB54_1365
; %bb.1363:
	global_load_dwordx2 v[4:5], v[2:3], off
	s_movk_i32 s20, 0xffe0
	s_waitcnt vmcnt(0)
	v_trunc_f64_e32 v[4:5], v[4:5]
	v_ldexp_f64 v[6:7], v[4:5], s20
	s_mov_b32 s20, 0
	s_mov_b32 s21, 0xc1f00000
	v_floor_f64_e32 v[6:7], v[6:7]
	v_fma_f64 v[8:9], v[6:7], s[20:21], v[4:5]
	v_cvt_i32_f64_e32 v5, v[6:7]
	s_mov_b64 s[20:21], 0
	v_cvt_u32_f64_e32 v4, v[8:9]
	s_branch .LBB54_1366
.LBB54_1364:
	s_mov_b64 s[20:21], -1
                                        ; implicit-def: $vgpr4_vgpr5
	s_branch .LBB54_1369
.LBB54_1365:
	s_mov_b64 s[20:21], -1
                                        ; implicit-def: $vgpr4_vgpr5
.LBB54_1366:
	s_andn2_b64 vcc, exec, s[20:21]
	s_cbranch_vccnz .LBB54_1368
; %bb.1367:
	global_load_dword v4, v[2:3], off
	s_mov_b32 s20, 0x2f800000
	s_mov_b32 s21, 0xcf800000
	s_waitcnt vmcnt(0)
	v_trunc_f32_e32 v4, v4
	v_mul_f32_e64 v5, |v4|, s20
	v_floor_f32_e32 v5, v5
	v_cvt_u32_f32_e32 v6, v5
	v_fma_f32 v5, v5, s21, |v4|
	v_cvt_u32_f32_e32 v5, v5
	v_ashrrev_i32_e32 v7, 31, v4
	v_xor_b32_e32 v6, v6, v7
	v_xor_b32_e32 v4, v5, v7
	v_sub_co_u32_e32 v4, vcc, v4, v7
	v_subb_co_u32_e32 v5, vcc, v6, v7, vcc
.LBB54_1368:
	s_mov_b64 s[20:21], 0
.LBB54_1369:
	s_andn2_b64 vcc, exec, s[20:21]
	s_cbranch_vccnz .LBB54_1371
; %bb.1370:
	global_load_ushort v4, v[2:3], off
	s_waitcnt vmcnt(0)
	v_cvt_f32_f16_e32 v4, v4
	v_cvt_i32_f32_e32 v4, v4
	v_ashrrev_i32_e32 v5, 31, v4
.LBB54_1371:
	s_cbranch_execnz .LBB54_1390
.LBB54_1372:
	s_sext_i32_i16 s20, s36
	s_cmp_lt_i32 s20, 2
	s_cbranch_scc1 .LBB54_1376
; %bb.1373:
	s_cmp_lt_i32 s20, 3
	s_cbranch_scc1 .LBB54_1377
; %bb.1374:
	s_cmp_gt_i32 s20, 3
	s_cbranch_scc0 .LBB54_1378
; %bb.1375:
	global_load_dwordx2 v[4:5], v[2:3], off
	s_mov_b64 s[20:21], 0
	s_branch .LBB54_1379
.LBB54_1376:
                                        ; implicit-def: $vgpr4_vgpr5
	s_branch .LBB54_1385
.LBB54_1377:
	s_mov_b64 s[20:21], -1
                                        ; implicit-def: $vgpr4_vgpr5
	s_branch .LBB54_1382
.LBB54_1378:
	s_mov_b64 s[20:21], -1
                                        ; implicit-def: $vgpr4_vgpr5
.LBB54_1379:
	s_andn2_b64 vcc, exec, s[20:21]
	s_cbranch_vccnz .LBB54_1381
; %bb.1380:
	global_load_dword v4, v[2:3], off
	s_waitcnt vmcnt(0)
	v_ashrrev_i32_e32 v5, 31, v4
.LBB54_1381:
	s_mov_b64 s[20:21], 0
.LBB54_1382:
	s_andn2_b64 vcc, exec, s[20:21]
	s_cbranch_vccnz .LBB54_1384
; %bb.1383:
	global_load_ushort v4, v[2:3], off
	s_waitcnt vmcnt(0)
	v_bfe_i32 v4, v4, 0, 16
	v_ashrrev_i32_e32 v5, 31, v4
.LBB54_1384:
	s_cbranch_execnz .LBB54_1390
.LBB54_1385:
	s_sext_i32_i16 s20, s36
	s_cmp_gt_i32 s20, 0
	s_cbranch_scc0 .LBB54_1387
; %bb.1386:
	global_load_sbyte v4, v[2:3], off
	s_mov_b64 s[20:21], 0
	s_waitcnt vmcnt(0)
	v_bfe_i32 v4, v4, 0, 16
	v_ashrrev_i32_e32 v5, 31, v4
	s_branch .LBB54_1388
.LBB54_1387:
	s_mov_b64 s[20:21], -1
                                        ; implicit-def: $vgpr4_vgpr5
.LBB54_1388:
	s_andn2_b64 vcc, exec, s[20:21]
	s_cbranch_vccnz .LBB54_1390
; %bb.1389:
	global_load_ubyte v2, v[2:3], off
	s_mov_b32 s20, 0
	s_waitcnt vmcnt(1)
	v_mov_b32_e32 v5, s20
	s_waitcnt vmcnt(0)
	v_and_b32_e32 v4, 0xffff, v2
.LBB54_1390:
	s_or_b64 s[26:27], s[26:27], exec
.LBB54_1391:
	s_or_b64 exec, exec, s[0:1]
	s_mov_b64 s[30:31], 0
	s_mov_b64 s[28:29], 0
                                        ; implicit-def: $sgpr20_sgpr21
                                        ; implicit-def: $sgpr34
                                        ; implicit-def: $vgpr2_vgpr3
	s_and_saveexec_b64 s[22:23], s[26:27]
	s_cbranch_execz .LBB54_1466
; %bb.1392:
	v_mul_lo_u32 v2, v18, s12
	s_waitcnt vmcnt(0)
	v_cmp_ne_u64_e32 vcc, v[0:1], v[4:5]
	v_mov_b32_e32 v0, s9
	s_xor_b64 s[20:21], s[16:17], vcc
	v_ashrrev_i32_e32 v1, 31, v2
	s_and_b32 s34, s33, 0xff
	v_add_co_u32_e32 v2, vcc, s8, v2
	s_cmp_lt_i32 s34, 11
	v_addc_co_u32_e32 v3, vcc, v0, v1, vcc
	s_cbranch_scc1 .LBB54_1469
; %bb.1393:
	s_and_b32 s35, 0xffff, s34
	s_mov_b64 s[26:27], -1
	s_cmp_gt_i32 s35, 25
	s_mov_b64 s[0:1], s[18:19]
	s_cbranch_scc0 .LBB54_1426
; %bb.1394:
	s_mov_b64 s[16:17], -1
	s_cmp_gt_i32 s35, 28
	s_mov_b64 s[0:1], s[18:19]
	s_cbranch_scc0 .LBB54_1410
; %bb.1395:
	s_cmp_gt_i32 s35, 43
	s_mov_b64 s[0:1], s[18:19]
	s_cbranch_scc0 .LBB54_1406
; %bb.1396:
	;; [unrolled: 4-line block ×3, first 2 shown]
	s_cmp_eq_u32 s35, 46
	s_mov_b64 s[0:1], -1
	s_cbranch_scc0 .LBB54_1399
; %bb.1398:
	v_cndmask_b32_e64 v0, 0, 1.0, s[20:21]
	v_bfe_u32 v1, v0, 16, 1
	s_movk_i32 s0, 0x7fff
	v_add3_u32 v0, v0, v1, s0
	v_lshrrev_b32_e32 v0, 16, v0
	global_store_dword v[2:3], v0, off
	s_mov_b64 s[0:1], 0
.LBB54_1399:
	s_mov_b64 s[16:17], 0
.LBB54_1400:
	s_and_b64 vcc, exec, s[16:17]
	s_cbranch_vccz .LBB54_1405
; %bb.1401:
	s_cmp_eq_u32 s35, 44
	s_mov_b64 s[0:1], -1
	s_cbranch_scc0 .LBB54_1405
; %bb.1402:
	v_cndmask_b32_e64 v1, 0, 1.0, s[20:21]
	v_lshrrev_b32_e32 v0, 23, v1
	s_movk_i32 s0, 0xff
	v_cmp_ne_u32_e32 vcc, s0, v0
	v_mov_b32_e32 v4, 0xff
	s_and_saveexec_b64 s[16:17], vcc
; %bb.1403:
	s_mov_b32 s0, 0x3fffff
	v_and_b32_e32 v4, 0x400000, v1
	v_and_or_b32 v1, v1, s0, v0
	v_cmp_ne_u32_e32 vcc, 0, v4
	v_cmp_ne_u32_e64 s[0:1], 0, v1
	s_and_b64 s[0:1], vcc, s[0:1]
	v_cndmask_b32_e64 v1, 0, 1, s[0:1]
	v_add_u32_e32 v4, v0, v1
; %bb.1404:
	s_or_b64 exec, exec, s[16:17]
	s_mov_b64 s[0:1], 0
	global_store_byte v[2:3], v4, off
.LBB54_1405:
	s_mov_b64 s[16:17], 0
.LBB54_1406:
	s_and_b64 vcc, exec, s[16:17]
	s_cbranch_vccz .LBB54_1409
; %bb.1407:
	s_cmp_eq_u32 s35, 29
	s_mov_b64 s[0:1], -1
	s_cbranch_scc0 .LBB54_1409
; %bb.1408:
	s_mov_b32 s0, 0
	v_cndmask_b32_e64 v0, 0, 1, s[20:21]
	v_mov_b32_e32 v1, s0
	global_store_dwordx2 v[2:3], v[0:1], off
	s_mov_b64 s[0:1], 0
.LBB54_1409:
	s_mov_b64 s[16:17], 0
.LBB54_1410:
	s_and_b64 vcc, exec, s[16:17]
	s_cbranch_vccz .LBB54_1425
; %bb.1411:
	s_cmp_lt_i32 s35, 27
	s_mov_b64 s[16:17], -1
	s_cbranch_scc1 .LBB54_1417
; %bb.1412:
	s_cmp_gt_i32 s35, 27
	v_cndmask_b32_e64 v0, 0, 1, s[20:21]
	s_cbranch_scc0 .LBB54_1414
; %bb.1413:
	s_mov_b64 s[16:17], 0
	global_store_dword v[2:3], v0, off
.LBB54_1414:
	s_andn2_b64 vcc, exec, s[16:17]
	s_cbranch_vccnz .LBB54_1416
; %bb.1415:
	global_store_short v[2:3], v0, off
.LBB54_1416:
	s_mov_b64 s[16:17], 0
.LBB54_1417:
	s_andn2_b64 vcc, exec, s[16:17]
	s_cbranch_vccnz .LBB54_1425
; %bb.1418:
	v_cndmask_b32_e64 v1, 0, 1.0, s[20:21]
	s_mov_b32 s16, 0x43800000
	v_cmp_gt_u32_e32 vcc, s16, v1
	v_mov_b32_e32 v4, 0x80
	s_and_saveexec_b64 s[16:17], vcc
	s_cbranch_execz .LBB54_1424
; %bb.1419:
	s_mov_b32 s26, 0x3bffffff
	v_cmp_lt_u32_e32 vcc, s26, v1
	s_mov_b64 s[26:27], 0
                                        ; implicit-def: $vgpr0
	s_and_saveexec_b64 s[28:29], vcc
	s_xor_b64 s[28:29], exec, s[28:29]
	s_cbranch_execz .LBB54_1526
; %bb.1420:
	v_bfe_u32 v0, v1, 20, 1
	s_mov_b32 s30, 0x487ffff
	v_add3_u32 v0, v1, v0, s30
	s_mov_b64 s[26:27], exec
	v_lshrrev_b32_e32 v0, 20, v0
                                        ; implicit-def: $vgpr1
	s_andn2_saveexec_b64 s[28:29], s[28:29]
	s_cbranch_execnz .LBB54_1527
.LBB54_1421:
	s_or_b64 exec, exec, s[28:29]
	v_mov_b32_e32 v4, 0
	s_and_saveexec_b64 s[28:29], s[26:27]
.LBB54_1422:
	v_mov_b32_e32 v4, v0
.LBB54_1423:
	s_or_b64 exec, exec, s[28:29]
.LBB54_1424:
	s_or_b64 exec, exec, s[16:17]
	global_store_byte v[2:3], v4, off
.LBB54_1425:
	s_mov_b64 s[26:27], 0
.LBB54_1426:
	s_mov_b64 s[16:17], 0
	s_and_b64 vcc, exec, s[26:27]
	s_cbranch_vccz .LBB54_1470
; %bb.1427:
	s_cmp_gt_i32 s35, 22
	s_mov_b64 s[26:27], -1
	s_cbranch_scc0 .LBB54_1459
; %bb.1428:
	s_cmp_lt_i32 s35, 24
	s_cbranch_scc1 .LBB54_1448
; %bb.1429:
	s_cmp_gt_i32 s35, 24
	s_cbranch_scc0 .LBB54_1437
; %bb.1430:
	v_cndmask_b32_e64 v1, 0, 1.0, s[20:21]
	s_mov_b32 s26, 0x47800000
	v_cmp_gt_u32_e32 vcc, s26, v1
	v_mov_b32_e32 v4, 0x80
	s_and_saveexec_b64 s[26:27], vcc
	s_cbranch_execz .LBB54_1436
; %bb.1431:
	s_mov_b32 s28, 0x37ffffff
	v_cmp_lt_u32_e32 vcc, s28, v1
	s_mov_b64 s[28:29], 0
                                        ; implicit-def: $vgpr0
	s_and_saveexec_b64 s[30:31], vcc
	s_xor_b64 s[30:31], exec, s[30:31]
	s_cbranch_execz .LBB54_1646
; %bb.1432:
	v_bfe_u32 v0, v1, 21, 1
	s_mov_b32 s36, 0x88fffff
	v_add3_u32 v0, v1, v0, s36
	s_mov_b64 s[28:29], exec
	v_lshrrev_b32_e32 v0, 21, v0
                                        ; implicit-def: $vgpr1
	s_andn2_saveexec_b64 s[30:31], s[30:31]
	s_cbranch_execnz .LBB54_1647
.LBB54_1433:
	s_or_b64 exec, exec, s[30:31]
	v_mov_b32_e32 v4, 0
	s_and_saveexec_b64 s[30:31], s[28:29]
.LBB54_1434:
	v_mov_b32_e32 v4, v0
.LBB54_1435:
	s_or_b64 exec, exec, s[30:31]
.LBB54_1436:
	s_or_b64 exec, exec, s[26:27]
	s_mov_b64 s[26:27], 0
	global_store_byte v[2:3], v4, off
.LBB54_1437:
	s_and_b64 vcc, exec, s[26:27]
	s_cbranch_vccz .LBB54_1447
; %bb.1438:
	v_cndmask_b32_e64 v0, 0, 1.0, s[20:21]
	s_mov_b32 s26, 0x43f00000
	v_cmp_gt_u32_e32 vcc, s26, v0
                                        ; implicit-def: $vgpr1
	s_and_saveexec_b64 s[26:27], vcc
	s_xor_b64 s[26:27], exec, s[26:27]
	s_cbranch_execz .LBB54_1444
; %bb.1439:
	s_mov_b32 s28, 0x3c7fffff
	v_cmp_lt_u32_e32 vcc, s28, v0
                                        ; implicit-def: $vgpr1
	s_and_saveexec_b64 s[28:29], vcc
	s_xor_b64 s[28:29], exec, s[28:29]
; %bb.1440:
	v_bfe_u32 v1, v0, 20, 1
	s_mov_b32 s30, 0x407ffff
	v_add3_u32 v0, v0, v1, s30
	v_lshrrev_b32_e32 v1, 20, v0
	v_and_b32_e32 v0, 0xff00000, v0
	s_mov_b32 s30, 0x7f00000
	v_mov_b32_e32 v4, 0x7e
	v_cmp_ne_u32_e32 vcc, s30, v0
	v_cndmask_b32_e32 v1, v4, v1, vcc
                                        ; implicit-def: $vgpr0
; %bb.1441:
	s_andn2_saveexec_b64 s[28:29], s[28:29]
; %bb.1442:
	v_add_f32_e32 v1, 0x46800000, v0
; %bb.1443:
	s_or_b64 exec, exec, s[28:29]
                                        ; implicit-def: $vgpr0
.LBB54_1444:
	s_andn2_saveexec_b64 s[26:27], s[26:27]
; %bb.1445:
	s_mov_b32 s28, 0x7f800000
	v_mov_b32_e32 v1, 0x7e
	v_mov_b32_e32 v4, 0x7f
	v_cmp_lt_u32_e32 vcc, s28, v0
	v_cndmask_b32_e32 v1, v1, v4, vcc
; %bb.1446:
	s_or_b64 exec, exec, s[26:27]
	global_store_byte v[2:3], v1, off
.LBB54_1447:
	s_mov_b64 s[26:27], 0
.LBB54_1448:
	s_andn2_b64 vcc, exec, s[26:27]
	s_cbranch_vccnz .LBB54_1458
; %bb.1449:
	v_cndmask_b32_e64 v0, 0, 1.0, s[20:21]
	s_mov_b32 s26, 0x47800000
	v_cmp_gt_u32_e32 vcc, s26, v0
                                        ; implicit-def: $vgpr1
	s_and_saveexec_b64 s[26:27], vcc
	s_xor_b64 s[26:27], exec, s[26:27]
	s_cbranch_execz .LBB54_1455
; %bb.1450:
	s_mov_b32 s28, 0x387fffff
	v_cmp_lt_u32_e32 vcc, s28, v0
                                        ; implicit-def: $vgpr1
	s_and_saveexec_b64 s[28:29], vcc
	s_xor_b64 s[28:29], exec, s[28:29]
; %bb.1451:
	v_bfe_u32 v1, v0, 21, 1
	s_mov_b32 s30, 0x80fffff
	v_add3_u32 v0, v0, v1, s30
	v_lshrrev_b32_e32 v1, 21, v0
                                        ; implicit-def: $vgpr0
; %bb.1452:
	s_andn2_saveexec_b64 s[28:29], s[28:29]
; %bb.1453:
	v_add_f32_e32 v1, 0x43000000, v0
; %bb.1454:
	s_or_b64 exec, exec, s[28:29]
                                        ; implicit-def: $vgpr0
.LBB54_1455:
	s_andn2_saveexec_b64 s[26:27], s[26:27]
; %bb.1456:
	s_mov_b32 s28, 0x7f800000
	v_mov_b32_e32 v1, 0x7c
	v_mov_b32_e32 v4, 0x7f
	v_cmp_lt_u32_e32 vcc, s28, v0
	v_cndmask_b32_e32 v1, v1, v4, vcc
; %bb.1457:
	s_or_b64 exec, exec, s[26:27]
	global_store_byte v[2:3], v1, off
.LBB54_1458:
	s_mov_b64 s[26:27], 0
.LBB54_1459:
	s_andn2_b64 vcc, exec, s[26:27]
	s_mov_b64 s[26:27], 0
	s_cbranch_vccnz .LBB54_1471
; %bb.1460:
	s_cmp_gt_i32 s35, 14
	s_mov_b64 s[28:29], -1
	s_cbranch_scc0 .LBB54_1464
; %bb.1461:
	s_cmp_eq_u32 s35, 15
	s_mov_b64 s[0:1], -1
	s_cbranch_scc0 .LBB54_1463
; %bb.1462:
	v_cndmask_b32_e64 v0, 0, 1.0, s[20:21]
	v_bfe_u32 v1, v0, 16, 1
	s_movk_i32 s0, 0x7fff
	v_add3_u32 v0, v0, v1, s0
	global_store_short_d16_hi v[2:3], v0, off
	s_mov_b64 s[0:1], 0
.LBB54_1463:
	s_mov_b64 s[28:29], 0
.LBB54_1464:
	s_and_b64 vcc, exec, s[28:29]
	s_cbranch_vccz .LBB54_1471
; %bb.1465:
	s_cmp_lg_u32 s35, 11
	s_cselect_b64 s[28:29], -1, 0
	s_andn2_b64 s[0:1], s[0:1], exec
	s_and_b64 s[28:29], s[28:29], exec
	s_mov_b64 s[26:27], -1
	s_or_b64 s[0:1], s[0:1], s[28:29]
	s_branch .LBB54_1471
.LBB54_1466:
	s_or_b64 exec, exec, s[22:23]
	s_and_saveexec_b64 s[0:1], s[18:19]
	s_cbranch_execnz .LBB54_1472
.LBB54_1467:
	s_or_b64 exec, exec, s[0:1]
	s_and_saveexec_b64 s[0:1], s[30:31]
	s_xor_b64 s[0:1], exec, s[0:1]
	s_cbranch_execz .LBB54_1473
.LBB54_1468:
	s_waitcnt vmcnt(0)
	v_cndmask_b32_e64 v0, 0, 1, s[20:21]
	global_store_byte v[2:3], v0, off
	s_or_b64 exec, exec, s[0:1]
	s_and_saveexec_b64 s[0:1], s[28:29]
	s_xor_b64 s[0:1], exec, s[0:1]
	s_cbranch_execz .LBB54_1511
	s_branch .LBB54_1474
.LBB54_1469:
	s_mov_b64 s[26:27], 0
	s_mov_b64 s[16:17], -1
	s_mov_b64 s[0:1], s[18:19]
	s_branch .LBB54_1471
.LBB54_1470:
	s_mov_b64 s[26:27], 0
.LBB54_1471:
	s_and_b64 s[28:29], s[16:17], exec
	s_andn2_b64 s[16:17], s[18:19], exec
	s_and_b64 s[0:1], s[0:1], exec
	s_and_b64 s[30:31], s[26:27], exec
	s_or_b64 s[18:19], s[16:17], s[0:1]
	s_or_b64 exec, exec, s[22:23]
	s_and_saveexec_b64 s[0:1], s[18:19]
	s_cbranch_execz .LBB54_1467
.LBB54_1472:
	s_or_b64 s[24:25], s[24:25], exec
	s_andn2_b64 s[30:31], s[30:31], exec
	s_trap 2
	s_or_b64 exec, exec, s[0:1]
	s_and_saveexec_b64 s[0:1], s[30:31]
	s_xor_b64 s[0:1], exec, s[0:1]
	s_cbranch_execnz .LBB54_1468
.LBB54_1473:
	s_or_b64 exec, exec, s[0:1]
	s_and_saveexec_b64 s[0:1], s[28:29]
	s_xor_b64 s[0:1], exec, s[0:1]
	s_cbranch_execz .LBB54_1511
.LBB54_1474:
	s_sext_i32_i16 s18, s34
	s_cmp_lt_i32 s18, 5
	s_mov_b64 s[16:17], -1
	s_cbranch_scc1 .LBB54_1495
; %bb.1475:
	s_cmp_lt_i32 s18, 8
	s_cbranch_scc1 .LBB54_1485
; %bb.1476:
	s_cmp_lt_i32 s18, 9
	s_cbranch_scc1 .LBB54_1482
; %bb.1477:
	s_cmp_gt_i32 s18, 9
	s_cbranch_scc0 .LBB54_1479
; %bb.1478:
	s_waitcnt vmcnt(0)
	v_cndmask_b32_e64 v0, 0, 1, s[20:21]
	v_cvt_f64_u32_e32 v[4:5], v0
	v_mov_b32_e32 v6, 0
	v_mov_b32_e32 v7, v6
	s_mov_b64 s[16:17], 0
	global_store_dwordx4 v[2:3], v[4:7], off
.LBB54_1479:
	s_andn2_b64 vcc, exec, s[16:17]
	s_cbranch_vccnz .LBB54_1481
; %bb.1480:
	s_waitcnt vmcnt(0)
	v_cndmask_b32_e64 v0, 0, 1.0, s[20:21]
	v_mov_b32_e32 v1, 0
	global_store_dwordx2 v[2:3], v[0:1], off
.LBB54_1481:
	s_mov_b64 s[16:17], 0
.LBB54_1482:
	s_andn2_b64 vcc, exec, s[16:17]
	s_cbranch_vccnz .LBB54_1484
; %bb.1483:
	s_waitcnt vmcnt(0)
	v_cndmask_b32_e64 v0, 0, 1.0, s[20:21]
	v_cvt_f16_f32_e32 v0, v0
	global_store_dword v[2:3], v0, off
.LBB54_1484:
	s_mov_b64 s[16:17], 0
.LBB54_1485:
	s_andn2_b64 vcc, exec, s[16:17]
	s_cbranch_vccnz .LBB54_1494
; %bb.1486:
	s_sext_i32_i16 s18, s34
	s_cmp_lt_i32 s18, 6
	s_mov_b64 s[16:17], -1
	s_cbranch_scc1 .LBB54_1492
; %bb.1487:
	s_cmp_gt_i32 s18, 6
	s_cbranch_scc0 .LBB54_1489
; %bb.1488:
	s_waitcnt vmcnt(0)
	v_cndmask_b32_e64 v0, 0, 1, s[20:21]
	v_cvt_f64_u32_e32 v[0:1], v0
	s_mov_b64 s[16:17], 0
	global_store_dwordx2 v[2:3], v[0:1], off
.LBB54_1489:
	s_andn2_b64 vcc, exec, s[16:17]
	s_cbranch_vccnz .LBB54_1491
; %bb.1490:
	s_waitcnt vmcnt(0)
	v_cndmask_b32_e64 v0, 0, 1.0, s[20:21]
	global_store_dword v[2:3], v0, off
.LBB54_1491:
	s_mov_b64 s[16:17], 0
.LBB54_1492:
	s_andn2_b64 vcc, exec, s[16:17]
	s_cbranch_vccnz .LBB54_1494
; %bb.1493:
	s_waitcnt vmcnt(0)
	v_cndmask_b32_e64 v0, 0, 1.0, s[20:21]
	v_cvt_f16_f32_e32 v0, v0
	global_store_short v[2:3], v0, off
.LBB54_1494:
	s_mov_b64 s[16:17], 0
.LBB54_1495:
	s_andn2_b64 vcc, exec, s[16:17]
	s_cbranch_vccnz .LBB54_1511
; %bb.1496:
	s_sext_i32_i16 s18, s34
	s_cmp_lt_i32 s18, 2
	s_mov_b64 s[16:17], -1
	s_cbranch_scc1 .LBB54_1506
; %bb.1497:
	s_cmp_lt_i32 s18, 3
	s_cbranch_scc1 .LBB54_1503
; %bb.1498:
	s_cmp_gt_i32 s18, 3
	s_cbranch_scc0 .LBB54_1500
; %bb.1499:
	s_mov_b32 s16, 0
	s_waitcnt vmcnt(0)
	v_cndmask_b32_e64 v0, 0, 1, s[20:21]
	v_mov_b32_e32 v1, s16
	s_mov_b64 s[16:17], 0
	global_store_dwordx2 v[2:3], v[0:1], off
.LBB54_1500:
	s_andn2_b64 vcc, exec, s[16:17]
	s_cbranch_vccnz .LBB54_1502
; %bb.1501:
	s_waitcnt vmcnt(0)
	v_cndmask_b32_e64 v0, 0, 1, s[20:21]
	global_store_dword v[2:3], v0, off
.LBB54_1502:
	s_mov_b64 s[16:17], 0
.LBB54_1503:
	s_andn2_b64 vcc, exec, s[16:17]
	s_cbranch_vccnz .LBB54_1505
; %bb.1504:
	s_waitcnt vmcnt(0)
	v_cndmask_b32_e64 v0, 0, 1, s[20:21]
	global_store_short v[2:3], v0, off
.LBB54_1505:
	s_mov_b64 s[16:17], 0
.LBB54_1506:
	s_andn2_b64 vcc, exec, s[16:17]
	s_cbranch_vccnz .LBB54_1511
; %bb.1507:
	s_sext_i32_i16 s18, s34
	s_mov_b64 s[16:17], -1
	s_cmp_gt_i32 s18, 0
	s_waitcnt vmcnt(0)
	v_cndmask_b32_e64 v0, 0, 1, s[20:21]
	s_cbranch_scc0 .LBB54_1509
; %bb.1508:
	s_mov_b64 s[16:17], 0
	global_store_byte v[2:3], v0, off
.LBB54_1509:
	s_andn2_b64 vcc, exec, s[16:17]
	s_cbranch_vccnz .LBB54_1511
; %bb.1510:
	global_store_byte v[2:3], v0, off
.LBB54_1511:
	s_or_b64 exec, exec, s[0:1]
	s_and_b64 s[16:17], s[24:25], exec
                                        ; implicit-def: $vgpr18
.LBB54_1512:
	s_or_saveexec_b64 s[6:7], s[6:7]
	s_mov_b64 s[0:1], 0
                                        ; implicit-def: $sgpr20_sgpr21
                                        ; implicit-def: $sgpr24
                                        ; implicit-def: $vgpr0_vgpr1
	s_xor_b64 exec, exec, s[6:7]
	s_cbranch_execz .LBB54_2949
; %bb.1513:
	v_mul_lo_u32 v6, s13, v18
	s_waitcnt vmcnt(0)
	v_mov_b32_e32 v0, s11
	s_and_b32 s24, s57, 0xff
	s_cmp_lt_i32 s24, 11
	v_ashrrev_i32_e32 v1, 31, v6
	v_add_co_u32_e32 v2, vcc, s10, v6
	v_addc_co_u32_e32 v3, vcc, v0, v1, vcc
	s_cbranch_scc1 .LBB54_1520
; %bb.1514:
	s_and_b32 s22, 0xffff, s24
	s_cmp_gt_i32 s22, 25
	s_cbranch_scc0 .LBB54_1522
; %bb.1515:
	s_cmp_gt_i32 s22, 28
	s_cbranch_scc0 .LBB54_1523
; %bb.1516:
	;; [unrolled: 3-line block ×4, first 2 shown]
	s_cmp_eq_u32 s22, 46
	s_mov_b64 s[18:19], 0
	s_cbranch_scc0 .LBB54_1528
; %bb.1519:
	global_load_dword v0, v[2:3], off
	s_mov_b32 s0, 0x2f800000
	s_mov_b32 s1, 0xcf800000
	s_mov_b64 s[20:21], -1
	s_waitcnt vmcnt(0)
	v_lshlrev_b32_e32 v0, 16, v0
	v_trunc_f32_e32 v0, v0
	v_mul_f32_e64 v1, |v0|, s0
	v_floor_f32_e32 v1, v1
	v_fma_f32 v4, v1, s1, |v0|
	v_cvt_u32_f32_e32 v4, v4
	v_cvt_u32_f32_e32 v1, v1
	v_ashrrev_i32_e32 v5, 31, v0
	s_mov_b64 s[0:1], 0
	v_xor_b32_e32 v0, v4, v5
	v_xor_b32_e32 v1, v1, v5
	v_sub_co_u32_e32 v0, vcc, v0, v5
	v_subb_co_u32_e32 v1, vcc, v1, v5, vcc
	s_branch .LBB54_1529
.LBB54_1520:
	s_mov_b64 s[20:21], 0
                                        ; implicit-def: $vgpr0_vgpr1
	s_mov_b64 s[18:19], s[16:17]
	s_cbranch_execnz .LBB54_1587
.LBB54_1521:
	s_andn2_b64 vcc, exec, s[20:21]
	s_cbranch_vccz .LBB54_1632
	s_branch .LBB54_2947
.LBB54_1522:
	s_mov_b64 s[20:21], 0
                                        ; implicit-def: $vgpr0_vgpr1
	s_cbranch_execnz .LBB54_1556
	s_branch .LBB54_1583
.LBB54_1523:
	s_mov_b64 s[20:21], 0
                                        ; implicit-def: $vgpr0_vgpr1
	s_cbranch_execz .LBB54_1555
	s_branch .LBB54_1538
.LBB54_1524:
	s_mov_b64 s[20:21], 0
                                        ; implicit-def: $vgpr0_vgpr1
	s_cbranch_execnz .LBB54_1534
	s_branch .LBB54_1537
.LBB54_1525:
	s_mov_b64 s[18:19], -1
	s_mov_b64 s[20:21], 0
                                        ; implicit-def: $vgpr0_vgpr1
	s_branch .LBB54_1529
.LBB54_1526:
	s_andn2_saveexec_b64 s[28:29], s[28:29]
	s_cbranch_execz .LBB54_1421
.LBB54_1527:
	v_add_f32_e32 v0, 0x46000000, v1
	v_and_b32_e32 v0, 0xff, v0
	v_cmp_ne_u32_e32 vcc, 0, v0
	s_andn2_b64 s[26:27], s[26:27], exec
	s_and_b64 s[30:31], vcc, exec
	s_or_b64 s[26:27], s[26:27], s[30:31]
	s_or_b64 exec, exec, s[28:29]
	v_mov_b32_e32 v4, 0
	s_and_saveexec_b64 s[28:29], s[26:27]
	s_cbranch_execnz .LBB54_1422
	s_branch .LBB54_1423
.LBB54_1528:
	s_mov_b64 s[0:1], -1
                                        ; implicit-def: $vgpr0_vgpr1
	s_mov_b64 s[20:21], 0
.LBB54_1529:
	s_and_b64 vcc, exec, s[18:19]
	s_cbranch_vccz .LBB54_1532
; %bb.1530:
	s_cmp_eq_u32 s22, 44
	s_cbranch_scc0 .LBB54_1533
; %bb.1531:
	global_load_ubyte v0, v[2:3], off
	s_mov_b32 s0, 0x2f800000
	s_mov_b32 s1, 0xcf800000
	s_mov_b64 s[20:21], -1
	s_waitcnt vmcnt(0)
	v_lshlrev_b32_e32 v1, 23, v0
	v_trunc_f32_e32 v1, v1
	v_mul_f32_e64 v4, |v1|, s0
	v_floor_f32_e32 v4, v4
	v_fma_f32 v5, v4, s1, |v1|
	v_cvt_u32_f32_e32 v5, v5
	v_cvt_u32_f32_e32 v4, v4
	v_ashrrev_i32_e32 v1, 31, v1
	s_mov_b64 s[0:1], 0
	v_xor_b32_e32 v5, v5, v1
	v_xor_b32_e32 v4, v4, v1
	v_sub_co_u32_e32 v5, vcc, v5, v1
	v_subb_co_u32_e32 v1, vcc, v4, v1, vcc
	v_cmp_ne_u32_e32 vcc, 0, v0
	v_cndmask_b32_e32 v1, 0, v1, vcc
	v_cndmask_b32_e32 v0, 0, v5, vcc
.LBB54_1532:
	s_branch .LBB54_1537
.LBB54_1533:
	s_mov_b64 s[0:1], -1
                                        ; implicit-def: $vgpr0_vgpr1
	s_branch .LBB54_1537
.LBB54_1534:
	s_cmp_eq_u32 s22, 29
	s_cbranch_scc0 .LBB54_1536
; %bb.1535:
	global_load_dwordx2 v[0:1], v[2:3], off
	s_mov_b64 s[0:1], 0
	s_mov_b64 s[20:21], -1
	s_branch .LBB54_1537
.LBB54_1536:
	s_mov_b64 s[0:1], -1
                                        ; implicit-def: $vgpr0_vgpr1
.LBB54_1537:
	s_branch .LBB54_1555
.LBB54_1538:
	s_cmp_lt_i32 s22, 27
	s_cbranch_scc1 .LBB54_1541
; %bb.1539:
	s_cmp_gt_i32 s22, 27
	s_cbranch_scc0 .LBB54_1542
; %bb.1540:
	global_load_dword v0, v[2:3], off
	s_waitcnt vmcnt(1)
	v_mov_b32_e32 v1, 0
	s_mov_b64 s[18:19], 0
	s_branch .LBB54_1543
.LBB54_1541:
	s_mov_b64 s[18:19], -1
                                        ; implicit-def: $vgpr0_vgpr1
	s_branch .LBB54_1546
.LBB54_1542:
	s_mov_b64 s[18:19], -1
                                        ; implicit-def: $vgpr0_vgpr1
.LBB54_1543:
	s_andn2_b64 vcc, exec, s[18:19]
	s_cbranch_vccnz .LBB54_1545
; %bb.1544:
	global_load_ushort v0, v[2:3], off
	s_mov_b32 s18, 0
	s_waitcnt vmcnt(1)
	v_mov_b32_e32 v1, s18
	s_waitcnt vmcnt(0)
	v_and_b32_e32 v0, 0xffff, v0
.LBB54_1545:
	s_mov_b64 s[18:19], 0
.LBB54_1546:
	s_andn2_b64 vcc, exec, s[18:19]
	s_cbranch_vccnz .LBB54_1554
; %bb.1547:
	global_load_ubyte v4, v[2:3], off
	s_movk_i32 s18, 0x7f
	s_mov_b64 s[20:21], 0
	s_waitcnt vmcnt(0)
	v_cmp_lt_i16_e32 vcc, s18, v4
	s_and_saveexec_b64 s[18:19], vcc
	s_xor_b64 s[18:19], exec, s[18:19]
; %bb.1548:
	s_movk_i32 s20, 0x80
	v_cmp_ne_u16_e32 vcc, s20, v4
	s_and_b64 s[20:21], vcc, exec
; %bb.1549:
	s_andn2_saveexec_b64 s[18:19], s[18:19]
; %bb.1550:
	v_cmp_ne_u16_e32 vcc, 0, v4
	s_andn2_b64 s[20:21], s[20:21], exec
	s_and_b64 s[26:27], vcc, exec
	s_or_b64 s[20:21], s[20:21], s[26:27]
; %bb.1551:
	s_or_b64 exec, exec, s[18:19]
	v_mov_b32_e32 v0, 0
	v_mov_b32_e32 v1, 0
	s_and_saveexec_b64 s[18:19], s[20:21]
	s_cbranch_execz .LBB54_1553
; %bb.1552:
	v_and_b32_e32 v1, 0xffff, v4
	v_lshlrev_b32_e32 v0, 24, v4
	v_and_b32_e32 v4, 7, v1
	v_ffbh_u32_e32 v7, v4
	v_min_u32_e32 v7, 32, v7
	v_subrev_u32_e32 v8, 28, v7
	v_bfe_u32 v5, v1, 3, 4
	v_lshlrev_b32_e32 v1, v8, v1
	v_sub_u32_e32 v7, 29, v7
	v_and_b32_e32 v1, 7, v1
	v_cmp_eq_u32_e32 vcc, 0, v5
	v_cndmask_b32_e32 v5, v5, v7, vcc
	v_cndmask_b32_e32 v1, v4, v1, vcc
	v_mov_b32_e32 v4, 0x3b800000
	v_lshlrev_b32_e32 v1, 20, v1
	v_and_b32_e32 v0, 0x80000000, v0
	v_lshl_add_u32 v4, v5, 23, v4
	v_or3_b32 v0, v0, v4, v1
	v_trunc_f32_e32 v0, v0
	s_mov_b32 s20, 0x2f800000
	v_mul_f32_e64 v1, |v0|, s20
	v_floor_f32_e32 v1, v1
	s_mov_b32 s20, 0xcf800000
	v_fma_f32 v4, v1, s20, |v0|
	v_cvt_u32_f32_e32 v4, v4
	v_cvt_u32_f32_e32 v1, v1
	v_ashrrev_i32_e32 v5, 31, v0
	v_xor_b32_e32 v0, v4, v5
	v_xor_b32_e32 v1, v1, v5
	v_sub_co_u32_e32 v0, vcc, v0, v5
	v_subb_co_u32_e32 v1, vcc, v1, v5, vcc
.LBB54_1553:
	s_or_b64 exec, exec, s[18:19]
.LBB54_1554:
	s_mov_b64 s[20:21], -1
.LBB54_1555:
	s_branch .LBB54_1583
.LBB54_1556:
	s_cmp_gt_i32 s22, 22
	s_cbranch_scc0 .LBB54_1566
; %bb.1557:
	s_cmp_lt_i32 s22, 24
	s_cbranch_scc1 .LBB54_1567
; %bb.1558:
	s_cmp_gt_i32 s22, 24
	s_cbranch_scc0 .LBB54_1568
; %bb.1559:
	global_load_ubyte v4, v[2:3], off
	s_movk_i32 s4, 0x7f
	s_mov_b64 s[18:19], 0
	s_waitcnt vmcnt(0)
	v_cmp_lt_i16_e32 vcc, s4, v4
	s_and_saveexec_b64 s[4:5], vcc
	s_xor_b64 s[4:5], exec, s[4:5]
; %bb.1560:
	s_movk_i32 s18, 0x80
	v_cmp_ne_u16_e32 vcc, s18, v4
	s_and_b64 s[18:19], vcc, exec
; %bb.1561:
	s_andn2_saveexec_b64 s[4:5], s[4:5]
; %bb.1562:
	v_cmp_ne_u16_e32 vcc, 0, v4
	s_andn2_b64 s[18:19], s[18:19], exec
	s_and_b64 s[20:21], vcc, exec
	s_or_b64 s[18:19], s[18:19], s[20:21]
; %bb.1563:
	s_or_b64 exec, exec, s[4:5]
	v_mov_b32_e32 v0, 0
	v_mov_b32_e32 v1, 0
	s_and_saveexec_b64 s[4:5], s[18:19]
	s_cbranch_execz .LBB54_1565
; %bb.1564:
	v_and_b32_e32 v1, 0xffff, v4
	v_lshlrev_b32_e32 v0, 24, v4
	v_and_b32_e32 v4, 3, v1
	v_ffbh_u32_e32 v7, v4
	v_min_u32_e32 v7, 32, v7
	v_subrev_u32_e32 v8, 29, v7
	v_bfe_u32 v5, v1, 2, 5
	v_lshlrev_b32_e32 v1, v8, v1
	v_sub_u32_e32 v7, 30, v7
	v_and_b32_e32 v1, 3, v1
	v_cmp_eq_u32_e32 vcc, 0, v5
	v_cndmask_b32_e32 v5, v5, v7, vcc
	v_cndmask_b32_e32 v1, v4, v1, vcc
	v_mov_b32_e32 v4, 0x37800000
	v_lshlrev_b32_e32 v1, 21, v1
	v_and_b32_e32 v0, 0x80000000, v0
	v_lshl_add_u32 v4, v5, 23, v4
	v_or3_b32 v0, v0, v4, v1
	v_trunc_f32_e32 v0, v0
	s_mov_b32 s18, 0x2f800000
	v_mul_f32_e64 v1, |v0|, s18
	v_floor_f32_e32 v1, v1
	s_mov_b32 s18, 0xcf800000
	v_fma_f32 v4, v1, s18, |v0|
	v_cvt_u32_f32_e32 v4, v4
	v_cvt_u32_f32_e32 v1, v1
	v_ashrrev_i32_e32 v5, 31, v0
	v_xor_b32_e32 v0, v4, v5
	v_xor_b32_e32 v1, v1, v5
	v_sub_co_u32_e32 v0, vcc, v0, v5
	v_subb_co_u32_e32 v1, vcc, v1, v5, vcc
.LBB54_1565:
	s_or_b64 exec, exec, s[4:5]
	s_mov_b64 s[4:5], 0
	s_branch .LBB54_1569
.LBB54_1566:
                                        ; implicit-def: $vgpr0_vgpr1
	s_mov_b64 s[4:5], 0
	s_branch .LBB54_1575
.LBB54_1567:
	s_mov_b64 s[4:5], -1
                                        ; implicit-def: $vgpr0_vgpr1
	s_branch .LBB54_1572
.LBB54_1568:
	s_mov_b64 s[4:5], -1
                                        ; implicit-def: $vgpr0_vgpr1
.LBB54_1569:
	s_and_b64 vcc, exec, s[4:5]
	s_cbranch_vccz .LBB54_1571
; %bb.1570:
	global_load_ubyte v0, v[2:3], off
	s_mov_b32 s4, 0x7f800000
	s_brev_b32 s5, 1
	s_mov_b32 s18, 0x2f800000
	s_mov_b32 s19, 0xcf800000
	s_waitcnt vmcnt(0)
	v_lshlrev_b32_e32 v0, 24, v0
	v_and_b32_e32 v1, 0x7f000000, v0
	v_ffbh_u32_e32 v4, v1
	v_min_u32_e32 v4, 32, v4
	v_sub_u32_e64 v4, v4, 4 clamp
	v_lshlrev_b32_e32 v7, v4, v1
	v_lshlrev_b32_e32 v4, 23, v4
	v_lshrrev_b32_e32 v7, 4, v7
	v_add_u32_e32 v5, 0x1000000, v1
	v_sub_u32_e32 v4, v7, v4
	v_ashrrev_i32_e32 v5, 8, v5
	v_add_u32_e32 v4, 0x3c000000, v4
	v_and_or_b32 v4, v5, s4, v4
	v_cmp_ne_u32_e32 vcc, 0, v1
	v_cndmask_b32_e32 v1, 0, v4, vcc
	v_and_or_b32 v0, v0, s5, v1
	v_trunc_f32_e32 v0, v0
	v_mul_f32_e64 v1, |v0|, s18
	v_floor_f32_e32 v1, v1
	v_fma_f32 v4, v1, s19, |v0|
	v_cvt_u32_f32_e32 v4, v4
	v_cvt_u32_f32_e32 v1, v1
	v_ashrrev_i32_e32 v5, 31, v0
	v_xor_b32_e32 v0, v4, v5
	v_xor_b32_e32 v1, v1, v5
	v_sub_co_u32_e32 v0, vcc, v0, v5
	v_subb_co_u32_e32 v1, vcc, v1, v5, vcc
.LBB54_1571:
	s_mov_b64 s[4:5], 0
.LBB54_1572:
	s_andn2_b64 vcc, exec, s[4:5]
	s_cbranch_vccnz .LBB54_1574
; %bb.1573:
	global_load_ubyte v0, v[2:3], off
	s_movk_i32 s4, 0x7f00
	s_brev_b32 s5, 16
	s_brev_b32 s18, 1
	s_mov_b32 s19, 0x2f800000
	s_mov_b32 s20, 0xcf800000
	s_waitcnt vmcnt(0)
	v_lshlrev_b16_e32 v1, 8, v0
	v_lshlrev_b32_e32 v0, 25, v0
	v_lshrrev_b32_e32 v4, 4, v0
	v_and_or_b32 v5, v1, s4, 0.5
	v_or_b32_e32 v4, 0x70000000, v4
	v_add_f32_e32 v5, -0.5, v5
	v_mul_f32_e32 v4, 0x7800000, v4
	v_cmp_gt_u32_e32 vcc, s5, v0
	v_bfe_i32 v1, v1, 0, 16
	v_cndmask_b32_e32 v0, v4, v5, vcc
	v_and_or_b32 v0, v1, s18, v0
	v_trunc_f32_e32 v0, v0
	v_mul_f32_e64 v1, |v0|, s19
	v_floor_f32_e32 v1, v1
	v_fma_f32 v4, v1, s20, |v0|
	v_cvt_u32_f32_e32 v4, v4
	v_cvt_u32_f32_e32 v1, v1
	v_ashrrev_i32_e32 v5, 31, v0
	v_xor_b32_e32 v0, v4, v5
	v_xor_b32_e32 v1, v1, v5
	v_sub_co_u32_e32 v0, vcc, v0, v5
	v_subb_co_u32_e32 v1, vcc, v1, v5, vcc
.LBB54_1574:
	s_mov_b64 s[20:21], -1
	s_mov_b64 s[4:5], 0
	s_cbranch_execnz .LBB54_1583
.LBB54_1575:
	s_cmp_gt_i32 s22, 14
	s_cbranch_scc0 .LBB54_1578
; %bb.1576:
	s_cmp_eq_u32 s22, 15
	s_cbranch_scc0 .LBB54_1579
; %bb.1577:
	global_load_ushort v0, v[2:3], off
	s_mov_b32 s0, 0x2f800000
	s_mov_b32 s1, 0xcf800000
	s_mov_b64 s[20:21], -1
	s_waitcnt vmcnt(0)
	v_lshlrev_b32_e32 v0, 16, v0
	v_trunc_f32_e32 v0, v0
	v_mul_f32_e64 v1, |v0|, s0
	v_floor_f32_e32 v1, v1
	v_fma_f32 v4, v1, s1, |v0|
	v_cvt_u32_f32_e32 v4, v4
	v_cvt_u32_f32_e32 v1, v1
	v_ashrrev_i32_e32 v5, 31, v0
	s_mov_b64 s[0:1], 0
	v_xor_b32_e32 v0, v4, v5
	v_xor_b32_e32 v1, v1, v5
	v_sub_co_u32_e32 v0, vcc, v0, v5
	v_subb_co_u32_e32 v1, vcc, v1, v5, vcc
	s_branch .LBB54_1580
.LBB54_1578:
	s_mov_b64 s[18:19], -1
                                        ; implicit-def: $vgpr0_vgpr1
	s_branch .LBB54_1581
.LBB54_1579:
	s_mov_b64 s[0:1], -1
                                        ; implicit-def: $vgpr0_vgpr1
.LBB54_1580:
	s_mov_b64 s[18:19], 0
.LBB54_1581:
	s_and_b64 vcc, exec, s[18:19]
	s_cbranch_vccz .LBB54_1583
; %bb.1582:
	s_cmp_lg_u32 s22, 11
	s_mov_b64 s[4:5], -1
	s_cselect_b64 s[0:1], -1, 0
.LBB54_1583:
	s_and_b64 vcc, exec, s[0:1]
	s_mov_b64 s[18:19], s[16:17]
	s_cbranch_vccnz .LBB54_1644
; %bb.1584:
	s_andn2_b64 vcc, exec, s[4:5]
	s_cbranch_vccnz .LBB54_1586
.LBB54_1585:
	global_load_ubyte v0, v[2:3], off
	s_mov_b32 s0, 0
	s_waitcnt vmcnt(1)
	v_mov_b32_e32 v1, s0
	s_mov_b64 s[20:21], -1
	s_waitcnt vmcnt(0)
	v_cmp_ne_u16_e32 vcc, 0, v0
	v_cndmask_b32_e64 v0, 0, 1, vcc
.LBB54_1586:
	s_branch .LBB54_1521
.LBB54_1587:
	s_and_b32 s4, 0xffff, s24
	s_cmp_lt_i32 s4, 5
	s_cbranch_scc1 .LBB54_1592
; %bb.1588:
	s_cmp_lt_i32 s4, 8
	s_cbranch_scc1 .LBB54_1593
; %bb.1589:
	;; [unrolled: 3-line block ×3, first 2 shown]
	s_cmp_gt_i32 s4, 9
	s_cbranch_scc0 .LBB54_1595
; %bb.1591:
	global_load_dwordx2 v[0:1], v[2:3], off
	s_movk_i32 s0, 0xffe0
	s_waitcnt vmcnt(0)
	v_trunc_f64_e32 v[0:1], v[0:1]
	v_ldexp_f64 v[4:5], v[0:1], s0
	s_mov_b32 s0, 0
	s_mov_b32 s1, 0xc1f00000
	v_floor_f64_e32 v[4:5], v[4:5]
	v_fma_f64 v[7:8], v[4:5], s[0:1], v[0:1]
	v_cvt_i32_f64_e32 v1, v[4:5]
	s_mov_b64 s[0:1], 0
	v_cvt_u32_f64_e32 v0, v[7:8]
	s_branch .LBB54_1596
.LBB54_1592:
                                        ; implicit-def: $vgpr0_vgpr1
	s_branch .LBB54_1613
.LBB54_1593:
                                        ; implicit-def: $vgpr0_vgpr1
	s_branch .LBB54_1602
.LBB54_1594:
	s_mov_b64 s[0:1], -1
                                        ; implicit-def: $vgpr0_vgpr1
	s_branch .LBB54_1599
.LBB54_1595:
	s_mov_b64 s[0:1], -1
                                        ; implicit-def: $vgpr0_vgpr1
.LBB54_1596:
	s_andn2_b64 vcc, exec, s[0:1]
	s_cbranch_vccnz .LBB54_1598
; %bb.1597:
	global_load_dword v0, v[2:3], off
	s_mov_b32 s0, 0x2f800000
	s_mov_b32 s1, 0xcf800000
	s_waitcnt vmcnt(0)
	v_trunc_f32_e32 v0, v0
	v_mul_f32_e64 v1, |v0|, s0
	v_floor_f32_e32 v1, v1
	v_cvt_u32_f32_e32 v4, v1
	v_fma_f32 v1, v1, s1, |v0|
	v_cvt_u32_f32_e32 v1, v1
	v_ashrrev_i32_e32 v5, 31, v0
	v_xor_b32_e32 v4, v4, v5
	v_xor_b32_e32 v0, v1, v5
	v_sub_co_u32_e32 v0, vcc, v0, v5
	v_subb_co_u32_e32 v1, vcc, v4, v5, vcc
.LBB54_1598:
	s_mov_b64 s[0:1], 0
.LBB54_1599:
	s_andn2_b64 vcc, exec, s[0:1]
	s_cbranch_vccnz .LBB54_1601
; %bb.1600:
	global_load_dword v0, v[2:3], off
	s_waitcnt vmcnt(0)
	v_cvt_f32_f16_e32 v0, v0
	v_cvt_i32_f32_e32 v0, v0
	v_ashrrev_i32_e32 v1, 31, v0
.LBB54_1601:
	s_cbranch_execnz .LBB54_1612
.LBB54_1602:
	s_cmp_lt_i32 s4, 6
	s_cbranch_scc1 .LBB54_1605
; %bb.1603:
	s_cmp_gt_i32 s4, 6
	s_cbranch_scc0 .LBB54_1606
; %bb.1604:
	global_load_dwordx2 v[0:1], v[2:3], off
	s_movk_i32 s0, 0xffe0
	s_waitcnt vmcnt(0)
	v_trunc_f64_e32 v[0:1], v[0:1]
	v_ldexp_f64 v[4:5], v[0:1], s0
	s_mov_b32 s0, 0
	s_mov_b32 s1, 0xc1f00000
	v_floor_f64_e32 v[4:5], v[4:5]
	v_fma_f64 v[7:8], v[4:5], s[0:1], v[0:1]
	v_cvt_i32_f64_e32 v1, v[4:5]
	s_mov_b64 s[0:1], 0
	v_cvt_u32_f64_e32 v0, v[7:8]
	s_branch .LBB54_1607
.LBB54_1605:
	s_mov_b64 s[0:1], -1
                                        ; implicit-def: $vgpr0_vgpr1
	s_branch .LBB54_1610
.LBB54_1606:
	s_mov_b64 s[0:1], -1
                                        ; implicit-def: $vgpr0_vgpr1
.LBB54_1607:
	s_andn2_b64 vcc, exec, s[0:1]
	s_cbranch_vccnz .LBB54_1609
; %bb.1608:
	global_load_dword v0, v[2:3], off
	s_mov_b32 s0, 0x2f800000
	s_mov_b32 s1, 0xcf800000
	s_waitcnt vmcnt(0)
	v_trunc_f32_e32 v0, v0
	v_mul_f32_e64 v1, |v0|, s0
	v_floor_f32_e32 v1, v1
	v_cvt_u32_f32_e32 v4, v1
	v_fma_f32 v1, v1, s1, |v0|
	v_cvt_u32_f32_e32 v1, v1
	v_ashrrev_i32_e32 v5, 31, v0
	v_xor_b32_e32 v4, v4, v5
	v_xor_b32_e32 v0, v1, v5
	v_sub_co_u32_e32 v0, vcc, v0, v5
	v_subb_co_u32_e32 v1, vcc, v4, v5, vcc
.LBB54_1609:
	s_mov_b64 s[0:1], 0
.LBB54_1610:
	s_andn2_b64 vcc, exec, s[0:1]
	s_cbranch_vccnz .LBB54_1612
; %bb.1611:
	global_load_ushort v0, v[2:3], off
	s_waitcnt vmcnt(0)
	v_cvt_f32_f16_e32 v0, v0
	v_cvt_i32_f32_e32 v0, v0
	v_ashrrev_i32_e32 v1, 31, v0
.LBB54_1612:
	s_cbranch_execnz .LBB54_1631
.LBB54_1613:
	s_cmp_lt_i32 s4, 2
	s_cbranch_scc1 .LBB54_1617
; %bb.1614:
	s_cmp_lt_i32 s4, 3
	s_cbranch_scc1 .LBB54_1618
; %bb.1615:
	s_cmp_gt_i32 s4, 3
	s_cbranch_scc0 .LBB54_1619
; %bb.1616:
	global_load_dwordx2 v[0:1], v[2:3], off
	s_mov_b64 s[0:1], 0
	s_branch .LBB54_1620
.LBB54_1617:
                                        ; implicit-def: $vgpr0_vgpr1
	s_branch .LBB54_1626
.LBB54_1618:
	s_mov_b64 s[0:1], -1
                                        ; implicit-def: $vgpr0_vgpr1
	s_branch .LBB54_1623
.LBB54_1619:
	s_mov_b64 s[0:1], -1
                                        ; implicit-def: $vgpr0_vgpr1
.LBB54_1620:
	s_andn2_b64 vcc, exec, s[0:1]
	s_cbranch_vccnz .LBB54_1622
; %bb.1621:
	global_load_dword v0, v[2:3], off
	s_waitcnt vmcnt(0)
	v_ashrrev_i32_e32 v1, 31, v0
.LBB54_1622:
	s_mov_b64 s[0:1], 0
.LBB54_1623:
	s_andn2_b64 vcc, exec, s[0:1]
	s_cbranch_vccnz .LBB54_1625
; %bb.1624:
	global_load_ushort v0, v[2:3], off
	s_waitcnt vmcnt(0)
	v_bfe_i32 v0, v0, 0, 16
	v_ashrrev_i32_e32 v1, 31, v0
.LBB54_1625:
	s_cbranch_execnz .LBB54_1631
.LBB54_1626:
	s_cmp_gt_i32 s4, 0
	s_cbranch_scc0 .LBB54_1628
; %bb.1627:
	global_load_sbyte v0, v[2:3], off
	s_mov_b64 s[0:1], 0
	s_waitcnt vmcnt(0)
	v_bfe_i32 v0, v0, 0, 16
	v_ashrrev_i32_e32 v1, 31, v0
	s_branch .LBB54_1629
.LBB54_1628:
	s_mov_b64 s[0:1], -1
                                        ; implicit-def: $vgpr0_vgpr1
.LBB54_1629:
	s_andn2_b64 vcc, exec, s[0:1]
	s_cbranch_vccnz .LBB54_1631
; %bb.1630:
	global_load_ubyte v0, v[2:3], off
	s_mov_b32 s0, 0
	s_waitcnt vmcnt(1)
	v_mov_b32_e32 v1, s0
	s_waitcnt vmcnt(0)
	v_and_b32_e32 v0, 0xffff, v0
.LBB54_1631:
.LBB54_1632:
	v_mul_lo_u32 v8, s14, v18
	v_mov_b32_e32 v2, s3
	s_and_b32 s25, s56, 0xff
	s_cmp_lt_i32 s25, 11
	v_ashrrev_i32_e32 v3, 31, v8
	v_add_co_u32_e32 v4, vcc, s2, v8
	v_addc_co_u32_e32 v5, vcc, v2, v3, vcc
	s_cbranch_scc1 .LBB54_1639
; %bb.1633:
	s_and_b32 s26, 0xffff, s25
	s_cmp_gt_i32 s26, 25
	s_mov_b64 s[4:5], 0
	s_cbranch_scc0 .LBB54_1641
; %bb.1634:
	s_cmp_gt_i32 s26, 28
	s_cbranch_scc0 .LBB54_1642
; %bb.1635:
	s_cmp_gt_i32 s26, 43
	;; [unrolled: 3-line block ×3, first 2 shown]
	s_cbranch_scc0 .LBB54_1645
; %bb.1637:
	s_cmp_eq_u32 s26, 46
	s_mov_b64 s[22:23], 0
	s_cbranch_scc0 .LBB54_1648
; %bb.1638:
	global_load_dword v2, v[4:5], off
	s_mov_b32 s0, 0x2f800000
	s_mov_b32 s1, 0xcf800000
	s_mov_b64 s[20:21], -1
	s_waitcnt vmcnt(0)
	v_lshlrev_b32_e32 v2, 16, v2
	v_trunc_f32_e32 v2, v2
	v_mul_f32_e64 v3, |v2|, s0
	v_floor_f32_e32 v3, v3
	v_fma_f32 v7, v3, s1, |v2|
	v_cvt_u32_f32_e32 v7, v7
	v_cvt_u32_f32_e32 v3, v3
	v_ashrrev_i32_e32 v9, 31, v2
	s_mov_b64 s[0:1], 0
	v_xor_b32_e32 v2, v7, v9
	v_xor_b32_e32 v3, v3, v9
	v_sub_co_u32_e32 v2, vcc, v2, v9
	v_subb_co_u32_e32 v3, vcc, v3, v9, vcc
	s_branch .LBB54_1649
.LBB54_1639:
	s_mov_b64 s[20:21], 0
                                        ; implicit-def: $vgpr2_vgpr3
	s_cbranch_execnz .LBB54_1710
.LBB54_1640:
	s_andn2_b64 vcc, exec, s[20:21]
	s_cbranch_vccnz .LBB54_2947
	s_branch .LBB54_1757
.LBB54_1641:
	s_mov_b64 s[20:21], 0
	s_mov_b64 s[0:1], 0
                                        ; implicit-def: $vgpr2_vgpr3
	s_cbranch_execnz .LBB54_1678
	s_branch .LBB54_1706
.LBB54_1642:
	s_mov_b64 s[22:23], -1
	s_mov_b64 s[20:21], 0
	s_mov_b64 s[0:1], 0
                                        ; implicit-def: $vgpr2_vgpr3
	s_branch .LBB54_1659
.LBB54_1643:
	s_mov_b64 s[22:23], -1
	s_mov_b64 s[20:21], 0
	s_mov_b64 s[0:1], 0
                                        ; implicit-def: $vgpr2_vgpr3
	s_branch .LBB54_1654
.LBB54_1644:
	s_or_b64 s[18:19], s[16:17], exec
	s_trap 2
	s_cbranch_execz .LBB54_1585
	s_branch .LBB54_1586
.LBB54_1645:
	s_mov_b64 s[22:23], -1
	s_mov_b64 s[20:21], 0
	s_mov_b64 s[0:1], 0
                                        ; implicit-def: $vgpr2_vgpr3
	s_branch .LBB54_1649
.LBB54_1646:
	s_andn2_saveexec_b64 s[30:31], s[30:31]
	s_cbranch_execz .LBB54_1433
.LBB54_1647:
	v_add_f32_e32 v0, 0x42800000, v1
	v_and_b32_e32 v0, 0xff, v0
	v_cmp_ne_u32_e32 vcc, 0, v0
	s_andn2_b64 s[28:29], s[28:29], exec
	s_and_b64 s[36:37], vcc, exec
	s_or_b64 s[28:29], s[28:29], s[36:37]
	s_or_b64 exec, exec, s[30:31]
	v_mov_b32_e32 v4, 0
	s_and_saveexec_b64 s[30:31], s[28:29]
	s_cbranch_execnz .LBB54_1434
	s_branch .LBB54_1435
.LBB54_1648:
	s_mov_b64 s[0:1], -1
                                        ; implicit-def: $vgpr2_vgpr3
	s_mov_b64 s[20:21], 0
.LBB54_1649:
	s_and_b64 vcc, exec, s[22:23]
	s_cbranch_vccz .LBB54_1653
; %bb.1650:
	s_cmp_eq_u32 s26, 44
	s_cbranch_scc0 .LBB54_1652
; %bb.1651:
	global_load_ubyte v2, v[4:5], off
	s_mov_b32 s0, 0x2f800000
	s_mov_b32 s1, 0xcf800000
	s_mov_b64 s[20:21], -1
	s_waitcnt vmcnt(0)
	v_lshlrev_b32_e32 v3, 23, v2
	v_trunc_f32_e32 v3, v3
	v_mul_f32_e64 v7, |v3|, s0
	v_floor_f32_e32 v7, v7
	v_fma_f32 v9, v7, s1, |v3|
	v_cvt_u32_f32_e32 v9, v9
	v_cvt_u32_f32_e32 v7, v7
	v_ashrrev_i32_e32 v3, 31, v3
	s_mov_b64 s[0:1], 0
	v_xor_b32_e32 v9, v9, v3
	v_xor_b32_e32 v7, v7, v3
	v_sub_co_u32_e32 v9, vcc, v9, v3
	v_subb_co_u32_e32 v3, vcc, v7, v3, vcc
	v_cmp_ne_u32_e32 vcc, 0, v2
	v_cndmask_b32_e32 v3, 0, v3, vcc
	v_cndmask_b32_e32 v2, 0, v9, vcc
	s_branch .LBB54_1653
.LBB54_1652:
	s_mov_b64 s[0:1], -1
                                        ; implicit-def: $vgpr2_vgpr3
.LBB54_1653:
	s_mov_b64 s[22:23], 0
.LBB54_1654:
	s_and_b64 vcc, exec, s[22:23]
	s_cbranch_vccz .LBB54_1658
; %bb.1655:
	s_cmp_eq_u32 s26, 29
	s_cbranch_scc0 .LBB54_1657
; %bb.1656:
	global_load_dwordx2 v[2:3], v[4:5], off
	s_mov_b64 s[0:1], 0
	s_mov_b64 s[20:21], -1
	s_branch .LBB54_1658
.LBB54_1657:
	s_mov_b64 s[0:1], -1
                                        ; implicit-def: $vgpr2_vgpr3
.LBB54_1658:
	s_mov_b64 s[22:23], 0
.LBB54_1659:
	s_and_b64 vcc, exec, s[22:23]
	s_cbranch_vccz .LBB54_1677
; %bb.1660:
	s_cmp_lt_i32 s26, 27
	s_cbranch_scc1 .LBB54_1663
; %bb.1661:
	s_cmp_gt_i32 s26, 27
	s_cbranch_scc0 .LBB54_1664
; %bb.1662:
	global_load_dword v2, v[4:5], off
	s_waitcnt vmcnt(1)
	v_mov_b32_e32 v3, 0
	s_mov_b64 s[20:21], 0
	s_branch .LBB54_1665
.LBB54_1663:
	s_mov_b64 s[20:21], -1
                                        ; implicit-def: $vgpr2_vgpr3
	s_branch .LBB54_1668
.LBB54_1664:
	s_mov_b64 s[20:21], -1
                                        ; implicit-def: $vgpr2_vgpr3
.LBB54_1665:
	s_andn2_b64 vcc, exec, s[20:21]
	s_cbranch_vccnz .LBB54_1667
; %bb.1666:
	global_load_ushort v2, v[4:5], off
	s_mov_b32 s20, 0
	s_waitcnt vmcnt(1)
	v_mov_b32_e32 v3, s20
	s_waitcnt vmcnt(0)
	v_and_b32_e32 v2, 0xffff, v2
.LBB54_1667:
	s_mov_b64 s[20:21], 0
.LBB54_1668:
	s_andn2_b64 vcc, exec, s[20:21]
	s_cbranch_vccnz .LBB54_1676
; %bb.1669:
	global_load_ubyte v7, v[4:5], off
	s_movk_i32 s20, 0x7f
	s_mov_b64 s[22:23], 0
	s_waitcnt vmcnt(0)
	v_cmp_lt_i16_e32 vcc, s20, v7
	s_and_saveexec_b64 s[20:21], vcc
	s_xor_b64 s[20:21], exec, s[20:21]
; %bb.1670:
	s_movk_i32 s22, 0x80
	v_cmp_ne_u16_e32 vcc, s22, v7
	s_and_b64 s[22:23], vcc, exec
; %bb.1671:
	s_andn2_saveexec_b64 s[20:21], s[20:21]
; %bb.1672:
	v_cmp_ne_u16_e32 vcc, 0, v7
	s_andn2_b64 s[22:23], s[22:23], exec
	s_and_b64 s[28:29], vcc, exec
	s_or_b64 s[22:23], s[22:23], s[28:29]
; %bb.1673:
	s_or_b64 exec, exec, s[20:21]
	v_mov_b32_e32 v2, 0
	v_mov_b32_e32 v3, 0
	s_and_saveexec_b64 s[20:21], s[22:23]
	s_cbranch_execz .LBB54_1675
; %bb.1674:
	v_and_b32_e32 v3, 0xffff, v7
	v_lshlrev_b32_e32 v2, 24, v7
	v_and_b32_e32 v7, 7, v3
	v_ffbh_u32_e32 v10, v7
	v_min_u32_e32 v10, 32, v10
	v_subrev_u32_e32 v11, 28, v10
	v_bfe_u32 v9, v3, 3, 4
	v_lshlrev_b32_e32 v3, v11, v3
	v_sub_u32_e32 v10, 29, v10
	v_and_b32_e32 v3, 7, v3
	v_cmp_eq_u32_e32 vcc, 0, v9
	v_cndmask_b32_e32 v9, v9, v10, vcc
	v_cndmask_b32_e32 v3, v7, v3, vcc
	v_mov_b32_e32 v7, 0x3b800000
	v_lshlrev_b32_e32 v3, 20, v3
	v_and_b32_e32 v2, 0x80000000, v2
	v_lshl_add_u32 v7, v9, 23, v7
	v_or3_b32 v2, v2, v7, v3
	v_trunc_f32_e32 v2, v2
	s_mov_b32 s22, 0x2f800000
	v_mul_f32_e64 v3, |v2|, s22
	v_floor_f32_e32 v3, v3
	s_mov_b32 s22, 0xcf800000
	v_fma_f32 v7, v3, s22, |v2|
	v_cvt_u32_f32_e32 v7, v7
	v_cvt_u32_f32_e32 v3, v3
	v_ashrrev_i32_e32 v9, 31, v2
	v_xor_b32_e32 v2, v7, v9
	v_xor_b32_e32 v3, v3, v9
	v_sub_co_u32_e32 v2, vcc, v2, v9
	v_subb_co_u32_e32 v3, vcc, v3, v9, vcc
.LBB54_1675:
	s_or_b64 exec, exec, s[20:21]
.LBB54_1676:
	s_mov_b64 s[20:21], -1
.LBB54_1677:
	s_branch .LBB54_1706
.LBB54_1678:
	s_cmp_gt_i32 s26, 22
	s_cbranch_scc0 .LBB54_1688
; %bb.1679:
	s_cmp_lt_i32 s26, 24
	s_cbranch_scc1 .LBB54_1689
; %bb.1680:
	s_cmp_gt_i32 s26, 24
	s_cbranch_scc0 .LBB54_1690
; %bb.1681:
	global_load_ubyte v7, v[4:5], off
	s_movk_i32 s4, 0x7f
	s_mov_b64 s[20:21], 0
	s_waitcnt vmcnt(0)
	v_cmp_lt_i16_e32 vcc, s4, v7
	s_and_saveexec_b64 s[4:5], vcc
	s_xor_b64 s[4:5], exec, s[4:5]
; %bb.1682:
	s_movk_i32 s20, 0x80
	v_cmp_ne_u16_e32 vcc, s20, v7
	s_and_b64 s[20:21], vcc, exec
; %bb.1683:
	s_andn2_saveexec_b64 s[4:5], s[4:5]
; %bb.1684:
	v_cmp_ne_u16_e32 vcc, 0, v7
	s_andn2_b64 s[20:21], s[20:21], exec
	s_and_b64 s[22:23], vcc, exec
	s_or_b64 s[20:21], s[20:21], s[22:23]
; %bb.1685:
	s_or_b64 exec, exec, s[4:5]
	v_mov_b32_e32 v2, 0
	v_mov_b32_e32 v3, 0
	s_and_saveexec_b64 s[4:5], s[20:21]
	s_cbranch_execz .LBB54_1687
; %bb.1686:
	v_and_b32_e32 v3, 0xffff, v7
	v_lshlrev_b32_e32 v2, 24, v7
	v_and_b32_e32 v7, 3, v3
	v_ffbh_u32_e32 v10, v7
	v_min_u32_e32 v10, 32, v10
	v_subrev_u32_e32 v11, 29, v10
	v_bfe_u32 v9, v3, 2, 5
	v_lshlrev_b32_e32 v3, v11, v3
	v_sub_u32_e32 v10, 30, v10
	v_and_b32_e32 v3, 3, v3
	v_cmp_eq_u32_e32 vcc, 0, v9
	v_cndmask_b32_e32 v9, v9, v10, vcc
	v_cndmask_b32_e32 v3, v7, v3, vcc
	v_mov_b32_e32 v7, 0x37800000
	v_lshlrev_b32_e32 v3, 21, v3
	v_and_b32_e32 v2, 0x80000000, v2
	v_lshl_add_u32 v7, v9, 23, v7
	v_or3_b32 v2, v2, v7, v3
	v_trunc_f32_e32 v2, v2
	s_mov_b32 s20, 0x2f800000
	v_mul_f32_e64 v3, |v2|, s20
	v_floor_f32_e32 v3, v3
	s_mov_b32 s20, 0xcf800000
	v_fma_f32 v7, v3, s20, |v2|
	v_cvt_u32_f32_e32 v7, v7
	v_cvt_u32_f32_e32 v3, v3
	v_ashrrev_i32_e32 v9, 31, v2
	v_xor_b32_e32 v2, v7, v9
	v_xor_b32_e32 v3, v3, v9
	v_sub_co_u32_e32 v2, vcc, v2, v9
	v_subb_co_u32_e32 v3, vcc, v3, v9, vcc
.LBB54_1687:
	s_or_b64 exec, exec, s[4:5]
	s_mov_b64 s[4:5], 0
	s_branch .LBB54_1691
.LBB54_1688:
	s_mov_b64 s[4:5], -1
                                        ; implicit-def: $vgpr2_vgpr3
	s_branch .LBB54_1697
.LBB54_1689:
	s_mov_b64 s[4:5], -1
                                        ; implicit-def: $vgpr2_vgpr3
	s_branch .LBB54_1694
.LBB54_1690:
	s_mov_b64 s[4:5], -1
                                        ; implicit-def: $vgpr2_vgpr3
.LBB54_1691:
	s_and_b64 vcc, exec, s[4:5]
	s_cbranch_vccz .LBB54_1693
; %bb.1692:
	global_load_ubyte v2, v[4:5], off
	s_mov_b32 s4, 0x7f800000
	s_brev_b32 s5, 1
	s_mov_b32 s20, 0x2f800000
	s_mov_b32 s21, 0xcf800000
	s_waitcnt vmcnt(0)
	v_lshlrev_b32_e32 v2, 24, v2
	v_and_b32_e32 v3, 0x7f000000, v2
	v_ffbh_u32_e32 v7, v3
	v_min_u32_e32 v7, 32, v7
	v_sub_u32_e64 v7, v7, 4 clamp
	v_lshlrev_b32_e32 v10, v7, v3
	v_lshlrev_b32_e32 v7, 23, v7
	v_lshrrev_b32_e32 v10, 4, v10
	v_add_u32_e32 v9, 0x1000000, v3
	v_sub_u32_e32 v7, v10, v7
	v_ashrrev_i32_e32 v9, 8, v9
	v_add_u32_e32 v7, 0x3c000000, v7
	v_and_or_b32 v7, v9, s4, v7
	v_cmp_ne_u32_e32 vcc, 0, v3
	v_cndmask_b32_e32 v3, 0, v7, vcc
	v_and_or_b32 v2, v2, s5, v3
	v_trunc_f32_e32 v2, v2
	v_mul_f32_e64 v3, |v2|, s20
	v_floor_f32_e32 v3, v3
	v_fma_f32 v7, v3, s21, |v2|
	v_cvt_u32_f32_e32 v7, v7
	v_cvt_u32_f32_e32 v3, v3
	v_ashrrev_i32_e32 v9, 31, v2
	v_xor_b32_e32 v2, v7, v9
	v_xor_b32_e32 v3, v3, v9
	v_sub_co_u32_e32 v2, vcc, v2, v9
	v_subb_co_u32_e32 v3, vcc, v3, v9, vcc
.LBB54_1693:
	s_mov_b64 s[4:5], 0
.LBB54_1694:
	s_andn2_b64 vcc, exec, s[4:5]
	s_cbranch_vccnz .LBB54_1696
; %bb.1695:
	global_load_ubyte v2, v[4:5], off
	s_movk_i32 s4, 0x7f00
	s_brev_b32 s5, 16
	s_brev_b32 s20, 1
	s_mov_b32 s21, 0x2f800000
	s_mov_b32 s22, 0xcf800000
	s_waitcnt vmcnt(0)
	v_lshlrev_b16_e32 v3, 8, v2
	v_lshlrev_b32_e32 v2, 25, v2
	v_lshrrev_b32_e32 v7, 4, v2
	v_and_or_b32 v9, v3, s4, 0.5
	v_or_b32_e32 v7, 0x70000000, v7
	v_add_f32_e32 v9, -0.5, v9
	v_mul_f32_e32 v7, 0x7800000, v7
	v_cmp_gt_u32_e32 vcc, s5, v2
	v_bfe_i32 v3, v3, 0, 16
	v_cndmask_b32_e32 v2, v7, v9, vcc
	v_and_or_b32 v2, v3, s20, v2
	v_trunc_f32_e32 v2, v2
	v_mul_f32_e64 v3, |v2|, s21
	v_floor_f32_e32 v3, v3
	v_fma_f32 v7, v3, s22, |v2|
	v_cvt_u32_f32_e32 v7, v7
	v_cvt_u32_f32_e32 v3, v3
	v_ashrrev_i32_e32 v9, 31, v2
	v_xor_b32_e32 v2, v7, v9
	v_xor_b32_e32 v3, v3, v9
	v_sub_co_u32_e32 v2, vcc, v2, v9
	v_subb_co_u32_e32 v3, vcc, v3, v9, vcc
.LBB54_1696:
	s_mov_b64 s[4:5], 0
	s_mov_b64 s[20:21], -1
.LBB54_1697:
	s_andn2_b64 vcc, exec, s[4:5]
	s_mov_b64 s[4:5], 0
	s_cbranch_vccnz .LBB54_1706
; %bb.1698:
	s_cmp_gt_i32 s26, 14
	s_cbranch_scc0 .LBB54_1701
; %bb.1699:
	s_cmp_eq_u32 s26, 15
	s_cbranch_scc0 .LBB54_1702
; %bb.1700:
	global_load_ushort v2, v[4:5], off
	s_mov_b32 s0, 0x2f800000
	s_mov_b32 s1, 0xcf800000
	s_mov_b64 s[20:21], -1
	s_waitcnt vmcnt(0)
	v_lshlrev_b32_e32 v2, 16, v2
	v_trunc_f32_e32 v2, v2
	v_mul_f32_e64 v3, |v2|, s0
	v_floor_f32_e32 v3, v3
	v_fma_f32 v7, v3, s1, |v2|
	v_cvt_u32_f32_e32 v7, v7
	v_cvt_u32_f32_e32 v3, v3
	v_ashrrev_i32_e32 v9, 31, v2
	s_mov_b64 s[0:1], 0
	v_xor_b32_e32 v2, v7, v9
	v_xor_b32_e32 v3, v3, v9
	v_sub_co_u32_e32 v2, vcc, v2, v9
	v_subb_co_u32_e32 v3, vcc, v3, v9, vcc
	s_branch .LBB54_1703
.LBB54_1701:
	s_mov_b64 s[22:23], -1
                                        ; implicit-def: $vgpr2_vgpr3
	s_branch .LBB54_1704
.LBB54_1702:
	s_mov_b64 s[0:1], -1
                                        ; implicit-def: $vgpr2_vgpr3
.LBB54_1703:
	s_mov_b64 s[22:23], 0
.LBB54_1704:
	s_and_b64 vcc, exec, s[22:23]
	s_cbranch_vccz .LBB54_1706
; %bb.1705:
	s_cmp_lg_u32 s26, 11
	s_mov_b64 s[4:5], -1
	s_cselect_b64 s[0:1], -1, 0
.LBB54_1706:
	s_and_b64 vcc, exec, s[0:1]
	s_cbranch_vccnz .LBB54_1769
; %bb.1707:
	s_andn2_b64 vcc, exec, s[4:5]
	s_cbranch_vccnz .LBB54_1709
.LBB54_1708:
	global_load_ubyte v2, v[4:5], off
	s_mov_b32 s0, 0
	s_waitcnt vmcnt(1)
	v_mov_b32_e32 v3, s0
	s_mov_b64 s[20:21], -1
	s_waitcnt vmcnt(0)
	v_cmp_ne_u16_e32 vcc, 0, v2
	v_cndmask_b32_e64 v2, 0, 1, vcc
.LBB54_1709:
	s_branch .LBB54_1640
.LBB54_1710:
	s_and_b32 s4, 0xffff, s25
	s_cmp_lt_i32 s4, 5
	s_cbranch_scc1 .LBB54_1715
; %bb.1711:
	s_cmp_lt_i32 s4, 8
	s_cbranch_scc1 .LBB54_1716
; %bb.1712:
	;; [unrolled: 3-line block ×3, first 2 shown]
	s_cmp_gt_i32 s4, 9
	s_cbranch_scc0 .LBB54_1718
; %bb.1714:
	global_load_dwordx2 v[2:3], v[4:5], off
	s_movk_i32 s0, 0xffe0
	s_waitcnt vmcnt(0)
	v_trunc_f64_e32 v[2:3], v[2:3]
	v_ldexp_f64 v[9:10], v[2:3], s0
	s_mov_b32 s0, 0
	s_mov_b32 s1, 0xc1f00000
	v_floor_f64_e32 v[9:10], v[9:10]
	v_fma_f64 v[11:12], v[9:10], s[0:1], v[2:3]
	v_cvt_i32_f64_e32 v3, v[9:10]
	s_mov_b64 s[0:1], 0
	v_cvt_u32_f64_e32 v2, v[11:12]
	s_branch .LBB54_1719
.LBB54_1715:
                                        ; implicit-def: $vgpr2_vgpr3
	s_branch .LBB54_1737
.LBB54_1716:
	s_mov_b64 s[0:1], -1
                                        ; implicit-def: $vgpr2_vgpr3
	s_branch .LBB54_1725
.LBB54_1717:
	s_mov_b64 s[0:1], -1
                                        ; implicit-def: $vgpr2_vgpr3
	s_branch .LBB54_1722
.LBB54_1718:
	s_mov_b64 s[0:1], -1
                                        ; implicit-def: $vgpr2_vgpr3
.LBB54_1719:
	s_andn2_b64 vcc, exec, s[0:1]
	s_cbranch_vccnz .LBB54_1721
; %bb.1720:
	global_load_dword v2, v[4:5], off
	s_mov_b32 s0, 0x2f800000
	s_mov_b32 s1, 0xcf800000
	s_waitcnt vmcnt(0)
	v_trunc_f32_e32 v2, v2
	v_mul_f32_e64 v3, |v2|, s0
	v_floor_f32_e32 v3, v3
	v_cvt_u32_f32_e32 v7, v3
	v_fma_f32 v3, v3, s1, |v2|
	v_cvt_u32_f32_e32 v3, v3
	v_ashrrev_i32_e32 v9, 31, v2
	v_xor_b32_e32 v7, v7, v9
	v_xor_b32_e32 v2, v3, v9
	v_sub_co_u32_e32 v2, vcc, v2, v9
	v_subb_co_u32_e32 v3, vcc, v7, v9, vcc
.LBB54_1721:
	s_mov_b64 s[0:1], 0
.LBB54_1722:
	s_andn2_b64 vcc, exec, s[0:1]
	s_cbranch_vccnz .LBB54_1724
; %bb.1723:
	global_load_dword v2, v[4:5], off
	s_waitcnt vmcnt(0)
	v_cvt_f32_f16_e32 v2, v2
	v_cvt_i32_f32_e32 v2, v2
	v_ashrrev_i32_e32 v3, 31, v2
.LBB54_1724:
	s_mov_b64 s[0:1], 0
.LBB54_1725:
	s_andn2_b64 vcc, exec, s[0:1]
	s_cbranch_vccnz .LBB54_1736
; %bb.1726:
	s_cmp_lt_i32 s4, 6
	s_cbranch_scc1 .LBB54_1729
; %bb.1727:
	s_cmp_gt_i32 s4, 6
	s_cbranch_scc0 .LBB54_1730
; %bb.1728:
	global_load_dwordx2 v[2:3], v[4:5], off
	s_movk_i32 s0, 0xffe0
	s_waitcnt vmcnt(0)
	v_trunc_f64_e32 v[2:3], v[2:3]
	v_ldexp_f64 v[9:10], v[2:3], s0
	s_mov_b32 s0, 0
	s_mov_b32 s1, 0xc1f00000
	v_floor_f64_e32 v[9:10], v[9:10]
	v_fma_f64 v[11:12], v[9:10], s[0:1], v[2:3]
	v_cvt_i32_f64_e32 v3, v[9:10]
	s_mov_b64 s[0:1], 0
	v_cvt_u32_f64_e32 v2, v[11:12]
	s_branch .LBB54_1731
.LBB54_1729:
	s_mov_b64 s[0:1], -1
                                        ; implicit-def: $vgpr2_vgpr3
	s_branch .LBB54_1734
.LBB54_1730:
	s_mov_b64 s[0:1], -1
                                        ; implicit-def: $vgpr2_vgpr3
.LBB54_1731:
	s_andn2_b64 vcc, exec, s[0:1]
	s_cbranch_vccnz .LBB54_1733
; %bb.1732:
	global_load_dword v2, v[4:5], off
	s_mov_b32 s0, 0x2f800000
	s_mov_b32 s1, 0xcf800000
	s_waitcnt vmcnt(0)
	v_trunc_f32_e32 v2, v2
	v_mul_f32_e64 v3, |v2|, s0
	v_floor_f32_e32 v3, v3
	v_cvt_u32_f32_e32 v7, v3
	v_fma_f32 v3, v3, s1, |v2|
	v_cvt_u32_f32_e32 v3, v3
	v_ashrrev_i32_e32 v9, 31, v2
	v_xor_b32_e32 v7, v7, v9
	v_xor_b32_e32 v2, v3, v9
	v_sub_co_u32_e32 v2, vcc, v2, v9
	v_subb_co_u32_e32 v3, vcc, v7, v9, vcc
.LBB54_1733:
	s_mov_b64 s[0:1], 0
.LBB54_1734:
	s_andn2_b64 vcc, exec, s[0:1]
	s_cbranch_vccnz .LBB54_1736
; %bb.1735:
	global_load_ushort v2, v[4:5], off
	s_waitcnt vmcnt(0)
	v_cvt_f32_f16_e32 v2, v2
	v_cvt_i32_f32_e32 v2, v2
	v_ashrrev_i32_e32 v3, 31, v2
.LBB54_1736:
	s_cbranch_execnz .LBB54_1756
.LBB54_1737:
	s_cmp_lt_i32 s4, 2
	s_cbranch_scc1 .LBB54_1741
; %bb.1738:
	s_cmp_lt_i32 s4, 3
	s_cbranch_scc1 .LBB54_1742
; %bb.1739:
	s_cmp_gt_i32 s4, 3
	s_cbranch_scc0 .LBB54_1743
; %bb.1740:
	global_load_dwordx2 v[2:3], v[4:5], off
	s_mov_b64 s[0:1], 0
	s_branch .LBB54_1744
.LBB54_1741:
	s_mov_b64 s[0:1], -1
                                        ; implicit-def: $vgpr2_vgpr3
	s_branch .LBB54_1750
.LBB54_1742:
	s_mov_b64 s[0:1], -1
                                        ; implicit-def: $vgpr2_vgpr3
	s_branch .LBB54_1747
.LBB54_1743:
	s_mov_b64 s[0:1], -1
                                        ; implicit-def: $vgpr2_vgpr3
.LBB54_1744:
	s_andn2_b64 vcc, exec, s[0:1]
	s_cbranch_vccnz .LBB54_1746
; %bb.1745:
	global_load_dword v2, v[4:5], off
	s_waitcnt vmcnt(0)
	v_ashrrev_i32_e32 v3, 31, v2
.LBB54_1746:
	s_mov_b64 s[0:1], 0
.LBB54_1747:
	s_andn2_b64 vcc, exec, s[0:1]
	s_cbranch_vccnz .LBB54_1749
; %bb.1748:
	global_load_ushort v2, v[4:5], off
	s_waitcnt vmcnt(0)
	v_bfe_i32 v2, v2, 0, 16
	v_ashrrev_i32_e32 v3, 31, v2
.LBB54_1749:
	s_mov_b64 s[0:1], 0
.LBB54_1750:
	s_andn2_b64 vcc, exec, s[0:1]
	s_cbranch_vccnz .LBB54_1756
; %bb.1751:
	s_cmp_gt_i32 s4, 0
	s_cbranch_scc0 .LBB54_1753
; %bb.1752:
	global_load_sbyte v2, v[4:5], off
	s_mov_b64 s[0:1], 0
	s_waitcnt vmcnt(0)
	v_bfe_i32 v2, v2, 0, 16
	v_ashrrev_i32_e32 v3, 31, v2
	s_branch .LBB54_1754
.LBB54_1753:
	s_mov_b64 s[0:1], -1
                                        ; implicit-def: $vgpr2_vgpr3
.LBB54_1754:
	s_andn2_b64 vcc, exec, s[0:1]
	s_cbranch_vccnz .LBB54_1756
; %bb.1755:
	global_load_ubyte v2, v[4:5], off
	s_mov_b32 s0, 0
	s_waitcnt vmcnt(1)
	v_mov_b32_e32 v3, s0
	s_waitcnt vmcnt(0)
	v_and_b32_e32 v2, 0xffff, v2
.LBB54_1756:
.LBB54_1757:
	s_lshl_b32 s13, s13, 7
	v_add_u32_e32 v10, s13, v6
	v_ashrrev_i32_e32 v4, 31, v10
	v_mov_b32_e32 v5, s11
	v_add_co_u32_e32 v6, vcc, s10, v10
	s_cmp_lt_i32 s24, 11
	v_addc_co_u32_e32 v7, vcc, v5, v4, vcc
	s_cbranch_scc1 .LBB54_1764
; %bb.1758:
	s_and_b32 s26, 0xffff, s24
	s_cmp_gt_i32 s26, 25
	s_mov_b64 s[4:5], 0
	s_cbranch_scc0 .LBB54_1766
; %bb.1759:
	s_cmp_gt_i32 s26, 28
	s_cbranch_scc0 .LBB54_1767
; %bb.1760:
	s_cmp_gt_i32 s26, 43
	;; [unrolled: 3-line block ×3, first 2 shown]
	s_cbranch_scc0 .LBB54_1770
; %bb.1762:
	s_cmp_eq_u32 s26, 46
	s_mov_b64 s[22:23], 0
	s_cbranch_scc0 .LBB54_1771
; %bb.1763:
	global_load_dword v4, v[6:7], off
	s_mov_b32 s0, 0x2f800000
	s_mov_b32 s1, 0xcf800000
	s_mov_b64 s[20:21], -1
	s_waitcnt vmcnt(0)
	v_lshlrev_b32_e32 v4, 16, v4
	v_trunc_f32_e32 v4, v4
	v_mul_f32_e64 v5, |v4|, s0
	v_floor_f32_e32 v5, v5
	v_fma_f32 v9, v5, s1, |v4|
	v_cvt_u32_f32_e32 v9, v9
	v_cvt_u32_f32_e32 v5, v5
	v_ashrrev_i32_e32 v11, 31, v4
	s_mov_b64 s[0:1], 0
	v_xor_b32_e32 v4, v9, v11
	v_xor_b32_e32 v5, v5, v11
	v_sub_co_u32_e32 v4, vcc, v4, v11
	v_subb_co_u32_e32 v5, vcc, v5, v11, vcc
	s_branch .LBB54_1772
.LBB54_1764:
	s_mov_b64 s[20:21], 0
                                        ; implicit-def: $vgpr4_vgpr5
	s_cbranch_execnz .LBB54_1834
.LBB54_1765:
	s_andn2_b64 vcc, exec, s[20:21]
	s_cbranch_vccnz .LBB54_2947
	s_branch .LBB54_1882
.LBB54_1766:
	s_mov_b64 s[22:23], -1
	s_mov_b64 s[20:21], 0
	s_mov_b64 s[0:1], 0
                                        ; implicit-def: $vgpr4_vgpr5
	s_branch .LBB54_1801
.LBB54_1767:
	s_mov_b64 s[22:23], -1
	s_mov_b64 s[20:21], 0
	s_mov_b64 s[0:1], 0
                                        ; implicit-def: $vgpr4_vgpr5
	s_branch .LBB54_1782
.LBB54_1768:
	s_mov_b64 s[22:23], -1
	s_mov_b64 s[20:21], 0
	s_mov_b64 s[0:1], 0
                                        ; implicit-def: $vgpr4_vgpr5
	s_branch .LBB54_1777
.LBB54_1769:
	s_trap 2
	s_or_b64 s[18:19], s[18:19], exec
	s_cbranch_execz .LBB54_1708
	s_branch .LBB54_1709
.LBB54_1770:
	s_mov_b64 s[22:23], -1
	s_mov_b64 s[20:21], 0
	s_mov_b64 s[0:1], 0
                                        ; implicit-def: $vgpr4_vgpr5
	s_branch .LBB54_1772
.LBB54_1771:
	s_mov_b64 s[0:1], -1
                                        ; implicit-def: $vgpr4_vgpr5
	s_mov_b64 s[20:21], 0
.LBB54_1772:
	s_and_b64 vcc, exec, s[22:23]
	s_cbranch_vccz .LBB54_1776
; %bb.1773:
	s_cmp_eq_u32 s26, 44
	s_cbranch_scc0 .LBB54_1775
; %bb.1774:
	global_load_ubyte v4, v[6:7], off
	s_mov_b32 s0, 0x2f800000
	s_mov_b32 s1, 0xcf800000
	s_mov_b64 s[20:21], -1
	s_waitcnt vmcnt(0)
	v_lshlrev_b32_e32 v5, 23, v4
	v_trunc_f32_e32 v5, v5
	v_mul_f32_e64 v9, |v5|, s0
	v_floor_f32_e32 v9, v9
	v_fma_f32 v11, v9, s1, |v5|
	v_cvt_u32_f32_e32 v11, v11
	v_cvt_u32_f32_e32 v9, v9
	v_ashrrev_i32_e32 v5, 31, v5
	s_mov_b64 s[0:1], 0
	v_xor_b32_e32 v11, v11, v5
	v_xor_b32_e32 v9, v9, v5
	v_sub_co_u32_e32 v11, vcc, v11, v5
	v_subb_co_u32_e32 v5, vcc, v9, v5, vcc
	v_cmp_ne_u32_e32 vcc, 0, v4
	v_cndmask_b32_e32 v5, 0, v5, vcc
	v_cndmask_b32_e32 v4, 0, v11, vcc
	s_branch .LBB54_1776
.LBB54_1775:
	s_mov_b64 s[0:1], -1
                                        ; implicit-def: $vgpr4_vgpr5
.LBB54_1776:
	s_mov_b64 s[22:23], 0
.LBB54_1777:
	s_and_b64 vcc, exec, s[22:23]
	s_cbranch_vccz .LBB54_1781
; %bb.1778:
	s_cmp_eq_u32 s26, 29
	s_cbranch_scc0 .LBB54_1780
; %bb.1779:
	global_load_dwordx2 v[4:5], v[6:7], off
	s_mov_b64 s[0:1], 0
	s_mov_b64 s[20:21], -1
	s_branch .LBB54_1781
.LBB54_1780:
	s_mov_b64 s[0:1], -1
                                        ; implicit-def: $vgpr4_vgpr5
.LBB54_1781:
	s_mov_b64 s[22:23], 0
.LBB54_1782:
	s_and_b64 vcc, exec, s[22:23]
	s_cbranch_vccz .LBB54_1800
; %bb.1783:
	s_cmp_lt_i32 s26, 27
	s_cbranch_scc1 .LBB54_1786
; %bb.1784:
	s_cmp_gt_i32 s26, 27
	s_cbranch_scc0 .LBB54_1787
; %bb.1785:
	global_load_dword v4, v[6:7], off
	s_waitcnt vmcnt(1)
	v_mov_b32_e32 v5, 0
	s_mov_b64 s[20:21], 0
	s_branch .LBB54_1788
.LBB54_1786:
	s_mov_b64 s[20:21], -1
                                        ; implicit-def: $vgpr4_vgpr5
	s_branch .LBB54_1791
.LBB54_1787:
	s_mov_b64 s[20:21], -1
                                        ; implicit-def: $vgpr4_vgpr5
.LBB54_1788:
	s_andn2_b64 vcc, exec, s[20:21]
	s_cbranch_vccnz .LBB54_1790
; %bb.1789:
	global_load_ushort v4, v[6:7], off
	s_mov_b32 s20, 0
	s_waitcnt vmcnt(1)
	v_mov_b32_e32 v5, s20
	s_waitcnt vmcnt(0)
	v_and_b32_e32 v4, 0xffff, v4
.LBB54_1790:
	s_mov_b64 s[20:21], 0
.LBB54_1791:
	s_andn2_b64 vcc, exec, s[20:21]
	s_cbranch_vccnz .LBB54_1799
; %bb.1792:
	global_load_ubyte v9, v[6:7], off
	s_movk_i32 s20, 0x7f
	s_mov_b64 s[22:23], 0
	s_waitcnt vmcnt(0)
	v_cmp_lt_i16_e32 vcc, s20, v9
	s_and_saveexec_b64 s[20:21], vcc
	s_xor_b64 s[20:21], exec, s[20:21]
; %bb.1793:
	s_movk_i32 s22, 0x80
	v_cmp_ne_u16_e32 vcc, s22, v9
	s_and_b64 s[22:23], vcc, exec
; %bb.1794:
	s_andn2_saveexec_b64 s[20:21], s[20:21]
; %bb.1795:
	v_cmp_ne_u16_e32 vcc, 0, v9
	s_andn2_b64 s[22:23], s[22:23], exec
	s_and_b64 s[28:29], vcc, exec
	s_or_b64 s[22:23], s[22:23], s[28:29]
; %bb.1796:
	s_or_b64 exec, exec, s[20:21]
	v_mov_b32_e32 v4, 0
	v_mov_b32_e32 v5, 0
	s_and_saveexec_b64 s[20:21], s[22:23]
	s_cbranch_execz .LBB54_1798
; %bb.1797:
	v_and_b32_e32 v5, 0xffff, v9
	v_lshlrev_b32_e32 v4, 24, v9
	v_and_b32_e32 v9, 7, v5
	v_ffbh_u32_e32 v12, v9
	v_min_u32_e32 v12, 32, v12
	v_subrev_u32_e32 v13, 28, v12
	v_bfe_u32 v11, v5, 3, 4
	v_lshlrev_b32_e32 v5, v13, v5
	v_sub_u32_e32 v12, 29, v12
	v_and_b32_e32 v5, 7, v5
	v_cmp_eq_u32_e32 vcc, 0, v11
	v_cndmask_b32_e32 v11, v11, v12, vcc
	v_cndmask_b32_e32 v5, v9, v5, vcc
	v_mov_b32_e32 v9, 0x3b800000
	v_lshlrev_b32_e32 v5, 20, v5
	v_and_b32_e32 v4, 0x80000000, v4
	v_lshl_add_u32 v9, v11, 23, v9
	v_or3_b32 v4, v4, v9, v5
	v_trunc_f32_e32 v4, v4
	s_mov_b32 s22, 0x2f800000
	v_mul_f32_e64 v5, |v4|, s22
	v_floor_f32_e32 v5, v5
	s_mov_b32 s22, 0xcf800000
	v_fma_f32 v9, v5, s22, |v4|
	v_cvt_u32_f32_e32 v9, v9
	v_cvt_u32_f32_e32 v5, v5
	v_ashrrev_i32_e32 v11, 31, v4
	v_xor_b32_e32 v4, v9, v11
	v_xor_b32_e32 v5, v5, v11
	v_sub_co_u32_e32 v4, vcc, v4, v11
	v_subb_co_u32_e32 v5, vcc, v5, v11, vcc
.LBB54_1798:
	s_or_b64 exec, exec, s[20:21]
.LBB54_1799:
	s_mov_b64 s[20:21], -1
.LBB54_1800:
	s_mov_b64 s[22:23], 0
.LBB54_1801:
	s_and_b64 vcc, exec, s[22:23]
	s_cbranch_vccz .LBB54_1830
; %bb.1802:
	s_cmp_gt_i32 s26, 22
	s_cbranch_scc0 .LBB54_1812
; %bb.1803:
	s_cmp_lt_i32 s26, 24
	s_cbranch_scc1 .LBB54_1813
; %bb.1804:
	s_cmp_gt_i32 s26, 24
	s_cbranch_scc0 .LBB54_1814
; %bb.1805:
	global_load_ubyte v9, v[6:7], off
	s_movk_i32 s4, 0x7f
	s_mov_b64 s[20:21], 0
	s_waitcnt vmcnt(0)
	v_cmp_lt_i16_e32 vcc, s4, v9
	s_and_saveexec_b64 s[4:5], vcc
	s_xor_b64 s[4:5], exec, s[4:5]
; %bb.1806:
	s_movk_i32 s20, 0x80
	v_cmp_ne_u16_e32 vcc, s20, v9
	s_and_b64 s[20:21], vcc, exec
; %bb.1807:
	s_andn2_saveexec_b64 s[4:5], s[4:5]
; %bb.1808:
	v_cmp_ne_u16_e32 vcc, 0, v9
	s_andn2_b64 s[20:21], s[20:21], exec
	s_and_b64 s[22:23], vcc, exec
	s_or_b64 s[20:21], s[20:21], s[22:23]
; %bb.1809:
	s_or_b64 exec, exec, s[4:5]
	v_mov_b32_e32 v4, 0
	v_mov_b32_e32 v5, 0
	s_and_saveexec_b64 s[4:5], s[20:21]
	s_cbranch_execz .LBB54_1811
; %bb.1810:
	v_and_b32_e32 v5, 0xffff, v9
	v_lshlrev_b32_e32 v4, 24, v9
	v_and_b32_e32 v9, 3, v5
	v_ffbh_u32_e32 v12, v9
	v_min_u32_e32 v12, 32, v12
	v_subrev_u32_e32 v13, 29, v12
	v_bfe_u32 v11, v5, 2, 5
	v_lshlrev_b32_e32 v5, v13, v5
	v_sub_u32_e32 v12, 30, v12
	v_and_b32_e32 v5, 3, v5
	v_cmp_eq_u32_e32 vcc, 0, v11
	v_cndmask_b32_e32 v11, v11, v12, vcc
	v_cndmask_b32_e32 v5, v9, v5, vcc
	v_mov_b32_e32 v9, 0x37800000
	v_lshlrev_b32_e32 v5, 21, v5
	v_and_b32_e32 v4, 0x80000000, v4
	v_lshl_add_u32 v9, v11, 23, v9
	v_or3_b32 v4, v4, v9, v5
	v_trunc_f32_e32 v4, v4
	s_mov_b32 s20, 0x2f800000
	v_mul_f32_e64 v5, |v4|, s20
	v_floor_f32_e32 v5, v5
	s_mov_b32 s20, 0xcf800000
	v_fma_f32 v9, v5, s20, |v4|
	v_cvt_u32_f32_e32 v9, v9
	v_cvt_u32_f32_e32 v5, v5
	v_ashrrev_i32_e32 v11, 31, v4
	v_xor_b32_e32 v4, v9, v11
	v_xor_b32_e32 v5, v5, v11
	v_sub_co_u32_e32 v4, vcc, v4, v11
	v_subb_co_u32_e32 v5, vcc, v5, v11, vcc
.LBB54_1811:
	s_or_b64 exec, exec, s[4:5]
	s_mov_b64 s[4:5], 0
	s_branch .LBB54_1815
.LBB54_1812:
	s_mov_b64 s[4:5], -1
                                        ; implicit-def: $vgpr4_vgpr5
	s_branch .LBB54_1821
.LBB54_1813:
	s_mov_b64 s[4:5], -1
                                        ; implicit-def: $vgpr4_vgpr5
	s_branch .LBB54_1818
.LBB54_1814:
	s_mov_b64 s[4:5], -1
                                        ; implicit-def: $vgpr4_vgpr5
.LBB54_1815:
	s_and_b64 vcc, exec, s[4:5]
	s_cbranch_vccz .LBB54_1817
; %bb.1816:
	global_load_ubyte v4, v[6:7], off
	s_mov_b32 s4, 0x7f800000
	s_brev_b32 s5, 1
	s_mov_b32 s20, 0x2f800000
	s_mov_b32 s21, 0xcf800000
	s_waitcnt vmcnt(0)
	v_lshlrev_b32_e32 v4, 24, v4
	v_and_b32_e32 v5, 0x7f000000, v4
	v_ffbh_u32_e32 v9, v5
	v_min_u32_e32 v9, 32, v9
	v_sub_u32_e64 v9, v9, 4 clamp
	v_lshlrev_b32_e32 v12, v9, v5
	v_lshlrev_b32_e32 v9, 23, v9
	v_lshrrev_b32_e32 v12, 4, v12
	v_add_u32_e32 v11, 0x1000000, v5
	v_sub_u32_e32 v9, v12, v9
	v_ashrrev_i32_e32 v11, 8, v11
	v_add_u32_e32 v9, 0x3c000000, v9
	v_and_or_b32 v9, v11, s4, v9
	v_cmp_ne_u32_e32 vcc, 0, v5
	v_cndmask_b32_e32 v5, 0, v9, vcc
	v_and_or_b32 v4, v4, s5, v5
	v_trunc_f32_e32 v4, v4
	v_mul_f32_e64 v5, |v4|, s20
	v_floor_f32_e32 v5, v5
	v_fma_f32 v9, v5, s21, |v4|
	v_cvt_u32_f32_e32 v9, v9
	v_cvt_u32_f32_e32 v5, v5
	v_ashrrev_i32_e32 v11, 31, v4
	v_xor_b32_e32 v4, v9, v11
	v_xor_b32_e32 v5, v5, v11
	v_sub_co_u32_e32 v4, vcc, v4, v11
	v_subb_co_u32_e32 v5, vcc, v5, v11, vcc
.LBB54_1817:
	s_mov_b64 s[4:5], 0
.LBB54_1818:
	s_andn2_b64 vcc, exec, s[4:5]
	s_cbranch_vccnz .LBB54_1820
; %bb.1819:
	global_load_ubyte v4, v[6:7], off
	s_movk_i32 s4, 0x7f00
	s_brev_b32 s5, 16
	s_brev_b32 s20, 1
	s_mov_b32 s21, 0x2f800000
	s_mov_b32 s22, 0xcf800000
	s_waitcnt vmcnt(0)
	v_lshlrev_b16_e32 v5, 8, v4
	v_lshlrev_b32_e32 v4, 25, v4
	v_lshrrev_b32_e32 v9, 4, v4
	v_and_or_b32 v11, v5, s4, 0.5
	v_or_b32_e32 v9, 0x70000000, v9
	v_add_f32_e32 v11, -0.5, v11
	v_mul_f32_e32 v9, 0x7800000, v9
	v_cmp_gt_u32_e32 vcc, s5, v4
	v_bfe_i32 v5, v5, 0, 16
	v_cndmask_b32_e32 v4, v9, v11, vcc
	v_and_or_b32 v4, v5, s20, v4
	v_trunc_f32_e32 v4, v4
	v_mul_f32_e64 v5, |v4|, s21
	v_floor_f32_e32 v5, v5
	v_fma_f32 v9, v5, s22, |v4|
	v_cvt_u32_f32_e32 v9, v9
	v_cvt_u32_f32_e32 v5, v5
	v_ashrrev_i32_e32 v11, 31, v4
	v_xor_b32_e32 v4, v9, v11
	v_xor_b32_e32 v5, v5, v11
	v_sub_co_u32_e32 v4, vcc, v4, v11
	v_subb_co_u32_e32 v5, vcc, v5, v11, vcc
.LBB54_1820:
	s_mov_b64 s[4:5], 0
	s_mov_b64 s[20:21], -1
.LBB54_1821:
	s_andn2_b64 vcc, exec, s[4:5]
	s_mov_b64 s[4:5], 0
	s_cbranch_vccnz .LBB54_1830
; %bb.1822:
	s_cmp_gt_i32 s26, 14
	s_cbranch_scc0 .LBB54_1825
; %bb.1823:
	s_cmp_eq_u32 s26, 15
	s_cbranch_scc0 .LBB54_1826
; %bb.1824:
	global_load_ushort v4, v[6:7], off
	s_mov_b32 s0, 0x2f800000
	s_mov_b32 s1, 0xcf800000
	s_mov_b64 s[20:21], -1
	s_waitcnt vmcnt(0)
	v_lshlrev_b32_e32 v4, 16, v4
	v_trunc_f32_e32 v4, v4
	v_mul_f32_e64 v5, |v4|, s0
	v_floor_f32_e32 v5, v5
	v_fma_f32 v9, v5, s1, |v4|
	v_cvt_u32_f32_e32 v9, v9
	v_cvt_u32_f32_e32 v5, v5
	v_ashrrev_i32_e32 v11, 31, v4
	s_mov_b64 s[0:1], 0
	v_xor_b32_e32 v4, v9, v11
	v_xor_b32_e32 v5, v5, v11
	v_sub_co_u32_e32 v4, vcc, v4, v11
	v_subb_co_u32_e32 v5, vcc, v5, v11, vcc
	s_branch .LBB54_1827
.LBB54_1825:
	s_mov_b64 s[22:23], -1
                                        ; implicit-def: $vgpr4_vgpr5
	s_branch .LBB54_1828
.LBB54_1826:
	s_mov_b64 s[0:1], -1
                                        ; implicit-def: $vgpr4_vgpr5
.LBB54_1827:
	s_mov_b64 s[22:23], 0
.LBB54_1828:
	s_and_b64 vcc, exec, s[22:23]
	s_cbranch_vccz .LBB54_1830
; %bb.1829:
	s_cmp_lg_u32 s26, 11
	s_mov_b64 s[4:5], -1
	s_cselect_b64 s[0:1], -1, 0
.LBB54_1830:
	s_and_b64 vcc, exec, s[0:1]
	s_cbranch_vccnz .LBB54_1893
; %bb.1831:
	s_andn2_b64 vcc, exec, s[4:5]
	s_cbranch_vccnz .LBB54_1833
.LBB54_1832:
	global_load_ubyte v4, v[6:7], off
	s_mov_b32 s0, 0
	s_waitcnt vmcnt(1)
	v_mov_b32_e32 v5, s0
	s_mov_b64 s[20:21], -1
	s_waitcnt vmcnt(0)
	v_cmp_ne_u16_e32 vcc, 0, v4
	v_cndmask_b32_e64 v4, 0, 1, vcc
.LBB54_1833:
	s_branch .LBB54_1765
.LBB54_1834:
	s_and_b32 s4, 0xffff, s24
	s_cmp_lt_i32 s4, 5
	s_cbranch_scc1 .LBB54_1839
; %bb.1835:
	s_cmp_lt_i32 s4, 8
	s_cbranch_scc1 .LBB54_1840
; %bb.1836:
	;; [unrolled: 3-line block ×3, first 2 shown]
	s_cmp_gt_i32 s4, 9
	s_cbranch_scc0 .LBB54_1842
; %bb.1838:
	global_load_dwordx2 v[4:5], v[6:7], off
	s_movk_i32 s0, 0xffe0
	s_waitcnt vmcnt(0)
	v_trunc_f64_e32 v[4:5], v[4:5]
	v_ldexp_f64 v[11:12], v[4:5], s0
	s_mov_b32 s0, 0
	s_mov_b32 s1, 0xc1f00000
	v_floor_f64_e32 v[11:12], v[11:12]
	v_fma_f64 v[13:14], v[11:12], s[0:1], v[4:5]
	v_cvt_i32_f64_e32 v5, v[11:12]
	s_mov_b64 s[0:1], 0
	v_cvt_u32_f64_e32 v4, v[13:14]
	s_branch .LBB54_1843
.LBB54_1839:
	s_mov_b64 s[0:1], -1
                                        ; implicit-def: $vgpr4_vgpr5
	s_branch .LBB54_1861
.LBB54_1840:
	s_mov_b64 s[0:1], -1
                                        ; implicit-def: $vgpr4_vgpr5
	s_branch .LBB54_1849
.LBB54_1841:
	s_mov_b64 s[0:1], -1
                                        ; implicit-def: $vgpr4_vgpr5
	s_branch .LBB54_1846
.LBB54_1842:
	s_mov_b64 s[0:1], -1
                                        ; implicit-def: $vgpr4_vgpr5
.LBB54_1843:
	s_andn2_b64 vcc, exec, s[0:1]
	s_cbranch_vccnz .LBB54_1845
; %bb.1844:
	global_load_dword v4, v[6:7], off
	s_mov_b32 s0, 0x2f800000
	s_mov_b32 s1, 0xcf800000
	s_waitcnt vmcnt(0)
	v_trunc_f32_e32 v4, v4
	v_mul_f32_e64 v5, |v4|, s0
	v_floor_f32_e32 v5, v5
	v_cvt_u32_f32_e32 v9, v5
	v_fma_f32 v5, v5, s1, |v4|
	v_cvt_u32_f32_e32 v5, v5
	v_ashrrev_i32_e32 v11, 31, v4
	v_xor_b32_e32 v9, v9, v11
	v_xor_b32_e32 v4, v5, v11
	v_sub_co_u32_e32 v4, vcc, v4, v11
	v_subb_co_u32_e32 v5, vcc, v9, v11, vcc
.LBB54_1845:
	s_mov_b64 s[0:1], 0
.LBB54_1846:
	s_andn2_b64 vcc, exec, s[0:1]
	s_cbranch_vccnz .LBB54_1848
; %bb.1847:
	global_load_dword v4, v[6:7], off
	s_waitcnt vmcnt(0)
	v_cvt_f32_f16_e32 v4, v4
	v_cvt_i32_f32_e32 v4, v4
	v_ashrrev_i32_e32 v5, 31, v4
.LBB54_1848:
	s_mov_b64 s[0:1], 0
.LBB54_1849:
	s_andn2_b64 vcc, exec, s[0:1]
	s_cbranch_vccnz .LBB54_1860
; %bb.1850:
	s_cmp_lt_i32 s4, 6
	s_cbranch_scc1 .LBB54_1853
; %bb.1851:
	s_cmp_gt_i32 s4, 6
	s_cbranch_scc0 .LBB54_1854
; %bb.1852:
	global_load_dwordx2 v[4:5], v[6:7], off
	s_movk_i32 s0, 0xffe0
	s_waitcnt vmcnt(0)
	v_trunc_f64_e32 v[4:5], v[4:5]
	v_ldexp_f64 v[11:12], v[4:5], s0
	s_mov_b32 s0, 0
	s_mov_b32 s1, 0xc1f00000
	v_floor_f64_e32 v[11:12], v[11:12]
	v_fma_f64 v[13:14], v[11:12], s[0:1], v[4:5]
	v_cvt_i32_f64_e32 v5, v[11:12]
	s_mov_b64 s[0:1], 0
	v_cvt_u32_f64_e32 v4, v[13:14]
	s_branch .LBB54_1855
.LBB54_1853:
	s_mov_b64 s[0:1], -1
                                        ; implicit-def: $vgpr4_vgpr5
	s_branch .LBB54_1858
.LBB54_1854:
	s_mov_b64 s[0:1], -1
                                        ; implicit-def: $vgpr4_vgpr5
.LBB54_1855:
	s_andn2_b64 vcc, exec, s[0:1]
	s_cbranch_vccnz .LBB54_1857
; %bb.1856:
	global_load_dword v4, v[6:7], off
	s_mov_b32 s0, 0x2f800000
	s_mov_b32 s1, 0xcf800000
	s_waitcnt vmcnt(0)
	v_trunc_f32_e32 v4, v4
	v_mul_f32_e64 v5, |v4|, s0
	v_floor_f32_e32 v5, v5
	v_cvt_u32_f32_e32 v9, v5
	v_fma_f32 v5, v5, s1, |v4|
	v_cvt_u32_f32_e32 v5, v5
	v_ashrrev_i32_e32 v11, 31, v4
	v_xor_b32_e32 v9, v9, v11
	v_xor_b32_e32 v4, v5, v11
	v_sub_co_u32_e32 v4, vcc, v4, v11
	v_subb_co_u32_e32 v5, vcc, v9, v11, vcc
.LBB54_1857:
	s_mov_b64 s[0:1], 0
.LBB54_1858:
	s_andn2_b64 vcc, exec, s[0:1]
	s_cbranch_vccnz .LBB54_1860
; %bb.1859:
	global_load_ushort v4, v[6:7], off
	s_waitcnt vmcnt(0)
	v_cvt_f32_f16_e32 v4, v4
	v_cvt_i32_f32_e32 v4, v4
	v_ashrrev_i32_e32 v5, 31, v4
.LBB54_1860:
	s_mov_b64 s[0:1], 0
.LBB54_1861:
	s_andn2_b64 vcc, exec, s[0:1]
	s_cbranch_vccnz .LBB54_1881
; %bb.1862:
	s_cmp_lt_i32 s4, 2
	s_cbranch_scc1 .LBB54_1866
; %bb.1863:
	s_cmp_lt_i32 s4, 3
	s_cbranch_scc1 .LBB54_1867
; %bb.1864:
	s_cmp_gt_i32 s4, 3
	s_cbranch_scc0 .LBB54_1868
; %bb.1865:
	global_load_dwordx2 v[4:5], v[6:7], off
	s_mov_b64 s[0:1], 0
	s_branch .LBB54_1869
.LBB54_1866:
	s_mov_b64 s[0:1], -1
                                        ; implicit-def: $vgpr4_vgpr5
	s_branch .LBB54_1875
.LBB54_1867:
	s_mov_b64 s[0:1], -1
                                        ; implicit-def: $vgpr4_vgpr5
	s_branch .LBB54_1872
.LBB54_1868:
	s_mov_b64 s[0:1], -1
                                        ; implicit-def: $vgpr4_vgpr5
.LBB54_1869:
	s_andn2_b64 vcc, exec, s[0:1]
	s_cbranch_vccnz .LBB54_1871
; %bb.1870:
	global_load_dword v4, v[6:7], off
	s_waitcnt vmcnt(0)
	v_ashrrev_i32_e32 v5, 31, v4
.LBB54_1871:
	s_mov_b64 s[0:1], 0
.LBB54_1872:
	s_andn2_b64 vcc, exec, s[0:1]
	s_cbranch_vccnz .LBB54_1874
; %bb.1873:
	global_load_ushort v4, v[6:7], off
	s_waitcnt vmcnt(0)
	v_bfe_i32 v4, v4, 0, 16
	v_ashrrev_i32_e32 v5, 31, v4
.LBB54_1874:
	s_mov_b64 s[0:1], 0
.LBB54_1875:
	s_andn2_b64 vcc, exec, s[0:1]
	s_cbranch_vccnz .LBB54_1881
; %bb.1876:
	s_cmp_gt_i32 s4, 0
	s_cbranch_scc0 .LBB54_1878
; %bb.1877:
	global_load_sbyte v4, v[6:7], off
	s_mov_b64 s[0:1], 0
	s_waitcnt vmcnt(0)
	v_bfe_i32 v4, v4, 0, 16
	v_ashrrev_i32_e32 v5, 31, v4
	s_branch .LBB54_1879
.LBB54_1878:
	s_mov_b64 s[0:1], -1
                                        ; implicit-def: $vgpr4_vgpr5
.LBB54_1879:
	s_andn2_b64 vcc, exec, s[0:1]
	s_cbranch_vccnz .LBB54_1881
; %bb.1880:
	global_load_ubyte v4, v[6:7], off
	s_mov_b32 s0, 0
	s_waitcnt vmcnt(1)
	v_mov_b32_e32 v5, s0
	s_waitcnt vmcnt(0)
	v_and_b32_e32 v4, 0xffff, v4
.LBB54_1881:
.LBB54_1882:
	s_lshl_b32 s14, s14, 7
	v_add_u32_e32 v12, s14, v8
	v_ashrrev_i32_e32 v6, 31, v12
	v_mov_b32_e32 v7, s3
	v_add_co_u32_e32 v8, vcc, s2, v12
	s_cmp_lt_i32 s25, 11
	v_addc_co_u32_e32 v9, vcc, v7, v6, vcc
	s_cbranch_scc1 .LBB54_1889
; %bb.1883:
	s_and_b32 s26, 0xffff, s25
	s_cmp_gt_i32 s26, 25
	s_mov_b64 s[4:5], 0
	s_cbranch_scc0 .LBB54_1890
; %bb.1884:
	s_cmp_gt_i32 s26, 28
	s_cbranch_scc0 .LBB54_1891
; %bb.1885:
	s_cmp_gt_i32 s26, 43
	;; [unrolled: 3-line block ×3, first 2 shown]
	s_cbranch_scc0 .LBB54_1894
; %bb.1887:
	s_cmp_eq_u32 s26, 46
	s_mov_b64 s[22:23], 0
	s_cbranch_scc0 .LBB54_1895
; %bb.1888:
	global_load_dword v6, v[8:9], off
	s_mov_b32 s0, 0x2f800000
	s_mov_b32 s1, 0xcf800000
	s_mov_b64 s[20:21], -1
	s_waitcnt vmcnt(0)
	v_lshlrev_b32_e32 v6, 16, v6
	v_trunc_f32_e32 v6, v6
	v_mul_f32_e64 v7, |v6|, s0
	v_floor_f32_e32 v7, v7
	v_fma_f32 v11, v7, s1, |v6|
	v_cvt_u32_f32_e32 v11, v11
	v_cvt_u32_f32_e32 v7, v7
	v_ashrrev_i32_e32 v13, 31, v6
	s_mov_b64 s[0:1], 0
	v_xor_b32_e32 v6, v11, v13
	v_xor_b32_e32 v7, v7, v13
	v_sub_co_u32_e32 v6, vcc, v6, v13
	v_subb_co_u32_e32 v7, vcc, v7, v13, vcc
	s_branch .LBB54_1896
.LBB54_1889:
	s_mov_b64 s[0:1], -1
	s_mov_b64 s[20:21], 0
                                        ; implicit-def: $vgpr6_vgpr7
	s_branch .LBB54_1958
.LBB54_1890:
	s_mov_b64 s[22:23], -1
	s_mov_b64 s[20:21], 0
	s_mov_b64 s[0:1], 0
                                        ; implicit-def: $vgpr6_vgpr7
	s_branch .LBB54_1925
.LBB54_1891:
	s_mov_b64 s[22:23], -1
	s_mov_b64 s[20:21], 0
	s_mov_b64 s[0:1], 0
                                        ; implicit-def: $vgpr6_vgpr7
	s_branch .LBB54_1906
.LBB54_1892:
	s_mov_b64 s[22:23], -1
	s_mov_b64 s[20:21], 0
	s_mov_b64 s[0:1], 0
                                        ; implicit-def: $vgpr6_vgpr7
	s_branch .LBB54_1901
.LBB54_1893:
	s_trap 2
	s_or_b64 s[18:19], s[18:19], exec
	s_cbranch_execz .LBB54_1832
	s_branch .LBB54_1833
.LBB54_1894:
	s_mov_b64 s[22:23], -1
	s_mov_b64 s[20:21], 0
	s_mov_b64 s[0:1], 0
                                        ; implicit-def: $vgpr6_vgpr7
	s_branch .LBB54_1896
.LBB54_1895:
	s_mov_b64 s[0:1], -1
                                        ; implicit-def: $vgpr6_vgpr7
	s_mov_b64 s[20:21], 0
.LBB54_1896:
	s_and_b64 vcc, exec, s[22:23]
	s_cbranch_vccz .LBB54_1900
; %bb.1897:
	s_cmp_eq_u32 s26, 44
	s_cbranch_scc0 .LBB54_1899
; %bb.1898:
	global_load_ubyte v6, v[8:9], off
	s_mov_b32 s0, 0x2f800000
	s_mov_b32 s1, 0xcf800000
	s_mov_b64 s[20:21], -1
	s_waitcnt vmcnt(0)
	v_lshlrev_b32_e32 v7, 23, v6
	v_trunc_f32_e32 v7, v7
	v_mul_f32_e64 v11, |v7|, s0
	v_floor_f32_e32 v11, v11
	v_fma_f32 v13, v11, s1, |v7|
	v_cvt_u32_f32_e32 v13, v13
	v_cvt_u32_f32_e32 v11, v11
	v_ashrrev_i32_e32 v7, 31, v7
	s_mov_b64 s[0:1], 0
	v_xor_b32_e32 v13, v13, v7
	v_xor_b32_e32 v11, v11, v7
	v_sub_co_u32_e32 v13, vcc, v13, v7
	v_subb_co_u32_e32 v7, vcc, v11, v7, vcc
	v_cmp_ne_u32_e32 vcc, 0, v6
	v_cndmask_b32_e32 v7, 0, v7, vcc
	v_cndmask_b32_e32 v6, 0, v13, vcc
	s_branch .LBB54_1900
.LBB54_1899:
	s_mov_b64 s[0:1], -1
                                        ; implicit-def: $vgpr6_vgpr7
.LBB54_1900:
	s_mov_b64 s[22:23], 0
.LBB54_1901:
	s_and_b64 vcc, exec, s[22:23]
	s_cbranch_vccz .LBB54_1905
; %bb.1902:
	s_cmp_eq_u32 s26, 29
	s_cbranch_scc0 .LBB54_1904
; %bb.1903:
	global_load_dwordx2 v[6:7], v[8:9], off
	s_mov_b64 s[0:1], 0
	s_mov_b64 s[20:21], -1
	s_branch .LBB54_1905
.LBB54_1904:
	s_mov_b64 s[0:1], -1
                                        ; implicit-def: $vgpr6_vgpr7
.LBB54_1905:
	s_mov_b64 s[22:23], 0
.LBB54_1906:
	s_and_b64 vcc, exec, s[22:23]
	s_cbranch_vccz .LBB54_1924
; %bb.1907:
	s_cmp_lt_i32 s26, 27
	s_cbranch_scc1 .LBB54_1910
; %bb.1908:
	s_cmp_gt_i32 s26, 27
	s_cbranch_scc0 .LBB54_1911
; %bb.1909:
	global_load_dword v6, v[8:9], off
	s_waitcnt vmcnt(1)
	v_mov_b32_e32 v7, 0
	s_mov_b64 s[20:21], 0
	s_branch .LBB54_1912
.LBB54_1910:
	s_mov_b64 s[20:21], -1
                                        ; implicit-def: $vgpr6_vgpr7
	s_branch .LBB54_1915
.LBB54_1911:
	s_mov_b64 s[20:21], -1
                                        ; implicit-def: $vgpr6_vgpr7
.LBB54_1912:
	s_andn2_b64 vcc, exec, s[20:21]
	s_cbranch_vccnz .LBB54_1914
; %bb.1913:
	global_load_ushort v6, v[8:9], off
	s_mov_b32 s20, 0
	s_waitcnt vmcnt(1)
	v_mov_b32_e32 v7, s20
	s_waitcnt vmcnt(0)
	v_and_b32_e32 v6, 0xffff, v6
.LBB54_1914:
	s_mov_b64 s[20:21], 0
.LBB54_1915:
	s_andn2_b64 vcc, exec, s[20:21]
	s_cbranch_vccnz .LBB54_1923
; %bb.1916:
	global_load_ubyte v11, v[8:9], off
	s_movk_i32 s20, 0x7f
	s_mov_b64 s[22:23], 0
	s_waitcnt vmcnt(0)
	v_cmp_lt_i16_e32 vcc, s20, v11
	s_and_saveexec_b64 s[20:21], vcc
	s_xor_b64 s[20:21], exec, s[20:21]
; %bb.1917:
	s_movk_i32 s22, 0x80
	v_cmp_ne_u16_e32 vcc, s22, v11
	s_and_b64 s[22:23], vcc, exec
; %bb.1918:
	s_andn2_saveexec_b64 s[20:21], s[20:21]
; %bb.1919:
	v_cmp_ne_u16_e32 vcc, 0, v11
	s_andn2_b64 s[22:23], s[22:23], exec
	s_and_b64 s[28:29], vcc, exec
	s_or_b64 s[22:23], s[22:23], s[28:29]
; %bb.1920:
	s_or_b64 exec, exec, s[20:21]
	v_mov_b32_e32 v6, 0
	v_mov_b32_e32 v7, 0
	s_and_saveexec_b64 s[20:21], s[22:23]
	s_cbranch_execz .LBB54_1922
; %bb.1921:
	v_and_b32_e32 v7, 0xffff, v11
	v_lshlrev_b32_e32 v6, 24, v11
	v_and_b32_e32 v11, 7, v7
	v_ffbh_u32_e32 v14, v11
	v_min_u32_e32 v14, 32, v14
	v_subrev_u32_e32 v15, 28, v14
	v_bfe_u32 v13, v7, 3, 4
	v_lshlrev_b32_e32 v7, v15, v7
	v_sub_u32_e32 v14, 29, v14
	v_and_b32_e32 v7, 7, v7
	v_cmp_eq_u32_e32 vcc, 0, v13
	v_cndmask_b32_e32 v13, v13, v14, vcc
	v_cndmask_b32_e32 v7, v11, v7, vcc
	v_mov_b32_e32 v11, 0x3b800000
	v_lshlrev_b32_e32 v7, 20, v7
	v_and_b32_e32 v6, 0x80000000, v6
	v_lshl_add_u32 v11, v13, 23, v11
	v_or3_b32 v6, v6, v11, v7
	v_trunc_f32_e32 v6, v6
	s_mov_b32 s22, 0x2f800000
	v_mul_f32_e64 v7, |v6|, s22
	v_floor_f32_e32 v7, v7
	s_mov_b32 s22, 0xcf800000
	v_fma_f32 v11, v7, s22, |v6|
	v_cvt_u32_f32_e32 v11, v11
	v_cvt_u32_f32_e32 v7, v7
	v_ashrrev_i32_e32 v13, 31, v6
	v_xor_b32_e32 v6, v11, v13
	v_xor_b32_e32 v7, v7, v13
	v_sub_co_u32_e32 v6, vcc, v6, v13
	v_subb_co_u32_e32 v7, vcc, v7, v13, vcc
.LBB54_1922:
	s_or_b64 exec, exec, s[20:21]
.LBB54_1923:
	s_mov_b64 s[20:21], -1
.LBB54_1924:
	s_mov_b64 s[22:23], 0
.LBB54_1925:
	s_and_b64 vcc, exec, s[22:23]
	s_cbranch_vccz .LBB54_1954
; %bb.1926:
	s_cmp_gt_i32 s26, 22
	s_cbranch_scc0 .LBB54_1936
; %bb.1927:
	s_cmp_lt_i32 s26, 24
	s_cbranch_scc1 .LBB54_1937
; %bb.1928:
	s_cmp_gt_i32 s26, 24
	s_cbranch_scc0 .LBB54_1938
; %bb.1929:
	global_load_ubyte v11, v[8:9], off
	s_movk_i32 s4, 0x7f
	s_mov_b64 s[20:21], 0
	s_waitcnt vmcnt(0)
	v_cmp_lt_i16_e32 vcc, s4, v11
	s_and_saveexec_b64 s[4:5], vcc
	s_xor_b64 s[4:5], exec, s[4:5]
; %bb.1930:
	s_movk_i32 s20, 0x80
	v_cmp_ne_u16_e32 vcc, s20, v11
	s_and_b64 s[20:21], vcc, exec
; %bb.1931:
	s_andn2_saveexec_b64 s[4:5], s[4:5]
; %bb.1932:
	v_cmp_ne_u16_e32 vcc, 0, v11
	s_andn2_b64 s[20:21], s[20:21], exec
	s_and_b64 s[22:23], vcc, exec
	s_or_b64 s[20:21], s[20:21], s[22:23]
; %bb.1933:
	s_or_b64 exec, exec, s[4:5]
	v_mov_b32_e32 v6, 0
	v_mov_b32_e32 v7, 0
	s_and_saveexec_b64 s[4:5], s[20:21]
	s_cbranch_execz .LBB54_1935
; %bb.1934:
	v_and_b32_e32 v7, 0xffff, v11
	v_lshlrev_b32_e32 v6, 24, v11
	v_and_b32_e32 v11, 3, v7
	v_ffbh_u32_e32 v14, v11
	v_min_u32_e32 v14, 32, v14
	v_subrev_u32_e32 v15, 29, v14
	v_bfe_u32 v13, v7, 2, 5
	v_lshlrev_b32_e32 v7, v15, v7
	v_sub_u32_e32 v14, 30, v14
	v_and_b32_e32 v7, 3, v7
	v_cmp_eq_u32_e32 vcc, 0, v13
	v_cndmask_b32_e32 v13, v13, v14, vcc
	v_cndmask_b32_e32 v7, v11, v7, vcc
	v_mov_b32_e32 v11, 0x37800000
	v_lshlrev_b32_e32 v7, 21, v7
	v_and_b32_e32 v6, 0x80000000, v6
	v_lshl_add_u32 v11, v13, 23, v11
	v_or3_b32 v6, v6, v11, v7
	v_trunc_f32_e32 v6, v6
	s_mov_b32 s20, 0x2f800000
	v_mul_f32_e64 v7, |v6|, s20
	v_floor_f32_e32 v7, v7
	s_mov_b32 s20, 0xcf800000
	v_fma_f32 v11, v7, s20, |v6|
	v_cvt_u32_f32_e32 v11, v11
	v_cvt_u32_f32_e32 v7, v7
	v_ashrrev_i32_e32 v13, 31, v6
	v_xor_b32_e32 v6, v11, v13
	v_xor_b32_e32 v7, v7, v13
	v_sub_co_u32_e32 v6, vcc, v6, v13
	v_subb_co_u32_e32 v7, vcc, v7, v13, vcc
.LBB54_1935:
	s_or_b64 exec, exec, s[4:5]
	s_mov_b64 s[4:5], 0
	s_branch .LBB54_1939
.LBB54_1936:
	s_mov_b64 s[4:5], -1
                                        ; implicit-def: $vgpr6_vgpr7
	s_branch .LBB54_1945
.LBB54_1937:
	s_mov_b64 s[4:5], -1
                                        ; implicit-def: $vgpr6_vgpr7
	s_branch .LBB54_1942
.LBB54_1938:
	s_mov_b64 s[4:5], -1
                                        ; implicit-def: $vgpr6_vgpr7
.LBB54_1939:
	s_and_b64 vcc, exec, s[4:5]
	s_cbranch_vccz .LBB54_1941
; %bb.1940:
	global_load_ubyte v6, v[8:9], off
	s_mov_b32 s4, 0x7f800000
	s_brev_b32 s5, 1
	s_mov_b32 s20, 0x2f800000
	s_mov_b32 s21, 0xcf800000
	s_waitcnt vmcnt(0)
	v_lshlrev_b32_e32 v6, 24, v6
	v_and_b32_e32 v7, 0x7f000000, v6
	v_ffbh_u32_e32 v11, v7
	v_min_u32_e32 v11, 32, v11
	v_sub_u32_e64 v11, v11, 4 clamp
	v_lshlrev_b32_e32 v14, v11, v7
	v_lshlrev_b32_e32 v11, 23, v11
	v_lshrrev_b32_e32 v14, 4, v14
	v_add_u32_e32 v13, 0x1000000, v7
	v_sub_u32_e32 v11, v14, v11
	v_ashrrev_i32_e32 v13, 8, v13
	v_add_u32_e32 v11, 0x3c000000, v11
	v_and_or_b32 v11, v13, s4, v11
	v_cmp_ne_u32_e32 vcc, 0, v7
	v_cndmask_b32_e32 v7, 0, v11, vcc
	v_and_or_b32 v6, v6, s5, v7
	v_trunc_f32_e32 v6, v6
	v_mul_f32_e64 v7, |v6|, s20
	v_floor_f32_e32 v7, v7
	v_fma_f32 v11, v7, s21, |v6|
	v_cvt_u32_f32_e32 v11, v11
	v_cvt_u32_f32_e32 v7, v7
	v_ashrrev_i32_e32 v13, 31, v6
	v_xor_b32_e32 v6, v11, v13
	v_xor_b32_e32 v7, v7, v13
	v_sub_co_u32_e32 v6, vcc, v6, v13
	v_subb_co_u32_e32 v7, vcc, v7, v13, vcc
.LBB54_1941:
	s_mov_b64 s[4:5], 0
.LBB54_1942:
	s_andn2_b64 vcc, exec, s[4:5]
	s_cbranch_vccnz .LBB54_1944
; %bb.1943:
	global_load_ubyte v6, v[8:9], off
	s_movk_i32 s4, 0x7f00
	s_brev_b32 s5, 16
	s_brev_b32 s20, 1
	s_mov_b32 s21, 0x2f800000
	s_mov_b32 s22, 0xcf800000
	s_waitcnt vmcnt(0)
	v_lshlrev_b16_e32 v7, 8, v6
	v_lshlrev_b32_e32 v6, 25, v6
	v_lshrrev_b32_e32 v11, 4, v6
	v_and_or_b32 v13, v7, s4, 0.5
	v_or_b32_e32 v11, 0x70000000, v11
	v_add_f32_e32 v13, -0.5, v13
	v_mul_f32_e32 v11, 0x7800000, v11
	v_cmp_gt_u32_e32 vcc, s5, v6
	v_bfe_i32 v7, v7, 0, 16
	v_cndmask_b32_e32 v6, v11, v13, vcc
	v_and_or_b32 v6, v7, s20, v6
	v_trunc_f32_e32 v6, v6
	v_mul_f32_e64 v7, |v6|, s21
	v_floor_f32_e32 v7, v7
	v_fma_f32 v11, v7, s22, |v6|
	v_cvt_u32_f32_e32 v11, v11
	v_cvt_u32_f32_e32 v7, v7
	v_ashrrev_i32_e32 v13, 31, v6
	v_xor_b32_e32 v6, v11, v13
	v_xor_b32_e32 v7, v7, v13
	v_sub_co_u32_e32 v6, vcc, v6, v13
	v_subb_co_u32_e32 v7, vcc, v7, v13, vcc
.LBB54_1944:
	s_mov_b64 s[4:5], 0
	s_mov_b64 s[20:21], -1
.LBB54_1945:
	s_andn2_b64 vcc, exec, s[4:5]
	s_mov_b64 s[4:5], 0
	s_cbranch_vccnz .LBB54_1954
; %bb.1946:
	s_cmp_gt_i32 s26, 14
	s_cbranch_scc0 .LBB54_1949
; %bb.1947:
	s_cmp_eq_u32 s26, 15
	s_cbranch_scc0 .LBB54_1950
; %bb.1948:
	global_load_ushort v6, v[8:9], off
	s_mov_b32 s0, 0x2f800000
	s_mov_b32 s1, 0xcf800000
	s_mov_b64 s[20:21], -1
	s_waitcnt vmcnt(0)
	v_lshlrev_b32_e32 v6, 16, v6
	v_trunc_f32_e32 v6, v6
	v_mul_f32_e64 v7, |v6|, s0
	v_floor_f32_e32 v7, v7
	v_fma_f32 v11, v7, s1, |v6|
	v_cvt_u32_f32_e32 v11, v11
	v_cvt_u32_f32_e32 v7, v7
	v_ashrrev_i32_e32 v13, 31, v6
	s_mov_b64 s[0:1], 0
	v_xor_b32_e32 v6, v11, v13
	v_xor_b32_e32 v7, v7, v13
	v_sub_co_u32_e32 v6, vcc, v6, v13
	v_subb_co_u32_e32 v7, vcc, v7, v13, vcc
	s_branch .LBB54_1951
.LBB54_1949:
	s_mov_b64 s[22:23], -1
                                        ; implicit-def: $vgpr6_vgpr7
	s_branch .LBB54_1952
.LBB54_1950:
	s_mov_b64 s[0:1], -1
                                        ; implicit-def: $vgpr6_vgpr7
.LBB54_1951:
	s_mov_b64 s[22:23], 0
.LBB54_1952:
	s_and_b64 vcc, exec, s[22:23]
	s_cbranch_vccz .LBB54_1954
; %bb.1953:
	s_cmp_lg_u32 s26, 11
	s_mov_b64 s[4:5], -1
	s_cselect_b64 s[0:1], -1, 0
.LBB54_1954:
	s_and_b64 vcc, exec, s[0:1]
	s_cbranch_vccnz .LBB54_2019
; %bb.1955:
	s_andn2_b64 vcc, exec, s[4:5]
	s_cbranch_vccnz .LBB54_1957
.LBB54_1956:
	global_load_ubyte v6, v[8:9], off
	s_mov_b32 s0, 0
	s_waitcnt vmcnt(1)
	v_mov_b32_e32 v7, s0
	s_mov_b64 s[20:21], -1
	s_waitcnt vmcnt(0)
	v_cmp_ne_u16_e32 vcc, 0, v6
	v_cndmask_b32_e64 v6, 0, 1, vcc
.LBB54_1957:
	s_mov_b64 s[0:1], 0
.LBB54_1958:
	s_and_b64 vcc, exec, s[0:1]
	s_cbranch_vccz .LBB54_2007
; %bb.1959:
	s_and_b32 s4, 0xffff, s25
	s_cmp_lt_i32 s4, 5
	s_cbranch_scc1 .LBB54_1964
; %bb.1960:
	s_cmp_lt_i32 s4, 8
	s_cbranch_scc1 .LBB54_1965
; %bb.1961:
	;; [unrolled: 3-line block ×3, first 2 shown]
	s_cmp_gt_i32 s4, 9
	s_cbranch_scc0 .LBB54_1967
; %bb.1963:
	global_load_dwordx2 v[6:7], v[8:9], off
	s_movk_i32 s0, 0xffe0
	s_waitcnt vmcnt(0)
	v_trunc_f64_e32 v[6:7], v[6:7]
	v_ldexp_f64 v[13:14], v[6:7], s0
	s_mov_b32 s0, 0
	s_mov_b32 s1, 0xc1f00000
	v_floor_f64_e32 v[13:14], v[13:14]
	v_fma_f64 v[15:16], v[13:14], s[0:1], v[6:7]
	v_cvt_i32_f64_e32 v7, v[13:14]
	s_mov_b64 s[0:1], 0
	v_cvt_u32_f64_e32 v6, v[15:16]
	s_branch .LBB54_1968
.LBB54_1964:
	s_mov_b64 s[0:1], -1
                                        ; implicit-def: $vgpr6_vgpr7
	s_branch .LBB54_1986
.LBB54_1965:
	s_mov_b64 s[0:1], -1
                                        ; implicit-def: $vgpr6_vgpr7
	s_branch .LBB54_1974
.LBB54_1966:
	s_mov_b64 s[0:1], -1
                                        ; implicit-def: $vgpr6_vgpr7
	s_branch .LBB54_1971
.LBB54_1967:
	s_mov_b64 s[0:1], -1
                                        ; implicit-def: $vgpr6_vgpr7
.LBB54_1968:
	s_andn2_b64 vcc, exec, s[0:1]
	s_cbranch_vccnz .LBB54_1970
; %bb.1969:
	global_load_dword v6, v[8:9], off
	s_mov_b32 s0, 0x2f800000
	s_mov_b32 s1, 0xcf800000
	s_waitcnt vmcnt(0)
	v_trunc_f32_e32 v6, v6
	v_mul_f32_e64 v7, |v6|, s0
	v_floor_f32_e32 v7, v7
	v_cvt_u32_f32_e32 v11, v7
	v_fma_f32 v7, v7, s1, |v6|
	v_cvt_u32_f32_e32 v7, v7
	v_ashrrev_i32_e32 v13, 31, v6
	v_xor_b32_e32 v11, v11, v13
	v_xor_b32_e32 v6, v7, v13
	v_sub_co_u32_e32 v6, vcc, v6, v13
	v_subb_co_u32_e32 v7, vcc, v11, v13, vcc
.LBB54_1970:
	s_mov_b64 s[0:1], 0
.LBB54_1971:
	s_andn2_b64 vcc, exec, s[0:1]
	s_cbranch_vccnz .LBB54_1973
; %bb.1972:
	global_load_dword v6, v[8:9], off
	s_waitcnt vmcnt(0)
	v_cvt_f32_f16_e32 v6, v6
	v_cvt_i32_f32_e32 v6, v6
	v_ashrrev_i32_e32 v7, 31, v6
.LBB54_1973:
	s_mov_b64 s[0:1], 0
.LBB54_1974:
	s_andn2_b64 vcc, exec, s[0:1]
	s_cbranch_vccnz .LBB54_1985
; %bb.1975:
	s_cmp_lt_i32 s4, 6
	s_cbranch_scc1 .LBB54_1978
; %bb.1976:
	s_cmp_gt_i32 s4, 6
	s_cbranch_scc0 .LBB54_1979
; %bb.1977:
	global_load_dwordx2 v[6:7], v[8:9], off
	s_movk_i32 s0, 0xffe0
	s_waitcnt vmcnt(0)
	v_trunc_f64_e32 v[6:7], v[6:7]
	v_ldexp_f64 v[13:14], v[6:7], s0
	s_mov_b32 s0, 0
	s_mov_b32 s1, 0xc1f00000
	v_floor_f64_e32 v[13:14], v[13:14]
	v_fma_f64 v[15:16], v[13:14], s[0:1], v[6:7]
	v_cvt_i32_f64_e32 v7, v[13:14]
	s_mov_b64 s[0:1], 0
	v_cvt_u32_f64_e32 v6, v[15:16]
	s_branch .LBB54_1980
.LBB54_1978:
	s_mov_b64 s[0:1], -1
                                        ; implicit-def: $vgpr6_vgpr7
	s_branch .LBB54_1983
.LBB54_1979:
	s_mov_b64 s[0:1], -1
                                        ; implicit-def: $vgpr6_vgpr7
.LBB54_1980:
	s_andn2_b64 vcc, exec, s[0:1]
	s_cbranch_vccnz .LBB54_1982
; %bb.1981:
	global_load_dword v6, v[8:9], off
	s_mov_b32 s0, 0x2f800000
	s_mov_b32 s1, 0xcf800000
	s_waitcnt vmcnt(0)
	v_trunc_f32_e32 v6, v6
	v_mul_f32_e64 v7, |v6|, s0
	v_floor_f32_e32 v7, v7
	v_cvt_u32_f32_e32 v11, v7
	v_fma_f32 v7, v7, s1, |v6|
	v_cvt_u32_f32_e32 v7, v7
	v_ashrrev_i32_e32 v13, 31, v6
	v_xor_b32_e32 v11, v11, v13
	v_xor_b32_e32 v6, v7, v13
	v_sub_co_u32_e32 v6, vcc, v6, v13
	v_subb_co_u32_e32 v7, vcc, v11, v13, vcc
.LBB54_1982:
	s_mov_b64 s[0:1], 0
.LBB54_1983:
	s_andn2_b64 vcc, exec, s[0:1]
	s_cbranch_vccnz .LBB54_1985
; %bb.1984:
	global_load_ushort v6, v[8:9], off
	s_waitcnt vmcnt(0)
	v_cvt_f32_f16_e32 v6, v6
	v_cvt_i32_f32_e32 v6, v6
	v_ashrrev_i32_e32 v7, 31, v6
.LBB54_1985:
	s_mov_b64 s[0:1], 0
.LBB54_1986:
	s_andn2_b64 vcc, exec, s[0:1]
	s_cbranch_vccnz .LBB54_2006
; %bb.1987:
	s_cmp_lt_i32 s4, 2
	s_cbranch_scc1 .LBB54_1991
; %bb.1988:
	s_cmp_lt_i32 s4, 3
	s_cbranch_scc1 .LBB54_1992
; %bb.1989:
	s_cmp_gt_i32 s4, 3
	s_cbranch_scc0 .LBB54_1993
; %bb.1990:
	global_load_dwordx2 v[6:7], v[8:9], off
	s_mov_b64 s[0:1], 0
	s_branch .LBB54_1994
.LBB54_1991:
	s_mov_b64 s[0:1], -1
                                        ; implicit-def: $vgpr6_vgpr7
	s_branch .LBB54_2000
.LBB54_1992:
	s_mov_b64 s[0:1], -1
                                        ; implicit-def: $vgpr6_vgpr7
	s_branch .LBB54_1997
.LBB54_1993:
	s_mov_b64 s[0:1], -1
                                        ; implicit-def: $vgpr6_vgpr7
.LBB54_1994:
	s_andn2_b64 vcc, exec, s[0:1]
	s_cbranch_vccnz .LBB54_1996
; %bb.1995:
	global_load_dword v6, v[8:9], off
	s_waitcnt vmcnt(0)
	v_ashrrev_i32_e32 v7, 31, v6
.LBB54_1996:
	s_mov_b64 s[0:1], 0
.LBB54_1997:
	s_andn2_b64 vcc, exec, s[0:1]
	s_cbranch_vccnz .LBB54_1999
; %bb.1998:
	global_load_ushort v6, v[8:9], off
	s_waitcnt vmcnt(0)
	v_bfe_i32 v6, v6, 0, 16
	v_ashrrev_i32_e32 v7, 31, v6
.LBB54_1999:
	s_mov_b64 s[0:1], 0
.LBB54_2000:
	s_andn2_b64 vcc, exec, s[0:1]
	s_cbranch_vccnz .LBB54_2006
; %bb.2001:
	s_cmp_gt_i32 s4, 0
	s_cbranch_scc0 .LBB54_2003
; %bb.2002:
	global_load_sbyte v6, v[8:9], off
	s_mov_b64 s[0:1], 0
	s_waitcnt vmcnt(0)
	v_bfe_i32 v6, v6, 0, 16
	v_ashrrev_i32_e32 v7, 31, v6
	s_branch .LBB54_2004
.LBB54_2003:
	s_mov_b64 s[0:1], -1
                                        ; implicit-def: $vgpr6_vgpr7
.LBB54_2004:
	s_andn2_b64 vcc, exec, s[0:1]
	s_cbranch_vccnz .LBB54_2006
; %bb.2005:
	global_load_ubyte v6, v[8:9], off
	s_mov_b32 s0, 0
	s_waitcnt vmcnt(1)
	v_mov_b32_e32 v7, s0
	s_waitcnt vmcnt(0)
	v_and_b32_e32 v6, 0xffff, v6
.LBB54_2006:
	s_mov_b64 s[20:21], -1
.LBB54_2007:
	s_andn2_b64 vcc, exec, s[20:21]
	s_cbranch_vccnz .LBB54_2947
; %bb.2008:
	v_add_u32_e32 v14, s13, v10
	v_ashrrev_i32_e32 v8, 31, v14
	v_mov_b32_e32 v9, s11
	v_add_co_u32_e32 v10, vcc, s10, v14
	s_cmp_lt_i32 s24, 11
	v_addc_co_u32_e32 v11, vcc, v9, v8, vcc
	s_cbranch_scc1 .LBB54_2015
; %bb.2009:
	s_and_b32 s26, 0xffff, s24
	s_cmp_gt_i32 s26, 25
	s_mov_b64 s[4:5], 0
	s_cbranch_scc0 .LBB54_2016
; %bb.2010:
	s_cmp_gt_i32 s26, 28
	s_cbranch_scc0 .LBB54_2017
; %bb.2011:
	s_cmp_gt_i32 s26, 43
	;; [unrolled: 3-line block ×3, first 2 shown]
	s_cbranch_scc0 .LBB54_2020
; %bb.2013:
	s_cmp_eq_u32 s26, 46
	s_mov_b64 s[22:23], 0
	s_cbranch_scc0 .LBB54_2021
; %bb.2014:
	global_load_dword v8, v[10:11], off
	s_mov_b32 s0, 0x2f800000
	s_mov_b32 s1, 0xcf800000
	s_mov_b64 s[20:21], -1
	s_waitcnt vmcnt(0)
	v_lshlrev_b32_e32 v8, 16, v8
	v_trunc_f32_e32 v8, v8
	v_mul_f32_e64 v9, |v8|, s0
	v_floor_f32_e32 v9, v9
	v_fma_f32 v13, v9, s1, |v8|
	v_cvt_u32_f32_e32 v13, v13
	v_cvt_u32_f32_e32 v9, v9
	v_ashrrev_i32_e32 v15, 31, v8
	s_mov_b64 s[0:1], 0
	v_xor_b32_e32 v8, v13, v15
	v_xor_b32_e32 v9, v9, v15
	v_sub_co_u32_e32 v8, vcc, v8, v15
	v_subb_co_u32_e32 v9, vcc, v9, v15, vcc
	s_branch .LBB54_2022
.LBB54_2015:
	s_mov_b64 s[0:1], -1
	s_mov_b64 s[20:21], 0
                                        ; implicit-def: $vgpr8_vgpr9
	s_branch .LBB54_2084
.LBB54_2016:
	s_mov_b64 s[22:23], -1
	s_mov_b64 s[20:21], 0
	s_mov_b64 s[0:1], 0
                                        ; implicit-def: $vgpr8_vgpr9
	s_branch .LBB54_2051
.LBB54_2017:
	s_mov_b64 s[22:23], -1
	s_mov_b64 s[20:21], 0
	s_mov_b64 s[0:1], 0
                                        ; implicit-def: $vgpr8_vgpr9
	s_branch .LBB54_2032
.LBB54_2018:
	s_mov_b64 s[22:23], -1
	s_mov_b64 s[20:21], 0
	s_mov_b64 s[0:1], 0
                                        ; implicit-def: $vgpr8_vgpr9
	s_branch .LBB54_2027
.LBB54_2019:
	s_trap 2
	s_or_b64 s[18:19], s[18:19], exec
	s_cbranch_execz .LBB54_1956
	s_branch .LBB54_1957
.LBB54_2020:
	s_mov_b64 s[22:23], -1
	s_mov_b64 s[20:21], 0
	s_mov_b64 s[0:1], 0
                                        ; implicit-def: $vgpr8_vgpr9
	s_branch .LBB54_2022
.LBB54_2021:
	s_mov_b64 s[0:1], -1
                                        ; implicit-def: $vgpr8_vgpr9
	s_mov_b64 s[20:21], 0
.LBB54_2022:
	s_and_b64 vcc, exec, s[22:23]
	s_cbranch_vccz .LBB54_2026
; %bb.2023:
	s_cmp_eq_u32 s26, 44
	s_cbranch_scc0 .LBB54_2025
; %bb.2024:
	global_load_ubyte v8, v[10:11], off
	s_mov_b32 s0, 0x2f800000
	s_mov_b32 s1, 0xcf800000
	s_mov_b64 s[20:21], -1
	s_waitcnt vmcnt(0)
	v_lshlrev_b32_e32 v9, 23, v8
	v_trunc_f32_e32 v9, v9
	v_mul_f32_e64 v13, |v9|, s0
	v_floor_f32_e32 v13, v13
	v_fma_f32 v15, v13, s1, |v9|
	v_cvt_u32_f32_e32 v15, v15
	v_cvt_u32_f32_e32 v13, v13
	v_ashrrev_i32_e32 v9, 31, v9
	s_mov_b64 s[0:1], 0
	v_xor_b32_e32 v15, v15, v9
	v_xor_b32_e32 v13, v13, v9
	v_sub_co_u32_e32 v15, vcc, v15, v9
	v_subb_co_u32_e32 v9, vcc, v13, v9, vcc
	v_cmp_ne_u32_e32 vcc, 0, v8
	v_cndmask_b32_e32 v9, 0, v9, vcc
	v_cndmask_b32_e32 v8, 0, v15, vcc
	s_branch .LBB54_2026
.LBB54_2025:
	s_mov_b64 s[0:1], -1
                                        ; implicit-def: $vgpr8_vgpr9
.LBB54_2026:
	s_mov_b64 s[22:23], 0
.LBB54_2027:
	s_and_b64 vcc, exec, s[22:23]
	s_cbranch_vccz .LBB54_2031
; %bb.2028:
	s_cmp_eq_u32 s26, 29
	s_cbranch_scc0 .LBB54_2030
; %bb.2029:
	global_load_dwordx2 v[8:9], v[10:11], off
	s_mov_b64 s[0:1], 0
	s_mov_b64 s[20:21], -1
	s_branch .LBB54_2031
.LBB54_2030:
	s_mov_b64 s[0:1], -1
                                        ; implicit-def: $vgpr8_vgpr9
.LBB54_2031:
	s_mov_b64 s[22:23], 0
.LBB54_2032:
	s_and_b64 vcc, exec, s[22:23]
	s_cbranch_vccz .LBB54_2050
; %bb.2033:
	s_cmp_lt_i32 s26, 27
	s_cbranch_scc1 .LBB54_2036
; %bb.2034:
	s_cmp_gt_i32 s26, 27
	s_cbranch_scc0 .LBB54_2037
; %bb.2035:
	global_load_dword v8, v[10:11], off
	s_waitcnt vmcnt(1)
	v_mov_b32_e32 v9, 0
	s_mov_b64 s[20:21], 0
	s_branch .LBB54_2038
.LBB54_2036:
	s_mov_b64 s[20:21], -1
                                        ; implicit-def: $vgpr8_vgpr9
	s_branch .LBB54_2041
.LBB54_2037:
	s_mov_b64 s[20:21], -1
                                        ; implicit-def: $vgpr8_vgpr9
.LBB54_2038:
	s_andn2_b64 vcc, exec, s[20:21]
	s_cbranch_vccnz .LBB54_2040
; %bb.2039:
	global_load_ushort v8, v[10:11], off
	s_mov_b32 s20, 0
	s_waitcnt vmcnt(1)
	v_mov_b32_e32 v9, s20
	s_waitcnt vmcnt(0)
	v_and_b32_e32 v8, 0xffff, v8
.LBB54_2040:
	s_mov_b64 s[20:21], 0
.LBB54_2041:
	s_andn2_b64 vcc, exec, s[20:21]
	s_cbranch_vccnz .LBB54_2049
; %bb.2042:
	global_load_ubyte v13, v[10:11], off
	s_movk_i32 s20, 0x7f
	s_mov_b64 s[22:23], 0
	s_waitcnt vmcnt(0)
	v_cmp_lt_i16_e32 vcc, s20, v13
	s_and_saveexec_b64 s[20:21], vcc
	s_xor_b64 s[20:21], exec, s[20:21]
; %bb.2043:
	s_movk_i32 s22, 0x80
	v_cmp_ne_u16_e32 vcc, s22, v13
	s_and_b64 s[22:23], vcc, exec
; %bb.2044:
	s_andn2_saveexec_b64 s[20:21], s[20:21]
; %bb.2045:
	v_cmp_ne_u16_e32 vcc, 0, v13
	s_andn2_b64 s[22:23], s[22:23], exec
	s_and_b64 s[28:29], vcc, exec
	s_or_b64 s[22:23], s[22:23], s[28:29]
; %bb.2046:
	s_or_b64 exec, exec, s[20:21]
	v_mov_b32_e32 v8, 0
	v_mov_b32_e32 v9, 0
	s_and_saveexec_b64 s[20:21], s[22:23]
	s_cbranch_execz .LBB54_2048
; %bb.2047:
	v_and_b32_e32 v9, 0xffff, v13
	v_lshlrev_b32_e32 v8, 24, v13
	v_and_b32_e32 v13, 7, v9
	v_ffbh_u32_e32 v16, v13
	v_min_u32_e32 v16, 32, v16
	v_subrev_u32_e32 v17, 28, v16
	v_bfe_u32 v15, v9, 3, 4
	v_lshlrev_b32_e32 v9, v17, v9
	v_sub_u32_e32 v16, 29, v16
	v_and_b32_e32 v9, 7, v9
	v_cmp_eq_u32_e32 vcc, 0, v15
	v_cndmask_b32_e32 v15, v15, v16, vcc
	v_cndmask_b32_e32 v9, v13, v9, vcc
	v_mov_b32_e32 v13, 0x3b800000
	v_lshlrev_b32_e32 v9, 20, v9
	v_and_b32_e32 v8, 0x80000000, v8
	v_lshl_add_u32 v13, v15, 23, v13
	v_or3_b32 v8, v8, v13, v9
	v_trunc_f32_e32 v8, v8
	s_mov_b32 s22, 0x2f800000
	v_mul_f32_e64 v9, |v8|, s22
	v_floor_f32_e32 v9, v9
	s_mov_b32 s22, 0xcf800000
	v_fma_f32 v13, v9, s22, |v8|
	v_cvt_u32_f32_e32 v13, v13
	v_cvt_u32_f32_e32 v9, v9
	v_ashrrev_i32_e32 v15, 31, v8
	v_xor_b32_e32 v8, v13, v15
	v_xor_b32_e32 v9, v9, v15
	v_sub_co_u32_e32 v8, vcc, v8, v15
	v_subb_co_u32_e32 v9, vcc, v9, v15, vcc
.LBB54_2048:
	s_or_b64 exec, exec, s[20:21]
.LBB54_2049:
	s_mov_b64 s[20:21], -1
.LBB54_2050:
	s_mov_b64 s[22:23], 0
.LBB54_2051:
	s_and_b64 vcc, exec, s[22:23]
	s_cbranch_vccz .LBB54_2080
; %bb.2052:
	s_cmp_gt_i32 s26, 22
	s_cbranch_scc0 .LBB54_2062
; %bb.2053:
	s_cmp_lt_i32 s26, 24
	s_cbranch_scc1 .LBB54_2063
; %bb.2054:
	s_cmp_gt_i32 s26, 24
	s_cbranch_scc0 .LBB54_2064
; %bb.2055:
	global_load_ubyte v13, v[10:11], off
	s_movk_i32 s4, 0x7f
	s_mov_b64 s[20:21], 0
	s_waitcnt vmcnt(0)
	v_cmp_lt_i16_e32 vcc, s4, v13
	s_and_saveexec_b64 s[4:5], vcc
	s_xor_b64 s[4:5], exec, s[4:5]
; %bb.2056:
	s_movk_i32 s20, 0x80
	v_cmp_ne_u16_e32 vcc, s20, v13
	s_and_b64 s[20:21], vcc, exec
; %bb.2057:
	s_andn2_saveexec_b64 s[4:5], s[4:5]
; %bb.2058:
	v_cmp_ne_u16_e32 vcc, 0, v13
	s_andn2_b64 s[20:21], s[20:21], exec
	s_and_b64 s[22:23], vcc, exec
	s_or_b64 s[20:21], s[20:21], s[22:23]
; %bb.2059:
	s_or_b64 exec, exec, s[4:5]
	v_mov_b32_e32 v8, 0
	v_mov_b32_e32 v9, 0
	s_and_saveexec_b64 s[4:5], s[20:21]
	s_cbranch_execz .LBB54_2061
; %bb.2060:
	v_and_b32_e32 v9, 0xffff, v13
	v_lshlrev_b32_e32 v8, 24, v13
	v_and_b32_e32 v13, 3, v9
	v_ffbh_u32_e32 v16, v13
	v_min_u32_e32 v16, 32, v16
	v_subrev_u32_e32 v17, 29, v16
	v_bfe_u32 v15, v9, 2, 5
	v_lshlrev_b32_e32 v9, v17, v9
	v_sub_u32_e32 v16, 30, v16
	v_and_b32_e32 v9, 3, v9
	v_cmp_eq_u32_e32 vcc, 0, v15
	v_cndmask_b32_e32 v15, v15, v16, vcc
	v_cndmask_b32_e32 v9, v13, v9, vcc
	v_mov_b32_e32 v13, 0x37800000
	v_lshlrev_b32_e32 v9, 21, v9
	v_and_b32_e32 v8, 0x80000000, v8
	v_lshl_add_u32 v13, v15, 23, v13
	v_or3_b32 v8, v8, v13, v9
	v_trunc_f32_e32 v8, v8
	s_mov_b32 s20, 0x2f800000
	v_mul_f32_e64 v9, |v8|, s20
	v_floor_f32_e32 v9, v9
	s_mov_b32 s20, 0xcf800000
	v_fma_f32 v13, v9, s20, |v8|
	v_cvt_u32_f32_e32 v13, v13
	v_cvt_u32_f32_e32 v9, v9
	v_ashrrev_i32_e32 v15, 31, v8
	v_xor_b32_e32 v8, v13, v15
	v_xor_b32_e32 v9, v9, v15
	v_sub_co_u32_e32 v8, vcc, v8, v15
	v_subb_co_u32_e32 v9, vcc, v9, v15, vcc
.LBB54_2061:
	s_or_b64 exec, exec, s[4:5]
	s_mov_b64 s[4:5], 0
	s_branch .LBB54_2065
.LBB54_2062:
	s_mov_b64 s[4:5], -1
                                        ; implicit-def: $vgpr8_vgpr9
	s_branch .LBB54_2071
.LBB54_2063:
	s_mov_b64 s[4:5], -1
                                        ; implicit-def: $vgpr8_vgpr9
	s_branch .LBB54_2068
.LBB54_2064:
	s_mov_b64 s[4:5], -1
                                        ; implicit-def: $vgpr8_vgpr9
.LBB54_2065:
	s_and_b64 vcc, exec, s[4:5]
	s_cbranch_vccz .LBB54_2067
; %bb.2066:
	global_load_ubyte v8, v[10:11], off
	s_mov_b32 s4, 0x7f800000
	s_brev_b32 s5, 1
	s_mov_b32 s20, 0x2f800000
	s_mov_b32 s21, 0xcf800000
	s_waitcnt vmcnt(0)
	v_lshlrev_b32_e32 v8, 24, v8
	v_and_b32_e32 v9, 0x7f000000, v8
	v_ffbh_u32_e32 v13, v9
	v_min_u32_e32 v13, 32, v13
	v_sub_u32_e64 v13, v13, 4 clamp
	v_lshlrev_b32_e32 v16, v13, v9
	v_lshlrev_b32_e32 v13, 23, v13
	v_lshrrev_b32_e32 v16, 4, v16
	v_add_u32_e32 v15, 0x1000000, v9
	v_sub_u32_e32 v13, v16, v13
	v_ashrrev_i32_e32 v15, 8, v15
	v_add_u32_e32 v13, 0x3c000000, v13
	v_and_or_b32 v13, v15, s4, v13
	v_cmp_ne_u32_e32 vcc, 0, v9
	v_cndmask_b32_e32 v9, 0, v13, vcc
	v_and_or_b32 v8, v8, s5, v9
	v_trunc_f32_e32 v8, v8
	v_mul_f32_e64 v9, |v8|, s20
	v_floor_f32_e32 v9, v9
	v_fma_f32 v13, v9, s21, |v8|
	v_cvt_u32_f32_e32 v13, v13
	v_cvt_u32_f32_e32 v9, v9
	v_ashrrev_i32_e32 v15, 31, v8
	v_xor_b32_e32 v8, v13, v15
	v_xor_b32_e32 v9, v9, v15
	v_sub_co_u32_e32 v8, vcc, v8, v15
	v_subb_co_u32_e32 v9, vcc, v9, v15, vcc
.LBB54_2067:
	s_mov_b64 s[4:5], 0
.LBB54_2068:
	s_andn2_b64 vcc, exec, s[4:5]
	s_cbranch_vccnz .LBB54_2070
; %bb.2069:
	global_load_ubyte v8, v[10:11], off
	s_movk_i32 s4, 0x7f00
	s_brev_b32 s5, 16
	s_brev_b32 s20, 1
	s_mov_b32 s21, 0x2f800000
	s_mov_b32 s22, 0xcf800000
	s_waitcnt vmcnt(0)
	v_lshlrev_b16_e32 v9, 8, v8
	v_lshlrev_b32_e32 v8, 25, v8
	v_lshrrev_b32_e32 v13, 4, v8
	v_and_or_b32 v15, v9, s4, 0.5
	v_or_b32_e32 v13, 0x70000000, v13
	v_add_f32_e32 v15, -0.5, v15
	v_mul_f32_e32 v13, 0x7800000, v13
	v_cmp_gt_u32_e32 vcc, s5, v8
	v_bfe_i32 v9, v9, 0, 16
	v_cndmask_b32_e32 v8, v13, v15, vcc
	v_and_or_b32 v8, v9, s20, v8
	v_trunc_f32_e32 v8, v8
	v_mul_f32_e64 v9, |v8|, s21
	v_floor_f32_e32 v9, v9
	v_fma_f32 v13, v9, s22, |v8|
	v_cvt_u32_f32_e32 v13, v13
	v_cvt_u32_f32_e32 v9, v9
	v_ashrrev_i32_e32 v15, 31, v8
	v_xor_b32_e32 v8, v13, v15
	v_xor_b32_e32 v9, v9, v15
	v_sub_co_u32_e32 v8, vcc, v8, v15
	v_subb_co_u32_e32 v9, vcc, v9, v15, vcc
.LBB54_2070:
	s_mov_b64 s[4:5], 0
	s_mov_b64 s[20:21], -1
.LBB54_2071:
	s_andn2_b64 vcc, exec, s[4:5]
	s_mov_b64 s[4:5], 0
	s_cbranch_vccnz .LBB54_2080
; %bb.2072:
	s_cmp_gt_i32 s26, 14
	s_cbranch_scc0 .LBB54_2075
; %bb.2073:
	s_cmp_eq_u32 s26, 15
	s_cbranch_scc0 .LBB54_2076
; %bb.2074:
	global_load_ushort v8, v[10:11], off
	s_mov_b32 s0, 0x2f800000
	s_mov_b32 s1, 0xcf800000
	s_mov_b64 s[20:21], -1
	s_waitcnt vmcnt(0)
	v_lshlrev_b32_e32 v8, 16, v8
	v_trunc_f32_e32 v8, v8
	v_mul_f32_e64 v9, |v8|, s0
	v_floor_f32_e32 v9, v9
	v_fma_f32 v13, v9, s1, |v8|
	v_cvt_u32_f32_e32 v13, v13
	v_cvt_u32_f32_e32 v9, v9
	v_ashrrev_i32_e32 v15, 31, v8
	s_mov_b64 s[0:1], 0
	v_xor_b32_e32 v8, v13, v15
	v_xor_b32_e32 v9, v9, v15
	v_sub_co_u32_e32 v8, vcc, v8, v15
	v_subb_co_u32_e32 v9, vcc, v9, v15, vcc
	s_branch .LBB54_2077
.LBB54_2075:
	s_mov_b64 s[22:23], -1
                                        ; implicit-def: $vgpr8_vgpr9
	s_branch .LBB54_2078
.LBB54_2076:
	s_mov_b64 s[0:1], -1
                                        ; implicit-def: $vgpr8_vgpr9
.LBB54_2077:
	s_mov_b64 s[22:23], 0
.LBB54_2078:
	s_and_b64 vcc, exec, s[22:23]
	s_cbranch_vccz .LBB54_2080
; %bb.2079:
	s_cmp_lg_u32 s26, 11
	s_mov_b64 s[4:5], -1
	s_cselect_b64 s[0:1], -1, 0
.LBB54_2080:
	s_and_b64 vcc, exec, s[0:1]
	s_cbranch_vccnz .LBB54_2145
; %bb.2081:
	s_andn2_b64 vcc, exec, s[4:5]
	s_cbranch_vccnz .LBB54_2083
.LBB54_2082:
	global_load_ubyte v8, v[10:11], off
	s_mov_b32 s0, 0
	s_waitcnt vmcnt(1)
	v_mov_b32_e32 v9, s0
	s_mov_b64 s[20:21], -1
	s_waitcnt vmcnt(0)
	v_cmp_ne_u16_e32 vcc, 0, v8
	v_cndmask_b32_e64 v8, 0, 1, vcc
.LBB54_2083:
	s_mov_b64 s[0:1], 0
.LBB54_2084:
	s_and_b64 vcc, exec, s[0:1]
	s_cbranch_vccz .LBB54_2133
; %bb.2085:
	s_and_b32 s4, 0xffff, s24
	s_cmp_lt_i32 s4, 5
	s_cbranch_scc1 .LBB54_2090
; %bb.2086:
	s_cmp_lt_i32 s4, 8
	s_cbranch_scc1 .LBB54_2091
; %bb.2087:
	;; [unrolled: 3-line block ×3, first 2 shown]
	s_cmp_gt_i32 s4, 9
	s_cbranch_scc0 .LBB54_2093
; %bb.2089:
	global_load_dwordx2 v[8:9], v[10:11], off
	s_movk_i32 s0, 0xffe0
	s_waitcnt vmcnt(0)
	v_trunc_f64_e32 v[8:9], v[8:9]
	v_ldexp_f64 v[15:16], v[8:9], s0
	s_mov_b32 s0, 0
	s_mov_b32 s1, 0xc1f00000
	v_floor_f64_e32 v[15:16], v[15:16]
	v_fma_f64 v[19:20], v[15:16], s[0:1], v[8:9]
	v_cvt_i32_f64_e32 v9, v[15:16]
	s_mov_b64 s[0:1], 0
	v_cvt_u32_f64_e32 v8, v[19:20]
	s_branch .LBB54_2094
.LBB54_2090:
	s_mov_b64 s[0:1], -1
                                        ; implicit-def: $vgpr8_vgpr9
	s_branch .LBB54_2112
.LBB54_2091:
	s_mov_b64 s[0:1], -1
                                        ; implicit-def: $vgpr8_vgpr9
	s_branch .LBB54_2100
.LBB54_2092:
	s_mov_b64 s[0:1], -1
                                        ; implicit-def: $vgpr8_vgpr9
	s_branch .LBB54_2097
.LBB54_2093:
	s_mov_b64 s[0:1], -1
                                        ; implicit-def: $vgpr8_vgpr9
.LBB54_2094:
	s_andn2_b64 vcc, exec, s[0:1]
	s_cbranch_vccnz .LBB54_2096
; %bb.2095:
	global_load_dword v8, v[10:11], off
	s_mov_b32 s0, 0x2f800000
	s_mov_b32 s1, 0xcf800000
	s_waitcnt vmcnt(0)
	v_trunc_f32_e32 v8, v8
	v_mul_f32_e64 v9, |v8|, s0
	v_floor_f32_e32 v9, v9
	v_cvt_u32_f32_e32 v13, v9
	v_fma_f32 v9, v9, s1, |v8|
	v_cvt_u32_f32_e32 v9, v9
	v_ashrrev_i32_e32 v15, 31, v8
	v_xor_b32_e32 v13, v13, v15
	v_xor_b32_e32 v8, v9, v15
	v_sub_co_u32_e32 v8, vcc, v8, v15
	v_subb_co_u32_e32 v9, vcc, v13, v15, vcc
.LBB54_2096:
	s_mov_b64 s[0:1], 0
.LBB54_2097:
	s_andn2_b64 vcc, exec, s[0:1]
	s_cbranch_vccnz .LBB54_2099
; %bb.2098:
	global_load_dword v8, v[10:11], off
	s_waitcnt vmcnt(0)
	v_cvt_f32_f16_e32 v8, v8
	v_cvt_i32_f32_e32 v8, v8
	v_ashrrev_i32_e32 v9, 31, v8
.LBB54_2099:
	s_mov_b64 s[0:1], 0
.LBB54_2100:
	s_andn2_b64 vcc, exec, s[0:1]
	s_cbranch_vccnz .LBB54_2111
; %bb.2101:
	s_cmp_lt_i32 s4, 6
	s_cbranch_scc1 .LBB54_2104
; %bb.2102:
	s_cmp_gt_i32 s4, 6
	s_cbranch_scc0 .LBB54_2105
; %bb.2103:
	global_load_dwordx2 v[8:9], v[10:11], off
	s_movk_i32 s0, 0xffe0
	s_waitcnt vmcnt(0)
	v_trunc_f64_e32 v[8:9], v[8:9]
	v_ldexp_f64 v[15:16], v[8:9], s0
	s_mov_b32 s0, 0
	s_mov_b32 s1, 0xc1f00000
	v_floor_f64_e32 v[15:16], v[15:16]
	v_fma_f64 v[19:20], v[15:16], s[0:1], v[8:9]
	v_cvt_i32_f64_e32 v9, v[15:16]
	s_mov_b64 s[0:1], 0
	v_cvt_u32_f64_e32 v8, v[19:20]
	s_branch .LBB54_2106
.LBB54_2104:
	s_mov_b64 s[0:1], -1
                                        ; implicit-def: $vgpr8_vgpr9
	s_branch .LBB54_2109
.LBB54_2105:
	s_mov_b64 s[0:1], -1
                                        ; implicit-def: $vgpr8_vgpr9
.LBB54_2106:
	s_andn2_b64 vcc, exec, s[0:1]
	s_cbranch_vccnz .LBB54_2108
; %bb.2107:
	global_load_dword v8, v[10:11], off
	s_mov_b32 s0, 0x2f800000
	s_mov_b32 s1, 0xcf800000
	s_waitcnt vmcnt(0)
	v_trunc_f32_e32 v8, v8
	v_mul_f32_e64 v9, |v8|, s0
	v_floor_f32_e32 v9, v9
	v_cvt_u32_f32_e32 v13, v9
	v_fma_f32 v9, v9, s1, |v8|
	v_cvt_u32_f32_e32 v9, v9
	v_ashrrev_i32_e32 v15, 31, v8
	v_xor_b32_e32 v13, v13, v15
	v_xor_b32_e32 v8, v9, v15
	v_sub_co_u32_e32 v8, vcc, v8, v15
	v_subb_co_u32_e32 v9, vcc, v13, v15, vcc
.LBB54_2108:
	s_mov_b64 s[0:1], 0
.LBB54_2109:
	s_andn2_b64 vcc, exec, s[0:1]
	s_cbranch_vccnz .LBB54_2111
; %bb.2110:
	global_load_ushort v8, v[10:11], off
	s_waitcnt vmcnt(0)
	v_cvt_f32_f16_e32 v8, v8
	v_cvt_i32_f32_e32 v8, v8
	v_ashrrev_i32_e32 v9, 31, v8
.LBB54_2111:
	s_mov_b64 s[0:1], 0
.LBB54_2112:
	s_andn2_b64 vcc, exec, s[0:1]
	s_cbranch_vccnz .LBB54_2132
; %bb.2113:
	s_cmp_lt_i32 s4, 2
	s_cbranch_scc1 .LBB54_2117
; %bb.2114:
	s_cmp_lt_i32 s4, 3
	s_cbranch_scc1 .LBB54_2118
; %bb.2115:
	s_cmp_gt_i32 s4, 3
	s_cbranch_scc0 .LBB54_2119
; %bb.2116:
	global_load_dwordx2 v[8:9], v[10:11], off
	s_mov_b64 s[0:1], 0
	s_branch .LBB54_2120
.LBB54_2117:
	s_mov_b64 s[0:1], -1
                                        ; implicit-def: $vgpr8_vgpr9
	s_branch .LBB54_2126
.LBB54_2118:
	s_mov_b64 s[0:1], -1
                                        ; implicit-def: $vgpr8_vgpr9
	s_branch .LBB54_2123
.LBB54_2119:
	s_mov_b64 s[0:1], -1
                                        ; implicit-def: $vgpr8_vgpr9
.LBB54_2120:
	s_andn2_b64 vcc, exec, s[0:1]
	s_cbranch_vccnz .LBB54_2122
; %bb.2121:
	global_load_dword v8, v[10:11], off
	s_waitcnt vmcnt(0)
	v_ashrrev_i32_e32 v9, 31, v8
.LBB54_2122:
	s_mov_b64 s[0:1], 0
.LBB54_2123:
	s_andn2_b64 vcc, exec, s[0:1]
	s_cbranch_vccnz .LBB54_2125
; %bb.2124:
	global_load_ushort v8, v[10:11], off
	s_waitcnt vmcnt(0)
	v_bfe_i32 v8, v8, 0, 16
	v_ashrrev_i32_e32 v9, 31, v8
.LBB54_2125:
	s_mov_b64 s[0:1], 0
.LBB54_2126:
	s_andn2_b64 vcc, exec, s[0:1]
	s_cbranch_vccnz .LBB54_2132
; %bb.2127:
	s_cmp_gt_i32 s4, 0
	s_cbranch_scc0 .LBB54_2129
; %bb.2128:
	global_load_sbyte v8, v[10:11], off
	s_mov_b64 s[0:1], 0
	s_waitcnt vmcnt(0)
	v_bfe_i32 v8, v8, 0, 16
	v_ashrrev_i32_e32 v9, 31, v8
	s_branch .LBB54_2130
.LBB54_2129:
	s_mov_b64 s[0:1], -1
                                        ; implicit-def: $vgpr8_vgpr9
.LBB54_2130:
	s_andn2_b64 vcc, exec, s[0:1]
	s_cbranch_vccnz .LBB54_2132
; %bb.2131:
	global_load_ubyte v8, v[10:11], off
	s_mov_b32 s0, 0
	s_waitcnt vmcnt(1)
	v_mov_b32_e32 v9, s0
	s_waitcnt vmcnt(0)
	v_and_b32_e32 v8, 0xffff, v8
.LBB54_2132:
	s_mov_b64 s[20:21], -1
.LBB54_2133:
	s_andn2_b64 vcc, exec, s[20:21]
	s_cbranch_vccnz .LBB54_2947
; %bb.2134:
	v_add_u32_e32 v16, s14, v12
	v_ashrrev_i32_e32 v10, 31, v16
	v_mov_b32_e32 v11, s3
	v_add_co_u32_e32 v12, vcc, s2, v16
	s_cmp_lt_i32 s25, 11
	v_addc_co_u32_e32 v13, vcc, v11, v10, vcc
	s_cbranch_scc1 .LBB54_2141
; %bb.2135:
	s_and_b32 s26, 0xffff, s25
	s_cmp_gt_i32 s26, 25
	s_mov_b64 s[4:5], 0
	s_cbranch_scc0 .LBB54_2142
; %bb.2136:
	s_cmp_gt_i32 s26, 28
	s_cbranch_scc0 .LBB54_2143
; %bb.2137:
	s_cmp_gt_i32 s26, 43
	;; [unrolled: 3-line block ×3, first 2 shown]
	s_cbranch_scc0 .LBB54_2146
; %bb.2139:
	s_cmp_eq_u32 s26, 46
	s_mov_b64 s[22:23], 0
	s_cbranch_scc0 .LBB54_2149
; %bb.2140:
	global_load_dword v10, v[12:13], off
	s_mov_b32 s0, 0x2f800000
	s_mov_b32 s1, 0xcf800000
	s_mov_b64 s[20:21], -1
	s_waitcnt vmcnt(0)
	v_lshlrev_b32_e32 v10, 16, v10
	v_trunc_f32_e32 v10, v10
	v_mul_f32_e64 v11, |v10|, s0
	v_floor_f32_e32 v11, v11
	v_fma_f32 v15, v11, s1, |v10|
	v_cvt_u32_f32_e32 v15, v15
	v_cvt_u32_f32_e32 v11, v11
	v_ashrrev_i32_e32 v17, 31, v10
	s_mov_b64 s[0:1], 0
	v_xor_b32_e32 v10, v15, v17
	v_xor_b32_e32 v11, v11, v17
	v_sub_co_u32_e32 v10, vcc, v10, v17
	v_subb_co_u32_e32 v11, vcc, v11, v17, vcc
	s_branch .LBB54_2150
.LBB54_2141:
	s_mov_b64 s[0:1], -1
	s_mov_b64 s[20:21], 0
                                        ; implicit-def: $vgpr10_vgpr11
	s_branch .LBB54_2212
.LBB54_2142:
	s_mov_b64 s[22:23], -1
	s_mov_b64 s[20:21], 0
	s_mov_b64 s[0:1], 0
                                        ; implicit-def: $vgpr10_vgpr11
	s_branch .LBB54_2179
.LBB54_2143:
	s_mov_b64 s[22:23], -1
	s_mov_b64 s[20:21], 0
	s_mov_b64 s[0:1], 0
                                        ; implicit-def: $vgpr10_vgpr11
	s_branch .LBB54_2160
.LBB54_2144:
	s_mov_b64 s[22:23], -1
	s_mov_b64 s[20:21], 0
	s_mov_b64 s[0:1], 0
                                        ; implicit-def: $vgpr10_vgpr11
	s_branch .LBB54_2155
.LBB54_2145:
	s_trap 2
	s_or_b64 s[18:19], s[18:19], exec
	s_cbranch_execz .LBB54_2082
	s_branch .LBB54_2083
.LBB54_2146:
	s_mov_b64 s[22:23], -1
	s_mov_b64 s[20:21], 0
	s_mov_b64 s[0:1], 0
                                        ; implicit-def: $vgpr10_vgpr11
	s_branch .LBB54_2150
.LBB54_2147:
	s_andn2_saveexec_b64 s[48:49], s[48:49]
	s_cbranch_execz .LBB54_1061
.LBB54_2148:
	v_add_f32_e32 v2, 0x42800000, v3
	v_and_b32_e32 v2, 0xff, v2
	v_cmp_ne_u32_e32 vcc, 0, v2
	s_andn2_b64 s[46:47], s[46:47], exec
	s_and_b64 s[54:55], vcc, exec
	s_or_b64 s[46:47], s[46:47], s[54:55]
	s_or_b64 exec, exec, s[48:49]
	v_mov_b32_e32 v4, 0
	s_and_saveexec_b64 s[48:49], s[46:47]
	s_cbranch_execnz .LBB54_1062
	s_branch .LBB54_1063
.LBB54_2149:
	s_mov_b64 s[0:1], -1
                                        ; implicit-def: $vgpr10_vgpr11
	s_mov_b64 s[20:21], 0
.LBB54_2150:
	s_and_b64 vcc, exec, s[22:23]
	s_cbranch_vccz .LBB54_2154
; %bb.2151:
	s_cmp_eq_u32 s26, 44
	s_cbranch_scc0 .LBB54_2153
; %bb.2152:
	global_load_ubyte v10, v[12:13], off
	s_mov_b32 s0, 0x2f800000
	s_mov_b32 s1, 0xcf800000
	s_mov_b64 s[20:21], -1
	s_waitcnt vmcnt(0)
	v_lshlrev_b32_e32 v11, 23, v10
	v_trunc_f32_e32 v11, v11
	v_mul_f32_e64 v15, |v11|, s0
	v_floor_f32_e32 v15, v15
	v_fma_f32 v17, v15, s1, |v11|
	v_cvt_u32_f32_e32 v17, v17
	v_cvt_u32_f32_e32 v15, v15
	v_ashrrev_i32_e32 v11, 31, v11
	s_mov_b64 s[0:1], 0
	v_xor_b32_e32 v17, v17, v11
	v_xor_b32_e32 v15, v15, v11
	v_sub_co_u32_e32 v17, vcc, v17, v11
	v_subb_co_u32_e32 v11, vcc, v15, v11, vcc
	v_cmp_ne_u32_e32 vcc, 0, v10
	v_cndmask_b32_e32 v11, 0, v11, vcc
	v_cndmask_b32_e32 v10, 0, v17, vcc
	s_branch .LBB54_2154
.LBB54_2153:
	s_mov_b64 s[0:1], -1
                                        ; implicit-def: $vgpr10_vgpr11
.LBB54_2154:
	s_mov_b64 s[22:23], 0
.LBB54_2155:
	s_and_b64 vcc, exec, s[22:23]
	s_cbranch_vccz .LBB54_2159
; %bb.2156:
	s_cmp_eq_u32 s26, 29
	s_cbranch_scc0 .LBB54_2158
; %bb.2157:
	global_load_dwordx2 v[10:11], v[12:13], off
	s_mov_b64 s[0:1], 0
	s_mov_b64 s[20:21], -1
	s_branch .LBB54_2159
.LBB54_2158:
	s_mov_b64 s[0:1], -1
                                        ; implicit-def: $vgpr10_vgpr11
.LBB54_2159:
	s_mov_b64 s[22:23], 0
.LBB54_2160:
	s_and_b64 vcc, exec, s[22:23]
	s_cbranch_vccz .LBB54_2178
; %bb.2161:
	s_cmp_lt_i32 s26, 27
	s_cbranch_scc1 .LBB54_2164
; %bb.2162:
	s_cmp_gt_i32 s26, 27
	s_cbranch_scc0 .LBB54_2165
; %bb.2163:
	global_load_dword v10, v[12:13], off
	s_waitcnt vmcnt(1)
	v_mov_b32_e32 v11, 0
	s_mov_b64 s[20:21], 0
	s_branch .LBB54_2166
.LBB54_2164:
	s_mov_b64 s[20:21], -1
                                        ; implicit-def: $vgpr10_vgpr11
	s_branch .LBB54_2169
.LBB54_2165:
	s_mov_b64 s[20:21], -1
                                        ; implicit-def: $vgpr10_vgpr11
.LBB54_2166:
	s_andn2_b64 vcc, exec, s[20:21]
	s_cbranch_vccnz .LBB54_2168
; %bb.2167:
	global_load_ushort v10, v[12:13], off
	s_mov_b32 s20, 0
	s_waitcnt vmcnt(1)
	v_mov_b32_e32 v11, s20
	s_waitcnt vmcnt(0)
	v_and_b32_e32 v10, 0xffff, v10
.LBB54_2168:
	s_mov_b64 s[20:21], 0
.LBB54_2169:
	s_andn2_b64 vcc, exec, s[20:21]
	s_cbranch_vccnz .LBB54_2177
; %bb.2170:
	global_load_ubyte v15, v[12:13], off
	s_movk_i32 s20, 0x7f
	s_mov_b64 s[22:23], 0
	s_waitcnt vmcnt(0)
	v_cmp_lt_i16_e32 vcc, s20, v15
	s_and_saveexec_b64 s[20:21], vcc
	s_xor_b64 s[20:21], exec, s[20:21]
; %bb.2171:
	s_movk_i32 s22, 0x80
	v_cmp_ne_u16_e32 vcc, s22, v15
	s_and_b64 s[22:23], vcc, exec
; %bb.2172:
	s_andn2_saveexec_b64 s[20:21], s[20:21]
; %bb.2173:
	v_cmp_ne_u16_e32 vcc, 0, v15
	s_andn2_b64 s[22:23], s[22:23], exec
	s_and_b64 s[28:29], vcc, exec
	s_or_b64 s[22:23], s[22:23], s[28:29]
; %bb.2174:
	s_or_b64 exec, exec, s[20:21]
	v_mov_b32_e32 v10, 0
	v_mov_b32_e32 v11, 0
	s_and_saveexec_b64 s[20:21], s[22:23]
	s_cbranch_execz .LBB54_2176
; %bb.2175:
	v_and_b32_e32 v11, 0xffff, v15
	v_lshlrev_b32_e32 v10, 24, v15
	v_and_b32_e32 v15, 7, v11
	v_ffbh_u32_e32 v19, v15
	v_min_u32_e32 v19, 32, v19
	v_subrev_u32_e32 v20, 28, v19
	v_bfe_u32 v17, v11, 3, 4
	v_lshlrev_b32_e32 v11, v20, v11
	v_sub_u32_e32 v19, 29, v19
	v_and_b32_e32 v11, 7, v11
	v_cmp_eq_u32_e32 vcc, 0, v17
	v_cndmask_b32_e32 v17, v17, v19, vcc
	v_cndmask_b32_e32 v11, v15, v11, vcc
	v_mov_b32_e32 v15, 0x3b800000
	v_lshlrev_b32_e32 v11, 20, v11
	v_and_b32_e32 v10, 0x80000000, v10
	v_lshl_add_u32 v15, v17, 23, v15
	v_or3_b32 v10, v10, v15, v11
	v_trunc_f32_e32 v10, v10
	s_mov_b32 s22, 0x2f800000
	v_mul_f32_e64 v11, |v10|, s22
	v_floor_f32_e32 v11, v11
	s_mov_b32 s22, 0xcf800000
	v_fma_f32 v15, v11, s22, |v10|
	v_cvt_u32_f32_e32 v15, v15
	v_cvt_u32_f32_e32 v11, v11
	v_ashrrev_i32_e32 v17, 31, v10
	v_xor_b32_e32 v10, v15, v17
	v_xor_b32_e32 v11, v11, v17
	v_sub_co_u32_e32 v10, vcc, v10, v17
	v_subb_co_u32_e32 v11, vcc, v11, v17, vcc
.LBB54_2176:
	s_or_b64 exec, exec, s[20:21]
.LBB54_2177:
	s_mov_b64 s[20:21], -1
.LBB54_2178:
	s_mov_b64 s[22:23], 0
.LBB54_2179:
	s_and_b64 vcc, exec, s[22:23]
	s_cbranch_vccz .LBB54_2208
; %bb.2180:
	s_cmp_gt_i32 s26, 22
	s_cbranch_scc0 .LBB54_2190
; %bb.2181:
	s_cmp_lt_i32 s26, 24
	s_cbranch_scc1 .LBB54_2191
; %bb.2182:
	s_cmp_gt_i32 s26, 24
	s_cbranch_scc0 .LBB54_2192
; %bb.2183:
	global_load_ubyte v15, v[12:13], off
	s_movk_i32 s4, 0x7f
	s_mov_b64 s[20:21], 0
	s_waitcnt vmcnt(0)
	v_cmp_lt_i16_e32 vcc, s4, v15
	s_and_saveexec_b64 s[4:5], vcc
	s_xor_b64 s[4:5], exec, s[4:5]
; %bb.2184:
	s_movk_i32 s20, 0x80
	v_cmp_ne_u16_e32 vcc, s20, v15
	s_and_b64 s[20:21], vcc, exec
; %bb.2185:
	s_andn2_saveexec_b64 s[4:5], s[4:5]
; %bb.2186:
	v_cmp_ne_u16_e32 vcc, 0, v15
	s_andn2_b64 s[20:21], s[20:21], exec
	s_and_b64 s[22:23], vcc, exec
	s_or_b64 s[20:21], s[20:21], s[22:23]
; %bb.2187:
	s_or_b64 exec, exec, s[4:5]
	v_mov_b32_e32 v10, 0
	v_mov_b32_e32 v11, 0
	s_and_saveexec_b64 s[4:5], s[20:21]
	s_cbranch_execz .LBB54_2189
; %bb.2188:
	v_and_b32_e32 v11, 0xffff, v15
	v_lshlrev_b32_e32 v10, 24, v15
	v_and_b32_e32 v15, 3, v11
	v_ffbh_u32_e32 v19, v15
	v_min_u32_e32 v19, 32, v19
	v_subrev_u32_e32 v20, 29, v19
	v_bfe_u32 v17, v11, 2, 5
	v_lshlrev_b32_e32 v11, v20, v11
	v_sub_u32_e32 v19, 30, v19
	v_and_b32_e32 v11, 3, v11
	v_cmp_eq_u32_e32 vcc, 0, v17
	v_cndmask_b32_e32 v17, v17, v19, vcc
	v_cndmask_b32_e32 v11, v15, v11, vcc
	v_mov_b32_e32 v15, 0x37800000
	v_lshlrev_b32_e32 v11, 21, v11
	v_and_b32_e32 v10, 0x80000000, v10
	v_lshl_add_u32 v15, v17, 23, v15
	v_or3_b32 v10, v10, v15, v11
	v_trunc_f32_e32 v10, v10
	s_mov_b32 s20, 0x2f800000
	v_mul_f32_e64 v11, |v10|, s20
	v_floor_f32_e32 v11, v11
	s_mov_b32 s20, 0xcf800000
	v_fma_f32 v15, v11, s20, |v10|
	v_cvt_u32_f32_e32 v15, v15
	v_cvt_u32_f32_e32 v11, v11
	v_ashrrev_i32_e32 v17, 31, v10
	v_xor_b32_e32 v10, v15, v17
	v_xor_b32_e32 v11, v11, v17
	v_sub_co_u32_e32 v10, vcc, v10, v17
	v_subb_co_u32_e32 v11, vcc, v11, v17, vcc
.LBB54_2189:
	s_or_b64 exec, exec, s[4:5]
	s_mov_b64 s[4:5], 0
	s_branch .LBB54_2193
.LBB54_2190:
	s_mov_b64 s[4:5], -1
                                        ; implicit-def: $vgpr10_vgpr11
	s_branch .LBB54_2199
.LBB54_2191:
	s_mov_b64 s[4:5], -1
                                        ; implicit-def: $vgpr10_vgpr11
	s_branch .LBB54_2196
.LBB54_2192:
	s_mov_b64 s[4:5], -1
                                        ; implicit-def: $vgpr10_vgpr11
.LBB54_2193:
	s_and_b64 vcc, exec, s[4:5]
	s_cbranch_vccz .LBB54_2195
; %bb.2194:
	global_load_ubyte v10, v[12:13], off
	s_mov_b32 s4, 0x7f800000
	s_brev_b32 s5, 1
	s_mov_b32 s20, 0x2f800000
	s_mov_b32 s21, 0xcf800000
	s_waitcnt vmcnt(0)
	v_lshlrev_b32_e32 v10, 24, v10
	v_and_b32_e32 v11, 0x7f000000, v10
	v_ffbh_u32_e32 v15, v11
	v_min_u32_e32 v15, 32, v15
	v_sub_u32_e64 v15, v15, 4 clamp
	v_lshlrev_b32_e32 v19, v15, v11
	v_lshlrev_b32_e32 v15, 23, v15
	v_lshrrev_b32_e32 v19, 4, v19
	v_add_u32_e32 v17, 0x1000000, v11
	v_sub_u32_e32 v15, v19, v15
	v_ashrrev_i32_e32 v17, 8, v17
	v_add_u32_e32 v15, 0x3c000000, v15
	v_and_or_b32 v15, v17, s4, v15
	v_cmp_ne_u32_e32 vcc, 0, v11
	v_cndmask_b32_e32 v11, 0, v15, vcc
	v_and_or_b32 v10, v10, s5, v11
	v_trunc_f32_e32 v10, v10
	v_mul_f32_e64 v11, |v10|, s20
	v_floor_f32_e32 v11, v11
	v_fma_f32 v15, v11, s21, |v10|
	v_cvt_u32_f32_e32 v15, v15
	v_cvt_u32_f32_e32 v11, v11
	v_ashrrev_i32_e32 v17, 31, v10
	v_xor_b32_e32 v10, v15, v17
	v_xor_b32_e32 v11, v11, v17
	v_sub_co_u32_e32 v10, vcc, v10, v17
	v_subb_co_u32_e32 v11, vcc, v11, v17, vcc
.LBB54_2195:
	s_mov_b64 s[4:5], 0
.LBB54_2196:
	s_andn2_b64 vcc, exec, s[4:5]
	s_cbranch_vccnz .LBB54_2198
; %bb.2197:
	global_load_ubyte v10, v[12:13], off
	s_movk_i32 s4, 0x7f00
	s_brev_b32 s5, 16
	s_brev_b32 s20, 1
	s_mov_b32 s21, 0x2f800000
	s_mov_b32 s22, 0xcf800000
	s_waitcnt vmcnt(0)
	v_lshlrev_b16_e32 v11, 8, v10
	v_lshlrev_b32_e32 v10, 25, v10
	v_lshrrev_b32_e32 v15, 4, v10
	v_and_or_b32 v17, v11, s4, 0.5
	v_or_b32_e32 v15, 0x70000000, v15
	v_add_f32_e32 v17, -0.5, v17
	v_mul_f32_e32 v15, 0x7800000, v15
	v_cmp_gt_u32_e32 vcc, s5, v10
	v_bfe_i32 v11, v11, 0, 16
	v_cndmask_b32_e32 v10, v15, v17, vcc
	v_and_or_b32 v10, v11, s20, v10
	v_trunc_f32_e32 v10, v10
	v_mul_f32_e64 v11, |v10|, s21
	v_floor_f32_e32 v11, v11
	v_fma_f32 v15, v11, s22, |v10|
	v_cvt_u32_f32_e32 v15, v15
	v_cvt_u32_f32_e32 v11, v11
	v_ashrrev_i32_e32 v17, 31, v10
	v_xor_b32_e32 v10, v15, v17
	v_xor_b32_e32 v11, v11, v17
	v_sub_co_u32_e32 v10, vcc, v10, v17
	v_subb_co_u32_e32 v11, vcc, v11, v17, vcc
.LBB54_2198:
	s_mov_b64 s[4:5], 0
	s_mov_b64 s[20:21], -1
.LBB54_2199:
	s_andn2_b64 vcc, exec, s[4:5]
	s_mov_b64 s[4:5], 0
	s_cbranch_vccnz .LBB54_2208
; %bb.2200:
	s_cmp_gt_i32 s26, 14
	s_cbranch_scc0 .LBB54_2203
; %bb.2201:
	s_cmp_eq_u32 s26, 15
	s_cbranch_scc0 .LBB54_2204
; %bb.2202:
	global_load_ushort v10, v[12:13], off
	s_mov_b32 s0, 0x2f800000
	s_mov_b32 s1, 0xcf800000
	s_mov_b64 s[20:21], -1
	s_waitcnt vmcnt(0)
	v_lshlrev_b32_e32 v10, 16, v10
	v_trunc_f32_e32 v10, v10
	v_mul_f32_e64 v11, |v10|, s0
	v_floor_f32_e32 v11, v11
	v_fma_f32 v15, v11, s1, |v10|
	v_cvt_u32_f32_e32 v15, v15
	v_cvt_u32_f32_e32 v11, v11
	v_ashrrev_i32_e32 v17, 31, v10
	s_mov_b64 s[0:1], 0
	v_xor_b32_e32 v10, v15, v17
	v_xor_b32_e32 v11, v11, v17
	v_sub_co_u32_e32 v10, vcc, v10, v17
	v_subb_co_u32_e32 v11, vcc, v11, v17, vcc
	s_branch .LBB54_2205
.LBB54_2203:
	s_mov_b64 s[22:23], -1
                                        ; implicit-def: $vgpr10_vgpr11
	s_branch .LBB54_2206
.LBB54_2204:
	s_mov_b64 s[0:1], -1
                                        ; implicit-def: $vgpr10_vgpr11
.LBB54_2205:
	s_mov_b64 s[22:23], 0
.LBB54_2206:
	s_and_b64 vcc, exec, s[22:23]
	s_cbranch_vccz .LBB54_2208
; %bb.2207:
	s_cmp_lg_u32 s26, 11
	s_mov_b64 s[4:5], -1
	s_cselect_b64 s[0:1], -1, 0
.LBB54_2208:
	s_and_b64 vcc, exec, s[0:1]
	s_cbranch_vccnz .LBB54_2273
; %bb.2209:
	s_andn2_b64 vcc, exec, s[4:5]
	s_cbranch_vccnz .LBB54_2211
.LBB54_2210:
	global_load_ubyte v10, v[12:13], off
	s_mov_b32 s0, 0
	s_waitcnt vmcnt(1)
	v_mov_b32_e32 v11, s0
	s_mov_b64 s[20:21], -1
	s_waitcnt vmcnt(0)
	v_cmp_ne_u16_e32 vcc, 0, v10
	v_cndmask_b32_e64 v10, 0, 1, vcc
.LBB54_2211:
	s_mov_b64 s[0:1], 0
.LBB54_2212:
	s_and_b64 vcc, exec, s[0:1]
	s_cbranch_vccz .LBB54_2261
; %bb.2213:
	s_and_b32 s4, 0xffff, s25
	s_cmp_lt_i32 s4, 5
	s_cbranch_scc1 .LBB54_2218
; %bb.2214:
	s_cmp_lt_i32 s4, 8
	s_cbranch_scc1 .LBB54_2219
; %bb.2215:
	;; [unrolled: 3-line block ×3, first 2 shown]
	s_cmp_gt_i32 s4, 9
	s_cbranch_scc0 .LBB54_2221
; %bb.2217:
	global_load_dwordx2 v[10:11], v[12:13], off
	s_movk_i32 s0, 0xffe0
	s_waitcnt vmcnt(0)
	v_trunc_f64_e32 v[10:11], v[10:11]
	v_ldexp_f64 v[19:20], v[10:11], s0
	s_mov_b32 s0, 0
	s_mov_b32 s1, 0xc1f00000
	v_floor_f64_e32 v[19:20], v[19:20]
	v_fma_f64 v[21:22], v[19:20], s[0:1], v[10:11]
	v_cvt_i32_f64_e32 v11, v[19:20]
	s_mov_b64 s[0:1], 0
	v_cvt_u32_f64_e32 v10, v[21:22]
	s_branch .LBB54_2222
.LBB54_2218:
	s_mov_b64 s[0:1], -1
                                        ; implicit-def: $vgpr10_vgpr11
	s_branch .LBB54_2240
.LBB54_2219:
	s_mov_b64 s[0:1], -1
                                        ; implicit-def: $vgpr10_vgpr11
	s_branch .LBB54_2228
.LBB54_2220:
	s_mov_b64 s[0:1], -1
                                        ; implicit-def: $vgpr10_vgpr11
	s_branch .LBB54_2225
.LBB54_2221:
	s_mov_b64 s[0:1], -1
                                        ; implicit-def: $vgpr10_vgpr11
.LBB54_2222:
	s_andn2_b64 vcc, exec, s[0:1]
	s_cbranch_vccnz .LBB54_2224
; %bb.2223:
	global_load_dword v10, v[12:13], off
	s_mov_b32 s0, 0x2f800000
	s_mov_b32 s1, 0xcf800000
	s_waitcnt vmcnt(0)
	v_trunc_f32_e32 v10, v10
	v_mul_f32_e64 v11, |v10|, s0
	v_floor_f32_e32 v11, v11
	v_cvt_u32_f32_e32 v15, v11
	v_fma_f32 v11, v11, s1, |v10|
	v_cvt_u32_f32_e32 v11, v11
	v_ashrrev_i32_e32 v17, 31, v10
	v_xor_b32_e32 v15, v15, v17
	v_xor_b32_e32 v10, v11, v17
	v_sub_co_u32_e32 v10, vcc, v10, v17
	v_subb_co_u32_e32 v11, vcc, v15, v17, vcc
.LBB54_2224:
	s_mov_b64 s[0:1], 0
.LBB54_2225:
	s_andn2_b64 vcc, exec, s[0:1]
	s_cbranch_vccnz .LBB54_2227
; %bb.2226:
	global_load_dword v10, v[12:13], off
	s_waitcnt vmcnt(0)
	v_cvt_f32_f16_e32 v10, v10
	v_cvt_i32_f32_e32 v10, v10
	v_ashrrev_i32_e32 v11, 31, v10
.LBB54_2227:
	s_mov_b64 s[0:1], 0
.LBB54_2228:
	s_andn2_b64 vcc, exec, s[0:1]
	s_cbranch_vccnz .LBB54_2239
; %bb.2229:
	s_cmp_lt_i32 s4, 6
	s_cbranch_scc1 .LBB54_2232
; %bb.2230:
	s_cmp_gt_i32 s4, 6
	s_cbranch_scc0 .LBB54_2233
; %bb.2231:
	global_load_dwordx2 v[10:11], v[12:13], off
	s_movk_i32 s0, 0xffe0
	s_waitcnt vmcnt(0)
	v_trunc_f64_e32 v[10:11], v[10:11]
	v_ldexp_f64 v[19:20], v[10:11], s0
	s_mov_b32 s0, 0
	s_mov_b32 s1, 0xc1f00000
	v_floor_f64_e32 v[19:20], v[19:20]
	v_fma_f64 v[21:22], v[19:20], s[0:1], v[10:11]
	v_cvt_i32_f64_e32 v11, v[19:20]
	s_mov_b64 s[0:1], 0
	v_cvt_u32_f64_e32 v10, v[21:22]
	s_branch .LBB54_2234
.LBB54_2232:
	s_mov_b64 s[0:1], -1
                                        ; implicit-def: $vgpr10_vgpr11
	s_branch .LBB54_2237
.LBB54_2233:
	s_mov_b64 s[0:1], -1
                                        ; implicit-def: $vgpr10_vgpr11
.LBB54_2234:
	s_andn2_b64 vcc, exec, s[0:1]
	s_cbranch_vccnz .LBB54_2236
; %bb.2235:
	global_load_dword v10, v[12:13], off
	s_mov_b32 s0, 0x2f800000
	s_mov_b32 s1, 0xcf800000
	s_waitcnt vmcnt(0)
	v_trunc_f32_e32 v10, v10
	v_mul_f32_e64 v11, |v10|, s0
	v_floor_f32_e32 v11, v11
	v_cvt_u32_f32_e32 v15, v11
	v_fma_f32 v11, v11, s1, |v10|
	v_cvt_u32_f32_e32 v11, v11
	v_ashrrev_i32_e32 v17, 31, v10
	v_xor_b32_e32 v15, v15, v17
	v_xor_b32_e32 v10, v11, v17
	v_sub_co_u32_e32 v10, vcc, v10, v17
	v_subb_co_u32_e32 v11, vcc, v15, v17, vcc
.LBB54_2236:
	s_mov_b64 s[0:1], 0
.LBB54_2237:
	s_andn2_b64 vcc, exec, s[0:1]
	s_cbranch_vccnz .LBB54_2239
; %bb.2238:
	global_load_ushort v10, v[12:13], off
	s_waitcnt vmcnt(0)
	v_cvt_f32_f16_e32 v10, v10
	v_cvt_i32_f32_e32 v10, v10
	v_ashrrev_i32_e32 v11, 31, v10
.LBB54_2239:
	s_mov_b64 s[0:1], 0
.LBB54_2240:
	s_andn2_b64 vcc, exec, s[0:1]
	s_cbranch_vccnz .LBB54_2260
; %bb.2241:
	s_cmp_lt_i32 s4, 2
	s_cbranch_scc1 .LBB54_2245
; %bb.2242:
	s_cmp_lt_i32 s4, 3
	s_cbranch_scc1 .LBB54_2246
; %bb.2243:
	s_cmp_gt_i32 s4, 3
	s_cbranch_scc0 .LBB54_2247
; %bb.2244:
	global_load_dwordx2 v[10:11], v[12:13], off
	s_mov_b64 s[0:1], 0
	s_branch .LBB54_2248
.LBB54_2245:
	s_mov_b64 s[0:1], -1
                                        ; implicit-def: $vgpr10_vgpr11
	s_branch .LBB54_2254
.LBB54_2246:
	s_mov_b64 s[0:1], -1
                                        ; implicit-def: $vgpr10_vgpr11
	s_branch .LBB54_2251
.LBB54_2247:
	s_mov_b64 s[0:1], -1
                                        ; implicit-def: $vgpr10_vgpr11
.LBB54_2248:
	s_andn2_b64 vcc, exec, s[0:1]
	s_cbranch_vccnz .LBB54_2250
; %bb.2249:
	global_load_dword v10, v[12:13], off
	s_waitcnt vmcnt(0)
	v_ashrrev_i32_e32 v11, 31, v10
.LBB54_2250:
	s_mov_b64 s[0:1], 0
.LBB54_2251:
	s_andn2_b64 vcc, exec, s[0:1]
	s_cbranch_vccnz .LBB54_2253
; %bb.2252:
	global_load_ushort v10, v[12:13], off
	s_waitcnt vmcnt(0)
	v_bfe_i32 v10, v10, 0, 16
	v_ashrrev_i32_e32 v11, 31, v10
.LBB54_2253:
	s_mov_b64 s[0:1], 0
.LBB54_2254:
	s_andn2_b64 vcc, exec, s[0:1]
	s_cbranch_vccnz .LBB54_2260
; %bb.2255:
	s_cmp_gt_i32 s4, 0
	s_cbranch_scc0 .LBB54_2257
; %bb.2256:
	global_load_sbyte v10, v[12:13], off
	s_mov_b64 s[0:1], 0
	s_waitcnt vmcnt(0)
	v_bfe_i32 v10, v10, 0, 16
	v_ashrrev_i32_e32 v11, 31, v10
	s_branch .LBB54_2258
.LBB54_2257:
	s_mov_b64 s[0:1], -1
                                        ; implicit-def: $vgpr10_vgpr11
.LBB54_2258:
	s_andn2_b64 vcc, exec, s[0:1]
	s_cbranch_vccnz .LBB54_2260
; %bb.2259:
	global_load_ubyte v10, v[12:13], off
	s_mov_b32 s0, 0
	s_waitcnt vmcnt(1)
	v_mov_b32_e32 v11, s0
	s_waitcnt vmcnt(0)
	v_and_b32_e32 v10, 0xffff, v10
.LBB54_2260:
	s_mov_b64 s[20:21], -1
.LBB54_2261:
	s_andn2_b64 vcc, exec, s[20:21]
	s_cbranch_vccnz .LBB54_2947
; %bb.2262:
	v_add_u32_e32 v12, s13, v14
	v_ashrrev_i32_e32 v13, 31, v12
	v_mov_b32_e32 v15, s11
	v_add_co_u32_e32 v14, vcc, s10, v12
	s_cmp_lt_i32 s24, 11
	v_addc_co_u32_e32 v15, vcc, v15, v13, vcc
	s_cbranch_scc1 .LBB54_2269
; %bb.2263:
	s_and_b32 s13, 0xffff, s24
	s_cmp_gt_i32 s13, 25
	s_mov_b64 s[4:5], 0
	s_cbranch_scc0 .LBB54_2270
; %bb.2264:
	s_cmp_gt_i32 s13, 28
	s_cbranch_scc0 .LBB54_2271
; %bb.2265:
	s_cmp_gt_i32 s13, 43
	;; [unrolled: 3-line block ×3, first 2 shown]
	s_cbranch_scc0 .LBB54_2274
; %bb.2267:
	s_cmp_eq_u32 s13, 46
	s_mov_b64 s[20:21], 0
	s_cbranch_scc0 .LBB54_2275
; %bb.2268:
	global_load_dword v12, v[14:15], off
	s_mov_b32 s0, 0x2f800000
	s_mov_b32 s1, 0xcf800000
	s_mov_b64 s[10:11], -1
	s_waitcnt vmcnt(0)
	v_lshlrev_b32_e32 v12, 16, v12
	v_trunc_f32_e32 v12, v12
	v_mul_f32_e64 v13, |v12|, s0
	v_floor_f32_e32 v13, v13
	v_fma_f32 v17, v13, s1, |v12|
	v_cvt_u32_f32_e32 v17, v17
	v_cvt_u32_f32_e32 v13, v13
	v_ashrrev_i32_e32 v19, 31, v12
	s_mov_b64 s[0:1], 0
	v_xor_b32_e32 v12, v17, v19
	v_xor_b32_e32 v13, v13, v19
	v_sub_co_u32_e32 v12, vcc, v12, v19
	v_subb_co_u32_e32 v13, vcc, v13, v19, vcc
	s_branch .LBB54_2276
.LBB54_2269:
	s_mov_b64 s[0:1], -1
	s_mov_b64 s[10:11], 0
                                        ; implicit-def: $vgpr12_vgpr13
	s_branch .LBB54_2338
.LBB54_2270:
	s_mov_b64 s[20:21], -1
	s_mov_b64 s[10:11], 0
	s_mov_b64 s[0:1], 0
                                        ; implicit-def: $vgpr12_vgpr13
	s_branch .LBB54_2305
.LBB54_2271:
	s_mov_b64 s[20:21], -1
	s_mov_b64 s[10:11], 0
	s_mov_b64 s[0:1], 0
                                        ; implicit-def: $vgpr12_vgpr13
	s_branch .LBB54_2286
.LBB54_2272:
	s_mov_b64 s[20:21], -1
	s_mov_b64 s[10:11], 0
	s_mov_b64 s[0:1], 0
                                        ; implicit-def: $vgpr12_vgpr13
	s_branch .LBB54_2281
.LBB54_2273:
	s_trap 2
	s_or_b64 s[18:19], s[18:19], exec
	s_cbranch_execz .LBB54_2210
	s_branch .LBB54_2211
.LBB54_2274:
	s_mov_b64 s[20:21], -1
	s_mov_b64 s[10:11], 0
	s_mov_b64 s[0:1], 0
                                        ; implicit-def: $vgpr12_vgpr13
	s_branch .LBB54_2276
.LBB54_2275:
	s_mov_b64 s[0:1], -1
                                        ; implicit-def: $vgpr12_vgpr13
	s_mov_b64 s[10:11], 0
.LBB54_2276:
	s_and_b64 vcc, exec, s[20:21]
	s_cbranch_vccz .LBB54_2280
; %bb.2277:
	s_cmp_eq_u32 s13, 44
	s_cbranch_scc0 .LBB54_2279
; %bb.2278:
	global_load_ubyte v12, v[14:15], off
	s_mov_b32 s0, 0x2f800000
	s_mov_b32 s1, 0xcf800000
	s_mov_b64 s[10:11], -1
	s_waitcnt vmcnt(0)
	v_lshlrev_b32_e32 v13, 23, v12
	v_trunc_f32_e32 v13, v13
	v_mul_f32_e64 v17, |v13|, s0
	v_floor_f32_e32 v17, v17
	v_fma_f32 v19, v17, s1, |v13|
	v_cvt_u32_f32_e32 v19, v19
	v_cvt_u32_f32_e32 v17, v17
	v_ashrrev_i32_e32 v13, 31, v13
	s_mov_b64 s[0:1], 0
	v_xor_b32_e32 v19, v19, v13
	v_xor_b32_e32 v17, v17, v13
	v_sub_co_u32_e32 v19, vcc, v19, v13
	v_subb_co_u32_e32 v13, vcc, v17, v13, vcc
	v_cmp_ne_u32_e32 vcc, 0, v12
	v_cndmask_b32_e32 v13, 0, v13, vcc
	v_cndmask_b32_e32 v12, 0, v19, vcc
	s_branch .LBB54_2280
.LBB54_2279:
	s_mov_b64 s[0:1], -1
                                        ; implicit-def: $vgpr12_vgpr13
.LBB54_2280:
	s_mov_b64 s[20:21], 0
.LBB54_2281:
	s_and_b64 vcc, exec, s[20:21]
	s_cbranch_vccz .LBB54_2285
; %bb.2282:
	s_cmp_eq_u32 s13, 29
	s_cbranch_scc0 .LBB54_2284
; %bb.2283:
	global_load_dwordx2 v[12:13], v[14:15], off
	s_mov_b64 s[0:1], 0
	s_mov_b64 s[10:11], -1
	s_branch .LBB54_2285
.LBB54_2284:
	s_mov_b64 s[0:1], -1
                                        ; implicit-def: $vgpr12_vgpr13
.LBB54_2285:
	s_mov_b64 s[20:21], 0
.LBB54_2286:
	s_and_b64 vcc, exec, s[20:21]
	s_cbranch_vccz .LBB54_2304
; %bb.2287:
	s_cmp_lt_i32 s13, 27
	s_cbranch_scc1 .LBB54_2290
; %bb.2288:
	s_cmp_gt_i32 s13, 27
	s_cbranch_scc0 .LBB54_2291
; %bb.2289:
	global_load_dword v12, v[14:15], off
	s_waitcnt vmcnt(1)
	v_mov_b32_e32 v13, 0
	s_mov_b64 s[10:11], 0
	s_branch .LBB54_2292
.LBB54_2290:
	s_mov_b64 s[10:11], -1
                                        ; implicit-def: $vgpr12_vgpr13
	s_branch .LBB54_2295
.LBB54_2291:
	s_mov_b64 s[10:11], -1
                                        ; implicit-def: $vgpr12_vgpr13
.LBB54_2292:
	s_andn2_b64 vcc, exec, s[10:11]
	s_cbranch_vccnz .LBB54_2294
; %bb.2293:
	global_load_ushort v12, v[14:15], off
	s_mov_b32 s10, 0
	s_waitcnt vmcnt(1)
	v_mov_b32_e32 v13, s10
	s_waitcnt vmcnt(0)
	v_and_b32_e32 v12, 0xffff, v12
.LBB54_2294:
	s_mov_b64 s[10:11], 0
.LBB54_2295:
	s_andn2_b64 vcc, exec, s[10:11]
	s_cbranch_vccnz .LBB54_2303
; %bb.2296:
	global_load_ubyte v17, v[14:15], off
	s_movk_i32 s10, 0x7f
	s_mov_b64 s[20:21], 0
	s_waitcnt vmcnt(0)
	v_cmp_lt_i16_e32 vcc, s10, v17
	s_and_saveexec_b64 s[10:11], vcc
	s_xor_b64 s[10:11], exec, s[10:11]
; %bb.2297:
	s_movk_i32 s20, 0x80
	v_cmp_ne_u16_e32 vcc, s20, v17
	s_and_b64 s[20:21], vcc, exec
; %bb.2298:
	s_andn2_saveexec_b64 s[10:11], s[10:11]
; %bb.2299:
	v_cmp_ne_u16_e32 vcc, 0, v17
	s_andn2_b64 s[20:21], s[20:21], exec
	s_and_b64 s[22:23], vcc, exec
	s_or_b64 s[20:21], s[20:21], s[22:23]
; %bb.2300:
	s_or_b64 exec, exec, s[10:11]
	v_mov_b32_e32 v12, 0
	v_mov_b32_e32 v13, 0
	s_and_saveexec_b64 s[10:11], s[20:21]
	s_cbranch_execz .LBB54_2302
; %bb.2301:
	v_and_b32_e32 v13, 0xffff, v17
	v_lshlrev_b32_e32 v12, 24, v17
	v_and_b32_e32 v17, 7, v13
	v_ffbh_u32_e32 v20, v17
	v_min_u32_e32 v20, 32, v20
	v_subrev_u32_e32 v21, 28, v20
	v_bfe_u32 v19, v13, 3, 4
	v_lshlrev_b32_e32 v13, v21, v13
	v_sub_u32_e32 v20, 29, v20
	v_and_b32_e32 v13, 7, v13
	v_cmp_eq_u32_e32 vcc, 0, v19
	v_cndmask_b32_e32 v19, v19, v20, vcc
	v_cndmask_b32_e32 v13, v17, v13, vcc
	v_mov_b32_e32 v17, 0x3b800000
	v_lshlrev_b32_e32 v13, 20, v13
	v_and_b32_e32 v12, 0x80000000, v12
	v_lshl_add_u32 v17, v19, 23, v17
	v_or3_b32 v12, v12, v17, v13
	v_trunc_f32_e32 v12, v12
	s_mov_b32 s20, 0x2f800000
	v_mul_f32_e64 v13, |v12|, s20
	v_floor_f32_e32 v13, v13
	s_mov_b32 s20, 0xcf800000
	v_fma_f32 v17, v13, s20, |v12|
	v_cvt_u32_f32_e32 v17, v17
	v_cvt_u32_f32_e32 v13, v13
	v_ashrrev_i32_e32 v19, 31, v12
	v_xor_b32_e32 v12, v17, v19
	v_xor_b32_e32 v13, v13, v19
	v_sub_co_u32_e32 v12, vcc, v12, v19
	v_subb_co_u32_e32 v13, vcc, v13, v19, vcc
.LBB54_2302:
	s_or_b64 exec, exec, s[10:11]
.LBB54_2303:
	s_mov_b64 s[10:11], -1
.LBB54_2304:
	s_mov_b64 s[20:21], 0
.LBB54_2305:
	s_and_b64 vcc, exec, s[20:21]
	s_cbranch_vccz .LBB54_2334
; %bb.2306:
	s_cmp_gt_i32 s13, 22
	s_cbranch_scc0 .LBB54_2316
; %bb.2307:
	s_cmp_lt_i32 s13, 24
	s_cbranch_scc1 .LBB54_2317
; %bb.2308:
	s_cmp_gt_i32 s13, 24
	s_cbranch_scc0 .LBB54_2318
; %bb.2309:
	global_load_ubyte v17, v[14:15], off
	s_movk_i32 s4, 0x7f
	s_mov_b64 s[10:11], 0
	s_waitcnt vmcnt(0)
	v_cmp_lt_i16_e32 vcc, s4, v17
	s_and_saveexec_b64 s[4:5], vcc
	s_xor_b64 s[4:5], exec, s[4:5]
; %bb.2310:
	s_movk_i32 s10, 0x80
	v_cmp_ne_u16_e32 vcc, s10, v17
	s_and_b64 s[10:11], vcc, exec
; %bb.2311:
	s_andn2_saveexec_b64 s[4:5], s[4:5]
; %bb.2312:
	v_cmp_ne_u16_e32 vcc, 0, v17
	s_andn2_b64 s[10:11], s[10:11], exec
	s_and_b64 s[20:21], vcc, exec
	s_or_b64 s[10:11], s[10:11], s[20:21]
; %bb.2313:
	s_or_b64 exec, exec, s[4:5]
	v_mov_b32_e32 v12, 0
	v_mov_b32_e32 v13, 0
	s_and_saveexec_b64 s[4:5], s[10:11]
	s_cbranch_execz .LBB54_2315
; %bb.2314:
	v_and_b32_e32 v13, 0xffff, v17
	v_lshlrev_b32_e32 v12, 24, v17
	v_and_b32_e32 v17, 3, v13
	v_ffbh_u32_e32 v20, v17
	v_min_u32_e32 v20, 32, v20
	v_subrev_u32_e32 v21, 29, v20
	v_bfe_u32 v19, v13, 2, 5
	v_lshlrev_b32_e32 v13, v21, v13
	v_sub_u32_e32 v20, 30, v20
	v_and_b32_e32 v13, 3, v13
	v_cmp_eq_u32_e32 vcc, 0, v19
	v_cndmask_b32_e32 v19, v19, v20, vcc
	v_cndmask_b32_e32 v13, v17, v13, vcc
	v_mov_b32_e32 v17, 0x37800000
	v_lshlrev_b32_e32 v13, 21, v13
	v_and_b32_e32 v12, 0x80000000, v12
	v_lshl_add_u32 v17, v19, 23, v17
	v_or3_b32 v12, v12, v17, v13
	v_trunc_f32_e32 v12, v12
	s_mov_b32 s10, 0x2f800000
	v_mul_f32_e64 v13, |v12|, s10
	v_floor_f32_e32 v13, v13
	s_mov_b32 s10, 0xcf800000
	v_fma_f32 v17, v13, s10, |v12|
	v_cvt_u32_f32_e32 v17, v17
	v_cvt_u32_f32_e32 v13, v13
	v_ashrrev_i32_e32 v19, 31, v12
	v_xor_b32_e32 v12, v17, v19
	v_xor_b32_e32 v13, v13, v19
	v_sub_co_u32_e32 v12, vcc, v12, v19
	v_subb_co_u32_e32 v13, vcc, v13, v19, vcc
.LBB54_2315:
	s_or_b64 exec, exec, s[4:5]
	s_mov_b64 s[4:5], 0
	s_branch .LBB54_2319
.LBB54_2316:
	s_mov_b64 s[4:5], -1
                                        ; implicit-def: $vgpr12_vgpr13
	s_branch .LBB54_2325
.LBB54_2317:
	s_mov_b64 s[4:5], -1
                                        ; implicit-def: $vgpr12_vgpr13
	s_branch .LBB54_2322
.LBB54_2318:
	s_mov_b64 s[4:5], -1
                                        ; implicit-def: $vgpr12_vgpr13
.LBB54_2319:
	s_and_b64 vcc, exec, s[4:5]
	s_cbranch_vccz .LBB54_2321
; %bb.2320:
	global_load_ubyte v12, v[14:15], off
	s_mov_b32 s4, 0x7f800000
	s_brev_b32 s5, 1
	s_mov_b32 s10, 0x2f800000
	s_mov_b32 s11, 0xcf800000
	s_waitcnt vmcnt(0)
	v_lshlrev_b32_e32 v12, 24, v12
	v_and_b32_e32 v13, 0x7f000000, v12
	v_ffbh_u32_e32 v17, v13
	v_min_u32_e32 v17, 32, v17
	v_sub_u32_e64 v17, v17, 4 clamp
	v_lshlrev_b32_e32 v20, v17, v13
	v_lshlrev_b32_e32 v17, 23, v17
	v_lshrrev_b32_e32 v20, 4, v20
	v_add_u32_e32 v19, 0x1000000, v13
	v_sub_u32_e32 v17, v20, v17
	v_ashrrev_i32_e32 v19, 8, v19
	v_add_u32_e32 v17, 0x3c000000, v17
	v_and_or_b32 v17, v19, s4, v17
	v_cmp_ne_u32_e32 vcc, 0, v13
	v_cndmask_b32_e32 v13, 0, v17, vcc
	v_and_or_b32 v12, v12, s5, v13
	v_trunc_f32_e32 v12, v12
	v_mul_f32_e64 v13, |v12|, s10
	v_floor_f32_e32 v13, v13
	v_fma_f32 v17, v13, s11, |v12|
	v_cvt_u32_f32_e32 v17, v17
	v_cvt_u32_f32_e32 v13, v13
	v_ashrrev_i32_e32 v19, 31, v12
	v_xor_b32_e32 v12, v17, v19
	v_xor_b32_e32 v13, v13, v19
	v_sub_co_u32_e32 v12, vcc, v12, v19
	v_subb_co_u32_e32 v13, vcc, v13, v19, vcc
.LBB54_2321:
	s_mov_b64 s[4:5], 0
.LBB54_2322:
	s_andn2_b64 vcc, exec, s[4:5]
	s_cbranch_vccnz .LBB54_2324
; %bb.2323:
	global_load_ubyte v12, v[14:15], off
	s_movk_i32 s4, 0x7f00
	s_brev_b32 s5, 16
	s_brev_b32 s10, 1
	s_mov_b32 s11, 0x2f800000
	s_mov_b32 s20, 0xcf800000
	s_waitcnt vmcnt(0)
	v_lshlrev_b16_e32 v13, 8, v12
	v_lshlrev_b32_e32 v12, 25, v12
	v_lshrrev_b32_e32 v17, 4, v12
	v_and_or_b32 v19, v13, s4, 0.5
	v_or_b32_e32 v17, 0x70000000, v17
	v_add_f32_e32 v19, -0.5, v19
	v_mul_f32_e32 v17, 0x7800000, v17
	v_cmp_gt_u32_e32 vcc, s5, v12
	v_bfe_i32 v13, v13, 0, 16
	v_cndmask_b32_e32 v12, v17, v19, vcc
	v_and_or_b32 v12, v13, s10, v12
	v_trunc_f32_e32 v12, v12
	v_mul_f32_e64 v13, |v12|, s11
	v_floor_f32_e32 v13, v13
	v_fma_f32 v17, v13, s20, |v12|
	v_cvt_u32_f32_e32 v17, v17
	v_cvt_u32_f32_e32 v13, v13
	v_ashrrev_i32_e32 v19, 31, v12
	v_xor_b32_e32 v12, v17, v19
	v_xor_b32_e32 v13, v13, v19
	v_sub_co_u32_e32 v12, vcc, v12, v19
	v_subb_co_u32_e32 v13, vcc, v13, v19, vcc
.LBB54_2324:
	s_mov_b64 s[4:5], 0
	s_mov_b64 s[10:11], -1
.LBB54_2325:
	s_andn2_b64 vcc, exec, s[4:5]
	s_mov_b64 s[4:5], 0
	s_cbranch_vccnz .LBB54_2334
; %bb.2326:
	s_cmp_gt_i32 s13, 14
	s_cbranch_scc0 .LBB54_2329
; %bb.2327:
	s_cmp_eq_u32 s13, 15
	s_cbranch_scc0 .LBB54_2330
; %bb.2328:
	global_load_ushort v12, v[14:15], off
	s_mov_b32 s0, 0x2f800000
	s_mov_b32 s1, 0xcf800000
	s_mov_b64 s[10:11], -1
	s_waitcnt vmcnt(0)
	v_lshlrev_b32_e32 v12, 16, v12
	v_trunc_f32_e32 v12, v12
	v_mul_f32_e64 v13, |v12|, s0
	v_floor_f32_e32 v13, v13
	v_fma_f32 v17, v13, s1, |v12|
	v_cvt_u32_f32_e32 v17, v17
	v_cvt_u32_f32_e32 v13, v13
	v_ashrrev_i32_e32 v19, 31, v12
	s_mov_b64 s[0:1], 0
	v_xor_b32_e32 v12, v17, v19
	v_xor_b32_e32 v13, v13, v19
	v_sub_co_u32_e32 v12, vcc, v12, v19
	v_subb_co_u32_e32 v13, vcc, v13, v19, vcc
	s_branch .LBB54_2331
.LBB54_2329:
	s_mov_b64 s[20:21], -1
                                        ; implicit-def: $vgpr12_vgpr13
	s_branch .LBB54_2332
.LBB54_2330:
	s_mov_b64 s[0:1], -1
                                        ; implicit-def: $vgpr12_vgpr13
.LBB54_2331:
	s_mov_b64 s[20:21], 0
.LBB54_2332:
	s_and_b64 vcc, exec, s[20:21]
	s_cbranch_vccz .LBB54_2334
; %bb.2333:
	s_cmp_lg_u32 s13, 11
	s_mov_b64 s[4:5], -1
	s_cselect_b64 s[0:1], -1, 0
.LBB54_2334:
	s_and_b64 vcc, exec, s[0:1]
	s_cbranch_vccnz .LBB54_2399
; %bb.2335:
	s_andn2_b64 vcc, exec, s[4:5]
	s_cbranch_vccnz .LBB54_2337
.LBB54_2336:
	global_load_ubyte v12, v[14:15], off
	s_mov_b32 s0, 0
	s_waitcnt vmcnt(1)
	v_mov_b32_e32 v13, s0
	s_mov_b64 s[10:11], -1
	s_waitcnt vmcnt(0)
	v_cmp_ne_u16_e32 vcc, 0, v12
	v_cndmask_b32_e64 v12, 0, 1, vcc
.LBB54_2337:
	s_mov_b64 s[0:1], 0
.LBB54_2338:
	s_and_b64 vcc, exec, s[0:1]
	s_cbranch_vccz .LBB54_2387
; %bb.2339:
	s_and_b32 s4, 0xffff, s24
	s_cmp_lt_i32 s4, 5
	s_cbranch_scc1 .LBB54_2344
; %bb.2340:
	s_cmp_lt_i32 s4, 8
	s_cbranch_scc1 .LBB54_2345
; %bb.2341:
	;; [unrolled: 3-line block ×3, first 2 shown]
	s_cmp_gt_i32 s4, 9
	s_cbranch_scc0 .LBB54_2347
; %bb.2343:
	global_load_dwordx2 v[12:13], v[14:15], off
	s_movk_i32 s0, 0xffe0
	s_waitcnt vmcnt(0)
	v_trunc_f64_e32 v[12:13], v[12:13]
	v_ldexp_f64 v[19:20], v[12:13], s0
	s_mov_b32 s0, 0
	s_mov_b32 s1, 0xc1f00000
	v_floor_f64_e32 v[19:20], v[19:20]
	v_fma_f64 v[21:22], v[19:20], s[0:1], v[12:13]
	v_cvt_i32_f64_e32 v13, v[19:20]
	s_mov_b64 s[0:1], 0
	v_cvt_u32_f64_e32 v12, v[21:22]
	s_branch .LBB54_2348
.LBB54_2344:
	s_mov_b64 s[0:1], -1
                                        ; implicit-def: $vgpr12_vgpr13
	s_branch .LBB54_2366
.LBB54_2345:
	s_mov_b64 s[0:1], -1
                                        ; implicit-def: $vgpr12_vgpr13
	s_branch .LBB54_2354
.LBB54_2346:
	s_mov_b64 s[0:1], -1
                                        ; implicit-def: $vgpr12_vgpr13
	s_branch .LBB54_2351
.LBB54_2347:
	s_mov_b64 s[0:1], -1
                                        ; implicit-def: $vgpr12_vgpr13
.LBB54_2348:
	s_andn2_b64 vcc, exec, s[0:1]
	s_cbranch_vccnz .LBB54_2350
; %bb.2349:
	global_load_dword v12, v[14:15], off
	s_mov_b32 s0, 0x2f800000
	s_mov_b32 s1, 0xcf800000
	s_waitcnt vmcnt(0)
	v_trunc_f32_e32 v12, v12
	v_mul_f32_e64 v13, |v12|, s0
	v_floor_f32_e32 v13, v13
	v_cvt_u32_f32_e32 v17, v13
	v_fma_f32 v13, v13, s1, |v12|
	v_cvt_u32_f32_e32 v13, v13
	v_ashrrev_i32_e32 v19, 31, v12
	v_xor_b32_e32 v17, v17, v19
	v_xor_b32_e32 v12, v13, v19
	v_sub_co_u32_e32 v12, vcc, v12, v19
	v_subb_co_u32_e32 v13, vcc, v17, v19, vcc
.LBB54_2350:
	s_mov_b64 s[0:1], 0
.LBB54_2351:
	s_andn2_b64 vcc, exec, s[0:1]
	s_cbranch_vccnz .LBB54_2353
; %bb.2352:
	global_load_dword v12, v[14:15], off
	s_waitcnt vmcnt(0)
	v_cvt_f32_f16_e32 v12, v12
	v_cvt_i32_f32_e32 v12, v12
	v_ashrrev_i32_e32 v13, 31, v12
.LBB54_2353:
	s_mov_b64 s[0:1], 0
.LBB54_2354:
	s_andn2_b64 vcc, exec, s[0:1]
	s_cbranch_vccnz .LBB54_2365
; %bb.2355:
	s_cmp_lt_i32 s4, 6
	s_cbranch_scc1 .LBB54_2358
; %bb.2356:
	s_cmp_gt_i32 s4, 6
	s_cbranch_scc0 .LBB54_2359
; %bb.2357:
	global_load_dwordx2 v[12:13], v[14:15], off
	s_movk_i32 s0, 0xffe0
	s_waitcnt vmcnt(0)
	v_trunc_f64_e32 v[12:13], v[12:13]
	v_ldexp_f64 v[19:20], v[12:13], s0
	s_mov_b32 s0, 0
	s_mov_b32 s1, 0xc1f00000
	v_floor_f64_e32 v[19:20], v[19:20]
	v_fma_f64 v[21:22], v[19:20], s[0:1], v[12:13]
	v_cvt_i32_f64_e32 v13, v[19:20]
	s_mov_b64 s[0:1], 0
	v_cvt_u32_f64_e32 v12, v[21:22]
	s_branch .LBB54_2360
.LBB54_2358:
	s_mov_b64 s[0:1], -1
                                        ; implicit-def: $vgpr12_vgpr13
	s_branch .LBB54_2363
.LBB54_2359:
	s_mov_b64 s[0:1], -1
                                        ; implicit-def: $vgpr12_vgpr13
.LBB54_2360:
	s_andn2_b64 vcc, exec, s[0:1]
	s_cbranch_vccnz .LBB54_2362
; %bb.2361:
	global_load_dword v12, v[14:15], off
	s_mov_b32 s0, 0x2f800000
	s_mov_b32 s1, 0xcf800000
	s_waitcnt vmcnt(0)
	v_trunc_f32_e32 v12, v12
	v_mul_f32_e64 v13, |v12|, s0
	v_floor_f32_e32 v13, v13
	v_cvt_u32_f32_e32 v17, v13
	v_fma_f32 v13, v13, s1, |v12|
	v_cvt_u32_f32_e32 v13, v13
	v_ashrrev_i32_e32 v19, 31, v12
	v_xor_b32_e32 v17, v17, v19
	v_xor_b32_e32 v12, v13, v19
	v_sub_co_u32_e32 v12, vcc, v12, v19
	v_subb_co_u32_e32 v13, vcc, v17, v19, vcc
.LBB54_2362:
	s_mov_b64 s[0:1], 0
.LBB54_2363:
	s_andn2_b64 vcc, exec, s[0:1]
	s_cbranch_vccnz .LBB54_2365
; %bb.2364:
	global_load_ushort v12, v[14:15], off
	s_waitcnt vmcnt(0)
	v_cvt_f32_f16_e32 v12, v12
	v_cvt_i32_f32_e32 v12, v12
	v_ashrrev_i32_e32 v13, 31, v12
.LBB54_2365:
	s_mov_b64 s[0:1], 0
.LBB54_2366:
	s_andn2_b64 vcc, exec, s[0:1]
	s_cbranch_vccnz .LBB54_2386
; %bb.2367:
	s_cmp_lt_i32 s4, 2
	s_cbranch_scc1 .LBB54_2371
; %bb.2368:
	s_cmp_lt_i32 s4, 3
	s_cbranch_scc1 .LBB54_2372
; %bb.2369:
	s_cmp_gt_i32 s4, 3
	s_cbranch_scc0 .LBB54_2373
; %bb.2370:
	global_load_dwordx2 v[12:13], v[14:15], off
	s_mov_b64 s[0:1], 0
	s_branch .LBB54_2374
.LBB54_2371:
	s_mov_b64 s[0:1], -1
                                        ; implicit-def: $vgpr12_vgpr13
	s_branch .LBB54_2380
.LBB54_2372:
	s_mov_b64 s[0:1], -1
                                        ; implicit-def: $vgpr12_vgpr13
	s_branch .LBB54_2377
.LBB54_2373:
	s_mov_b64 s[0:1], -1
                                        ; implicit-def: $vgpr12_vgpr13
.LBB54_2374:
	s_andn2_b64 vcc, exec, s[0:1]
	s_cbranch_vccnz .LBB54_2376
; %bb.2375:
	global_load_dword v12, v[14:15], off
	s_waitcnt vmcnt(0)
	v_ashrrev_i32_e32 v13, 31, v12
.LBB54_2376:
	s_mov_b64 s[0:1], 0
.LBB54_2377:
	s_andn2_b64 vcc, exec, s[0:1]
	s_cbranch_vccnz .LBB54_2379
; %bb.2378:
	global_load_ushort v12, v[14:15], off
	s_waitcnt vmcnt(0)
	v_bfe_i32 v12, v12, 0, 16
	v_ashrrev_i32_e32 v13, 31, v12
.LBB54_2379:
	s_mov_b64 s[0:1], 0
.LBB54_2380:
	s_andn2_b64 vcc, exec, s[0:1]
	s_cbranch_vccnz .LBB54_2386
; %bb.2381:
	s_cmp_gt_i32 s4, 0
	s_cbranch_scc0 .LBB54_2383
; %bb.2382:
	global_load_sbyte v12, v[14:15], off
	s_mov_b64 s[0:1], 0
	s_waitcnt vmcnt(0)
	v_bfe_i32 v12, v12, 0, 16
	v_ashrrev_i32_e32 v13, 31, v12
	s_branch .LBB54_2384
.LBB54_2383:
	s_mov_b64 s[0:1], -1
                                        ; implicit-def: $vgpr12_vgpr13
.LBB54_2384:
	s_andn2_b64 vcc, exec, s[0:1]
	s_cbranch_vccnz .LBB54_2386
; %bb.2385:
	global_load_ubyte v12, v[14:15], off
	s_mov_b32 s0, 0
	s_waitcnt vmcnt(1)
	v_mov_b32_e32 v13, s0
	s_waitcnt vmcnt(0)
	v_and_b32_e32 v12, 0xffff, v12
.LBB54_2386:
	s_mov_b64 s[10:11], -1
.LBB54_2387:
	s_andn2_b64 vcc, exec, s[10:11]
	s_cbranch_vccnz .LBB54_2947
; %bb.2388:
	v_add_u32_e32 v14, s14, v16
	v_ashrrev_i32_e32 v15, 31, v14
	v_mov_b32_e32 v17, s3
	v_add_co_u32_e32 v16, vcc, s2, v14
	s_cmp_lt_i32 s25, 11
	v_addc_co_u32_e32 v17, vcc, v17, v15, vcc
	s_cbranch_scc1 .LBB54_2395
; %bb.2389:
	s_and_b32 s13, 0xffff, s25
	s_cmp_gt_i32 s13, 25
	s_mov_b64 s[2:3], 0
	s_cbranch_scc0 .LBB54_2396
; %bb.2390:
	s_cmp_gt_i32 s13, 28
	s_cbranch_scc0 .LBB54_2397
; %bb.2391:
	s_cmp_gt_i32 s13, 43
	;; [unrolled: 3-line block ×3, first 2 shown]
	s_cbranch_scc0 .LBB54_2400
; %bb.2393:
	s_cmp_eq_u32 s13, 46
	s_mov_b64 s[10:11], 0
	s_cbranch_scc0 .LBB54_2401
; %bb.2394:
	global_load_dword v14, v[16:17], off
	s_mov_b32 s0, 0x2f800000
	s_mov_b32 s1, 0xcf800000
	s_mov_b64 s[4:5], -1
	s_waitcnt vmcnt(0)
	v_lshlrev_b32_e32 v14, 16, v14
	v_trunc_f32_e32 v14, v14
	v_mul_f32_e64 v15, |v14|, s0
	v_floor_f32_e32 v15, v15
	v_fma_f32 v19, v15, s1, |v14|
	v_cvt_u32_f32_e32 v19, v19
	v_cvt_u32_f32_e32 v15, v15
	v_ashrrev_i32_e32 v20, 31, v14
	s_mov_b64 s[0:1], 0
	v_xor_b32_e32 v14, v19, v20
	v_xor_b32_e32 v15, v15, v20
	v_sub_co_u32_e32 v14, vcc, v14, v20
	v_subb_co_u32_e32 v15, vcc, v15, v20, vcc
	s_branch .LBB54_2402
.LBB54_2395:
	s_mov_b64 s[0:1], -1
	s_mov_b64 s[4:5], 0
                                        ; implicit-def: $vgpr14_vgpr15
	s_branch .LBB54_2464
.LBB54_2396:
	s_mov_b64 s[10:11], -1
	s_mov_b64 s[4:5], 0
	s_mov_b64 s[0:1], 0
                                        ; implicit-def: $vgpr14_vgpr15
	s_branch .LBB54_2431
.LBB54_2397:
	s_mov_b64 s[10:11], -1
	s_mov_b64 s[4:5], 0
	s_mov_b64 s[0:1], 0
                                        ; implicit-def: $vgpr14_vgpr15
	s_branch .LBB54_2412
.LBB54_2398:
	s_mov_b64 s[10:11], -1
	s_mov_b64 s[4:5], 0
	s_mov_b64 s[0:1], 0
                                        ; implicit-def: $vgpr14_vgpr15
	s_branch .LBB54_2407
.LBB54_2399:
	s_trap 2
	s_or_b64 s[18:19], s[18:19], exec
	s_cbranch_execz .LBB54_2336
	s_branch .LBB54_2337
.LBB54_2400:
	s_mov_b64 s[10:11], -1
	s_mov_b64 s[4:5], 0
	s_mov_b64 s[0:1], 0
                                        ; implicit-def: $vgpr14_vgpr15
	s_branch .LBB54_2402
.LBB54_2401:
	s_mov_b64 s[0:1], -1
                                        ; implicit-def: $vgpr14_vgpr15
	s_mov_b64 s[4:5], 0
.LBB54_2402:
	s_and_b64 vcc, exec, s[10:11]
	s_cbranch_vccz .LBB54_2406
; %bb.2403:
	s_cmp_eq_u32 s13, 44
	s_cbranch_scc0 .LBB54_2405
; %bb.2404:
	global_load_ubyte v14, v[16:17], off
	s_mov_b32 s0, 0x2f800000
	s_mov_b32 s1, 0xcf800000
	s_mov_b64 s[4:5], -1
	s_waitcnt vmcnt(0)
	v_lshlrev_b32_e32 v15, 23, v14
	v_trunc_f32_e32 v15, v15
	v_mul_f32_e64 v19, |v15|, s0
	v_floor_f32_e32 v19, v19
	v_fma_f32 v20, v19, s1, |v15|
	v_cvt_u32_f32_e32 v20, v20
	v_cvt_u32_f32_e32 v19, v19
	v_ashrrev_i32_e32 v15, 31, v15
	s_mov_b64 s[0:1], 0
	v_xor_b32_e32 v20, v20, v15
	v_xor_b32_e32 v19, v19, v15
	v_sub_co_u32_e32 v20, vcc, v20, v15
	v_subb_co_u32_e32 v15, vcc, v19, v15, vcc
	v_cmp_ne_u32_e32 vcc, 0, v14
	v_cndmask_b32_e32 v15, 0, v15, vcc
	v_cndmask_b32_e32 v14, 0, v20, vcc
	s_branch .LBB54_2406
.LBB54_2405:
	s_mov_b64 s[0:1], -1
                                        ; implicit-def: $vgpr14_vgpr15
.LBB54_2406:
	s_mov_b64 s[10:11], 0
.LBB54_2407:
	s_and_b64 vcc, exec, s[10:11]
	s_cbranch_vccz .LBB54_2411
; %bb.2408:
	s_cmp_eq_u32 s13, 29
	s_cbranch_scc0 .LBB54_2410
; %bb.2409:
	global_load_dwordx2 v[14:15], v[16:17], off
	s_mov_b64 s[0:1], 0
	s_mov_b64 s[4:5], -1
	s_branch .LBB54_2411
.LBB54_2410:
	s_mov_b64 s[0:1], -1
                                        ; implicit-def: $vgpr14_vgpr15
.LBB54_2411:
	s_mov_b64 s[10:11], 0
.LBB54_2412:
	s_and_b64 vcc, exec, s[10:11]
	s_cbranch_vccz .LBB54_2430
; %bb.2413:
	s_cmp_lt_i32 s13, 27
	s_cbranch_scc1 .LBB54_2416
; %bb.2414:
	s_cmp_gt_i32 s13, 27
	s_cbranch_scc0 .LBB54_2417
; %bb.2415:
	global_load_dword v14, v[16:17], off
	s_waitcnt vmcnt(1)
	v_mov_b32_e32 v15, 0
	s_mov_b64 s[4:5], 0
	s_branch .LBB54_2418
.LBB54_2416:
	s_mov_b64 s[4:5], -1
                                        ; implicit-def: $vgpr14_vgpr15
	s_branch .LBB54_2421
.LBB54_2417:
	s_mov_b64 s[4:5], -1
                                        ; implicit-def: $vgpr14_vgpr15
.LBB54_2418:
	s_andn2_b64 vcc, exec, s[4:5]
	s_cbranch_vccnz .LBB54_2420
; %bb.2419:
	global_load_ushort v14, v[16:17], off
	s_mov_b32 s4, 0
	s_waitcnt vmcnt(1)
	v_mov_b32_e32 v15, s4
	s_waitcnt vmcnt(0)
	v_and_b32_e32 v14, 0xffff, v14
.LBB54_2420:
	s_mov_b64 s[4:5], 0
.LBB54_2421:
	s_andn2_b64 vcc, exec, s[4:5]
	s_cbranch_vccnz .LBB54_2429
; %bb.2422:
	global_load_ubyte v19, v[16:17], off
	s_movk_i32 s4, 0x7f
	s_mov_b64 s[10:11], 0
	s_waitcnt vmcnt(0)
	v_cmp_lt_i16_e32 vcc, s4, v19
	s_and_saveexec_b64 s[4:5], vcc
	s_xor_b64 s[4:5], exec, s[4:5]
; %bb.2423:
	s_movk_i32 s10, 0x80
	v_cmp_ne_u16_e32 vcc, s10, v19
	s_and_b64 s[10:11], vcc, exec
; %bb.2424:
	s_andn2_saveexec_b64 s[4:5], s[4:5]
; %bb.2425:
	v_cmp_ne_u16_e32 vcc, 0, v19
	s_andn2_b64 s[10:11], s[10:11], exec
	s_and_b64 s[20:21], vcc, exec
	s_or_b64 s[10:11], s[10:11], s[20:21]
; %bb.2426:
	s_or_b64 exec, exec, s[4:5]
	v_mov_b32_e32 v14, 0
	v_mov_b32_e32 v15, 0
	s_and_saveexec_b64 s[4:5], s[10:11]
	s_cbranch_execz .LBB54_2428
; %bb.2427:
	v_and_b32_e32 v15, 0xffff, v19
	v_lshlrev_b32_e32 v14, 24, v19
	v_and_b32_e32 v19, 7, v15
	v_ffbh_u32_e32 v21, v19
	v_min_u32_e32 v21, 32, v21
	v_subrev_u32_e32 v22, 28, v21
	v_bfe_u32 v20, v15, 3, 4
	v_lshlrev_b32_e32 v15, v22, v15
	v_sub_u32_e32 v21, 29, v21
	v_and_b32_e32 v15, 7, v15
	v_cmp_eq_u32_e32 vcc, 0, v20
	v_cndmask_b32_e32 v20, v20, v21, vcc
	v_cndmask_b32_e32 v15, v19, v15, vcc
	v_mov_b32_e32 v19, 0x3b800000
	v_lshlrev_b32_e32 v15, 20, v15
	v_and_b32_e32 v14, 0x80000000, v14
	v_lshl_add_u32 v19, v20, 23, v19
	v_or3_b32 v14, v14, v19, v15
	v_trunc_f32_e32 v14, v14
	s_mov_b32 s10, 0x2f800000
	v_mul_f32_e64 v15, |v14|, s10
	v_floor_f32_e32 v15, v15
	s_mov_b32 s10, 0xcf800000
	v_fma_f32 v19, v15, s10, |v14|
	v_cvt_u32_f32_e32 v19, v19
	v_cvt_u32_f32_e32 v15, v15
	v_ashrrev_i32_e32 v20, 31, v14
	v_xor_b32_e32 v14, v19, v20
	v_xor_b32_e32 v15, v15, v20
	v_sub_co_u32_e32 v14, vcc, v14, v20
	v_subb_co_u32_e32 v15, vcc, v15, v20, vcc
.LBB54_2428:
	s_or_b64 exec, exec, s[4:5]
.LBB54_2429:
	s_mov_b64 s[4:5], -1
.LBB54_2430:
	s_mov_b64 s[10:11], 0
.LBB54_2431:
	s_and_b64 vcc, exec, s[10:11]
	s_cbranch_vccz .LBB54_2460
; %bb.2432:
	s_cmp_gt_i32 s13, 22
	s_cbranch_scc0 .LBB54_2442
; %bb.2433:
	s_cmp_lt_i32 s13, 24
	s_cbranch_scc1 .LBB54_2443
; %bb.2434:
	s_cmp_gt_i32 s13, 24
	s_cbranch_scc0 .LBB54_2444
; %bb.2435:
	global_load_ubyte v19, v[16:17], off
	s_movk_i32 s2, 0x7f
	s_mov_b64 s[4:5], 0
	s_waitcnt vmcnt(0)
	v_cmp_lt_i16_e32 vcc, s2, v19
	s_and_saveexec_b64 s[2:3], vcc
	s_xor_b64 s[2:3], exec, s[2:3]
; %bb.2436:
	s_movk_i32 s4, 0x80
	v_cmp_ne_u16_e32 vcc, s4, v19
	s_and_b64 s[4:5], vcc, exec
; %bb.2437:
	s_andn2_saveexec_b64 s[2:3], s[2:3]
; %bb.2438:
	v_cmp_ne_u16_e32 vcc, 0, v19
	s_andn2_b64 s[4:5], s[4:5], exec
	s_and_b64 s[10:11], vcc, exec
	s_or_b64 s[4:5], s[4:5], s[10:11]
; %bb.2439:
	s_or_b64 exec, exec, s[2:3]
	v_mov_b32_e32 v14, 0
	v_mov_b32_e32 v15, 0
	s_and_saveexec_b64 s[2:3], s[4:5]
	s_cbranch_execz .LBB54_2441
; %bb.2440:
	v_and_b32_e32 v15, 0xffff, v19
	v_lshlrev_b32_e32 v14, 24, v19
	v_and_b32_e32 v19, 3, v15
	v_ffbh_u32_e32 v21, v19
	v_min_u32_e32 v21, 32, v21
	v_subrev_u32_e32 v22, 29, v21
	v_bfe_u32 v20, v15, 2, 5
	v_lshlrev_b32_e32 v15, v22, v15
	v_sub_u32_e32 v21, 30, v21
	v_and_b32_e32 v15, 3, v15
	v_cmp_eq_u32_e32 vcc, 0, v20
	v_cndmask_b32_e32 v20, v20, v21, vcc
	v_cndmask_b32_e32 v15, v19, v15, vcc
	v_mov_b32_e32 v19, 0x37800000
	v_lshlrev_b32_e32 v15, 21, v15
	v_and_b32_e32 v14, 0x80000000, v14
	v_lshl_add_u32 v19, v20, 23, v19
	v_or3_b32 v14, v14, v19, v15
	v_trunc_f32_e32 v14, v14
	s_mov_b32 s4, 0x2f800000
	v_mul_f32_e64 v15, |v14|, s4
	v_floor_f32_e32 v15, v15
	s_mov_b32 s4, 0xcf800000
	v_fma_f32 v19, v15, s4, |v14|
	v_cvt_u32_f32_e32 v19, v19
	v_cvt_u32_f32_e32 v15, v15
	v_ashrrev_i32_e32 v20, 31, v14
	v_xor_b32_e32 v14, v19, v20
	v_xor_b32_e32 v15, v15, v20
	v_sub_co_u32_e32 v14, vcc, v14, v20
	v_subb_co_u32_e32 v15, vcc, v15, v20, vcc
.LBB54_2441:
	s_or_b64 exec, exec, s[2:3]
	s_mov_b64 s[2:3], 0
	s_branch .LBB54_2445
.LBB54_2442:
	s_mov_b64 s[2:3], -1
                                        ; implicit-def: $vgpr14_vgpr15
	s_branch .LBB54_2451
.LBB54_2443:
	s_mov_b64 s[2:3], -1
                                        ; implicit-def: $vgpr14_vgpr15
	s_branch .LBB54_2448
.LBB54_2444:
	s_mov_b64 s[2:3], -1
                                        ; implicit-def: $vgpr14_vgpr15
.LBB54_2445:
	s_and_b64 vcc, exec, s[2:3]
	s_cbranch_vccz .LBB54_2447
; %bb.2446:
	global_load_ubyte v14, v[16:17], off
	s_mov_b32 s2, 0x7f800000
	s_brev_b32 s3, 1
	s_mov_b32 s4, 0x2f800000
	s_mov_b32 s5, 0xcf800000
	s_waitcnt vmcnt(0)
	v_lshlrev_b32_e32 v14, 24, v14
	v_and_b32_e32 v15, 0x7f000000, v14
	v_ffbh_u32_e32 v19, v15
	v_min_u32_e32 v19, 32, v19
	v_sub_u32_e64 v19, v19, 4 clamp
	v_lshlrev_b32_e32 v21, v19, v15
	v_lshlrev_b32_e32 v19, 23, v19
	v_lshrrev_b32_e32 v21, 4, v21
	v_add_u32_e32 v20, 0x1000000, v15
	v_sub_u32_e32 v19, v21, v19
	v_ashrrev_i32_e32 v20, 8, v20
	v_add_u32_e32 v19, 0x3c000000, v19
	v_and_or_b32 v19, v20, s2, v19
	v_cmp_ne_u32_e32 vcc, 0, v15
	v_cndmask_b32_e32 v15, 0, v19, vcc
	v_and_or_b32 v14, v14, s3, v15
	v_trunc_f32_e32 v14, v14
	v_mul_f32_e64 v15, |v14|, s4
	v_floor_f32_e32 v15, v15
	v_fma_f32 v19, v15, s5, |v14|
	v_cvt_u32_f32_e32 v19, v19
	v_cvt_u32_f32_e32 v15, v15
	v_ashrrev_i32_e32 v20, 31, v14
	v_xor_b32_e32 v14, v19, v20
	v_xor_b32_e32 v15, v15, v20
	v_sub_co_u32_e32 v14, vcc, v14, v20
	v_subb_co_u32_e32 v15, vcc, v15, v20, vcc
.LBB54_2447:
	s_mov_b64 s[2:3], 0
.LBB54_2448:
	s_andn2_b64 vcc, exec, s[2:3]
	s_cbranch_vccnz .LBB54_2450
; %bb.2449:
	global_load_ubyte v14, v[16:17], off
	s_movk_i32 s2, 0x7f00
	s_brev_b32 s3, 16
	s_brev_b32 s4, 1
	s_mov_b32 s5, 0x2f800000
	s_mov_b32 s10, 0xcf800000
	s_waitcnt vmcnt(0)
	v_lshlrev_b16_e32 v15, 8, v14
	v_lshlrev_b32_e32 v14, 25, v14
	v_lshrrev_b32_e32 v19, 4, v14
	v_and_or_b32 v20, v15, s2, 0.5
	v_or_b32_e32 v19, 0x70000000, v19
	v_add_f32_e32 v20, -0.5, v20
	v_mul_f32_e32 v19, 0x7800000, v19
	v_cmp_gt_u32_e32 vcc, s3, v14
	v_bfe_i32 v15, v15, 0, 16
	v_cndmask_b32_e32 v14, v19, v20, vcc
	v_and_or_b32 v14, v15, s4, v14
	v_trunc_f32_e32 v14, v14
	v_mul_f32_e64 v15, |v14|, s5
	v_floor_f32_e32 v15, v15
	v_fma_f32 v19, v15, s10, |v14|
	v_cvt_u32_f32_e32 v19, v19
	v_cvt_u32_f32_e32 v15, v15
	v_ashrrev_i32_e32 v20, 31, v14
	v_xor_b32_e32 v14, v19, v20
	v_xor_b32_e32 v15, v15, v20
	v_sub_co_u32_e32 v14, vcc, v14, v20
	v_subb_co_u32_e32 v15, vcc, v15, v20, vcc
.LBB54_2450:
	s_mov_b64 s[2:3], 0
	s_mov_b64 s[4:5], -1
.LBB54_2451:
	s_andn2_b64 vcc, exec, s[2:3]
	s_mov_b64 s[2:3], 0
	s_cbranch_vccnz .LBB54_2460
; %bb.2452:
	s_cmp_gt_i32 s13, 14
	s_cbranch_scc0 .LBB54_2455
; %bb.2453:
	s_cmp_eq_u32 s13, 15
	s_cbranch_scc0 .LBB54_2456
; %bb.2454:
	global_load_ushort v14, v[16:17], off
	s_mov_b32 s0, 0x2f800000
	s_mov_b32 s1, 0xcf800000
	s_mov_b64 s[4:5], -1
	s_waitcnt vmcnt(0)
	v_lshlrev_b32_e32 v14, 16, v14
	v_trunc_f32_e32 v14, v14
	v_mul_f32_e64 v15, |v14|, s0
	v_floor_f32_e32 v15, v15
	v_fma_f32 v19, v15, s1, |v14|
	v_cvt_u32_f32_e32 v19, v19
	v_cvt_u32_f32_e32 v15, v15
	v_ashrrev_i32_e32 v20, 31, v14
	s_mov_b64 s[0:1], 0
	v_xor_b32_e32 v14, v19, v20
	v_xor_b32_e32 v15, v15, v20
	v_sub_co_u32_e32 v14, vcc, v14, v20
	v_subb_co_u32_e32 v15, vcc, v15, v20, vcc
	s_branch .LBB54_2457
.LBB54_2455:
	s_mov_b64 s[10:11], -1
                                        ; implicit-def: $vgpr14_vgpr15
	s_branch .LBB54_2458
.LBB54_2456:
	s_mov_b64 s[0:1], -1
                                        ; implicit-def: $vgpr14_vgpr15
.LBB54_2457:
	s_mov_b64 s[10:11], 0
.LBB54_2458:
	s_and_b64 vcc, exec, s[10:11]
	s_cbranch_vccz .LBB54_2460
; %bb.2459:
	s_cmp_lg_u32 s13, 11
	s_mov_b64 s[2:3], -1
	s_cselect_b64 s[0:1], -1, 0
.LBB54_2460:
	s_and_b64 vcc, exec, s[0:1]
	s_cbranch_vccnz .LBB54_2993
; %bb.2461:
	s_andn2_b64 vcc, exec, s[2:3]
	s_cbranch_vccnz .LBB54_2463
.LBB54_2462:
	global_load_ubyte v14, v[16:17], off
	s_mov_b32 s0, 0
	s_waitcnt vmcnt(1)
	v_mov_b32_e32 v15, s0
	s_mov_b64 s[4:5], -1
	s_waitcnt vmcnt(0)
	v_cmp_ne_u16_e32 vcc, 0, v14
	v_cndmask_b32_e64 v14, 0, 1, vcc
.LBB54_2463:
	s_mov_b64 s[0:1], 0
.LBB54_2464:
	s_and_b64 vcc, exec, s[0:1]
	s_cbranch_vccz .LBB54_2513
; %bb.2465:
	s_and_b32 s2, 0xffff, s25
	s_cmp_lt_i32 s2, 5
	s_cbranch_scc1 .LBB54_2470
; %bb.2466:
	s_cmp_lt_i32 s2, 8
	s_cbranch_scc1 .LBB54_2471
; %bb.2467:
	;; [unrolled: 3-line block ×3, first 2 shown]
	s_cmp_gt_i32 s2, 9
	s_cbranch_scc0 .LBB54_2473
; %bb.2469:
	global_load_dwordx2 v[14:15], v[16:17], off
	s_movk_i32 s0, 0xffe0
	s_waitcnt vmcnt(0)
	v_trunc_f64_e32 v[14:15], v[14:15]
	v_ldexp_f64 v[19:20], v[14:15], s0
	s_mov_b32 s0, 0
	s_mov_b32 s1, 0xc1f00000
	v_floor_f64_e32 v[19:20], v[19:20]
	v_fma_f64 v[21:22], v[19:20], s[0:1], v[14:15]
	v_cvt_i32_f64_e32 v15, v[19:20]
	s_mov_b64 s[0:1], 0
	v_cvt_u32_f64_e32 v14, v[21:22]
	s_branch .LBB54_2474
.LBB54_2470:
	s_mov_b64 s[0:1], -1
                                        ; implicit-def: $vgpr14_vgpr15
	s_branch .LBB54_2492
.LBB54_2471:
	s_mov_b64 s[0:1], -1
                                        ; implicit-def: $vgpr14_vgpr15
	s_branch .LBB54_2480
.LBB54_2472:
	s_mov_b64 s[0:1], -1
                                        ; implicit-def: $vgpr14_vgpr15
	s_branch .LBB54_2477
.LBB54_2473:
	s_mov_b64 s[0:1], -1
                                        ; implicit-def: $vgpr14_vgpr15
.LBB54_2474:
	s_andn2_b64 vcc, exec, s[0:1]
	s_cbranch_vccnz .LBB54_2476
; %bb.2475:
	global_load_dword v14, v[16:17], off
	s_mov_b32 s0, 0x2f800000
	s_mov_b32 s1, 0xcf800000
	s_waitcnt vmcnt(0)
	v_trunc_f32_e32 v14, v14
	v_mul_f32_e64 v15, |v14|, s0
	v_floor_f32_e32 v15, v15
	v_cvt_u32_f32_e32 v19, v15
	v_fma_f32 v15, v15, s1, |v14|
	v_cvt_u32_f32_e32 v15, v15
	v_ashrrev_i32_e32 v20, 31, v14
	v_xor_b32_e32 v19, v19, v20
	v_xor_b32_e32 v14, v15, v20
	v_sub_co_u32_e32 v14, vcc, v14, v20
	v_subb_co_u32_e32 v15, vcc, v19, v20, vcc
.LBB54_2476:
	s_mov_b64 s[0:1], 0
.LBB54_2477:
	s_andn2_b64 vcc, exec, s[0:1]
	s_cbranch_vccnz .LBB54_2479
; %bb.2478:
	global_load_dword v14, v[16:17], off
	s_waitcnt vmcnt(0)
	v_cvt_f32_f16_e32 v14, v14
	v_cvt_i32_f32_e32 v14, v14
	v_ashrrev_i32_e32 v15, 31, v14
.LBB54_2479:
	s_mov_b64 s[0:1], 0
.LBB54_2480:
	s_andn2_b64 vcc, exec, s[0:1]
	s_cbranch_vccnz .LBB54_2491
; %bb.2481:
	s_cmp_lt_i32 s2, 6
	s_cbranch_scc1 .LBB54_2484
; %bb.2482:
	s_cmp_gt_i32 s2, 6
	s_cbranch_scc0 .LBB54_2485
; %bb.2483:
	global_load_dwordx2 v[14:15], v[16:17], off
	s_movk_i32 s0, 0xffe0
	s_waitcnt vmcnt(0)
	v_trunc_f64_e32 v[14:15], v[14:15]
	v_ldexp_f64 v[19:20], v[14:15], s0
	s_mov_b32 s0, 0
	s_mov_b32 s1, 0xc1f00000
	v_floor_f64_e32 v[19:20], v[19:20]
	v_fma_f64 v[21:22], v[19:20], s[0:1], v[14:15]
	v_cvt_i32_f64_e32 v15, v[19:20]
	s_mov_b64 s[0:1], 0
	v_cvt_u32_f64_e32 v14, v[21:22]
	s_branch .LBB54_2486
.LBB54_2484:
	s_mov_b64 s[0:1], -1
                                        ; implicit-def: $vgpr14_vgpr15
	s_branch .LBB54_2489
.LBB54_2485:
	s_mov_b64 s[0:1], -1
                                        ; implicit-def: $vgpr14_vgpr15
.LBB54_2486:
	s_andn2_b64 vcc, exec, s[0:1]
	s_cbranch_vccnz .LBB54_2488
; %bb.2487:
	global_load_dword v14, v[16:17], off
	s_mov_b32 s0, 0x2f800000
	s_mov_b32 s1, 0xcf800000
	s_waitcnt vmcnt(0)
	v_trunc_f32_e32 v14, v14
	v_mul_f32_e64 v15, |v14|, s0
	v_floor_f32_e32 v15, v15
	v_cvt_u32_f32_e32 v19, v15
	v_fma_f32 v15, v15, s1, |v14|
	v_cvt_u32_f32_e32 v15, v15
	v_ashrrev_i32_e32 v20, 31, v14
	v_xor_b32_e32 v19, v19, v20
	v_xor_b32_e32 v14, v15, v20
	v_sub_co_u32_e32 v14, vcc, v14, v20
	v_subb_co_u32_e32 v15, vcc, v19, v20, vcc
.LBB54_2488:
	s_mov_b64 s[0:1], 0
.LBB54_2489:
	s_andn2_b64 vcc, exec, s[0:1]
	s_cbranch_vccnz .LBB54_2491
; %bb.2490:
	global_load_ushort v14, v[16:17], off
	s_waitcnt vmcnt(0)
	v_cvt_f32_f16_e32 v14, v14
	v_cvt_i32_f32_e32 v14, v14
	v_ashrrev_i32_e32 v15, 31, v14
.LBB54_2491:
	s_mov_b64 s[0:1], 0
.LBB54_2492:
	s_andn2_b64 vcc, exec, s[0:1]
	s_cbranch_vccnz .LBB54_2512
; %bb.2493:
	s_cmp_lt_i32 s2, 2
	s_cbranch_scc1 .LBB54_2497
; %bb.2494:
	s_cmp_lt_i32 s2, 3
	s_cbranch_scc1 .LBB54_2498
; %bb.2495:
	s_cmp_gt_i32 s2, 3
	s_cbranch_scc0 .LBB54_2499
; %bb.2496:
	global_load_dwordx2 v[14:15], v[16:17], off
	s_mov_b64 s[0:1], 0
	s_branch .LBB54_2500
.LBB54_2497:
	s_mov_b64 s[0:1], -1
                                        ; implicit-def: $vgpr14_vgpr15
	s_branch .LBB54_2506
.LBB54_2498:
	s_mov_b64 s[0:1], -1
                                        ; implicit-def: $vgpr14_vgpr15
	s_branch .LBB54_2503
.LBB54_2499:
	s_mov_b64 s[0:1], -1
                                        ; implicit-def: $vgpr14_vgpr15
.LBB54_2500:
	s_andn2_b64 vcc, exec, s[0:1]
	s_cbranch_vccnz .LBB54_2502
; %bb.2501:
	global_load_dword v14, v[16:17], off
	s_waitcnt vmcnt(0)
	v_ashrrev_i32_e32 v15, 31, v14
.LBB54_2502:
	s_mov_b64 s[0:1], 0
.LBB54_2503:
	s_andn2_b64 vcc, exec, s[0:1]
	s_cbranch_vccnz .LBB54_2505
; %bb.2504:
	global_load_ushort v14, v[16:17], off
	s_waitcnt vmcnt(0)
	v_bfe_i32 v14, v14, 0, 16
	v_ashrrev_i32_e32 v15, 31, v14
.LBB54_2505:
	s_mov_b64 s[0:1], 0
.LBB54_2506:
	s_andn2_b64 vcc, exec, s[0:1]
	s_cbranch_vccnz .LBB54_2512
; %bb.2507:
	s_cmp_gt_i32 s2, 0
	s_cbranch_scc0 .LBB54_2509
; %bb.2508:
	global_load_sbyte v14, v[16:17], off
	s_mov_b64 s[0:1], 0
	s_waitcnt vmcnt(0)
	v_bfe_i32 v14, v14, 0, 16
	v_ashrrev_i32_e32 v15, 31, v14
	s_branch .LBB54_2510
.LBB54_2509:
	s_mov_b64 s[0:1], -1
                                        ; implicit-def: $vgpr14_vgpr15
.LBB54_2510:
	s_andn2_b64 vcc, exec, s[0:1]
	s_cbranch_vccnz .LBB54_2512
; %bb.2511:
	global_load_ubyte v14, v[16:17], off
	s_mov_b32 s0, 0
	s_waitcnt vmcnt(1)
	v_mov_b32_e32 v15, s0
	s_waitcnt vmcnt(0)
	v_and_b32_e32 v14, 0xffff, v14
.LBB54_2512:
	s_mov_b64 s[4:5], -1
.LBB54_2513:
	s_andn2_b64 vcc, exec, s[4:5]
	s_cbranch_vccnz .LBB54_2947
; %bb.2514:
	v_mul_lo_u32 v16, s12, v18
	s_cmp_eq_u32 s15, 0
	s_waitcnt vmcnt(0)
	v_cmp_ne_u64_e32 vcc, v[0:1], v[2:3]
	s_cselect_b64 s[2:3], -1, 0
	s_xor_b64 s[4:5], s[2:3], vcc
	v_ashrrev_i32_e32 v1, 31, v16
	v_mov_b32_e32 v2, s9
	s_and_b32 s24, s33, 0xff
	v_add_co_u32_e32 v0, vcc, s8, v16
	s_cmp_lt_i32 s24, 11
	v_addc_co_u32_e32 v1, vcc, v2, v1, vcc
	s_cbranch_scc1 .LBB54_2592
; %bb.2515:
	s_and_b32 s13, 0xffff, s24
	s_mov_b64 s[20:21], -1
	s_mov_b64 s[10:11], 0
	s_cmp_gt_i32 s13, 25
	s_mov_b64 s[14:15], 0
	s_mov_b64 s[0:1], 0
	s_cbranch_scc0 .LBB54_2548
; %bb.2516:
	s_cmp_gt_i32 s13, 28
	s_cbranch_scc0 .LBB54_2531
; %bb.2517:
	s_cmp_gt_i32 s13, 43
	;; [unrolled: 3-line block ×3, first 2 shown]
	s_cbranch_scc0 .LBB54_2521
; %bb.2519:
	s_mov_b64 s[0:1], -1
	s_mov_b64 s[20:21], 0
	s_cmp_eq_u32 s13, 46
	s_cbranch_scc0 .LBB54_2521
; %bb.2520:
	v_cndmask_b32_e64 v2, 0, 1.0, s[4:5]
	v_bfe_u32 v3, v2, 16, 1
	s_movk_i32 s0, 0x7fff
	v_add3_u32 v2, v2, v3, s0
	v_lshrrev_b32_e32 v2, 16, v2
	global_store_dword v[0:1], v2, off
	s_mov_b64 s[0:1], 0
	s_mov_b64 s[14:15], -1
.LBB54_2521:
	s_and_b64 vcc, exec, s[20:21]
	s_cbranch_vccz .LBB54_2526
; %bb.2522:
	s_cmp_eq_u32 s13, 44
	s_mov_b64 s[0:1], -1
	s_cbranch_scc0 .LBB54_2526
; %bb.2523:
	v_cndmask_b32_e64 v3, 0, 1.0, s[4:5]
	v_lshrrev_b32_e32 v2, 23, v3
	s_movk_i32 s0, 0xff
	v_cmp_ne_u32_e32 vcc, s0, v2
	v_mov_b32_e32 v17, 0xff
	s_and_saveexec_b64 s[14:15], vcc
; %bb.2524:
	s_mov_b32 s0, 0x3fffff
	v_and_b32_e32 v17, 0x400000, v3
	v_and_or_b32 v3, v3, s0, v2
	v_cmp_ne_u32_e32 vcc, 0, v17
	v_cmp_ne_u32_e64 s[0:1], 0, v3
	s_and_b64 s[0:1], vcc, s[0:1]
	v_cndmask_b32_e64 v3, 0, 1, s[0:1]
	v_add_u32_e32 v17, v2, v3
; %bb.2525:
	s_or_b64 exec, exec, s[14:15]
	s_mov_b64 s[0:1], 0
	s_mov_b64 s[14:15], -1
	global_store_byte v[0:1], v17, off
.LBB54_2526:
	s_mov_b64 s[20:21], 0
.LBB54_2527:
	s_and_b64 vcc, exec, s[20:21]
	s_cbranch_vccz .LBB54_2530
; %bb.2528:
	s_cmp_eq_u32 s13, 29
	s_mov_b64 s[0:1], -1
	s_cbranch_scc0 .LBB54_2530
; %bb.2529:
	s_mov_b32 s0, 0
	v_cndmask_b32_e64 v2, 0, 1, s[4:5]
	v_mov_b32_e32 v3, s0
	global_store_dwordx2 v[0:1], v[2:3], off
	s_mov_b64 s[0:1], 0
	s_mov_b64 s[14:15], -1
.LBB54_2530:
	s_mov_b64 s[20:21], 0
.LBB54_2531:
	s_and_b64 vcc, exec, s[20:21]
	s_cbranch_vccz .LBB54_2547
; %bb.2532:
	s_cmp_lt_i32 s13, 27
	s_mov_b64 s[14:15], -1
	s_cbranch_scc1 .LBB54_2538
; %bb.2533:
	s_cmp_gt_i32 s13, 27
	s_cbranch_scc0 .LBB54_2535
; %bb.2534:
	v_cndmask_b32_e64 v2, 0, 1, s[4:5]
	s_mov_b64 s[14:15], 0
	global_store_dword v[0:1], v2, off
.LBB54_2535:
	s_andn2_b64 vcc, exec, s[14:15]
	s_cbranch_vccnz .LBB54_2537
; %bb.2536:
	v_cndmask_b32_e64 v2, 0, 1, s[4:5]
	global_store_short v[0:1], v2, off
.LBB54_2537:
	s_mov_b64 s[14:15], 0
.LBB54_2538:
	s_andn2_b64 vcc, exec, s[14:15]
	s_cbranch_vccnz .LBB54_2546
; %bb.2539:
	v_cndmask_b32_e64 v3, 0, 1.0, s[4:5]
	s_mov_b32 s14, 0x43800000
	v_cmp_gt_u32_e32 vcc, s14, v3
	v_mov_b32_e32 v17, 0x80
	s_and_saveexec_b64 s[14:15], vcc
	s_cbranch_execz .LBB54_2545
; %bb.2540:
	s_mov_b32 s20, 0x3bffffff
	v_cmp_lt_u32_e32 vcc, s20, v3
	s_mov_b64 s[20:21], 0
                                        ; implicit-def: $vgpr2
	s_and_saveexec_b64 s[22:23], vcc
	s_xor_b64 s[22:23], exec, s[22:23]
	s_cbranch_execz .LBB54_2994
; %bb.2541:
	v_bfe_u32 v2, v3, 20, 1
	s_mov_b32 s25, 0x487ffff
	v_add3_u32 v2, v3, v2, s25
	s_mov_b64 s[20:21], exec
	v_lshrrev_b32_e32 v2, 20, v2
                                        ; implicit-def: $vgpr3
	s_andn2_saveexec_b64 s[22:23], s[22:23]
	s_cbranch_execnz .LBB54_2995
.LBB54_2542:
	s_or_b64 exec, exec, s[22:23]
	v_mov_b32_e32 v17, 0
	s_and_saveexec_b64 s[22:23], s[20:21]
.LBB54_2543:
	v_mov_b32_e32 v17, v2
.LBB54_2544:
	s_or_b64 exec, exec, s[22:23]
.LBB54_2545:
	s_or_b64 exec, exec, s[14:15]
	global_store_byte v[0:1], v17, off
.LBB54_2546:
	s_mov_b64 s[14:15], -1
.LBB54_2547:
	s_mov_b64 s[20:21], 0
.LBB54_2548:
	s_and_b64 vcc, exec, s[20:21]
	s_cbranch_vccz .LBB54_2588
; %bb.2549:
	s_cmp_gt_i32 s13, 22
	s_mov_b64 s[10:11], -1
	s_cbranch_scc0 .LBB54_2581
; %bb.2550:
	s_cmp_lt_i32 s13, 24
	s_cbranch_scc1 .LBB54_2570
; %bb.2551:
	s_cmp_gt_i32 s13, 24
	s_cbranch_scc0 .LBB54_2559
; %bb.2552:
	v_cndmask_b32_e64 v3, 0, 1.0, s[4:5]
	s_mov_b32 s10, 0x47800000
	v_cmp_gt_u32_e32 vcc, s10, v3
	v_mov_b32_e32 v17, 0x80
	s_and_saveexec_b64 s[10:11], vcc
	s_cbranch_execz .LBB54_2558
; %bb.2553:
	s_mov_b32 s14, 0x37ffffff
	v_cmp_lt_u32_e32 vcc, s14, v3
	s_mov_b64 s[14:15], 0
                                        ; implicit-def: $vgpr2
	s_and_saveexec_b64 s[20:21], vcc
	s_xor_b64 s[20:21], exec, s[20:21]
	s_cbranch_execz .LBB54_2997
; %bb.2554:
	v_bfe_u32 v2, v3, 21, 1
	s_mov_b32 s22, 0x88fffff
	v_add3_u32 v2, v3, v2, s22
	s_mov_b64 s[14:15], exec
	v_lshrrev_b32_e32 v2, 21, v2
                                        ; implicit-def: $vgpr3
	s_andn2_saveexec_b64 s[20:21], s[20:21]
	s_cbranch_execnz .LBB54_2998
.LBB54_2555:
	s_or_b64 exec, exec, s[20:21]
	v_mov_b32_e32 v17, 0
	s_and_saveexec_b64 s[20:21], s[14:15]
.LBB54_2556:
	v_mov_b32_e32 v17, v2
.LBB54_2557:
	s_or_b64 exec, exec, s[20:21]
.LBB54_2558:
	s_or_b64 exec, exec, s[10:11]
	s_mov_b64 s[10:11], 0
	global_store_byte v[0:1], v17, off
.LBB54_2559:
	s_and_b64 vcc, exec, s[10:11]
	s_cbranch_vccz .LBB54_2569
; %bb.2560:
	v_cndmask_b32_e64 v2, 0, 1.0, s[4:5]
	s_mov_b32 s10, 0x43f00000
	v_cmp_gt_u32_e32 vcc, s10, v2
                                        ; implicit-def: $vgpr3
	s_and_saveexec_b64 s[10:11], vcc
	s_xor_b64 s[10:11], exec, s[10:11]
	s_cbranch_execz .LBB54_2566
; %bb.2561:
	s_mov_b32 s14, 0x3c7fffff
	v_cmp_lt_u32_e32 vcc, s14, v2
                                        ; implicit-def: $vgpr3
	s_and_saveexec_b64 s[14:15], vcc
	s_xor_b64 s[14:15], exec, s[14:15]
; %bb.2562:
	v_bfe_u32 v3, v2, 20, 1
	s_mov_b32 s20, 0x407ffff
	v_add3_u32 v2, v2, v3, s20
	v_lshrrev_b32_e32 v3, 20, v2
	v_and_b32_e32 v2, 0xff00000, v2
	s_mov_b32 s20, 0x7f00000
	v_mov_b32_e32 v17, 0x7e
	v_cmp_ne_u32_e32 vcc, s20, v2
	v_cndmask_b32_e32 v3, v17, v3, vcc
                                        ; implicit-def: $vgpr2
; %bb.2563:
	s_andn2_saveexec_b64 s[14:15], s[14:15]
; %bb.2564:
	v_add_f32_e32 v3, 0x46800000, v2
; %bb.2565:
	s_or_b64 exec, exec, s[14:15]
                                        ; implicit-def: $vgpr2
.LBB54_2566:
	s_andn2_saveexec_b64 s[10:11], s[10:11]
; %bb.2567:
	s_mov_b32 s14, 0x7f800000
	v_mov_b32_e32 v3, 0x7e
	v_mov_b32_e32 v17, 0x7f
	v_cmp_lt_u32_e32 vcc, s14, v2
	v_cndmask_b32_e32 v3, v3, v17, vcc
; %bb.2568:
	s_or_b64 exec, exec, s[10:11]
	global_store_byte v[0:1], v3, off
.LBB54_2569:
	s_mov_b64 s[10:11], 0
.LBB54_2570:
	s_andn2_b64 vcc, exec, s[10:11]
	s_cbranch_vccnz .LBB54_2580
; %bb.2571:
	v_cndmask_b32_e64 v2, 0, 1.0, s[4:5]
	s_mov_b32 s10, 0x47800000
	v_cmp_gt_u32_e32 vcc, s10, v2
                                        ; implicit-def: $vgpr3
	s_and_saveexec_b64 s[10:11], vcc
	s_xor_b64 s[10:11], exec, s[10:11]
	s_cbranch_execz .LBB54_2577
; %bb.2572:
	s_mov_b32 s14, 0x387fffff
	v_cmp_lt_u32_e32 vcc, s14, v2
                                        ; implicit-def: $vgpr3
	s_and_saveexec_b64 s[14:15], vcc
	s_xor_b64 s[14:15], exec, s[14:15]
; %bb.2573:
	v_bfe_u32 v3, v2, 21, 1
	s_mov_b32 s20, 0x80fffff
	v_add3_u32 v2, v2, v3, s20
	v_lshrrev_b32_e32 v3, 21, v2
                                        ; implicit-def: $vgpr2
; %bb.2574:
	s_andn2_saveexec_b64 s[14:15], s[14:15]
; %bb.2575:
	v_add_f32_e32 v3, 0x43000000, v2
; %bb.2576:
	s_or_b64 exec, exec, s[14:15]
                                        ; implicit-def: $vgpr2
.LBB54_2577:
	s_andn2_saveexec_b64 s[10:11], s[10:11]
; %bb.2578:
	s_mov_b32 s14, 0x7f800000
	v_mov_b32_e32 v3, 0x7c
	v_mov_b32_e32 v17, 0x7f
	v_cmp_lt_u32_e32 vcc, s14, v2
	v_cndmask_b32_e32 v3, v3, v17, vcc
; %bb.2579:
	s_or_b64 exec, exec, s[10:11]
	global_store_byte v[0:1], v3, off
.LBB54_2580:
	s_mov_b64 s[10:11], 0
	s_mov_b64 s[14:15], -1
.LBB54_2581:
	s_andn2_b64 vcc, exec, s[10:11]
	s_mov_b64 s[10:11], 0
	s_cbranch_vccnz .LBB54_2588
; %bb.2582:
	s_cmp_gt_i32 s13, 14
	s_mov_b64 s[20:21], -1
	s_cbranch_scc0 .LBB54_2586
; %bb.2583:
	s_cmp_eq_u32 s13, 15
	s_mov_b64 s[0:1], -1
	s_cbranch_scc0 .LBB54_2585
; %bb.2584:
	v_cndmask_b32_e64 v2, 0, 1.0, s[4:5]
	v_bfe_u32 v3, v2, 16, 1
	s_movk_i32 s0, 0x7fff
	v_add3_u32 v2, v2, v3, s0
	global_store_short_d16_hi v[0:1], v2, off
	s_mov_b64 s[0:1], 0
	s_mov_b64 s[14:15], -1
.LBB54_2585:
	s_mov_b64 s[20:21], 0
.LBB54_2586:
	s_and_b64 vcc, exec, s[20:21]
	s_cbranch_vccz .LBB54_2588
; %bb.2587:
	s_cmp_lg_u32 s13, 11
	s_mov_b64 s[10:11], -1
	s_cselect_b64 s[0:1], -1, 0
.LBB54_2588:
	s_and_b64 vcc, exec, s[0:1]
	s_cbranch_vccnz .LBB54_2996
; %bb.2589:
	s_andn2_b64 vcc, exec, s[10:11]
	s_cbranch_vccnz .LBB54_2591
.LBB54_2590:
	v_cndmask_b32_e64 v2, 0, 1, s[4:5]
	s_mov_b64 s[14:15], -1
	global_store_byte v[0:1], v2, off
.LBB54_2591:
	s_mov_b64 s[0:1], 0
	s_branch .LBB54_2593
.LBB54_2592:
	s_mov_b64 s[0:1], -1
	s_mov_b64 s[14:15], 0
.LBB54_2593:
	s_and_b64 vcc, exec, s[0:1]
	s_cbranch_vccz .LBB54_2632
; %bb.2594:
	s_and_b32 s10, 0xffff, s24
	s_cmp_lt_i32 s10, 5
	s_mov_b64 s[0:1], -1
	s_cbranch_scc1 .LBB54_2615
; %bb.2595:
	s_cmp_lt_i32 s10, 8
	s_cbranch_scc1 .LBB54_2605
; %bb.2596:
	s_cmp_lt_i32 s10, 9
	s_cbranch_scc1 .LBB54_2602
; %bb.2597:
	s_cmp_gt_i32 s10, 9
	s_cbranch_scc0 .LBB54_2599
; %bb.2598:
	v_cndmask_b32_e64 v2, 0, 1, s[4:5]
	v_cvt_f64_u32_e32 v[17:18], v2
	v_mov_b32_e32 v19, 0
	v_mov_b32_e32 v20, v19
	s_mov_b64 s[0:1], 0
	global_store_dwordx4 v[0:1], v[17:20], off
.LBB54_2599:
	s_andn2_b64 vcc, exec, s[0:1]
	s_cbranch_vccnz .LBB54_2601
; %bb.2600:
	v_cndmask_b32_e64 v2, 0, 1.0, s[4:5]
	v_mov_b32_e32 v3, 0
	global_store_dwordx2 v[0:1], v[2:3], off
.LBB54_2601:
	s_mov_b64 s[0:1], 0
.LBB54_2602:
	s_andn2_b64 vcc, exec, s[0:1]
	s_cbranch_vccnz .LBB54_2604
; %bb.2603:
	v_cndmask_b32_e64 v2, 0, 1.0, s[4:5]
	v_cvt_f16_f32_e32 v2, v2
	global_store_dword v[0:1], v2, off
.LBB54_2604:
	s_mov_b64 s[0:1], 0
.LBB54_2605:
	s_andn2_b64 vcc, exec, s[0:1]
	s_cbranch_vccnz .LBB54_2614
; %bb.2606:
	s_cmp_lt_i32 s10, 6
	s_mov_b64 s[0:1], -1
	s_cbranch_scc1 .LBB54_2612
; %bb.2607:
	s_cmp_gt_i32 s10, 6
	s_cbranch_scc0 .LBB54_2609
; %bb.2608:
	v_cndmask_b32_e64 v2, 0, 1, s[4:5]
	v_cvt_f64_u32_e32 v[2:3], v2
	s_mov_b64 s[0:1], 0
	global_store_dwordx2 v[0:1], v[2:3], off
.LBB54_2609:
	s_andn2_b64 vcc, exec, s[0:1]
	s_cbranch_vccnz .LBB54_2611
; %bb.2610:
	v_cndmask_b32_e64 v2, 0, 1.0, s[4:5]
	global_store_dword v[0:1], v2, off
.LBB54_2611:
	s_mov_b64 s[0:1], 0
.LBB54_2612:
	s_andn2_b64 vcc, exec, s[0:1]
	s_cbranch_vccnz .LBB54_2614
; %bb.2613:
	v_cndmask_b32_e64 v2, 0, 1.0, s[4:5]
	v_cvt_f16_f32_e32 v2, v2
	global_store_short v[0:1], v2, off
.LBB54_2614:
	s_mov_b64 s[0:1], 0
.LBB54_2615:
	s_andn2_b64 vcc, exec, s[0:1]
	s_cbranch_vccnz .LBB54_2631
; %bb.2616:
	s_cmp_lt_i32 s10, 2
	s_mov_b64 s[0:1], -1
	s_cbranch_scc1 .LBB54_2626
; %bb.2617:
	s_cmp_lt_i32 s10, 3
	s_cbranch_scc1 .LBB54_2623
; %bb.2618:
	s_cmp_gt_i32 s10, 3
	s_cbranch_scc0 .LBB54_2620
; %bb.2619:
	s_mov_b32 s0, 0
	v_cndmask_b32_e64 v2, 0, 1, s[4:5]
	v_mov_b32_e32 v3, s0
	global_store_dwordx2 v[0:1], v[2:3], off
	s_mov_b64 s[0:1], 0
.LBB54_2620:
	s_andn2_b64 vcc, exec, s[0:1]
	s_cbranch_vccnz .LBB54_2622
; %bb.2621:
	v_cndmask_b32_e64 v2, 0, 1, s[4:5]
	global_store_dword v[0:1], v2, off
.LBB54_2622:
	s_mov_b64 s[0:1], 0
.LBB54_2623:
	s_andn2_b64 vcc, exec, s[0:1]
	s_cbranch_vccnz .LBB54_2625
; %bb.2624:
	v_cndmask_b32_e64 v2, 0, 1, s[4:5]
	global_store_short v[0:1], v2, off
.LBB54_2625:
	s_mov_b64 s[0:1], 0
.LBB54_2626:
	s_andn2_b64 vcc, exec, s[0:1]
	s_cbranch_vccnz .LBB54_2631
; %bb.2627:
	s_mov_b64 s[0:1], -1
	s_cmp_gt_i32 s10, 0
	v_cndmask_b32_e64 v2, 0, 1, s[4:5]
	s_cbranch_scc0 .LBB54_2629
; %bb.2628:
	global_store_byte v[0:1], v2, off
	s_mov_b64 s[0:1], 0
.LBB54_2629:
	s_andn2_b64 vcc, exec, s[0:1]
	s_cbranch_vccnz .LBB54_2631
; %bb.2630:
	global_store_byte v[0:1], v2, off
.LBB54_2631:
	s_mov_b64 s[14:15], -1
.LBB54_2632:
	s_andn2_b64 vcc, exec, s[14:15]
	s_cbranch_vccnz .LBB54_2947
; %bb.2633:
	v_cmp_ne_u64_e32 vcc, v[4:5], v[6:7]
	s_lshl_b32 s22, s12, 7
	v_add_u32_e32 v2, s22, v16
	s_xor_b64 s[4:5], s[2:3], vcc
	v_ashrrev_i32_e32 v1, 31, v2
	v_mov_b32_e32 v3, s9
	v_add_co_u32_e32 v0, vcc, s8, v2
	s_cmp_lt_i32 s24, 11
	v_addc_co_u32_e32 v1, vcc, v3, v1, vcc
	s_cbranch_scc1 .LBB54_2711
; %bb.2634:
	s_and_b32 s23, 0xffff, s24
	s_mov_b64 s[14:15], -1
	s_mov_b64 s[10:11], 0
	s_cmp_gt_i32 s23, 25
	s_mov_b64 s[12:13], 0
	s_mov_b64 s[0:1], 0
	s_cbranch_scc0 .LBB54_2667
; %bb.2635:
	s_cmp_gt_i32 s23, 28
	s_cbranch_scc0 .LBB54_2650
; %bb.2636:
	s_cmp_gt_i32 s23, 43
	;; [unrolled: 3-line block ×3, first 2 shown]
	s_cbranch_scc0 .LBB54_2640
; %bb.2638:
	s_mov_b64 s[0:1], -1
	s_mov_b64 s[14:15], 0
	s_cmp_eq_u32 s23, 46
	s_cbranch_scc0 .LBB54_2640
; %bb.2639:
	v_cndmask_b32_e64 v3, 0, 1.0, s[4:5]
	v_bfe_u32 v4, v3, 16, 1
	s_movk_i32 s0, 0x7fff
	v_add3_u32 v3, v3, v4, s0
	v_lshrrev_b32_e32 v3, 16, v3
	global_store_dword v[0:1], v3, off
	s_mov_b64 s[0:1], 0
	s_mov_b64 s[12:13], -1
.LBB54_2640:
	s_and_b64 vcc, exec, s[14:15]
	s_cbranch_vccz .LBB54_2645
; %bb.2641:
	s_cmp_eq_u32 s23, 44
	s_mov_b64 s[0:1], -1
	s_cbranch_scc0 .LBB54_2645
; %bb.2642:
	v_cndmask_b32_e64 v4, 0, 1.0, s[4:5]
	v_lshrrev_b32_e32 v3, 23, v4
	s_movk_i32 s0, 0xff
	v_cmp_ne_u32_e32 vcc, s0, v3
	v_mov_b32_e32 v5, 0xff
	s_and_saveexec_b64 s[12:13], vcc
; %bb.2643:
	s_mov_b32 s0, 0x3fffff
	v_and_b32_e32 v5, 0x400000, v4
	v_and_or_b32 v4, v4, s0, v3
	v_cmp_ne_u32_e32 vcc, 0, v5
	v_cmp_ne_u32_e64 s[0:1], 0, v4
	s_and_b64 s[0:1], vcc, s[0:1]
	v_cndmask_b32_e64 v4, 0, 1, s[0:1]
	v_add_u32_e32 v5, v3, v4
; %bb.2644:
	s_or_b64 exec, exec, s[12:13]
	s_mov_b64 s[0:1], 0
	s_mov_b64 s[12:13], -1
	global_store_byte v[0:1], v5, off
.LBB54_2645:
	s_mov_b64 s[14:15], 0
.LBB54_2646:
	s_and_b64 vcc, exec, s[14:15]
	s_cbranch_vccz .LBB54_2649
; %bb.2647:
	s_cmp_eq_u32 s23, 29
	s_mov_b64 s[0:1], -1
	s_cbranch_scc0 .LBB54_2649
; %bb.2648:
	s_mov_b32 s0, 0
	v_cndmask_b32_e64 v3, 0, 1, s[4:5]
	v_mov_b32_e32 v4, s0
	global_store_dwordx2 v[0:1], v[3:4], off
	s_mov_b64 s[0:1], 0
	s_mov_b64 s[12:13], -1
.LBB54_2649:
	s_mov_b64 s[14:15], 0
.LBB54_2650:
	s_and_b64 vcc, exec, s[14:15]
	s_cbranch_vccz .LBB54_2666
; %bb.2651:
	s_cmp_lt_i32 s23, 27
	s_mov_b64 s[12:13], -1
	s_cbranch_scc1 .LBB54_2657
; %bb.2652:
	s_cmp_gt_i32 s23, 27
	s_cbranch_scc0 .LBB54_2654
; %bb.2653:
	v_cndmask_b32_e64 v3, 0, 1, s[4:5]
	s_mov_b64 s[12:13], 0
	global_store_dword v[0:1], v3, off
.LBB54_2654:
	s_andn2_b64 vcc, exec, s[12:13]
	s_cbranch_vccnz .LBB54_2656
; %bb.2655:
	v_cndmask_b32_e64 v3, 0, 1, s[4:5]
	global_store_short v[0:1], v3, off
.LBB54_2656:
	s_mov_b64 s[12:13], 0
.LBB54_2657:
	s_andn2_b64 vcc, exec, s[12:13]
	s_cbranch_vccnz .LBB54_2665
; %bb.2658:
	v_cndmask_b32_e64 v4, 0, 1.0, s[4:5]
	s_mov_b32 s12, 0x43800000
	v_cmp_gt_u32_e32 vcc, s12, v4
	v_mov_b32_e32 v5, 0x80
	s_and_saveexec_b64 s[12:13], vcc
	s_cbranch_execz .LBB54_2664
; %bb.2659:
	s_mov_b32 s14, 0x3bffffff
	v_cmp_lt_u32_e32 vcc, s14, v4
	s_mov_b64 s[14:15], 0
                                        ; implicit-def: $vgpr3
	s_and_saveexec_b64 s[20:21], vcc
	s_xor_b64 s[20:21], exec, s[20:21]
	s_cbranch_execz .LBB54_2999
; %bb.2660:
	v_bfe_u32 v3, v4, 20, 1
	s_mov_b32 s25, 0x487ffff
	v_add3_u32 v3, v4, v3, s25
	s_mov_b64 s[14:15], exec
	v_lshrrev_b32_e32 v3, 20, v3
                                        ; implicit-def: $vgpr4
	s_andn2_saveexec_b64 s[20:21], s[20:21]
	s_cbranch_execnz .LBB54_3000
.LBB54_2661:
	s_or_b64 exec, exec, s[20:21]
	v_mov_b32_e32 v5, 0
	s_and_saveexec_b64 s[20:21], s[14:15]
.LBB54_2662:
	v_mov_b32_e32 v5, v3
.LBB54_2663:
	s_or_b64 exec, exec, s[20:21]
.LBB54_2664:
	s_or_b64 exec, exec, s[12:13]
	global_store_byte v[0:1], v5, off
.LBB54_2665:
	s_mov_b64 s[12:13], -1
.LBB54_2666:
	s_mov_b64 s[14:15], 0
.LBB54_2667:
	s_and_b64 vcc, exec, s[14:15]
	s_cbranch_vccz .LBB54_2707
; %bb.2668:
	s_cmp_gt_i32 s23, 22
	s_mov_b64 s[10:11], -1
	s_cbranch_scc0 .LBB54_2700
; %bb.2669:
	s_cmp_lt_i32 s23, 24
	s_cbranch_scc1 .LBB54_2689
; %bb.2670:
	s_cmp_gt_i32 s23, 24
	s_cbranch_scc0 .LBB54_2678
; %bb.2671:
	v_cndmask_b32_e64 v4, 0, 1.0, s[4:5]
	s_mov_b32 s10, 0x47800000
	v_cmp_gt_u32_e32 vcc, s10, v4
	v_mov_b32_e32 v5, 0x80
	s_and_saveexec_b64 s[10:11], vcc
	s_cbranch_execz .LBB54_2677
; %bb.2672:
	s_mov_b32 s12, 0x37ffffff
	v_cmp_lt_u32_e32 vcc, s12, v4
	s_mov_b64 s[12:13], 0
                                        ; implicit-def: $vgpr3
	s_and_saveexec_b64 s[14:15], vcc
	s_xor_b64 s[14:15], exec, s[14:15]
	s_cbranch_execz .LBB54_3002
; %bb.2673:
	v_bfe_u32 v3, v4, 21, 1
	s_mov_b32 s20, 0x88fffff
	v_add3_u32 v3, v4, v3, s20
	s_mov_b64 s[12:13], exec
	v_lshrrev_b32_e32 v3, 21, v3
                                        ; implicit-def: $vgpr4
	s_andn2_saveexec_b64 s[14:15], s[14:15]
	s_cbranch_execnz .LBB54_3003
.LBB54_2674:
	s_or_b64 exec, exec, s[14:15]
	v_mov_b32_e32 v5, 0
	s_and_saveexec_b64 s[14:15], s[12:13]
.LBB54_2675:
	v_mov_b32_e32 v5, v3
.LBB54_2676:
	s_or_b64 exec, exec, s[14:15]
.LBB54_2677:
	s_or_b64 exec, exec, s[10:11]
	s_mov_b64 s[10:11], 0
	global_store_byte v[0:1], v5, off
.LBB54_2678:
	s_and_b64 vcc, exec, s[10:11]
	s_cbranch_vccz .LBB54_2688
; %bb.2679:
	v_cndmask_b32_e64 v3, 0, 1.0, s[4:5]
	s_mov_b32 s10, 0x43f00000
	v_cmp_gt_u32_e32 vcc, s10, v3
                                        ; implicit-def: $vgpr4
	s_and_saveexec_b64 s[10:11], vcc
	s_xor_b64 s[10:11], exec, s[10:11]
	s_cbranch_execz .LBB54_2685
; %bb.2680:
	s_mov_b32 s12, 0x3c7fffff
	v_cmp_lt_u32_e32 vcc, s12, v3
                                        ; implicit-def: $vgpr4
	s_and_saveexec_b64 s[12:13], vcc
	s_xor_b64 s[12:13], exec, s[12:13]
; %bb.2681:
	v_bfe_u32 v4, v3, 20, 1
	s_mov_b32 s14, 0x407ffff
	v_add3_u32 v3, v3, v4, s14
	v_lshrrev_b32_e32 v4, 20, v3
	v_and_b32_e32 v3, 0xff00000, v3
	s_mov_b32 s14, 0x7f00000
	v_mov_b32_e32 v5, 0x7e
	v_cmp_ne_u32_e32 vcc, s14, v3
	v_cndmask_b32_e32 v4, v5, v4, vcc
                                        ; implicit-def: $vgpr3
; %bb.2682:
	s_andn2_saveexec_b64 s[12:13], s[12:13]
; %bb.2683:
	v_add_f32_e32 v4, 0x46800000, v3
; %bb.2684:
	s_or_b64 exec, exec, s[12:13]
                                        ; implicit-def: $vgpr3
.LBB54_2685:
	s_andn2_saveexec_b64 s[10:11], s[10:11]
; %bb.2686:
	s_mov_b32 s12, 0x7f800000
	v_mov_b32_e32 v4, 0x7e
	v_mov_b32_e32 v5, 0x7f
	v_cmp_lt_u32_e32 vcc, s12, v3
	v_cndmask_b32_e32 v4, v4, v5, vcc
; %bb.2687:
	s_or_b64 exec, exec, s[10:11]
	global_store_byte v[0:1], v4, off
.LBB54_2688:
	s_mov_b64 s[10:11], 0
.LBB54_2689:
	s_andn2_b64 vcc, exec, s[10:11]
	s_cbranch_vccnz .LBB54_2699
; %bb.2690:
	v_cndmask_b32_e64 v3, 0, 1.0, s[4:5]
	s_mov_b32 s10, 0x47800000
	v_cmp_gt_u32_e32 vcc, s10, v3
                                        ; implicit-def: $vgpr4
	s_and_saveexec_b64 s[10:11], vcc
	s_xor_b64 s[10:11], exec, s[10:11]
	s_cbranch_execz .LBB54_2696
; %bb.2691:
	s_mov_b32 s12, 0x387fffff
	v_cmp_lt_u32_e32 vcc, s12, v3
                                        ; implicit-def: $vgpr4
	s_and_saveexec_b64 s[12:13], vcc
	s_xor_b64 s[12:13], exec, s[12:13]
; %bb.2692:
	v_bfe_u32 v4, v3, 21, 1
	s_mov_b32 s14, 0x80fffff
	v_add3_u32 v3, v3, v4, s14
	v_lshrrev_b32_e32 v4, 21, v3
                                        ; implicit-def: $vgpr3
; %bb.2693:
	s_andn2_saveexec_b64 s[12:13], s[12:13]
; %bb.2694:
	v_add_f32_e32 v4, 0x43000000, v3
; %bb.2695:
	s_or_b64 exec, exec, s[12:13]
                                        ; implicit-def: $vgpr3
.LBB54_2696:
	s_andn2_saveexec_b64 s[10:11], s[10:11]
; %bb.2697:
	s_mov_b32 s12, 0x7f800000
	v_mov_b32_e32 v4, 0x7c
	v_mov_b32_e32 v5, 0x7f
	v_cmp_lt_u32_e32 vcc, s12, v3
	v_cndmask_b32_e32 v4, v4, v5, vcc
; %bb.2698:
	s_or_b64 exec, exec, s[10:11]
	global_store_byte v[0:1], v4, off
.LBB54_2699:
	s_mov_b64 s[10:11], 0
	s_mov_b64 s[12:13], -1
.LBB54_2700:
	s_andn2_b64 vcc, exec, s[10:11]
	s_mov_b64 s[10:11], 0
	s_cbranch_vccnz .LBB54_2707
; %bb.2701:
	s_cmp_gt_i32 s23, 14
	s_mov_b64 s[14:15], -1
	s_cbranch_scc0 .LBB54_2705
; %bb.2702:
	s_cmp_eq_u32 s23, 15
	s_mov_b64 s[0:1], -1
	s_cbranch_scc0 .LBB54_2704
; %bb.2703:
	v_cndmask_b32_e64 v3, 0, 1.0, s[4:5]
	v_bfe_u32 v4, v3, 16, 1
	s_movk_i32 s0, 0x7fff
	v_add3_u32 v3, v3, v4, s0
	global_store_short_d16_hi v[0:1], v3, off
	s_mov_b64 s[0:1], 0
	s_mov_b64 s[12:13], -1
.LBB54_2704:
	s_mov_b64 s[14:15], 0
.LBB54_2705:
	s_and_b64 vcc, exec, s[14:15]
	s_cbranch_vccz .LBB54_2707
; %bb.2706:
	s_cmp_lg_u32 s23, 11
	s_mov_b64 s[10:11], -1
	s_cselect_b64 s[0:1], -1, 0
.LBB54_2707:
	s_and_b64 vcc, exec, s[0:1]
	s_cbranch_vccnz .LBB54_3001
; %bb.2708:
	s_andn2_b64 vcc, exec, s[10:11]
	s_cbranch_vccnz .LBB54_2710
.LBB54_2709:
	v_cndmask_b32_e64 v3, 0, 1, s[4:5]
	s_mov_b64 s[12:13], -1
	global_store_byte v[0:1], v3, off
.LBB54_2710:
	s_mov_b64 s[0:1], 0
	s_branch .LBB54_2712
.LBB54_2711:
	s_mov_b64 s[0:1], -1
	s_mov_b64 s[12:13], 0
.LBB54_2712:
	s_and_b64 vcc, exec, s[0:1]
	s_cbranch_vccz .LBB54_2751
; %bb.2713:
	s_and_b32 s10, 0xffff, s24
	s_cmp_lt_i32 s10, 5
	s_mov_b64 s[0:1], -1
	s_cbranch_scc1 .LBB54_2734
; %bb.2714:
	s_cmp_lt_i32 s10, 8
	s_cbranch_scc1 .LBB54_2724
; %bb.2715:
	s_cmp_lt_i32 s10, 9
	s_cbranch_scc1 .LBB54_2721
; %bb.2716:
	s_cmp_gt_i32 s10, 9
	s_cbranch_scc0 .LBB54_2718
; %bb.2717:
	v_cndmask_b32_e64 v3, 0, 1, s[4:5]
	v_cvt_f64_u32_e32 v[3:4], v3
	v_mov_b32_e32 v5, 0
	v_mov_b32_e32 v6, v5
	s_mov_b64 s[0:1], 0
	global_store_dwordx4 v[0:1], v[3:6], off
.LBB54_2718:
	s_andn2_b64 vcc, exec, s[0:1]
	s_cbranch_vccnz .LBB54_2720
; %bb.2719:
	v_cndmask_b32_e64 v3, 0, 1.0, s[4:5]
	v_mov_b32_e32 v4, 0
	global_store_dwordx2 v[0:1], v[3:4], off
.LBB54_2720:
	s_mov_b64 s[0:1], 0
.LBB54_2721:
	s_andn2_b64 vcc, exec, s[0:1]
	s_cbranch_vccnz .LBB54_2723
; %bb.2722:
	v_cndmask_b32_e64 v3, 0, 1.0, s[4:5]
	v_cvt_f16_f32_e32 v3, v3
	global_store_dword v[0:1], v3, off
.LBB54_2723:
	s_mov_b64 s[0:1], 0
.LBB54_2724:
	s_andn2_b64 vcc, exec, s[0:1]
	s_cbranch_vccnz .LBB54_2733
; %bb.2725:
	s_cmp_lt_i32 s10, 6
	s_mov_b64 s[0:1], -1
	s_cbranch_scc1 .LBB54_2731
; %bb.2726:
	s_cmp_gt_i32 s10, 6
	s_cbranch_scc0 .LBB54_2728
; %bb.2727:
	v_cndmask_b32_e64 v3, 0, 1, s[4:5]
	v_cvt_f64_u32_e32 v[3:4], v3
	s_mov_b64 s[0:1], 0
	global_store_dwordx2 v[0:1], v[3:4], off
.LBB54_2728:
	s_andn2_b64 vcc, exec, s[0:1]
	s_cbranch_vccnz .LBB54_2730
; %bb.2729:
	v_cndmask_b32_e64 v3, 0, 1.0, s[4:5]
	global_store_dword v[0:1], v3, off
.LBB54_2730:
	s_mov_b64 s[0:1], 0
.LBB54_2731:
	s_andn2_b64 vcc, exec, s[0:1]
	s_cbranch_vccnz .LBB54_2733
; %bb.2732:
	v_cndmask_b32_e64 v3, 0, 1.0, s[4:5]
	v_cvt_f16_f32_e32 v3, v3
	global_store_short v[0:1], v3, off
.LBB54_2733:
	s_mov_b64 s[0:1], 0
.LBB54_2734:
	s_andn2_b64 vcc, exec, s[0:1]
	s_cbranch_vccnz .LBB54_2750
; %bb.2735:
	s_cmp_lt_i32 s10, 2
	s_mov_b64 s[0:1], -1
	s_cbranch_scc1 .LBB54_2745
; %bb.2736:
	s_cmp_lt_i32 s10, 3
	s_cbranch_scc1 .LBB54_2742
; %bb.2737:
	s_cmp_gt_i32 s10, 3
	s_cbranch_scc0 .LBB54_2739
; %bb.2738:
	s_mov_b32 s0, 0
	v_cndmask_b32_e64 v3, 0, 1, s[4:5]
	v_mov_b32_e32 v4, s0
	global_store_dwordx2 v[0:1], v[3:4], off
	s_mov_b64 s[0:1], 0
.LBB54_2739:
	s_andn2_b64 vcc, exec, s[0:1]
	s_cbranch_vccnz .LBB54_2741
; %bb.2740:
	v_cndmask_b32_e64 v3, 0, 1, s[4:5]
	global_store_dword v[0:1], v3, off
.LBB54_2741:
	s_mov_b64 s[0:1], 0
.LBB54_2742:
	s_andn2_b64 vcc, exec, s[0:1]
	s_cbranch_vccnz .LBB54_2744
; %bb.2743:
	v_cndmask_b32_e64 v3, 0, 1, s[4:5]
	global_store_short v[0:1], v3, off
.LBB54_2744:
	s_mov_b64 s[0:1], 0
.LBB54_2745:
	s_andn2_b64 vcc, exec, s[0:1]
	s_cbranch_vccnz .LBB54_2750
; %bb.2746:
	s_mov_b64 s[0:1], -1
	s_cmp_gt_i32 s10, 0
	v_cndmask_b32_e64 v3, 0, 1, s[4:5]
	s_cbranch_scc0 .LBB54_2748
; %bb.2747:
	global_store_byte v[0:1], v3, off
	s_mov_b64 s[0:1], 0
.LBB54_2748:
	s_andn2_b64 vcc, exec, s[0:1]
	s_cbranch_vccnz .LBB54_2750
; %bb.2749:
	global_store_byte v[0:1], v3, off
.LBB54_2750:
	s_mov_b64 s[12:13], -1
.LBB54_2751:
	s_andn2_b64 vcc, exec, s[12:13]
	s_cbranch_vccnz .LBB54_2947
; %bb.2752:
	v_cmp_ne_u64_e32 vcc, v[8:9], v[10:11]
	v_add_u32_e32 v2, s22, v2
	s_xor_b64 s[4:5], s[2:3], vcc
	v_ashrrev_i32_e32 v1, 31, v2
	v_mov_b32_e32 v3, s9
	v_add_co_u32_e32 v0, vcc, s8, v2
	s_cmp_lt_i32 s24, 11
	v_addc_co_u32_e32 v1, vcc, v3, v1, vcc
	s_cbranch_scc1 .LBB54_2830
; %bb.2753:
	s_and_b32 s23, 0xffff, s24
	s_mov_b64 s[14:15], -1
	s_mov_b64 s[10:11], 0
	s_cmp_gt_i32 s23, 25
	s_mov_b64 s[12:13], 0
	s_mov_b64 s[0:1], 0
	s_cbranch_scc0 .LBB54_2786
; %bb.2754:
	s_cmp_gt_i32 s23, 28
	s_cbranch_scc0 .LBB54_2769
; %bb.2755:
	s_cmp_gt_i32 s23, 43
	;; [unrolled: 3-line block ×3, first 2 shown]
	s_cbranch_scc0 .LBB54_2759
; %bb.2757:
	s_mov_b64 s[0:1], -1
	s_mov_b64 s[14:15], 0
	s_cmp_eq_u32 s23, 46
	s_cbranch_scc0 .LBB54_2759
; %bb.2758:
	v_cndmask_b32_e64 v3, 0, 1.0, s[4:5]
	v_bfe_u32 v4, v3, 16, 1
	s_movk_i32 s0, 0x7fff
	v_add3_u32 v3, v3, v4, s0
	v_lshrrev_b32_e32 v3, 16, v3
	global_store_dword v[0:1], v3, off
	s_mov_b64 s[0:1], 0
	s_mov_b64 s[12:13], -1
.LBB54_2759:
	s_and_b64 vcc, exec, s[14:15]
	s_cbranch_vccz .LBB54_2764
; %bb.2760:
	s_cmp_eq_u32 s23, 44
	s_mov_b64 s[0:1], -1
	s_cbranch_scc0 .LBB54_2764
; %bb.2761:
	v_cndmask_b32_e64 v4, 0, 1.0, s[4:5]
	v_lshrrev_b32_e32 v3, 23, v4
	s_movk_i32 s0, 0xff
	v_cmp_ne_u32_e32 vcc, s0, v3
	v_mov_b32_e32 v5, 0xff
	s_and_saveexec_b64 s[12:13], vcc
; %bb.2762:
	s_mov_b32 s0, 0x3fffff
	v_and_b32_e32 v5, 0x400000, v4
	v_and_or_b32 v4, v4, s0, v3
	v_cmp_ne_u32_e32 vcc, 0, v5
	v_cmp_ne_u32_e64 s[0:1], 0, v4
	s_and_b64 s[0:1], vcc, s[0:1]
	v_cndmask_b32_e64 v4, 0, 1, s[0:1]
	v_add_u32_e32 v5, v3, v4
; %bb.2763:
	s_or_b64 exec, exec, s[12:13]
	s_mov_b64 s[0:1], 0
	s_mov_b64 s[12:13], -1
	global_store_byte v[0:1], v5, off
.LBB54_2764:
	s_mov_b64 s[14:15], 0
.LBB54_2765:
	s_and_b64 vcc, exec, s[14:15]
	s_cbranch_vccz .LBB54_2768
; %bb.2766:
	s_cmp_eq_u32 s23, 29
	s_mov_b64 s[0:1], -1
	s_cbranch_scc0 .LBB54_2768
; %bb.2767:
	s_mov_b32 s0, 0
	v_cndmask_b32_e64 v3, 0, 1, s[4:5]
	v_mov_b32_e32 v4, s0
	global_store_dwordx2 v[0:1], v[3:4], off
	s_mov_b64 s[0:1], 0
	s_mov_b64 s[12:13], -1
.LBB54_2768:
	s_mov_b64 s[14:15], 0
.LBB54_2769:
	s_and_b64 vcc, exec, s[14:15]
	s_cbranch_vccz .LBB54_2785
; %bb.2770:
	s_cmp_lt_i32 s23, 27
	s_mov_b64 s[12:13], -1
	s_cbranch_scc1 .LBB54_2776
; %bb.2771:
	s_cmp_gt_i32 s23, 27
	s_cbranch_scc0 .LBB54_2773
; %bb.2772:
	v_cndmask_b32_e64 v3, 0, 1, s[4:5]
	s_mov_b64 s[12:13], 0
	global_store_dword v[0:1], v3, off
.LBB54_2773:
	s_andn2_b64 vcc, exec, s[12:13]
	s_cbranch_vccnz .LBB54_2775
; %bb.2774:
	v_cndmask_b32_e64 v3, 0, 1, s[4:5]
	global_store_short v[0:1], v3, off
.LBB54_2775:
	s_mov_b64 s[12:13], 0
.LBB54_2776:
	s_andn2_b64 vcc, exec, s[12:13]
	s_cbranch_vccnz .LBB54_2784
; %bb.2777:
	v_cndmask_b32_e64 v4, 0, 1.0, s[4:5]
	s_mov_b32 s12, 0x43800000
	v_cmp_gt_u32_e32 vcc, s12, v4
	v_mov_b32_e32 v5, 0x80
	s_and_saveexec_b64 s[12:13], vcc
	s_cbranch_execz .LBB54_2783
; %bb.2778:
	s_mov_b32 s14, 0x3bffffff
	v_cmp_lt_u32_e32 vcc, s14, v4
	s_mov_b64 s[14:15], 0
                                        ; implicit-def: $vgpr3
	s_and_saveexec_b64 s[20:21], vcc
	s_xor_b64 s[20:21], exec, s[20:21]
	s_cbranch_execz .LBB54_3004
; %bb.2779:
	v_bfe_u32 v3, v4, 20, 1
	s_mov_b32 s25, 0x487ffff
	v_add3_u32 v3, v4, v3, s25
	s_mov_b64 s[14:15], exec
	v_lshrrev_b32_e32 v3, 20, v3
                                        ; implicit-def: $vgpr4
	s_andn2_saveexec_b64 s[20:21], s[20:21]
	s_cbranch_execnz .LBB54_3005
.LBB54_2780:
	s_or_b64 exec, exec, s[20:21]
	v_mov_b32_e32 v5, 0
	s_and_saveexec_b64 s[20:21], s[14:15]
.LBB54_2781:
	v_mov_b32_e32 v5, v3
.LBB54_2782:
	s_or_b64 exec, exec, s[20:21]
.LBB54_2783:
	s_or_b64 exec, exec, s[12:13]
	global_store_byte v[0:1], v5, off
.LBB54_2784:
	s_mov_b64 s[12:13], -1
.LBB54_2785:
	s_mov_b64 s[14:15], 0
.LBB54_2786:
	s_and_b64 vcc, exec, s[14:15]
	s_cbranch_vccz .LBB54_2826
; %bb.2787:
	s_cmp_gt_i32 s23, 22
	s_mov_b64 s[10:11], -1
	s_cbranch_scc0 .LBB54_2819
; %bb.2788:
	s_cmp_lt_i32 s23, 24
	s_cbranch_scc1 .LBB54_2808
; %bb.2789:
	s_cmp_gt_i32 s23, 24
	s_cbranch_scc0 .LBB54_2797
; %bb.2790:
	v_cndmask_b32_e64 v4, 0, 1.0, s[4:5]
	s_mov_b32 s10, 0x47800000
	v_cmp_gt_u32_e32 vcc, s10, v4
	v_mov_b32_e32 v5, 0x80
	s_and_saveexec_b64 s[10:11], vcc
	s_cbranch_execz .LBB54_2796
; %bb.2791:
	s_mov_b32 s12, 0x37ffffff
	v_cmp_lt_u32_e32 vcc, s12, v4
	s_mov_b64 s[12:13], 0
                                        ; implicit-def: $vgpr3
	s_and_saveexec_b64 s[14:15], vcc
	s_xor_b64 s[14:15], exec, s[14:15]
	s_cbranch_execz .LBB54_3007
; %bb.2792:
	v_bfe_u32 v3, v4, 21, 1
	s_mov_b32 s20, 0x88fffff
	v_add3_u32 v3, v4, v3, s20
	s_mov_b64 s[12:13], exec
	v_lshrrev_b32_e32 v3, 21, v3
                                        ; implicit-def: $vgpr4
	s_andn2_saveexec_b64 s[14:15], s[14:15]
	s_cbranch_execnz .LBB54_3008
.LBB54_2793:
	s_or_b64 exec, exec, s[14:15]
	v_mov_b32_e32 v5, 0
	s_and_saveexec_b64 s[14:15], s[12:13]
.LBB54_2794:
	v_mov_b32_e32 v5, v3
.LBB54_2795:
	s_or_b64 exec, exec, s[14:15]
.LBB54_2796:
	s_or_b64 exec, exec, s[10:11]
	s_mov_b64 s[10:11], 0
	global_store_byte v[0:1], v5, off
.LBB54_2797:
	s_and_b64 vcc, exec, s[10:11]
	s_cbranch_vccz .LBB54_2807
; %bb.2798:
	v_cndmask_b32_e64 v3, 0, 1.0, s[4:5]
	s_mov_b32 s10, 0x43f00000
	v_cmp_gt_u32_e32 vcc, s10, v3
                                        ; implicit-def: $vgpr4
	s_and_saveexec_b64 s[10:11], vcc
	s_xor_b64 s[10:11], exec, s[10:11]
	s_cbranch_execz .LBB54_2804
; %bb.2799:
	s_mov_b32 s12, 0x3c7fffff
	v_cmp_lt_u32_e32 vcc, s12, v3
                                        ; implicit-def: $vgpr4
	s_and_saveexec_b64 s[12:13], vcc
	s_xor_b64 s[12:13], exec, s[12:13]
; %bb.2800:
	v_bfe_u32 v4, v3, 20, 1
	s_mov_b32 s14, 0x407ffff
	v_add3_u32 v3, v3, v4, s14
	v_lshrrev_b32_e32 v4, 20, v3
	v_and_b32_e32 v3, 0xff00000, v3
	s_mov_b32 s14, 0x7f00000
	v_mov_b32_e32 v5, 0x7e
	v_cmp_ne_u32_e32 vcc, s14, v3
	v_cndmask_b32_e32 v4, v5, v4, vcc
                                        ; implicit-def: $vgpr3
; %bb.2801:
	s_andn2_saveexec_b64 s[12:13], s[12:13]
; %bb.2802:
	v_add_f32_e32 v4, 0x46800000, v3
; %bb.2803:
	s_or_b64 exec, exec, s[12:13]
                                        ; implicit-def: $vgpr3
.LBB54_2804:
	s_andn2_saveexec_b64 s[10:11], s[10:11]
; %bb.2805:
	s_mov_b32 s12, 0x7f800000
	v_mov_b32_e32 v4, 0x7e
	v_mov_b32_e32 v5, 0x7f
	v_cmp_lt_u32_e32 vcc, s12, v3
	v_cndmask_b32_e32 v4, v4, v5, vcc
; %bb.2806:
	s_or_b64 exec, exec, s[10:11]
	global_store_byte v[0:1], v4, off
.LBB54_2807:
	s_mov_b64 s[10:11], 0
.LBB54_2808:
	s_andn2_b64 vcc, exec, s[10:11]
	s_cbranch_vccnz .LBB54_2818
; %bb.2809:
	v_cndmask_b32_e64 v3, 0, 1.0, s[4:5]
	s_mov_b32 s10, 0x47800000
	v_cmp_gt_u32_e32 vcc, s10, v3
                                        ; implicit-def: $vgpr4
	s_and_saveexec_b64 s[10:11], vcc
	s_xor_b64 s[10:11], exec, s[10:11]
	s_cbranch_execz .LBB54_2815
; %bb.2810:
	s_mov_b32 s12, 0x387fffff
	v_cmp_lt_u32_e32 vcc, s12, v3
                                        ; implicit-def: $vgpr4
	s_and_saveexec_b64 s[12:13], vcc
	s_xor_b64 s[12:13], exec, s[12:13]
; %bb.2811:
	v_bfe_u32 v4, v3, 21, 1
	s_mov_b32 s14, 0x80fffff
	v_add3_u32 v3, v3, v4, s14
	v_lshrrev_b32_e32 v4, 21, v3
                                        ; implicit-def: $vgpr3
; %bb.2812:
	s_andn2_saveexec_b64 s[12:13], s[12:13]
; %bb.2813:
	v_add_f32_e32 v4, 0x43000000, v3
; %bb.2814:
	s_or_b64 exec, exec, s[12:13]
                                        ; implicit-def: $vgpr3
.LBB54_2815:
	s_andn2_saveexec_b64 s[10:11], s[10:11]
; %bb.2816:
	s_mov_b32 s12, 0x7f800000
	v_mov_b32_e32 v4, 0x7c
	v_mov_b32_e32 v5, 0x7f
	v_cmp_lt_u32_e32 vcc, s12, v3
	v_cndmask_b32_e32 v4, v4, v5, vcc
; %bb.2817:
	s_or_b64 exec, exec, s[10:11]
	global_store_byte v[0:1], v4, off
.LBB54_2818:
	s_mov_b64 s[10:11], 0
	s_mov_b64 s[12:13], -1
.LBB54_2819:
	s_andn2_b64 vcc, exec, s[10:11]
	s_mov_b64 s[10:11], 0
	s_cbranch_vccnz .LBB54_2826
; %bb.2820:
	s_cmp_gt_i32 s23, 14
	s_mov_b64 s[14:15], -1
	s_cbranch_scc0 .LBB54_2824
; %bb.2821:
	s_cmp_eq_u32 s23, 15
	s_mov_b64 s[0:1], -1
	s_cbranch_scc0 .LBB54_2823
; %bb.2822:
	v_cndmask_b32_e64 v3, 0, 1.0, s[4:5]
	v_bfe_u32 v4, v3, 16, 1
	s_movk_i32 s0, 0x7fff
	v_add3_u32 v3, v3, v4, s0
	global_store_short_d16_hi v[0:1], v3, off
	s_mov_b64 s[0:1], 0
	s_mov_b64 s[12:13], -1
.LBB54_2823:
	s_mov_b64 s[14:15], 0
.LBB54_2824:
	s_and_b64 vcc, exec, s[14:15]
	s_cbranch_vccz .LBB54_2826
; %bb.2825:
	s_cmp_lg_u32 s23, 11
	s_mov_b64 s[10:11], -1
	s_cselect_b64 s[0:1], -1, 0
.LBB54_2826:
	s_and_b64 vcc, exec, s[0:1]
	s_cbranch_vccnz .LBB54_3006
; %bb.2827:
	s_andn2_b64 vcc, exec, s[10:11]
	s_cbranch_vccnz .LBB54_2829
.LBB54_2828:
	v_cndmask_b32_e64 v3, 0, 1, s[4:5]
	s_mov_b64 s[12:13], -1
	global_store_byte v[0:1], v3, off
.LBB54_2829:
	s_mov_b64 s[0:1], 0
	s_branch .LBB54_2831
.LBB54_2830:
	s_mov_b64 s[0:1], -1
	s_mov_b64 s[12:13], 0
.LBB54_2831:
	s_and_b64 vcc, exec, s[0:1]
	s_cbranch_vccz .LBB54_2870
; %bb.2832:
	s_and_b32 s10, 0xffff, s24
	s_cmp_lt_i32 s10, 5
	s_mov_b64 s[0:1], -1
	s_cbranch_scc1 .LBB54_2853
; %bb.2833:
	s_cmp_lt_i32 s10, 8
	s_cbranch_scc1 .LBB54_2843
; %bb.2834:
	s_cmp_lt_i32 s10, 9
	s_cbranch_scc1 .LBB54_2840
; %bb.2835:
	s_cmp_gt_i32 s10, 9
	s_cbranch_scc0 .LBB54_2837
; %bb.2836:
	v_cndmask_b32_e64 v3, 0, 1, s[4:5]
	v_cvt_f64_u32_e32 v[3:4], v3
	v_mov_b32_e32 v5, 0
	v_mov_b32_e32 v6, v5
	s_mov_b64 s[0:1], 0
	global_store_dwordx4 v[0:1], v[3:6], off
.LBB54_2837:
	s_andn2_b64 vcc, exec, s[0:1]
	s_cbranch_vccnz .LBB54_2839
; %bb.2838:
	v_cndmask_b32_e64 v3, 0, 1.0, s[4:5]
	v_mov_b32_e32 v4, 0
	global_store_dwordx2 v[0:1], v[3:4], off
.LBB54_2839:
	s_mov_b64 s[0:1], 0
.LBB54_2840:
	s_andn2_b64 vcc, exec, s[0:1]
	s_cbranch_vccnz .LBB54_2842
; %bb.2841:
	v_cndmask_b32_e64 v3, 0, 1.0, s[4:5]
	v_cvt_f16_f32_e32 v3, v3
	global_store_dword v[0:1], v3, off
.LBB54_2842:
	s_mov_b64 s[0:1], 0
.LBB54_2843:
	s_andn2_b64 vcc, exec, s[0:1]
	s_cbranch_vccnz .LBB54_2852
; %bb.2844:
	s_cmp_lt_i32 s10, 6
	s_mov_b64 s[0:1], -1
	s_cbranch_scc1 .LBB54_2850
; %bb.2845:
	s_cmp_gt_i32 s10, 6
	s_cbranch_scc0 .LBB54_2847
; %bb.2846:
	v_cndmask_b32_e64 v3, 0, 1, s[4:5]
	v_cvt_f64_u32_e32 v[3:4], v3
	s_mov_b64 s[0:1], 0
	global_store_dwordx2 v[0:1], v[3:4], off
.LBB54_2847:
	s_andn2_b64 vcc, exec, s[0:1]
	s_cbranch_vccnz .LBB54_2849
; %bb.2848:
	v_cndmask_b32_e64 v3, 0, 1.0, s[4:5]
	global_store_dword v[0:1], v3, off
.LBB54_2849:
	s_mov_b64 s[0:1], 0
.LBB54_2850:
	s_andn2_b64 vcc, exec, s[0:1]
	s_cbranch_vccnz .LBB54_2852
; %bb.2851:
	v_cndmask_b32_e64 v3, 0, 1.0, s[4:5]
	v_cvt_f16_f32_e32 v3, v3
	global_store_short v[0:1], v3, off
.LBB54_2852:
	s_mov_b64 s[0:1], 0
.LBB54_2853:
	s_andn2_b64 vcc, exec, s[0:1]
	s_cbranch_vccnz .LBB54_2869
; %bb.2854:
	s_cmp_lt_i32 s10, 2
	s_mov_b64 s[0:1], -1
	s_cbranch_scc1 .LBB54_2864
; %bb.2855:
	s_cmp_lt_i32 s10, 3
	s_cbranch_scc1 .LBB54_2861
; %bb.2856:
	s_cmp_gt_i32 s10, 3
	s_cbranch_scc0 .LBB54_2858
; %bb.2857:
	s_mov_b32 s0, 0
	v_cndmask_b32_e64 v3, 0, 1, s[4:5]
	v_mov_b32_e32 v4, s0
	global_store_dwordx2 v[0:1], v[3:4], off
	s_mov_b64 s[0:1], 0
.LBB54_2858:
	s_andn2_b64 vcc, exec, s[0:1]
	s_cbranch_vccnz .LBB54_2860
; %bb.2859:
	v_cndmask_b32_e64 v3, 0, 1, s[4:5]
	global_store_dword v[0:1], v3, off
.LBB54_2860:
	s_mov_b64 s[0:1], 0
.LBB54_2861:
	s_andn2_b64 vcc, exec, s[0:1]
	s_cbranch_vccnz .LBB54_2863
; %bb.2862:
	v_cndmask_b32_e64 v3, 0, 1, s[4:5]
	global_store_short v[0:1], v3, off
.LBB54_2863:
	s_mov_b64 s[0:1], 0
.LBB54_2864:
	s_andn2_b64 vcc, exec, s[0:1]
	s_cbranch_vccnz .LBB54_2869
; %bb.2865:
	s_mov_b64 s[0:1], -1
	s_cmp_gt_i32 s10, 0
	v_cndmask_b32_e64 v3, 0, 1, s[4:5]
	s_cbranch_scc0 .LBB54_2867
; %bb.2866:
	global_store_byte v[0:1], v3, off
	s_mov_b64 s[0:1], 0
.LBB54_2867:
	s_andn2_b64 vcc, exec, s[0:1]
	s_cbranch_vccnz .LBB54_2869
; %bb.2868:
	global_store_byte v[0:1], v3, off
.LBB54_2869:
	s_mov_b64 s[12:13], -1
.LBB54_2870:
	s_andn2_b64 vcc, exec, s[12:13]
	s_cbranch_vccnz .LBB54_2947
; %bb.2871:
	v_cmp_ne_u64_e32 vcc, v[12:13], v[14:15]
	v_add_u32_e32 v0, s22, v2
	s_xor_b64 s[20:21], s[2:3], vcc
	v_ashrrev_i32_e32 v1, 31, v0
	v_mov_b32_e32 v2, s9
	v_add_co_u32_e32 v0, vcc, s8, v0
	s_cmp_lt_i32 s24, 11
	v_addc_co_u32_e32 v1, vcc, v2, v1, vcc
	s_cbranch_scc1 .LBB54_2992
; %bb.2872:
	s_and_b32 s12, 0xffff, s24
	s_mov_b64 s[4:5], -1
	s_mov_b64 s[2:3], 0
	s_cmp_gt_i32 s12, 25
	s_mov_b64 s[0:1], 0
	s_cbranch_scc0 .LBB54_2905
; %bb.2873:
	s_cmp_gt_i32 s12, 28
	s_cbranch_scc0 .LBB54_2889
; %bb.2874:
	s_cmp_gt_i32 s12, 43
	;; [unrolled: 3-line block ×3, first 2 shown]
	s_cbranch_scc0 .LBB54_2879
; %bb.2876:
	s_cmp_eq_u32 s12, 46
	s_mov_b64 s[0:1], -1
	s_cbranch_scc0 .LBB54_2878
; %bb.2877:
	v_cndmask_b32_e64 v2, 0, 1.0, s[20:21]
	v_bfe_u32 v3, v2, 16, 1
	s_movk_i32 s0, 0x7fff
	v_add3_u32 v2, v2, v3, s0
	v_lshrrev_b32_e32 v2, 16, v2
	global_store_dword v[0:1], v2, off
	s_mov_b64 s[0:1], 0
.LBB54_2878:
	s_mov_b64 s[4:5], 0
.LBB54_2879:
	s_and_b64 vcc, exec, s[4:5]
	s_cbranch_vccz .LBB54_2884
; %bb.2880:
	s_cmp_eq_u32 s12, 44
	s_mov_b64 s[0:1], -1
	s_cbranch_scc0 .LBB54_2884
; %bb.2881:
	v_cndmask_b32_e64 v3, 0, 1.0, s[20:21]
	v_lshrrev_b32_e32 v2, 23, v3
	s_movk_i32 s0, 0xff
	v_cmp_ne_u32_e32 vcc, s0, v2
	v_mov_b32_e32 v4, 0xff
	s_and_saveexec_b64 s[4:5], vcc
; %bb.2882:
	s_mov_b32 s0, 0x3fffff
	v_and_b32_e32 v4, 0x400000, v3
	v_and_or_b32 v3, v3, s0, v2
	v_cmp_ne_u32_e32 vcc, 0, v4
	v_cmp_ne_u32_e64 s[0:1], 0, v3
	s_and_b64 s[0:1], vcc, s[0:1]
	v_cndmask_b32_e64 v3, 0, 1, s[0:1]
	v_add_u32_e32 v4, v2, v3
; %bb.2883:
	s_or_b64 exec, exec, s[4:5]
	s_mov_b64 s[0:1], 0
	global_store_byte v[0:1], v4, off
.LBB54_2884:
	s_mov_b64 s[4:5], 0
.LBB54_2885:
	s_and_b64 vcc, exec, s[4:5]
	s_cbranch_vccz .LBB54_2888
; %bb.2886:
	s_cmp_eq_u32 s12, 29
	s_mov_b64 s[0:1], -1
	s_cbranch_scc0 .LBB54_2888
; %bb.2887:
	s_mov_b32 s0, 0
	v_cndmask_b32_e64 v2, 0, 1, s[20:21]
	v_mov_b32_e32 v3, s0
	global_store_dwordx2 v[0:1], v[2:3], off
	s_mov_b64 s[0:1], 0
.LBB54_2888:
	s_mov_b64 s[4:5], 0
.LBB54_2889:
	s_and_b64 vcc, exec, s[4:5]
	s_cbranch_vccz .LBB54_2904
; %bb.2890:
	s_cmp_lt_i32 s12, 27
	s_mov_b64 s[4:5], -1
	s_cbranch_scc1 .LBB54_2896
; %bb.2891:
	s_cmp_gt_i32 s12, 27
	v_cndmask_b32_e64 v2, 0, 1, s[20:21]
	s_cbranch_scc0 .LBB54_2893
; %bb.2892:
	global_store_dword v[0:1], v2, off
	s_mov_b64 s[4:5], 0
.LBB54_2893:
	s_andn2_b64 vcc, exec, s[4:5]
	s_cbranch_vccnz .LBB54_2895
; %bb.2894:
	global_store_short v[0:1], v2, off
.LBB54_2895:
	s_mov_b64 s[4:5], 0
.LBB54_2896:
	s_andn2_b64 vcc, exec, s[4:5]
	s_cbranch_vccnz .LBB54_2904
; %bb.2897:
	v_cndmask_b32_e64 v3, 0, 1.0, s[20:21]
	s_mov_b32 s4, 0x43800000
	v_cmp_gt_u32_e32 vcc, s4, v3
	v_mov_b32_e32 v4, 0x80
	s_and_saveexec_b64 s[4:5], vcc
	s_cbranch_execz .LBB54_2903
; %bb.2898:
	s_mov_b32 s8, 0x3bffffff
	v_cmp_lt_u32_e32 vcc, s8, v3
	s_mov_b64 s[8:9], 0
                                        ; implicit-def: $vgpr2
	s_and_saveexec_b64 s[10:11], vcc
	s_xor_b64 s[10:11], exec, s[10:11]
	s_cbranch_execz .LBB54_3009
; %bb.2899:
	v_bfe_u32 v2, v3, 20, 1
	s_mov_b32 s13, 0x487ffff
	v_add3_u32 v2, v3, v2, s13
	s_mov_b64 s[8:9], exec
	v_lshrrev_b32_e32 v2, 20, v2
                                        ; implicit-def: $vgpr3
	s_andn2_saveexec_b64 s[10:11], s[10:11]
	s_cbranch_execnz .LBB54_3010
.LBB54_2900:
	s_or_b64 exec, exec, s[10:11]
	v_mov_b32_e32 v4, 0
	s_and_saveexec_b64 s[10:11], s[8:9]
.LBB54_2901:
	v_mov_b32_e32 v4, v2
.LBB54_2902:
	s_or_b64 exec, exec, s[10:11]
.LBB54_2903:
	s_or_b64 exec, exec, s[4:5]
	global_store_byte v[0:1], v4, off
.LBB54_2904:
	s_mov_b64 s[4:5], 0
.LBB54_2905:
	s_and_b64 vcc, exec, s[4:5]
	s_cbranch_vccz .LBB54_2945
; %bb.2906:
	s_cmp_gt_i32 s12, 22
	s_mov_b64 s[2:3], -1
	s_cbranch_scc0 .LBB54_2938
; %bb.2907:
	s_cmp_lt_i32 s12, 24
	s_cbranch_scc1 .LBB54_2927
; %bb.2908:
	s_cmp_gt_i32 s12, 24
	s_cbranch_scc0 .LBB54_2916
; %bb.2909:
	v_cndmask_b32_e64 v3, 0, 1.0, s[20:21]
	s_mov_b32 s2, 0x47800000
	v_cmp_gt_u32_e32 vcc, s2, v3
	v_mov_b32_e32 v4, 0x80
	s_and_saveexec_b64 s[2:3], vcc
	s_cbranch_execz .LBB54_2915
; %bb.2910:
	s_mov_b32 s4, 0x37ffffff
	v_cmp_lt_u32_e32 vcc, s4, v3
	s_mov_b64 s[4:5], 0
                                        ; implicit-def: $vgpr2
	s_and_saveexec_b64 s[8:9], vcc
	s_xor_b64 s[8:9], exec, s[8:9]
	s_cbranch_execz .LBB54_3012
; %bb.2911:
	v_bfe_u32 v2, v3, 21, 1
	s_mov_b32 s10, 0x88fffff
	v_add3_u32 v2, v3, v2, s10
	s_mov_b64 s[4:5], exec
	v_lshrrev_b32_e32 v2, 21, v2
                                        ; implicit-def: $vgpr3
	s_andn2_saveexec_b64 s[8:9], s[8:9]
	s_cbranch_execnz .LBB54_3013
.LBB54_2912:
	s_or_b64 exec, exec, s[8:9]
	v_mov_b32_e32 v4, 0
	s_and_saveexec_b64 s[8:9], s[4:5]
.LBB54_2913:
	v_mov_b32_e32 v4, v2
.LBB54_2914:
	s_or_b64 exec, exec, s[8:9]
.LBB54_2915:
	s_or_b64 exec, exec, s[2:3]
	s_mov_b64 s[2:3], 0
	global_store_byte v[0:1], v4, off
.LBB54_2916:
	s_and_b64 vcc, exec, s[2:3]
	s_cbranch_vccz .LBB54_2926
; %bb.2917:
	v_cndmask_b32_e64 v2, 0, 1.0, s[20:21]
	s_mov_b32 s2, 0x43f00000
	v_cmp_gt_u32_e32 vcc, s2, v2
                                        ; implicit-def: $vgpr3
	s_and_saveexec_b64 s[2:3], vcc
	s_xor_b64 s[2:3], exec, s[2:3]
	s_cbranch_execz .LBB54_2923
; %bb.2918:
	s_mov_b32 s4, 0x3c7fffff
	v_cmp_lt_u32_e32 vcc, s4, v2
                                        ; implicit-def: $vgpr3
	s_and_saveexec_b64 s[4:5], vcc
	s_xor_b64 s[4:5], exec, s[4:5]
; %bb.2919:
	v_bfe_u32 v3, v2, 20, 1
	s_mov_b32 s8, 0x407ffff
	v_add3_u32 v2, v2, v3, s8
	v_lshrrev_b32_e32 v3, 20, v2
	v_and_b32_e32 v2, 0xff00000, v2
	s_mov_b32 s8, 0x7f00000
	v_mov_b32_e32 v4, 0x7e
	v_cmp_ne_u32_e32 vcc, s8, v2
	v_cndmask_b32_e32 v3, v4, v3, vcc
                                        ; implicit-def: $vgpr2
; %bb.2920:
	s_andn2_saveexec_b64 s[4:5], s[4:5]
; %bb.2921:
	v_add_f32_e32 v3, 0x46800000, v2
; %bb.2922:
	s_or_b64 exec, exec, s[4:5]
                                        ; implicit-def: $vgpr2
.LBB54_2923:
	s_andn2_saveexec_b64 s[2:3], s[2:3]
; %bb.2924:
	s_mov_b32 s4, 0x7f800000
	v_mov_b32_e32 v3, 0x7e
	v_mov_b32_e32 v4, 0x7f
	v_cmp_lt_u32_e32 vcc, s4, v2
	v_cndmask_b32_e32 v3, v3, v4, vcc
; %bb.2925:
	s_or_b64 exec, exec, s[2:3]
	global_store_byte v[0:1], v3, off
.LBB54_2926:
	s_mov_b64 s[2:3], 0
.LBB54_2927:
	s_andn2_b64 vcc, exec, s[2:3]
	s_cbranch_vccnz .LBB54_2937
; %bb.2928:
	v_cndmask_b32_e64 v2, 0, 1.0, s[20:21]
	s_mov_b32 s2, 0x47800000
	v_cmp_gt_u32_e32 vcc, s2, v2
                                        ; implicit-def: $vgpr3
	s_and_saveexec_b64 s[2:3], vcc
	s_xor_b64 s[2:3], exec, s[2:3]
	s_cbranch_execz .LBB54_2934
; %bb.2929:
	s_mov_b32 s4, 0x387fffff
	v_cmp_lt_u32_e32 vcc, s4, v2
                                        ; implicit-def: $vgpr3
	s_and_saveexec_b64 s[4:5], vcc
	s_xor_b64 s[4:5], exec, s[4:5]
; %bb.2930:
	v_bfe_u32 v3, v2, 21, 1
	s_mov_b32 s8, 0x80fffff
	v_add3_u32 v2, v2, v3, s8
	v_lshrrev_b32_e32 v3, 21, v2
                                        ; implicit-def: $vgpr2
; %bb.2931:
	s_andn2_saveexec_b64 s[4:5], s[4:5]
; %bb.2932:
	v_add_f32_e32 v3, 0x43000000, v2
; %bb.2933:
	s_or_b64 exec, exec, s[4:5]
                                        ; implicit-def: $vgpr2
.LBB54_2934:
	s_andn2_saveexec_b64 s[2:3], s[2:3]
; %bb.2935:
	s_mov_b32 s4, 0x7f800000
	v_mov_b32_e32 v3, 0x7c
	v_mov_b32_e32 v4, 0x7f
	v_cmp_lt_u32_e32 vcc, s4, v2
	v_cndmask_b32_e32 v3, v3, v4, vcc
; %bb.2936:
	s_or_b64 exec, exec, s[2:3]
	global_store_byte v[0:1], v3, off
.LBB54_2937:
	s_mov_b64 s[2:3], 0
.LBB54_2938:
	s_andn2_b64 vcc, exec, s[2:3]
	s_mov_b64 s[2:3], 0
	s_cbranch_vccnz .LBB54_2945
; %bb.2939:
	s_cmp_gt_i32 s12, 14
	s_mov_b64 s[4:5], -1
	s_cbranch_scc0 .LBB54_2943
; %bb.2940:
	s_cmp_eq_u32 s12, 15
	s_mov_b64 s[0:1], -1
	s_cbranch_scc0 .LBB54_2942
; %bb.2941:
	v_cndmask_b32_e64 v2, 0, 1.0, s[20:21]
	v_bfe_u32 v3, v2, 16, 1
	s_movk_i32 s0, 0x7fff
	v_add3_u32 v2, v2, v3, s0
	global_store_short_d16_hi v[0:1], v2, off
	s_mov_b64 s[0:1], 0
.LBB54_2942:
	s_mov_b64 s[4:5], 0
.LBB54_2943:
	s_and_b64 vcc, exec, s[4:5]
	s_cbranch_vccz .LBB54_2945
; %bb.2944:
	s_cmp_lg_u32 s12, 11
	s_mov_b64 s[2:3], -1
	s_cselect_b64 s[0:1], -1, 0
.LBB54_2945:
	s_and_b64 vcc, exec, s[0:1]
	s_cbranch_vccnz .LBB54_3011
.LBB54_2946:
	s_mov_b64 s[0:1], 0
	s_branch .LBB54_2948
.LBB54_2947:
	s_mov_b64 s[0:1], 0
	s_mov_b64 s[2:3], 0
                                        ; implicit-def: $sgpr20_sgpr21
                                        ; implicit-def: $sgpr24
                                        ; implicit-def: $vgpr0_vgpr1
.LBB54_2948:
	s_and_b64 s[4:5], s[2:3], exec
	s_andn2_b64 s[2:3], s[16:17], exec
	s_and_b64 s[8:9], s[18:19], exec
	s_and_b64 s[0:1], s[0:1], exec
	s_or_b64 s[16:17], s[2:3], s[8:9]
.LBB54_2949:
	s_or_b64 exec, exec, s[6:7]
	s_and_saveexec_b64 s[2:3], s[16:17]
	s_cbranch_execz .LBB54_2952
; %bb.2950:
	; divergent unreachable
	s_or_b64 exec, exec, s[2:3]
	s_and_saveexec_b64 s[2:3], s[4:5]
	s_xor_b64 s[2:3], exec, s[2:3]
	s_cbranch_execnz .LBB54_2953
.LBB54_2951:
	s_or_b64 exec, exec, s[2:3]
	s_and_saveexec_b64 s[2:3], s[0:1]
	s_cbranch_execnz .LBB54_2954
	s_branch .LBB54_2991
.LBB54_2952:
	s_or_b64 exec, exec, s[2:3]
	s_and_saveexec_b64 s[2:3], s[4:5]
	s_xor_b64 s[2:3], exec, s[2:3]
	s_cbranch_execz .LBB54_2951
.LBB54_2953:
	s_waitcnt vmcnt(0)
	v_cndmask_b32_e64 v2, 0, 1, s[20:21]
	global_store_byte v[0:1], v2, off
	s_or_b64 exec, exec, s[2:3]
	s_and_saveexec_b64 s[2:3], s[0:1]
	s_cbranch_execz .LBB54_2991
.LBB54_2954:
	s_sext_i32_i16 s2, s24
	s_cmp_lt_i32 s2, 5
	s_mov_b64 s[0:1], -1
	s_cbranch_scc1 .LBB54_2975
; %bb.2955:
	s_cmp_lt_i32 s2, 8
	s_cbranch_scc1 .LBB54_2965
; %bb.2956:
	s_cmp_lt_i32 s2, 9
	s_cbranch_scc1 .LBB54_2962
; %bb.2957:
	s_cmp_gt_i32 s2, 9
	s_cbranch_scc0 .LBB54_2959
; %bb.2958:
	s_waitcnt vmcnt(0)
	v_cndmask_b32_e64 v2, 0, 1, s[20:21]
	v_cvt_f64_u32_e32 v[2:3], v2
	v_mov_b32_e32 v4, 0
	v_mov_b32_e32 v5, v4
	s_mov_b64 s[0:1], 0
	global_store_dwordx4 v[0:1], v[2:5], off
.LBB54_2959:
	s_andn2_b64 vcc, exec, s[0:1]
	s_cbranch_vccnz .LBB54_2961
; %bb.2960:
	s_waitcnt vmcnt(0)
	v_cndmask_b32_e64 v2, 0, 1.0, s[20:21]
	v_mov_b32_e32 v3, 0
	global_store_dwordx2 v[0:1], v[2:3], off
.LBB54_2961:
	s_mov_b64 s[0:1], 0
.LBB54_2962:
	s_andn2_b64 vcc, exec, s[0:1]
	s_cbranch_vccnz .LBB54_2964
; %bb.2963:
	s_waitcnt vmcnt(0)
	v_cndmask_b32_e64 v2, 0, 1.0, s[20:21]
	v_cvt_f16_f32_e32 v2, v2
	global_store_dword v[0:1], v2, off
.LBB54_2964:
	s_mov_b64 s[0:1], 0
.LBB54_2965:
	s_andn2_b64 vcc, exec, s[0:1]
	s_cbranch_vccnz .LBB54_2974
; %bb.2966:
	s_sext_i32_i16 s2, s24
	s_cmp_lt_i32 s2, 6
	s_mov_b64 s[0:1], -1
	s_cbranch_scc1 .LBB54_2972
; %bb.2967:
	s_cmp_gt_i32 s2, 6
	s_cbranch_scc0 .LBB54_2969
; %bb.2968:
	s_waitcnt vmcnt(0)
	v_cndmask_b32_e64 v2, 0, 1, s[20:21]
	v_cvt_f64_u32_e32 v[2:3], v2
	s_mov_b64 s[0:1], 0
	global_store_dwordx2 v[0:1], v[2:3], off
.LBB54_2969:
	s_andn2_b64 vcc, exec, s[0:1]
	s_cbranch_vccnz .LBB54_2971
; %bb.2970:
	s_waitcnt vmcnt(0)
	v_cndmask_b32_e64 v2, 0, 1.0, s[20:21]
	global_store_dword v[0:1], v2, off
.LBB54_2971:
	s_mov_b64 s[0:1], 0
.LBB54_2972:
	s_andn2_b64 vcc, exec, s[0:1]
	s_cbranch_vccnz .LBB54_2974
; %bb.2973:
	s_waitcnt vmcnt(0)
	v_cndmask_b32_e64 v2, 0, 1.0, s[20:21]
	v_cvt_f16_f32_e32 v2, v2
	global_store_short v[0:1], v2, off
.LBB54_2974:
	s_mov_b64 s[0:1], 0
.LBB54_2975:
	s_andn2_b64 vcc, exec, s[0:1]
	s_cbranch_vccnz .LBB54_2991
; %bb.2976:
	s_sext_i32_i16 s2, s24
	s_cmp_lt_i32 s2, 2
	s_mov_b64 s[0:1], -1
	s_cbranch_scc1 .LBB54_2986
; %bb.2977:
	s_cmp_lt_i32 s2, 3
	s_cbranch_scc1 .LBB54_2983
; %bb.2978:
	s_cmp_gt_i32 s2, 3
	s_cbranch_scc0 .LBB54_2980
; %bb.2979:
	s_mov_b32 s0, 0
	s_waitcnt vmcnt(0)
	v_cndmask_b32_e64 v2, 0, 1, s[20:21]
	v_mov_b32_e32 v3, s0
	global_store_dwordx2 v[0:1], v[2:3], off
	s_mov_b64 s[0:1], 0
.LBB54_2980:
	s_andn2_b64 vcc, exec, s[0:1]
	s_cbranch_vccnz .LBB54_2982
; %bb.2981:
	s_waitcnt vmcnt(0)
	v_cndmask_b32_e64 v2, 0, 1, s[20:21]
	global_store_dword v[0:1], v2, off
.LBB54_2982:
	s_mov_b64 s[0:1], 0
.LBB54_2983:
	s_andn2_b64 vcc, exec, s[0:1]
	s_cbranch_vccnz .LBB54_2985
; %bb.2984:
	s_waitcnt vmcnt(0)
	v_cndmask_b32_e64 v2, 0, 1, s[20:21]
	global_store_short v[0:1], v2, off
.LBB54_2985:
	s_mov_b64 s[0:1], 0
.LBB54_2986:
	s_andn2_b64 vcc, exec, s[0:1]
	s_cbranch_vccnz .LBB54_2991
; %bb.2987:
	s_sext_i32_i16 s2, s24
	s_mov_b64 s[0:1], -1
	s_cmp_gt_i32 s2, 0
	s_waitcnt vmcnt(0)
	v_cndmask_b32_e64 v2, 0, 1, s[20:21]
	s_cbranch_scc0 .LBB54_2989
; %bb.2988:
	global_store_byte v[0:1], v2, off
	s_mov_b64 s[0:1], 0
.LBB54_2989:
	s_andn2_b64 vcc, exec, s[0:1]
	s_cbranch_vccnz .LBB54_2991
; %bb.2990:
	global_store_byte v[0:1], v2, off
	s_endpgm
.LBB54_2991:
	s_endpgm
.LBB54_2992:
	s_mov_b64 s[2:3], 0
	s_mov_b64 s[0:1], -1
	s_branch .LBB54_2948
.LBB54_2993:
	s_trap 2
	s_or_b64 s[18:19], s[18:19], exec
	s_cbranch_execz .LBB54_2462
	s_branch .LBB54_2463
.LBB54_2994:
	s_andn2_saveexec_b64 s[22:23], s[22:23]
	s_cbranch_execz .LBB54_2542
.LBB54_2995:
	v_add_f32_e32 v2, 0x46000000, v3
	v_and_b32_e32 v2, 0xff, v2
	v_cmp_ne_u32_e32 vcc, 0, v2
	s_andn2_b64 s[20:21], s[20:21], exec
	s_and_b64 s[26:27], vcc, exec
	s_or_b64 s[20:21], s[20:21], s[26:27]
	s_or_b64 exec, exec, s[22:23]
	v_mov_b32_e32 v17, 0
	s_and_saveexec_b64 s[22:23], s[20:21]
	s_cbranch_execnz .LBB54_2543
	s_branch .LBB54_2544
.LBB54_2996:
	s_trap 2
	s_or_b64 s[18:19], s[18:19], exec
	s_cbranch_execz .LBB54_2590
	s_branch .LBB54_2591
.LBB54_2997:
	s_andn2_saveexec_b64 s[20:21], s[20:21]
	s_cbranch_execz .LBB54_2555
.LBB54_2998:
	v_add_f32_e32 v2, 0x42800000, v3
	v_and_b32_e32 v2, 0xff, v2
	v_cmp_ne_u32_e32 vcc, 0, v2
	s_andn2_b64 s[14:15], s[14:15], exec
	s_and_b64 s[22:23], vcc, exec
	s_or_b64 s[14:15], s[14:15], s[22:23]
	s_or_b64 exec, exec, s[20:21]
	v_mov_b32_e32 v17, 0
	s_and_saveexec_b64 s[20:21], s[14:15]
	s_cbranch_execnz .LBB54_2556
	s_branch .LBB54_2557
.LBB54_2999:
	s_andn2_saveexec_b64 s[20:21], s[20:21]
	s_cbranch_execz .LBB54_2661
.LBB54_3000:
	v_add_f32_e32 v3, 0x46000000, v4
	v_and_b32_e32 v3, 0xff, v3
	v_cmp_ne_u32_e32 vcc, 0, v3
	s_andn2_b64 s[14:15], s[14:15], exec
	s_and_b64 s[26:27], vcc, exec
	s_or_b64 s[14:15], s[14:15], s[26:27]
	s_or_b64 exec, exec, s[20:21]
	v_mov_b32_e32 v5, 0
	s_and_saveexec_b64 s[20:21], s[14:15]
	s_cbranch_execnz .LBB54_2662
	s_branch .LBB54_2663
.LBB54_3001:
	s_trap 2
	s_or_b64 s[18:19], s[18:19], exec
	s_cbranch_execz .LBB54_2709
	s_branch .LBB54_2710
.LBB54_3002:
	s_andn2_saveexec_b64 s[14:15], s[14:15]
	s_cbranch_execz .LBB54_2674
.LBB54_3003:
	v_add_f32_e32 v3, 0x42800000, v4
	v_and_b32_e32 v3, 0xff, v3
	v_cmp_ne_u32_e32 vcc, 0, v3
	s_andn2_b64 s[12:13], s[12:13], exec
	s_and_b64 s[20:21], vcc, exec
	s_or_b64 s[12:13], s[12:13], s[20:21]
	s_or_b64 exec, exec, s[14:15]
	v_mov_b32_e32 v5, 0
	s_and_saveexec_b64 s[14:15], s[12:13]
	s_cbranch_execnz .LBB54_2675
	s_branch .LBB54_2676
.LBB54_3004:
	s_andn2_saveexec_b64 s[20:21], s[20:21]
	s_cbranch_execz .LBB54_2780
.LBB54_3005:
	v_add_f32_e32 v3, 0x46000000, v4
	v_and_b32_e32 v3, 0xff, v3
	v_cmp_ne_u32_e32 vcc, 0, v3
	s_andn2_b64 s[14:15], s[14:15], exec
	s_and_b64 s[26:27], vcc, exec
	s_or_b64 s[14:15], s[14:15], s[26:27]
	s_or_b64 exec, exec, s[20:21]
	v_mov_b32_e32 v5, 0
	s_and_saveexec_b64 s[20:21], s[14:15]
	s_cbranch_execnz .LBB54_2781
	s_branch .LBB54_2782
.LBB54_3006:
	s_trap 2
	s_or_b64 s[18:19], s[18:19], exec
	s_cbranch_execz .LBB54_2828
	s_branch .LBB54_2829
.LBB54_3007:
	s_andn2_saveexec_b64 s[14:15], s[14:15]
	s_cbranch_execz .LBB54_2793
.LBB54_3008:
	v_add_f32_e32 v3, 0x42800000, v4
	v_and_b32_e32 v3, 0xff, v3
	v_cmp_ne_u32_e32 vcc, 0, v3
	s_andn2_b64 s[12:13], s[12:13], exec
	s_and_b64 s[20:21], vcc, exec
	s_or_b64 s[12:13], s[12:13], s[20:21]
	s_or_b64 exec, exec, s[14:15]
	v_mov_b32_e32 v5, 0
	s_and_saveexec_b64 s[14:15], s[12:13]
	s_cbranch_execnz .LBB54_2794
	s_branch .LBB54_2795
.LBB54_3009:
	s_andn2_saveexec_b64 s[10:11], s[10:11]
	s_cbranch_execz .LBB54_2900
.LBB54_3010:
	v_add_f32_e32 v2, 0x46000000, v3
	v_and_b32_e32 v2, 0xff, v2
	v_cmp_ne_u32_e32 vcc, 0, v2
	s_andn2_b64 s[8:9], s[8:9], exec
	s_and_b64 s[14:15], vcc, exec
	s_or_b64 s[8:9], s[8:9], s[14:15]
	s_or_b64 exec, exec, s[10:11]
	v_mov_b32_e32 v4, 0
	s_and_saveexec_b64 s[10:11], s[8:9]
	s_cbranch_execnz .LBB54_2901
	s_branch .LBB54_2902
.LBB54_3011:
	s_mov_b64 s[2:3], 0
	s_or_b64 s[18:19], s[18:19], exec
	s_trap 2
	s_branch .LBB54_2946
.LBB54_3012:
	s_andn2_saveexec_b64 s[8:9], s[8:9]
	s_cbranch_execz .LBB54_2912
.LBB54_3013:
	v_add_f32_e32 v2, 0x42800000, v3
	v_and_b32_e32 v2, 0xff, v2
	v_cmp_ne_u32_e32 vcc, 0, v2
	s_andn2_b64 s[4:5], s[4:5], exec
	s_and_b64 s[10:11], vcc, exec
	s_or_b64 s[4:5], s[4:5], s[10:11]
	s_or_b64 exec, exec, s[8:9]
	v_mov_b32_e32 v4, 0
	s_and_saveexec_b64 s[8:9], s[4:5]
	s_cbranch_execnz .LBB54_2913
	s_branch .LBB54_2914
	.section	.rodata,"a",@progbits
	.p2align	6, 0x0
	.amdhsa_kernel _ZN2at6native32elementwise_kernel_manual_unrollILi128ELi4EZNS0_15gpu_kernel_implINS0_13BinaryFunctorIllbNS0_12_GLOBAL__N_116CompareEqFunctorIlEEEEEEvRNS_18TensorIteratorBaseERKT_EUlibE_EEviT1_
		.amdhsa_group_segment_fixed_size 0
		.amdhsa_private_segment_fixed_size 0
		.amdhsa_kernarg_size 56
		.amdhsa_user_sgpr_count 6
		.amdhsa_user_sgpr_private_segment_buffer 1
		.amdhsa_user_sgpr_dispatch_ptr 0
		.amdhsa_user_sgpr_queue_ptr 0
		.amdhsa_user_sgpr_kernarg_segment_ptr 1
		.amdhsa_user_sgpr_dispatch_id 0
		.amdhsa_user_sgpr_flat_scratch_init 0
		.amdhsa_user_sgpr_private_segment_size 0
		.amdhsa_uses_dynamic_stack 0
		.amdhsa_system_sgpr_private_segment_wavefront_offset 0
		.amdhsa_system_sgpr_workgroup_id_x 1
		.amdhsa_system_sgpr_workgroup_id_y 0
		.amdhsa_system_sgpr_workgroup_id_z 0
		.amdhsa_system_sgpr_workgroup_info 0
		.amdhsa_system_vgpr_workitem_id 0
		.amdhsa_next_free_vgpr 23
		.amdhsa_next_free_sgpr 59
		.amdhsa_reserve_vcc 1
		.amdhsa_reserve_flat_scratch 0
		.amdhsa_float_round_mode_32 0
		.amdhsa_float_round_mode_16_64 0
		.amdhsa_float_denorm_mode_32 3
		.amdhsa_float_denorm_mode_16_64 3
		.amdhsa_dx10_clamp 1
		.amdhsa_ieee_mode 1
		.amdhsa_fp16_overflow 0
		.amdhsa_exception_fp_ieee_invalid_op 0
		.amdhsa_exception_fp_denorm_src 0
		.amdhsa_exception_fp_ieee_div_zero 0
		.amdhsa_exception_fp_ieee_overflow 0
		.amdhsa_exception_fp_ieee_underflow 0
		.amdhsa_exception_fp_ieee_inexact 0
		.amdhsa_exception_int_div_zero 0
	.end_amdhsa_kernel
	.section	.text._ZN2at6native32elementwise_kernel_manual_unrollILi128ELi4EZNS0_15gpu_kernel_implINS0_13BinaryFunctorIllbNS0_12_GLOBAL__N_116CompareEqFunctorIlEEEEEEvRNS_18TensorIteratorBaseERKT_EUlibE_EEviT1_,"axG",@progbits,_ZN2at6native32elementwise_kernel_manual_unrollILi128ELi4EZNS0_15gpu_kernel_implINS0_13BinaryFunctorIllbNS0_12_GLOBAL__N_116CompareEqFunctorIlEEEEEEvRNS_18TensorIteratorBaseERKT_EUlibE_EEviT1_,comdat
.Lfunc_end54:
	.size	_ZN2at6native32elementwise_kernel_manual_unrollILi128ELi4EZNS0_15gpu_kernel_implINS0_13BinaryFunctorIllbNS0_12_GLOBAL__N_116CompareEqFunctorIlEEEEEEvRNS_18TensorIteratorBaseERKT_EUlibE_EEviT1_, .Lfunc_end54-_ZN2at6native32elementwise_kernel_manual_unrollILi128ELi4EZNS0_15gpu_kernel_implINS0_13BinaryFunctorIllbNS0_12_GLOBAL__N_116CompareEqFunctorIlEEEEEEvRNS_18TensorIteratorBaseERKT_EUlibE_EEviT1_
                                        ; -- End function
	.set _ZN2at6native32elementwise_kernel_manual_unrollILi128ELi4EZNS0_15gpu_kernel_implINS0_13BinaryFunctorIllbNS0_12_GLOBAL__N_116CompareEqFunctorIlEEEEEEvRNS_18TensorIteratorBaseERKT_EUlibE_EEviT1_.num_vgpr, 23
	.set _ZN2at6native32elementwise_kernel_manual_unrollILi128ELi4EZNS0_15gpu_kernel_implINS0_13BinaryFunctorIllbNS0_12_GLOBAL__N_116CompareEqFunctorIlEEEEEEvRNS_18TensorIteratorBaseERKT_EUlibE_EEviT1_.num_agpr, 0
	.set _ZN2at6native32elementwise_kernel_manual_unrollILi128ELi4EZNS0_15gpu_kernel_implINS0_13BinaryFunctorIllbNS0_12_GLOBAL__N_116CompareEqFunctorIlEEEEEEvRNS_18TensorIteratorBaseERKT_EUlibE_EEviT1_.numbered_sgpr, 59
	.set _ZN2at6native32elementwise_kernel_manual_unrollILi128ELi4EZNS0_15gpu_kernel_implINS0_13BinaryFunctorIllbNS0_12_GLOBAL__N_116CompareEqFunctorIlEEEEEEvRNS_18TensorIteratorBaseERKT_EUlibE_EEviT1_.num_named_barrier, 0
	.set _ZN2at6native32elementwise_kernel_manual_unrollILi128ELi4EZNS0_15gpu_kernel_implINS0_13BinaryFunctorIllbNS0_12_GLOBAL__N_116CompareEqFunctorIlEEEEEEvRNS_18TensorIteratorBaseERKT_EUlibE_EEviT1_.private_seg_size, 0
	.set _ZN2at6native32elementwise_kernel_manual_unrollILi128ELi4EZNS0_15gpu_kernel_implINS0_13BinaryFunctorIllbNS0_12_GLOBAL__N_116CompareEqFunctorIlEEEEEEvRNS_18TensorIteratorBaseERKT_EUlibE_EEviT1_.uses_vcc, 1
	.set _ZN2at6native32elementwise_kernel_manual_unrollILi128ELi4EZNS0_15gpu_kernel_implINS0_13BinaryFunctorIllbNS0_12_GLOBAL__N_116CompareEqFunctorIlEEEEEEvRNS_18TensorIteratorBaseERKT_EUlibE_EEviT1_.uses_flat_scratch, 0
	.set _ZN2at6native32elementwise_kernel_manual_unrollILi128ELi4EZNS0_15gpu_kernel_implINS0_13BinaryFunctorIllbNS0_12_GLOBAL__N_116CompareEqFunctorIlEEEEEEvRNS_18TensorIteratorBaseERKT_EUlibE_EEviT1_.has_dyn_sized_stack, 0
	.set _ZN2at6native32elementwise_kernel_manual_unrollILi128ELi4EZNS0_15gpu_kernel_implINS0_13BinaryFunctorIllbNS0_12_GLOBAL__N_116CompareEqFunctorIlEEEEEEvRNS_18TensorIteratorBaseERKT_EUlibE_EEviT1_.has_recursion, 0
	.set _ZN2at6native32elementwise_kernel_manual_unrollILi128ELi4EZNS0_15gpu_kernel_implINS0_13BinaryFunctorIllbNS0_12_GLOBAL__N_116CompareEqFunctorIlEEEEEEvRNS_18TensorIteratorBaseERKT_EUlibE_EEviT1_.has_indirect_call, 0
	.section	.AMDGPU.csdata,"",@progbits
; Kernel info:
; codeLenInByte = 55000
; TotalNumSgprs: 63
; NumVgprs: 23
; ScratchSize: 0
; MemoryBound: 1
; FloatMode: 240
; IeeeMode: 1
; LDSByteSize: 0 bytes/workgroup (compile time only)
; SGPRBlocks: 7
; VGPRBlocks: 5
; NumSGPRsForWavesPerEU: 63
; NumVGPRsForWavesPerEU: 23
; Occupancy: 10
; WaveLimiterHint : 0
; COMPUTE_PGM_RSRC2:SCRATCH_EN: 0
; COMPUTE_PGM_RSRC2:USER_SGPR: 6
; COMPUTE_PGM_RSRC2:TRAP_HANDLER: 0
; COMPUTE_PGM_RSRC2:TGID_X_EN: 1
; COMPUTE_PGM_RSRC2:TGID_Y_EN: 0
; COMPUTE_PGM_RSRC2:TGID_Z_EN: 0
; COMPUTE_PGM_RSRC2:TIDIG_COMP_CNT: 0
	.section	.text._ZN2at6native32elementwise_kernel_manual_unrollILi128ELi4EZNS0_15gpu_kernel_implINS0_13BinaryFunctorIllbNS0_12_GLOBAL__N_116CompareEqFunctorIlEEEEEEvRNS_18TensorIteratorBaseERKT_EUlibE0_EEviT1_,"axG",@progbits,_ZN2at6native32elementwise_kernel_manual_unrollILi128ELi4EZNS0_15gpu_kernel_implINS0_13BinaryFunctorIllbNS0_12_GLOBAL__N_116CompareEqFunctorIlEEEEEEvRNS_18TensorIteratorBaseERKT_EUlibE0_EEviT1_,comdat
	.globl	_ZN2at6native32elementwise_kernel_manual_unrollILi128ELi4EZNS0_15gpu_kernel_implINS0_13BinaryFunctorIllbNS0_12_GLOBAL__N_116CompareEqFunctorIlEEEEEEvRNS_18TensorIteratorBaseERKT_EUlibE0_EEviT1_ ; -- Begin function _ZN2at6native32elementwise_kernel_manual_unrollILi128ELi4EZNS0_15gpu_kernel_implINS0_13BinaryFunctorIllbNS0_12_GLOBAL__N_116CompareEqFunctorIlEEEEEEvRNS_18TensorIteratorBaseERKT_EUlibE0_EEviT1_
	.p2align	8
	.type	_ZN2at6native32elementwise_kernel_manual_unrollILi128ELi4EZNS0_15gpu_kernel_implINS0_13BinaryFunctorIllbNS0_12_GLOBAL__N_116CompareEqFunctorIlEEEEEEvRNS_18TensorIteratorBaseERKT_EUlibE0_EEviT1_,@function
_ZN2at6native32elementwise_kernel_manual_unrollILi128ELi4EZNS0_15gpu_kernel_implINS0_13BinaryFunctorIllbNS0_12_GLOBAL__N_116CompareEqFunctorIlEEEEEEvRNS_18TensorIteratorBaseERKT_EUlibE0_EEviT1_: ; @_ZN2at6native32elementwise_kernel_manual_unrollILi128ELi4EZNS0_15gpu_kernel_implINS0_13BinaryFunctorIllbNS0_12_GLOBAL__N_116CompareEqFunctorIlEEEEEEvRNS_18TensorIteratorBaseERKT_EUlibE0_EEviT1_
; %bb.0:
	s_load_dword s70, s[4:5], 0x0
	s_load_dword s33, s[4:5], 0x8
	s_add_u32 s2, s4, 8
	s_addc_u32 s3, s5, 0
	v_lshl_or_b32 v10, s6, 9, v0
	v_or_b32_e32 v21, 0x180, v10
	s_waitcnt lgkmcnt(0)
	s_add_i32 s72, s33, -1
	s_cmp_gt_u32 s72, 1
	v_cmp_le_i32_e32 vcc, s70, v21
	s_cselect_b64 s[24:25], -1, 0
	s_mov_b64 s[6:7], 0
	s_mov_b64 s[12:13], 0
	s_and_saveexec_b64 s[0:1], vcc
	s_xor_b64 s[26:27], exec, s[0:1]
	s_cbranch_execz .LBB55_1557
; %bb.1:
	s_cmp_lg_u32 s33, 0
	s_load_dwordx4 s[16:19], s[2:3], 0x4
	s_load_dwordx2 s[34:35], s[2:3], 0x14
	s_load_dwordx8 s[8:15], s[2:3], 0x188
	s_load_dwordx4 s[20:23], s[2:3], 0xc4
	s_load_dwordx2 s[30:31], s[2:3], 0xd4
	s_cselect_b64 s[38:39], -1, 0
	s_min_u32 s75, s72, 15
	s_cmp_gt_u32 s33, 1
	s_cselect_b64 s[36:37], -1, 0
	s_waitcnt lgkmcnt(0)
	s_lshr_b32 s74, s15, 8
	s_lshr_b32 s73, s15, 16
	s_cmp_eq_u32 s14, 0
	s_cselect_b64 s[28:29], -1, 0
	v_cmp_gt_i32_e32 vcc, s70, v10
	s_mov_b64 s[0:1], -1
	s_mov_b64 s[50:51], 0
	s_mov_b64 s[44:45], 0
	;; [unrolled: 1-line block ×4, first 2 shown]
	s_and_saveexec_b64 s[46:47], vcc
	s_cbranch_execz .LBB55_386
; %bb.2:
	s_andn2_b64 vcc, exec, s[24:25]
	s_cbranch_vccnz .LBB55_8
; %bb.3:
	s_andn2_b64 vcc, exec, s[38:39]
	s_cbranch_vccnz .LBB55_9
; %bb.4:
	s_add_i32 s0, s75, 1
	s_and_b32 s14, s0, 30
	s_add_u32 s0, s2, 0xffffffe8
	s_addc_u32 s1, s3, -1
	v_mov_b32_e32 v3, 0
	v_mov_b32_e32 v5, 0
	;; [unrolled: 1-line block ×4, first 2 shown]
.LBB55_5:                               ; =>This Inner Loop Header: Depth=1
	s_load_dwordx4 s[40:43], s[0:1], 0x1c
	s_load_dwordx2 s[44:45], s[0:1], 0x2c
	s_load_dwordx2 s[48:49], s[0:1], 0xec
	s_load_dwordx4 s[52:55], s[0:1], 0xdc
	s_add_u32 s0, s0, 24
	s_waitcnt lgkmcnt(0)
	v_mul_hi_u32 v2, s41, v1
	s_addc_u32 s1, s1, 0
	s_add_i32 s14, s14, -2
	s_cmp_lg_u32 s14, 0
	v_add_u32_e32 v2, v1, v2
	v_lshrrev_b32_e32 v2, s42, v2
	v_mul_lo_u32 v4, v2, s40
	v_mul_hi_u32 v6, s44, v2
	v_sub_u32_e32 v4, v1, v4
	v_add_u32_e32 v1, v2, v6
	v_lshrrev_b32_e32 v1, s45, v1
	v_mul_lo_u32 v8, v1, s43
	v_mul_lo_u32 v6, v4, s52
	;; [unrolled: 1-line block ×4, first 2 shown]
	v_sub_u32_e32 v2, v2, v8
	v_mul_lo_u32 v8, v2, s55
	v_mul_lo_u32 v9, v2, s48
	;; [unrolled: 1-line block ×3, first 2 shown]
	v_add3_u32 v0, v6, v0, v8
	v_add3_u32 v5, v7, v5, v9
	;; [unrolled: 1-line block ×3, first 2 shown]
	s_cbranch_scc1 .LBB55_5
; %bb.6:
	s_bitcmp1_b32 s75, 0
	s_cselect_b64 s[40:41], -1, 0
	s_and_b64 vcc, exec, s[40:41]
	s_cbranch_vccnz .LBB55_10
; %bb.7:
	s_load_dwordx2 s[40:41], s[0:1], 0x1c
	s_load_dword s14, s[0:1], 0x24
	s_load_dwordx2 s[42:43], s[0:1], 0xdc
	s_waitcnt lgkmcnt(0)
	v_mul_hi_u32 v2, s41, v1
	v_add_u32_e32 v2, v1, v2
	v_lshrrev_b32_e32 v2, s14, v2
	v_mul_lo_u32 v2, v2, s40
	s_load_dword s14, s[0:1], 0xe4
	v_sub_u32_e32 v2, v1, v2
	v_mad_u64_u32 v[0:1], s[0:1], v2, s42, v[0:1]
	v_mad_u64_u32 v[5:6], s[0:1], v2, s43, v[5:6]
	s_waitcnt lgkmcnt(0)
	v_mad_u64_u32 v[3:4], s[0:1], v2, s14, v[3:4]
	s_cbranch_execz .LBB55_11
	s_branch .LBB55_13
.LBB55_8:
                                        ; implicit-def: $vgpr0
                                        ; implicit-def: $vgpr5
                                        ; implicit-def: $vgpr3
	s_andn2_b64 vcc, exec, s[0:1]
	s_cbranch_vccz .LBB55_11
	s_branch .LBB55_13
.LBB55_9:
	v_mov_b32_e32 v0, 0
	v_mov_b32_e32 v5, 0
	;; [unrolled: 1-line block ×3, first 2 shown]
.LBB55_10:
	s_cbranch_execnz .LBB55_13
.LBB55_11:
	v_mul_hi_u32 v0, s17, v10
	s_andn2_b64 vcc, exec, s[36:37]
	v_add_u32_e32 v0, v10, v0
	v_lshrrev_b32_e32 v1, s18, v0
	v_mul_lo_u32 v0, v1, s16
	v_sub_u32_e32 v2, v10, v0
	v_mul_lo_u32 v0, v2, s20
	v_mul_lo_u32 v5, v2, s21
	;; [unrolled: 1-line block ×3, first 2 shown]
	s_cbranch_vccnz .LBB55_13
; %bb.12:
	v_mul_hi_u32 v2, s34, v1
	v_add_u32_e32 v2, v1, v2
	v_lshrrev_b32_e32 v2, s35, v2
	v_mul_lo_u32 v2, v2, s19
	v_sub_u32_e32 v2, v1, v2
	v_mad_u64_u32 v[0:1], s[0:1], v2, s23, v[0:1]
	v_mad_u64_u32 v[5:6], s[0:1], v2, s30, v[5:6]
	;; [unrolled: 1-line block ×3, first 2 shown]
.LBB55_13:
	v_mov_b32_e32 v1, s11
	s_and_b32 s14, s74, 0xff
	v_add_co_u32_e32 v4, vcc, s10, v5
	s_cmp_lt_i32 s14, 11
	v_addc_co_u32_e32 v5, vcc, 0, v1, vcc
	s_cbranch_scc1 .LBB55_20
; %bb.14:
	s_and_b32 s42, 0xffff, s14
	s_cmp_gt_i32 s42, 25
	s_cbranch_scc0 .LBB55_29
; %bb.15:
	s_cmp_gt_i32 s42, 28
	s_cbranch_scc0 .LBB55_39
; %bb.16:
	;; [unrolled: 3-line block ×4, first 2 shown]
	s_cmp_eq_u32 s42, 46
	s_mov_b64 s[40:41], 0
	s_cbranch_scc0 .LBB55_48
; %bb.19:
	global_load_dword v1, v[4:5], off
	s_mov_b32 s0, 0x2f800000
	s_mov_b32 s1, 0xcf800000
	s_mov_b64 s[44:45], 0
	s_waitcnt vmcnt(0)
	v_lshlrev_b32_e32 v1, 16, v1
	v_trunc_f32_e32 v1, v1
	v_mul_f32_e64 v2, |v1|, s0
	v_floor_f32_e32 v2, v2
	v_fma_f32 v6, v2, s1, |v1|
	v_cvt_u32_f32_e32 v6, v6
	v_cvt_u32_f32_e32 v2, v2
	v_ashrrev_i32_e32 v7, 31, v1
	s_mov_b64 s[0:1], -1
	v_xor_b32_e32 v1, v6, v7
	v_xor_b32_e32 v2, v2, v7
	v_sub_co_u32_e32 v1, vcc, v1, v7
	v_subb_co_u32_e32 v2, vcc, v2, v7, vcc
	s_branch .LBB55_50
.LBB55_20:
	s_mov_b64 s[44:45], 0
                                        ; implicit-def: $vgpr1_vgpr2
	s_mov_b64 s[0:1], 0
	s_cbranch_execnz .LBB55_112
.LBB55_21:
	s_andn2_b64 vcc, exec, s[0:1]
	s_cbranch_vccnz .LBB55_159
.LBB55_22:
	v_mov_b32_e32 v4, s13
	s_and_b32 s14, s73, 0xff
	v_add_co_u32_e32 v3, vcc, s12, v3
	s_cmp_lt_i32 s14, 11
	v_addc_co_u32_e32 v4, vcc, 0, v4, vcc
	s_cbranch_scc1 .LBB55_30
; %bb.23:
	s_and_b32 s48, 0xffff, s14
	s_cmp_gt_i32 s48, 25
	s_cbranch_scc0 .LBB55_40
; %bb.24:
	s_cmp_gt_i32 s48, 28
	s_cbranch_scc0 .LBB55_43
; %bb.25:
	;; [unrolled: 3-line block ×4, first 2 shown]
	s_cmp_eq_u32 s48, 46
	s_mov_b64 s[40:41], 0
	s_cbranch_scc0 .LBB55_160
; %bb.28:
	global_load_dword v5, v[3:4], off
	s_mov_b32 s0, 0x2f800000
	s_mov_b32 s1, 0xcf800000
	s_mov_b64 s[42:43], 0
	s_waitcnt vmcnt(0)
	v_lshlrev_b32_e32 v5, 16, v5
	v_trunc_f32_e32 v5, v5
	v_mul_f32_e64 v6, |v5|, s0
	v_floor_f32_e32 v6, v6
	v_fma_f32 v7, v6, s1, |v5|
	v_cvt_u32_f32_e32 v7, v7
	v_cvt_u32_f32_e32 v6, v6
	v_ashrrev_i32_e32 v8, 31, v5
	s_mov_b64 s[0:1], -1
	v_xor_b32_e32 v5, v7, v8
	v_xor_b32_e32 v6, v6, v8
	v_sub_co_u32_e32 v5, vcc, v5, v8
	v_subb_co_u32_e32 v6, vcc, v6, v8, vcc
	s_branch .LBB55_162
.LBB55_29:
	s_mov_b64 s[44:45], 0
	s_mov_b64 s[0:1], 0
                                        ; implicit-def: $vgpr1_vgpr2
	s_cbranch_execnz .LBB55_81
	s_branch .LBB55_111
.LBB55_30:
	s_mov_b64 s[42:43], 0
                                        ; implicit-def: $vgpr5_vgpr6
	s_mov_b64 s[0:1], 0
	s_cbranch_execnz .LBB55_335
.LBB55_31:
	s_andn2_b64 vcc, exec, s[0:1]
	s_cbranch_vccnz .LBB55_383
.LBB55_32:
	s_waitcnt vmcnt(0)
	v_cmp_ne_u64_e32 vcc, v[1:2], v[5:6]
	v_mov_b32_e32 v1, s9
	s_xor_b64 s[40:41], s[28:29], vcc
	s_and_b32 s14, s15, 0xff
	v_add_co_u32_e32 v0, vcc, s8, v0
	s_cmp_lt_i32 s14, 11
	v_addc_co_u32_e32 v1, vcc, 0, v1, vcc
	s_cbranch_scc1 .LBB55_41
; %bb.33:
	s_and_b32 s56, 0xffff, s14
	s_cmp_gt_i32 s56, 25
	s_cbranch_scc0 .LBB55_44
; %bb.34:
	s_cmp_gt_i32 s56, 28
	s_cbranch_scc0 .LBB55_47
; %bb.35:
	;; [unrolled: 3-line block ×4, first 2 shown]
	s_mov_b64 s[52:53], 0
	s_mov_b64 s[0:1], -1
	s_cmp_eq_u32 s56, 46
	s_mov_b64 s[48:49], 0
	s_cbranch_scc0 .LBB55_166
; %bb.38:
	v_cndmask_b32_e64 v2, 0, 1.0, s[40:41]
	v_bfe_u32 v3, v2, 16, 1
	s_movk_i32 s0, 0x7fff
	v_add3_u32 v2, v2, v3, s0
	v_lshrrev_b32_e32 v2, 16, v2
	global_store_dword v[0:1], v2, off
	s_mov_b64 s[48:49], -1
	s_mov_b64 s[0:1], 0
	s_branch .LBB55_166
.LBB55_39:
	s_mov_b64 s[40:41], -1
	s_mov_b64 s[44:45], 0
	s_mov_b64 s[0:1], 0
                                        ; implicit-def: $vgpr1_vgpr2
	s_branch .LBB55_62
.LBB55_40:
	s_mov_b64 s[40:41], -1
	s_mov_b64 s[42:43], 0
	s_mov_b64 s[0:1], 0
                                        ; implicit-def: $vgpr5_vgpr6
	s_branch .LBB55_303
.LBB55_41:
	s_mov_b64 s[52:53], -1
	s_mov_b64 s[0:1], 0
	s_mov_b64 s[48:49], 0
	s_branch .LBB55_235
.LBB55_42:
	s_mov_b64 s[40:41], -1
	s_mov_b64 s[44:45], 0
	s_mov_b64 s[0:1], 0
                                        ; implicit-def: $vgpr1_vgpr2
	s_branch .LBB55_57
.LBB55_43:
	s_mov_b64 s[40:41], -1
	s_mov_b64 s[42:43], 0
	s_mov_b64 s[0:1], 0
                                        ; implicit-def: $vgpr5_vgpr6
	s_branch .LBB55_284
.LBB55_44:
	s_mov_b64 s[52:53], -1
	s_mov_b64 s[0:1], 0
	s_mov_b64 s[48:49], 0
	s_branch .LBB55_193
.LBB55_45:
	s_mov_b64 s[40:41], -1
	s_mov_b64 s[44:45], 0
	s_branch .LBB55_49
.LBB55_46:
	s_mov_b64 s[40:41], -1
	s_mov_b64 s[42:43], 0
	s_mov_b64 s[0:1], 0
                                        ; implicit-def: $vgpr5_vgpr6
	s_branch .LBB55_279
.LBB55_47:
	s_mov_b64 s[52:53], -1
	s_mov_b64 s[0:1], 0
	s_mov_b64 s[48:49], 0
	s_branch .LBB55_176
.LBB55_48:
	s_mov_b64 s[44:45], -1
.LBB55_49:
	s_mov_b64 s[0:1], 0
                                        ; implicit-def: $vgpr1_vgpr2
.LBB55_50:
	s_and_b64 vcc, exec, s[40:41]
	s_cbranch_vccz .LBB55_56
; %bb.51:
	s_cmp_eq_u32 s42, 44
	s_cbranch_scc0 .LBB55_55
; %bb.52:
	global_load_ubyte v1, v[4:5], off
	s_mov_b32 s0, 0x2f800000
	s_mov_b32 s1, 0xcf800000
	s_mov_b64 s[44:45], 0
	s_waitcnt vmcnt(0)
	v_lshlrev_b32_e32 v2, 23, v1
	v_trunc_f32_e32 v2, v2
	v_mul_f32_e64 v6, |v2|, s0
	v_floor_f32_e32 v6, v6
	v_fma_f32 v7, v6, s1, |v2|
	v_cvt_u32_f32_e32 v7, v7
	v_cvt_u32_f32_e32 v6, v6
	v_ashrrev_i32_e32 v2, 31, v2
	s_mov_b64 s[0:1], -1
	v_xor_b32_e32 v7, v7, v2
	v_xor_b32_e32 v6, v6, v2
	v_sub_co_u32_e32 v7, vcc, v7, v2
	v_subb_co_u32_e32 v2, vcc, v6, v2, vcc
	v_cmp_ne_u32_e32 vcc, 0, v1
	v_cndmask_b32_e32 v2, 0, v2, vcc
	v_cndmask_b32_e32 v1, 0, v7, vcc
	s_branch .LBB55_56
.LBB55_53:
	s_mov_b64 s[40:41], -1
	s_mov_b64 s[42:43], 0
	s_branch .LBB55_161
.LBB55_54:
	s_mov_b64 s[52:53], -1
	s_mov_b64 s[0:1], 0
	s_mov_b64 s[48:49], 0
	s_branch .LBB55_172
.LBB55_55:
	s_mov_b64 s[44:45], -1
                                        ; implicit-def: $vgpr1_vgpr2
.LBB55_56:
	s_mov_b64 s[40:41], 0
.LBB55_57:
	s_and_b64 vcc, exec, s[40:41]
	s_cbranch_vccz .LBB55_61
; %bb.58:
	s_cmp_eq_u32 s42, 29
	s_cbranch_scc0 .LBB55_60
; %bb.59:
	global_load_dwordx2 v[1:2], v[4:5], off
	s_mov_b64 s[0:1], -1
	s_mov_b64 s[44:45], 0
	s_branch .LBB55_61
.LBB55_60:
	s_mov_b64 s[44:45], -1
                                        ; implicit-def: $vgpr1_vgpr2
.LBB55_61:
	s_mov_b64 s[40:41], 0
.LBB55_62:
	s_and_b64 vcc, exec, s[40:41]
	s_cbranch_vccz .LBB55_80
; %bb.63:
	s_cmp_lt_i32 s42, 27
	s_cbranch_scc1 .LBB55_66
; %bb.64:
	s_cmp_gt_i32 s42, 27
	s_cbranch_scc0 .LBB55_67
; %bb.65:
	global_load_dword v1, v[4:5], off
	s_waitcnt vmcnt(1)
	v_mov_b32_e32 v2, 0
	s_mov_b64 s[0:1], 0
	s_branch .LBB55_68
.LBB55_66:
	s_mov_b64 s[0:1], -1
                                        ; implicit-def: $vgpr1_vgpr2
	s_branch .LBB55_71
.LBB55_67:
	s_mov_b64 s[0:1], -1
                                        ; implicit-def: $vgpr1_vgpr2
.LBB55_68:
	s_andn2_b64 vcc, exec, s[0:1]
	s_cbranch_vccnz .LBB55_70
; %bb.69:
	global_load_ushort v1, v[4:5], off
	s_mov_b32 s0, 0
	s_waitcnt vmcnt(1)
	v_mov_b32_e32 v2, s0
	s_waitcnt vmcnt(0)
	v_and_b32_e32 v1, 0xffff, v1
.LBB55_70:
	s_mov_b64 s[0:1], 0
.LBB55_71:
	s_andn2_b64 vcc, exec, s[0:1]
	s_cbranch_vccnz .LBB55_79
; %bb.72:
	global_load_ubyte v6, v[4:5], off
	s_movk_i32 s0, 0x7f
	s_mov_b64 s[40:41], 0
	s_waitcnt vmcnt(0)
	v_cmp_lt_i16_e32 vcc, s0, v6
	s_and_saveexec_b64 s[0:1], vcc
	s_xor_b64 s[0:1], exec, s[0:1]
; %bb.73:
	s_movk_i32 s40, 0x80
	v_cmp_ne_u16_e32 vcc, s40, v6
	s_and_b64 s[40:41], vcc, exec
; %bb.74:
	s_andn2_saveexec_b64 s[0:1], s[0:1]
; %bb.75:
	v_cmp_ne_u16_e32 vcc, 0, v6
	s_andn2_b64 s[40:41], s[40:41], exec
	s_and_b64 s[48:49], vcc, exec
	s_or_b64 s[40:41], s[40:41], s[48:49]
; %bb.76:
	s_or_b64 exec, exec, s[0:1]
	v_mov_b32_e32 v1, 0
	v_mov_b32_e32 v2, 0
	s_and_saveexec_b64 s[0:1], s[40:41]
	s_cbranch_execz .LBB55_78
; %bb.77:
	v_and_b32_e32 v2, 0xffff, v6
	v_lshlrev_b32_e32 v1, 24, v6
	v_and_b32_e32 v6, 7, v2
	v_ffbh_u32_e32 v8, v6
	v_min_u32_e32 v8, 32, v8
	v_subrev_u32_e32 v9, 28, v8
	v_bfe_u32 v7, v2, 3, 4
	v_lshlrev_b32_e32 v2, v9, v2
	v_sub_u32_e32 v8, 29, v8
	v_and_b32_e32 v2, 7, v2
	v_cmp_eq_u32_e32 vcc, 0, v7
	v_cndmask_b32_e32 v7, v7, v8, vcc
	v_cndmask_b32_e32 v2, v6, v2, vcc
	v_mov_b32_e32 v6, 0x3b800000
	v_lshlrev_b32_e32 v2, 20, v2
	v_and_b32_e32 v1, 0x80000000, v1
	v_lshl_add_u32 v6, v7, 23, v6
	v_or3_b32 v1, v1, v6, v2
	v_trunc_f32_e32 v1, v1
	s_mov_b32 s40, 0x2f800000
	v_mul_f32_e64 v2, |v1|, s40
	v_floor_f32_e32 v2, v2
	s_mov_b32 s40, 0xcf800000
	v_fma_f32 v6, v2, s40, |v1|
	v_cvt_u32_f32_e32 v6, v6
	v_cvt_u32_f32_e32 v2, v2
	v_ashrrev_i32_e32 v7, 31, v1
	v_xor_b32_e32 v1, v6, v7
	v_xor_b32_e32 v2, v2, v7
	v_sub_co_u32_e32 v1, vcc, v1, v7
	v_subb_co_u32_e32 v2, vcc, v2, v7, vcc
.LBB55_78:
	s_or_b64 exec, exec, s[0:1]
.LBB55_79:
	s_mov_b64 s[0:1], -1
.LBB55_80:
	s_branch .LBB55_111
.LBB55_81:
	s_cmp_gt_i32 s42, 22
	s_cbranch_scc0 .LBB55_91
; %bb.82:
	s_cmp_lt_i32 s42, 24
	s_cbranch_scc1 .LBB55_92
; %bb.83:
	s_cmp_gt_i32 s42, 24
	s_cbranch_scc0 .LBB55_93
; %bb.84:
	global_load_ubyte v6, v[4:5], off
	s_movk_i32 s0, 0x7f
	s_mov_b64 s[40:41], 0
	s_waitcnt vmcnt(0)
	v_cmp_lt_i16_e32 vcc, s0, v6
	s_and_saveexec_b64 s[0:1], vcc
	s_xor_b64 s[0:1], exec, s[0:1]
; %bb.85:
	s_movk_i32 s40, 0x80
	v_cmp_ne_u16_e32 vcc, s40, v6
	s_and_b64 s[40:41], vcc, exec
; %bb.86:
	s_andn2_saveexec_b64 s[0:1], s[0:1]
; %bb.87:
	v_cmp_ne_u16_e32 vcc, 0, v6
	s_andn2_b64 s[40:41], s[40:41], exec
	s_and_b64 s[48:49], vcc, exec
	s_or_b64 s[40:41], s[40:41], s[48:49]
; %bb.88:
	s_or_b64 exec, exec, s[0:1]
	v_mov_b32_e32 v1, 0
	v_mov_b32_e32 v2, 0
	s_and_saveexec_b64 s[0:1], s[40:41]
	s_cbranch_execz .LBB55_90
; %bb.89:
	v_and_b32_e32 v2, 0xffff, v6
	v_lshlrev_b32_e32 v1, 24, v6
	v_and_b32_e32 v6, 3, v2
	v_ffbh_u32_e32 v8, v6
	v_min_u32_e32 v8, 32, v8
	v_subrev_u32_e32 v9, 29, v8
	v_bfe_u32 v7, v2, 2, 5
	v_lshlrev_b32_e32 v2, v9, v2
	v_sub_u32_e32 v8, 30, v8
	v_and_b32_e32 v2, 3, v2
	v_cmp_eq_u32_e32 vcc, 0, v7
	v_cndmask_b32_e32 v7, v7, v8, vcc
	v_cndmask_b32_e32 v2, v6, v2, vcc
	v_mov_b32_e32 v6, 0x37800000
	v_lshlrev_b32_e32 v2, 21, v2
	v_and_b32_e32 v1, 0x80000000, v1
	v_lshl_add_u32 v6, v7, 23, v6
	v_or3_b32 v1, v1, v6, v2
	v_trunc_f32_e32 v1, v1
	s_mov_b32 s40, 0x2f800000
	v_mul_f32_e64 v2, |v1|, s40
	v_floor_f32_e32 v2, v2
	s_mov_b32 s40, 0xcf800000
	v_fma_f32 v6, v2, s40, |v1|
	v_cvt_u32_f32_e32 v6, v6
	v_cvt_u32_f32_e32 v2, v2
	v_ashrrev_i32_e32 v7, 31, v1
	v_xor_b32_e32 v1, v6, v7
	v_xor_b32_e32 v2, v2, v7
	v_sub_co_u32_e32 v1, vcc, v1, v7
	v_subb_co_u32_e32 v2, vcc, v2, v7, vcc
.LBB55_90:
	s_or_b64 exec, exec, s[0:1]
	s_mov_b64 s[0:1], 0
	s_branch .LBB55_94
.LBB55_91:
	s_mov_b64 s[40:41], -1
                                        ; implicit-def: $vgpr1_vgpr2
	s_branch .LBB55_100
.LBB55_92:
	s_mov_b64 s[0:1], -1
                                        ; implicit-def: $vgpr1_vgpr2
	s_branch .LBB55_97
.LBB55_93:
	s_mov_b64 s[0:1], -1
                                        ; implicit-def: $vgpr1_vgpr2
.LBB55_94:
	s_and_b64 vcc, exec, s[0:1]
	s_cbranch_vccz .LBB55_96
; %bb.95:
	global_load_ubyte v1, v[4:5], off
	s_mov_b32 s0, 0x7f800000
	s_brev_b32 s1, 1
	s_mov_b32 s40, 0x2f800000
	s_mov_b32 s41, 0xcf800000
	s_waitcnt vmcnt(0)
	v_lshlrev_b32_e32 v1, 24, v1
	v_and_b32_e32 v2, 0x7f000000, v1
	v_ffbh_u32_e32 v6, v2
	v_min_u32_e32 v6, 32, v6
	v_sub_u32_e64 v6, v6, 4 clamp
	v_lshlrev_b32_e32 v8, v6, v2
	v_lshlrev_b32_e32 v6, 23, v6
	v_lshrrev_b32_e32 v8, 4, v8
	v_add_u32_e32 v7, 0x1000000, v2
	v_sub_u32_e32 v6, v8, v6
	v_ashrrev_i32_e32 v7, 8, v7
	v_add_u32_e32 v6, 0x3c000000, v6
	v_and_or_b32 v6, v7, s0, v6
	v_cmp_ne_u32_e32 vcc, 0, v2
	v_cndmask_b32_e32 v2, 0, v6, vcc
	v_and_or_b32 v1, v1, s1, v2
	v_trunc_f32_e32 v1, v1
	v_mul_f32_e64 v2, |v1|, s40
	v_floor_f32_e32 v2, v2
	v_fma_f32 v6, v2, s41, |v1|
	v_cvt_u32_f32_e32 v6, v6
	v_cvt_u32_f32_e32 v2, v2
	v_ashrrev_i32_e32 v7, 31, v1
	v_xor_b32_e32 v1, v6, v7
	v_xor_b32_e32 v2, v2, v7
	v_sub_co_u32_e32 v1, vcc, v1, v7
	v_subb_co_u32_e32 v2, vcc, v2, v7, vcc
.LBB55_96:
	s_mov_b64 s[0:1], 0
.LBB55_97:
	s_andn2_b64 vcc, exec, s[0:1]
	s_cbranch_vccnz .LBB55_99
; %bb.98:
	global_load_ubyte v1, v[4:5], off
	s_movk_i32 s0, 0x7f00
	s_brev_b32 s1, 16
	s_brev_b32 s40, 1
	s_mov_b32 s41, 0x2f800000
	s_mov_b32 s43, 0xcf800000
	s_waitcnt vmcnt(0)
	v_lshlrev_b16_e32 v2, 8, v1
	v_lshlrev_b32_e32 v1, 25, v1
	v_lshrrev_b32_e32 v6, 4, v1
	v_and_or_b32 v7, v2, s0, 0.5
	v_or_b32_e32 v6, 0x70000000, v6
	v_add_f32_e32 v7, -0.5, v7
	v_mul_f32_e32 v6, 0x7800000, v6
	v_cmp_gt_u32_e32 vcc, s1, v1
	v_bfe_i32 v2, v2, 0, 16
	v_cndmask_b32_e32 v1, v6, v7, vcc
	v_and_or_b32 v1, v2, s40, v1
	v_trunc_f32_e32 v1, v1
	v_mul_f32_e64 v2, |v1|, s41
	v_floor_f32_e32 v2, v2
	v_fma_f32 v6, v2, s43, |v1|
	v_cvt_u32_f32_e32 v6, v6
	v_cvt_u32_f32_e32 v2, v2
	v_ashrrev_i32_e32 v7, 31, v1
	v_xor_b32_e32 v1, v6, v7
	v_xor_b32_e32 v2, v2, v7
	v_sub_co_u32_e32 v1, vcc, v1, v7
	v_subb_co_u32_e32 v2, vcc, v2, v7, vcc
.LBB55_99:
	s_mov_b64 s[40:41], 0
	s_mov_b64 s[0:1], -1
.LBB55_100:
	s_andn2_b64 vcc, exec, s[40:41]
	s_cbranch_vccnz .LBB55_111
; %bb.101:
	s_cmp_gt_i32 s42, 14
	s_cbranch_scc0 .LBB55_104
; %bb.102:
	s_cmp_eq_u32 s42, 15
	s_cbranch_scc0 .LBB55_105
; %bb.103:
	global_load_ushort v1, v[4:5], off
	s_mov_b32 s0, 0x2f800000
	s_mov_b32 s1, 0xcf800000
	s_mov_b64 s[44:45], 0
	s_waitcnt vmcnt(0)
	v_lshlrev_b32_e32 v1, 16, v1
	v_trunc_f32_e32 v1, v1
	v_mul_f32_e64 v2, |v1|, s0
	v_floor_f32_e32 v2, v2
	v_fma_f32 v6, v2, s1, |v1|
	v_cvt_u32_f32_e32 v6, v6
	v_cvt_u32_f32_e32 v2, v2
	v_ashrrev_i32_e32 v7, 31, v1
	s_mov_b64 s[0:1], -1
	v_xor_b32_e32 v1, v6, v7
	v_xor_b32_e32 v2, v2, v7
	v_sub_co_u32_e32 v1, vcc, v1, v7
	v_subb_co_u32_e32 v2, vcc, v2, v7, vcc
	s_branch .LBB55_106
.LBB55_104:
	s_mov_b64 s[40:41], -1
                                        ; implicit-def: $vgpr1_vgpr2
	s_branch .LBB55_107
.LBB55_105:
	s_mov_b64 s[44:45], -1
                                        ; implicit-def: $vgpr1_vgpr2
.LBB55_106:
	s_mov_b64 s[40:41], 0
.LBB55_107:
	s_and_b64 vcc, exec, s[40:41]
	s_cbranch_vccz .LBB55_111
; %bb.108:
	s_cmp_eq_u32 s42, 11
	s_cbranch_scc0 .LBB55_110
; %bb.109:
	global_load_ubyte v1, v[4:5], off
	s_mov_b32 s40, 0
	s_mov_b64 s[0:1], -1
	s_waitcnt vmcnt(1)
	v_mov_b32_e32 v2, s40
	s_mov_b64 s[44:45], 0
	s_waitcnt vmcnt(0)
	v_cmp_ne_u16_e32 vcc, 0, v1
	v_cndmask_b32_e64 v1, 0, 1, vcc
	s_branch .LBB55_111
.LBB55_110:
	s_mov_b64 s[44:45], -1
                                        ; implicit-def: $vgpr1_vgpr2
.LBB55_111:
	s_branch .LBB55_21
.LBB55_112:
	s_and_b32 s14, 0xffff, s14
	s_cmp_lt_i32 s14, 5
	s_cbranch_scc1 .LBB55_117
; %bb.113:
	s_cmp_lt_i32 s14, 8
	s_cbranch_scc1 .LBB55_118
; %bb.114:
	;; [unrolled: 3-line block ×3, first 2 shown]
	s_cmp_gt_i32 s14, 9
	s_cbranch_scc0 .LBB55_120
; %bb.116:
	global_load_dwordx2 v[1:2], v[4:5], off
	s_movk_i32 s0, 0xffe0
	s_waitcnt vmcnt(0)
	v_trunc_f64_e32 v[1:2], v[1:2]
	v_ldexp_f64 v[6:7], v[1:2], s0
	s_mov_b32 s0, 0
	s_mov_b32 s1, 0xc1f00000
	v_floor_f64_e32 v[6:7], v[6:7]
	v_fma_f64 v[8:9], v[6:7], s[0:1], v[1:2]
	v_cvt_i32_f64_e32 v2, v[6:7]
	s_mov_b64 s[0:1], 0
	v_cvt_u32_f64_e32 v1, v[8:9]
	s_branch .LBB55_121
.LBB55_117:
                                        ; implicit-def: $vgpr1_vgpr2
	s_branch .LBB55_139
.LBB55_118:
	s_mov_b64 s[0:1], -1
                                        ; implicit-def: $vgpr1_vgpr2
	s_branch .LBB55_127
.LBB55_119:
	s_mov_b64 s[0:1], -1
                                        ; implicit-def: $vgpr1_vgpr2
	s_branch .LBB55_124
.LBB55_120:
	s_mov_b64 s[0:1], -1
                                        ; implicit-def: $vgpr1_vgpr2
.LBB55_121:
	s_andn2_b64 vcc, exec, s[0:1]
	s_cbranch_vccnz .LBB55_123
; %bb.122:
	global_load_dword v1, v[4:5], off
	s_mov_b32 s0, 0x2f800000
	s_mov_b32 s1, 0xcf800000
	s_waitcnt vmcnt(0)
	v_trunc_f32_e32 v1, v1
	v_mul_f32_e64 v2, |v1|, s0
	v_floor_f32_e32 v2, v2
	v_cvt_u32_f32_e32 v6, v2
	v_fma_f32 v2, v2, s1, |v1|
	v_cvt_u32_f32_e32 v2, v2
	v_ashrrev_i32_e32 v7, 31, v1
	v_xor_b32_e32 v6, v6, v7
	v_xor_b32_e32 v1, v2, v7
	v_sub_co_u32_e32 v1, vcc, v1, v7
	v_subb_co_u32_e32 v2, vcc, v6, v7, vcc
.LBB55_123:
	s_mov_b64 s[0:1], 0
.LBB55_124:
	s_andn2_b64 vcc, exec, s[0:1]
	s_cbranch_vccnz .LBB55_126
; %bb.125:
	global_load_dword v1, v[4:5], off
	s_waitcnt vmcnt(0)
	v_cvt_f32_f16_e32 v1, v1
	v_cvt_i32_f32_e32 v1, v1
	v_ashrrev_i32_e32 v2, 31, v1
.LBB55_126:
	s_mov_b64 s[0:1], 0
.LBB55_127:
	s_andn2_b64 vcc, exec, s[0:1]
	s_cbranch_vccnz .LBB55_138
; %bb.128:
	s_cmp_lt_i32 s14, 6
	s_cbranch_scc1 .LBB55_131
; %bb.129:
	s_cmp_gt_i32 s14, 6
	s_cbranch_scc0 .LBB55_132
; %bb.130:
	global_load_dwordx2 v[1:2], v[4:5], off
	s_movk_i32 s0, 0xffe0
	s_waitcnt vmcnt(0)
	v_trunc_f64_e32 v[1:2], v[1:2]
	v_ldexp_f64 v[6:7], v[1:2], s0
	s_mov_b32 s0, 0
	s_mov_b32 s1, 0xc1f00000
	v_floor_f64_e32 v[6:7], v[6:7]
	v_fma_f64 v[8:9], v[6:7], s[0:1], v[1:2]
	v_cvt_i32_f64_e32 v2, v[6:7]
	s_mov_b64 s[0:1], 0
	v_cvt_u32_f64_e32 v1, v[8:9]
	s_branch .LBB55_133
.LBB55_131:
	s_mov_b64 s[0:1], -1
                                        ; implicit-def: $vgpr1_vgpr2
	s_branch .LBB55_136
.LBB55_132:
	s_mov_b64 s[0:1], -1
                                        ; implicit-def: $vgpr1_vgpr2
.LBB55_133:
	s_andn2_b64 vcc, exec, s[0:1]
	s_cbranch_vccnz .LBB55_135
; %bb.134:
	global_load_dword v1, v[4:5], off
	s_mov_b32 s0, 0x2f800000
	s_mov_b32 s1, 0xcf800000
	s_waitcnt vmcnt(0)
	v_trunc_f32_e32 v1, v1
	v_mul_f32_e64 v2, |v1|, s0
	v_floor_f32_e32 v2, v2
	v_cvt_u32_f32_e32 v6, v2
	v_fma_f32 v2, v2, s1, |v1|
	v_cvt_u32_f32_e32 v2, v2
	v_ashrrev_i32_e32 v7, 31, v1
	v_xor_b32_e32 v6, v6, v7
	v_xor_b32_e32 v1, v2, v7
	v_sub_co_u32_e32 v1, vcc, v1, v7
	v_subb_co_u32_e32 v2, vcc, v6, v7, vcc
.LBB55_135:
	s_mov_b64 s[0:1], 0
.LBB55_136:
	s_andn2_b64 vcc, exec, s[0:1]
	s_cbranch_vccnz .LBB55_138
; %bb.137:
	global_load_ushort v1, v[4:5], off
	s_waitcnt vmcnt(0)
	v_cvt_f32_f16_e32 v1, v1
	v_cvt_i32_f32_e32 v1, v1
	v_ashrrev_i32_e32 v2, 31, v1
.LBB55_138:
	s_cbranch_execnz .LBB55_158
.LBB55_139:
	s_cmp_lt_i32 s14, 2
	s_cbranch_scc1 .LBB55_143
; %bb.140:
	s_cmp_lt_i32 s14, 3
	s_cbranch_scc1 .LBB55_144
; %bb.141:
	s_cmp_gt_i32 s14, 3
	s_cbranch_scc0 .LBB55_145
; %bb.142:
	global_load_dwordx2 v[1:2], v[4:5], off
	s_mov_b64 s[0:1], 0
	s_branch .LBB55_146
.LBB55_143:
	s_mov_b64 s[0:1], -1
                                        ; implicit-def: $vgpr1_vgpr2
	s_branch .LBB55_152
.LBB55_144:
	s_mov_b64 s[0:1], -1
                                        ; implicit-def: $vgpr1_vgpr2
	s_branch .LBB55_149
.LBB55_145:
	s_mov_b64 s[0:1], -1
                                        ; implicit-def: $vgpr1_vgpr2
.LBB55_146:
	s_andn2_b64 vcc, exec, s[0:1]
	s_cbranch_vccnz .LBB55_148
; %bb.147:
	global_load_dword v1, v[4:5], off
	s_waitcnt vmcnt(0)
	v_ashrrev_i32_e32 v2, 31, v1
.LBB55_148:
	s_mov_b64 s[0:1], 0
.LBB55_149:
	s_andn2_b64 vcc, exec, s[0:1]
	s_cbranch_vccnz .LBB55_151
; %bb.150:
	global_load_ushort v1, v[4:5], off
	s_waitcnt vmcnt(0)
	v_bfe_i32 v1, v1, 0, 16
	v_ashrrev_i32_e32 v2, 31, v1
.LBB55_151:
	s_mov_b64 s[0:1], 0
.LBB55_152:
	s_andn2_b64 vcc, exec, s[0:1]
	s_cbranch_vccnz .LBB55_158
; %bb.153:
	s_cmp_gt_i32 s14, 0
	s_cbranch_scc0 .LBB55_155
; %bb.154:
	global_load_sbyte v1, v[4:5], off
	s_mov_b64 s[0:1], 0
	s_waitcnt vmcnt(0)
	v_bfe_i32 v1, v1, 0, 16
	v_ashrrev_i32_e32 v2, 31, v1
	s_branch .LBB55_156
.LBB55_155:
	s_mov_b64 s[0:1], -1
                                        ; implicit-def: $vgpr1_vgpr2
.LBB55_156:
	s_andn2_b64 vcc, exec, s[0:1]
	s_cbranch_vccnz .LBB55_158
; %bb.157:
	global_load_ubyte v1, v[4:5], off
	s_mov_b32 s0, 0
	s_waitcnt vmcnt(1)
	v_mov_b32_e32 v2, s0
	s_waitcnt vmcnt(0)
	v_and_b32_e32 v1, 0xffff, v1
.LBB55_158:
	s_branch .LBB55_22
.LBB55_159:
	s_mov_b64 s[0:1], 0
	s_mov_b64 s[42:43], 0
	s_branch .LBB55_384
.LBB55_160:
	s_mov_b64 s[42:43], -1
.LBB55_161:
	s_mov_b64 s[0:1], 0
                                        ; implicit-def: $vgpr5_vgpr6
.LBB55_162:
	s_and_b64 vcc, exec, s[40:41]
	s_cbranch_vccz .LBB55_278
; %bb.163:
	s_cmp_eq_u32 s48, 44
	s_cbranch_scc0 .LBB55_277
; %bb.164:
	global_load_ubyte v5, v[3:4], off
	s_mov_b32 s0, 0x2f800000
	s_mov_b32 s1, 0xcf800000
	s_mov_b64 s[42:43], 0
	s_waitcnt vmcnt(0)
	v_lshlrev_b32_e32 v6, 23, v5
	v_trunc_f32_e32 v6, v6
	v_mul_f32_e64 v7, |v6|, s0
	v_floor_f32_e32 v7, v7
	v_fma_f32 v8, v7, s1, |v6|
	v_cvt_u32_f32_e32 v8, v8
	v_cvt_u32_f32_e32 v7, v7
	v_ashrrev_i32_e32 v6, 31, v6
	s_mov_b64 s[0:1], -1
	v_xor_b32_e32 v8, v8, v6
	v_xor_b32_e32 v7, v7, v6
	v_sub_co_u32_e32 v8, vcc, v8, v6
	v_subb_co_u32_e32 v6, vcc, v7, v6, vcc
	v_cmp_ne_u32_e32 vcc, 0, v5
	v_cndmask_b32_e32 v6, 0, v6, vcc
	v_cndmask_b32_e32 v5, 0, v8, vcc
	s_branch .LBB55_278
.LBB55_165:
	s_mov_b64 s[52:53], -1
	s_mov_b64 s[0:1], 0
	s_mov_b64 s[48:49], 0
.LBB55_166:
	s_and_b64 vcc, exec, s[52:53]
	s_cbranch_vccz .LBB55_171
; %bb.167:
	s_cmp_eq_u32 s56, 44
	s_mov_b64 s[0:1], -1
	s_cbranch_scc0 .LBB55_171
; %bb.168:
	v_cndmask_b32_e64 v3, 0, 1.0, s[40:41]
	v_lshrrev_b32_e32 v2, 23, v3
	s_movk_i32 s0, 0xff
	v_cmp_ne_u32_e32 vcc, s0, v2
	v_mov_b32_e32 v4, 0xff
	s_and_saveexec_b64 s[48:49], vcc
; %bb.169:
	s_mov_b32 s0, 0x3fffff
	v_and_b32_e32 v4, 0x400000, v3
	v_and_or_b32 v3, v3, s0, v2
	v_cmp_ne_u32_e32 vcc, 0, v4
	v_cmp_ne_u32_e64 s[0:1], 0, v3
	s_and_b64 s[0:1], vcc, s[0:1]
	v_cndmask_b32_e64 v3, 0, 1, s[0:1]
	v_add_u32_e32 v4, v2, v3
; %bb.170:
	s_or_b64 exec, exec, s[48:49]
	s_mov_b64 s[48:49], -1
	s_mov_b64 s[0:1], 0
	global_store_byte v[0:1], v4, off
.LBB55_171:
	s_mov_b64 s[52:53], 0
.LBB55_172:
	s_and_b64 vcc, exec, s[52:53]
	s_cbranch_vccz .LBB55_175
; %bb.173:
	s_cmp_eq_u32 s56, 29
	s_mov_b64 s[0:1], -1
	s_cbranch_scc0 .LBB55_175
; %bb.174:
	s_mov_b32 s0, 0
	v_cndmask_b32_e64 v2, 0, 1, s[40:41]
	v_mov_b32_e32 v3, s0
	global_store_dwordx2 v[0:1], v[2:3], off
	s_mov_b64 s[48:49], -1
	s_mov_b64 s[0:1], 0
.LBB55_175:
	s_mov_b64 s[52:53], 0
.LBB55_176:
	s_and_b64 vcc, exec, s[52:53]
	s_cbranch_vccz .LBB55_192
; %bb.177:
	s_cmp_lt_i32 s56, 27
	s_mov_b64 s[48:49], -1
	s_cbranch_scc1 .LBB55_183
; %bb.178:
	s_cmp_gt_i32 s56, 27
	s_cbranch_scc0 .LBB55_180
; %bb.179:
	v_cndmask_b32_e64 v2, 0, 1, s[40:41]
	s_mov_b64 s[48:49], 0
	global_store_dword v[0:1], v2, off
.LBB55_180:
	s_andn2_b64 vcc, exec, s[48:49]
	s_cbranch_vccnz .LBB55_182
; %bb.181:
	v_cndmask_b32_e64 v2, 0, 1, s[40:41]
	global_store_short v[0:1], v2, off
.LBB55_182:
	s_mov_b64 s[48:49], 0
.LBB55_183:
	s_andn2_b64 vcc, exec, s[48:49]
	s_cbranch_vccnz .LBB55_191
; %bb.184:
	v_cndmask_b32_e64 v3, 0, 1.0, s[40:41]
	s_mov_b32 s48, 0x43800000
	v_cmp_gt_u32_e32 vcc, s48, v3
	v_mov_b32_e32 v4, 0x80
	s_and_saveexec_b64 s[48:49], vcc
	s_cbranch_execz .LBB55_190
; %bb.185:
	s_mov_b32 s52, 0x3bffffff
	v_cmp_lt_u32_e32 vcc, s52, v3
	s_mov_b64 s[52:53], 0
                                        ; implicit-def: $vgpr2
	s_and_saveexec_b64 s[54:55], vcc
	s_xor_b64 s[54:55], exec, s[54:55]
	s_cbranch_execz .LBB55_426
; %bb.186:
	v_bfe_u32 v2, v3, 20, 1
	s_mov_b32 s57, 0x487ffff
	v_add3_u32 v2, v3, v2, s57
	s_mov_b64 s[52:53], exec
	v_lshrrev_b32_e32 v2, 20, v2
                                        ; implicit-def: $vgpr3
	s_andn2_saveexec_b64 s[54:55], s[54:55]
	s_cbranch_execnz .LBB55_427
.LBB55_187:
	s_or_b64 exec, exec, s[54:55]
	v_mov_b32_e32 v4, 0
	s_and_saveexec_b64 s[54:55], s[52:53]
.LBB55_188:
	v_mov_b32_e32 v4, v2
.LBB55_189:
	s_or_b64 exec, exec, s[54:55]
.LBB55_190:
	s_or_b64 exec, exec, s[48:49]
	global_store_byte v[0:1], v4, off
.LBB55_191:
	s_mov_b64 s[48:49], -1
.LBB55_192:
	s_mov_b64 s[52:53], 0
.LBB55_193:
	s_and_b64 vcc, exec, s[52:53]
	s_cbranch_vccz .LBB55_234
; %bb.194:
	s_cmp_gt_i32 s56, 22
	s_mov_b64 s[52:53], -1
	s_cbranch_scc0 .LBB55_226
; %bb.195:
	s_cmp_lt_i32 s56, 24
	s_mov_b64 s[48:49], -1
	s_cbranch_scc1 .LBB55_215
; %bb.196:
	s_cmp_gt_i32 s56, 24
	s_cbranch_scc0 .LBB55_204
; %bb.197:
	v_cndmask_b32_e64 v3, 0, 1.0, s[40:41]
	s_mov_b32 s48, 0x47800000
	v_cmp_gt_u32_e32 vcc, s48, v3
	v_mov_b32_e32 v4, 0x80
	s_and_saveexec_b64 s[48:49], vcc
	s_cbranch_execz .LBB55_203
; %bb.198:
	s_mov_b32 s52, 0x37ffffff
	v_cmp_lt_u32_e32 vcc, s52, v3
	s_mov_b64 s[52:53], 0
                                        ; implicit-def: $vgpr2
	s_and_saveexec_b64 s[54:55], vcc
	s_xor_b64 s[54:55], exec, s[54:55]
	s_cbranch_execz .LBB55_541
; %bb.199:
	v_bfe_u32 v2, v3, 21, 1
	s_mov_b32 s57, 0x88fffff
	v_add3_u32 v2, v3, v2, s57
	s_mov_b64 s[52:53], exec
	v_lshrrev_b32_e32 v2, 21, v2
                                        ; implicit-def: $vgpr3
	s_andn2_saveexec_b64 s[54:55], s[54:55]
	s_cbranch_execnz .LBB55_542
.LBB55_200:
	s_or_b64 exec, exec, s[54:55]
	v_mov_b32_e32 v4, 0
	s_and_saveexec_b64 s[54:55], s[52:53]
.LBB55_201:
	v_mov_b32_e32 v4, v2
.LBB55_202:
	s_or_b64 exec, exec, s[54:55]
.LBB55_203:
	s_or_b64 exec, exec, s[48:49]
	s_mov_b64 s[48:49], 0
	global_store_byte v[0:1], v4, off
.LBB55_204:
	s_and_b64 vcc, exec, s[48:49]
	s_cbranch_vccz .LBB55_214
; %bb.205:
	v_cndmask_b32_e64 v2, 0, 1.0, s[40:41]
	s_mov_b32 s48, 0x43f00000
	v_cmp_gt_u32_e32 vcc, s48, v2
                                        ; implicit-def: $vgpr3
	s_and_saveexec_b64 s[48:49], vcc
	s_xor_b64 s[48:49], exec, s[48:49]
	s_cbranch_execz .LBB55_211
; %bb.206:
	s_mov_b32 s52, 0x3c7fffff
	v_cmp_lt_u32_e32 vcc, s52, v2
                                        ; implicit-def: $vgpr3
	s_and_saveexec_b64 s[52:53], vcc
	s_xor_b64 s[52:53], exec, s[52:53]
; %bb.207:
	v_bfe_u32 v3, v2, 20, 1
	s_mov_b32 s54, 0x407ffff
	v_add3_u32 v2, v2, v3, s54
	v_lshrrev_b32_e32 v3, 20, v2
	v_and_b32_e32 v2, 0xff00000, v2
	s_mov_b32 s54, 0x7f00000
	v_mov_b32_e32 v4, 0x7e
	v_cmp_ne_u32_e32 vcc, s54, v2
	v_cndmask_b32_e32 v3, v4, v3, vcc
                                        ; implicit-def: $vgpr2
; %bb.208:
	s_andn2_saveexec_b64 s[52:53], s[52:53]
; %bb.209:
	v_add_f32_e32 v3, 0x46800000, v2
; %bb.210:
	s_or_b64 exec, exec, s[52:53]
                                        ; implicit-def: $vgpr2
.LBB55_211:
	s_andn2_saveexec_b64 s[48:49], s[48:49]
; %bb.212:
	s_mov_b32 s52, 0x7f800000
	v_mov_b32_e32 v3, 0x7e
	v_mov_b32_e32 v4, 0x7f
	v_cmp_lt_u32_e32 vcc, s52, v2
	v_cndmask_b32_e32 v3, v3, v4, vcc
; %bb.213:
	s_or_b64 exec, exec, s[48:49]
	global_store_byte v[0:1], v3, off
.LBB55_214:
	s_mov_b64 s[48:49], 0
.LBB55_215:
	s_andn2_b64 vcc, exec, s[48:49]
	s_cbranch_vccnz .LBB55_225
; %bb.216:
	v_cndmask_b32_e64 v2, 0, 1.0, s[40:41]
	s_mov_b32 s48, 0x47800000
	v_cmp_gt_u32_e32 vcc, s48, v2
                                        ; implicit-def: $vgpr3
	s_and_saveexec_b64 s[48:49], vcc
	s_xor_b64 s[48:49], exec, s[48:49]
	s_cbranch_execz .LBB55_222
; %bb.217:
	s_mov_b32 s52, 0x387fffff
	v_cmp_lt_u32_e32 vcc, s52, v2
                                        ; implicit-def: $vgpr3
	s_and_saveexec_b64 s[52:53], vcc
	s_xor_b64 s[52:53], exec, s[52:53]
; %bb.218:
	v_bfe_u32 v3, v2, 21, 1
	s_mov_b32 s54, 0x80fffff
	v_add3_u32 v2, v2, v3, s54
	v_lshrrev_b32_e32 v3, 21, v2
                                        ; implicit-def: $vgpr2
; %bb.219:
	s_andn2_saveexec_b64 s[52:53], s[52:53]
; %bb.220:
	v_add_f32_e32 v3, 0x43000000, v2
; %bb.221:
	s_or_b64 exec, exec, s[52:53]
                                        ; implicit-def: $vgpr2
.LBB55_222:
	s_andn2_saveexec_b64 s[48:49], s[48:49]
; %bb.223:
	s_mov_b32 s52, 0x7f800000
	v_mov_b32_e32 v3, 0x7c
	v_mov_b32_e32 v4, 0x7f
	v_cmp_lt_u32_e32 vcc, s52, v2
	v_cndmask_b32_e32 v3, v3, v4, vcc
; %bb.224:
	s_or_b64 exec, exec, s[48:49]
	global_store_byte v[0:1], v3, off
.LBB55_225:
	s_mov_b64 s[52:53], 0
	s_mov_b64 s[48:49], -1
.LBB55_226:
	s_andn2_b64 vcc, exec, s[52:53]
	s_cbranch_vccnz .LBB55_234
; %bb.227:
	s_cmp_gt_i32 s56, 14
	s_mov_b64 s[52:53], -1
	s_cbranch_scc0 .LBB55_231
; %bb.228:
	s_cmp_eq_u32 s56, 15
	s_mov_b64 s[0:1], -1
	s_cbranch_scc0 .LBB55_230
; %bb.229:
	v_cndmask_b32_e64 v2, 0, 1.0, s[40:41]
	v_bfe_u32 v3, v2, 16, 1
	s_movk_i32 s0, 0x7fff
	v_add3_u32 v2, v2, v3, s0
	global_store_short_d16_hi v[0:1], v2, off
	s_mov_b64 s[48:49], -1
	s_mov_b64 s[0:1], 0
.LBB55_230:
	s_mov_b64 s[52:53], 0
.LBB55_231:
	s_and_b64 vcc, exec, s[52:53]
	s_cbranch_vccz .LBB55_234
; %bb.232:
	s_cmp_eq_u32 s56, 11
	s_mov_b64 s[0:1], -1
	s_cbranch_scc0 .LBB55_234
; %bb.233:
	v_cndmask_b32_e64 v2, 0, 1, s[40:41]
	s_mov_b64 s[48:49], -1
	s_mov_b64 s[0:1], 0
	global_store_byte v[0:1], v2, off
.LBB55_234:
	s_mov_b64 s[52:53], 0
.LBB55_235:
	s_and_b64 vcc, exec, s[52:53]
	s_cbranch_vccz .LBB55_274
; %bb.236:
	s_and_b32 s14, 0xffff, s14
	s_cmp_lt_i32 s14, 5
	s_mov_b64 s[48:49], -1
	s_cbranch_scc1 .LBB55_257
; %bb.237:
	s_cmp_lt_i32 s14, 8
	s_cbranch_scc1 .LBB55_247
; %bb.238:
	s_cmp_lt_i32 s14, 9
	s_cbranch_scc1 .LBB55_244
; %bb.239:
	s_cmp_gt_i32 s14, 9
	s_cbranch_scc0 .LBB55_241
; %bb.240:
	v_cndmask_b32_e64 v2, 0, 1, s[40:41]
	v_cvt_f64_u32_e32 v[2:3], v2
	v_mov_b32_e32 v4, 0
	v_mov_b32_e32 v5, v4
	s_mov_b64 s[48:49], 0
	global_store_dwordx4 v[0:1], v[2:5], off
.LBB55_241:
	s_andn2_b64 vcc, exec, s[48:49]
	s_cbranch_vccnz .LBB55_243
; %bb.242:
	v_cndmask_b32_e64 v2, 0, 1.0, s[40:41]
	v_mov_b32_e32 v3, 0
	global_store_dwordx2 v[0:1], v[2:3], off
.LBB55_243:
	s_mov_b64 s[48:49], 0
.LBB55_244:
	s_andn2_b64 vcc, exec, s[48:49]
	s_cbranch_vccnz .LBB55_246
; %bb.245:
	v_cndmask_b32_e64 v2, 0, 1.0, s[40:41]
	v_cvt_f16_f32_e32 v2, v2
	global_store_dword v[0:1], v2, off
.LBB55_246:
	s_mov_b64 s[48:49], 0
.LBB55_247:
	s_andn2_b64 vcc, exec, s[48:49]
	s_cbranch_vccnz .LBB55_256
; %bb.248:
	s_cmp_lt_i32 s14, 6
	s_mov_b64 s[48:49], -1
	s_cbranch_scc1 .LBB55_254
; %bb.249:
	s_cmp_gt_i32 s14, 6
	s_cbranch_scc0 .LBB55_251
; %bb.250:
	v_cndmask_b32_e64 v2, 0, 1, s[40:41]
	v_cvt_f64_u32_e32 v[2:3], v2
	s_mov_b64 s[48:49], 0
	global_store_dwordx2 v[0:1], v[2:3], off
.LBB55_251:
	s_andn2_b64 vcc, exec, s[48:49]
	s_cbranch_vccnz .LBB55_253
; %bb.252:
	v_cndmask_b32_e64 v2, 0, 1.0, s[40:41]
	global_store_dword v[0:1], v2, off
.LBB55_253:
	s_mov_b64 s[48:49], 0
.LBB55_254:
	s_andn2_b64 vcc, exec, s[48:49]
	s_cbranch_vccnz .LBB55_256
; %bb.255:
	v_cndmask_b32_e64 v2, 0, 1.0, s[40:41]
	v_cvt_f16_f32_e32 v2, v2
	global_store_short v[0:1], v2, off
.LBB55_256:
	s_mov_b64 s[48:49], 0
.LBB55_257:
	s_andn2_b64 vcc, exec, s[48:49]
	s_cbranch_vccnz .LBB55_273
; %bb.258:
	s_cmp_lt_i32 s14, 2
	s_mov_b64 s[48:49], -1
	s_cbranch_scc1 .LBB55_268
; %bb.259:
	s_cmp_lt_i32 s14, 3
	s_cbranch_scc1 .LBB55_265
; %bb.260:
	s_cmp_gt_i32 s14, 3
	s_cbranch_scc0 .LBB55_262
; %bb.261:
	s_mov_b32 s48, 0
	v_cndmask_b32_e64 v2, 0, 1, s[40:41]
	v_mov_b32_e32 v3, s48
	global_store_dwordx2 v[0:1], v[2:3], off
	s_mov_b64 s[48:49], 0
.LBB55_262:
	s_andn2_b64 vcc, exec, s[48:49]
	s_cbranch_vccnz .LBB55_264
; %bb.263:
	v_cndmask_b32_e64 v2, 0, 1, s[40:41]
	global_store_dword v[0:1], v2, off
.LBB55_264:
	s_mov_b64 s[48:49], 0
.LBB55_265:
	s_andn2_b64 vcc, exec, s[48:49]
	s_cbranch_vccnz .LBB55_267
; %bb.266:
	v_cndmask_b32_e64 v2, 0, 1, s[40:41]
	global_store_short v[0:1], v2, off
.LBB55_267:
	s_mov_b64 s[48:49], 0
.LBB55_268:
	s_andn2_b64 vcc, exec, s[48:49]
	s_cbranch_vccnz .LBB55_273
; %bb.269:
	s_cmp_gt_i32 s14, 0
	s_mov_b64 s[48:49], -1
	s_cbranch_scc0 .LBB55_271
; %bb.270:
	v_cndmask_b32_e64 v2, 0, 1, s[40:41]
	global_store_byte v[0:1], v2, off
	s_mov_b64 s[48:49], 0
.LBB55_271:
	s_andn2_b64 vcc, exec, s[48:49]
	s_cbranch_vccnz .LBB55_273
; %bb.272:
	v_cndmask_b32_e64 v2, 0, 1, s[40:41]
	global_store_byte v[0:1], v2, off
.LBB55_273:
	s_mov_b64 s[48:49], -1
.LBB55_274:
	s_andn2_b64 vcc, exec, s[48:49]
	s_cbranch_vccnz .LBB55_276
; %bb.275:
	v_add_u32_e32 v10, 0x80, v10
	s_mov_b64 s[48:49], -1
	s_branch .LBB55_385
.LBB55_276:
	s_mov_b64 s[48:49], 0
                                        ; implicit-def: $vgpr10
	s_branch .LBB55_385
.LBB55_277:
	s_mov_b64 s[42:43], -1
                                        ; implicit-def: $vgpr5_vgpr6
.LBB55_278:
	s_mov_b64 s[40:41], 0
.LBB55_279:
	s_and_b64 vcc, exec, s[40:41]
	s_cbranch_vccz .LBB55_283
; %bb.280:
	s_cmp_eq_u32 s48, 29
	s_cbranch_scc0 .LBB55_282
; %bb.281:
	global_load_dwordx2 v[5:6], v[3:4], off
	s_mov_b64 s[0:1], -1
	s_mov_b64 s[42:43], 0
	s_branch .LBB55_283
.LBB55_282:
	s_mov_b64 s[42:43], -1
                                        ; implicit-def: $vgpr5_vgpr6
.LBB55_283:
	s_mov_b64 s[40:41], 0
.LBB55_284:
	s_and_b64 vcc, exec, s[40:41]
	s_cbranch_vccz .LBB55_302
; %bb.285:
	s_cmp_lt_i32 s48, 27
	s_cbranch_scc1 .LBB55_288
; %bb.286:
	s_cmp_gt_i32 s48, 27
	s_cbranch_scc0 .LBB55_289
; %bb.287:
	global_load_dword v5, v[3:4], off
	s_waitcnt vmcnt(1)
	v_mov_b32_e32 v6, 0
	s_mov_b64 s[0:1], 0
	s_branch .LBB55_290
.LBB55_288:
	s_mov_b64 s[0:1], -1
                                        ; implicit-def: $vgpr5_vgpr6
	s_branch .LBB55_293
.LBB55_289:
	s_mov_b64 s[0:1], -1
                                        ; implicit-def: $vgpr5_vgpr6
.LBB55_290:
	s_andn2_b64 vcc, exec, s[0:1]
	s_cbranch_vccnz .LBB55_292
; %bb.291:
	global_load_ushort v5, v[3:4], off
	s_mov_b32 s0, 0
	s_waitcnt vmcnt(1)
	v_mov_b32_e32 v6, s0
	s_waitcnt vmcnt(0)
	v_and_b32_e32 v5, 0xffff, v5
.LBB55_292:
	s_mov_b64 s[0:1], 0
.LBB55_293:
	s_andn2_b64 vcc, exec, s[0:1]
	s_cbranch_vccnz .LBB55_301
; %bb.294:
	global_load_ubyte v7, v[3:4], off
	s_movk_i32 s0, 0x7f
	s_mov_b64 s[40:41], 0
	s_waitcnt vmcnt(0)
	v_cmp_lt_i16_e32 vcc, s0, v7
	s_and_saveexec_b64 s[0:1], vcc
	s_xor_b64 s[0:1], exec, s[0:1]
; %bb.295:
	s_movk_i32 s40, 0x80
	v_cmp_ne_u16_e32 vcc, s40, v7
	s_and_b64 s[40:41], vcc, exec
; %bb.296:
	s_andn2_saveexec_b64 s[0:1], s[0:1]
; %bb.297:
	v_cmp_ne_u16_e32 vcc, 0, v7
	s_andn2_b64 s[40:41], s[40:41], exec
	s_and_b64 s[52:53], vcc, exec
	s_or_b64 s[40:41], s[40:41], s[52:53]
; %bb.298:
	s_or_b64 exec, exec, s[0:1]
	v_mov_b32_e32 v5, 0
	v_mov_b32_e32 v6, 0
	s_and_saveexec_b64 s[0:1], s[40:41]
	s_cbranch_execz .LBB55_300
; %bb.299:
	v_and_b32_e32 v6, 0xffff, v7
	v_lshlrev_b32_e32 v5, 24, v7
	v_and_b32_e32 v7, 7, v6
	v_ffbh_u32_e32 v9, v7
	v_min_u32_e32 v9, 32, v9
	v_subrev_u32_e32 v11, 28, v9
	v_bfe_u32 v8, v6, 3, 4
	v_lshlrev_b32_e32 v6, v11, v6
	v_sub_u32_e32 v9, 29, v9
	v_and_b32_e32 v6, 7, v6
	v_cmp_eq_u32_e32 vcc, 0, v8
	v_cndmask_b32_e32 v8, v8, v9, vcc
	v_cndmask_b32_e32 v6, v7, v6, vcc
	v_mov_b32_e32 v7, 0x3b800000
	v_lshlrev_b32_e32 v6, 20, v6
	v_and_b32_e32 v5, 0x80000000, v5
	v_lshl_add_u32 v7, v8, 23, v7
	v_or3_b32 v5, v5, v7, v6
	v_trunc_f32_e32 v5, v5
	s_mov_b32 s40, 0x2f800000
	v_mul_f32_e64 v6, |v5|, s40
	v_floor_f32_e32 v6, v6
	s_mov_b32 s40, 0xcf800000
	v_fma_f32 v7, v6, s40, |v5|
	v_cvt_u32_f32_e32 v7, v7
	v_cvt_u32_f32_e32 v6, v6
	v_ashrrev_i32_e32 v8, 31, v5
	v_xor_b32_e32 v5, v7, v8
	v_xor_b32_e32 v6, v6, v8
	v_sub_co_u32_e32 v5, vcc, v5, v8
	v_subb_co_u32_e32 v6, vcc, v6, v8, vcc
.LBB55_300:
	s_or_b64 exec, exec, s[0:1]
.LBB55_301:
	s_mov_b64 s[0:1], -1
.LBB55_302:
	s_mov_b64 s[40:41], 0
.LBB55_303:
	s_and_b64 vcc, exec, s[40:41]
	s_cbranch_vccz .LBB55_334
; %bb.304:
	s_cmp_gt_i32 s48, 22
	s_cbranch_scc0 .LBB55_314
; %bb.305:
	s_cmp_lt_i32 s48, 24
	s_cbranch_scc1 .LBB55_315
; %bb.306:
	s_cmp_gt_i32 s48, 24
	s_cbranch_scc0 .LBB55_316
; %bb.307:
	global_load_ubyte v7, v[3:4], off
	s_movk_i32 s0, 0x7f
	s_mov_b64 s[40:41], 0
	s_waitcnt vmcnt(0)
	v_cmp_lt_i16_e32 vcc, s0, v7
	s_and_saveexec_b64 s[0:1], vcc
	s_xor_b64 s[0:1], exec, s[0:1]
; %bb.308:
	s_movk_i32 s40, 0x80
	v_cmp_ne_u16_e32 vcc, s40, v7
	s_and_b64 s[40:41], vcc, exec
; %bb.309:
	s_andn2_saveexec_b64 s[0:1], s[0:1]
; %bb.310:
	v_cmp_ne_u16_e32 vcc, 0, v7
	s_andn2_b64 s[40:41], s[40:41], exec
	s_and_b64 s[52:53], vcc, exec
	s_or_b64 s[40:41], s[40:41], s[52:53]
; %bb.311:
	s_or_b64 exec, exec, s[0:1]
	v_mov_b32_e32 v5, 0
	v_mov_b32_e32 v6, 0
	s_and_saveexec_b64 s[0:1], s[40:41]
	s_cbranch_execz .LBB55_313
; %bb.312:
	v_and_b32_e32 v6, 0xffff, v7
	v_lshlrev_b32_e32 v5, 24, v7
	v_and_b32_e32 v7, 3, v6
	v_ffbh_u32_e32 v9, v7
	v_min_u32_e32 v9, 32, v9
	v_subrev_u32_e32 v11, 29, v9
	v_bfe_u32 v8, v6, 2, 5
	v_lshlrev_b32_e32 v6, v11, v6
	v_sub_u32_e32 v9, 30, v9
	v_and_b32_e32 v6, 3, v6
	v_cmp_eq_u32_e32 vcc, 0, v8
	v_cndmask_b32_e32 v8, v8, v9, vcc
	v_cndmask_b32_e32 v6, v7, v6, vcc
	v_mov_b32_e32 v7, 0x37800000
	v_lshlrev_b32_e32 v6, 21, v6
	v_and_b32_e32 v5, 0x80000000, v5
	v_lshl_add_u32 v7, v8, 23, v7
	v_or3_b32 v5, v5, v7, v6
	v_trunc_f32_e32 v5, v5
	s_mov_b32 s40, 0x2f800000
	v_mul_f32_e64 v6, |v5|, s40
	v_floor_f32_e32 v6, v6
	s_mov_b32 s40, 0xcf800000
	v_fma_f32 v7, v6, s40, |v5|
	v_cvt_u32_f32_e32 v7, v7
	v_cvt_u32_f32_e32 v6, v6
	v_ashrrev_i32_e32 v8, 31, v5
	v_xor_b32_e32 v5, v7, v8
	v_xor_b32_e32 v6, v6, v8
	v_sub_co_u32_e32 v5, vcc, v5, v8
	v_subb_co_u32_e32 v6, vcc, v6, v8, vcc
.LBB55_313:
	s_or_b64 exec, exec, s[0:1]
	s_mov_b64 s[0:1], 0
	s_branch .LBB55_317
.LBB55_314:
	s_mov_b64 s[40:41], -1
                                        ; implicit-def: $vgpr5_vgpr6
	s_branch .LBB55_323
.LBB55_315:
	s_mov_b64 s[0:1], -1
                                        ; implicit-def: $vgpr5_vgpr6
	s_branch .LBB55_320
.LBB55_316:
	s_mov_b64 s[0:1], -1
                                        ; implicit-def: $vgpr5_vgpr6
.LBB55_317:
	s_and_b64 vcc, exec, s[0:1]
	s_cbranch_vccz .LBB55_319
; %bb.318:
	global_load_ubyte v5, v[3:4], off
	s_mov_b32 s0, 0x7f800000
	s_brev_b32 s1, 1
	s_mov_b32 s40, 0x2f800000
	s_mov_b32 s41, 0xcf800000
	s_waitcnt vmcnt(0)
	v_lshlrev_b32_e32 v5, 24, v5
	v_and_b32_e32 v6, 0x7f000000, v5
	v_ffbh_u32_e32 v7, v6
	v_min_u32_e32 v7, 32, v7
	v_sub_u32_e64 v7, v7, 4 clamp
	v_lshlrev_b32_e32 v9, v7, v6
	v_lshlrev_b32_e32 v7, 23, v7
	v_lshrrev_b32_e32 v9, 4, v9
	v_add_u32_e32 v8, 0x1000000, v6
	v_sub_u32_e32 v7, v9, v7
	v_ashrrev_i32_e32 v8, 8, v8
	v_add_u32_e32 v7, 0x3c000000, v7
	v_and_or_b32 v7, v8, s0, v7
	v_cmp_ne_u32_e32 vcc, 0, v6
	v_cndmask_b32_e32 v6, 0, v7, vcc
	v_and_or_b32 v5, v5, s1, v6
	v_trunc_f32_e32 v5, v5
	v_mul_f32_e64 v6, |v5|, s40
	v_floor_f32_e32 v6, v6
	v_fma_f32 v7, v6, s41, |v5|
	v_cvt_u32_f32_e32 v7, v7
	v_cvt_u32_f32_e32 v6, v6
	v_ashrrev_i32_e32 v8, 31, v5
	v_xor_b32_e32 v5, v7, v8
	v_xor_b32_e32 v6, v6, v8
	v_sub_co_u32_e32 v5, vcc, v5, v8
	v_subb_co_u32_e32 v6, vcc, v6, v8, vcc
.LBB55_319:
	s_mov_b64 s[0:1], 0
.LBB55_320:
	s_andn2_b64 vcc, exec, s[0:1]
	s_cbranch_vccnz .LBB55_322
; %bb.321:
	global_load_ubyte v5, v[3:4], off
	s_movk_i32 s0, 0x7f00
	s_brev_b32 s1, 16
	s_brev_b32 s40, 1
	s_mov_b32 s41, 0x2f800000
	s_mov_b32 s49, 0xcf800000
	s_waitcnt vmcnt(0)
	v_lshlrev_b16_e32 v6, 8, v5
	v_lshlrev_b32_e32 v5, 25, v5
	v_lshrrev_b32_e32 v7, 4, v5
	v_and_or_b32 v8, v6, s0, 0.5
	v_or_b32_e32 v7, 0x70000000, v7
	v_add_f32_e32 v8, -0.5, v8
	v_mul_f32_e32 v7, 0x7800000, v7
	v_cmp_gt_u32_e32 vcc, s1, v5
	v_bfe_i32 v6, v6, 0, 16
	v_cndmask_b32_e32 v5, v7, v8, vcc
	v_and_or_b32 v5, v6, s40, v5
	v_trunc_f32_e32 v5, v5
	v_mul_f32_e64 v6, |v5|, s41
	v_floor_f32_e32 v6, v6
	v_fma_f32 v7, v6, s49, |v5|
	v_cvt_u32_f32_e32 v7, v7
	v_cvt_u32_f32_e32 v6, v6
	v_ashrrev_i32_e32 v8, 31, v5
	v_xor_b32_e32 v5, v7, v8
	v_xor_b32_e32 v6, v6, v8
	v_sub_co_u32_e32 v5, vcc, v5, v8
	v_subb_co_u32_e32 v6, vcc, v6, v8, vcc
.LBB55_322:
	s_mov_b64 s[40:41], 0
	s_mov_b64 s[0:1], -1
.LBB55_323:
	s_andn2_b64 vcc, exec, s[40:41]
	s_cbranch_vccnz .LBB55_334
; %bb.324:
	s_cmp_gt_i32 s48, 14
	s_cbranch_scc0 .LBB55_327
; %bb.325:
	s_cmp_eq_u32 s48, 15
	s_cbranch_scc0 .LBB55_328
; %bb.326:
	global_load_ushort v5, v[3:4], off
	s_mov_b32 s0, 0x2f800000
	s_mov_b32 s1, 0xcf800000
	s_mov_b64 s[42:43], 0
	s_waitcnt vmcnt(0)
	v_lshlrev_b32_e32 v5, 16, v5
	v_trunc_f32_e32 v5, v5
	v_mul_f32_e64 v6, |v5|, s0
	v_floor_f32_e32 v6, v6
	v_fma_f32 v7, v6, s1, |v5|
	v_cvt_u32_f32_e32 v7, v7
	v_cvt_u32_f32_e32 v6, v6
	v_ashrrev_i32_e32 v8, 31, v5
	s_mov_b64 s[0:1], -1
	v_xor_b32_e32 v5, v7, v8
	v_xor_b32_e32 v6, v6, v8
	v_sub_co_u32_e32 v5, vcc, v5, v8
	v_subb_co_u32_e32 v6, vcc, v6, v8, vcc
	s_branch .LBB55_329
.LBB55_327:
	s_mov_b64 s[40:41], -1
                                        ; implicit-def: $vgpr5_vgpr6
	s_branch .LBB55_330
.LBB55_328:
	s_mov_b64 s[42:43], -1
                                        ; implicit-def: $vgpr5_vgpr6
.LBB55_329:
	s_mov_b64 s[40:41], 0
.LBB55_330:
	s_and_b64 vcc, exec, s[40:41]
	s_cbranch_vccz .LBB55_334
; %bb.331:
	s_cmp_eq_u32 s48, 11
	s_cbranch_scc0 .LBB55_333
; %bb.332:
	global_load_ubyte v5, v[3:4], off
	s_mov_b32 s40, 0
	s_mov_b64 s[0:1], -1
	s_waitcnt vmcnt(1)
	v_mov_b32_e32 v6, s40
	s_mov_b64 s[42:43], 0
	s_waitcnt vmcnt(0)
	v_cmp_ne_u16_e32 vcc, 0, v5
	v_cndmask_b32_e64 v5, 0, 1, vcc
	s_branch .LBB55_334
.LBB55_333:
	s_mov_b64 s[42:43], -1
                                        ; implicit-def: $vgpr5_vgpr6
.LBB55_334:
	s_branch .LBB55_31
.LBB55_335:
	s_and_b32 s14, 0xffff, s14
	s_cmp_lt_i32 s14, 5
	s_cbranch_scc1 .LBB55_340
; %bb.336:
	s_cmp_lt_i32 s14, 8
	s_cbranch_scc1 .LBB55_341
; %bb.337:
	;; [unrolled: 3-line block ×3, first 2 shown]
	s_cmp_gt_i32 s14, 9
	s_cbranch_scc0 .LBB55_343
; %bb.339:
	global_load_dwordx2 v[5:6], v[3:4], off
	s_movk_i32 s0, 0xffe0
	s_waitcnt vmcnt(0)
	v_trunc_f64_e32 v[5:6], v[5:6]
	v_ldexp_f64 v[7:8], v[5:6], s0
	s_mov_b32 s0, 0
	s_mov_b32 s1, 0xc1f00000
	v_floor_f64_e32 v[7:8], v[7:8]
	v_fma_f64 v[11:12], v[7:8], s[0:1], v[5:6]
	v_cvt_i32_f64_e32 v6, v[7:8]
	s_mov_b64 s[0:1], 0
	v_cvt_u32_f64_e32 v5, v[11:12]
	s_branch .LBB55_344
.LBB55_340:
	s_mov_b64 s[0:1], -1
                                        ; implicit-def: $vgpr5_vgpr6
	s_branch .LBB55_362
.LBB55_341:
	s_mov_b64 s[0:1], -1
                                        ; implicit-def: $vgpr5_vgpr6
	s_branch .LBB55_350
.LBB55_342:
	s_mov_b64 s[0:1], -1
                                        ; implicit-def: $vgpr5_vgpr6
	s_branch .LBB55_347
.LBB55_343:
	s_mov_b64 s[0:1], -1
                                        ; implicit-def: $vgpr5_vgpr6
.LBB55_344:
	s_andn2_b64 vcc, exec, s[0:1]
	s_cbranch_vccnz .LBB55_346
; %bb.345:
	global_load_dword v5, v[3:4], off
	s_mov_b32 s0, 0x2f800000
	s_mov_b32 s1, 0xcf800000
	s_waitcnt vmcnt(0)
	v_trunc_f32_e32 v5, v5
	v_mul_f32_e64 v6, |v5|, s0
	v_floor_f32_e32 v6, v6
	v_cvt_u32_f32_e32 v7, v6
	v_fma_f32 v6, v6, s1, |v5|
	v_cvt_u32_f32_e32 v6, v6
	v_ashrrev_i32_e32 v8, 31, v5
	v_xor_b32_e32 v7, v7, v8
	v_xor_b32_e32 v5, v6, v8
	v_sub_co_u32_e32 v5, vcc, v5, v8
	v_subb_co_u32_e32 v6, vcc, v7, v8, vcc
.LBB55_346:
	s_mov_b64 s[0:1], 0
.LBB55_347:
	s_andn2_b64 vcc, exec, s[0:1]
	s_cbranch_vccnz .LBB55_349
; %bb.348:
	global_load_dword v5, v[3:4], off
	s_waitcnt vmcnt(0)
	v_cvt_f32_f16_e32 v5, v5
	v_cvt_i32_f32_e32 v5, v5
	v_ashrrev_i32_e32 v6, 31, v5
.LBB55_349:
	s_mov_b64 s[0:1], 0
.LBB55_350:
	s_andn2_b64 vcc, exec, s[0:1]
	s_cbranch_vccnz .LBB55_361
; %bb.351:
	s_cmp_lt_i32 s14, 6
	s_cbranch_scc1 .LBB55_354
; %bb.352:
	s_cmp_gt_i32 s14, 6
	s_cbranch_scc0 .LBB55_355
; %bb.353:
	global_load_dwordx2 v[5:6], v[3:4], off
	s_movk_i32 s0, 0xffe0
	s_waitcnt vmcnt(0)
	v_trunc_f64_e32 v[5:6], v[5:6]
	v_ldexp_f64 v[7:8], v[5:6], s0
	s_mov_b32 s0, 0
	s_mov_b32 s1, 0xc1f00000
	v_floor_f64_e32 v[7:8], v[7:8]
	v_fma_f64 v[11:12], v[7:8], s[0:1], v[5:6]
	v_cvt_i32_f64_e32 v6, v[7:8]
	s_mov_b64 s[0:1], 0
	v_cvt_u32_f64_e32 v5, v[11:12]
	s_branch .LBB55_356
.LBB55_354:
	s_mov_b64 s[0:1], -1
                                        ; implicit-def: $vgpr5_vgpr6
	s_branch .LBB55_359
.LBB55_355:
	s_mov_b64 s[0:1], -1
                                        ; implicit-def: $vgpr5_vgpr6
.LBB55_356:
	s_andn2_b64 vcc, exec, s[0:1]
	s_cbranch_vccnz .LBB55_358
; %bb.357:
	global_load_dword v5, v[3:4], off
	s_mov_b32 s0, 0x2f800000
	s_mov_b32 s1, 0xcf800000
	s_waitcnt vmcnt(0)
	v_trunc_f32_e32 v5, v5
	v_mul_f32_e64 v6, |v5|, s0
	v_floor_f32_e32 v6, v6
	v_cvt_u32_f32_e32 v7, v6
	v_fma_f32 v6, v6, s1, |v5|
	v_cvt_u32_f32_e32 v6, v6
	v_ashrrev_i32_e32 v8, 31, v5
	v_xor_b32_e32 v7, v7, v8
	v_xor_b32_e32 v5, v6, v8
	v_sub_co_u32_e32 v5, vcc, v5, v8
	v_subb_co_u32_e32 v6, vcc, v7, v8, vcc
.LBB55_358:
	s_mov_b64 s[0:1], 0
.LBB55_359:
	s_andn2_b64 vcc, exec, s[0:1]
	s_cbranch_vccnz .LBB55_361
; %bb.360:
	global_load_ushort v5, v[3:4], off
	s_waitcnt vmcnt(0)
	v_cvt_f32_f16_e32 v5, v5
	v_cvt_i32_f32_e32 v5, v5
	v_ashrrev_i32_e32 v6, 31, v5
.LBB55_361:
	s_mov_b64 s[0:1], 0
.LBB55_362:
	s_andn2_b64 vcc, exec, s[0:1]
	s_cbranch_vccnz .LBB55_382
; %bb.363:
	s_cmp_lt_i32 s14, 2
	s_cbranch_scc1 .LBB55_367
; %bb.364:
	s_cmp_lt_i32 s14, 3
	s_cbranch_scc1 .LBB55_368
; %bb.365:
	s_cmp_gt_i32 s14, 3
	s_cbranch_scc0 .LBB55_369
; %bb.366:
	global_load_dwordx2 v[5:6], v[3:4], off
	s_mov_b64 s[0:1], 0
	s_branch .LBB55_370
.LBB55_367:
	s_mov_b64 s[0:1], -1
                                        ; implicit-def: $vgpr5_vgpr6
	s_branch .LBB55_376
.LBB55_368:
	s_mov_b64 s[0:1], -1
                                        ; implicit-def: $vgpr5_vgpr6
	s_branch .LBB55_373
.LBB55_369:
	s_mov_b64 s[0:1], -1
                                        ; implicit-def: $vgpr5_vgpr6
.LBB55_370:
	s_andn2_b64 vcc, exec, s[0:1]
	s_cbranch_vccnz .LBB55_372
; %bb.371:
	global_load_dword v5, v[3:4], off
	s_waitcnt vmcnt(0)
	v_ashrrev_i32_e32 v6, 31, v5
.LBB55_372:
	s_mov_b64 s[0:1], 0
.LBB55_373:
	s_andn2_b64 vcc, exec, s[0:1]
	s_cbranch_vccnz .LBB55_375
; %bb.374:
	global_load_ushort v5, v[3:4], off
	s_waitcnt vmcnt(0)
	v_bfe_i32 v5, v5, 0, 16
	v_ashrrev_i32_e32 v6, 31, v5
.LBB55_375:
	s_mov_b64 s[0:1], 0
.LBB55_376:
	s_andn2_b64 vcc, exec, s[0:1]
	s_cbranch_vccnz .LBB55_382
; %bb.377:
	s_cmp_gt_i32 s14, 0
	s_cbranch_scc0 .LBB55_379
; %bb.378:
	global_load_sbyte v5, v[3:4], off
	s_mov_b64 s[0:1], 0
	s_waitcnt vmcnt(0)
	v_bfe_i32 v5, v5, 0, 16
	v_ashrrev_i32_e32 v6, 31, v5
	s_branch .LBB55_380
.LBB55_379:
	s_mov_b64 s[0:1], -1
                                        ; implicit-def: $vgpr5_vgpr6
.LBB55_380:
	s_andn2_b64 vcc, exec, s[0:1]
	s_cbranch_vccnz .LBB55_382
; %bb.381:
	global_load_ubyte v3, v[3:4], off
	s_mov_b32 s0, 0
	s_waitcnt vmcnt(1)
	v_mov_b32_e32 v6, s0
	s_waitcnt vmcnt(0)
	v_and_b32_e32 v5, 0xffff, v3
.LBB55_382:
	s_branch .LBB55_32
.LBB55_383:
	s_mov_b64 s[0:1], 0
.LBB55_384:
                                        ; implicit-def: $vgpr10
	s_mov_b64 s[48:49], 0
.LBB55_385:
	s_and_b64 s[40:41], s[0:1], exec
	s_and_b64 s[42:43], s[42:43], exec
	;; [unrolled: 1-line block ×3, first 2 shown]
	s_orn2_b64 s[0:1], s[48:49], exec
.LBB55_386:
	s_or_b64 exec, exec, s[46:47]
	s_mov_b64 s[54:55], 0
	s_mov_b64 s[52:53], 0
                                        ; implicit-def: $sgpr14
                                        ; implicit-def: $vgpr4_vgpr5
                                        ; implicit-def: $vgpr0
                                        ; implicit-def: $vgpr3
                                        ; implicit-def: $vgpr1_vgpr2
	s_and_saveexec_b64 s[46:47], s[0:1]
	s_cbranch_execz .LBB55_394
; %bb.387:
	v_cmp_gt_i32_e32 vcc, s70, v10
	s_mov_b64 s[0:1], -1
	s_mov_b64 s[48:49], s[44:45]
	s_mov_b64 s[50:51], s[42:43]
	;; [unrolled: 1-line block ×3, first 2 shown]
	s_and_saveexec_b64 s[54:55], vcc
	s_cbranch_execz .LBB55_779
; %bb.388:
	s_andn2_b64 vcc, exec, s[24:25]
	s_cbranch_vccnz .LBB55_397
; %bb.389:
	s_andn2_b64 vcc, exec, s[38:39]
	s_cbranch_vccnz .LBB55_398
; %bb.390:
	s_add_i32 s0, s75, 1
	s_and_b32 s14, s0, 30
	s_add_u32 s0, s2, 0xffffffe8
	s_addc_u32 s1, s3, -1
	v_mov_b32_e32 v3, 0
	s_waitcnt vmcnt(0)
	v_mov_b32_e32 v5, 0
	v_mov_b32_e32 v0, 0
	;; [unrolled: 1-line block ×3, first 2 shown]
.LBB55_391:                             ; =>This Inner Loop Header: Depth=1
	s_load_dwordx4 s[48:51], s[0:1], 0x1c
	s_load_dwordx2 s[52:53], s[0:1], 0x2c
	s_load_dwordx2 s[60:61], s[0:1], 0xec
	s_load_dwordx4 s[56:59], s[0:1], 0xdc
	s_add_u32 s0, s0, 24
	s_waitcnt lgkmcnt(0)
	v_mul_hi_u32 v2, s49, v1
	s_addc_u32 s1, s1, 0
	s_add_i32 s14, s14, -2
	s_cmp_eq_u32 s14, 0
	v_add_u32_e32 v2, v1, v2
	v_lshrrev_b32_e32 v2, s50, v2
	v_mul_lo_u32 v4, v2, s48
	v_mul_hi_u32 v6, s52, v2
	v_sub_u32_e32 v4, v1, v4
	v_add_u32_e32 v1, v2, v6
	v_lshrrev_b32_e32 v1, s53, v1
	v_mul_lo_u32 v8, v1, s51
	v_mul_lo_u32 v6, v4, s56
	;; [unrolled: 1-line block ×4, first 2 shown]
	v_sub_u32_e32 v2, v2, v8
	v_mul_lo_u32 v8, v2, s59
	v_mul_lo_u32 v9, v2, s60
	;; [unrolled: 1-line block ×3, first 2 shown]
	v_add3_u32 v0, v6, v0, v8
	v_add3_u32 v5, v7, v5, v9
	;; [unrolled: 1-line block ×3, first 2 shown]
	s_cbranch_scc0 .LBB55_391
; %bb.392:
	s_bitcmp1_b32 s75, 0
	s_cselect_b64 s[48:49], -1, 0
	s_and_b64 vcc, exec, s[48:49]
	s_cbranch_vccnz .LBB55_399
; %bb.393:
	s_load_dwordx2 s[48:49], s[0:1], 0x1c
	s_load_dword s14, s[0:1], 0x24
	s_load_dwordx2 s[50:51], s[0:1], 0xdc
	s_waitcnt lgkmcnt(0)
	v_mul_hi_u32 v2, s49, v1
	v_add_u32_e32 v2, v1, v2
	v_lshrrev_b32_e32 v2, s14, v2
	v_mul_lo_u32 v2, v2, s48
	s_load_dword s14, s[0:1], 0xe4
	v_sub_u32_e32 v2, v1, v2
	v_mad_u64_u32 v[0:1], s[0:1], v2, s50, v[0:1]
	v_mad_u64_u32 v[5:6], s[0:1], v2, s51, v[5:6]
	s_waitcnt lgkmcnt(0)
	v_mad_u64_u32 v[3:4], s[0:1], v2, s14, v[3:4]
	s_branch .LBB55_399
.LBB55_394:
	s_or_b64 exec, exec, s[46:47]
	s_mov_b64 s[10:11], 0
	s_and_saveexec_b64 s[0:1], s[44:45]
	s_cbranch_execnz .LBB55_1265
.LBB55_395:
	s_or_b64 exec, exec, s[0:1]
	s_and_saveexec_b64 s[0:1], s[50:51]
	s_xor_b64 s[0:1], exec, s[0:1]
	s_cbranch_execz .LBB55_1266
.LBB55_396:
	s_waitcnt vmcnt(0)
	global_load_ubyte v1, v[4:5], off
	s_mov_b32 s16, 0
	v_mov_b32_e32 v2, s16
	s_or_b64 s[52:53], s[52:53], exec
	s_waitcnt vmcnt(0)
	v_cmp_ne_u16_e32 vcc, 0, v1
	v_cndmask_b32_e64 v1, 0, 1, vcc
	s_or_b64 exec, exec, s[0:1]
	s_and_saveexec_b64 s[0:1], s[54:55]
	s_cbranch_execz .LBB55_1312
	s_branch .LBB55_1267
.LBB55_397:
                                        ; implicit-def: $vgpr0
                                        ; implicit-def: $vgpr5
                                        ; implicit-def: $vgpr3
	s_andn2_b64 vcc, exec, s[0:1]
	s_cbranch_vccz .LBB55_400
	s_branch .LBB55_402
.LBB55_398:
	v_mov_b32_e32 v0, 0
	s_waitcnt vmcnt(0)
	v_mov_b32_e32 v5, 0
	v_mov_b32_e32 v3, 0
.LBB55_399:
	s_cbranch_execnz .LBB55_402
.LBB55_400:
	v_mul_hi_u32 v0, s17, v10
	s_andn2_b64 vcc, exec, s[36:37]
	v_add_u32_e32 v0, v10, v0
	s_waitcnt vmcnt(0)
	v_lshrrev_b32_e32 v1, s18, v0
	v_mul_lo_u32 v0, v1, s16
	v_sub_u32_e32 v2, v10, v0
	v_mul_lo_u32 v0, v2, s20
	v_mul_lo_u32 v5, v2, s21
	;; [unrolled: 1-line block ×3, first 2 shown]
	s_cbranch_vccnz .LBB55_402
; %bb.401:
	v_mul_hi_u32 v2, s34, v1
	v_add_u32_e32 v2, v1, v2
	v_lshrrev_b32_e32 v2, s35, v2
	v_mul_lo_u32 v2, v2, s19
	v_sub_u32_e32 v2, v1, v2
	v_mad_u64_u32 v[0:1], s[0:1], v2, s23, v[0:1]
	v_mad_u64_u32 v[5:6], s[0:1], v2, s30, v[5:6]
	;; [unrolled: 1-line block ×3, first 2 shown]
.LBB55_402:
	s_waitcnt vmcnt(0)
	v_mov_b32_e32 v1, s11
	s_and_b32 s14, s74, 0xff
	v_add_co_u32_e32 v4, vcc, s10, v5
	s_cmp_lt_i32 s14, 11
	v_addc_co_u32_e32 v5, vcc, 0, v1, vcc
	s_cbranch_scc1 .LBB55_409
; %bb.403:
	s_and_b32 s52, 0xffff, s14
	s_cmp_gt_i32 s52, 25
	s_cbranch_scc0 .LBB55_418
; %bb.404:
	s_cmp_gt_i32 s52, 28
	s_cbranch_scc0 .LBB55_420
; %bb.405:
	;; [unrolled: 3-line block ×4, first 2 shown]
	s_cmp_eq_u32 s52, 46
	s_mov_b64 s[50:51], 0
	s_cbranch_scc0 .LBB55_428
; %bb.408:
	global_load_dword v1, v[4:5], off
	s_mov_b32 s0, 0x2f800000
	s_mov_b32 s1, 0xcf800000
	s_mov_b64 s[48:49], 0
	s_waitcnt vmcnt(0)
	v_lshlrev_b32_e32 v1, 16, v1
	v_trunc_f32_e32 v1, v1
	v_mul_f32_e64 v2, |v1|, s0
	v_floor_f32_e32 v2, v2
	v_fma_f32 v6, v2, s1, |v1|
	v_cvt_u32_f32_e32 v6, v6
	v_cvt_u32_f32_e32 v2, v2
	v_ashrrev_i32_e32 v7, 31, v1
	s_mov_b64 s[0:1], -1
	v_xor_b32_e32 v1, v6, v7
	v_xor_b32_e32 v2, v2, v7
	v_sub_co_u32_e32 v1, vcc, v1, v7
	v_subb_co_u32_e32 v2, vcc, v2, v7, vcc
	s_branch .LBB55_429
.LBB55_409:
	s_mov_b64 s[0:1], 0
                                        ; implicit-def: $vgpr1_vgpr2
	s_mov_b64 s[48:49], s[44:45]
	s_cbranch_execnz .LBB55_491
.LBB55_410:
	s_andn2_b64 vcc, exec, s[0:1]
	s_cbranch_vccnz .LBB55_539
.LBB55_411:
	v_mov_b32_e32 v4, s13
	s_and_b32 s14, s73, 0xff
	v_add_co_u32_e32 v3, vcc, s12, v3
	s_cmp_lt_i32 s14, 11
	v_addc_co_u32_e32 v4, vcc, 0, v4, vcc
	s_cbranch_scc1 .LBB55_419
; %bb.412:
	s_and_b32 s56, 0xffff, s14
	s_cmp_gt_i32 s56, 25
	s_cbranch_scc0 .LBB55_421
; %bb.413:
	s_cmp_gt_i32 s56, 28
	s_cbranch_scc0 .LBB55_423
; %bb.414:
	;; [unrolled: 3-line block ×4, first 2 shown]
	s_cmp_eq_u32 s56, 46
	s_mov_b64 s[52:53], 0
	s_cbranch_scc0 .LBB55_543
; %bb.417:
	global_load_dword v5, v[3:4], off
	s_mov_b32 s0, 0x2f800000
	s_mov_b32 s1, 0xcf800000
	s_mov_b64 s[50:51], 0
	s_waitcnt vmcnt(0)
	v_lshlrev_b32_e32 v5, 16, v5
	v_trunc_f32_e32 v5, v5
	v_mul_f32_e64 v6, |v5|, s0
	v_floor_f32_e32 v6, v6
	v_fma_f32 v7, v6, s1, |v5|
	v_cvt_u32_f32_e32 v7, v7
	v_cvt_u32_f32_e32 v6, v6
	v_ashrrev_i32_e32 v8, 31, v5
	s_mov_b64 s[0:1], -1
	v_xor_b32_e32 v5, v7, v8
	v_xor_b32_e32 v6, v6, v8
	v_sub_co_u32_e32 v5, vcc, v5, v8
	v_subb_co_u32_e32 v6, vcc, v6, v8, vcc
	s_branch .LBB55_544
.LBB55_418:
	s_mov_b64 s[50:51], -1
	s_mov_b64 s[0:1], 0
	s_mov_b64 s[48:49], s[44:45]
                                        ; implicit-def: $vgpr1_vgpr2
	s_branch .LBB55_459
.LBB55_419:
	s_mov_b64 s[52:53], -1
	s_mov_b64 s[0:1], 0
                                        ; implicit-def: $vgpr5_vgpr6
	s_mov_b64 s[50:51], s[42:43]
	s_branch .LBB55_605
.LBB55_420:
	s_mov_b64 s[50:51], -1
	s_mov_b64 s[0:1], 0
	s_mov_b64 s[48:49], s[44:45]
                                        ; implicit-def: $vgpr1_vgpr2
	s_branch .LBB55_440
.LBB55_421:
	s_mov_b64 s[52:53], -1
	s_mov_b64 s[0:1], 0
	s_mov_b64 s[50:51], s[42:43]
                                        ; implicit-def: $vgpr5_vgpr6
	s_branch .LBB55_573
.LBB55_422:
	s_mov_b64 s[50:51], -1
	s_mov_b64 s[0:1], 0
	s_mov_b64 s[48:49], s[44:45]
                                        ; implicit-def: $vgpr1_vgpr2
	s_branch .LBB55_435
.LBB55_423:
	s_mov_b64 s[52:53], -1
	s_mov_b64 s[0:1], 0
	s_mov_b64 s[50:51], s[42:43]
                                        ; implicit-def: $vgpr5_vgpr6
	s_branch .LBB55_554
.LBB55_424:
	s_mov_b64 s[50:51], -1
	s_mov_b64 s[0:1], 0
	s_mov_b64 s[48:49], s[44:45]
                                        ; implicit-def: $vgpr1_vgpr2
	s_branch .LBB55_429
.LBB55_425:
	s_mov_b64 s[52:53], -1
	s_mov_b64 s[0:1], 0
	s_mov_b64 s[50:51], s[42:43]
                                        ; implicit-def: $vgpr5_vgpr6
	s_branch .LBB55_549
.LBB55_426:
	s_andn2_saveexec_b64 s[54:55], s[54:55]
	s_cbranch_execz .LBB55_187
.LBB55_427:
	v_add_f32_e32 v2, 0x46000000, v3
	v_and_b32_e32 v2, 0xff, v2
	v_cmp_ne_u32_e32 vcc, 0, v2
	s_andn2_b64 s[52:53], s[52:53], exec
	s_and_b64 s[58:59], vcc, exec
	s_or_b64 s[52:53], s[52:53], s[58:59]
	s_or_b64 exec, exec, s[54:55]
	v_mov_b32_e32 v4, 0
	s_and_saveexec_b64 s[54:55], s[52:53]
	s_cbranch_execnz .LBB55_188
	s_branch .LBB55_189
.LBB55_428:
	s_mov_b64 s[48:49], -1
                                        ; implicit-def: $vgpr1_vgpr2
	s_mov_b64 s[0:1], 0
.LBB55_429:
	s_and_b64 vcc, exec, s[50:51]
	s_cbranch_vccz .LBB55_434
; %bb.430:
	s_cmp_eq_u32 s52, 44
	s_cbranch_scc0 .LBB55_433
; %bb.431:
	global_load_ubyte v1, v[4:5], off
	s_mov_b32 s0, 0x2f800000
	s_mov_b32 s1, 0xcf800000
	s_mov_b64 s[48:49], 0
	s_waitcnt vmcnt(0)
	v_lshlrev_b32_e32 v2, 23, v1
	v_trunc_f32_e32 v2, v2
	v_mul_f32_e64 v6, |v2|, s0
	v_floor_f32_e32 v6, v6
	v_fma_f32 v7, v6, s1, |v2|
	v_cvt_u32_f32_e32 v7, v7
	v_cvt_u32_f32_e32 v6, v6
	v_ashrrev_i32_e32 v2, 31, v2
	s_mov_b64 s[0:1], -1
	v_xor_b32_e32 v7, v7, v2
	v_xor_b32_e32 v6, v6, v2
	v_sub_co_u32_e32 v7, vcc, v7, v2
	v_subb_co_u32_e32 v2, vcc, v6, v2, vcc
	v_cmp_ne_u32_e32 vcc, 0, v1
	v_cndmask_b32_e32 v2, 0, v2, vcc
	v_cndmask_b32_e32 v1, 0, v7, vcc
	s_branch .LBB55_434
.LBB55_432:
	s_mov_b64 s[52:53], -1
	s_mov_b64 s[0:1], 0
	s_mov_b64 s[50:51], s[42:43]
                                        ; implicit-def: $vgpr5_vgpr6
	s_branch .LBB55_544
.LBB55_433:
	s_mov_b64 s[48:49], -1
                                        ; implicit-def: $vgpr1_vgpr2
.LBB55_434:
	s_mov_b64 s[50:51], 0
.LBB55_435:
	s_and_b64 vcc, exec, s[50:51]
	s_cbranch_vccz .LBB55_439
; %bb.436:
	s_cmp_eq_u32 s52, 29
	s_cbranch_scc0 .LBB55_438
; %bb.437:
	global_load_dwordx2 v[1:2], v[4:5], off
	s_mov_b64 s[0:1], -1
	s_mov_b64 s[48:49], 0
	s_branch .LBB55_439
.LBB55_438:
	s_mov_b64 s[48:49], -1
                                        ; implicit-def: $vgpr1_vgpr2
.LBB55_439:
	s_mov_b64 s[50:51], 0
.LBB55_440:
	s_and_b64 vcc, exec, s[50:51]
	s_cbranch_vccz .LBB55_458
; %bb.441:
	s_cmp_lt_i32 s52, 27
	s_cbranch_scc1 .LBB55_444
; %bb.442:
	s_cmp_gt_i32 s52, 27
	s_cbranch_scc0 .LBB55_445
; %bb.443:
	global_load_dword v1, v[4:5], off
	s_waitcnt vmcnt(1)
	v_mov_b32_e32 v2, 0
	s_mov_b64 s[0:1], 0
	s_branch .LBB55_446
.LBB55_444:
	s_mov_b64 s[0:1], -1
                                        ; implicit-def: $vgpr1_vgpr2
	s_branch .LBB55_449
.LBB55_445:
	s_mov_b64 s[0:1], -1
                                        ; implicit-def: $vgpr1_vgpr2
.LBB55_446:
	s_andn2_b64 vcc, exec, s[0:1]
	s_cbranch_vccnz .LBB55_448
; %bb.447:
	global_load_ushort v1, v[4:5], off
	s_mov_b32 s0, 0
	s_waitcnt vmcnt(1)
	v_mov_b32_e32 v2, s0
	s_waitcnt vmcnt(0)
	v_and_b32_e32 v1, 0xffff, v1
.LBB55_448:
	s_mov_b64 s[0:1], 0
.LBB55_449:
	s_andn2_b64 vcc, exec, s[0:1]
	s_cbranch_vccnz .LBB55_457
; %bb.450:
	global_load_ubyte v6, v[4:5], off
	s_movk_i32 s0, 0x7f
	s_mov_b64 s[50:51], 0
	s_waitcnt vmcnt(0)
	v_cmp_lt_i16_e32 vcc, s0, v6
	s_and_saveexec_b64 s[0:1], vcc
	s_xor_b64 s[0:1], exec, s[0:1]
; %bb.451:
	s_movk_i32 s50, 0x80
	v_cmp_ne_u16_e32 vcc, s50, v6
	s_and_b64 s[50:51], vcc, exec
; %bb.452:
	s_andn2_saveexec_b64 s[0:1], s[0:1]
; %bb.453:
	v_cmp_ne_u16_e32 vcc, 0, v6
	s_andn2_b64 s[50:51], s[50:51], exec
	s_and_b64 s[56:57], vcc, exec
	s_or_b64 s[50:51], s[50:51], s[56:57]
; %bb.454:
	s_or_b64 exec, exec, s[0:1]
	v_mov_b32_e32 v1, 0
	v_mov_b32_e32 v2, 0
	s_and_saveexec_b64 s[0:1], s[50:51]
	s_cbranch_execz .LBB55_456
; %bb.455:
	v_and_b32_e32 v2, 0xffff, v6
	v_lshlrev_b32_e32 v1, 24, v6
	v_and_b32_e32 v6, 7, v2
	v_ffbh_u32_e32 v8, v6
	v_min_u32_e32 v8, 32, v8
	v_subrev_u32_e32 v9, 28, v8
	v_bfe_u32 v7, v2, 3, 4
	v_lshlrev_b32_e32 v2, v9, v2
	v_sub_u32_e32 v8, 29, v8
	v_and_b32_e32 v2, 7, v2
	v_cmp_eq_u32_e32 vcc, 0, v7
	v_cndmask_b32_e32 v7, v7, v8, vcc
	v_cndmask_b32_e32 v2, v6, v2, vcc
	v_mov_b32_e32 v6, 0x3b800000
	v_lshlrev_b32_e32 v2, 20, v2
	v_and_b32_e32 v1, 0x80000000, v1
	v_lshl_add_u32 v6, v7, 23, v6
	v_or3_b32 v1, v1, v6, v2
	v_trunc_f32_e32 v1, v1
	s_mov_b32 s50, 0x2f800000
	v_mul_f32_e64 v2, |v1|, s50
	v_floor_f32_e32 v2, v2
	s_mov_b32 s50, 0xcf800000
	v_fma_f32 v6, v2, s50, |v1|
	v_cvt_u32_f32_e32 v6, v6
	v_cvt_u32_f32_e32 v2, v2
	v_ashrrev_i32_e32 v7, 31, v1
	v_xor_b32_e32 v1, v6, v7
	v_xor_b32_e32 v2, v2, v7
	v_sub_co_u32_e32 v1, vcc, v1, v7
	v_subb_co_u32_e32 v2, vcc, v2, v7, vcc
.LBB55_456:
	s_or_b64 exec, exec, s[0:1]
.LBB55_457:
	s_mov_b64 s[0:1], -1
.LBB55_458:
	s_mov_b64 s[50:51], 0
.LBB55_459:
	s_and_b64 vcc, exec, s[50:51]
	s_cbranch_vccz .LBB55_490
; %bb.460:
	s_cmp_gt_i32 s52, 22
	s_cbranch_scc0 .LBB55_470
; %bb.461:
	s_cmp_lt_i32 s52, 24
	s_cbranch_scc1 .LBB55_471
; %bb.462:
	s_cmp_gt_i32 s52, 24
	s_cbranch_scc0 .LBB55_472
; %bb.463:
	global_load_ubyte v6, v[4:5], off
	s_movk_i32 s0, 0x7f
	s_mov_b64 s[50:51], 0
	s_waitcnt vmcnt(0)
	v_cmp_lt_i16_e32 vcc, s0, v6
	s_and_saveexec_b64 s[0:1], vcc
	s_xor_b64 s[0:1], exec, s[0:1]
; %bb.464:
	s_movk_i32 s50, 0x80
	v_cmp_ne_u16_e32 vcc, s50, v6
	s_and_b64 s[50:51], vcc, exec
; %bb.465:
	s_andn2_saveexec_b64 s[0:1], s[0:1]
; %bb.466:
	v_cmp_ne_u16_e32 vcc, 0, v6
	s_andn2_b64 s[50:51], s[50:51], exec
	s_and_b64 s[56:57], vcc, exec
	s_or_b64 s[50:51], s[50:51], s[56:57]
; %bb.467:
	s_or_b64 exec, exec, s[0:1]
	v_mov_b32_e32 v1, 0
	v_mov_b32_e32 v2, 0
	s_and_saveexec_b64 s[0:1], s[50:51]
	s_cbranch_execz .LBB55_469
; %bb.468:
	v_and_b32_e32 v2, 0xffff, v6
	v_lshlrev_b32_e32 v1, 24, v6
	v_and_b32_e32 v6, 3, v2
	v_ffbh_u32_e32 v8, v6
	v_min_u32_e32 v8, 32, v8
	v_subrev_u32_e32 v9, 29, v8
	v_bfe_u32 v7, v2, 2, 5
	v_lshlrev_b32_e32 v2, v9, v2
	v_sub_u32_e32 v8, 30, v8
	v_and_b32_e32 v2, 3, v2
	v_cmp_eq_u32_e32 vcc, 0, v7
	v_cndmask_b32_e32 v7, v7, v8, vcc
	v_cndmask_b32_e32 v2, v6, v2, vcc
	v_mov_b32_e32 v6, 0x37800000
	v_lshlrev_b32_e32 v2, 21, v2
	v_and_b32_e32 v1, 0x80000000, v1
	v_lshl_add_u32 v6, v7, 23, v6
	v_or3_b32 v1, v1, v6, v2
	v_trunc_f32_e32 v1, v1
	s_mov_b32 s50, 0x2f800000
	v_mul_f32_e64 v2, |v1|, s50
	v_floor_f32_e32 v2, v2
	s_mov_b32 s50, 0xcf800000
	v_fma_f32 v6, v2, s50, |v1|
	v_cvt_u32_f32_e32 v6, v6
	v_cvt_u32_f32_e32 v2, v2
	v_ashrrev_i32_e32 v7, 31, v1
	v_xor_b32_e32 v1, v6, v7
	v_xor_b32_e32 v2, v2, v7
	v_sub_co_u32_e32 v1, vcc, v1, v7
	v_subb_co_u32_e32 v2, vcc, v2, v7, vcc
.LBB55_469:
	s_or_b64 exec, exec, s[0:1]
	s_mov_b64 s[0:1], 0
	s_branch .LBB55_473
.LBB55_470:
	s_mov_b64 s[50:51], -1
                                        ; implicit-def: $vgpr1_vgpr2
	s_branch .LBB55_479
.LBB55_471:
	s_mov_b64 s[0:1], -1
                                        ; implicit-def: $vgpr1_vgpr2
	s_branch .LBB55_476
.LBB55_472:
	s_mov_b64 s[0:1], -1
                                        ; implicit-def: $vgpr1_vgpr2
.LBB55_473:
	s_and_b64 vcc, exec, s[0:1]
	s_cbranch_vccz .LBB55_475
; %bb.474:
	global_load_ubyte v1, v[4:5], off
	s_mov_b32 s0, 0x7f800000
	s_brev_b32 s1, 1
	s_mov_b32 s50, 0x2f800000
	s_mov_b32 s51, 0xcf800000
	s_waitcnt vmcnt(0)
	v_lshlrev_b32_e32 v1, 24, v1
	v_and_b32_e32 v2, 0x7f000000, v1
	v_ffbh_u32_e32 v6, v2
	v_min_u32_e32 v6, 32, v6
	v_sub_u32_e64 v6, v6, 4 clamp
	v_lshlrev_b32_e32 v8, v6, v2
	v_lshlrev_b32_e32 v6, 23, v6
	v_lshrrev_b32_e32 v8, 4, v8
	v_add_u32_e32 v7, 0x1000000, v2
	v_sub_u32_e32 v6, v8, v6
	v_ashrrev_i32_e32 v7, 8, v7
	v_add_u32_e32 v6, 0x3c000000, v6
	v_and_or_b32 v6, v7, s0, v6
	v_cmp_ne_u32_e32 vcc, 0, v2
	v_cndmask_b32_e32 v2, 0, v6, vcc
	v_and_or_b32 v1, v1, s1, v2
	v_trunc_f32_e32 v1, v1
	v_mul_f32_e64 v2, |v1|, s50
	v_floor_f32_e32 v2, v2
	v_fma_f32 v6, v2, s51, |v1|
	v_cvt_u32_f32_e32 v6, v6
	v_cvt_u32_f32_e32 v2, v2
	v_ashrrev_i32_e32 v7, 31, v1
	v_xor_b32_e32 v1, v6, v7
	v_xor_b32_e32 v2, v2, v7
	v_sub_co_u32_e32 v1, vcc, v1, v7
	v_subb_co_u32_e32 v2, vcc, v2, v7, vcc
.LBB55_475:
	s_mov_b64 s[0:1], 0
.LBB55_476:
	s_andn2_b64 vcc, exec, s[0:1]
	s_cbranch_vccnz .LBB55_478
; %bb.477:
	global_load_ubyte v1, v[4:5], off
	s_movk_i32 s0, 0x7f00
	s_brev_b32 s1, 16
	s_brev_b32 s50, 1
	s_mov_b32 s51, 0x2f800000
	s_mov_b32 s53, 0xcf800000
	s_waitcnt vmcnt(0)
	v_lshlrev_b16_e32 v2, 8, v1
	v_lshlrev_b32_e32 v1, 25, v1
	v_lshrrev_b32_e32 v6, 4, v1
	v_and_or_b32 v7, v2, s0, 0.5
	v_or_b32_e32 v6, 0x70000000, v6
	v_add_f32_e32 v7, -0.5, v7
	v_mul_f32_e32 v6, 0x7800000, v6
	v_cmp_gt_u32_e32 vcc, s1, v1
	v_bfe_i32 v2, v2, 0, 16
	v_cndmask_b32_e32 v1, v6, v7, vcc
	v_and_or_b32 v1, v2, s50, v1
	v_trunc_f32_e32 v1, v1
	v_mul_f32_e64 v2, |v1|, s51
	v_floor_f32_e32 v2, v2
	v_fma_f32 v6, v2, s53, |v1|
	v_cvt_u32_f32_e32 v6, v6
	v_cvt_u32_f32_e32 v2, v2
	v_ashrrev_i32_e32 v7, 31, v1
	v_xor_b32_e32 v1, v6, v7
	v_xor_b32_e32 v2, v2, v7
	v_sub_co_u32_e32 v1, vcc, v1, v7
	v_subb_co_u32_e32 v2, vcc, v2, v7, vcc
.LBB55_478:
	s_mov_b64 s[50:51], 0
	s_mov_b64 s[0:1], -1
.LBB55_479:
	s_andn2_b64 vcc, exec, s[50:51]
	s_cbranch_vccnz .LBB55_490
; %bb.480:
	s_cmp_gt_i32 s52, 14
	s_cbranch_scc0 .LBB55_483
; %bb.481:
	s_cmp_eq_u32 s52, 15
	s_cbranch_scc0 .LBB55_484
; %bb.482:
	global_load_ushort v1, v[4:5], off
	s_mov_b32 s0, 0x2f800000
	s_mov_b32 s1, 0xcf800000
	s_mov_b64 s[48:49], 0
	s_waitcnt vmcnt(0)
	v_lshlrev_b32_e32 v1, 16, v1
	v_trunc_f32_e32 v1, v1
	v_mul_f32_e64 v2, |v1|, s0
	v_floor_f32_e32 v2, v2
	v_fma_f32 v6, v2, s1, |v1|
	v_cvt_u32_f32_e32 v6, v6
	v_cvt_u32_f32_e32 v2, v2
	v_ashrrev_i32_e32 v7, 31, v1
	s_mov_b64 s[0:1], -1
	v_xor_b32_e32 v1, v6, v7
	v_xor_b32_e32 v2, v2, v7
	v_sub_co_u32_e32 v1, vcc, v1, v7
	v_subb_co_u32_e32 v2, vcc, v2, v7, vcc
	s_branch .LBB55_485
.LBB55_483:
	s_mov_b64 s[50:51], -1
                                        ; implicit-def: $vgpr1_vgpr2
	s_branch .LBB55_486
.LBB55_484:
	s_mov_b64 s[48:49], -1
                                        ; implicit-def: $vgpr1_vgpr2
.LBB55_485:
	s_mov_b64 s[50:51], 0
.LBB55_486:
	s_and_b64 vcc, exec, s[50:51]
	s_cbranch_vccz .LBB55_490
; %bb.487:
	s_cmp_eq_u32 s52, 11
	s_cbranch_scc0 .LBB55_489
; %bb.488:
	global_load_ubyte v1, v[4:5], off
	s_mov_b32 s48, 0
	s_mov_b64 s[0:1], -1
	s_waitcnt vmcnt(1)
	v_mov_b32_e32 v2, s48
	s_mov_b64 s[48:49], 0
	s_waitcnt vmcnt(0)
	v_cmp_ne_u16_e32 vcc, 0, v1
	v_cndmask_b32_e64 v1, 0, 1, vcc
	s_branch .LBB55_490
.LBB55_489:
	s_mov_b64 s[48:49], -1
                                        ; implicit-def: $vgpr1_vgpr2
.LBB55_490:
	s_branch .LBB55_410
.LBB55_491:
	s_and_b32 s14, 0xffff, s14
	s_cmp_lt_i32 s14, 5
	s_cbranch_scc1 .LBB55_496
; %bb.492:
	s_cmp_lt_i32 s14, 8
	s_cbranch_scc1 .LBB55_497
; %bb.493:
	;; [unrolled: 3-line block ×3, first 2 shown]
	s_cmp_gt_i32 s14, 9
	s_cbranch_scc0 .LBB55_499
; %bb.495:
	global_load_dwordx2 v[1:2], v[4:5], off
	s_movk_i32 s0, 0xffe0
	s_waitcnt vmcnt(0)
	v_trunc_f64_e32 v[1:2], v[1:2]
	v_ldexp_f64 v[6:7], v[1:2], s0
	s_mov_b32 s0, 0
	s_mov_b32 s1, 0xc1f00000
	v_floor_f64_e32 v[6:7], v[6:7]
	v_fma_f64 v[8:9], v[6:7], s[0:1], v[1:2]
	v_cvt_i32_f64_e32 v2, v[6:7]
	s_mov_b64 s[0:1], 0
	v_cvt_u32_f64_e32 v1, v[8:9]
	s_branch .LBB55_500
.LBB55_496:
	s_mov_b64 s[0:1], -1
                                        ; implicit-def: $vgpr1_vgpr2
	s_branch .LBB55_518
.LBB55_497:
	s_mov_b64 s[0:1], -1
                                        ; implicit-def: $vgpr1_vgpr2
	s_branch .LBB55_506
.LBB55_498:
	s_mov_b64 s[0:1], -1
                                        ; implicit-def: $vgpr1_vgpr2
	s_branch .LBB55_503
.LBB55_499:
	s_mov_b64 s[0:1], -1
                                        ; implicit-def: $vgpr1_vgpr2
.LBB55_500:
	s_andn2_b64 vcc, exec, s[0:1]
	s_cbranch_vccnz .LBB55_502
; %bb.501:
	global_load_dword v1, v[4:5], off
	s_mov_b32 s0, 0x2f800000
	s_mov_b32 s1, 0xcf800000
	s_waitcnt vmcnt(0)
	v_trunc_f32_e32 v1, v1
	v_mul_f32_e64 v2, |v1|, s0
	v_floor_f32_e32 v2, v2
	v_cvt_u32_f32_e32 v6, v2
	v_fma_f32 v2, v2, s1, |v1|
	v_cvt_u32_f32_e32 v2, v2
	v_ashrrev_i32_e32 v7, 31, v1
	v_xor_b32_e32 v6, v6, v7
	v_xor_b32_e32 v1, v2, v7
	v_sub_co_u32_e32 v1, vcc, v1, v7
	v_subb_co_u32_e32 v2, vcc, v6, v7, vcc
.LBB55_502:
	s_mov_b64 s[0:1], 0
.LBB55_503:
	s_andn2_b64 vcc, exec, s[0:1]
	s_cbranch_vccnz .LBB55_505
; %bb.504:
	global_load_dword v1, v[4:5], off
	s_waitcnt vmcnt(0)
	v_cvt_f32_f16_e32 v1, v1
	v_cvt_i32_f32_e32 v1, v1
	v_ashrrev_i32_e32 v2, 31, v1
.LBB55_505:
	s_mov_b64 s[0:1], 0
.LBB55_506:
	s_andn2_b64 vcc, exec, s[0:1]
	s_cbranch_vccnz .LBB55_517
; %bb.507:
	s_cmp_lt_i32 s14, 6
	s_cbranch_scc1 .LBB55_510
; %bb.508:
	s_cmp_gt_i32 s14, 6
	s_cbranch_scc0 .LBB55_511
; %bb.509:
	global_load_dwordx2 v[1:2], v[4:5], off
	s_movk_i32 s0, 0xffe0
	s_waitcnt vmcnt(0)
	v_trunc_f64_e32 v[1:2], v[1:2]
	v_ldexp_f64 v[6:7], v[1:2], s0
	s_mov_b32 s0, 0
	s_mov_b32 s1, 0xc1f00000
	v_floor_f64_e32 v[6:7], v[6:7]
	v_fma_f64 v[8:9], v[6:7], s[0:1], v[1:2]
	v_cvt_i32_f64_e32 v2, v[6:7]
	s_mov_b64 s[0:1], 0
	v_cvt_u32_f64_e32 v1, v[8:9]
	s_branch .LBB55_512
.LBB55_510:
	s_mov_b64 s[0:1], -1
                                        ; implicit-def: $vgpr1_vgpr2
	s_branch .LBB55_515
.LBB55_511:
	s_mov_b64 s[0:1], -1
                                        ; implicit-def: $vgpr1_vgpr2
.LBB55_512:
	s_andn2_b64 vcc, exec, s[0:1]
	s_cbranch_vccnz .LBB55_514
; %bb.513:
	global_load_dword v1, v[4:5], off
	s_mov_b32 s0, 0x2f800000
	s_mov_b32 s1, 0xcf800000
	s_waitcnt vmcnt(0)
	v_trunc_f32_e32 v1, v1
	v_mul_f32_e64 v2, |v1|, s0
	v_floor_f32_e32 v2, v2
	v_cvt_u32_f32_e32 v6, v2
	v_fma_f32 v2, v2, s1, |v1|
	v_cvt_u32_f32_e32 v2, v2
	v_ashrrev_i32_e32 v7, 31, v1
	v_xor_b32_e32 v6, v6, v7
	v_xor_b32_e32 v1, v2, v7
	v_sub_co_u32_e32 v1, vcc, v1, v7
	v_subb_co_u32_e32 v2, vcc, v6, v7, vcc
.LBB55_514:
	s_mov_b64 s[0:1], 0
.LBB55_515:
	s_andn2_b64 vcc, exec, s[0:1]
	s_cbranch_vccnz .LBB55_517
; %bb.516:
	global_load_ushort v1, v[4:5], off
	s_waitcnt vmcnt(0)
	v_cvt_f32_f16_e32 v1, v1
	v_cvt_i32_f32_e32 v1, v1
	v_ashrrev_i32_e32 v2, 31, v1
.LBB55_517:
	s_mov_b64 s[0:1], 0
.LBB55_518:
	s_andn2_b64 vcc, exec, s[0:1]
	s_cbranch_vccnz .LBB55_538
; %bb.519:
	s_cmp_lt_i32 s14, 2
	s_cbranch_scc1 .LBB55_523
; %bb.520:
	s_cmp_lt_i32 s14, 3
	s_cbranch_scc1 .LBB55_524
; %bb.521:
	s_cmp_gt_i32 s14, 3
	s_cbranch_scc0 .LBB55_525
; %bb.522:
	global_load_dwordx2 v[1:2], v[4:5], off
	s_mov_b64 s[0:1], 0
	s_branch .LBB55_526
.LBB55_523:
	s_mov_b64 s[0:1], -1
                                        ; implicit-def: $vgpr1_vgpr2
	s_branch .LBB55_532
.LBB55_524:
	s_mov_b64 s[0:1], -1
                                        ; implicit-def: $vgpr1_vgpr2
	s_branch .LBB55_529
.LBB55_525:
	s_mov_b64 s[0:1], -1
                                        ; implicit-def: $vgpr1_vgpr2
.LBB55_526:
	s_andn2_b64 vcc, exec, s[0:1]
	s_cbranch_vccnz .LBB55_528
; %bb.527:
	global_load_dword v1, v[4:5], off
	s_waitcnt vmcnt(0)
	v_ashrrev_i32_e32 v2, 31, v1
.LBB55_528:
	s_mov_b64 s[0:1], 0
.LBB55_529:
	s_andn2_b64 vcc, exec, s[0:1]
	s_cbranch_vccnz .LBB55_531
; %bb.530:
	global_load_ushort v1, v[4:5], off
	s_waitcnt vmcnt(0)
	v_bfe_i32 v1, v1, 0, 16
	v_ashrrev_i32_e32 v2, 31, v1
.LBB55_531:
	s_mov_b64 s[0:1], 0
.LBB55_532:
	s_andn2_b64 vcc, exec, s[0:1]
	s_cbranch_vccnz .LBB55_538
; %bb.533:
	s_cmp_gt_i32 s14, 0
	s_cbranch_scc0 .LBB55_535
; %bb.534:
	global_load_sbyte v1, v[4:5], off
	s_mov_b64 s[0:1], 0
	s_waitcnt vmcnt(0)
	v_bfe_i32 v1, v1, 0, 16
	v_ashrrev_i32_e32 v2, 31, v1
	s_branch .LBB55_536
.LBB55_535:
	s_mov_b64 s[0:1], -1
                                        ; implicit-def: $vgpr1_vgpr2
.LBB55_536:
	s_andn2_b64 vcc, exec, s[0:1]
	s_cbranch_vccnz .LBB55_538
; %bb.537:
	global_load_ubyte v1, v[4:5], off
	s_mov_b32 s0, 0
	s_waitcnt vmcnt(1)
	v_mov_b32_e32 v2, s0
	s_waitcnt vmcnt(0)
	v_and_b32_e32 v1, 0xffff, v1
.LBB55_538:
	s_branch .LBB55_411
.LBB55_539:
	s_mov_b64 s[56:57], 0
	s_mov_b64 s[0:1], s[40:41]
	;; [unrolled: 1-line block ×3, first 2 shown]
.LBB55_540:
                                        ; implicit-def: $vgpr10
	s_branch .LBB55_778
.LBB55_541:
	s_andn2_saveexec_b64 s[54:55], s[54:55]
	s_cbranch_execz .LBB55_200
.LBB55_542:
	v_add_f32_e32 v2, 0x42800000, v3
	v_and_b32_e32 v2, 0xff, v2
	v_cmp_ne_u32_e32 vcc, 0, v2
	s_andn2_b64 s[52:53], s[52:53], exec
	s_and_b64 s[58:59], vcc, exec
	s_or_b64 s[52:53], s[52:53], s[58:59]
	s_or_b64 exec, exec, s[54:55]
	v_mov_b32_e32 v4, 0
	s_and_saveexec_b64 s[54:55], s[52:53]
	s_cbranch_execnz .LBB55_201
	s_branch .LBB55_202
.LBB55_543:
	s_mov_b64 s[50:51], -1
                                        ; implicit-def: $vgpr5_vgpr6
	s_mov_b64 s[0:1], 0
.LBB55_544:
	s_and_b64 vcc, exec, s[52:53]
	s_cbranch_vccz .LBB55_548
; %bb.545:
	s_cmp_eq_u32 s56, 44
	s_cbranch_scc0 .LBB55_547
; %bb.546:
	global_load_ubyte v5, v[3:4], off
	s_mov_b32 s0, 0x2f800000
	s_mov_b32 s1, 0xcf800000
	s_mov_b64 s[50:51], 0
	s_waitcnt vmcnt(0)
	v_lshlrev_b32_e32 v6, 23, v5
	v_trunc_f32_e32 v6, v6
	v_mul_f32_e64 v7, |v6|, s0
	v_floor_f32_e32 v7, v7
	v_fma_f32 v8, v7, s1, |v6|
	v_cvt_u32_f32_e32 v8, v8
	v_cvt_u32_f32_e32 v7, v7
	v_ashrrev_i32_e32 v6, 31, v6
	s_mov_b64 s[0:1], -1
	v_xor_b32_e32 v8, v8, v6
	v_xor_b32_e32 v7, v7, v6
	v_sub_co_u32_e32 v8, vcc, v8, v6
	v_subb_co_u32_e32 v6, vcc, v7, v6, vcc
	v_cmp_ne_u32_e32 vcc, 0, v5
	v_cndmask_b32_e32 v6, 0, v6, vcc
	v_cndmask_b32_e32 v5, 0, v8, vcc
	s_branch .LBB55_548
.LBB55_547:
	s_mov_b64 s[50:51], -1
                                        ; implicit-def: $vgpr5_vgpr6
.LBB55_548:
	s_mov_b64 s[52:53], 0
.LBB55_549:
	s_and_b64 vcc, exec, s[52:53]
	s_cbranch_vccz .LBB55_553
; %bb.550:
	s_cmp_eq_u32 s56, 29
	s_cbranch_scc0 .LBB55_552
; %bb.551:
	global_load_dwordx2 v[5:6], v[3:4], off
	s_mov_b64 s[0:1], -1
	s_mov_b64 s[50:51], 0
	s_branch .LBB55_553
.LBB55_552:
	s_mov_b64 s[50:51], -1
                                        ; implicit-def: $vgpr5_vgpr6
.LBB55_553:
	s_mov_b64 s[52:53], 0
.LBB55_554:
	s_and_b64 vcc, exec, s[52:53]
	s_cbranch_vccz .LBB55_572
; %bb.555:
	s_cmp_lt_i32 s56, 27
	s_cbranch_scc1 .LBB55_558
; %bb.556:
	s_cmp_gt_i32 s56, 27
	s_cbranch_scc0 .LBB55_559
; %bb.557:
	global_load_dword v5, v[3:4], off
	s_waitcnt vmcnt(1)
	v_mov_b32_e32 v6, 0
	s_mov_b64 s[0:1], 0
	s_branch .LBB55_560
.LBB55_558:
	s_mov_b64 s[0:1], -1
                                        ; implicit-def: $vgpr5_vgpr6
	s_branch .LBB55_563
.LBB55_559:
	s_mov_b64 s[0:1], -1
                                        ; implicit-def: $vgpr5_vgpr6
.LBB55_560:
	s_andn2_b64 vcc, exec, s[0:1]
	s_cbranch_vccnz .LBB55_562
; %bb.561:
	global_load_ushort v5, v[3:4], off
	s_mov_b32 s0, 0
	s_waitcnt vmcnt(1)
	v_mov_b32_e32 v6, s0
	s_waitcnt vmcnt(0)
	v_and_b32_e32 v5, 0xffff, v5
.LBB55_562:
	s_mov_b64 s[0:1], 0
.LBB55_563:
	s_andn2_b64 vcc, exec, s[0:1]
	s_cbranch_vccnz .LBB55_571
; %bb.564:
	global_load_ubyte v7, v[3:4], off
	s_movk_i32 s0, 0x7f
	s_mov_b64 s[52:53], 0
	s_waitcnt vmcnt(0)
	v_cmp_lt_i16_e32 vcc, s0, v7
	s_and_saveexec_b64 s[0:1], vcc
	s_xor_b64 s[0:1], exec, s[0:1]
; %bb.565:
	s_movk_i32 s52, 0x80
	v_cmp_ne_u16_e32 vcc, s52, v7
	s_and_b64 s[52:53], vcc, exec
; %bb.566:
	s_andn2_saveexec_b64 s[0:1], s[0:1]
; %bb.567:
	v_cmp_ne_u16_e32 vcc, 0, v7
	s_andn2_b64 s[52:53], s[52:53], exec
	s_and_b64 s[58:59], vcc, exec
	s_or_b64 s[52:53], s[52:53], s[58:59]
; %bb.568:
	s_or_b64 exec, exec, s[0:1]
	v_mov_b32_e32 v5, 0
	v_mov_b32_e32 v6, 0
	s_and_saveexec_b64 s[0:1], s[52:53]
	s_cbranch_execz .LBB55_570
; %bb.569:
	v_and_b32_e32 v6, 0xffff, v7
	v_lshlrev_b32_e32 v5, 24, v7
	v_and_b32_e32 v7, 7, v6
	v_ffbh_u32_e32 v9, v7
	v_min_u32_e32 v9, 32, v9
	v_subrev_u32_e32 v11, 28, v9
	v_bfe_u32 v8, v6, 3, 4
	v_lshlrev_b32_e32 v6, v11, v6
	v_sub_u32_e32 v9, 29, v9
	v_and_b32_e32 v6, 7, v6
	v_cmp_eq_u32_e32 vcc, 0, v8
	v_cndmask_b32_e32 v8, v8, v9, vcc
	v_cndmask_b32_e32 v6, v7, v6, vcc
	v_mov_b32_e32 v7, 0x3b800000
	v_lshlrev_b32_e32 v6, 20, v6
	v_and_b32_e32 v5, 0x80000000, v5
	v_lshl_add_u32 v7, v8, 23, v7
	v_or3_b32 v5, v5, v7, v6
	v_trunc_f32_e32 v5, v5
	s_mov_b32 s52, 0x2f800000
	v_mul_f32_e64 v6, |v5|, s52
	v_floor_f32_e32 v6, v6
	s_mov_b32 s52, 0xcf800000
	v_fma_f32 v7, v6, s52, |v5|
	v_cvt_u32_f32_e32 v7, v7
	v_cvt_u32_f32_e32 v6, v6
	v_ashrrev_i32_e32 v8, 31, v5
	v_xor_b32_e32 v5, v7, v8
	v_xor_b32_e32 v6, v6, v8
	v_sub_co_u32_e32 v5, vcc, v5, v8
	v_subb_co_u32_e32 v6, vcc, v6, v8, vcc
.LBB55_570:
	s_or_b64 exec, exec, s[0:1]
.LBB55_571:
	s_mov_b64 s[0:1], -1
.LBB55_572:
	s_mov_b64 s[52:53], 0
.LBB55_573:
	s_and_b64 vcc, exec, s[52:53]
	s_cbranch_vccz .LBB55_604
; %bb.574:
	s_cmp_gt_i32 s56, 22
	s_cbranch_scc0 .LBB55_584
; %bb.575:
	s_cmp_lt_i32 s56, 24
	s_cbranch_scc1 .LBB55_585
; %bb.576:
	s_cmp_gt_i32 s56, 24
	s_cbranch_scc0 .LBB55_586
; %bb.577:
	global_load_ubyte v7, v[3:4], off
	s_movk_i32 s0, 0x7f
	s_mov_b64 s[52:53], 0
	s_waitcnt vmcnt(0)
	v_cmp_lt_i16_e32 vcc, s0, v7
	s_and_saveexec_b64 s[0:1], vcc
	s_xor_b64 s[0:1], exec, s[0:1]
; %bb.578:
	s_movk_i32 s52, 0x80
	v_cmp_ne_u16_e32 vcc, s52, v7
	s_and_b64 s[52:53], vcc, exec
; %bb.579:
	s_andn2_saveexec_b64 s[0:1], s[0:1]
; %bb.580:
	v_cmp_ne_u16_e32 vcc, 0, v7
	s_andn2_b64 s[52:53], s[52:53], exec
	s_and_b64 s[58:59], vcc, exec
	s_or_b64 s[52:53], s[52:53], s[58:59]
; %bb.581:
	s_or_b64 exec, exec, s[0:1]
	v_mov_b32_e32 v5, 0
	v_mov_b32_e32 v6, 0
	s_and_saveexec_b64 s[0:1], s[52:53]
	s_cbranch_execz .LBB55_583
; %bb.582:
	v_and_b32_e32 v6, 0xffff, v7
	v_lshlrev_b32_e32 v5, 24, v7
	v_and_b32_e32 v7, 3, v6
	v_ffbh_u32_e32 v9, v7
	v_min_u32_e32 v9, 32, v9
	v_subrev_u32_e32 v11, 29, v9
	v_bfe_u32 v8, v6, 2, 5
	v_lshlrev_b32_e32 v6, v11, v6
	v_sub_u32_e32 v9, 30, v9
	v_and_b32_e32 v6, 3, v6
	v_cmp_eq_u32_e32 vcc, 0, v8
	v_cndmask_b32_e32 v8, v8, v9, vcc
	v_cndmask_b32_e32 v6, v7, v6, vcc
	v_mov_b32_e32 v7, 0x37800000
	v_lshlrev_b32_e32 v6, 21, v6
	v_and_b32_e32 v5, 0x80000000, v5
	v_lshl_add_u32 v7, v8, 23, v7
	v_or3_b32 v5, v5, v7, v6
	v_trunc_f32_e32 v5, v5
	s_mov_b32 s52, 0x2f800000
	v_mul_f32_e64 v6, |v5|, s52
	v_floor_f32_e32 v6, v6
	s_mov_b32 s52, 0xcf800000
	v_fma_f32 v7, v6, s52, |v5|
	v_cvt_u32_f32_e32 v7, v7
	v_cvt_u32_f32_e32 v6, v6
	v_ashrrev_i32_e32 v8, 31, v5
	v_xor_b32_e32 v5, v7, v8
	v_xor_b32_e32 v6, v6, v8
	v_sub_co_u32_e32 v5, vcc, v5, v8
	v_subb_co_u32_e32 v6, vcc, v6, v8, vcc
.LBB55_583:
	s_or_b64 exec, exec, s[0:1]
	s_mov_b64 s[0:1], 0
	s_branch .LBB55_587
.LBB55_584:
	s_mov_b64 s[52:53], -1
                                        ; implicit-def: $vgpr5_vgpr6
	s_branch .LBB55_593
.LBB55_585:
	s_mov_b64 s[0:1], -1
                                        ; implicit-def: $vgpr5_vgpr6
	s_branch .LBB55_590
.LBB55_586:
	s_mov_b64 s[0:1], -1
                                        ; implicit-def: $vgpr5_vgpr6
.LBB55_587:
	s_and_b64 vcc, exec, s[0:1]
	s_cbranch_vccz .LBB55_589
; %bb.588:
	global_load_ubyte v5, v[3:4], off
	s_mov_b32 s0, 0x7f800000
	s_brev_b32 s1, 1
	s_mov_b32 s52, 0x2f800000
	s_mov_b32 s53, 0xcf800000
	s_waitcnt vmcnt(0)
	v_lshlrev_b32_e32 v5, 24, v5
	v_and_b32_e32 v6, 0x7f000000, v5
	v_ffbh_u32_e32 v7, v6
	v_min_u32_e32 v7, 32, v7
	v_sub_u32_e64 v7, v7, 4 clamp
	v_lshlrev_b32_e32 v9, v7, v6
	v_lshlrev_b32_e32 v7, 23, v7
	v_lshrrev_b32_e32 v9, 4, v9
	v_add_u32_e32 v8, 0x1000000, v6
	v_sub_u32_e32 v7, v9, v7
	v_ashrrev_i32_e32 v8, 8, v8
	v_add_u32_e32 v7, 0x3c000000, v7
	v_and_or_b32 v7, v8, s0, v7
	v_cmp_ne_u32_e32 vcc, 0, v6
	v_cndmask_b32_e32 v6, 0, v7, vcc
	v_and_or_b32 v5, v5, s1, v6
	v_trunc_f32_e32 v5, v5
	v_mul_f32_e64 v6, |v5|, s52
	v_floor_f32_e32 v6, v6
	v_fma_f32 v7, v6, s53, |v5|
	v_cvt_u32_f32_e32 v7, v7
	v_cvt_u32_f32_e32 v6, v6
	v_ashrrev_i32_e32 v8, 31, v5
	v_xor_b32_e32 v5, v7, v8
	v_xor_b32_e32 v6, v6, v8
	v_sub_co_u32_e32 v5, vcc, v5, v8
	v_subb_co_u32_e32 v6, vcc, v6, v8, vcc
.LBB55_589:
	s_mov_b64 s[0:1], 0
.LBB55_590:
	s_andn2_b64 vcc, exec, s[0:1]
	s_cbranch_vccnz .LBB55_592
; %bb.591:
	global_load_ubyte v5, v[3:4], off
	s_movk_i32 s0, 0x7f00
	s_brev_b32 s1, 16
	s_brev_b32 s52, 1
	s_mov_b32 s53, 0x2f800000
	s_mov_b32 s57, 0xcf800000
	s_waitcnt vmcnt(0)
	v_lshlrev_b16_e32 v6, 8, v5
	v_lshlrev_b32_e32 v5, 25, v5
	v_lshrrev_b32_e32 v7, 4, v5
	v_and_or_b32 v8, v6, s0, 0.5
	v_or_b32_e32 v7, 0x70000000, v7
	v_add_f32_e32 v8, -0.5, v8
	v_mul_f32_e32 v7, 0x7800000, v7
	v_cmp_gt_u32_e32 vcc, s1, v5
	v_bfe_i32 v6, v6, 0, 16
	v_cndmask_b32_e32 v5, v7, v8, vcc
	v_and_or_b32 v5, v6, s52, v5
	v_trunc_f32_e32 v5, v5
	v_mul_f32_e64 v6, |v5|, s53
	v_floor_f32_e32 v6, v6
	v_fma_f32 v7, v6, s57, |v5|
	v_cvt_u32_f32_e32 v7, v7
	v_cvt_u32_f32_e32 v6, v6
	v_ashrrev_i32_e32 v8, 31, v5
	v_xor_b32_e32 v5, v7, v8
	v_xor_b32_e32 v6, v6, v8
	v_sub_co_u32_e32 v5, vcc, v5, v8
	v_subb_co_u32_e32 v6, vcc, v6, v8, vcc
.LBB55_592:
	s_mov_b64 s[52:53], 0
	s_mov_b64 s[0:1], -1
.LBB55_593:
	s_andn2_b64 vcc, exec, s[52:53]
	s_cbranch_vccnz .LBB55_604
; %bb.594:
	s_cmp_gt_i32 s56, 14
	s_cbranch_scc0 .LBB55_597
; %bb.595:
	s_cmp_eq_u32 s56, 15
	s_cbranch_scc0 .LBB55_598
; %bb.596:
	global_load_ushort v5, v[3:4], off
	s_mov_b32 s0, 0x2f800000
	s_mov_b32 s1, 0xcf800000
	s_mov_b64 s[50:51], 0
	s_waitcnt vmcnt(0)
	v_lshlrev_b32_e32 v5, 16, v5
	v_trunc_f32_e32 v5, v5
	v_mul_f32_e64 v6, |v5|, s0
	v_floor_f32_e32 v6, v6
	v_fma_f32 v7, v6, s1, |v5|
	v_cvt_u32_f32_e32 v7, v7
	v_cvt_u32_f32_e32 v6, v6
	v_ashrrev_i32_e32 v8, 31, v5
	s_mov_b64 s[0:1], -1
	v_xor_b32_e32 v5, v7, v8
	v_xor_b32_e32 v6, v6, v8
	v_sub_co_u32_e32 v5, vcc, v5, v8
	v_subb_co_u32_e32 v6, vcc, v6, v8, vcc
	s_branch .LBB55_599
.LBB55_597:
	s_mov_b64 s[52:53], -1
                                        ; implicit-def: $vgpr5_vgpr6
	s_branch .LBB55_600
.LBB55_598:
	s_mov_b64 s[50:51], -1
                                        ; implicit-def: $vgpr5_vgpr6
.LBB55_599:
	s_mov_b64 s[52:53], 0
.LBB55_600:
	s_and_b64 vcc, exec, s[52:53]
	s_cbranch_vccz .LBB55_604
; %bb.601:
	s_cmp_eq_u32 s56, 11
	s_cbranch_scc0 .LBB55_603
; %bb.602:
	global_load_ubyte v5, v[3:4], off
	s_mov_b32 s50, 0
	s_mov_b64 s[0:1], -1
	s_waitcnt vmcnt(1)
	v_mov_b32_e32 v6, s50
	s_mov_b64 s[50:51], 0
	s_waitcnt vmcnt(0)
	v_cmp_ne_u16_e32 vcc, 0, v5
	v_cndmask_b32_e64 v5, 0, 1, vcc
	s_branch .LBB55_604
.LBB55_603:
	s_mov_b64 s[50:51], -1
                                        ; implicit-def: $vgpr5_vgpr6
.LBB55_604:
	s_mov_b64 s[52:53], 0
.LBB55_605:
	s_and_b64 vcc, exec, s[52:53]
	s_cbranch_vccz .LBB55_654
; %bb.606:
	s_and_b32 s14, 0xffff, s14
	s_cmp_lt_i32 s14, 5
	s_cbranch_scc1 .LBB55_611
; %bb.607:
	s_cmp_lt_i32 s14, 8
	s_cbranch_scc1 .LBB55_612
; %bb.608:
	;; [unrolled: 3-line block ×3, first 2 shown]
	s_cmp_gt_i32 s14, 9
	s_cbranch_scc0 .LBB55_614
; %bb.610:
	global_load_dwordx2 v[5:6], v[3:4], off
	s_movk_i32 s0, 0xffe0
	s_waitcnt vmcnt(0)
	v_trunc_f64_e32 v[5:6], v[5:6]
	v_ldexp_f64 v[7:8], v[5:6], s0
	s_mov_b32 s0, 0
	s_mov_b32 s1, 0xc1f00000
	v_floor_f64_e32 v[7:8], v[7:8]
	v_fma_f64 v[11:12], v[7:8], s[0:1], v[5:6]
	v_cvt_i32_f64_e32 v6, v[7:8]
	s_mov_b64 s[0:1], 0
	v_cvt_u32_f64_e32 v5, v[11:12]
	s_branch .LBB55_615
.LBB55_611:
	s_mov_b64 s[0:1], -1
                                        ; implicit-def: $vgpr5_vgpr6
	s_branch .LBB55_633
.LBB55_612:
	s_mov_b64 s[0:1], -1
                                        ; implicit-def: $vgpr5_vgpr6
	s_branch .LBB55_621
.LBB55_613:
	s_mov_b64 s[0:1], -1
                                        ; implicit-def: $vgpr5_vgpr6
	s_branch .LBB55_618
.LBB55_614:
	s_mov_b64 s[0:1], -1
                                        ; implicit-def: $vgpr5_vgpr6
.LBB55_615:
	s_andn2_b64 vcc, exec, s[0:1]
	s_cbranch_vccnz .LBB55_617
; %bb.616:
	global_load_dword v5, v[3:4], off
	s_mov_b32 s0, 0x2f800000
	s_mov_b32 s1, 0xcf800000
	s_waitcnt vmcnt(0)
	v_trunc_f32_e32 v5, v5
	v_mul_f32_e64 v6, |v5|, s0
	v_floor_f32_e32 v6, v6
	v_cvt_u32_f32_e32 v7, v6
	v_fma_f32 v6, v6, s1, |v5|
	v_cvt_u32_f32_e32 v6, v6
	v_ashrrev_i32_e32 v8, 31, v5
	v_xor_b32_e32 v7, v7, v8
	v_xor_b32_e32 v5, v6, v8
	v_sub_co_u32_e32 v5, vcc, v5, v8
	v_subb_co_u32_e32 v6, vcc, v7, v8, vcc
.LBB55_617:
	s_mov_b64 s[0:1], 0
.LBB55_618:
	s_andn2_b64 vcc, exec, s[0:1]
	s_cbranch_vccnz .LBB55_620
; %bb.619:
	global_load_dword v5, v[3:4], off
	s_waitcnt vmcnt(0)
	v_cvt_f32_f16_e32 v5, v5
	v_cvt_i32_f32_e32 v5, v5
	v_ashrrev_i32_e32 v6, 31, v5
.LBB55_620:
	s_mov_b64 s[0:1], 0
.LBB55_621:
	s_andn2_b64 vcc, exec, s[0:1]
	s_cbranch_vccnz .LBB55_632
; %bb.622:
	s_cmp_lt_i32 s14, 6
	s_cbranch_scc1 .LBB55_625
; %bb.623:
	s_cmp_gt_i32 s14, 6
	s_cbranch_scc0 .LBB55_626
; %bb.624:
	global_load_dwordx2 v[5:6], v[3:4], off
	s_movk_i32 s0, 0xffe0
	s_waitcnt vmcnt(0)
	v_trunc_f64_e32 v[5:6], v[5:6]
	v_ldexp_f64 v[7:8], v[5:6], s0
	s_mov_b32 s0, 0
	s_mov_b32 s1, 0xc1f00000
	v_floor_f64_e32 v[7:8], v[7:8]
	v_fma_f64 v[11:12], v[7:8], s[0:1], v[5:6]
	v_cvt_i32_f64_e32 v6, v[7:8]
	s_mov_b64 s[0:1], 0
	v_cvt_u32_f64_e32 v5, v[11:12]
	s_branch .LBB55_627
.LBB55_625:
	s_mov_b64 s[0:1], -1
                                        ; implicit-def: $vgpr5_vgpr6
	s_branch .LBB55_630
.LBB55_626:
	s_mov_b64 s[0:1], -1
                                        ; implicit-def: $vgpr5_vgpr6
.LBB55_627:
	s_andn2_b64 vcc, exec, s[0:1]
	s_cbranch_vccnz .LBB55_629
; %bb.628:
	global_load_dword v5, v[3:4], off
	s_mov_b32 s0, 0x2f800000
	s_mov_b32 s1, 0xcf800000
	s_waitcnt vmcnt(0)
	v_trunc_f32_e32 v5, v5
	v_mul_f32_e64 v6, |v5|, s0
	v_floor_f32_e32 v6, v6
	v_cvt_u32_f32_e32 v7, v6
	v_fma_f32 v6, v6, s1, |v5|
	v_cvt_u32_f32_e32 v6, v6
	v_ashrrev_i32_e32 v8, 31, v5
	v_xor_b32_e32 v7, v7, v8
	v_xor_b32_e32 v5, v6, v8
	v_sub_co_u32_e32 v5, vcc, v5, v8
	v_subb_co_u32_e32 v6, vcc, v7, v8, vcc
.LBB55_629:
	s_mov_b64 s[0:1], 0
.LBB55_630:
	s_andn2_b64 vcc, exec, s[0:1]
	s_cbranch_vccnz .LBB55_632
; %bb.631:
	global_load_ushort v5, v[3:4], off
	s_waitcnt vmcnt(0)
	v_cvt_f32_f16_e32 v5, v5
	v_cvt_i32_f32_e32 v5, v5
	v_ashrrev_i32_e32 v6, 31, v5
.LBB55_632:
	s_mov_b64 s[0:1], 0
.LBB55_633:
	s_andn2_b64 vcc, exec, s[0:1]
	s_cbranch_vccnz .LBB55_653
; %bb.634:
	s_cmp_lt_i32 s14, 2
	s_cbranch_scc1 .LBB55_638
; %bb.635:
	s_cmp_lt_i32 s14, 3
	s_cbranch_scc1 .LBB55_639
; %bb.636:
	s_cmp_gt_i32 s14, 3
	s_cbranch_scc0 .LBB55_640
; %bb.637:
	global_load_dwordx2 v[5:6], v[3:4], off
	s_mov_b64 s[0:1], 0
	s_branch .LBB55_641
.LBB55_638:
	s_mov_b64 s[0:1], -1
                                        ; implicit-def: $vgpr5_vgpr6
	s_branch .LBB55_647
.LBB55_639:
	s_mov_b64 s[0:1], -1
                                        ; implicit-def: $vgpr5_vgpr6
	s_branch .LBB55_644
.LBB55_640:
	s_mov_b64 s[0:1], -1
                                        ; implicit-def: $vgpr5_vgpr6
.LBB55_641:
	s_andn2_b64 vcc, exec, s[0:1]
	s_cbranch_vccnz .LBB55_643
; %bb.642:
	global_load_dword v5, v[3:4], off
	s_waitcnt vmcnt(0)
	v_ashrrev_i32_e32 v6, 31, v5
.LBB55_643:
	s_mov_b64 s[0:1], 0
.LBB55_644:
	s_andn2_b64 vcc, exec, s[0:1]
	s_cbranch_vccnz .LBB55_646
; %bb.645:
	global_load_ushort v5, v[3:4], off
	s_waitcnt vmcnt(0)
	v_bfe_i32 v5, v5, 0, 16
	v_ashrrev_i32_e32 v6, 31, v5
.LBB55_646:
	s_mov_b64 s[0:1], 0
.LBB55_647:
	s_andn2_b64 vcc, exec, s[0:1]
	s_cbranch_vccnz .LBB55_653
; %bb.648:
	s_cmp_gt_i32 s14, 0
	s_cbranch_scc0 .LBB55_650
; %bb.649:
	global_load_sbyte v5, v[3:4], off
	s_mov_b64 s[0:1], 0
	s_waitcnt vmcnt(0)
	v_bfe_i32 v5, v5, 0, 16
	v_ashrrev_i32_e32 v6, 31, v5
	s_branch .LBB55_651
.LBB55_650:
	s_mov_b64 s[0:1], -1
                                        ; implicit-def: $vgpr5_vgpr6
.LBB55_651:
	s_andn2_b64 vcc, exec, s[0:1]
	s_cbranch_vccnz .LBB55_653
; %bb.652:
	global_load_ubyte v3, v[3:4], off
	s_mov_b32 s0, 0
	s_waitcnt vmcnt(1)
	v_mov_b32_e32 v6, s0
	s_waitcnt vmcnt(0)
	v_and_b32_e32 v5, 0xffff, v3
.LBB55_653:
	s_mov_b64 s[0:1], -1
.LBB55_654:
	s_andn2_b64 vcc, exec, s[0:1]
	s_cbranch_vccnz .LBB55_662
; %bb.655:
	s_waitcnt vmcnt(0)
	v_cmp_ne_u64_e32 vcc, v[1:2], v[5:6]
	v_mov_b32_e32 v1, s9
	s_xor_b64 s[52:53], s[28:29], vcc
	s_and_b32 s14, s15, 0xff
	v_add_co_u32_e32 v0, vcc, s8, v0
	s_cmp_lt_i32 s14, 11
	v_addc_co_u32_e32 v1, vcc, 0, v1, vcc
	s_cbranch_scc1 .LBB55_663
; %bb.656:
	s_and_b32 s62, 0xffff, s14
	s_cmp_gt_i32 s62, 25
	s_cbranch_scc0 .LBB55_664
; %bb.657:
	s_cmp_gt_i32 s62, 28
	s_cbranch_scc0 .LBB55_665
; %bb.658:
	;; [unrolled: 3-line block ×4, first 2 shown]
	s_mov_b64 s[58:59], 0
	s_mov_b64 s[0:1], -1
	s_cmp_eq_u32 s62, 46
	s_mov_b64 s[56:57], 0
	s_cbranch_scc0 .LBB55_668
; %bb.661:
	v_cndmask_b32_e64 v2, 0, 1.0, s[52:53]
	v_bfe_u32 v3, v2, 16, 1
	s_movk_i32 s0, 0x7fff
	v_add3_u32 v2, v2, v3, s0
	v_lshrrev_b32_e32 v2, 16, v2
	global_store_dword v[0:1], v2, off
	s_mov_b64 s[56:57], -1
	s_mov_b64 s[0:1], 0
	s_branch .LBB55_668
.LBB55_662:
	s_mov_b64 s[56:57], 0
                                        ; implicit-def: $vgpr10
	s_mov_b64 s[0:1], s[40:41]
	s_branch .LBB55_778
.LBB55_663:
	s_mov_b64 s[58:59], -1
	s_mov_b64 s[56:57], 0
	s_mov_b64 s[0:1], s[40:41]
	s_branch .LBB55_737
.LBB55_664:
	s_mov_b64 s[58:59], -1
	s_mov_b64 s[56:57], 0
	s_mov_b64 s[0:1], s[40:41]
	s_branch .LBB55_695
.LBB55_665:
	s_mov_b64 s[58:59], -1
	s_mov_b64 s[56:57], 0
	s_mov_b64 s[0:1], s[40:41]
	s_branch .LBB55_678
.LBB55_666:
	s_mov_b64 s[58:59], -1
	s_mov_b64 s[56:57], 0
	s_mov_b64 s[0:1], s[40:41]
	s_branch .LBB55_674
.LBB55_667:
	s_mov_b64 s[58:59], -1
	s_mov_b64 s[56:57], 0
	s_mov_b64 s[0:1], s[40:41]
.LBB55_668:
	s_and_b64 vcc, exec, s[58:59]
	s_cbranch_vccz .LBB55_673
; %bb.669:
	s_cmp_eq_u32 s62, 44
	s_mov_b64 s[0:1], -1
	s_cbranch_scc0 .LBB55_673
; %bb.670:
	v_cndmask_b32_e64 v3, 0, 1.0, s[52:53]
	v_lshrrev_b32_e32 v2, 23, v3
	s_movk_i32 s0, 0xff
	v_cmp_ne_u32_e32 vcc, s0, v2
	v_mov_b32_e32 v4, 0xff
	s_and_saveexec_b64 s[56:57], vcc
; %bb.671:
	s_mov_b32 s0, 0x3fffff
	v_and_b32_e32 v4, 0x400000, v3
	v_and_or_b32 v3, v3, s0, v2
	v_cmp_ne_u32_e32 vcc, 0, v4
	v_cmp_ne_u32_e64 s[0:1], 0, v3
	s_and_b64 s[0:1], vcc, s[0:1]
	v_cndmask_b32_e64 v3, 0, 1, s[0:1]
	v_add_u32_e32 v4, v2, v3
; %bb.672:
	s_or_b64 exec, exec, s[56:57]
	s_mov_b64 s[56:57], -1
	s_mov_b64 s[0:1], 0
	global_store_byte v[0:1], v4, off
.LBB55_673:
	s_mov_b64 s[58:59], 0
.LBB55_674:
	s_and_b64 vcc, exec, s[58:59]
	s_cbranch_vccz .LBB55_677
; %bb.675:
	s_cmp_eq_u32 s62, 29
	s_mov_b64 s[0:1], -1
	s_cbranch_scc0 .LBB55_677
; %bb.676:
	s_mov_b32 s0, 0
	v_cndmask_b32_e64 v2, 0, 1, s[52:53]
	v_mov_b32_e32 v3, s0
	global_store_dwordx2 v[0:1], v[2:3], off
	s_mov_b64 s[56:57], -1
	s_mov_b64 s[0:1], 0
.LBB55_677:
	s_mov_b64 s[58:59], 0
.LBB55_678:
	s_and_b64 vcc, exec, s[58:59]
	s_cbranch_vccz .LBB55_694
; %bb.679:
	s_cmp_lt_i32 s62, 27
	s_mov_b64 s[56:57], -1
	s_cbranch_scc1 .LBB55_685
; %bb.680:
	s_cmp_gt_i32 s62, 27
	s_cbranch_scc0 .LBB55_682
; %bb.681:
	v_cndmask_b32_e64 v2, 0, 1, s[52:53]
	s_mov_b64 s[56:57], 0
	global_store_dword v[0:1], v2, off
.LBB55_682:
	s_andn2_b64 vcc, exec, s[56:57]
	s_cbranch_vccnz .LBB55_684
; %bb.683:
	v_cndmask_b32_e64 v2, 0, 1, s[52:53]
	global_store_short v[0:1], v2, off
.LBB55_684:
	s_mov_b64 s[56:57], 0
.LBB55_685:
	s_andn2_b64 vcc, exec, s[56:57]
	s_cbranch_vccnz .LBB55_693
; %bb.686:
	v_cndmask_b32_e64 v3, 0, 1.0, s[52:53]
	s_mov_b32 s56, 0x43800000
	v_cmp_gt_u32_e32 vcc, s56, v3
	v_mov_b32_e32 v4, 0x80
	s_and_saveexec_b64 s[56:57], vcc
	s_cbranch_execz .LBB55_692
; %bb.687:
	s_mov_b32 s58, 0x3bffffff
	v_cmp_lt_u32_e32 vcc, s58, v3
	s_mov_b64 s[58:59], 0
                                        ; implicit-def: $vgpr2
	s_and_saveexec_b64 s[60:61], vcc
	s_xor_b64 s[60:61], exec, s[60:61]
	s_cbranch_execz .LBB55_806
; %bb.688:
	v_bfe_u32 v2, v3, 20, 1
	s_mov_b32 s63, 0x487ffff
	v_add3_u32 v2, v3, v2, s63
	s_mov_b64 s[58:59], exec
	v_lshrrev_b32_e32 v2, 20, v2
                                        ; implicit-def: $vgpr3
	s_andn2_saveexec_b64 s[60:61], s[60:61]
	s_cbranch_execnz .LBB55_807
.LBB55_689:
	s_or_b64 exec, exec, s[60:61]
	v_mov_b32_e32 v4, 0
	s_and_saveexec_b64 s[60:61], s[58:59]
.LBB55_690:
	v_mov_b32_e32 v4, v2
.LBB55_691:
	s_or_b64 exec, exec, s[60:61]
.LBB55_692:
	s_or_b64 exec, exec, s[56:57]
	global_store_byte v[0:1], v4, off
.LBB55_693:
	s_mov_b64 s[56:57], -1
.LBB55_694:
	s_mov_b64 s[58:59], 0
.LBB55_695:
	s_and_b64 vcc, exec, s[58:59]
	s_cbranch_vccz .LBB55_736
; %bb.696:
	s_cmp_gt_i32 s62, 22
	s_mov_b64 s[58:59], -1
	s_cbranch_scc0 .LBB55_728
; %bb.697:
	s_cmp_lt_i32 s62, 24
	s_mov_b64 s[56:57], -1
	s_cbranch_scc1 .LBB55_717
; %bb.698:
	s_cmp_gt_i32 s62, 24
	s_cbranch_scc0 .LBB55_706
; %bb.699:
	v_cndmask_b32_e64 v3, 0, 1.0, s[52:53]
	s_mov_b32 s56, 0x47800000
	v_cmp_gt_u32_e32 vcc, s56, v3
	v_mov_b32_e32 v4, 0x80
	s_and_saveexec_b64 s[56:57], vcc
	s_cbranch_execz .LBB55_705
; %bb.700:
	s_mov_b32 s58, 0x37ffffff
	v_cmp_lt_u32_e32 vcc, s58, v3
	s_mov_b64 s[58:59], 0
                                        ; implicit-def: $vgpr2
	s_and_saveexec_b64 s[60:61], vcc
	s_xor_b64 s[60:61], exec, s[60:61]
	s_cbranch_execz .LBB55_934
; %bb.701:
	v_bfe_u32 v2, v3, 21, 1
	s_mov_b32 s63, 0x88fffff
	v_add3_u32 v2, v3, v2, s63
	s_mov_b64 s[58:59], exec
	v_lshrrev_b32_e32 v2, 21, v2
                                        ; implicit-def: $vgpr3
	s_andn2_saveexec_b64 s[60:61], s[60:61]
	s_cbranch_execnz .LBB55_935
.LBB55_702:
	s_or_b64 exec, exec, s[60:61]
	v_mov_b32_e32 v4, 0
	s_and_saveexec_b64 s[60:61], s[58:59]
.LBB55_703:
	v_mov_b32_e32 v4, v2
.LBB55_704:
	s_or_b64 exec, exec, s[60:61]
.LBB55_705:
	s_or_b64 exec, exec, s[56:57]
	s_mov_b64 s[56:57], 0
	global_store_byte v[0:1], v4, off
.LBB55_706:
	s_and_b64 vcc, exec, s[56:57]
	s_cbranch_vccz .LBB55_716
; %bb.707:
	v_cndmask_b32_e64 v2, 0, 1.0, s[52:53]
	s_mov_b32 s56, 0x43f00000
	v_cmp_gt_u32_e32 vcc, s56, v2
                                        ; implicit-def: $vgpr3
	s_and_saveexec_b64 s[56:57], vcc
	s_xor_b64 s[56:57], exec, s[56:57]
	s_cbranch_execz .LBB55_713
; %bb.708:
	s_mov_b32 s58, 0x3c7fffff
	v_cmp_lt_u32_e32 vcc, s58, v2
                                        ; implicit-def: $vgpr3
	s_and_saveexec_b64 s[58:59], vcc
	s_xor_b64 s[58:59], exec, s[58:59]
; %bb.709:
	v_bfe_u32 v3, v2, 20, 1
	s_mov_b32 s60, 0x407ffff
	v_add3_u32 v2, v2, v3, s60
	v_lshrrev_b32_e32 v3, 20, v2
	v_and_b32_e32 v2, 0xff00000, v2
	s_mov_b32 s60, 0x7f00000
	v_mov_b32_e32 v4, 0x7e
	v_cmp_ne_u32_e32 vcc, s60, v2
	v_cndmask_b32_e32 v3, v4, v3, vcc
                                        ; implicit-def: $vgpr2
; %bb.710:
	s_andn2_saveexec_b64 s[58:59], s[58:59]
; %bb.711:
	v_add_f32_e32 v3, 0x46800000, v2
; %bb.712:
	s_or_b64 exec, exec, s[58:59]
                                        ; implicit-def: $vgpr2
.LBB55_713:
	s_andn2_saveexec_b64 s[56:57], s[56:57]
; %bb.714:
	s_mov_b32 s58, 0x7f800000
	v_mov_b32_e32 v3, 0x7e
	v_mov_b32_e32 v4, 0x7f
	v_cmp_lt_u32_e32 vcc, s58, v2
	v_cndmask_b32_e32 v3, v3, v4, vcc
; %bb.715:
	s_or_b64 exec, exec, s[56:57]
	global_store_byte v[0:1], v3, off
.LBB55_716:
	s_mov_b64 s[56:57], 0
.LBB55_717:
	s_andn2_b64 vcc, exec, s[56:57]
	s_cbranch_vccnz .LBB55_727
; %bb.718:
	v_cndmask_b32_e64 v2, 0, 1.0, s[52:53]
	s_mov_b32 s56, 0x47800000
	v_cmp_gt_u32_e32 vcc, s56, v2
                                        ; implicit-def: $vgpr3
	s_and_saveexec_b64 s[56:57], vcc
	s_xor_b64 s[56:57], exec, s[56:57]
	s_cbranch_execz .LBB55_724
; %bb.719:
	s_mov_b32 s58, 0x387fffff
	v_cmp_lt_u32_e32 vcc, s58, v2
                                        ; implicit-def: $vgpr3
	s_and_saveexec_b64 s[58:59], vcc
	s_xor_b64 s[58:59], exec, s[58:59]
; %bb.720:
	v_bfe_u32 v3, v2, 21, 1
	s_mov_b32 s60, 0x80fffff
	v_add3_u32 v2, v2, v3, s60
	v_lshrrev_b32_e32 v3, 21, v2
                                        ; implicit-def: $vgpr2
; %bb.721:
	s_andn2_saveexec_b64 s[58:59], s[58:59]
; %bb.722:
	v_add_f32_e32 v3, 0x43000000, v2
; %bb.723:
	s_or_b64 exec, exec, s[58:59]
                                        ; implicit-def: $vgpr2
.LBB55_724:
	s_andn2_saveexec_b64 s[56:57], s[56:57]
; %bb.725:
	s_mov_b32 s58, 0x7f800000
	v_mov_b32_e32 v3, 0x7c
	v_mov_b32_e32 v4, 0x7f
	v_cmp_lt_u32_e32 vcc, s58, v2
	v_cndmask_b32_e32 v3, v3, v4, vcc
; %bb.726:
	s_or_b64 exec, exec, s[56:57]
	global_store_byte v[0:1], v3, off
.LBB55_727:
	s_mov_b64 s[58:59], 0
	s_mov_b64 s[56:57], -1
.LBB55_728:
	s_andn2_b64 vcc, exec, s[58:59]
	s_cbranch_vccnz .LBB55_736
; %bb.729:
	s_cmp_gt_i32 s62, 14
	s_mov_b64 s[58:59], -1
	s_cbranch_scc0 .LBB55_733
; %bb.730:
	s_cmp_eq_u32 s62, 15
	s_mov_b64 s[0:1], -1
	s_cbranch_scc0 .LBB55_732
; %bb.731:
	v_cndmask_b32_e64 v2, 0, 1.0, s[52:53]
	v_bfe_u32 v3, v2, 16, 1
	s_movk_i32 s0, 0x7fff
	v_add3_u32 v2, v2, v3, s0
	global_store_short_d16_hi v[0:1], v2, off
	s_mov_b64 s[56:57], -1
	s_mov_b64 s[0:1], 0
.LBB55_732:
	s_mov_b64 s[58:59], 0
.LBB55_733:
	s_and_b64 vcc, exec, s[58:59]
	s_cbranch_vccz .LBB55_736
; %bb.734:
	s_cmp_eq_u32 s62, 11
	s_mov_b64 s[0:1], -1
	s_cbranch_scc0 .LBB55_736
; %bb.735:
	v_cndmask_b32_e64 v2, 0, 1, s[52:53]
	s_mov_b64 s[56:57], -1
	s_mov_b64 s[0:1], 0
	global_store_byte v[0:1], v2, off
.LBB55_736:
	s_mov_b64 s[58:59], 0
.LBB55_737:
	s_and_b64 vcc, exec, s[58:59]
	s_cbranch_vccz .LBB55_776
; %bb.738:
	s_and_b32 s14, 0xffff, s14
	s_cmp_lt_i32 s14, 5
	s_mov_b64 s[56:57], -1
	s_cbranch_scc1 .LBB55_759
; %bb.739:
	s_cmp_lt_i32 s14, 8
	s_cbranch_scc1 .LBB55_749
; %bb.740:
	s_cmp_lt_i32 s14, 9
	s_cbranch_scc1 .LBB55_746
; %bb.741:
	s_cmp_gt_i32 s14, 9
	s_cbranch_scc0 .LBB55_743
; %bb.742:
	v_cndmask_b32_e64 v2, 0, 1, s[52:53]
	v_cvt_f64_u32_e32 v[2:3], v2
	v_mov_b32_e32 v4, 0
	v_mov_b32_e32 v5, v4
	s_mov_b64 s[56:57], 0
	global_store_dwordx4 v[0:1], v[2:5], off
.LBB55_743:
	s_andn2_b64 vcc, exec, s[56:57]
	s_cbranch_vccnz .LBB55_745
; %bb.744:
	v_cndmask_b32_e64 v2, 0, 1.0, s[52:53]
	v_mov_b32_e32 v3, 0
	global_store_dwordx2 v[0:1], v[2:3], off
.LBB55_745:
	s_mov_b64 s[56:57], 0
.LBB55_746:
	s_andn2_b64 vcc, exec, s[56:57]
	s_cbranch_vccnz .LBB55_748
; %bb.747:
	v_cndmask_b32_e64 v2, 0, 1.0, s[52:53]
	v_cvt_f16_f32_e32 v2, v2
	global_store_dword v[0:1], v2, off
.LBB55_748:
	s_mov_b64 s[56:57], 0
.LBB55_749:
	s_andn2_b64 vcc, exec, s[56:57]
	s_cbranch_vccnz .LBB55_758
; %bb.750:
	s_cmp_lt_i32 s14, 6
	s_mov_b64 s[56:57], -1
	s_cbranch_scc1 .LBB55_756
; %bb.751:
	s_cmp_gt_i32 s14, 6
	s_cbranch_scc0 .LBB55_753
; %bb.752:
	v_cndmask_b32_e64 v2, 0, 1, s[52:53]
	v_cvt_f64_u32_e32 v[2:3], v2
	s_mov_b64 s[56:57], 0
	global_store_dwordx2 v[0:1], v[2:3], off
.LBB55_753:
	s_andn2_b64 vcc, exec, s[56:57]
	s_cbranch_vccnz .LBB55_755
; %bb.754:
	v_cndmask_b32_e64 v2, 0, 1.0, s[52:53]
	global_store_dword v[0:1], v2, off
.LBB55_755:
	s_mov_b64 s[56:57], 0
.LBB55_756:
	s_andn2_b64 vcc, exec, s[56:57]
	s_cbranch_vccnz .LBB55_758
; %bb.757:
	v_cndmask_b32_e64 v2, 0, 1.0, s[52:53]
	v_cvt_f16_f32_e32 v2, v2
	global_store_short v[0:1], v2, off
.LBB55_758:
	s_mov_b64 s[56:57], 0
.LBB55_759:
	s_andn2_b64 vcc, exec, s[56:57]
	s_cbranch_vccnz .LBB55_775
; %bb.760:
	s_cmp_lt_i32 s14, 2
	s_mov_b64 s[56:57], -1
	s_cbranch_scc1 .LBB55_770
; %bb.761:
	s_cmp_lt_i32 s14, 3
	s_cbranch_scc1 .LBB55_767
; %bb.762:
	s_cmp_gt_i32 s14, 3
	s_cbranch_scc0 .LBB55_764
; %bb.763:
	s_mov_b32 s56, 0
	v_cndmask_b32_e64 v2, 0, 1, s[52:53]
	v_mov_b32_e32 v3, s56
	s_mov_b64 s[56:57], 0
	global_store_dwordx2 v[0:1], v[2:3], off
.LBB55_764:
	s_andn2_b64 vcc, exec, s[56:57]
	s_cbranch_vccnz .LBB55_766
; %bb.765:
	v_cndmask_b32_e64 v2, 0, 1, s[52:53]
	global_store_dword v[0:1], v2, off
.LBB55_766:
	s_mov_b64 s[56:57], 0
.LBB55_767:
	s_andn2_b64 vcc, exec, s[56:57]
	s_cbranch_vccnz .LBB55_769
; %bb.768:
	v_cndmask_b32_e64 v2, 0, 1, s[52:53]
	global_store_short v[0:1], v2, off
.LBB55_769:
	s_mov_b64 s[56:57], 0
.LBB55_770:
	s_andn2_b64 vcc, exec, s[56:57]
	s_cbranch_vccnz .LBB55_775
; %bb.771:
	s_mov_b64 s[56:57], -1
	s_cmp_gt_i32 s14, 0
	v_cndmask_b32_e64 v2, 0, 1, s[52:53]
	s_cbranch_scc0 .LBB55_773
; %bb.772:
	s_mov_b64 s[56:57], 0
	global_store_byte v[0:1], v2, off
.LBB55_773:
	s_andn2_b64 vcc, exec, s[56:57]
	s_cbranch_vccnz .LBB55_775
; %bb.774:
	global_store_byte v[0:1], v2, off
.LBB55_775:
	s_mov_b64 s[56:57], -1
.LBB55_776:
	s_andn2_b64 vcc, exec, s[56:57]
	s_cbranch_vccnz .LBB55_788
; %bb.777:
	v_add_u32_e32 v10, 0x80, v10
	s_mov_b64 s[56:57], -1
.LBB55_778:
	s_andn2_b64 s[52:53], s[40:41], exec
	s_and_b64 s[0:1], s[0:1], exec
	s_or_b64 s[52:53], s[52:53], s[0:1]
	s_andn2_b64 s[0:1], s[42:43], exec
	s_and_b64 s[50:51], s[50:51], exec
	s_or_b64 s[50:51], s[0:1], s[50:51]
	;; [unrolled: 3-line block ×3, first 2 shown]
	s_orn2_b64 s[0:1], s[56:57], exec
.LBB55_779:
	s_or_b64 exec, exec, s[54:55]
	s_mov_b64 s[56:57], 0
	s_mov_b64 s[58:59], 0
	;; [unrolled: 1-line block ×3, first 2 shown]
                                        ; implicit-def: $sgpr14
                                        ; implicit-def: $vgpr4_vgpr5
                                        ; implicit-def: $vgpr0
                                        ; implicit-def: $vgpr3
                                        ; implicit-def: $vgpr1_vgpr2
	s_and_saveexec_b64 s[54:55], s[0:1]
	s_cbranch_execz .LBB55_1264
; %bb.780:
	v_cmp_gt_i32_e32 vcc, s70, v10
	s_mov_b64 s[68:69], -1
	s_mov_b64 s[0:1], s[48:49]
	s_mov_b64 s[60:61], s[50:51]
	;; [unrolled: 1-line block ×3, first 2 shown]
	s_and_saveexec_b64 s[56:57], vcc
	s_cbranch_execz .LBB55_1172
; %bb.781:
	s_andn2_b64 vcc, exec, s[24:25]
	s_cbranch_vccnz .LBB55_787
; %bb.782:
	s_andn2_b64 vcc, exec, s[38:39]
	s_cbranch_vccnz .LBB55_789
; %bb.783:
	s_add_i32 s0, s75, 1
	s_and_b32 s14, s0, 30
	s_add_u32 s0, s2, 0xffffffe8
	s_addc_u32 s1, s3, -1
	v_mov_b32_e32 v3, 0
	s_waitcnt vmcnt(0)
	v_mov_b32_e32 v5, 0
	v_mov_b32_e32 v0, 0
	;; [unrolled: 1-line block ×3, first 2 shown]
.LBB55_784:                             ; =>This Inner Loop Header: Depth=1
	s_load_dwordx4 s[60:63], s[0:1], 0x1c
	s_load_dwordx2 s[58:59], s[0:1], 0x2c
	s_load_dwordx2 s[68:69], s[0:1], 0xec
	s_load_dwordx4 s[64:67], s[0:1], 0xdc
	s_add_u32 s0, s0, 24
	s_waitcnt lgkmcnt(0)
	v_mul_hi_u32 v2, s61, v1
	s_addc_u32 s1, s1, 0
	s_add_i32 s14, s14, -2
	s_cmp_eq_u32 s14, 0
	v_add_u32_e32 v2, v1, v2
	v_lshrrev_b32_e32 v2, s62, v2
	v_mul_lo_u32 v4, v2, s60
	v_mul_hi_u32 v6, s58, v2
	v_sub_u32_e32 v4, v1, v4
	v_add_u32_e32 v1, v2, v6
	v_lshrrev_b32_e32 v1, s59, v1
	v_mul_lo_u32 v8, v1, s63
	v_mul_lo_u32 v6, v4, s64
	;; [unrolled: 1-line block ×4, first 2 shown]
	v_sub_u32_e32 v2, v2, v8
	v_mul_lo_u32 v8, v2, s67
	v_mul_lo_u32 v9, v2, s68
	;; [unrolled: 1-line block ×3, first 2 shown]
	v_add3_u32 v0, v6, v0, v8
	v_add3_u32 v5, v7, v5, v9
	v_add3_u32 v3, v4, v3, v2
	s_cbranch_scc0 .LBB55_784
; %bb.785:
	s_bitcmp1_b32 s75, 0
	s_cselect_b64 s[58:59], -1, 0
	s_and_b64 vcc, exec, s[58:59]
	s_cbranch_vccnz .LBB55_790
; %bb.786:
	s_load_dwordx2 s[58:59], s[0:1], 0x1c
	s_load_dword s14, s[0:1], 0x24
	s_load_dwordx2 s[60:61], s[0:1], 0xdc
	s_waitcnt lgkmcnt(0)
	v_mul_hi_u32 v2, s59, v1
	v_add_u32_e32 v2, v1, v2
	v_lshrrev_b32_e32 v2, s14, v2
	v_mul_lo_u32 v2, v2, s58
	s_load_dword s14, s[0:1], 0xe4
	v_sub_u32_e32 v2, v1, v2
	v_mad_u64_u32 v[0:1], s[0:1], v2, s60, v[0:1]
	v_mad_u64_u32 v[5:6], s[0:1], v2, s61, v[5:6]
	s_waitcnt lgkmcnt(0)
	v_mad_u64_u32 v[3:4], s[0:1], v2, s14, v[3:4]
	s_branch .LBB55_790
.LBB55_787:
	s_mov_b64 s[0:1], -1
                                        ; implicit-def: $vgpr0
                                        ; implicit-def: $vgpr5
                                        ; implicit-def: $vgpr3
	s_branch .LBB55_791
.LBB55_788:
	s_mov_b64 s[56:57], 0
	s_branch .LBB55_540
.LBB55_789:
	v_mov_b32_e32 v0, 0
	s_waitcnt vmcnt(0)
	v_mov_b32_e32 v5, 0
	v_mov_b32_e32 v3, 0
.LBB55_790:
	s_mov_b64 s[0:1], 0
.LBB55_791:
	s_andn2_b64 vcc, exec, s[0:1]
	s_cbranch_vccnz .LBB55_794
; %bb.792:
	v_mul_hi_u32 v0, s17, v10
	s_andn2_b64 vcc, exec, s[36:37]
	v_add_u32_e32 v0, v10, v0
	s_waitcnt vmcnt(0)
	v_lshrrev_b32_e32 v1, s18, v0
	v_mul_lo_u32 v0, v1, s16
	v_sub_u32_e32 v2, v10, v0
	v_mul_lo_u32 v0, v2, s20
	v_mul_lo_u32 v5, v2, s21
	;; [unrolled: 1-line block ×3, first 2 shown]
	s_cbranch_vccnz .LBB55_794
; %bb.793:
	v_mul_hi_u32 v2, s34, v1
	v_add_u32_e32 v2, v1, v2
	v_lshrrev_b32_e32 v2, s35, v2
	v_mul_lo_u32 v2, v2, s19
	v_sub_u32_e32 v2, v1, v2
	v_mad_u64_u32 v[0:1], s[0:1], v2, s23, v[0:1]
	v_mad_u64_u32 v[5:6], s[0:1], v2, s30, v[5:6]
	v_mad_u64_u32 v[3:4], s[0:1], v2, s31, v[3:4]
.LBB55_794:
	s_waitcnt vmcnt(0)
	v_mov_b32_e32 v1, s11
	s_and_b32 s14, s74, 0xff
	v_add_co_u32_e32 v4, vcc, s10, v5
	s_cmp_lt_i32 s14, 11
	v_addc_co_u32_e32 v5, vcc, 0, v1, vcc
	s_cbranch_scc1 .LBB55_801
; %bb.795:
	s_and_b32 s62, 0xffff, s14
	s_cmp_gt_i32 s62, 25
	s_cbranch_scc0 .LBB55_802
; %bb.796:
	s_cmp_gt_i32 s62, 28
	s_cbranch_scc0 .LBB55_803
; %bb.797:
	;; [unrolled: 3-line block ×4, first 2 shown]
	s_cmp_eq_u32 s62, 46
	s_mov_b64 s[60:61], 0
	s_cbranch_scc0 .LBB55_808
; %bb.800:
	global_load_dword v1, v[4:5], off
	s_mov_b32 s0, 0x2f800000
	s_mov_b32 s1, 0xcf800000
	s_mov_b64 s[58:59], 0
	s_waitcnt vmcnt(0)
	v_lshlrev_b32_e32 v1, 16, v1
	v_trunc_f32_e32 v1, v1
	v_mul_f32_e64 v2, |v1|, s0
	v_floor_f32_e32 v2, v2
	v_fma_f32 v6, v2, s1, |v1|
	v_cvt_u32_f32_e32 v6, v6
	v_cvt_u32_f32_e32 v2, v2
	v_ashrrev_i32_e32 v7, 31, v1
	s_mov_b64 s[0:1], -1
	v_xor_b32_e32 v1, v6, v7
	v_xor_b32_e32 v2, v2, v7
	v_sub_co_u32_e32 v1, vcc, v1, v7
	v_subb_co_u32_e32 v2, vcc, v2, v7, vcc
	s_branch .LBB55_809
.LBB55_801:
	s_mov_b64 s[60:61], -1
	s_mov_b64 s[0:1], 0
                                        ; implicit-def: $vgpr1_vgpr2
	s_mov_b64 s[58:59], s[48:49]
	s_branch .LBB55_870
.LBB55_802:
	s_mov_b64 s[60:61], -1
	s_mov_b64 s[0:1], 0
	s_mov_b64 s[58:59], s[48:49]
                                        ; implicit-def: $vgpr1_vgpr2
	s_branch .LBB55_838
.LBB55_803:
	s_mov_b64 s[60:61], -1
	s_mov_b64 s[0:1], 0
	s_mov_b64 s[58:59], s[48:49]
                                        ; implicit-def: $vgpr1_vgpr2
	s_branch .LBB55_819
.LBB55_804:
	s_mov_b64 s[60:61], -1
	s_mov_b64 s[0:1], 0
	s_mov_b64 s[58:59], s[48:49]
                                        ; implicit-def: $vgpr1_vgpr2
	s_branch .LBB55_814
.LBB55_805:
	s_mov_b64 s[60:61], -1
	s_mov_b64 s[0:1], 0
	s_mov_b64 s[58:59], s[48:49]
                                        ; implicit-def: $vgpr1_vgpr2
	s_branch .LBB55_809
.LBB55_806:
	s_andn2_saveexec_b64 s[60:61], s[60:61]
	s_cbranch_execz .LBB55_689
.LBB55_807:
	v_add_f32_e32 v2, 0x46000000, v3
	v_and_b32_e32 v2, 0xff, v2
	v_cmp_ne_u32_e32 vcc, 0, v2
	s_andn2_b64 s[58:59], s[58:59], exec
	s_and_b64 s[64:65], vcc, exec
	s_or_b64 s[58:59], s[58:59], s[64:65]
	s_or_b64 exec, exec, s[60:61]
	v_mov_b32_e32 v4, 0
	s_and_saveexec_b64 s[60:61], s[58:59]
	s_cbranch_execnz .LBB55_690
	s_branch .LBB55_691
.LBB55_808:
	s_mov_b64 s[58:59], -1
                                        ; implicit-def: $vgpr1_vgpr2
	s_mov_b64 s[0:1], 0
.LBB55_809:
	s_and_b64 vcc, exec, s[60:61]
	s_cbranch_vccz .LBB55_813
; %bb.810:
	s_cmp_eq_u32 s62, 44
	s_cbranch_scc0 .LBB55_812
; %bb.811:
	global_load_ubyte v1, v[4:5], off
	s_mov_b32 s0, 0x2f800000
	s_mov_b32 s1, 0xcf800000
	s_mov_b64 s[58:59], 0
	s_waitcnt vmcnt(0)
	v_lshlrev_b32_e32 v2, 23, v1
	v_trunc_f32_e32 v2, v2
	v_mul_f32_e64 v6, |v2|, s0
	v_floor_f32_e32 v6, v6
	v_fma_f32 v7, v6, s1, |v2|
	v_cvt_u32_f32_e32 v7, v7
	v_cvt_u32_f32_e32 v6, v6
	v_ashrrev_i32_e32 v2, 31, v2
	s_mov_b64 s[0:1], -1
	v_xor_b32_e32 v7, v7, v2
	v_xor_b32_e32 v6, v6, v2
	v_sub_co_u32_e32 v7, vcc, v7, v2
	v_subb_co_u32_e32 v2, vcc, v6, v2, vcc
	v_cmp_ne_u32_e32 vcc, 0, v1
	v_cndmask_b32_e32 v2, 0, v2, vcc
	v_cndmask_b32_e32 v1, 0, v7, vcc
	s_branch .LBB55_813
.LBB55_812:
	s_mov_b64 s[58:59], -1
                                        ; implicit-def: $vgpr1_vgpr2
.LBB55_813:
	s_mov_b64 s[60:61], 0
.LBB55_814:
	s_and_b64 vcc, exec, s[60:61]
	s_cbranch_vccz .LBB55_818
; %bb.815:
	s_cmp_eq_u32 s62, 29
	s_cbranch_scc0 .LBB55_817
; %bb.816:
	global_load_dwordx2 v[1:2], v[4:5], off
	s_mov_b64 s[0:1], -1
	s_mov_b64 s[58:59], 0
	s_branch .LBB55_818
.LBB55_817:
	s_mov_b64 s[58:59], -1
                                        ; implicit-def: $vgpr1_vgpr2
.LBB55_818:
	s_mov_b64 s[60:61], 0
.LBB55_819:
	s_and_b64 vcc, exec, s[60:61]
	s_cbranch_vccz .LBB55_837
; %bb.820:
	s_cmp_lt_i32 s62, 27
	s_cbranch_scc1 .LBB55_823
; %bb.821:
	s_cmp_gt_i32 s62, 27
	s_cbranch_scc0 .LBB55_824
; %bb.822:
	global_load_dword v1, v[4:5], off
	s_waitcnt vmcnt(1)
	v_mov_b32_e32 v2, 0
	s_mov_b64 s[0:1], 0
	s_branch .LBB55_825
.LBB55_823:
	s_mov_b64 s[0:1], -1
                                        ; implicit-def: $vgpr1_vgpr2
	s_branch .LBB55_828
.LBB55_824:
	s_mov_b64 s[0:1], -1
                                        ; implicit-def: $vgpr1_vgpr2
.LBB55_825:
	s_andn2_b64 vcc, exec, s[0:1]
	s_cbranch_vccnz .LBB55_827
; %bb.826:
	global_load_ushort v1, v[4:5], off
	s_mov_b32 s0, 0
	s_waitcnt vmcnt(1)
	v_mov_b32_e32 v2, s0
	s_waitcnt vmcnt(0)
	v_and_b32_e32 v1, 0xffff, v1
.LBB55_827:
	s_mov_b64 s[0:1], 0
.LBB55_828:
	s_andn2_b64 vcc, exec, s[0:1]
	s_cbranch_vccnz .LBB55_836
; %bb.829:
	global_load_ubyte v6, v[4:5], off
	s_movk_i32 s0, 0x7f
	s_mov_b64 s[60:61], 0
	s_waitcnt vmcnt(0)
	v_cmp_lt_i16_e32 vcc, s0, v6
	s_and_saveexec_b64 s[0:1], vcc
	s_xor_b64 s[0:1], exec, s[0:1]
; %bb.830:
	s_movk_i32 s60, 0x80
	v_cmp_ne_u16_e32 vcc, s60, v6
	s_and_b64 s[60:61], vcc, exec
; %bb.831:
	s_andn2_saveexec_b64 s[0:1], s[0:1]
; %bb.832:
	v_cmp_ne_u16_e32 vcc, 0, v6
	s_andn2_b64 s[60:61], s[60:61], exec
	s_and_b64 s[64:65], vcc, exec
	s_or_b64 s[60:61], s[60:61], s[64:65]
; %bb.833:
	s_or_b64 exec, exec, s[0:1]
	v_mov_b32_e32 v1, 0
	v_mov_b32_e32 v2, 0
	s_and_saveexec_b64 s[0:1], s[60:61]
	s_cbranch_execz .LBB55_835
; %bb.834:
	v_and_b32_e32 v2, 0xffff, v6
	v_lshlrev_b32_e32 v1, 24, v6
	v_and_b32_e32 v6, 7, v2
	v_ffbh_u32_e32 v8, v6
	v_min_u32_e32 v8, 32, v8
	v_subrev_u32_e32 v9, 28, v8
	v_bfe_u32 v7, v2, 3, 4
	v_lshlrev_b32_e32 v2, v9, v2
	v_sub_u32_e32 v8, 29, v8
	v_and_b32_e32 v2, 7, v2
	v_cmp_eq_u32_e32 vcc, 0, v7
	v_cndmask_b32_e32 v7, v7, v8, vcc
	v_cndmask_b32_e32 v2, v6, v2, vcc
	v_mov_b32_e32 v6, 0x3b800000
	v_lshlrev_b32_e32 v2, 20, v2
	v_and_b32_e32 v1, 0x80000000, v1
	v_lshl_add_u32 v6, v7, 23, v6
	v_or3_b32 v1, v1, v6, v2
	v_trunc_f32_e32 v1, v1
	s_mov_b32 s60, 0x2f800000
	v_mul_f32_e64 v2, |v1|, s60
	v_floor_f32_e32 v2, v2
	s_mov_b32 s60, 0xcf800000
	v_fma_f32 v6, v2, s60, |v1|
	v_cvt_u32_f32_e32 v6, v6
	v_cvt_u32_f32_e32 v2, v2
	v_ashrrev_i32_e32 v7, 31, v1
	v_xor_b32_e32 v1, v6, v7
	v_xor_b32_e32 v2, v2, v7
	v_sub_co_u32_e32 v1, vcc, v1, v7
	v_subb_co_u32_e32 v2, vcc, v2, v7, vcc
.LBB55_835:
	s_or_b64 exec, exec, s[0:1]
.LBB55_836:
	s_mov_b64 s[0:1], -1
.LBB55_837:
	s_mov_b64 s[60:61], 0
.LBB55_838:
	s_and_b64 vcc, exec, s[60:61]
	s_cbranch_vccz .LBB55_869
; %bb.839:
	s_cmp_gt_i32 s62, 22
	s_cbranch_scc0 .LBB55_849
; %bb.840:
	s_cmp_lt_i32 s62, 24
	s_cbranch_scc1 .LBB55_850
; %bb.841:
	s_cmp_gt_i32 s62, 24
	s_cbranch_scc0 .LBB55_851
; %bb.842:
	global_load_ubyte v6, v[4:5], off
	s_movk_i32 s0, 0x7f
	s_mov_b64 s[60:61], 0
	s_waitcnt vmcnt(0)
	v_cmp_lt_i16_e32 vcc, s0, v6
	s_and_saveexec_b64 s[0:1], vcc
	s_xor_b64 s[0:1], exec, s[0:1]
; %bb.843:
	s_movk_i32 s60, 0x80
	v_cmp_ne_u16_e32 vcc, s60, v6
	s_and_b64 s[60:61], vcc, exec
; %bb.844:
	s_andn2_saveexec_b64 s[0:1], s[0:1]
; %bb.845:
	v_cmp_ne_u16_e32 vcc, 0, v6
	s_andn2_b64 s[60:61], s[60:61], exec
	s_and_b64 s[64:65], vcc, exec
	s_or_b64 s[60:61], s[60:61], s[64:65]
; %bb.846:
	s_or_b64 exec, exec, s[0:1]
	v_mov_b32_e32 v1, 0
	v_mov_b32_e32 v2, 0
	s_and_saveexec_b64 s[0:1], s[60:61]
	s_cbranch_execz .LBB55_848
; %bb.847:
	v_and_b32_e32 v2, 0xffff, v6
	v_lshlrev_b32_e32 v1, 24, v6
	v_and_b32_e32 v6, 3, v2
	v_ffbh_u32_e32 v8, v6
	v_min_u32_e32 v8, 32, v8
	v_subrev_u32_e32 v9, 29, v8
	v_bfe_u32 v7, v2, 2, 5
	v_lshlrev_b32_e32 v2, v9, v2
	v_sub_u32_e32 v8, 30, v8
	v_and_b32_e32 v2, 3, v2
	v_cmp_eq_u32_e32 vcc, 0, v7
	v_cndmask_b32_e32 v7, v7, v8, vcc
	v_cndmask_b32_e32 v2, v6, v2, vcc
	v_mov_b32_e32 v6, 0x37800000
	v_lshlrev_b32_e32 v2, 21, v2
	v_and_b32_e32 v1, 0x80000000, v1
	v_lshl_add_u32 v6, v7, 23, v6
	v_or3_b32 v1, v1, v6, v2
	v_trunc_f32_e32 v1, v1
	s_mov_b32 s60, 0x2f800000
	v_mul_f32_e64 v2, |v1|, s60
	v_floor_f32_e32 v2, v2
	s_mov_b32 s60, 0xcf800000
	v_fma_f32 v6, v2, s60, |v1|
	v_cvt_u32_f32_e32 v6, v6
	v_cvt_u32_f32_e32 v2, v2
	v_ashrrev_i32_e32 v7, 31, v1
	v_xor_b32_e32 v1, v6, v7
	v_xor_b32_e32 v2, v2, v7
	v_sub_co_u32_e32 v1, vcc, v1, v7
	v_subb_co_u32_e32 v2, vcc, v2, v7, vcc
.LBB55_848:
	s_or_b64 exec, exec, s[0:1]
	s_mov_b64 s[0:1], 0
	s_branch .LBB55_852
.LBB55_849:
	s_mov_b64 s[60:61], -1
                                        ; implicit-def: $vgpr1_vgpr2
	s_branch .LBB55_858
.LBB55_850:
	s_mov_b64 s[0:1], -1
                                        ; implicit-def: $vgpr1_vgpr2
	s_branch .LBB55_855
.LBB55_851:
	s_mov_b64 s[0:1], -1
                                        ; implicit-def: $vgpr1_vgpr2
.LBB55_852:
	s_and_b64 vcc, exec, s[0:1]
	s_cbranch_vccz .LBB55_854
; %bb.853:
	global_load_ubyte v1, v[4:5], off
	s_mov_b32 s0, 0x7f800000
	s_brev_b32 s1, 1
	s_mov_b32 s60, 0x2f800000
	s_mov_b32 s61, 0xcf800000
	s_waitcnt vmcnt(0)
	v_lshlrev_b32_e32 v1, 24, v1
	v_and_b32_e32 v2, 0x7f000000, v1
	v_ffbh_u32_e32 v6, v2
	v_min_u32_e32 v6, 32, v6
	v_sub_u32_e64 v6, v6, 4 clamp
	v_lshlrev_b32_e32 v8, v6, v2
	v_lshlrev_b32_e32 v6, 23, v6
	v_lshrrev_b32_e32 v8, 4, v8
	v_add_u32_e32 v7, 0x1000000, v2
	v_sub_u32_e32 v6, v8, v6
	v_ashrrev_i32_e32 v7, 8, v7
	v_add_u32_e32 v6, 0x3c000000, v6
	v_and_or_b32 v6, v7, s0, v6
	v_cmp_ne_u32_e32 vcc, 0, v2
	v_cndmask_b32_e32 v2, 0, v6, vcc
	v_and_or_b32 v1, v1, s1, v2
	v_trunc_f32_e32 v1, v1
	v_mul_f32_e64 v2, |v1|, s60
	v_floor_f32_e32 v2, v2
	v_fma_f32 v6, v2, s61, |v1|
	v_cvt_u32_f32_e32 v6, v6
	v_cvt_u32_f32_e32 v2, v2
	v_ashrrev_i32_e32 v7, 31, v1
	v_xor_b32_e32 v1, v6, v7
	v_xor_b32_e32 v2, v2, v7
	v_sub_co_u32_e32 v1, vcc, v1, v7
	v_subb_co_u32_e32 v2, vcc, v2, v7, vcc
.LBB55_854:
	s_mov_b64 s[0:1], 0
.LBB55_855:
	s_andn2_b64 vcc, exec, s[0:1]
	s_cbranch_vccnz .LBB55_857
; %bb.856:
	global_load_ubyte v1, v[4:5], off
	s_movk_i32 s0, 0x7f00
	s_brev_b32 s1, 16
	s_brev_b32 s60, 1
	s_mov_b32 s61, 0x2f800000
	s_mov_b32 s63, 0xcf800000
	s_waitcnt vmcnt(0)
	v_lshlrev_b16_e32 v2, 8, v1
	v_lshlrev_b32_e32 v1, 25, v1
	v_lshrrev_b32_e32 v6, 4, v1
	v_and_or_b32 v7, v2, s0, 0.5
	v_or_b32_e32 v6, 0x70000000, v6
	v_add_f32_e32 v7, -0.5, v7
	v_mul_f32_e32 v6, 0x7800000, v6
	v_cmp_gt_u32_e32 vcc, s1, v1
	v_bfe_i32 v2, v2, 0, 16
	v_cndmask_b32_e32 v1, v6, v7, vcc
	v_and_or_b32 v1, v2, s60, v1
	v_trunc_f32_e32 v1, v1
	v_mul_f32_e64 v2, |v1|, s61
	v_floor_f32_e32 v2, v2
	v_fma_f32 v6, v2, s63, |v1|
	v_cvt_u32_f32_e32 v6, v6
	v_cvt_u32_f32_e32 v2, v2
	v_ashrrev_i32_e32 v7, 31, v1
	v_xor_b32_e32 v1, v6, v7
	v_xor_b32_e32 v2, v2, v7
	v_sub_co_u32_e32 v1, vcc, v1, v7
	v_subb_co_u32_e32 v2, vcc, v2, v7, vcc
.LBB55_857:
	s_mov_b64 s[60:61], 0
	s_mov_b64 s[0:1], -1
.LBB55_858:
	s_andn2_b64 vcc, exec, s[60:61]
	s_cbranch_vccnz .LBB55_869
; %bb.859:
	s_cmp_gt_i32 s62, 14
	s_cbranch_scc0 .LBB55_862
; %bb.860:
	s_cmp_eq_u32 s62, 15
	s_cbranch_scc0 .LBB55_863
; %bb.861:
	global_load_ushort v1, v[4:5], off
	s_mov_b32 s0, 0x2f800000
	s_mov_b32 s1, 0xcf800000
	s_mov_b64 s[58:59], 0
	s_waitcnt vmcnt(0)
	v_lshlrev_b32_e32 v1, 16, v1
	v_trunc_f32_e32 v1, v1
	v_mul_f32_e64 v2, |v1|, s0
	v_floor_f32_e32 v2, v2
	v_fma_f32 v6, v2, s1, |v1|
	v_cvt_u32_f32_e32 v6, v6
	v_cvt_u32_f32_e32 v2, v2
	v_ashrrev_i32_e32 v7, 31, v1
	s_mov_b64 s[0:1], -1
	v_xor_b32_e32 v1, v6, v7
	v_xor_b32_e32 v2, v2, v7
	v_sub_co_u32_e32 v1, vcc, v1, v7
	v_subb_co_u32_e32 v2, vcc, v2, v7, vcc
	s_branch .LBB55_864
.LBB55_862:
	s_mov_b64 s[60:61], -1
                                        ; implicit-def: $vgpr1_vgpr2
	s_branch .LBB55_865
.LBB55_863:
	s_mov_b64 s[58:59], -1
                                        ; implicit-def: $vgpr1_vgpr2
.LBB55_864:
	s_mov_b64 s[60:61], 0
.LBB55_865:
	s_and_b64 vcc, exec, s[60:61]
	s_cbranch_vccz .LBB55_869
; %bb.866:
	s_cmp_eq_u32 s62, 11
	s_cbranch_scc0 .LBB55_868
; %bb.867:
	global_load_ubyte v1, v[4:5], off
	s_mov_b32 s58, 0
	s_mov_b64 s[0:1], -1
	s_waitcnt vmcnt(1)
	v_mov_b32_e32 v2, s58
	s_mov_b64 s[58:59], 0
	s_waitcnt vmcnt(0)
	v_cmp_ne_u16_e32 vcc, 0, v1
	v_cndmask_b32_e64 v1, 0, 1, vcc
	s_branch .LBB55_869
.LBB55_868:
	s_mov_b64 s[58:59], -1
                                        ; implicit-def: $vgpr1_vgpr2
.LBB55_869:
	s_mov_b64 s[60:61], 0
.LBB55_870:
	s_and_b64 vcc, exec, s[60:61]
	s_cbranch_vccz .LBB55_919
; %bb.871:
	s_and_b32 s14, 0xffff, s14
	s_cmp_lt_i32 s14, 5
	s_cbranch_scc1 .LBB55_876
; %bb.872:
	s_cmp_lt_i32 s14, 8
	s_cbranch_scc1 .LBB55_877
; %bb.873:
	;; [unrolled: 3-line block ×3, first 2 shown]
	s_cmp_gt_i32 s14, 9
	s_cbranch_scc0 .LBB55_879
; %bb.875:
	global_load_dwordx2 v[1:2], v[4:5], off
	s_movk_i32 s0, 0xffe0
	s_waitcnt vmcnt(0)
	v_trunc_f64_e32 v[1:2], v[1:2]
	v_ldexp_f64 v[6:7], v[1:2], s0
	s_mov_b32 s0, 0
	s_mov_b32 s1, 0xc1f00000
	v_floor_f64_e32 v[6:7], v[6:7]
	v_fma_f64 v[8:9], v[6:7], s[0:1], v[1:2]
	v_cvt_i32_f64_e32 v2, v[6:7]
	s_mov_b64 s[0:1], 0
	v_cvt_u32_f64_e32 v1, v[8:9]
	s_branch .LBB55_880
.LBB55_876:
	s_mov_b64 s[0:1], -1
                                        ; implicit-def: $vgpr1_vgpr2
	s_branch .LBB55_898
.LBB55_877:
	s_mov_b64 s[0:1], -1
                                        ; implicit-def: $vgpr1_vgpr2
	s_branch .LBB55_886
.LBB55_878:
	s_mov_b64 s[0:1], -1
                                        ; implicit-def: $vgpr1_vgpr2
	s_branch .LBB55_883
.LBB55_879:
	s_mov_b64 s[0:1], -1
                                        ; implicit-def: $vgpr1_vgpr2
.LBB55_880:
	s_andn2_b64 vcc, exec, s[0:1]
	s_cbranch_vccnz .LBB55_882
; %bb.881:
	global_load_dword v1, v[4:5], off
	s_mov_b32 s0, 0x2f800000
	s_mov_b32 s1, 0xcf800000
	s_waitcnt vmcnt(0)
	v_trunc_f32_e32 v1, v1
	v_mul_f32_e64 v2, |v1|, s0
	v_floor_f32_e32 v2, v2
	v_cvt_u32_f32_e32 v6, v2
	v_fma_f32 v2, v2, s1, |v1|
	v_cvt_u32_f32_e32 v2, v2
	v_ashrrev_i32_e32 v7, 31, v1
	v_xor_b32_e32 v6, v6, v7
	v_xor_b32_e32 v1, v2, v7
	v_sub_co_u32_e32 v1, vcc, v1, v7
	v_subb_co_u32_e32 v2, vcc, v6, v7, vcc
.LBB55_882:
	s_mov_b64 s[0:1], 0
.LBB55_883:
	s_andn2_b64 vcc, exec, s[0:1]
	s_cbranch_vccnz .LBB55_885
; %bb.884:
	global_load_dword v1, v[4:5], off
	s_waitcnt vmcnt(0)
	v_cvt_f32_f16_e32 v1, v1
	v_cvt_i32_f32_e32 v1, v1
	v_ashrrev_i32_e32 v2, 31, v1
.LBB55_885:
	s_mov_b64 s[0:1], 0
.LBB55_886:
	s_andn2_b64 vcc, exec, s[0:1]
	s_cbranch_vccnz .LBB55_897
; %bb.887:
	s_cmp_lt_i32 s14, 6
	s_cbranch_scc1 .LBB55_890
; %bb.888:
	s_cmp_gt_i32 s14, 6
	s_cbranch_scc0 .LBB55_891
; %bb.889:
	global_load_dwordx2 v[1:2], v[4:5], off
	s_movk_i32 s0, 0xffe0
	s_waitcnt vmcnt(0)
	v_trunc_f64_e32 v[1:2], v[1:2]
	v_ldexp_f64 v[6:7], v[1:2], s0
	s_mov_b32 s0, 0
	s_mov_b32 s1, 0xc1f00000
	v_floor_f64_e32 v[6:7], v[6:7]
	v_fma_f64 v[8:9], v[6:7], s[0:1], v[1:2]
	v_cvt_i32_f64_e32 v2, v[6:7]
	s_mov_b64 s[0:1], 0
	v_cvt_u32_f64_e32 v1, v[8:9]
	s_branch .LBB55_892
.LBB55_890:
	s_mov_b64 s[0:1], -1
                                        ; implicit-def: $vgpr1_vgpr2
	s_branch .LBB55_895
.LBB55_891:
	s_mov_b64 s[0:1], -1
                                        ; implicit-def: $vgpr1_vgpr2
.LBB55_892:
	s_andn2_b64 vcc, exec, s[0:1]
	s_cbranch_vccnz .LBB55_894
; %bb.893:
	global_load_dword v1, v[4:5], off
	s_mov_b32 s0, 0x2f800000
	s_mov_b32 s1, 0xcf800000
	s_waitcnt vmcnt(0)
	v_trunc_f32_e32 v1, v1
	v_mul_f32_e64 v2, |v1|, s0
	v_floor_f32_e32 v2, v2
	v_cvt_u32_f32_e32 v6, v2
	v_fma_f32 v2, v2, s1, |v1|
	v_cvt_u32_f32_e32 v2, v2
	v_ashrrev_i32_e32 v7, 31, v1
	v_xor_b32_e32 v6, v6, v7
	v_xor_b32_e32 v1, v2, v7
	v_sub_co_u32_e32 v1, vcc, v1, v7
	v_subb_co_u32_e32 v2, vcc, v6, v7, vcc
.LBB55_894:
	s_mov_b64 s[0:1], 0
.LBB55_895:
	s_andn2_b64 vcc, exec, s[0:1]
	s_cbranch_vccnz .LBB55_897
; %bb.896:
	global_load_ushort v1, v[4:5], off
	s_waitcnt vmcnt(0)
	v_cvt_f32_f16_e32 v1, v1
	v_cvt_i32_f32_e32 v1, v1
	v_ashrrev_i32_e32 v2, 31, v1
.LBB55_897:
	s_mov_b64 s[0:1], 0
.LBB55_898:
	s_andn2_b64 vcc, exec, s[0:1]
	s_cbranch_vccnz .LBB55_918
; %bb.899:
	s_cmp_lt_i32 s14, 2
	s_cbranch_scc1 .LBB55_903
; %bb.900:
	s_cmp_lt_i32 s14, 3
	s_cbranch_scc1 .LBB55_904
; %bb.901:
	s_cmp_gt_i32 s14, 3
	s_cbranch_scc0 .LBB55_905
; %bb.902:
	global_load_dwordx2 v[1:2], v[4:5], off
	s_mov_b64 s[0:1], 0
	s_branch .LBB55_906
.LBB55_903:
	s_mov_b64 s[0:1], -1
                                        ; implicit-def: $vgpr1_vgpr2
	s_branch .LBB55_912
.LBB55_904:
	s_mov_b64 s[0:1], -1
                                        ; implicit-def: $vgpr1_vgpr2
	s_branch .LBB55_909
.LBB55_905:
	s_mov_b64 s[0:1], -1
                                        ; implicit-def: $vgpr1_vgpr2
.LBB55_906:
	s_andn2_b64 vcc, exec, s[0:1]
	s_cbranch_vccnz .LBB55_908
; %bb.907:
	global_load_dword v1, v[4:5], off
	s_waitcnt vmcnt(0)
	v_ashrrev_i32_e32 v2, 31, v1
.LBB55_908:
	s_mov_b64 s[0:1], 0
.LBB55_909:
	s_andn2_b64 vcc, exec, s[0:1]
	s_cbranch_vccnz .LBB55_911
; %bb.910:
	global_load_ushort v1, v[4:5], off
	s_waitcnt vmcnt(0)
	v_bfe_i32 v1, v1, 0, 16
	v_ashrrev_i32_e32 v2, 31, v1
.LBB55_911:
	s_mov_b64 s[0:1], 0
.LBB55_912:
	s_andn2_b64 vcc, exec, s[0:1]
	s_cbranch_vccnz .LBB55_918
; %bb.913:
	s_cmp_gt_i32 s14, 0
	s_cbranch_scc0 .LBB55_915
; %bb.914:
	global_load_sbyte v1, v[4:5], off
	s_mov_b64 s[0:1], 0
	s_waitcnt vmcnt(0)
	v_bfe_i32 v1, v1, 0, 16
	v_ashrrev_i32_e32 v2, 31, v1
	s_branch .LBB55_916
.LBB55_915:
	s_mov_b64 s[0:1], -1
                                        ; implicit-def: $vgpr1_vgpr2
.LBB55_916:
	s_andn2_b64 vcc, exec, s[0:1]
	s_cbranch_vccnz .LBB55_918
; %bb.917:
	global_load_ubyte v1, v[4:5], off
	s_mov_b32 s0, 0
	s_waitcnt vmcnt(1)
	v_mov_b32_e32 v2, s0
	s_waitcnt vmcnt(0)
	v_and_b32_e32 v1, 0xffff, v1
.LBB55_918:
	s_mov_b64 s[0:1], -1
.LBB55_919:
	s_andn2_b64 vcc, exec, s[0:1]
	s_cbranch_vccnz .LBB55_927
; %bb.920:
	v_mov_b32_e32 v4, s13
	s_and_b32 s14, s73, 0xff
	v_add_co_u32_e32 v3, vcc, s12, v3
	s_cmp_lt_i32 s14, 11
	v_addc_co_u32_e32 v4, vcc, 0, v4, vcc
	s_cbranch_scc1 .LBB55_929
; %bb.921:
	s_and_b32 s64, 0xffff, s14
	s_cmp_gt_i32 s64, 25
	s_cbranch_scc0 .LBB55_930
; %bb.922:
	s_cmp_gt_i32 s64, 28
	s_cbranch_scc0 .LBB55_931
; %bb.923:
	;; [unrolled: 3-line block ×4, first 2 shown]
	s_cmp_eq_u32 s64, 46
	s_mov_b64 s[62:63], 0
	s_cbranch_scc0 .LBB55_936
; %bb.926:
	global_load_dword v5, v[3:4], off
	s_mov_b32 s0, 0x2f800000
	s_mov_b32 s1, 0xcf800000
	s_mov_b64 s[60:61], 0
	s_waitcnt vmcnt(0)
	v_lshlrev_b32_e32 v5, 16, v5
	v_trunc_f32_e32 v5, v5
	v_mul_f32_e64 v6, |v5|, s0
	v_floor_f32_e32 v6, v6
	v_fma_f32 v7, v6, s1, |v5|
	v_cvt_u32_f32_e32 v7, v7
	v_cvt_u32_f32_e32 v6, v6
	v_ashrrev_i32_e32 v8, 31, v5
	s_mov_b64 s[0:1], -1
	v_xor_b32_e32 v5, v7, v8
	v_xor_b32_e32 v6, v6, v8
	v_sub_co_u32_e32 v5, vcc, v5, v8
	v_subb_co_u32_e32 v6, vcc, v6, v8, vcc
	s_branch .LBB55_937
.LBB55_927:
	s_mov_b64 s[64:65], 0
	s_mov_b64 s[0:1], s[52:53]
	;; [unrolled: 1-line block ×3, first 2 shown]
.LBB55_928:
                                        ; implicit-def: $vgpr10
	s_branch .LBB55_1171
.LBB55_929:
	s_mov_b64 s[62:63], -1
	s_mov_b64 s[0:1], 0
                                        ; implicit-def: $vgpr5_vgpr6
	s_mov_b64 s[60:61], s[50:51]
	s_branch .LBB55_998
.LBB55_930:
	s_mov_b64 s[62:63], -1
	s_mov_b64 s[0:1], 0
	s_mov_b64 s[60:61], s[50:51]
                                        ; implicit-def: $vgpr5_vgpr6
	s_branch .LBB55_966
.LBB55_931:
	s_mov_b64 s[62:63], -1
	s_mov_b64 s[0:1], 0
	s_mov_b64 s[60:61], s[50:51]
                                        ; implicit-def: $vgpr5_vgpr6
	s_branch .LBB55_947
.LBB55_932:
	s_mov_b64 s[62:63], -1
	s_mov_b64 s[0:1], 0
	s_mov_b64 s[60:61], s[50:51]
                                        ; implicit-def: $vgpr5_vgpr6
	s_branch .LBB55_942
.LBB55_933:
	s_mov_b64 s[62:63], -1
	s_mov_b64 s[0:1], 0
	s_mov_b64 s[60:61], s[50:51]
                                        ; implicit-def: $vgpr5_vgpr6
	s_branch .LBB55_937
.LBB55_934:
	s_andn2_saveexec_b64 s[60:61], s[60:61]
	s_cbranch_execz .LBB55_702
.LBB55_935:
	v_add_f32_e32 v2, 0x42800000, v3
	v_and_b32_e32 v2, 0xff, v2
	v_cmp_ne_u32_e32 vcc, 0, v2
	s_andn2_b64 s[58:59], s[58:59], exec
	s_and_b64 s[64:65], vcc, exec
	s_or_b64 s[58:59], s[58:59], s[64:65]
	s_or_b64 exec, exec, s[60:61]
	v_mov_b32_e32 v4, 0
	s_and_saveexec_b64 s[60:61], s[58:59]
	s_cbranch_execnz .LBB55_703
	s_branch .LBB55_704
.LBB55_936:
	s_mov_b64 s[60:61], -1
                                        ; implicit-def: $vgpr5_vgpr6
	s_mov_b64 s[0:1], 0
.LBB55_937:
	s_and_b64 vcc, exec, s[62:63]
	s_cbranch_vccz .LBB55_941
; %bb.938:
	s_cmp_eq_u32 s64, 44
	s_cbranch_scc0 .LBB55_940
; %bb.939:
	global_load_ubyte v5, v[3:4], off
	s_mov_b32 s0, 0x2f800000
	s_mov_b32 s1, 0xcf800000
	s_mov_b64 s[60:61], 0
	s_waitcnt vmcnt(0)
	v_lshlrev_b32_e32 v6, 23, v5
	v_trunc_f32_e32 v6, v6
	v_mul_f32_e64 v7, |v6|, s0
	v_floor_f32_e32 v7, v7
	v_fma_f32 v8, v7, s1, |v6|
	v_cvt_u32_f32_e32 v8, v8
	v_cvt_u32_f32_e32 v7, v7
	v_ashrrev_i32_e32 v6, 31, v6
	s_mov_b64 s[0:1], -1
	v_xor_b32_e32 v8, v8, v6
	v_xor_b32_e32 v7, v7, v6
	v_sub_co_u32_e32 v8, vcc, v8, v6
	v_subb_co_u32_e32 v6, vcc, v7, v6, vcc
	v_cmp_ne_u32_e32 vcc, 0, v5
	v_cndmask_b32_e32 v6, 0, v6, vcc
	v_cndmask_b32_e32 v5, 0, v8, vcc
	s_branch .LBB55_941
.LBB55_940:
	s_mov_b64 s[60:61], -1
                                        ; implicit-def: $vgpr5_vgpr6
.LBB55_941:
	s_mov_b64 s[62:63], 0
.LBB55_942:
	s_and_b64 vcc, exec, s[62:63]
	s_cbranch_vccz .LBB55_946
; %bb.943:
	s_cmp_eq_u32 s64, 29
	s_cbranch_scc0 .LBB55_945
; %bb.944:
	global_load_dwordx2 v[5:6], v[3:4], off
	s_mov_b64 s[0:1], -1
	s_mov_b64 s[60:61], 0
	s_branch .LBB55_946
.LBB55_945:
	s_mov_b64 s[60:61], -1
                                        ; implicit-def: $vgpr5_vgpr6
.LBB55_946:
	s_mov_b64 s[62:63], 0
.LBB55_947:
	s_and_b64 vcc, exec, s[62:63]
	s_cbranch_vccz .LBB55_965
; %bb.948:
	s_cmp_lt_i32 s64, 27
	s_cbranch_scc1 .LBB55_951
; %bb.949:
	s_cmp_gt_i32 s64, 27
	s_cbranch_scc0 .LBB55_952
; %bb.950:
	global_load_dword v5, v[3:4], off
	s_waitcnt vmcnt(1)
	v_mov_b32_e32 v6, 0
	s_mov_b64 s[0:1], 0
	s_branch .LBB55_953
.LBB55_951:
	s_mov_b64 s[0:1], -1
                                        ; implicit-def: $vgpr5_vgpr6
	s_branch .LBB55_956
.LBB55_952:
	s_mov_b64 s[0:1], -1
                                        ; implicit-def: $vgpr5_vgpr6
.LBB55_953:
	s_andn2_b64 vcc, exec, s[0:1]
	s_cbranch_vccnz .LBB55_955
; %bb.954:
	global_load_ushort v5, v[3:4], off
	s_mov_b32 s0, 0
	s_waitcnt vmcnt(1)
	v_mov_b32_e32 v6, s0
	s_waitcnt vmcnt(0)
	v_and_b32_e32 v5, 0xffff, v5
.LBB55_955:
	s_mov_b64 s[0:1], 0
.LBB55_956:
	s_andn2_b64 vcc, exec, s[0:1]
	s_cbranch_vccnz .LBB55_964
; %bb.957:
	global_load_ubyte v7, v[3:4], off
	s_movk_i32 s0, 0x7f
	s_mov_b64 s[62:63], 0
	s_waitcnt vmcnt(0)
	v_cmp_lt_i16_e32 vcc, s0, v7
	s_and_saveexec_b64 s[0:1], vcc
	s_xor_b64 s[0:1], exec, s[0:1]
; %bb.958:
	s_movk_i32 s62, 0x80
	v_cmp_ne_u16_e32 vcc, s62, v7
	s_and_b64 s[62:63], vcc, exec
; %bb.959:
	s_andn2_saveexec_b64 s[0:1], s[0:1]
; %bb.960:
	v_cmp_ne_u16_e32 vcc, 0, v7
	s_andn2_b64 s[62:63], s[62:63], exec
	s_and_b64 s[66:67], vcc, exec
	s_or_b64 s[62:63], s[62:63], s[66:67]
; %bb.961:
	s_or_b64 exec, exec, s[0:1]
	v_mov_b32_e32 v5, 0
	v_mov_b32_e32 v6, 0
	s_and_saveexec_b64 s[0:1], s[62:63]
	s_cbranch_execz .LBB55_963
; %bb.962:
	v_and_b32_e32 v6, 0xffff, v7
	v_lshlrev_b32_e32 v5, 24, v7
	v_and_b32_e32 v7, 7, v6
	v_ffbh_u32_e32 v9, v7
	v_min_u32_e32 v9, 32, v9
	v_subrev_u32_e32 v11, 28, v9
	v_bfe_u32 v8, v6, 3, 4
	v_lshlrev_b32_e32 v6, v11, v6
	v_sub_u32_e32 v9, 29, v9
	v_and_b32_e32 v6, 7, v6
	v_cmp_eq_u32_e32 vcc, 0, v8
	v_cndmask_b32_e32 v8, v8, v9, vcc
	v_cndmask_b32_e32 v6, v7, v6, vcc
	v_mov_b32_e32 v7, 0x3b800000
	v_lshlrev_b32_e32 v6, 20, v6
	v_and_b32_e32 v5, 0x80000000, v5
	v_lshl_add_u32 v7, v8, 23, v7
	v_or3_b32 v5, v5, v7, v6
	v_trunc_f32_e32 v5, v5
	s_mov_b32 s62, 0x2f800000
	v_mul_f32_e64 v6, |v5|, s62
	v_floor_f32_e32 v6, v6
	s_mov_b32 s62, 0xcf800000
	v_fma_f32 v7, v6, s62, |v5|
	v_cvt_u32_f32_e32 v7, v7
	v_cvt_u32_f32_e32 v6, v6
	v_ashrrev_i32_e32 v8, 31, v5
	v_xor_b32_e32 v5, v7, v8
	v_xor_b32_e32 v6, v6, v8
	v_sub_co_u32_e32 v5, vcc, v5, v8
	v_subb_co_u32_e32 v6, vcc, v6, v8, vcc
.LBB55_963:
	s_or_b64 exec, exec, s[0:1]
.LBB55_964:
	s_mov_b64 s[0:1], -1
.LBB55_965:
	s_mov_b64 s[62:63], 0
.LBB55_966:
	s_and_b64 vcc, exec, s[62:63]
	s_cbranch_vccz .LBB55_997
; %bb.967:
	s_cmp_gt_i32 s64, 22
	s_cbranch_scc0 .LBB55_977
; %bb.968:
	s_cmp_lt_i32 s64, 24
	s_cbranch_scc1 .LBB55_978
; %bb.969:
	s_cmp_gt_i32 s64, 24
	s_cbranch_scc0 .LBB55_979
; %bb.970:
	global_load_ubyte v7, v[3:4], off
	s_movk_i32 s0, 0x7f
	s_mov_b64 s[62:63], 0
	s_waitcnt vmcnt(0)
	v_cmp_lt_i16_e32 vcc, s0, v7
	s_and_saveexec_b64 s[0:1], vcc
	s_xor_b64 s[0:1], exec, s[0:1]
; %bb.971:
	s_movk_i32 s62, 0x80
	v_cmp_ne_u16_e32 vcc, s62, v7
	s_and_b64 s[62:63], vcc, exec
; %bb.972:
	s_andn2_saveexec_b64 s[0:1], s[0:1]
; %bb.973:
	v_cmp_ne_u16_e32 vcc, 0, v7
	s_andn2_b64 s[62:63], s[62:63], exec
	s_and_b64 s[66:67], vcc, exec
	s_or_b64 s[62:63], s[62:63], s[66:67]
; %bb.974:
	s_or_b64 exec, exec, s[0:1]
	v_mov_b32_e32 v5, 0
	v_mov_b32_e32 v6, 0
	s_and_saveexec_b64 s[0:1], s[62:63]
	s_cbranch_execz .LBB55_976
; %bb.975:
	v_and_b32_e32 v6, 0xffff, v7
	v_lshlrev_b32_e32 v5, 24, v7
	v_and_b32_e32 v7, 3, v6
	v_ffbh_u32_e32 v9, v7
	v_min_u32_e32 v9, 32, v9
	v_subrev_u32_e32 v11, 29, v9
	v_bfe_u32 v8, v6, 2, 5
	v_lshlrev_b32_e32 v6, v11, v6
	v_sub_u32_e32 v9, 30, v9
	v_and_b32_e32 v6, 3, v6
	v_cmp_eq_u32_e32 vcc, 0, v8
	v_cndmask_b32_e32 v8, v8, v9, vcc
	v_cndmask_b32_e32 v6, v7, v6, vcc
	v_mov_b32_e32 v7, 0x37800000
	v_lshlrev_b32_e32 v6, 21, v6
	v_and_b32_e32 v5, 0x80000000, v5
	v_lshl_add_u32 v7, v8, 23, v7
	v_or3_b32 v5, v5, v7, v6
	v_trunc_f32_e32 v5, v5
	s_mov_b32 s62, 0x2f800000
	v_mul_f32_e64 v6, |v5|, s62
	v_floor_f32_e32 v6, v6
	s_mov_b32 s62, 0xcf800000
	v_fma_f32 v7, v6, s62, |v5|
	v_cvt_u32_f32_e32 v7, v7
	v_cvt_u32_f32_e32 v6, v6
	v_ashrrev_i32_e32 v8, 31, v5
	v_xor_b32_e32 v5, v7, v8
	v_xor_b32_e32 v6, v6, v8
	v_sub_co_u32_e32 v5, vcc, v5, v8
	v_subb_co_u32_e32 v6, vcc, v6, v8, vcc
.LBB55_976:
	s_or_b64 exec, exec, s[0:1]
	s_mov_b64 s[0:1], 0
	s_branch .LBB55_980
.LBB55_977:
	s_mov_b64 s[62:63], -1
                                        ; implicit-def: $vgpr5_vgpr6
	s_branch .LBB55_986
.LBB55_978:
	s_mov_b64 s[0:1], -1
                                        ; implicit-def: $vgpr5_vgpr6
	s_branch .LBB55_983
.LBB55_979:
	s_mov_b64 s[0:1], -1
                                        ; implicit-def: $vgpr5_vgpr6
.LBB55_980:
	s_and_b64 vcc, exec, s[0:1]
	s_cbranch_vccz .LBB55_982
; %bb.981:
	global_load_ubyte v5, v[3:4], off
	s_mov_b32 s0, 0x7f800000
	s_brev_b32 s1, 1
	s_mov_b32 s62, 0x2f800000
	s_mov_b32 s63, 0xcf800000
	s_waitcnt vmcnt(0)
	v_lshlrev_b32_e32 v5, 24, v5
	v_and_b32_e32 v6, 0x7f000000, v5
	v_ffbh_u32_e32 v7, v6
	v_min_u32_e32 v7, 32, v7
	v_sub_u32_e64 v7, v7, 4 clamp
	v_lshlrev_b32_e32 v9, v7, v6
	v_lshlrev_b32_e32 v7, 23, v7
	v_lshrrev_b32_e32 v9, 4, v9
	v_add_u32_e32 v8, 0x1000000, v6
	v_sub_u32_e32 v7, v9, v7
	v_ashrrev_i32_e32 v8, 8, v8
	v_add_u32_e32 v7, 0x3c000000, v7
	v_and_or_b32 v7, v8, s0, v7
	v_cmp_ne_u32_e32 vcc, 0, v6
	v_cndmask_b32_e32 v6, 0, v7, vcc
	v_and_or_b32 v5, v5, s1, v6
	v_trunc_f32_e32 v5, v5
	v_mul_f32_e64 v6, |v5|, s62
	v_floor_f32_e32 v6, v6
	v_fma_f32 v7, v6, s63, |v5|
	v_cvt_u32_f32_e32 v7, v7
	v_cvt_u32_f32_e32 v6, v6
	v_ashrrev_i32_e32 v8, 31, v5
	v_xor_b32_e32 v5, v7, v8
	v_xor_b32_e32 v6, v6, v8
	v_sub_co_u32_e32 v5, vcc, v5, v8
	v_subb_co_u32_e32 v6, vcc, v6, v8, vcc
.LBB55_982:
	s_mov_b64 s[0:1], 0
.LBB55_983:
	s_andn2_b64 vcc, exec, s[0:1]
	s_cbranch_vccnz .LBB55_985
; %bb.984:
	global_load_ubyte v5, v[3:4], off
	s_movk_i32 s0, 0x7f00
	s_brev_b32 s1, 16
	s_brev_b32 s62, 1
	s_mov_b32 s63, 0x2f800000
	s_mov_b32 s65, 0xcf800000
	s_waitcnt vmcnt(0)
	v_lshlrev_b16_e32 v6, 8, v5
	v_lshlrev_b32_e32 v5, 25, v5
	v_lshrrev_b32_e32 v7, 4, v5
	v_and_or_b32 v8, v6, s0, 0.5
	v_or_b32_e32 v7, 0x70000000, v7
	v_add_f32_e32 v8, -0.5, v8
	v_mul_f32_e32 v7, 0x7800000, v7
	v_cmp_gt_u32_e32 vcc, s1, v5
	v_bfe_i32 v6, v6, 0, 16
	v_cndmask_b32_e32 v5, v7, v8, vcc
	v_and_or_b32 v5, v6, s62, v5
	v_trunc_f32_e32 v5, v5
	v_mul_f32_e64 v6, |v5|, s63
	v_floor_f32_e32 v6, v6
	v_fma_f32 v7, v6, s65, |v5|
	v_cvt_u32_f32_e32 v7, v7
	v_cvt_u32_f32_e32 v6, v6
	v_ashrrev_i32_e32 v8, 31, v5
	v_xor_b32_e32 v5, v7, v8
	v_xor_b32_e32 v6, v6, v8
	v_sub_co_u32_e32 v5, vcc, v5, v8
	v_subb_co_u32_e32 v6, vcc, v6, v8, vcc
.LBB55_985:
	s_mov_b64 s[62:63], 0
	s_mov_b64 s[0:1], -1
.LBB55_986:
	s_andn2_b64 vcc, exec, s[62:63]
	s_cbranch_vccnz .LBB55_997
; %bb.987:
	s_cmp_gt_i32 s64, 14
	s_cbranch_scc0 .LBB55_990
; %bb.988:
	s_cmp_eq_u32 s64, 15
	s_cbranch_scc0 .LBB55_991
; %bb.989:
	global_load_ushort v5, v[3:4], off
	s_mov_b32 s0, 0x2f800000
	s_mov_b32 s1, 0xcf800000
	s_mov_b64 s[60:61], 0
	s_waitcnt vmcnt(0)
	v_lshlrev_b32_e32 v5, 16, v5
	v_trunc_f32_e32 v5, v5
	v_mul_f32_e64 v6, |v5|, s0
	v_floor_f32_e32 v6, v6
	v_fma_f32 v7, v6, s1, |v5|
	v_cvt_u32_f32_e32 v7, v7
	v_cvt_u32_f32_e32 v6, v6
	v_ashrrev_i32_e32 v8, 31, v5
	s_mov_b64 s[0:1], -1
	v_xor_b32_e32 v5, v7, v8
	v_xor_b32_e32 v6, v6, v8
	v_sub_co_u32_e32 v5, vcc, v5, v8
	v_subb_co_u32_e32 v6, vcc, v6, v8, vcc
	s_branch .LBB55_992
.LBB55_990:
	s_mov_b64 s[62:63], -1
                                        ; implicit-def: $vgpr5_vgpr6
	s_branch .LBB55_993
.LBB55_991:
	s_mov_b64 s[60:61], -1
                                        ; implicit-def: $vgpr5_vgpr6
.LBB55_992:
	s_mov_b64 s[62:63], 0
.LBB55_993:
	s_and_b64 vcc, exec, s[62:63]
	s_cbranch_vccz .LBB55_997
; %bb.994:
	s_cmp_eq_u32 s64, 11
	s_cbranch_scc0 .LBB55_996
; %bb.995:
	global_load_ubyte v5, v[3:4], off
	s_mov_b32 s60, 0
	s_mov_b64 s[0:1], -1
	s_waitcnt vmcnt(1)
	v_mov_b32_e32 v6, s60
	s_mov_b64 s[60:61], 0
	s_waitcnt vmcnt(0)
	v_cmp_ne_u16_e32 vcc, 0, v5
	v_cndmask_b32_e64 v5, 0, 1, vcc
	s_branch .LBB55_997
.LBB55_996:
	s_mov_b64 s[60:61], -1
                                        ; implicit-def: $vgpr5_vgpr6
.LBB55_997:
	s_mov_b64 s[62:63], 0
.LBB55_998:
	s_and_b64 vcc, exec, s[62:63]
	s_cbranch_vccz .LBB55_1047
; %bb.999:
	s_and_b32 s14, 0xffff, s14
	s_cmp_lt_i32 s14, 5
	s_cbranch_scc1 .LBB55_1004
; %bb.1000:
	s_cmp_lt_i32 s14, 8
	s_cbranch_scc1 .LBB55_1005
; %bb.1001:
	;; [unrolled: 3-line block ×3, first 2 shown]
	s_cmp_gt_i32 s14, 9
	s_cbranch_scc0 .LBB55_1007
; %bb.1003:
	global_load_dwordx2 v[5:6], v[3:4], off
	s_movk_i32 s0, 0xffe0
	s_waitcnt vmcnt(0)
	v_trunc_f64_e32 v[5:6], v[5:6]
	v_ldexp_f64 v[7:8], v[5:6], s0
	s_mov_b32 s0, 0
	s_mov_b32 s1, 0xc1f00000
	v_floor_f64_e32 v[7:8], v[7:8]
	v_fma_f64 v[11:12], v[7:8], s[0:1], v[5:6]
	v_cvt_i32_f64_e32 v6, v[7:8]
	s_mov_b64 s[0:1], 0
	v_cvt_u32_f64_e32 v5, v[11:12]
	s_branch .LBB55_1008
.LBB55_1004:
	s_mov_b64 s[0:1], -1
                                        ; implicit-def: $vgpr5_vgpr6
	s_branch .LBB55_1026
.LBB55_1005:
	s_mov_b64 s[0:1], -1
                                        ; implicit-def: $vgpr5_vgpr6
	s_branch .LBB55_1014
.LBB55_1006:
	s_mov_b64 s[0:1], -1
                                        ; implicit-def: $vgpr5_vgpr6
	s_branch .LBB55_1011
.LBB55_1007:
	s_mov_b64 s[0:1], -1
                                        ; implicit-def: $vgpr5_vgpr6
.LBB55_1008:
	s_andn2_b64 vcc, exec, s[0:1]
	s_cbranch_vccnz .LBB55_1010
; %bb.1009:
	global_load_dword v5, v[3:4], off
	s_mov_b32 s0, 0x2f800000
	s_mov_b32 s1, 0xcf800000
	s_waitcnt vmcnt(0)
	v_trunc_f32_e32 v5, v5
	v_mul_f32_e64 v6, |v5|, s0
	v_floor_f32_e32 v6, v6
	v_cvt_u32_f32_e32 v7, v6
	v_fma_f32 v6, v6, s1, |v5|
	v_cvt_u32_f32_e32 v6, v6
	v_ashrrev_i32_e32 v8, 31, v5
	v_xor_b32_e32 v7, v7, v8
	v_xor_b32_e32 v5, v6, v8
	v_sub_co_u32_e32 v5, vcc, v5, v8
	v_subb_co_u32_e32 v6, vcc, v7, v8, vcc
.LBB55_1010:
	s_mov_b64 s[0:1], 0
.LBB55_1011:
	s_andn2_b64 vcc, exec, s[0:1]
	s_cbranch_vccnz .LBB55_1013
; %bb.1012:
	global_load_dword v5, v[3:4], off
	s_waitcnt vmcnt(0)
	v_cvt_f32_f16_e32 v5, v5
	v_cvt_i32_f32_e32 v5, v5
	v_ashrrev_i32_e32 v6, 31, v5
.LBB55_1013:
	s_mov_b64 s[0:1], 0
.LBB55_1014:
	s_andn2_b64 vcc, exec, s[0:1]
	s_cbranch_vccnz .LBB55_1025
; %bb.1015:
	s_cmp_lt_i32 s14, 6
	s_cbranch_scc1 .LBB55_1018
; %bb.1016:
	s_cmp_gt_i32 s14, 6
	s_cbranch_scc0 .LBB55_1019
; %bb.1017:
	global_load_dwordx2 v[5:6], v[3:4], off
	s_movk_i32 s0, 0xffe0
	s_waitcnt vmcnt(0)
	v_trunc_f64_e32 v[5:6], v[5:6]
	v_ldexp_f64 v[7:8], v[5:6], s0
	s_mov_b32 s0, 0
	s_mov_b32 s1, 0xc1f00000
	v_floor_f64_e32 v[7:8], v[7:8]
	v_fma_f64 v[11:12], v[7:8], s[0:1], v[5:6]
	v_cvt_i32_f64_e32 v6, v[7:8]
	s_mov_b64 s[0:1], 0
	v_cvt_u32_f64_e32 v5, v[11:12]
	s_branch .LBB55_1020
.LBB55_1018:
	s_mov_b64 s[0:1], -1
                                        ; implicit-def: $vgpr5_vgpr6
	s_branch .LBB55_1023
.LBB55_1019:
	s_mov_b64 s[0:1], -1
                                        ; implicit-def: $vgpr5_vgpr6
.LBB55_1020:
	s_andn2_b64 vcc, exec, s[0:1]
	s_cbranch_vccnz .LBB55_1022
; %bb.1021:
	global_load_dword v5, v[3:4], off
	s_mov_b32 s0, 0x2f800000
	s_mov_b32 s1, 0xcf800000
	s_waitcnt vmcnt(0)
	v_trunc_f32_e32 v5, v5
	v_mul_f32_e64 v6, |v5|, s0
	v_floor_f32_e32 v6, v6
	v_cvt_u32_f32_e32 v7, v6
	v_fma_f32 v6, v6, s1, |v5|
	v_cvt_u32_f32_e32 v6, v6
	v_ashrrev_i32_e32 v8, 31, v5
	v_xor_b32_e32 v7, v7, v8
	v_xor_b32_e32 v5, v6, v8
	v_sub_co_u32_e32 v5, vcc, v5, v8
	v_subb_co_u32_e32 v6, vcc, v7, v8, vcc
.LBB55_1022:
	s_mov_b64 s[0:1], 0
.LBB55_1023:
	s_andn2_b64 vcc, exec, s[0:1]
	s_cbranch_vccnz .LBB55_1025
; %bb.1024:
	global_load_ushort v5, v[3:4], off
	s_waitcnt vmcnt(0)
	v_cvt_f32_f16_e32 v5, v5
	v_cvt_i32_f32_e32 v5, v5
	v_ashrrev_i32_e32 v6, 31, v5
.LBB55_1025:
	s_mov_b64 s[0:1], 0
.LBB55_1026:
	s_andn2_b64 vcc, exec, s[0:1]
	s_cbranch_vccnz .LBB55_1046
; %bb.1027:
	s_cmp_lt_i32 s14, 2
	s_cbranch_scc1 .LBB55_1031
; %bb.1028:
	s_cmp_lt_i32 s14, 3
	s_cbranch_scc1 .LBB55_1032
; %bb.1029:
	s_cmp_gt_i32 s14, 3
	s_cbranch_scc0 .LBB55_1033
; %bb.1030:
	global_load_dwordx2 v[5:6], v[3:4], off
	s_mov_b64 s[0:1], 0
	s_branch .LBB55_1034
.LBB55_1031:
	s_mov_b64 s[0:1], -1
                                        ; implicit-def: $vgpr5_vgpr6
	s_branch .LBB55_1040
.LBB55_1032:
	s_mov_b64 s[0:1], -1
                                        ; implicit-def: $vgpr5_vgpr6
	s_branch .LBB55_1037
.LBB55_1033:
	s_mov_b64 s[0:1], -1
                                        ; implicit-def: $vgpr5_vgpr6
.LBB55_1034:
	s_andn2_b64 vcc, exec, s[0:1]
	s_cbranch_vccnz .LBB55_1036
; %bb.1035:
	global_load_dword v5, v[3:4], off
	s_waitcnt vmcnt(0)
	v_ashrrev_i32_e32 v6, 31, v5
.LBB55_1036:
	s_mov_b64 s[0:1], 0
.LBB55_1037:
	s_andn2_b64 vcc, exec, s[0:1]
	s_cbranch_vccnz .LBB55_1039
; %bb.1038:
	global_load_ushort v5, v[3:4], off
	s_waitcnt vmcnt(0)
	v_bfe_i32 v5, v5, 0, 16
	v_ashrrev_i32_e32 v6, 31, v5
.LBB55_1039:
	s_mov_b64 s[0:1], 0
.LBB55_1040:
	s_andn2_b64 vcc, exec, s[0:1]
	s_cbranch_vccnz .LBB55_1046
; %bb.1041:
	s_cmp_gt_i32 s14, 0
	s_cbranch_scc0 .LBB55_1043
; %bb.1042:
	global_load_sbyte v5, v[3:4], off
	s_mov_b64 s[0:1], 0
	s_waitcnt vmcnt(0)
	v_bfe_i32 v5, v5, 0, 16
	v_ashrrev_i32_e32 v6, 31, v5
	s_branch .LBB55_1044
.LBB55_1043:
	s_mov_b64 s[0:1], -1
                                        ; implicit-def: $vgpr5_vgpr6
.LBB55_1044:
	s_andn2_b64 vcc, exec, s[0:1]
	s_cbranch_vccnz .LBB55_1046
; %bb.1045:
	global_load_ubyte v3, v[3:4], off
	s_mov_b32 s0, 0
	s_waitcnt vmcnt(1)
	v_mov_b32_e32 v6, s0
	s_waitcnt vmcnt(0)
	v_and_b32_e32 v5, 0xffff, v3
.LBB55_1046:
	s_mov_b64 s[0:1], -1
.LBB55_1047:
	s_andn2_b64 vcc, exec, s[0:1]
	s_cbranch_vccnz .LBB55_1055
; %bb.1048:
	s_waitcnt vmcnt(0)
	v_cmp_ne_u64_e32 vcc, v[1:2], v[5:6]
	v_mov_b32_e32 v1, s9
	s_xor_b64 s[62:63], s[28:29], vcc
	s_and_b32 s14, s15, 0xff
	v_add_co_u32_e32 v0, vcc, s8, v0
	s_cmp_lt_i32 s14, 11
	v_addc_co_u32_e32 v1, vcc, 0, v1, vcc
	s_cbranch_scc1 .LBB55_1056
; %bb.1049:
	s_and_b32 s71, 0xffff, s14
	s_cmp_gt_i32 s71, 25
	s_cbranch_scc0 .LBB55_1057
; %bb.1050:
	s_cmp_gt_i32 s71, 28
	s_cbranch_scc0 .LBB55_1058
; %bb.1051:
	;; [unrolled: 3-line block ×4, first 2 shown]
	s_mov_b64 s[66:67], 0
	s_mov_b64 s[0:1], -1
	s_cmp_eq_u32 s71, 46
	s_mov_b64 s[64:65], 0
	s_cbranch_scc0 .LBB55_1061
; %bb.1054:
	v_cndmask_b32_e64 v2, 0, 1.0, s[62:63]
	v_bfe_u32 v3, v2, 16, 1
	s_movk_i32 s0, 0x7fff
	v_add3_u32 v2, v2, v3, s0
	v_lshrrev_b32_e32 v2, 16, v2
	global_store_dword v[0:1], v2, off
	s_mov_b64 s[64:65], -1
	s_mov_b64 s[0:1], 0
	s_branch .LBB55_1061
.LBB55_1055:
	s_mov_b64 s[64:65], 0
                                        ; implicit-def: $vgpr10
	s_mov_b64 s[0:1], s[52:53]
	s_branch .LBB55_1171
.LBB55_1056:
	s_mov_b64 s[66:67], -1
	s_mov_b64 s[64:65], 0
	s_mov_b64 s[0:1], s[52:53]
	s_branch .LBB55_1130
.LBB55_1057:
	s_mov_b64 s[66:67], -1
	s_mov_b64 s[64:65], 0
	s_mov_b64 s[0:1], s[52:53]
	s_branch .LBB55_1088
.LBB55_1058:
	s_mov_b64 s[66:67], -1
	s_mov_b64 s[64:65], 0
	s_mov_b64 s[0:1], s[52:53]
	s_branch .LBB55_1071
.LBB55_1059:
	s_mov_b64 s[66:67], -1
	s_mov_b64 s[64:65], 0
	s_mov_b64 s[0:1], s[52:53]
	s_branch .LBB55_1067
.LBB55_1060:
	s_mov_b64 s[66:67], -1
	s_mov_b64 s[64:65], 0
	s_mov_b64 s[0:1], s[52:53]
.LBB55_1061:
	s_and_b64 vcc, exec, s[66:67]
	s_cbranch_vccz .LBB55_1066
; %bb.1062:
	s_cmp_eq_u32 s71, 44
	s_mov_b64 s[0:1], -1
	s_cbranch_scc0 .LBB55_1066
; %bb.1063:
	v_cndmask_b32_e64 v3, 0, 1.0, s[62:63]
	v_lshrrev_b32_e32 v2, 23, v3
	s_movk_i32 s0, 0xff
	v_cmp_ne_u32_e32 vcc, s0, v2
	v_mov_b32_e32 v4, 0xff
	s_and_saveexec_b64 s[64:65], vcc
; %bb.1064:
	s_mov_b32 s0, 0x3fffff
	v_and_b32_e32 v4, 0x400000, v3
	v_and_or_b32 v3, v3, s0, v2
	v_cmp_ne_u32_e32 vcc, 0, v4
	v_cmp_ne_u32_e64 s[0:1], 0, v3
	s_and_b64 s[0:1], vcc, s[0:1]
	v_cndmask_b32_e64 v3, 0, 1, s[0:1]
	v_add_u32_e32 v4, v2, v3
; %bb.1065:
	s_or_b64 exec, exec, s[64:65]
	s_mov_b64 s[64:65], -1
	s_mov_b64 s[0:1], 0
	global_store_byte v[0:1], v4, off
.LBB55_1066:
	s_mov_b64 s[66:67], 0
.LBB55_1067:
	s_and_b64 vcc, exec, s[66:67]
	s_cbranch_vccz .LBB55_1070
; %bb.1068:
	s_cmp_eq_u32 s71, 29
	s_mov_b64 s[0:1], -1
	s_cbranch_scc0 .LBB55_1070
; %bb.1069:
	s_mov_b32 s0, 0
	v_cndmask_b32_e64 v2, 0, 1, s[62:63]
	v_mov_b32_e32 v3, s0
	global_store_dwordx2 v[0:1], v[2:3], off
	s_mov_b64 s[64:65], -1
	s_mov_b64 s[0:1], 0
.LBB55_1070:
	s_mov_b64 s[66:67], 0
.LBB55_1071:
	s_and_b64 vcc, exec, s[66:67]
	s_cbranch_vccz .LBB55_1087
; %bb.1072:
	s_cmp_lt_i32 s71, 27
	s_mov_b64 s[64:65], -1
	s_cbranch_scc1 .LBB55_1078
; %bb.1073:
	s_cmp_gt_i32 s71, 27
	s_cbranch_scc0 .LBB55_1075
; %bb.1074:
	v_cndmask_b32_e64 v2, 0, 1, s[62:63]
	s_mov_b64 s[64:65], 0
	global_store_dword v[0:1], v2, off
.LBB55_1075:
	s_andn2_b64 vcc, exec, s[64:65]
	s_cbranch_vccnz .LBB55_1077
; %bb.1076:
	v_cndmask_b32_e64 v2, 0, 1, s[62:63]
	global_store_short v[0:1], v2, off
.LBB55_1077:
	s_mov_b64 s[64:65], 0
.LBB55_1078:
	s_andn2_b64 vcc, exec, s[64:65]
	s_cbranch_vccnz .LBB55_1086
; %bb.1079:
	v_cndmask_b32_e64 v3, 0, 1.0, s[62:63]
	s_mov_b32 s64, 0x43800000
	v_cmp_gt_u32_e32 vcc, s64, v3
	v_mov_b32_e32 v4, 0x80
	s_and_saveexec_b64 s[64:65], vcc
	s_cbranch_execz .LBB55_1085
; %bb.1080:
	s_mov_b32 s66, 0x3bffffff
	v_cmp_lt_u32_e32 vcc, s66, v3
	s_mov_b64 s[66:67], 0
                                        ; implicit-def: $vgpr2
	s_and_saveexec_b64 s[68:69], vcc
	s_xor_b64 s[68:69], exec, s[68:69]
	s_cbranch_execz .LBB55_1199
; %bb.1081:
	v_bfe_u32 v2, v3, 20, 1
	s_mov_b32 s76, 0x487ffff
	v_add3_u32 v2, v3, v2, s76
	s_mov_b64 s[66:67], exec
	v_lshrrev_b32_e32 v2, 20, v2
                                        ; implicit-def: $vgpr3
	s_andn2_saveexec_b64 s[68:69], s[68:69]
	s_cbranch_execnz .LBB55_1200
.LBB55_1082:
	s_or_b64 exec, exec, s[68:69]
	v_mov_b32_e32 v4, 0
	s_and_saveexec_b64 s[68:69], s[66:67]
.LBB55_1083:
	v_mov_b32_e32 v4, v2
.LBB55_1084:
	s_or_b64 exec, exec, s[68:69]
.LBB55_1085:
	s_or_b64 exec, exec, s[64:65]
	global_store_byte v[0:1], v4, off
.LBB55_1086:
	s_mov_b64 s[64:65], -1
.LBB55_1087:
	s_mov_b64 s[66:67], 0
.LBB55_1088:
	s_and_b64 vcc, exec, s[66:67]
	s_cbranch_vccz .LBB55_1129
; %bb.1089:
	s_cmp_gt_i32 s71, 22
	s_mov_b64 s[66:67], -1
	s_cbranch_scc0 .LBB55_1121
; %bb.1090:
	s_cmp_lt_i32 s71, 24
	s_mov_b64 s[64:65], -1
	s_cbranch_scc1 .LBB55_1110
; %bb.1091:
	s_cmp_gt_i32 s71, 24
	s_cbranch_scc0 .LBB55_1099
; %bb.1092:
	v_cndmask_b32_e64 v3, 0, 1.0, s[62:63]
	s_mov_b32 s64, 0x47800000
	v_cmp_gt_u32_e32 vcc, s64, v3
	v_mov_b32_e32 v4, 0x80
	s_and_saveexec_b64 s[64:65], vcc
	s_cbranch_execz .LBB55_1098
; %bb.1093:
	s_mov_b32 s66, 0x37ffffff
	v_cmp_lt_u32_e32 vcc, s66, v3
	s_mov_b64 s[66:67], 0
                                        ; implicit-def: $vgpr2
	s_and_saveexec_b64 s[68:69], vcc
	s_xor_b64 s[68:69], exec, s[68:69]
	s_cbranch_execz .LBB55_2236
; %bb.1094:
	v_bfe_u32 v2, v3, 21, 1
	s_mov_b32 s76, 0x88fffff
	v_add3_u32 v2, v3, v2, s76
	s_mov_b64 s[66:67], exec
	v_lshrrev_b32_e32 v2, 21, v2
                                        ; implicit-def: $vgpr3
	s_andn2_saveexec_b64 s[68:69], s[68:69]
	s_cbranch_execnz .LBB55_2237
.LBB55_1095:
	s_or_b64 exec, exec, s[68:69]
	v_mov_b32_e32 v4, 0
	s_and_saveexec_b64 s[68:69], s[66:67]
.LBB55_1096:
	v_mov_b32_e32 v4, v2
.LBB55_1097:
	s_or_b64 exec, exec, s[68:69]
.LBB55_1098:
	s_or_b64 exec, exec, s[64:65]
	s_mov_b64 s[64:65], 0
	global_store_byte v[0:1], v4, off
.LBB55_1099:
	s_and_b64 vcc, exec, s[64:65]
	s_cbranch_vccz .LBB55_1109
; %bb.1100:
	v_cndmask_b32_e64 v2, 0, 1.0, s[62:63]
	s_mov_b32 s64, 0x43f00000
	v_cmp_gt_u32_e32 vcc, s64, v2
                                        ; implicit-def: $vgpr3
	s_and_saveexec_b64 s[64:65], vcc
	s_xor_b64 s[64:65], exec, s[64:65]
	s_cbranch_execz .LBB55_1106
; %bb.1101:
	s_mov_b32 s66, 0x3c7fffff
	v_cmp_lt_u32_e32 vcc, s66, v2
                                        ; implicit-def: $vgpr3
	s_and_saveexec_b64 s[66:67], vcc
	s_xor_b64 s[66:67], exec, s[66:67]
; %bb.1102:
	v_bfe_u32 v3, v2, 20, 1
	s_mov_b32 s68, 0x407ffff
	v_add3_u32 v2, v2, v3, s68
	v_lshrrev_b32_e32 v3, 20, v2
	v_and_b32_e32 v2, 0xff00000, v2
	s_mov_b32 s68, 0x7f00000
	v_mov_b32_e32 v4, 0x7e
	v_cmp_ne_u32_e32 vcc, s68, v2
	v_cndmask_b32_e32 v3, v4, v3, vcc
                                        ; implicit-def: $vgpr2
; %bb.1103:
	s_andn2_saveexec_b64 s[66:67], s[66:67]
; %bb.1104:
	v_add_f32_e32 v3, 0x46800000, v2
; %bb.1105:
	s_or_b64 exec, exec, s[66:67]
                                        ; implicit-def: $vgpr2
.LBB55_1106:
	s_andn2_saveexec_b64 s[64:65], s[64:65]
; %bb.1107:
	s_mov_b32 s66, 0x7f800000
	v_mov_b32_e32 v3, 0x7e
	v_mov_b32_e32 v4, 0x7f
	v_cmp_lt_u32_e32 vcc, s66, v2
	v_cndmask_b32_e32 v3, v3, v4, vcc
; %bb.1108:
	s_or_b64 exec, exec, s[64:65]
	global_store_byte v[0:1], v3, off
.LBB55_1109:
	s_mov_b64 s[64:65], 0
.LBB55_1110:
	s_andn2_b64 vcc, exec, s[64:65]
	s_cbranch_vccnz .LBB55_1120
; %bb.1111:
	v_cndmask_b32_e64 v2, 0, 1.0, s[62:63]
	s_mov_b32 s64, 0x47800000
	v_cmp_gt_u32_e32 vcc, s64, v2
                                        ; implicit-def: $vgpr3
	s_and_saveexec_b64 s[64:65], vcc
	s_xor_b64 s[64:65], exec, s[64:65]
	s_cbranch_execz .LBB55_1117
; %bb.1112:
	s_mov_b32 s66, 0x387fffff
	v_cmp_lt_u32_e32 vcc, s66, v2
                                        ; implicit-def: $vgpr3
	s_and_saveexec_b64 s[66:67], vcc
	s_xor_b64 s[66:67], exec, s[66:67]
; %bb.1113:
	v_bfe_u32 v3, v2, 21, 1
	s_mov_b32 s68, 0x80fffff
	v_add3_u32 v2, v2, v3, s68
	v_lshrrev_b32_e32 v3, 21, v2
                                        ; implicit-def: $vgpr2
; %bb.1114:
	s_andn2_saveexec_b64 s[66:67], s[66:67]
; %bb.1115:
	v_add_f32_e32 v3, 0x43000000, v2
; %bb.1116:
	s_or_b64 exec, exec, s[66:67]
                                        ; implicit-def: $vgpr2
.LBB55_1117:
	s_andn2_saveexec_b64 s[64:65], s[64:65]
; %bb.1118:
	s_mov_b32 s66, 0x7f800000
	v_mov_b32_e32 v3, 0x7c
	v_mov_b32_e32 v4, 0x7f
	v_cmp_lt_u32_e32 vcc, s66, v2
	v_cndmask_b32_e32 v3, v3, v4, vcc
; %bb.1119:
	s_or_b64 exec, exec, s[64:65]
	global_store_byte v[0:1], v3, off
.LBB55_1120:
	s_mov_b64 s[66:67], 0
	s_mov_b64 s[64:65], -1
.LBB55_1121:
	s_andn2_b64 vcc, exec, s[66:67]
	s_cbranch_vccnz .LBB55_1129
; %bb.1122:
	s_cmp_gt_i32 s71, 14
	s_mov_b64 s[66:67], -1
	s_cbranch_scc0 .LBB55_1126
; %bb.1123:
	s_cmp_eq_u32 s71, 15
	s_mov_b64 s[0:1], -1
	s_cbranch_scc0 .LBB55_1125
; %bb.1124:
	v_cndmask_b32_e64 v2, 0, 1.0, s[62:63]
	v_bfe_u32 v3, v2, 16, 1
	s_movk_i32 s0, 0x7fff
	v_add3_u32 v2, v2, v3, s0
	global_store_short_d16_hi v[0:1], v2, off
	s_mov_b64 s[64:65], -1
	s_mov_b64 s[0:1], 0
.LBB55_1125:
	s_mov_b64 s[66:67], 0
.LBB55_1126:
	s_and_b64 vcc, exec, s[66:67]
	s_cbranch_vccz .LBB55_1129
; %bb.1127:
	s_cmp_eq_u32 s71, 11
	s_mov_b64 s[0:1], -1
	s_cbranch_scc0 .LBB55_1129
; %bb.1128:
	v_cndmask_b32_e64 v2, 0, 1, s[62:63]
	s_mov_b64 s[64:65], -1
	s_mov_b64 s[0:1], 0
	global_store_byte v[0:1], v2, off
.LBB55_1129:
	s_mov_b64 s[66:67], 0
.LBB55_1130:
	s_and_b64 vcc, exec, s[66:67]
	s_cbranch_vccz .LBB55_1169
; %bb.1131:
	s_and_b32 s14, 0xffff, s14
	s_cmp_lt_i32 s14, 5
	s_mov_b64 s[64:65], -1
	s_cbranch_scc1 .LBB55_1152
; %bb.1132:
	s_cmp_lt_i32 s14, 8
	s_cbranch_scc1 .LBB55_1142
; %bb.1133:
	s_cmp_lt_i32 s14, 9
	s_cbranch_scc1 .LBB55_1139
; %bb.1134:
	s_cmp_gt_i32 s14, 9
	s_cbranch_scc0 .LBB55_1136
; %bb.1135:
	v_cndmask_b32_e64 v2, 0, 1, s[62:63]
	v_cvt_f64_u32_e32 v[2:3], v2
	v_mov_b32_e32 v4, 0
	v_mov_b32_e32 v5, v4
	s_mov_b64 s[64:65], 0
	global_store_dwordx4 v[0:1], v[2:5], off
.LBB55_1136:
	s_andn2_b64 vcc, exec, s[64:65]
	s_cbranch_vccnz .LBB55_1138
; %bb.1137:
	v_cndmask_b32_e64 v2, 0, 1.0, s[62:63]
	v_mov_b32_e32 v3, 0
	global_store_dwordx2 v[0:1], v[2:3], off
.LBB55_1138:
	s_mov_b64 s[64:65], 0
.LBB55_1139:
	s_andn2_b64 vcc, exec, s[64:65]
	s_cbranch_vccnz .LBB55_1141
; %bb.1140:
	v_cndmask_b32_e64 v2, 0, 1.0, s[62:63]
	v_cvt_f16_f32_e32 v2, v2
	global_store_dword v[0:1], v2, off
.LBB55_1141:
	s_mov_b64 s[64:65], 0
.LBB55_1142:
	s_andn2_b64 vcc, exec, s[64:65]
	s_cbranch_vccnz .LBB55_1151
; %bb.1143:
	s_cmp_lt_i32 s14, 6
	s_mov_b64 s[64:65], -1
	s_cbranch_scc1 .LBB55_1149
; %bb.1144:
	s_cmp_gt_i32 s14, 6
	s_cbranch_scc0 .LBB55_1146
; %bb.1145:
	v_cndmask_b32_e64 v2, 0, 1, s[62:63]
	v_cvt_f64_u32_e32 v[2:3], v2
	s_mov_b64 s[64:65], 0
	global_store_dwordx2 v[0:1], v[2:3], off
.LBB55_1146:
	s_andn2_b64 vcc, exec, s[64:65]
	s_cbranch_vccnz .LBB55_1148
; %bb.1147:
	v_cndmask_b32_e64 v2, 0, 1.0, s[62:63]
	global_store_dword v[0:1], v2, off
.LBB55_1148:
	s_mov_b64 s[64:65], 0
.LBB55_1149:
	s_andn2_b64 vcc, exec, s[64:65]
	s_cbranch_vccnz .LBB55_1151
; %bb.1150:
	v_cndmask_b32_e64 v2, 0, 1.0, s[62:63]
	v_cvt_f16_f32_e32 v2, v2
	global_store_short v[0:1], v2, off
.LBB55_1151:
	s_mov_b64 s[64:65], 0
.LBB55_1152:
	s_andn2_b64 vcc, exec, s[64:65]
	s_cbranch_vccnz .LBB55_1168
; %bb.1153:
	s_cmp_lt_i32 s14, 2
	s_mov_b64 s[64:65], -1
	s_cbranch_scc1 .LBB55_1163
; %bb.1154:
	s_cmp_lt_i32 s14, 3
	s_cbranch_scc1 .LBB55_1160
; %bb.1155:
	s_cmp_gt_i32 s14, 3
	s_cbranch_scc0 .LBB55_1157
; %bb.1156:
	s_mov_b32 s64, 0
	v_cndmask_b32_e64 v2, 0, 1, s[62:63]
	v_mov_b32_e32 v3, s64
	s_mov_b64 s[64:65], 0
	global_store_dwordx2 v[0:1], v[2:3], off
.LBB55_1157:
	s_andn2_b64 vcc, exec, s[64:65]
	s_cbranch_vccnz .LBB55_1159
; %bb.1158:
	v_cndmask_b32_e64 v2, 0, 1, s[62:63]
	global_store_dword v[0:1], v2, off
.LBB55_1159:
	s_mov_b64 s[64:65], 0
.LBB55_1160:
	s_andn2_b64 vcc, exec, s[64:65]
	s_cbranch_vccnz .LBB55_1162
; %bb.1161:
	v_cndmask_b32_e64 v2, 0, 1, s[62:63]
	global_store_short v[0:1], v2, off
.LBB55_1162:
	s_mov_b64 s[64:65], 0
.LBB55_1163:
	s_andn2_b64 vcc, exec, s[64:65]
	s_cbranch_vccnz .LBB55_1168
; %bb.1164:
	s_mov_b64 s[64:65], -1
	s_cmp_gt_i32 s14, 0
	v_cndmask_b32_e64 v2, 0, 1, s[62:63]
	s_cbranch_scc0 .LBB55_1166
; %bb.1165:
	s_mov_b64 s[64:65], 0
	global_store_byte v[0:1], v2, off
.LBB55_1166:
	s_andn2_b64 vcc, exec, s[64:65]
	s_cbranch_vccnz .LBB55_1168
; %bb.1167:
	global_store_byte v[0:1], v2, off
.LBB55_1168:
	s_mov_b64 s[64:65], -1
.LBB55_1169:
	s_andn2_b64 vcc, exec, s[64:65]
	s_cbranch_vccnz .LBB55_1181
; %bb.1170:
	v_add_u32_e32 v10, 0x80, v10
	s_mov_b64 s[64:65], -1
.LBB55_1171:
	s_andn2_b64 s[62:63], s[52:53], exec
	s_and_b64 s[0:1], s[0:1], exec
	s_or_b64 s[62:63], s[62:63], s[0:1]
	s_andn2_b64 s[0:1], s[50:51], exec
	s_and_b64 s[60:61], s[60:61], exec
	s_or_b64 s[60:61], s[0:1], s[60:61]
	;; [unrolled: 3-line block ×3, first 2 shown]
	s_orn2_b64 s[68:69], s[64:65], exec
.LBB55_1172:
	s_or_b64 exec, exec, s[56:57]
	s_mov_b64 s[64:65], 0
	s_mov_b64 s[58:59], 0
	;; [unrolled: 1-line block ×3, first 2 shown]
                                        ; implicit-def: $sgpr14
                                        ; implicit-def: $vgpr4_vgpr5
                                        ; implicit-def: $vgpr0
                                        ; implicit-def: $vgpr3
                                        ; implicit-def: $vgpr1_vgpr2
	s_and_saveexec_b64 s[56:57], s[68:69]
	s_cbranch_execz .LBB55_1263
; %bb.1173:
	v_cmp_gt_i32_e32 vcc, s70, v10
	s_mov_b64 s[68:69], s[0:1]
	s_mov_b64 s[70:71], 0
                                        ; implicit-def: $sgpr14
                                        ; implicit-def: $vgpr4_vgpr5
                                        ; implicit-def: $vgpr0
                                        ; implicit-def: $vgpr3
                                        ; implicit-def: $vgpr1_vgpr2
	s_and_saveexec_b64 s[58:59], vcc
	s_cbranch_execz .LBB55_1262
; %bb.1174:
	s_andn2_b64 vcc, exec, s[24:25]
	s_cbranch_vccnz .LBB55_1180
; %bb.1175:
	s_andn2_b64 vcc, exec, s[38:39]
	s_cbranch_vccnz .LBB55_1182
; %bb.1176:
	s_add_i32 s14, s75, 1
	s_and_b32 s14, s14, 30
	s_add_u32 s38, s2, 0xffffffe8
	s_addc_u32 s39, s3, -1
	v_mov_b32_e32 v3, 0
	s_waitcnt vmcnt(0)
	v_mov_b32_e32 v5, 0
	v_mov_b32_e32 v0, 0
	;; [unrolled: 1-line block ×3, first 2 shown]
.LBB55_1177:                            ; =>This Inner Loop Header: Depth=1
	s_load_dwordx4 s[64:67], s[38:39], 0x1c
	s_load_dwordx2 s[76:77], s[38:39], 0x2c
	s_load_dwordx2 s[78:79], s[38:39], 0xec
	s_load_dwordx4 s[68:71], s[38:39], 0xdc
	s_add_u32 s38, s38, 24
	s_waitcnt lgkmcnt(0)
	v_mul_hi_u32 v2, s65, v1
	s_addc_u32 s39, s39, 0
	s_add_i32 s14, s14, -2
	s_cmp_eq_u32 s14, 0
	v_add_u32_e32 v2, v1, v2
	v_lshrrev_b32_e32 v2, s66, v2
	v_mul_lo_u32 v4, v2, s64
	v_mul_hi_u32 v6, s76, v2
	v_sub_u32_e32 v4, v1, v4
	v_add_u32_e32 v1, v2, v6
	v_lshrrev_b32_e32 v1, s77, v1
	v_mul_lo_u32 v8, v1, s67
	v_mul_lo_u32 v6, v4, s68
	;; [unrolled: 1-line block ×4, first 2 shown]
	v_sub_u32_e32 v2, v2, v8
	v_mul_lo_u32 v8, v2, s71
	v_mul_lo_u32 v9, v2, s78
	v_mul_lo_u32 v2, v2, s79
	v_add3_u32 v0, v6, v0, v8
	v_add3_u32 v5, v7, v5, v9
	v_add3_u32 v3, v4, v3, v2
	s_cbranch_scc0 .LBB55_1177
; %bb.1178:
	s_bitcmp1_b32 s75, 0
	s_cselect_b64 s[64:65], -1, 0
	s_and_b64 vcc, exec, s[64:65]
	s_cbranch_vccnz .LBB55_1183
; %bb.1179:
	s_load_dwordx2 s[64:65], s[38:39], 0x1c
	s_load_dword s14, s[38:39], 0x24
	s_load_dwordx2 s[66:67], s[38:39], 0xdc
	s_waitcnt lgkmcnt(0)
	v_mul_hi_u32 v2, s65, v1
	v_add_u32_e32 v2, v1, v2
	v_lshrrev_b32_e32 v2, s14, v2
	v_mul_lo_u32 v2, v2, s64
	s_load_dword s14, s[38:39], 0xe4
	v_sub_u32_e32 v2, v1, v2
	v_mad_u64_u32 v[0:1], s[38:39], v2, s66, v[0:1]
	v_mad_u64_u32 v[5:6], s[38:39], v2, s67, v[5:6]
	s_waitcnt lgkmcnt(0)
	v_mad_u64_u32 v[3:4], s[38:39], v2, s14, v[3:4]
	s_branch .LBB55_1183
.LBB55_1180:
	s_mov_b64 s[38:39], -1
                                        ; implicit-def: $vgpr0
                                        ; implicit-def: $vgpr5
                                        ; implicit-def: $vgpr3
	s_branch .LBB55_1184
.LBB55_1181:
	s_mov_b64 s[64:65], 0
	s_branch .LBB55_928
.LBB55_1182:
	v_mov_b32_e32 v0, 0
	s_waitcnt vmcnt(0)
	v_mov_b32_e32 v5, 0
	v_mov_b32_e32 v3, 0
.LBB55_1183:
	s_mov_b64 s[38:39], 0
.LBB55_1184:
	s_andn2_b64 vcc, exec, s[38:39]
	s_cbranch_vccnz .LBB55_1187
; %bb.1185:
	v_mul_hi_u32 v0, s17, v10
	s_andn2_b64 vcc, exec, s[36:37]
	v_add_u32_e32 v0, v10, v0
	s_waitcnt vmcnt(0)
	v_lshrrev_b32_e32 v1, s18, v0
	v_mul_lo_u32 v0, v1, s16
	v_sub_u32_e32 v2, v10, v0
	v_mul_lo_u32 v0, v2, s20
	v_mul_lo_u32 v5, v2, s21
	;; [unrolled: 1-line block ×3, first 2 shown]
	s_cbranch_vccnz .LBB55_1187
; %bb.1186:
	v_mul_hi_u32 v2, s34, v1
	v_add_u32_e32 v2, v1, v2
	v_lshrrev_b32_e32 v2, s35, v2
	v_mul_lo_u32 v2, v2, s19
	v_sub_u32_e32 v2, v1, v2
	v_mad_u64_u32 v[0:1], s[16:17], v2, s23, v[0:1]
	v_mad_u64_u32 v[5:6], s[16:17], v2, s30, v[5:6]
	;; [unrolled: 1-line block ×3, first 2 shown]
.LBB55_1187:
	s_waitcnt vmcnt(0)
	v_mov_b32_e32 v1, s11
	s_and_b32 s14, s74, 0xff
	v_add_co_u32_e32 v4, vcc, s10, v5
	s_cmp_lt_i32 s14, 11
	v_addc_co_u32_e32 v5, vcc, 0, v1, vcc
	s_cbranch_scc1 .LBB55_1194
; %bb.1188:
	s_and_b32 s22, 0xffff, s14
	s_cmp_gt_i32 s22, 25
	s_mov_b64 s[16:17], 0
	s_cbranch_scc0 .LBB55_1195
; %bb.1189:
	s_cmp_gt_i32 s22, 28
	s_cbranch_scc0 .LBB55_1196
; %bb.1190:
	s_cmp_gt_i32 s22, 43
	;; [unrolled: 3-line block ×3, first 2 shown]
	s_cbranch_scc0 .LBB55_1198
; %bb.1192:
	s_cmp_eq_u32 s22, 46
	s_mov_b64 s[20:21], 0
	s_cbranch_scc0 .LBB55_1201
; %bb.1193:
	global_load_dword v1, v[4:5], off
	s_mov_b32 s10, 0x2f800000
	s_mov_b32 s11, 0xcf800000
	s_mov_b64 s[18:19], -1
	s_waitcnt vmcnt(0)
	v_lshlrev_b32_e32 v1, 16, v1
	v_trunc_f32_e32 v1, v1
	v_mul_f32_e64 v2, |v1|, s10
	v_floor_f32_e32 v2, v2
	v_fma_f32 v6, v2, s11, |v1|
	v_cvt_u32_f32_e32 v6, v6
	v_cvt_u32_f32_e32 v2, v2
	v_ashrrev_i32_e32 v7, 31, v1
	s_mov_b64 s[10:11], 0
	v_xor_b32_e32 v1, v6, v7
	v_xor_b32_e32 v2, v2, v7
	v_sub_co_u32_e32 v1, vcc, v1, v7
	v_subb_co_u32_e32 v2, vcc, v2, v7, vcc
	s_branch .LBB55_1202
.LBB55_1194:
	s_mov_b64 s[20:21], -1
	s_mov_b64 s[18:19], 0
	s_mov_b64 s[16:17], 0
	;; [unrolled: 1-line block ×3, first 2 shown]
                                        ; implicit-def: $vgpr1_vgpr2
	s_branch .LBB55_1261
.LBB55_1195:
	s_mov_b64 s[20:21], -1
	s_mov_b64 s[18:19], 0
	s_mov_b64 s[10:11], s[0:1]
                                        ; implicit-def: $vgpr1_vgpr2
	s_branch .LBB55_1231
.LBB55_1196:
	s_mov_b64 s[20:21], -1
	s_mov_b64 s[18:19], 0
	s_mov_b64 s[10:11], s[0:1]
                                        ; implicit-def: $vgpr1_vgpr2
	s_branch .LBB55_1212
.LBB55_1197:
	s_mov_b64 s[20:21], -1
	s_mov_b64 s[18:19], 0
	s_mov_b64 s[10:11], s[0:1]
                                        ; implicit-def: $vgpr1_vgpr2
	s_branch .LBB55_1207
.LBB55_1198:
	s_mov_b64 s[20:21], -1
	s_mov_b64 s[18:19], 0
	s_mov_b64 s[10:11], s[0:1]
                                        ; implicit-def: $vgpr1_vgpr2
	s_branch .LBB55_1202
.LBB55_1199:
	s_andn2_saveexec_b64 s[68:69], s[68:69]
	s_cbranch_execz .LBB55_1082
.LBB55_1200:
	v_add_f32_e32 v2, 0x46000000, v3
	v_and_b32_e32 v2, 0xff, v2
	v_cmp_ne_u32_e32 vcc, 0, v2
	s_andn2_b64 s[66:67], s[66:67], exec
	s_and_b64 s[76:77], vcc, exec
	s_or_b64 s[66:67], s[66:67], s[76:77]
	s_or_b64 exec, exec, s[68:69]
	v_mov_b32_e32 v4, 0
	s_and_saveexec_b64 s[68:69], s[66:67]
	s_cbranch_execnz .LBB55_1083
	s_branch .LBB55_1084
.LBB55_1201:
	s_mov_b64 s[10:11], -1
                                        ; implicit-def: $vgpr1_vgpr2
	s_mov_b64 s[18:19], 0
.LBB55_1202:
	s_and_b64 vcc, exec, s[20:21]
	s_cbranch_vccz .LBB55_1206
; %bb.1203:
	s_cmp_eq_u32 s22, 44
	s_cbranch_scc0 .LBB55_1205
; %bb.1204:
	global_load_ubyte v1, v[4:5], off
	s_mov_b32 s10, 0x2f800000
	s_mov_b32 s11, 0xcf800000
	s_mov_b64 s[18:19], -1
	s_waitcnt vmcnt(0)
	v_lshlrev_b32_e32 v2, 23, v1
	v_trunc_f32_e32 v2, v2
	v_mul_f32_e64 v6, |v2|, s10
	v_floor_f32_e32 v6, v6
	v_fma_f32 v7, v6, s11, |v2|
	v_cvt_u32_f32_e32 v7, v7
	v_cvt_u32_f32_e32 v6, v6
	v_ashrrev_i32_e32 v2, 31, v2
	s_mov_b64 s[10:11], 0
	v_xor_b32_e32 v7, v7, v2
	v_xor_b32_e32 v6, v6, v2
	v_sub_co_u32_e32 v7, vcc, v7, v2
	v_subb_co_u32_e32 v2, vcc, v6, v2, vcc
	v_cmp_ne_u32_e32 vcc, 0, v1
	v_cndmask_b32_e32 v2, 0, v2, vcc
	v_cndmask_b32_e32 v1, 0, v7, vcc
	s_branch .LBB55_1206
.LBB55_1205:
	s_mov_b64 s[10:11], -1
                                        ; implicit-def: $vgpr1_vgpr2
.LBB55_1206:
	s_mov_b64 s[20:21], 0
.LBB55_1207:
	s_and_b64 vcc, exec, s[20:21]
	s_cbranch_vccz .LBB55_1211
; %bb.1208:
	s_cmp_eq_u32 s22, 29
	s_cbranch_scc0 .LBB55_1210
; %bb.1209:
	global_load_dwordx2 v[1:2], v[4:5], off
	s_mov_b64 s[10:11], 0
	s_mov_b64 s[18:19], -1
	s_branch .LBB55_1211
.LBB55_1210:
	s_mov_b64 s[10:11], -1
                                        ; implicit-def: $vgpr1_vgpr2
.LBB55_1211:
	s_mov_b64 s[20:21], 0
.LBB55_1212:
	s_and_b64 vcc, exec, s[20:21]
	s_cbranch_vccz .LBB55_1230
; %bb.1213:
	s_cmp_lt_i32 s22, 27
	s_cbranch_scc1 .LBB55_1216
; %bb.1214:
	s_cmp_gt_i32 s22, 27
	s_cbranch_scc0 .LBB55_1217
; %bb.1215:
	global_load_dword v1, v[4:5], off
	s_waitcnt vmcnt(1)
	v_mov_b32_e32 v2, 0
	s_mov_b64 s[18:19], 0
	s_branch .LBB55_1218
.LBB55_1216:
	s_mov_b64 s[18:19], -1
                                        ; implicit-def: $vgpr1_vgpr2
	s_branch .LBB55_1221
.LBB55_1217:
	s_mov_b64 s[18:19], -1
                                        ; implicit-def: $vgpr1_vgpr2
.LBB55_1218:
	s_andn2_b64 vcc, exec, s[18:19]
	s_cbranch_vccnz .LBB55_1220
; %bb.1219:
	global_load_ushort v1, v[4:5], off
	s_mov_b32 s18, 0
	s_waitcnt vmcnt(1)
	v_mov_b32_e32 v2, s18
	s_waitcnt vmcnt(0)
	v_and_b32_e32 v1, 0xffff, v1
.LBB55_1220:
	s_mov_b64 s[18:19], 0
.LBB55_1221:
	s_andn2_b64 vcc, exec, s[18:19]
	s_cbranch_vccnz .LBB55_1229
; %bb.1222:
	global_load_ubyte v6, v[4:5], off
	s_movk_i32 s18, 0x7f
	s_mov_b64 s[20:21], 0
	s_waitcnt vmcnt(0)
	v_cmp_lt_i16_e32 vcc, s18, v6
	s_and_saveexec_b64 s[18:19], vcc
	s_xor_b64 s[18:19], exec, s[18:19]
; %bb.1223:
	s_movk_i32 s20, 0x80
	v_cmp_ne_u16_e32 vcc, s20, v6
	s_and_b64 s[20:21], vcc, exec
; %bb.1224:
	s_andn2_saveexec_b64 s[18:19], s[18:19]
; %bb.1225:
	v_cmp_ne_u16_e32 vcc, 0, v6
	s_andn2_b64 s[20:21], s[20:21], exec
	s_and_b64 s[30:31], vcc, exec
	s_or_b64 s[20:21], s[20:21], s[30:31]
; %bb.1226:
	s_or_b64 exec, exec, s[18:19]
	v_mov_b32_e32 v1, 0
	v_mov_b32_e32 v2, 0
	s_and_saveexec_b64 s[18:19], s[20:21]
	s_cbranch_execz .LBB55_1228
; %bb.1227:
	v_and_b32_e32 v2, 0xffff, v6
	v_lshlrev_b32_e32 v1, 24, v6
	v_and_b32_e32 v6, 7, v2
	v_ffbh_u32_e32 v8, v6
	v_min_u32_e32 v8, 32, v8
	v_subrev_u32_e32 v9, 28, v8
	v_bfe_u32 v7, v2, 3, 4
	v_lshlrev_b32_e32 v2, v9, v2
	v_sub_u32_e32 v8, 29, v8
	v_and_b32_e32 v2, 7, v2
	v_cmp_eq_u32_e32 vcc, 0, v7
	v_cndmask_b32_e32 v7, v7, v8, vcc
	v_cndmask_b32_e32 v2, v6, v2, vcc
	v_mov_b32_e32 v6, 0x3b800000
	v_lshlrev_b32_e32 v2, 20, v2
	v_and_b32_e32 v1, 0x80000000, v1
	v_lshl_add_u32 v6, v7, 23, v6
	v_or3_b32 v1, v1, v6, v2
	v_trunc_f32_e32 v1, v1
	s_mov_b32 s20, 0x2f800000
	v_mul_f32_e64 v2, |v1|, s20
	v_floor_f32_e32 v2, v2
	s_mov_b32 s20, 0xcf800000
	v_fma_f32 v6, v2, s20, |v1|
	v_cvt_u32_f32_e32 v6, v6
	v_cvt_u32_f32_e32 v2, v2
	v_ashrrev_i32_e32 v7, 31, v1
	v_xor_b32_e32 v1, v6, v7
	v_xor_b32_e32 v2, v2, v7
	v_sub_co_u32_e32 v1, vcc, v1, v7
	v_subb_co_u32_e32 v2, vcc, v2, v7, vcc
.LBB55_1228:
	s_or_b64 exec, exec, s[18:19]
.LBB55_1229:
	s_mov_b64 s[18:19], -1
.LBB55_1230:
	s_mov_b64 s[20:21], 0
.LBB55_1231:
	s_and_b64 vcc, exec, s[20:21]
	s_cbranch_vccz .LBB55_1260
; %bb.1232:
	s_cmp_gt_i32 s22, 22
	s_cbranch_scc0 .LBB55_1242
; %bb.1233:
	s_cmp_lt_i32 s22, 24
	s_cbranch_scc1 .LBB55_1243
; %bb.1234:
	s_cmp_gt_i32 s22, 24
	s_cbranch_scc0 .LBB55_1244
; %bb.1235:
	global_load_ubyte v6, v[4:5], off
	s_movk_i32 s16, 0x7f
	s_mov_b64 s[18:19], 0
	s_waitcnt vmcnt(0)
	v_cmp_lt_i16_e32 vcc, s16, v6
	s_and_saveexec_b64 s[16:17], vcc
	s_xor_b64 s[16:17], exec, s[16:17]
; %bb.1236:
	s_movk_i32 s18, 0x80
	v_cmp_ne_u16_e32 vcc, s18, v6
	s_and_b64 s[18:19], vcc, exec
; %bb.1237:
	s_andn2_saveexec_b64 s[16:17], s[16:17]
; %bb.1238:
	v_cmp_ne_u16_e32 vcc, 0, v6
	s_andn2_b64 s[18:19], s[18:19], exec
	s_and_b64 s[20:21], vcc, exec
	s_or_b64 s[18:19], s[18:19], s[20:21]
; %bb.1239:
	s_or_b64 exec, exec, s[16:17]
	v_mov_b32_e32 v1, 0
	v_mov_b32_e32 v2, 0
	s_and_saveexec_b64 s[16:17], s[18:19]
	s_cbranch_execz .LBB55_1241
; %bb.1240:
	v_and_b32_e32 v2, 0xffff, v6
	v_lshlrev_b32_e32 v1, 24, v6
	v_and_b32_e32 v6, 3, v2
	v_ffbh_u32_e32 v8, v6
	v_min_u32_e32 v8, 32, v8
	v_subrev_u32_e32 v9, 29, v8
	v_bfe_u32 v7, v2, 2, 5
	v_lshlrev_b32_e32 v2, v9, v2
	v_sub_u32_e32 v8, 30, v8
	v_and_b32_e32 v2, 3, v2
	v_cmp_eq_u32_e32 vcc, 0, v7
	v_cndmask_b32_e32 v7, v7, v8, vcc
	v_cndmask_b32_e32 v2, v6, v2, vcc
	v_mov_b32_e32 v6, 0x37800000
	v_lshlrev_b32_e32 v2, 21, v2
	v_and_b32_e32 v1, 0x80000000, v1
	v_lshl_add_u32 v6, v7, 23, v6
	v_or3_b32 v1, v1, v6, v2
	v_trunc_f32_e32 v1, v1
	s_mov_b32 s18, 0x2f800000
	v_mul_f32_e64 v2, |v1|, s18
	v_floor_f32_e32 v2, v2
	s_mov_b32 s18, 0xcf800000
	v_fma_f32 v6, v2, s18, |v1|
	v_cvt_u32_f32_e32 v6, v6
	v_cvt_u32_f32_e32 v2, v2
	v_ashrrev_i32_e32 v7, 31, v1
	v_xor_b32_e32 v1, v6, v7
	v_xor_b32_e32 v2, v2, v7
	v_sub_co_u32_e32 v1, vcc, v1, v7
	v_subb_co_u32_e32 v2, vcc, v2, v7, vcc
.LBB55_1241:
	s_or_b64 exec, exec, s[16:17]
	s_mov_b64 s[16:17], 0
	s_branch .LBB55_1245
.LBB55_1242:
	s_mov_b64 s[16:17], -1
                                        ; implicit-def: $vgpr1_vgpr2
	s_branch .LBB55_1251
.LBB55_1243:
	s_mov_b64 s[16:17], -1
                                        ; implicit-def: $vgpr1_vgpr2
	s_branch .LBB55_1248
.LBB55_1244:
	s_mov_b64 s[16:17], -1
                                        ; implicit-def: $vgpr1_vgpr2
.LBB55_1245:
	s_and_b64 vcc, exec, s[16:17]
	s_cbranch_vccz .LBB55_1247
; %bb.1246:
	global_load_ubyte v1, v[4:5], off
	s_mov_b32 s16, 0x7f800000
	s_brev_b32 s17, 1
	s_mov_b32 s18, 0x2f800000
	s_mov_b32 s19, 0xcf800000
	s_waitcnt vmcnt(0)
	v_lshlrev_b32_e32 v1, 24, v1
	v_and_b32_e32 v2, 0x7f000000, v1
	v_ffbh_u32_e32 v6, v2
	v_min_u32_e32 v6, 32, v6
	v_sub_u32_e64 v6, v6, 4 clamp
	v_lshlrev_b32_e32 v8, v6, v2
	v_lshlrev_b32_e32 v6, 23, v6
	v_lshrrev_b32_e32 v8, 4, v8
	v_add_u32_e32 v7, 0x1000000, v2
	v_sub_u32_e32 v6, v8, v6
	v_ashrrev_i32_e32 v7, 8, v7
	v_add_u32_e32 v6, 0x3c000000, v6
	v_and_or_b32 v6, v7, s16, v6
	v_cmp_ne_u32_e32 vcc, 0, v2
	v_cndmask_b32_e32 v2, 0, v6, vcc
	v_and_or_b32 v1, v1, s17, v2
	v_trunc_f32_e32 v1, v1
	v_mul_f32_e64 v2, |v1|, s18
	v_floor_f32_e32 v2, v2
	v_fma_f32 v6, v2, s19, |v1|
	v_cvt_u32_f32_e32 v6, v6
	v_cvt_u32_f32_e32 v2, v2
	v_ashrrev_i32_e32 v7, 31, v1
	v_xor_b32_e32 v1, v6, v7
	v_xor_b32_e32 v2, v2, v7
	v_sub_co_u32_e32 v1, vcc, v1, v7
	v_subb_co_u32_e32 v2, vcc, v2, v7, vcc
.LBB55_1247:
	s_mov_b64 s[16:17], 0
.LBB55_1248:
	s_andn2_b64 vcc, exec, s[16:17]
	s_cbranch_vccnz .LBB55_1250
; %bb.1249:
	global_load_ubyte v1, v[4:5], off
	s_movk_i32 s16, 0x7f00
	s_brev_b32 s17, 16
	s_brev_b32 s18, 1
	s_mov_b32 s19, 0x2f800000
	s_mov_b32 s20, 0xcf800000
	s_waitcnt vmcnt(0)
	v_lshlrev_b16_e32 v2, 8, v1
	v_lshlrev_b32_e32 v1, 25, v1
	v_lshrrev_b32_e32 v6, 4, v1
	v_and_or_b32 v7, v2, s16, 0.5
	v_or_b32_e32 v6, 0x70000000, v6
	v_add_f32_e32 v7, -0.5, v7
	v_mul_f32_e32 v6, 0x7800000, v6
	v_cmp_gt_u32_e32 vcc, s17, v1
	v_bfe_i32 v2, v2, 0, 16
	v_cndmask_b32_e32 v1, v6, v7, vcc
	v_and_or_b32 v1, v2, s18, v1
	v_trunc_f32_e32 v1, v1
	v_mul_f32_e64 v2, |v1|, s19
	v_floor_f32_e32 v2, v2
	v_fma_f32 v6, v2, s20, |v1|
	v_cvt_u32_f32_e32 v6, v6
	v_cvt_u32_f32_e32 v2, v2
	v_ashrrev_i32_e32 v7, 31, v1
	v_xor_b32_e32 v1, v6, v7
	v_xor_b32_e32 v2, v2, v7
	v_sub_co_u32_e32 v1, vcc, v1, v7
	v_subb_co_u32_e32 v2, vcc, v2, v7, vcc
.LBB55_1250:
	s_mov_b64 s[16:17], 0
	s_mov_b64 s[18:19], -1
.LBB55_1251:
	s_andn2_b64 vcc, exec, s[16:17]
	s_mov_b64 s[16:17], 0
	s_cbranch_vccnz .LBB55_1260
; %bb.1252:
	s_cmp_gt_i32 s22, 14
	s_cbranch_scc0 .LBB55_1255
; %bb.1253:
	s_cmp_eq_u32 s22, 15
	s_cbranch_scc0 .LBB55_1256
; %bb.1254:
	global_load_ushort v1, v[4:5], off
	s_mov_b32 s10, 0x2f800000
	s_mov_b32 s11, 0xcf800000
	s_mov_b64 s[18:19], -1
	s_waitcnt vmcnt(0)
	v_lshlrev_b32_e32 v1, 16, v1
	v_trunc_f32_e32 v1, v1
	v_mul_f32_e64 v2, |v1|, s10
	v_floor_f32_e32 v2, v2
	v_fma_f32 v6, v2, s11, |v1|
	v_cvt_u32_f32_e32 v6, v6
	v_cvt_u32_f32_e32 v2, v2
	v_ashrrev_i32_e32 v7, 31, v1
	s_mov_b64 s[10:11], 0
	v_xor_b32_e32 v1, v6, v7
	v_xor_b32_e32 v2, v2, v7
	v_sub_co_u32_e32 v1, vcc, v1, v7
	v_subb_co_u32_e32 v2, vcc, v2, v7, vcc
	s_branch .LBB55_1257
.LBB55_1255:
	s_mov_b64 s[20:21], -1
                                        ; implicit-def: $vgpr1_vgpr2
	s_branch .LBB55_1258
.LBB55_1256:
	s_mov_b64 s[10:11], -1
                                        ; implicit-def: $vgpr1_vgpr2
.LBB55_1257:
	s_mov_b64 s[20:21], 0
.LBB55_1258:
	s_and_b64 vcc, exec, s[20:21]
	s_cbranch_vccz .LBB55_1260
; %bb.1259:
	s_cmp_lg_u32 s22, 11
	s_cselect_b64 s[20:21], -1, 0
	s_andn2_b64 s[10:11], s[10:11], exec
	s_and_b64 s[20:21], s[20:21], exec
	s_mov_b64 s[16:17], -1
	s_or_b64 s[10:11], s[10:11], s[20:21]
.LBB55_1260:
	s_mov_b64 s[20:21], 0
.LBB55_1261:
	s_and_b64 s[64:65], s[16:17], exec
	s_andn2_b64 s[16:17], s[0:1], exec
	s_and_b64 s[10:11], s[10:11], exec
	s_and_b64 s[66:67], s[18:19], exec
	;; [unrolled: 1-line block ×3, first 2 shown]
	s_or_b64 s[68:69], s[16:17], s[10:11]
.LBB55_1262:
	s_or_b64 exec, exec, s[58:59]
	s_andn2_b64 s[0:1], s[0:1], exec
	s_and_b64 s[10:11], s[68:69], exec
	s_and_b64 s[66:67], s[66:67], exec
	;; [unrolled: 1-line block ×4, first 2 shown]
	s_or_b64 s[0:1], s[0:1], s[10:11]
.LBB55_1263:
	s_or_b64 exec, exec, s[56:57]
	s_andn2_b64 s[10:11], s[52:53], exec
	s_and_b64 s[16:17], s[62:63], exec
	s_or_b64 s[52:53], s[10:11], s[16:17]
	s_andn2_b64 s[10:11], s[50:51], exec
	s_and_b64 s[16:17], s[60:61], exec
	s_or_b64 s[50:51], s[10:11], s[16:17]
	s_andn2_b64 s[10:11], s[48:49], exec
	s_and_b64 s[0:1], s[0:1], exec
	s_and_b64 s[60:61], s[66:67], exec
	;; [unrolled: 1-line block ×4, first 2 shown]
	s_or_b64 s[48:49], s[10:11], s[0:1]
.LBB55_1264:
	s_or_b64 exec, exec, s[54:55]
	s_andn2_b64 s[0:1], s[40:41], exec
	s_and_b64 s[10:11], s[52:53], exec
	s_or_b64 s[40:41], s[0:1], s[10:11]
	s_andn2_b64 s[0:1], s[42:43], exec
	s_and_b64 s[10:11], s[50:51], exec
	s_or_b64 s[42:43], s[0:1], s[10:11]
	s_andn2_b64 s[0:1], s[44:45], exec
	s_and_b64 s[10:11], s[48:49], exec
	s_and_b64 s[52:53], s[60:61], exec
	s_and_b64 s[54:55], s[58:59], exec
	s_and_b64 s[50:51], s[56:57], exec
	s_or_b64 s[44:45], s[0:1], s[10:11]
	s_or_b64 exec, exec, s[46:47]
	s_mov_b64 s[10:11], 0
	s_and_saveexec_b64 s[0:1], s[44:45]
	s_cbranch_execz .LBB55_395
.LBB55_1265:
	s_mov_b64 s[10:11], exec
	s_andn2_b64 s[50:51], s[50:51], exec
	s_trap 2
	s_or_b64 exec, exec, s[0:1]
	s_and_saveexec_b64 s[0:1], s[50:51]
	s_xor_b64 s[0:1], exec, s[0:1]
	s_cbranch_execnz .LBB55_396
.LBB55_1266:
	s_or_b64 exec, exec, s[0:1]
	s_and_saveexec_b64 s[0:1], s[54:55]
	s_cbranch_execz .LBB55_1312
.LBB55_1267:
	s_sext_i32_i16 s16, s14
	s_cmp_lt_i32 s16, 5
	s_cbranch_scc1 .LBB55_1272
; %bb.1268:
	s_cmp_lt_i32 s16, 8
	s_cbranch_scc1 .LBB55_1273
; %bb.1269:
	;; [unrolled: 3-line block ×3, first 2 shown]
	s_cmp_gt_i32 s16, 9
	s_cbranch_scc0 .LBB55_1275
; %bb.1271:
	s_waitcnt vmcnt(0)
	global_load_dwordx2 v[1:2], v[4:5], off
	s_movk_i32 s16, 0xffe0
	s_waitcnt vmcnt(0)
	v_trunc_f64_e32 v[1:2], v[1:2]
	v_ldexp_f64 v[6:7], v[1:2], s16
	s_mov_b32 s16, 0
	s_mov_b32 s17, 0xc1f00000
	v_floor_f64_e32 v[6:7], v[6:7]
	v_fma_f64 v[8:9], v[6:7], s[16:17], v[1:2]
	v_cvt_i32_f64_e32 v2, v[6:7]
	s_mov_b64 s[16:17], 0
	v_cvt_u32_f64_e32 v1, v[8:9]
	s_branch .LBB55_1276
.LBB55_1272:
                                        ; implicit-def: $vgpr1_vgpr2
	s_branch .LBB55_1293
.LBB55_1273:
                                        ; implicit-def: $vgpr1_vgpr2
	s_branch .LBB55_1282
.LBB55_1274:
	s_mov_b64 s[16:17], -1
                                        ; implicit-def: $vgpr1_vgpr2
	s_branch .LBB55_1279
.LBB55_1275:
	s_mov_b64 s[16:17], -1
                                        ; implicit-def: $vgpr1_vgpr2
.LBB55_1276:
	s_andn2_b64 vcc, exec, s[16:17]
	s_cbranch_vccnz .LBB55_1278
; %bb.1277:
	s_waitcnt vmcnt(0)
	global_load_dword v1, v[4:5], off
	s_mov_b32 s16, 0x2f800000
	s_mov_b32 s17, 0xcf800000
	s_waitcnt vmcnt(0)
	v_trunc_f32_e32 v1, v1
	v_mul_f32_e64 v2, |v1|, s16
	v_floor_f32_e32 v2, v2
	v_cvt_u32_f32_e32 v6, v2
	v_fma_f32 v2, v2, s17, |v1|
	v_cvt_u32_f32_e32 v2, v2
	v_ashrrev_i32_e32 v7, 31, v1
	v_xor_b32_e32 v6, v6, v7
	v_xor_b32_e32 v1, v2, v7
	v_sub_co_u32_e32 v1, vcc, v1, v7
	v_subb_co_u32_e32 v2, vcc, v6, v7, vcc
.LBB55_1278:
	s_mov_b64 s[16:17], 0
.LBB55_1279:
	s_andn2_b64 vcc, exec, s[16:17]
	s_cbranch_vccnz .LBB55_1281
; %bb.1280:
	s_waitcnt vmcnt(0)
	global_load_dword v1, v[4:5], off
	s_waitcnt vmcnt(0)
	v_cvt_f32_f16_e32 v1, v1
	v_cvt_i32_f32_e32 v1, v1
	v_ashrrev_i32_e32 v2, 31, v1
.LBB55_1281:
	s_cbranch_execnz .LBB55_1292
.LBB55_1282:
	s_sext_i32_i16 s16, s14
	s_cmp_lt_i32 s16, 6
	s_cbranch_scc1 .LBB55_1285
; %bb.1283:
	s_cmp_gt_i32 s16, 6
	s_cbranch_scc0 .LBB55_1286
; %bb.1284:
	s_waitcnt vmcnt(0)
	global_load_dwordx2 v[1:2], v[4:5], off
	s_movk_i32 s16, 0xffe0
	s_waitcnt vmcnt(0)
	v_trunc_f64_e32 v[1:2], v[1:2]
	v_ldexp_f64 v[6:7], v[1:2], s16
	s_mov_b32 s16, 0
	s_mov_b32 s17, 0xc1f00000
	v_floor_f64_e32 v[6:7], v[6:7]
	v_fma_f64 v[8:9], v[6:7], s[16:17], v[1:2]
	v_cvt_i32_f64_e32 v2, v[6:7]
	s_mov_b64 s[16:17], 0
	v_cvt_u32_f64_e32 v1, v[8:9]
	s_branch .LBB55_1287
.LBB55_1285:
	s_mov_b64 s[16:17], -1
                                        ; implicit-def: $vgpr1_vgpr2
	s_branch .LBB55_1290
.LBB55_1286:
	s_mov_b64 s[16:17], -1
                                        ; implicit-def: $vgpr1_vgpr2
.LBB55_1287:
	s_andn2_b64 vcc, exec, s[16:17]
	s_cbranch_vccnz .LBB55_1289
; %bb.1288:
	s_waitcnt vmcnt(0)
	global_load_dword v1, v[4:5], off
	s_mov_b32 s16, 0x2f800000
	s_mov_b32 s17, 0xcf800000
	s_waitcnt vmcnt(0)
	v_trunc_f32_e32 v1, v1
	v_mul_f32_e64 v2, |v1|, s16
	v_floor_f32_e32 v2, v2
	v_cvt_u32_f32_e32 v6, v2
	v_fma_f32 v2, v2, s17, |v1|
	v_cvt_u32_f32_e32 v2, v2
	v_ashrrev_i32_e32 v7, 31, v1
	v_xor_b32_e32 v6, v6, v7
	v_xor_b32_e32 v1, v2, v7
	v_sub_co_u32_e32 v1, vcc, v1, v7
	v_subb_co_u32_e32 v2, vcc, v6, v7, vcc
.LBB55_1289:
	s_mov_b64 s[16:17], 0
.LBB55_1290:
	s_andn2_b64 vcc, exec, s[16:17]
	s_cbranch_vccnz .LBB55_1292
; %bb.1291:
	s_waitcnt vmcnt(0)
	global_load_ushort v1, v[4:5], off
	s_waitcnt vmcnt(0)
	v_cvt_f32_f16_e32 v1, v1
	v_cvt_i32_f32_e32 v1, v1
	v_ashrrev_i32_e32 v2, 31, v1
.LBB55_1292:
	s_cbranch_execnz .LBB55_1311
.LBB55_1293:
	s_sext_i32_i16 s16, s14
	s_cmp_lt_i32 s16, 2
	s_cbranch_scc1 .LBB55_1297
; %bb.1294:
	s_cmp_lt_i32 s16, 3
	s_cbranch_scc1 .LBB55_1298
; %bb.1295:
	s_cmp_gt_i32 s16, 3
	s_cbranch_scc0 .LBB55_1299
; %bb.1296:
	s_waitcnt vmcnt(0)
	global_load_dwordx2 v[1:2], v[4:5], off
	s_mov_b64 s[16:17], 0
	s_branch .LBB55_1300
.LBB55_1297:
                                        ; implicit-def: $vgpr1_vgpr2
	s_branch .LBB55_1306
.LBB55_1298:
	s_mov_b64 s[16:17], -1
                                        ; implicit-def: $vgpr1_vgpr2
	s_branch .LBB55_1303
.LBB55_1299:
	s_mov_b64 s[16:17], -1
                                        ; implicit-def: $vgpr1_vgpr2
.LBB55_1300:
	s_andn2_b64 vcc, exec, s[16:17]
	s_cbranch_vccnz .LBB55_1302
; %bb.1301:
	s_waitcnt vmcnt(0)
	global_load_dword v1, v[4:5], off
	s_waitcnt vmcnt(0)
	v_ashrrev_i32_e32 v2, 31, v1
.LBB55_1302:
	s_mov_b64 s[16:17], 0
.LBB55_1303:
	s_andn2_b64 vcc, exec, s[16:17]
	s_cbranch_vccnz .LBB55_1305
; %bb.1304:
	s_waitcnt vmcnt(0)
	global_load_ushort v1, v[4:5], off
	s_waitcnt vmcnt(0)
	v_bfe_i32 v1, v1, 0, 16
	v_ashrrev_i32_e32 v2, 31, v1
.LBB55_1305:
	s_cbranch_execnz .LBB55_1311
.LBB55_1306:
	s_sext_i32_i16 s14, s14
	s_cmp_gt_i32 s14, 0
	s_cbranch_scc0 .LBB55_1308
; %bb.1307:
	s_waitcnt vmcnt(0)
	global_load_sbyte v1, v[4:5], off
	s_mov_b64 s[16:17], 0
	s_waitcnt vmcnt(0)
	v_bfe_i32 v1, v1, 0, 16
	v_ashrrev_i32_e32 v2, 31, v1
	s_branch .LBB55_1309
.LBB55_1308:
	s_mov_b64 s[16:17], -1
                                        ; implicit-def: $vgpr1_vgpr2
.LBB55_1309:
	s_andn2_b64 vcc, exec, s[16:17]
	s_cbranch_vccnz .LBB55_1311
; %bb.1310:
	s_waitcnt vmcnt(0)
	global_load_ubyte v1, v[4:5], off
	s_mov_b32 s14, 0
	v_mov_b32_e32 v2, s14
	s_waitcnt vmcnt(0)
	v_and_b32_e32 v1, 0xffff, v1
.LBB55_1311:
	s_or_b64 s[52:53], s[52:53], exec
.LBB55_1312:
	s_or_b64 exec, exec, s[0:1]
	s_mov_b64 s[16:17], 0
	s_mov_b64 s[20:21], 0
	;; [unrolled: 1-line block ×3, first 2 shown]
                                        ; implicit-def: $sgpr14
                                        ; implicit-def: $vgpr4_vgpr5
                                        ; implicit-def: $vgpr6_vgpr7
	s_and_saveexec_b64 s[0:1], s[52:53]
	s_cbranch_execz .LBB55_1320
; %bb.1313:
	s_waitcnt vmcnt(0)
	v_mov_b32_e32 v5, s13
	s_and_b32 s14, s73, 0xff
	v_add_co_u32_e32 v4, vcc, s12, v3
	s_cmp_lt_i32 s14, 11
	v_addc_co_u32_e32 v5, vcc, 0, v5, vcc
	s_cbranch_scc1 .LBB55_1323
; %bb.1314:
	s_and_b32 s22, 0xffff, s14
	s_cmp_gt_i32 s22, 25
	s_cbranch_scc0 .LBB55_1324
; %bb.1315:
	s_cmp_gt_i32 s22, 28
	s_cbranch_scc0 .LBB55_1325
; %bb.1316:
	;; [unrolled: 3-line block ×4, first 2 shown]
	s_cmp_eq_u32 s22, 46
	s_cbranch_scc0 .LBB55_1328
; %bb.1319:
	global_load_dword v3, v[4:5], off
	s_mov_b32 s12, 0x2f800000
	s_mov_b32 s13, 0xcf800000
	s_mov_b64 s[18:19], -1
	s_waitcnt vmcnt(0)
	v_lshlrev_b32_e32 v3, 16, v3
	v_trunc_f32_e32 v3, v3
	v_mul_f32_e64 v6, |v3|, s12
	v_floor_f32_e32 v6, v6
	v_fma_f32 v7, v6, s13, |v3|
	v_cvt_u32_f32_e32 v6, v6
	v_cvt_u32_f32_e32 v7, v7
	v_ashrrev_i32_e32 v3, 31, v3
	s_mov_b64 s[12:13], 0
	v_xor_b32_e32 v8, v6, v3
	v_xor_b32_e32 v6, v7, v3
	v_sub_co_u32_e32 v6, vcc, v6, v3
	v_subb_co_u32_e32 v7, vcc, v8, v3, vcc
	s_branch .LBB55_1330
.LBB55_1320:
	s_or_b64 exec, exec, s[0:1]
	s_and_saveexec_b64 s[0:1], s[42:43]
	s_cbranch_execnz .LBB55_1389
.LBB55_1321:
	s_or_b64 exec, exec, s[0:1]
	s_and_saveexec_b64 s[0:1], s[16:17]
	s_xor_b64 s[0:1], exec, s[0:1]
	s_cbranch_execz .LBB55_1390
.LBB55_1322:
	s_waitcnt vmcnt(0)
	global_load_ubyte v3, v[4:5], off
	s_mov_b32 s12, 0
	v_mov_b32_e32 v7, s12
	s_or_b64 s[18:19], s[18:19], exec
	s_waitcnt vmcnt(0)
	v_cmp_ne_u16_e32 vcc, 0, v3
	v_cndmask_b32_e64 v6, 0, 1, vcc
	s_or_b64 exec, exec, s[0:1]
	s_and_saveexec_b64 s[0:1], s[20:21]
	s_cbranch_execz .LBB55_1436
	s_branch .LBB55_1391
.LBB55_1323:
	s_mov_b64 s[20:21], -1
                                        ; implicit-def: $vgpr6_vgpr7
	s_mov_b64 s[12:13], s[42:43]
	s_branch .LBB55_1388
.LBB55_1324:
	s_mov_b64 s[12:13], s[42:43]
                                        ; implicit-def: $vgpr6_vgpr7
	s_cbranch_execnz .LBB55_1359
	s_branch .LBB55_1387
.LBB55_1325:
	s_mov_b64 s[20:21], -1
	s_mov_b64 s[12:13], s[42:43]
                                        ; implicit-def: $vgpr6_vgpr7
	s_branch .LBB55_1340
.LBB55_1326:
	s_mov_b64 s[20:21], -1
	s_mov_b64 s[12:13], s[42:43]
                                        ; implicit-def: $vgpr6_vgpr7
	s_branch .LBB55_1335
.LBB55_1327:
	s_mov_b64 s[20:21], -1
	s_mov_b64 s[12:13], s[42:43]
	s_branch .LBB55_1329
.LBB55_1328:
	s_mov_b64 s[12:13], -1
.LBB55_1329:
                                        ; implicit-def: $vgpr6_vgpr7
.LBB55_1330:
	s_and_b64 vcc, exec, s[20:21]
	s_cbranch_vccz .LBB55_1334
; %bb.1331:
	s_cmp_eq_u32 s22, 44
	s_cbranch_scc0 .LBB55_1333
; %bb.1332:
	global_load_ubyte v3, v[4:5], off
	s_mov_b32 s12, 0x2f800000
	s_mov_b32 s13, 0xcf800000
	s_mov_b64 s[18:19], -1
	s_waitcnt vmcnt(0)
	v_lshlrev_b32_e32 v6, 23, v3
	v_trunc_f32_e32 v6, v6
	v_mul_f32_e64 v7, |v6|, s12
	v_floor_f32_e32 v7, v7
	v_fma_f32 v8, v7, s13, |v6|
	v_cvt_u32_f32_e32 v8, v8
	v_cvt_u32_f32_e32 v7, v7
	v_ashrrev_i32_e32 v6, 31, v6
	s_mov_b64 s[12:13], 0
	v_xor_b32_e32 v8, v8, v6
	v_xor_b32_e32 v7, v7, v6
	v_sub_co_u32_e32 v8, vcc, v8, v6
	v_subb_co_u32_e32 v6, vcc, v7, v6, vcc
	v_cmp_ne_u32_e32 vcc, 0, v3
	v_cndmask_b32_e32 v7, 0, v6, vcc
	v_cndmask_b32_e32 v6, 0, v8, vcc
	s_branch .LBB55_1334
.LBB55_1333:
	s_mov_b64 s[12:13], -1
                                        ; implicit-def: $vgpr6_vgpr7
.LBB55_1334:
	s_mov_b64 s[20:21], 0
.LBB55_1335:
	s_and_b64 vcc, exec, s[20:21]
	s_cbranch_vccz .LBB55_1339
; %bb.1336:
	s_cmp_eq_u32 s22, 29
	s_cbranch_scc0 .LBB55_1338
; %bb.1337:
	global_load_dwordx2 v[6:7], v[4:5], off
	s_mov_b64 s[12:13], 0
	s_mov_b64 s[18:19], -1
	s_branch .LBB55_1339
.LBB55_1338:
	s_mov_b64 s[12:13], -1
                                        ; implicit-def: $vgpr6_vgpr7
.LBB55_1339:
	s_mov_b64 s[20:21], 0
.LBB55_1340:
	s_and_b64 vcc, exec, s[20:21]
	s_cbranch_vccz .LBB55_1358
; %bb.1341:
	s_cmp_lt_i32 s22, 27
	s_cbranch_scc1 .LBB55_1344
; %bb.1342:
	s_cmp_gt_i32 s22, 27
	s_cbranch_scc0 .LBB55_1345
; %bb.1343:
	global_load_dword v6, v[4:5], off
	s_waitcnt vmcnt(1)
	v_mov_b32_e32 v7, 0
	s_mov_b64 s[18:19], 0
	s_branch .LBB55_1346
.LBB55_1344:
	s_mov_b64 s[18:19], -1
                                        ; implicit-def: $vgpr6_vgpr7
	s_branch .LBB55_1349
.LBB55_1345:
	s_mov_b64 s[18:19], -1
                                        ; implicit-def: $vgpr6_vgpr7
.LBB55_1346:
	s_andn2_b64 vcc, exec, s[18:19]
	s_cbranch_vccnz .LBB55_1348
; %bb.1347:
	global_load_ushort v3, v[4:5], off
	s_mov_b32 s18, 0
	s_waitcnt vmcnt(1)
	v_mov_b32_e32 v7, s18
	s_waitcnt vmcnt(0)
	v_and_b32_e32 v6, 0xffff, v3
.LBB55_1348:
	s_mov_b64 s[18:19], 0
.LBB55_1349:
	s_andn2_b64 vcc, exec, s[18:19]
	s_cbranch_vccnz .LBB55_1357
; %bb.1350:
	global_load_ubyte v3, v[4:5], off
	s_movk_i32 s18, 0x7f
	s_mov_b64 s[20:21], 0
	s_waitcnt vmcnt(0)
	v_cmp_lt_i16_e32 vcc, s18, v3
	s_and_saveexec_b64 s[18:19], vcc
	s_xor_b64 s[18:19], exec, s[18:19]
; %bb.1351:
	s_movk_i32 s20, 0x80
	v_cmp_ne_u16_e32 vcc, s20, v3
	s_and_b64 s[20:21], vcc, exec
; %bb.1352:
	s_andn2_saveexec_b64 s[18:19], s[18:19]
; %bb.1353:
	v_cmp_ne_u16_e32 vcc, 0, v3
	s_andn2_b64 s[20:21], s[20:21], exec
	s_and_b64 s[30:31], vcc, exec
	s_or_b64 s[20:21], s[20:21], s[30:31]
; %bb.1354:
	s_or_b64 exec, exec, s[18:19]
	v_mov_b32_e32 v6, 0
	v_mov_b32_e32 v7, 0
	s_and_saveexec_b64 s[18:19], s[20:21]
	s_cbranch_execz .LBB55_1356
; %bb.1355:
	v_lshlrev_b32_e32 v6, 24, v3
	v_and_b32_e32 v3, 0xffff, v3
	v_and_b32_e32 v7, 7, v3
	v_ffbh_u32_e32 v9, v7
	v_min_u32_e32 v9, 32, v9
	v_subrev_u32_e32 v10, 28, v9
	v_bfe_u32 v8, v3, 3, 4
	v_lshlrev_b32_e32 v3, v10, v3
	v_sub_u32_e32 v9, 29, v9
	v_and_b32_e32 v3, 7, v3
	v_cmp_eq_u32_e32 vcc, 0, v8
	v_cndmask_b32_e32 v8, v8, v9, vcc
	v_cndmask_b32_e32 v3, v7, v3, vcc
	v_mov_b32_e32 v7, 0x3b800000
	v_lshlrev_b32_e32 v3, 20, v3
	v_and_b32_e32 v6, 0x80000000, v6
	v_lshl_add_u32 v7, v8, 23, v7
	v_or3_b32 v3, v6, v7, v3
	v_trunc_f32_e32 v3, v3
	s_mov_b32 s20, 0x2f800000
	v_mul_f32_e64 v6, |v3|, s20
	v_floor_f32_e32 v6, v6
	s_mov_b32 s20, 0xcf800000
	v_fma_f32 v7, v6, s20, |v3|
	v_cvt_u32_f32_e32 v6, v6
	v_cvt_u32_f32_e32 v7, v7
	v_ashrrev_i32_e32 v3, 31, v3
	v_xor_b32_e32 v8, v6, v3
	v_xor_b32_e32 v6, v7, v3
	v_sub_co_u32_e32 v6, vcc, v6, v3
	v_subb_co_u32_e32 v7, vcc, v8, v3, vcc
.LBB55_1356:
	s_or_b64 exec, exec, s[18:19]
.LBB55_1357:
	s_mov_b64 s[18:19], -1
.LBB55_1358:
	s_branch .LBB55_1387
.LBB55_1359:
	s_cmp_gt_i32 s22, 22
	s_cbranch_scc0 .LBB55_1369
; %bb.1360:
	s_cmp_lt_i32 s22, 24
	s_cbranch_scc1 .LBB55_1370
; %bb.1361:
	s_cmp_gt_i32 s22, 24
	s_cbranch_scc0 .LBB55_1371
; %bb.1362:
	global_load_ubyte v3, v[4:5], off
	s_movk_i32 s16, 0x7f
	s_mov_b64 s[18:19], 0
	s_waitcnt vmcnt(0)
	v_cmp_lt_i16_e32 vcc, s16, v3
	s_and_saveexec_b64 s[16:17], vcc
	s_xor_b64 s[16:17], exec, s[16:17]
; %bb.1363:
	s_movk_i32 s18, 0x80
	v_cmp_ne_u16_e32 vcc, s18, v3
	s_and_b64 s[18:19], vcc, exec
; %bb.1364:
	s_andn2_saveexec_b64 s[16:17], s[16:17]
; %bb.1365:
	v_cmp_ne_u16_e32 vcc, 0, v3
	s_andn2_b64 s[18:19], s[18:19], exec
	s_and_b64 s[20:21], vcc, exec
	s_or_b64 s[18:19], s[18:19], s[20:21]
; %bb.1366:
	s_or_b64 exec, exec, s[16:17]
	v_mov_b32_e32 v6, 0
	v_mov_b32_e32 v7, 0
	s_and_saveexec_b64 s[16:17], s[18:19]
	s_cbranch_execz .LBB55_1368
; %bb.1367:
	v_lshlrev_b32_e32 v6, 24, v3
	v_and_b32_e32 v3, 0xffff, v3
	v_and_b32_e32 v7, 3, v3
	v_ffbh_u32_e32 v9, v7
	v_min_u32_e32 v9, 32, v9
	v_subrev_u32_e32 v10, 29, v9
	v_bfe_u32 v8, v3, 2, 5
	v_lshlrev_b32_e32 v3, v10, v3
	v_sub_u32_e32 v9, 30, v9
	v_and_b32_e32 v3, 3, v3
	v_cmp_eq_u32_e32 vcc, 0, v8
	v_cndmask_b32_e32 v8, v8, v9, vcc
	v_cndmask_b32_e32 v3, v7, v3, vcc
	v_mov_b32_e32 v7, 0x37800000
	v_lshlrev_b32_e32 v3, 21, v3
	v_and_b32_e32 v6, 0x80000000, v6
	v_lshl_add_u32 v7, v8, 23, v7
	v_or3_b32 v3, v6, v7, v3
	v_trunc_f32_e32 v3, v3
	s_mov_b32 s18, 0x2f800000
	v_mul_f32_e64 v6, |v3|, s18
	v_floor_f32_e32 v6, v6
	s_mov_b32 s18, 0xcf800000
	v_fma_f32 v7, v6, s18, |v3|
	v_cvt_u32_f32_e32 v6, v6
	v_cvt_u32_f32_e32 v7, v7
	v_ashrrev_i32_e32 v3, 31, v3
	v_xor_b32_e32 v8, v6, v3
	v_xor_b32_e32 v6, v7, v3
	v_sub_co_u32_e32 v6, vcc, v6, v3
	v_subb_co_u32_e32 v7, vcc, v8, v3, vcc
.LBB55_1368:
	s_or_b64 exec, exec, s[16:17]
	s_mov_b64 s[16:17], 0
	s_branch .LBB55_1372
.LBB55_1369:
	s_mov_b64 s[16:17], -1
                                        ; implicit-def: $vgpr6_vgpr7
	s_branch .LBB55_1378
.LBB55_1370:
	s_mov_b64 s[16:17], -1
                                        ; implicit-def: $vgpr6_vgpr7
	s_branch .LBB55_1375
.LBB55_1371:
	s_mov_b64 s[16:17], -1
                                        ; implicit-def: $vgpr6_vgpr7
.LBB55_1372:
	s_and_b64 vcc, exec, s[16:17]
	s_cbranch_vccz .LBB55_1374
; %bb.1373:
	global_load_ubyte v3, v[4:5], off
	s_mov_b32 s16, 0x7f800000
	s_brev_b32 s17, 1
	s_mov_b32 s18, 0x2f800000
	s_mov_b32 s19, 0xcf800000
	s_waitcnt vmcnt(0)
	v_lshlrev_b32_e32 v3, 24, v3
	v_and_b32_e32 v6, 0x7f000000, v3
	v_ffbh_u32_e32 v7, v6
	v_min_u32_e32 v7, 32, v7
	v_sub_u32_e64 v7, v7, 4 clamp
	v_lshlrev_b32_e32 v9, v7, v6
	v_lshlrev_b32_e32 v7, 23, v7
	v_lshrrev_b32_e32 v9, 4, v9
	v_add_u32_e32 v8, 0x1000000, v6
	v_sub_u32_e32 v7, v9, v7
	v_ashrrev_i32_e32 v8, 8, v8
	v_add_u32_e32 v7, 0x3c000000, v7
	v_and_or_b32 v7, v8, s16, v7
	v_cmp_ne_u32_e32 vcc, 0, v6
	v_cndmask_b32_e32 v6, 0, v7, vcc
	v_and_or_b32 v3, v3, s17, v6
	v_trunc_f32_e32 v3, v3
	v_mul_f32_e64 v6, |v3|, s18
	v_floor_f32_e32 v6, v6
	v_fma_f32 v7, v6, s19, |v3|
	v_cvt_u32_f32_e32 v6, v6
	v_cvt_u32_f32_e32 v7, v7
	v_ashrrev_i32_e32 v3, 31, v3
	v_xor_b32_e32 v8, v6, v3
	v_xor_b32_e32 v6, v7, v3
	v_sub_co_u32_e32 v6, vcc, v6, v3
	v_subb_co_u32_e32 v7, vcc, v8, v3, vcc
.LBB55_1374:
	s_mov_b64 s[16:17], 0
.LBB55_1375:
	s_andn2_b64 vcc, exec, s[16:17]
	s_cbranch_vccnz .LBB55_1377
; %bb.1376:
	global_load_ubyte v3, v[4:5], off
	s_movk_i32 s16, 0x7f00
	s_brev_b32 s17, 16
	s_brev_b32 s18, 1
	s_mov_b32 s19, 0x2f800000
	s_mov_b32 s20, 0xcf800000
	s_waitcnt vmcnt(0)
	v_lshlrev_b16_e32 v6, 8, v3
	v_lshlrev_b32_e32 v3, 25, v3
	v_lshrrev_b32_e32 v7, 4, v3
	v_and_or_b32 v8, v6, s16, 0.5
	v_or_b32_e32 v7, 0x70000000, v7
	v_add_f32_e32 v8, -0.5, v8
	v_mul_f32_e32 v7, 0x7800000, v7
	v_cmp_gt_u32_e32 vcc, s17, v3
	v_bfe_i32 v6, v6, 0, 16
	v_cndmask_b32_e32 v3, v7, v8, vcc
	v_and_or_b32 v3, v6, s18, v3
	v_trunc_f32_e32 v3, v3
	v_mul_f32_e64 v6, |v3|, s19
	v_floor_f32_e32 v6, v6
	v_fma_f32 v7, v6, s20, |v3|
	v_cvt_u32_f32_e32 v6, v6
	v_cvt_u32_f32_e32 v7, v7
	v_ashrrev_i32_e32 v3, 31, v3
	v_xor_b32_e32 v8, v6, v3
	v_xor_b32_e32 v6, v7, v3
	v_sub_co_u32_e32 v6, vcc, v6, v3
	v_subb_co_u32_e32 v7, vcc, v8, v3, vcc
.LBB55_1377:
	s_mov_b64 s[16:17], 0
	s_mov_b64 s[18:19], -1
.LBB55_1378:
	s_andn2_b64 vcc, exec, s[16:17]
	s_mov_b64 s[16:17], 0
	s_cbranch_vccnz .LBB55_1387
; %bb.1379:
	s_cmp_gt_i32 s22, 14
	s_cbranch_scc0 .LBB55_1382
; %bb.1380:
	s_cmp_eq_u32 s22, 15
	s_cbranch_scc0 .LBB55_1383
; %bb.1381:
	global_load_ushort v3, v[4:5], off
	s_mov_b32 s12, 0x2f800000
	s_mov_b32 s13, 0xcf800000
	s_mov_b64 s[18:19], -1
	s_waitcnt vmcnt(0)
	v_lshlrev_b32_e32 v3, 16, v3
	v_trunc_f32_e32 v3, v3
	v_mul_f32_e64 v6, |v3|, s12
	v_floor_f32_e32 v6, v6
	v_fma_f32 v7, v6, s13, |v3|
	v_cvt_u32_f32_e32 v6, v6
	v_cvt_u32_f32_e32 v7, v7
	v_ashrrev_i32_e32 v3, 31, v3
	s_mov_b64 s[12:13], 0
	v_xor_b32_e32 v8, v6, v3
	v_xor_b32_e32 v6, v7, v3
	v_sub_co_u32_e32 v6, vcc, v6, v3
	v_subb_co_u32_e32 v7, vcc, v8, v3, vcc
	s_branch .LBB55_1384
.LBB55_1382:
	s_mov_b64 s[20:21], -1
                                        ; implicit-def: $vgpr6_vgpr7
	s_branch .LBB55_1385
.LBB55_1383:
	s_mov_b64 s[12:13], -1
                                        ; implicit-def: $vgpr6_vgpr7
.LBB55_1384:
	s_mov_b64 s[20:21], 0
.LBB55_1385:
	s_and_b64 vcc, exec, s[20:21]
	s_cbranch_vccz .LBB55_1387
; %bb.1386:
	s_cmp_lg_u32 s22, 11
	s_cselect_b64 s[20:21], -1, 0
	s_andn2_b64 s[12:13], s[12:13], exec
	s_and_b64 s[20:21], s[20:21], exec
	s_mov_b64 s[16:17], -1
	s_or_b64 s[12:13], s[12:13], s[20:21]
.LBB55_1387:
	s_mov_b64 s[20:21], 0
.LBB55_1388:
	s_andn2_b64 s[22:23], s[42:43], exec
	s_and_b64 s[12:13], s[12:13], exec
	s_and_b64 s[18:19], s[18:19], exec
	;; [unrolled: 1-line block ×4, first 2 shown]
	s_or_b64 s[42:43], s[22:23], s[12:13]
	s_or_b64 exec, exec, s[0:1]
	s_and_saveexec_b64 s[0:1], s[42:43]
	s_cbranch_execz .LBB55_1321
.LBB55_1389:
	s_or_b64 s[10:11], s[10:11], exec
	s_andn2_b64 s[16:17], s[16:17], exec
	s_trap 2
	s_or_b64 exec, exec, s[0:1]
	s_and_saveexec_b64 s[0:1], s[16:17]
	s_xor_b64 s[0:1], exec, s[0:1]
	s_cbranch_execnz .LBB55_1322
.LBB55_1390:
	s_or_b64 exec, exec, s[0:1]
	s_and_saveexec_b64 s[0:1], s[20:21]
	s_cbranch_execz .LBB55_1436
.LBB55_1391:
	s_sext_i32_i16 s12, s14
	s_cmp_lt_i32 s12, 5
	s_cbranch_scc1 .LBB55_1396
; %bb.1392:
	s_cmp_lt_i32 s12, 8
	s_cbranch_scc1 .LBB55_1397
; %bb.1393:
	;; [unrolled: 3-line block ×3, first 2 shown]
	s_cmp_gt_i32 s12, 9
	s_cbranch_scc0 .LBB55_1399
; %bb.1395:
	s_waitcnt vmcnt(0)
	global_load_dwordx2 v[6:7], v[4:5], off
	s_movk_i32 s12, 0xffe0
	s_waitcnt vmcnt(0)
	v_trunc_f64_e32 v[6:7], v[6:7]
	v_ldexp_f64 v[8:9], v[6:7], s12
	s_mov_b32 s12, 0
	s_mov_b32 s13, 0xc1f00000
	v_floor_f64_e32 v[8:9], v[8:9]
	v_fma_f64 v[10:11], v[8:9], s[12:13], v[6:7]
	v_cvt_i32_f64_e32 v7, v[8:9]
	s_mov_b64 s[12:13], 0
	v_cvt_u32_f64_e32 v6, v[10:11]
	s_branch .LBB55_1400
.LBB55_1396:
                                        ; implicit-def: $vgpr6_vgpr7
	s_branch .LBB55_1417
.LBB55_1397:
                                        ; implicit-def: $vgpr6_vgpr7
	s_branch .LBB55_1406
.LBB55_1398:
	s_mov_b64 s[12:13], -1
                                        ; implicit-def: $vgpr6_vgpr7
	s_branch .LBB55_1403
.LBB55_1399:
	s_mov_b64 s[12:13], -1
                                        ; implicit-def: $vgpr6_vgpr7
.LBB55_1400:
	s_andn2_b64 vcc, exec, s[12:13]
	s_cbranch_vccnz .LBB55_1402
; %bb.1401:
	s_waitcnt vmcnt(0)
	global_load_dword v3, v[4:5], off
	s_mov_b32 s12, 0x2f800000
	s_mov_b32 s13, 0xcf800000
	s_waitcnt vmcnt(0)
	v_trunc_f32_e32 v3, v3
	v_mul_f32_e64 v6, |v3|, s12
	v_floor_f32_e32 v6, v6
	v_cvt_u32_f32_e32 v7, v6
	v_fma_f32 v6, v6, s13, |v3|
	v_cvt_u32_f32_e32 v6, v6
	v_ashrrev_i32_e32 v3, 31, v3
	v_xor_b32_e32 v7, v7, v3
	v_xor_b32_e32 v6, v6, v3
	v_sub_co_u32_e32 v6, vcc, v6, v3
	v_subb_co_u32_e32 v7, vcc, v7, v3, vcc
.LBB55_1402:
	s_mov_b64 s[12:13], 0
.LBB55_1403:
	s_andn2_b64 vcc, exec, s[12:13]
	s_cbranch_vccnz .LBB55_1405
; %bb.1404:
	s_waitcnt vmcnt(0)
	global_load_dword v3, v[4:5], off
	s_waitcnt vmcnt(0)
	v_cvt_f32_f16_e32 v3, v3
	v_cvt_i32_f32_e32 v6, v3
	v_ashrrev_i32_e32 v7, 31, v6
.LBB55_1405:
	s_cbranch_execnz .LBB55_1416
.LBB55_1406:
	s_sext_i32_i16 s12, s14
	s_cmp_lt_i32 s12, 6
	s_cbranch_scc1 .LBB55_1409
; %bb.1407:
	s_cmp_gt_i32 s12, 6
	s_cbranch_scc0 .LBB55_1410
; %bb.1408:
	s_waitcnt vmcnt(0)
	global_load_dwordx2 v[6:7], v[4:5], off
	s_movk_i32 s12, 0xffe0
	s_waitcnt vmcnt(0)
	v_trunc_f64_e32 v[6:7], v[6:7]
	v_ldexp_f64 v[8:9], v[6:7], s12
	s_mov_b32 s12, 0
	s_mov_b32 s13, 0xc1f00000
	v_floor_f64_e32 v[8:9], v[8:9]
	v_fma_f64 v[10:11], v[8:9], s[12:13], v[6:7]
	v_cvt_i32_f64_e32 v7, v[8:9]
	s_mov_b64 s[12:13], 0
	v_cvt_u32_f64_e32 v6, v[10:11]
	s_branch .LBB55_1411
.LBB55_1409:
	s_mov_b64 s[12:13], -1
                                        ; implicit-def: $vgpr6_vgpr7
	s_branch .LBB55_1414
.LBB55_1410:
	s_mov_b64 s[12:13], -1
                                        ; implicit-def: $vgpr6_vgpr7
.LBB55_1411:
	s_andn2_b64 vcc, exec, s[12:13]
	s_cbranch_vccnz .LBB55_1413
; %bb.1412:
	s_waitcnt vmcnt(0)
	global_load_dword v3, v[4:5], off
	s_mov_b32 s12, 0x2f800000
	s_mov_b32 s13, 0xcf800000
	s_waitcnt vmcnt(0)
	v_trunc_f32_e32 v3, v3
	v_mul_f32_e64 v6, |v3|, s12
	v_floor_f32_e32 v6, v6
	v_cvt_u32_f32_e32 v7, v6
	v_fma_f32 v6, v6, s13, |v3|
	v_cvt_u32_f32_e32 v6, v6
	v_ashrrev_i32_e32 v3, 31, v3
	v_xor_b32_e32 v7, v7, v3
	v_xor_b32_e32 v6, v6, v3
	v_sub_co_u32_e32 v6, vcc, v6, v3
	v_subb_co_u32_e32 v7, vcc, v7, v3, vcc
.LBB55_1413:
	s_mov_b64 s[12:13], 0
.LBB55_1414:
	s_andn2_b64 vcc, exec, s[12:13]
	s_cbranch_vccnz .LBB55_1416
; %bb.1415:
	s_waitcnt vmcnt(0)
	global_load_ushort v3, v[4:5], off
	s_waitcnt vmcnt(0)
	v_cvt_f32_f16_e32 v3, v3
	v_cvt_i32_f32_e32 v6, v3
	v_ashrrev_i32_e32 v7, 31, v6
.LBB55_1416:
	s_cbranch_execnz .LBB55_1435
.LBB55_1417:
	s_sext_i32_i16 s12, s14
	s_cmp_lt_i32 s12, 2
	s_cbranch_scc1 .LBB55_1421
; %bb.1418:
	s_cmp_lt_i32 s12, 3
	s_cbranch_scc1 .LBB55_1422
; %bb.1419:
	s_cmp_gt_i32 s12, 3
	s_cbranch_scc0 .LBB55_1423
; %bb.1420:
	s_waitcnt vmcnt(0)
	global_load_dwordx2 v[6:7], v[4:5], off
	s_mov_b64 s[12:13], 0
	s_branch .LBB55_1424
.LBB55_1421:
                                        ; implicit-def: $vgpr6_vgpr7
	s_branch .LBB55_1430
.LBB55_1422:
	s_mov_b64 s[12:13], -1
                                        ; implicit-def: $vgpr6_vgpr7
	s_branch .LBB55_1427
.LBB55_1423:
	s_mov_b64 s[12:13], -1
                                        ; implicit-def: $vgpr6_vgpr7
.LBB55_1424:
	s_andn2_b64 vcc, exec, s[12:13]
	s_cbranch_vccnz .LBB55_1426
; %bb.1425:
	s_waitcnt vmcnt(0)
	global_load_dword v6, v[4:5], off
	s_waitcnt vmcnt(0)
	v_ashrrev_i32_e32 v7, 31, v6
.LBB55_1426:
	s_mov_b64 s[12:13], 0
.LBB55_1427:
	s_andn2_b64 vcc, exec, s[12:13]
	s_cbranch_vccnz .LBB55_1429
; %bb.1428:
	s_waitcnt vmcnt(0)
	global_load_ushort v3, v[4:5], off
	s_waitcnt vmcnt(0)
	v_bfe_i32 v6, v3, 0, 16
	v_ashrrev_i32_e32 v7, 31, v6
.LBB55_1429:
	s_cbranch_execnz .LBB55_1435
.LBB55_1430:
	s_sext_i32_i16 s12, s14
	s_cmp_gt_i32 s12, 0
	s_cbranch_scc0 .LBB55_1432
; %bb.1431:
	s_waitcnt vmcnt(0)
	global_load_sbyte v3, v[4:5], off
	s_mov_b64 s[12:13], 0
	s_waitcnt vmcnt(0)
	v_bfe_i32 v6, v3, 0, 16
	v_ashrrev_i32_e32 v7, 31, v6
	s_branch .LBB55_1433
.LBB55_1432:
	s_mov_b64 s[12:13], -1
                                        ; implicit-def: $vgpr6_vgpr7
.LBB55_1433:
	s_andn2_b64 vcc, exec, s[12:13]
	s_cbranch_vccnz .LBB55_1435
; %bb.1434:
	s_waitcnt vmcnt(0)
	global_load_ubyte v3, v[4:5], off
	s_mov_b32 s12, 0
	v_mov_b32_e32 v7, s12
	s_waitcnt vmcnt(0)
	v_and_b32_e32 v6, 0xffff, v3
.LBB55_1435:
	s_or_b64 s[18:19], s[18:19], exec
.LBB55_1436:
	s_or_b64 exec, exec, s[0:1]
	s_mov_b64 s[22:23], 0
	s_mov_b64 s[20:21], 0
                                        ; implicit-def: $sgpr12_sgpr13
                                        ; implicit-def: $sgpr30
                                        ; implicit-def: $vgpr3_vgpr4
	s_and_saveexec_b64 s[16:17], s[18:19]
	s_cbranch_execz .LBB55_1511
; %bb.1437:
	s_waitcnt vmcnt(0)
	v_cmp_ne_u64_e32 vcc, v[1:2], v[6:7]
	v_mov_b32_e32 v1, s9
	s_xor_b64 s[12:13], s[28:29], vcc
	s_and_b32 s30, s15, 0xff
	v_add_co_u32_e32 v3, vcc, s8, v0
	s_cmp_lt_i32 s30, 11
	v_addc_co_u32_e32 v4, vcc, 0, v1, vcc
	s_cbranch_scc1 .LBB55_1514
; %bb.1438:
	s_and_b32 s22, 0xffff, s30
	s_mov_b64 s[14:15], -1
	s_cmp_gt_i32 s22, 25
	s_mov_b64 s[0:1], s[40:41]
	s_cbranch_scc0 .LBB55_1471
; %bb.1439:
	s_mov_b64 s[8:9], -1
	s_cmp_gt_i32 s22, 28
	s_mov_b64 s[0:1], s[40:41]
	s_cbranch_scc0 .LBB55_1455
; %bb.1440:
	s_cmp_gt_i32 s22, 43
	s_mov_b64 s[0:1], s[40:41]
	s_cbranch_scc0 .LBB55_1451
; %bb.1441:
	;; [unrolled: 4-line block ×3, first 2 shown]
	s_cmp_eq_u32 s22, 46
	s_mov_b64 s[0:1], -1
	s_cbranch_scc0 .LBB55_1444
; %bb.1443:
	v_cndmask_b32_e64 v0, 0, 1.0, s[12:13]
	v_bfe_u32 v1, v0, 16, 1
	s_movk_i32 s0, 0x7fff
	v_add3_u32 v0, v0, v1, s0
	v_lshrrev_b32_e32 v0, 16, v0
	global_store_dword v[3:4], v0, off
	s_mov_b64 s[0:1], 0
.LBB55_1444:
	s_mov_b64 s[8:9], 0
.LBB55_1445:
	s_and_b64 vcc, exec, s[8:9]
	s_cbranch_vccz .LBB55_1450
; %bb.1446:
	s_cmp_eq_u32 s22, 44
	s_mov_b64 s[0:1], -1
	s_cbranch_scc0 .LBB55_1450
; %bb.1447:
	v_cndmask_b32_e64 v1, 0, 1.0, s[12:13]
	v_lshrrev_b32_e32 v0, 23, v1
	s_movk_i32 s0, 0xff
	v_cmp_ne_u32_e32 vcc, s0, v0
	v_mov_b32_e32 v2, 0xff
	s_and_saveexec_b64 s[8:9], vcc
; %bb.1448:
	s_mov_b32 s0, 0x3fffff
	v_and_b32_e32 v2, 0x400000, v1
	v_and_or_b32 v1, v1, s0, v0
	v_cmp_ne_u32_e32 vcc, 0, v2
	v_cmp_ne_u32_e64 s[0:1], 0, v1
	s_and_b64 s[0:1], vcc, s[0:1]
	v_cndmask_b32_e64 v1, 0, 1, s[0:1]
	v_add_u32_e32 v2, v0, v1
; %bb.1449:
	s_or_b64 exec, exec, s[8:9]
	s_mov_b64 s[0:1], 0
	global_store_byte v[3:4], v2, off
.LBB55_1450:
	s_mov_b64 s[8:9], 0
.LBB55_1451:
	s_and_b64 vcc, exec, s[8:9]
	s_cbranch_vccz .LBB55_1454
; %bb.1452:
	s_cmp_eq_u32 s22, 29
	s_mov_b64 s[0:1], -1
	s_cbranch_scc0 .LBB55_1454
; %bb.1453:
	s_mov_b32 s0, 0
	v_cndmask_b32_e64 v0, 0, 1, s[12:13]
	v_mov_b32_e32 v1, s0
	global_store_dwordx2 v[3:4], v[0:1], off
	s_mov_b64 s[0:1], 0
.LBB55_1454:
	s_mov_b64 s[8:9], 0
.LBB55_1455:
	s_and_b64 vcc, exec, s[8:9]
	s_cbranch_vccz .LBB55_1470
; %bb.1456:
	s_cmp_lt_i32 s22, 27
	s_mov_b64 s[8:9], -1
	s_cbranch_scc1 .LBB55_1462
; %bb.1457:
	s_cmp_gt_i32 s22, 27
	s_cbranch_scc0 .LBB55_1459
; %bb.1458:
	v_cndmask_b32_e64 v0, 0, 1, s[12:13]
	s_mov_b64 s[8:9], 0
	global_store_dword v[3:4], v0, off
.LBB55_1459:
	s_andn2_b64 vcc, exec, s[8:9]
	s_cbranch_vccnz .LBB55_1461
; %bb.1460:
	v_cndmask_b32_e64 v0, 0, 1, s[12:13]
	global_store_short v[3:4], v0, off
.LBB55_1461:
	s_mov_b64 s[8:9], 0
.LBB55_1462:
	s_andn2_b64 vcc, exec, s[8:9]
	s_cbranch_vccnz .LBB55_1470
; %bb.1463:
	v_cndmask_b32_e64 v1, 0, 1.0, s[12:13]
	s_mov_b32 s8, 0x43800000
	v_cmp_gt_u32_e32 vcc, s8, v1
	v_mov_b32_e32 v2, 0x80
	s_and_saveexec_b64 s[8:9], vcc
	s_cbranch_execz .LBB55_1469
; %bb.1464:
	s_mov_b32 s14, 0x3bffffff
	v_cmp_lt_u32_e32 vcc, s14, v1
	s_mov_b64 s[14:15], 0
                                        ; implicit-def: $vgpr0
	s_and_saveexec_b64 s[18:19], vcc
	s_xor_b64 s[18:19], exec, s[18:19]
	s_cbranch_execz .LBB55_1615
; %bb.1465:
	v_bfe_u32 v0, v1, 20, 1
	s_mov_b32 s20, 0x487ffff
	v_add3_u32 v0, v1, v0, s20
	s_mov_b64 s[14:15], exec
	v_lshrrev_b32_e32 v0, 20, v0
                                        ; implicit-def: $vgpr1
	s_andn2_saveexec_b64 s[18:19], s[18:19]
	s_cbranch_execnz .LBB55_1616
.LBB55_1466:
	s_or_b64 exec, exec, s[18:19]
	v_mov_b32_e32 v2, 0
	s_and_saveexec_b64 s[18:19], s[14:15]
.LBB55_1467:
	v_mov_b32_e32 v2, v0
.LBB55_1468:
	s_or_b64 exec, exec, s[18:19]
.LBB55_1469:
	s_or_b64 exec, exec, s[8:9]
	global_store_byte v[3:4], v2, off
.LBB55_1470:
	s_mov_b64 s[14:15], 0
.LBB55_1471:
	s_mov_b64 s[8:9], 0
	s_and_b64 vcc, exec, s[14:15]
	s_cbranch_vccz .LBB55_1515
; %bb.1472:
	s_cmp_gt_i32 s22, 22
	s_mov_b64 s[14:15], -1
	s_cbranch_scc0 .LBB55_1504
; %bb.1473:
	s_cmp_lt_i32 s22, 24
	s_cbranch_scc1 .LBB55_1493
; %bb.1474:
	s_cmp_gt_i32 s22, 24
	s_cbranch_scc0 .LBB55_1482
; %bb.1475:
	v_cndmask_b32_e64 v1, 0, 1.0, s[12:13]
	s_mov_b32 s14, 0x47800000
	v_cmp_gt_u32_e32 vcc, s14, v1
	v_mov_b32_e32 v2, 0x80
	s_and_saveexec_b64 s[14:15], vcc
	s_cbranch_execz .LBB55_1481
; %bb.1476:
	s_mov_b32 s18, 0x37ffffff
	v_cmp_lt_u32_e32 vcc, s18, v1
	s_mov_b64 s[18:19], 0
                                        ; implicit-def: $vgpr0
	s_and_saveexec_b64 s[20:21], vcc
	s_xor_b64 s[20:21], exec, s[20:21]
	s_cbranch_execz .LBB55_1735
; %bb.1477:
	v_bfe_u32 v0, v1, 21, 1
	s_mov_b32 s23, 0x88fffff
	v_add3_u32 v0, v1, v0, s23
	s_mov_b64 s[18:19], exec
	v_lshrrev_b32_e32 v0, 21, v0
                                        ; implicit-def: $vgpr1
	s_andn2_saveexec_b64 s[20:21], s[20:21]
	s_cbranch_execnz .LBB55_1736
.LBB55_1478:
	s_or_b64 exec, exec, s[20:21]
	v_mov_b32_e32 v2, 0
	s_and_saveexec_b64 s[20:21], s[18:19]
.LBB55_1479:
	v_mov_b32_e32 v2, v0
.LBB55_1480:
	s_or_b64 exec, exec, s[20:21]
.LBB55_1481:
	s_or_b64 exec, exec, s[14:15]
	s_mov_b64 s[14:15], 0
	global_store_byte v[3:4], v2, off
.LBB55_1482:
	s_and_b64 vcc, exec, s[14:15]
	s_cbranch_vccz .LBB55_1492
; %bb.1483:
	v_cndmask_b32_e64 v0, 0, 1.0, s[12:13]
	s_mov_b32 s14, 0x43f00000
	v_cmp_gt_u32_e32 vcc, s14, v0
                                        ; implicit-def: $vgpr1
	s_and_saveexec_b64 s[14:15], vcc
	s_xor_b64 s[14:15], exec, s[14:15]
	s_cbranch_execz .LBB55_1489
; %bb.1484:
	s_mov_b32 s18, 0x3c7fffff
	v_cmp_lt_u32_e32 vcc, s18, v0
                                        ; implicit-def: $vgpr1
	s_and_saveexec_b64 s[18:19], vcc
	s_xor_b64 s[18:19], exec, s[18:19]
; %bb.1485:
	v_bfe_u32 v1, v0, 20, 1
	s_mov_b32 s20, 0x407ffff
	v_add3_u32 v0, v0, v1, s20
	v_lshrrev_b32_e32 v1, 20, v0
	v_and_b32_e32 v0, 0xff00000, v0
	s_mov_b32 s20, 0x7f00000
	v_mov_b32_e32 v2, 0x7e
	v_cmp_ne_u32_e32 vcc, s20, v0
	v_cndmask_b32_e32 v1, v2, v1, vcc
                                        ; implicit-def: $vgpr0
; %bb.1486:
	s_andn2_saveexec_b64 s[18:19], s[18:19]
; %bb.1487:
	v_add_f32_e32 v1, 0x46800000, v0
; %bb.1488:
	s_or_b64 exec, exec, s[18:19]
                                        ; implicit-def: $vgpr0
.LBB55_1489:
	s_andn2_saveexec_b64 s[14:15], s[14:15]
; %bb.1490:
	s_mov_b32 s18, 0x7f800000
	v_mov_b32_e32 v1, 0x7e
	v_mov_b32_e32 v2, 0x7f
	v_cmp_lt_u32_e32 vcc, s18, v0
	v_cndmask_b32_e32 v1, v1, v2, vcc
; %bb.1491:
	s_or_b64 exec, exec, s[14:15]
	global_store_byte v[3:4], v1, off
.LBB55_1492:
	s_mov_b64 s[14:15], 0
.LBB55_1493:
	s_andn2_b64 vcc, exec, s[14:15]
	s_cbranch_vccnz .LBB55_1503
; %bb.1494:
	v_cndmask_b32_e64 v0, 0, 1.0, s[12:13]
	s_mov_b32 s14, 0x47800000
	v_cmp_gt_u32_e32 vcc, s14, v0
                                        ; implicit-def: $vgpr1
	s_and_saveexec_b64 s[14:15], vcc
	s_xor_b64 s[14:15], exec, s[14:15]
	s_cbranch_execz .LBB55_1500
; %bb.1495:
	s_mov_b32 s18, 0x387fffff
	v_cmp_lt_u32_e32 vcc, s18, v0
                                        ; implicit-def: $vgpr1
	s_and_saveexec_b64 s[18:19], vcc
	s_xor_b64 s[18:19], exec, s[18:19]
; %bb.1496:
	v_bfe_u32 v1, v0, 21, 1
	s_mov_b32 s20, 0x80fffff
	v_add3_u32 v0, v0, v1, s20
	v_lshrrev_b32_e32 v1, 21, v0
                                        ; implicit-def: $vgpr0
; %bb.1497:
	s_andn2_saveexec_b64 s[18:19], s[18:19]
; %bb.1498:
	v_add_f32_e32 v1, 0x43000000, v0
; %bb.1499:
	s_or_b64 exec, exec, s[18:19]
                                        ; implicit-def: $vgpr0
.LBB55_1500:
	s_andn2_saveexec_b64 s[14:15], s[14:15]
; %bb.1501:
	s_mov_b32 s18, 0x7f800000
	v_mov_b32_e32 v1, 0x7c
	v_mov_b32_e32 v2, 0x7f
	v_cmp_lt_u32_e32 vcc, s18, v0
	v_cndmask_b32_e32 v1, v1, v2, vcc
; %bb.1502:
	s_or_b64 exec, exec, s[14:15]
	global_store_byte v[3:4], v1, off
.LBB55_1503:
	s_mov_b64 s[14:15], 0
.LBB55_1504:
	s_andn2_b64 vcc, exec, s[14:15]
	s_mov_b64 s[14:15], 0
	s_cbranch_vccnz .LBB55_1516
; %bb.1505:
	s_cmp_gt_i32 s22, 14
	s_mov_b64 s[18:19], -1
	s_cbranch_scc0 .LBB55_1509
; %bb.1506:
	s_cmp_eq_u32 s22, 15
	s_mov_b64 s[0:1], -1
	s_cbranch_scc0 .LBB55_1508
; %bb.1507:
	v_cndmask_b32_e64 v0, 0, 1.0, s[12:13]
	v_bfe_u32 v1, v0, 16, 1
	s_movk_i32 s0, 0x7fff
	v_add3_u32 v0, v0, v1, s0
	global_store_short_d16_hi v[3:4], v0, off
	s_mov_b64 s[0:1], 0
.LBB55_1508:
	s_mov_b64 s[18:19], 0
.LBB55_1509:
	s_and_b64 vcc, exec, s[18:19]
	s_cbranch_vccz .LBB55_1516
; %bb.1510:
	s_cmp_lg_u32 s22, 11
	s_cselect_b64 s[18:19], -1, 0
	s_andn2_b64 s[0:1], s[0:1], exec
	s_and_b64 s[18:19], s[18:19], exec
	s_mov_b64 s[14:15], -1
	s_or_b64 s[0:1], s[0:1], s[18:19]
	s_branch .LBB55_1516
.LBB55_1511:
	s_or_b64 exec, exec, s[16:17]
	s_and_saveexec_b64 s[0:1], s[40:41]
	s_cbranch_execnz .LBB55_1517
.LBB55_1512:
	s_or_b64 exec, exec, s[0:1]
	s_and_saveexec_b64 s[0:1], s[22:23]
	s_xor_b64 s[0:1], exec, s[0:1]
	s_cbranch_execz .LBB55_1518
.LBB55_1513:
	v_cndmask_b32_e64 v0, 0, 1, s[12:13]
	global_store_byte v[3:4], v0, off
	s_or_b64 exec, exec, s[0:1]
	s_and_saveexec_b64 s[0:1], s[20:21]
	s_xor_b64 s[0:1], exec, s[0:1]
	s_cbranch_execz .LBB55_1556
	s_branch .LBB55_1519
.LBB55_1514:
	s_mov_b64 s[14:15], 0
	s_mov_b64 s[8:9], -1
	s_mov_b64 s[0:1], s[40:41]
	s_branch .LBB55_1516
.LBB55_1515:
	s_mov_b64 s[14:15], 0
.LBB55_1516:
	s_and_b64 s[20:21], s[8:9], exec
	s_andn2_b64 s[8:9], s[40:41], exec
	s_and_b64 s[0:1], s[0:1], exec
	s_and_b64 s[22:23], s[14:15], exec
	s_or_b64 s[40:41], s[8:9], s[0:1]
	s_or_b64 exec, exec, s[16:17]
	s_and_saveexec_b64 s[0:1], s[40:41]
	s_cbranch_execz .LBB55_1512
.LBB55_1517:
	s_or_b64 s[10:11], s[10:11], exec
	s_andn2_b64 s[22:23], s[22:23], exec
	s_trap 2
	s_or_b64 exec, exec, s[0:1]
	s_and_saveexec_b64 s[0:1], s[22:23]
	s_xor_b64 s[0:1], exec, s[0:1]
	s_cbranch_execnz .LBB55_1513
.LBB55_1518:
	s_or_b64 exec, exec, s[0:1]
	s_and_saveexec_b64 s[0:1], s[20:21]
	s_xor_b64 s[0:1], exec, s[0:1]
	s_cbranch_execz .LBB55_1556
.LBB55_1519:
	s_sext_i32_i16 s14, s30
	s_cmp_lt_i32 s14, 5
	s_mov_b64 s[8:9], -1
	s_cbranch_scc1 .LBB55_1540
; %bb.1520:
	s_cmp_lt_i32 s14, 8
	s_cbranch_scc1 .LBB55_1530
; %bb.1521:
	s_cmp_lt_i32 s14, 9
	s_cbranch_scc1 .LBB55_1527
; %bb.1522:
	s_cmp_gt_i32 s14, 9
	s_cbranch_scc0 .LBB55_1524
; %bb.1523:
	v_cndmask_b32_e64 v0, 0, 1, s[12:13]
	s_waitcnt vmcnt(0)
	v_cvt_f64_u32_e32 v[5:6], v0
	v_mov_b32_e32 v7, 0
	v_mov_b32_e32 v8, v7
	s_mov_b64 s[8:9], 0
	global_store_dwordx4 v[3:4], v[5:8], off
.LBB55_1524:
	s_andn2_b64 vcc, exec, s[8:9]
	s_cbranch_vccnz .LBB55_1526
; %bb.1525:
	v_cndmask_b32_e64 v0, 0, 1.0, s[12:13]
	s_waitcnt vmcnt(0)
	v_mov_b32_e32 v1, 0
	global_store_dwordx2 v[3:4], v[0:1], off
.LBB55_1526:
	s_mov_b64 s[8:9], 0
.LBB55_1527:
	s_andn2_b64 vcc, exec, s[8:9]
	s_cbranch_vccnz .LBB55_1529
; %bb.1528:
	v_cndmask_b32_e64 v0, 0, 1.0, s[12:13]
	v_cvt_f16_f32_e32 v0, v0
	global_store_dword v[3:4], v0, off
.LBB55_1529:
	s_mov_b64 s[8:9], 0
.LBB55_1530:
	s_andn2_b64 vcc, exec, s[8:9]
	s_cbranch_vccnz .LBB55_1539
; %bb.1531:
	s_sext_i32_i16 s14, s30
	s_cmp_lt_i32 s14, 6
	s_mov_b64 s[8:9], -1
	s_cbranch_scc1 .LBB55_1537
; %bb.1532:
	s_cmp_gt_i32 s14, 6
	s_cbranch_scc0 .LBB55_1534
; %bb.1533:
	v_cndmask_b32_e64 v0, 0, 1, s[12:13]
	s_waitcnt vmcnt(0)
	v_cvt_f64_u32_e32 v[0:1], v0
	s_mov_b64 s[8:9], 0
	global_store_dwordx2 v[3:4], v[0:1], off
.LBB55_1534:
	s_andn2_b64 vcc, exec, s[8:9]
	s_cbranch_vccnz .LBB55_1536
; %bb.1535:
	v_cndmask_b32_e64 v0, 0, 1.0, s[12:13]
	global_store_dword v[3:4], v0, off
.LBB55_1536:
	s_mov_b64 s[8:9], 0
.LBB55_1537:
	s_andn2_b64 vcc, exec, s[8:9]
	s_cbranch_vccnz .LBB55_1539
; %bb.1538:
	v_cndmask_b32_e64 v0, 0, 1.0, s[12:13]
	v_cvt_f16_f32_e32 v0, v0
	global_store_short v[3:4], v0, off
.LBB55_1539:
	s_mov_b64 s[8:9], 0
.LBB55_1540:
	s_andn2_b64 vcc, exec, s[8:9]
	s_cbranch_vccnz .LBB55_1556
; %bb.1541:
	s_sext_i32_i16 s14, s30
	s_cmp_lt_i32 s14, 2
	s_mov_b64 s[8:9], -1
	s_cbranch_scc1 .LBB55_1551
; %bb.1542:
	s_cmp_lt_i32 s14, 3
	s_cbranch_scc1 .LBB55_1548
; %bb.1543:
	s_cmp_gt_i32 s14, 3
	s_cbranch_scc0 .LBB55_1545
; %bb.1544:
	s_mov_b32 s8, 0
	v_cndmask_b32_e64 v0, 0, 1, s[12:13]
	s_waitcnt vmcnt(0)
	v_mov_b32_e32 v1, s8
	s_mov_b64 s[8:9], 0
	global_store_dwordx2 v[3:4], v[0:1], off
.LBB55_1545:
	s_andn2_b64 vcc, exec, s[8:9]
	s_cbranch_vccnz .LBB55_1547
; %bb.1546:
	v_cndmask_b32_e64 v0, 0, 1, s[12:13]
	global_store_dword v[3:4], v0, off
.LBB55_1547:
	s_mov_b64 s[8:9], 0
.LBB55_1548:
	s_andn2_b64 vcc, exec, s[8:9]
	s_cbranch_vccnz .LBB55_1550
; %bb.1549:
	v_cndmask_b32_e64 v0, 0, 1, s[12:13]
	global_store_short v[3:4], v0, off
.LBB55_1550:
	s_mov_b64 s[8:9], 0
.LBB55_1551:
	s_andn2_b64 vcc, exec, s[8:9]
	s_cbranch_vccnz .LBB55_1556
; %bb.1552:
	s_sext_i32_i16 s14, s30
	s_mov_b64 s[8:9], -1
	s_cmp_gt_i32 s14, 0
	v_cndmask_b32_e64 v0, 0, 1, s[12:13]
	s_cbranch_scc0 .LBB55_1554
; %bb.1553:
	s_mov_b64 s[8:9], 0
	global_store_byte v[3:4], v0, off
.LBB55_1554:
	s_andn2_b64 vcc, exec, s[8:9]
	s_cbranch_vccnz .LBB55_1556
; %bb.1555:
	global_store_byte v[3:4], v0, off
.LBB55_1556:
	s_or_b64 exec, exec, s[0:1]
	s_and_b64 s[12:13], s[10:11], exec
                                        ; implicit-def: $vgpr21
                                        ; implicit-def: $vgpr10
.LBB55_1557:
	s_or_saveexec_b64 s[14:15], s[26:27]
	s_mov_b64 s[0:1], 0
                                        ; implicit-def: $sgpr10_sgpr11
                                        ; implicit-def: $vgpr0_vgpr1
                                        ; implicit-def: $sgpr22
	s_xor_b64 exec, exec, s[14:15]
	s_cbranch_execz .LBB55_3038
; %bb.1558:
	v_cndmask_b32_e64 v0, 0, 1, s[24:25]
	v_cmp_ne_u32_e64 s[0:1], 1, v0
	s_andn2_b64 vcc, exec, s[24:25]
	s_cbranch_vccnz .LBB55_1564
; %bb.1559:
	s_cmp_lg_u32 s33, 0
	s_cbranch_scc0 .LBB55_1565
; %bb.1560:
	s_min_u32 s8, s72, 15
	s_add_i32 s6, s8, 1
	s_and_b32 s9, s6, 30
	s_add_u32 s6, s2, 0xffffffe8
	s_addc_u32 s7, s3, -1
	v_mov_b32_e32 v11, 0
	v_mov_b32_e32 v8, 0
	s_waitcnt vmcnt(0)
	v_mov_b32_e32 v6, 0
	v_mov_b32_e32 v0, v10
.LBB55_1561:                            ; =>This Inner Loop Header: Depth=1
	s_load_dwordx4 s[16:19], s[6:7], 0x1c
	s_load_dwordx2 s[10:11], s[6:7], 0x2c
	s_load_dwordx2 s[24:25], s[6:7], 0xec
	s_load_dwordx4 s[20:23], s[6:7], 0xdc
	s_add_u32 s6, s6, 24
	s_waitcnt lgkmcnt(0)
	v_mul_hi_u32 v1, s17, v0
	s_addc_u32 s7, s7, 0
	s_add_i32 s9, s9, -2
	s_cmp_lg_u32 s9, 0
	v_add_u32_e32 v1, v0, v1
	v_lshrrev_b32_e32 v1, s18, v1
	v_mul_lo_u32 v2, v1, s16
	v_mul_hi_u32 v3, s10, v1
	v_sub_u32_e32 v2, v0, v2
	v_add_u32_e32 v0, v1, v3
	v_lshrrev_b32_e32 v0, s11, v0
	v_mul_lo_u32 v5, v0, s19
	v_mul_lo_u32 v3, v2, s20
	;; [unrolled: 1-line block ×4, first 2 shown]
	v_sub_u32_e32 v1, v1, v5
	v_mul_lo_u32 v5, v1, s23
	v_mul_lo_u32 v7, v1, s24
	;; [unrolled: 1-line block ×3, first 2 shown]
	v_add3_u32 v6, v3, v6, v5
	v_add3_u32 v8, v4, v8, v7
	;; [unrolled: 1-line block ×3, first 2 shown]
	s_cbranch_scc1 .LBB55_1561
; %bb.1562:
	s_bitcmp1_b32 s8, 0
	s_cselect_b64 s[8:9], -1, 0
	s_and_b64 vcc, exec, s[8:9]
	s_cbranch_vccnz .LBB55_1566
; %bb.1563:
	s_load_dwordx2 s[8:9], s[6:7], 0x1c
	s_load_dword s16, s[6:7], 0x24
	s_load_dwordx2 s[10:11], s[6:7], 0xdc
	s_waitcnt lgkmcnt(0)
	v_mul_hi_u32 v1, s9, v0
	v_add_u32_e32 v1, v0, v1
	v_lshrrev_b32_e32 v1, s16, v1
	v_mul_lo_u32 v1, v1, s8
	s_load_dword s8, s[6:7], 0xe4
	v_sub_u32_e32 v0, v0, v1
	v_mad_u64_u32 v[6:7], s[6:7], v0, s10, v[6:7]
	v_mad_u64_u32 v[8:9], s[6:7], v0, s11, v[8:9]
	s_waitcnt lgkmcnt(0)
	v_mad_u64_u32 v[11:12], s[6:7], v0, s8, v[11:12]
	s_cbranch_execz .LBB55_1567
	s_branch .LBB55_1569
.LBB55_1564:
                                        ; implicit-def: $vgpr6
                                        ; implicit-def: $vgpr8
                                        ; implicit-def: $vgpr11
	s_branch .LBB55_1567
.LBB55_1565:
	s_waitcnt vmcnt(0)
	v_mov_b32_e32 v6, 0
	v_mov_b32_e32 v8, 0
	;; [unrolled: 1-line block ×3, first 2 shown]
.LBB55_1566:
	s_cbranch_execnz .LBB55_1569
.LBB55_1567:
	s_load_dwordx4 s[8:11], s[2:3], 0x4
	s_load_dwordx4 s[16:19], s[2:3], 0xc4
	s_cmp_lt_u32 s33, 2
	s_waitcnt lgkmcnt(0)
	v_mul_hi_u32 v0, s9, v10
	v_add_u32_e32 v0, v10, v0
	v_lshrrev_b32_e32 v0, s10, v0
	s_waitcnt vmcnt(0)
	v_mul_lo_u32 v1, v0, s8
	v_sub_u32_e32 v1, v10, v1
	v_mul_lo_u32 v6, v1, s16
	v_mul_lo_u32 v8, v1, s17
	;; [unrolled: 1-line block ×3, first 2 shown]
	s_cbranch_scc1 .LBB55_1569
; %bb.1568:
	s_load_dwordx4 s[8:11], s[2:3], 0x10
	s_load_dwordx4 s[16:19], s[2:3], 0xd0
	s_waitcnt lgkmcnt(0)
	v_mul_hi_u32 v1, s9, v0
	v_add_u32_e32 v1, v0, v1
	v_lshrrev_b32_e32 v1, s10, v1
	v_mul_lo_u32 v1, v1, s8
	v_sub_u32_e32 v0, v0, v1
	v_mad_u64_u32 v[6:7], s[6:7], v0, s16, v[6:7]
	v_mad_u64_u32 v[8:9], s[6:7], v0, s17, v[8:9]
	;; [unrolled: 1-line block ×3, first 2 shown]
.LBB55_1569:
	s_and_b64 vcc, exec, s[0:1]
	v_add_u32_e32 v0, 0x80, v10
	s_cbranch_vccnz .LBB55_1575
; %bb.1570:
	s_cmp_lg_u32 s33, 0
	s_cbranch_scc0 .LBB55_1576
; %bb.1571:
	s_min_u32 s8, s72, 15
	s_add_i32 s6, s8, 1
	s_and_b32 s9, s6, 30
	s_add_u32 s6, s2, 0xffffffe8
	s_addc_u32 s7, s3, -1
	v_mov_b32_e32 v16, 0
	v_mov_b32_e32 v12, 0
	;; [unrolled: 1-line block ×3, first 2 shown]
	s_waitcnt vmcnt(0)
	v_mov_b32_e32 v1, v0
.LBB55_1572:                            ; =>This Inner Loop Header: Depth=1
	s_load_dwordx4 s[16:19], s[6:7], 0x1c
	s_load_dwordx2 s[10:11], s[6:7], 0x2c
	s_load_dwordx2 s[24:25], s[6:7], 0xec
	s_load_dwordx4 s[20:23], s[6:7], 0xdc
	s_add_u32 s6, s6, 24
	s_waitcnt lgkmcnt(0)
	v_mul_hi_u32 v2, s17, v1
	s_addc_u32 s7, s7, 0
	s_add_i32 s9, s9, -2
	s_cmp_lg_u32 s9, 0
	v_add_u32_e32 v2, v1, v2
	v_lshrrev_b32_e32 v2, s18, v2
	v_mul_lo_u32 v3, v2, s16
	v_mul_hi_u32 v5, s10, v2
	v_sub_u32_e32 v3, v1, v3
	v_add_u32_e32 v1, v2, v5
	v_lshrrev_b32_e32 v1, s11, v1
	v_mul_lo_u32 v9, v1, s19
	v_mul_lo_u32 v5, v3, s20
	;; [unrolled: 1-line block ×4, first 2 shown]
	v_sub_u32_e32 v2, v2, v9
	v_mul_lo_u32 v9, v2, s23
	v_mul_lo_u32 v13, v2, s24
	;; [unrolled: 1-line block ×3, first 2 shown]
	v_add3_u32 v4, v5, v4, v9
	v_add3_u32 v12, v7, v12, v13
	;; [unrolled: 1-line block ×3, first 2 shown]
	s_cbranch_scc1 .LBB55_1572
; %bb.1573:
	s_bitcmp1_b32 s8, 0
	s_cselect_b64 s[8:9], -1, 0
	s_and_b64 vcc, exec, s[8:9]
	s_cbranch_vccnz .LBB55_1577
; %bb.1574:
	s_load_dwordx2 s[8:9], s[6:7], 0x1c
	s_load_dword s16, s[6:7], 0x24
	s_load_dwordx2 s[10:11], s[6:7], 0xdc
	s_waitcnt lgkmcnt(0)
	v_mul_hi_u32 v2, s9, v1
	v_add_u32_e32 v2, v1, v2
	v_lshrrev_b32_e32 v2, s16, v2
	v_mul_lo_u32 v2, v2, s8
	s_load_dword s8, s[6:7], 0xe4
	v_sub_u32_e32 v1, v1, v2
	v_mad_u64_u32 v[4:5], s[6:7], v1, s10, v[4:5]
	v_mad_u64_u32 v[12:13], s[6:7], v1, s11, v[12:13]
	s_waitcnt lgkmcnt(0)
	v_mad_u64_u32 v[16:17], s[6:7], v1, s8, v[16:17]
	s_cbranch_execz .LBB55_1578
	s_branch .LBB55_1580
.LBB55_1575:
                                        ; implicit-def: $vgpr4
                                        ; implicit-def: $vgpr12
                                        ; implicit-def: $vgpr16
	s_branch .LBB55_1578
.LBB55_1576:
	v_mov_b32_e32 v4, 0
	v_mov_b32_e32 v12, 0
	;; [unrolled: 1-line block ×3, first 2 shown]
.LBB55_1577:
	s_cbranch_execnz .LBB55_1580
.LBB55_1578:
	s_load_dwordx4 s[8:11], s[2:3], 0x4
	s_load_dwordx4 s[16:19], s[2:3], 0xc4
	s_cmp_lt_u32 s33, 2
	s_waitcnt vmcnt(0) lgkmcnt(0)
	v_mul_hi_u32 v1, s9, v0
	v_add_u32_e32 v1, v0, v1
	v_lshrrev_b32_e32 v1, s10, v1
	v_mul_lo_u32 v2, v1, s8
	v_sub_u32_e32 v0, v0, v2
	v_mul_lo_u32 v4, v0, s16
	v_mul_lo_u32 v12, v0, s17
	;; [unrolled: 1-line block ×3, first 2 shown]
	s_cbranch_scc1 .LBB55_1580
; %bb.1579:
	s_load_dwordx4 s[8:11], s[2:3], 0x10
	s_load_dwordx4 s[16:19], s[2:3], 0xd0
	s_waitcnt lgkmcnt(0)
	v_mul_hi_u32 v0, s9, v1
	v_add_u32_e32 v0, v1, v0
	v_lshrrev_b32_e32 v0, s10, v0
	v_mul_lo_u32 v0, v0, s8
	v_sub_u32_e32 v0, v1, v0
	v_mad_u64_u32 v[4:5], s[6:7], v0, s16, v[4:5]
	v_mad_u64_u32 v[12:13], s[6:7], v0, s17, v[12:13]
	;; [unrolled: 1-line block ×3, first 2 shown]
.LBB55_1580:
	s_and_b64 vcc, exec, s[0:1]
	v_add_u32_e32 v0, 0x100, v10
	s_cbranch_vccnz .LBB55_1586
; %bb.1581:
	s_cmp_lg_u32 s33, 0
	s_cbranch_scc0 .LBB55_1587
; %bb.1582:
	s_min_u32 s8, s72, 15
	s_add_i32 s6, s8, 1
	s_and_b32 s9, s6, 30
	s_add_u32 s6, s2, 0xffffffe8
	s_addc_u32 s7, s3, -1
	v_mov_b32_e32 v17, 0
	v_mov_b32_e32 v19, 0
	s_waitcnt vmcnt(0)
	v_mov_b32_e32 v2, 0
	v_mov_b32_e32 v1, v0
.LBB55_1583:                            ; =>This Inner Loop Header: Depth=1
	s_load_dwordx4 s[16:19], s[6:7], 0x1c
	s_load_dwordx2 s[10:11], s[6:7], 0x2c
	s_load_dwordx2 s[24:25], s[6:7], 0xec
	s_load_dwordx4 s[20:23], s[6:7], 0xdc
	s_add_u32 s6, s6, 24
	s_waitcnt lgkmcnt(0)
	v_mul_hi_u32 v3, s17, v1
	s_addc_u32 s7, s7, 0
	s_add_i32 s9, s9, -2
	s_cmp_lg_u32 s9, 0
	v_add_u32_e32 v3, v1, v3
	v_lshrrev_b32_e32 v3, s18, v3
	v_mul_lo_u32 v5, v3, s16
	v_mul_hi_u32 v7, s10, v3
	v_sub_u32_e32 v5, v1, v5
	v_add_u32_e32 v1, v3, v7
	v_lshrrev_b32_e32 v1, s11, v1
	v_mul_lo_u32 v10, v1, s19
	v_mul_lo_u32 v7, v5, s20
	;; [unrolled: 1-line block ×4, first 2 shown]
	v_sub_u32_e32 v3, v3, v10
	v_mul_lo_u32 v10, v3, s23
	v_mul_lo_u32 v13, v3, s24
	;; [unrolled: 1-line block ×3, first 2 shown]
	v_add3_u32 v2, v7, v2, v10
	v_add3_u32 v19, v9, v19, v13
	;; [unrolled: 1-line block ×3, first 2 shown]
	s_cbranch_scc1 .LBB55_1583
; %bb.1584:
	s_bitcmp1_b32 s8, 0
	s_cselect_b64 s[8:9], -1, 0
	s_and_b64 vcc, exec, s[8:9]
	s_cbranch_vccnz .LBB55_1588
; %bb.1585:
	s_load_dwordx2 s[8:9], s[6:7], 0x1c
	s_load_dword s16, s[6:7], 0x24
	s_load_dwordx2 s[10:11], s[6:7], 0xdc
	s_waitcnt lgkmcnt(0)
	v_mul_hi_u32 v3, s9, v1
	v_add_u32_e32 v3, v1, v3
	v_lshrrev_b32_e32 v3, s16, v3
	v_mul_lo_u32 v3, v3, s8
	s_load_dword s8, s[6:7], 0xe4
	v_sub_u32_e32 v1, v1, v3
	v_mad_u64_u32 v[2:3], s[6:7], v1, s10, v[2:3]
	v_mad_u64_u32 v[19:20], s[6:7], v1, s11, v[19:20]
	s_waitcnt lgkmcnt(0)
	v_mad_u64_u32 v[17:18], s[6:7], v1, s8, v[17:18]
	s_cbranch_execz .LBB55_1589
	s_branch .LBB55_1591
.LBB55_1586:
                                        ; implicit-def: $vgpr2
                                        ; implicit-def: $vgpr19
                                        ; implicit-def: $vgpr17
	s_branch .LBB55_1589
.LBB55_1587:
	s_waitcnt vmcnt(0)
	v_mov_b32_e32 v2, 0
	v_mov_b32_e32 v19, 0
	;; [unrolled: 1-line block ×3, first 2 shown]
.LBB55_1588:
	s_cbranch_execnz .LBB55_1591
.LBB55_1589:
	s_load_dwordx4 s[8:11], s[2:3], 0x4
	s_load_dwordx4 s[16:19], s[2:3], 0xc4
	s_cmp_lt_u32 s33, 2
	s_waitcnt vmcnt(0) lgkmcnt(0)
	v_mul_hi_u32 v1, s9, v0
	v_add_u32_e32 v1, v0, v1
	v_lshrrev_b32_e32 v1, s10, v1
	v_mul_lo_u32 v2, v1, s8
	v_sub_u32_e32 v0, v0, v2
	v_mul_lo_u32 v2, v0, s16
	v_mul_lo_u32 v19, v0, s17
	;; [unrolled: 1-line block ×3, first 2 shown]
	s_cbranch_scc1 .LBB55_1591
; %bb.1590:
	s_load_dwordx4 s[8:11], s[2:3], 0x10
	s_load_dwordx4 s[16:19], s[2:3], 0xd0
	s_waitcnt lgkmcnt(0)
	v_mul_hi_u32 v0, s9, v1
	v_add_u32_e32 v0, v1, v0
	v_lshrrev_b32_e32 v0, s10, v0
	v_mul_lo_u32 v0, v0, s8
	v_sub_u32_e32 v0, v1, v0
	v_mad_u64_u32 v[2:3], s[6:7], v0, s16, v[2:3]
	v_mad_u64_u32 v[19:20], s[6:7], v0, s17, v[19:20]
	v_mad_u64_u32 v[17:18], s[6:7], v0, s18, v[17:18]
.LBB55_1591:
	s_and_b64 vcc, exec, s[0:1]
	s_cbranch_vccnz .LBB55_1597
; %bb.1592:
	s_cmp_lg_u32 s33, 0
	s_cbranch_scc0 .LBB55_1598
; %bb.1593:
	s_min_u32 s6, s72, 15
	s_add_i32 s0, s6, 1
	s_and_b32 s7, s0, 30
	s_add_u32 s0, s2, 0xffffffe8
	s_addc_u32 s1, s3, -1
	v_mov_b32_e32 v9, 0
	v_mov_b32_e32 v14, 0
	;; [unrolled: 1-line block ×3, first 2 shown]
	s_waitcnt vmcnt(0)
	v_mov_b32_e32 v1, v21
.LBB55_1594:                            ; =>This Inner Loop Header: Depth=1
	s_load_dwordx4 s[8:11], s[0:1], 0x1c
	s_load_dwordx2 s[20:21], s[0:1], 0x2c
	s_load_dwordx2 s[22:23], s[0:1], 0xec
	s_load_dwordx4 s[16:19], s[0:1], 0xdc
	s_add_u32 s0, s0, 24
	s_waitcnt lgkmcnt(0)
	v_mul_hi_u32 v3, s9, v1
	s_addc_u32 s1, s1, 0
	s_add_i32 s7, s7, -2
	s_cmp_lg_u32 s7, 0
	v_add_u32_e32 v3, v1, v3
	v_lshrrev_b32_e32 v3, s10, v3
	v_mul_lo_u32 v5, v3, s8
	v_mul_hi_u32 v7, s20, v3
	v_sub_u32_e32 v5, v1, v5
	v_add_u32_e32 v1, v3, v7
	v_lshrrev_b32_e32 v1, s21, v1
	v_mul_lo_u32 v13, v1, s11
	v_mul_lo_u32 v7, v5, s16
	v_mul_lo_u32 v10, v5, s17
	v_mul_lo_u32 v5, v5, s18
	v_sub_u32_e32 v3, v3, v13
	v_mul_lo_u32 v13, v3, s19
	v_mul_lo_u32 v15, v3, s22
	v_mul_lo_u32 v3, v3, s23
	v_add3_u32 v0, v7, v0, v13
	v_add3_u32 v14, v10, v14, v15
	;; [unrolled: 1-line block ×3, first 2 shown]
	s_cbranch_scc1 .LBB55_1594
; %bb.1595:
	s_bitcmp1_b32 s6, 0
	s_cselect_b64 s[6:7], -1, 0
	s_and_b64 vcc, exec, s[6:7]
	s_cbranch_vccnz .LBB55_1599
; %bb.1596:
	s_load_dwordx2 s[6:7], s[0:1], 0x1c
	s_load_dword s10, s[0:1], 0x24
	s_load_dwordx2 s[8:9], s[0:1], 0xdc
	s_waitcnt lgkmcnt(0)
	v_mul_hi_u32 v3, s7, v1
	v_add_u32_e32 v3, v1, v3
	v_lshrrev_b32_e32 v3, s10, v3
	v_mul_lo_u32 v3, v3, s6
	s_load_dword s6, s[0:1], 0xe4
	v_sub_u32_e32 v3, v1, v3
	v_mad_u64_u32 v[0:1], s[0:1], v3, s8, v[0:1]
	v_mad_u64_u32 v[14:15], s[0:1], v3, s9, v[14:15]
	s_waitcnt lgkmcnt(0)
	v_mad_u64_u32 v[9:10], s[0:1], v3, s6, v[9:10]
	s_cbranch_execz .LBB55_1600
	s_branch .LBB55_1602
.LBB55_1597:
                                        ; implicit-def: $vgpr0
                                        ; implicit-def: $vgpr14
                                        ; implicit-def: $vgpr9
	s_branch .LBB55_1600
.LBB55_1598:
	v_mov_b32_e32 v0, 0
	v_mov_b32_e32 v14, 0
	;; [unrolled: 1-line block ×3, first 2 shown]
.LBB55_1599:
	s_cbranch_execnz .LBB55_1602
.LBB55_1600:
	s_load_dwordx4 s[8:11], s[2:3], 0x4
	s_load_dwordx4 s[16:19], s[2:3], 0xc4
	s_cmp_lt_u32 s33, 2
	s_waitcnt lgkmcnt(0)
	v_mul_hi_u32 v0, s9, v21
	v_add_u32_e32 v0, v21, v0
	s_waitcnt vmcnt(0)
	v_lshrrev_b32_e32 v1, s10, v0
	v_mul_lo_u32 v0, v1, s8
	v_sub_u32_e32 v3, v21, v0
	v_mul_lo_u32 v0, v3, s16
	v_mul_lo_u32 v14, v3, s17
	;; [unrolled: 1-line block ×3, first 2 shown]
	s_cbranch_scc1 .LBB55_1602
; %bb.1601:
	s_load_dwordx4 s[8:11], s[2:3], 0x10
	s_load_dwordx4 s[16:19], s[2:3], 0xd0
	s_waitcnt lgkmcnt(0)
	v_mul_hi_u32 v3, s9, v1
	v_add_u32_e32 v3, v1, v3
	v_lshrrev_b32_e32 v3, s10, v3
	v_mul_lo_u32 v3, v3, s8
	v_sub_u32_e32 v3, v1, v3
	v_mad_u64_u32 v[0:1], s[0:1], v3, s16, v[0:1]
	v_mad_u64_u32 v[14:15], s[0:1], v3, s17, v[14:15]
	;; [unrolled: 1-line block ×3, first 2 shown]
.LBB55_1602:
	s_load_dwordx4 s[8:11], s[2:3], 0x188
	s_load_dword s23, s[4:5], 0x1ac
	s_waitcnt vmcnt(0) lgkmcnt(0)
	v_mov_b32_e32 v1, s11
	s_bfe_u32 s18, s23, 0x80008
	v_add_co_u32_e32 v20, vcc, s10, v8
	s_cmp_lt_i32 s18, 11
	v_addc_co_u32_e32 v21, vcc, 0, v1, vcc
	s_cbranch_scc1 .LBB55_1609
; %bb.1603:
	s_and_b32 s19, 0xffff, s18
	s_cmp_gt_i32 s19, 25
	s_mov_b64 s[6:7], 0
	s_cbranch_scc0 .LBB55_1611
; %bb.1604:
	s_cmp_gt_i32 s19, 28
	s_cbranch_scc0 .LBB55_1612
; %bb.1605:
	s_cmp_gt_i32 s19, 43
	;; [unrolled: 3-line block ×3, first 2 shown]
	s_cbranch_scc0 .LBB55_1614
; %bb.1607:
	s_cmp_eq_u32 s19, 46
	s_mov_b64 s[4:5], 0
	s_cbranch_scc0 .LBB55_1617
; %bb.1608:
	global_load_dword v1, v[20:21], off
	s_mov_b32 s0, 0x2f800000
	s_mov_b32 s1, 0xcf800000
	s_mov_b64 s[16:17], -1
	s_waitcnt vmcnt(0)
	v_lshlrev_b32_e32 v1, 16, v1
	v_trunc_f32_e32 v1, v1
	v_mul_f32_e64 v3, |v1|, s0
	v_floor_f32_e32 v3, v3
	v_fma_f32 v5, v3, s1, |v1|
	v_cvt_u32_f32_e32 v5, v5
	v_cvt_u32_f32_e32 v3, v3
	v_ashrrev_i32_e32 v1, 31, v1
	s_mov_b64 s[0:1], 0
	v_xor_b32_e32 v5, v5, v1
	v_xor_b32_e32 v3, v3, v1
	v_sub_co_u32_e32 v7, vcc, v5, v1
	v_subb_co_u32_e32 v8, vcc, v3, v1, vcc
	s_branch .LBB55_1618
.LBB55_1609:
	s_mov_b64 s[16:17], 0
                                        ; implicit-def: $vgpr7_vgpr8
	s_mov_b64 s[4:5], s[12:13]
	s_cbranch_execnz .LBB55_1676
.LBB55_1610:
	s_andn2_b64 vcc, exec, s[16:17]
	s_cbranch_vccz .LBB55_1721
	s_branch .LBB55_3036
.LBB55_1611:
	s_mov_b64 s[16:17], 0
	s_mov_b64 s[0:1], 0
                                        ; implicit-def: $vgpr7_vgpr8
	s_cbranch_execnz .LBB55_1645
	s_branch .LBB55_1672
.LBB55_1612:
	s_mov_b64 s[16:17], 0
	s_mov_b64 s[0:1], 0
                                        ; implicit-def: $vgpr7_vgpr8
	s_cbranch_execz .LBB55_1644
	s_branch .LBB55_1627
.LBB55_1613:
	s_mov_b64 s[16:17], 0
	s_mov_b64 s[0:1], 0
                                        ; implicit-def: $vgpr7_vgpr8
	s_cbranch_execnz .LBB55_1623
	s_branch .LBB55_1626
.LBB55_1614:
	s_mov_b64 s[4:5], -1
	s_mov_b64 s[16:17], 0
	s_mov_b64 s[0:1], 0
                                        ; implicit-def: $vgpr7_vgpr8
	s_branch .LBB55_1618
.LBB55_1615:
	s_andn2_saveexec_b64 s[18:19], s[18:19]
	s_cbranch_execz .LBB55_1466
.LBB55_1616:
	v_add_f32_e32 v0, 0x46000000, v1
	v_and_b32_e32 v0, 0xff, v0
	v_cmp_ne_u32_e32 vcc, 0, v0
	s_andn2_b64 s[14:15], s[14:15], exec
	s_and_b64 s[20:21], vcc, exec
	s_or_b64 s[14:15], s[14:15], s[20:21]
	s_or_b64 exec, exec, s[18:19]
	v_mov_b32_e32 v2, 0
	s_and_saveexec_b64 s[18:19], s[14:15]
	s_cbranch_execnz .LBB55_1467
	s_branch .LBB55_1468
.LBB55_1617:
	s_mov_b64 s[0:1], -1
                                        ; implicit-def: $vgpr7_vgpr8
	s_mov_b64 s[16:17], 0
.LBB55_1618:
	s_and_b64 vcc, exec, s[4:5]
	s_cbranch_vccz .LBB55_1621
; %bb.1619:
	s_cmp_eq_u32 s19, 44
	s_cbranch_scc0 .LBB55_1622
; %bb.1620:
	global_load_ubyte v1, v[20:21], off
	s_mov_b32 s0, 0x2f800000
	s_mov_b32 s1, 0xcf800000
	s_mov_b64 s[16:17], -1
	s_waitcnt vmcnt(0)
	v_lshlrev_b32_e32 v3, 23, v1
	v_trunc_f32_e32 v3, v3
	v_mul_f32_e64 v5, |v3|, s0
	v_floor_f32_e32 v5, v5
	v_fma_f32 v7, v5, s1, |v3|
	v_cvt_u32_f32_e32 v7, v7
	v_cvt_u32_f32_e32 v5, v5
	v_ashrrev_i32_e32 v3, 31, v3
	s_mov_b64 s[0:1], 0
	v_xor_b32_e32 v7, v7, v3
	v_xor_b32_e32 v5, v5, v3
	v_sub_co_u32_e32 v7, vcc, v7, v3
	v_subb_co_u32_e32 v3, vcc, v5, v3, vcc
	v_cmp_ne_u32_e32 vcc, 0, v1
	v_cndmask_b32_e32 v8, 0, v3, vcc
	v_cndmask_b32_e32 v7, 0, v7, vcc
.LBB55_1621:
	s_branch .LBB55_1626
.LBB55_1622:
	s_mov_b64 s[0:1], -1
                                        ; implicit-def: $vgpr7_vgpr8
	s_branch .LBB55_1626
.LBB55_1623:
	s_cmp_eq_u32 s19, 29
	s_cbranch_scc0 .LBB55_1625
; %bb.1624:
	global_load_dwordx2 v[7:8], v[20:21], off
	s_mov_b64 s[0:1], 0
	s_mov_b64 s[16:17], -1
	s_branch .LBB55_1626
.LBB55_1625:
	s_mov_b64 s[0:1], -1
                                        ; implicit-def: $vgpr7_vgpr8
.LBB55_1626:
	s_branch .LBB55_1644
.LBB55_1627:
	s_cmp_lt_i32 s19, 27
	s_cbranch_scc1 .LBB55_1630
; %bb.1628:
	s_cmp_gt_i32 s19, 27
	s_cbranch_scc0 .LBB55_1631
; %bb.1629:
	global_load_dword v7, v[20:21], off
	s_waitcnt vmcnt(1)
	v_mov_b32_e32 v8, 0
	s_mov_b64 s[4:5], 0
	s_branch .LBB55_1632
.LBB55_1630:
	s_mov_b64 s[4:5], -1
                                        ; implicit-def: $vgpr7_vgpr8
	s_branch .LBB55_1635
.LBB55_1631:
	s_mov_b64 s[4:5], -1
                                        ; implicit-def: $vgpr7_vgpr8
.LBB55_1632:
	s_andn2_b64 vcc, exec, s[4:5]
	s_cbranch_vccnz .LBB55_1634
; %bb.1633:
	global_load_ushort v1, v[20:21], off
	s_mov_b32 s4, 0
	s_waitcnt vmcnt(1)
	v_mov_b32_e32 v8, s4
	s_waitcnt vmcnt(0)
	v_and_b32_e32 v7, 0xffff, v1
.LBB55_1634:
	s_mov_b64 s[4:5], 0
.LBB55_1635:
	s_andn2_b64 vcc, exec, s[4:5]
	s_cbranch_vccnz .LBB55_1643
; %bb.1636:
	global_load_ubyte v1, v[20:21], off
	s_movk_i32 s4, 0x7f
	s_mov_b64 s[16:17], 0
	s_waitcnt vmcnt(0)
	v_cmp_lt_i16_e32 vcc, s4, v1
	s_and_saveexec_b64 s[4:5], vcc
	s_xor_b64 s[4:5], exec, s[4:5]
; %bb.1637:
	s_movk_i32 s16, 0x80
	v_cmp_ne_u16_e32 vcc, s16, v1
	s_and_b64 s[16:17], vcc, exec
; %bb.1638:
	s_andn2_saveexec_b64 s[4:5], s[4:5]
; %bb.1639:
	v_cmp_ne_u16_e32 vcc, 0, v1
	s_andn2_b64 s[16:17], s[16:17], exec
	s_and_b64 s[20:21], vcc, exec
	s_or_b64 s[16:17], s[16:17], s[20:21]
; %bb.1640:
	s_or_b64 exec, exec, s[4:5]
	v_mov_b32_e32 v7, 0
	v_mov_b32_e32 v8, 0
	s_and_saveexec_b64 s[4:5], s[16:17]
	s_cbranch_execz .LBB55_1642
; %bb.1641:
	v_lshlrev_b32_e32 v3, 24, v1
	v_and_b32_e32 v1, 0xffff, v1
	v_and_b32_e32 v5, 7, v1
	v_ffbh_u32_e32 v8, v5
	v_min_u32_e32 v8, 32, v8
	v_subrev_u32_e32 v10, 28, v8
	v_bfe_u32 v7, v1, 3, 4
	v_lshlrev_b32_e32 v1, v10, v1
	v_sub_u32_e32 v8, 29, v8
	v_and_b32_e32 v1, 7, v1
	v_cmp_eq_u32_e32 vcc, 0, v7
	v_cndmask_b32_e32 v7, v7, v8, vcc
	v_cndmask_b32_e32 v1, v5, v1, vcc
	v_mov_b32_e32 v5, 0x3b800000
	v_lshlrev_b32_e32 v1, 20, v1
	v_and_b32_e32 v3, 0x80000000, v3
	v_lshl_add_u32 v5, v7, 23, v5
	v_or3_b32 v1, v3, v5, v1
	v_trunc_f32_e32 v1, v1
	s_mov_b32 s16, 0x2f800000
	v_mul_f32_e64 v3, |v1|, s16
	v_floor_f32_e32 v3, v3
	s_mov_b32 s16, 0xcf800000
	v_fma_f32 v5, v3, s16, |v1|
	v_cvt_u32_f32_e32 v5, v5
	v_cvt_u32_f32_e32 v3, v3
	v_ashrrev_i32_e32 v1, 31, v1
	v_xor_b32_e32 v5, v5, v1
	v_xor_b32_e32 v3, v3, v1
	v_sub_co_u32_e32 v7, vcc, v5, v1
	v_subb_co_u32_e32 v8, vcc, v3, v1, vcc
.LBB55_1642:
	s_or_b64 exec, exec, s[4:5]
.LBB55_1643:
	s_mov_b64 s[16:17], -1
.LBB55_1644:
	s_branch .LBB55_1672
.LBB55_1645:
	s_cmp_gt_i32 s19, 22
	s_cbranch_scc0 .LBB55_1655
; %bb.1646:
	s_cmp_lt_i32 s19, 24
	s_cbranch_scc1 .LBB55_1656
; %bb.1647:
	s_cmp_gt_i32 s19, 24
	s_cbranch_scc0 .LBB55_1657
; %bb.1648:
	global_load_ubyte v1, v[20:21], off
	s_movk_i32 s4, 0x7f
	s_waitcnt vmcnt(0)
	v_cmp_lt_i16_e32 vcc, s4, v1
	s_and_saveexec_b64 s[4:5], vcc
	s_xor_b64 s[4:5], exec, s[4:5]
; %bb.1649:
	s_movk_i32 s6, 0x80
	v_cmp_ne_u16_e32 vcc, s6, v1
	s_and_b64 s[6:7], vcc, exec
; %bb.1650:
	s_andn2_saveexec_b64 s[4:5], s[4:5]
; %bb.1651:
	v_cmp_ne_u16_e32 vcc, 0, v1
	s_andn2_b64 s[6:7], s[6:7], exec
	s_and_b64 s[16:17], vcc, exec
	s_or_b64 s[6:7], s[6:7], s[16:17]
; %bb.1652:
	s_or_b64 exec, exec, s[4:5]
	v_mov_b32_e32 v7, 0
	v_mov_b32_e32 v8, 0
	s_and_saveexec_b64 s[4:5], s[6:7]
	s_cbranch_execz .LBB55_1654
; %bb.1653:
	v_lshlrev_b32_e32 v3, 24, v1
	v_and_b32_e32 v1, 0xffff, v1
	v_and_b32_e32 v5, 3, v1
	v_ffbh_u32_e32 v8, v5
	v_min_u32_e32 v8, 32, v8
	v_subrev_u32_e32 v10, 29, v8
	v_bfe_u32 v7, v1, 2, 5
	v_lshlrev_b32_e32 v1, v10, v1
	v_sub_u32_e32 v8, 30, v8
	v_and_b32_e32 v1, 3, v1
	v_cmp_eq_u32_e32 vcc, 0, v7
	v_cndmask_b32_e32 v7, v7, v8, vcc
	v_cndmask_b32_e32 v1, v5, v1, vcc
	v_mov_b32_e32 v5, 0x37800000
	v_lshlrev_b32_e32 v1, 21, v1
	v_and_b32_e32 v3, 0x80000000, v3
	v_lshl_add_u32 v5, v7, 23, v5
	v_or3_b32 v1, v3, v5, v1
	v_trunc_f32_e32 v1, v1
	s_mov_b32 s6, 0x2f800000
	v_mul_f32_e64 v3, |v1|, s6
	v_floor_f32_e32 v3, v3
	s_mov_b32 s6, 0xcf800000
	v_fma_f32 v5, v3, s6, |v1|
	v_cvt_u32_f32_e32 v5, v5
	v_cvt_u32_f32_e32 v3, v3
	v_ashrrev_i32_e32 v1, 31, v1
	v_xor_b32_e32 v5, v5, v1
	v_xor_b32_e32 v3, v3, v1
	v_sub_co_u32_e32 v7, vcc, v5, v1
	v_subb_co_u32_e32 v8, vcc, v3, v1, vcc
.LBB55_1654:
	s_or_b64 exec, exec, s[4:5]
	s_mov_b64 s[4:5], 0
	s_branch .LBB55_1658
.LBB55_1655:
                                        ; implicit-def: $vgpr7_vgpr8
	s_mov_b64 s[6:7], 0
	s_branch .LBB55_1664
.LBB55_1656:
	s_mov_b64 s[4:5], -1
                                        ; implicit-def: $vgpr7_vgpr8
	s_branch .LBB55_1661
.LBB55_1657:
	s_mov_b64 s[4:5], -1
                                        ; implicit-def: $vgpr7_vgpr8
.LBB55_1658:
	s_and_b64 vcc, exec, s[4:5]
	s_cbranch_vccz .LBB55_1660
; %bb.1659:
	global_load_ubyte v1, v[20:21], off
	s_mov_b32 s4, 0x7f800000
	s_brev_b32 s5, 1
	s_mov_b32 s6, 0x2f800000
	s_mov_b32 s7, 0xcf800000
	s_waitcnt vmcnt(0)
	v_lshlrev_b32_e32 v1, 24, v1
	v_and_b32_e32 v3, 0x7f000000, v1
	v_ffbh_u32_e32 v5, v3
	v_min_u32_e32 v5, 32, v5
	v_sub_u32_e64 v5, v5, 4 clamp
	v_lshlrev_b32_e32 v8, v5, v3
	v_lshlrev_b32_e32 v5, 23, v5
	v_lshrrev_b32_e32 v8, 4, v8
	v_add_u32_e32 v7, 0x1000000, v3
	v_sub_u32_e32 v5, v8, v5
	v_ashrrev_i32_e32 v7, 8, v7
	v_add_u32_e32 v5, 0x3c000000, v5
	v_and_or_b32 v5, v7, s4, v5
	v_cmp_ne_u32_e32 vcc, 0, v3
	v_cndmask_b32_e32 v3, 0, v5, vcc
	v_and_or_b32 v1, v1, s5, v3
	v_trunc_f32_e32 v1, v1
	v_mul_f32_e64 v3, |v1|, s6
	v_floor_f32_e32 v3, v3
	v_fma_f32 v5, v3, s7, |v1|
	v_cvt_u32_f32_e32 v5, v5
	v_cvt_u32_f32_e32 v3, v3
	v_ashrrev_i32_e32 v1, 31, v1
	v_xor_b32_e32 v5, v5, v1
	v_xor_b32_e32 v3, v3, v1
	v_sub_co_u32_e32 v7, vcc, v5, v1
	v_subb_co_u32_e32 v8, vcc, v3, v1, vcc
.LBB55_1660:
	s_mov_b64 s[4:5], 0
.LBB55_1661:
	s_andn2_b64 vcc, exec, s[4:5]
	s_cbranch_vccnz .LBB55_1663
; %bb.1662:
	global_load_ubyte v1, v[20:21], off
	s_movk_i32 s4, 0x7f00
	s_brev_b32 s5, 16
	s_brev_b32 s6, 1
	s_mov_b32 s7, 0x2f800000
	s_mov_b32 s16, 0xcf800000
	s_waitcnt vmcnt(0)
	v_lshlrev_b16_e32 v3, 8, v1
	v_lshlrev_b32_e32 v1, 25, v1
	v_lshrrev_b32_e32 v5, 4, v1
	v_and_or_b32 v7, v3, s4, 0.5
	v_or_b32_e32 v5, 0x70000000, v5
	v_add_f32_e32 v7, -0.5, v7
	v_mul_f32_e32 v5, 0x7800000, v5
	v_cmp_gt_u32_e32 vcc, s5, v1
	v_bfe_i32 v3, v3, 0, 16
	v_cndmask_b32_e32 v1, v5, v7, vcc
	v_and_or_b32 v1, v3, s6, v1
	v_trunc_f32_e32 v1, v1
	v_mul_f32_e64 v3, |v1|, s7
	v_floor_f32_e32 v3, v3
	v_fma_f32 v5, v3, s16, |v1|
	v_cvt_u32_f32_e32 v5, v5
	v_cvt_u32_f32_e32 v3, v3
	v_ashrrev_i32_e32 v1, 31, v1
	v_xor_b32_e32 v5, v5, v1
	v_xor_b32_e32 v3, v3, v1
	v_sub_co_u32_e32 v7, vcc, v5, v1
	v_subb_co_u32_e32 v8, vcc, v3, v1, vcc
.LBB55_1663:
	s_mov_b64 s[16:17], -1
	s_mov_b64 s[6:7], 0
	s_cbranch_execnz .LBB55_1672
.LBB55_1664:
	s_cmp_gt_i32 s19, 14
	s_cbranch_scc0 .LBB55_1667
; %bb.1665:
	s_cmp_eq_u32 s19, 15
	s_cbranch_scc0 .LBB55_1668
; %bb.1666:
	global_load_ushort v1, v[20:21], off
	s_mov_b32 s0, 0x2f800000
	s_mov_b32 s1, 0xcf800000
	s_mov_b64 s[16:17], -1
	s_waitcnt vmcnt(0)
	v_lshlrev_b32_e32 v1, 16, v1
	v_trunc_f32_e32 v1, v1
	v_mul_f32_e64 v3, |v1|, s0
	v_floor_f32_e32 v3, v3
	v_fma_f32 v5, v3, s1, |v1|
	v_cvt_u32_f32_e32 v5, v5
	v_cvt_u32_f32_e32 v3, v3
	v_ashrrev_i32_e32 v1, 31, v1
	s_mov_b64 s[0:1], 0
	v_xor_b32_e32 v5, v5, v1
	v_xor_b32_e32 v3, v3, v1
	v_sub_co_u32_e32 v7, vcc, v5, v1
	v_subb_co_u32_e32 v8, vcc, v3, v1, vcc
	s_branch .LBB55_1669
.LBB55_1667:
	s_mov_b64 s[4:5], -1
                                        ; implicit-def: $vgpr7_vgpr8
	s_branch .LBB55_1670
.LBB55_1668:
	s_mov_b64 s[0:1], -1
                                        ; implicit-def: $vgpr7_vgpr8
.LBB55_1669:
	s_mov_b64 s[4:5], 0
.LBB55_1670:
	s_and_b64 vcc, exec, s[4:5]
	s_cbranch_vccz .LBB55_1672
; %bb.1671:
	s_cmp_lg_u32 s19, 11
	s_mov_b64 s[6:7], -1
	s_cselect_b64 s[0:1], -1, 0
.LBB55_1672:
	s_and_b64 vcc, exec, s[0:1]
	s_mov_b64 s[4:5], s[12:13]
	s_cbranch_vccnz .LBB55_1733
; %bb.1673:
	s_andn2_b64 vcc, exec, s[6:7]
	s_cbranch_vccnz .LBB55_1675
.LBB55_1674:
	global_load_ubyte v1, v[20:21], off
	s_mov_b32 s0, 0
	s_waitcnt vmcnt(1)
	v_mov_b32_e32 v8, s0
	s_mov_b64 s[16:17], -1
	s_waitcnt vmcnt(0)
	v_cmp_ne_u16_e32 vcc, 0, v1
	v_cndmask_b32_e64 v7, 0, 1, vcc
.LBB55_1675:
	s_branch .LBB55_1610
.LBB55_1676:
	s_and_b32 s6, 0xffff, s18
	s_cmp_lt_i32 s6, 5
	s_cbranch_scc1 .LBB55_1681
; %bb.1677:
	s_cmp_lt_i32 s6, 8
	s_cbranch_scc1 .LBB55_1682
; %bb.1678:
	;; [unrolled: 3-line block ×3, first 2 shown]
	s_cmp_gt_i32 s6, 9
	s_cbranch_scc0 .LBB55_1684
; %bb.1680:
	global_load_dwordx2 v[7:8], v[20:21], off
	s_movk_i32 s0, 0xffe0
	s_waitcnt vmcnt(0)
	v_trunc_f64_e32 v[7:8], v[7:8]
	v_ldexp_f64 v[22:23], v[7:8], s0
	s_mov_b32 s0, 0
	s_mov_b32 s1, 0xc1f00000
	v_floor_f64_e32 v[22:23], v[22:23]
	v_fma_f64 v[24:25], v[22:23], s[0:1], v[7:8]
	v_cvt_i32_f64_e32 v8, v[22:23]
	s_mov_b64 s[0:1], 0
	v_cvt_u32_f64_e32 v7, v[24:25]
	s_branch .LBB55_1685
.LBB55_1681:
                                        ; implicit-def: $vgpr7_vgpr8
	s_branch .LBB55_1702
.LBB55_1682:
                                        ; implicit-def: $vgpr7_vgpr8
	s_branch .LBB55_1691
.LBB55_1683:
	s_mov_b64 s[0:1], -1
                                        ; implicit-def: $vgpr7_vgpr8
	s_branch .LBB55_1688
.LBB55_1684:
	s_mov_b64 s[0:1], -1
                                        ; implicit-def: $vgpr7_vgpr8
.LBB55_1685:
	s_andn2_b64 vcc, exec, s[0:1]
	s_cbranch_vccnz .LBB55_1687
; %bb.1686:
	global_load_dword v1, v[20:21], off
	s_mov_b32 s0, 0x2f800000
	s_mov_b32 s1, 0xcf800000
	s_waitcnt vmcnt(0)
	v_trunc_f32_e32 v1, v1
	v_mul_f32_e64 v3, |v1|, s0
	v_floor_f32_e32 v3, v3
	v_cvt_u32_f32_e32 v5, v3
	v_fma_f32 v3, v3, s1, |v1|
	v_cvt_u32_f32_e32 v3, v3
	v_ashrrev_i32_e32 v1, 31, v1
	v_xor_b32_e32 v5, v5, v1
	v_xor_b32_e32 v3, v3, v1
	v_sub_co_u32_e32 v7, vcc, v3, v1
	v_subb_co_u32_e32 v8, vcc, v5, v1, vcc
.LBB55_1687:
	s_mov_b64 s[0:1], 0
.LBB55_1688:
	s_andn2_b64 vcc, exec, s[0:1]
	s_cbranch_vccnz .LBB55_1690
; %bb.1689:
	global_load_dword v1, v[20:21], off
	s_waitcnt vmcnt(0)
	v_cvt_f32_f16_e32 v1, v1
	v_cvt_i32_f32_e32 v7, v1
	v_ashrrev_i32_e32 v8, 31, v7
.LBB55_1690:
	s_cbranch_execnz .LBB55_1701
.LBB55_1691:
	s_cmp_lt_i32 s6, 6
	s_cbranch_scc1 .LBB55_1694
; %bb.1692:
	s_cmp_gt_i32 s6, 6
	s_cbranch_scc0 .LBB55_1695
; %bb.1693:
	global_load_dwordx2 v[7:8], v[20:21], off
	s_movk_i32 s0, 0xffe0
	s_waitcnt vmcnt(0)
	v_trunc_f64_e32 v[7:8], v[7:8]
	v_ldexp_f64 v[22:23], v[7:8], s0
	s_mov_b32 s0, 0
	s_mov_b32 s1, 0xc1f00000
	v_floor_f64_e32 v[22:23], v[22:23]
	v_fma_f64 v[24:25], v[22:23], s[0:1], v[7:8]
	v_cvt_i32_f64_e32 v8, v[22:23]
	s_mov_b64 s[0:1], 0
	v_cvt_u32_f64_e32 v7, v[24:25]
	s_branch .LBB55_1696
.LBB55_1694:
	s_mov_b64 s[0:1], -1
                                        ; implicit-def: $vgpr7_vgpr8
	s_branch .LBB55_1699
.LBB55_1695:
	s_mov_b64 s[0:1], -1
                                        ; implicit-def: $vgpr7_vgpr8
.LBB55_1696:
	s_andn2_b64 vcc, exec, s[0:1]
	s_cbranch_vccnz .LBB55_1698
; %bb.1697:
	global_load_dword v1, v[20:21], off
	s_mov_b32 s0, 0x2f800000
	s_mov_b32 s1, 0xcf800000
	s_waitcnt vmcnt(0)
	v_trunc_f32_e32 v1, v1
	v_mul_f32_e64 v3, |v1|, s0
	v_floor_f32_e32 v3, v3
	v_cvt_u32_f32_e32 v5, v3
	v_fma_f32 v3, v3, s1, |v1|
	v_cvt_u32_f32_e32 v3, v3
	v_ashrrev_i32_e32 v1, 31, v1
	v_xor_b32_e32 v5, v5, v1
	v_xor_b32_e32 v3, v3, v1
	v_sub_co_u32_e32 v7, vcc, v3, v1
	v_subb_co_u32_e32 v8, vcc, v5, v1, vcc
.LBB55_1698:
	s_mov_b64 s[0:1], 0
.LBB55_1699:
	s_andn2_b64 vcc, exec, s[0:1]
	s_cbranch_vccnz .LBB55_1701
; %bb.1700:
	global_load_ushort v1, v[20:21], off
	s_waitcnt vmcnt(0)
	v_cvt_f32_f16_e32 v1, v1
	v_cvt_i32_f32_e32 v7, v1
	v_ashrrev_i32_e32 v8, 31, v7
.LBB55_1701:
	s_cbranch_execnz .LBB55_1720
.LBB55_1702:
	s_cmp_lt_i32 s6, 2
	s_cbranch_scc1 .LBB55_1706
; %bb.1703:
	s_cmp_lt_i32 s6, 3
	s_cbranch_scc1 .LBB55_1707
; %bb.1704:
	s_cmp_gt_i32 s6, 3
	s_cbranch_scc0 .LBB55_1708
; %bb.1705:
	global_load_dwordx2 v[7:8], v[20:21], off
	s_mov_b64 s[0:1], 0
	s_branch .LBB55_1709
.LBB55_1706:
                                        ; implicit-def: $vgpr7_vgpr8
	s_branch .LBB55_1715
.LBB55_1707:
	s_mov_b64 s[0:1], -1
                                        ; implicit-def: $vgpr7_vgpr8
	s_branch .LBB55_1712
.LBB55_1708:
	s_mov_b64 s[0:1], -1
                                        ; implicit-def: $vgpr7_vgpr8
.LBB55_1709:
	s_andn2_b64 vcc, exec, s[0:1]
	s_cbranch_vccnz .LBB55_1711
; %bb.1710:
	global_load_dword v7, v[20:21], off
	s_waitcnt vmcnt(0)
	v_ashrrev_i32_e32 v8, 31, v7
.LBB55_1711:
	s_mov_b64 s[0:1], 0
.LBB55_1712:
	s_andn2_b64 vcc, exec, s[0:1]
	s_cbranch_vccnz .LBB55_1714
; %bb.1713:
	global_load_ushort v1, v[20:21], off
	s_waitcnt vmcnt(0)
	v_bfe_i32 v7, v1, 0, 16
	v_ashrrev_i32_e32 v8, 31, v7
.LBB55_1714:
	s_cbranch_execnz .LBB55_1720
.LBB55_1715:
	s_cmp_gt_i32 s6, 0
	s_cbranch_scc0 .LBB55_1717
; %bb.1716:
	global_load_sbyte v1, v[20:21], off
	s_mov_b64 s[0:1], 0
	s_waitcnt vmcnt(0)
	v_bfe_i32 v7, v1, 0, 16
	v_ashrrev_i32_e32 v8, 31, v7
	s_branch .LBB55_1718
.LBB55_1717:
	s_mov_b64 s[0:1], -1
                                        ; implicit-def: $vgpr7_vgpr8
.LBB55_1718:
	s_andn2_b64 vcc, exec, s[0:1]
	s_cbranch_vccnz .LBB55_1720
; %bb.1719:
	global_load_ubyte v1, v[20:21], off
	s_mov_b32 s0, 0
	s_waitcnt vmcnt(1)
	v_mov_b32_e32 v8, s0
	s_waitcnt vmcnt(0)
	v_and_b32_e32 v7, 0xffff, v1
.LBB55_1720:
.LBB55_1721:
	s_load_dwordx2 s[0:1], s[2:3], 0x198
	s_bfe_u32 s22, s23, 0x80010
	s_cmp_lt_i32 s22, 11
	s_waitcnt lgkmcnt(0)
	v_mov_b32_e32 v1, s1
	v_add_co_u32_e32 v20, vcc, s0, v11
	v_addc_co_u32_e32 v21, vcc, 0, v1, vcc
	s_cbranch_scc1 .LBB55_1728
; %bb.1722:
	s_and_b32 s24, 0xffff, s22
	s_cmp_gt_i32 s24, 25
	s_mov_b64 s[16:17], 0
	s_cbranch_scc0 .LBB55_1730
; %bb.1723:
	s_cmp_gt_i32 s24, 28
	s_cbranch_scc0 .LBB55_1731
; %bb.1724:
	s_cmp_gt_i32 s24, 43
	;; [unrolled: 3-line block ×3, first 2 shown]
	s_cbranch_scc0 .LBB55_1734
; %bb.1726:
	s_cmp_eq_u32 s24, 46
	s_mov_b64 s[20:21], 0
	s_cbranch_scc0 .LBB55_1737
; %bb.1727:
	global_load_dword v1, v[20:21], off
	s_mov_b32 s6, 0x2f800000
	s_mov_b32 s7, 0xcf800000
	s_mov_b64 s[18:19], -1
	s_waitcnt vmcnt(0)
	v_lshlrev_b32_e32 v1, 16, v1
	v_trunc_f32_e32 v1, v1
	v_mul_f32_e64 v3, |v1|, s6
	v_floor_f32_e32 v3, v3
	v_fma_f32 v5, v3, s7, |v1|
	v_cvt_u32_f32_e32 v5, v5
	v_cvt_u32_f32_e32 v3, v3
	v_ashrrev_i32_e32 v1, 31, v1
	s_mov_b64 s[6:7], 0
	v_xor_b32_e32 v5, v5, v1
	v_xor_b32_e32 v3, v3, v1
	v_sub_co_u32_e32 v10, vcc, v5, v1
	v_subb_co_u32_e32 v11, vcc, v3, v1, vcc
	s_branch .LBB55_1738
.LBB55_1728:
	s_mov_b64 s[18:19], 0
                                        ; implicit-def: $vgpr10_vgpr11
	s_cbranch_execnz .LBB55_1799
.LBB55_1729:
	s_andn2_b64 vcc, exec, s[18:19]
	s_cbranch_vccnz .LBB55_3036
	s_branch .LBB55_1846
.LBB55_1730:
	s_mov_b64 s[18:19], 0
	s_mov_b64 s[6:7], 0
                                        ; implicit-def: $vgpr10_vgpr11
	s_cbranch_execnz .LBB55_1767
	s_branch .LBB55_1795
.LBB55_1731:
	s_mov_b64 s[20:21], -1
	s_mov_b64 s[18:19], 0
	s_mov_b64 s[6:7], 0
                                        ; implicit-def: $vgpr10_vgpr11
	s_branch .LBB55_1748
.LBB55_1732:
	s_mov_b64 s[20:21], -1
	s_mov_b64 s[18:19], 0
	s_mov_b64 s[6:7], 0
                                        ; implicit-def: $vgpr10_vgpr11
	s_branch .LBB55_1743
.LBB55_1733:
	s_or_b64 s[4:5], s[12:13], exec
	s_trap 2
	s_cbranch_execz .LBB55_1674
	s_branch .LBB55_1675
.LBB55_1734:
	s_mov_b64 s[20:21], -1
	s_mov_b64 s[18:19], 0
	s_mov_b64 s[6:7], 0
                                        ; implicit-def: $vgpr10_vgpr11
	s_branch .LBB55_1738
.LBB55_1735:
	s_andn2_saveexec_b64 s[20:21], s[20:21]
	s_cbranch_execz .LBB55_1478
.LBB55_1736:
	v_add_f32_e32 v0, 0x42800000, v1
	v_and_b32_e32 v0, 0xff, v0
	v_cmp_ne_u32_e32 vcc, 0, v0
	s_andn2_b64 s[18:19], s[18:19], exec
	s_and_b64 s[28:29], vcc, exec
	s_or_b64 s[18:19], s[18:19], s[28:29]
	s_or_b64 exec, exec, s[20:21]
	v_mov_b32_e32 v2, 0
	s_and_saveexec_b64 s[20:21], s[18:19]
	s_cbranch_execnz .LBB55_1479
	s_branch .LBB55_1480
.LBB55_1737:
	s_mov_b64 s[6:7], -1
                                        ; implicit-def: $vgpr10_vgpr11
	s_mov_b64 s[18:19], 0
.LBB55_1738:
	s_and_b64 vcc, exec, s[20:21]
	s_cbranch_vccz .LBB55_1742
; %bb.1739:
	s_cmp_eq_u32 s24, 44
	s_cbranch_scc0 .LBB55_1741
; %bb.1740:
	global_load_ubyte v1, v[20:21], off
	s_mov_b32 s6, 0x2f800000
	s_mov_b32 s7, 0xcf800000
	s_mov_b64 s[18:19], -1
	s_waitcnt vmcnt(0)
	v_lshlrev_b32_e32 v3, 23, v1
	v_trunc_f32_e32 v3, v3
	v_mul_f32_e64 v5, |v3|, s6
	v_floor_f32_e32 v5, v5
	v_fma_f32 v10, v5, s7, |v3|
	v_cvt_u32_f32_e32 v10, v10
	v_cvt_u32_f32_e32 v5, v5
	v_ashrrev_i32_e32 v3, 31, v3
	s_mov_b64 s[6:7], 0
	v_xor_b32_e32 v10, v10, v3
	v_xor_b32_e32 v5, v5, v3
	v_sub_co_u32_e32 v10, vcc, v10, v3
	v_subb_co_u32_e32 v3, vcc, v5, v3, vcc
	v_cmp_ne_u32_e32 vcc, 0, v1
	v_cndmask_b32_e32 v11, 0, v3, vcc
	v_cndmask_b32_e32 v10, 0, v10, vcc
	s_branch .LBB55_1742
.LBB55_1741:
	s_mov_b64 s[6:7], -1
                                        ; implicit-def: $vgpr10_vgpr11
.LBB55_1742:
	s_mov_b64 s[20:21], 0
.LBB55_1743:
	s_and_b64 vcc, exec, s[20:21]
	s_cbranch_vccz .LBB55_1747
; %bb.1744:
	s_cmp_eq_u32 s24, 29
	s_cbranch_scc0 .LBB55_1746
; %bb.1745:
	global_load_dwordx2 v[10:11], v[20:21], off
	s_mov_b64 s[6:7], 0
	s_mov_b64 s[18:19], -1
	s_branch .LBB55_1747
.LBB55_1746:
	s_mov_b64 s[6:7], -1
                                        ; implicit-def: $vgpr10_vgpr11
.LBB55_1747:
	s_mov_b64 s[20:21], 0
.LBB55_1748:
	s_and_b64 vcc, exec, s[20:21]
	s_cbranch_vccz .LBB55_1766
; %bb.1749:
	s_cmp_lt_i32 s24, 27
	s_cbranch_scc1 .LBB55_1752
; %bb.1750:
	s_cmp_gt_i32 s24, 27
	s_cbranch_scc0 .LBB55_1753
; %bb.1751:
	global_load_dword v10, v[20:21], off
	s_waitcnt vmcnt(1)
	v_mov_b32_e32 v11, 0
	s_mov_b64 s[18:19], 0
	s_branch .LBB55_1754
.LBB55_1752:
	s_mov_b64 s[18:19], -1
                                        ; implicit-def: $vgpr10_vgpr11
	s_branch .LBB55_1757
.LBB55_1753:
	s_mov_b64 s[18:19], -1
                                        ; implicit-def: $vgpr10_vgpr11
.LBB55_1754:
	s_andn2_b64 vcc, exec, s[18:19]
	s_cbranch_vccnz .LBB55_1756
; %bb.1755:
	global_load_ushort v1, v[20:21], off
	s_mov_b32 s18, 0
	s_waitcnt vmcnt(1)
	v_mov_b32_e32 v11, s18
	s_waitcnt vmcnt(0)
	v_and_b32_e32 v10, 0xffff, v1
.LBB55_1756:
	s_mov_b64 s[18:19], 0
.LBB55_1757:
	s_andn2_b64 vcc, exec, s[18:19]
	s_cbranch_vccnz .LBB55_1765
; %bb.1758:
	global_load_ubyte v1, v[20:21], off
	s_movk_i32 s18, 0x7f
	s_mov_b64 s[20:21], 0
	s_waitcnt vmcnt(0)
	v_cmp_lt_i16_e32 vcc, s18, v1
	s_and_saveexec_b64 s[18:19], vcc
	s_xor_b64 s[18:19], exec, s[18:19]
; %bb.1759:
	s_movk_i32 s20, 0x80
	v_cmp_ne_u16_e32 vcc, s20, v1
	s_and_b64 s[20:21], vcc, exec
; %bb.1760:
	s_andn2_saveexec_b64 s[18:19], s[18:19]
; %bb.1761:
	v_cmp_ne_u16_e32 vcc, 0, v1
	s_andn2_b64 s[20:21], s[20:21], exec
	s_and_b64 s[26:27], vcc, exec
	s_or_b64 s[20:21], s[20:21], s[26:27]
; %bb.1762:
	s_or_b64 exec, exec, s[18:19]
	v_mov_b32_e32 v10, 0
	v_mov_b32_e32 v11, 0
	s_and_saveexec_b64 s[18:19], s[20:21]
	s_cbranch_execz .LBB55_1764
; %bb.1763:
	v_lshlrev_b32_e32 v3, 24, v1
	v_and_b32_e32 v1, 0xffff, v1
	v_and_b32_e32 v5, 7, v1
	v_ffbh_u32_e32 v11, v5
	v_min_u32_e32 v11, 32, v11
	v_subrev_u32_e32 v13, 28, v11
	v_bfe_u32 v10, v1, 3, 4
	v_lshlrev_b32_e32 v1, v13, v1
	v_sub_u32_e32 v11, 29, v11
	v_and_b32_e32 v1, 7, v1
	v_cmp_eq_u32_e32 vcc, 0, v10
	v_cndmask_b32_e32 v10, v10, v11, vcc
	v_cndmask_b32_e32 v1, v5, v1, vcc
	v_mov_b32_e32 v5, 0x3b800000
	v_lshlrev_b32_e32 v1, 20, v1
	v_and_b32_e32 v3, 0x80000000, v3
	v_lshl_add_u32 v5, v10, 23, v5
	v_or3_b32 v1, v3, v5, v1
	v_trunc_f32_e32 v1, v1
	s_mov_b32 s20, 0x2f800000
	v_mul_f32_e64 v3, |v1|, s20
	v_floor_f32_e32 v3, v3
	s_mov_b32 s20, 0xcf800000
	v_fma_f32 v5, v3, s20, |v1|
	v_cvt_u32_f32_e32 v5, v5
	v_cvt_u32_f32_e32 v3, v3
	v_ashrrev_i32_e32 v1, 31, v1
	v_xor_b32_e32 v5, v5, v1
	v_xor_b32_e32 v3, v3, v1
	v_sub_co_u32_e32 v10, vcc, v5, v1
	v_subb_co_u32_e32 v11, vcc, v3, v1, vcc
.LBB55_1764:
	s_or_b64 exec, exec, s[18:19]
.LBB55_1765:
	s_mov_b64 s[18:19], -1
.LBB55_1766:
	s_branch .LBB55_1795
.LBB55_1767:
	s_cmp_gt_i32 s24, 22
	s_cbranch_scc0 .LBB55_1777
; %bb.1768:
	s_cmp_lt_i32 s24, 24
	s_cbranch_scc1 .LBB55_1778
; %bb.1769:
	s_cmp_gt_i32 s24, 24
	s_cbranch_scc0 .LBB55_1779
; %bb.1770:
	global_load_ubyte v1, v[20:21], off
	s_movk_i32 s16, 0x7f
	s_mov_b64 s[18:19], 0
	s_waitcnt vmcnt(0)
	v_cmp_lt_i16_e32 vcc, s16, v1
	s_and_saveexec_b64 s[16:17], vcc
	s_xor_b64 s[16:17], exec, s[16:17]
; %bb.1771:
	s_movk_i32 s18, 0x80
	v_cmp_ne_u16_e32 vcc, s18, v1
	s_and_b64 s[18:19], vcc, exec
; %bb.1772:
	s_andn2_saveexec_b64 s[16:17], s[16:17]
; %bb.1773:
	v_cmp_ne_u16_e32 vcc, 0, v1
	s_andn2_b64 s[18:19], s[18:19], exec
	s_and_b64 s[20:21], vcc, exec
	s_or_b64 s[18:19], s[18:19], s[20:21]
; %bb.1774:
	s_or_b64 exec, exec, s[16:17]
	v_mov_b32_e32 v10, 0
	v_mov_b32_e32 v11, 0
	s_and_saveexec_b64 s[16:17], s[18:19]
	s_cbranch_execz .LBB55_1776
; %bb.1775:
	v_lshlrev_b32_e32 v3, 24, v1
	v_and_b32_e32 v1, 0xffff, v1
	v_and_b32_e32 v5, 3, v1
	v_ffbh_u32_e32 v11, v5
	v_min_u32_e32 v11, 32, v11
	v_subrev_u32_e32 v13, 29, v11
	v_bfe_u32 v10, v1, 2, 5
	v_lshlrev_b32_e32 v1, v13, v1
	v_sub_u32_e32 v11, 30, v11
	v_and_b32_e32 v1, 3, v1
	v_cmp_eq_u32_e32 vcc, 0, v10
	v_cndmask_b32_e32 v10, v10, v11, vcc
	v_cndmask_b32_e32 v1, v5, v1, vcc
	v_mov_b32_e32 v5, 0x37800000
	v_lshlrev_b32_e32 v1, 21, v1
	v_and_b32_e32 v3, 0x80000000, v3
	v_lshl_add_u32 v5, v10, 23, v5
	v_or3_b32 v1, v3, v5, v1
	v_trunc_f32_e32 v1, v1
	s_mov_b32 s18, 0x2f800000
	v_mul_f32_e64 v3, |v1|, s18
	v_floor_f32_e32 v3, v3
	s_mov_b32 s18, 0xcf800000
	v_fma_f32 v5, v3, s18, |v1|
	v_cvt_u32_f32_e32 v5, v5
	v_cvt_u32_f32_e32 v3, v3
	v_ashrrev_i32_e32 v1, 31, v1
	v_xor_b32_e32 v5, v5, v1
	v_xor_b32_e32 v3, v3, v1
	v_sub_co_u32_e32 v10, vcc, v5, v1
	v_subb_co_u32_e32 v11, vcc, v3, v1, vcc
.LBB55_1776:
	s_or_b64 exec, exec, s[16:17]
	s_mov_b64 s[16:17], 0
	s_branch .LBB55_1780
.LBB55_1777:
	s_mov_b64 s[16:17], -1
                                        ; implicit-def: $vgpr10_vgpr11
	s_branch .LBB55_1786
.LBB55_1778:
	s_mov_b64 s[16:17], -1
                                        ; implicit-def: $vgpr10_vgpr11
	s_branch .LBB55_1783
.LBB55_1779:
	s_mov_b64 s[16:17], -1
                                        ; implicit-def: $vgpr10_vgpr11
.LBB55_1780:
	s_and_b64 vcc, exec, s[16:17]
	s_cbranch_vccz .LBB55_1782
; %bb.1781:
	global_load_ubyte v1, v[20:21], off
	s_mov_b32 s16, 0x7f800000
	s_brev_b32 s17, 1
	s_mov_b32 s18, 0x2f800000
	s_mov_b32 s19, 0xcf800000
	s_waitcnt vmcnt(0)
	v_lshlrev_b32_e32 v1, 24, v1
	v_and_b32_e32 v3, 0x7f000000, v1
	v_ffbh_u32_e32 v5, v3
	v_min_u32_e32 v5, 32, v5
	v_sub_u32_e64 v5, v5, 4 clamp
	v_lshlrev_b32_e32 v11, v5, v3
	v_lshlrev_b32_e32 v5, 23, v5
	v_lshrrev_b32_e32 v11, 4, v11
	v_add_u32_e32 v10, 0x1000000, v3
	v_sub_u32_e32 v5, v11, v5
	v_ashrrev_i32_e32 v10, 8, v10
	v_add_u32_e32 v5, 0x3c000000, v5
	v_and_or_b32 v5, v10, s16, v5
	v_cmp_ne_u32_e32 vcc, 0, v3
	v_cndmask_b32_e32 v3, 0, v5, vcc
	v_and_or_b32 v1, v1, s17, v3
	v_trunc_f32_e32 v1, v1
	v_mul_f32_e64 v3, |v1|, s18
	v_floor_f32_e32 v3, v3
	v_fma_f32 v5, v3, s19, |v1|
	v_cvt_u32_f32_e32 v5, v5
	v_cvt_u32_f32_e32 v3, v3
	v_ashrrev_i32_e32 v1, 31, v1
	v_xor_b32_e32 v5, v5, v1
	v_xor_b32_e32 v3, v3, v1
	v_sub_co_u32_e32 v10, vcc, v5, v1
	v_subb_co_u32_e32 v11, vcc, v3, v1, vcc
.LBB55_1782:
	s_mov_b64 s[16:17], 0
.LBB55_1783:
	s_andn2_b64 vcc, exec, s[16:17]
	s_cbranch_vccnz .LBB55_1785
; %bb.1784:
	global_load_ubyte v1, v[20:21], off
	s_movk_i32 s16, 0x7f00
	s_brev_b32 s17, 16
	s_brev_b32 s18, 1
	s_mov_b32 s19, 0x2f800000
	s_mov_b32 s20, 0xcf800000
	s_waitcnt vmcnt(0)
	v_lshlrev_b16_e32 v3, 8, v1
	v_lshlrev_b32_e32 v1, 25, v1
	v_lshrrev_b32_e32 v5, 4, v1
	v_and_or_b32 v10, v3, s16, 0.5
	v_or_b32_e32 v5, 0x70000000, v5
	v_add_f32_e32 v10, -0.5, v10
	v_mul_f32_e32 v5, 0x7800000, v5
	v_cmp_gt_u32_e32 vcc, s17, v1
	v_bfe_i32 v3, v3, 0, 16
	v_cndmask_b32_e32 v1, v5, v10, vcc
	v_and_or_b32 v1, v3, s18, v1
	v_trunc_f32_e32 v1, v1
	v_mul_f32_e64 v3, |v1|, s19
	v_floor_f32_e32 v3, v3
	v_fma_f32 v5, v3, s20, |v1|
	v_cvt_u32_f32_e32 v5, v5
	v_cvt_u32_f32_e32 v3, v3
	v_ashrrev_i32_e32 v1, 31, v1
	v_xor_b32_e32 v5, v5, v1
	v_xor_b32_e32 v3, v3, v1
	v_sub_co_u32_e32 v10, vcc, v5, v1
	v_subb_co_u32_e32 v11, vcc, v3, v1, vcc
.LBB55_1785:
	s_mov_b64 s[16:17], 0
	s_mov_b64 s[18:19], -1
.LBB55_1786:
	s_andn2_b64 vcc, exec, s[16:17]
	s_mov_b64 s[16:17], 0
	s_cbranch_vccnz .LBB55_1795
; %bb.1787:
	s_cmp_gt_i32 s24, 14
	s_cbranch_scc0 .LBB55_1790
; %bb.1788:
	s_cmp_eq_u32 s24, 15
	s_cbranch_scc0 .LBB55_1791
; %bb.1789:
	global_load_ushort v1, v[20:21], off
	s_mov_b32 s6, 0x2f800000
	s_mov_b32 s7, 0xcf800000
	s_mov_b64 s[18:19], -1
	s_waitcnt vmcnt(0)
	v_lshlrev_b32_e32 v1, 16, v1
	v_trunc_f32_e32 v1, v1
	v_mul_f32_e64 v3, |v1|, s6
	v_floor_f32_e32 v3, v3
	v_fma_f32 v5, v3, s7, |v1|
	v_cvt_u32_f32_e32 v5, v5
	v_cvt_u32_f32_e32 v3, v3
	v_ashrrev_i32_e32 v1, 31, v1
	s_mov_b64 s[6:7], 0
	v_xor_b32_e32 v5, v5, v1
	v_xor_b32_e32 v3, v3, v1
	v_sub_co_u32_e32 v10, vcc, v5, v1
	v_subb_co_u32_e32 v11, vcc, v3, v1, vcc
	s_branch .LBB55_1792
.LBB55_1790:
	s_mov_b64 s[20:21], -1
                                        ; implicit-def: $vgpr10_vgpr11
	s_branch .LBB55_1793
.LBB55_1791:
	s_mov_b64 s[6:7], -1
                                        ; implicit-def: $vgpr10_vgpr11
.LBB55_1792:
	s_mov_b64 s[20:21], 0
.LBB55_1793:
	s_and_b64 vcc, exec, s[20:21]
	s_cbranch_vccz .LBB55_1795
; %bb.1794:
	s_cmp_lg_u32 s24, 11
	s_mov_b64 s[16:17], -1
	s_cselect_b64 s[6:7], -1, 0
.LBB55_1795:
	s_and_b64 vcc, exec, s[6:7]
	s_cbranch_vccnz .LBB55_1858
; %bb.1796:
	s_andn2_b64 vcc, exec, s[16:17]
	s_cbranch_vccnz .LBB55_1798
.LBB55_1797:
	global_load_ubyte v1, v[20:21], off
	s_mov_b32 s6, 0
	s_waitcnt vmcnt(1)
	v_mov_b32_e32 v11, s6
	s_mov_b64 s[18:19], -1
	s_waitcnt vmcnt(0)
	v_cmp_ne_u16_e32 vcc, 0, v1
	v_cndmask_b32_e64 v10, 0, 1, vcc
.LBB55_1798:
	s_branch .LBB55_1729
.LBB55_1799:
	s_and_b32 s16, 0xffff, s22
	s_cmp_lt_i32 s16, 5
	s_cbranch_scc1 .LBB55_1804
; %bb.1800:
	s_cmp_lt_i32 s16, 8
	s_cbranch_scc1 .LBB55_1805
; %bb.1801:
	;; [unrolled: 3-line block ×3, first 2 shown]
	s_cmp_gt_i32 s16, 9
	s_cbranch_scc0 .LBB55_1807
; %bb.1803:
	global_load_dwordx2 v[10:11], v[20:21], off
	s_movk_i32 s6, 0xffe0
	s_waitcnt vmcnt(0)
	v_trunc_f64_e32 v[10:11], v[10:11]
	v_ldexp_f64 v[22:23], v[10:11], s6
	s_mov_b32 s6, 0
	s_mov_b32 s7, 0xc1f00000
	v_floor_f64_e32 v[22:23], v[22:23]
	v_fma_f64 v[24:25], v[22:23], s[6:7], v[10:11]
	v_cvt_i32_f64_e32 v11, v[22:23]
	s_mov_b64 s[6:7], 0
	v_cvt_u32_f64_e32 v10, v[24:25]
	s_branch .LBB55_1808
.LBB55_1804:
                                        ; implicit-def: $vgpr10_vgpr11
	s_branch .LBB55_1826
.LBB55_1805:
	s_mov_b64 s[6:7], -1
                                        ; implicit-def: $vgpr10_vgpr11
	s_branch .LBB55_1814
.LBB55_1806:
	s_mov_b64 s[6:7], -1
                                        ; implicit-def: $vgpr10_vgpr11
	s_branch .LBB55_1811
.LBB55_1807:
	s_mov_b64 s[6:7], -1
                                        ; implicit-def: $vgpr10_vgpr11
.LBB55_1808:
	s_andn2_b64 vcc, exec, s[6:7]
	s_cbranch_vccnz .LBB55_1810
; %bb.1809:
	global_load_dword v1, v[20:21], off
	s_mov_b32 s6, 0x2f800000
	s_mov_b32 s7, 0xcf800000
	s_waitcnt vmcnt(0)
	v_trunc_f32_e32 v1, v1
	v_mul_f32_e64 v3, |v1|, s6
	v_floor_f32_e32 v3, v3
	v_cvt_u32_f32_e32 v5, v3
	v_fma_f32 v3, v3, s7, |v1|
	v_cvt_u32_f32_e32 v3, v3
	v_ashrrev_i32_e32 v1, 31, v1
	v_xor_b32_e32 v5, v5, v1
	v_xor_b32_e32 v3, v3, v1
	v_sub_co_u32_e32 v10, vcc, v3, v1
	v_subb_co_u32_e32 v11, vcc, v5, v1, vcc
.LBB55_1810:
	s_mov_b64 s[6:7], 0
.LBB55_1811:
	s_andn2_b64 vcc, exec, s[6:7]
	s_cbranch_vccnz .LBB55_1813
; %bb.1812:
	global_load_dword v1, v[20:21], off
	s_waitcnt vmcnt(0)
	v_cvt_f32_f16_e32 v1, v1
	v_cvt_i32_f32_e32 v10, v1
	v_ashrrev_i32_e32 v11, 31, v10
.LBB55_1813:
	s_mov_b64 s[6:7], 0
.LBB55_1814:
	s_andn2_b64 vcc, exec, s[6:7]
	s_cbranch_vccnz .LBB55_1825
; %bb.1815:
	s_cmp_lt_i32 s16, 6
	s_cbranch_scc1 .LBB55_1818
; %bb.1816:
	s_cmp_gt_i32 s16, 6
	s_cbranch_scc0 .LBB55_1819
; %bb.1817:
	global_load_dwordx2 v[10:11], v[20:21], off
	s_movk_i32 s6, 0xffe0
	s_waitcnt vmcnt(0)
	v_trunc_f64_e32 v[10:11], v[10:11]
	v_ldexp_f64 v[22:23], v[10:11], s6
	s_mov_b32 s6, 0
	s_mov_b32 s7, 0xc1f00000
	v_floor_f64_e32 v[22:23], v[22:23]
	v_fma_f64 v[24:25], v[22:23], s[6:7], v[10:11]
	v_cvt_i32_f64_e32 v11, v[22:23]
	s_mov_b64 s[6:7], 0
	v_cvt_u32_f64_e32 v10, v[24:25]
	s_branch .LBB55_1820
.LBB55_1818:
	s_mov_b64 s[6:7], -1
                                        ; implicit-def: $vgpr10_vgpr11
	s_branch .LBB55_1823
.LBB55_1819:
	s_mov_b64 s[6:7], -1
                                        ; implicit-def: $vgpr10_vgpr11
.LBB55_1820:
	s_andn2_b64 vcc, exec, s[6:7]
	s_cbranch_vccnz .LBB55_1822
; %bb.1821:
	global_load_dword v1, v[20:21], off
	s_mov_b32 s6, 0x2f800000
	s_mov_b32 s7, 0xcf800000
	s_waitcnt vmcnt(0)
	v_trunc_f32_e32 v1, v1
	v_mul_f32_e64 v3, |v1|, s6
	v_floor_f32_e32 v3, v3
	v_cvt_u32_f32_e32 v5, v3
	v_fma_f32 v3, v3, s7, |v1|
	v_cvt_u32_f32_e32 v3, v3
	v_ashrrev_i32_e32 v1, 31, v1
	v_xor_b32_e32 v5, v5, v1
	v_xor_b32_e32 v3, v3, v1
	v_sub_co_u32_e32 v10, vcc, v3, v1
	v_subb_co_u32_e32 v11, vcc, v5, v1, vcc
.LBB55_1822:
	s_mov_b64 s[6:7], 0
.LBB55_1823:
	s_andn2_b64 vcc, exec, s[6:7]
	s_cbranch_vccnz .LBB55_1825
; %bb.1824:
	global_load_ushort v1, v[20:21], off
	s_waitcnt vmcnt(0)
	v_cvt_f32_f16_e32 v1, v1
	v_cvt_i32_f32_e32 v10, v1
	v_ashrrev_i32_e32 v11, 31, v10
.LBB55_1825:
	s_cbranch_execnz .LBB55_1845
.LBB55_1826:
	s_cmp_lt_i32 s16, 2
	s_cbranch_scc1 .LBB55_1830
; %bb.1827:
	s_cmp_lt_i32 s16, 3
	s_cbranch_scc1 .LBB55_1831
; %bb.1828:
	s_cmp_gt_i32 s16, 3
	s_cbranch_scc0 .LBB55_1832
; %bb.1829:
	global_load_dwordx2 v[10:11], v[20:21], off
	s_mov_b64 s[6:7], 0
	s_branch .LBB55_1833
.LBB55_1830:
	s_mov_b64 s[6:7], -1
                                        ; implicit-def: $vgpr10_vgpr11
	s_branch .LBB55_1839
.LBB55_1831:
	s_mov_b64 s[6:7], -1
                                        ; implicit-def: $vgpr10_vgpr11
	s_branch .LBB55_1836
.LBB55_1832:
	s_mov_b64 s[6:7], -1
                                        ; implicit-def: $vgpr10_vgpr11
.LBB55_1833:
	s_andn2_b64 vcc, exec, s[6:7]
	s_cbranch_vccnz .LBB55_1835
; %bb.1834:
	global_load_dword v10, v[20:21], off
	s_waitcnt vmcnt(0)
	v_ashrrev_i32_e32 v11, 31, v10
.LBB55_1835:
	s_mov_b64 s[6:7], 0
.LBB55_1836:
	s_andn2_b64 vcc, exec, s[6:7]
	s_cbranch_vccnz .LBB55_1838
; %bb.1837:
	global_load_ushort v1, v[20:21], off
	s_waitcnt vmcnt(0)
	v_bfe_i32 v10, v1, 0, 16
	v_ashrrev_i32_e32 v11, 31, v10
.LBB55_1838:
	s_mov_b64 s[6:7], 0
.LBB55_1839:
	s_andn2_b64 vcc, exec, s[6:7]
	s_cbranch_vccnz .LBB55_1845
; %bb.1840:
	s_cmp_gt_i32 s16, 0
	s_cbranch_scc0 .LBB55_1842
; %bb.1841:
	global_load_sbyte v1, v[20:21], off
	s_mov_b64 s[6:7], 0
	s_waitcnt vmcnt(0)
	v_bfe_i32 v10, v1, 0, 16
	v_ashrrev_i32_e32 v11, 31, v10
	s_branch .LBB55_1843
.LBB55_1842:
	s_mov_b64 s[6:7], -1
                                        ; implicit-def: $vgpr10_vgpr11
.LBB55_1843:
	s_andn2_b64 vcc, exec, s[6:7]
	s_cbranch_vccnz .LBB55_1845
; %bb.1844:
	global_load_ubyte v1, v[20:21], off
	s_mov_b32 s6, 0
	s_waitcnt vmcnt(1)
	v_mov_b32_e32 v11, s6
	s_waitcnt vmcnt(0)
	v_and_b32_e32 v10, 0xffff, v1
.LBB55_1845:
.LBB55_1846:
	s_lshr_b32 s6, s23, 8
	v_mov_b32_e32 v1, s11
	s_and_b32 s22, s6, 0xff
	v_add_co_u32_e32 v20, vcc, s10, v12
	s_cmp_lt_i32 s22, 11
	v_addc_co_u32_e32 v21, vcc, 0, v1, vcc
	s_cbranch_scc1 .LBB55_1853
; %bb.1847:
	s_and_b32 s24, 0xffff, s22
	s_cmp_gt_i32 s24, 25
	s_mov_b64 s[16:17], 0
	s_cbranch_scc0 .LBB55_1855
; %bb.1848:
	s_cmp_gt_i32 s24, 28
	s_cbranch_scc0 .LBB55_1856
; %bb.1849:
	s_cmp_gt_i32 s24, 43
	;; [unrolled: 3-line block ×3, first 2 shown]
	s_cbranch_scc0 .LBB55_1859
; %bb.1851:
	s_cmp_eq_u32 s24, 46
	s_mov_b64 s[20:21], 0
	s_cbranch_scc0 .LBB55_1860
; %bb.1852:
	global_load_dword v1, v[20:21], off
	s_mov_b32 s6, 0x2f800000
	s_mov_b32 s7, 0xcf800000
	s_mov_b64 s[18:19], -1
	s_waitcnt vmcnt(0)
	v_lshlrev_b32_e32 v1, 16, v1
	v_trunc_f32_e32 v1, v1
	v_mul_f32_e64 v3, |v1|, s6
	v_floor_f32_e32 v3, v3
	v_fma_f32 v5, v3, s7, |v1|
	v_cvt_u32_f32_e32 v5, v5
	v_cvt_u32_f32_e32 v3, v3
	v_ashrrev_i32_e32 v1, 31, v1
	s_mov_b64 s[6:7], 0
	v_xor_b32_e32 v5, v5, v1
	v_xor_b32_e32 v3, v3, v1
	v_sub_co_u32_e32 v12, vcc, v5, v1
	v_subb_co_u32_e32 v13, vcc, v3, v1, vcc
	s_branch .LBB55_1861
.LBB55_1853:
	s_mov_b64 s[18:19], 0
                                        ; implicit-def: $vgpr12_vgpr13
	s_cbranch_execnz .LBB55_1923
.LBB55_1854:
	s_andn2_b64 vcc, exec, s[18:19]
	s_cbranch_vccnz .LBB55_3036
	s_branch .LBB55_1971
.LBB55_1855:
	s_mov_b64 s[20:21], -1
	s_mov_b64 s[18:19], 0
	s_mov_b64 s[6:7], 0
                                        ; implicit-def: $vgpr12_vgpr13
	s_branch .LBB55_1890
.LBB55_1856:
	s_mov_b64 s[20:21], -1
	s_mov_b64 s[18:19], 0
	s_mov_b64 s[6:7], 0
                                        ; implicit-def: $vgpr12_vgpr13
	s_branch .LBB55_1871
.LBB55_1857:
	s_mov_b64 s[20:21], -1
	s_mov_b64 s[18:19], 0
	s_mov_b64 s[6:7], 0
                                        ; implicit-def: $vgpr12_vgpr13
	s_branch .LBB55_1866
.LBB55_1858:
	s_trap 2
	s_or_b64 s[4:5], s[4:5], exec
	s_cbranch_execz .LBB55_1797
	s_branch .LBB55_1798
.LBB55_1859:
	s_mov_b64 s[20:21], -1
	s_mov_b64 s[18:19], 0
	s_mov_b64 s[6:7], 0
                                        ; implicit-def: $vgpr12_vgpr13
	s_branch .LBB55_1861
.LBB55_1860:
	s_mov_b64 s[6:7], -1
                                        ; implicit-def: $vgpr12_vgpr13
	s_mov_b64 s[18:19], 0
.LBB55_1861:
	s_and_b64 vcc, exec, s[20:21]
	s_cbranch_vccz .LBB55_1865
; %bb.1862:
	s_cmp_eq_u32 s24, 44
	s_cbranch_scc0 .LBB55_1864
; %bb.1863:
	global_load_ubyte v1, v[20:21], off
	s_mov_b32 s6, 0x2f800000
	s_mov_b32 s7, 0xcf800000
	s_mov_b64 s[18:19], -1
	s_waitcnt vmcnt(0)
	v_lshlrev_b32_e32 v3, 23, v1
	v_trunc_f32_e32 v3, v3
	v_mul_f32_e64 v5, |v3|, s6
	v_floor_f32_e32 v5, v5
	v_fma_f32 v12, v5, s7, |v3|
	v_cvt_u32_f32_e32 v12, v12
	v_cvt_u32_f32_e32 v5, v5
	v_ashrrev_i32_e32 v3, 31, v3
	s_mov_b64 s[6:7], 0
	v_xor_b32_e32 v12, v12, v3
	v_xor_b32_e32 v5, v5, v3
	v_sub_co_u32_e32 v12, vcc, v12, v3
	v_subb_co_u32_e32 v3, vcc, v5, v3, vcc
	v_cmp_ne_u32_e32 vcc, 0, v1
	v_cndmask_b32_e32 v13, 0, v3, vcc
	v_cndmask_b32_e32 v12, 0, v12, vcc
	s_branch .LBB55_1865
.LBB55_1864:
	s_mov_b64 s[6:7], -1
                                        ; implicit-def: $vgpr12_vgpr13
.LBB55_1865:
	s_mov_b64 s[20:21], 0
.LBB55_1866:
	s_and_b64 vcc, exec, s[20:21]
	s_cbranch_vccz .LBB55_1870
; %bb.1867:
	s_cmp_eq_u32 s24, 29
	s_cbranch_scc0 .LBB55_1869
; %bb.1868:
	global_load_dwordx2 v[12:13], v[20:21], off
	s_mov_b64 s[6:7], 0
	s_mov_b64 s[18:19], -1
	s_branch .LBB55_1870
.LBB55_1869:
	s_mov_b64 s[6:7], -1
                                        ; implicit-def: $vgpr12_vgpr13
.LBB55_1870:
	s_mov_b64 s[20:21], 0
.LBB55_1871:
	s_and_b64 vcc, exec, s[20:21]
	s_cbranch_vccz .LBB55_1889
; %bb.1872:
	s_cmp_lt_i32 s24, 27
	s_cbranch_scc1 .LBB55_1875
; %bb.1873:
	s_cmp_gt_i32 s24, 27
	s_cbranch_scc0 .LBB55_1876
; %bb.1874:
	global_load_dword v12, v[20:21], off
	s_waitcnt vmcnt(1)
	v_mov_b32_e32 v13, 0
	s_mov_b64 s[18:19], 0
	s_branch .LBB55_1877
.LBB55_1875:
	s_mov_b64 s[18:19], -1
                                        ; implicit-def: $vgpr12_vgpr13
	s_branch .LBB55_1880
.LBB55_1876:
	s_mov_b64 s[18:19], -1
                                        ; implicit-def: $vgpr12_vgpr13
.LBB55_1877:
	s_andn2_b64 vcc, exec, s[18:19]
	s_cbranch_vccnz .LBB55_1879
; %bb.1878:
	global_load_ushort v1, v[20:21], off
	s_mov_b32 s18, 0
	s_waitcnt vmcnt(1)
	v_mov_b32_e32 v13, s18
	s_waitcnt vmcnt(0)
	v_and_b32_e32 v12, 0xffff, v1
.LBB55_1879:
	s_mov_b64 s[18:19], 0
.LBB55_1880:
	s_andn2_b64 vcc, exec, s[18:19]
	s_cbranch_vccnz .LBB55_1888
; %bb.1881:
	global_load_ubyte v1, v[20:21], off
	s_movk_i32 s18, 0x7f
	s_mov_b64 s[20:21], 0
	s_waitcnt vmcnt(0)
	v_cmp_lt_i16_e32 vcc, s18, v1
	s_and_saveexec_b64 s[18:19], vcc
	s_xor_b64 s[18:19], exec, s[18:19]
; %bb.1882:
	s_movk_i32 s20, 0x80
	v_cmp_ne_u16_e32 vcc, s20, v1
	s_and_b64 s[20:21], vcc, exec
; %bb.1883:
	s_andn2_saveexec_b64 s[18:19], s[18:19]
; %bb.1884:
	v_cmp_ne_u16_e32 vcc, 0, v1
	s_andn2_b64 s[20:21], s[20:21], exec
	s_and_b64 s[26:27], vcc, exec
	s_or_b64 s[20:21], s[20:21], s[26:27]
; %bb.1885:
	s_or_b64 exec, exec, s[18:19]
	v_mov_b32_e32 v12, 0
	v_mov_b32_e32 v13, 0
	s_and_saveexec_b64 s[18:19], s[20:21]
	s_cbranch_execz .LBB55_1887
; %bb.1886:
	v_lshlrev_b32_e32 v3, 24, v1
	v_and_b32_e32 v1, 0xffff, v1
	v_and_b32_e32 v5, 7, v1
	v_ffbh_u32_e32 v13, v5
	v_min_u32_e32 v13, 32, v13
	v_subrev_u32_e32 v15, 28, v13
	v_bfe_u32 v12, v1, 3, 4
	v_lshlrev_b32_e32 v1, v15, v1
	v_sub_u32_e32 v13, 29, v13
	v_and_b32_e32 v1, 7, v1
	v_cmp_eq_u32_e32 vcc, 0, v12
	v_cndmask_b32_e32 v12, v12, v13, vcc
	v_cndmask_b32_e32 v1, v5, v1, vcc
	v_mov_b32_e32 v5, 0x3b800000
	v_lshlrev_b32_e32 v1, 20, v1
	v_and_b32_e32 v3, 0x80000000, v3
	v_lshl_add_u32 v5, v12, 23, v5
	v_or3_b32 v1, v3, v5, v1
	v_trunc_f32_e32 v1, v1
	s_mov_b32 s20, 0x2f800000
	v_mul_f32_e64 v3, |v1|, s20
	v_floor_f32_e32 v3, v3
	s_mov_b32 s20, 0xcf800000
	v_fma_f32 v5, v3, s20, |v1|
	v_cvt_u32_f32_e32 v5, v5
	v_cvt_u32_f32_e32 v3, v3
	v_ashrrev_i32_e32 v1, 31, v1
	v_xor_b32_e32 v5, v5, v1
	v_xor_b32_e32 v3, v3, v1
	v_sub_co_u32_e32 v12, vcc, v5, v1
	v_subb_co_u32_e32 v13, vcc, v3, v1, vcc
.LBB55_1887:
	s_or_b64 exec, exec, s[18:19]
.LBB55_1888:
	s_mov_b64 s[18:19], -1
.LBB55_1889:
	s_mov_b64 s[20:21], 0
.LBB55_1890:
	s_and_b64 vcc, exec, s[20:21]
	s_cbranch_vccz .LBB55_1919
; %bb.1891:
	s_cmp_gt_i32 s24, 22
	s_cbranch_scc0 .LBB55_1901
; %bb.1892:
	s_cmp_lt_i32 s24, 24
	s_cbranch_scc1 .LBB55_1902
; %bb.1893:
	s_cmp_gt_i32 s24, 24
	s_cbranch_scc0 .LBB55_1903
; %bb.1894:
	global_load_ubyte v1, v[20:21], off
	s_movk_i32 s16, 0x7f
	s_mov_b64 s[18:19], 0
	s_waitcnt vmcnt(0)
	v_cmp_lt_i16_e32 vcc, s16, v1
	s_and_saveexec_b64 s[16:17], vcc
	s_xor_b64 s[16:17], exec, s[16:17]
; %bb.1895:
	s_movk_i32 s18, 0x80
	v_cmp_ne_u16_e32 vcc, s18, v1
	s_and_b64 s[18:19], vcc, exec
; %bb.1896:
	s_andn2_saveexec_b64 s[16:17], s[16:17]
; %bb.1897:
	v_cmp_ne_u16_e32 vcc, 0, v1
	s_andn2_b64 s[18:19], s[18:19], exec
	s_and_b64 s[20:21], vcc, exec
	s_or_b64 s[18:19], s[18:19], s[20:21]
; %bb.1898:
	s_or_b64 exec, exec, s[16:17]
	v_mov_b32_e32 v12, 0
	v_mov_b32_e32 v13, 0
	s_and_saveexec_b64 s[16:17], s[18:19]
	s_cbranch_execz .LBB55_1900
; %bb.1899:
	v_lshlrev_b32_e32 v3, 24, v1
	v_and_b32_e32 v1, 0xffff, v1
	v_and_b32_e32 v5, 3, v1
	v_ffbh_u32_e32 v13, v5
	v_min_u32_e32 v13, 32, v13
	v_subrev_u32_e32 v15, 29, v13
	v_bfe_u32 v12, v1, 2, 5
	v_lshlrev_b32_e32 v1, v15, v1
	v_sub_u32_e32 v13, 30, v13
	v_and_b32_e32 v1, 3, v1
	v_cmp_eq_u32_e32 vcc, 0, v12
	v_cndmask_b32_e32 v12, v12, v13, vcc
	v_cndmask_b32_e32 v1, v5, v1, vcc
	v_mov_b32_e32 v5, 0x37800000
	v_lshlrev_b32_e32 v1, 21, v1
	v_and_b32_e32 v3, 0x80000000, v3
	v_lshl_add_u32 v5, v12, 23, v5
	v_or3_b32 v1, v3, v5, v1
	v_trunc_f32_e32 v1, v1
	s_mov_b32 s18, 0x2f800000
	v_mul_f32_e64 v3, |v1|, s18
	v_floor_f32_e32 v3, v3
	s_mov_b32 s18, 0xcf800000
	v_fma_f32 v5, v3, s18, |v1|
	v_cvt_u32_f32_e32 v5, v5
	v_cvt_u32_f32_e32 v3, v3
	v_ashrrev_i32_e32 v1, 31, v1
	v_xor_b32_e32 v5, v5, v1
	v_xor_b32_e32 v3, v3, v1
	v_sub_co_u32_e32 v12, vcc, v5, v1
	v_subb_co_u32_e32 v13, vcc, v3, v1, vcc
.LBB55_1900:
	s_or_b64 exec, exec, s[16:17]
	s_mov_b64 s[16:17], 0
	s_branch .LBB55_1904
.LBB55_1901:
	s_mov_b64 s[16:17], -1
                                        ; implicit-def: $vgpr12_vgpr13
	s_branch .LBB55_1910
.LBB55_1902:
	s_mov_b64 s[16:17], -1
                                        ; implicit-def: $vgpr12_vgpr13
	s_branch .LBB55_1907
.LBB55_1903:
	s_mov_b64 s[16:17], -1
                                        ; implicit-def: $vgpr12_vgpr13
.LBB55_1904:
	s_and_b64 vcc, exec, s[16:17]
	s_cbranch_vccz .LBB55_1906
; %bb.1905:
	global_load_ubyte v1, v[20:21], off
	s_mov_b32 s16, 0x7f800000
	s_brev_b32 s17, 1
	s_mov_b32 s18, 0x2f800000
	s_mov_b32 s19, 0xcf800000
	s_waitcnt vmcnt(0)
	v_lshlrev_b32_e32 v1, 24, v1
	v_and_b32_e32 v3, 0x7f000000, v1
	v_ffbh_u32_e32 v5, v3
	v_min_u32_e32 v5, 32, v5
	v_sub_u32_e64 v5, v5, 4 clamp
	v_lshlrev_b32_e32 v13, v5, v3
	v_lshlrev_b32_e32 v5, 23, v5
	v_lshrrev_b32_e32 v13, 4, v13
	v_add_u32_e32 v12, 0x1000000, v3
	v_sub_u32_e32 v5, v13, v5
	v_ashrrev_i32_e32 v12, 8, v12
	v_add_u32_e32 v5, 0x3c000000, v5
	v_and_or_b32 v5, v12, s16, v5
	v_cmp_ne_u32_e32 vcc, 0, v3
	v_cndmask_b32_e32 v3, 0, v5, vcc
	v_and_or_b32 v1, v1, s17, v3
	v_trunc_f32_e32 v1, v1
	v_mul_f32_e64 v3, |v1|, s18
	v_floor_f32_e32 v3, v3
	v_fma_f32 v5, v3, s19, |v1|
	v_cvt_u32_f32_e32 v5, v5
	v_cvt_u32_f32_e32 v3, v3
	v_ashrrev_i32_e32 v1, 31, v1
	v_xor_b32_e32 v5, v5, v1
	v_xor_b32_e32 v3, v3, v1
	v_sub_co_u32_e32 v12, vcc, v5, v1
	v_subb_co_u32_e32 v13, vcc, v3, v1, vcc
.LBB55_1906:
	s_mov_b64 s[16:17], 0
.LBB55_1907:
	s_andn2_b64 vcc, exec, s[16:17]
	s_cbranch_vccnz .LBB55_1909
; %bb.1908:
	global_load_ubyte v1, v[20:21], off
	s_movk_i32 s16, 0x7f00
	s_brev_b32 s17, 16
	s_brev_b32 s18, 1
	s_mov_b32 s19, 0x2f800000
	s_mov_b32 s20, 0xcf800000
	s_waitcnt vmcnt(0)
	v_lshlrev_b16_e32 v3, 8, v1
	v_lshlrev_b32_e32 v1, 25, v1
	v_lshrrev_b32_e32 v5, 4, v1
	v_and_or_b32 v12, v3, s16, 0.5
	v_or_b32_e32 v5, 0x70000000, v5
	v_add_f32_e32 v12, -0.5, v12
	v_mul_f32_e32 v5, 0x7800000, v5
	v_cmp_gt_u32_e32 vcc, s17, v1
	v_bfe_i32 v3, v3, 0, 16
	v_cndmask_b32_e32 v1, v5, v12, vcc
	v_and_or_b32 v1, v3, s18, v1
	v_trunc_f32_e32 v1, v1
	v_mul_f32_e64 v3, |v1|, s19
	v_floor_f32_e32 v3, v3
	v_fma_f32 v5, v3, s20, |v1|
	v_cvt_u32_f32_e32 v5, v5
	v_cvt_u32_f32_e32 v3, v3
	v_ashrrev_i32_e32 v1, 31, v1
	v_xor_b32_e32 v5, v5, v1
	v_xor_b32_e32 v3, v3, v1
	v_sub_co_u32_e32 v12, vcc, v5, v1
	v_subb_co_u32_e32 v13, vcc, v3, v1, vcc
.LBB55_1909:
	s_mov_b64 s[16:17], 0
	s_mov_b64 s[18:19], -1
.LBB55_1910:
	s_andn2_b64 vcc, exec, s[16:17]
	s_mov_b64 s[16:17], 0
	s_cbranch_vccnz .LBB55_1919
; %bb.1911:
	s_cmp_gt_i32 s24, 14
	s_cbranch_scc0 .LBB55_1914
; %bb.1912:
	s_cmp_eq_u32 s24, 15
	s_cbranch_scc0 .LBB55_1915
; %bb.1913:
	global_load_ushort v1, v[20:21], off
	s_mov_b32 s6, 0x2f800000
	s_mov_b32 s7, 0xcf800000
	s_mov_b64 s[18:19], -1
	s_waitcnt vmcnt(0)
	v_lshlrev_b32_e32 v1, 16, v1
	v_trunc_f32_e32 v1, v1
	v_mul_f32_e64 v3, |v1|, s6
	v_floor_f32_e32 v3, v3
	v_fma_f32 v5, v3, s7, |v1|
	v_cvt_u32_f32_e32 v5, v5
	v_cvt_u32_f32_e32 v3, v3
	v_ashrrev_i32_e32 v1, 31, v1
	s_mov_b64 s[6:7], 0
	v_xor_b32_e32 v5, v5, v1
	v_xor_b32_e32 v3, v3, v1
	v_sub_co_u32_e32 v12, vcc, v5, v1
	v_subb_co_u32_e32 v13, vcc, v3, v1, vcc
	s_branch .LBB55_1916
.LBB55_1914:
	s_mov_b64 s[20:21], -1
                                        ; implicit-def: $vgpr12_vgpr13
	s_branch .LBB55_1917
.LBB55_1915:
	s_mov_b64 s[6:7], -1
                                        ; implicit-def: $vgpr12_vgpr13
.LBB55_1916:
	s_mov_b64 s[20:21], 0
.LBB55_1917:
	s_and_b64 vcc, exec, s[20:21]
	s_cbranch_vccz .LBB55_1919
; %bb.1918:
	s_cmp_lg_u32 s24, 11
	s_mov_b64 s[16:17], -1
	s_cselect_b64 s[6:7], -1, 0
.LBB55_1919:
	s_and_b64 vcc, exec, s[6:7]
	s_cbranch_vccnz .LBB55_1982
; %bb.1920:
	s_andn2_b64 vcc, exec, s[16:17]
	s_cbranch_vccnz .LBB55_1922
.LBB55_1921:
	global_load_ubyte v1, v[20:21], off
	s_mov_b32 s6, 0
	s_waitcnt vmcnt(1)
	v_mov_b32_e32 v13, s6
	s_mov_b64 s[18:19], -1
	s_waitcnt vmcnt(0)
	v_cmp_ne_u16_e32 vcc, 0, v1
	v_cndmask_b32_e64 v12, 0, 1, vcc
.LBB55_1922:
	s_branch .LBB55_1854
.LBB55_1923:
	s_and_b32 s16, 0xffff, s22
	s_cmp_lt_i32 s16, 5
	s_cbranch_scc1 .LBB55_1928
; %bb.1924:
	s_cmp_lt_i32 s16, 8
	s_cbranch_scc1 .LBB55_1929
; %bb.1925:
	;; [unrolled: 3-line block ×3, first 2 shown]
	s_cmp_gt_i32 s16, 9
	s_cbranch_scc0 .LBB55_1931
; %bb.1927:
	global_load_dwordx2 v[12:13], v[20:21], off
	s_movk_i32 s6, 0xffe0
	s_waitcnt vmcnt(0)
	v_trunc_f64_e32 v[12:13], v[12:13]
	v_ldexp_f64 v[22:23], v[12:13], s6
	s_mov_b32 s6, 0
	s_mov_b32 s7, 0xc1f00000
	v_floor_f64_e32 v[22:23], v[22:23]
	v_fma_f64 v[24:25], v[22:23], s[6:7], v[12:13]
	v_cvt_i32_f64_e32 v13, v[22:23]
	s_mov_b64 s[6:7], 0
	v_cvt_u32_f64_e32 v12, v[24:25]
	s_branch .LBB55_1932
.LBB55_1928:
	s_mov_b64 s[6:7], -1
                                        ; implicit-def: $vgpr12_vgpr13
	s_branch .LBB55_1950
.LBB55_1929:
	s_mov_b64 s[6:7], -1
                                        ; implicit-def: $vgpr12_vgpr13
	s_branch .LBB55_1938
.LBB55_1930:
	s_mov_b64 s[6:7], -1
                                        ; implicit-def: $vgpr12_vgpr13
	s_branch .LBB55_1935
.LBB55_1931:
	s_mov_b64 s[6:7], -1
                                        ; implicit-def: $vgpr12_vgpr13
.LBB55_1932:
	s_andn2_b64 vcc, exec, s[6:7]
	s_cbranch_vccnz .LBB55_1934
; %bb.1933:
	global_load_dword v1, v[20:21], off
	s_mov_b32 s6, 0x2f800000
	s_mov_b32 s7, 0xcf800000
	s_waitcnt vmcnt(0)
	v_trunc_f32_e32 v1, v1
	v_mul_f32_e64 v3, |v1|, s6
	v_floor_f32_e32 v3, v3
	v_cvt_u32_f32_e32 v5, v3
	v_fma_f32 v3, v3, s7, |v1|
	v_cvt_u32_f32_e32 v3, v3
	v_ashrrev_i32_e32 v1, 31, v1
	v_xor_b32_e32 v5, v5, v1
	v_xor_b32_e32 v3, v3, v1
	v_sub_co_u32_e32 v12, vcc, v3, v1
	v_subb_co_u32_e32 v13, vcc, v5, v1, vcc
.LBB55_1934:
	s_mov_b64 s[6:7], 0
.LBB55_1935:
	s_andn2_b64 vcc, exec, s[6:7]
	s_cbranch_vccnz .LBB55_1937
; %bb.1936:
	global_load_dword v1, v[20:21], off
	s_waitcnt vmcnt(0)
	v_cvt_f32_f16_e32 v1, v1
	v_cvt_i32_f32_e32 v12, v1
	v_ashrrev_i32_e32 v13, 31, v12
.LBB55_1937:
	s_mov_b64 s[6:7], 0
.LBB55_1938:
	s_andn2_b64 vcc, exec, s[6:7]
	s_cbranch_vccnz .LBB55_1949
; %bb.1939:
	s_cmp_lt_i32 s16, 6
	s_cbranch_scc1 .LBB55_1942
; %bb.1940:
	s_cmp_gt_i32 s16, 6
	s_cbranch_scc0 .LBB55_1943
; %bb.1941:
	global_load_dwordx2 v[12:13], v[20:21], off
	s_movk_i32 s6, 0xffe0
	s_waitcnt vmcnt(0)
	v_trunc_f64_e32 v[12:13], v[12:13]
	v_ldexp_f64 v[22:23], v[12:13], s6
	s_mov_b32 s6, 0
	s_mov_b32 s7, 0xc1f00000
	v_floor_f64_e32 v[22:23], v[22:23]
	v_fma_f64 v[24:25], v[22:23], s[6:7], v[12:13]
	v_cvt_i32_f64_e32 v13, v[22:23]
	s_mov_b64 s[6:7], 0
	v_cvt_u32_f64_e32 v12, v[24:25]
	s_branch .LBB55_1944
.LBB55_1942:
	s_mov_b64 s[6:7], -1
                                        ; implicit-def: $vgpr12_vgpr13
	s_branch .LBB55_1947
.LBB55_1943:
	s_mov_b64 s[6:7], -1
                                        ; implicit-def: $vgpr12_vgpr13
.LBB55_1944:
	s_andn2_b64 vcc, exec, s[6:7]
	s_cbranch_vccnz .LBB55_1946
; %bb.1945:
	global_load_dword v1, v[20:21], off
	s_mov_b32 s6, 0x2f800000
	s_mov_b32 s7, 0xcf800000
	s_waitcnt vmcnt(0)
	v_trunc_f32_e32 v1, v1
	v_mul_f32_e64 v3, |v1|, s6
	v_floor_f32_e32 v3, v3
	v_cvt_u32_f32_e32 v5, v3
	v_fma_f32 v3, v3, s7, |v1|
	v_cvt_u32_f32_e32 v3, v3
	v_ashrrev_i32_e32 v1, 31, v1
	v_xor_b32_e32 v5, v5, v1
	v_xor_b32_e32 v3, v3, v1
	v_sub_co_u32_e32 v12, vcc, v3, v1
	v_subb_co_u32_e32 v13, vcc, v5, v1, vcc
.LBB55_1946:
	s_mov_b64 s[6:7], 0
.LBB55_1947:
	s_andn2_b64 vcc, exec, s[6:7]
	s_cbranch_vccnz .LBB55_1949
; %bb.1948:
	global_load_ushort v1, v[20:21], off
	s_waitcnt vmcnt(0)
	v_cvt_f32_f16_e32 v1, v1
	v_cvt_i32_f32_e32 v12, v1
	v_ashrrev_i32_e32 v13, 31, v12
.LBB55_1949:
	s_mov_b64 s[6:7], 0
.LBB55_1950:
	s_andn2_b64 vcc, exec, s[6:7]
	s_cbranch_vccnz .LBB55_1970
; %bb.1951:
	s_cmp_lt_i32 s16, 2
	s_cbranch_scc1 .LBB55_1955
; %bb.1952:
	s_cmp_lt_i32 s16, 3
	s_cbranch_scc1 .LBB55_1956
; %bb.1953:
	s_cmp_gt_i32 s16, 3
	s_cbranch_scc0 .LBB55_1957
; %bb.1954:
	global_load_dwordx2 v[12:13], v[20:21], off
	s_mov_b64 s[6:7], 0
	s_branch .LBB55_1958
.LBB55_1955:
	s_mov_b64 s[6:7], -1
                                        ; implicit-def: $vgpr12_vgpr13
	s_branch .LBB55_1964
.LBB55_1956:
	s_mov_b64 s[6:7], -1
                                        ; implicit-def: $vgpr12_vgpr13
	s_branch .LBB55_1961
.LBB55_1957:
	s_mov_b64 s[6:7], -1
                                        ; implicit-def: $vgpr12_vgpr13
.LBB55_1958:
	s_andn2_b64 vcc, exec, s[6:7]
	s_cbranch_vccnz .LBB55_1960
; %bb.1959:
	global_load_dword v12, v[20:21], off
	s_waitcnt vmcnt(0)
	v_ashrrev_i32_e32 v13, 31, v12
.LBB55_1960:
	s_mov_b64 s[6:7], 0
.LBB55_1961:
	s_andn2_b64 vcc, exec, s[6:7]
	s_cbranch_vccnz .LBB55_1963
; %bb.1962:
	global_load_ushort v1, v[20:21], off
	s_waitcnt vmcnt(0)
	v_bfe_i32 v12, v1, 0, 16
	v_ashrrev_i32_e32 v13, 31, v12
.LBB55_1963:
	s_mov_b64 s[6:7], 0
.LBB55_1964:
	s_andn2_b64 vcc, exec, s[6:7]
	s_cbranch_vccnz .LBB55_1970
; %bb.1965:
	s_cmp_gt_i32 s16, 0
	s_cbranch_scc0 .LBB55_1967
; %bb.1966:
	global_load_sbyte v1, v[20:21], off
	s_mov_b64 s[6:7], 0
	s_waitcnt vmcnt(0)
	v_bfe_i32 v12, v1, 0, 16
	v_ashrrev_i32_e32 v13, 31, v12
	s_branch .LBB55_1968
.LBB55_1967:
	s_mov_b64 s[6:7], -1
                                        ; implicit-def: $vgpr12_vgpr13
.LBB55_1968:
	s_andn2_b64 vcc, exec, s[6:7]
	s_cbranch_vccnz .LBB55_1970
; %bb.1969:
	global_load_ubyte v1, v[20:21], off
	s_mov_b32 s6, 0
	s_waitcnt vmcnt(1)
	v_mov_b32_e32 v13, s6
	s_waitcnt vmcnt(0)
	v_and_b32_e32 v12, 0xffff, v1
.LBB55_1970:
.LBB55_1971:
	s_lshr_b32 s6, s23, 16
	v_mov_b32_e32 v1, s1
	s_and_b32 s23, s6, 0xff
	v_add_co_u32_e32 v20, vcc, s0, v16
	s_cmp_lt_i32 s23, 11
	v_addc_co_u32_e32 v21, vcc, 0, v1, vcc
	s_cbranch_scc1 .LBB55_1978
; %bb.1972:
	s_and_b32 s24, 0xffff, s23
	s_cmp_gt_i32 s24, 25
	s_mov_b64 s[16:17], 0
	s_cbranch_scc0 .LBB55_1979
; %bb.1973:
	s_cmp_gt_i32 s24, 28
	s_cbranch_scc0 .LBB55_1980
; %bb.1974:
	s_cmp_gt_i32 s24, 43
	;; [unrolled: 3-line block ×3, first 2 shown]
	s_cbranch_scc0 .LBB55_1983
; %bb.1976:
	s_cmp_eq_u32 s24, 46
	s_mov_b64 s[20:21], 0
	s_cbranch_scc0 .LBB55_1984
; %bb.1977:
	global_load_dword v1, v[20:21], off
	s_mov_b32 s6, 0x2f800000
	s_mov_b32 s7, 0xcf800000
	s_mov_b64 s[18:19], -1
	s_waitcnt vmcnt(0)
	v_lshlrev_b32_e32 v1, 16, v1
	v_trunc_f32_e32 v1, v1
	v_mul_f32_e64 v3, |v1|, s6
	v_floor_f32_e32 v3, v3
	v_fma_f32 v5, v3, s7, |v1|
	v_cvt_u32_f32_e32 v5, v5
	v_cvt_u32_f32_e32 v3, v3
	v_ashrrev_i32_e32 v1, 31, v1
	s_mov_b64 s[6:7], 0
	v_xor_b32_e32 v5, v5, v1
	v_xor_b32_e32 v3, v3, v1
	v_sub_co_u32_e32 v15, vcc, v5, v1
	v_subb_co_u32_e32 v16, vcc, v3, v1, vcc
	s_branch .LBB55_1985
.LBB55_1978:
	s_mov_b64 s[6:7], -1
	s_mov_b64 s[18:19], 0
                                        ; implicit-def: $vgpr15_vgpr16
	s_branch .LBB55_2047
.LBB55_1979:
	s_mov_b64 s[20:21], -1
	s_mov_b64 s[18:19], 0
	s_mov_b64 s[6:7], 0
                                        ; implicit-def: $vgpr15_vgpr16
	s_branch .LBB55_2014
.LBB55_1980:
	s_mov_b64 s[20:21], -1
	s_mov_b64 s[18:19], 0
	s_mov_b64 s[6:7], 0
                                        ; implicit-def: $vgpr15_vgpr16
	s_branch .LBB55_1995
.LBB55_1981:
	s_mov_b64 s[20:21], -1
	s_mov_b64 s[18:19], 0
	s_mov_b64 s[6:7], 0
                                        ; implicit-def: $vgpr15_vgpr16
	s_branch .LBB55_1990
.LBB55_1982:
	s_trap 2
	s_or_b64 s[4:5], s[4:5], exec
	s_cbranch_execz .LBB55_1921
	s_branch .LBB55_1922
.LBB55_1983:
	s_mov_b64 s[20:21], -1
	s_mov_b64 s[18:19], 0
	s_mov_b64 s[6:7], 0
                                        ; implicit-def: $vgpr15_vgpr16
	s_branch .LBB55_1985
.LBB55_1984:
	s_mov_b64 s[6:7], -1
                                        ; implicit-def: $vgpr15_vgpr16
	s_mov_b64 s[18:19], 0
.LBB55_1985:
	s_and_b64 vcc, exec, s[20:21]
	s_cbranch_vccz .LBB55_1989
; %bb.1986:
	s_cmp_eq_u32 s24, 44
	s_cbranch_scc0 .LBB55_1988
; %bb.1987:
	global_load_ubyte v1, v[20:21], off
	s_mov_b32 s6, 0x2f800000
	s_mov_b32 s7, 0xcf800000
	s_mov_b64 s[18:19], -1
	s_waitcnt vmcnt(0)
	v_lshlrev_b32_e32 v3, 23, v1
	v_trunc_f32_e32 v3, v3
	v_mul_f32_e64 v5, |v3|, s6
	v_floor_f32_e32 v5, v5
	v_fma_f32 v15, v5, s7, |v3|
	v_cvt_u32_f32_e32 v15, v15
	v_cvt_u32_f32_e32 v5, v5
	v_ashrrev_i32_e32 v3, 31, v3
	s_mov_b64 s[6:7], 0
	v_xor_b32_e32 v15, v15, v3
	v_xor_b32_e32 v5, v5, v3
	v_sub_co_u32_e32 v15, vcc, v15, v3
	v_subb_co_u32_e32 v3, vcc, v5, v3, vcc
	v_cmp_ne_u32_e32 vcc, 0, v1
	v_cndmask_b32_e32 v16, 0, v3, vcc
	v_cndmask_b32_e32 v15, 0, v15, vcc
	s_branch .LBB55_1989
.LBB55_1988:
	s_mov_b64 s[6:7], -1
                                        ; implicit-def: $vgpr15_vgpr16
.LBB55_1989:
	s_mov_b64 s[20:21], 0
.LBB55_1990:
	s_and_b64 vcc, exec, s[20:21]
	s_cbranch_vccz .LBB55_1994
; %bb.1991:
	s_cmp_eq_u32 s24, 29
	s_cbranch_scc0 .LBB55_1993
; %bb.1992:
	global_load_dwordx2 v[15:16], v[20:21], off
	s_mov_b64 s[6:7], 0
	s_mov_b64 s[18:19], -1
	s_branch .LBB55_1994
.LBB55_1993:
	s_mov_b64 s[6:7], -1
                                        ; implicit-def: $vgpr15_vgpr16
.LBB55_1994:
	s_mov_b64 s[20:21], 0
.LBB55_1995:
	s_and_b64 vcc, exec, s[20:21]
	s_cbranch_vccz .LBB55_2013
; %bb.1996:
	s_cmp_lt_i32 s24, 27
	s_cbranch_scc1 .LBB55_1999
; %bb.1997:
	s_cmp_gt_i32 s24, 27
	s_cbranch_scc0 .LBB55_2000
; %bb.1998:
	global_load_dword v15, v[20:21], off
	s_waitcnt vmcnt(1)
	v_mov_b32_e32 v16, 0
	s_mov_b64 s[18:19], 0
	s_branch .LBB55_2001
.LBB55_1999:
	s_mov_b64 s[18:19], -1
                                        ; implicit-def: $vgpr15_vgpr16
	s_branch .LBB55_2004
.LBB55_2000:
	s_mov_b64 s[18:19], -1
                                        ; implicit-def: $vgpr15_vgpr16
.LBB55_2001:
	s_andn2_b64 vcc, exec, s[18:19]
	s_cbranch_vccnz .LBB55_2003
; %bb.2002:
	global_load_ushort v1, v[20:21], off
	s_mov_b32 s18, 0
	s_waitcnt vmcnt(1)
	v_mov_b32_e32 v16, s18
	s_waitcnt vmcnt(0)
	v_and_b32_e32 v15, 0xffff, v1
.LBB55_2003:
	s_mov_b64 s[18:19], 0
.LBB55_2004:
	s_andn2_b64 vcc, exec, s[18:19]
	s_cbranch_vccnz .LBB55_2012
; %bb.2005:
	global_load_ubyte v1, v[20:21], off
	s_movk_i32 s18, 0x7f
	s_mov_b64 s[20:21], 0
	s_waitcnt vmcnt(0)
	v_cmp_lt_i16_e32 vcc, s18, v1
	s_and_saveexec_b64 s[18:19], vcc
	s_xor_b64 s[18:19], exec, s[18:19]
; %bb.2006:
	s_movk_i32 s20, 0x80
	v_cmp_ne_u16_e32 vcc, s20, v1
	s_and_b64 s[20:21], vcc, exec
; %bb.2007:
	s_andn2_saveexec_b64 s[18:19], s[18:19]
; %bb.2008:
	v_cmp_ne_u16_e32 vcc, 0, v1
	s_andn2_b64 s[20:21], s[20:21], exec
	s_and_b64 s[26:27], vcc, exec
	s_or_b64 s[20:21], s[20:21], s[26:27]
; %bb.2009:
	s_or_b64 exec, exec, s[18:19]
	v_mov_b32_e32 v15, 0
	v_mov_b32_e32 v16, 0
	s_and_saveexec_b64 s[18:19], s[20:21]
	s_cbranch_execz .LBB55_2011
; %bb.2010:
	v_lshlrev_b32_e32 v3, 24, v1
	v_and_b32_e32 v1, 0xffff, v1
	v_and_b32_e32 v5, 7, v1
	v_ffbh_u32_e32 v16, v5
	v_min_u32_e32 v16, 32, v16
	v_subrev_u32_e32 v18, 28, v16
	v_bfe_u32 v15, v1, 3, 4
	v_lshlrev_b32_e32 v1, v18, v1
	v_sub_u32_e32 v16, 29, v16
	v_and_b32_e32 v1, 7, v1
	v_cmp_eq_u32_e32 vcc, 0, v15
	v_cndmask_b32_e32 v15, v15, v16, vcc
	v_cndmask_b32_e32 v1, v5, v1, vcc
	v_mov_b32_e32 v5, 0x3b800000
	v_lshlrev_b32_e32 v1, 20, v1
	v_and_b32_e32 v3, 0x80000000, v3
	v_lshl_add_u32 v5, v15, 23, v5
	v_or3_b32 v1, v3, v5, v1
	v_trunc_f32_e32 v1, v1
	s_mov_b32 s20, 0x2f800000
	v_mul_f32_e64 v3, |v1|, s20
	v_floor_f32_e32 v3, v3
	s_mov_b32 s20, 0xcf800000
	v_fma_f32 v5, v3, s20, |v1|
	v_cvt_u32_f32_e32 v5, v5
	v_cvt_u32_f32_e32 v3, v3
	v_ashrrev_i32_e32 v1, 31, v1
	v_xor_b32_e32 v5, v5, v1
	v_xor_b32_e32 v3, v3, v1
	v_sub_co_u32_e32 v15, vcc, v5, v1
	v_subb_co_u32_e32 v16, vcc, v3, v1, vcc
.LBB55_2011:
	s_or_b64 exec, exec, s[18:19]
.LBB55_2012:
	s_mov_b64 s[18:19], -1
.LBB55_2013:
	s_mov_b64 s[20:21], 0
.LBB55_2014:
	s_and_b64 vcc, exec, s[20:21]
	s_cbranch_vccz .LBB55_2043
; %bb.2015:
	s_cmp_gt_i32 s24, 22
	s_cbranch_scc0 .LBB55_2025
; %bb.2016:
	s_cmp_lt_i32 s24, 24
	s_cbranch_scc1 .LBB55_2026
; %bb.2017:
	s_cmp_gt_i32 s24, 24
	s_cbranch_scc0 .LBB55_2027
; %bb.2018:
	global_load_ubyte v1, v[20:21], off
	s_movk_i32 s16, 0x7f
	s_mov_b64 s[18:19], 0
	s_waitcnt vmcnt(0)
	v_cmp_lt_i16_e32 vcc, s16, v1
	s_and_saveexec_b64 s[16:17], vcc
	s_xor_b64 s[16:17], exec, s[16:17]
; %bb.2019:
	s_movk_i32 s18, 0x80
	v_cmp_ne_u16_e32 vcc, s18, v1
	s_and_b64 s[18:19], vcc, exec
; %bb.2020:
	s_andn2_saveexec_b64 s[16:17], s[16:17]
; %bb.2021:
	v_cmp_ne_u16_e32 vcc, 0, v1
	s_andn2_b64 s[18:19], s[18:19], exec
	s_and_b64 s[20:21], vcc, exec
	s_or_b64 s[18:19], s[18:19], s[20:21]
; %bb.2022:
	s_or_b64 exec, exec, s[16:17]
	v_mov_b32_e32 v15, 0
	v_mov_b32_e32 v16, 0
	s_and_saveexec_b64 s[16:17], s[18:19]
	s_cbranch_execz .LBB55_2024
; %bb.2023:
	v_lshlrev_b32_e32 v3, 24, v1
	v_and_b32_e32 v1, 0xffff, v1
	v_and_b32_e32 v5, 3, v1
	v_ffbh_u32_e32 v16, v5
	v_min_u32_e32 v16, 32, v16
	v_subrev_u32_e32 v18, 29, v16
	v_bfe_u32 v15, v1, 2, 5
	v_lshlrev_b32_e32 v1, v18, v1
	v_sub_u32_e32 v16, 30, v16
	v_and_b32_e32 v1, 3, v1
	v_cmp_eq_u32_e32 vcc, 0, v15
	v_cndmask_b32_e32 v15, v15, v16, vcc
	v_cndmask_b32_e32 v1, v5, v1, vcc
	v_mov_b32_e32 v5, 0x37800000
	v_lshlrev_b32_e32 v1, 21, v1
	v_and_b32_e32 v3, 0x80000000, v3
	v_lshl_add_u32 v5, v15, 23, v5
	v_or3_b32 v1, v3, v5, v1
	v_trunc_f32_e32 v1, v1
	s_mov_b32 s18, 0x2f800000
	v_mul_f32_e64 v3, |v1|, s18
	v_floor_f32_e32 v3, v3
	s_mov_b32 s18, 0xcf800000
	v_fma_f32 v5, v3, s18, |v1|
	v_cvt_u32_f32_e32 v5, v5
	v_cvt_u32_f32_e32 v3, v3
	v_ashrrev_i32_e32 v1, 31, v1
	v_xor_b32_e32 v5, v5, v1
	v_xor_b32_e32 v3, v3, v1
	v_sub_co_u32_e32 v15, vcc, v5, v1
	v_subb_co_u32_e32 v16, vcc, v3, v1, vcc
.LBB55_2024:
	s_or_b64 exec, exec, s[16:17]
	s_mov_b64 s[16:17], 0
	s_branch .LBB55_2028
.LBB55_2025:
	s_mov_b64 s[16:17], -1
                                        ; implicit-def: $vgpr15_vgpr16
	s_branch .LBB55_2034
.LBB55_2026:
	s_mov_b64 s[16:17], -1
                                        ; implicit-def: $vgpr15_vgpr16
	s_branch .LBB55_2031
.LBB55_2027:
	s_mov_b64 s[16:17], -1
                                        ; implicit-def: $vgpr15_vgpr16
.LBB55_2028:
	s_and_b64 vcc, exec, s[16:17]
	s_cbranch_vccz .LBB55_2030
; %bb.2029:
	global_load_ubyte v1, v[20:21], off
	s_mov_b32 s16, 0x7f800000
	s_brev_b32 s17, 1
	s_mov_b32 s18, 0x2f800000
	s_mov_b32 s19, 0xcf800000
	s_waitcnt vmcnt(0)
	v_lshlrev_b32_e32 v1, 24, v1
	v_and_b32_e32 v3, 0x7f000000, v1
	v_ffbh_u32_e32 v5, v3
	v_min_u32_e32 v5, 32, v5
	v_sub_u32_e64 v5, v5, 4 clamp
	v_lshlrev_b32_e32 v16, v5, v3
	v_lshlrev_b32_e32 v5, 23, v5
	v_lshrrev_b32_e32 v16, 4, v16
	v_add_u32_e32 v15, 0x1000000, v3
	v_sub_u32_e32 v5, v16, v5
	v_ashrrev_i32_e32 v15, 8, v15
	v_add_u32_e32 v5, 0x3c000000, v5
	v_and_or_b32 v5, v15, s16, v5
	v_cmp_ne_u32_e32 vcc, 0, v3
	v_cndmask_b32_e32 v3, 0, v5, vcc
	v_and_or_b32 v1, v1, s17, v3
	v_trunc_f32_e32 v1, v1
	v_mul_f32_e64 v3, |v1|, s18
	v_floor_f32_e32 v3, v3
	v_fma_f32 v5, v3, s19, |v1|
	v_cvt_u32_f32_e32 v5, v5
	v_cvt_u32_f32_e32 v3, v3
	v_ashrrev_i32_e32 v1, 31, v1
	v_xor_b32_e32 v5, v5, v1
	v_xor_b32_e32 v3, v3, v1
	v_sub_co_u32_e32 v15, vcc, v5, v1
	v_subb_co_u32_e32 v16, vcc, v3, v1, vcc
.LBB55_2030:
	s_mov_b64 s[16:17], 0
.LBB55_2031:
	s_andn2_b64 vcc, exec, s[16:17]
	s_cbranch_vccnz .LBB55_2033
; %bb.2032:
	global_load_ubyte v1, v[20:21], off
	s_movk_i32 s16, 0x7f00
	s_brev_b32 s17, 16
	s_brev_b32 s18, 1
	s_mov_b32 s19, 0x2f800000
	s_mov_b32 s20, 0xcf800000
	s_waitcnt vmcnt(0)
	v_lshlrev_b16_e32 v3, 8, v1
	v_lshlrev_b32_e32 v1, 25, v1
	v_lshrrev_b32_e32 v5, 4, v1
	v_and_or_b32 v15, v3, s16, 0.5
	v_or_b32_e32 v5, 0x70000000, v5
	v_add_f32_e32 v15, -0.5, v15
	v_mul_f32_e32 v5, 0x7800000, v5
	v_cmp_gt_u32_e32 vcc, s17, v1
	v_bfe_i32 v3, v3, 0, 16
	v_cndmask_b32_e32 v1, v5, v15, vcc
	v_and_or_b32 v1, v3, s18, v1
	v_trunc_f32_e32 v1, v1
	v_mul_f32_e64 v3, |v1|, s19
	v_floor_f32_e32 v3, v3
	v_fma_f32 v5, v3, s20, |v1|
	v_cvt_u32_f32_e32 v5, v5
	v_cvt_u32_f32_e32 v3, v3
	v_ashrrev_i32_e32 v1, 31, v1
	v_xor_b32_e32 v5, v5, v1
	v_xor_b32_e32 v3, v3, v1
	v_sub_co_u32_e32 v15, vcc, v5, v1
	v_subb_co_u32_e32 v16, vcc, v3, v1, vcc
.LBB55_2033:
	s_mov_b64 s[16:17], 0
	s_mov_b64 s[18:19], -1
.LBB55_2034:
	s_andn2_b64 vcc, exec, s[16:17]
	s_mov_b64 s[16:17], 0
	s_cbranch_vccnz .LBB55_2043
; %bb.2035:
	s_cmp_gt_i32 s24, 14
	s_cbranch_scc0 .LBB55_2038
; %bb.2036:
	s_cmp_eq_u32 s24, 15
	s_cbranch_scc0 .LBB55_2039
; %bb.2037:
	global_load_ushort v1, v[20:21], off
	s_mov_b32 s6, 0x2f800000
	s_mov_b32 s7, 0xcf800000
	s_mov_b64 s[18:19], -1
	s_waitcnt vmcnt(0)
	v_lshlrev_b32_e32 v1, 16, v1
	v_trunc_f32_e32 v1, v1
	v_mul_f32_e64 v3, |v1|, s6
	v_floor_f32_e32 v3, v3
	v_fma_f32 v5, v3, s7, |v1|
	v_cvt_u32_f32_e32 v5, v5
	v_cvt_u32_f32_e32 v3, v3
	v_ashrrev_i32_e32 v1, 31, v1
	s_mov_b64 s[6:7], 0
	v_xor_b32_e32 v5, v5, v1
	v_xor_b32_e32 v3, v3, v1
	v_sub_co_u32_e32 v15, vcc, v5, v1
	v_subb_co_u32_e32 v16, vcc, v3, v1, vcc
	s_branch .LBB55_2040
.LBB55_2038:
	s_mov_b64 s[20:21], -1
                                        ; implicit-def: $vgpr15_vgpr16
	s_branch .LBB55_2041
.LBB55_2039:
	s_mov_b64 s[6:7], -1
                                        ; implicit-def: $vgpr15_vgpr16
.LBB55_2040:
	s_mov_b64 s[20:21], 0
.LBB55_2041:
	s_and_b64 vcc, exec, s[20:21]
	s_cbranch_vccz .LBB55_2043
; %bb.2042:
	s_cmp_lg_u32 s24, 11
	s_mov_b64 s[16:17], -1
	s_cselect_b64 s[6:7], -1, 0
.LBB55_2043:
	s_and_b64 vcc, exec, s[6:7]
	s_cbranch_vccnz .LBB55_2108
; %bb.2044:
	s_andn2_b64 vcc, exec, s[16:17]
	s_cbranch_vccnz .LBB55_2046
.LBB55_2045:
	global_load_ubyte v1, v[20:21], off
	s_mov_b32 s6, 0
	s_waitcnt vmcnt(1)
	v_mov_b32_e32 v16, s6
	s_mov_b64 s[18:19], -1
	s_waitcnt vmcnt(0)
	v_cmp_ne_u16_e32 vcc, 0, v1
	v_cndmask_b32_e64 v15, 0, 1, vcc
.LBB55_2046:
	s_mov_b64 s[6:7], 0
.LBB55_2047:
	s_and_b64 vcc, exec, s[6:7]
	s_cbranch_vccz .LBB55_2096
; %bb.2048:
	s_and_b32 s16, 0xffff, s23
	s_cmp_lt_i32 s16, 5
	s_cbranch_scc1 .LBB55_2053
; %bb.2049:
	s_cmp_lt_i32 s16, 8
	s_cbranch_scc1 .LBB55_2054
; %bb.2050:
	;; [unrolled: 3-line block ×3, first 2 shown]
	s_cmp_gt_i32 s16, 9
	s_cbranch_scc0 .LBB55_2056
; %bb.2052:
	global_load_dwordx2 v[15:16], v[20:21], off
	s_movk_i32 s6, 0xffe0
	s_waitcnt vmcnt(0)
	v_trunc_f64_e32 v[15:16], v[15:16]
	v_ldexp_f64 v[22:23], v[15:16], s6
	s_mov_b32 s6, 0
	s_mov_b32 s7, 0xc1f00000
	v_floor_f64_e32 v[22:23], v[22:23]
	v_fma_f64 v[24:25], v[22:23], s[6:7], v[15:16]
	v_cvt_i32_f64_e32 v16, v[22:23]
	s_mov_b64 s[6:7], 0
	v_cvt_u32_f64_e32 v15, v[24:25]
	s_branch .LBB55_2057
.LBB55_2053:
	s_mov_b64 s[6:7], -1
                                        ; implicit-def: $vgpr15_vgpr16
	s_branch .LBB55_2075
.LBB55_2054:
	s_mov_b64 s[6:7], -1
                                        ; implicit-def: $vgpr15_vgpr16
	s_branch .LBB55_2063
.LBB55_2055:
	s_mov_b64 s[6:7], -1
                                        ; implicit-def: $vgpr15_vgpr16
	s_branch .LBB55_2060
.LBB55_2056:
	s_mov_b64 s[6:7], -1
                                        ; implicit-def: $vgpr15_vgpr16
.LBB55_2057:
	s_andn2_b64 vcc, exec, s[6:7]
	s_cbranch_vccnz .LBB55_2059
; %bb.2058:
	global_load_dword v1, v[20:21], off
	s_mov_b32 s6, 0x2f800000
	s_mov_b32 s7, 0xcf800000
	s_waitcnt vmcnt(0)
	v_trunc_f32_e32 v1, v1
	v_mul_f32_e64 v3, |v1|, s6
	v_floor_f32_e32 v3, v3
	v_cvt_u32_f32_e32 v5, v3
	v_fma_f32 v3, v3, s7, |v1|
	v_cvt_u32_f32_e32 v3, v3
	v_ashrrev_i32_e32 v1, 31, v1
	v_xor_b32_e32 v5, v5, v1
	v_xor_b32_e32 v3, v3, v1
	v_sub_co_u32_e32 v15, vcc, v3, v1
	v_subb_co_u32_e32 v16, vcc, v5, v1, vcc
.LBB55_2059:
	s_mov_b64 s[6:7], 0
.LBB55_2060:
	s_andn2_b64 vcc, exec, s[6:7]
	s_cbranch_vccnz .LBB55_2062
; %bb.2061:
	global_load_dword v1, v[20:21], off
	s_waitcnt vmcnt(0)
	v_cvt_f32_f16_e32 v1, v1
	v_cvt_i32_f32_e32 v15, v1
	v_ashrrev_i32_e32 v16, 31, v15
.LBB55_2062:
	s_mov_b64 s[6:7], 0
.LBB55_2063:
	s_andn2_b64 vcc, exec, s[6:7]
	s_cbranch_vccnz .LBB55_2074
; %bb.2064:
	s_cmp_lt_i32 s16, 6
	s_cbranch_scc1 .LBB55_2067
; %bb.2065:
	s_cmp_gt_i32 s16, 6
	s_cbranch_scc0 .LBB55_2068
; %bb.2066:
	global_load_dwordx2 v[15:16], v[20:21], off
	s_movk_i32 s6, 0xffe0
	s_waitcnt vmcnt(0)
	v_trunc_f64_e32 v[15:16], v[15:16]
	v_ldexp_f64 v[22:23], v[15:16], s6
	s_mov_b32 s6, 0
	s_mov_b32 s7, 0xc1f00000
	v_floor_f64_e32 v[22:23], v[22:23]
	v_fma_f64 v[24:25], v[22:23], s[6:7], v[15:16]
	v_cvt_i32_f64_e32 v16, v[22:23]
	s_mov_b64 s[6:7], 0
	v_cvt_u32_f64_e32 v15, v[24:25]
	s_branch .LBB55_2069
.LBB55_2067:
	s_mov_b64 s[6:7], -1
                                        ; implicit-def: $vgpr15_vgpr16
	s_branch .LBB55_2072
.LBB55_2068:
	s_mov_b64 s[6:7], -1
                                        ; implicit-def: $vgpr15_vgpr16
.LBB55_2069:
	s_andn2_b64 vcc, exec, s[6:7]
	s_cbranch_vccnz .LBB55_2071
; %bb.2070:
	global_load_dword v1, v[20:21], off
	s_mov_b32 s6, 0x2f800000
	s_mov_b32 s7, 0xcf800000
	s_waitcnt vmcnt(0)
	v_trunc_f32_e32 v1, v1
	v_mul_f32_e64 v3, |v1|, s6
	v_floor_f32_e32 v3, v3
	v_cvt_u32_f32_e32 v5, v3
	v_fma_f32 v3, v3, s7, |v1|
	v_cvt_u32_f32_e32 v3, v3
	v_ashrrev_i32_e32 v1, 31, v1
	v_xor_b32_e32 v5, v5, v1
	v_xor_b32_e32 v3, v3, v1
	v_sub_co_u32_e32 v15, vcc, v3, v1
	v_subb_co_u32_e32 v16, vcc, v5, v1, vcc
.LBB55_2071:
	s_mov_b64 s[6:7], 0
.LBB55_2072:
	s_andn2_b64 vcc, exec, s[6:7]
	s_cbranch_vccnz .LBB55_2074
; %bb.2073:
	global_load_ushort v1, v[20:21], off
	s_waitcnt vmcnt(0)
	v_cvt_f32_f16_e32 v1, v1
	v_cvt_i32_f32_e32 v15, v1
	v_ashrrev_i32_e32 v16, 31, v15
.LBB55_2074:
	s_mov_b64 s[6:7], 0
.LBB55_2075:
	s_andn2_b64 vcc, exec, s[6:7]
	s_cbranch_vccnz .LBB55_2095
; %bb.2076:
	s_cmp_lt_i32 s16, 2
	s_cbranch_scc1 .LBB55_2080
; %bb.2077:
	s_cmp_lt_i32 s16, 3
	s_cbranch_scc1 .LBB55_2081
; %bb.2078:
	s_cmp_gt_i32 s16, 3
	s_cbranch_scc0 .LBB55_2082
; %bb.2079:
	global_load_dwordx2 v[15:16], v[20:21], off
	s_mov_b64 s[6:7], 0
	s_branch .LBB55_2083
.LBB55_2080:
	s_mov_b64 s[6:7], -1
                                        ; implicit-def: $vgpr15_vgpr16
	s_branch .LBB55_2089
.LBB55_2081:
	s_mov_b64 s[6:7], -1
                                        ; implicit-def: $vgpr15_vgpr16
	s_branch .LBB55_2086
.LBB55_2082:
	s_mov_b64 s[6:7], -1
                                        ; implicit-def: $vgpr15_vgpr16
.LBB55_2083:
	s_andn2_b64 vcc, exec, s[6:7]
	s_cbranch_vccnz .LBB55_2085
; %bb.2084:
	global_load_dword v15, v[20:21], off
	s_waitcnt vmcnt(0)
	v_ashrrev_i32_e32 v16, 31, v15
.LBB55_2085:
	s_mov_b64 s[6:7], 0
.LBB55_2086:
	s_andn2_b64 vcc, exec, s[6:7]
	s_cbranch_vccnz .LBB55_2088
; %bb.2087:
	global_load_ushort v1, v[20:21], off
	s_waitcnt vmcnt(0)
	v_bfe_i32 v15, v1, 0, 16
	v_ashrrev_i32_e32 v16, 31, v15
.LBB55_2088:
	s_mov_b64 s[6:7], 0
.LBB55_2089:
	s_andn2_b64 vcc, exec, s[6:7]
	s_cbranch_vccnz .LBB55_2095
; %bb.2090:
	s_cmp_gt_i32 s16, 0
	s_cbranch_scc0 .LBB55_2092
; %bb.2091:
	global_load_sbyte v1, v[20:21], off
	s_mov_b64 s[6:7], 0
	s_waitcnt vmcnt(0)
	v_bfe_i32 v15, v1, 0, 16
	v_ashrrev_i32_e32 v16, 31, v15
	s_branch .LBB55_2093
.LBB55_2092:
	s_mov_b64 s[6:7], -1
                                        ; implicit-def: $vgpr15_vgpr16
.LBB55_2093:
	s_andn2_b64 vcc, exec, s[6:7]
	s_cbranch_vccnz .LBB55_2095
; %bb.2094:
	global_load_ubyte v1, v[20:21], off
	s_mov_b32 s6, 0
	s_waitcnt vmcnt(1)
	v_mov_b32_e32 v16, s6
	s_waitcnt vmcnt(0)
	v_and_b32_e32 v15, 0xffff, v1
.LBB55_2095:
	s_mov_b64 s[18:19], -1
.LBB55_2096:
	s_andn2_b64 vcc, exec, s[18:19]
	s_cbranch_vccnz .LBB55_3036
; %bb.2097:
	v_mov_b32_e32 v1, s11
	v_add_co_u32_e32 v20, vcc, s10, v19
	s_cmp_lt_i32 s22, 11
	v_addc_co_u32_e32 v21, vcc, 0, v1, vcc
	s_cbranch_scc1 .LBB55_2104
; %bb.2098:
	s_and_b32 s24, 0xffff, s22
	s_cmp_gt_i32 s24, 25
	s_mov_b64 s[16:17], 0
	s_cbranch_scc0 .LBB55_2105
; %bb.2099:
	s_cmp_gt_i32 s24, 28
	s_cbranch_scc0 .LBB55_2106
; %bb.2100:
	s_cmp_gt_i32 s24, 43
	;; [unrolled: 3-line block ×3, first 2 shown]
	s_cbranch_scc0 .LBB55_2109
; %bb.2102:
	s_cmp_eq_u32 s24, 46
	s_mov_b64 s[20:21], 0
	s_cbranch_scc0 .LBB55_2110
; %bb.2103:
	global_load_dword v1, v[20:21], off
	s_mov_b32 s6, 0x2f800000
	s_mov_b32 s7, 0xcf800000
	s_mov_b64 s[18:19], -1
	s_waitcnt vmcnt(0)
	v_lshlrev_b32_e32 v1, 16, v1
	v_trunc_f32_e32 v1, v1
	v_mul_f32_e64 v3, |v1|, s6
	v_floor_f32_e32 v3, v3
	v_fma_f32 v5, v3, s7, |v1|
	v_cvt_u32_f32_e32 v5, v5
	v_cvt_u32_f32_e32 v3, v3
	v_ashrrev_i32_e32 v1, 31, v1
	s_mov_b64 s[6:7], 0
	v_xor_b32_e32 v5, v5, v1
	v_xor_b32_e32 v3, v3, v1
	v_sub_co_u32_e32 v18, vcc, v5, v1
	v_subb_co_u32_e32 v19, vcc, v3, v1, vcc
	s_branch .LBB55_2111
.LBB55_2104:
	s_mov_b64 s[6:7], -1
	s_mov_b64 s[18:19], 0
                                        ; implicit-def: $vgpr18_vgpr19
	s_branch .LBB55_2173
.LBB55_2105:
	s_mov_b64 s[20:21], -1
	s_mov_b64 s[18:19], 0
	s_mov_b64 s[6:7], 0
                                        ; implicit-def: $vgpr18_vgpr19
	s_branch .LBB55_2140
.LBB55_2106:
	s_mov_b64 s[20:21], -1
	s_mov_b64 s[18:19], 0
	s_mov_b64 s[6:7], 0
                                        ; implicit-def: $vgpr18_vgpr19
	s_branch .LBB55_2121
.LBB55_2107:
	s_mov_b64 s[20:21], -1
	s_mov_b64 s[18:19], 0
	s_mov_b64 s[6:7], 0
                                        ; implicit-def: $vgpr18_vgpr19
	s_branch .LBB55_2116
.LBB55_2108:
	s_trap 2
	s_or_b64 s[4:5], s[4:5], exec
	s_cbranch_execz .LBB55_2045
	s_branch .LBB55_2046
.LBB55_2109:
	s_mov_b64 s[20:21], -1
	s_mov_b64 s[18:19], 0
	s_mov_b64 s[6:7], 0
                                        ; implicit-def: $vgpr18_vgpr19
	s_branch .LBB55_2111
.LBB55_2110:
	s_mov_b64 s[6:7], -1
                                        ; implicit-def: $vgpr18_vgpr19
	s_mov_b64 s[18:19], 0
.LBB55_2111:
	s_and_b64 vcc, exec, s[20:21]
	s_cbranch_vccz .LBB55_2115
; %bb.2112:
	s_cmp_eq_u32 s24, 44
	s_cbranch_scc0 .LBB55_2114
; %bb.2113:
	global_load_ubyte v1, v[20:21], off
	s_mov_b32 s6, 0x2f800000
	s_mov_b32 s7, 0xcf800000
	s_mov_b64 s[18:19], -1
	s_waitcnt vmcnt(0)
	v_lshlrev_b32_e32 v3, 23, v1
	v_trunc_f32_e32 v3, v3
	v_mul_f32_e64 v5, |v3|, s6
	v_floor_f32_e32 v5, v5
	v_fma_f32 v18, v5, s7, |v3|
	v_cvt_u32_f32_e32 v18, v18
	v_cvt_u32_f32_e32 v5, v5
	v_ashrrev_i32_e32 v3, 31, v3
	s_mov_b64 s[6:7], 0
	v_xor_b32_e32 v18, v18, v3
	v_xor_b32_e32 v5, v5, v3
	v_sub_co_u32_e32 v18, vcc, v18, v3
	v_subb_co_u32_e32 v3, vcc, v5, v3, vcc
	v_cmp_ne_u32_e32 vcc, 0, v1
	v_cndmask_b32_e32 v19, 0, v3, vcc
	v_cndmask_b32_e32 v18, 0, v18, vcc
	s_branch .LBB55_2115
.LBB55_2114:
	s_mov_b64 s[6:7], -1
                                        ; implicit-def: $vgpr18_vgpr19
.LBB55_2115:
	s_mov_b64 s[20:21], 0
.LBB55_2116:
	s_and_b64 vcc, exec, s[20:21]
	s_cbranch_vccz .LBB55_2120
; %bb.2117:
	s_cmp_eq_u32 s24, 29
	s_cbranch_scc0 .LBB55_2119
; %bb.2118:
	global_load_dwordx2 v[18:19], v[20:21], off
	s_mov_b64 s[6:7], 0
	s_mov_b64 s[18:19], -1
	s_branch .LBB55_2120
.LBB55_2119:
	s_mov_b64 s[6:7], -1
                                        ; implicit-def: $vgpr18_vgpr19
.LBB55_2120:
	s_mov_b64 s[20:21], 0
.LBB55_2121:
	s_and_b64 vcc, exec, s[20:21]
	s_cbranch_vccz .LBB55_2139
; %bb.2122:
	s_cmp_lt_i32 s24, 27
	s_cbranch_scc1 .LBB55_2125
; %bb.2123:
	s_cmp_gt_i32 s24, 27
	s_cbranch_scc0 .LBB55_2126
; %bb.2124:
	global_load_dword v18, v[20:21], off
	s_waitcnt vmcnt(1)
	v_mov_b32_e32 v19, 0
	s_mov_b64 s[18:19], 0
	s_branch .LBB55_2127
.LBB55_2125:
	s_mov_b64 s[18:19], -1
                                        ; implicit-def: $vgpr18_vgpr19
	s_branch .LBB55_2130
.LBB55_2126:
	s_mov_b64 s[18:19], -1
                                        ; implicit-def: $vgpr18_vgpr19
.LBB55_2127:
	s_andn2_b64 vcc, exec, s[18:19]
	s_cbranch_vccnz .LBB55_2129
; %bb.2128:
	global_load_ushort v1, v[20:21], off
	s_mov_b32 s18, 0
	s_waitcnt vmcnt(1)
	v_mov_b32_e32 v19, s18
	s_waitcnt vmcnt(0)
	v_and_b32_e32 v18, 0xffff, v1
.LBB55_2129:
	s_mov_b64 s[18:19], 0
.LBB55_2130:
	s_andn2_b64 vcc, exec, s[18:19]
	s_cbranch_vccnz .LBB55_2138
; %bb.2131:
	global_load_ubyte v1, v[20:21], off
	s_movk_i32 s18, 0x7f
	s_mov_b64 s[20:21], 0
	s_waitcnt vmcnt(0)
	v_cmp_lt_i16_e32 vcc, s18, v1
	s_and_saveexec_b64 s[18:19], vcc
	s_xor_b64 s[18:19], exec, s[18:19]
; %bb.2132:
	s_movk_i32 s20, 0x80
	v_cmp_ne_u16_e32 vcc, s20, v1
	s_and_b64 s[20:21], vcc, exec
; %bb.2133:
	s_andn2_saveexec_b64 s[18:19], s[18:19]
; %bb.2134:
	v_cmp_ne_u16_e32 vcc, 0, v1
	s_andn2_b64 s[20:21], s[20:21], exec
	s_and_b64 s[26:27], vcc, exec
	s_or_b64 s[20:21], s[20:21], s[26:27]
; %bb.2135:
	s_or_b64 exec, exec, s[18:19]
	v_mov_b32_e32 v18, 0
	v_mov_b32_e32 v19, 0
	s_and_saveexec_b64 s[18:19], s[20:21]
	s_cbranch_execz .LBB55_2137
; %bb.2136:
	v_lshlrev_b32_e32 v3, 24, v1
	v_and_b32_e32 v1, 0xffff, v1
	v_and_b32_e32 v5, 7, v1
	v_ffbh_u32_e32 v19, v5
	v_min_u32_e32 v19, 32, v19
	v_subrev_u32_e32 v22, 28, v19
	v_bfe_u32 v18, v1, 3, 4
	v_lshlrev_b32_e32 v1, v22, v1
	v_sub_u32_e32 v19, 29, v19
	v_and_b32_e32 v1, 7, v1
	v_cmp_eq_u32_e32 vcc, 0, v18
	v_cndmask_b32_e32 v18, v18, v19, vcc
	v_cndmask_b32_e32 v1, v5, v1, vcc
	v_mov_b32_e32 v5, 0x3b800000
	v_lshlrev_b32_e32 v1, 20, v1
	v_and_b32_e32 v3, 0x80000000, v3
	v_lshl_add_u32 v5, v18, 23, v5
	v_or3_b32 v1, v3, v5, v1
	v_trunc_f32_e32 v1, v1
	s_mov_b32 s20, 0x2f800000
	v_mul_f32_e64 v3, |v1|, s20
	v_floor_f32_e32 v3, v3
	s_mov_b32 s20, 0xcf800000
	v_fma_f32 v5, v3, s20, |v1|
	v_cvt_u32_f32_e32 v5, v5
	v_cvt_u32_f32_e32 v3, v3
	v_ashrrev_i32_e32 v1, 31, v1
	v_xor_b32_e32 v5, v5, v1
	v_xor_b32_e32 v3, v3, v1
	v_sub_co_u32_e32 v18, vcc, v5, v1
	v_subb_co_u32_e32 v19, vcc, v3, v1, vcc
.LBB55_2137:
	s_or_b64 exec, exec, s[18:19]
.LBB55_2138:
	s_mov_b64 s[18:19], -1
.LBB55_2139:
	s_mov_b64 s[20:21], 0
.LBB55_2140:
	s_and_b64 vcc, exec, s[20:21]
	s_cbranch_vccz .LBB55_2169
; %bb.2141:
	s_cmp_gt_i32 s24, 22
	s_cbranch_scc0 .LBB55_2151
; %bb.2142:
	s_cmp_lt_i32 s24, 24
	s_cbranch_scc1 .LBB55_2152
; %bb.2143:
	s_cmp_gt_i32 s24, 24
	s_cbranch_scc0 .LBB55_2153
; %bb.2144:
	global_load_ubyte v1, v[20:21], off
	s_movk_i32 s16, 0x7f
	s_mov_b64 s[18:19], 0
	s_waitcnt vmcnt(0)
	v_cmp_lt_i16_e32 vcc, s16, v1
	s_and_saveexec_b64 s[16:17], vcc
	s_xor_b64 s[16:17], exec, s[16:17]
; %bb.2145:
	s_movk_i32 s18, 0x80
	v_cmp_ne_u16_e32 vcc, s18, v1
	s_and_b64 s[18:19], vcc, exec
; %bb.2146:
	s_andn2_saveexec_b64 s[16:17], s[16:17]
; %bb.2147:
	v_cmp_ne_u16_e32 vcc, 0, v1
	s_andn2_b64 s[18:19], s[18:19], exec
	s_and_b64 s[20:21], vcc, exec
	s_or_b64 s[18:19], s[18:19], s[20:21]
; %bb.2148:
	s_or_b64 exec, exec, s[16:17]
	v_mov_b32_e32 v18, 0
	v_mov_b32_e32 v19, 0
	s_and_saveexec_b64 s[16:17], s[18:19]
	s_cbranch_execz .LBB55_2150
; %bb.2149:
	v_lshlrev_b32_e32 v3, 24, v1
	v_and_b32_e32 v1, 0xffff, v1
	v_and_b32_e32 v5, 3, v1
	v_ffbh_u32_e32 v19, v5
	v_min_u32_e32 v19, 32, v19
	v_subrev_u32_e32 v22, 29, v19
	v_bfe_u32 v18, v1, 2, 5
	v_lshlrev_b32_e32 v1, v22, v1
	v_sub_u32_e32 v19, 30, v19
	v_and_b32_e32 v1, 3, v1
	v_cmp_eq_u32_e32 vcc, 0, v18
	v_cndmask_b32_e32 v18, v18, v19, vcc
	v_cndmask_b32_e32 v1, v5, v1, vcc
	v_mov_b32_e32 v5, 0x37800000
	v_lshlrev_b32_e32 v1, 21, v1
	v_and_b32_e32 v3, 0x80000000, v3
	v_lshl_add_u32 v5, v18, 23, v5
	v_or3_b32 v1, v3, v5, v1
	v_trunc_f32_e32 v1, v1
	s_mov_b32 s18, 0x2f800000
	v_mul_f32_e64 v3, |v1|, s18
	v_floor_f32_e32 v3, v3
	s_mov_b32 s18, 0xcf800000
	v_fma_f32 v5, v3, s18, |v1|
	v_cvt_u32_f32_e32 v5, v5
	v_cvt_u32_f32_e32 v3, v3
	v_ashrrev_i32_e32 v1, 31, v1
	v_xor_b32_e32 v5, v5, v1
	v_xor_b32_e32 v3, v3, v1
	v_sub_co_u32_e32 v18, vcc, v5, v1
	v_subb_co_u32_e32 v19, vcc, v3, v1, vcc
.LBB55_2150:
	s_or_b64 exec, exec, s[16:17]
	s_mov_b64 s[16:17], 0
	s_branch .LBB55_2154
.LBB55_2151:
	s_mov_b64 s[16:17], -1
                                        ; implicit-def: $vgpr18_vgpr19
	s_branch .LBB55_2160
.LBB55_2152:
	s_mov_b64 s[16:17], -1
                                        ; implicit-def: $vgpr18_vgpr19
	s_branch .LBB55_2157
.LBB55_2153:
	s_mov_b64 s[16:17], -1
                                        ; implicit-def: $vgpr18_vgpr19
.LBB55_2154:
	s_and_b64 vcc, exec, s[16:17]
	s_cbranch_vccz .LBB55_2156
; %bb.2155:
	global_load_ubyte v1, v[20:21], off
	s_mov_b32 s16, 0x7f800000
	s_brev_b32 s17, 1
	s_mov_b32 s18, 0x2f800000
	s_mov_b32 s19, 0xcf800000
	s_waitcnt vmcnt(0)
	v_lshlrev_b32_e32 v1, 24, v1
	v_and_b32_e32 v3, 0x7f000000, v1
	v_ffbh_u32_e32 v5, v3
	v_min_u32_e32 v5, 32, v5
	v_sub_u32_e64 v5, v5, 4 clamp
	v_lshlrev_b32_e32 v19, v5, v3
	v_lshlrev_b32_e32 v5, 23, v5
	v_lshrrev_b32_e32 v19, 4, v19
	v_add_u32_e32 v18, 0x1000000, v3
	v_sub_u32_e32 v5, v19, v5
	v_ashrrev_i32_e32 v18, 8, v18
	v_add_u32_e32 v5, 0x3c000000, v5
	v_and_or_b32 v5, v18, s16, v5
	v_cmp_ne_u32_e32 vcc, 0, v3
	v_cndmask_b32_e32 v3, 0, v5, vcc
	v_and_or_b32 v1, v1, s17, v3
	v_trunc_f32_e32 v1, v1
	v_mul_f32_e64 v3, |v1|, s18
	v_floor_f32_e32 v3, v3
	v_fma_f32 v5, v3, s19, |v1|
	v_cvt_u32_f32_e32 v5, v5
	v_cvt_u32_f32_e32 v3, v3
	v_ashrrev_i32_e32 v1, 31, v1
	v_xor_b32_e32 v5, v5, v1
	v_xor_b32_e32 v3, v3, v1
	v_sub_co_u32_e32 v18, vcc, v5, v1
	v_subb_co_u32_e32 v19, vcc, v3, v1, vcc
.LBB55_2156:
	s_mov_b64 s[16:17], 0
.LBB55_2157:
	s_andn2_b64 vcc, exec, s[16:17]
	s_cbranch_vccnz .LBB55_2159
; %bb.2158:
	global_load_ubyte v1, v[20:21], off
	s_movk_i32 s16, 0x7f00
	s_brev_b32 s17, 16
	s_brev_b32 s18, 1
	s_mov_b32 s19, 0x2f800000
	s_mov_b32 s20, 0xcf800000
	s_waitcnt vmcnt(0)
	v_lshlrev_b16_e32 v3, 8, v1
	v_lshlrev_b32_e32 v1, 25, v1
	v_lshrrev_b32_e32 v5, 4, v1
	v_and_or_b32 v18, v3, s16, 0.5
	v_or_b32_e32 v5, 0x70000000, v5
	v_add_f32_e32 v18, -0.5, v18
	v_mul_f32_e32 v5, 0x7800000, v5
	v_cmp_gt_u32_e32 vcc, s17, v1
	v_bfe_i32 v3, v3, 0, 16
	v_cndmask_b32_e32 v1, v5, v18, vcc
	v_and_or_b32 v1, v3, s18, v1
	v_trunc_f32_e32 v1, v1
	v_mul_f32_e64 v3, |v1|, s19
	v_floor_f32_e32 v3, v3
	v_fma_f32 v5, v3, s20, |v1|
	v_cvt_u32_f32_e32 v5, v5
	v_cvt_u32_f32_e32 v3, v3
	v_ashrrev_i32_e32 v1, 31, v1
	v_xor_b32_e32 v5, v5, v1
	v_xor_b32_e32 v3, v3, v1
	v_sub_co_u32_e32 v18, vcc, v5, v1
	v_subb_co_u32_e32 v19, vcc, v3, v1, vcc
.LBB55_2159:
	s_mov_b64 s[16:17], 0
	s_mov_b64 s[18:19], -1
.LBB55_2160:
	s_andn2_b64 vcc, exec, s[16:17]
	s_mov_b64 s[16:17], 0
	s_cbranch_vccnz .LBB55_2169
; %bb.2161:
	s_cmp_gt_i32 s24, 14
	s_cbranch_scc0 .LBB55_2164
; %bb.2162:
	s_cmp_eq_u32 s24, 15
	s_cbranch_scc0 .LBB55_2165
; %bb.2163:
	global_load_ushort v1, v[20:21], off
	s_mov_b32 s6, 0x2f800000
	s_mov_b32 s7, 0xcf800000
	s_mov_b64 s[18:19], -1
	s_waitcnt vmcnt(0)
	v_lshlrev_b32_e32 v1, 16, v1
	v_trunc_f32_e32 v1, v1
	v_mul_f32_e64 v3, |v1|, s6
	v_floor_f32_e32 v3, v3
	v_fma_f32 v5, v3, s7, |v1|
	v_cvt_u32_f32_e32 v5, v5
	v_cvt_u32_f32_e32 v3, v3
	v_ashrrev_i32_e32 v1, 31, v1
	s_mov_b64 s[6:7], 0
	v_xor_b32_e32 v5, v5, v1
	v_xor_b32_e32 v3, v3, v1
	v_sub_co_u32_e32 v18, vcc, v5, v1
	v_subb_co_u32_e32 v19, vcc, v3, v1, vcc
	s_branch .LBB55_2166
.LBB55_2164:
	s_mov_b64 s[20:21], -1
                                        ; implicit-def: $vgpr18_vgpr19
	s_branch .LBB55_2167
.LBB55_2165:
	s_mov_b64 s[6:7], -1
                                        ; implicit-def: $vgpr18_vgpr19
.LBB55_2166:
	s_mov_b64 s[20:21], 0
.LBB55_2167:
	s_and_b64 vcc, exec, s[20:21]
	s_cbranch_vccz .LBB55_2169
; %bb.2168:
	s_cmp_lg_u32 s24, 11
	s_mov_b64 s[16:17], -1
	s_cselect_b64 s[6:7], -1, 0
.LBB55_2169:
	s_and_b64 vcc, exec, s[6:7]
	s_cbranch_vccnz .LBB55_2234
; %bb.2170:
	s_andn2_b64 vcc, exec, s[16:17]
	s_cbranch_vccnz .LBB55_2172
.LBB55_2171:
	global_load_ubyte v1, v[20:21], off
	s_mov_b32 s6, 0
	s_waitcnt vmcnt(1)
	v_mov_b32_e32 v19, s6
	s_mov_b64 s[18:19], -1
	s_waitcnt vmcnt(0)
	v_cmp_ne_u16_e32 vcc, 0, v1
	v_cndmask_b32_e64 v18, 0, 1, vcc
.LBB55_2172:
	s_mov_b64 s[6:7], 0
.LBB55_2173:
	s_and_b64 vcc, exec, s[6:7]
	s_cbranch_vccz .LBB55_2222
; %bb.2174:
	s_and_b32 s16, 0xffff, s22
	s_cmp_lt_i32 s16, 5
	s_cbranch_scc1 .LBB55_2179
; %bb.2175:
	s_cmp_lt_i32 s16, 8
	s_cbranch_scc1 .LBB55_2180
; %bb.2176:
	;; [unrolled: 3-line block ×3, first 2 shown]
	s_cmp_gt_i32 s16, 9
	s_cbranch_scc0 .LBB55_2182
; %bb.2178:
	global_load_dwordx2 v[18:19], v[20:21], off
	s_movk_i32 s6, 0xffe0
	s_waitcnt vmcnt(0)
	v_trunc_f64_e32 v[18:19], v[18:19]
	v_ldexp_f64 v[22:23], v[18:19], s6
	s_mov_b32 s6, 0
	s_mov_b32 s7, 0xc1f00000
	v_floor_f64_e32 v[22:23], v[22:23]
	v_fma_f64 v[24:25], v[22:23], s[6:7], v[18:19]
	v_cvt_i32_f64_e32 v19, v[22:23]
	s_mov_b64 s[6:7], 0
	v_cvt_u32_f64_e32 v18, v[24:25]
	s_branch .LBB55_2183
.LBB55_2179:
	s_mov_b64 s[6:7], -1
                                        ; implicit-def: $vgpr18_vgpr19
	s_branch .LBB55_2201
.LBB55_2180:
	s_mov_b64 s[6:7], -1
                                        ; implicit-def: $vgpr18_vgpr19
	s_branch .LBB55_2189
.LBB55_2181:
	s_mov_b64 s[6:7], -1
                                        ; implicit-def: $vgpr18_vgpr19
	s_branch .LBB55_2186
.LBB55_2182:
	s_mov_b64 s[6:7], -1
                                        ; implicit-def: $vgpr18_vgpr19
.LBB55_2183:
	s_andn2_b64 vcc, exec, s[6:7]
	s_cbranch_vccnz .LBB55_2185
; %bb.2184:
	global_load_dword v1, v[20:21], off
	s_mov_b32 s6, 0x2f800000
	s_mov_b32 s7, 0xcf800000
	s_waitcnt vmcnt(0)
	v_trunc_f32_e32 v1, v1
	v_mul_f32_e64 v3, |v1|, s6
	v_floor_f32_e32 v3, v3
	v_cvt_u32_f32_e32 v5, v3
	v_fma_f32 v3, v3, s7, |v1|
	v_cvt_u32_f32_e32 v3, v3
	v_ashrrev_i32_e32 v1, 31, v1
	v_xor_b32_e32 v5, v5, v1
	v_xor_b32_e32 v3, v3, v1
	v_sub_co_u32_e32 v18, vcc, v3, v1
	v_subb_co_u32_e32 v19, vcc, v5, v1, vcc
.LBB55_2185:
	s_mov_b64 s[6:7], 0
.LBB55_2186:
	s_andn2_b64 vcc, exec, s[6:7]
	s_cbranch_vccnz .LBB55_2188
; %bb.2187:
	global_load_dword v1, v[20:21], off
	s_waitcnt vmcnt(0)
	v_cvt_f32_f16_e32 v1, v1
	v_cvt_i32_f32_e32 v18, v1
	v_ashrrev_i32_e32 v19, 31, v18
.LBB55_2188:
	s_mov_b64 s[6:7], 0
.LBB55_2189:
	s_andn2_b64 vcc, exec, s[6:7]
	s_cbranch_vccnz .LBB55_2200
; %bb.2190:
	s_cmp_lt_i32 s16, 6
	s_cbranch_scc1 .LBB55_2193
; %bb.2191:
	s_cmp_gt_i32 s16, 6
	s_cbranch_scc0 .LBB55_2194
; %bb.2192:
	global_load_dwordx2 v[18:19], v[20:21], off
	s_movk_i32 s6, 0xffe0
	s_waitcnt vmcnt(0)
	v_trunc_f64_e32 v[18:19], v[18:19]
	v_ldexp_f64 v[22:23], v[18:19], s6
	s_mov_b32 s6, 0
	s_mov_b32 s7, 0xc1f00000
	v_floor_f64_e32 v[22:23], v[22:23]
	v_fma_f64 v[24:25], v[22:23], s[6:7], v[18:19]
	v_cvt_i32_f64_e32 v19, v[22:23]
	s_mov_b64 s[6:7], 0
	v_cvt_u32_f64_e32 v18, v[24:25]
	s_branch .LBB55_2195
.LBB55_2193:
	s_mov_b64 s[6:7], -1
                                        ; implicit-def: $vgpr18_vgpr19
	s_branch .LBB55_2198
.LBB55_2194:
	s_mov_b64 s[6:7], -1
                                        ; implicit-def: $vgpr18_vgpr19
.LBB55_2195:
	s_andn2_b64 vcc, exec, s[6:7]
	s_cbranch_vccnz .LBB55_2197
; %bb.2196:
	global_load_dword v1, v[20:21], off
	s_mov_b32 s6, 0x2f800000
	s_mov_b32 s7, 0xcf800000
	s_waitcnt vmcnt(0)
	v_trunc_f32_e32 v1, v1
	v_mul_f32_e64 v3, |v1|, s6
	v_floor_f32_e32 v3, v3
	v_cvt_u32_f32_e32 v5, v3
	v_fma_f32 v3, v3, s7, |v1|
	v_cvt_u32_f32_e32 v3, v3
	v_ashrrev_i32_e32 v1, 31, v1
	v_xor_b32_e32 v5, v5, v1
	v_xor_b32_e32 v3, v3, v1
	v_sub_co_u32_e32 v18, vcc, v3, v1
	v_subb_co_u32_e32 v19, vcc, v5, v1, vcc
.LBB55_2197:
	s_mov_b64 s[6:7], 0
.LBB55_2198:
	s_andn2_b64 vcc, exec, s[6:7]
	s_cbranch_vccnz .LBB55_2200
; %bb.2199:
	global_load_ushort v1, v[20:21], off
	s_waitcnt vmcnt(0)
	v_cvt_f32_f16_e32 v1, v1
	v_cvt_i32_f32_e32 v18, v1
	v_ashrrev_i32_e32 v19, 31, v18
.LBB55_2200:
	s_mov_b64 s[6:7], 0
.LBB55_2201:
	s_andn2_b64 vcc, exec, s[6:7]
	s_cbranch_vccnz .LBB55_2221
; %bb.2202:
	s_cmp_lt_i32 s16, 2
	s_cbranch_scc1 .LBB55_2206
; %bb.2203:
	s_cmp_lt_i32 s16, 3
	s_cbranch_scc1 .LBB55_2207
; %bb.2204:
	s_cmp_gt_i32 s16, 3
	s_cbranch_scc0 .LBB55_2208
; %bb.2205:
	global_load_dwordx2 v[18:19], v[20:21], off
	s_mov_b64 s[6:7], 0
	s_branch .LBB55_2209
.LBB55_2206:
	s_mov_b64 s[6:7], -1
                                        ; implicit-def: $vgpr18_vgpr19
	s_branch .LBB55_2215
.LBB55_2207:
	s_mov_b64 s[6:7], -1
                                        ; implicit-def: $vgpr18_vgpr19
	s_branch .LBB55_2212
.LBB55_2208:
	s_mov_b64 s[6:7], -1
                                        ; implicit-def: $vgpr18_vgpr19
.LBB55_2209:
	s_andn2_b64 vcc, exec, s[6:7]
	s_cbranch_vccnz .LBB55_2211
; %bb.2210:
	global_load_dword v18, v[20:21], off
	s_waitcnt vmcnt(0)
	v_ashrrev_i32_e32 v19, 31, v18
.LBB55_2211:
	s_mov_b64 s[6:7], 0
.LBB55_2212:
	s_andn2_b64 vcc, exec, s[6:7]
	s_cbranch_vccnz .LBB55_2214
; %bb.2213:
	global_load_ushort v1, v[20:21], off
	s_waitcnt vmcnt(0)
	v_bfe_i32 v18, v1, 0, 16
	v_ashrrev_i32_e32 v19, 31, v18
.LBB55_2214:
	s_mov_b64 s[6:7], 0
.LBB55_2215:
	s_andn2_b64 vcc, exec, s[6:7]
	s_cbranch_vccnz .LBB55_2221
; %bb.2216:
	s_cmp_gt_i32 s16, 0
	s_cbranch_scc0 .LBB55_2218
; %bb.2217:
	global_load_sbyte v1, v[20:21], off
	s_mov_b64 s[6:7], 0
	s_waitcnt vmcnt(0)
	v_bfe_i32 v18, v1, 0, 16
	v_ashrrev_i32_e32 v19, 31, v18
	s_branch .LBB55_2219
.LBB55_2218:
	s_mov_b64 s[6:7], -1
                                        ; implicit-def: $vgpr18_vgpr19
.LBB55_2219:
	s_andn2_b64 vcc, exec, s[6:7]
	s_cbranch_vccnz .LBB55_2221
; %bb.2220:
	global_load_ubyte v1, v[20:21], off
	s_mov_b32 s6, 0
	s_waitcnt vmcnt(1)
	v_mov_b32_e32 v19, s6
	s_waitcnt vmcnt(0)
	v_and_b32_e32 v18, 0xffff, v1
.LBB55_2221:
	s_mov_b64 s[18:19], -1
.LBB55_2222:
	s_andn2_b64 vcc, exec, s[18:19]
	s_cbranch_vccnz .LBB55_3036
; %bb.2223:
	v_mov_b32_e32 v1, s1
	v_add_co_u32_e32 v22, vcc, s0, v17
	s_cmp_lt_i32 s23, 11
	v_addc_co_u32_e32 v23, vcc, 0, v1, vcc
	s_cbranch_scc1 .LBB55_2230
; %bb.2224:
	s_and_b32 s24, 0xffff, s23
	s_cmp_gt_i32 s24, 25
	s_mov_b64 s[16:17], 0
	s_cbranch_scc0 .LBB55_2231
; %bb.2225:
	s_cmp_gt_i32 s24, 28
	s_cbranch_scc0 .LBB55_2232
; %bb.2226:
	s_cmp_gt_i32 s24, 43
	;; [unrolled: 3-line block ×3, first 2 shown]
	s_cbranch_scc0 .LBB55_2235
; %bb.2228:
	s_cmp_eq_u32 s24, 46
	s_mov_b64 s[20:21], 0
	s_cbranch_scc0 .LBB55_2238
; %bb.2229:
	global_load_dword v1, v[22:23], off
	s_mov_b32 s6, 0x2f800000
	s_mov_b32 s7, 0xcf800000
	s_mov_b64 s[18:19], -1
	s_waitcnt vmcnt(0)
	v_lshlrev_b32_e32 v1, 16, v1
	v_trunc_f32_e32 v1, v1
	v_mul_f32_e64 v3, |v1|, s6
	v_floor_f32_e32 v3, v3
	v_fma_f32 v5, v3, s7, |v1|
	v_cvt_u32_f32_e32 v5, v5
	v_cvt_u32_f32_e32 v3, v3
	v_ashrrev_i32_e32 v1, 31, v1
	s_mov_b64 s[6:7], 0
	v_xor_b32_e32 v5, v5, v1
	v_xor_b32_e32 v3, v3, v1
	v_sub_co_u32_e32 v20, vcc, v5, v1
	v_subb_co_u32_e32 v21, vcc, v3, v1, vcc
	s_branch .LBB55_2239
.LBB55_2230:
	s_mov_b64 s[6:7], -1
	s_mov_b64 s[18:19], 0
                                        ; implicit-def: $vgpr20_vgpr21
	s_branch .LBB55_2301
.LBB55_2231:
	s_mov_b64 s[20:21], -1
	s_mov_b64 s[18:19], 0
	s_mov_b64 s[6:7], 0
                                        ; implicit-def: $vgpr20_vgpr21
	s_branch .LBB55_2268
.LBB55_2232:
	s_mov_b64 s[20:21], -1
	s_mov_b64 s[18:19], 0
	s_mov_b64 s[6:7], 0
                                        ; implicit-def: $vgpr20_vgpr21
	s_branch .LBB55_2249
.LBB55_2233:
	s_mov_b64 s[20:21], -1
	s_mov_b64 s[18:19], 0
	s_mov_b64 s[6:7], 0
                                        ; implicit-def: $vgpr20_vgpr21
	s_branch .LBB55_2244
.LBB55_2234:
	s_trap 2
	s_or_b64 s[4:5], s[4:5], exec
	s_cbranch_execz .LBB55_2171
	s_branch .LBB55_2172
.LBB55_2235:
	s_mov_b64 s[20:21], -1
	s_mov_b64 s[18:19], 0
	s_mov_b64 s[6:7], 0
                                        ; implicit-def: $vgpr20_vgpr21
	s_branch .LBB55_2239
.LBB55_2236:
	s_andn2_saveexec_b64 s[68:69], s[68:69]
	s_cbranch_execz .LBB55_1095
.LBB55_2237:
	v_add_f32_e32 v2, 0x42800000, v3
	v_and_b32_e32 v2, 0xff, v2
	v_cmp_ne_u32_e32 vcc, 0, v2
	s_andn2_b64 s[66:67], s[66:67], exec
	s_and_b64 s[76:77], vcc, exec
	s_or_b64 s[66:67], s[66:67], s[76:77]
	s_or_b64 exec, exec, s[68:69]
	v_mov_b32_e32 v4, 0
	s_and_saveexec_b64 s[68:69], s[66:67]
	s_cbranch_execnz .LBB55_1096
	s_branch .LBB55_1097
.LBB55_2238:
	s_mov_b64 s[6:7], -1
                                        ; implicit-def: $vgpr20_vgpr21
	s_mov_b64 s[18:19], 0
.LBB55_2239:
	s_and_b64 vcc, exec, s[20:21]
	s_cbranch_vccz .LBB55_2243
; %bb.2240:
	s_cmp_eq_u32 s24, 44
	s_cbranch_scc0 .LBB55_2242
; %bb.2241:
	global_load_ubyte v1, v[22:23], off
	s_mov_b32 s6, 0x2f800000
	s_mov_b32 s7, 0xcf800000
	s_mov_b64 s[18:19], -1
	s_waitcnt vmcnt(0)
	v_lshlrev_b32_e32 v3, 23, v1
	v_trunc_f32_e32 v3, v3
	v_mul_f32_e64 v5, |v3|, s6
	v_floor_f32_e32 v5, v5
	v_fma_f32 v17, v5, s7, |v3|
	v_cvt_u32_f32_e32 v17, v17
	v_cvt_u32_f32_e32 v5, v5
	v_ashrrev_i32_e32 v3, 31, v3
	s_mov_b64 s[6:7], 0
	v_xor_b32_e32 v17, v17, v3
	v_xor_b32_e32 v5, v5, v3
	v_sub_co_u32_e32 v17, vcc, v17, v3
	v_subb_co_u32_e32 v3, vcc, v5, v3, vcc
	v_cmp_ne_u32_e32 vcc, 0, v1
	v_cndmask_b32_e32 v21, 0, v3, vcc
	v_cndmask_b32_e32 v20, 0, v17, vcc
	s_branch .LBB55_2243
.LBB55_2242:
	s_mov_b64 s[6:7], -1
                                        ; implicit-def: $vgpr20_vgpr21
.LBB55_2243:
	s_mov_b64 s[20:21], 0
.LBB55_2244:
	s_and_b64 vcc, exec, s[20:21]
	s_cbranch_vccz .LBB55_2248
; %bb.2245:
	s_cmp_eq_u32 s24, 29
	s_cbranch_scc0 .LBB55_2247
; %bb.2246:
	global_load_dwordx2 v[20:21], v[22:23], off
	s_mov_b64 s[6:7], 0
	s_mov_b64 s[18:19], -1
	s_branch .LBB55_2248
.LBB55_2247:
	s_mov_b64 s[6:7], -1
                                        ; implicit-def: $vgpr20_vgpr21
.LBB55_2248:
	s_mov_b64 s[20:21], 0
.LBB55_2249:
	s_and_b64 vcc, exec, s[20:21]
	s_cbranch_vccz .LBB55_2267
; %bb.2250:
	s_cmp_lt_i32 s24, 27
	s_cbranch_scc1 .LBB55_2253
; %bb.2251:
	s_cmp_gt_i32 s24, 27
	s_cbranch_scc0 .LBB55_2254
; %bb.2252:
	global_load_dword v20, v[22:23], off
	s_waitcnt vmcnt(1)
	v_mov_b32_e32 v21, 0
	s_mov_b64 s[18:19], 0
	s_branch .LBB55_2255
.LBB55_2253:
	s_mov_b64 s[18:19], -1
                                        ; implicit-def: $vgpr20_vgpr21
	s_branch .LBB55_2258
.LBB55_2254:
	s_mov_b64 s[18:19], -1
                                        ; implicit-def: $vgpr20_vgpr21
.LBB55_2255:
	s_andn2_b64 vcc, exec, s[18:19]
	s_cbranch_vccnz .LBB55_2257
; %bb.2256:
	global_load_ushort v1, v[22:23], off
	s_mov_b32 s18, 0
	s_waitcnt vmcnt(1)
	v_mov_b32_e32 v21, s18
	s_waitcnt vmcnt(0)
	v_and_b32_e32 v20, 0xffff, v1
.LBB55_2257:
	s_mov_b64 s[18:19], 0
.LBB55_2258:
	s_andn2_b64 vcc, exec, s[18:19]
	s_cbranch_vccnz .LBB55_2266
; %bb.2259:
	global_load_ubyte v1, v[22:23], off
	s_movk_i32 s18, 0x7f
	s_mov_b64 s[20:21], 0
	s_waitcnt vmcnt(0)
	v_cmp_lt_i16_e32 vcc, s18, v1
	s_and_saveexec_b64 s[18:19], vcc
	s_xor_b64 s[18:19], exec, s[18:19]
; %bb.2260:
	s_movk_i32 s20, 0x80
	v_cmp_ne_u16_e32 vcc, s20, v1
	s_and_b64 s[20:21], vcc, exec
; %bb.2261:
	s_andn2_saveexec_b64 s[18:19], s[18:19]
; %bb.2262:
	v_cmp_ne_u16_e32 vcc, 0, v1
	s_andn2_b64 s[20:21], s[20:21], exec
	s_and_b64 s[26:27], vcc, exec
	s_or_b64 s[20:21], s[20:21], s[26:27]
; %bb.2263:
	s_or_b64 exec, exec, s[18:19]
	v_mov_b32_e32 v20, 0
	v_mov_b32_e32 v21, 0
	s_and_saveexec_b64 s[18:19], s[20:21]
	s_cbranch_execz .LBB55_2265
; %bb.2264:
	v_lshlrev_b32_e32 v3, 24, v1
	v_and_b32_e32 v1, 0xffff, v1
	v_and_b32_e32 v5, 7, v1
	v_ffbh_u32_e32 v20, v5
	v_min_u32_e32 v20, 32, v20
	v_subrev_u32_e32 v21, 28, v20
	v_bfe_u32 v17, v1, 3, 4
	v_lshlrev_b32_e32 v1, v21, v1
	v_sub_u32_e32 v20, 29, v20
	v_and_b32_e32 v1, 7, v1
	v_cmp_eq_u32_e32 vcc, 0, v17
	v_cndmask_b32_e32 v17, v17, v20, vcc
	v_cndmask_b32_e32 v1, v5, v1, vcc
	v_mov_b32_e32 v5, 0x3b800000
	v_lshlrev_b32_e32 v1, 20, v1
	v_and_b32_e32 v3, 0x80000000, v3
	v_lshl_add_u32 v5, v17, 23, v5
	v_or3_b32 v1, v3, v5, v1
	v_trunc_f32_e32 v1, v1
	s_mov_b32 s20, 0x2f800000
	v_mul_f32_e64 v3, |v1|, s20
	v_floor_f32_e32 v3, v3
	s_mov_b32 s20, 0xcf800000
	v_fma_f32 v5, v3, s20, |v1|
	v_cvt_u32_f32_e32 v5, v5
	v_cvt_u32_f32_e32 v3, v3
	v_ashrrev_i32_e32 v1, 31, v1
	v_xor_b32_e32 v5, v5, v1
	v_xor_b32_e32 v3, v3, v1
	v_sub_co_u32_e32 v20, vcc, v5, v1
	v_subb_co_u32_e32 v21, vcc, v3, v1, vcc
.LBB55_2265:
	s_or_b64 exec, exec, s[18:19]
.LBB55_2266:
	s_mov_b64 s[18:19], -1
.LBB55_2267:
	s_mov_b64 s[20:21], 0
.LBB55_2268:
	s_and_b64 vcc, exec, s[20:21]
	s_cbranch_vccz .LBB55_2297
; %bb.2269:
	s_cmp_gt_i32 s24, 22
	s_cbranch_scc0 .LBB55_2279
; %bb.2270:
	s_cmp_lt_i32 s24, 24
	s_cbranch_scc1 .LBB55_2280
; %bb.2271:
	s_cmp_gt_i32 s24, 24
	s_cbranch_scc0 .LBB55_2281
; %bb.2272:
	global_load_ubyte v1, v[22:23], off
	s_movk_i32 s16, 0x7f
	s_mov_b64 s[18:19], 0
	s_waitcnt vmcnt(0)
	v_cmp_lt_i16_e32 vcc, s16, v1
	s_and_saveexec_b64 s[16:17], vcc
	s_xor_b64 s[16:17], exec, s[16:17]
; %bb.2273:
	s_movk_i32 s18, 0x80
	v_cmp_ne_u16_e32 vcc, s18, v1
	s_and_b64 s[18:19], vcc, exec
; %bb.2274:
	s_andn2_saveexec_b64 s[16:17], s[16:17]
; %bb.2275:
	v_cmp_ne_u16_e32 vcc, 0, v1
	s_andn2_b64 s[18:19], s[18:19], exec
	s_and_b64 s[20:21], vcc, exec
	s_or_b64 s[18:19], s[18:19], s[20:21]
; %bb.2276:
	s_or_b64 exec, exec, s[16:17]
	v_mov_b32_e32 v20, 0
	v_mov_b32_e32 v21, 0
	s_and_saveexec_b64 s[16:17], s[18:19]
	s_cbranch_execz .LBB55_2278
; %bb.2277:
	v_lshlrev_b32_e32 v3, 24, v1
	v_and_b32_e32 v1, 0xffff, v1
	v_and_b32_e32 v5, 3, v1
	v_ffbh_u32_e32 v20, v5
	v_min_u32_e32 v20, 32, v20
	v_subrev_u32_e32 v21, 29, v20
	v_bfe_u32 v17, v1, 2, 5
	v_lshlrev_b32_e32 v1, v21, v1
	v_sub_u32_e32 v20, 30, v20
	v_and_b32_e32 v1, 3, v1
	v_cmp_eq_u32_e32 vcc, 0, v17
	v_cndmask_b32_e32 v17, v17, v20, vcc
	v_cndmask_b32_e32 v1, v5, v1, vcc
	v_mov_b32_e32 v5, 0x37800000
	v_lshlrev_b32_e32 v1, 21, v1
	v_and_b32_e32 v3, 0x80000000, v3
	v_lshl_add_u32 v5, v17, 23, v5
	v_or3_b32 v1, v3, v5, v1
	v_trunc_f32_e32 v1, v1
	s_mov_b32 s18, 0x2f800000
	v_mul_f32_e64 v3, |v1|, s18
	v_floor_f32_e32 v3, v3
	s_mov_b32 s18, 0xcf800000
	v_fma_f32 v5, v3, s18, |v1|
	v_cvt_u32_f32_e32 v5, v5
	v_cvt_u32_f32_e32 v3, v3
	v_ashrrev_i32_e32 v1, 31, v1
	v_xor_b32_e32 v5, v5, v1
	v_xor_b32_e32 v3, v3, v1
	v_sub_co_u32_e32 v20, vcc, v5, v1
	v_subb_co_u32_e32 v21, vcc, v3, v1, vcc
.LBB55_2278:
	s_or_b64 exec, exec, s[16:17]
	s_mov_b64 s[16:17], 0
	s_branch .LBB55_2282
.LBB55_2279:
	s_mov_b64 s[16:17], -1
                                        ; implicit-def: $vgpr20_vgpr21
	s_branch .LBB55_2288
.LBB55_2280:
	s_mov_b64 s[16:17], -1
                                        ; implicit-def: $vgpr20_vgpr21
	s_branch .LBB55_2285
.LBB55_2281:
	s_mov_b64 s[16:17], -1
                                        ; implicit-def: $vgpr20_vgpr21
.LBB55_2282:
	s_and_b64 vcc, exec, s[16:17]
	s_cbranch_vccz .LBB55_2284
; %bb.2283:
	global_load_ubyte v1, v[22:23], off
	s_mov_b32 s16, 0x7f800000
	s_brev_b32 s17, 1
	s_mov_b32 s18, 0x2f800000
	s_mov_b32 s19, 0xcf800000
	s_waitcnt vmcnt(0)
	v_lshlrev_b32_e32 v1, 24, v1
	v_and_b32_e32 v3, 0x7f000000, v1
	v_ffbh_u32_e32 v5, v3
	v_min_u32_e32 v5, 32, v5
	v_sub_u32_e64 v5, v5, 4 clamp
	v_lshlrev_b32_e32 v20, v5, v3
	v_lshlrev_b32_e32 v5, 23, v5
	v_lshrrev_b32_e32 v20, 4, v20
	v_add_u32_e32 v17, 0x1000000, v3
	v_sub_u32_e32 v5, v20, v5
	v_ashrrev_i32_e32 v17, 8, v17
	v_add_u32_e32 v5, 0x3c000000, v5
	v_and_or_b32 v5, v17, s16, v5
	v_cmp_ne_u32_e32 vcc, 0, v3
	v_cndmask_b32_e32 v3, 0, v5, vcc
	v_and_or_b32 v1, v1, s17, v3
	v_trunc_f32_e32 v1, v1
	v_mul_f32_e64 v3, |v1|, s18
	v_floor_f32_e32 v3, v3
	v_fma_f32 v5, v3, s19, |v1|
	v_cvt_u32_f32_e32 v5, v5
	v_cvt_u32_f32_e32 v3, v3
	v_ashrrev_i32_e32 v1, 31, v1
	v_xor_b32_e32 v5, v5, v1
	v_xor_b32_e32 v3, v3, v1
	v_sub_co_u32_e32 v20, vcc, v5, v1
	v_subb_co_u32_e32 v21, vcc, v3, v1, vcc
.LBB55_2284:
	s_mov_b64 s[16:17], 0
.LBB55_2285:
	s_andn2_b64 vcc, exec, s[16:17]
	s_cbranch_vccnz .LBB55_2287
; %bb.2286:
	global_load_ubyte v1, v[22:23], off
	s_movk_i32 s16, 0x7f00
	s_brev_b32 s17, 16
	s_brev_b32 s18, 1
	s_mov_b32 s19, 0x2f800000
	s_mov_b32 s20, 0xcf800000
	s_waitcnt vmcnt(0)
	v_lshlrev_b16_e32 v3, 8, v1
	v_lshlrev_b32_e32 v1, 25, v1
	v_lshrrev_b32_e32 v5, 4, v1
	v_and_or_b32 v17, v3, s16, 0.5
	v_or_b32_e32 v5, 0x70000000, v5
	v_add_f32_e32 v17, -0.5, v17
	v_mul_f32_e32 v5, 0x7800000, v5
	v_cmp_gt_u32_e32 vcc, s17, v1
	v_bfe_i32 v3, v3, 0, 16
	v_cndmask_b32_e32 v1, v5, v17, vcc
	v_and_or_b32 v1, v3, s18, v1
	v_trunc_f32_e32 v1, v1
	v_mul_f32_e64 v3, |v1|, s19
	v_floor_f32_e32 v3, v3
	v_fma_f32 v5, v3, s20, |v1|
	v_cvt_u32_f32_e32 v5, v5
	v_cvt_u32_f32_e32 v3, v3
	v_ashrrev_i32_e32 v1, 31, v1
	v_xor_b32_e32 v5, v5, v1
	v_xor_b32_e32 v3, v3, v1
	v_sub_co_u32_e32 v20, vcc, v5, v1
	v_subb_co_u32_e32 v21, vcc, v3, v1, vcc
.LBB55_2287:
	s_mov_b64 s[16:17], 0
	s_mov_b64 s[18:19], -1
.LBB55_2288:
	s_andn2_b64 vcc, exec, s[16:17]
	s_mov_b64 s[16:17], 0
	s_cbranch_vccnz .LBB55_2297
; %bb.2289:
	s_cmp_gt_i32 s24, 14
	s_cbranch_scc0 .LBB55_2292
; %bb.2290:
	s_cmp_eq_u32 s24, 15
	s_cbranch_scc0 .LBB55_2293
; %bb.2291:
	global_load_ushort v1, v[22:23], off
	s_mov_b32 s6, 0x2f800000
	s_mov_b32 s7, 0xcf800000
	s_mov_b64 s[18:19], -1
	s_waitcnt vmcnt(0)
	v_lshlrev_b32_e32 v1, 16, v1
	v_trunc_f32_e32 v1, v1
	v_mul_f32_e64 v3, |v1|, s6
	v_floor_f32_e32 v3, v3
	v_fma_f32 v5, v3, s7, |v1|
	v_cvt_u32_f32_e32 v5, v5
	v_cvt_u32_f32_e32 v3, v3
	v_ashrrev_i32_e32 v1, 31, v1
	s_mov_b64 s[6:7], 0
	v_xor_b32_e32 v5, v5, v1
	v_xor_b32_e32 v3, v3, v1
	v_sub_co_u32_e32 v20, vcc, v5, v1
	v_subb_co_u32_e32 v21, vcc, v3, v1, vcc
	s_branch .LBB55_2294
.LBB55_2292:
	s_mov_b64 s[20:21], -1
                                        ; implicit-def: $vgpr20_vgpr21
	s_branch .LBB55_2295
.LBB55_2293:
	s_mov_b64 s[6:7], -1
                                        ; implicit-def: $vgpr20_vgpr21
.LBB55_2294:
	s_mov_b64 s[20:21], 0
.LBB55_2295:
	s_and_b64 vcc, exec, s[20:21]
	s_cbranch_vccz .LBB55_2297
; %bb.2296:
	s_cmp_lg_u32 s24, 11
	s_mov_b64 s[16:17], -1
	s_cselect_b64 s[6:7], -1, 0
.LBB55_2297:
	s_and_b64 vcc, exec, s[6:7]
	s_cbranch_vccnz .LBB55_2362
; %bb.2298:
	s_andn2_b64 vcc, exec, s[16:17]
	s_cbranch_vccnz .LBB55_2300
.LBB55_2299:
	global_load_ubyte v1, v[22:23], off
	s_mov_b32 s6, 0
	s_waitcnt vmcnt(1)
	v_mov_b32_e32 v21, s6
	s_mov_b64 s[18:19], -1
	s_waitcnt vmcnt(0)
	v_cmp_ne_u16_e32 vcc, 0, v1
	v_cndmask_b32_e64 v20, 0, 1, vcc
.LBB55_2300:
	s_mov_b64 s[6:7], 0
.LBB55_2301:
	s_and_b64 vcc, exec, s[6:7]
	s_cbranch_vccz .LBB55_2350
; %bb.2302:
	s_and_b32 s16, 0xffff, s23
	s_cmp_lt_i32 s16, 5
	s_cbranch_scc1 .LBB55_2307
; %bb.2303:
	s_cmp_lt_i32 s16, 8
	s_cbranch_scc1 .LBB55_2308
; %bb.2304:
	;; [unrolled: 3-line block ×3, first 2 shown]
	s_cmp_gt_i32 s16, 9
	s_cbranch_scc0 .LBB55_2310
; %bb.2306:
	global_load_dwordx2 v[20:21], v[22:23], off
	s_movk_i32 s6, 0xffe0
	s_waitcnt vmcnt(0)
	v_trunc_f64_e32 v[20:21], v[20:21]
	v_ldexp_f64 v[24:25], v[20:21], s6
	s_mov_b32 s6, 0
	s_mov_b32 s7, 0xc1f00000
	v_floor_f64_e32 v[24:25], v[24:25]
	v_fma_f64 v[26:27], v[24:25], s[6:7], v[20:21]
	v_cvt_i32_f64_e32 v21, v[24:25]
	s_mov_b64 s[6:7], 0
	v_cvt_u32_f64_e32 v20, v[26:27]
	s_branch .LBB55_2311
.LBB55_2307:
	s_mov_b64 s[6:7], -1
                                        ; implicit-def: $vgpr20_vgpr21
	s_branch .LBB55_2329
.LBB55_2308:
	s_mov_b64 s[6:7], -1
                                        ; implicit-def: $vgpr20_vgpr21
	s_branch .LBB55_2317
.LBB55_2309:
	s_mov_b64 s[6:7], -1
                                        ; implicit-def: $vgpr20_vgpr21
	s_branch .LBB55_2314
.LBB55_2310:
	s_mov_b64 s[6:7], -1
                                        ; implicit-def: $vgpr20_vgpr21
.LBB55_2311:
	s_andn2_b64 vcc, exec, s[6:7]
	s_cbranch_vccnz .LBB55_2313
; %bb.2312:
	global_load_dword v1, v[22:23], off
	s_mov_b32 s6, 0x2f800000
	s_mov_b32 s7, 0xcf800000
	s_waitcnt vmcnt(0)
	v_trunc_f32_e32 v1, v1
	v_mul_f32_e64 v3, |v1|, s6
	v_floor_f32_e32 v3, v3
	v_cvt_u32_f32_e32 v5, v3
	v_fma_f32 v3, v3, s7, |v1|
	v_cvt_u32_f32_e32 v3, v3
	v_ashrrev_i32_e32 v1, 31, v1
	v_xor_b32_e32 v5, v5, v1
	v_xor_b32_e32 v3, v3, v1
	v_sub_co_u32_e32 v20, vcc, v3, v1
	v_subb_co_u32_e32 v21, vcc, v5, v1, vcc
.LBB55_2313:
	s_mov_b64 s[6:7], 0
.LBB55_2314:
	s_andn2_b64 vcc, exec, s[6:7]
	s_cbranch_vccnz .LBB55_2316
; %bb.2315:
	global_load_dword v1, v[22:23], off
	s_waitcnt vmcnt(0)
	v_cvt_f32_f16_e32 v1, v1
	v_cvt_i32_f32_e32 v20, v1
	v_ashrrev_i32_e32 v21, 31, v20
.LBB55_2316:
	s_mov_b64 s[6:7], 0
.LBB55_2317:
	s_andn2_b64 vcc, exec, s[6:7]
	s_cbranch_vccnz .LBB55_2328
; %bb.2318:
	s_cmp_lt_i32 s16, 6
	s_cbranch_scc1 .LBB55_2321
; %bb.2319:
	s_cmp_gt_i32 s16, 6
	s_cbranch_scc0 .LBB55_2322
; %bb.2320:
	global_load_dwordx2 v[20:21], v[22:23], off
	s_movk_i32 s6, 0xffe0
	s_waitcnt vmcnt(0)
	v_trunc_f64_e32 v[20:21], v[20:21]
	v_ldexp_f64 v[24:25], v[20:21], s6
	s_mov_b32 s6, 0
	s_mov_b32 s7, 0xc1f00000
	v_floor_f64_e32 v[24:25], v[24:25]
	v_fma_f64 v[26:27], v[24:25], s[6:7], v[20:21]
	v_cvt_i32_f64_e32 v21, v[24:25]
	s_mov_b64 s[6:7], 0
	v_cvt_u32_f64_e32 v20, v[26:27]
	s_branch .LBB55_2323
.LBB55_2321:
	s_mov_b64 s[6:7], -1
                                        ; implicit-def: $vgpr20_vgpr21
	s_branch .LBB55_2326
.LBB55_2322:
	s_mov_b64 s[6:7], -1
                                        ; implicit-def: $vgpr20_vgpr21
.LBB55_2323:
	s_andn2_b64 vcc, exec, s[6:7]
	s_cbranch_vccnz .LBB55_2325
; %bb.2324:
	global_load_dword v1, v[22:23], off
	s_mov_b32 s6, 0x2f800000
	s_mov_b32 s7, 0xcf800000
	s_waitcnt vmcnt(0)
	v_trunc_f32_e32 v1, v1
	v_mul_f32_e64 v3, |v1|, s6
	v_floor_f32_e32 v3, v3
	v_cvt_u32_f32_e32 v5, v3
	v_fma_f32 v3, v3, s7, |v1|
	v_cvt_u32_f32_e32 v3, v3
	v_ashrrev_i32_e32 v1, 31, v1
	v_xor_b32_e32 v5, v5, v1
	v_xor_b32_e32 v3, v3, v1
	v_sub_co_u32_e32 v20, vcc, v3, v1
	v_subb_co_u32_e32 v21, vcc, v5, v1, vcc
.LBB55_2325:
	s_mov_b64 s[6:7], 0
.LBB55_2326:
	s_andn2_b64 vcc, exec, s[6:7]
	s_cbranch_vccnz .LBB55_2328
; %bb.2327:
	global_load_ushort v1, v[22:23], off
	s_waitcnt vmcnt(0)
	v_cvt_f32_f16_e32 v1, v1
	v_cvt_i32_f32_e32 v20, v1
	v_ashrrev_i32_e32 v21, 31, v20
.LBB55_2328:
	s_mov_b64 s[6:7], 0
.LBB55_2329:
	s_andn2_b64 vcc, exec, s[6:7]
	s_cbranch_vccnz .LBB55_2349
; %bb.2330:
	s_cmp_lt_i32 s16, 2
	s_cbranch_scc1 .LBB55_2334
; %bb.2331:
	s_cmp_lt_i32 s16, 3
	s_cbranch_scc1 .LBB55_2335
; %bb.2332:
	s_cmp_gt_i32 s16, 3
	s_cbranch_scc0 .LBB55_2336
; %bb.2333:
	global_load_dwordx2 v[20:21], v[22:23], off
	s_mov_b64 s[6:7], 0
	s_branch .LBB55_2337
.LBB55_2334:
	s_mov_b64 s[6:7], -1
                                        ; implicit-def: $vgpr20_vgpr21
	s_branch .LBB55_2343
.LBB55_2335:
	s_mov_b64 s[6:7], -1
                                        ; implicit-def: $vgpr20_vgpr21
	s_branch .LBB55_2340
.LBB55_2336:
	s_mov_b64 s[6:7], -1
                                        ; implicit-def: $vgpr20_vgpr21
.LBB55_2337:
	s_andn2_b64 vcc, exec, s[6:7]
	s_cbranch_vccnz .LBB55_2339
; %bb.2338:
	global_load_dword v20, v[22:23], off
	s_waitcnt vmcnt(0)
	v_ashrrev_i32_e32 v21, 31, v20
.LBB55_2339:
	s_mov_b64 s[6:7], 0
.LBB55_2340:
	s_andn2_b64 vcc, exec, s[6:7]
	s_cbranch_vccnz .LBB55_2342
; %bb.2341:
	global_load_ushort v1, v[22:23], off
	s_waitcnt vmcnt(0)
	v_bfe_i32 v20, v1, 0, 16
	v_ashrrev_i32_e32 v21, 31, v20
.LBB55_2342:
	s_mov_b64 s[6:7], 0
.LBB55_2343:
	s_andn2_b64 vcc, exec, s[6:7]
	s_cbranch_vccnz .LBB55_2349
; %bb.2344:
	s_cmp_gt_i32 s16, 0
	s_cbranch_scc0 .LBB55_2346
; %bb.2345:
	global_load_sbyte v1, v[22:23], off
	s_mov_b64 s[6:7], 0
	s_waitcnt vmcnt(0)
	v_bfe_i32 v20, v1, 0, 16
	v_ashrrev_i32_e32 v21, 31, v20
	s_branch .LBB55_2347
.LBB55_2346:
	s_mov_b64 s[6:7], -1
                                        ; implicit-def: $vgpr20_vgpr21
.LBB55_2347:
	s_andn2_b64 vcc, exec, s[6:7]
	s_cbranch_vccnz .LBB55_2349
; %bb.2348:
	global_load_ubyte v1, v[22:23], off
	s_mov_b32 s6, 0
	s_waitcnt vmcnt(1)
	v_mov_b32_e32 v21, s6
	s_waitcnt vmcnt(0)
	v_and_b32_e32 v20, 0xffff, v1
.LBB55_2349:
	s_mov_b64 s[18:19], -1
.LBB55_2350:
	s_andn2_b64 vcc, exec, s[18:19]
	s_cbranch_vccnz .LBB55_3036
; %bb.2351:
	v_mov_b32_e32 v1, s11
	v_add_co_u32_e32 v24, vcc, s10, v14
	s_cmp_lt_i32 s22, 11
	v_addc_co_u32_e32 v25, vcc, 0, v1, vcc
	s_cbranch_scc1 .LBB55_2358
; %bb.2352:
	s_and_b32 s20, 0xffff, s22
	s_cmp_gt_i32 s20, 25
	s_mov_b64 s[10:11], 0
	s_cbranch_scc0 .LBB55_2359
; %bb.2353:
	s_cmp_gt_i32 s20, 28
	s_cbranch_scc0 .LBB55_2360
; %bb.2354:
	s_cmp_gt_i32 s20, 43
	;; [unrolled: 3-line block ×3, first 2 shown]
	s_cbranch_scc0 .LBB55_2363
; %bb.2356:
	s_cmp_eq_u32 s20, 46
	s_mov_b64 s[18:19], 0
	s_cbranch_scc0 .LBB55_2364
; %bb.2357:
	global_load_dword v1, v[24:25], off
	s_mov_b32 s6, 0x2f800000
	s_mov_b32 s7, 0xcf800000
	s_mov_b64 s[16:17], -1
	s_waitcnt vmcnt(0)
	v_lshlrev_b32_e32 v1, 16, v1
	v_trunc_f32_e32 v1, v1
	v_mul_f32_e64 v3, |v1|, s6
	v_floor_f32_e32 v3, v3
	v_fma_f32 v5, v3, s7, |v1|
	v_cvt_u32_f32_e32 v5, v5
	v_cvt_u32_f32_e32 v3, v3
	v_ashrrev_i32_e32 v1, 31, v1
	s_mov_b64 s[6:7], 0
	v_xor_b32_e32 v5, v5, v1
	v_xor_b32_e32 v3, v3, v1
	v_sub_co_u32_e32 v22, vcc, v5, v1
	v_subb_co_u32_e32 v23, vcc, v3, v1, vcc
	s_branch .LBB55_2365
.LBB55_2358:
	s_mov_b64 s[6:7], -1
	s_mov_b64 s[16:17], 0
                                        ; implicit-def: $vgpr22_vgpr23
	s_branch .LBB55_2427
.LBB55_2359:
	s_mov_b64 s[18:19], -1
	s_mov_b64 s[16:17], 0
	s_mov_b64 s[6:7], 0
                                        ; implicit-def: $vgpr22_vgpr23
	s_branch .LBB55_2394
.LBB55_2360:
	s_mov_b64 s[18:19], -1
	s_mov_b64 s[16:17], 0
	s_mov_b64 s[6:7], 0
                                        ; implicit-def: $vgpr22_vgpr23
	s_branch .LBB55_2375
.LBB55_2361:
	s_mov_b64 s[18:19], -1
	s_mov_b64 s[16:17], 0
	s_mov_b64 s[6:7], 0
                                        ; implicit-def: $vgpr22_vgpr23
	s_branch .LBB55_2370
.LBB55_2362:
	s_trap 2
	s_or_b64 s[4:5], s[4:5], exec
	s_cbranch_execz .LBB55_2299
	s_branch .LBB55_2300
.LBB55_2363:
	s_mov_b64 s[18:19], -1
	s_mov_b64 s[16:17], 0
	s_mov_b64 s[6:7], 0
                                        ; implicit-def: $vgpr22_vgpr23
	s_branch .LBB55_2365
.LBB55_2364:
	s_mov_b64 s[6:7], -1
                                        ; implicit-def: $vgpr22_vgpr23
	s_mov_b64 s[16:17], 0
.LBB55_2365:
	s_and_b64 vcc, exec, s[18:19]
	s_cbranch_vccz .LBB55_2369
; %bb.2366:
	s_cmp_eq_u32 s20, 44
	s_cbranch_scc0 .LBB55_2368
; %bb.2367:
	global_load_ubyte v1, v[24:25], off
	s_mov_b32 s6, 0x2f800000
	s_mov_b32 s7, 0xcf800000
	s_mov_b64 s[16:17], -1
	s_waitcnt vmcnt(0)
	v_lshlrev_b32_e32 v3, 23, v1
	v_trunc_f32_e32 v3, v3
	v_mul_f32_e64 v5, |v3|, s6
	v_floor_f32_e32 v5, v5
	v_fma_f32 v14, v5, s7, |v3|
	v_cvt_u32_f32_e32 v14, v14
	v_cvt_u32_f32_e32 v5, v5
	v_ashrrev_i32_e32 v3, 31, v3
	s_mov_b64 s[6:7], 0
	v_xor_b32_e32 v14, v14, v3
	v_xor_b32_e32 v5, v5, v3
	v_sub_co_u32_e32 v14, vcc, v14, v3
	v_subb_co_u32_e32 v3, vcc, v5, v3, vcc
	v_cmp_ne_u32_e32 vcc, 0, v1
	v_cndmask_b32_e32 v23, 0, v3, vcc
	v_cndmask_b32_e32 v22, 0, v14, vcc
	s_branch .LBB55_2369
.LBB55_2368:
	s_mov_b64 s[6:7], -1
                                        ; implicit-def: $vgpr22_vgpr23
.LBB55_2369:
	s_mov_b64 s[18:19], 0
.LBB55_2370:
	s_and_b64 vcc, exec, s[18:19]
	s_cbranch_vccz .LBB55_2374
; %bb.2371:
	s_cmp_eq_u32 s20, 29
	s_cbranch_scc0 .LBB55_2373
; %bb.2372:
	global_load_dwordx2 v[22:23], v[24:25], off
	s_mov_b64 s[6:7], 0
	s_mov_b64 s[16:17], -1
	s_branch .LBB55_2374
.LBB55_2373:
	s_mov_b64 s[6:7], -1
                                        ; implicit-def: $vgpr22_vgpr23
.LBB55_2374:
	s_mov_b64 s[18:19], 0
.LBB55_2375:
	s_and_b64 vcc, exec, s[18:19]
	s_cbranch_vccz .LBB55_2393
; %bb.2376:
	s_cmp_lt_i32 s20, 27
	s_cbranch_scc1 .LBB55_2379
; %bb.2377:
	s_cmp_gt_i32 s20, 27
	s_cbranch_scc0 .LBB55_2380
; %bb.2378:
	global_load_dword v22, v[24:25], off
	s_waitcnt vmcnt(1)
	v_mov_b32_e32 v23, 0
	s_mov_b64 s[16:17], 0
	s_branch .LBB55_2381
.LBB55_2379:
	s_mov_b64 s[16:17], -1
                                        ; implicit-def: $vgpr22_vgpr23
	s_branch .LBB55_2384
.LBB55_2380:
	s_mov_b64 s[16:17], -1
                                        ; implicit-def: $vgpr22_vgpr23
.LBB55_2381:
	s_andn2_b64 vcc, exec, s[16:17]
	s_cbranch_vccnz .LBB55_2383
; %bb.2382:
	global_load_ushort v1, v[24:25], off
	s_mov_b32 s16, 0
	s_waitcnt vmcnt(1)
	v_mov_b32_e32 v23, s16
	s_waitcnt vmcnt(0)
	v_and_b32_e32 v22, 0xffff, v1
.LBB55_2383:
	s_mov_b64 s[16:17], 0
.LBB55_2384:
	s_andn2_b64 vcc, exec, s[16:17]
	s_cbranch_vccnz .LBB55_2392
; %bb.2385:
	global_load_ubyte v1, v[24:25], off
	s_movk_i32 s16, 0x7f
	s_mov_b64 s[18:19], 0
	s_waitcnt vmcnt(0)
	v_cmp_lt_i16_e32 vcc, s16, v1
	s_and_saveexec_b64 s[16:17], vcc
	s_xor_b64 s[16:17], exec, s[16:17]
; %bb.2386:
	s_movk_i32 s18, 0x80
	v_cmp_ne_u16_e32 vcc, s18, v1
	s_and_b64 s[18:19], vcc, exec
; %bb.2387:
	s_andn2_saveexec_b64 s[16:17], s[16:17]
; %bb.2388:
	v_cmp_ne_u16_e32 vcc, 0, v1
	s_andn2_b64 s[18:19], s[18:19], exec
	s_and_b64 s[24:25], vcc, exec
	s_or_b64 s[18:19], s[18:19], s[24:25]
; %bb.2389:
	s_or_b64 exec, exec, s[16:17]
	v_mov_b32_e32 v22, 0
	v_mov_b32_e32 v23, 0
	s_and_saveexec_b64 s[16:17], s[18:19]
	s_cbranch_execz .LBB55_2391
; %bb.2390:
	v_lshlrev_b32_e32 v3, 24, v1
	v_and_b32_e32 v1, 0xffff, v1
	v_and_b32_e32 v5, 7, v1
	v_ffbh_u32_e32 v17, v5
	v_min_u32_e32 v17, 32, v17
	v_subrev_u32_e32 v22, 28, v17
	v_bfe_u32 v14, v1, 3, 4
	v_lshlrev_b32_e32 v1, v22, v1
	v_sub_u32_e32 v17, 29, v17
	v_and_b32_e32 v1, 7, v1
	v_cmp_eq_u32_e32 vcc, 0, v14
	v_cndmask_b32_e32 v14, v14, v17, vcc
	v_cndmask_b32_e32 v1, v5, v1, vcc
	v_mov_b32_e32 v5, 0x3b800000
	v_lshlrev_b32_e32 v1, 20, v1
	v_and_b32_e32 v3, 0x80000000, v3
	v_lshl_add_u32 v5, v14, 23, v5
	v_or3_b32 v1, v3, v5, v1
	v_trunc_f32_e32 v1, v1
	s_mov_b32 s18, 0x2f800000
	v_mul_f32_e64 v3, |v1|, s18
	v_floor_f32_e32 v3, v3
	s_mov_b32 s18, 0xcf800000
	v_fma_f32 v5, v3, s18, |v1|
	v_cvt_u32_f32_e32 v5, v5
	v_cvt_u32_f32_e32 v3, v3
	v_ashrrev_i32_e32 v1, 31, v1
	v_xor_b32_e32 v5, v5, v1
	v_xor_b32_e32 v3, v3, v1
	v_sub_co_u32_e32 v22, vcc, v5, v1
	v_subb_co_u32_e32 v23, vcc, v3, v1, vcc
.LBB55_2391:
	s_or_b64 exec, exec, s[16:17]
.LBB55_2392:
	s_mov_b64 s[16:17], -1
.LBB55_2393:
	s_mov_b64 s[18:19], 0
.LBB55_2394:
	s_and_b64 vcc, exec, s[18:19]
	s_cbranch_vccz .LBB55_2423
; %bb.2395:
	s_cmp_gt_i32 s20, 22
	s_cbranch_scc0 .LBB55_2405
; %bb.2396:
	s_cmp_lt_i32 s20, 24
	s_cbranch_scc1 .LBB55_2406
; %bb.2397:
	s_cmp_gt_i32 s20, 24
	s_cbranch_scc0 .LBB55_2407
; %bb.2398:
	global_load_ubyte v1, v[24:25], off
	s_movk_i32 s10, 0x7f
	s_mov_b64 s[16:17], 0
	s_waitcnt vmcnt(0)
	v_cmp_lt_i16_e32 vcc, s10, v1
	s_and_saveexec_b64 s[10:11], vcc
	s_xor_b64 s[10:11], exec, s[10:11]
; %bb.2399:
	s_movk_i32 s16, 0x80
	v_cmp_ne_u16_e32 vcc, s16, v1
	s_and_b64 s[16:17], vcc, exec
; %bb.2400:
	s_andn2_saveexec_b64 s[10:11], s[10:11]
; %bb.2401:
	v_cmp_ne_u16_e32 vcc, 0, v1
	s_andn2_b64 s[16:17], s[16:17], exec
	s_and_b64 s[18:19], vcc, exec
	s_or_b64 s[16:17], s[16:17], s[18:19]
; %bb.2402:
	s_or_b64 exec, exec, s[10:11]
	v_mov_b32_e32 v22, 0
	v_mov_b32_e32 v23, 0
	s_and_saveexec_b64 s[10:11], s[16:17]
	s_cbranch_execz .LBB55_2404
; %bb.2403:
	v_lshlrev_b32_e32 v3, 24, v1
	v_and_b32_e32 v1, 0xffff, v1
	v_and_b32_e32 v5, 3, v1
	v_ffbh_u32_e32 v17, v5
	v_min_u32_e32 v17, 32, v17
	v_subrev_u32_e32 v22, 29, v17
	v_bfe_u32 v14, v1, 2, 5
	v_lshlrev_b32_e32 v1, v22, v1
	v_sub_u32_e32 v17, 30, v17
	v_and_b32_e32 v1, 3, v1
	v_cmp_eq_u32_e32 vcc, 0, v14
	v_cndmask_b32_e32 v14, v14, v17, vcc
	v_cndmask_b32_e32 v1, v5, v1, vcc
	v_mov_b32_e32 v5, 0x37800000
	v_lshlrev_b32_e32 v1, 21, v1
	v_and_b32_e32 v3, 0x80000000, v3
	v_lshl_add_u32 v5, v14, 23, v5
	v_or3_b32 v1, v3, v5, v1
	v_trunc_f32_e32 v1, v1
	s_mov_b32 s16, 0x2f800000
	v_mul_f32_e64 v3, |v1|, s16
	v_floor_f32_e32 v3, v3
	s_mov_b32 s16, 0xcf800000
	v_fma_f32 v5, v3, s16, |v1|
	v_cvt_u32_f32_e32 v5, v5
	v_cvt_u32_f32_e32 v3, v3
	v_ashrrev_i32_e32 v1, 31, v1
	v_xor_b32_e32 v5, v5, v1
	v_xor_b32_e32 v3, v3, v1
	v_sub_co_u32_e32 v22, vcc, v5, v1
	v_subb_co_u32_e32 v23, vcc, v3, v1, vcc
.LBB55_2404:
	s_or_b64 exec, exec, s[10:11]
	s_mov_b64 s[10:11], 0
	s_branch .LBB55_2408
.LBB55_2405:
	s_mov_b64 s[10:11], -1
                                        ; implicit-def: $vgpr22_vgpr23
	s_branch .LBB55_2414
.LBB55_2406:
	s_mov_b64 s[10:11], -1
                                        ; implicit-def: $vgpr22_vgpr23
	s_branch .LBB55_2411
.LBB55_2407:
	s_mov_b64 s[10:11], -1
                                        ; implicit-def: $vgpr22_vgpr23
.LBB55_2408:
	s_and_b64 vcc, exec, s[10:11]
	s_cbranch_vccz .LBB55_2410
; %bb.2409:
	global_load_ubyte v1, v[24:25], off
	s_mov_b32 s10, 0x7f800000
	s_brev_b32 s11, 1
	s_mov_b32 s16, 0x2f800000
	s_mov_b32 s17, 0xcf800000
	s_waitcnt vmcnt(0)
	v_lshlrev_b32_e32 v1, 24, v1
	v_and_b32_e32 v3, 0x7f000000, v1
	v_ffbh_u32_e32 v5, v3
	v_min_u32_e32 v5, 32, v5
	v_sub_u32_e64 v5, v5, 4 clamp
	v_lshlrev_b32_e32 v17, v5, v3
	v_lshlrev_b32_e32 v5, 23, v5
	v_lshrrev_b32_e32 v17, 4, v17
	v_add_u32_e32 v14, 0x1000000, v3
	v_sub_u32_e32 v5, v17, v5
	v_ashrrev_i32_e32 v14, 8, v14
	v_add_u32_e32 v5, 0x3c000000, v5
	v_and_or_b32 v5, v14, s10, v5
	v_cmp_ne_u32_e32 vcc, 0, v3
	v_cndmask_b32_e32 v3, 0, v5, vcc
	v_and_or_b32 v1, v1, s11, v3
	v_trunc_f32_e32 v1, v1
	v_mul_f32_e64 v3, |v1|, s16
	v_floor_f32_e32 v3, v3
	v_fma_f32 v5, v3, s17, |v1|
	v_cvt_u32_f32_e32 v5, v5
	v_cvt_u32_f32_e32 v3, v3
	v_ashrrev_i32_e32 v1, 31, v1
	v_xor_b32_e32 v5, v5, v1
	v_xor_b32_e32 v3, v3, v1
	v_sub_co_u32_e32 v22, vcc, v5, v1
	v_subb_co_u32_e32 v23, vcc, v3, v1, vcc
.LBB55_2410:
	s_mov_b64 s[10:11], 0
.LBB55_2411:
	s_andn2_b64 vcc, exec, s[10:11]
	s_cbranch_vccnz .LBB55_2413
; %bb.2412:
	global_load_ubyte v1, v[24:25], off
	s_movk_i32 s10, 0x7f00
	s_brev_b32 s11, 16
	s_brev_b32 s16, 1
	s_mov_b32 s17, 0x2f800000
	s_mov_b32 s18, 0xcf800000
	s_waitcnt vmcnt(0)
	v_lshlrev_b16_e32 v3, 8, v1
	v_lshlrev_b32_e32 v1, 25, v1
	v_lshrrev_b32_e32 v5, 4, v1
	v_and_or_b32 v14, v3, s10, 0.5
	v_or_b32_e32 v5, 0x70000000, v5
	v_add_f32_e32 v14, -0.5, v14
	v_mul_f32_e32 v5, 0x7800000, v5
	v_cmp_gt_u32_e32 vcc, s11, v1
	v_bfe_i32 v3, v3, 0, 16
	v_cndmask_b32_e32 v1, v5, v14, vcc
	v_and_or_b32 v1, v3, s16, v1
	v_trunc_f32_e32 v1, v1
	v_mul_f32_e64 v3, |v1|, s17
	v_floor_f32_e32 v3, v3
	v_fma_f32 v5, v3, s18, |v1|
	v_cvt_u32_f32_e32 v5, v5
	v_cvt_u32_f32_e32 v3, v3
	v_ashrrev_i32_e32 v1, 31, v1
	v_xor_b32_e32 v5, v5, v1
	v_xor_b32_e32 v3, v3, v1
	v_sub_co_u32_e32 v22, vcc, v5, v1
	v_subb_co_u32_e32 v23, vcc, v3, v1, vcc
.LBB55_2413:
	s_mov_b64 s[10:11], 0
	s_mov_b64 s[16:17], -1
.LBB55_2414:
	s_andn2_b64 vcc, exec, s[10:11]
	s_mov_b64 s[10:11], 0
	s_cbranch_vccnz .LBB55_2423
; %bb.2415:
	s_cmp_gt_i32 s20, 14
	s_cbranch_scc0 .LBB55_2418
; %bb.2416:
	s_cmp_eq_u32 s20, 15
	s_cbranch_scc0 .LBB55_2419
; %bb.2417:
	global_load_ushort v1, v[24:25], off
	s_mov_b32 s6, 0x2f800000
	s_mov_b32 s7, 0xcf800000
	s_mov_b64 s[16:17], -1
	s_waitcnt vmcnt(0)
	v_lshlrev_b32_e32 v1, 16, v1
	v_trunc_f32_e32 v1, v1
	v_mul_f32_e64 v3, |v1|, s6
	v_floor_f32_e32 v3, v3
	v_fma_f32 v5, v3, s7, |v1|
	v_cvt_u32_f32_e32 v5, v5
	v_cvt_u32_f32_e32 v3, v3
	v_ashrrev_i32_e32 v1, 31, v1
	s_mov_b64 s[6:7], 0
	v_xor_b32_e32 v5, v5, v1
	v_xor_b32_e32 v3, v3, v1
	v_sub_co_u32_e32 v22, vcc, v5, v1
	v_subb_co_u32_e32 v23, vcc, v3, v1, vcc
	s_branch .LBB55_2420
.LBB55_2418:
	s_mov_b64 s[18:19], -1
                                        ; implicit-def: $vgpr22_vgpr23
	s_branch .LBB55_2421
.LBB55_2419:
	s_mov_b64 s[6:7], -1
                                        ; implicit-def: $vgpr22_vgpr23
.LBB55_2420:
	s_mov_b64 s[18:19], 0
.LBB55_2421:
	s_and_b64 vcc, exec, s[18:19]
	s_cbranch_vccz .LBB55_2423
; %bb.2422:
	s_cmp_lg_u32 s20, 11
	s_mov_b64 s[10:11], -1
	s_cselect_b64 s[6:7], -1, 0
.LBB55_2423:
	s_and_b64 vcc, exec, s[6:7]
	s_cbranch_vccnz .LBB55_2488
; %bb.2424:
	s_andn2_b64 vcc, exec, s[10:11]
	s_cbranch_vccnz .LBB55_2426
.LBB55_2425:
	global_load_ubyte v1, v[24:25], off
	s_mov_b32 s6, 0
	s_waitcnt vmcnt(1)
	v_mov_b32_e32 v23, s6
	s_mov_b64 s[16:17], -1
	s_waitcnt vmcnt(0)
	v_cmp_ne_u16_e32 vcc, 0, v1
	v_cndmask_b32_e64 v22, 0, 1, vcc
.LBB55_2426:
	s_mov_b64 s[6:7], 0
.LBB55_2427:
	s_and_b64 vcc, exec, s[6:7]
	s_cbranch_vccz .LBB55_2476
; %bb.2428:
	s_and_b32 s10, 0xffff, s22
	s_cmp_lt_i32 s10, 5
	s_cbranch_scc1 .LBB55_2433
; %bb.2429:
	s_cmp_lt_i32 s10, 8
	s_cbranch_scc1 .LBB55_2434
; %bb.2430:
	;; [unrolled: 3-line block ×3, first 2 shown]
	s_cmp_gt_i32 s10, 9
	s_cbranch_scc0 .LBB55_2436
; %bb.2432:
	global_load_dwordx2 v[22:23], v[24:25], off
	s_movk_i32 s6, 0xffe0
	s_waitcnt vmcnt(0)
	v_trunc_f64_e32 v[22:23], v[22:23]
	v_ldexp_f64 v[26:27], v[22:23], s6
	s_mov_b32 s6, 0
	s_mov_b32 s7, 0xc1f00000
	v_floor_f64_e32 v[26:27], v[26:27]
	v_fma_f64 v[28:29], v[26:27], s[6:7], v[22:23]
	v_cvt_i32_f64_e32 v23, v[26:27]
	s_mov_b64 s[6:7], 0
	v_cvt_u32_f64_e32 v22, v[28:29]
	s_branch .LBB55_2437
.LBB55_2433:
	s_mov_b64 s[6:7], -1
                                        ; implicit-def: $vgpr22_vgpr23
	s_branch .LBB55_2455
.LBB55_2434:
	s_mov_b64 s[6:7], -1
                                        ; implicit-def: $vgpr22_vgpr23
	s_branch .LBB55_2443
.LBB55_2435:
	s_mov_b64 s[6:7], -1
                                        ; implicit-def: $vgpr22_vgpr23
	s_branch .LBB55_2440
.LBB55_2436:
	s_mov_b64 s[6:7], -1
                                        ; implicit-def: $vgpr22_vgpr23
.LBB55_2437:
	s_andn2_b64 vcc, exec, s[6:7]
	s_cbranch_vccnz .LBB55_2439
; %bb.2438:
	global_load_dword v1, v[24:25], off
	s_mov_b32 s6, 0x2f800000
	s_mov_b32 s7, 0xcf800000
	s_waitcnt vmcnt(0)
	v_trunc_f32_e32 v1, v1
	v_mul_f32_e64 v3, |v1|, s6
	v_floor_f32_e32 v3, v3
	v_cvt_u32_f32_e32 v5, v3
	v_fma_f32 v3, v3, s7, |v1|
	v_cvt_u32_f32_e32 v3, v3
	v_ashrrev_i32_e32 v1, 31, v1
	v_xor_b32_e32 v5, v5, v1
	v_xor_b32_e32 v3, v3, v1
	v_sub_co_u32_e32 v22, vcc, v3, v1
	v_subb_co_u32_e32 v23, vcc, v5, v1, vcc
.LBB55_2439:
	s_mov_b64 s[6:7], 0
.LBB55_2440:
	s_andn2_b64 vcc, exec, s[6:7]
	s_cbranch_vccnz .LBB55_2442
; %bb.2441:
	global_load_dword v1, v[24:25], off
	s_waitcnt vmcnt(0)
	v_cvt_f32_f16_e32 v1, v1
	v_cvt_i32_f32_e32 v22, v1
	v_ashrrev_i32_e32 v23, 31, v22
.LBB55_2442:
	s_mov_b64 s[6:7], 0
.LBB55_2443:
	s_andn2_b64 vcc, exec, s[6:7]
	s_cbranch_vccnz .LBB55_2454
; %bb.2444:
	s_cmp_lt_i32 s10, 6
	s_cbranch_scc1 .LBB55_2447
; %bb.2445:
	s_cmp_gt_i32 s10, 6
	s_cbranch_scc0 .LBB55_2448
; %bb.2446:
	global_load_dwordx2 v[22:23], v[24:25], off
	s_movk_i32 s6, 0xffe0
	s_waitcnt vmcnt(0)
	v_trunc_f64_e32 v[22:23], v[22:23]
	v_ldexp_f64 v[26:27], v[22:23], s6
	s_mov_b32 s6, 0
	s_mov_b32 s7, 0xc1f00000
	v_floor_f64_e32 v[26:27], v[26:27]
	v_fma_f64 v[28:29], v[26:27], s[6:7], v[22:23]
	v_cvt_i32_f64_e32 v23, v[26:27]
	s_mov_b64 s[6:7], 0
	v_cvt_u32_f64_e32 v22, v[28:29]
	s_branch .LBB55_2449
.LBB55_2447:
	s_mov_b64 s[6:7], -1
                                        ; implicit-def: $vgpr22_vgpr23
	s_branch .LBB55_2452
.LBB55_2448:
	s_mov_b64 s[6:7], -1
                                        ; implicit-def: $vgpr22_vgpr23
.LBB55_2449:
	s_andn2_b64 vcc, exec, s[6:7]
	s_cbranch_vccnz .LBB55_2451
; %bb.2450:
	global_load_dword v1, v[24:25], off
	s_mov_b32 s6, 0x2f800000
	s_mov_b32 s7, 0xcf800000
	s_waitcnt vmcnt(0)
	v_trunc_f32_e32 v1, v1
	v_mul_f32_e64 v3, |v1|, s6
	v_floor_f32_e32 v3, v3
	v_cvt_u32_f32_e32 v5, v3
	v_fma_f32 v3, v3, s7, |v1|
	v_cvt_u32_f32_e32 v3, v3
	v_ashrrev_i32_e32 v1, 31, v1
	v_xor_b32_e32 v5, v5, v1
	v_xor_b32_e32 v3, v3, v1
	v_sub_co_u32_e32 v22, vcc, v3, v1
	v_subb_co_u32_e32 v23, vcc, v5, v1, vcc
.LBB55_2451:
	s_mov_b64 s[6:7], 0
.LBB55_2452:
	s_andn2_b64 vcc, exec, s[6:7]
	s_cbranch_vccnz .LBB55_2454
; %bb.2453:
	global_load_ushort v1, v[24:25], off
	s_waitcnt vmcnt(0)
	v_cvt_f32_f16_e32 v1, v1
	v_cvt_i32_f32_e32 v22, v1
	v_ashrrev_i32_e32 v23, 31, v22
.LBB55_2454:
	s_mov_b64 s[6:7], 0
.LBB55_2455:
	s_andn2_b64 vcc, exec, s[6:7]
	s_cbranch_vccnz .LBB55_2475
; %bb.2456:
	s_cmp_lt_i32 s10, 2
	s_cbranch_scc1 .LBB55_2460
; %bb.2457:
	s_cmp_lt_i32 s10, 3
	s_cbranch_scc1 .LBB55_2461
; %bb.2458:
	s_cmp_gt_i32 s10, 3
	s_cbranch_scc0 .LBB55_2462
; %bb.2459:
	global_load_dwordx2 v[22:23], v[24:25], off
	s_mov_b64 s[6:7], 0
	s_branch .LBB55_2463
.LBB55_2460:
	s_mov_b64 s[6:7], -1
                                        ; implicit-def: $vgpr22_vgpr23
	s_branch .LBB55_2469
.LBB55_2461:
	s_mov_b64 s[6:7], -1
                                        ; implicit-def: $vgpr22_vgpr23
	s_branch .LBB55_2466
.LBB55_2462:
	s_mov_b64 s[6:7], -1
                                        ; implicit-def: $vgpr22_vgpr23
.LBB55_2463:
	s_andn2_b64 vcc, exec, s[6:7]
	s_cbranch_vccnz .LBB55_2465
; %bb.2464:
	global_load_dword v22, v[24:25], off
	s_waitcnt vmcnt(0)
	v_ashrrev_i32_e32 v23, 31, v22
.LBB55_2465:
	s_mov_b64 s[6:7], 0
.LBB55_2466:
	s_andn2_b64 vcc, exec, s[6:7]
	s_cbranch_vccnz .LBB55_2468
; %bb.2467:
	global_load_ushort v1, v[24:25], off
	s_waitcnt vmcnt(0)
	v_bfe_i32 v22, v1, 0, 16
	v_ashrrev_i32_e32 v23, 31, v22
.LBB55_2468:
	s_mov_b64 s[6:7], 0
.LBB55_2469:
	s_andn2_b64 vcc, exec, s[6:7]
	s_cbranch_vccnz .LBB55_2475
; %bb.2470:
	s_cmp_gt_i32 s10, 0
	s_cbranch_scc0 .LBB55_2472
; %bb.2471:
	global_load_sbyte v1, v[24:25], off
	s_mov_b64 s[6:7], 0
	s_waitcnt vmcnt(0)
	v_bfe_i32 v22, v1, 0, 16
	v_ashrrev_i32_e32 v23, 31, v22
	s_branch .LBB55_2473
.LBB55_2472:
	s_mov_b64 s[6:7], -1
                                        ; implicit-def: $vgpr22_vgpr23
.LBB55_2473:
	s_andn2_b64 vcc, exec, s[6:7]
	s_cbranch_vccnz .LBB55_2475
; %bb.2474:
	global_load_ubyte v1, v[24:25], off
	s_mov_b32 s6, 0
	s_waitcnt vmcnt(1)
	v_mov_b32_e32 v23, s6
	s_waitcnt vmcnt(0)
	v_and_b32_e32 v22, 0xffff, v1
.LBB55_2475:
	s_mov_b64 s[16:17], -1
.LBB55_2476:
	s_andn2_b64 vcc, exec, s[16:17]
	s_cbranch_vccnz .LBB55_3036
; %bb.2477:
	v_mov_b32_e32 v1, s1
	v_add_co_u32_e32 v26, vcc, s0, v9
	s_cmp_lt_i32 s23, 11
	v_addc_co_u32_e32 v27, vcc, 0, v1, vcc
	s_cbranch_scc1 .LBB55_2484
; %bb.2478:
	s_and_b32 s18, 0xffff, s23
	s_cmp_gt_i32 s18, 25
	s_mov_b64 s[6:7], 0
	s_cbranch_scc0 .LBB55_2485
; %bb.2479:
	s_cmp_gt_i32 s18, 28
	s_cbranch_scc0 .LBB55_2486
; %bb.2480:
	s_cmp_gt_i32 s18, 43
	;; [unrolled: 3-line block ×3, first 2 shown]
	s_cbranch_scc0 .LBB55_2489
; %bb.2482:
	s_cmp_eq_u32 s18, 46
	s_mov_b64 s[16:17], 0
	s_cbranch_scc0 .LBB55_2490
; %bb.2483:
	global_load_dword v1, v[26:27], off
	s_mov_b32 s0, 0x2f800000
	s_mov_b32 s1, 0xcf800000
	s_mov_b64 s[10:11], -1
	s_waitcnt vmcnt(0)
	v_lshlrev_b32_e32 v1, 16, v1
	v_trunc_f32_e32 v1, v1
	v_mul_f32_e64 v3, |v1|, s0
	v_floor_f32_e32 v3, v3
	v_fma_f32 v5, v3, s1, |v1|
	v_cvt_u32_f32_e32 v5, v5
	v_cvt_u32_f32_e32 v3, v3
	v_ashrrev_i32_e32 v1, 31, v1
	s_mov_b64 s[0:1], 0
	v_xor_b32_e32 v5, v5, v1
	v_xor_b32_e32 v3, v3, v1
	v_sub_co_u32_e32 v24, vcc, v5, v1
	v_subb_co_u32_e32 v25, vcc, v3, v1, vcc
	s_branch .LBB55_2491
.LBB55_2484:
	s_mov_b64 s[0:1], -1
	s_mov_b64 s[10:11], 0
                                        ; implicit-def: $vgpr24_vgpr25
	s_branch .LBB55_2553
.LBB55_2485:
	s_mov_b64 s[16:17], -1
	s_mov_b64 s[10:11], 0
	s_mov_b64 s[0:1], 0
                                        ; implicit-def: $vgpr24_vgpr25
	s_branch .LBB55_2520
.LBB55_2486:
	s_mov_b64 s[16:17], -1
	s_mov_b64 s[10:11], 0
	s_mov_b64 s[0:1], 0
                                        ; implicit-def: $vgpr24_vgpr25
	s_branch .LBB55_2501
.LBB55_2487:
	s_mov_b64 s[16:17], -1
	s_mov_b64 s[10:11], 0
	s_mov_b64 s[0:1], 0
                                        ; implicit-def: $vgpr24_vgpr25
	s_branch .LBB55_2496
.LBB55_2488:
	s_trap 2
	s_or_b64 s[4:5], s[4:5], exec
	s_cbranch_execz .LBB55_2425
	s_branch .LBB55_2426
.LBB55_2489:
	s_mov_b64 s[16:17], -1
	s_mov_b64 s[10:11], 0
	s_mov_b64 s[0:1], 0
                                        ; implicit-def: $vgpr24_vgpr25
	s_branch .LBB55_2491
.LBB55_2490:
	s_mov_b64 s[0:1], -1
                                        ; implicit-def: $vgpr24_vgpr25
	s_mov_b64 s[10:11], 0
.LBB55_2491:
	s_and_b64 vcc, exec, s[16:17]
	s_cbranch_vccz .LBB55_2495
; %bb.2492:
	s_cmp_eq_u32 s18, 44
	s_cbranch_scc0 .LBB55_2494
; %bb.2493:
	global_load_ubyte v1, v[26:27], off
	s_mov_b32 s0, 0x2f800000
	s_mov_b32 s1, 0xcf800000
	s_mov_b64 s[10:11], -1
	s_waitcnt vmcnt(0)
	v_lshlrev_b32_e32 v3, 23, v1
	v_trunc_f32_e32 v3, v3
	v_mul_f32_e64 v5, |v3|, s0
	v_floor_f32_e32 v5, v5
	v_fma_f32 v9, v5, s1, |v3|
	v_cvt_u32_f32_e32 v9, v9
	v_cvt_u32_f32_e32 v5, v5
	v_ashrrev_i32_e32 v3, 31, v3
	s_mov_b64 s[0:1], 0
	v_xor_b32_e32 v9, v9, v3
	v_xor_b32_e32 v5, v5, v3
	v_sub_co_u32_e32 v9, vcc, v9, v3
	v_subb_co_u32_e32 v3, vcc, v5, v3, vcc
	v_cmp_ne_u32_e32 vcc, 0, v1
	v_cndmask_b32_e32 v25, 0, v3, vcc
	v_cndmask_b32_e32 v24, 0, v9, vcc
	s_branch .LBB55_2495
.LBB55_2494:
	s_mov_b64 s[0:1], -1
                                        ; implicit-def: $vgpr24_vgpr25
.LBB55_2495:
	s_mov_b64 s[16:17], 0
.LBB55_2496:
	s_and_b64 vcc, exec, s[16:17]
	s_cbranch_vccz .LBB55_2500
; %bb.2497:
	s_cmp_eq_u32 s18, 29
	s_cbranch_scc0 .LBB55_2499
; %bb.2498:
	global_load_dwordx2 v[24:25], v[26:27], off
	s_mov_b64 s[0:1], 0
	s_mov_b64 s[10:11], -1
	s_branch .LBB55_2500
.LBB55_2499:
	s_mov_b64 s[0:1], -1
                                        ; implicit-def: $vgpr24_vgpr25
.LBB55_2500:
	s_mov_b64 s[16:17], 0
.LBB55_2501:
	s_and_b64 vcc, exec, s[16:17]
	s_cbranch_vccz .LBB55_2519
; %bb.2502:
	s_cmp_lt_i32 s18, 27
	s_cbranch_scc1 .LBB55_2505
; %bb.2503:
	s_cmp_gt_i32 s18, 27
	s_cbranch_scc0 .LBB55_2506
; %bb.2504:
	global_load_dword v24, v[26:27], off
	s_waitcnt vmcnt(1)
	v_mov_b32_e32 v25, 0
	s_mov_b64 s[10:11], 0
	s_branch .LBB55_2507
.LBB55_2505:
	s_mov_b64 s[10:11], -1
                                        ; implicit-def: $vgpr24_vgpr25
	s_branch .LBB55_2510
.LBB55_2506:
	s_mov_b64 s[10:11], -1
                                        ; implicit-def: $vgpr24_vgpr25
.LBB55_2507:
	s_andn2_b64 vcc, exec, s[10:11]
	s_cbranch_vccnz .LBB55_2509
; %bb.2508:
	global_load_ushort v1, v[26:27], off
	s_mov_b32 s10, 0
	s_waitcnt vmcnt(1)
	v_mov_b32_e32 v25, s10
	s_waitcnt vmcnt(0)
	v_and_b32_e32 v24, 0xffff, v1
.LBB55_2509:
	s_mov_b64 s[10:11], 0
.LBB55_2510:
	s_andn2_b64 vcc, exec, s[10:11]
	s_cbranch_vccnz .LBB55_2518
; %bb.2511:
	global_load_ubyte v1, v[26:27], off
	s_movk_i32 s10, 0x7f
	s_mov_b64 s[16:17], 0
	s_waitcnt vmcnt(0)
	v_cmp_lt_i16_e32 vcc, s10, v1
	s_and_saveexec_b64 s[10:11], vcc
	s_xor_b64 s[10:11], exec, s[10:11]
; %bb.2512:
	s_movk_i32 s16, 0x80
	v_cmp_ne_u16_e32 vcc, s16, v1
	s_and_b64 s[16:17], vcc, exec
; %bb.2513:
	s_andn2_saveexec_b64 s[10:11], s[10:11]
; %bb.2514:
	v_cmp_ne_u16_e32 vcc, 0, v1
	s_andn2_b64 s[16:17], s[16:17], exec
	s_and_b64 s[20:21], vcc, exec
	s_or_b64 s[16:17], s[16:17], s[20:21]
; %bb.2515:
	s_or_b64 exec, exec, s[10:11]
	v_mov_b32_e32 v24, 0
	v_mov_b32_e32 v25, 0
	s_and_saveexec_b64 s[10:11], s[16:17]
	s_cbranch_execz .LBB55_2517
; %bb.2516:
	v_lshlrev_b32_e32 v3, 24, v1
	v_and_b32_e32 v1, 0xffff, v1
	v_and_b32_e32 v5, 7, v1
	v_ffbh_u32_e32 v14, v5
	v_min_u32_e32 v14, 32, v14
	v_subrev_u32_e32 v17, 28, v14
	v_bfe_u32 v9, v1, 3, 4
	v_lshlrev_b32_e32 v1, v17, v1
	v_sub_u32_e32 v14, 29, v14
	v_and_b32_e32 v1, 7, v1
	v_cmp_eq_u32_e32 vcc, 0, v9
	v_cndmask_b32_e32 v9, v9, v14, vcc
	v_cndmask_b32_e32 v1, v5, v1, vcc
	v_mov_b32_e32 v5, 0x3b800000
	v_lshlrev_b32_e32 v1, 20, v1
	v_and_b32_e32 v3, 0x80000000, v3
	v_lshl_add_u32 v5, v9, 23, v5
	v_or3_b32 v1, v3, v5, v1
	v_trunc_f32_e32 v1, v1
	s_mov_b32 s16, 0x2f800000
	v_mul_f32_e64 v3, |v1|, s16
	v_floor_f32_e32 v3, v3
	s_mov_b32 s16, 0xcf800000
	v_fma_f32 v5, v3, s16, |v1|
	v_cvt_u32_f32_e32 v5, v5
	v_cvt_u32_f32_e32 v3, v3
	v_ashrrev_i32_e32 v1, 31, v1
	v_xor_b32_e32 v5, v5, v1
	v_xor_b32_e32 v3, v3, v1
	v_sub_co_u32_e32 v24, vcc, v5, v1
	v_subb_co_u32_e32 v25, vcc, v3, v1, vcc
.LBB55_2517:
	s_or_b64 exec, exec, s[10:11]
.LBB55_2518:
	s_mov_b64 s[10:11], -1
.LBB55_2519:
	s_mov_b64 s[16:17], 0
.LBB55_2520:
	s_and_b64 vcc, exec, s[16:17]
	s_cbranch_vccz .LBB55_2549
; %bb.2521:
	s_cmp_gt_i32 s18, 22
	s_cbranch_scc0 .LBB55_2531
; %bb.2522:
	s_cmp_lt_i32 s18, 24
	s_cbranch_scc1 .LBB55_2532
; %bb.2523:
	s_cmp_gt_i32 s18, 24
	s_cbranch_scc0 .LBB55_2533
; %bb.2524:
	global_load_ubyte v1, v[26:27], off
	s_movk_i32 s6, 0x7f
	s_mov_b64 s[10:11], 0
	s_waitcnt vmcnt(0)
	v_cmp_lt_i16_e32 vcc, s6, v1
	s_and_saveexec_b64 s[6:7], vcc
	s_xor_b64 s[6:7], exec, s[6:7]
; %bb.2525:
	s_movk_i32 s10, 0x80
	v_cmp_ne_u16_e32 vcc, s10, v1
	s_and_b64 s[10:11], vcc, exec
; %bb.2526:
	s_andn2_saveexec_b64 s[6:7], s[6:7]
; %bb.2527:
	v_cmp_ne_u16_e32 vcc, 0, v1
	s_andn2_b64 s[10:11], s[10:11], exec
	s_and_b64 s[16:17], vcc, exec
	s_or_b64 s[10:11], s[10:11], s[16:17]
; %bb.2528:
	s_or_b64 exec, exec, s[6:7]
	v_mov_b32_e32 v24, 0
	v_mov_b32_e32 v25, 0
	s_and_saveexec_b64 s[6:7], s[10:11]
	s_cbranch_execz .LBB55_2530
; %bb.2529:
	v_lshlrev_b32_e32 v3, 24, v1
	v_and_b32_e32 v1, 0xffff, v1
	v_and_b32_e32 v5, 3, v1
	v_ffbh_u32_e32 v14, v5
	v_min_u32_e32 v14, 32, v14
	v_subrev_u32_e32 v17, 29, v14
	v_bfe_u32 v9, v1, 2, 5
	v_lshlrev_b32_e32 v1, v17, v1
	v_sub_u32_e32 v14, 30, v14
	v_and_b32_e32 v1, 3, v1
	v_cmp_eq_u32_e32 vcc, 0, v9
	v_cndmask_b32_e32 v9, v9, v14, vcc
	v_cndmask_b32_e32 v1, v5, v1, vcc
	v_mov_b32_e32 v5, 0x37800000
	v_lshlrev_b32_e32 v1, 21, v1
	v_and_b32_e32 v3, 0x80000000, v3
	v_lshl_add_u32 v5, v9, 23, v5
	v_or3_b32 v1, v3, v5, v1
	v_trunc_f32_e32 v1, v1
	s_mov_b32 s10, 0x2f800000
	v_mul_f32_e64 v3, |v1|, s10
	v_floor_f32_e32 v3, v3
	s_mov_b32 s10, 0xcf800000
	v_fma_f32 v5, v3, s10, |v1|
	v_cvt_u32_f32_e32 v5, v5
	v_cvt_u32_f32_e32 v3, v3
	v_ashrrev_i32_e32 v1, 31, v1
	v_xor_b32_e32 v5, v5, v1
	v_xor_b32_e32 v3, v3, v1
	v_sub_co_u32_e32 v24, vcc, v5, v1
	v_subb_co_u32_e32 v25, vcc, v3, v1, vcc
.LBB55_2530:
	s_or_b64 exec, exec, s[6:7]
	s_mov_b64 s[6:7], 0
	s_branch .LBB55_2534
.LBB55_2531:
	s_mov_b64 s[6:7], -1
                                        ; implicit-def: $vgpr24_vgpr25
	s_branch .LBB55_2540
.LBB55_2532:
	s_mov_b64 s[6:7], -1
                                        ; implicit-def: $vgpr24_vgpr25
	s_branch .LBB55_2537
.LBB55_2533:
	s_mov_b64 s[6:7], -1
                                        ; implicit-def: $vgpr24_vgpr25
.LBB55_2534:
	s_and_b64 vcc, exec, s[6:7]
	s_cbranch_vccz .LBB55_2536
; %bb.2535:
	global_load_ubyte v1, v[26:27], off
	s_mov_b32 s6, 0x7f800000
	s_brev_b32 s7, 1
	s_mov_b32 s10, 0x2f800000
	s_mov_b32 s11, 0xcf800000
	s_waitcnt vmcnt(0)
	v_lshlrev_b32_e32 v1, 24, v1
	v_and_b32_e32 v3, 0x7f000000, v1
	v_ffbh_u32_e32 v5, v3
	v_min_u32_e32 v5, 32, v5
	v_sub_u32_e64 v5, v5, 4 clamp
	v_lshlrev_b32_e32 v14, v5, v3
	v_lshlrev_b32_e32 v5, 23, v5
	v_lshrrev_b32_e32 v14, 4, v14
	v_add_u32_e32 v9, 0x1000000, v3
	v_sub_u32_e32 v5, v14, v5
	v_ashrrev_i32_e32 v9, 8, v9
	v_add_u32_e32 v5, 0x3c000000, v5
	v_and_or_b32 v5, v9, s6, v5
	v_cmp_ne_u32_e32 vcc, 0, v3
	v_cndmask_b32_e32 v3, 0, v5, vcc
	v_and_or_b32 v1, v1, s7, v3
	v_trunc_f32_e32 v1, v1
	v_mul_f32_e64 v3, |v1|, s10
	v_floor_f32_e32 v3, v3
	v_fma_f32 v5, v3, s11, |v1|
	v_cvt_u32_f32_e32 v5, v5
	v_cvt_u32_f32_e32 v3, v3
	v_ashrrev_i32_e32 v1, 31, v1
	v_xor_b32_e32 v5, v5, v1
	v_xor_b32_e32 v3, v3, v1
	v_sub_co_u32_e32 v24, vcc, v5, v1
	v_subb_co_u32_e32 v25, vcc, v3, v1, vcc
.LBB55_2536:
	s_mov_b64 s[6:7], 0
.LBB55_2537:
	s_andn2_b64 vcc, exec, s[6:7]
	s_cbranch_vccnz .LBB55_2539
; %bb.2538:
	global_load_ubyte v1, v[26:27], off
	s_movk_i32 s6, 0x7f00
	s_brev_b32 s7, 16
	s_brev_b32 s10, 1
	s_mov_b32 s11, 0x2f800000
	s_mov_b32 s16, 0xcf800000
	s_waitcnt vmcnt(0)
	v_lshlrev_b16_e32 v3, 8, v1
	v_lshlrev_b32_e32 v1, 25, v1
	v_lshrrev_b32_e32 v5, 4, v1
	v_and_or_b32 v9, v3, s6, 0.5
	v_or_b32_e32 v5, 0x70000000, v5
	v_add_f32_e32 v9, -0.5, v9
	v_mul_f32_e32 v5, 0x7800000, v5
	v_cmp_gt_u32_e32 vcc, s7, v1
	v_bfe_i32 v3, v3, 0, 16
	v_cndmask_b32_e32 v1, v5, v9, vcc
	v_and_or_b32 v1, v3, s10, v1
	v_trunc_f32_e32 v1, v1
	v_mul_f32_e64 v3, |v1|, s11
	v_floor_f32_e32 v3, v3
	v_fma_f32 v5, v3, s16, |v1|
	v_cvt_u32_f32_e32 v5, v5
	v_cvt_u32_f32_e32 v3, v3
	v_ashrrev_i32_e32 v1, 31, v1
	v_xor_b32_e32 v5, v5, v1
	v_xor_b32_e32 v3, v3, v1
	v_sub_co_u32_e32 v24, vcc, v5, v1
	v_subb_co_u32_e32 v25, vcc, v3, v1, vcc
.LBB55_2539:
	s_mov_b64 s[6:7], 0
	s_mov_b64 s[10:11], -1
.LBB55_2540:
	s_andn2_b64 vcc, exec, s[6:7]
	s_mov_b64 s[6:7], 0
	s_cbranch_vccnz .LBB55_2549
; %bb.2541:
	s_cmp_gt_i32 s18, 14
	s_cbranch_scc0 .LBB55_2544
; %bb.2542:
	s_cmp_eq_u32 s18, 15
	s_cbranch_scc0 .LBB55_2545
; %bb.2543:
	global_load_ushort v1, v[26:27], off
	s_mov_b32 s0, 0x2f800000
	s_mov_b32 s1, 0xcf800000
	s_mov_b64 s[10:11], -1
	s_waitcnt vmcnt(0)
	v_lshlrev_b32_e32 v1, 16, v1
	v_trunc_f32_e32 v1, v1
	v_mul_f32_e64 v3, |v1|, s0
	v_floor_f32_e32 v3, v3
	v_fma_f32 v5, v3, s1, |v1|
	v_cvt_u32_f32_e32 v5, v5
	v_cvt_u32_f32_e32 v3, v3
	v_ashrrev_i32_e32 v1, 31, v1
	s_mov_b64 s[0:1], 0
	v_xor_b32_e32 v5, v5, v1
	v_xor_b32_e32 v3, v3, v1
	v_sub_co_u32_e32 v24, vcc, v5, v1
	v_subb_co_u32_e32 v25, vcc, v3, v1, vcc
	s_branch .LBB55_2546
.LBB55_2544:
	s_mov_b64 s[16:17], -1
                                        ; implicit-def: $vgpr24_vgpr25
	s_branch .LBB55_2547
.LBB55_2545:
	s_mov_b64 s[0:1], -1
                                        ; implicit-def: $vgpr24_vgpr25
.LBB55_2546:
	s_mov_b64 s[16:17], 0
.LBB55_2547:
	s_and_b64 vcc, exec, s[16:17]
	s_cbranch_vccz .LBB55_2549
; %bb.2548:
	s_cmp_lg_u32 s18, 11
	s_mov_b64 s[6:7], -1
	s_cselect_b64 s[0:1], -1, 0
.LBB55_2549:
	s_and_b64 vcc, exec, s[0:1]
	s_cbranch_vccnz .LBB55_3082
; %bb.2550:
	s_andn2_b64 vcc, exec, s[6:7]
	s_cbranch_vccnz .LBB55_2552
.LBB55_2551:
	global_load_ubyte v1, v[26:27], off
	s_mov_b32 s0, 0
	s_waitcnt vmcnt(1)
	v_mov_b32_e32 v25, s0
	s_mov_b64 s[10:11], -1
	s_waitcnt vmcnt(0)
	v_cmp_ne_u16_e32 vcc, 0, v1
	v_cndmask_b32_e64 v24, 0, 1, vcc
.LBB55_2552:
	s_mov_b64 s[0:1], 0
.LBB55_2553:
	s_and_b64 vcc, exec, s[0:1]
	s_cbranch_vccz .LBB55_2602
; %bb.2554:
	s_and_b32 s6, 0xffff, s23
	s_cmp_lt_i32 s6, 5
	s_cbranch_scc1 .LBB55_2559
; %bb.2555:
	s_cmp_lt_i32 s6, 8
	s_cbranch_scc1 .LBB55_2560
; %bb.2556:
	;; [unrolled: 3-line block ×3, first 2 shown]
	s_cmp_gt_i32 s6, 9
	s_cbranch_scc0 .LBB55_2562
; %bb.2558:
	global_load_dwordx2 v[24:25], v[26:27], off
	s_movk_i32 s0, 0xffe0
	s_waitcnt vmcnt(0)
	v_trunc_f64_e32 v[24:25], v[24:25]
	v_ldexp_f64 v[28:29], v[24:25], s0
	s_mov_b32 s0, 0
	s_mov_b32 s1, 0xc1f00000
	v_floor_f64_e32 v[28:29], v[28:29]
	v_fma_f64 v[30:31], v[28:29], s[0:1], v[24:25]
	v_cvt_i32_f64_e32 v25, v[28:29]
	s_mov_b64 s[0:1], 0
	v_cvt_u32_f64_e32 v24, v[30:31]
	s_branch .LBB55_2563
.LBB55_2559:
	s_mov_b64 s[0:1], -1
                                        ; implicit-def: $vgpr24_vgpr25
	s_branch .LBB55_2581
.LBB55_2560:
	s_mov_b64 s[0:1], -1
                                        ; implicit-def: $vgpr24_vgpr25
	s_branch .LBB55_2569
.LBB55_2561:
	s_mov_b64 s[0:1], -1
                                        ; implicit-def: $vgpr24_vgpr25
	s_branch .LBB55_2566
.LBB55_2562:
	s_mov_b64 s[0:1], -1
                                        ; implicit-def: $vgpr24_vgpr25
.LBB55_2563:
	s_andn2_b64 vcc, exec, s[0:1]
	s_cbranch_vccnz .LBB55_2565
; %bb.2564:
	global_load_dword v1, v[26:27], off
	s_mov_b32 s0, 0x2f800000
	s_mov_b32 s1, 0xcf800000
	s_waitcnt vmcnt(0)
	v_trunc_f32_e32 v1, v1
	v_mul_f32_e64 v3, |v1|, s0
	v_floor_f32_e32 v3, v3
	v_cvt_u32_f32_e32 v5, v3
	v_fma_f32 v3, v3, s1, |v1|
	v_cvt_u32_f32_e32 v3, v3
	v_ashrrev_i32_e32 v1, 31, v1
	v_xor_b32_e32 v5, v5, v1
	v_xor_b32_e32 v3, v3, v1
	v_sub_co_u32_e32 v24, vcc, v3, v1
	v_subb_co_u32_e32 v25, vcc, v5, v1, vcc
.LBB55_2565:
	s_mov_b64 s[0:1], 0
.LBB55_2566:
	s_andn2_b64 vcc, exec, s[0:1]
	s_cbranch_vccnz .LBB55_2568
; %bb.2567:
	global_load_dword v1, v[26:27], off
	s_waitcnt vmcnt(0)
	v_cvt_f32_f16_e32 v1, v1
	v_cvt_i32_f32_e32 v24, v1
	v_ashrrev_i32_e32 v25, 31, v24
.LBB55_2568:
	s_mov_b64 s[0:1], 0
.LBB55_2569:
	s_andn2_b64 vcc, exec, s[0:1]
	s_cbranch_vccnz .LBB55_2580
; %bb.2570:
	s_cmp_lt_i32 s6, 6
	s_cbranch_scc1 .LBB55_2573
; %bb.2571:
	s_cmp_gt_i32 s6, 6
	s_cbranch_scc0 .LBB55_2574
; %bb.2572:
	global_load_dwordx2 v[24:25], v[26:27], off
	s_movk_i32 s0, 0xffe0
	s_waitcnt vmcnt(0)
	v_trunc_f64_e32 v[24:25], v[24:25]
	v_ldexp_f64 v[28:29], v[24:25], s0
	s_mov_b32 s0, 0
	s_mov_b32 s1, 0xc1f00000
	v_floor_f64_e32 v[28:29], v[28:29]
	v_fma_f64 v[30:31], v[28:29], s[0:1], v[24:25]
	v_cvt_i32_f64_e32 v25, v[28:29]
	s_mov_b64 s[0:1], 0
	v_cvt_u32_f64_e32 v24, v[30:31]
	s_branch .LBB55_2575
.LBB55_2573:
	s_mov_b64 s[0:1], -1
                                        ; implicit-def: $vgpr24_vgpr25
	s_branch .LBB55_2578
.LBB55_2574:
	s_mov_b64 s[0:1], -1
                                        ; implicit-def: $vgpr24_vgpr25
.LBB55_2575:
	s_andn2_b64 vcc, exec, s[0:1]
	s_cbranch_vccnz .LBB55_2577
; %bb.2576:
	global_load_dword v1, v[26:27], off
	s_mov_b32 s0, 0x2f800000
	s_mov_b32 s1, 0xcf800000
	s_waitcnt vmcnt(0)
	v_trunc_f32_e32 v1, v1
	v_mul_f32_e64 v3, |v1|, s0
	v_floor_f32_e32 v3, v3
	v_cvt_u32_f32_e32 v5, v3
	v_fma_f32 v3, v3, s1, |v1|
	v_cvt_u32_f32_e32 v3, v3
	v_ashrrev_i32_e32 v1, 31, v1
	v_xor_b32_e32 v5, v5, v1
	v_xor_b32_e32 v3, v3, v1
	v_sub_co_u32_e32 v24, vcc, v3, v1
	v_subb_co_u32_e32 v25, vcc, v5, v1, vcc
.LBB55_2577:
	s_mov_b64 s[0:1], 0
.LBB55_2578:
	s_andn2_b64 vcc, exec, s[0:1]
	s_cbranch_vccnz .LBB55_2580
; %bb.2579:
	global_load_ushort v1, v[26:27], off
	s_waitcnt vmcnt(0)
	v_cvt_f32_f16_e32 v1, v1
	v_cvt_i32_f32_e32 v24, v1
	v_ashrrev_i32_e32 v25, 31, v24
.LBB55_2580:
	s_mov_b64 s[0:1], 0
.LBB55_2581:
	s_andn2_b64 vcc, exec, s[0:1]
	s_cbranch_vccnz .LBB55_2601
; %bb.2582:
	s_cmp_lt_i32 s6, 2
	s_cbranch_scc1 .LBB55_2586
; %bb.2583:
	s_cmp_lt_i32 s6, 3
	s_cbranch_scc1 .LBB55_2587
; %bb.2584:
	s_cmp_gt_i32 s6, 3
	s_cbranch_scc0 .LBB55_2588
; %bb.2585:
	global_load_dwordx2 v[24:25], v[26:27], off
	s_mov_b64 s[0:1], 0
	s_branch .LBB55_2589
.LBB55_2586:
	s_mov_b64 s[0:1], -1
                                        ; implicit-def: $vgpr24_vgpr25
	s_branch .LBB55_2595
.LBB55_2587:
	s_mov_b64 s[0:1], -1
                                        ; implicit-def: $vgpr24_vgpr25
	s_branch .LBB55_2592
.LBB55_2588:
	s_mov_b64 s[0:1], -1
                                        ; implicit-def: $vgpr24_vgpr25
.LBB55_2589:
	s_andn2_b64 vcc, exec, s[0:1]
	s_cbranch_vccnz .LBB55_2591
; %bb.2590:
	global_load_dword v24, v[26:27], off
	s_waitcnt vmcnt(0)
	v_ashrrev_i32_e32 v25, 31, v24
.LBB55_2591:
	s_mov_b64 s[0:1], 0
.LBB55_2592:
	s_andn2_b64 vcc, exec, s[0:1]
	s_cbranch_vccnz .LBB55_2594
; %bb.2593:
	global_load_ushort v1, v[26:27], off
	s_waitcnt vmcnt(0)
	v_bfe_i32 v24, v1, 0, 16
	v_ashrrev_i32_e32 v25, 31, v24
.LBB55_2594:
	s_mov_b64 s[0:1], 0
.LBB55_2595:
	s_andn2_b64 vcc, exec, s[0:1]
	s_cbranch_vccnz .LBB55_2601
; %bb.2596:
	s_cmp_gt_i32 s6, 0
	s_cbranch_scc0 .LBB55_2598
; %bb.2597:
	global_load_sbyte v1, v[26:27], off
	s_mov_b64 s[0:1], 0
	s_waitcnt vmcnt(0)
	v_bfe_i32 v24, v1, 0, 16
	v_ashrrev_i32_e32 v25, 31, v24
	s_branch .LBB55_2599
.LBB55_2598:
	s_mov_b64 s[0:1], -1
                                        ; implicit-def: $vgpr24_vgpr25
.LBB55_2599:
	s_andn2_b64 vcc, exec, s[0:1]
	s_cbranch_vccnz .LBB55_2601
; %bb.2600:
	global_load_ubyte v1, v[26:27], off
	s_mov_b32 s0, 0
	s_waitcnt vmcnt(1)
	v_mov_b32_e32 v25, s0
	s_waitcnt vmcnt(0)
	v_and_b32_e32 v24, 0xffff, v1
.LBB55_2601:
	s_mov_b64 s[10:11], -1
.LBB55_2602:
	s_andn2_b64 vcc, exec, s[10:11]
	s_cbranch_vccnz .LBB55_3036
; %bb.2603:
	s_load_dwordx2 s[0:1], s[2:3], 0x1a0
	s_waitcnt vmcnt(0)
	v_cmp_ne_u64_e32 vcc, v[7:8], v[10:11]
	v_mov_b32_e32 v1, s9
	s_waitcnt lgkmcnt(0)
	s_cmp_eq_u32 s0, 0
	s_cselect_b64 s[2:3], -1, 0
	s_and_b32 s22, s1, 0xff
	s_xor_b64 s[6:7], s[2:3], vcc
	v_add_co_u32_e32 v5, vcc, s8, v6
	s_cmp_lt_i32 s22, 11
	v_addc_co_u32_e32 v6, vcc, 0, v1, vcc
	s_cbranch_scc1 .LBB55_2681
; %bb.2604:
	s_and_b32 s23, 0xffff, s22
	s_mov_b64 s[18:19], -1
	s_mov_b64 s[10:11], 0
	s_cmp_gt_i32 s23, 25
	s_mov_b64 s[16:17], 0
	s_mov_b64 s[0:1], 0
	s_cbranch_scc0 .LBB55_2637
; %bb.2605:
	s_cmp_gt_i32 s23, 28
	s_cbranch_scc0 .LBB55_2620
; %bb.2606:
	s_cmp_gt_i32 s23, 43
	;; [unrolled: 3-line block ×3, first 2 shown]
	s_cbranch_scc0 .LBB55_2610
; %bb.2608:
	s_mov_b64 s[0:1], -1
	s_mov_b64 s[18:19], 0
	s_cmp_eq_u32 s23, 46
	s_cbranch_scc0 .LBB55_2610
; %bb.2609:
	v_cndmask_b32_e64 v1, 0, 1.0, s[6:7]
	v_bfe_u32 v3, v1, 16, 1
	s_movk_i32 s0, 0x7fff
	v_add3_u32 v1, v1, v3, s0
	v_lshrrev_b32_e32 v1, 16, v1
	global_store_dword v[5:6], v1, off
	s_mov_b64 s[0:1], 0
	s_mov_b64 s[16:17], -1
.LBB55_2610:
	s_and_b64 vcc, exec, s[18:19]
	s_cbranch_vccz .LBB55_2615
; %bb.2611:
	s_cmp_eq_u32 s23, 44
	s_mov_b64 s[0:1], -1
	s_cbranch_scc0 .LBB55_2615
; %bb.2612:
	v_cndmask_b32_e64 v3, 0, 1.0, s[6:7]
	v_lshrrev_b32_e32 v1, 23, v3
	s_movk_i32 s0, 0xff
	v_cmp_ne_u32_e32 vcc, s0, v1
	v_mov_b32_e32 v7, 0xff
	s_and_saveexec_b64 s[16:17], vcc
; %bb.2613:
	s_mov_b32 s0, 0x3fffff
	v_and_b32_e32 v7, 0x400000, v3
	v_and_or_b32 v3, v3, s0, v1
	v_cmp_ne_u32_e32 vcc, 0, v7
	v_cmp_ne_u32_e64 s[0:1], 0, v3
	s_and_b64 s[0:1], vcc, s[0:1]
	v_cndmask_b32_e64 v3, 0, 1, s[0:1]
	v_add_u32_e32 v7, v1, v3
; %bb.2614:
	s_or_b64 exec, exec, s[16:17]
	s_mov_b64 s[0:1], 0
	s_mov_b64 s[16:17], -1
	global_store_byte v[5:6], v7, off
.LBB55_2615:
	s_mov_b64 s[18:19], 0
.LBB55_2616:
	s_and_b64 vcc, exec, s[18:19]
	s_cbranch_vccz .LBB55_2619
; %bb.2617:
	s_cmp_eq_u32 s23, 29
	s_mov_b64 s[0:1], -1
	s_cbranch_scc0 .LBB55_2619
; %bb.2618:
	s_mov_b32 s0, 0
	v_cndmask_b32_e64 v7, 0, 1, s[6:7]
	v_mov_b32_e32 v8, s0
	global_store_dwordx2 v[5:6], v[7:8], off
	s_mov_b64 s[0:1], 0
	s_mov_b64 s[16:17], -1
.LBB55_2619:
	s_mov_b64 s[18:19], 0
.LBB55_2620:
	s_and_b64 vcc, exec, s[18:19]
	s_cbranch_vccz .LBB55_2636
; %bb.2621:
	s_cmp_lt_i32 s23, 27
	s_mov_b64 s[16:17], -1
	s_cbranch_scc1 .LBB55_2627
; %bb.2622:
	s_cmp_gt_i32 s23, 27
	s_cbranch_scc0 .LBB55_2624
; %bb.2623:
	v_cndmask_b32_e64 v1, 0, 1, s[6:7]
	s_mov_b64 s[16:17], 0
	global_store_dword v[5:6], v1, off
.LBB55_2624:
	s_andn2_b64 vcc, exec, s[16:17]
	s_cbranch_vccnz .LBB55_2626
; %bb.2625:
	v_cndmask_b32_e64 v1, 0, 1, s[6:7]
	global_store_short v[5:6], v1, off
.LBB55_2626:
	s_mov_b64 s[16:17], 0
.LBB55_2627:
	s_andn2_b64 vcc, exec, s[16:17]
	s_cbranch_vccnz .LBB55_2635
; %bb.2628:
	v_cndmask_b32_e64 v3, 0, 1.0, s[6:7]
	s_mov_b32 s16, 0x43800000
	v_cmp_gt_u32_e32 vcc, s16, v3
	v_mov_b32_e32 v7, 0x80
	s_and_saveexec_b64 s[16:17], vcc
	s_cbranch_execz .LBB55_2634
; %bb.2629:
	s_mov_b32 s18, 0x3bffffff
	v_cmp_lt_u32_e32 vcc, s18, v3
	s_mov_b64 s[18:19], 0
                                        ; implicit-def: $vgpr1
	s_and_saveexec_b64 s[20:21], vcc
	s_xor_b64 s[20:21], exec, s[20:21]
	s_cbranch_execz .LBB55_3083
; %bb.2630:
	v_bfe_u32 v1, v3, 20, 1
	s_mov_b32 s24, 0x487ffff
	v_add3_u32 v1, v3, v1, s24
	s_mov_b64 s[18:19], exec
	v_lshrrev_b32_e32 v1, 20, v1
                                        ; implicit-def: $vgpr3
	s_andn2_saveexec_b64 s[20:21], s[20:21]
	s_cbranch_execnz .LBB55_3084
.LBB55_2631:
	s_or_b64 exec, exec, s[20:21]
	v_mov_b32_e32 v7, 0
	s_and_saveexec_b64 s[20:21], s[18:19]
.LBB55_2632:
	v_mov_b32_e32 v7, v1
.LBB55_2633:
	s_or_b64 exec, exec, s[20:21]
.LBB55_2634:
	s_or_b64 exec, exec, s[16:17]
	global_store_byte v[5:6], v7, off
.LBB55_2635:
	s_mov_b64 s[16:17], -1
.LBB55_2636:
	s_mov_b64 s[18:19], 0
.LBB55_2637:
	s_and_b64 vcc, exec, s[18:19]
	s_cbranch_vccz .LBB55_2677
; %bb.2638:
	s_cmp_gt_i32 s23, 22
	s_mov_b64 s[10:11], -1
	s_cbranch_scc0 .LBB55_2670
; %bb.2639:
	s_cmp_lt_i32 s23, 24
	s_cbranch_scc1 .LBB55_2659
; %bb.2640:
	s_cmp_gt_i32 s23, 24
	s_cbranch_scc0 .LBB55_2648
; %bb.2641:
	v_cndmask_b32_e64 v3, 0, 1.0, s[6:7]
	s_mov_b32 s10, 0x47800000
	v_cmp_gt_u32_e32 vcc, s10, v3
	v_mov_b32_e32 v7, 0x80
	s_and_saveexec_b64 s[10:11], vcc
	s_cbranch_execz .LBB55_2647
; %bb.2642:
	s_mov_b32 s16, 0x37ffffff
	v_cmp_lt_u32_e32 vcc, s16, v3
	s_mov_b64 s[16:17], 0
                                        ; implicit-def: $vgpr1
	s_and_saveexec_b64 s[18:19], vcc
	s_xor_b64 s[18:19], exec, s[18:19]
	s_cbranch_execz .LBB55_3086
; %bb.2643:
	v_bfe_u32 v1, v3, 21, 1
	s_mov_b32 s20, 0x88fffff
	v_add3_u32 v1, v3, v1, s20
	s_mov_b64 s[16:17], exec
	v_lshrrev_b32_e32 v1, 21, v1
                                        ; implicit-def: $vgpr3
	s_andn2_saveexec_b64 s[18:19], s[18:19]
	s_cbranch_execnz .LBB55_3087
.LBB55_2644:
	s_or_b64 exec, exec, s[18:19]
	v_mov_b32_e32 v7, 0
	s_and_saveexec_b64 s[18:19], s[16:17]
.LBB55_2645:
	v_mov_b32_e32 v7, v1
.LBB55_2646:
	s_or_b64 exec, exec, s[18:19]
.LBB55_2647:
	s_or_b64 exec, exec, s[10:11]
	s_mov_b64 s[10:11], 0
	global_store_byte v[5:6], v7, off
.LBB55_2648:
	s_and_b64 vcc, exec, s[10:11]
	s_cbranch_vccz .LBB55_2658
; %bb.2649:
	v_cndmask_b32_e64 v1, 0, 1.0, s[6:7]
	s_mov_b32 s10, 0x43f00000
	v_cmp_gt_u32_e32 vcc, s10, v1
                                        ; implicit-def: $vgpr3
	s_and_saveexec_b64 s[10:11], vcc
	s_xor_b64 s[10:11], exec, s[10:11]
	s_cbranch_execz .LBB55_2655
; %bb.2650:
	s_mov_b32 s16, 0x3c7fffff
	v_cmp_lt_u32_e32 vcc, s16, v1
                                        ; implicit-def: $vgpr3
	s_and_saveexec_b64 s[16:17], vcc
	s_xor_b64 s[16:17], exec, s[16:17]
; %bb.2651:
	v_bfe_u32 v3, v1, 20, 1
	s_mov_b32 s18, 0x407ffff
	v_add3_u32 v1, v1, v3, s18
	v_lshrrev_b32_e32 v3, 20, v1
	v_and_b32_e32 v1, 0xff00000, v1
	s_mov_b32 s18, 0x7f00000
	v_mov_b32_e32 v7, 0x7e
	v_cmp_ne_u32_e32 vcc, s18, v1
	v_cndmask_b32_e32 v3, v7, v3, vcc
                                        ; implicit-def: $vgpr1
; %bb.2652:
	s_andn2_saveexec_b64 s[16:17], s[16:17]
; %bb.2653:
	v_add_f32_e32 v3, 0x46800000, v1
; %bb.2654:
	s_or_b64 exec, exec, s[16:17]
                                        ; implicit-def: $vgpr1
.LBB55_2655:
	s_andn2_saveexec_b64 s[10:11], s[10:11]
; %bb.2656:
	s_mov_b32 s16, 0x7f800000
	v_mov_b32_e32 v3, 0x7e
	v_mov_b32_e32 v7, 0x7f
	v_cmp_lt_u32_e32 vcc, s16, v1
	v_cndmask_b32_e32 v3, v3, v7, vcc
; %bb.2657:
	s_or_b64 exec, exec, s[10:11]
	global_store_byte v[5:6], v3, off
.LBB55_2658:
	s_mov_b64 s[10:11], 0
.LBB55_2659:
	s_andn2_b64 vcc, exec, s[10:11]
	s_cbranch_vccnz .LBB55_2669
; %bb.2660:
	v_cndmask_b32_e64 v1, 0, 1.0, s[6:7]
	s_mov_b32 s10, 0x47800000
	v_cmp_gt_u32_e32 vcc, s10, v1
                                        ; implicit-def: $vgpr3
	s_and_saveexec_b64 s[10:11], vcc
	s_xor_b64 s[10:11], exec, s[10:11]
	s_cbranch_execz .LBB55_2666
; %bb.2661:
	s_mov_b32 s16, 0x387fffff
	v_cmp_lt_u32_e32 vcc, s16, v1
                                        ; implicit-def: $vgpr3
	s_and_saveexec_b64 s[16:17], vcc
	s_xor_b64 s[16:17], exec, s[16:17]
; %bb.2662:
	v_bfe_u32 v3, v1, 21, 1
	s_mov_b32 s18, 0x80fffff
	v_add3_u32 v1, v1, v3, s18
	v_lshrrev_b32_e32 v3, 21, v1
                                        ; implicit-def: $vgpr1
; %bb.2663:
	s_andn2_saveexec_b64 s[16:17], s[16:17]
; %bb.2664:
	v_add_f32_e32 v3, 0x43000000, v1
; %bb.2665:
	s_or_b64 exec, exec, s[16:17]
                                        ; implicit-def: $vgpr1
.LBB55_2666:
	s_andn2_saveexec_b64 s[10:11], s[10:11]
; %bb.2667:
	s_mov_b32 s16, 0x7f800000
	v_mov_b32_e32 v3, 0x7c
	v_mov_b32_e32 v7, 0x7f
	v_cmp_lt_u32_e32 vcc, s16, v1
	v_cndmask_b32_e32 v3, v3, v7, vcc
; %bb.2668:
	s_or_b64 exec, exec, s[10:11]
	global_store_byte v[5:6], v3, off
.LBB55_2669:
	s_mov_b64 s[10:11], 0
	s_mov_b64 s[16:17], -1
.LBB55_2670:
	s_andn2_b64 vcc, exec, s[10:11]
	s_mov_b64 s[10:11], 0
	s_cbranch_vccnz .LBB55_2677
; %bb.2671:
	s_cmp_gt_i32 s23, 14
	s_mov_b64 s[18:19], -1
	s_cbranch_scc0 .LBB55_2675
; %bb.2672:
	s_cmp_eq_u32 s23, 15
	s_mov_b64 s[0:1], -1
	s_cbranch_scc0 .LBB55_2674
; %bb.2673:
	v_cndmask_b32_e64 v1, 0, 1.0, s[6:7]
	v_bfe_u32 v3, v1, 16, 1
	s_movk_i32 s0, 0x7fff
	v_add3_u32 v1, v1, v3, s0
	global_store_short_d16_hi v[5:6], v1, off
	s_mov_b64 s[0:1], 0
	s_mov_b64 s[16:17], -1
.LBB55_2674:
	s_mov_b64 s[18:19], 0
.LBB55_2675:
	s_and_b64 vcc, exec, s[18:19]
	s_cbranch_vccz .LBB55_2677
; %bb.2676:
	s_cmp_lg_u32 s23, 11
	s_mov_b64 s[10:11], -1
	s_cselect_b64 s[0:1], -1, 0
.LBB55_2677:
	s_and_b64 vcc, exec, s[0:1]
	s_cbranch_vccnz .LBB55_3085
; %bb.2678:
	s_andn2_b64 vcc, exec, s[10:11]
	s_cbranch_vccnz .LBB55_2680
.LBB55_2679:
	v_cndmask_b32_e64 v1, 0, 1, s[6:7]
	s_mov_b64 s[16:17], -1
	global_store_byte v[5:6], v1, off
.LBB55_2680:
	s_mov_b64 s[0:1], 0
	s_branch .LBB55_2682
.LBB55_2681:
	s_mov_b64 s[0:1], -1
	s_mov_b64 s[16:17], 0
.LBB55_2682:
	s_and_b64 vcc, exec, s[0:1]
	s_cbranch_vccz .LBB55_2721
; %bb.2683:
	s_and_b32 s10, 0xffff, s22
	s_cmp_lt_i32 s10, 5
	s_mov_b64 s[0:1], -1
	s_cbranch_scc1 .LBB55_2704
; %bb.2684:
	s_cmp_lt_i32 s10, 8
	s_cbranch_scc1 .LBB55_2694
; %bb.2685:
	s_cmp_lt_i32 s10, 9
	s_cbranch_scc1 .LBB55_2691
; %bb.2686:
	s_cmp_gt_i32 s10, 9
	s_cbranch_scc0 .LBB55_2688
; %bb.2687:
	v_cndmask_b32_e64 v1, 0, 1, s[6:7]
	v_cvt_f64_u32_e32 v[7:8], v1
	v_mov_b32_e32 v9, 0
	v_mov_b32_e32 v10, v9
	s_mov_b64 s[0:1], 0
	global_store_dwordx4 v[5:6], v[7:10], off
.LBB55_2688:
	s_andn2_b64 vcc, exec, s[0:1]
	s_cbranch_vccnz .LBB55_2690
; %bb.2689:
	v_cndmask_b32_e64 v7, 0, 1.0, s[6:7]
	v_mov_b32_e32 v8, 0
	global_store_dwordx2 v[5:6], v[7:8], off
.LBB55_2690:
	s_mov_b64 s[0:1], 0
.LBB55_2691:
	s_andn2_b64 vcc, exec, s[0:1]
	s_cbranch_vccnz .LBB55_2693
; %bb.2692:
	v_cndmask_b32_e64 v1, 0, 1.0, s[6:7]
	v_cvt_f16_f32_e32 v1, v1
	global_store_dword v[5:6], v1, off
.LBB55_2693:
	s_mov_b64 s[0:1], 0
.LBB55_2694:
	s_andn2_b64 vcc, exec, s[0:1]
	s_cbranch_vccnz .LBB55_2703
; %bb.2695:
	s_cmp_lt_i32 s10, 6
	s_mov_b64 s[0:1], -1
	s_cbranch_scc1 .LBB55_2701
; %bb.2696:
	s_cmp_gt_i32 s10, 6
	s_cbranch_scc0 .LBB55_2698
; %bb.2697:
	v_cndmask_b32_e64 v1, 0, 1, s[6:7]
	v_cvt_f64_u32_e32 v[7:8], v1
	s_mov_b64 s[0:1], 0
	global_store_dwordx2 v[5:6], v[7:8], off
.LBB55_2698:
	s_andn2_b64 vcc, exec, s[0:1]
	s_cbranch_vccnz .LBB55_2700
; %bb.2699:
	v_cndmask_b32_e64 v1, 0, 1.0, s[6:7]
	global_store_dword v[5:6], v1, off
.LBB55_2700:
	s_mov_b64 s[0:1], 0
.LBB55_2701:
	s_andn2_b64 vcc, exec, s[0:1]
	s_cbranch_vccnz .LBB55_2703
; %bb.2702:
	v_cndmask_b32_e64 v1, 0, 1.0, s[6:7]
	v_cvt_f16_f32_e32 v1, v1
	global_store_short v[5:6], v1, off
.LBB55_2703:
	s_mov_b64 s[0:1], 0
.LBB55_2704:
	s_andn2_b64 vcc, exec, s[0:1]
	s_cbranch_vccnz .LBB55_2720
; %bb.2705:
	s_cmp_lt_i32 s10, 2
	s_mov_b64 s[0:1], -1
	s_cbranch_scc1 .LBB55_2715
; %bb.2706:
	s_cmp_lt_i32 s10, 3
	s_cbranch_scc1 .LBB55_2712
; %bb.2707:
	s_cmp_gt_i32 s10, 3
	s_cbranch_scc0 .LBB55_2709
; %bb.2708:
	s_mov_b32 s0, 0
	v_cndmask_b32_e64 v7, 0, 1, s[6:7]
	v_mov_b32_e32 v8, s0
	global_store_dwordx2 v[5:6], v[7:8], off
	s_mov_b64 s[0:1], 0
.LBB55_2709:
	s_andn2_b64 vcc, exec, s[0:1]
	s_cbranch_vccnz .LBB55_2711
; %bb.2710:
	v_cndmask_b32_e64 v1, 0, 1, s[6:7]
	global_store_dword v[5:6], v1, off
.LBB55_2711:
	s_mov_b64 s[0:1], 0
.LBB55_2712:
	s_andn2_b64 vcc, exec, s[0:1]
	s_cbranch_vccnz .LBB55_2714
; %bb.2713:
	v_cndmask_b32_e64 v1, 0, 1, s[6:7]
	global_store_short v[5:6], v1, off
.LBB55_2714:
	s_mov_b64 s[0:1], 0
.LBB55_2715:
	s_andn2_b64 vcc, exec, s[0:1]
	s_cbranch_vccnz .LBB55_2720
; %bb.2716:
	s_mov_b64 s[0:1], -1
	s_cmp_gt_i32 s10, 0
	v_cndmask_b32_e64 v1, 0, 1, s[6:7]
	s_cbranch_scc0 .LBB55_2718
; %bb.2717:
	global_store_byte v[5:6], v1, off
	s_mov_b64 s[0:1], 0
.LBB55_2718:
	s_andn2_b64 vcc, exec, s[0:1]
	s_cbranch_vccnz .LBB55_2720
; %bb.2719:
	global_store_byte v[5:6], v1, off
.LBB55_2720:
	s_mov_b64 s[16:17], -1
.LBB55_2721:
	s_andn2_b64 vcc, exec, s[16:17]
	s_cbranch_vccnz .LBB55_3036
; %bb.2722:
	v_cmp_ne_u64_e32 vcc, v[12:13], v[15:16]
	v_mov_b32_e32 v1, s9
	s_xor_b64 s[6:7], s[2:3], vcc
	s_and_b32 s23, 0xffff, s22
	v_add_co_u32_e32 v3, vcc, s8, v4
	s_cmp_lt_i32 s23, 11
	v_addc_co_u32_e32 v4, vcc, 0, v1, vcc
	s_cbranch_scc1 .LBB55_2800
; %bb.2723:
	s_mov_b64 s[18:19], -1
	s_mov_b64 s[10:11], 0
	s_cmp_gt_i32 s23, 25
	s_mov_b64 s[16:17], 0
	s_mov_b64 s[0:1], 0
	s_cbranch_scc0 .LBB55_2756
; %bb.2724:
	s_cmp_gt_i32 s23, 28
	s_cbranch_scc0 .LBB55_2739
; %bb.2725:
	s_cmp_gt_i32 s23, 43
	;; [unrolled: 3-line block ×3, first 2 shown]
	s_cbranch_scc0 .LBB55_2729
; %bb.2727:
	s_mov_b64 s[0:1], -1
	s_mov_b64 s[18:19], 0
	s_cmp_eq_u32 s23, 46
	s_cbranch_scc0 .LBB55_2729
; %bb.2728:
	v_cndmask_b32_e64 v1, 0, 1.0, s[6:7]
	v_bfe_u32 v5, v1, 16, 1
	s_movk_i32 s0, 0x7fff
	v_add3_u32 v1, v1, v5, s0
	v_lshrrev_b32_e32 v1, 16, v1
	global_store_dword v[3:4], v1, off
	s_mov_b64 s[0:1], 0
	s_mov_b64 s[16:17], -1
.LBB55_2729:
	s_and_b64 vcc, exec, s[18:19]
	s_cbranch_vccz .LBB55_2734
; %bb.2730:
	s_cmp_eq_u32 s23, 44
	s_mov_b64 s[0:1], -1
	s_cbranch_scc0 .LBB55_2734
; %bb.2731:
	v_cndmask_b32_e64 v5, 0, 1.0, s[6:7]
	v_lshrrev_b32_e32 v1, 23, v5
	s_movk_i32 s0, 0xff
	v_cmp_ne_u32_e32 vcc, s0, v1
	v_mov_b32_e32 v6, 0xff
	s_and_saveexec_b64 s[16:17], vcc
; %bb.2732:
	s_mov_b32 s0, 0x3fffff
	v_and_b32_e32 v6, 0x400000, v5
	v_and_or_b32 v5, v5, s0, v1
	v_cmp_ne_u32_e32 vcc, 0, v6
	v_cmp_ne_u32_e64 s[0:1], 0, v5
	s_and_b64 s[0:1], vcc, s[0:1]
	v_cndmask_b32_e64 v5, 0, 1, s[0:1]
	v_add_u32_e32 v6, v1, v5
; %bb.2733:
	s_or_b64 exec, exec, s[16:17]
	s_mov_b64 s[0:1], 0
	s_mov_b64 s[16:17], -1
	global_store_byte v[3:4], v6, off
.LBB55_2734:
	s_mov_b64 s[18:19], 0
.LBB55_2735:
	s_and_b64 vcc, exec, s[18:19]
	s_cbranch_vccz .LBB55_2738
; %bb.2736:
	s_cmp_eq_u32 s23, 29
	s_mov_b64 s[0:1], -1
	s_cbranch_scc0 .LBB55_2738
; %bb.2737:
	s_mov_b32 s0, 0
	v_cndmask_b32_e64 v5, 0, 1, s[6:7]
	v_mov_b32_e32 v6, s0
	global_store_dwordx2 v[3:4], v[5:6], off
	s_mov_b64 s[0:1], 0
	s_mov_b64 s[16:17], -1
.LBB55_2738:
	s_mov_b64 s[18:19], 0
.LBB55_2739:
	s_and_b64 vcc, exec, s[18:19]
	s_cbranch_vccz .LBB55_2755
; %bb.2740:
	s_cmp_lt_i32 s23, 27
	s_mov_b64 s[16:17], -1
	s_cbranch_scc1 .LBB55_2746
; %bb.2741:
	s_cmp_gt_i32 s23, 27
	s_cbranch_scc0 .LBB55_2743
; %bb.2742:
	v_cndmask_b32_e64 v1, 0, 1, s[6:7]
	s_mov_b64 s[16:17], 0
	global_store_dword v[3:4], v1, off
.LBB55_2743:
	s_andn2_b64 vcc, exec, s[16:17]
	s_cbranch_vccnz .LBB55_2745
; %bb.2744:
	v_cndmask_b32_e64 v1, 0, 1, s[6:7]
	global_store_short v[3:4], v1, off
.LBB55_2745:
	s_mov_b64 s[16:17], 0
.LBB55_2746:
	s_andn2_b64 vcc, exec, s[16:17]
	s_cbranch_vccnz .LBB55_2754
; %bb.2747:
	v_cndmask_b32_e64 v5, 0, 1.0, s[6:7]
	s_mov_b32 s16, 0x43800000
	v_cmp_gt_u32_e32 vcc, s16, v5
	v_mov_b32_e32 v6, 0x80
	s_and_saveexec_b64 s[16:17], vcc
	s_cbranch_execz .LBB55_2753
; %bb.2748:
	s_mov_b32 s18, 0x3bffffff
	v_cmp_lt_u32_e32 vcc, s18, v5
	s_mov_b64 s[18:19], 0
                                        ; implicit-def: $vgpr1
	s_and_saveexec_b64 s[20:21], vcc
	s_xor_b64 s[20:21], exec, s[20:21]
	s_cbranch_execz .LBB55_3088
; %bb.2749:
	v_bfe_u32 v1, v5, 20, 1
	s_mov_b32 s24, 0x487ffff
	v_add3_u32 v1, v5, v1, s24
	s_mov_b64 s[18:19], exec
	v_lshrrev_b32_e32 v1, 20, v1
                                        ; implicit-def: $vgpr5
	s_andn2_saveexec_b64 s[20:21], s[20:21]
	s_cbranch_execnz .LBB55_3089
.LBB55_2750:
	s_or_b64 exec, exec, s[20:21]
	v_mov_b32_e32 v6, 0
	s_and_saveexec_b64 s[20:21], s[18:19]
.LBB55_2751:
	v_mov_b32_e32 v6, v1
.LBB55_2752:
	s_or_b64 exec, exec, s[20:21]
.LBB55_2753:
	s_or_b64 exec, exec, s[16:17]
	global_store_byte v[3:4], v6, off
.LBB55_2754:
	s_mov_b64 s[16:17], -1
.LBB55_2755:
	s_mov_b64 s[18:19], 0
.LBB55_2756:
	s_and_b64 vcc, exec, s[18:19]
	s_cbranch_vccz .LBB55_2796
; %bb.2757:
	s_cmp_gt_i32 s23, 22
	s_mov_b64 s[10:11], -1
	s_cbranch_scc0 .LBB55_2789
; %bb.2758:
	s_cmp_lt_i32 s23, 24
	s_cbranch_scc1 .LBB55_2778
; %bb.2759:
	s_cmp_gt_i32 s23, 24
	s_cbranch_scc0 .LBB55_2767
; %bb.2760:
	v_cndmask_b32_e64 v5, 0, 1.0, s[6:7]
	s_mov_b32 s10, 0x47800000
	v_cmp_gt_u32_e32 vcc, s10, v5
	v_mov_b32_e32 v6, 0x80
	s_and_saveexec_b64 s[10:11], vcc
	s_cbranch_execz .LBB55_2766
; %bb.2761:
	s_mov_b32 s16, 0x37ffffff
	v_cmp_lt_u32_e32 vcc, s16, v5
	s_mov_b64 s[16:17], 0
                                        ; implicit-def: $vgpr1
	s_and_saveexec_b64 s[18:19], vcc
	s_xor_b64 s[18:19], exec, s[18:19]
	s_cbranch_execz .LBB55_3091
; %bb.2762:
	v_bfe_u32 v1, v5, 21, 1
	s_mov_b32 s20, 0x88fffff
	v_add3_u32 v1, v5, v1, s20
	s_mov_b64 s[16:17], exec
	v_lshrrev_b32_e32 v1, 21, v1
                                        ; implicit-def: $vgpr5
	s_andn2_saveexec_b64 s[18:19], s[18:19]
	s_cbranch_execnz .LBB55_3092
.LBB55_2763:
	s_or_b64 exec, exec, s[18:19]
	v_mov_b32_e32 v6, 0
	s_and_saveexec_b64 s[18:19], s[16:17]
.LBB55_2764:
	v_mov_b32_e32 v6, v1
.LBB55_2765:
	s_or_b64 exec, exec, s[18:19]
.LBB55_2766:
	s_or_b64 exec, exec, s[10:11]
	s_mov_b64 s[10:11], 0
	global_store_byte v[3:4], v6, off
.LBB55_2767:
	s_and_b64 vcc, exec, s[10:11]
	s_cbranch_vccz .LBB55_2777
; %bb.2768:
	v_cndmask_b32_e64 v1, 0, 1.0, s[6:7]
	s_mov_b32 s10, 0x43f00000
	v_cmp_gt_u32_e32 vcc, s10, v1
                                        ; implicit-def: $vgpr5
	s_and_saveexec_b64 s[10:11], vcc
	s_xor_b64 s[10:11], exec, s[10:11]
	s_cbranch_execz .LBB55_2774
; %bb.2769:
	s_mov_b32 s16, 0x3c7fffff
	v_cmp_lt_u32_e32 vcc, s16, v1
                                        ; implicit-def: $vgpr5
	s_and_saveexec_b64 s[16:17], vcc
	s_xor_b64 s[16:17], exec, s[16:17]
; %bb.2770:
	v_bfe_u32 v5, v1, 20, 1
	s_mov_b32 s18, 0x407ffff
	v_add3_u32 v1, v1, v5, s18
	v_lshrrev_b32_e32 v5, 20, v1
	v_and_b32_e32 v1, 0xff00000, v1
	s_mov_b32 s18, 0x7f00000
	v_mov_b32_e32 v6, 0x7e
	v_cmp_ne_u32_e32 vcc, s18, v1
	v_cndmask_b32_e32 v5, v6, v5, vcc
                                        ; implicit-def: $vgpr1
; %bb.2771:
	s_andn2_saveexec_b64 s[16:17], s[16:17]
; %bb.2772:
	v_add_f32_e32 v5, 0x46800000, v1
; %bb.2773:
	s_or_b64 exec, exec, s[16:17]
                                        ; implicit-def: $vgpr1
.LBB55_2774:
	s_andn2_saveexec_b64 s[10:11], s[10:11]
; %bb.2775:
	s_mov_b32 s16, 0x7f800000
	v_mov_b32_e32 v5, 0x7e
	v_mov_b32_e32 v6, 0x7f
	v_cmp_lt_u32_e32 vcc, s16, v1
	v_cndmask_b32_e32 v5, v5, v6, vcc
; %bb.2776:
	s_or_b64 exec, exec, s[10:11]
	global_store_byte v[3:4], v5, off
.LBB55_2777:
	s_mov_b64 s[10:11], 0
.LBB55_2778:
	s_andn2_b64 vcc, exec, s[10:11]
	s_cbranch_vccnz .LBB55_2788
; %bb.2779:
	v_cndmask_b32_e64 v1, 0, 1.0, s[6:7]
	s_mov_b32 s10, 0x47800000
	v_cmp_gt_u32_e32 vcc, s10, v1
                                        ; implicit-def: $vgpr5
	s_and_saveexec_b64 s[10:11], vcc
	s_xor_b64 s[10:11], exec, s[10:11]
	s_cbranch_execz .LBB55_2785
; %bb.2780:
	s_mov_b32 s16, 0x387fffff
	v_cmp_lt_u32_e32 vcc, s16, v1
                                        ; implicit-def: $vgpr5
	s_and_saveexec_b64 s[16:17], vcc
	s_xor_b64 s[16:17], exec, s[16:17]
; %bb.2781:
	v_bfe_u32 v5, v1, 21, 1
	s_mov_b32 s18, 0x80fffff
	v_add3_u32 v1, v1, v5, s18
	v_lshrrev_b32_e32 v5, 21, v1
                                        ; implicit-def: $vgpr1
; %bb.2782:
	s_andn2_saveexec_b64 s[16:17], s[16:17]
; %bb.2783:
	v_add_f32_e32 v5, 0x43000000, v1
; %bb.2784:
	s_or_b64 exec, exec, s[16:17]
                                        ; implicit-def: $vgpr1
.LBB55_2785:
	s_andn2_saveexec_b64 s[10:11], s[10:11]
; %bb.2786:
	s_mov_b32 s16, 0x7f800000
	v_mov_b32_e32 v5, 0x7c
	v_mov_b32_e32 v6, 0x7f
	v_cmp_lt_u32_e32 vcc, s16, v1
	v_cndmask_b32_e32 v5, v5, v6, vcc
; %bb.2787:
	s_or_b64 exec, exec, s[10:11]
	global_store_byte v[3:4], v5, off
.LBB55_2788:
	s_mov_b64 s[10:11], 0
	s_mov_b64 s[16:17], -1
.LBB55_2789:
	s_andn2_b64 vcc, exec, s[10:11]
	s_mov_b64 s[10:11], 0
	s_cbranch_vccnz .LBB55_2796
; %bb.2790:
	s_cmp_gt_i32 s23, 14
	s_mov_b64 s[18:19], -1
	s_cbranch_scc0 .LBB55_2794
; %bb.2791:
	s_cmp_eq_u32 s23, 15
	s_mov_b64 s[0:1], -1
	s_cbranch_scc0 .LBB55_2793
; %bb.2792:
	v_cndmask_b32_e64 v1, 0, 1.0, s[6:7]
	v_bfe_u32 v5, v1, 16, 1
	s_movk_i32 s0, 0x7fff
	v_add3_u32 v1, v1, v5, s0
	global_store_short_d16_hi v[3:4], v1, off
	s_mov_b64 s[0:1], 0
	s_mov_b64 s[16:17], -1
.LBB55_2793:
	s_mov_b64 s[18:19], 0
.LBB55_2794:
	s_and_b64 vcc, exec, s[18:19]
	s_cbranch_vccz .LBB55_2796
; %bb.2795:
	s_cmp_lg_u32 s23, 11
	s_mov_b64 s[10:11], -1
	s_cselect_b64 s[0:1], -1, 0
.LBB55_2796:
	s_and_b64 vcc, exec, s[0:1]
	s_cbranch_vccnz .LBB55_3090
; %bb.2797:
	s_andn2_b64 vcc, exec, s[10:11]
	s_cbranch_vccnz .LBB55_2799
.LBB55_2798:
	v_cndmask_b32_e64 v1, 0, 1, s[6:7]
	s_mov_b64 s[16:17], -1
	global_store_byte v[3:4], v1, off
.LBB55_2799:
	s_mov_b64 s[0:1], 0
	s_branch .LBB55_2801
.LBB55_2800:
	s_mov_b64 s[0:1], -1
	s_mov_b64 s[16:17], 0
.LBB55_2801:
	s_and_b64 vcc, exec, s[0:1]
	s_cbranch_vccz .LBB55_2840
; %bb.2802:
	s_cmp_lt_i32 s23, 5
	s_mov_b64 s[0:1], -1
	s_cbranch_scc1 .LBB55_2823
; %bb.2803:
	s_cmp_lt_i32 s23, 8
	s_cbranch_scc1 .LBB55_2813
; %bb.2804:
	s_cmp_lt_i32 s23, 9
	s_cbranch_scc1 .LBB55_2810
; %bb.2805:
	s_cmp_gt_i32 s23, 9
	s_cbranch_scc0 .LBB55_2807
; %bb.2806:
	v_cndmask_b32_e64 v1, 0, 1, s[6:7]
	v_cvt_f64_u32_e32 v[5:6], v1
	v_mov_b32_e32 v7, 0
	v_mov_b32_e32 v8, v7
	s_mov_b64 s[0:1], 0
	global_store_dwordx4 v[3:4], v[5:8], off
.LBB55_2807:
	s_andn2_b64 vcc, exec, s[0:1]
	s_cbranch_vccnz .LBB55_2809
; %bb.2808:
	v_cndmask_b32_e64 v5, 0, 1.0, s[6:7]
	v_mov_b32_e32 v6, 0
	global_store_dwordx2 v[3:4], v[5:6], off
.LBB55_2809:
	s_mov_b64 s[0:1], 0
.LBB55_2810:
	s_andn2_b64 vcc, exec, s[0:1]
	s_cbranch_vccnz .LBB55_2812
; %bb.2811:
	v_cndmask_b32_e64 v1, 0, 1.0, s[6:7]
	v_cvt_f16_f32_e32 v1, v1
	global_store_dword v[3:4], v1, off
.LBB55_2812:
	s_mov_b64 s[0:1], 0
.LBB55_2813:
	s_andn2_b64 vcc, exec, s[0:1]
	s_cbranch_vccnz .LBB55_2822
; %bb.2814:
	s_cmp_lt_i32 s23, 6
	s_mov_b64 s[0:1], -1
	s_cbranch_scc1 .LBB55_2820
; %bb.2815:
	s_cmp_gt_i32 s23, 6
	s_cbranch_scc0 .LBB55_2817
; %bb.2816:
	v_cndmask_b32_e64 v1, 0, 1, s[6:7]
	v_cvt_f64_u32_e32 v[5:6], v1
	s_mov_b64 s[0:1], 0
	global_store_dwordx2 v[3:4], v[5:6], off
.LBB55_2817:
	s_andn2_b64 vcc, exec, s[0:1]
	s_cbranch_vccnz .LBB55_2819
; %bb.2818:
	v_cndmask_b32_e64 v1, 0, 1.0, s[6:7]
	global_store_dword v[3:4], v1, off
.LBB55_2819:
	s_mov_b64 s[0:1], 0
.LBB55_2820:
	s_andn2_b64 vcc, exec, s[0:1]
	s_cbranch_vccnz .LBB55_2822
; %bb.2821:
	v_cndmask_b32_e64 v1, 0, 1.0, s[6:7]
	v_cvt_f16_f32_e32 v1, v1
	global_store_short v[3:4], v1, off
.LBB55_2822:
	s_mov_b64 s[0:1], 0
.LBB55_2823:
	s_andn2_b64 vcc, exec, s[0:1]
	s_cbranch_vccnz .LBB55_2839
; %bb.2824:
	s_cmp_lt_i32 s23, 2
	s_mov_b64 s[0:1], -1
	s_cbranch_scc1 .LBB55_2834
; %bb.2825:
	s_cmp_lt_i32 s23, 3
	s_cbranch_scc1 .LBB55_2831
; %bb.2826:
	s_cmp_gt_i32 s23, 3
	s_cbranch_scc0 .LBB55_2828
; %bb.2827:
	s_mov_b32 s0, 0
	v_cndmask_b32_e64 v5, 0, 1, s[6:7]
	v_mov_b32_e32 v6, s0
	global_store_dwordx2 v[3:4], v[5:6], off
	s_mov_b64 s[0:1], 0
.LBB55_2828:
	s_andn2_b64 vcc, exec, s[0:1]
	s_cbranch_vccnz .LBB55_2830
; %bb.2829:
	v_cndmask_b32_e64 v1, 0, 1, s[6:7]
	global_store_dword v[3:4], v1, off
.LBB55_2830:
	s_mov_b64 s[0:1], 0
.LBB55_2831:
	s_andn2_b64 vcc, exec, s[0:1]
	s_cbranch_vccnz .LBB55_2833
; %bb.2832:
	v_cndmask_b32_e64 v1, 0, 1, s[6:7]
	global_store_short v[3:4], v1, off
.LBB55_2833:
	s_mov_b64 s[0:1], 0
.LBB55_2834:
	s_andn2_b64 vcc, exec, s[0:1]
	s_cbranch_vccnz .LBB55_2839
; %bb.2835:
	s_mov_b64 s[0:1], -1
	s_cmp_gt_i32 s23, 0
	v_cndmask_b32_e64 v1, 0, 1, s[6:7]
	s_cbranch_scc0 .LBB55_2837
; %bb.2836:
	global_store_byte v[3:4], v1, off
	s_mov_b64 s[0:1], 0
.LBB55_2837:
	s_andn2_b64 vcc, exec, s[0:1]
	s_cbranch_vccnz .LBB55_2839
; %bb.2838:
	global_store_byte v[3:4], v1, off
.LBB55_2839:
	s_mov_b64 s[16:17], -1
.LBB55_2840:
	s_andn2_b64 vcc, exec, s[16:17]
	s_cbranch_vccnz .LBB55_3036
; %bb.2841:
	v_cmp_ne_u64_e32 vcc, v[18:19], v[20:21]
	v_mov_b32_e32 v3, s9
	s_xor_b64 s[6:7], s[2:3], vcc
	v_add_co_u32_e32 v1, vcc, s8, v2
	s_cmp_lt_i32 s23, 11
	v_addc_co_u32_e32 v2, vcc, 0, v3, vcc
	s_cbranch_scc1 .LBB55_2919
; %bb.2842:
	s_mov_b64 s[18:19], -1
	s_mov_b64 s[10:11], 0
	s_cmp_gt_i32 s23, 25
	s_mov_b64 s[16:17], 0
	s_mov_b64 s[0:1], 0
	s_cbranch_scc0 .LBB55_2875
; %bb.2843:
	s_cmp_gt_i32 s23, 28
	s_cbranch_scc0 .LBB55_2858
; %bb.2844:
	s_cmp_gt_i32 s23, 43
	;; [unrolled: 3-line block ×3, first 2 shown]
	s_cbranch_scc0 .LBB55_2848
; %bb.2846:
	s_mov_b64 s[0:1], -1
	s_mov_b64 s[18:19], 0
	s_cmp_eq_u32 s23, 46
	s_cbranch_scc0 .LBB55_2848
; %bb.2847:
	v_cndmask_b32_e64 v3, 0, 1.0, s[6:7]
	v_bfe_u32 v4, v3, 16, 1
	s_movk_i32 s0, 0x7fff
	v_add3_u32 v3, v3, v4, s0
	v_lshrrev_b32_e32 v3, 16, v3
	global_store_dword v[1:2], v3, off
	s_mov_b64 s[0:1], 0
	s_mov_b64 s[16:17], -1
.LBB55_2848:
	s_and_b64 vcc, exec, s[18:19]
	s_cbranch_vccz .LBB55_2853
; %bb.2849:
	s_cmp_eq_u32 s23, 44
	s_mov_b64 s[0:1], -1
	s_cbranch_scc0 .LBB55_2853
; %bb.2850:
	v_cndmask_b32_e64 v4, 0, 1.0, s[6:7]
	v_lshrrev_b32_e32 v3, 23, v4
	s_movk_i32 s0, 0xff
	v_cmp_ne_u32_e32 vcc, s0, v3
	v_mov_b32_e32 v5, 0xff
	s_and_saveexec_b64 s[16:17], vcc
; %bb.2851:
	s_mov_b32 s0, 0x3fffff
	v_and_b32_e32 v5, 0x400000, v4
	v_and_or_b32 v4, v4, s0, v3
	v_cmp_ne_u32_e32 vcc, 0, v5
	v_cmp_ne_u32_e64 s[0:1], 0, v4
	s_and_b64 s[0:1], vcc, s[0:1]
	v_cndmask_b32_e64 v4, 0, 1, s[0:1]
	v_add_u32_e32 v5, v3, v4
; %bb.2852:
	s_or_b64 exec, exec, s[16:17]
	s_mov_b64 s[0:1], 0
	s_mov_b64 s[16:17], -1
	global_store_byte v[1:2], v5, off
.LBB55_2853:
	s_mov_b64 s[18:19], 0
.LBB55_2854:
	s_and_b64 vcc, exec, s[18:19]
	s_cbranch_vccz .LBB55_2857
; %bb.2855:
	s_cmp_eq_u32 s23, 29
	s_mov_b64 s[0:1], -1
	s_cbranch_scc0 .LBB55_2857
; %bb.2856:
	s_mov_b32 s0, 0
	v_cndmask_b32_e64 v3, 0, 1, s[6:7]
	v_mov_b32_e32 v4, s0
	global_store_dwordx2 v[1:2], v[3:4], off
	s_mov_b64 s[0:1], 0
	s_mov_b64 s[16:17], -1
.LBB55_2857:
	s_mov_b64 s[18:19], 0
.LBB55_2858:
	s_and_b64 vcc, exec, s[18:19]
	s_cbranch_vccz .LBB55_2874
; %bb.2859:
	s_cmp_lt_i32 s23, 27
	s_mov_b64 s[16:17], -1
	s_cbranch_scc1 .LBB55_2865
; %bb.2860:
	s_cmp_gt_i32 s23, 27
	s_cbranch_scc0 .LBB55_2862
; %bb.2861:
	v_cndmask_b32_e64 v3, 0, 1, s[6:7]
	s_mov_b64 s[16:17], 0
	global_store_dword v[1:2], v3, off
.LBB55_2862:
	s_andn2_b64 vcc, exec, s[16:17]
	s_cbranch_vccnz .LBB55_2864
; %bb.2863:
	v_cndmask_b32_e64 v3, 0, 1, s[6:7]
	global_store_short v[1:2], v3, off
.LBB55_2864:
	s_mov_b64 s[16:17], 0
.LBB55_2865:
	s_andn2_b64 vcc, exec, s[16:17]
	s_cbranch_vccnz .LBB55_2873
; %bb.2866:
	v_cndmask_b32_e64 v4, 0, 1.0, s[6:7]
	s_mov_b32 s16, 0x43800000
	v_cmp_gt_u32_e32 vcc, s16, v4
	v_mov_b32_e32 v5, 0x80
	s_and_saveexec_b64 s[16:17], vcc
	s_cbranch_execz .LBB55_2872
; %bb.2867:
	s_mov_b32 s18, 0x3bffffff
	v_cmp_lt_u32_e32 vcc, s18, v4
	s_mov_b64 s[18:19], 0
                                        ; implicit-def: $vgpr3
	s_and_saveexec_b64 s[20:21], vcc
	s_xor_b64 s[20:21], exec, s[20:21]
	s_cbranch_execz .LBB55_3093
; %bb.2868:
	v_bfe_u32 v3, v4, 20, 1
	s_mov_b32 s24, 0x487ffff
	v_add3_u32 v3, v4, v3, s24
	s_mov_b64 s[18:19], exec
	v_lshrrev_b32_e32 v3, 20, v3
                                        ; implicit-def: $vgpr4
	s_andn2_saveexec_b64 s[20:21], s[20:21]
	s_cbranch_execnz .LBB55_3094
.LBB55_2869:
	s_or_b64 exec, exec, s[20:21]
	v_mov_b32_e32 v5, 0
	s_and_saveexec_b64 s[20:21], s[18:19]
.LBB55_2870:
	v_mov_b32_e32 v5, v3
.LBB55_2871:
	s_or_b64 exec, exec, s[20:21]
.LBB55_2872:
	s_or_b64 exec, exec, s[16:17]
	global_store_byte v[1:2], v5, off
.LBB55_2873:
	s_mov_b64 s[16:17], -1
.LBB55_2874:
	s_mov_b64 s[18:19], 0
.LBB55_2875:
	s_and_b64 vcc, exec, s[18:19]
	s_cbranch_vccz .LBB55_2915
; %bb.2876:
	s_cmp_gt_i32 s23, 22
	s_mov_b64 s[10:11], -1
	s_cbranch_scc0 .LBB55_2908
; %bb.2877:
	s_cmp_lt_i32 s23, 24
	s_cbranch_scc1 .LBB55_2897
; %bb.2878:
	s_cmp_gt_i32 s23, 24
	s_cbranch_scc0 .LBB55_2886
; %bb.2879:
	v_cndmask_b32_e64 v4, 0, 1.0, s[6:7]
	s_mov_b32 s10, 0x47800000
	v_cmp_gt_u32_e32 vcc, s10, v4
	v_mov_b32_e32 v5, 0x80
	s_and_saveexec_b64 s[10:11], vcc
	s_cbranch_execz .LBB55_2885
; %bb.2880:
	s_mov_b32 s16, 0x37ffffff
	v_cmp_lt_u32_e32 vcc, s16, v4
	s_mov_b64 s[16:17], 0
                                        ; implicit-def: $vgpr3
	s_and_saveexec_b64 s[18:19], vcc
	s_xor_b64 s[18:19], exec, s[18:19]
	s_cbranch_execz .LBB55_3096
; %bb.2881:
	v_bfe_u32 v3, v4, 21, 1
	s_mov_b32 s20, 0x88fffff
	v_add3_u32 v3, v4, v3, s20
	s_mov_b64 s[16:17], exec
	v_lshrrev_b32_e32 v3, 21, v3
                                        ; implicit-def: $vgpr4
	s_andn2_saveexec_b64 s[18:19], s[18:19]
	s_cbranch_execnz .LBB55_3097
.LBB55_2882:
	s_or_b64 exec, exec, s[18:19]
	v_mov_b32_e32 v5, 0
	s_and_saveexec_b64 s[18:19], s[16:17]
.LBB55_2883:
	v_mov_b32_e32 v5, v3
.LBB55_2884:
	s_or_b64 exec, exec, s[18:19]
.LBB55_2885:
	s_or_b64 exec, exec, s[10:11]
	s_mov_b64 s[10:11], 0
	global_store_byte v[1:2], v5, off
.LBB55_2886:
	s_and_b64 vcc, exec, s[10:11]
	s_cbranch_vccz .LBB55_2896
; %bb.2887:
	v_cndmask_b32_e64 v3, 0, 1.0, s[6:7]
	s_mov_b32 s10, 0x43f00000
	v_cmp_gt_u32_e32 vcc, s10, v3
                                        ; implicit-def: $vgpr4
	s_and_saveexec_b64 s[10:11], vcc
	s_xor_b64 s[10:11], exec, s[10:11]
	s_cbranch_execz .LBB55_2893
; %bb.2888:
	s_mov_b32 s16, 0x3c7fffff
	v_cmp_lt_u32_e32 vcc, s16, v3
                                        ; implicit-def: $vgpr4
	s_and_saveexec_b64 s[16:17], vcc
	s_xor_b64 s[16:17], exec, s[16:17]
; %bb.2889:
	v_bfe_u32 v4, v3, 20, 1
	s_mov_b32 s18, 0x407ffff
	v_add3_u32 v3, v3, v4, s18
	v_lshrrev_b32_e32 v4, 20, v3
	v_and_b32_e32 v3, 0xff00000, v3
	s_mov_b32 s18, 0x7f00000
	v_mov_b32_e32 v5, 0x7e
	v_cmp_ne_u32_e32 vcc, s18, v3
	v_cndmask_b32_e32 v4, v5, v4, vcc
                                        ; implicit-def: $vgpr3
; %bb.2890:
	s_andn2_saveexec_b64 s[16:17], s[16:17]
; %bb.2891:
	v_add_f32_e32 v4, 0x46800000, v3
; %bb.2892:
	s_or_b64 exec, exec, s[16:17]
                                        ; implicit-def: $vgpr3
.LBB55_2893:
	s_andn2_saveexec_b64 s[10:11], s[10:11]
; %bb.2894:
	s_mov_b32 s16, 0x7f800000
	v_mov_b32_e32 v4, 0x7e
	v_mov_b32_e32 v5, 0x7f
	v_cmp_lt_u32_e32 vcc, s16, v3
	v_cndmask_b32_e32 v4, v4, v5, vcc
; %bb.2895:
	s_or_b64 exec, exec, s[10:11]
	global_store_byte v[1:2], v4, off
.LBB55_2896:
	s_mov_b64 s[10:11], 0
.LBB55_2897:
	s_andn2_b64 vcc, exec, s[10:11]
	s_cbranch_vccnz .LBB55_2907
; %bb.2898:
	v_cndmask_b32_e64 v3, 0, 1.0, s[6:7]
	s_mov_b32 s10, 0x47800000
	v_cmp_gt_u32_e32 vcc, s10, v3
                                        ; implicit-def: $vgpr4
	s_and_saveexec_b64 s[10:11], vcc
	s_xor_b64 s[10:11], exec, s[10:11]
	s_cbranch_execz .LBB55_2904
; %bb.2899:
	s_mov_b32 s16, 0x387fffff
	v_cmp_lt_u32_e32 vcc, s16, v3
                                        ; implicit-def: $vgpr4
	s_and_saveexec_b64 s[16:17], vcc
	s_xor_b64 s[16:17], exec, s[16:17]
; %bb.2900:
	v_bfe_u32 v4, v3, 21, 1
	s_mov_b32 s18, 0x80fffff
	v_add3_u32 v3, v3, v4, s18
	v_lshrrev_b32_e32 v4, 21, v3
                                        ; implicit-def: $vgpr3
; %bb.2901:
	s_andn2_saveexec_b64 s[16:17], s[16:17]
; %bb.2902:
	v_add_f32_e32 v4, 0x43000000, v3
; %bb.2903:
	s_or_b64 exec, exec, s[16:17]
                                        ; implicit-def: $vgpr3
.LBB55_2904:
	s_andn2_saveexec_b64 s[10:11], s[10:11]
; %bb.2905:
	s_mov_b32 s16, 0x7f800000
	v_mov_b32_e32 v4, 0x7c
	v_mov_b32_e32 v5, 0x7f
	v_cmp_lt_u32_e32 vcc, s16, v3
	v_cndmask_b32_e32 v4, v4, v5, vcc
; %bb.2906:
	s_or_b64 exec, exec, s[10:11]
	global_store_byte v[1:2], v4, off
.LBB55_2907:
	s_mov_b64 s[10:11], 0
	s_mov_b64 s[16:17], -1
.LBB55_2908:
	s_andn2_b64 vcc, exec, s[10:11]
	s_mov_b64 s[10:11], 0
	s_cbranch_vccnz .LBB55_2915
; %bb.2909:
	s_cmp_gt_i32 s23, 14
	s_mov_b64 s[18:19], -1
	s_cbranch_scc0 .LBB55_2913
; %bb.2910:
	s_cmp_eq_u32 s23, 15
	s_mov_b64 s[0:1], -1
	s_cbranch_scc0 .LBB55_2912
; %bb.2911:
	v_cndmask_b32_e64 v3, 0, 1.0, s[6:7]
	v_bfe_u32 v4, v3, 16, 1
	s_movk_i32 s0, 0x7fff
	v_add3_u32 v3, v3, v4, s0
	global_store_short_d16_hi v[1:2], v3, off
	s_mov_b64 s[0:1], 0
	s_mov_b64 s[16:17], -1
.LBB55_2912:
	s_mov_b64 s[18:19], 0
.LBB55_2913:
	s_and_b64 vcc, exec, s[18:19]
	s_cbranch_vccz .LBB55_2915
; %bb.2914:
	s_cmp_lg_u32 s23, 11
	s_mov_b64 s[10:11], -1
	s_cselect_b64 s[0:1], -1, 0
.LBB55_2915:
	s_and_b64 vcc, exec, s[0:1]
	s_cbranch_vccnz .LBB55_3095
; %bb.2916:
	s_andn2_b64 vcc, exec, s[10:11]
	s_cbranch_vccnz .LBB55_2918
.LBB55_2917:
	v_cndmask_b32_e64 v3, 0, 1, s[6:7]
	s_mov_b64 s[16:17], -1
	global_store_byte v[1:2], v3, off
.LBB55_2918:
	s_mov_b64 s[0:1], 0
	s_branch .LBB55_2920
.LBB55_2919:
	s_mov_b64 s[0:1], -1
	s_mov_b64 s[16:17], 0
.LBB55_2920:
	s_and_b64 vcc, exec, s[0:1]
	s_cbranch_vccz .LBB55_2959
; %bb.2921:
	s_cmp_lt_i32 s23, 5
	s_mov_b64 s[0:1], -1
	s_cbranch_scc1 .LBB55_2942
; %bb.2922:
	s_cmp_lt_i32 s23, 8
	s_cbranch_scc1 .LBB55_2932
; %bb.2923:
	s_cmp_lt_i32 s23, 9
	s_cbranch_scc1 .LBB55_2929
; %bb.2924:
	s_cmp_gt_i32 s23, 9
	s_cbranch_scc0 .LBB55_2926
; %bb.2925:
	v_cndmask_b32_e64 v3, 0, 1, s[6:7]
	v_cvt_f64_u32_e32 v[3:4], v3
	v_mov_b32_e32 v5, 0
	v_mov_b32_e32 v6, v5
	s_mov_b64 s[0:1], 0
	global_store_dwordx4 v[1:2], v[3:6], off
.LBB55_2926:
	s_andn2_b64 vcc, exec, s[0:1]
	s_cbranch_vccnz .LBB55_2928
; %bb.2927:
	v_cndmask_b32_e64 v3, 0, 1.0, s[6:7]
	v_mov_b32_e32 v4, 0
	global_store_dwordx2 v[1:2], v[3:4], off
.LBB55_2928:
	s_mov_b64 s[0:1], 0
.LBB55_2929:
	s_andn2_b64 vcc, exec, s[0:1]
	s_cbranch_vccnz .LBB55_2931
; %bb.2930:
	v_cndmask_b32_e64 v3, 0, 1.0, s[6:7]
	v_cvt_f16_f32_e32 v3, v3
	global_store_dword v[1:2], v3, off
.LBB55_2931:
	s_mov_b64 s[0:1], 0
.LBB55_2932:
	s_andn2_b64 vcc, exec, s[0:1]
	s_cbranch_vccnz .LBB55_2941
; %bb.2933:
	s_cmp_lt_i32 s23, 6
	s_mov_b64 s[0:1], -1
	s_cbranch_scc1 .LBB55_2939
; %bb.2934:
	s_cmp_gt_i32 s23, 6
	s_cbranch_scc0 .LBB55_2936
; %bb.2935:
	v_cndmask_b32_e64 v3, 0, 1, s[6:7]
	v_cvt_f64_u32_e32 v[3:4], v3
	s_mov_b64 s[0:1], 0
	global_store_dwordx2 v[1:2], v[3:4], off
.LBB55_2936:
	s_andn2_b64 vcc, exec, s[0:1]
	s_cbranch_vccnz .LBB55_2938
; %bb.2937:
	v_cndmask_b32_e64 v3, 0, 1.0, s[6:7]
	global_store_dword v[1:2], v3, off
.LBB55_2938:
	s_mov_b64 s[0:1], 0
.LBB55_2939:
	s_andn2_b64 vcc, exec, s[0:1]
	s_cbranch_vccnz .LBB55_2941
; %bb.2940:
	v_cndmask_b32_e64 v3, 0, 1.0, s[6:7]
	v_cvt_f16_f32_e32 v3, v3
	global_store_short v[1:2], v3, off
.LBB55_2941:
	s_mov_b64 s[0:1], 0
.LBB55_2942:
	s_andn2_b64 vcc, exec, s[0:1]
	s_cbranch_vccnz .LBB55_2958
; %bb.2943:
	s_cmp_lt_i32 s23, 2
	s_mov_b64 s[0:1], -1
	s_cbranch_scc1 .LBB55_2953
; %bb.2944:
	s_cmp_lt_i32 s23, 3
	s_cbranch_scc1 .LBB55_2950
; %bb.2945:
	s_cmp_gt_i32 s23, 3
	s_cbranch_scc0 .LBB55_2947
; %bb.2946:
	s_mov_b32 s0, 0
	v_cndmask_b32_e64 v3, 0, 1, s[6:7]
	v_mov_b32_e32 v4, s0
	global_store_dwordx2 v[1:2], v[3:4], off
	s_mov_b64 s[0:1], 0
.LBB55_2947:
	s_andn2_b64 vcc, exec, s[0:1]
	s_cbranch_vccnz .LBB55_2949
; %bb.2948:
	v_cndmask_b32_e64 v3, 0, 1, s[6:7]
	global_store_dword v[1:2], v3, off
.LBB55_2949:
	s_mov_b64 s[0:1], 0
.LBB55_2950:
	s_andn2_b64 vcc, exec, s[0:1]
	s_cbranch_vccnz .LBB55_2952
; %bb.2951:
	v_cndmask_b32_e64 v3, 0, 1, s[6:7]
	global_store_short v[1:2], v3, off
.LBB55_2952:
	s_mov_b64 s[0:1], 0
.LBB55_2953:
	s_andn2_b64 vcc, exec, s[0:1]
	s_cbranch_vccnz .LBB55_2958
; %bb.2954:
	s_cmp_gt_i32 s23, 0
	s_mov_b64 s[0:1], -1
	s_cbranch_scc0 .LBB55_2956
; %bb.2955:
	v_cndmask_b32_e64 v3, 0, 1, s[6:7]
	global_store_byte v[1:2], v3, off
	s_mov_b64 s[0:1], 0
.LBB55_2956:
	s_andn2_b64 vcc, exec, s[0:1]
	s_cbranch_vccnz .LBB55_2958
; %bb.2957:
	v_cndmask_b32_e64 v3, 0, 1, s[6:7]
	global_store_byte v[1:2], v3, off
.LBB55_2958:
	s_mov_b64 s[16:17], -1
.LBB55_2959:
	s_andn2_b64 vcc, exec, s[16:17]
	s_cbranch_vccnz .LBB55_3036
; %bb.2960:
	v_cmp_ne_u64_e32 vcc, v[22:23], v[24:25]
	v_mov_b32_e32 v1, s9
	s_xor_b64 s[10:11], s[2:3], vcc
	v_add_co_u32_e32 v0, vcc, s8, v0
	s_cmp_lt_i32 s23, 11
	v_addc_co_u32_e32 v1, vcc, 0, v1, vcc
	s_cbranch_scc1 .LBB55_3081
; %bb.2961:
	s_mov_b64 s[6:7], -1
	s_mov_b64 s[2:3], 0
	s_cmp_gt_i32 s23, 25
	s_mov_b64 s[0:1], 0
	s_cbranch_scc0 .LBB55_2994
; %bb.2962:
	s_cmp_gt_i32 s23, 28
	s_cbranch_scc0 .LBB55_2978
; %bb.2963:
	s_cmp_gt_i32 s23, 43
	;; [unrolled: 3-line block ×3, first 2 shown]
	s_cbranch_scc0 .LBB55_2968
; %bb.2965:
	s_cmp_eq_u32 s23, 46
	s_mov_b64 s[0:1], -1
	s_cbranch_scc0 .LBB55_2967
; %bb.2966:
	v_cndmask_b32_e64 v2, 0, 1.0, s[10:11]
	v_bfe_u32 v3, v2, 16, 1
	s_movk_i32 s0, 0x7fff
	v_add3_u32 v2, v2, v3, s0
	v_lshrrev_b32_e32 v2, 16, v2
	global_store_dword v[0:1], v2, off
	s_mov_b64 s[0:1], 0
.LBB55_2967:
	s_mov_b64 s[6:7], 0
.LBB55_2968:
	s_and_b64 vcc, exec, s[6:7]
	s_cbranch_vccz .LBB55_2973
; %bb.2969:
	s_cmp_eq_u32 s23, 44
	s_mov_b64 s[0:1], -1
	s_cbranch_scc0 .LBB55_2973
; %bb.2970:
	v_cndmask_b32_e64 v3, 0, 1.0, s[10:11]
	v_lshrrev_b32_e32 v2, 23, v3
	s_movk_i32 s0, 0xff
	v_cmp_ne_u32_e32 vcc, s0, v2
	v_mov_b32_e32 v4, 0xff
	s_and_saveexec_b64 s[6:7], vcc
; %bb.2971:
	s_mov_b32 s0, 0x3fffff
	v_and_b32_e32 v4, 0x400000, v3
	v_and_or_b32 v3, v3, s0, v2
	v_cmp_ne_u32_e32 vcc, 0, v4
	v_cmp_ne_u32_e64 s[0:1], 0, v3
	s_and_b64 s[0:1], vcc, s[0:1]
	v_cndmask_b32_e64 v3, 0, 1, s[0:1]
	v_add_u32_e32 v4, v2, v3
; %bb.2972:
	s_or_b64 exec, exec, s[6:7]
	s_mov_b64 s[0:1], 0
	global_store_byte v[0:1], v4, off
.LBB55_2973:
	s_mov_b64 s[6:7], 0
.LBB55_2974:
	s_and_b64 vcc, exec, s[6:7]
	s_cbranch_vccz .LBB55_2977
; %bb.2975:
	s_cmp_eq_u32 s23, 29
	s_mov_b64 s[0:1], -1
	s_cbranch_scc0 .LBB55_2977
; %bb.2976:
	s_mov_b32 s0, 0
	v_cndmask_b32_e64 v2, 0, 1, s[10:11]
	v_mov_b32_e32 v3, s0
	global_store_dwordx2 v[0:1], v[2:3], off
	s_mov_b64 s[0:1], 0
.LBB55_2977:
	s_mov_b64 s[6:7], 0
.LBB55_2978:
	s_and_b64 vcc, exec, s[6:7]
	s_cbranch_vccz .LBB55_2993
; %bb.2979:
	s_cmp_lt_i32 s23, 27
	s_mov_b64 s[6:7], -1
	s_cbranch_scc1 .LBB55_2985
; %bb.2980:
	s_cmp_gt_i32 s23, 27
	v_cndmask_b32_e64 v2, 0, 1, s[10:11]
	s_cbranch_scc0 .LBB55_2982
; %bb.2981:
	global_store_dword v[0:1], v2, off
	s_mov_b64 s[6:7], 0
.LBB55_2982:
	s_andn2_b64 vcc, exec, s[6:7]
	s_cbranch_vccnz .LBB55_2984
; %bb.2983:
	global_store_short v[0:1], v2, off
.LBB55_2984:
	s_mov_b64 s[6:7], 0
.LBB55_2985:
	s_andn2_b64 vcc, exec, s[6:7]
	s_cbranch_vccnz .LBB55_2993
; %bb.2986:
	v_cndmask_b32_e64 v3, 0, 1.0, s[10:11]
	s_mov_b32 s6, 0x43800000
	v_cmp_gt_u32_e32 vcc, s6, v3
	v_mov_b32_e32 v4, 0x80
	s_and_saveexec_b64 s[6:7], vcc
	s_cbranch_execz .LBB55_2992
; %bb.2987:
	s_mov_b32 s8, 0x3bffffff
	v_cmp_lt_u32_e32 vcc, s8, v3
	s_mov_b64 s[8:9], 0
                                        ; implicit-def: $vgpr2
	s_and_saveexec_b64 s[16:17], vcc
	s_xor_b64 s[16:17], exec, s[16:17]
	s_cbranch_execz .LBB55_3098
; %bb.2988:
	v_bfe_u32 v2, v3, 20, 1
	s_mov_b32 s18, 0x487ffff
	v_add3_u32 v2, v3, v2, s18
	s_mov_b64 s[8:9], exec
	v_lshrrev_b32_e32 v2, 20, v2
                                        ; implicit-def: $vgpr3
	s_andn2_saveexec_b64 s[16:17], s[16:17]
	s_cbranch_execnz .LBB55_3099
.LBB55_2989:
	s_or_b64 exec, exec, s[16:17]
	v_mov_b32_e32 v4, 0
	s_and_saveexec_b64 s[16:17], s[8:9]
.LBB55_2990:
	v_mov_b32_e32 v4, v2
.LBB55_2991:
	s_or_b64 exec, exec, s[16:17]
.LBB55_2992:
	s_or_b64 exec, exec, s[6:7]
	global_store_byte v[0:1], v4, off
.LBB55_2993:
	s_mov_b64 s[6:7], 0
.LBB55_2994:
	s_and_b64 vcc, exec, s[6:7]
	s_cbranch_vccz .LBB55_3034
; %bb.2995:
	s_cmp_gt_i32 s23, 22
	s_mov_b64 s[2:3], -1
	s_cbranch_scc0 .LBB55_3027
; %bb.2996:
	s_cmp_lt_i32 s23, 24
	s_cbranch_scc1 .LBB55_3016
; %bb.2997:
	s_cmp_gt_i32 s23, 24
	s_cbranch_scc0 .LBB55_3005
; %bb.2998:
	v_cndmask_b32_e64 v3, 0, 1.0, s[10:11]
	s_mov_b32 s2, 0x47800000
	v_cmp_gt_u32_e32 vcc, s2, v3
	v_mov_b32_e32 v4, 0x80
	s_and_saveexec_b64 s[2:3], vcc
	s_cbranch_execz .LBB55_3004
; %bb.2999:
	s_mov_b32 s6, 0x37ffffff
	v_cmp_lt_u32_e32 vcc, s6, v3
	s_mov_b64 s[6:7], 0
                                        ; implicit-def: $vgpr2
	s_and_saveexec_b64 s[8:9], vcc
	s_xor_b64 s[8:9], exec, s[8:9]
	s_cbranch_execz .LBB55_3101
; %bb.3000:
	v_bfe_u32 v2, v3, 21, 1
	s_mov_b32 s16, 0x88fffff
	v_add3_u32 v2, v3, v2, s16
	s_mov_b64 s[6:7], exec
	v_lshrrev_b32_e32 v2, 21, v2
                                        ; implicit-def: $vgpr3
	s_andn2_saveexec_b64 s[8:9], s[8:9]
	s_cbranch_execnz .LBB55_3102
.LBB55_3001:
	s_or_b64 exec, exec, s[8:9]
	v_mov_b32_e32 v4, 0
	s_and_saveexec_b64 s[8:9], s[6:7]
.LBB55_3002:
	v_mov_b32_e32 v4, v2
.LBB55_3003:
	s_or_b64 exec, exec, s[8:9]
.LBB55_3004:
	s_or_b64 exec, exec, s[2:3]
	s_mov_b64 s[2:3], 0
	global_store_byte v[0:1], v4, off
.LBB55_3005:
	s_and_b64 vcc, exec, s[2:3]
	s_cbranch_vccz .LBB55_3015
; %bb.3006:
	v_cndmask_b32_e64 v2, 0, 1.0, s[10:11]
	s_mov_b32 s2, 0x43f00000
	v_cmp_gt_u32_e32 vcc, s2, v2
                                        ; implicit-def: $vgpr3
	s_and_saveexec_b64 s[2:3], vcc
	s_xor_b64 s[2:3], exec, s[2:3]
	s_cbranch_execz .LBB55_3012
; %bb.3007:
	s_mov_b32 s6, 0x3c7fffff
	v_cmp_lt_u32_e32 vcc, s6, v2
                                        ; implicit-def: $vgpr3
	s_and_saveexec_b64 s[6:7], vcc
	s_xor_b64 s[6:7], exec, s[6:7]
; %bb.3008:
	v_bfe_u32 v3, v2, 20, 1
	s_mov_b32 s8, 0x407ffff
	v_add3_u32 v2, v2, v3, s8
	v_lshrrev_b32_e32 v3, 20, v2
	v_and_b32_e32 v2, 0xff00000, v2
	s_mov_b32 s8, 0x7f00000
	v_mov_b32_e32 v4, 0x7e
	v_cmp_ne_u32_e32 vcc, s8, v2
	v_cndmask_b32_e32 v3, v4, v3, vcc
                                        ; implicit-def: $vgpr2
; %bb.3009:
	s_andn2_saveexec_b64 s[6:7], s[6:7]
; %bb.3010:
	v_add_f32_e32 v3, 0x46800000, v2
; %bb.3011:
	s_or_b64 exec, exec, s[6:7]
                                        ; implicit-def: $vgpr2
.LBB55_3012:
	s_andn2_saveexec_b64 s[2:3], s[2:3]
; %bb.3013:
	s_mov_b32 s6, 0x7f800000
	v_mov_b32_e32 v3, 0x7e
	v_mov_b32_e32 v4, 0x7f
	v_cmp_lt_u32_e32 vcc, s6, v2
	v_cndmask_b32_e32 v3, v3, v4, vcc
; %bb.3014:
	s_or_b64 exec, exec, s[2:3]
	global_store_byte v[0:1], v3, off
.LBB55_3015:
	s_mov_b64 s[2:3], 0
.LBB55_3016:
	s_andn2_b64 vcc, exec, s[2:3]
	s_cbranch_vccnz .LBB55_3026
; %bb.3017:
	v_cndmask_b32_e64 v2, 0, 1.0, s[10:11]
	s_mov_b32 s2, 0x47800000
	v_cmp_gt_u32_e32 vcc, s2, v2
                                        ; implicit-def: $vgpr3
	s_and_saveexec_b64 s[2:3], vcc
	s_xor_b64 s[2:3], exec, s[2:3]
	s_cbranch_execz .LBB55_3023
; %bb.3018:
	s_mov_b32 s6, 0x387fffff
	v_cmp_lt_u32_e32 vcc, s6, v2
                                        ; implicit-def: $vgpr3
	s_and_saveexec_b64 s[6:7], vcc
	s_xor_b64 s[6:7], exec, s[6:7]
; %bb.3019:
	v_bfe_u32 v3, v2, 21, 1
	s_mov_b32 s8, 0x80fffff
	v_add3_u32 v2, v2, v3, s8
	v_lshrrev_b32_e32 v3, 21, v2
                                        ; implicit-def: $vgpr2
; %bb.3020:
	s_andn2_saveexec_b64 s[6:7], s[6:7]
; %bb.3021:
	v_add_f32_e32 v3, 0x43000000, v2
; %bb.3022:
	s_or_b64 exec, exec, s[6:7]
                                        ; implicit-def: $vgpr2
.LBB55_3023:
	s_andn2_saveexec_b64 s[2:3], s[2:3]
; %bb.3024:
	s_mov_b32 s6, 0x7f800000
	v_mov_b32_e32 v3, 0x7c
	v_mov_b32_e32 v4, 0x7f
	v_cmp_lt_u32_e32 vcc, s6, v2
	v_cndmask_b32_e32 v3, v3, v4, vcc
; %bb.3025:
	s_or_b64 exec, exec, s[2:3]
	global_store_byte v[0:1], v3, off
.LBB55_3026:
	s_mov_b64 s[2:3], 0
.LBB55_3027:
	s_andn2_b64 vcc, exec, s[2:3]
	s_mov_b64 s[2:3], 0
	s_cbranch_vccnz .LBB55_3034
; %bb.3028:
	s_cmp_gt_i32 s23, 14
	s_mov_b64 s[6:7], -1
	s_cbranch_scc0 .LBB55_3032
; %bb.3029:
	s_cmp_eq_u32 s23, 15
	s_mov_b64 s[0:1], -1
	s_cbranch_scc0 .LBB55_3031
; %bb.3030:
	v_cndmask_b32_e64 v2, 0, 1.0, s[10:11]
	v_bfe_u32 v3, v2, 16, 1
	s_movk_i32 s0, 0x7fff
	v_add3_u32 v2, v2, v3, s0
	global_store_short_d16_hi v[0:1], v2, off
	s_mov_b64 s[0:1], 0
.LBB55_3031:
	s_mov_b64 s[6:7], 0
.LBB55_3032:
	s_and_b64 vcc, exec, s[6:7]
	s_cbranch_vccz .LBB55_3034
; %bb.3033:
	s_cmp_lg_u32 s23, 11
	s_mov_b64 s[2:3], -1
	s_cselect_b64 s[0:1], -1, 0
.LBB55_3034:
	s_and_b64 vcc, exec, s[0:1]
	s_cbranch_vccnz .LBB55_3100
.LBB55_3035:
	s_mov_b64 s[0:1], 0
	s_branch .LBB55_3037
.LBB55_3036:
	s_mov_b64 s[0:1], 0
	s_mov_b64 s[2:3], 0
                                        ; implicit-def: $sgpr10_sgpr11
                                        ; implicit-def: $vgpr0_vgpr1
                                        ; implicit-def: $sgpr22
.LBB55_3037:
	s_and_b64 s[6:7], s[2:3], exec
	s_andn2_b64 s[2:3], s[12:13], exec
	s_and_b64 s[4:5], s[4:5], exec
	s_and_b64 s[0:1], s[0:1], exec
	s_or_b64 s[12:13], s[2:3], s[4:5]
.LBB55_3038:
	s_or_b64 exec, exec, s[14:15]
	s_and_saveexec_b64 s[2:3], s[12:13]
	s_cbranch_execz .LBB55_3041
; %bb.3039:
	; divergent unreachable
	s_or_b64 exec, exec, s[2:3]
	s_and_saveexec_b64 s[2:3], s[6:7]
	s_xor_b64 s[2:3], exec, s[2:3]
	s_cbranch_execnz .LBB55_3042
.LBB55_3040:
	s_or_b64 exec, exec, s[2:3]
	s_and_saveexec_b64 s[2:3], s[0:1]
	s_cbranch_execnz .LBB55_3043
	s_branch .LBB55_3080
.LBB55_3041:
	s_or_b64 exec, exec, s[2:3]
	s_and_saveexec_b64 s[2:3], s[6:7]
	s_xor_b64 s[2:3], exec, s[2:3]
	s_cbranch_execz .LBB55_3040
.LBB55_3042:
	s_waitcnt vmcnt(0)
	v_cndmask_b32_e64 v2, 0, 1, s[10:11]
	global_store_byte v[0:1], v2, off
	s_or_b64 exec, exec, s[2:3]
	s_and_saveexec_b64 s[2:3], s[0:1]
	s_cbranch_execz .LBB55_3080
.LBB55_3043:
	s_sext_i32_i16 s2, s22
	s_cmp_lt_i32 s2, 5
	s_mov_b64 s[0:1], -1
	s_cbranch_scc1 .LBB55_3064
; %bb.3044:
	s_cmp_lt_i32 s2, 8
	s_cbranch_scc1 .LBB55_3054
; %bb.3045:
	s_cmp_lt_i32 s2, 9
	s_cbranch_scc1 .LBB55_3051
; %bb.3046:
	s_cmp_gt_i32 s2, 9
	s_cbranch_scc0 .LBB55_3048
; %bb.3047:
	s_waitcnt vmcnt(0)
	v_cndmask_b32_e64 v2, 0, 1, s[10:11]
	v_cvt_f64_u32_e32 v[2:3], v2
	v_mov_b32_e32 v4, 0
	v_mov_b32_e32 v5, v4
	s_mov_b64 s[0:1], 0
	global_store_dwordx4 v[0:1], v[2:5], off
.LBB55_3048:
	s_andn2_b64 vcc, exec, s[0:1]
	s_cbranch_vccnz .LBB55_3050
; %bb.3049:
	s_waitcnt vmcnt(0)
	v_cndmask_b32_e64 v2, 0, 1.0, s[10:11]
	v_mov_b32_e32 v3, 0
	global_store_dwordx2 v[0:1], v[2:3], off
.LBB55_3050:
	s_mov_b64 s[0:1], 0
.LBB55_3051:
	s_andn2_b64 vcc, exec, s[0:1]
	s_cbranch_vccnz .LBB55_3053
; %bb.3052:
	s_waitcnt vmcnt(0)
	v_cndmask_b32_e64 v2, 0, 1.0, s[10:11]
	v_cvt_f16_f32_e32 v2, v2
	global_store_dword v[0:1], v2, off
.LBB55_3053:
	s_mov_b64 s[0:1], 0
.LBB55_3054:
	s_andn2_b64 vcc, exec, s[0:1]
	s_cbranch_vccnz .LBB55_3063
; %bb.3055:
	s_sext_i32_i16 s2, s22
	s_cmp_lt_i32 s2, 6
	s_mov_b64 s[0:1], -1
	s_cbranch_scc1 .LBB55_3061
; %bb.3056:
	s_cmp_gt_i32 s2, 6
	s_cbranch_scc0 .LBB55_3058
; %bb.3057:
	s_waitcnt vmcnt(0)
	v_cndmask_b32_e64 v2, 0, 1, s[10:11]
	v_cvt_f64_u32_e32 v[2:3], v2
	s_mov_b64 s[0:1], 0
	global_store_dwordx2 v[0:1], v[2:3], off
.LBB55_3058:
	s_andn2_b64 vcc, exec, s[0:1]
	s_cbranch_vccnz .LBB55_3060
; %bb.3059:
	s_waitcnt vmcnt(0)
	v_cndmask_b32_e64 v2, 0, 1.0, s[10:11]
	global_store_dword v[0:1], v2, off
.LBB55_3060:
	s_mov_b64 s[0:1], 0
.LBB55_3061:
	s_andn2_b64 vcc, exec, s[0:1]
	s_cbranch_vccnz .LBB55_3063
; %bb.3062:
	s_waitcnt vmcnt(0)
	v_cndmask_b32_e64 v2, 0, 1.0, s[10:11]
	v_cvt_f16_f32_e32 v2, v2
	global_store_short v[0:1], v2, off
.LBB55_3063:
	s_mov_b64 s[0:1], 0
.LBB55_3064:
	s_andn2_b64 vcc, exec, s[0:1]
	s_cbranch_vccnz .LBB55_3080
; %bb.3065:
	s_sext_i32_i16 s2, s22
	s_cmp_lt_i32 s2, 2
	s_mov_b64 s[0:1], -1
	s_cbranch_scc1 .LBB55_3075
; %bb.3066:
	s_cmp_lt_i32 s2, 3
	s_cbranch_scc1 .LBB55_3072
; %bb.3067:
	s_cmp_gt_i32 s2, 3
	s_cbranch_scc0 .LBB55_3069
; %bb.3068:
	s_mov_b32 s0, 0
	s_waitcnt vmcnt(0)
	v_cndmask_b32_e64 v2, 0, 1, s[10:11]
	v_mov_b32_e32 v3, s0
	global_store_dwordx2 v[0:1], v[2:3], off
	s_mov_b64 s[0:1], 0
.LBB55_3069:
	s_andn2_b64 vcc, exec, s[0:1]
	s_cbranch_vccnz .LBB55_3071
; %bb.3070:
	s_waitcnt vmcnt(0)
	v_cndmask_b32_e64 v2, 0, 1, s[10:11]
	global_store_dword v[0:1], v2, off
.LBB55_3071:
	s_mov_b64 s[0:1], 0
.LBB55_3072:
	s_andn2_b64 vcc, exec, s[0:1]
	s_cbranch_vccnz .LBB55_3074
; %bb.3073:
	s_waitcnt vmcnt(0)
	v_cndmask_b32_e64 v2, 0, 1, s[10:11]
	global_store_short v[0:1], v2, off
.LBB55_3074:
	s_mov_b64 s[0:1], 0
.LBB55_3075:
	s_andn2_b64 vcc, exec, s[0:1]
	s_cbranch_vccnz .LBB55_3080
; %bb.3076:
	s_sext_i32_i16 s0, s22
	s_cmp_gt_i32 s0, 0
	s_mov_b64 s[0:1], -1
	s_cbranch_scc0 .LBB55_3078
; %bb.3077:
	s_waitcnt vmcnt(0)
	v_cndmask_b32_e64 v2, 0, 1, s[10:11]
	global_store_byte v[0:1], v2, off
	s_mov_b64 s[0:1], 0
.LBB55_3078:
	s_andn2_b64 vcc, exec, s[0:1]
	s_cbranch_vccnz .LBB55_3080
; %bb.3079:
	s_waitcnt vmcnt(0)
	v_cndmask_b32_e64 v2, 0, 1, s[10:11]
	global_store_byte v[0:1], v2, off
	s_endpgm
.LBB55_3080:
	s_endpgm
.LBB55_3081:
	s_mov_b64 s[2:3], 0
	s_mov_b64 s[0:1], -1
	s_branch .LBB55_3037
.LBB55_3082:
	s_trap 2
	s_or_b64 s[4:5], s[4:5], exec
	s_cbranch_execz .LBB55_2551
	s_branch .LBB55_2552
.LBB55_3083:
	s_andn2_saveexec_b64 s[20:21], s[20:21]
	s_cbranch_execz .LBB55_2631
.LBB55_3084:
	v_add_f32_e32 v1, 0x46000000, v3
	v_and_b32_e32 v1, 0xff, v1
	v_cmp_ne_u32_e32 vcc, 0, v1
	s_andn2_b64 s[18:19], s[18:19], exec
	s_and_b64 s[24:25], vcc, exec
	s_or_b64 s[18:19], s[18:19], s[24:25]
	s_or_b64 exec, exec, s[20:21]
	v_mov_b32_e32 v7, 0
	s_and_saveexec_b64 s[20:21], s[18:19]
	s_cbranch_execnz .LBB55_2632
	s_branch .LBB55_2633
.LBB55_3085:
	s_trap 2
	s_or_b64 s[4:5], s[4:5], exec
	s_cbranch_execz .LBB55_2679
	s_branch .LBB55_2680
.LBB55_3086:
	s_andn2_saveexec_b64 s[18:19], s[18:19]
	s_cbranch_execz .LBB55_2644
.LBB55_3087:
	v_add_f32_e32 v1, 0x42800000, v3
	v_and_b32_e32 v1, 0xff, v1
	v_cmp_ne_u32_e32 vcc, 0, v1
	s_andn2_b64 s[16:17], s[16:17], exec
	s_and_b64 s[20:21], vcc, exec
	s_or_b64 s[16:17], s[16:17], s[20:21]
	s_or_b64 exec, exec, s[18:19]
	v_mov_b32_e32 v7, 0
	s_and_saveexec_b64 s[18:19], s[16:17]
	s_cbranch_execnz .LBB55_2645
	s_branch .LBB55_2646
.LBB55_3088:
	s_andn2_saveexec_b64 s[20:21], s[20:21]
	s_cbranch_execz .LBB55_2750
.LBB55_3089:
	v_add_f32_e32 v1, 0x46000000, v5
	v_and_b32_e32 v1, 0xff, v1
	v_cmp_ne_u32_e32 vcc, 0, v1
	s_andn2_b64 s[18:19], s[18:19], exec
	s_and_b64 s[24:25], vcc, exec
	s_or_b64 s[18:19], s[18:19], s[24:25]
	s_or_b64 exec, exec, s[20:21]
	v_mov_b32_e32 v6, 0
	s_and_saveexec_b64 s[20:21], s[18:19]
	s_cbranch_execnz .LBB55_2751
	s_branch .LBB55_2752
.LBB55_3090:
	s_trap 2
	s_or_b64 s[4:5], s[4:5], exec
	s_cbranch_execz .LBB55_2798
	s_branch .LBB55_2799
.LBB55_3091:
	s_andn2_saveexec_b64 s[18:19], s[18:19]
	s_cbranch_execz .LBB55_2763
.LBB55_3092:
	v_add_f32_e32 v1, 0x42800000, v5
	v_and_b32_e32 v1, 0xff, v1
	v_cmp_ne_u32_e32 vcc, 0, v1
	s_andn2_b64 s[16:17], s[16:17], exec
	s_and_b64 s[20:21], vcc, exec
	s_or_b64 s[16:17], s[16:17], s[20:21]
	s_or_b64 exec, exec, s[18:19]
	v_mov_b32_e32 v6, 0
	s_and_saveexec_b64 s[18:19], s[16:17]
	s_cbranch_execnz .LBB55_2764
	s_branch .LBB55_2765
.LBB55_3093:
	s_andn2_saveexec_b64 s[20:21], s[20:21]
	s_cbranch_execz .LBB55_2869
.LBB55_3094:
	v_add_f32_e32 v3, 0x46000000, v4
	v_and_b32_e32 v3, 0xff, v3
	v_cmp_ne_u32_e32 vcc, 0, v3
	s_andn2_b64 s[18:19], s[18:19], exec
	s_and_b64 s[24:25], vcc, exec
	s_or_b64 s[18:19], s[18:19], s[24:25]
	s_or_b64 exec, exec, s[20:21]
	v_mov_b32_e32 v5, 0
	s_and_saveexec_b64 s[20:21], s[18:19]
	s_cbranch_execnz .LBB55_2870
	s_branch .LBB55_2871
.LBB55_3095:
	s_trap 2
	s_or_b64 s[4:5], s[4:5], exec
	s_cbranch_execz .LBB55_2917
	s_branch .LBB55_2918
.LBB55_3096:
	s_andn2_saveexec_b64 s[18:19], s[18:19]
	s_cbranch_execz .LBB55_2882
.LBB55_3097:
	v_add_f32_e32 v3, 0x42800000, v4
	v_and_b32_e32 v3, 0xff, v3
	v_cmp_ne_u32_e32 vcc, 0, v3
	s_andn2_b64 s[16:17], s[16:17], exec
	s_and_b64 s[20:21], vcc, exec
	s_or_b64 s[16:17], s[16:17], s[20:21]
	s_or_b64 exec, exec, s[18:19]
	v_mov_b32_e32 v5, 0
	s_and_saveexec_b64 s[18:19], s[16:17]
	s_cbranch_execnz .LBB55_2883
	s_branch .LBB55_2884
.LBB55_3098:
	s_andn2_saveexec_b64 s[16:17], s[16:17]
	s_cbranch_execz .LBB55_2989
.LBB55_3099:
	v_add_f32_e32 v2, 0x46000000, v3
	v_and_b32_e32 v2, 0xff, v2
	v_cmp_ne_u32_e32 vcc, 0, v2
	s_andn2_b64 s[8:9], s[8:9], exec
	s_and_b64 s[18:19], vcc, exec
	s_or_b64 s[8:9], s[8:9], s[18:19]
	s_or_b64 exec, exec, s[16:17]
	v_mov_b32_e32 v4, 0
	s_and_saveexec_b64 s[16:17], s[8:9]
	s_cbranch_execnz .LBB55_2990
	s_branch .LBB55_2991
.LBB55_3100:
	s_mov_b64 s[2:3], 0
	s_or_b64 s[4:5], s[4:5], exec
	s_trap 2
	s_branch .LBB55_3035
.LBB55_3101:
	s_andn2_saveexec_b64 s[8:9], s[8:9]
	s_cbranch_execz .LBB55_3001
.LBB55_3102:
	v_add_f32_e32 v2, 0x42800000, v3
	v_and_b32_e32 v2, 0xff, v2
	v_cmp_ne_u32_e32 vcc, 0, v2
	s_andn2_b64 s[6:7], s[6:7], exec
	s_and_b64 s[16:17], vcc, exec
	s_or_b64 s[6:7], s[6:7], s[16:17]
	s_or_b64 exec, exec, s[8:9]
	v_mov_b32_e32 v4, 0
	s_and_saveexec_b64 s[8:9], s[6:7]
	s_cbranch_execnz .LBB55_3002
	s_branch .LBB55_3003
	.section	.rodata,"a",@progbits
	.p2align	6, 0x0
	.amdhsa_kernel _ZN2at6native32elementwise_kernel_manual_unrollILi128ELi4EZNS0_15gpu_kernel_implINS0_13BinaryFunctorIllbNS0_12_GLOBAL__N_116CompareEqFunctorIlEEEEEEvRNS_18TensorIteratorBaseERKT_EUlibE0_EEviT1_
		.amdhsa_group_segment_fixed_size 0
		.amdhsa_private_segment_fixed_size 0
		.amdhsa_kernarg_size 432
		.amdhsa_user_sgpr_count 6
		.amdhsa_user_sgpr_private_segment_buffer 1
		.amdhsa_user_sgpr_dispatch_ptr 0
		.amdhsa_user_sgpr_queue_ptr 0
		.amdhsa_user_sgpr_kernarg_segment_ptr 1
		.amdhsa_user_sgpr_dispatch_id 0
		.amdhsa_user_sgpr_flat_scratch_init 0
		.amdhsa_user_sgpr_private_segment_size 0
		.amdhsa_uses_dynamic_stack 0
		.amdhsa_system_sgpr_private_segment_wavefront_offset 0
		.amdhsa_system_sgpr_workgroup_id_x 1
		.amdhsa_system_sgpr_workgroup_id_y 0
		.amdhsa_system_sgpr_workgroup_id_z 0
		.amdhsa_system_sgpr_workgroup_info 0
		.amdhsa_system_vgpr_workitem_id 0
		.amdhsa_next_free_vgpr 32
		.amdhsa_next_free_sgpr 80
		.amdhsa_reserve_vcc 1
		.amdhsa_reserve_flat_scratch 0
		.amdhsa_float_round_mode_32 0
		.amdhsa_float_round_mode_16_64 0
		.amdhsa_float_denorm_mode_32 3
		.amdhsa_float_denorm_mode_16_64 3
		.amdhsa_dx10_clamp 1
		.amdhsa_ieee_mode 1
		.amdhsa_fp16_overflow 0
		.amdhsa_exception_fp_ieee_invalid_op 0
		.amdhsa_exception_fp_denorm_src 0
		.amdhsa_exception_fp_ieee_div_zero 0
		.amdhsa_exception_fp_ieee_overflow 0
		.amdhsa_exception_fp_ieee_underflow 0
		.amdhsa_exception_fp_ieee_inexact 0
		.amdhsa_exception_int_div_zero 0
	.end_amdhsa_kernel
	.section	.text._ZN2at6native32elementwise_kernel_manual_unrollILi128ELi4EZNS0_15gpu_kernel_implINS0_13BinaryFunctorIllbNS0_12_GLOBAL__N_116CompareEqFunctorIlEEEEEEvRNS_18TensorIteratorBaseERKT_EUlibE0_EEviT1_,"axG",@progbits,_ZN2at6native32elementwise_kernel_manual_unrollILi128ELi4EZNS0_15gpu_kernel_implINS0_13BinaryFunctorIllbNS0_12_GLOBAL__N_116CompareEqFunctorIlEEEEEEvRNS_18TensorIteratorBaseERKT_EUlibE0_EEviT1_,comdat
.Lfunc_end55:
	.size	_ZN2at6native32elementwise_kernel_manual_unrollILi128ELi4EZNS0_15gpu_kernel_implINS0_13BinaryFunctorIllbNS0_12_GLOBAL__N_116CompareEqFunctorIlEEEEEEvRNS_18TensorIteratorBaseERKT_EUlibE0_EEviT1_, .Lfunc_end55-_ZN2at6native32elementwise_kernel_manual_unrollILi128ELi4EZNS0_15gpu_kernel_implINS0_13BinaryFunctorIllbNS0_12_GLOBAL__N_116CompareEqFunctorIlEEEEEEvRNS_18TensorIteratorBaseERKT_EUlibE0_EEviT1_
                                        ; -- End function
	.set _ZN2at6native32elementwise_kernel_manual_unrollILi128ELi4EZNS0_15gpu_kernel_implINS0_13BinaryFunctorIllbNS0_12_GLOBAL__N_116CompareEqFunctorIlEEEEEEvRNS_18TensorIteratorBaseERKT_EUlibE0_EEviT1_.num_vgpr, 32
	.set _ZN2at6native32elementwise_kernel_manual_unrollILi128ELi4EZNS0_15gpu_kernel_implINS0_13BinaryFunctorIllbNS0_12_GLOBAL__N_116CompareEqFunctorIlEEEEEEvRNS_18TensorIteratorBaseERKT_EUlibE0_EEviT1_.num_agpr, 0
	.set _ZN2at6native32elementwise_kernel_manual_unrollILi128ELi4EZNS0_15gpu_kernel_implINS0_13BinaryFunctorIllbNS0_12_GLOBAL__N_116CompareEqFunctorIlEEEEEEvRNS_18TensorIteratorBaseERKT_EUlibE0_EEviT1_.numbered_sgpr, 80
	.set _ZN2at6native32elementwise_kernel_manual_unrollILi128ELi4EZNS0_15gpu_kernel_implINS0_13BinaryFunctorIllbNS0_12_GLOBAL__N_116CompareEqFunctorIlEEEEEEvRNS_18TensorIteratorBaseERKT_EUlibE0_EEviT1_.num_named_barrier, 0
	.set _ZN2at6native32elementwise_kernel_manual_unrollILi128ELi4EZNS0_15gpu_kernel_implINS0_13BinaryFunctorIllbNS0_12_GLOBAL__N_116CompareEqFunctorIlEEEEEEvRNS_18TensorIteratorBaseERKT_EUlibE0_EEviT1_.private_seg_size, 0
	.set _ZN2at6native32elementwise_kernel_manual_unrollILi128ELi4EZNS0_15gpu_kernel_implINS0_13BinaryFunctorIllbNS0_12_GLOBAL__N_116CompareEqFunctorIlEEEEEEvRNS_18TensorIteratorBaseERKT_EUlibE0_EEviT1_.uses_vcc, 1
	.set _ZN2at6native32elementwise_kernel_manual_unrollILi128ELi4EZNS0_15gpu_kernel_implINS0_13BinaryFunctorIllbNS0_12_GLOBAL__N_116CompareEqFunctorIlEEEEEEvRNS_18TensorIteratorBaseERKT_EUlibE0_EEviT1_.uses_flat_scratch, 0
	.set _ZN2at6native32elementwise_kernel_manual_unrollILi128ELi4EZNS0_15gpu_kernel_implINS0_13BinaryFunctorIllbNS0_12_GLOBAL__N_116CompareEqFunctorIlEEEEEEvRNS_18TensorIteratorBaseERKT_EUlibE0_EEviT1_.has_dyn_sized_stack, 0
	.set _ZN2at6native32elementwise_kernel_manual_unrollILi128ELi4EZNS0_15gpu_kernel_implINS0_13BinaryFunctorIllbNS0_12_GLOBAL__N_116CompareEqFunctorIlEEEEEEvRNS_18TensorIteratorBaseERKT_EUlibE0_EEviT1_.has_recursion, 0
	.set _ZN2at6native32elementwise_kernel_manual_unrollILi128ELi4EZNS0_15gpu_kernel_implINS0_13BinaryFunctorIllbNS0_12_GLOBAL__N_116CompareEqFunctorIlEEEEEEvRNS_18TensorIteratorBaseERKT_EUlibE0_EEviT1_.has_indirect_call, 0
	.section	.AMDGPU.csdata,"",@progbits
; Kernel info:
; codeLenInByte = 59164
; TotalNumSgprs: 84
; NumVgprs: 32
; ScratchSize: 0
; MemoryBound: 1
; FloatMode: 240
; IeeeMode: 1
; LDSByteSize: 0 bytes/workgroup (compile time only)
; SGPRBlocks: 10
; VGPRBlocks: 7
; NumSGPRsForWavesPerEU: 84
; NumVGPRsForWavesPerEU: 32
; Occupancy: 8
; WaveLimiterHint : 1
; COMPUTE_PGM_RSRC2:SCRATCH_EN: 0
; COMPUTE_PGM_RSRC2:USER_SGPR: 6
; COMPUTE_PGM_RSRC2:TRAP_HANDLER: 0
; COMPUTE_PGM_RSRC2:TGID_X_EN: 1
; COMPUTE_PGM_RSRC2:TGID_Y_EN: 0
; COMPUTE_PGM_RSRC2:TGID_Z_EN: 0
; COMPUTE_PGM_RSRC2:TIDIG_COMP_CNT: 0
	.section	.text._ZN2at6native29vectorized_elementwise_kernelILi16ENS0_13AUnaryFunctorIllbNS0_12_GLOBAL__N_116CompareEqFunctorIlEEEESt5arrayIPcLm2EEEEviT0_T1_,"axG",@progbits,_ZN2at6native29vectorized_elementwise_kernelILi16ENS0_13AUnaryFunctorIllbNS0_12_GLOBAL__N_116CompareEqFunctorIlEEEESt5arrayIPcLm2EEEEviT0_T1_,comdat
	.globl	_ZN2at6native29vectorized_elementwise_kernelILi16ENS0_13AUnaryFunctorIllbNS0_12_GLOBAL__N_116CompareEqFunctorIlEEEESt5arrayIPcLm2EEEEviT0_T1_ ; -- Begin function _ZN2at6native29vectorized_elementwise_kernelILi16ENS0_13AUnaryFunctorIllbNS0_12_GLOBAL__N_116CompareEqFunctorIlEEEESt5arrayIPcLm2EEEEviT0_T1_
	.p2align	8
	.type	_ZN2at6native29vectorized_elementwise_kernelILi16ENS0_13AUnaryFunctorIllbNS0_12_GLOBAL__N_116CompareEqFunctorIlEEEESt5arrayIPcLm2EEEEviT0_T1_,@function
_ZN2at6native29vectorized_elementwise_kernelILi16ENS0_13AUnaryFunctorIllbNS0_12_GLOBAL__N_116CompareEqFunctorIlEEEESt5arrayIPcLm2EEEEviT0_T1_: ; @_ZN2at6native29vectorized_elementwise_kernelILi16ENS0_13AUnaryFunctorIllbNS0_12_GLOBAL__N_116CompareEqFunctorIlEEEESt5arrayIPcLm2EEEEviT0_T1_
; %bb.0:
	s_load_dword s0, s[4:5], 0x0
	s_load_dword s42, s[4:5], 0x8
	s_load_dwordx4 s[36:39], s[4:5], 0x10
	s_load_dwordx2 s[34:35], s[4:5], 0x20
	s_lshl_b32 s30, s6, 12
	s_waitcnt lgkmcnt(0)
	s_sub_i32 s33, s0, s30
	s_cmpk_gt_i32 s33, 0xfff
	s_mov_b64 s[0:1], -1
	s_cbranch_scc0 .LBB56_2
; %bb.1:
	s_ashr_i32 s31, s30, 31
	s_lshl_b64 s[0:1], s[30:31], 3
	s_add_u32 s0, s34, s0
	s_addc_u32 s1, s35, s1
	v_lshlrev_b32_e32 v33, 7, v0
	global_load_dwordx4 v[1:4], v33, s[0:1]
	global_load_dwordx4 v[5:8], v33, s[0:1] offset:16
	global_load_dwordx4 v[9:12], v33, s[0:1] offset:32
	;; [unrolled: 1-line block ×7, first 2 shown]
	s_cmp_eq_u32 s42, 0
	s_cselect_b64 s[44:45], -1, 0
	s_add_u32 s40, s38, s30
	s_addc_u32 s41, s39, s31
	v_lshlrev_b32_e32 v33, 4, v0
	s_waitcnt vmcnt(7)
	v_cmp_ne_u64_e64 s[0:1], s[36:37], v[1:2]
	s_waitcnt vmcnt(6)
	v_cmp_ne_u64_e64 s[2:3], s[36:37], v[7:8]
	v_cmp_ne_u64_e64 s[4:5], s[36:37], v[5:6]
	s_xor_b64 s[0:1], s[44:45], s[0:1]
	s_waitcnt vmcnt(5)
	v_cmp_ne_u64_e64 s[6:7], s[36:37], v[11:12]
	v_cndmask_b32_e64 v2, 0, 1, s[0:1]
	s_xor_b64 s[0:1], s[44:45], s[2:3]
	v_cmp_ne_u64_e32 vcc, s[36:37], v[3:4]
	v_cmp_ne_u64_e64 s[8:9], s[36:37], v[9:10]
	v_cndmask_b32_e64 v3, 0, 1, s[0:1]
	s_xor_b64 s[0:1], s[44:45], s[4:5]
	s_waitcnt vmcnt(4)
	v_cmp_ne_u64_e64 s[10:11], s[36:37], v[15:16]
	v_cndmask_b32_e64 v4, 0, 1, s[0:1]
	s_xor_b64 s[0:1], s[44:45], s[6:7]
	v_cmp_ne_u64_e64 s[12:13], s[36:37], v[13:14]
	v_cndmask_b32_e64 v5, 0, 1, s[0:1]
	s_xor_b64 s[0:1], s[44:45], s[8:9]
	s_waitcnt vmcnt(3)
	v_cmp_ne_u64_e64 s[14:15], s[36:37], v[19:20]
	v_cndmask_b32_e64 v6, 0, 1, s[0:1]
	s_xor_b64 s[0:1], s[44:45], s[10:11]
	;; [unrolled: 7-line block ×5, first 2 shown]
	v_cmp_ne_u64_e64 s[28:29], s[36:37], v[29:30]
	v_cndmask_b32_e64 v13, 0, 1, s[0:1]
	s_xor_b64 s[0:1], s[44:45], s[24:25]
	s_xor_b64 s[46:47], s[44:45], vcc
	v_cndmask_b32_e64 v14, 0, 1, s[0:1]
	s_xor_b64 s[0:1], s[44:45], s[26:27]
	v_cndmask_b32_e64 v1, 0, 1, s[46:47]
	v_cndmask_b32_e64 v15, 0, 1, s[0:1]
	s_xor_b64 s[0:1], s[44:45], s[28:29]
	v_cndmask_b32_e64 v16, 0, 1, s[0:1]
	v_lshlrev_b16_e32 v1, 8, v1
	v_lshlrev_b16_e32 v3, 8, v3
	;; [unrolled: 1-line block ×8, first 2 shown]
	v_or_b32_e32 v1, v2, v1
	v_or_b32_sdwa v2, v4, v3 dst_sel:WORD_1 dst_unused:UNUSED_PAD src0_sel:DWORD src1_sel:DWORD
	v_or_b32_e32 v3, v6, v5
	v_or_b32_sdwa v4, v8, v7 dst_sel:WORD_1 dst_unused:UNUSED_PAD src0_sel:DWORD src1_sel:DWORD
	;; [unrolled: 2-line block ×4, first 2 shown]
	v_or_b32_sdwa v1, v1, v2 dst_sel:DWORD dst_unused:UNUSED_PAD src0_sel:WORD_0 src1_sel:DWORD
	v_or_b32_sdwa v2, v3, v4 dst_sel:DWORD dst_unused:UNUSED_PAD src0_sel:WORD_0 src1_sel:DWORD
	;; [unrolled: 1-line block ×4, first 2 shown]
	global_store_dwordx4 v33, v[1:4], s[40:41]
	s_mov_b64 s[0:1], 0
.LBB56_2:
	s_andn2_b64 vcc, exec, s[0:1]
	s_cbranch_vccnz .LBB56_52
; %bb.3:
	v_mov_b32_e32 v1, 0
	v_mov_b32_e32 v4, 0
	v_cmp_gt_i32_e32 vcc, s33, v0
	v_mov_b32_e32 v2, 0
	v_or_b32_e32 v3, s30, v0
	v_mov_b32_e32 v5, 0
	v_mov_b32_e32 v34, v0
	s_and_saveexec_b64 s[2:3], vcc
	s_cbranch_execz .LBB56_5
; %bb.4:
	v_mov_b32_e32 v4, 0
	v_lshlrev_b64 v[4:5], 3, v[3:4]
	v_mov_b32_e32 v6, s35
	v_add_co_u32_e64 v4, s[0:1], s34, v4
	v_addc_co_u32_e64 v5, s[0:1], v6, v5, s[0:1]
	global_load_dwordx2 v[4:5], v[4:5], off
	v_or_b32_e32 v34, 0x100, v0
.LBB56_5:
	s_or_b64 exec, exec, s[2:3]
	v_cmp_gt_i32_e64 s[0:1], s33, v34
	s_and_saveexec_b64 s[2:3], s[0:1]
	s_cbranch_execz .LBB56_7
; %bb.6:
	v_add_u32_e32 v1, s30, v34
	v_mov_b32_e32 v2, 0
	v_lshlrev_b64 v[1:2], 3, v[1:2]
	v_mov_b32_e32 v6, s35
	v_add_co_u32_e64 v1, s[0:1], s34, v1
	v_addc_co_u32_e64 v2, s[0:1], v6, v2, s[0:1]
	global_load_dwordx2 v[1:2], v[1:2], off
	v_add_u32_e32 v34, 0x100, v34
.LBB56_7:
	s_or_b64 exec, exec, s[2:3]
	v_mov_b32_e32 v6, 0
	v_mov_b32_e32 v8, 0
	v_mov_b32_e32 v7, 0
	v_mov_b32_e32 v9, 0
	v_cmp_gt_i32_e64 s[0:1], s33, v34
	s_and_saveexec_b64 s[2:3], s[0:1]
	s_cbranch_execz .LBB56_9
; %bb.8:
	v_add_u32_e32 v8, s30, v34
	v_mov_b32_e32 v9, 0
	v_lshlrev_b64 v[8:9], 3, v[8:9]
	v_mov_b32_e32 v10, s35
	v_add_co_u32_e64 v8, s[0:1], s34, v8
	v_addc_co_u32_e64 v9, s[0:1], v10, v9, s[0:1]
	global_load_dwordx2 v[8:9], v[8:9], off
	v_add_u32_e32 v34, 0x100, v34
.LBB56_9:
	s_or_b64 exec, exec, s[2:3]
	v_cmp_gt_i32_e64 s[0:1], s33, v34
	s_and_saveexec_b64 s[2:3], s[0:1]
	s_cbranch_execz .LBB56_11
; %bb.10:
	v_add_u32_e32 v6, s30, v34
	v_mov_b32_e32 v7, 0
	v_lshlrev_b64 v[6:7], 3, v[6:7]
	v_mov_b32_e32 v10, s35
	v_add_co_u32_e64 v6, s[0:1], s34, v6
	v_addc_co_u32_e64 v7, s[0:1], v10, v7, s[0:1]
	global_load_dwordx2 v[6:7], v[6:7], off
	v_add_u32_e32 v34, 0x100, v34
.LBB56_11:
	s_or_b64 exec, exec, s[2:3]
	v_mov_b32_e32 v10, 0
	v_mov_b32_e32 v12, 0
	v_mov_b32_e32 v11, 0
	v_mov_b32_e32 v13, 0
	v_cmp_gt_i32_e64 s[0:1], s33, v34
	s_and_saveexec_b64 s[2:3], s[0:1]
	s_cbranch_execz .LBB56_13
; %bb.12:
	v_add_u32_e32 v12, s30, v34
	v_mov_b32_e32 v13, 0
	v_lshlrev_b64 v[12:13], 3, v[12:13]
	v_mov_b32_e32 v14, s35
	v_add_co_u32_e64 v12, s[0:1], s34, v12
	v_addc_co_u32_e64 v13, s[0:1], v14, v13, s[0:1]
	global_load_dwordx2 v[12:13], v[12:13], off
	v_add_u32_e32 v34, 0x100, v34
.LBB56_13:
	s_or_b64 exec, exec, s[2:3]
	v_cmp_gt_i32_e64 s[0:1], s33, v34
	s_and_saveexec_b64 s[2:3], s[0:1]
	s_cbranch_execz .LBB56_15
; %bb.14:
	v_add_u32_e32 v10, s30, v34
	v_mov_b32_e32 v11, 0
	v_lshlrev_b64 v[10:11], 3, v[10:11]
	v_mov_b32_e32 v14, s35
	v_add_co_u32_e64 v10, s[0:1], s34, v10
	v_addc_co_u32_e64 v11, s[0:1], v14, v11, s[0:1]
	global_load_dwordx2 v[10:11], v[10:11], off
	v_add_u32_e32 v34, 0x100, v34
.LBB56_15:
	s_or_b64 exec, exec, s[2:3]
	v_mov_b32_e32 v14, 0
	v_mov_b32_e32 v16, 0
	v_mov_b32_e32 v15, 0
	v_mov_b32_e32 v17, 0
	v_cmp_gt_i32_e64 s[0:1], s33, v34
	s_and_saveexec_b64 s[2:3], s[0:1]
	s_cbranch_execz .LBB56_17
; %bb.16:
	v_add_u32_e32 v16, s30, v34
	v_mov_b32_e32 v17, 0
	v_lshlrev_b64 v[16:17], 3, v[16:17]
	v_mov_b32_e32 v18, s35
	v_add_co_u32_e64 v16, s[0:1], s34, v16
	v_addc_co_u32_e64 v17, s[0:1], v18, v17, s[0:1]
	global_load_dwordx2 v[16:17], v[16:17], off
	v_add_u32_e32 v34, 0x100, v34
.LBB56_17:
	s_or_b64 exec, exec, s[2:3]
	v_cmp_gt_i32_e64 s[0:1], s33, v34
	s_and_saveexec_b64 s[2:3], s[0:1]
	s_cbranch_execz .LBB56_19
; %bb.18:
	v_add_u32_e32 v14, s30, v34
	v_mov_b32_e32 v15, 0
	v_lshlrev_b64 v[14:15], 3, v[14:15]
	v_mov_b32_e32 v18, s35
	v_add_co_u32_e64 v14, s[0:1], s34, v14
	v_addc_co_u32_e64 v15, s[0:1], v18, v15, s[0:1]
	global_load_dwordx2 v[14:15], v[14:15], off
	v_add_u32_e32 v34, 0x100, v34
.LBB56_19:
	s_or_b64 exec, exec, s[2:3]
	v_mov_b32_e32 v18, 0
	v_mov_b32_e32 v20, 0
	v_mov_b32_e32 v19, 0
	v_mov_b32_e32 v21, 0
	v_cmp_gt_i32_e64 s[0:1], s33, v34
	s_and_saveexec_b64 s[2:3], s[0:1]
	s_cbranch_execz .LBB56_21
; %bb.20:
	v_add_u32_e32 v20, s30, v34
	v_mov_b32_e32 v21, 0
	v_lshlrev_b64 v[20:21], 3, v[20:21]
	v_mov_b32_e32 v22, s35
	v_add_co_u32_e64 v20, s[0:1], s34, v20
	v_addc_co_u32_e64 v21, s[0:1], v22, v21, s[0:1]
	global_load_dwordx2 v[20:21], v[20:21], off
	v_add_u32_e32 v34, 0x100, v34
.LBB56_21:
	s_or_b64 exec, exec, s[2:3]
	v_cmp_gt_i32_e64 s[0:1], s33, v34
	s_and_saveexec_b64 s[2:3], s[0:1]
	s_cbranch_execz .LBB56_23
; %bb.22:
	v_add_u32_e32 v18, s30, v34
	v_mov_b32_e32 v19, 0
	v_lshlrev_b64 v[18:19], 3, v[18:19]
	v_mov_b32_e32 v22, s35
	v_add_co_u32_e64 v18, s[0:1], s34, v18
	v_addc_co_u32_e64 v19, s[0:1], v22, v19, s[0:1]
	global_load_dwordx2 v[18:19], v[18:19], off
	v_add_u32_e32 v34, 0x100, v34
.LBB56_23:
	s_or_b64 exec, exec, s[2:3]
	v_mov_b32_e32 v22, 0
	v_mov_b32_e32 v24, 0
	v_mov_b32_e32 v23, 0
	v_mov_b32_e32 v25, 0
	v_cmp_gt_i32_e64 s[0:1], s33, v34
	s_and_saveexec_b64 s[2:3], s[0:1]
	s_cbranch_execz .LBB56_25
; %bb.24:
	v_add_u32_e32 v24, s30, v34
	v_mov_b32_e32 v25, 0
	v_lshlrev_b64 v[24:25], 3, v[24:25]
	v_mov_b32_e32 v26, s35
	v_add_co_u32_e64 v24, s[0:1], s34, v24
	v_addc_co_u32_e64 v25, s[0:1], v26, v25, s[0:1]
	global_load_dwordx2 v[24:25], v[24:25], off
	v_add_u32_e32 v34, 0x100, v34
.LBB56_25:
	s_or_b64 exec, exec, s[2:3]
	v_cmp_gt_i32_e64 s[0:1], s33, v34
	s_and_saveexec_b64 s[2:3], s[0:1]
	s_cbranch_execz .LBB56_27
; %bb.26:
	v_add_u32_e32 v22, s30, v34
	v_mov_b32_e32 v23, 0
	v_lshlrev_b64 v[22:23], 3, v[22:23]
	v_mov_b32_e32 v26, s35
	v_add_co_u32_e64 v22, s[0:1], s34, v22
	v_addc_co_u32_e64 v23, s[0:1], v26, v23, s[0:1]
	global_load_dwordx2 v[22:23], v[22:23], off
	v_add_u32_e32 v34, 0x100, v34
.LBB56_27:
	s_or_b64 exec, exec, s[2:3]
	v_mov_b32_e32 v26, 0
	v_mov_b32_e32 v28, 0
	v_mov_b32_e32 v27, 0
	v_mov_b32_e32 v29, 0
	v_cmp_gt_i32_e64 s[0:1], s33, v34
	s_and_saveexec_b64 s[2:3], s[0:1]
	s_cbranch_execz .LBB56_29
; %bb.28:
	v_add_u32_e32 v28, s30, v34
	v_mov_b32_e32 v29, 0
	v_lshlrev_b64 v[28:29], 3, v[28:29]
	v_mov_b32_e32 v30, s35
	v_add_co_u32_e64 v28, s[0:1], s34, v28
	v_addc_co_u32_e64 v29, s[0:1], v30, v29, s[0:1]
	global_load_dwordx2 v[28:29], v[28:29], off
	v_add_u32_e32 v34, 0x100, v34
.LBB56_29:
	s_or_b64 exec, exec, s[2:3]
	v_cmp_gt_i32_e64 s[0:1], s33, v34
	s_and_saveexec_b64 s[2:3], s[0:1]
	s_cbranch_execz .LBB56_31
; %bb.30:
	v_add_u32_e32 v26, s30, v34
	v_mov_b32_e32 v27, 0
	v_lshlrev_b64 v[26:27], 3, v[26:27]
	v_mov_b32_e32 v30, s35
	v_add_co_u32_e64 v26, s[0:1], s34, v26
	v_addc_co_u32_e64 v27, s[0:1], v30, v27, s[0:1]
	global_load_dwordx2 v[26:27], v[26:27], off
	v_add_u32_e32 v34, 0x100, v34
.LBB56_31:
	s_or_b64 exec, exec, s[2:3]
	v_mov_b32_e32 v30, 0
	v_mov_b32_e32 v32, 0
	v_mov_b32_e32 v31, 0
	v_mov_b32_e32 v33, 0
	v_cmp_gt_i32_e64 s[0:1], s33, v34
	s_and_saveexec_b64 s[2:3], s[0:1]
	s_cbranch_execz .LBB56_33
; %bb.32:
	v_add_u32_e32 v32, s30, v34
	v_mov_b32_e32 v33, 0
	v_lshlrev_b64 v[32:33], 3, v[32:33]
	v_mov_b32_e32 v35, s35
	v_add_co_u32_e64 v32, s[0:1], s34, v32
	v_addc_co_u32_e64 v33, s[0:1], v35, v33, s[0:1]
	global_load_dwordx2 v[32:33], v[32:33], off
	v_add_u32_e32 v34, 0x100, v34
.LBB56_33:
	s_or_b64 exec, exec, s[2:3]
	v_cmp_gt_i32_e64 s[0:1], s33, v34
	s_and_saveexec_b64 s[2:3], s[0:1]
	s_cbranch_execz .LBB56_35
; %bb.34:
	v_add_u32_e32 v30, s30, v34
	v_mov_b32_e32 v31, 0
	v_lshlrev_b64 v[30:31], 3, v[30:31]
	v_mov_b32_e32 v34, s35
	v_add_co_u32_e64 v30, s[0:1], s34, v30
	v_addc_co_u32_e64 v31, s[0:1], v34, v31, s[0:1]
	global_load_dwordx2 v[30:31], v[30:31], off
.LBB56_35:
	s_or_b64 exec, exec, s[2:3]
	s_cmp_eq_u32 s42, 0
	s_cselect_b64 s[0:1], -1, 0
	s_and_saveexec_b64 s[2:3], vcc
	s_cbranch_execnz .LBB56_53
; %bb.36:
	s_or_b64 exec, exec, s[2:3]
	v_cmp_gt_i32_e32 vcc, s33, v0
	s_and_saveexec_b64 s[2:3], vcc
	s_cbranch_execnz .LBB56_54
.LBB56_37:
	s_or_b64 exec, exec, s[2:3]
	v_cmp_gt_i32_e32 vcc, s33, v0
	s_and_saveexec_b64 s[2:3], vcc
	s_cbranch_execnz .LBB56_55
.LBB56_38:
	s_or_b64 exec, exec, s[2:3]
	v_cmp_gt_i32_e32 vcc, s33, v0
	s_and_saveexec_b64 s[2:3], vcc
	s_cbranch_execnz .LBB56_56
.LBB56_39:
	s_or_b64 exec, exec, s[2:3]
	v_cmp_gt_i32_e32 vcc, s33, v0
	s_and_saveexec_b64 s[2:3], vcc
	s_cbranch_execnz .LBB56_57
.LBB56_40:
	s_or_b64 exec, exec, s[2:3]
	v_cmp_gt_i32_e32 vcc, s33, v0
	s_and_saveexec_b64 s[2:3], vcc
	s_cbranch_execnz .LBB56_58
.LBB56_41:
	s_or_b64 exec, exec, s[2:3]
	v_cmp_gt_i32_e32 vcc, s33, v0
	s_and_saveexec_b64 s[2:3], vcc
	s_cbranch_execnz .LBB56_59
.LBB56_42:
	s_or_b64 exec, exec, s[2:3]
	v_cmp_gt_i32_e32 vcc, s33, v0
	s_and_saveexec_b64 s[2:3], vcc
	s_cbranch_execnz .LBB56_60
.LBB56_43:
	s_or_b64 exec, exec, s[2:3]
	v_cmp_gt_i32_e32 vcc, s33, v0
	s_and_saveexec_b64 s[2:3], vcc
	s_cbranch_execnz .LBB56_61
.LBB56_44:
	s_or_b64 exec, exec, s[2:3]
	v_cmp_gt_i32_e32 vcc, s33, v0
	s_and_saveexec_b64 s[2:3], vcc
	s_cbranch_execnz .LBB56_62
.LBB56_45:
	s_or_b64 exec, exec, s[2:3]
	v_cmp_gt_i32_e32 vcc, s33, v0
	s_and_saveexec_b64 s[2:3], vcc
	s_cbranch_execnz .LBB56_63
.LBB56_46:
	s_or_b64 exec, exec, s[2:3]
	v_cmp_gt_i32_e32 vcc, s33, v0
	s_and_saveexec_b64 s[2:3], vcc
	s_cbranch_execnz .LBB56_64
.LBB56_47:
	s_or_b64 exec, exec, s[2:3]
	v_cmp_gt_i32_e32 vcc, s33, v0
	s_and_saveexec_b64 s[2:3], vcc
	s_cbranch_execnz .LBB56_65
.LBB56_48:
	s_or_b64 exec, exec, s[2:3]
	v_cmp_gt_i32_e32 vcc, s33, v0
	s_and_saveexec_b64 s[2:3], vcc
	s_cbranch_execnz .LBB56_66
.LBB56_49:
	s_or_b64 exec, exec, s[2:3]
	v_cmp_gt_i32_e32 vcc, s33, v0
	s_and_saveexec_b64 s[2:3], vcc
	s_cbranch_execnz .LBB56_67
.LBB56_50:
	s_or_b64 exec, exec, s[2:3]
	v_cmp_gt_i32_e32 vcc, s33, v0
	s_and_saveexec_b64 s[2:3], vcc
	s_cbranch_execz .LBB56_52
.LBB56_51:
	s_waitcnt vmcnt(0)
	v_cmp_ne_u64_e32 vcc, s[36:37], v[30:31]
	v_add_u32_e32 v0, s30, v0
	s_xor_b64 s[0:1], s[0:1], vcc
	v_cndmask_b32_e64 v1, 0, 1, s[0:1]
	global_store_byte v0, v1, s[38:39]
.LBB56_52:
	s_endpgm
.LBB56_53:
	s_waitcnt vmcnt(0)
	v_cmp_ne_u64_e32 vcc, s[36:37], v[4:5]
	v_or_b32_e32 v0, 0x100, v0
	s_xor_b64 s[4:5], s[0:1], vcc
	v_cndmask_b32_e64 v4, 0, 1, s[4:5]
	global_store_byte v3, v4, s[38:39]
	s_or_b64 exec, exec, s[2:3]
	v_cmp_gt_i32_e32 vcc, s33, v0
	s_and_saveexec_b64 s[2:3], vcc
	s_cbranch_execz .LBB56_37
.LBB56_54:
	s_waitcnt vmcnt(0)
	v_cmp_ne_u64_e32 vcc, s[36:37], v[1:2]
	v_add_u32_e32 v2, s30, v0
	s_xor_b64 s[4:5], s[0:1], vcc
	v_cndmask_b32_e64 v1, 0, 1, s[4:5]
	v_add_u32_e32 v0, 0x100, v0
	global_store_byte v2, v1, s[38:39]
	s_or_b64 exec, exec, s[2:3]
	v_cmp_gt_i32_e32 vcc, s33, v0
	s_and_saveexec_b64 s[2:3], vcc
	s_cbranch_execz .LBB56_38
.LBB56_55:
	s_waitcnt vmcnt(0)
	v_cmp_ne_u64_e32 vcc, s[36:37], v[8:9]
	v_add_u32_e32 v2, s30, v0
	s_xor_b64 s[4:5], s[0:1], vcc
	v_cndmask_b32_e64 v1, 0, 1, s[4:5]
	v_add_u32_e32 v0, 0x100, v0
	global_store_byte v2, v1, s[38:39]
	s_or_b64 exec, exec, s[2:3]
	v_cmp_gt_i32_e32 vcc, s33, v0
	s_and_saveexec_b64 s[2:3], vcc
	s_cbranch_execz .LBB56_39
.LBB56_56:
	s_waitcnt vmcnt(0)
	v_cmp_ne_u64_e32 vcc, s[36:37], v[6:7]
	v_add_u32_e32 v2, s30, v0
	s_xor_b64 s[4:5], s[0:1], vcc
	v_cndmask_b32_e64 v1, 0, 1, s[4:5]
	v_add_u32_e32 v0, 0x100, v0
	global_store_byte v2, v1, s[38:39]
	s_or_b64 exec, exec, s[2:3]
	v_cmp_gt_i32_e32 vcc, s33, v0
	s_and_saveexec_b64 s[2:3], vcc
	s_cbranch_execz .LBB56_40
.LBB56_57:
	s_waitcnt vmcnt(0)
	v_cmp_ne_u64_e32 vcc, s[36:37], v[12:13]
	v_add_u32_e32 v2, s30, v0
	s_xor_b64 s[4:5], s[0:1], vcc
	v_cndmask_b32_e64 v1, 0, 1, s[4:5]
	v_add_u32_e32 v0, 0x100, v0
	global_store_byte v2, v1, s[38:39]
	s_or_b64 exec, exec, s[2:3]
	v_cmp_gt_i32_e32 vcc, s33, v0
	s_and_saveexec_b64 s[2:3], vcc
	s_cbranch_execz .LBB56_41
.LBB56_58:
	s_waitcnt vmcnt(0)
	v_cmp_ne_u64_e32 vcc, s[36:37], v[10:11]
	v_add_u32_e32 v2, s30, v0
	s_xor_b64 s[4:5], s[0:1], vcc
	v_cndmask_b32_e64 v1, 0, 1, s[4:5]
	v_add_u32_e32 v0, 0x100, v0
	global_store_byte v2, v1, s[38:39]
	s_or_b64 exec, exec, s[2:3]
	v_cmp_gt_i32_e32 vcc, s33, v0
	s_and_saveexec_b64 s[2:3], vcc
	s_cbranch_execz .LBB56_42
.LBB56_59:
	s_waitcnt vmcnt(0)
	v_cmp_ne_u64_e32 vcc, s[36:37], v[16:17]
	v_add_u32_e32 v2, s30, v0
	s_xor_b64 s[4:5], s[0:1], vcc
	v_cndmask_b32_e64 v1, 0, 1, s[4:5]
	v_add_u32_e32 v0, 0x100, v0
	global_store_byte v2, v1, s[38:39]
	s_or_b64 exec, exec, s[2:3]
	v_cmp_gt_i32_e32 vcc, s33, v0
	s_and_saveexec_b64 s[2:3], vcc
	s_cbranch_execz .LBB56_43
.LBB56_60:
	s_waitcnt vmcnt(0)
	v_cmp_ne_u64_e32 vcc, s[36:37], v[14:15]
	v_add_u32_e32 v2, s30, v0
	s_xor_b64 s[4:5], s[0:1], vcc
	v_cndmask_b32_e64 v1, 0, 1, s[4:5]
	v_add_u32_e32 v0, 0x100, v0
	global_store_byte v2, v1, s[38:39]
	s_or_b64 exec, exec, s[2:3]
	v_cmp_gt_i32_e32 vcc, s33, v0
	s_and_saveexec_b64 s[2:3], vcc
	s_cbranch_execz .LBB56_44
.LBB56_61:
	s_waitcnt vmcnt(0)
	v_cmp_ne_u64_e32 vcc, s[36:37], v[20:21]
	v_add_u32_e32 v2, s30, v0
	s_xor_b64 s[4:5], s[0:1], vcc
	v_cndmask_b32_e64 v1, 0, 1, s[4:5]
	v_add_u32_e32 v0, 0x100, v0
	global_store_byte v2, v1, s[38:39]
	s_or_b64 exec, exec, s[2:3]
	v_cmp_gt_i32_e32 vcc, s33, v0
	s_and_saveexec_b64 s[2:3], vcc
	s_cbranch_execz .LBB56_45
.LBB56_62:
	s_waitcnt vmcnt(0)
	v_cmp_ne_u64_e32 vcc, s[36:37], v[18:19]
	v_add_u32_e32 v2, s30, v0
	s_xor_b64 s[4:5], s[0:1], vcc
	v_cndmask_b32_e64 v1, 0, 1, s[4:5]
	v_add_u32_e32 v0, 0x100, v0
	global_store_byte v2, v1, s[38:39]
	s_or_b64 exec, exec, s[2:3]
	v_cmp_gt_i32_e32 vcc, s33, v0
	s_and_saveexec_b64 s[2:3], vcc
	s_cbranch_execz .LBB56_46
.LBB56_63:
	s_waitcnt vmcnt(0)
	v_cmp_ne_u64_e32 vcc, s[36:37], v[24:25]
	v_add_u32_e32 v2, s30, v0
	s_xor_b64 s[4:5], s[0:1], vcc
	v_cndmask_b32_e64 v1, 0, 1, s[4:5]
	v_add_u32_e32 v0, 0x100, v0
	global_store_byte v2, v1, s[38:39]
	s_or_b64 exec, exec, s[2:3]
	v_cmp_gt_i32_e32 vcc, s33, v0
	s_and_saveexec_b64 s[2:3], vcc
	s_cbranch_execz .LBB56_47
.LBB56_64:
	s_waitcnt vmcnt(0)
	v_cmp_ne_u64_e32 vcc, s[36:37], v[22:23]
	v_add_u32_e32 v2, s30, v0
	s_xor_b64 s[4:5], s[0:1], vcc
	v_cndmask_b32_e64 v1, 0, 1, s[4:5]
	v_add_u32_e32 v0, 0x100, v0
	global_store_byte v2, v1, s[38:39]
	s_or_b64 exec, exec, s[2:3]
	v_cmp_gt_i32_e32 vcc, s33, v0
	s_and_saveexec_b64 s[2:3], vcc
	s_cbranch_execz .LBB56_48
.LBB56_65:
	s_waitcnt vmcnt(0)
	v_cmp_ne_u64_e32 vcc, s[36:37], v[28:29]
	v_add_u32_e32 v2, s30, v0
	s_xor_b64 s[4:5], s[0:1], vcc
	v_cndmask_b32_e64 v1, 0, 1, s[4:5]
	v_add_u32_e32 v0, 0x100, v0
	global_store_byte v2, v1, s[38:39]
	s_or_b64 exec, exec, s[2:3]
	v_cmp_gt_i32_e32 vcc, s33, v0
	s_and_saveexec_b64 s[2:3], vcc
	s_cbranch_execz .LBB56_49
.LBB56_66:
	s_waitcnt vmcnt(0)
	v_cmp_ne_u64_e32 vcc, s[36:37], v[26:27]
	v_add_u32_e32 v2, s30, v0
	s_xor_b64 s[4:5], s[0:1], vcc
	v_cndmask_b32_e64 v1, 0, 1, s[4:5]
	v_add_u32_e32 v0, 0x100, v0
	global_store_byte v2, v1, s[38:39]
	s_or_b64 exec, exec, s[2:3]
	v_cmp_gt_i32_e32 vcc, s33, v0
	s_and_saveexec_b64 s[2:3], vcc
	s_cbranch_execz .LBB56_50
.LBB56_67:
	s_waitcnt vmcnt(0)
	v_cmp_ne_u64_e32 vcc, s[36:37], v[32:33]
	v_add_u32_e32 v2, s30, v0
	s_xor_b64 s[4:5], s[0:1], vcc
	v_cndmask_b32_e64 v1, 0, 1, s[4:5]
	v_add_u32_e32 v0, 0x100, v0
	global_store_byte v2, v1, s[38:39]
	s_or_b64 exec, exec, s[2:3]
	v_cmp_gt_i32_e32 vcc, s33, v0
	s_and_saveexec_b64 s[2:3], vcc
	s_cbranch_execnz .LBB56_51
	s_branch .LBB56_52
	.section	.rodata,"a",@progbits
	.p2align	6, 0x0
	.amdhsa_kernel _ZN2at6native29vectorized_elementwise_kernelILi16ENS0_13AUnaryFunctorIllbNS0_12_GLOBAL__N_116CompareEqFunctorIlEEEESt5arrayIPcLm2EEEEviT0_T1_
		.amdhsa_group_segment_fixed_size 0
		.amdhsa_private_segment_fixed_size 0
		.amdhsa_kernarg_size 40
		.amdhsa_user_sgpr_count 6
		.amdhsa_user_sgpr_private_segment_buffer 1
		.amdhsa_user_sgpr_dispatch_ptr 0
		.amdhsa_user_sgpr_queue_ptr 0
		.amdhsa_user_sgpr_kernarg_segment_ptr 1
		.amdhsa_user_sgpr_dispatch_id 0
		.amdhsa_user_sgpr_flat_scratch_init 0
		.amdhsa_user_sgpr_private_segment_size 0
		.amdhsa_uses_dynamic_stack 0
		.amdhsa_system_sgpr_private_segment_wavefront_offset 0
		.amdhsa_system_sgpr_workgroup_id_x 1
		.amdhsa_system_sgpr_workgroup_id_y 0
		.amdhsa_system_sgpr_workgroup_id_z 0
		.amdhsa_system_sgpr_workgroup_info 0
		.amdhsa_system_vgpr_workitem_id 0
		.amdhsa_next_free_vgpr 36
		.amdhsa_next_free_sgpr 48
		.amdhsa_reserve_vcc 1
		.amdhsa_reserve_flat_scratch 0
		.amdhsa_float_round_mode_32 0
		.amdhsa_float_round_mode_16_64 0
		.amdhsa_float_denorm_mode_32 3
		.amdhsa_float_denorm_mode_16_64 3
		.amdhsa_dx10_clamp 1
		.amdhsa_ieee_mode 1
		.amdhsa_fp16_overflow 0
		.amdhsa_exception_fp_ieee_invalid_op 0
		.amdhsa_exception_fp_denorm_src 0
		.amdhsa_exception_fp_ieee_div_zero 0
		.amdhsa_exception_fp_ieee_overflow 0
		.amdhsa_exception_fp_ieee_underflow 0
		.amdhsa_exception_fp_ieee_inexact 0
		.amdhsa_exception_int_div_zero 0
	.end_amdhsa_kernel
	.section	.text._ZN2at6native29vectorized_elementwise_kernelILi16ENS0_13AUnaryFunctorIllbNS0_12_GLOBAL__N_116CompareEqFunctorIlEEEESt5arrayIPcLm2EEEEviT0_T1_,"axG",@progbits,_ZN2at6native29vectorized_elementwise_kernelILi16ENS0_13AUnaryFunctorIllbNS0_12_GLOBAL__N_116CompareEqFunctorIlEEEESt5arrayIPcLm2EEEEviT0_T1_,comdat
.Lfunc_end56:
	.size	_ZN2at6native29vectorized_elementwise_kernelILi16ENS0_13AUnaryFunctorIllbNS0_12_GLOBAL__N_116CompareEqFunctorIlEEEESt5arrayIPcLm2EEEEviT0_T1_, .Lfunc_end56-_ZN2at6native29vectorized_elementwise_kernelILi16ENS0_13AUnaryFunctorIllbNS0_12_GLOBAL__N_116CompareEqFunctorIlEEEESt5arrayIPcLm2EEEEviT0_T1_
                                        ; -- End function
	.set _ZN2at6native29vectorized_elementwise_kernelILi16ENS0_13AUnaryFunctorIllbNS0_12_GLOBAL__N_116CompareEqFunctorIlEEEESt5arrayIPcLm2EEEEviT0_T1_.num_vgpr, 36
	.set _ZN2at6native29vectorized_elementwise_kernelILi16ENS0_13AUnaryFunctorIllbNS0_12_GLOBAL__N_116CompareEqFunctorIlEEEESt5arrayIPcLm2EEEEviT0_T1_.num_agpr, 0
	.set _ZN2at6native29vectorized_elementwise_kernelILi16ENS0_13AUnaryFunctorIllbNS0_12_GLOBAL__N_116CompareEqFunctorIlEEEESt5arrayIPcLm2EEEEviT0_T1_.numbered_sgpr, 48
	.set _ZN2at6native29vectorized_elementwise_kernelILi16ENS0_13AUnaryFunctorIllbNS0_12_GLOBAL__N_116CompareEqFunctorIlEEEESt5arrayIPcLm2EEEEviT0_T1_.num_named_barrier, 0
	.set _ZN2at6native29vectorized_elementwise_kernelILi16ENS0_13AUnaryFunctorIllbNS0_12_GLOBAL__N_116CompareEqFunctorIlEEEESt5arrayIPcLm2EEEEviT0_T1_.private_seg_size, 0
	.set _ZN2at6native29vectorized_elementwise_kernelILi16ENS0_13AUnaryFunctorIllbNS0_12_GLOBAL__N_116CompareEqFunctorIlEEEESt5arrayIPcLm2EEEEviT0_T1_.uses_vcc, 1
	.set _ZN2at6native29vectorized_elementwise_kernelILi16ENS0_13AUnaryFunctorIllbNS0_12_GLOBAL__N_116CompareEqFunctorIlEEEESt5arrayIPcLm2EEEEviT0_T1_.uses_flat_scratch, 0
	.set _ZN2at6native29vectorized_elementwise_kernelILi16ENS0_13AUnaryFunctorIllbNS0_12_GLOBAL__N_116CompareEqFunctorIlEEEESt5arrayIPcLm2EEEEviT0_T1_.has_dyn_sized_stack, 0
	.set _ZN2at6native29vectorized_elementwise_kernelILi16ENS0_13AUnaryFunctorIllbNS0_12_GLOBAL__N_116CompareEqFunctorIlEEEESt5arrayIPcLm2EEEEviT0_T1_.has_recursion, 0
	.set _ZN2at6native29vectorized_elementwise_kernelILi16ENS0_13AUnaryFunctorIllbNS0_12_GLOBAL__N_116CompareEqFunctorIlEEEESt5arrayIPcLm2EEEEviT0_T1_.has_indirect_call, 0
	.section	.AMDGPU.csdata,"",@progbits
; Kernel info:
; codeLenInByte = 3044
; TotalNumSgprs: 52
; NumVgprs: 36
; ScratchSize: 0
; MemoryBound: 0
; FloatMode: 240
; IeeeMode: 1
; LDSByteSize: 0 bytes/workgroup (compile time only)
; SGPRBlocks: 6
; VGPRBlocks: 8
; NumSGPRsForWavesPerEU: 52
; NumVGPRsForWavesPerEU: 36
; Occupancy: 7
; WaveLimiterHint : 0
; COMPUTE_PGM_RSRC2:SCRATCH_EN: 0
; COMPUTE_PGM_RSRC2:USER_SGPR: 6
; COMPUTE_PGM_RSRC2:TRAP_HANDLER: 0
; COMPUTE_PGM_RSRC2:TGID_X_EN: 1
; COMPUTE_PGM_RSRC2:TGID_Y_EN: 0
; COMPUTE_PGM_RSRC2:TGID_Z_EN: 0
; COMPUTE_PGM_RSRC2:TIDIG_COMP_CNT: 0
	.section	.text._ZN2at6native29vectorized_elementwise_kernelILi8ENS0_13AUnaryFunctorIllbNS0_12_GLOBAL__N_116CompareEqFunctorIlEEEESt5arrayIPcLm2EEEEviT0_T1_,"axG",@progbits,_ZN2at6native29vectorized_elementwise_kernelILi8ENS0_13AUnaryFunctorIllbNS0_12_GLOBAL__N_116CompareEqFunctorIlEEEESt5arrayIPcLm2EEEEviT0_T1_,comdat
	.globl	_ZN2at6native29vectorized_elementwise_kernelILi8ENS0_13AUnaryFunctorIllbNS0_12_GLOBAL__N_116CompareEqFunctorIlEEEESt5arrayIPcLm2EEEEviT0_T1_ ; -- Begin function _ZN2at6native29vectorized_elementwise_kernelILi8ENS0_13AUnaryFunctorIllbNS0_12_GLOBAL__N_116CompareEqFunctorIlEEEESt5arrayIPcLm2EEEEviT0_T1_
	.p2align	8
	.type	_ZN2at6native29vectorized_elementwise_kernelILi8ENS0_13AUnaryFunctorIllbNS0_12_GLOBAL__N_116CompareEqFunctorIlEEEESt5arrayIPcLm2EEEEviT0_T1_,@function
_ZN2at6native29vectorized_elementwise_kernelILi8ENS0_13AUnaryFunctorIllbNS0_12_GLOBAL__N_116CompareEqFunctorIlEEEESt5arrayIPcLm2EEEEviT0_T1_: ; @_ZN2at6native29vectorized_elementwise_kernelILi8ENS0_13AUnaryFunctorIllbNS0_12_GLOBAL__N_116CompareEqFunctorIlEEEESt5arrayIPcLm2EEEEviT0_T1_
; %bb.0:
	s_load_dword s0, s[4:5], 0x0
	s_load_dword s23, s[4:5], 0x8
	s_load_dwordx4 s[16:19], s[4:5], 0x10
	s_load_dwordx2 s[20:21], s[4:5], 0x20
	s_lshl_b32 s14, s6, 12
	s_waitcnt lgkmcnt(0)
	s_sub_i32 s22, s0, s14
	s_cmpk_gt_i32 s22, 0xfff
	s_mov_b64 s[0:1], -1
	s_cbranch_scc0 .LBB57_2
; %bb.1:
	s_ashr_i32 s15, s14, 31
	s_lshl_b64 s[0:1], s[14:15], 3
	s_add_u32 s0, s20, s0
	s_addc_u32 s1, s21, s1
	v_lshlrev_b32_e32 v17, 6, v0
	global_load_dwordx4 v[1:4], v17, s[0:1]
	global_load_dwordx4 v[5:8], v17, s[0:1] offset:16
	global_load_dwordx4 v[9:12], v17, s[0:1] offset:32
	;; [unrolled: 1-line block ×3, first 2 shown]
	v_mov_b32_e32 v18, s1
	v_add_co_u32_e32 v17, vcc, s0, v17
	s_movk_i32 s2, 0x4000
	v_addc_co_u32_e32 v18, vcc, 0, v18, vcc
	v_add_co_u32_e32 v33, vcc, s2, v17
	v_addc_co_u32_e32 v34, vcc, 0, v18, vcc
	global_load_dwordx4 v[17:20], v[33:34], off
	global_load_dwordx4 v[21:24], v[33:34], off offset:16
	global_load_dwordx4 v[25:28], v[33:34], off offset:32
	;; [unrolled: 1-line block ×3, first 2 shown]
	s_cmp_eq_u32 s23, 0
	s_cselect_b64 s[24:25], -1, 0
	v_mov_b32_e32 v33, 0x100
	v_mov_b32_e32 v34, 0x10000
	;; [unrolled: 1-line block ×3, first 2 shown]
	s_waitcnt vmcnt(7)
	v_cmp_ne_u64_e32 vcc, s[16:17], v[1:2]
	v_cmp_ne_u64_e64 s[0:1], s[16:17], v[3:4]
	s_waitcnt vmcnt(6)
	v_cmp_ne_u64_e64 s[2:3], s[16:17], v[5:6]
	v_cmp_ne_u64_e64 s[4:5], s[16:17], v[7:8]
	s_xor_b64 s[26:27], s[24:25], vcc
	s_xor_b64 vcc, s[24:25], s[0:1]
	s_waitcnt vmcnt(5)
	v_cmp_ne_u64_e64 s[8:9], s[16:17], v[11:12]
	v_cndmask_b32_e32 v2, 0, v33, vcc
	s_xor_b64 vcc, s[24:25], s[2:3]
	s_waitcnt vmcnt(4)
	v_cmp_ne_u64_e64 s[10:11], s[16:17], v[13:14]
	v_cndmask_b32_e32 v5, 0, v34, vcc
	s_xor_b64 vcc, s[24:25], s[4:5]
	v_cmp_ne_u64_e64 s[6:7], s[16:17], v[9:10]
	v_cmp_ne_u64_e64 s[12:13], s[16:17], v[15:16]
	v_cndmask_b32_e32 v6, 0, v35, vcc
	s_xor_b64 vcc, s[24:25], s[8:9]
	v_cndmask_b32_e32 v8, 0, v33, vcc
	s_xor_b64 vcc, s[24:25], s[10:11]
	s_xor_b64 s[0:1], s[24:25], s[6:7]
	v_cndmask_b32_e32 v9, 0, v34, vcc
	s_xor_b64 vcc, s[24:25], s[12:13]
	v_cndmask_b32_e64 v7, 0, 1, s[0:1]
	v_cndmask_b32_e32 v10, 0, v35, vcc
	s_waitcnt vmcnt(3)
	v_cmp_ne_u64_e32 vcc, s[16:17], v[17:18]
	v_cmp_ne_u64_e64 s[0:1], s[16:17], v[19:20]
	v_cndmask_b32_e64 v1, 0, 1, s[26:27]
	s_waitcnt vmcnt(2)
	v_cmp_ne_u64_e64 s[2:3], s[16:17], v[21:22]
	v_or_b32_e32 v1, v2, v1
	v_cmp_ne_u64_e64 s[4:5], s[16:17], v[23:24]
	s_xor_b64 s[26:27], s[24:25], vcc
	s_xor_b64 vcc, s[24:25], s[0:1]
	v_or3_b32 v3, 0, 0, 0
	s_waitcnt vmcnt(1)
	v_cmp_ne_u64_e64 s[8:9], s[16:17], v[27:28]
	v_or3_b32 v1, v1, v5, v6
	v_cndmask_b32_e32 v6, 0, v33, vcc
	s_xor_b64 vcc, s[24:25], s[2:3]
	v_or3_b32 v2, v3, v7, v8
	s_waitcnt vmcnt(0)
	v_cmp_ne_u64_e64 s[10:11], s[16:17], v[29:30]
	v_cndmask_b32_e32 v7, 0, v34, vcc
	s_xor_b64 vcc, s[24:25], s[4:5]
	v_cmp_ne_u64_e64 s[6:7], s[16:17], v[25:26]
	v_cmp_ne_u64_e64 s[12:13], s[16:17], v[31:32]
	v_cndmask_b32_e32 v8, 0, v35, vcc
	s_xor_b64 vcc, s[24:25], s[8:9]
	v_or3_b32 v2, v2, v9, v10
	v_cndmask_b32_e64 v5, 0, 1, s[26:27]
	v_cndmask_b32_e32 v10, 0, v33, vcc
	s_xor_b64 vcc, s[24:25], s[10:11]
	s_xor_b64 s[0:1], s[24:25], s[6:7]
	v_cndmask_b32_e32 v11, 0, v34, vcc
	s_xor_b64 vcc, s[24:25], s[12:13]
	v_or_b32_e32 v5, v6, v5
	v_or3_b32 v1, v1, 0, 0
	v_cndmask_b32_e64 v9, 0, 1, s[0:1]
	s_add_u32 s0, s18, s14
	v_or3_b32 v5, v5, v7, v8
	v_lshlrev_b32_e32 v4, 3, v0
	v_cndmask_b32_e32 v12, 0, v35, vcc
	v_or3_b32 v1, v1, 0, 0
	v_or3_b32 v3, v3, v9, v10
	s_addc_u32 s1, s19, s15
	v_or3_b32 v5, v5, 0, 0
	v_or3_b32 v3, v3, v11, v12
	global_store_dwordx2 v4, v[1:2], s[0:1]
	v_or3_b32 v2, v5, 0, 0
	global_store_dwordx2 v4, v[2:3], s[0:1] offset:2048
	s_mov_b64 s[0:1], 0
.LBB57_2:
	s_andn2_b64 vcc, exec, s[0:1]
	s_cbranch_vccnz .LBB57_52
; %bb.3:
	v_mov_b32_e32 v1, 0
	v_mov_b32_e32 v4, 0
	v_cmp_gt_i32_e32 vcc, s22, v0
	v_mov_b32_e32 v2, 0
	v_or_b32_e32 v3, s14, v0
	v_mov_b32_e32 v5, 0
	v_mov_b32_e32 v34, v0
	s_and_saveexec_b64 s[2:3], vcc
	s_cbranch_execz .LBB57_5
; %bb.4:
	v_mov_b32_e32 v4, 0
	v_lshlrev_b64 v[4:5], 3, v[3:4]
	v_mov_b32_e32 v6, s21
	v_add_co_u32_e64 v4, s[0:1], s20, v4
	v_addc_co_u32_e64 v5, s[0:1], v6, v5, s[0:1]
	global_load_dwordx2 v[4:5], v[4:5], off
	v_or_b32_e32 v34, 0x100, v0
.LBB57_5:
	s_or_b64 exec, exec, s[2:3]
	v_cmp_gt_i32_e64 s[0:1], s22, v34
	s_and_saveexec_b64 s[2:3], s[0:1]
	s_cbranch_execz .LBB57_7
; %bb.6:
	v_add_u32_e32 v1, s14, v34
	v_mov_b32_e32 v2, 0
	v_lshlrev_b64 v[1:2], 3, v[1:2]
	v_mov_b32_e32 v6, s21
	v_add_co_u32_e64 v1, s[0:1], s20, v1
	v_addc_co_u32_e64 v2, s[0:1], v6, v2, s[0:1]
	global_load_dwordx2 v[1:2], v[1:2], off
	v_add_u32_e32 v34, 0x100, v34
.LBB57_7:
	s_or_b64 exec, exec, s[2:3]
	v_mov_b32_e32 v6, 0
	v_mov_b32_e32 v8, 0
	v_mov_b32_e32 v7, 0
	v_mov_b32_e32 v9, 0
	v_cmp_gt_i32_e64 s[0:1], s22, v34
	s_and_saveexec_b64 s[2:3], s[0:1]
	s_cbranch_execz .LBB57_9
; %bb.8:
	v_add_u32_e32 v8, s14, v34
	v_mov_b32_e32 v9, 0
	v_lshlrev_b64 v[8:9], 3, v[8:9]
	v_mov_b32_e32 v10, s21
	v_add_co_u32_e64 v8, s[0:1], s20, v8
	v_addc_co_u32_e64 v9, s[0:1], v10, v9, s[0:1]
	global_load_dwordx2 v[8:9], v[8:9], off
	v_add_u32_e32 v34, 0x100, v34
.LBB57_9:
	s_or_b64 exec, exec, s[2:3]
	v_cmp_gt_i32_e64 s[0:1], s22, v34
	s_and_saveexec_b64 s[2:3], s[0:1]
	s_cbranch_execz .LBB57_11
; %bb.10:
	v_add_u32_e32 v6, s14, v34
	v_mov_b32_e32 v7, 0
	v_lshlrev_b64 v[6:7], 3, v[6:7]
	v_mov_b32_e32 v10, s21
	v_add_co_u32_e64 v6, s[0:1], s20, v6
	v_addc_co_u32_e64 v7, s[0:1], v10, v7, s[0:1]
	global_load_dwordx2 v[6:7], v[6:7], off
	v_add_u32_e32 v34, 0x100, v34
.LBB57_11:
	s_or_b64 exec, exec, s[2:3]
	v_mov_b32_e32 v10, 0
	v_mov_b32_e32 v12, 0
	v_mov_b32_e32 v11, 0
	v_mov_b32_e32 v13, 0
	v_cmp_gt_i32_e64 s[0:1], s22, v34
	s_and_saveexec_b64 s[2:3], s[0:1]
	s_cbranch_execz .LBB57_13
; %bb.12:
	v_add_u32_e32 v12, s14, v34
	v_mov_b32_e32 v13, 0
	v_lshlrev_b64 v[12:13], 3, v[12:13]
	v_mov_b32_e32 v14, s21
	v_add_co_u32_e64 v12, s[0:1], s20, v12
	v_addc_co_u32_e64 v13, s[0:1], v14, v13, s[0:1]
	global_load_dwordx2 v[12:13], v[12:13], off
	v_add_u32_e32 v34, 0x100, v34
.LBB57_13:
	;; [unrolled: 32-line block ×7, first 2 shown]
	s_or_b64 exec, exec, s[2:3]
	v_cmp_gt_i32_e64 s[0:1], s22, v34
	s_and_saveexec_b64 s[2:3], s[0:1]
	s_cbranch_execz .LBB57_35
; %bb.34:
	v_add_u32_e32 v30, s14, v34
	v_mov_b32_e32 v31, 0
	v_lshlrev_b64 v[30:31], 3, v[30:31]
	v_mov_b32_e32 v34, s21
	v_add_co_u32_e64 v30, s[0:1], s20, v30
	v_addc_co_u32_e64 v31, s[0:1], v34, v31, s[0:1]
	global_load_dwordx2 v[30:31], v[30:31], off
.LBB57_35:
	s_or_b64 exec, exec, s[2:3]
	s_cmp_eq_u32 s23, 0
	s_cselect_b64 s[0:1], -1, 0
	s_and_saveexec_b64 s[2:3], vcc
	s_cbranch_execnz .LBB57_53
; %bb.36:
	s_or_b64 exec, exec, s[2:3]
	v_cmp_gt_i32_e32 vcc, s22, v0
	s_and_saveexec_b64 s[2:3], vcc
	s_cbranch_execnz .LBB57_54
.LBB57_37:
	s_or_b64 exec, exec, s[2:3]
	v_cmp_gt_i32_e32 vcc, s22, v0
	s_and_saveexec_b64 s[2:3], vcc
	s_cbranch_execnz .LBB57_55
.LBB57_38:
	s_or_b64 exec, exec, s[2:3]
	v_cmp_gt_i32_e32 vcc, s22, v0
	s_and_saveexec_b64 s[2:3], vcc
	s_cbranch_execnz .LBB57_56
.LBB57_39:
	s_or_b64 exec, exec, s[2:3]
	v_cmp_gt_i32_e32 vcc, s22, v0
	s_and_saveexec_b64 s[2:3], vcc
	s_cbranch_execnz .LBB57_57
.LBB57_40:
	s_or_b64 exec, exec, s[2:3]
	v_cmp_gt_i32_e32 vcc, s22, v0
	s_and_saveexec_b64 s[2:3], vcc
	s_cbranch_execnz .LBB57_58
.LBB57_41:
	s_or_b64 exec, exec, s[2:3]
	v_cmp_gt_i32_e32 vcc, s22, v0
	s_and_saveexec_b64 s[2:3], vcc
	s_cbranch_execnz .LBB57_59
.LBB57_42:
	s_or_b64 exec, exec, s[2:3]
	v_cmp_gt_i32_e32 vcc, s22, v0
	s_and_saveexec_b64 s[2:3], vcc
	s_cbranch_execnz .LBB57_60
.LBB57_43:
	s_or_b64 exec, exec, s[2:3]
	v_cmp_gt_i32_e32 vcc, s22, v0
	s_and_saveexec_b64 s[2:3], vcc
	s_cbranch_execnz .LBB57_61
.LBB57_44:
	s_or_b64 exec, exec, s[2:3]
	v_cmp_gt_i32_e32 vcc, s22, v0
	s_and_saveexec_b64 s[2:3], vcc
	s_cbranch_execnz .LBB57_62
.LBB57_45:
	s_or_b64 exec, exec, s[2:3]
	v_cmp_gt_i32_e32 vcc, s22, v0
	s_and_saveexec_b64 s[2:3], vcc
	s_cbranch_execnz .LBB57_63
.LBB57_46:
	s_or_b64 exec, exec, s[2:3]
	v_cmp_gt_i32_e32 vcc, s22, v0
	s_and_saveexec_b64 s[2:3], vcc
	s_cbranch_execnz .LBB57_64
.LBB57_47:
	s_or_b64 exec, exec, s[2:3]
	v_cmp_gt_i32_e32 vcc, s22, v0
	s_and_saveexec_b64 s[2:3], vcc
	s_cbranch_execnz .LBB57_65
.LBB57_48:
	s_or_b64 exec, exec, s[2:3]
	v_cmp_gt_i32_e32 vcc, s22, v0
	s_and_saveexec_b64 s[2:3], vcc
	s_cbranch_execnz .LBB57_66
.LBB57_49:
	s_or_b64 exec, exec, s[2:3]
	v_cmp_gt_i32_e32 vcc, s22, v0
	s_and_saveexec_b64 s[2:3], vcc
	s_cbranch_execnz .LBB57_67
.LBB57_50:
	s_or_b64 exec, exec, s[2:3]
	v_cmp_gt_i32_e32 vcc, s22, v0
	s_and_saveexec_b64 s[2:3], vcc
	s_cbranch_execz .LBB57_52
.LBB57_51:
	s_waitcnt vmcnt(0)
	v_cmp_ne_u64_e32 vcc, s[16:17], v[30:31]
	v_add_u32_e32 v0, s14, v0
	s_xor_b64 s[0:1], s[0:1], vcc
	v_cndmask_b32_e64 v1, 0, 1, s[0:1]
	global_store_byte v0, v1, s[18:19]
.LBB57_52:
	s_endpgm
.LBB57_53:
	s_waitcnt vmcnt(0)
	v_cmp_ne_u64_e32 vcc, s[16:17], v[4:5]
	v_or_b32_e32 v0, 0x100, v0
	s_xor_b64 s[4:5], s[0:1], vcc
	v_cndmask_b32_e64 v4, 0, 1, s[4:5]
	global_store_byte v3, v4, s[18:19]
	s_or_b64 exec, exec, s[2:3]
	v_cmp_gt_i32_e32 vcc, s22, v0
	s_and_saveexec_b64 s[2:3], vcc
	s_cbranch_execz .LBB57_37
.LBB57_54:
	s_waitcnt vmcnt(0)
	v_cmp_ne_u64_e32 vcc, s[16:17], v[1:2]
	v_add_u32_e32 v2, s14, v0
	s_xor_b64 s[4:5], s[0:1], vcc
	v_cndmask_b32_e64 v1, 0, 1, s[4:5]
	v_add_u32_e32 v0, 0x100, v0
	global_store_byte v2, v1, s[18:19]
	s_or_b64 exec, exec, s[2:3]
	v_cmp_gt_i32_e32 vcc, s22, v0
	s_and_saveexec_b64 s[2:3], vcc
	s_cbranch_execz .LBB57_38
.LBB57_55:
	s_waitcnt vmcnt(0)
	v_cmp_ne_u64_e32 vcc, s[16:17], v[8:9]
	v_add_u32_e32 v2, s14, v0
	s_xor_b64 s[4:5], s[0:1], vcc
	v_cndmask_b32_e64 v1, 0, 1, s[4:5]
	v_add_u32_e32 v0, 0x100, v0
	global_store_byte v2, v1, s[18:19]
	s_or_b64 exec, exec, s[2:3]
	v_cmp_gt_i32_e32 vcc, s22, v0
	s_and_saveexec_b64 s[2:3], vcc
	s_cbranch_execz .LBB57_39
.LBB57_56:
	s_waitcnt vmcnt(0)
	v_cmp_ne_u64_e32 vcc, s[16:17], v[6:7]
	v_add_u32_e32 v2, s14, v0
	s_xor_b64 s[4:5], s[0:1], vcc
	v_cndmask_b32_e64 v1, 0, 1, s[4:5]
	v_add_u32_e32 v0, 0x100, v0
	global_store_byte v2, v1, s[18:19]
	s_or_b64 exec, exec, s[2:3]
	v_cmp_gt_i32_e32 vcc, s22, v0
	s_and_saveexec_b64 s[2:3], vcc
	s_cbranch_execz .LBB57_40
.LBB57_57:
	s_waitcnt vmcnt(0)
	v_cmp_ne_u64_e32 vcc, s[16:17], v[12:13]
	v_add_u32_e32 v2, s14, v0
	s_xor_b64 s[4:5], s[0:1], vcc
	v_cndmask_b32_e64 v1, 0, 1, s[4:5]
	v_add_u32_e32 v0, 0x100, v0
	global_store_byte v2, v1, s[18:19]
	s_or_b64 exec, exec, s[2:3]
	v_cmp_gt_i32_e32 vcc, s22, v0
	s_and_saveexec_b64 s[2:3], vcc
	s_cbranch_execz .LBB57_41
.LBB57_58:
	s_waitcnt vmcnt(0)
	v_cmp_ne_u64_e32 vcc, s[16:17], v[10:11]
	v_add_u32_e32 v2, s14, v0
	s_xor_b64 s[4:5], s[0:1], vcc
	v_cndmask_b32_e64 v1, 0, 1, s[4:5]
	v_add_u32_e32 v0, 0x100, v0
	global_store_byte v2, v1, s[18:19]
	s_or_b64 exec, exec, s[2:3]
	v_cmp_gt_i32_e32 vcc, s22, v0
	s_and_saveexec_b64 s[2:3], vcc
	s_cbranch_execz .LBB57_42
.LBB57_59:
	s_waitcnt vmcnt(0)
	v_cmp_ne_u64_e32 vcc, s[16:17], v[16:17]
	v_add_u32_e32 v2, s14, v0
	s_xor_b64 s[4:5], s[0:1], vcc
	v_cndmask_b32_e64 v1, 0, 1, s[4:5]
	v_add_u32_e32 v0, 0x100, v0
	global_store_byte v2, v1, s[18:19]
	s_or_b64 exec, exec, s[2:3]
	v_cmp_gt_i32_e32 vcc, s22, v0
	s_and_saveexec_b64 s[2:3], vcc
	s_cbranch_execz .LBB57_43
.LBB57_60:
	s_waitcnt vmcnt(0)
	v_cmp_ne_u64_e32 vcc, s[16:17], v[14:15]
	v_add_u32_e32 v2, s14, v0
	s_xor_b64 s[4:5], s[0:1], vcc
	v_cndmask_b32_e64 v1, 0, 1, s[4:5]
	v_add_u32_e32 v0, 0x100, v0
	global_store_byte v2, v1, s[18:19]
	s_or_b64 exec, exec, s[2:3]
	v_cmp_gt_i32_e32 vcc, s22, v0
	s_and_saveexec_b64 s[2:3], vcc
	s_cbranch_execz .LBB57_44
.LBB57_61:
	s_waitcnt vmcnt(0)
	v_cmp_ne_u64_e32 vcc, s[16:17], v[20:21]
	v_add_u32_e32 v2, s14, v0
	s_xor_b64 s[4:5], s[0:1], vcc
	v_cndmask_b32_e64 v1, 0, 1, s[4:5]
	v_add_u32_e32 v0, 0x100, v0
	global_store_byte v2, v1, s[18:19]
	s_or_b64 exec, exec, s[2:3]
	v_cmp_gt_i32_e32 vcc, s22, v0
	s_and_saveexec_b64 s[2:3], vcc
	s_cbranch_execz .LBB57_45
.LBB57_62:
	s_waitcnt vmcnt(0)
	v_cmp_ne_u64_e32 vcc, s[16:17], v[18:19]
	v_add_u32_e32 v2, s14, v0
	s_xor_b64 s[4:5], s[0:1], vcc
	v_cndmask_b32_e64 v1, 0, 1, s[4:5]
	v_add_u32_e32 v0, 0x100, v0
	global_store_byte v2, v1, s[18:19]
	s_or_b64 exec, exec, s[2:3]
	v_cmp_gt_i32_e32 vcc, s22, v0
	s_and_saveexec_b64 s[2:3], vcc
	s_cbranch_execz .LBB57_46
.LBB57_63:
	s_waitcnt vmcnt(0)
	v_cmp_ne_u64_e32 vcc, s[16:17], v[24:25]
	v_add_u32_e32 v2, s14, v0
	s_xor_b64 s[4:5], s[0:1], vcc
	v_cndmask_b32_e64 v1, 0, 1, s[4:5]
	v_add_u32_e32 v0, 0x100, v0
	global_store_byte v2, v1, s[18:19]
	s_or_b64 exec, exec, s[2:3]
	v_cmp_gt_i32_e32 vcc, s22, v0
	s_and_saveexec_b64 s[2:3], vcc
	s_cbranch_execz .LBB57_47
.LBB57_64:
	s_waitcnt vmcnt(0)
	v_cmp_ne_u64_e32 vcc, s[16:17], v[22:23]
	v_add_u32_e32 v2, s14, v0
	s_xor_b64 s[4:5], s[0:1], vcc
	v_cndmask_b32_e64 v1, 0, 1, s[4:5]
	v_add_u32_e32 v0, 0x100, v0
	global_store_byte v2, v1, s[18:19]
	s_or_b64 exec, exec, s[2:3]
	v_cmp_gt_i32_e32 vcc, s22, v0
	s_and_saveexec_b64 s[2:3], vcc
	s_cbranch_execz .LBB57_48
.LBB57_65:
	s_waitcnt vmcnt(0)
	v_cmp_ne_u64_e32 vcc, s[16:17], v[28:29]
	v_add_u32_e32 v2, s14, v0
	s_xor_b64 s[4:5], s[0:1], vcc
	v_cndmask_b32_e64 v1, 0, 1, s[4:5]
	v_add_u32_e32 v0, 0x100, v0
	global_store_byte v2, v1, s[18:19]
	s_or_b64 exec, exec, s[2:3]
	v_cmp_gt_i32_e32 vcc, s22, v0
	s_and_saveexec_b64 s[2:3], vcc
	s_cbranch_execz .LBB57_49
.LBB57_66:
	s_waitcnt vmcnt(0)
	v_cmp_ne_u64_e32 vcc, s[16:17], v[26:27]
	v_add_u32_e32 v2, s14, v0
	s_xor_b64 s[4:5], s[0:1], vcc
	v_cndmask_b32_e64 v1, 0, 1, s[4:5]
	v_add_u32_e32 v0, 0x100, v0
	global_store_byte v2, v1, s[18:19]
	s_or_b64 exec, exec, s[2:3]
	v_cmp_gt_i32_e32 vcc, s22, v0
	s_and_saveexec_b64 s[2:3], vcc
	s_cbranch_execz .LBB57_50
.LBB57_67:
	s_waitcnt vmcnt(0)
	v_cmp_ne_u64_e32 vcc, s[16:17], v[32:33]
	v_add_u32_e32 v2, s14, v0
	s_xor_b64 s[4:5], s[0:1], vcc
	v_cndmask_b32_e64 v1, 0, 1, s[4:5]
	v_add_u32_e32 v0, 0x100, v0
	global_store_byte v2, v1, s[18:19]
	s_or_b64 exec, exec, s[2:3]
	v_cmp_gt_i32_e32 vcc, s22, v0
	s_and_saveexec_b64 s[2:3], vcc
	s_cbranch_execnz .LBB57_51
	s_branch .LBB57_52
	.section	.rodata,"a",@progbits
	.p2align	6, 0x0
	.amdhsa_kernel _ZN2at6native29vectorized_elementwise_kernelILi8ENS0_13AUnaryFunctorIllbNS0_12_GLOBAL__N_116CompareEqFunctorIlEEEESt5arrayIPcLm2EEEEviT0_T1_
		.amdhsa_group_segment_fixed_size 0
		.amdhsa_private_segment_fixed_size 0
		.amdhsa_kernarg_size 40
		.amdhsa_user_sgpr_count 6
		.amdhsa_user_sgpr_private_segment_buffer 1
		.amdhsa_user_sgpr_dispatch_ptr 0
		.amdhsa_user_sgpr_queue_ptr 0
		.amdhsa_user_sgpr_kernarg_segment_ptr 1
		.amdhsa_user_sgpr_dispatch_id 0
		.amdhsa_user_sgpr_flat_scratch_init 0
		.amdhsa_user_sgpr_private_segment_size 0
		.amdhsa_uses_dynamic_stack 0
		.amdhsa_system_sgpr_private_segment_wavefront_offset 0
		.amdhsa_system_sgpr_workgroup_id_x 1
		.amdhsa_system_sgpr_workgroup_id_y 0
		.amdhsa_system_sgpr_workgroup_id_z 0
		.amdhsa_system_sgpr_workgroup_info 0
		.amdhsa_system_vgpr_workitem_id 0
		.amdhsa_next_free_vgpr 36
		.amdhsa_next_free_sgpr 28
		.amdhsa_reserve_vcc 1
		.amdhsa_reserve_flat_scratch 0
		.amdhsa_float_round_mode_32 0
		.amdhsa_float_round_mode_16_64 0
		.amdhsa_float_denorm_mode_32 3
		.amdhsa_float_denorm_mode_16_64 3
		.amdhsa_dx10_clamp 1
		.amdhsa_ieee_mode 1
		.amdhsa_fp16_overflow 0
		.amdhsa_exception_fp_ieee_invalid_op 0
		.amdhsa_exception_fp_denorm_src 0
		.amdhsa_exception_fp_ieee_div_zero 0
		.amdhsa_exception_fp_ieee_overflow 0
		.amdhsa_exception_fp_ieee_underflow 0
		.amdhsa_exception_fp_ieee_inexact 0
		.amdhsa_exception_int_div_zero 0
	.end_amdhsa_kernel
	.section	.text._ZN2at6native29vectorized_elementwise_kernelILi8ENS0_13AUnaryFunctorIllbNS0_12_GLOBAL__N_116CompareEqFunctorIlEEEESt5arrayIPcLm2EEEEviT0_T1_,"axG",@progbits,_ZN2at6native29vectorized_elementwise_kernelILi8ENS0_13AUnaryFunctorIllbNS0_12_GLOBAL__N_116CompareEqFunctorIlEEEESt5arrayIPcLm2EEEEviT0_T1_,comdat
.Lfunc_end57:
	.size	_ZN2at6native29vectorized_elementwise_kernelILi8ENS0_13AUnaryFunctorIllbNS0_12_GLOBAL__N_116CompareEqFunctorIlEEEESt5arrayIPcLm2EEEEviT0_T1_, .Lfunc_end57-_ZN2at6native29vectorized_elementwise_kernelILi8ENS0_13AUnaryFunctorIllbNS0_12_GLOBAL__N_116CompareEqFunctorIlEEEESt5arrayIPcLm2EEEEviT0_T1_
                                        ; -- End function
	.set _ZN2at6native29vectorized_elementwise_kernelILi8ENS0_13AUnaryFunctorIllbNS0_12_GLOBAL__N_116CompareEqFunctorIlEEEESt5arrayIPcLm2EEEEviT0_T1_.num_vgpr, 36
	.set _ZN2at6native29vectorized_elementwise_kernelILi8ENS0_13AUnaryFunctorIllbNS0_12_GLOBAL__N_116CompareEqFunctorIlEEEESt5arrayIPcLm2EEEEviT0_T1_.num_agpr, 0
	.set _ZN2at6native29vectorized_elementwise_kernelILi8ENS0_13AUnaryFunctorIllbNS0_12_GLOBAL__N_116CompareEqFunctorIlEEEESt5arrayIPcLm2EEEEviT0_T1_.numbered_sgpr, 28
	.set _ZN2at6native29vectorized_elementwise_kernelILi8ENS0_13AUnaryFunctorIllbNS0_12_GLOBAL__N_116CompareEqFunctorIlEEEESt5arrayIPcLm2EEEEviT0_T1_.num_named_barrier, 0
	.set _ZN2at6native29vectorized_elementwise_kernelILi8ENS0_13AUnaryFunctorIllbNS0_12_GLOBAL__N_116CompareEqFunctorIlEEEESt5arrayIPcLm2EEEEviT0_T1_.private_seg_size, 0
	.set _ZN2at6native29vectorized_elementwise_kernelILi8ENS0_13AUnaryFunctorIllbNS0_12_GLOBAL__N_116CompareEqFunctorIlEEEESt5arrayIPcLm2EEEEviT0_T1_.uses_vcc, 1
	.set _ZN2at6native29vectorized_elementwise_kernelILi8ENS0_13AUnaryFunctorIllbNS0_12_GLOBAL__N_116CompareEqFunctorIlEEEESt5arrayIPcLm2EEEEviT0_T1_.uses_flat_scratch, 0
	.set _ZN2at6native29vectorized_elementwise_kernelILi8ENS0_13AUnaryFunctorIllbNS0_12_GLOBAL__N_116CompareEqFunctorIlEEEESt5arrayIPcLm2EEEEviT0_T1_.has_dyn_sized_stack, 0
	.set _ZN2at6native29vectorized_elementwise_kernelILi8ENS0_13AUnaryFunctorIllbNS0_12_GLOBAL__N_116CompareEqFunctorIlEEEESt5arrayIPcLm2EEEEviT0_T1_.has_recursion, 0
	.set _ZN2at6native29vectorized_elementwise_kernelILi8ENS0_13AUnaryFunctorIllbNS0_12_GLOBAL__N_116CompareEqFunctorIlEEEESt5arrayIPcLm2EEEEviT0_T1_.has_indirect_call, 0
	.section	.AMDGPU.csdata,"",@progbits
; Kernel info:
; codeLenInByte = 3032
; TotalNumSgprs: 32
; NumVgprs: 36
; ScratchSize: 0
; MemoryBound: 0
; FloatMode: 240
; IeeeMode: 1
; LDSByteSize: 0 bytes/workgroup (compile time only)
; SGPRBlocks: 3
; VGPRBlocks: 8
; NumSGPRsForWavesPerEU: 32
; NumVGPRsForWavesPerEU: 36
; Occupancy: 7
; WaveLimiterHint : 1
; COMPUTE_PGM_RSRC2:SCRATCH_EN: 0
; COMPUTE_PGM_RSRC2:USER_SGPR: 6
; COMPUTE_PGM_RSRC2:TRAP_HANDLER: 0
; COMPUTE_PGM_RSRC2:TGID_X_EN: 1
; COMPUTE_PGM_RSRC2:TGID_Y_EN: 0
; COMPUTE_PGM_RSRC2:TGID_Z_EN: 0
; COMPUTE_PGM_RSRC2:TIDIG_COMP_CNT: 0
	.section	.text._ZN2at6native29vectorized_elementwise_kernelILi4ENS0_13AUnaryFunctorIllbNS0_12_GLOBAL__N_116CompareEqFunctorIlEEEESt5arrayIPcLm2EEEEviT0_T1_,"axG",@progbits,_ZN2at6native29vectorized_elementwise_kernelILi4ENS0_13AUnaryFunctorIllbNS0_12_GLOBAL__N_116CompareEqFunctorIlEEEESt5arrayIPcLm2EEEEviT0_T1_,comdat
	.globl	_ZN2at6native29vectorized_elementwise_kernelILi4ENS0_13AUnaryFunctorIllbNS0_12_GLOBAL__N_116CompareEqFunctorIlEEEESt5arrayIPcLm2EEEEviT0_T1_ ; -- Begin function _ZN2at6native29vectorized_elementwise_kernelILi4ENS0_13AUnaryFunctorIllbNS0_12_GLOBAL__N_116CompareEqFunctorIlEEEESt5arrayIPcLm2EEEEviT0_T1_
	.p2align	8
	.type	_ZN2at6native29vectorized_elementwise_kernelILi4ENS0_13AUnaryFunctorIllbNS0_12_GLOBAL__N_116CompareEqFunctorIlEEEESt5arrayIPcLm2EEEEviT0_T1_,@function
_ZN2at6native29vectorized_elementwise_kernelILi4ENS0_13AUnaryFunctorIllbNS0_12_GLOBAL__N_116CompareEqFunctorIlEEEESt5arrayIPcLm2EEEEviT0_T1_: ; @_ZN2at6native29vectorized_elementwise_kernelILi4ENS0_13AUnaryFunctorIllbNS0_12_GLOBAL__N_116CompareEqFunctorIlEEEESt5arrayIPcLm2EEEEviT0_T1_
; %bb.0:
	s_load_dword s0, s[4:5], 0x0
	s_load_dword s31, s[4:5], 0x8
	s_load_dwordx4 s[24:27], s[4:5], 0x10
	s_load_dwordx2 s[28:29], s[4:5], 0x20
	s_lshl_b32 s22, s6, 12
	s_waitcnt lgkmcnt(0)
	s_sub_i32 s30, s0, s22
	s_cmpk_gt_i32 s30, 0xfff
	s_mov_b64 s[0:1], -1
	s_cbranch_scc0 .LBB58_2
; %bb.1:
	s_ashr_i32 s23, s22, 31
	s_lshl_b64 s[0:1], s[22:23], 3
	s_add_u32 s0, s28, s0
	s_addc_u32 s1, s29, s1
	v_lshlrev_b32_e32 v9, 5, v0
	global_load_dwordx4 v[1:4], v9, s[0:1] offset:16
	global_load_dwordx4 v[5:8], v9, s[0:1]
	v_mov_b32_e32 v10, s1
	v_add_co_u32_e32 v27, vcc, s0, v9
	v_addc_co_u32_e32 v28, vcc, 0, v10, vcc
	s_movk_i32 s0, 0x2000
	v_add_co_u32_e32 v17, vcc, s0, v27
	v_addc_co_u32_e32 v18, vcc, 0, v28, vcc
	global_load_dwordx4 v[9:12], v[17:18], off
	global_load_dwordx4 v[13:16], v[17:18], off offset:16
	s_movk_i32 s0, 0x4000
	v_add_co_u32_e32 v25, vcc, s0, v27
	v_addc_co_u32_e32 v26, vcc, 0, v28, vcc
	global_load_dwordx4 v[17:20], v[25:26], off
	global_load_dwordx4 v[21:24], v[25:26], off offset:16
	;; [unrolled: 5-line block ×3, first 2 shown]
	s_cmp_eq_u32 s31, 0
	s_cselect_b64 s[34:35], -1, 0
	v_mov_b32_e32 v33, 0x100
	v_mov_b32_e32 v34, 0x10000
	;; [unrolled: 1-line block ×3, first 2 shown]
	s_waitcnt vmcnt(7)
	v_cmp_ne_u64_e64 s[2:3], s[24:25], v[1:2]
	s_waitcnt vmcnt(6)
	v_cmp_ne_u64_e32 vcc, s[24:25], v[5:6]
	v_cmp_ne_u64_e64 s[0:1], s[24:25], v[7:8]
	v_cmp_ne_u64_e64 s[4:5], s[24:25], v[3:4]
	s_xor_b64 s[6:7], s[34:35], vcc
	s_xor_b64 vcc, s[34:35], s[0:1]
	v_cndmask_b32_e32 v2, 0, v33, vcc
	s_xor_b64 vcc, s[34:35], s[2:3]
	v_cndmask_b32_e32 v3, 0, v34, vcc
	;; [unrolled: 2-line block ×3, first 2 shown]
	s_waitcnt vmcnt(5)
	v_cmp_ne_u64_e32 vcc, s[24:25], v[9:10]
	v_cmp_ne_u64_e64 s[0:1], s[24:25], v[11:12]
	v_cndmask_b32_e64 v1, 0, 1, s[6:7]
	s_waitcnt vmcnt(4)
	v_cmp_ne_u64_e64 s[2:3], s[24:25], v[13:14]
	v_or_b32_e32 v1, v2, v1
	v_cmp_ne_u64_e64 s[4:5], s[24:25], v[15:16]
	s_xor_b64 s[36:37], s[34:35], vcc
	s_xor_b64 vcc, s[34:35], s[0:1]
	s_waitcnt vmcnt(3)
	v_cmp_ne_u64_e64 s[8:9], s[24:25], v[19:20]
	v_or3_b32 v1, v1, v3, v4
	v_cndmask_b32_e32 v3, 0, v33, vcc
	s_xor_b64 vcc, s[34:35], s[2:3]
	s_waitcnt vmcnt(2)
	v_cmp_ne_u64_e64 s[10:11], s[24:25], v[21:22]
	v_cndmask_b32_e32 v4, 0, v34, vcc
	s_xor_b64 vcc, s[34:35], s[4:5]
	v_cmp_ne_u64_e64 s[12:13], s[24:25], v[23:24]
	v_cndmask_b32_e32 v5, 0, v35, vcc
	s_xor_b64 vcc, s[34:35], s[8:9]
	s_waitcnt vmcnt(1)
	v_cmp_ne_u64_e64 s[16:17], s[24:25], v[27:28]
	v_cndmask_b32_e32 v7, 0, v33, vcc
	s_xor_b64 vcc, s[34:35], s[10:11]
	v_cmp_ne_u64_e64 s[6:7], s[24:25], v[17:18]
	s_waitcnt vmcnt(0)
	v_cmp_ne_u64_e64 s[18:19], s[24:25], v[29:30]
	v_cndmask_b32_e32 v8, 0, v34, vcc
	s_xor_b64 vcc, s[34:35], s[12:13]
	v_cmp_ne_u64_e64 s[14:15], s[24:25], v[25:26]
	v_cmp_ne_u64_e64 s[20:21], s[24:25], v[31:32]
	v_cndmask_b32_e32 v9, 0, v35, vcc
	s_xor_b64 vcc, s[34:35], s[16:17]
	s_xor_b64 s[0:1], s[34:35], s[6:7]
	v_cndmask_b32_e32 v11, 0, v33, vcc
	s_xor_b64 vcc, s[34:35], s[18:19]
	v_cndmask_b32_e64 v2, 0, 1, s[36:37]
	v_cndmask_b32_e64 v6, 0, 1, s[0:1]
	s_xor_b64 s[0:1], s[34:35], s[14:15]
	v_cndmask_b32_e32 v12, 0, v34, vcc
	s_xor_b64 vcc, s[34:35], s[20:21]
	v_cndmask_b32_e64 v10, 0, 1, s[0:1]
	v_or_b32_e32 v2, v3, v2
	s_add_u32 s0, s26, s22
	v_or_b32_e32 v3, v7, v6
	v_or_b32_e32 v6, v11, v10
	v_or3_b32 v2, v2, v4, v5
	v_cndmask_b32_e32 v4, 0, v35, vcc
	s_addc_u32 s1, s27, s23
	v_lshlrev_b32_e32 v5, 2, v0
	v_or3_b32 v3, v3, v8, v9
	v_or3_b32 v4, v6, v12, v4
	global_store_dword v5, v1, s[0:1]
	global_store_dword v5, v2, s[0:1] offset:1024
	global_store_dword v5, v3, s[0:1] offset:2048
	global_store_dword v5, v4, s[0:1] offset:3072
	s_mov_b64 s[0:1], 0
.LBB58_2:
	s_andn2_b64 vcc, exec, s[0:1]
	s_cbranch_vccnz .LBB58_52
; %bb.3:
	v_mov_b32_e32 v1, 0
	v_mov_b32_e32 v4, 0
	v_cmp_gt_i32_e32 vcc, s30, v0
	v_mov_b32_e32 v2, 0
	v_or_b32_e32 v3, s22, v0
	v_mov_b32_e32 v5, 0
	v_mov_b32_e32 v34, v0
	s_and_saveexec_b64 s[2:3], vcc
	s_cbranch_execz .LBB58_5
; %bb.4:
	v_mov_b32_e32 v4, 0
	v_lshlrev_b64 v[4:5], 3, v[3:4]
	v_mov_b32_e32 v6, s29
	v_add_co_u32_e64 v4, s[0:1], s28, v4
	v_addc_co_u32_e64 v5, s[0:1], v6, v5, s[0:1]
	global_load_dwordx2 v[4:5], v[4:5], off
	v_or_b32_e32 v34, 0x100, v0
.LBB58_5:
	s_or_b64 exec, exec, s[2:3]
	v_cmp_gt_i32_e64 s[0:1], s30, v34
	s_and_saveexec_b64 s[2:3], s[0:1]
	s_cbranch_execz .LBB58_7
; %bb.6:
	v_add_u32_e32 v1, s22, v34
	v_mov_b32_e32 v2, 0
	v_lshlrev_b64 v[1:2], 3, v[1:2]
	v_mov_b32_e32 v6, s29
	v_add_co_u32_e64 v1, s[0:1], s28, v1
	v_addc_co_u32_e64 v2, s[0:1], v6, v2, s[0:1]
	global_load_dwordx2 v[1:2], v[1:2], off
	v_add_u32_e32 v34, 0x100, v34
.LBB58_7:
	s_or_b64 exec, exec, s[2:3]
	v_mov_b32_e32 v6, 0
	v_mov_b32_e32 v8, 0
	v_mov_b32_e32 v7, 0
	v_mov_b32_e32 v9, 0
	v_cmp_gt_i32_e64 s[0:1], s30, v34
	s_and_saveexec_b64 s[2:3], s[0:1]
	s_cbranch_execz .LBB58_9
; %bb.8:
	v_add_u32_e32 v8, s22, v34
	v_mov_b32_e32 v9, 0
	v_lshlrev_b64 v[8:9], 3, v[8:9]
	v_mov_b32_e32 v10, s29
	v_add_co_u32_e64 v8, s[0:1], s28, v8
	v_addc_co_u32_e64 v9, s[0:1], v10, v9, s[0:1]
	global_load_dwordx2 v[8:9], v[8:9], off
	v_add_u32_e32 v34, 0x100, v34
.LBB58_9:
	s_or_b64 exec, exec, s[2:3]
	v_cmp_gt_i32_e64 s[0:1], s30, v34
	s_and_saveexec_b64 s[2:3], s[0:1]
	s_cbranch_execz .LBB58_11
; %bb.10:
	v_add_u32_e32 v6, s22, v34
	v_mov_b32_e32 v7, 0
	v_lshlrev_b64 v[6:7], 3, v[6:7]
	v_mov_b32_e32 v10, s29
	v_add_co_u32_e64 v6, s[0:1], s28, v6
	v_addc_co_u32_e64 v7, s[0:1], v10, v7, s[0:1]
	global_load_dwordx2 v[6:7], v[6:7], off
	v_add_u32_e32 v34, 0x100, v34
.LBB58_11:
	s_or_b64 exec, exec, s[2:3]
	v_mov_b32_e32 v10, 0
	v_mov_b32_e32 v12, 0
	v_mov_b32_e32 v11, 0
	v_mov_b32_e32 v13, 0
	v_cmp_gt_i32_e64 s[0:1], s30, v34
	s_and_saveexec_b64 s[2:3], s[0:1]
	s_cbranch_execz .LBB58_13
; %bb.12:
	v_add_u32_e32 v12, s22, v34
	v_mov_b32_e32 v13, 0
	v_lshlrev_b64 v[12:13], 3, v[12:13]
	v_mov_b32_e32 v14, s29
	v_add_co_u32_e64 v12, s[0:1], s28, v12
	v_addc_co_u32_e64 v13, s[0:1], v14, v13, s[0:1]
	global_load_dwordx2 v[12:13], v[12:13], off
	v_add_u32_e32 v34, 0x100, v34
.LBB58_13:
	;; [unrolled: 32-line block ×7, first 2 shown]
	s_or_b64 exec, exec, s[2:3]
	v_cmp_gt_i32_e64 s[0:1], s30, v34
	s_and_saveexec_b64 s[2:3], s[0:1]
	s_cbranch_execz .LBB58_35
; %bb.34:
	v_add_u32_e32 v30, s22, v34
	v_mov_b32_e32 v31, 0
	v_lshlrev_b64 v[30:31], 3, v[30:31]
	v_mov_b32_e32 v34, s29
	v_add_co_u32_e64 v30, s[0:1], s28, v30
	v_addc_co_u32_e64 v31, s[0:1], v34, v31, s[0:1]
	global_load_dwordx2 v[30:31], v[30:31], off
.LBB58_35:
	s_or_b64 exec, exec, s[2:3]
	s_cmp_eq_u32 s31, 0
	s_cselect_b64 s[0:1], -1, 0
	s_and_saveexec_b64 s[2:3], vcc
	s_cbranch_execnz .LBB58_53
; %bb.36:
	s_or_b64 exec, exec, s[2:3]
	v_cmp_gt_i32_e32 vcc, s30, v0
	s_and_saveexec_b64 s[2:3], vcc
	s_cbranch_execnz .LBB58_54
.LBB58_37:
	s_or_b64 exec, exec, s[2:3]
	v_cmp_gt_i32_e32 vcc, s30, v0
	s_and_saveexec_b64 s[2:3], vcc
	s_cbranch_execnz .LBB58_55
.LBB58_38:
	s_or_b64 exec, exec, s[2:3]
	v_cmp_gt_i32_e32 vcc, s30, v0
	s_and_saveexec_b64 s[2:3], vcc
	s_cbranch_execnz .LBB58_56
.LBB58_39:
	s_or_b64 exec, exec, s[2:3]
	v_cmp_gt_i32_e32 vcc, s30, v0
	s_and_saveexec_b64 s[2:3], vcc
	s_cbranch_execnz .LBB58_57
.LBB58_40:
	s_or_b64 exec, exec, s[2:3]
	v_cmp_gt_i32_e32 vcc, s30, v0
	s_and_saveexec_b64 s[2:3], vcc
	s_cbranch_execnz .LBB58_58
.LBB58_41:
	s_or_b64 exec, exec, s[2:3]
	v_cmp_gt_i32_e32 vcc, s30, v0
	s_and_saveexec_b64 s[2:3], vcc
	s_cbranch_execnz .LBB58_59
.LBB58_42:
	s_or_b64 exec, exec, s[2:3]
	v_cmp_gt_i32_e32 vcc, s30, v0
	s_and_saveexec_b64 s[2:3], vcc
	s_cbranch_execnz .LBB58_60
.LBB58_43:
	s_or_b64 exec, exec, s[2:3]
	v_cmp_gt_i32_e32 vcc, s30, v0
	s_and_saveexec_b64 s[2:3], vcc
	s_cbranch_execnz .LBB58_61
.LBB58_44:
	s_or_b64 exec, exec, s[2:3]
	v_cmp_gt_i32_e32 vcc, s30, v0
	s_and_saveexec_b64 s[2:3], vcc
	s_cbranch_execnz .LBB58_62
.LBB58_45:
	s_or_b64 exec, exec, s[2:3]
	v_cmp_gt_i32_e32 vcc, s30, v0
	s_and_saveexec_b64 s[2:3], vcc
	s_cbranch_execnz .LBB58_63
.LBB58_46:
	s_or_b64 exec, exec, s[2:3]
	v_cmp_gt_i32_e32 vcc, s30, v0
	s_and_saveexec_b64 s[2:3], vcc
	s_cbranch_execnz .LBB58_64
.LBB58_47:
	s_or_b64 exec, exec, s[2:3]
	v_cmp_gt_i32_e32 vcc, s30, v0
	s_and_saveexec_b64 s[2:3], vcc
	s_cbranch_execnz .LBB58_65
.LBB58_48:
	s_or_b64 exec, exec, s[2:3]
	v_cmp_gt_i32_e32 vcc, s30, v0
	s_and_saveexec_b64 s[2:3], vcc
	s_cbranch_execnz .LBB58_66
.LBB58_49:
	s_or_b64 exec, exec, s[2:3]
	v_cmp_gt_i32_e32 vcc, s30, v0
	s_and_saveexec_b64 s[2:3], vcc
	s_cbranch_execnz .LBB58_67
.LBB58_50:
	s_or_b64 exec, exec, s[2:3]
	v_cmp_gt_i32_e32 vcc, s30, v0
	s_and_saveexec_b64 s[2:3], vcc
	s_cbranch_execz .LBB58_52
.LBB58_51:
	s_waitcnt vmcnt(0)
	v_cmp_ne_u64_e32 vcc, s[24:25], v[30:31]
	v_add_u32_e32 v0, s22, v0
	s_xor_b64 s[0:1], s[0:1], vcc
	v_cndmask_b32_e64 v1, 0, 1, s[0:1]
	global_store_byte v0, v1, s[26:27]
.LBB58_52:
	s_endpgm
.LBB58_53:
	s_waitcnt vmcnt(0)
	v_cmp_ne_u64_e32 vcc, s[24:25], v[4:5]
	v_or_b32_e32 v0, 0x100, v0
	s_xor_b64 s[4:5], s[0:1], vcc
	v_cndmask_b32_e64 v4, 0, 1, s[4:5]
	global_store_byte v3, v4, s[26:27]
	s_or_b64 exec, exec, s[2:3]
	v_cmp_gt_i32_e32 vcc, s30, v0
	s_and_saveexec_b64 s[2:3], vcc
	s_cbranch_execz .LBB58_37
.LBB58_54:
	s_waitcnt vmcnt(0)
	v_cmp_ne_u64_e32 vcc, s[24:25], v[1:2]
	v_add_u32_e32 v2, s22, v0
	s_xor_b64 s[4:5], s[0:1], vcc
	v_cndmask_b32_e64 v1, 0, 1, s[4:5]
	v_add_u32_e32 v0, 0x100, v0
	global_store_byte v2, v1, s[26:27]
	s_or_b64 exec, exec, s[2:3]
	v_cmp_gt_i32_e32 vcc, s30, v0
	s_and_saveexec_b64 s[2:3], vcc
	s_cbranch_execz .LBB58_38
.LBB58_55:
	s_waitcnt vmcnt(0)
	v_cmp_ne_u64_e32 vcc, s[24:25], v[8:9]
	v_add_u32_e32 v2, s22, v0
	s_xor_b64 s[4:5], s[0:1], vcc
	v_cndmask_b32_e64 v1, 0, 1, s[4:5]
	v_add_u32_e32 v0, 0x100, v0
	global_store_byte v2, v1, s[26:27]
	s_or_b64 exec, exec, s[2:3]
	v_cmp_gt_i32_e32 vcc, s30, v0
	s_and_saveexec_b64 s[2:3], vcc
	s_cbranch_execz .LBB58_39
.LBB58_56:
	s_waitcnt vmcnt(0)
	v_cmp_ne_u64_e32 vcc, s[24:25], v[6:7]
	v_add_u32_e32 v2, s22, v0
	s_xor_b64 s[4:5], s[0:1], vcc
	v_cndmask_b32_e64 v1, 0, 1, s[4:5]
	v_add_u32_e32 v0, 0x100, v0
	global_store_byte v2, v1, s[26:27]
	s_or_b64 exec, exec, s[2:3]
	v_cmp_gt_i32_e32 vcc, s30, v0
	s_and_saveexec_b64 s[2:3], vcc
	s_cbranch_execz .LBB58_40
.LBB58_57:
	s_waitcnt vmcnt(0)
	v_cmp_ne_u64_e32 vcc, s[24:25], v[12:13]
	v_add_u32_e32 v2, s22, v0
	s_xor_b64 s[4:5], s[0:1], vcc
	v_cndmask_b32_e64 v1, 0, 1, s[4:5]
	v_add_u32_e32 v0, 0x100, v0
	global_store_byte v2, v1, s[26:27]
	s_or_b64 exec, exec, s[2:3]
	v_cmp_gt_i32_e32 vcc, s30, v0
	s_and_saveexec_b64 s[2:3], vcc
	s_cbranch_execz .LBB58_41
.LBB58_58:
	s_waitcnt vmcnt(0)
	v_cmp_ne_u64_e32 vcc, s[24:25], v[10:11]
	v_add_u32_e32 v2, s22, v0
	s_xor_b64 s[4:5], s[0:1], vcc
	v_cndmask_b32_e64 v1, 0, 1, s[4:5]
	v_add_u32_e32 v0, 0x100, v0
	global_store_byte v2, v1, s[26:27]
	s_or_b64 exec, exec, s[2:3]
	v_cmp_gt_i32_e32 vcc, s30, v0
	s_and_saveexec_b64 s[2:3], vcc
	s_cbranch_execz .LBB58_42
.LBB58_59:
	s_waitcnt vmcnt(0)
	v_cmp_ne_u64_e32 vcc, s[24:25], v[16:17]
	v_add_u32_e32 v2, s22, v0
	s_xor_b64 s[4:5], s[0:1], vcc
	v_cndmask_b32_e64 v1, 0, 1, s[4:5]
	v_add_u32_e32 v0, 0x100, v0
	global_store_byte v2, v1, s[26:27]
	s_or_b64 exec, exec, s[2:3]
	v_cmp_gt_i32_e32 vcc, s30, v0
	s_and_saveexec_b64 s[2:3], vcc
	s_cbranch_execz .LBB58_43
.LBB58_60:
	s_waitcnt vmcnt(0)
	v_cmp_ne_u64_e32 vcc, s[24:25], v[14:15]
	v_add_u32_e32 v2, s22, v0
	s_xor_b64 s[4:5], s[0:1], vcc
	v_cndmask_b32_e64 v1, 0, 1, s[4:5]
	v_add_u32_e32 v0, 0x100, v0
	global_store_byte v2, v1, s[26:27]
	s_or_b64 exec, exec, s[2:3]
	v_cmp_gt_i32_e32 vcc, s30, v0
	s_and_saveexec_b64 s[2:3], vcc
	s_cbranch_execz .LBB58_44
.LBB58_61:
	s_waitcnt vmcnt(0)
	v_cmp_ne_u64_e32 vcc, s[24:25], v[20:21]
	v_add_u32_e32 v2, s22, v0
	s_xor_b64 s[4:5], s[0:1], vcc
	v_cndmask_b32_e64 v1, 0, 1, s[4:5]
	v_add_u32_e32 v0, 0x100, v0
	global_store_byte v2, v1, s[26:27]
	s_or_b64 exec, exec, s[2:3]
	v_cmp_gt_i32_e32 vcc, s30, v0
	s_and_saveexec_b64 s[2:3], vcc
	s_cbranch_execz .LBB58_45
.LBB58_62:
	s_waitcnt vmcnt(0)
	v_cmp_ne_u64_e32 vcc, s[24:25], v[18:19]
	v_add_u32_e32 v2, s22, v0
	s_xor_b64 s[4:5], s[0:1], vcc
	v_cndmask_b32_e64 v1, 0, 1, s[4:5]
	v_add_u32_e32 v0, 0x100, v0
	global_store_byte v2, v1, s[26:27]
	s_or_b64 exec, exec, s[2:3]
	v_cmp_gt_i32_e32 vcc, s30, v0
	s_and_saveexec_b64 s[2:3], vcc
	s_cbranch_execz .LBB58_46
.LBB58_63:
	s_waitcnt vmcnt(0)
	v_cmp_ne_u64_e32 vcc, s[24:25], v[24:25]
	v_add_u32_e32 v2, s22, v0
	s_xor_b64 s[4:5], s[0:1], vcc
	v_cndmask_b32_e64 v1, 0, 1, s[4:5]
	v_add_u32_e32 v0, 0x100, v0
	global_store_byte v2, v1, s[26:27]
	s_or_b64 exec, exec, s[2:3]
	v_cmp_gt_i32_e32 vcc, s30, v0
	s_and_saveexec_b64 s[2:3], vcc
	s_cbranch_execz .LBB58_47
.LBB58_64:
	s_waitcnt vmcnt(0)
	v_cmp_ne_u64_e32 vcc, s[24:25], v[22:23]
	v_add_u32_e32 v2, s22, v0
	s_xor_b64 s[4:5], s[0:1], vcc
	v_cndmask_b32_e64 v1, 0, 1, s[4:5]
	v_add_u32_e32 v0, 0x100, v0
	global_store_byte v2, v1, s[26:27]
	s_or_b64 exec, exec, s[2:3]
	v_cmp_gt_i32_e32 vcc, s30, v0
	s_and_saveexec_b64 s[2:3], vcc
	s_cbranch_execz .LBB58_48
.LBB58_65:
	s_waitcnt vmcnt(0)
	v_cmp_ne_u64_e32 vcc, s[24:25], v[28:29]
	v_add_u32_e32 v2, s22, v0
	s_xor_b64 s[4:5], s[0:1], vcc
	v_cndmask_b32_e64 v1, 0, 1, s[4:5]
	v_add_u32_e32 v0, 0x100, v0
	global_store_byte v2, v1, s[26:27]
	s_or_b64 exec, exec, s[2:3]
	v_cmp_gt_i32_e32 vcc, s30, v0
	s_and_saveexec_b64 s[2:3], vcc
	s_cbranch_execz .LBB58_49
.LBB58_66:
	s_waitcnt vmcnt(0)
	v_cmp_ne_u64_e32 vcc, s[24:25], v[26:27]
	v_add_u32_e32 v2, s22, v0
	s_xor_b64 s[4:5], s[0:1], vcc
	v_cndmask_b32_e64 v1, 0, 1, s[4:5]
	v_add_u32_e32 v0, 0x100, v0
	global_store_byte v2, v1, s[26:27]
	s_or_b64 exec, exec, s[2:3]
	v_cmp_gt_i32_e32 vcc, s30, v0
	s_and_saveexec_b64 s[2:3], vcc
	s_cbranch_execz .LBB58_50
.LBB58_67:
	s_waitcnt vmcnt(0)
	v_cmp_ne_u64_e32 vcc, s[24:25], v[32:33]
	v_add_u32_e32 v2, s22, v0
	s_xor_b64 s[4:5], s[0:1], vcc
	v_cndmask_b32_e64 v1, 0, 1, s[4:5]
	v_add_u32_e32 v0, 0x100, v0
	global_store_byte v2, v1, s[26:27]
	s_or_b64 exec, exec, s[2:3]
	v_cmp_gt_i32_e32 vcc, s30, v0
	s_and_saveexec_b64 s[2:3], vcc
	s_cbranch_execnz .LBB58_51
	s_branch .LBB58_52
	.section	.rodata,"a",@progbits
	.p2align	6, 0x0
	.amdhsa_kernel _ZN2at6native29vectorized_elementwise_kernelILi4ENS0_13AUnaryFunctorIllbNS0_12_GLOBAL__N_116CompareEqFunctorIlEEEESt5arrayIPcLm2EEEEviT0_T1_
		.amdhsa_group_segment_fixed_size 0
		.amdhsa_private_segment_fixed_size 0
		.amdhsa_kernarg_size 40
		.amdhsa_user_sgpr_count 6
		.amdhsa_user_sgpr_private_segment_buffer 1
		.amdhsa_user_sgpr_dispatch_ptr 0
		.amdhsa_user_sgpr_queue_ptr 0
		.amdhsa_user_sgpr_kernarg_segment_ptr 1
		.amdhsa_user_sgpr_dispatch_id 0
		.amdhsa_user_sgpr_flat_scratch_init 0
		.amdhsa_user_sgpr_private_segment_size 0
		.amdhsa_uses_dynamic_stack 0
		.amdhsa_system_sgpr_private_segment_wavefront_offset 0
		.amdhsa_system_sgpr_workgroup_id_x 1
		.amdhsa_system_sgpr_workgroup_id_y 0
		.amdhsa_system_sgpr_workgroup_id_z 0
		.amdhsa_system_sgpr_workgroup_info 0
		.amdhsa_system_vgpr_workitem_id 0
		.amdhsa_next_free_vgpr 36
		.amdhsa_next_free_sgpr 38
		.amdhsa_reserve_vcc 1
		.amdhsa_reserve_flat_scratch 0
		.amdhsa_float_round_mode_32 0
		.amdhsa_float_round_mode_16_64 0
		.amdhsa_float_denorm_mode_32 3
		.amdhsa_float_denorm_mode_16_64 3
		.amdhsa_dx10_clamp 1
		.amdhsa_ieee_mode 1
		.amdhsa_fp16_overflow 0
		.amdhsa_exception_fp_ieee_invalid_op 0
		.amdhsa_exception_fp_denorm_src 0
		.amdhsa_exception_fp_ieee_div_zero 0
		.amdhsa_exception_fp_ieee_overflow 0
		.amdhsa_exception_fp_ieee_underflow 0
		.amdhsa_exception_fp_ieee_inexact 0
		.amdhsa_exception_int_div_zero 0
	.end_amdhsa_kernel
	.section	.text._ZN2at6native29vectorized_elementwise_kernelILi4ENS0_13AUnaryFunctorIllbNS0_12_GLOBAL__N_116CompareEqFunctorIlEEEESt5arrayIPcLm2EEEEviT0_T1_,"axG",@progbits,_ZN2at6native29vectorized_elementwise_kernelILi4ENS0_13AUnaryFunctorIllbNS0_12_GLOBAL__N_116CompareEqFunctorIlEEEESt5arrayIPcLm2EEEEviT0_T1_,comdat
.Lfunc_end58:
	.size	_ZN2at6native29vectorized_elementwise_kernelILi4ENS0_13AUnaryFunctorIllbNS0_12_GLOBAL__N_116CompareEqFunctorIlEEEESt5arrayIPcLm2EEEEviT0_T1_, .Lfunc_end58-_ZN2at6native29vectorized_elementwise_kernelILi4ENS0_13AUnaryFunctorIllbNS0_12_GLOBAL__N_116CompareEqFunctorIlEEEESt5arrayIPcLm2EEEEviT0_T1_
                                        ; -- End function
	.set _ZN2at6native29vectorized_elementwise_kernelILi4ENS0_13AUnaryFunctorIllbNS0_12_GLOBAL__N_116CompareEqFunctorIlEEEESt5arrayIPcLm2EEEEviT0_T1_.num_vgpr, 36
	.set _ZN2at6native29vectorized_elementwise_kernelILi4ENS0_13AUnaryFunctorIllbNS0_12_GLOBAL__N_116CompareEqFunctorIlEEEESt5arrayIPcLm2EEEEviT0_T1_.num_agpr, 0
	.set _ZN2at6native29vectorized_elementwise_kernelILi4ENS0_13AUnaryFunctorIllbNS0_12_GLOBAL__N_116CompareEqFunctorIlEEEESt5arrayIPcLm2EEEEviT0_T1_.numbered_sgpr, 38
	.set _ZN2at6native29vectorized_elementwise_kernelILi4ENS0_13AUnaryFunctorIllbNS0_12_GLOBAL__N_116CompareEqFunctorIlEEEESt5arrayIPcLm2EEEEviT0_T1_.num_named_barrier, 0
	.set _ZN2at6native29vectorized_elementwise_kernelILi4ENS0_13AUnaryFunctorIllbNS0_12_GLOBAL__N_116CompareEqFunctorIlEEEESt5arrayIPcLm2EEEEviT0_T1_.private_seg_size, 0
	.set _ZN2at6native29vectorized_elementwise_kernelILi4ENS0_13AUnaryFunctorIllbNS0_12_GLOBAL__N_116CompareEqFunctorIlEEEESt5arrayIPcLm2EEEEviT0_T1_.uses_vcc, 1
	.set _ZN2at6native29vectorized_elementwise_kernelILi4ENS0_13AUnaryFunctorIllbNS0_12_GLOBAL__N_116CompareEqFunctorIlEEEESt5arrayIPcLm2EEEEviT0_T1_.uses_flat_scratch, 0
	.set _ZN2at6native29vectorized_elementwise_kernelILi4ENS0_13AUnaryFunctorIllbNS0_12_GLOBAL__N_116CompareEqFunctorIlEEEESt5arrayIPcLm2EEEEviT0_T1_.has_dyn_sized_stack, 0
	.set _ZN2at6native29vectorized_elementwise_kernelILi4ENS0_13AUnaryFunctorIllbNS0_12_GLOBAL__N_116CompareEqFunctorIlEEEESt5arrayIPcLm2EEEEviT0_T1_.has_recursion, 0
	.set _ZN2at6native29vectorized_elementwise_kernelILi4ENS0_13AUnaryFunctorIllbNS0_12_GLOBAL__N_116CompareEqFunctorIlEEEESt5arrayIPcLm2EEEEviT0_T1_.has_indirect_call, 0
	.section	.AMDGPU.csdata,"",@progbits
; Kernel info:
; codeLenInByte = 3024
; TotalNumSgprs: 42
; NumVgprs: 36
; ScratchSize: 0
; MemoryBound: 0
; FloatMode: 240
; IeeeMode: 1
; LDSByteSize: 0 bytes/workgroup (compile time only)
; SGPRBlocks: 5
; VGPRBlocks: 8
; NumSGPRsForWavesPerEU: 42
; NumVGPRsForWavesPerEU: 36
; Occupancy: 7
; WaveLimiterHint : 1
; COMPUTE_PGM_RSRC2:SCRATCH_EN: 0
; COMPUTE_PGM_RSRC2:USER_SGPR: 6
; COMPUTE_PGM_RSRC2:TRAP_HANDLER: 0
; COMPUTE_PGM_RSRC2:TGID_X_EN: 1
; COMPUTE_PGM_RSRC2:TGID_Y_EN: 0
; COMPUTE_PGM_RSRC2:TGID_Z_EN: 0
; COMPUTE_PGM_RSRC2:TIDIG_COMP_CNT: 0
	.section	.text._ZN2at6native29vectorized_elementwise_kernelILi2ENS0_13AUnaryFunctorIllbNS0_12_GLOBAL__N_116CompareEqFunctorIlEEEESt5arrayIPcLm2EEEEviT0_T1_,"axG",@progbits,_ZN2at6native29vectorized_elementwise_kernelILi2ENS0_13AUnaryFunctorIllbNS0_12_GLOBAL__N_116CompareEqFunctorIlEEEESt5arrayIPcLm2EEEEviT0_T1_,comdat
	.globl	_ZN2at6native29vectorized_elementwise_kernelILi2ENS0_13AUnaryFunctorIllbNS0_12_GLOBAL__N_116CompareEqFunctorIlEEEESt5arrayIPcLm2EEEEviT0_T1_ ; -- Begin function _ZN2at6native29vectorized_elementwise_kernelILi2ENS0_13AUnaryFunctorIllbNS0_12_GLOBAL__N_116CompareEqFunctorIlEEEESt5arrayIPcLm2EEEEviT0_T1_
	.p2align	8
	.type	_ZN2at6native29vectorized_elementwise_kernelILi2ENS0_13AUnaryFunctorIllbNS0_12_GLOBAL__N_116CompareEqFunctorIlEEEESt5arrayIPcLm2EEEEviT0_T1_,@function
_ZN2at6native29vectorized_elementwise_kernelILi2ENS0_13AUnaryFunctorIllbNS0_12_GLOBAL__N_116CompareEqFunctorIlEEEESt5arrayIPcLm2EEEEviT0_T1_: ; @_ZN2at6native29vectorized_elementwise_kernelILi2ENS0_13AUnaryFunctorIllbNS0_12_GLOBAL__N_116CompareEqFunctorIlEEEESt5arrayIPcLm2EEEEviT0_T1_
; %bb.0:
	s_load_dword s0, s[4:5], 0x0
	s_load_dword s15, s[4:5], 0x8
	s_load_dwordx4 s[8:11], s[4:5], 0x10
	s_load_dwordx2 s[12:13], s[4:5], 0x20
	s_lshl_b32 s6, s6, 12
	s_waitcnt lgkmcnt(0)
	s_sub_i32 s14, s0, s6
	s_cmpk_gt_i32 s14, 0xfff
	s_mov_b64 s[0:1], -1
	s_cbranch_scc0 .LBB59_2
; %bb.1:
	s_ashr_i32 s7, s6, 31
	s_lshl_b64 s[0:1], s[6:7], 3
	s_add_u32 s0, s12, s0
	s_addc_u32 s1, s13, s1
	v_lshlrev_b32_e32 v1, 4, v0
	v_mov_b32_e32 v2, s1
	v_add_co_u32_e32 v29, vcc, s0, v1
	v_addc_co_u32_e32 v30, vcc, 0, v2, vcc
	global_load_dwordx4 v[1:4], v1, s[0:1]
	v_add_co_u32_e32 v5, vcc, 0x1000, v29
	v_addc_co_u32_e32 v6, vcc, 0, v30, vcc
	v_add_co_u32_e32 v9, vcc, 0x2000, v29
	global_load_dwordx4 v[5:8], v[5:6], off
	v_addc_co_u32_e32 v10, vcc, 0, v30, vcc
	global_load_dwordx4 v[9:12], v[9:10], off
	v_add_co_u32_e32 v13, vcc, 0x3000, v29
	v_addc_co_u32_e32 v14, vcc, 0, v30, vcc
	v_add_co_u32_e32 v17, vcc, 0x4000, v29
	global_load_dwordx4 v[13:16], v[13:14], off
	v_addc_co_u32_e32 v18, vcc, 0, v30, vcc
	global_load_dwordx4 v[17:20], v[17:18], off
	v_add_co_u32_e32 v21, vcc, 0x5000, v29
	v_addc_co_u32_e32 v22, vcc, 0, v30, vcc
	global_load_dwordx4 v[21:24], v[21:22], off
	v_add_co_u32_e32 v25, vcc, 0x6000, v29
	;; [unrolled: 3-line block ×3, first 2 shown]
	v_addc_co_u32_e32 v30, vcc, 0, v30, vcc
	global_load_dwordx4 v[29:32], v[29:30], off
	s_cmp_eq_u32 s15, 0
	s_cselect_b64 s[16:17], -1, 0
	v_mov_b32_e32 v33, 0x100
	s_waitcnt vmcnt(7)
	v_cmp_ne_u64_e32 vcc, s[8:9], v[1:2]
	v_cmp_ne_u64_e64 s[0:1], s[8:9], v[3:4]
	s_xor_b64 s[2:3], s[16:17], vcc
	s_xor_b64 vcc, s[16:17], s[0:1]
	v_cndmask_b32_e32 v2, 0, v33, vcc
	v_cndmask_b32_e64 v1, 0, 1, s[2:3]
	v_or_b32_e32 v1, v2, v1
	s_waitcnt vmcnt(6)
	v_cmp_ne_u64_e32 vcc, s[8:9], v[5:6]
	v_cmp_ne_u64_e64 s[0:1], s[8:9], v[7:8]
	s_xor_b64 s[18:19], s[16:17], vcc
	s_waitcnt vmcnt(5)
	v_cmp_ne_u64_e64 s[2:3], s[8:9], v[9:10]
	v_cmp_ne_u64_e64 s[4:5], s[8:9], v[11:12]
	s_xor_b64 vcc, s[16:17], s[0:1]
	v_cndmask_b32_e64 v2, 0, 1, s[18:19]
	v_cndmask_b32_e32 v3, 0, v33, vcc
	s_xor_b64 s[2:3], s[16:17], s[2:3]
	v_or_b32_e32 v2, v3, v2
	s_waitcnt vmcnt(4)
	v_cmp_ne_u64_e32 vcc, s[8:9], v[13:14]
	v_cmp_ne_u64_e64 s[0:1], s[8:9], v[15:16]
	v_cndmask_b32_e64 v3, 0, 1, s[2:3]
	s_xor_b64 s[2:3], s[16:17], s[4:5]
	v_cndmask_b32_e64 v4, 0, v33, s[2:3]
	s_waitcnt vmcnt(3)
	v_cmp_ne_u64_e64 s[2:3], s[8:9], v[17:18]
	v_cmp_ne_u64_e64 s[4:5], s[8:9], v[19:20]
	s_xor_b64 s[18:19], s[16:17], vcc
	s_xor_b64 vcc, s[16:17], s[0:1]
	v_or_b32_e32 v3, v4, v3
	v_cndmask_b32_e64 v4, 0, 1, s[18:19]
	v_cndmask_b32_e32 v5, 0, v33, vcc
	s_waitcnt vmcnt(2)
	v_cmp_ne_u64_e32 vcc, s[8:9], v[21:22]
	v_cmp_ne_u64_e64 s[0:1], s[8:9], v[23:24]
	s_xor_b64 s[2:3], s[16:17], s[2:3]
	v_or_b32_e32 v4, v5, v4
	v_cndmask_b32_e64 v5, 0, 1, s[2:3]
	s_xor_b64 s[2:3], s[16:17], s[4:5]
	v_cndmask_b32_e64 v6, 0, v33, s[2:3]
	s_xor_b64 s[2:3], s[16:17], vcc
	s_xor_b64 vcc, s[16:17], s[0:1]
	v_cndmask_b32_e32 v7, 0, v33, vcc
	s_waitcnt vmcnt(1)
	v_cmp_ne_u64_e32 vcc, s[8:9], v[25:26]
	v_cmp_ne_u64_e64 s[0:1], s[8:9], v[27:28]
	v_or_b32_e32 v5, v6, v5
	v_cndmask_b32_e64 v6, 0, 1, s[2:3]
	s_xor_b64 s[2:3], s[16:17], vcc
	s_xor_b64 vcc, s[16:17], s[0:1]
	v_cndmask_b32_e32 v8, 0, v33, vcc
	s_waitcnt vmcnt(0)
	v_cmp_ne_u64_e32 vcc, s[8:9], v[29:30]
	v_cmp_ne_u64_e64 s[0:1], s[8:9], v[31:32]
	v_or_b32_e32 v6, v7, v6
	v_cndmask_b32_e64 v7, 0, 1, s[2:3]
	s_xor_b64 s[2:3], s[16:17], vcc
	s_xor_b64 vcc, s[16:17], s[0:1]
	v_or_b32_e32 v7, v8, v7
	v_cndmask_b32_e64 v8, 0, 1, s[2:3]
	v_cndmask_b32_e32 v9, 0, v33, vcc
	s_add_u32 s0, s10, s6
	v_or_b32_e32 v8, v9, v8
	s_addc_u32 s1, s11, s7
	v_lshlrev_b32_e32 v9, 1, v0
	global_store_short v9, v1, s[0:1]
	global_store_short v9, v2, s[0:1] offset:512
	global_store_short v9, v3, s[0:1] offset:1024
	;; [unrolled: 1-line block ×7, first 2 shown]
	s_mov_b64 s[0:1], 0
.LBB59_2:
	s_andn2_b64 vcc, exec, s[0:1]
	s_cbranch_vccnz .LBB59_52
; %bb.3:
	v_mov_b32_e32 v1, 0
	v_mov_b32_e32 v4, 0
	v_cmp_gt_i32_e32 vcc, s14, v0
	v_mov_b32_e32 v2, 0
	v_or_b32_e32 v3, s6, v0
	v_mov_b32_e32 v5, 0
	v_mov_b32_e32 v34, v0
	s_and_saveexec_b64 s[2:3], vcc
	s_cbranch_execz .LBB59_5
; %bb.4:
	v_mov_b32_e32 v4, 0
	v_lshlrev_b64 v[4:5], 3, v[3:4]
	v_mov_b32_e32 v6, s13
	v_add_co_u32_e64 v4, s[0:1], s12, v4
	v_addc_co_u32_e64 v5, s[0:1], v6, v5, s[0:1]
	global_load_dwordx2 v[4:5], v[4:5], off
	v_or_b32_e32 v34, 0x100, v0
.LBB59_5:
	s_or_b64 exec, exec, s[2:3]
	v_cmp_gt_i32_e64 s[0:1], s14, v34
	s_and_saveexec_b64 s[2:3], s[0:1]
	s_cbranch_execz .LBB59_7
; %bb.6:
	v_add_u32_e32 v1, s6, v34
	v_mov_b32_e32 v2, 0
	v_lshlrev_b64 v[1:2], 3, v[1:2]
	v_mov_b32_e32 v6, s13
	v_add_co_u32_e64 v1, s[0:1], s12, v1
	v_addc_co_u32_e64 v2, s[0:1], v6, v2, s[0:1]
	global_load_dwordx2 v[1:2], v[1:2], off
	v_add_u32_e32 v34, 0x100, v34
.LBB59_7:
	s_or_b64 exec, exec, s[2:3]
	v_mov_b32_e32 v6, 0
	v_mov_b32_e32 v8, 0
	v_mov_b32_e32 v7, 0
	v_mov_b32_e32 v9, 0
	v_cmp_gt_i32_e64 s[0:1], s14, v34
	s_and_saveexec_b64 s[2:3], s[0:1]
	s_cbranch_execz .LBB59_9
; %bb.8:
	v_add_u32_e32 v8, s6, v34
	v_mov_b32_e32 v9, 0
	v_lshlrev_b64 v[8:9], 3, v[8:9]
	v_mov_b32_e32 v10, s13
	v_add_co_u32_e64 v8, s[0:1], s12, v8
	v_addc_co_u32_e64 v9, s[0:1], v10, v9, s[0:1]
	global_load_dwordx2 v[8:9], v[8:9], off
	v_add_u32_e32 v34, 0x100, v34
.LBB59_9:
	s_or_b64 exec, exec, s[2:3]
	v_cmp_gt_i32_e64 s[0:1], s14, v34
	s_and_saveexec_b64 s[2:3], s[0:1]
	s_cbranch_execz .LBB59_11
; %bb.10:
	v_add_u32_e32 v6, s6, v34
	v_mov_b32_e32 v7, 0
	v_lshlrev_b64 v[6:7], 3, v[6:7]
	v_mov_b32_e32 v10, s13
	v_add_co_u32_e64 v6, s[0:1], s12, v6
	v_addc_co_u32_e64 v7, s[0:1], v10, v7, s[0:1]
	global_load_dwordx2 v[6:7], v[6:7], off
	v_add_u32_e32 v34, 0x100, v34
.LBB59_11:
	s_or_b64 exec, exec, s[2:3]
	v_mov_b32_e32 v10, 0
	v_mov_b32_e32 v12, 0
	v_mov_b32_e32 v11, 0
	v_mov_b32_e32 v13, 0
	v_cmp_gt_i32_e64 s[0:1], s14, v34
	s_and_saveexec_b64 s[2:3], s[0:1]
	s_cbranch_execz .LBB59_13
; %bb.12:
	v_add_u32_e32 v12, s6, v34
	v_mov_b32_e32 v13, 0
	v_lshlrev_b64 v[12:13], 3, v[12:13]
	v_mov_b32_e32 v14, s13
	v_add_co_u32_e64 v12, s[0:1], s12, v12
	v_addc_co_u32_e64 v13, s[0:1], v14, v13, s[0:1]
	global_load_dwordx2 v[12:13], v[12:13], off
	v_add_u32_e32 v34, 0x100, v34
.LBB59_13:
	;; [unrolled: 32-line block ×7, first 2 shown]
	s_or_b64 exec, exec, s[2:3]
	v_cmp_gt_i32_e64 s[0:1], s14, v34
	s_and_saveexec_b64 s[2:3], s[0:1]
	s_cbranch_execz .LBB59_35
; %bb.34:
	v_add_u32_e32 v30, s6, v34
	v_mov_b32_e32 v31, 0
	v_lshlrev_b64 v[30:31], 3, v[30:31]
	v_mov_b32_e32 v34, s13
	v_add_co_u32_e64 v30, s[0:1], s12, v30
	v_addc_co_u32_e64 v31, s[0:1], v34, v31, s[0:1]
	global_load_dwordx2 v[30:31], v[30:31], off
.LBB59_35:
	s_or_b64 exec, exec, s[2:3]
	s_cmp_eq_u32 s15, 0
	s_cselect_b64 s[0:1], -1, 0
	s_and_saveexec_b64 s[2:3], vcc
	s_cbranch_execnz .LBB59_53
; %bb.36:
	s_or_b64 exec, exec, s[2:3]
	v_cmp_gt_i32_e32 vcc, s14, v0
	s_and_saveexec_b64 s[2:3], vcc
	s_cbranch_execnz .LBB59_54
.LBB59_37:
	s_or_b64 exec, exec, s[2:3]
	v_cmp_gt_i32_e32 vcc, s14, v0
	s_and_saveexec_b64 s[2:3], vcc
	s_cbranch_execnz .LBB59_55
.LBB59_38:
	s_or_b64 exec, exec, s[2:3]
	v_cmp_gt_i32_e32 vcc, s14, v0
	s_and_saveexec_b64 s[2:3], vcc
	s_cbranch_execnz .LBB59_56
.LBB59_39:
	s_or_b64 exec, exec, s[2:3]
	v_cmp_gt_i32_e32 vcc, s14, v0
	s_and_saveexec_b64 s[2:3], vcc
	s_cbranch_execnz .LBB59_57
.LBB59_40:
	s_or_b64 exec, exec, s[2:3]
	v_cmp_gt_i32_e32 vcc, s14, v0
	s_and_saveexec_b64 s[2:3], vcc
	s_cbranch_execnz .LBB59_58
.LBB59_41:
	s_or_b64 exec, exec, s[2:3]
	v_cmp_gt_i32_e32 vcc, s14, v0
	s_and_saveexec_b64 s[2:3], vcc
	s_cbranch_execnz .LBB59_59
.LBB59_42:
	s_or_b64 exec, exec, s[2:3]
	v_cmp_gt_i32_e32 vcc, s14, v0
	s_and_saveexec_b64 s[2:3], vcc
	s_cbranch_execnz .LBB59_60
.LBB59_43:
	s_or_b64 exec, exec, s[2:3]
	v_cmp_gt_i32_e32 vcc, s14, v0
	s_and_saveexec_b64 s[2:3], vcc
	s_cbranch_execnz .LBB59_61
.LBB59_44:
	s_or_b64 exec, exec, s[2:3]
	v_cmp_gt_i32_e32 vcc, s14, v0
	s_and_saveexec_b64 s[2:3], vcc
	s_cbranch_execnz .LBB59_62
.LBB59_45:
	s_or_b64 exec, exec, s[2:3]
	v_cmp_gt_i32_e32 vcc, s14, v0
	s_and_saveexec_b64 s[2:3], vcc
	s_cbranch_execnz .LBB59_63
.LBB59_46:
	s_or_b64 exec, exec, s[2:3]
	v_cmp_gt_i32_e32 vcc, s14, v0
	s_and_saveexec_b64 s[2:3], vcc
	s_cbranch_execnz .LBB59_64
.LBB59_47:
	s_or_b64 exec, exec, s[2:3]
	v_cmp_gt_i32_e32 vcc, s14, v0
	s_and_saveexec_b64 s[2:3], vcc
	s_cbranch_execnz .LBB59_65
.LBB59_48:
	s_or_b64 exec, exec, s[2:3]
	v_cmp_gt_i32_e32 vcc, s14, v0
	s_and_saveexec_b64 s[2:3], vcc
	s_cbranch_execnz .LBB59_66
.LBB59_49:
	s_or_b64 exec, exec, s[2:3]
	v_cmp_gt_i32_e32 vcc, s14, v0
	s_and_saveexec_b64 s[2:3], vcc
	s_cbranch_execnz .LBB59_67
.LBB59_50:
	s_or_b64 exec, exec, s[2:3]
	v_cmp_gt_i32_e32 vcc, s14, v0
	s_and_saveexec_b64 s[2:3], vcc
	s_cbranch_execz .LBB59_52
.LBB59_51:
	s_waitcnt vmcnt(0)
	v_cmp_ne_u64_e32 vcc, s[8:9], v[30:31]
	v_add_u32_e32 v0, s6, v0
	s_xor_b64 s[0:1], s[0:1], vcc
	v_cndmask_b32_e64 v1, 0, 1, s[0:1]
	global_store_byte v0, v1, s[10:11]
.LBB59_52:
	s_endpgm
.LBB59_53:
	s_waitcnt vmcnt(0)
	v_cmp_ne_u64_e32 vcc, s[8:9], v[4:5]
	v_or_b32_e32 v0, 0x100, v0
	s_xor_b64 s[4:5], s[0:1], vcc
	v_cndmask_b32_e64 v4, 0, 1, s[4:5]
	global_store_byte v3, v4, s[10:11]
	s_or_b64 exec, exec, s[2:3]
	v_cmp_gt_i32_e32 vcc, s14, v0
	s_and_saveexec_b64 s[2:3], vcc
	s_cbranch_execz .LBB59_37
.LBB59_54:
	s_waitcnt vmcnt(0)
	v_cmp_ne_u64_e32 vcc, s[8:9], v[1:2]
	v_add_u32_e32 v2, s6, v0
	s_xor_b64 s[4:5], s[0:1], vcc
	v_cndmask_b32_e64 v1, 0, 1, s[4:5]
	v_add_u32_e32 v0, 0x100, v0
	global_store_byte v2, v1, s[10:11]
	s_or_b64 exec, exec, s[2:3]
	v_cmp_gt_i32_e32 vcc, s14, v0
	s_and_saveexec_b64 s[2:3], vcc
	s_cbranch_execz .LBB59_38
.LBB59_55:
	s_waitcnt vmcnt(0)
	v_cmp_ne_u64_e32 vcc, s[8:9], v[8:9]
	v_add_u32_e32 v2, s6, v0
	s_xor_b64 s[4:5], s[0:1], vcc
	v_cndmask_b32_e64 v1, 0, 1, s[4:5]
	v_add_u32_e32 v0, 0x100, v0
	global_store_byte v2, v1, s[10:11]
	s_or_b64 exec, exec, s[2:3]
	v_cmp_gt_i32_e32 vcc, s14, v0
	s_and_saveexec_b64 s[2:3], vcc
	s_cbranch_execz .LBB59_39
.LBB59_56:
	s_waitcnt vmcnt(0)
	v_cmp_ne_u64_e32 vcc, s[8:9], v[6:7]
	v_add_u32_e32 v2, s6, v0
	s_xor_b64 s[4:5], s[0:1], vcc
	v_cndmask_b32_e64 v1, 0, 1, s[4:5]
	v_add_u32_e32 v0, 0x100, v0
	global_store_byte v2, v1, s[10:11]
	s_or_b64 exec, exec, s[2:3]
	v_cmp_gt_i32_e32 vcc, s14, v0
	s_and_saveexec_b64 s[2:3], vcc
	s_cbranch_execz .LBB59_40
.LBB59_57:
	s_waitcnt vmcnt(0)
	v_cmp_ne_u64_e32 vcc, s[8:9], v[12:13]
	v_add_u32_e32 v2, s6, v0
	s_xor_b64 s[4:5], s[0:1], vcc
	v_cndmask_b32_e64 v1, 0, 1, s[4:5]
	v_add_u32_e32 v0, 0x100, v0
	global_store_byte v2, v1, s[10:11]
	s_or_b64 exec, exec, s[2:3]
	v_cmp_gt_i32_e32 vcc, s14, v0
	s_and_saveexec_b64 s[2:3], vcc
	s_cbranch_execz .LBB59_41
.LBB59_58:
	s_waitcnt vmcnt(0)
	v_cmp_ne_u64_e32 vcc, s[8:9], v[10:11]
	v_add_u32_e32 v2, s6, v0
	s_xor_b64 s[4:5], s[0:1], vcc
	v_cndmask_b32_e64 v1, 0, 1, s[4:5]
	v_add_u32_e32 v0, 0x100, v0
	global_store_byte v2, v1, s[10:11]
	s_or_b64 exec, exec, s[2:3]
	v_cmp_gt_i32_e32 vcc, s14, v0
	s_and_saveexec_b64 s[2:3], vcc
	s_cbranch_execz .LBB59_42
.LBB59_59:
	s_waitcnt vmcnt(0)
	v_cmp_ne_u64_e32 vcc, s[8:9], v[16:17]
	v_add_u32_e32 v2, s6, v0
	s_xor_b64 s[4:5], s[0:1], vcc
	v_cndmask_b32_e64 v1, 0, 1, s[4:5]
	v_add_u32_e32 v0, 0x100, v0
	global_store_byte v2, v1, s[10:11]
	s_or_b64 exec, exec, s[2:3]
	v_cmp_gt_i32_e32 vcc, s14, v0
	s_and_saveexec_b64 s[2:3], vcc
	s_cbranch_execz .LBB59_43
.LBB59_60:
	s_waitcnt vmcnt(0)
	v_cmp_ne_u64_e32 vcc, s[8:9], v[14:15]
	v_add_u32_e32 v2, s6, v0
	s_xor_b64 s[4:5], s[0:1], vcc
	v_cndmask_b32_e64 v1, 0, 1, s[4:5]
	v_add_u32_e32 v0, 0x100, v0
	global_store_byte v2, v1, s[10:11]
	s_or_b64 exec, exec, s[2:3]
	v_cmp_gt_i32_e32 vcc, s14, v0
	s_and_saveexec_b64 s[2:3], vcc
	s_cbranch_execz .LBB59_44
.LBB59_61:
	s_waitcnt vmcnt(0)
	v_cmp_ne_u64_e32 vcc, s[8:9], v[20:21]
	v_add_u32_e32 v2, s6, v0
	s_xor_b64 s[4:5], s[0:1], vcc
	v_cndmask_b32_e64 v1, 0, 1, s[4:5]
	v_add_u32_e32 v0, 0x100, v0
	global_store_byte v2, v1, s[10:11]
	s_or_b64 exec, exec, s[2:3]
	v_cmp_gt_i32_e32 vcc, s14, v0
	s_and_saveexec_b64 s[2:3], vcc
	s_cbranch_execz .LBB59_45
.LBB59_62:
	s_waitcnt vmcnt(0)
	v_cmp_ne_u64_e32 vcc, s[8:9], v[18:19]
	v_add_u32_e32 v2, s6, v0
	s_xor_b64 s[4:5], s[0:1], vcc
	v_cndmask_b32_e64 v1, 0, 1, s[4:5]
	v_add_u32_e32 v0, 0x100, v0
	global_store_byte v2, v1, s[10:11]
	s_or_b64 exec, exec, s[2:3]
	v_cmp_gt_i32_e32 vcc, s14, v0
	s_and_saveexec_b64 s[2:3], vcc
	s_cbranch_execz .LBB59_46
.LBB59_63:
	s_waitcnt vmcnt(0)
	v_cmp_ne_u64_e32 vcc, s[8:9], v[24:25]
	v_add_u32_e32 v2, s6, v0
	s_xor_b64 s[4:5], s[0:1], vcc
	v_cndmask_b32_e64 v1, 0, 1, s[4:5]
	v_add_u32_e32 v0, 0x100, v0
	global_store_byte v2, v1, s[10:11]
	s_or_b64 exec, exec, s[2:3]
	v_cmp_gt_i32_e32 vcc, s14, v0
	s_and_saveexec_b64 s[2:3], vcc
	s_cbranch_execz .LBB59_47
.LBB59_64:
	s_waitcnt vmcnt(0)
	v_cmp_ne_u64_e32 vcc, s[8:9], v[22:23]
	v_add_u32_e32 v2, s6, v0
	s_xor_b64 s[4:5], s[0:1], vcc
	v_cndmask_b32_e64 v1, 0, 1, s[4:5]
	v_add_u32_e32 v0, 0x100, v0
	global_store_byte v2, v1, s[10:11]
	s_or_b64 exec, exec, s[2:3]
	v_cmp_gt_i32_e32 vcc, s14, v0
	s_and_saveexec_b64 s[2:3], vcc
	s_cbranch_execz .LBB59_48
.LBB59_65:
	s_waitcnt vmcnt(0)
	v_cmp_ne_u64_e32 vcc, s[8:9], v[28:29]
	v_add_u32_e32 v2, s6, v0
	s_xor_b64 s[4:5], s[0:1], vcc
	v_cndmask_b32_e64 v1, 0, 1, s[4:5]
	v_add_u32_e32 v0, 0x100, v0
	global_store_byte v2, v1, s[10:11]
	s_or_b64 exec, exec, s[2:3]
	v_cmp_gt_i32_e32 vcc, s14, v0
	s_and_saveexec_b64 s[2:3], vcc
	s_cbranch_execz .LBB59_49
.LBB59_66:
	s_waitcnt vmcnt(0)
	v_cmp_ne_u64_e32 vcc, s[8:9], v[26:27]
	v_add_u32_e32 v2, s6, v0
	s_xor_b64 s[4:5], s[0:1], vcc
	v_cndmask_b32_e64 v1, 0, 1, s[4:5]
	v_add_u32_e32 v0, 0x100, v0
	global_store_byte v2, v1, s[10:11]
	s_or_b64 exec, exec, s[2:3]
	v_cmp_gt_i32_e32 vcc, s14, v0
	s_and_saveexec_b64 s[2:3], vcc
	s_cbranch_execz .LBB59_50
.LBB59_67:
	s_waitcnt vmcnt(0)
	v_cmp_ne_u64_e32 vcc, s[8:9], v[32:33]
	v_add_u32_e32 v2, s6, v0
	s_xor_b64 s[4:5], s[0:1], vcc
	v_cndmask_b32_e64 v1, 0, 1, s[4:5]
	v_add_u32_e32 v0, 0x100, v0
	global_store_byte v2, v1, s[10:11]
	s_or_b64 exec, exec, s[2:3]
	v_cmp_gt_i32_e32 vcc, s14, v0
	s_and_saveexec_b64 s[2:3], vcc
	s_cbranch_execnz .LBB59_51
	s_branch .LBB59_52
	.section	.rodata,"a",@progbits
	.p2align	6, 0x0
	.amdhsa_kernel _ZN2at6native29vectorized_elementwise_kernelILi2ENS0_13AUnaryFunctorIllbNS0_12_GLOBAL__N_116CompareEqFunctorIlEEEESt5arrayIPcLm2EEEEviT0_T1_
		.amdhsa_group_segment_fixed_size 0
		.amdhsa_private_segment_fixed_size 0
		.amdhsa_kernarg_size 40
		.amdhsa_user_sgpr_count 6
		.amdhsa_user_sgpr_private_segment_buffer 1
		.amdhsa_user_sgpr_dispatch_ptr 0
		.amdhsa_user_sgpr_queue_ptr 0
		.amdhsa_user_sgpr_kernarg_segment_ptr 1
		.amdhsa_user_sgpr_dispatch_id 0
		.amdhsa_user_sgpr_flat_scratch_init 0
		.amdhsa_user_sgpr_private_segment_size 0
		.amdhsa_uses_dynamic_stack 0
		.amdhsa_system_sgpr_private_segment_wavefront_offset 0
		.amdhsa_system_sgpr_workgroup_id_x 1
		.amdhsa_system_sgpr_workgroup_id_y 0
		.amdhsa_system_sgpr_workgroup_id_z 0
		.amdhsa_system_sgpr_workgroup_info 0
		.amdhsa_system_vgpr_workitem_id 0
		.amdhsa_next_free_vgpr 36
		.amdhsa_next_free_sgpr 20
		.amdhsa_reserve_vcc 1
		.amdhsa_reserve_flat_scratch 0
		.amdhsa_float_round_mode_32 0
		.amdhsa_float_round_mode_16_64 0
		.amdhsa_float_denorm_mode_32 3
		.amdhsa_float_denorm_mode_16_64 3
		.amdhsa_dx10_clamp 1
		.amdhsa_ieee_mode 1
		.amdhsa_fp16_overflow 0
		.amdhsa_exception_fp_ieee_invalid_op 0
		.amdhsa_exception_fp_denorm_src 0
		.amdhsa_exception_fp_ieee_div_zero 0
		.amdhsa_exception_fp_ieee_overflow 0
		.amdhsa_exception_fp_ieee_underflow 0
		.amdhsa_exception_fp_ieee_inexact 0
		.amdhsa_exception_int_div_zero 0
	.end_amdhsa_kernel
	.section	.text._ZN2at6native29vectorized_elementwise_kernelILi2ENS0_13AUnaryFunctorIllbNS0_12_GLOBAL__N_116CompareEqFunctorIlEEEESt5arrayIPcLm2EEEEviT0_T1_,"axG",@progbits,_ZN2at6native29vectorized_elementwise_kernelILi2ENS0_13AUnaryFunctorIllbNS0_12_GLOBAL__N_116CompareEqFunctorIlEEEESt5arrayIPcLm2EEEEviT0_T1_,comdat
.Lfunc_end59:
	.size	_ZN2at6native29vectorized_elementwise_kernelILi2ENS0_13AUnaryFunctorIllbNS0_12_GLOBAL__N_116CompareEqFunctorIlEEEESt5arrayIPcLm2EEEEviT0_T1_, .Lfunc_end59-_ZN2at6native29vectorized_elementwise_kernelILi2ENS0_13AUnaryFunctorIllbNS0_12_GLOBAL__N_116CompareEqFunctorIlEEEESt5arrayIPcLm2EEEEviT0_T1_
                                        ; -- End function
	.set _ZN2at6native29vectorized_elementwise_kernelILi2ENS0_13AUnaryFunctorIllbNS0_12_GLOBAL__N_116CompareEqFunctorIlEEEESt5arrayIPcLm2EEEEviT0_T1_.num_vgpr, 36
	.set _ZN2at6native29vectorized_elementwise_kernelILi2ENS0_13AUnaryFunctorIllbNS0_12_GLOBAL__N_116CompareEqFunctorIlEEEESt5arrayIPcLm2EEEEviT0_T1_.num_agpr, 0
	.set _ZN2at6native29vectorized_elementwise_kernelILi2ENS0_13AUnaryFunctorIllbNS0_12_GLOBAL__N_116CompareEqFunctorIlEEEESt5arrayIPcLm2EEEEviT0_T1_.numbered_sgpr, 20
	.set _ZN2at6native29vectorized_elementwise_kernelILi2ENS0_13AUnaryFunctorIllbNS0_12_GLOBAL__N_116CompareEqFunctorIlEEEESt5arrayIPcLm2EEEEviT0_T1_.num_named_barrier, 0
	.set _ZN2at6native29vectorized_elementwise_kernelILi2ENS0_13AUnaryFunctorIllbNS0_12_GLOBAL__N_116CompareEqFunctorIlEEEESt5arrayIPcLm2EEEEviT0_T1_.private_seg_size, 0
	.set _ZN2at6native29vectorized_elementwise_kernelILi2ENS0_13AUnaryFunctorIllbNS0_12_GLOBAL__N_116CompareEqFunctorIlEEEESt5arrayIPcLm2EEEEviT0_T1_.uses_vcc, 1
	.set _ZN2at6native29vectorized_elementwise_kernelILi2ENS0_13AUnaryFunctorIllbNS0_12_GLOBAL__N_116CompareEqFunctorIlEEEESt5arrayIPcLm2EEEEviT0_T1_.uses_flat_scratch, 0
	.set _ZN2at6native29vectorized_elementwise_kernelILi2ENS0_13AUnaryFunctorIllbNS0_12_GLOBAL__N_116CompareEqFunctorIlEEEESt5arrayIPcLm2EEEEviT0_T1_.has_dyn_sized_stack, 0
	.set _ZN2at6native29vectorized_elementwise_kernelILi2ENS0_13AUnaryFunctorIllbNS0_12_GLOBAL__N_116CompareEqFunctorIlEEEESt5arrayIPcLm2EEEEviT0_T1_.has_recursion, 0
	.set _ZN2at6native29vectorized_elementwise_kernelILi2ENS0_13AUnaryFunctorIllbNS0_12_GLOBAL__N_116CompareEqFunctorIlEEEESt5arrayIPcLm2EEEEviT0_T1_.has_indirect_call, 0
	.section	.AMDGPU.csdata,"",@progbits
; Kernel info:
; codeLenInByte = 3080
; TotalNumSgprs: 24
; NumVgprs: 36
; ScratchSize: 0
; MemoryBound: 0
; FloatMode: 240
; IeeeMode: 1
; LDSByteSize: 0 bytes/workgroup (compile time only)
; SGPRBlocks: 2
; VGPRBlocks: 8
; NumSGPRsForWavesPerEU: 24
; NumVGPRsForWavesPerEU: 36
; Occupancy: 7
; WaveLimiterHint : 1
; COMPUTE_PGM_RSRC2:SCRATCH_EN: 0
; COMPUTE_PGM_RSRC2:USER_SGPR: 6
; COMPUTE_PGM_RSRC2:TRAP_HANDLER: 0
; COMPUTE_PGM_RSRC2:TGID_X_EN: 1
; COMPUTE_PGM_RSRC2:TGID_Y_EN: 0
; COMPUTE_PGM_RSRC2:TGID_Z_EN: 0
; COMPUTE_PGM_RSRC2:TIDIG_COMP_CNT: 0
	.section	.text._ZN2at6native27unrolled_elementwise_kernelINS0_13AUnaryFunctorIllbNS0_12_GLOBAL__N_116CompareEqFunctorIlEEEESt5arrayIPcLm2EELi4E23TrivialOffsetCalculatorILi1EjESB_NS0_6memory15LoadWithoutCastENSC_16StoreWithoutCastEEEviT_T0_T2_T3_T4_T5_,"axG",@progbits,_ZN2at6native27unrolled_elementwise_kernelINS0_13AUnaryFunctorIllbNS0_12_GLOBAL__N_116CompareEqFunctorIlEEEESt5arrayIPcLm2EELi4E23TrivialOffsetCalculatorILi1EjESB_NS0_6memory15LoadWithoutCastENSC_16StoreWithoutCastEEEviT_T0_T2_T3_T4_T5_,comdat
	.globl	_ZN2at6native27unrolled_elementwise_kernelINS0_13AUnaryFunctorIllbNS0_12_GLOBAL__N_116CompareEqFunctorIlEEEESt5arrayIPcLm2EELi4E23TrivialOffsetCalculatorILi1EjESB_NS0_6memory15LoadWithoutCastENSC_16StoreWithoutCastEEEviT_T0_T2_T3_T4_T5_ ; -- Begin function _ZN2at6native27unrolled_elementwise_kernelINS0_13AUnaryFunctorIllbNS0_12_GLOBAL__N_116CompareEqFunctorIlEEEESt5arrayIPcLm2EELi4E23TrivialOffsetCalculatorILi1EjESB_NS0_6memory15LoadWithoutCastENSC_16StoreWithoutCastEEEviT_T0_T2_T3_T4_T5_
	.p2align	8
	.type	_ZN2at6native27unrolled_elementwise_kernelINS0_13AUnaryFunctorIllbNS0_12_GLOBAL__N_116CompareEqFunctorIlEEEESt5arrayIPcLm2EELi4E23TrivialOffsetCalculatorILi1EjESB_NS0_6memory15LoadWithoutCastENSC_16StoreWithoutCastEEEviT_T0_T2_T3_T4_T5_,@function
_ZN2at6native27unrolled_elementwise_kernelINS0_13AUnaryFunctorIllbNS0_12_GLOBAL__N_116CompareEqFunctorIlEEEESt5arrayIPcLm2EELi4E23TrivialOffsetCalculatorILi1EjESB_NS0_6memory15LoadWithoutCastENSC_16StoreWithoutCastEEEviT_T0_T2_T3_T4_T5_: ; @_ZN2at6native27unrolled_elementwise_kernelINS0_13AUnaryFunctorIllbNS0_12_GLOBAL__N_116CompareEqFunctorIlEEEESt5arrayIPcLm2EELi4E23TrivialOffsetCalculatorILi1EjESB_NS0_6memory15LoadWithoutCastENSC_16StoreWithoutCastEEEviT_T0_T2_T3_T4_T5_
; %bb.0:
	s_load_dword s0, s[4:5], 0x0
	s_load_dwordx2 s[2:3], s[4:5], 0x20
	s_lshl_b32 s12, s6, 10
	v_mov_b32_e32 v3, 0
	v_mov_b32_e32 v5, 0
	s_waitcnt lgkmcnt(0)
	s_sub_i32 s13, s0, s12
	v_cmp_gt_i32_e32 vcc, s13, v0
	v_mov_b32_e32 v4, 0
	v_or_b32_e32 v1, s12, v0
	v_mov_b32_e32 v6, 0
	v_mov_b32_e32 v2, v0
	s_and_saveexec_b64 s[6:7], vcc
	s_cbranch_execz .LBB60_2
; %bb.1:
	v_mov_b32_e32 v2, 0
	v_lshlrev_b64 v[5:6], 3, v[1:2]
	v_mov_b32_e32 v2, s3
	v_add_co_u32_e64 v5, s[0:1], s2, v5
	v_addc_co_u32_e64 v6, s[0:1], v2, v6, s[0:1]
	global_load_dwordx2 v[5:6], v[5:6], off
	v_or_b32_e32 v2, 0x100, v0
.LBB60_2:
	s_or_b64 exec, exec, s[6:7]
	s_load_dwordx4 s[8:11], s[4:5], 0x10
	v_cmp_gt_i32_e64 s[0:1], s13, v2
	s_and_saveexec_b64 s[6:7], s[0:1]
	s_cbranch_execz .LBB60_4
; %bb.3:
	v_add_u32_e32 v3, s12, v2
	v_mov_b32_e32 v4, 0
	v_lshlrev_b64 v[3:4], 3, v[3:4]
	v_mov_b32_e32 v7, s3
	v_add_co_u32_e64 v3, s[0:1], s2, v3
	v_addc_co_u32_e64 v4, s[0:1], v7, v4, s[0:1]
	global_load_dwordx2 v[3:4], v[3:4], off
	v_add_u32_e32 v2, 0x100, v2
.LBB60_4:
	s_or_b64 exec, exec, s[6:7]
	v_mov_b32_e32 v7, 0
	v_mov_b32_e32 v9, 0
	;; [unrolled: 1-line block ×4, first 2 shown]
	v_cmp_gt_i32_e64 s[0:1], s13, v2
	s_and_saveexec_b64 s[6:7], s[0:1]
	s_cbranch_execz .LBB60_6
; %bb.5:
	v_add_u32_e32 v9, s12, v2
	v_mov_b32_e32 v10, 0
	v_lshlrev_b64 v[9:10], 3, v[9:10]
	v_mov_b32_e32 v11, s3
	v_add_co_u32_e64 v9, s[0:1], s2, v9
	v_addc_co_u32_e64 v10, s[0:1], v11, v10, s[0:1]
	global_load_dwordx2 v[9:10], v[9:10], off
	v_add_u32_e32 v2, 0x100, v2
.LBB60_6:
	s_or_b64 exec, exec, s[6:7]
	s_load_dword s6, s[4:5], 0x8
	v_cmp_gt_i32_e64 s[0:1], s13, v2
	s_and_saveexec_b64 s[4:5], s[0:1]
	s_cbranch_execz .LBB60_8
; %bb.7:
	v_add_u32_e32 v7, s12, v2
	v_mov_b32_e32 v8, 0
	v_lshlrev_b64 v[7:8], 3, v[7:8]
	v_mov_b32_e32 v2, s3
	v_add_co_u32_e64 v7, s[0:1], s2, v7
	v_addc_co_u32_e64 v8, s[0:1], v2, v8, s[0:1]
	global_load_dwordx2 v[7:8], v[7:8], off
.LBB60_8:
	s_or_b64 exec, exec, s[4:5]
	s_waitcnt lgkmcnt(0)
	s_cmp_eq_u32 s6, 0
	s_waitcnt vmcnt(0)
	v_cmp_ne_u64_e64 s[0:1], s[8:9], v[5:6]
	s_cselect_b64 s[2:3], -1, 0
	s_xor_b64 s[0:1], s[2:3], s[0:1]
	v_cndmask_b32_e64 v2, 0, 1, s[0:1]
	v_cmp_ne_u64_e64 s[0:1], s[8:9], v[3:4]
	v_cndmask_b32_e32 v2, 0, v2, vcc
	s_xor_b64 s[0:1], s[2:3], s[0:1]
	v_cndmask_b32_e64 v4, 0, 1, s[0:1]
	v_lshlrev_b16_e32 v4, 8, v4
	v_or_b32_e32 v3, 0x100, v0
	v_or_b32_e32 v4, v2, v4
	v_and_b32_e32 v4, 0xffff, v4
	v_cmp_gt_i32_e64 s[0:1], s13, v3
	v_cndmask_b32_e64 v2, v2, v4, s[0:1]
	v_cmp_ne_u64_e64 s[0:1], s[8:9], v[9:10]
	v_or_b32_e32 v4, 0x200, v0
	s_xor_b64 s[0:1], s[2:3], s[0:1]
	v_cndmask_b32_e64 v5, 0, 1, s[0:1]
	v_lshlrev_b32_e32 v5, 16, v5
	v_or_b32_e32 v5, v2, v5
	v_cmp_gt_i32_e64 s[0:1], s13, v4
	v_cndmask_b32_e64 v2, v2, v5, s[0:1]
	s_movk_i32 s0, 0xff
	v_and_b32_sdwa v4, v2, s0 dst_sel:DWORD dst_unused:UNUSED_PAD src0_sel:WORD_1 src1_sel:DWORD
	v_cmp_ne_u64_e64 s[0:1], s[8:9], v[7:8]
	s_mov_b32 s4, 0xffff
	s_xor_b64 s[0:1], s[2:3], s[0:1]
	v_cndmask_b32_e64 v6, 0, 1, s[0:1]
	v_lshlrev_b16_e32 v6, 8, v6
	v_or_b32_e32 v5, 0x300, v0
	v_or_b32_sdwa v4, v4, v6 dst_sel:WORD_1 dst_unused:UNUSED_PAD src0_sel:DWORD src1_sel:DWORD
	v_and_or_b32 v4, v2, s4, v4
	v_cmp_gt_i32_e64 s[0:1], s13, v5
	v_cndmask_b32_e64 v2, v2, v4, s[0:1]
	s_and_saveexec_b64 s[0:1], vcc
	s_cbranch_execnz .LBB60_13
; %bb.9:
	s_or_b64 exec, exec, s[0:1]
	v_cmp_gt_i32_e32 vcc, s13, v0
	s_and_saveexec_b64 s[0:1], vcc
	s_cbranch_execnz .LBB60_14
.LBB60_10:
	s_or_b64 exec, exec, s[0:1]
	v_cmp_gt_i32_e32 vcc, s13, v0
	s_and_saveexec_b64 s[0:1], vcc
	s_cbranch_execnz .LBB60_15
.LBB60_11:
	s_or_b64 exec, exec, s[0:1]
	v_cmp_gt_i32_e32 vcc, s13, v0
	s_and_saveexec_b64 s[0:1], vcc
	s_cbranch_execnz .LBB60_16
.LBB60_12:
	s_endpgm
.LBB60_13:
	v_mov_b32_e32 v0, v3
	global_store_byte v1, v2, s[10:11]
	s_or_b64 exec, exec, s[0:1]
	v_cmp_gt_i32_e32 vcc, s13, v0
	s_and_saveexec_b64 s[0:1], vcc
	s_cbranch_execz .LBB60_10
.LBB60_14:
	v_add_u32_e32 v1, 0x100, v0
	v_add_u32_e32 v0, s12, v0
	v_lshrrev_b32_e32 v3, 8, v2
	global_store_byte v0, v3, s[10:11]
	v_mov_b32_e32 v0, v1
	s_or_b64 exec, exec, s[0:1]
	v_cmp_gt_i32_e32 vcc, s13, v0
	s_and_saveexec_b64 s[0:1], vcc
	s_cbranch_execz .LBB60_11
.LBB60_15:
	v_add_u32_e32 v1, 0x100, v0
	v_add_u32_e32 v0, s12, v0
	global_store_byte_d16_hi v0, v2, s[10:11]
	v_mov_b32_e32 v0, v1
	s_or_b64 exec, exec, s[0:1]
	v_cmp_gt_i32_e32 vcc, s13, v0
	s_and_saveexec_b64 s[0:1], vcc
	s_cbranch_execz .LBB60_12
.LBB60_16:
	v_add_u32_e32 v0, s12, v0
	v_lshrrev_b32_e32 v1, 24, v2
	global_store_byte v0, v1, s[10:11]
	s_endpgm
	.section	.rodata,"a",@progbits
	.p2align	6, 0x0
	.amdhsa_kernel _ZN2at6native27unrolled_elementwise_kernelINS0_13AUnaryFunctorIllbNS0_12_GLOBAL__N_116CompareEqFunctorIlEEEESt5arrayIPcLm2EELi4E23TrivialOffsetCalculatorILi1EjESB_NS0_6memory15LoadWithoutCastENSC_16StoreWithoutCastEEEviT_T0_T2_T3_T4_T5_
		.amdhsa_group_segment_fixed_size 0
		.amdhsa_private_segment_fixed_size 0
		.amdhsa_kernarg_size 44
		.amdhsa_user_sgpr_count 6
		.amdhsa_user_sgpr_private_segment_buffer 1
		.amdhsa_user_sgpr_dispatch_ptr 0
		.amdhsa_user_sgpr_queue_ptr 0
		.amdhsa_user_sgpr_kernarg_segment_ptr 1
		.amdhsa_user_sgpr_dispatch_id 0
		.amdhsa_user_sgpr_flat_scratch_init 0
		.amdhsa_user_sgpr_private_segment_size 0
		.amdhsa_uses_dynamic_stack 0
		.amdhsa_system_sgpr_private_segment_wavefront_offset 0
		.amdhsa_system_sgpr_workgroup_id_x 1
		.amdhsa_system_sgpr_workgroup_id_y 0
		.amdhsa_system_sgpr_workgroup_id_z 0
		.amdhsa_system_sgpr_workgroup_info 0
		.amdhsa_system_vgpr_workitem_id 0
		.amdhsa_next_free_vgpr 12
		.amdhsa_next_free_sgpr 14
		.amdhsa_reserve_vcc 1
		.amdhsa_reserve_flat_scratch 0
		.amdhsa_float_round_mode_32 0
		.amdhsa_float_round_mode_16_64 0
		.amdhsa_float_denorm_mode_32 3
		.amdhsa_float_denorm_mode_16_64 3
		.amdhsa_dx10_clamp 1
		.amdhsa_ieee_mode 1
		.amdhsa_fp16_overflow 0
		.amdhsa_exception_fp_ieee_invalid_op 0
		.amdhsa_exception_fp_denorm_src 0
		.amdhsa_exception_fp_ieee_div_zero 0
		.amdhsa_exception_fp_ieee_overflow 0
		.amdhsa_exception_fp_ieee_underflow 0
		.amdhsa_exception_fp_ieee_inexact 0
		.amdhsa_exception_int_div_zero 0
	.end_amdhsa_kernel
	.section	.text._ZN2at6native27unrolled_elementwise_kernelINS0_13AUnaryFunctorIllbNS0_12_GLOBAL__N_116CompareEqFunctorIlEEEESt5arrayIPcLm2EELi4E23TrivialOffsetCalculatorILi1EjESB_NS0_6memory15LoadWithoutCastENSC_16StoreWithoutCastEEEviT_T0_T2_T3_T4_T5_,"axG",@progbits,_ZN2at6native27unrolled_elementwise_kernelINS0_13AUnaryFunctorIllbNS0_12_GLOBAL__N_116CompareEqFunctorIlEEEESt5arrayIPcLm2EELi4E23TrivialOffsetCalculatorILi1EjESB_NS0_6memory15LoadWithoutCastENSC_16StoreWithoutCastEEEviT_T0_T2_T3_T4_T5_,comdat
.Lfunc_end60:
	.size	_ZN2at6native27unrolled_elementwise_kernelINS0_13AUnaryFunctorIllbNS0_12_GLOBAL__N_116CompareEqFunctorIlEEEESt5arrayIPcLm2EELi4E23TrivialOffsetCalculatorILi1EjESB_NS0_6memory15LoadWithoutCastENSC_16StoreWithoutCastEEEviT_T0_T2_T3_T4_T5_, .Lfunc_end60-_ZN2at6native27unrolled_elementwise_kernelINS0_13AUnaryFunctorIllbNS0_12_GLOBAL__N_116CompareEqFunctorIlEEEESt5arrayIPcLm2EELi4E23TrivialOffsetCalculatorILi1EjESB_NS0_6memory15LoadWithoutCastENSC_16StoreWithoutCastEEEviT_T0_T2_T3_T4_T5_
                                        ; -- End function
	.set _ZN2at6native27unrolled_elementwise_kernelINS0_13AUnaryFunctorIllbNS0_12_GLOBAL__N_116CompareEqFunctorIlEEEESt5arrayIPcLm2EELi4E23TrivialOffsetCalculatorILi1EjESB_NS0_6memory15LoadWithoutCastENSC_16StoreWithoutCastEEEviT_T0_T2_T3_T4_T5_.num_vgpr, 12
	.set _ZN2at6native27unrolled_elementwise_kernelINS0_13AUnaryFunctorIllbNS0_12_GLOBAL__N_116CompareEqFunctorIlEEEESt5arrayIPcLm2EELi4E23TrivialOffsetCalculatorILi1EjESB_NS0_6memory15LoadWithoutCastENSC_16StoreWithoutCastEEEviT_T0_T2_T3_T4_T5_.num_agpr, 0
	.set _ZN2at6native27unrolled_elementwise_kernelINS0_13AUnaryFunctorIllbNS0_12_GLOBAL__N_116CompareEqFunctorIlEEEESt5arrayIPcLm2EELi4E23TrivialOffsetCalculatorILi1EjESB_NS0_6memory15LoadWithoutCastENSC_16StoreWithoutCastEEEviT_T0_T2_T3_T4_T5_.numbered_sgpr, 14
	.set _ZN2at6native27unrolled_elementwise_kernelINS0_13AUnaryFunctorIllbNS0_12_GLOBAL__N_116CompareEqFunctorIlEEEESt5arrayIPcLm2EELi4E23TrivialOffsetCalculatorILi1EjESB_NS0_6memory15LoadWithoutCastENSC_16StoreWithoutCastEEEviT_T0_T2_T3_T4_T5_.num_named_barrier, 0
	.set _ZN2at6native27unrolled_elementwise_kernelINS0_13AUnaryFunctorIllbNS0_12_GLOBAL__N_116CompareEqFunctorIlEEEESt5arrayIPcLm2EELi4E23TrivialOffsetCalculatorILi1EjESB_NS0_6memory15LoadWithoutCastENSC_16StoreWithoutCastEEEviT_T0_T2_T3_T4_T5_.private_seg_size, 0
	.set _ZN2at6native27unrolled_elementwise_kernelINS0_13AUnaryFunctorIllbNS0_12_GLOBAL__N_116CompareEqFunctorIlEEEESt5arrayIPcLm2EELi4E23TrivialOffsetCalculatorILi1EjESB_NS0_6memory15LoadWithoutCastENSC_16StoreWithoutCastEEEviT_T0_T2_T3_T4_T5_.uses_vcc, 1
	.set _ZN2at6native27unrolled_elementwise_kernelINS0_13AUnaryFunctorIllbNS0_12_GLOBAL__N_116CompareEqFunctorIlEEEESt5arrayIPcLm2EELi4E23TrivialOffsetCalculatorILi1EjESB_NS0_6memory15LoadWithoutCastENSC_16StoreWithoutCastEEEviT_T0_T2_T3_T4_T5_.uses_flat_scratch, 0
	.set _ZN2at6native27unrolled_elementwise_kernelINS0_13AUnaryFunctorIllbNS0_12_GLOBAL__N_116CompareEqFunctorIlEEEESt5arrayIPcLm2EELi4E23TrivialOffsetCalculatorILi1EjESB_NS0_6memory15LoadWithoutCastENSC_16StoreWithoutCastEEEviT_T0_T2_T3_T4_T5_.has_dyn_sized_stack, 0
	.set _ZN2at6native27unrolled_elementwise_kernelINS0_13AUnaryFunctorIllbNS0_12_GLOBAL__N_116CompareEqFunctorIlEEEESt5arrayIPcLm2EELi4E23TrivialOffsetCalculatorILi1EjESB_NS0_6memory15LoadWithoutCastENSC_16StoreWithoutCastEEEviT_T0_T2_T3_T4_T5_.has_recursion, 0
	.set _ZN2at6native27unrolled_elementwise_kernelINS0_13AUnaryFunctorIllbNS0_12_GLOBAL__N_116CompareEqFunctorIlEEEESt5arrayIPcLm2EELi4E23TrivialOffsetCalculatorILi1EjESB_NS0_6memory15LoadWithoutCastENSC_16StoreWithoutCastEEEviT_T0_T2_T3_T4_T5_.has_indirect_call, 0
	.section	.AMDGPU.csdata,"",@progbits
; Kernel info:
; codeLenInByte = 784
; TotalNumSgprs: 18
; NumVgprs: 12
; ScratchSize: 0
; MemoryBound: 0
; FloatMode: 240
; IeeeMode: 1
; LDSByteSize: 0 bytes/workgroup (compile time only)
; SGPRBlocks: 2
; VGPRBlocks: 2
; NumSGPRsForWavesPerEU: 18
; NumVGPRsForWavesPerEU: 12
; Occupancy: 10
; WaveLimiterHint : 0
; COMPUTE_PGM_RSRC2:SCRATCH_EN: 0
; COMPUTE_PGM_RSRC2:USER_SGPR: 6
; COMPUTE_PGM_RSRC2:TRAP_HANDLER: 0
; COMPUTE_PGM_RSRC2:TGID_X_EN: 1
; COMPUTE_PGM_RSRC2:TGID_Y_EN: 0
; COMPUTE_PGM_RSRC2:TGID_Z_EN: 0
; COMPUTE_PGM_RSRC2:TIDIG_COMP_CNT: 0
	.section	.text._ZN2at6native32elementwise_kernel_manual_unrollILi128ELi8EZNS0_22gpu_kernel_impl_nocastINS0_13AUnaryFunctorIllbNS0_12_GLOBAL__N_116CompareEqFunctorIlEEEEEEvRNS_18TensorIteratorBaseERKT_EUlibE_EEviT1_,"axG",@progbits,_ZN2at6native32elementwise_kernel_manual_unrollILi128ELi8EZNS0_22gpu_kernel_impl_nocastINS0_13AUnaryFunctorIllbNS0_12_GLOBAL__N_116CompareEqFunctorIlEEEEEEvRNS_18TensorIteratorBaseERKT_EUlibE_EEviT1_,comdat
	.globl	_ZN2at6native32elementwise_kernel_manual_unrollILi128ELi8EZNS0_22gpu_kernel_impl_nocastINS0_13AUnaryFunctorIllbNS0_12_GLOBAL__N_116CompareEqFunctorIlEEEEEEvRNS_18TensorIteratorBaseERKT_EUlibE_EEviT1_ ; -- Begin function _ZN2at6native32elementwise_kernel_manual_unrollILi128ELi8EZNS0_22gpu_kernel_impl_nocastINS0_13AUnaryFunctorIllbNS0_12_GLOBAL__N_116CompareEqFunctorIlEEEEEEvRNS_18TensorIteratorBaseERKT_EUlibE_EEviT1_
	.p2align	8
	.type	_ZN2at6native32elementwise_kernel_manual_unrollILi128ELi8EZNS0_22gpu_kernel_impl_nocastINS0_13AUnaryFunctorIllbNS0_12_GLOBAL__N_116CompareEqFunctorIlEEEEEEvRNS_18TensorIteratorBaseERKT_EUlibE_EEviT1_,@function
_ZN2at6native32elementwise_kernel_manual_unrollILi128ELi8EZNS0_22gpu_kernel_impl_nocastINS0_13AUnaryFunctorIllbNS0_12_GLOBAL__N_116CompareEqFunctorIlEEEEEEvRNS_18TensorIteratorBaseERKT_EUlibE_EEviT1_: ; @_ZN2at6native32elementwise_kernel_manual_unrollILi128ELi8EZNS0_22gpu_kernel_impl_nocastINS0_13AUnaryFunctorIllbNS0_12_GLOBAL__N_116CompareEqFunctorIlEEEEEEvRNS_18TensorIteratorBaseERKT_EUlibE_EEviT1_
; %bb.0:
	s_load_dword s59, s[4:5], 0x0
	s_load_dword s33, s[4:5], 0x8
	s_add_u32 s34, s4, 8
	s_addc_u32 s35, s5, 0
	v_lshl_or_b32 v19, s6, 10, v0
	v_or_b32_e32 v25, 0x380, v19
	s_waitcnt lgkmcnt(0)
	s_add_i32 s58, s33, -1
	s_cmp_gt_u32 s58, 1
	v_cmp_le_i32_e32 vcc, s59, v25
	s_cselect_b64 s[36:37], -1, 0
	s_and_saveexec_b64 s[0:1], vcc
	s_xor_b64 s[38:39], exec, s[0:1]
	s_cbranch_execz .LBB61_7
; %bb.1:
	s_cmp_lg_u32 s33, 0
	s_cselect_b64 s[50:51], -1, 0
	s_add_u32 s48, s34, 0xc4
	s_load_dwordx4 s[20:23], s[34:35], 0x4
	s_load_dwordx2 s[44:45], s[34:35], 0x14
	s_addc_u32 s49, s35, 0
	s_min_u32 s60, s58, 15
	s_load_dword s0, s[34:35], 0x158
	s_load_dwordx4 s[24:27], s[34:35], 0xc4
	s_load_dwordx4 s[16:19], s[34:35], 0x148
	s_load_dwordx2 s[40:41], s[34:35], 0x160
	s_cmp_gt_u32 s33, 1
	s_cselect_b64 s[46:47], -1, 0
	s_waitcnt lgkmcnt(0)
	s_cmp_eq_u32 s0, 0
	s_cselect_b64 s[42:43], -1, 0
	v_cmp_gt_i32_e32 vcc, s59, v19
	s_and_saveexec_b64 s[52:53], vcc
	s_cbranch_execz .LBB61_14
; %bb.2:
	s_andn2_b64 vcc, exec, s[36:37]
	s_cbranch_vccnz .LBB61_21
; %bb.3:
	s_andn2_b64 vcc, exec, s[50:51]
	s_cbranch_vccnz .LBB61_129
; %bb.4:
	s_add_i32 s62, s60, 1
	s_cmp_eq_u32 s58, 2
	s_cbranch_scc1 .LBB61_131
; %bb.5:
	s_and_b32 s61, s62, 28
	v_mov_b32_e32 v2, 0
	s_mov_b32 s63, 0
	s_mov_b64 s[54:55], s[34:35]
	s_mov_b64 s[56:57], s[48:49]
	v_mov_b32_e32 v0, 0
	v_mov_b32_e32 v1, v19
.LBB61_6:                               ; =>This Inner Loop Header: Depth=1
	s_load_dwordx8 s[8:15], s[54:55], 0x4
	s_load_dwordx4 s[28:31], s[54:55], 0x24
	s_load_dwordx8 s[0:7], s[56:57], 0x0
	s_add_u32 s54, s54, 48
	s_addc_u32 s55, s55, 0
	s_waitcnt lgkmcnt(0)
	v_mul_hi_u32 v3, s9, v1
	s_add_i32 s63, s63, 4
	s_add_u32 s56, s56, 32
	s_addc_u32 s57, s57, 0
	v_add_u32_e32 v3, v1, v3
	v_lshrrev_b32_e32 v3, s10, v3
	v_mul_lo_u32 v4, v3, s8
	v_mul_hi_u32 v5, s12, v3
	s_cmp_lg_u32 s61, s63
	v_sub_u32_e32 v1, v1, v4
	v_add_u32_e32 v4, v3, v5
	v_mul_lo_u32 v5, v1, s0
	v_mul_lo_u32 v6, v1, s1
	v_lshrrev_b32_e32 v1, s13, v4
	v_mul_lo_u32 v4, v1, s11
	v_mul_hi_u32 v7, s15, v1
	v_sub_u32_e32 v3, v3, v4
	v_add_u32_e32 v4, v1, v7
	v_lshrrev_b32_e32 v4, s28, v4
	v_mul_hi_u32 v8, s30, v4
	v_mul_lo_u32 v9, v4, s14
	v_mul_lo_u32 v7, v3, s2
	;; [unrolled: 1-line block ×3, first 2 shown]
	v_sub_u32_e32 v9, v1, v9
	v_add_u32_e32 v1, v4, v8
	v_lshrrev_b32_e32 v1, s31, v1
	v_mul_lo_u32 v8, v1, s29
	v_mul_lo_u32 v10, v9, s4
	;; [unrolled: 1-line block ×3, first 2 shown]
	v_add3_u32 v0, v5, v0, v7
	v_sub_u32_e32 v4, v4, v8
	v_mul_lo_u32 v8, v4, s6
	v_mul_lo_u32 v4, v4, s7
	v_add3_u32 v2, v6, v2, v3
	v_add3_u32 v0, v10, v0, v8
	;; [unrolled: 1-line block ×3, first 2 shown]
	s_cbranch_scc1 .LBB61_6
	s_branch .LBB61_132
.LBB61_7:
	s_andn2_saveexec_b64 s[0:1], s[38:39]
	s_cbranch_execz .LBB61_221
.LBB61_8:
	v_cndmask_b32_e64 v0, 0, 1, s[36:37]
	v_cmp_ne_u32_e64 s[0:1], 1, v0
	s_andn2_b64 vcc, exec, s[36:37]
	s_cbranch_vccnz .LBB61_20
; %bb.9:
	s_cmp_lg_u32 s33, 0
	s_mov_b32 s26, 0
	s_cbranch_scc0 .LBB61_23
; %bb.10:
	s_min_u32 s27, s58, 15
	s_add_i32 s27, s27, 1
	s_cmp_eq_u32 s58, 2
	s_cbranch_scc1 .LBB61_24
; %bb.11:
	s_and_b32 s26, s27, 28
	s_add_u32 s2, s34, 0xc4
	s_addc_u32 s3, s35, 0
	v_mov_b32_e32 v2, 0
	s_mov_b32 s28, 0
	s_mov_b64 s[24:25], s[34:35]
	v_mov_b32_e32 v0, 0
	v_mov_b32_e32 v1, v19
.LBB61_12:                              ; =>This Inner Loop Header: Depth=1
	s_load_dwordx8 s[12:19], s[24:25], 0x4
	s_load_dwordx4 s[20:23], s[24:25], 0x24
	s_load_dwordx8 s[4:11], s[2:3], 0x0
	s_add_u32 s24, s24, 48
	s_addc_u32 s25, s25, 0
	s_waitcnt lgkmcnt(0)
	v_mul_hi_u32 v3, s13, v1
	s_add_i32 s28, s28, 4
	s_add_u32 s2, s2, 32
	s_addc_u32 s3, s3, 0
	v_add_u32_e32 v3, v1, v3
	v_lshrrev_b32_e32 v3, s14, v3
	v_mul_lo_u32 v4, v3, s12
	v_mul_hi_u32 v5, s16, v3
	s_cmp_lg_u32 s26, s28
	v_sub_u32_e32 v1, v1, v4
	v_add_u32_e32 v4, v3, v5
	v_mul_lo_u32 v5, v1, s4
	v_mul_lo_u32 v6, v1, s5
	v_lshrrev_b32_e32 v1, s17, v4
	v_mul_lo_u32 v4, v1, s15
	v_mul_hi_u32 v7, s19, v1
	v_sub_u32_e32 v3, v3, v4
	v_add_u32_e32 v4, v1, v7
	v_lshrrev_b32_e32 v4, s20, v4
	v_mul_hi_u32 v8, s22, v4
	v_mul_lo_u32 v9, v4, s18
	v_mul_lo_u32 v7, v3, s6
	;; [unrolled: 1-line block ×3, first 2 shown]
	v_sub_u32_e32 v9, v1, v9
	v_add_u32_e32 v1, v4, v8
	v_lshrrev_b32_e32 v1, s23, v1
	v_mul_lo_u32 v8, v1, s21
	v_mul_lo_u32 v10, v9, s8
	;; [unrolled: 1-line block ×3, first 2 shown]
	v_add3_u32 v0, v5, v0, v7
	v_sub_u32_e32 v4, v4, v8
	v_mul_lo_u32 v8, v4, s10
	v_mul_lo_u32 v4, v4, s11
	v_add3_u32 v2, v6, v2, v3
	v_add3_u32 v0, v10, v0, v8
	;; [unrolled: 1-line block ×3, first 2 shown]
	s_cbranch_scc1 .LBB61_12
; %bb.13:
	s_and_b32 s6, s27, 3
	s_cmp_eq_u32 s6, 0
	s_cbranch_scc0 .LBB61_25
	s_branch .LBB61_27
.LBB61_14:
	s_or_b64 exec, exec, s[52:53]
	v_cmp_gt_i32_e32 vcc, s59, v19
	s_and_saveexec_b64 s[52:53], vcc
	s_cbranch_execz .LBB61_139
.LBB61_15:
	s_andn2_b64 vcc, exec, s[36:37]
	s_cbranch_vccnz .LBB61_22
; %bb.16:
	s_andn2_b64 vcc, exec, s[50:51]
	s_cbranch_vccnz .LBB61_130
; %bb.17:
	s_add_i32 s62, s60, 1
	s_cmp_eq_u32 s58, 2
	s_cbranch_scc1 .LBB61_147
; %bb.18:
	s_and_b32 s61, s62, 28
	v_mov_b32_e32 v2, 0
	s_mov_b32 s63, 0
	s_mov_b64 s[54:55], s[34:35]
	s_mov_b64 s[56:57], s[48:49]
	v_mov_b32_e32 v0, 0
	v_mov_b32_e32 v1, v19
.LBB61_19:                              ; =>This Inner Loop Header: Depth=1
	s_load_dwordx8 s[8:15], s[54:55], 0x4
	s_load_dwordx4 s[28:31], s[54:55], 0x24
	s_load_dwordx8 s[0:7], s[56:57], 0x0
	s_add_u32 s54, s54, 48
	s_addc_u32 s55, s55, 0
	s_waitcnt lgkmcnt(0)
	v_mul_hi_u32 v3, s9, v1
	s_add_i32 s63, s63, 4
	s_add_u32 s56, s56, 32
	s_addc_u32 s57, s57, 0
	v_add_u32_e32 v3, v1, v3
	v_lshrrev_b32_e32 v3, s10, v3
	v_mul_lo_u32 v4, v3, s8
	v_mul_hi_u32 v5, s12, v3
	s_cmp_eq_u32 s61, s63
	v_sub_u32_e32 v1, v1, v4
	v_add_u32_e32 v4, v3, v5
	v_mul_lo_u32 v5, v1, s0
	v_mul_lo_u32 v6, v1, s1
	v_lshrrev_b32_e32 v1, s13, v4
	v_mul_lo_u32 v4, v1, s11
	v_mul_hi_u32 v7, s15, v1
	v_sub_u32_e32 v3, v3, v4
	v_add_u32_e32 v4, v1, v7
	v_lshrrev_b32_e32 v4, s28, v4
	v_mul_hi_u32 v8, s30, v4
	v_mul_lo_u32 v9, v4, s14
	v_mul_lo_u32 v7, v3, s2
	;; [unrolled: 1-line block ×3, first 2 shown]
	v_sub_u32_e32 v9, v1, v9
	v_add_u32_e32 v1, v4, v8
	v_lshrrev_b32_e32 v1, s31, v1
	v_mul_lo_u32 v8, v1, s29
	v_mul_lo_u32 v10, v9, s4
	;; [unrolled: 1-line block ×3, first 2 shown]
	v_add3_u32 v0, v5, v0, v7
	v_sub_u32_e32 v4, v4, v8
	v_mul_lo_u32 v8, v4, s6
	v_mul_lo_u32 v4, v4, s7
	v_add3_u32 v2, v6, v2, v3
	v_add3_u32 v0, v10, v0, v8
	;; [unrolled: 1-line block ×3, first 2 shown]
	s_cbranch_scc0 .LBB61_19
	s_branch .LBB61_148
.LBB61_20:
                                        ; implicit-def: $vgpr0
                                        ; implicit-def: $vgpr2
	s_branch .LBB61_28
.LBB61_21:
                                        ; implicit-def: $vgpr0
                                        ; implicit-def: $vgpr2
	s_branch .LBB61_136
.LBB61_22:
                                        ; implicit-def: $vgpr0
                                        ; implicit-def: $vgpr2
	s_branch .LBB61_152
.LBB61_23:
	v_mov_b32_e32 v0, 0
	v_mov_b32_e32 v2, 0
	s_branch .LBB61_27
.LBB61_24:
	v_mov_b32_e32 v0, 0
	v_mov_b32_e32 v2, 0
	v_mov_b32_e32 v1, v19
	s_and_b32 s6, s27, 3
	s_cmp_eq_u32 s6, 0
	s_cbranch_scc1 .LBB61_27
.LBB61_25:
	s_lshl_b32 s2, s26, 3
	s_add_u32 s2, s34, s2
	s_addc_u32 s3, s35, 0
	s_add_u32 s2, s2, 0xc4
	s_addc_u32 s3, s3, 0
	s_mul_i32 s4, s26, 12
	s_add_u32 s4, s34, s4
	s_addc_u32 s5, s35, 0
.LBB61_26:                              ; =>This Inner Loop Header: Depth=1
	s_load_dwordx2 s[8:9], s[4:5], 0x4
	s_load_dword s7, s[4:5], 0xc
	s_load_dwordx2 s[10:11], s[2:3], 0x0
	s_add_u32 s4, s4, 12
	s_addc_u32 s5, s5, 0
	s_waitcnt lgkmcnt(0)
	v_mul_hi_u32 v4, s9, v1
	s_add_u32 s2, s2, 8
	s_addc_u32 s3, s3, 0
	s_add_i32 s6, s6, -1
	v_add_u32_e32 v4, v1, v4
	v_lshrrev_b32_e32 v4, s7, v4
	v_mul_lo_u32 v5, v4, s8
	s_cmp_lg_u32 s6, 0
	v_sub_u32_e32 v5, v1, v5
	v_mad_u64_u32 v[0:1], s[8:9], v5, s10, v[0:1]
	v_mad_u64_u32 v[2:3], s[8:9], v5, s11, v[2:3]
	v_mov_b32_e32 v1, v4
	s_cbranch_scc1 .LBB61_26
.LBB61_27:
	s_cbranch_execnz .LBB61_30
.LBB61_28:
	s_load_dwordx4 s[4:7], s[34:35], 0x4
	s_load_dwordx2 s[2:3], s[34:35], 0xc4
	s_cmp_lt_u32 s33, 2
	s_waitcnt lgkmcnt(0)
	v_mul_hi_u32 v0, s5, v19
	v_add_u32_e32 v0, v19, v0
	v_lshrrev_b32_e32 v1, s6, v0
	v_mul_lo_u32 v0, v1, s4
	v_sub_u32_e32 v2, v19, v0
	v_mul_lo_u32 v0, v2, s2
	v_mul_lo_u32 v2, v2, s3
	s_cbranch_scc1 .LBB61_30
; %bb.29:
	s_load_dwordx4 s[4:7], s[34:35], 0x10
	s_load_dwordx2 s[2:3], s[34:35], 0xcc
	s_waitcnt lgkmcnt(0)
	v_mul_hi_u32 v3, s5, v1
	v_add_u32_e32 v3, v1, v3
	v_lshrrev_b32_e32 v3, s6, v3
	v_mul_lo_u32 v3, v3, s4
	v_sub_u32_e32 v3, v1, v3
	v_mad_u64_u32 v[0:1], s[4:5], v3, s2, v[0:1]
	v_mad_u64_u32 v[2:3], s[2:3], v3, s3, v[2:3]
.LBB61_30:
	s_and_b64 vcc, exec, s[0:1]
	v_add_u32_e32 v1, 0x80, v19
	s_cbranch_vccnz .LBB61_36
; %bb.31:
	s_cmp_lg_u32 s33, 0
	s_mov_b32 s26, 0
	s_cbranch_scc0 .LBB61_37
; %bb.32:
	s_min_u32 s27, s58, 15
	s_add_i32 s27, s27, 1
	s_cmp_eq_u32 s58, 2
	s_cbranch_scc1 .LBB61_38
; %bb.33:
	s_and_b32 s26, s27, 28
	s_add_u32 s2, s34, 0xc4
	s_addc_u32 s3, s35, 0
	v_mov_b32_e32 v5, 0
	s_mov_b32 s28, 0
	s_mov_b64 s[24:25], s[34:35]
	v_mov_b32_e32 v3, 0
	v_mov_b32_e32 v4, v1
.LBB61_34:                              ; =>This Inner Loop Header: Depth=1
	s_load_dwordx8 s[12:19], s[24:25], 0x4
	s_load_dwordx4 s[20:23], s[24:25], 0x24
	s_load_dwordx8 s[4:11], s[2:3], 0x0
	s_add_u32 s24, s24, 48
	s_addc_u32 s25, s25, 0
	s_waitcnt lgkmcnt(0)
	v_mul_hi_u32 v6, s13, v4
	s_add_i32 s28, s28, 4
	s_add_u32 s2, s2, 32
	s_addc_u32 s3, s3, 0
	v_add_u32_e32 v6, v4, v6
	v_lshrrev_b32_e32 v6, s14, v6
	v_mul_lo_u32 v7, v6, s12
	v_mul_hi_u32 v8, s16, v6
	s_cmp_lg_u32 s26, s28
	v_sub_u32_e32 v4, v4, v7
	v_add_u32_e32 v7, v6, v8
	v_mul_lo_u32 v8, v4, s4
	v_mul_lo_u32 v9, v4, s5
	v_lshrrev_b32_e32 v4, s17, v7
	v_mul_lo_u32 v7, v4, s15
	v_mul_hi_u32 v10, s19, v4
	v_sub_u32_e32 v6, v6, v7
	v_add_u32_e32 v7, v4, v10
	v_lshrrev_b32_e32 v7, s20, v7
	v_mul_hi_u32 v11, s22, v7
	v_mul_lo_u32 v12, v7, s18
	v_mul_lo_u32 v10, v6, s6
	v_mul_lo_u32 v6, v6, s7
	v_sub_u32_e32 v12, v4, v12
	v_add_u32_e32 v4, v7, v11
	v_lshrrev_b32_e32 v4, s23, v4
	v_mul_lo_u32 v11, v4, s21
	v_mul_lo_u32 v13, v12, s8
	;; [unrolled: 1-line block ×3, first 2 shown]
	v_add3_u32 v3, v8, v3, v10
	v_sub_u32_e32 v7, v7, v11
	v_mul_lo_u32 v11, v7, s10
	v_mul_lo_u32 v7, v7, s11
	v_add3_u32 v5, v9, v5, v6
	v_add3_u32 v3, v13, v3, v11
	;; [unrolled: 1-line block ×3, first 2 shown]
	s_cbranch_scc1 .LBB61_34
; %bb.35:
	s_and_b32 s6, s27, 3
	s_cmp_eq_u32 s6, 0
	s_cbranch_scc0 .LBB61_39
	s_branch .LBB61_41
.LBB61_36:
                                        ; implicit-def: $vgpr3
                                        ; implicit-def: $vgpr5
	s_branch .LBB61_42
.LBB61_37:
	v_mov_b32_e32 v3, 0
	v_mov_b32_e32 v5, 0
	s_branch .LBB61_41
.LBB61_38:
	v_mov_b32_e32 v3, 0
	v_mov_b32_e32 v5, 0
	;; [unrolled: 1-line block ×3, first 2 shown]
	s_and_b32 s6, s27, 3
	s_cmp_eq_u32 s6, 0
	s_cbranch_scc1 .LBB61_41
.LBB61_39:
	s_lshl_b32 s2, s26, 3
	s_add_u32 s2, s34, s2
	s_addc_u32 s3, s35, 0
	s_add_u32 s2, s2, 0xc4
	s_addc_u32 s3, s3, 0
	s_mul_i32 s4, s26, 12
	s_add_u32 s4, s34, s4
	s_addc_u32 s5, s35, 0
.LBB61_40:                              ; =>This Inner Loop Header: Depth=1
	s_load_dwordx2 s[8:9], s[4:5], 0x4
	s_load_dword s7, s[4:5], 0xc
	s_load_dwordx2 s[10:11], s[2:3], 0x0
	s_add_u32 s4, s4, 12
	s_addc_u32 s5, s5, 0
	s_waitcnt lgkmcnt(0)
	v_mul_hi_u32 v7, s9, v4
	s_add_u32 s2, s2, 8
	s_addc_u32 s3, s3, 0
	s_add_i32 s6, s6, -1
	v_add_u32_e32 v7, v4, v7
	v_lshrrev_b32_e32 v7, s7, v7
	v_mul_lo_u32 v8, v7, s8
	s_cmp_lg_u32 s6, 0
	v_sub_u32_e32 v8, v4, v8
	v_mad_u64_u32 v[3:4], s[8:9], v8, s10, v[3:4]
	v_mad_u64_u32 v[5:6], s[8:9], v8, s11, v[5:6]
	v_mov_b32_e32 v4, v7
	s_cbranch_scc1 .LBB61_40
.LBB61_41:
	s_cbranch_execnz .LBB61_44
.LBB61_42:
	s_load_dwordx4 s[4:7], s[34:35], 0x4
	s_load_dwordx2 s[2:3], s[34:35], 0xc4
	s_cmp_lt_u32 s33, 2
	s_waitcnt lgkmcnt(0)
	v_mul_hi_u32 v3, s5, v1
	v_add_u32_e32 v3, v1, v3
	v_lshrrev_b32_e32 v4, s6, v3
	v_mul_lo_u32 v3, v4, s4
	v_sub_u32_e32 v1, v1, v3
	v_mul_lo_u32 v3, v1, s2
	v_mul_lo_u32 v5, v1, s3
	s_cbranch_scc1 .LBB61_44
; %bb.43:
	s_load_dwordx4 s[4:7], s[34:35], 0x10
	s_load_dwordx2 s[2:3], s[34:35], 0xcc
	s_waitcnt lgkmcnt(0)
	v_mul_hi_u32 v1, s5, v4
	v_add_u32_e32 v1, v4, v1
	v_lshrrev_b32_e32 v1, s6, v1
	v_mul_lo_u32 v1, v1, s4
	v_sub_u32_e32 v1, v4, v1
	v_mad_u64_u32 v[3:4], s[4:5], v1, s2, v[3:4]
	v_mad_u64_u32 v[5:6], s[2:3], v1, s3, v[5:6]
.LBB61_44:
	s_and_b64 vcc, exec, s[0:1]
	v_add_u32_e32 v1, 0x100, v19
	s_cbranch_vccnz .LBB61_50
; %bb.45:
	s_cmp_lg_u32 s33, 0
	s_mov_b32 s26, 0
	s_cbranch_scc0 .LBB61_51
; %bb.46:
	s_min_u32 s27, s58, 15
	s_add_i32 s27, s27, 1
	s_cmp_eq_u32 s58, 2
	s_cbranch_scc1 .LBB61_52
; %bb.47:
	s_and_b32 s26, s27, 28
	s_add_u32 s2, s34, 0xc4
	s_addc_u32 s3, s35, 0
	v_mov_b32_e32 v8, 0
	s_mov_b32 s28, 0
	s_mov_b64 s[24:25], s[34:35]
	v_mov_b32_e32 v6, 0
	v_mov_b32_e32 v4, v1
.LBB61_48:                              ; =>This Inner Loop Header: Depth=1
	s_load_dwordx8 s[12:19], s[24:25], 0x4
	s_load_dwordx4 s[20:23], s[24:25], 0x24
	s_load_dwordx8 s[4:11], s[2:3], 0x0
	s_add_u32 s24, s24, 48
	s_addc_u32 s25, s25, 0
	s_waitcnt lgkmcnt(0)
	v_mul_hi_u32 v7, s13, v4
	s_add_i32 s28, s28, 4
	s_add_u32 s2, s2, 32
	s_addc_u32 s3, s3, 0
	v_add_u32_e32 v7, v4, v7
	v_lshrrev_b32_e32 v7, s14, v7
	v_mul_lo_u32 v9, v7, s12
	v_mul_hi_u32 v10, s16, v7
	s_cmp_lg_u32 s26, s28
	v_sub_u32_e32 v4, v4, v9
	v_add_u32_e32 v9, v7, v10
	v_mul_lo_u32 v10, v4, s4
	v_mul_lo_u32 v11, v4, s5
	v_lshrrev_b32_e32 v4, s17, v9
	v_mul_lo_u32 v9, v4, s15
	v_mul_hi_u32 v12, s19, v4
	v_sub_u32_e32 v7, v7, v9
	v_add_u32_e32 v9, v4, v12
	v_lshrrev_b32_e32 v9, s20, v9
	v_mul_hi_u32 v13, s22, v9
	v_mul_lo_u32 v14, v9, s18
	v_mul_lo_u32 v12, v7, s6
	;; [unrolled: 1-line block ×3, first 2 shown]
	v_sub_u32_e32 v14, v4, v14
	v_add_u32_e32 v4, v9, v13
	v_lshrrev_b32_e32 v4, s23, v4
	v_mul_lo_u32 v13, v4, s21
	v_mul_lo_u32 v15, v14, s8
	;; [unrolled: 1-line block ×3, first 2 shown]
	v_add3_u32 v6, v10, v6, v12
	v_sub_u32_e32 v9, v9, v13
	v_mul_lo_u32 v13, v9, s10
	v_mul_lo_u32 v9, v9, s11
	v_add3_u32 v7, v11, v8, v7
	v_add3_u32 v6, v15, v6, v13
	;; [unrolled: 1-line block ×3, first 2 shown]
	s_cbranch_scc1 .LBB61_48
; %bb.49:
	s_and_b32 s6, s27, 3
	s_cmp_eq_u32 s6, 0
	s_cbranch_scc0 .LBB61_53
	s_branch .LBB61_55
.LBB61_50:
                                        ; implicit-def: $vgpr6
                                        ; implicit-def: $vgpr8
	s_branch .LBB61_56
.LBB61_51:
	v_mov_b32_e32 v6, 0
	v_mov_b32_e32 v8, 0
	s_branch .LBB61_55
.LBB61_52:
	v_mov_b32_e32 v6, 0
	v_mov_b32_e32 v8, 0
	;; [unrolled: 1-line block ×3, first 2 shown]
	s_and_b32 s6, s27, 3
	s_cmp_eq_u32 s6, 0
	s_cbranch_scc1 .LBB61_55
.LBB61_53:
	s_lshl_b32 s2, s26, 3
	s_add_u32 s2, s34, s2
	s_addc_u32 s3, s35, 0
	s_add_u32 s2, s2, 0xc4
	s_addc_u32 s3, s3, 0
	s_mul_i32 s4, s26, 12
	s_add_u32 s4, s34, s4
	s_addc_u32 s5, s35, 0
.LBB61_54:                              ; =>This Inner Loop Header: Depth=1
	s_load_dwordx2 s[8:9], s[4:5], 0x4
	s_load_dword s7, s[4:5], 0xc
	s_load_dwordx2 s[10:11], s[2:3], 0x0
	s_add_u32 s4, s4, 12
	s_addc_u32 s5, s5, 0
	s_waitcnt lgkmcnt(0)
	v_mul_hi_u32 v7, s9, v4
	s_add_u32 s2, s2, 8
	s_addc_u32 s3, s3, 0
	s_add_i32 s6, s6, -1
	v_add_u32_e32 v7, v4, v7
	v_lshrrev_b32_e32 v10, s7, v7
	v_mul_lo_u32 v7, v10, s8
	s_cmp_lg_u32 s6, 0
	v_sub_u32_e32 v4, v4, v7
	v_mad_u64_u32 v[6:7], s[8:9], v4, s10, v[6:7]
	v_mad_u64_u32 v[8:9], s[8:9], v4, s11, v[8:9]
	v_mov_b32_e32 v4, v10
	s_cbranch_scc1 .LBB61_54
.LBB61_55:
	s_cbranch_execnz .LBB61_58
.LBB61_56:
	s_load_dwordx4 s[4:7], s[34:35], 0x4
	s_load_dwordx2 s[2:3], s[34:35], 0xc4
	s_cmp_lt_u32 s33, 2
	s_waitcnt lgkmcnt(0)
	v_mul_hi_u32 v4, s5, v1
	v_add_u32_e32 v4, v1, v4
	v_lshrrev_b32_e32 v4, s6, v4
	v_mul_lo_u32 v6, v4, s4
	v_sub_u32_e32 v1, v1, v6
	v_mul_lo_u32 v6, v1, s2
	v_mul_lo_u32 v8, v1, s3
	s_cbranch_scc1 .LBB61_58
; %bb.57:
	s_load_dwordx4 s[4:7], s[34:35], 0x10
	s_load_dwordx2 s[2:3], s[34:35], 0xcc
	s_waitcnt lgkmcnt(0)
	v_mul_hi_u32 v1, s5, v4
	v_add_u32_e32 v1, v4, v1
	v_lshrrev_b32_e32 v1, s6, v1
	v_mul_lo_u32 v1, v1, s4
	v_sub_u32_e32 v1, v4, v1
	v_mad_u64_u32 v[6:7], s[4:5], v1, s2, v[6:7]
	v_mad_u64_u32 v[8:9], s[2:3], v1, s3, v[8:9]
.LBB61_58:
	s_and_b64 vcc, exec, s[0:1]
	v_add_u32_e32 v1, 0x180, v19
	s_cbranch_vccnz .LBB61_64
; %bb.59:
	s_cmp_lg_u32 s33, 0
	s_mov_b32 s26, 0
	s_cbranch_scc0 .LBB61_65
; %bb.60:
	s_min_u32 s27, s58, 15
	s_add_i32 s27, s27, 1
	s_cmp_eq_u32 s58, 2
	s_cbranch_scc1 .LBB61_66
; %bb.61:
	s_and_b32 s26, s27, 28
	s_add_u32 s2, s34, 0xc4
	s_addc_u32 s3, s35, 0
	v_mov_b32_e32 v11, 0
	s_mov_b32 s28, 0
	s_mov_b64 s[24:25], s[34:35]
	v_mov_b32_e32 v9, 0
	v_mov_b32_e32 v4, v1
.LBB61_62:                              ; =>This Inner Loop Header: Depth=1
	s_load_dwordx8 s[12:19], s[24:25], 0x4
	s_load_dwordx4 s[20:23], s[24:25], 0x24
	s_load_dwordx8 s[4:11], s[2:3], 0x0
	s_add_u32 s24, s24, 48
	s_addc_u32 s25, s25, 0
	s_waitcnt lgkmcnt(0)
	v_mul_hi_u32 v7, s13, v4
	s_add_i32 s28, s28, 4
	s_add_u32 s2, s2, 32
	s_addc_u32 s3, s3, 0
	v_add_u32_e32 v7, v4, v7
	v_lshrrev_b32_e32 v7, s14, v7
	v_mul_lo_u32 v10, v7, s12
	v_mul_hi_u32 v12, s16, v7
	s_cmp_lg_u32 s26, s28
	v_sub_u32_e32 v4, v4, v10
	v_add_u32_e32 v10, v7, v12
	v_mul_lo_u32 v12, v4, s4
	v_mul_lo_u32 v13, v4, s5
	v_lshrrev_b32_e32 v4, s17, v10
	v_mul_lo_u32 v10, v4, s15
	v_mul_hi_u32 v14, s19, v4
	v_sub_u32_e32 v7, v7, v10
	v_add_u32_e32 v10, v4, v14
	v_lshrrev_b32_e32 v10, s20, v10
	v_mul_hi_u32 v15, s22, v10
	v_mul_lo_u32 v16, v10, s18
	v_mul_lo_u32 v14, v7, s6
	;; [unrolled: 1-line block ×3, first 2 shown]
	v_sub_u32_e32 v16, v4, v16
	v_add_u32_e32 v4, v10, v15
	v_lshrrev_b32_e32 v4, s23, v4
	v_mul_lo_u32 v15, v4, s21
	v_mul_lo_u32 v17, v16, s8
	;; [unrolled: 1-line block ×3, first 2 shown]
	v_add3_u32 v9, v12, v9, v14
	v_sub_u32_e32 v10, v10, v15
	v_mul_lo_u32 v15, v10, s10
	v_mul_lo_u32 v10, v10, s11
	v_add3_u32 v7, v13, v11, v7
	v_add3_u32 v9, v17, v9, v15
	;; [unrolled: 1-line block ×3, first 2 shown]
	s_cbranch_scc1 .LBB61_62
; %bb.63:
	s_and_b32 s6, s27, 3
	s_cmp_eq_u32 s6, 0
	s_cbranch_scc0 .LBB61_67
	s_branch .LBB61_69
.LBB61_64:
                                        ; implicit-def: $vgpr9
                                        ; implicit-def: $vgpr11
	s_branch .LBB61_70
.LBB61_65:
	v_mov_b32_e32 v9, 0
	v_mov_b32_e32 v11, 0
	s_branch .LBB61_69
.LBB61_66:
	v_mov_b32_e32 v9, 0
	v_mov_b32_e32 v11, 0
	;; [unrolled: 1-line block ×3, first 2 shown]
	s_and_b32 s6, s27, 3
	s_cmp_eq_u32 s6, 0
	s_cbranch_scc1 .LBB61_69
.LBB61_67:
	s_lshl_b32 s2, s26, 3
	s_add_u32 s2, s34, s2
	s_addc_u32 s3, s35, 0
	s_add_u32 s2, s2, 0xc4
	s_addc_u32 s3, s3, 0
	s_mul_i32 s4, s26, 12
	s_add_u32 s4, s34, s4
	s_addc_u32 s5, s35, 0
.LBB61_68:                              ; =>This Inner Loop Header: Depth=1
	s_load_dwordx2 s[8:9], s[4:5], 0x4
	s_load_dword s7, s[4:5], 0xc
	s_load_dwordx2 s[10:11], s[2:3], 0x0
	s_add_u32 s4, s4, 12
	s_addc_u32 s5, s5, 0
	s_waitcnt lgkmcnt(0)
	v_mul_hi_u32 v7, s9, v4
	s_add_u32 s2, s2, 8
	s_addc_u32 s3, s3, 0
	s_add_i32 s6, s6, -1
	v_add_u32_e32 v7, v4, v7
	v_lshrrev_b32_e32 v7, s7, v7
	v_mul_lo_u32 v10, v7, s8
	s_cmp_lg_u32 s6, 0
	v_sub_u32_e32 v4, v4, v10
	v_mad_u64_u32 v[9:10], s[8:9], v4, s10, v[9:10]
	v_mad_u64_u32 v[11:12], s[8:9], v4, s11, v[11:12]
	v_mov_b32_e32 v4, v7
	s_cbranch_scc1 .LBB61_68
.LBB61_69:
	s_cbranch_execnz .LBB61_72
.LBB61_70:
	s_load_dwordx4 s[4:7], s[34:35], 0x4
	s_load_dwordx2 s[2:3], s[34:35], 0xc4
	s_cmp_lt_u32 s33, 2
	s_waitcnt lgkmcnt(0)
	v_mul_hi_u32 v4, s5, v1
	v_add_u32_e32 v4, v1, v4
	v_lshrrev_b32_e32 v4, s6, v4
	v_mul_lo_u32 v7, v4, s4
	v_sub_u32_e32 v1, v1, v7
	v_mul_lo_u32 v9, v1, s2
	v_mul_lo_u32 v11, v1, s3
	s_cbranch_scc1 .LBB61_72
; %bb.71:
	s_load_dwordx4 s[4:7], s[34:35], 0x10
	s_load_dwordx2 s[2:3], s[34:35], 0xcc
	s_waitcnt lgkmcnt(0)
	v_mul_hi_u32 v1, s5, v4
	v_add_u32_e32 v1, v4, v1
	v_lshrrev_b32_e32 v1, s6, v1
	v_mul_lo_u32 v1, v1, s4
	v_sub_u32_e32 v1, v4, v1
	v_mad_u64_u32 v[9:10], s[4:5], v1, s2, v[9:10]
	v_mad_u64_u32 v[11:12], s[2:3], v1, s3, v[11:12]
.LBB61_72:
	s_and_b64 vcc, exec, s[0:1]
	v_add_u32_e32 v1, 0x200, v19
	s_cbranch_vccnz .LBB61_78
; %bb.73:
	s_cmp_lg_u32 s33, 0
	s_mov_b32 s26, 0
	s_cbranch_scc0 .LBB61_79
; %bb.74:
	s_min_u32 s27, s58, 15
	s_add_i32 s27, s27, 1
	s_cmp_eq_u32 s58, 2
	s_cbranch_scc1 .LBB61_80
; %bb.75:
	s_and_b32 s26, s27, 28
	s_add_u32 s2, s34, 0xc4
	s_addc_u32 s3, s35, 0
	v_mov_b32_e32 v14, 0
	s_mov_b32 s28, 0
	s_mov_b64 s[24:25], s[34:35]
	v_mov_b32_e32 v12, 0
	v_mov_b32_e32 v4, v1
.LBB61_76:                              ; =>This Inner Loop Header: Depth=1
	s_load_dwordx8 s[12:19], s[24:25], 0x4
	s_load_dwordx4 s[20:23], s[24:25], 0x24
	s_load_dwordx8 s[4:11], s[2:3], 0x0
	s_add_u32 s24, s24, 48
	s_addc_u32 s25, s25, 0
	s_waitcnt lgkmcnt(0)
	v_mul_hi_u32 v7, s13, v4
	s_add_i32 s28, s28, 4
	s_add_u32 s2, s2, 32
	s_addc_u32 s3, s3, 0
	v_add_u32_e32 v7, v4, v7
	v_lshrrev_b32_e32 v7, s14, v7
	v_mul_lo_u32 v10, v7, s12
	v_mul_hi_u32 v13, s16, v7
	s_cmp_lg_u32 s26, s28
	v_sub_u32_e32 v4, v4, v10
	v_add_u32_e32 v10, v7, v13
	v_mul_lo_u32 v13, v4, s4
	v_mul_lo_u32 v15, v4, s5
	v_lshrrev_b32_e32 v4, s17, v10
	v_mul_lo_u32 v10, v4, s15
	v_mul_hi_u32 v16, s19, v4
	v_sub_u32_e32 v7, v7, v10
	v_add_u32_e32 v10, v4, v16
	v_lshrrev_b32_e32 v10, s20, v10
	v_mul_hi_u32 v17, s22, v10
	v_mul_lo_u32 v18, v10, s18
	v_mul_lo_u32 v16, v7, s6
	;; [unrolled: 1-line block ×3, first 2 shown]
	v_sub_u32_e32 v18, v4, v18
	v_add_u32_e32 v4, v10, v17
	v_lshrrev_b32_e32 v4, s23, v4
	v_mul_lo_u32 v17, v4, s21
	v_mul_lo_u32 v20, v18, s8
	;; [unrolled: 1-line block ×3, first 2 shown]
	v_add3_u32 v12, v13, v12, v16
	v_sub_u32_e32 v10, v10, v17
	v_mul_lo_u32 v17, v10, s10
	v_mul_lo_u32 v10, v10, s11
	v_add3_u32 v7, v15, v14, v7
	v_add3_u32 v12, v20, v12, v17
	;; [unrolled: 1-line block ×3, first 2 shown]
	s_cbranch_scc1 .LBB61_76
; %bb.77:
	s_and_b32 s6, s27, 3
	s_cmp_eq_u32 s6, 0
	s_cbranch_scc0 .LBB61_81
	s_branch .LBB61_83
.LBB61_78:
                                        ; implicit-def: $vgpr12
                                        ; implicit-def: $vgpr14
	s_branch .LBB61_84
.LBB61_79:
	v_mov_b32_e32 v12, 0
	v_mov_b32_e32 v14, 0
	s_branch .LBB61_83
.LBB61_80:
	v_mov_b32_e32 v12, 0
	v_mov_b32_e32 v14, 0
	;; [unrolled: 1-line block ×3, first 2 shown]
	s_and_b32 s6, s27, 3
	s_cmp_eq_u32 s6, 0
	s_cbranch_scc1 .LBB61_83
.LBB61_81:
	s_lshl_b32 s2, s26, 3
	s_add_u32 s2, s34, s2
	s_addc_u32 s3, s35, 0
	s_add_u32 s2, s2, 0xc4
	s_addc_u32 s3, s3, 0
	s_mul_i32 s4, s26, 12
	s_add_u32 s4, s34, s4
	s_addc_u32 s5, s35, 0
.LBB61_82:                              ; =>This Inner Loop Header: Depth=1
	s_load_dwordx2 s[8:9], s[4:5], 0x4
	s_load_dword s7, s[4:5], 0xc
	s_load_dwordx2 s[10:11], s[2:3], 0x0
	s_add_u32 s4, s4, 12
	s_addc_u32 s5, s5, 0
	s_waitcnt lgkmcnt(0)
	v_mul_hi_u32 v7, s9, v4
	s_add_u32 s2, s2, 8
	s_addc_u32 s3, s3, 0
	s_add_i32 s6, s6, -1
	v_add_u32_e32 v7, v4, v7
	v_lshrrev_b32_e32 v7, s7, v7
	v_mul_lo_u32 v10, v7, s8
	s_cmp_lg_u32 s6, 0
	v_sub_u32_e32 v4, v4, v10
	v_mad_u64_u32 v[12:13], s[8:9], v4, s10, v[12:13]
	v_mad_u64_u32 v[14:15], s[8:9], v4, s11, v[14:15]
	v_mov_b32_e32 v4, v7
	s_cbranch_scc1 .LBB61_82
.LBB61_83:
	s_cbranch_execnz .LBB61_86
.LBB61_84:
	s_load_dwordx4 s[4:7], s[34:35], 0x4
	s_load_dwordx2 s[2:3], s[34:35], 0xc4
	s_cmp_lt_u32 s33, 2
	s_waitcnt lgkmcnt(0)
	v_mul_hi_u32 v4, s5, v1
	v_add_u32_e32 v4, v1, v4
	v_lshrrev_b32_e32 v4, s6, v4
	v_mul_lo_u32 v7, v4, s4
	v_sub_u32_e32 v1, v1, v7
	v_mul_lo_u32 v12, v1, s2
	v_mul_lo_u32 v14, v1, s3
	s_cbranch_scc1 .LBB61_86
; %bb.85:
	s_load_dwordx4 s[4:7], s[34:35], 0x10
	s_load_dwordx2 s[2:3], s[34:35], 0xcc
	s_waitcnt lgkmcnt(0)
	v_mul_hi_u32 v1, s5, v4
	v_add_u32_e32 v1, v4, v1
	v_lshrrev_b32_e32 v1, s6, v1
	v_mul_lo_u32 v1, v1, s4
	v_sub_u32_e32 v1, v4, v1
	v_mad_u64_u32 v[12:13], s[4:5], v1, s2, v[12:13]
	v_mad_u64_u32 v[14:15], s[2:3], v1, s3, v[14:15]
.LBB61_86:
	s_and_b64 vcc, exec, s[0:1]
	v_add_u32_e32 v1, 0x280, v19
	s_cbranch_vccnz .LBB61_92
; %bb.87:
	s_cmp_lg_u32 s33, 0
	s_mov_b32 s26, 0
	s_cbranch_scc0 .LBB61_93
; %bb.88:
	s_min_u32 s27, s58, 15
	s_add_i32 s27, s27, 1
	s_cmp_eq_u32 s58, 2
	s_cbranch_scc1 .LBB61_94
; %bb.89:
	s_and_b32 s26, s27, 28
	s_add_u32 s2, s34, 0xc4
	s_addc_u32 s3, s35, 0
	v_mov_b32_e32 v17, 0
	s_mov_b32 s28, 0
	s_mov_b64 s[24:25], s[34:35]
	v_mov_b32_e32 v15, 0
	v_mov_b32_e32 v4, v1
.LBB61_90:                              ; =>This Inner Loop Header: Depth=1
	s_load_dwordx8 s[12:19], s[24:25], 0x4
	s_load_dwordx4 s[20:23], s[24:25], 0x24
	s_load_dwordx8 s[4:11], s[2:3], 0x0
	s_add_u32 s24, s24, 48
	s_addc_u32 s25, s25, 0
	s_waitcnt lgkmcnt(0)
	v_mul_hi_u32 v7, s13, v4
	s_add_i32 s28, s28, 4
	s_add_u32 s2, s2, 32
	s_addc_u32 s3, s3, 0
	v_add_u32_e32 v7, v4, v7
	v_lshrrev_b32_e32 v7, s14, v7
	v_mul_lo_u32 v10, v7, s12
	v_mul_hi_u32 v13, s16, v7
	s_cmp_lg_u32 s26, s28
	v_sub_u32_e32 v4, v4, v10
	v_add_u32_e32 v10, v7, v13
	v_mul_lo_u32 v13, v4, s4
	v_mul_lo_u32 v16, v4, s5
	v_lshrrev_b32_e32 v4, s17, v10
	v_mul_lo_u32 v10, v4, s15
	v_mul_hi_u32 v18, s19, v4
	v_sub_u32_e32 v7, v7, v10
	v_add_u32_e32 v10, v4, v18
	v_lshrrev_b32_e32 v10, s20, v10
	v_mul_hi_u32 v20, s22, v10
	v_mul_lo_u32 v21, v10, s18
	v_mul_lo_u32 v18, v7, s6
	;; [unrolled: 1-line block ×3, first 2 shown]
	v_sub_u32_e32 v21, v4, v21
	v_add_u32_e32 v4, v10, v20
	v_lshrrev_b32_e32 v4, s23, v4
	v_mul_lo_u32 v20, v4, s21
	v_mul_lo_u32 v22, v21, s8
	;; [unrolled: 1-line block ×3, first 2 shown]
	v_add3_u32 v13, v13, v15, v18
	v_sub_u32_e32 v10, v10, v20
	v_mul_lo_u32 v20, v10, s10
	v_mul_lo_u32 v10, v10, s11
	v_add3_u32 v7, v16, v17, v7
	v_add3_u32 v15, v22, v13, v20
	;; [unrolled: 1-line block ×3, first 2 shown]
	s_cbranch_scc1 .LBB61_90
; %bb.91:
	s_and_b32 s6, s27, 3
	s_cmp_eq_u32 s6, 0
	s_cbranch_scc0 .LBB61_95
	s_branch .LBB61_97
.LBB61_92:
                                        ; implicit-def: $vgpr15
                                        ; implicit-def: $vgpr17
	s_branch .LBB61_98
.LBB61_93:
	v_mov_b32_e32 v15, 0
	v_mov_b32_e32 v17, 0
	s_branch .LBB61_97
.LBB61_94:
	v_mov_b32_e32 v15, 0
	v_mov_b32_e32 v17, 0
	;; [unrolled: 1-line block ×3, first 2 shown]
	s_and_b32 s6, s27, 3
	s_cmp_eq_u32 s6, 0
	s_cbranch_scc1 .LBB61_97
.LBB61_95:
	s_lshl_b32 s2, s26, 3
	s_add_u32 s2, s34, s2
	s_addc_u32 s3, s35, 0
	s_add_u32 s2, s2, 0xc4
	s_addc_u32 s3, s3, 0
	s_mul_i32 s4, s26, 12
	s_add_u32 s4, s34, s4
	s_addc_u32 s5, s35, 0
.LBB61_96:                              ; =>This Inner Loop Header: Depth=1
	s_load_dwordx2 s[8:9], s[4:5], 0x4
	s_load_dword s7, s[4:5], 0xc
	s_load_dwordx2 s[10:11], s[2:3], 0x0
	s_add_u32 s4, s4, 12
	s_addc_u32 s5, s5, 0
	s_waitcnt lgkmcnt(0)
	v_mul_hi_u32 v7, s9, v4
	s_add_u32 s2, s2, 8
	s_addc_u32 s3, s3, 0
	s_add_i32 s6, s6, -1
	v_add_u32_e32 v7, v4, v7
	v_lshrrev_b32_e32 v7, s7, v7
	v_mul_lo_u32 v10, v7, s8
	s_cmp_lg_u32 s6, 0
	v_sub_u32_e32 v4, v4, v10
	v_mad_u64_u32 v[15:16], s[8:9], v4, s10, v[15:16]
	v_mad_u64_u32 v[17:18], s[8:9], v4, s11, v[17:18]
	v_mov_b32_e32 v4, v7
	s_cbranch_scc1 .LBB61_96
.LBB61_97:
	s_cbranch_execnz .LBB61_100
.LBB61_98:
	s_load_dwordx4 s[4:7], s[34:35], 0x4
	s_load_dwordx2 s[2:3], s[34:35], 0xc4
	s_cmp_lt_u32 s33, 2
	s_waitcnt lgkmcnt(0)
	v_mul_hi_u32 v4, s5, v1
	v_add_u32_e32 v4, v1, v4
	v_lshrrev_b32_e32 v4, s6, v4
	v_mul_lo_u32 v7, v4, s4
	v_sub_u32_e32 v1, v1, v7
	v_mul_lo_u32 v15, v1, s2
	v_mul_lo_u32 v17, v1, s3
	s_cbranch_scc1 .LBB61_100
; %bb.99:
	s_load_dwordx4 s[4:7], s[34:35], 0x10
	s_load_dwordx2 s[2:3], s[34:35], 0xcc
	s_waitcnt lgkmcnt(0)
	v_mul_hi_u32 v1, s5, v4
	v_add_u32_e32 v1, v4, v1
	v_lshrrev_b32_e32 v1, s6, v1
	v_mul_lo_u32 v1, v1, s4
	v_sub_u32_e32 v1, v4, v1
	v_mad_u64_u32 v[15:16], s[4:5], v1, s2, v[15:16]
	v_mad_u64_u32 v[17:18], s[2:3], v1, s3, v[17:18]
.LBB61_100:
	s_and_b64 vcc, exec, s[0:1]
	v_add_u32_e32 v1, 0x300, v19
	s_cbranch_vccnz .LBB61_106
; %bb.101:
	s_cmp_lg_u32 s33, 0
	s_mov_b32 s26, 0
	s_cbranch_scc0 .LBB61_107
; %bb.102:
	s_min_u32 s27, s58, 15
	s_add_i32 s27, s27, 1
	s_cmp_eq_u32 s58, 2
	s_cbranch_scc1 .LBB61_108
; %bb.103:
	s_and_b32 s26, s27, 28
	s_add_u32 s2, s34, 0xc4
	s_addc_u32 s3, s35, 0
	v_mov_b32_e32 v20, 0
	s_mov_b32 s28, 0
	s_mov_b64 s[24:25], s[34:35]
	v_mov_b32_e32 v18, 0
	v_mov_b32_e32 v4, v1
.LBB61_104:                             ; =>This Inner Loop Header: Depth=1
	s_load_dwordx8 s[12:19], s[24:25], 0x4
	s_load_dwordx4 s[20:23], s[24:25], 0x24
	s_load_dwordx8 s[4:11], s[2:3], 0x0
	s_add_u32 s24, s24, 48
	s_addc_u32 s25, s25, 0
	s_waitcnt lgkmcnt(0)
	v_mul_hi_u32 v7, s13, v4
	s_add_i32 s28, s28, 4
	s_add_u32 s2, s2, 32
	s_addc_u32 s3, s3, 0
	v_add_u32_e32 v7, v4, v7
	v_lshrrev_b32_e32 v7, s14, v7
	v_mul_lo_u32 v10, v7, s12
	v_mul_hi_u32 v13, s16, v7
	s_cmp_lg_u32 s26, s28
	v_sub_u32_e32 v4, v4, v10
	v_add_u32_e32 v10, v7, v13
	v_mul_lo_u32 v13, v4, s4
	v_mul_lo_u32 v16, v4, s5
	v_lshrrev_b32_e32 v4, s17, v10
	v_mul_lo_u32 v10, v4, s15
	v_mul_hi_u32 v19, s19, v4
	v_sub_u32_e32 v7, v7, v10
	v_add_u32_e32 v10, v4, v19
	v_lshrrev_b32_e32 v10, s20, v10
	v_mul_hi_u32 v21, s22, v10
	v_mul_lo_u32 v22, v10, s18
	v_mul_lo_u32 v19, v7, s6
	;; [unrolled: 1-line block ×3, first 2 shown]
	v_sub_u32_e32 v22, v4, v22
	v_add_u32_e32 v4, v10, v21
	v_lshrrev_b32_e32 v4, s23, v4
	v_mul_lo_u32 v21, v4, s21
	v_mul_lo_u32 v23, v22, s8
	;; [unrolled: 1-line block ×3, first 2 shown]
	v_add3_u32 v13, v13, v18, v19
	v_sub_u32_e32 v10, v10, v21
	v_mul_lo_u32 v21, v10, s10
	v_mul_lo_u32 v10, v10, s11
	v_add3_u32 v7, v16, v20, v7
	v_add3_u32 v18, v23, v13, v21
	;; [unrolled: 1-line block ×3, first 2 shown]
	s_cbranch_scc1 .LBB61_104
; %bb.105:
	s_and_b32 s6, s27, 3
	s_cmp_eq_u32 s6, 0
	s_cbranch_scc0 .LBB61_109
	s_branch .LBB61_111
.LBB61_106:
                                        ; implicit-def: $vgpr18
                                        ; implicit-def: $vgpr20
	s_branch .LBB61_112
.LBB61_107:
	v_mov_b32_e32 v18, 0
	v_mov_b32_e32 v20, 0
	s_branch .LBB61_111
.LBB61_108:
	v_mov_b32_e32 v18, 0
	v_mov_b32_e32 v20, 0
	;; [unrolled: 1-line block ×3, first 2 shown]
	s_and_b32 s6, s27, 3
	s_cmp_eq_u32 s6, 0
	s_cbranch_scc1 .LBB61_111
.LBB61_109:
	s_lshl_b32 s2, s26, 3
	s_add_u32 s2, s34, s2
	s_addc_u32 s3, s35, 0
	s_add_u32 s2, s2, 0xc4
	s_addc_u32 s3, s3, 0
	s_mul_i32 s4, s26, 12
	s_add_u32 s4, s34, s4
	s_addc_u32 s5, s35, 0
.LBB61_110:                             ; =>This Inner Loop Header: Depth=1
	s_load_dwordx2 s[8:9], s[4:5], 0x4
	s_load_dword s7, s[4:5], 0xc
	s_load_dwordx2 s[10:11], s[2:3], 0x0
	s_add_u32 s4, s4, 12
	s_addc_u32 s5, s5, 0
	s_waitcnt lgkmcnt(0)
	v_mul_hi_u32 v7, s9, v4
	s_add_u32 s2, s2, 8
	s_addc_u32 s3, s3, 0
	s_add_i32 s6, s6, -1
	v_add_u32_e32 v7, v4, v7
	v_lshrrev_b32_e32 v7, s7, v7
	v_mul_lo_u32 v10, v7, s8
	s_cmp_lg_u32 s6, 0
	v_sub_u32_e32 v4, v4, v10
	v_mad_u64_u32 v[18:19], s[8:9], v4, s10, v[18:19]
	v_mad_u64_u32 v[20:21], s[8:9], v4, s11, v[20:21]
	v_mov_b32_e32 v4, v7
	s_cbranch_scc1 .LBB61_110
.LBB61_111:
	s_cbranch_execnz .LBB61_114
.LBB61_112:
	s_load_dwordx4 s[4:7], s[34:35], 0x4
	s_load_dwordx2 s[2:3], s[34:35], 0xc4
	s_cmp_lt_u32 s33, 2
	s_waitcnt lgkmcnt(0)
	v_mul_hi_u32 v4, s5, v1
	v_add_u32_e32 v4, v1, v4
	v_lshrrev_b32_e32 v4, s6, v4
	v_mul_lo_u32 v7, v4, s4
	v_sub_u32_e32 v1, v1, v7
	v_mul_lo_u32 v18, v1, s2
	v_mul_lo_u32 v20, v1, s3
	s_cbranch_scc1 .LBB61_114
; %bb.113:
	s_load_dwordx4 s[4:7], s[34:35], 0x10
	s_load_dwordx2 s[2:3], s[34:35], 0xcc
	s_waitcnt lgkmcnt(0)
	v_mul_hi_u32 v1, s5, v4
	v_add_u32_e32 v1, v4, v1
	v_lshrrev_b32_e32 v1, s6, v1
	v_mul_lo_u32 v1, v1, s4
	v_sub_u32_e32 v1, v4, v1
	v_mad_u64_u32 v[18:19], s[4:5], v1, s2, v[18:19]
	v_mad_u64_u32 v[20:21], s[2:3], v1, s3, v[20:21]
.LBB61_114:
	s_and_b64 vcc, exec, s[0:1]
	s_cbranch_vccnz .LBB61_120
; %bb.115:
	s_cmp_lg_u32 s33, 0
	s_mov_b32 s24, 0
	s_cbranch_scc0 .LBB61_121
; %bb.116:
	s_min_u32 s25, s58, 15
	s_add_i32 s25, s25, 1
	s_cmp_eq_u32 s58, 2
	s_cbranch_scc1 .LBB61_122
; %bb.117:
	s_and_b32 s24, s25, 28
	s_add_u32 s20, s34, 0xc4
	s_addc_u32 s21, s35, 0
	v_mov_b32_e32 v23, 0
	s_mov_b32 s26, 0
	s_mov_b64 s[22:23], s[34:35]
	v_mov_b32_e32 v21, 0
	v_mov_b32_e32 v1, v25
.LBB61_118:                             ; =>This Inner Loop Header: Depth=1
	s_load_dwordx8 s[8:15], s[22:23], 0x4
	s_load_dwordx4 s[16:19], s[22:23], 0x24
	s_load_dwordx8 s[0:7], s[20:21], 0x0
	s_add_u32 s22, s22, 48
	s_addc_u32 s23, s23, 0
	s_waitcnt lgkmcnt(0)
	v_mul_hi_u32 v4, s9, v1
	s_add_i32 s26, s26, 4
	s_add_u32 s20, s20, 32
	s_addc_u32 s21, s21, 0
	v_add_u32_e32 v4, v1, v4
	v_lshrrev_b32_e32 v4, s10, v4
	v_mul_lo_u32 v7, v4, s8
	v_mul_hi_u32 v10, s12, v4
	s_cmp_lg_u32 s24, s26
	v_sub_u32_e32 v1, v1, v7
	v_add_u32_e32 v7, v4, v10
	v_mul_lo_u32 v10, v1, s0
	v_mul_lo_u32 v13, v1, s1
	v_lshrrev_b32_e32 v1, s13, v7
	v_mul_lo_u32 v7, v1, s11
	v_mul_hi_u32 v16, s15, v1
	v_sub_u32_e32 v4, v4, v7
	v_add_u32_e32 v7, v1, v16
	v_lshrrev_b32_e32 v7, s16, v7
	v_mul_hi_u32 v19, s18, v7
	v_mul_lo_u32 v22, v7, s14
	v_mul_lo_u32 v16, v4, s2
	v_mul_lo_u32 v4, v4, s3
	v_sub_u32_e32 v22, v1, v22
	v_add_u32_e32 v1, v7, v19
	v_lshrrev_b32_e32 v1, s19, v1
	v_mul_lo_u32 v19, v1, s17
	v_mul_lo_u32 v24, v22, s4
	;; [unrolled: 1-line block ×3, first 2 shown]
	v_add3_u32 v10, v10, v21, v16
	v_sub_u32_e32 v7, v7, v19
	v_mul_lo_u32 v19, v7, s6
	v_mul_lo_u32 v7, v7, s7
	v_add3_u32 v4, v13, v23, v4
	v_add3_u32 v21, v24, v10, v19
	;; [unrolled: 1-line block ×3, first 2 shown]
	s_cbranch_scc1 .LBB61_118
; %bb.119:
	s_and_b32 s4, s25, 3
	s_cmp_eq_u32 s4, 0
	s_cbranch_scc0 .LBB61_123
	s_branch .LBB61_125
.LBB61_120:
                                        ; implicit-def: $vgpr21
                                        ; implicit-def: $vgpr23
	s_branch .LBB61_126
.LBB61_121:
	v_mov_b32_e32 v21, 0
	v_mov_b32_e32 v23, 0
	s_branch .LBB61_125
.LBB61_122:
	v_mov_b32_e32 v21, 0
	v_mov_b32_e32 v23, 0
	;; [unrolled: 1-line block ×3, first 2 shown]
	s_and_b32 s4, s25, 3
	s_cmp_eq_u32 s4, 0
	s_cbranch_scc1 .LBB61_125
.LBB61_123:
	s_lshl_b32 s0, s24, 3
	s_add_u32 s0, s34, s0
	s_addc_u32 s1, s35, 0
	s_add_u32 s0, s0, 0xc4
	s_addc_u32 s1, s1, 0
	s_mul_i32 s2, s24, 12
	s_add_u32 s2, s34, s2
	s_addc_u32 s3, s35, 0
.LBB61_124:                             ; =>This Inner Loop Header: Depth=1
	s_load_dwordx2 s[6:7], s[2:3], 0x4
	s_load_dword s5, s[2:3], 0xc
	s_load_dwordx2 s[8:9], s[0:1], 0x0
	s_add_u32 s2, s2, 12
	s_addc_u32 s3, s3, 0
	s_waitcnt lgkmcnt(0)
	v_mul_hi_u32 v4, s7, v1
	s_add_u32 s0, s0, 8
	s_addc_u32 s1, s1, 0
	s_add_i32 s4, s4, -1
	v_add_u32_e32 v4, v1, v4
	v_lshrrev_b32_e32 v4, s5, v4
	v_mul_lo_u32 v7, v4, s6
	s_cmp_lg_u32 s4, 0
	v_sub_u32_e32 v1, v1, v7
	v_mad_u64_u32 v[21:22], s[6:7], v1, s8, v[21:22]
	v_mad_u64_u32 v[23:24], s[6:7], v1, s9, v[23:24]
	v_mov_b32_e32 v1, v4
	s_cbranch_scc1 .LBB61_124
.LBB61_125:
	s_cbranch_execnz .LBB61_128
.LBB61_126:
	s_load_dwordx4 s[0:3], s[34:35], 0x4
	s_load_dwordx2 s[4:5], s[34:35], 0xc4
	s_cmp_lt_u32 s33, 2
	s_waitcnt lgkmcnt(0)
	v_mul_hi_u32 v1, s1, v25
	v_add_u32_e32 v1, v25, v1
	v_lshrrev_b32_e32 v1, s2, v1
	v_mul_lo_u32 v4, v1, s0
	v_sub_u32_e32 v4, v25, v4
	v_mul_lo_u32 v21, v4, s4
	v_mul_lo_u32 v23, v4, s5
	s_cbranch_scc1 .LBB61_128
; %bb.127:
	s_load_dwordx4 s[0:3], s[34:35], 0x10
	s_load_dwordx2 s[4:5], s[34:35], 0xcc
	s_waitcnt lgkmcnt(0)
	v_mul_hi_u32 v4, s1, v1
	v_add_u32_e32 v4, v1, v4
	v_lshrrev_b32_e32 v4, s2, v4
	v_mul_lo_u32 v4, v4, s0
	v_sub_u32_e32 v1, v1, v4
	v_mad_u64_u32 v[21:22], s[0:1], v1, s4, v[21:22]
	v_mad_u64_u32 v[23:24], s[0:1], v1, s5, v[23:24]
.LBB61_128:
	s_load_dwordx4 s[16:19], s[34:35], 0x148
	s_load_dword s6, s[34:35], 0x158
	s_load_dwordx2 s[12:13], s[34:35], 0x160
	s_waitcnt lgkmcnt(0)
	global_load_dwordx2 v[24:25], v2, s[18:19]
	global_load_dwordx2 v[26:27], v5, s[18:19]
	s_nop 0
	global_load_dwordx2 v[1:2], v8, s[18:19]
	global_load_dwordx2 v[4:5], v11, s[18:19]
	s_cmp_eq_u32 s6, 0
	s_cselect_b64 s[14:15], -1, 0
	s_waitcnt vmcnt(3)
	v_cmp_ne_u64_e32 vcc, s[12:13], v[24:25]
	s_waitcnt vmcnt(2)
	v_cmp_ne_u64_e64 s[0:1], s[12:13], v[26:27]
	s_waitcnt vmcnt(1)
	v_cmp_ne_u64_e64 s[2:3], s[12:13], v[1:2]
	;; [unrolled: 2-line block ×3, first 2 shown]
	global_load_dwordx2 v[1:2], v14, s[18:19]
	global_load_dwordx2 v[4:5], v17, s[18:19]
	;; [unrolled: 1-line block ×4, first 2 shown]
	s_xor_b64 s[0:1], s[14:15], s[0:1]
	s_xor_b64 s[18:19], s[14:15], vcc
	s_waitcnt vmcnt(3)
	v_cmp_ne_u64_e64 s[6:7], s[12:13], v[1:2]
	v_cndmask_b32_e64 v2, 0, 1, s[0:1]
	s_xor_b64 s[0:1], s[14:15], s[2:3]
	s_waitcnt vmcnt(2)
	v_cmp_ne_u64_e64 s[8:9], s[12:13], v[4:5]
	v_cndmask_b32_e64 v4, 0, 1, s[0:1]
	s_xor_b64 s[0:1], s[14:15], s[4:5]
	;; [unrolled: 4-line block ×4, first 2 shown]
	v_cndmask_b32_e64 v8, 0, 1, s[0:1]
	s_xor_b64 s[0:1], s[14:15], s[10:11]
	v_cndmask_b32_e64 v1, 0, 1, s[18:19]
	v_cndmask_b32_e64 v10, 0, 1, s[0:1]
	s_xor_b64 s[0:1], s[14:15], s[12:13]
	v_cndmask_b32_e64 v11, 0, 1, s[0:1]
	global_store_byte v0, v1, s[16:17]
	global_store_byte v3, v2, s[16:17]
	;; [unrolled: 1-line block ×8, first 2 shown]
	s_endpgm
.LBB61_129:
	v_mov_b32_e32 v0, 0
	v_mov_b32_e32 v2, 0
	s_branch .LBB61_135
.LBB61_130:
	v_mov_b32_e32 v0, 0
	v_mov_b32_e32 v2, 0
	s_branch .LBB61_151
.LBB61_131:
	s_mov_b32 s61, 0
	v_mov_b32_e32 v0, 0
	v_mov_b32_e32 v2, 0
	v_mov_b32_e32 v1, v19
.LBB61_132:
	s_and_b32 s4, s62, 3
	s_cmp_eq_u32 s4, 0
	s_cbranch_scc1 .LBB61_135
; %bb.133:
	s_lshl_b32 s0, s61, 3
	s_add_u32 s0, s34, s0
	s_addc_u32 s1, s35, 0
	s_add_u32 s0, s0, 0xc4
	s_addc_u32 s1, s1, 0
	s_mul_i32 s2, s61, 12
	s_add_u32 s2, s34, s2
	s_addc_u32 s3, s35, 0
.LBB61_134:                             ; =>This Inner Loop Header: Depth=1
	s_load_dwordx2 s[6:7], s[2:3], 0x4
	s_load_dword s5, s[2:3], 0xc
	s_load_dwordx2 s[8:9], s[0:1], 0x0
	s_add_u32 s2, s2, 12
	s_addc_u32 s3, s3, 0
	s_waitcnt lgkmcnt(0)
	v_mul_hi_u32 v3, s7, v1
	s_add_u32 s0, s0, 8
	s_addc_u32 s1, s1, 0
	s_add_i32 s4, s4, -1
	v_add_u32_e32 v3, v1, v3
	v_lshrrev_b32_e32 v4, s5, v3
	v_mul_lo_u32 v3, v4, s6
	s_cmp_lg_u32 s4, 0
	v_sub_u32_e32 v3, v1, v3
	v_mad_u64_u32 v[0:1], s[6:7], v3, s8, v[0:1]
	v_mad_u64_u32 v[2:3], s[6:7], v3, s9, v[2:3]
	v_mov_b32_e32 v1, v4
	s_cbranch_scc1 .LBB61_134
.LBB61_135:
	s_cbranch_execnz .LBB61_138
.LBB61_136:
	v_mul_hi_u32 v0, s21, v19
	s_andn2_b64 vcc, exec, s[46:47]
	v_add_u32_e32 v0, v19, v0
	v_lshrrev_b32_e32 v1, s22, v0
	v_mul_lo_u32 v0, v1, s20
	v_sub_u32_e32 v2, v19, v0
	v_mul_lo_u32 v0, v2, s24
	v_mul_lo_u32 v2, v2, s25
	s_cbranch_vccnz .LBB61_138
; %bb.137:
	v_mul_hi_u32 v3, s44, v1
	v_add_u32_e32 v3, v1, v3
	v_lshrrev_b32_e32 v3, s45, v3
	v_mul_lo_u32 v3, v3, s23
	v_sub_u32_e32 v3, v1, v3
	v_mad_u64_u32 v[0:1], s[0:1], v3, s26, v[0:1]
	v_mad_u64_u32 v[2:3], s[0:1], v3, s27, v[2:3]
.LBB61_138:
	global_load_dwordx2 v[1:2], v2, s[18:19]
	v_add_u32_e32 v19, 0x80, v19
	s_waitcnt vmcnt(0)
	v_cmp_ne_u64_e32 vcc, s[40:41], v[1:2]
	s_xor_b64 s[0:1], s[42:43], vcc
	v_cndmask_b32_e64 v1, 0, 1, s[0:1]
	global_store_byte v0, v1, s[16:17]
	s_or_b64 exec, exec, s[52:53]
	v_cmp_gt_i32_e32 vcc, s59, v19
	s_and_saveexec_b64 s[52:53], vcc
	s_cbranch_execnz .LBB61_15
.LBB61_139:
	s_or_b64 exec, exec, s[52:53]
	v_cmp_gt_i32_e32 vcc, s59, v19
	s_and_saveexec_b64 s[52:53], vcc
	s_cbranch_execz .LBB61_155
.LBB61_140:
	s_andn2_b64 vcc, exec, s[36:37]
	s_cbranch_vccnz .LBB61_145
; %bb.141:
	s_andn2_b64 vcc, exec, s[50:51]
	s_cbranch_vccnz .LBB61_146
; %bb.142:
	s_add_i32 s62, s60, 1
	s_cmp_eq_u32 s58, 2
	s_cbranch_scc1 .LBB61_163
; %bb.143:
	s_and_b32 s61, s62, 28
	v_mov_b32_e32 v2, 0
	s_mov_b32 s63, 0
	s_mov_b64 s[54:55], s[34:35]
	s_mov_b64 s[56:57], s[48:49]
	v_mov_b32_e32 v0, 0
	v_mov_b32_e32 v1, v19
.LBB61_144:                             ; =>This Inner Loop Header: Depth=1
	s_load_dwordx8 s[8:15], s[54:55], 0x4
	s_load_dwordx4 s[28:31], s[54:55], 0x24
	s_load_dwordx8 s[0:7], s[56:57], 0x0
	s_add_u32 s54, s54, 48
	s_addc_u32 s55, s55, 0
	s_waitcnt lgkmcnt(0)
	v_mul_hi_u32 v3, s9, v1
	s_add_i32 s63, s63, 4
	s_add_u32 s56, s56, 32
	s_addc_u32 s57, s57, 0
	v_add_u32_e32 v3, v1, v3
	v_lshrrev_b32_e32 v3, s10, v3
	v_mul_lo_u32 v4, v3, s8
	v_mul_hi_u32 v5, s12, v3
	s_cmp_eq_u32 s61, s63
	v_sub_u32_e32 v1, v1, v4
	v_add_u32_e32 v4, v3, v5
	v_mul_lo_u32 v5, v1, s0
	v_mul_lo_u32 v6, v1, s1
	v_lshrrev_b32_e32 v1, s13, v4
	v_mul_lo_u32 v4, v1, s11
	v_mul_hi_u32 v7, s15, v1
	v_sub_u32_e32 v3, v3, v4
	v_add_u32_e32 v4, v1, v7
	v_lshrrev_b32_e32 v4, s28, v4
	v_mul_hi_u32 v8, s30, v4
	v_mul_lo_u32 v9, v4, s14
	v_mul_lo_u32 v7, v3, s2
	;; [unrolled: 1-line block ×3, first 2 shown]
	v_sub_u32_e32 v9, v1, v9
	v_add_u32_e32 v1, v4, v8
	v_lshrrev_b32_e32 v1, s31, v1
	v_mul_lo_u32 v8, v1, s29
	v_mul_lo_u32 v10, v9, s4
	v_mul_lo_u32 v9, v9, s5
	v_add3_u32 v0, v5, v0, v7
	v_sub_u32_e32 v4, v4, v8
	v_mul_lo_u32 v8, v4, s6
	v_mul_lo_u32 v4, v4, s7
	v_add3_u32 v2, v6, v2, v3
	v_add3_u32 v0, v10, v0, v8
	;; [unrolled: 1-line block ×3, first 2 shown]
	s_cbranch_scc0 .LBB61_144
	s_branch .LBB61_164
.LBB61_145:
                                        ; implicit-def: $vgpr0
                                        ; implicit-def: $vgpr2
	s_branch .LBB61_168
.LBB61_146:
	v_mov_b32_e32 v0, 0
	v_mov_b32_e32 v2, 0
	s_branch .LBB61_167
.LBB61_147:
	s_mov_b32 s61, 0
	v_mov_b32_e32 v0, 0
	v_mov_b32_e32 v2, 0
	;; [unrolled: 1-line block ×3, first 2 shown]
.LBB61_148:
	s_and_b32 s4, s62, 3
	s_cmp_eq_u32 s4, 0
	s_cbranch_scc1 .LBB61_151
; %bb.149:
	s_lshl_b32 s0, s61, 3
	s_add_u32 s0, s34, s0
	s_addc_u32 s1, s35, 0
	s_add_u32 s0, s0, 0xc4
	s_addc_u32 s1, s1, 0
	s_mul_i32 s2, s61, 12
	s_add_u32 s2, s34, s2
	s_addc_u32 s3, s35, 0
.LBB61_150:                             ; =>This Inner Loop Header: Depth=1
	s_load_dwordx2 s[6:7], s[2:3], 0x4
	s_load_dword s5, s[2:3], 0xc
	s_load_dwordx2 s[8:9], s[0:1], 0x0
	s_add_u32 s2, s2, 12
	s_addc_u32 s3, s3, 0
	s_waitcnt lgkmcnt(0)
	v_mul_hi_u32 v3, s7, v1
	s_add_u32 s0, s0, 8
	s_addc_u32 s1, s1, 0
	s_add_i32 s4, s4, -1
	v_add_u32_e32 v3, v1, v3
	v_lshrrev_b32_e32 v4, s5, v3
	v_mul_lo_u32 v3, v4, s6
	s_cmp_lg_u32 s4, 0
	v_sub_u32_e32 v3, v1, v3
	v_mad_u64_u32 v[0:1], s[6:7], v3, s8, v[0:1]
	v_mad_u64_u32 v[2:3], s[6:7], v3, s9, v[2:3]
	v_mov_b32_e32 v1, v4
	s_cbranch_scc1 .LBB61_150
.LBB61_151:
	s_cbranch_execnz .LBB61_154
.LBB61_152:
	v_mul_hi_u32 v0, s21, v19
	s_andn2_b64 vcc, exec, s[46:47]
	v_add_u32_e32 v0, v19, v0
	v_lshrrev_b32_e32 v1, s22, v0
	v_mul_lo_u32 v0, v1, s20
	v_sub_u32_e32 v2, v19, v0
	v_mul_lo_u32 v0, v2, s24
	v_mul_lo_u32 v2, v2, s25
	s_cbranch_vccnz .LBB61_154
; %bb.153:
	v_mul_hi_u32 v3, s44, v1
	v_add_u32_e32 v3, v1, v3
	v_lshrrev_b32_e32 v3, s45, v3
	v_mul_lo_u32 v3, v3, s23
	v_sub_u32_e32 v3, v1, v3
	v_mad_u64_u32 v[0:1], s[0:1], v3, s26, v[0:1]
	v_mad_u64_u32 v[2:3], s[0:1], v3, s27, v[2:3]
.LBB61_154:
	global_load_dwordx2 v[1:2], v2, s[18:19]
	v_add_u32_e32 v19, 0x80, v19
	s_waitcnt vmcnt(0)
	v_cmp_ne_u64_e32 vcc, s[40:41], v[1:2]
	s_xor_b64 s[0:1], s[42:43], vcc
	v_cndmask_b32_e64 v1, 0, 1, s[0:1]
	global_store_byte v0, v1, s[16:17]
	s_or_b64 exec, exec, s[52:53]
	v_cmp_gt_i32_e32 vcc, s59, v19
	s_and_saveexec_b64 s[52:53], vcc
	s_cbranch_execnz .LBB61_140
.LBB61_155:
	s_or_b64 exec, exec, s[52:53]
	v_cmp_gt_i32_e32 vcc, s59, v19
	s_and_saveexec_b64 s[52:53], vcc
	s_cbranch_execz .LBB61_171
.LBB61_156:
	s_andn2_b64 vcc, exec, s[36:37]
	s_cbranch_vccnz .LBB61_161
; %bb.157:
	s_andn2_b64 vcc, exec, s[50:51]
	s_cbranch_vccnz .LBB61_162
; %bb.158:
	s_add_i32 s62, s60, 1
	s_cmp_eq_u32 s58, 2
	s_cbranch_scc1 .LBB61_179
; %bb.159:
	s_and_b32 s61, s62, 28
	v_mov_b32_e32 v2, 0
	s_mov_b32 s63, 0
	s_mov_b64 s[54:55], s[34:35]
	s_mov_b64 s[56:57], s[48:49]
	v_mov_b32_e32 v0, 0
	v_mov_b32_e32 v1, v19
.LBB61_160:                             ; =>This Inner Loop Header: Depth=1
	s_load_dwordx8 s[8:15], s[54:55], 0x4
	s_load_dwordx4 s[28:31], s[54:55], 0x24
	s_load_dwordx8 s[0:7], s[56:57], 0x0
	s_add_u32 s54, s54, 48
	s_addc_u32 s55, s55, 0
	s_waitcnt lgkmcnt(0)
	v_mul_hi_u32 v3, s9, v1
	s_add_i32 s63, s63, 4
	s_add_u32 s56, s56, 32
	s_addc_u32 s57, s57, 0
	v_add_u32_e32 v3, v1, v3
	v_lshrrev_b32_e32 v3, s10, v3
	v_mul_lo_u32 v4, v3, s8
	v_mul_hi_u32 v5, s12, v3
	s_cmp_eq_u32 s61, s63
	v_sub_u32_e32 v1, v1, v4
	v_add_u32_e32 v4, v3, v5
	v_mul_lo_u32 v5, v1, s0
	v_mul_lo_u32 v6, v1, s1
	v_lshrrev_b32_e32 v1, s13, v4
	v_mul_lo_u32 v4, v1, s11
	v_mul_hi_u32 v7, s15, v1
	v_sub_u32_e32 v3, v3, v4
	v_add_u32_e32 v4, v1, v7
	v_lshrrev_b32_e32 v4, s28, v4
	v_mul_hi_u32 v8, s30, v4
	v_mul_lo_u32 v9, v4, s14
	v_mul_lo_u32 v7, v3, s2
	;; [unrolled: 1-line block ×3, first 2 shown]
	v_sub_u32_e32 v9, v1, v9
	v_add_u32_e32 v1, v4, v8
	v_lshrrev_b32_e32 v1, s31, v1
	v_mul_lo_u32 v8, v1, s29
	v_mul_lo_u32 v10, v9, s4
	;; [unrolled: 1-line block ×3, first 2 shown]
	v_add3_u32 v0, v5, v0, v7
	v_sub_u32_e32 v4, v4, v8
	v_mul_lo_u32 v8, v4, s6
	v_mul_lo_u32 v4, v4, s7
	v_add3_u32 v2, v6, v2, v3
	v_add3_u32 v0, v10, v0, v8
	;; [unrolled: 1-line block ×3, first 2 shown]
	s_cbranch_scc0 .LBB61_160
	s_branch .LBB61_180
.LBB61_161:
                                        ; implicit-def: $vgpr0
                                        ; implicit-def: $vgpr2
	s_branch .LBB61_184
.LBB61_162:
	v_mov_b32_e32 v0, 0
	v_mov_b32_e32 v2, 0
	s_branch .LBB61_183
.LBB61_163:
	s_mov_b32 s61, 0
	v_mov_b32_e32 v0, 0
	v_mov_b32_e32 v2, 0
	;; [unrolled: 1-line block ×3, first 2 shown]
.LBB61_164:
	s_and_b32 s4, s62, 3
	s_cmp_eq_u32 s4, 0
	s_cbranch_scc1 .LBB61_167
; %bb.165:
	s_lshl_b32 s0, s61, 3
	s_add_u32 s0, s34, s0
	s_addc_u32 s1, s35, 0
	s_add_u32 s0, s0, 0xc4
	s_addc_u32 s1, s1, 0
	s_mul_i32 s2, s61, 12
	s_add_u32 s2, s34, s2
	s_addc_u32 s3, s35, 0
.LBB61_166:                             ; =>This Inner Loop Header: Depth=1
	s_load_dwordx2 s[6:7], s[2:3], 0x4
	s_load_dword s5, s[2:3], 0xc
	s_load_dwordx2 s[8:9], s[0:1], 0x0
	s_add_u32 s2, s2, 12
	s_addc_u32 s3, s3, 0
	s_waitcnt lgkmcnt(0)
	v_mul_hi_u32 v3, s7, v1
	s_add_u32 s0, s0, 8
	s_addc_u32 s1, s1, 0
	s_add_i32 s4, s4, -1
	v_add_u32_e32 v3, v1, v3
	v_lshrrev_b32_e32 v4, s5, v3
	v_mul_lo_u32 v3, v4, s6
	s_cmp_lg_u32 s4, 0
	v_sub_u32_e32 v3, v1, v3
	v_mad_u64_u32 v[0:1], s[6:7], v3, s8, v[0:1]
	v_mad_u64_u32 v[2:3], s[6:7], v3, s9, v[2:3]
	v_mov_b32_e32 v1, v4
	s_cbranch_scc1 .LBB61_166
.LBB61_167:
	s_cbranch_execnz .LBB61_170
.LBB61_168:
	v_mul_hi_u32 v0, s21, v19
	s_andn2_b64 vcc, exec, s[46:47]
	v_add_u32_e32 v0, v19, v0
	v_lshrrev_b32_e32 v1, s22, v0
	v_mul_lo_u32 v0, v1, s20
	v_sub_u32_e32 v2, v19, v0
	v_mul_lo_u32 v0, v2, s24
	v_mul_lo_u32 v2, v2, s25
	s_cbranch_vccnz .LBB61_170
; %bb.169:
	v_mul_hi_u32 v3, s44, v1
	v_add_u32_e32 v3, v1, v3
	v_lshrrev_b32_e32 v3, s45, v3
	v_mul_lo_u32 v3, v3, s23
	v_sub_u32_e32 v3, v1, v3
	v_mad_u64_u32 v[0:1], s[0:1], v3, s26, v[0:1]
	v_mad_u64_u32 v[2:3], s[0:1], v3, s27, v[2:3]
.LBB61_170:
	global_load_dwordx2 v[1:2], v2, s[18:19]
	v_add_u32_e32 v19, 0x80, v19
	s_waitcnt vmcnt(0)
	v_cmp_ne_u64_e32 vcc, s[40:41], v[1:2]
	s_xor_b64 s[0:1], s[42:43], vcc
	v_cndmask_b32_e64 v1, 0, 1, s[0:1]
	global_store_byte v0, v1, s[16:17]
	s_or_b64 exec, exec, s[52:53]
	v_cmp_gt_i32_e32 vcc, s59, v19
	s_and_saveexec_b64 s[52:53], vcc
	s_cbranch_execnz .LBB61_156
.LBB61_171:
	s_or_b64 exec, exec, s[52:53]
	v_cmp_gt_i32_e32 vcc, s59, v19
	s_and_saveexec_b64 s[52:53], vcc
	s_cbranch_execz .LBB61_187
.LBB61_172:
	s_andn2_b64 vcc, exec, s[36:37]
	s_cbranch_vccnz .LBB61_177
; %bb.173:
	s_andn2_b64 vcc, exec, s[50:51]
	s_cbranch_vccnz .LBB61_178
; %bb.174:
	s_add_i32 s62, s60, 1
	s_cmp_eq_u32 s58, 2
	s_cbranch_scc1 .LBB61_195
; %bb.175:
	s_and_b32 s61, s62, 28
	v_mov_b32_e32 v2, 0
	s_mov_b32 s63, 0
	s_mov_b64 s[54:55], s[34:35]
	s_mov_b64 s[56:57], s[48:49]
	v_mov_b32_e32 v0, 0
	v_mov_b32_e32 v1, v19
.LBB61_176:                             ; =>This Inner Loop Header: Depth=1
	s_load_dwordx8 s[8:15], s[54:55], 0x4
	s_load_dwordx4 s[28:31], s[54:55], 0x24
	s_load_dwordx8 s[0:7], s[56:57], 0x0
	s_add_u32 s54, s54, 48
	s_addc_u32 s55, s55, 0
	s_waitcnt lgkmcnt(0)
	v_mul_hi_u32 v3, s9, v1
	s_add_i32 s63, s63, 4
	s_add_u32 s56, s56, 32
	s_addc_u32 s57, s57, 0
	v_add_u32_e32 v3, v1, v3
	v_lshrrev_b32_e32 v3, s10, v3
	v_mul_lo_u32 v4, v3, s8
	v_mul_hi_u32 v5, s12, v3
	s_cmp_eq_u32 s61, s63
	v_sub_u32_e32 v1, v1, v4
	v_add_u32_e32 v4, v3, v5
	v_mul_lo_u32 v5, v1, s0
	v_mul_lo_u32 v6, v1, s1
	v_lshrrev_b32_e32 v1, s13, v4
	v_mul_lo_u32 v4, v1, s11
	v_mul_hi_u32 v7, s15, v1
	v_sub_u32_e32 v3, v3, v4
	v_add_u32_e32 v4, v1, v7
	v_lshrrev_b32_e32 v4, s28, v4
	v_mul_hi_u32 v8, s30, v4
	v_mul_lo_u32 v9, v4, s14
	v_mul_lo_u32 v7, v3, s2
	;; [unrolled: 1-line block ×3, first 2 shown]
	v_sub_u32_e32 v9, v1, v9
	v_add_u32_e32 v1, v4, v8
	v_lshrrev_b32_e32 v1, s31, v1
	v_mul_lo_u32 v8, v1, s29
	v_mul_lo_u32 v10, v9, s4
	;; [unrolled: 1-line block ×3, first 2 shown]
	v_add3_u32 v0, v5, v0, v7
	v_sub_u32_e32 v4, v4, v8
	v_mul_lo_u32 v8, v4, s6
	v_mul_lo_u32 v4, v4, s7
	v_add3_u32 v2, v6, v2, v3
	v_add3_u32 v0, v10, v0, v8
	;; [unrolled: 1-line block ×3, first 2 shown]
	s_cbranch_scc0 .LBB61_176
	s_branch .LBB61_196
.LBB61_177:
                                        ; implicit-def: $vgpr0
                                        ; implicit-def: $vgpr2
	s_branch .LBB61_200
.LBB61_178:
	v_mov_b32_e32 v0, 0
	v_mov_b32_e32 v2, 0
	s_branch .LBB61_199
.LBB61_179:
	s_mov_b32 s61, 0
	v_mov_b32_e32 v0, 0
	v_mov_b32_e32 v2, 0
	;; [unrolled: 1-line block ×3, first 2 shown]
.LBB61_180:
	s_and_b32 s4, s62, 3
	s_cmp_eq_u32 s4, 0
	s_cbranch_scc1 .LBB61_183
; %bb.181:
	s_lshl_b32 s0, s61, 3
	s_add_u32 s0, s34, s0
	s_addc_u32 s1, s35, 0
	s_add_u32 s0, s0, 0xc4
	s_addc_u32 s1, s1, 0
	s_mul_i32 s2, s61, 12
	s_add_u32 s2, s34, s2
	s_addc_u32 s3, s35, 0
.LBB61_182:                             ; =>This Inner Loop Header: Depth=1
	s_load_dwordx2 s[6:7], s[2:3], 0x4
	s_load_dword s5, s[2:3], 0xc
	s_load_dwordx2 s[8:9], s[0:1], 0x0
	s_add_u32 s2, s2, 12
	s_addc_u32 s3, s3, 0
	s_waitcnt lgkmcnt(0)
	v_mul_hi_u32 v3, s7, v1
	s_add_u32 s0, s0, 8
	s_addc_u32 s1, s1, 0
	s_add_i32 s4, s4, -1
	v_add_u32_e32 v3, v1, v3
	v_lshrrev_b32_e32 v4, s5, v3
	v_mul_lo_u32 v3, v4, s6
	s_cmp_lg_u32 s4, 0
	v_sub_u32_e32 v3, v1, v3
	v_mad_u64_u32 v[0:1], s[6:7], v3, s8, v[0:1]
	v_mad_u64_u32 v[2:3], s[6:7], v3, s9, v[2:3]
	v_mov_b32_e32 v1, v4
	s_cbranch_scc1 .LBB61_182
.LBB61_183:
	s_cbranch_execnz .LBB61_186
.LBB61_184:
	v_mul_hi_u32 v0, s21, v19
	s_andn2_b64 vcc, exec, s[46:47]
	v_add_u32_e32 v0, v19, v0
	v_lshrrev_b32_e32 v1, s22, v0
	v_mul_lo_u32 v0, v1, s20
	v_sub_u32_e32 v2, v19, v0
	v_mul_lo_u32 v0, v2, s24
	v_mul_lo_u32 v2, v2, s25
	s_cbranch_vccnz .LBB61_186
; %bb.185:
	v_mul_hi_u32 v3, s44, v1
	v_add_u32_e32 v3, v1, v3
	v_lshrrev_b32_e32 v3, s45, v3
	v_mul_lo_u32 v3, v3, s23
	v_sub_u32_e32 v3, v1, v3
	v_mad_u64_u32 v[0:1], s[0:1], v3, s26, v[0:1]
	v_mad_u64_u32 v[2:3], s[0:1], v3, s27, v[2:3]
.LBB61_186:
	global_load_dwordx2 v[1:2], v2, s[18:19]
	v_add_u32_e32 v19, 0x80, v19
	s_waitcnt vmcnt(0)
	v_cmp_ne_u64_e32 vcc, s[40:41], v[1:2]
	s_xor_b64 s[0:1], s[42:43], vcc
	v_cndmask_b32_e64 v1, 0, 1, s[0:1]
	global_store_byte v0, v1, s[16:17]
	s_or_b64 exec, exec, s[52:53]
	v_cmp_gt_i32_e32 vcc, s59, v19
	s_and_saveexec_b64 s[52:53], vcc
	s_cbranch_execnz .LBB61_172
.LBB61_187:
	s_or_b64 exec, exec, s[52:53]
	v_cmp_gt_i32_e32 vcc, s59, v19
	s_and_saveexec_b64 s[52:53], vcc
	s_cbranch_execz .LBB61_203
.LBB61_188:
	s_andn2_b64 vcc, exec, s[36:37]
	s_cbranch_vccnz .LBB61_193
; %bb.189:
	s_andn2_b64 vcc, exec, s[50:51]
	s_cbranch_vccnz .LBB61_194
; %bb.190:
	s_add_i32 s62, s60, 1
	s_cmp_eq_u32 s58, 2
	s_cbranch_scc1 .LBB61_211
; %bb.191:
	s_and_b32 s61, s62, 28
	v_mov_b32_e32 v2, 0
	s_mov_b32 s63, 0
	s_mov_b64 s[54:55], s[34:35]
	s_mov_b64 s[56:57], s[48:49]
	v_mov_b32_e32 v0, 0
	v_mov_b32_e32 v1, v19
.LBB61_192:                             ; =>This Inner Loop Header: Depth=1
	s_load_dwordx8 s[8:15], s[54:55], 0x4
	s_load_dwordx4 s[28:31], s[54:55], 0x24
	s_load_dwordx8 s[0:7], s[56:57], 0x0
	s_add_u32 s54, s54, 48
	s_addc_u32 s55, s55, 0
	s_waitcnt lgkmcnt(0)
	v_mul_hi_u32 v3, s9, v1
	s_add_i32 s63, s63, 4
	s_add_u32 s56, s56, 32
	s_addc_u32 s57, s57, 0
	v_add_u32_e32 v3, v1, v3
	v_lshrrev_b32_e32 v3, s10, v3
	v_mul_lo_u32 v4, v3, s8
	v_mul_hi_u32 v5, s12, v3
	s_cmp_eq_u32 s61, s63
	v_sub_u32_e32 v1, v1, v4
	v_add_u32_e32 v4, v3, v5
	v_mul_lo_u32 v5, v1, s0
	v_mul_lo_u32 v6, v1, s1
	v_lshrrev_b32_e32 v1, s13, v4
	v_mul_lo_u32 v4, v1, s11
	v_mul_hi_u32 v7, s15, v1
	v_sub_u32_e32 v3, v3, v4
	v_add_u32_e32 v4, v1, v7
	v_lshrrev_b32_e32 v4, s28, v4
	v_mul_hi_u32 v8, s30, v4
	v_mul_lo_u32 v9, v4, s14
	v_mul_lo_u32 v7, v3, s2
	;; [unrolled: 1-line block ×3, first 2 shown]
	v_sub_u32_e32 v9, v1, v9
	v_add_u32_e32 v1, v4, v8
	v_lshrrev_b32_e32 v1, s31, v1
	v_mul_lo_u32 v8, v1, s29
	v_mul_lo_u32 v10, v9, s4
	;; [unrolled: 1-line block ×3, first 2 shown]
	v_add3_u32 v0, v5, v0, v7
	v_sub_u32_e32 v4, v4, v8
	v_mul_lo_u32 v8, v4, s6
	v_mul_lo_u32 v4, v4, s7
	v_add3_u32 v2, v6, v2, v3
	v_add3_u32 v0, v10, v0, v8
	;; [unrolled: 1-line block ×3, first 2 shown]
	s_cbranch_scc0 .LBB61_192
	s_branch .LBB61_212
.LBB61_193:
                                        ; implicit-def: $vgpr0
                                        ; implicit-def: $vgpr2
	s_branch .LBB61_216
.LBB61_194:
	v_mov_b32_e32 v0, 0
	v_mov_b32_e32 v2, 0
	s_branch .LBB61_215
.LBB61_195:
	s_mov_b32 s61, 0
	v_mov_b32_e32 v0, 0
	v_mov_b32_e32 v2, 0
	;; [unrolled: 1-line block ×3, first 2 shown]
.LBB61_196:
	s_and_b32 s4, s62, 3
	s_cmp_eq_u32 s4, 0
	s_cbranch_scc1 .LBB61_199
; %bb.197:
	s_lshl_b32 s0, s61, 3
	s_add_u32 s0, s34, s0
	s_addc_u32 s1, s35, 0
	s_add_u32 s0, s0, 0xc4
	s_addc_u32 s1, s1, 0
	s_mul_i32 s2, s61, 12
	s_add_u32 s2, s34, s2
	s_addc_u32 s3, s35, 0
.LBB61_198:                             ; =>This Inner Loop Header: Depth=1
	s_load_dwordx2 s[6:7], s[2:3], 0x4
	s_load_dword s5, s[2:3], 0xc
	s_load_dwordx2 s[8:9], s[0:1], 0x0
	s_add_u32 s2, s2, 12
	s_addc_u32 s3, s3, 0
	s_waitcnt lgkmcnt(0)
	v_mul_hi_u32 v3, s7, v1
	s_add_u32 s0, s0, 8
	s_addc_u32 s1, s1, 0
	s_add_i32 s4, s4, -1
	v_add_u32_e32 v3, v1, v3
	v_lshrrev_b32_e32 v4, s5, v3
	v_mul_lo_u32 v3, v4, s6
	s_cmp_lg_u32 s4, 0
	v_sub_u32_e32 v3, v1, v3
	v_mad_u64_u32 v[0:1], s[6:7], v3, s8, v[0:1]
	v_mad_u64_u32 v[2:3], s[6:7], v3, s9, v[2:3]
	v_mov_b32_e32 v1, v4
	s_cbranch_scc1 .LBB61_198
.LBB61_199:
	s_cbranch_execnz .LBB61_202
.LBB61_200:
	v_mul_hi_u32 v0, s21, v19
	s_andn2_b64 vcc, exec, s[46:47]
	v_add_u32_e32 v0, v19, v0
	v_lshrrev_b32_e32 v1, s22, v0
	v_mul_lo_u32 v0, v1, s20
	v_sub_u32_e32 v2, v19, v0
	v_mul_lo_u32 v0, v2, s24
	v_mul_lo_u32 v2, v2, s25
	s_cbranch_vccnz .LBB61_202
; %bb.201:
	v_mul_hi_u32 v3, s44, v1
	v_add_u32_e32 v3, v1, v3
	v_lshrrev_b32_e32 v3, s45, v3
	v_mul_lo_u32 v3, v3, s23
	v_sub_u32_e32 v3, v1, v3
	v_mad_u64_u32 v[0:1], s[0:1], v3, s26, v[0:1]
	v_mad_u64_u32 v[2:3], s[0:1], v3, s27, v[2:3]
.LBB61_202:
	global_load_dwordx2 v[1:2], v2, s[18:19]
	v_add_u32_e32 v19, 0x80, v19
	s_waitcnt vmcnt(0)
	v_cmp_ne_u64_e32 vcc, s[40:41], v[1:2]
	s_xor_b64 s[0:1], s[42:43], vcc
	v_cndmask_b32_e64 v1, 0, 1, s[0:1]
	global_store_byte v0, v1, s[16:17]
	s_or_b64 exec, exec, s[52:53]
	v_cmp_gt_i32_e32 vcc, s59, v19
	s_and_saveexec_b64 s[52:53], vcc
	s_cbranch_execnz .LBB61_188
.LBB61_203:
	s_or_b64 exec, exec, s[52:53]
	v_cmp_gt_i32_e32 vcc, s59, v19
	s_and_saveexec_b64 s[52:53], vcc
	s_cbranch_execz .LBB61_219
.LBB61_204:
	s_andn2_b64 vcc, exec, s[36:37]
	s_cbranch_vccnz .LBB61_209
; %bb.205:
	s_andn2_b64 vcc, exec, s[50:51]
	s_cbranch_vccnz .LBB61_210
; %bb.206:
	s_add_i32 s62, s60, 1
	s_cmp_eq_u32 s58, 2
	s_cbranch_scc1 .LBB61_222
; %bb.207:
	s_and_b32 s61, s62, 28
	v_mov_b32_e32 v2, 0
	s_mov_b32 s63, 0
	s_mov_b64 s[54:55], s[34:35]
	s_mov_b64 s[56:57], s[48:49]
	v_mov_b32_e32 v0, 0
	v_mov_b32_e32 v1, v19
.LBB61_208:                             ; =>This Inner Loop Header: Depth=1
	s_load_dwordx8 s[8:15], s[54:55], 0x4
	s_load_dwordx4 s[28:31], s[54:55], 0x24
	s_load_dwordx8 s[0:7], s[56:57], 0x0
	s_add_u32 s54, s54, 48
	s_addc_u32 s55, s55, 0
	s_waitcnt lgkmcnt(0)
	v_mul_hi_u32 v3, s9, v1
	s_add_i32 s63, s63, 4
	s_add_u32 s56, s56, 32
	s_addc_u32 s57, s57, 0
	v_add_u32_e32 v3, v1, v3
	v_lshrrev_b32_e32 v3, s10, v3
	v_mul_lo_u32 v4, v3, s8
	v_mul_hi_u32 v5, s12, v3
	s_cmp_eq_u32 s61, s63
	v_sub_u32_e32 v1, v1, v4
	v_add_u32_e32 v4, v3, v5
	v_mul_lo_u32 v5, v1, s0
	v_mul_lo_u32 v6, v1, s1
	v_lshrrev_b32_e32 v1, s13, v4
	v_mul_lo_u32 v4, v1, s11
	v_mul_hi_u32 v7, s15, v1
	v_sub_u32_e32 v3, v3, v4
	v_add_u32_e32 v4, v1, v7
	v_lshrrev_b32_e32 v4, s28, v4
	v_mul_hi_u32 v8, s30, v4
	v_mul_lo_u32 v9, v4, s14
	v_mul_lo_u32 v7, v3, s2
	;; [unrolled: 1-line block ×3, first 2 shown]
	v_sub_u32_e32 v9, v1, v9
	v_add_u32_e32 v1, v4, v8
	v_lshrrev_b32_e32 v1, s31, v1
	v_mul_lo_u32 v8, v1, s29
	v_mul_lo_u32 v10, v9, s4
	;; [unrolled: 1-line block ×3, first 2 shown]
	v_add3_u32 v0, v5, v0, v7
	v_sub_u32_e32 v4, v4, v8
	v_mul_lo_u32 v8, v4, s6
	v_mul_lo_u32 v4, v4, s7
	v_add3_u32 v2, v6, v2, v3
	v_add3_u32 v0, v10, v0, v8
	;; [unrolled: 1-line block ×3, first 2 shown]
	s_cbranch_scc0 .LBB61_208
	s_branch .LBB61_223
.LBB61_209:
                                        ; implicit-def: $vgpr0
                                        ; implicit-def: $vgpr2
	s_branch .LBB61_227
.LBB61_210:
	v_mov_b32_e32 v0, 0
	v_mov_b32_e32 v2, 0
	s_branch .LBB61_226
.LBB61_211:
	s_mov_b32 s61, 0
	v_mov_b32_e32 v0, 0
	v_mov_b32_e32 v2, 0
	;; [unrolled: 1-line block ×3, first 2 shown]
.LBB61_212:
	s_and_b32 s4, s62, 3
	s_cmp_eq_u32 s4, 0
	s_cbranch_scc1 .LBB61_215
; %bb.213:
	s_lshl_b32 s0, s61, 3
	s_add_u32 s0, s34, s0
	s_addc_u32 s1, s35, 0
	s_add_u32 s0, s0, 0xc4
	s_addc_u32 s1, s1, 0
	s_mul_i32 s2, s61, 12
	s_add_u32 s2, s34, s2
	s_addc_u32 s3, s35, 0
.LBB61_214:                             ; =>This Inner Loop Header: Depth=1
	s_load_dwordx2 s[6:7], s[2:3], 0x4
	s_load_dword s5, s[2:3], 0xc
	s_load_dwordx2 s[8:9], s[0:1], 0x0
	s_add_u32 s2, s2, 12
	s_addc_u32 s3, s3, 0
	s_waitcnt lgkmcnt(0)
	v_mul_hi_u32 v3, s7, v1
	s_add_u32 s0, s0, 8
	s_addc_u32 s1, s1, 0
	s_add_i32 s4, s4, -1
	v_add_u32_e32 v3, v1, v3
	v_lshrrev_b32_e32 v4, s5, v3
	v_mul_lo_u32 v3, v4, s6
	s_cmp_lg_u32 s4, 0
	v_sub_u32_e32 v3, v1, v3
	v_mad_u64_u32 v[0:1], s[6:7], v3, s8, v[0:1]
	v_mad_u64_u32 v[2:3], s[6:7], v3, s9, v[2:3]
	v_mov_b32_e32 v1, v4
	s_cbranch_scc1 .LBB61_214
.LBB61_215:
	s_cbranch_execnz .LBB61_218
.LBB61_216:
	v_mul_hi_u32 v0, s21, v19
	s_andn2_b64 vcc, exec, s[46:47]
	v_add_u32_e32 v0, v19, v0
	v_lshrrev_b32_e32 v1, s22, v0
	v_mul_lo_u32 v0, v1, s20
	v_sub_u32_e32 v2, v19, v0
	v_mul_lo_u32 v0, v2, s24
	v_mul_lo_u32 v2, v2, s25
	s_cbranch_vccnz .LBB61_218
; %bb.217:
	v_mul_hi_u32 v3, s44, v1
	v_add_u32_e32 v3, v1, v3
	v_lshrrev_b32_e32 v3, s45, v3
	v_mul_lo_u32 v3, v3, s23
	v_sub_u32_e32 v3, v1, v3
	v_mad_u64_u32 v[0:1], s[0:1], v3, s26, v[0:1]
	v_mad_u64_u32 v[2:3], s[0:1], v3, s27, v[2:3]
.LBB61_218:
	global_load_dwordx2 v[1:2], v2, s[18:19]
	v_add_u32_e32 v19, 0x80, v19
	s_waitcnt vmcnt(0)
	v_cmp_ne_u64_e32 vcc, s[40:41], v[1:2]
	s_xor_b64 s[0:1], s[42:43], vcc
	v_cndmask_b32_e64 v1, 0, 1, s[0:1]
	global_store_byte v0, v1, s[16:17]
	s_or_b64 exec, exec, s[52:53]
	v_cmp_gt_i32_e32 vcc, s59, v19
	s_and_saveexec_b64 s[52:53], vcc
	s_cbranch_execnz .LBB61_204
.LBB61_219:
	s_or_b64 exec, exec, s[52:53]
	v_cmp_gt_i32_e32 vcc, s59, v19
	s_and_saveexec_b64 s[52:53], vcc
	s_cbranch_execnz .LBB61_230
.LBB61_220:
	s_or_b64 exec, exec, s[52:53]
                                        ; implicit-def: $vgpr25
                                        ; implicit-def: $vgpr19
	s_andn2_saveexec_b64 s[0:1], s[38:39]
	s_cbranch_execnz .LBB61_8
.LBB61_221:
	s_endpgm
.LBB61_222:
	s_mov_b32 s61, 0
	v_mov_b32_e32 v0, 0
	v_mov_b32_e32 v2, 0
	;; [unrolled: 1-line block ×3, first 2 shown]
.LBB61_223:
	s_and_b32 s4, s62, 3
	s_cmp_eq_u32 s4, 0
	s_cbranch_scc1 .LBB61_226
; %bb.224:
	s_lshl_b32 s0, s61, 3
	s_add_u32 s0, s34, s0
	s_addc_u32 s1, s35, 0
	s_add_u32 s0, s0, 0xc4
	s_addc_u32 s1, s1, 0
	s_mul_i32 s2, s61, 12
	s_add_u32 s2, s34, s2
	s_addc_u32 s3, s35, 0
.LBB61_225:                             ; =>This Inner Loop Header: Depth=1
	s_load_dwordx2 s[6:7], s[2:3], 0x4
	s_load_dword s5, s[2:3], 0xc
	s_load_dwordx2 s[8:9], s[0:1], 0x0
	s_add_u32 s2, s2, 12
	s_addc_u32 s3, s3, 0
	s_waitcnt lgkmcnt(0)
	v_mul_hi_u32 v3, s7, v1
	s_add_u32 s0, s0, 8
	s_addc_u32 s1, s1, 0
	s_add_i32 s4, s4, -1
	v_add_u32_e32 v3, v1, v3
	v_lshrrev_b32_e32 v4, s5, v3
	v_mul_lo_u32 v3, v4, s6
	s_cmp_lg_u32 s4, 0
	v_sub_u32_e32 v3, v1, v3
	v_mad_u64_u32 v[0:1], s[6:7], v3, s8, v[0:1]
	v_mad_u64_u32 v[2:3], s[6:7], v3, s9, v[2:3]
	v_mov_b32_e32 v1, v4
	s_cbranch_scc1 .LBB61_225
.LBB61_226:
	s_cbranch_execnz .LBB61_229
.LBB61_227:
	v_mul_hi_u32 v0, s21, v19
	s_andn2_b64 vcc, exec, s[46:47]
	v_add_u32_e32 v0, v19, v0
	v_lshrrev_b32_e32 v1, s22, v0
	v_mul_lo_u32 v0, v1, s20
	v_sub_u32_e32 v2, v19, v0
	v_mul_lo_u32 v0, v2, s24
	v_mul_lo_u32 v2, v2, s25
	s_cbranch_vccnz .LBB61_229
; %bb.228:
	v_mul_hi_u32 v3, s44, v1
	v_add_u32_e32 v3, v1, v3
	v_lshrrev_b32_e32 v3, s45, v3
	v_mul_lo_u32 v3, v3, s23
	v_sub_u32_e32 v3, v1, v3
	v_mad_u64_u32 v[0:1], s[0:1], v3, s26, v[0:1]
	v_mad_u64_u32 v[2:3], s[0:1], v3, s27, v[2:3]
.LBB61_229:
	global_load_dwordx2 v[1:2], v2, s[18:19]
	v_add_u32_e32 v19, 0x80, v19
	s_waitcnt vmcnt(0)
	v_cmp_ne_u64_e32 vcc, s[40:41], v[1:2]
	s_xor_b64 s[0:1], s[42:43], vcc
	v_cndmask_b32_e64 v1, 0, 1, s[0:1]
	global_store_byte v0, v1, s[16:17]
	s_or_b64 exec, exec, s[52:53]
	v_cmp_gt_i32_e32 vcc, s59, v19
	s_and_saveexec_b64 s[52:53], vcc
	s_cbranch_execz .LBB61_220
.LBB61_230:
	s_andn2_b64 vcc, exec, s[36:37]
	s_cbranch_vccnz .LBB61_235
; %bb.231:
	s_andn2_b64 vcc, exec, s[50:51]
	s_cbranch_vccnz .LBB61_236
; %bb.232:
	s_add_i32 s60, s60, 1
	s_cmp_eq_u32 s58, 2
	s_cbranch_scc1 .LBB61_237
; %bb.233:
	s_and_b32 s54, s60, 28
	v_mov_b32_e32 v2, 0
	s_mov_b32 s55, 0
	s_mov_b64 s[50:51], s[34:35]
	v_mov_b32_e32 v0, 0
	v_mov_b32_e32 v1, v19
.LBB61_234:                             ; =>This Inner Loop Header: Depth=1
	s_load_dwordx8 s[8:15], s[50:51], 0x4
	s_load_dwordx4 s[28:31], s[50:51], 0x24
	s_load_dwordx8 s[0:7], s[48:49], 0x0
	s_add_u32 s50, s50, 48
	s_addc_u32 s51, s51, 0
	s_waitcnt lgkmcnt(0)
	v_mul_hi_u32 v3, s9, v1
	s_add_i32 s55, s55, 4
	s_add_u32 s48, s48, 32
	s_addc_u32 s49, s49, 0
	v_add_u32_e32 v3, v1, v3
	v_lshrrev_b32_e32 v3, s10, v3
	v_mul_lo_u32 v4, v3, s8
	v_mul_hi_u32 v5, s12, v3
	s_cmp_eq_u32 s54, s55
	v_sub_u32_e32 v1, v1, v4
	v_add_u32_e32 v4, v3, v5
	v_mul_lo_u32 v5, v1, s0
	v_mul_lo_u32 v6, v1, s1
	v_lshrrev_b32_e32 v1, s13, v4
	v_mul_lo_u32 v4, v1, s11
	v_mul_hi_u32 v7, s15, v1
	v_sub_u32_e32 v3, v3, v4
	v_add_u32_e32 v4, v1, v7
	v_lshrrev_b32_e32 v4, s28, v4
	v_mul_hi_u32 v8, s30, v4
	v_mul_lo_u32 v9, v4, s14
	v_mul_lo_u32 v7, v3, s2
	;; [unrolled: 1-line block ×3, first 2 shown]
	v_sub_u32_e32 v9, v1, v9
	v_add_u32_e32 v1, v4, v8
	v_lshrrev_b32_e32 v1, s31, v1
	v_mul_lo_u32 v8, v1, s29
	v_mul_lo_u32 v10, v9, s4
	;; [unrolled: 1-line block ×3, first 2 shown]
	v_add3_u32 v0, v5, v0, v7
	v_sub_u32_e32 v4, v4, v8
	v_mul_lo_u32 v8, v4, s6
	v_mul_lo_u32 v4, v4, s7
	v_add3_u32 v2, v6, v2, v3
	v_add3_u32 v0, v10, v0, v8
	v_add3_u32 v2, v9, v2, v4
	s_cbranch_scc0 .LBB61_234
	s_branch .LBB61_238
.LBB61_235:
                                        ; implicit-def: $vgpr0
                                        ; implicit-def: $vgpr2
	s_branch .LBB61_242
.LBB61_236:
	v_mov_b32_e32 v0, 0
	v_mov_b32_e32 v2, 0
	s_branch .LBB61_241
.LBB61_237:
	s_mov_b32 s54, 0
	v_mov_b32_e32 v0, 0
	v_mov_b32_e32 v2, 0
	;; [unrolled: 1-line block ×3, first 2 shown]
.LBB61_238:
	s_and_b32 s4, s60, 3
	s_cmp_eq_u32 s4, 0
	s_cbranch_scc1 .LBB61_241
; %bb.239:
	s_lshl_b32 s0, s54, 3
	s_add_u32 s0, s34, s0
	s_addc_u32 s1, s35, 0
	s_add_u32 s0, s0, 0xc4
	s_addc_u32 s1, s1, 0
	s_mul_i32 s2, s54, 12
	s_add_u32 s2, s34, s2
	s_addc_u32 s3, s35, 0
.LBB61_240:                             ; =>This Inner Loop Header: Depth=1
	s_load_dwordx2 s[6:7], s[2:3], 0x4
	s_load_dword s5, s[2:3], 0xc
	s_load_dwordx2 s[8:9], s[0:1], 0x0
	s_add_u32 s2, s2, 12
	s_addc_u32 s3, s3, 0
	s_waitcnt lgkmcnt(0)
	v_mul_hi_u32 v3, s7, v1
	s_add_u32 s0, s0, 8
	s_addc_u32 s1, s1, 0
	s_add_i32 s4, s4, -1
	v_add_u32_e32 v3, v1, v3
	v_lshrrev_b32_e32 v4, s5, v3
	v_mul_lo_u32 v3, v4, s6
	s_cmp_lg_u32 s4, 0
	v_sub_u32_e32 v3, v1, v3
	v_mad_u64_u32 v[0:1], s[6:7], v3, s8, v[0:1]
	v_mad_u64_u32 v[2:3], s[6:7], v3, s9, v[2:3]
	v_mov_b32_e32 v1, v4
	s_cbranch_scc1 .LBB61_240
.LBB61_241:
	s_cbranch_execnz .LBB61_244
.LBB61_242:
	v_mul_hi_u32 v0, s21, v19
	s_andn2_b64 vcc, exec, s[46:47]
	v_add_u32_e32 v0, v19, v0
	v_lshrrev_b32_e32 v1, s22, v0
	v_mul_lo_u32 v0, v1, s20
	v_sub_u32_e32 v2, v19, v0
	v_mul_lo_u32 v0, v2, s24
	v_mul_lo_u32 v2, v2, s25
	s_cbranch_vccnz .LBB61_244
; %bb.243:
	v_mul_hi_u32 v3, s44, v1
	v_add_u32_e32 v3, v1, v3
	v_lshrrev_b32_e32 v3, s45, v3
	v_mul_lo_u32 v3, v3, s23
	v_sub_u32_e32 v3, v1, v3
	v_mad_u64_u32 v[0:1], s[0:1], v3, s26, v[0:1]
	v_mad_u64_u32 v[2:3], s[0:1], v3, s27, v[2:3]
.LBB61_244:
	global_load_dwordx2 v[1:2], v2, s[18:19]
	s_waitcnt vmcnt(0)
	v_cmp_ne_u64_e32 vcc, s[40:41], v[1:2]
	s_xor_b64 s[0:1], s[42:43], vcc
	v_cndmask_b32_e64 v1, 0, 1, s[0:1]
	global_store_byte v0, v1, s[16:17]
	s_or_b64 exec, exec, s[52:53]
                                        ; implicit-def: $vgpr25
                                        ; implicit-def: $vgpr19
	s_andn2_saveexec_b64 s[0:1], s[38:39]
	s_cbranch_execz .LBB61_221
	s_branch .LBB61_8
	.section	.rodata,"a",@progbits
	.p2align	6, 0x0
	.amdhsa_kernel _ZN2at6native32elementwise_kernel_manual_unrollILi128ELi8EZNS0_22gpu_kernel_impl_nocastINS0_13AUnaryFunctorIllbNS0_12_GLOBAL__N_116CompareEqFunctorIlEEEEEEvRNS_18TensorIteratorBaseERKT_EUlibE_EEviT1_
		.amdhsa_group_segment_fixed_size 0
		.amdhsa_private_segment_fixed_size 0
		.amdhsa_kernarg_size 368
		.amdhsa_user_sgpr_count 6
		.amdhsa_user_sgpr_private_segment_buffer 1
		.amdhsa_user_sgpr_dispatch_ptr 0
		.amdhsa_user_sgpr_queue_ptr 0
		.amdhsa_user_sgpr_kernarg_segment_ptr 1
		.amdhsa_user_sgpr_dispatch_id 0
		.amdhsa_user_sgpr_flat_scratch_init 0
		.amdhsa_user_sgpr_private_segment_size 0
		.amdhsa_uses_dynamic_stack 0
		.amdhsa_system_sgpr_private_segment_wavefront_offset 0
		.amdhsa_system_sgpr_workgroup_id_x 1
		.amdhsa_system_sgpr_workgroup_id_y 0
		.amdhsa_system_sgpr_workgroup_id_z 0
		.amdhsa_system_sgpr_workgroup_info 0
		.amdhsa_system_vgpr_workitem_id 0
		.amdhsa_next_free_vgpr 28
		.amdhsa_next_free_sgpr 64
		.amdhsa_reserve_vcc 1
		.amdhsa_reserve_flat_scratch 0
		.amdhsa_float_round_mode_32 0
		.amdhsa_float_round_mode_16_64 0
		.amdhsa_float_denorm_mode_32 3
		.amdhsa_float_denorm_mode_16_64 3
		.amdhsa_dx10_clamp 1
		.amdhsa_ieee_mode 1
		.amdhsa_fp16_overflow 0
		.amdhsa_exception_fp_ieee_invalid_op 0
		.amdhsa_exception_fp_denorm_src 0
		.amdhsa_exception_fp_ieee_div_zero 0
		.amdhsa_exception_fp_ieee_overflow 0
		.amdhsa_exception_fp_ieee_underflow 0
		.amdhsa_exception_fp_ieee_inexact 0
		.amdhsa_exception_int_div_zero 0
	.end_amdhsa_kernel
	.section	.text._ZN2at6native32elementwise_kernel_manual_unrollILi128ELi8EZNS0_22gpu_kernel_impl_nocastINS0_13AUnaryFunctorIllbNS0_12_GLOBAL__N_116CompareEqFunctorIlEEEEEEvRNS_18TensorIteratorBaseERKT_EUlibE_EEviT1_,"axG",@progbits,_ZN2at6native32elementwise_kernel_manual_unrollILi128ELi8EZNS0_22gpu_kernel_impl_nocastINS0_13AUnaryFunctorIllbNS0_12_GLOBAL__N_116CompareEqFunctorIlEEEEEEvRNS_18TensorIteratorBaseERKT_EUlibE_EEviT1_,comdat
.Lfunc_end61:
	.size	_ZN2at6native32elementwise_kernel_manual_unrollILi128ELi8EZNS0_22gpu_kernel_impl_nocastINS0_13AUnaryFunctorIllbNS0_12_GLOBAL__N_116CompareEqFunctorIlEEEEEEvRNS_18TensorIteratorBaseERKT_EUlibE_EEviT1_, .Lfunc_end61-_ZN2at6native32elementwise_kernel_manual_unrollILi128ELi8EZNS0_22gpu_kernel_impl_nocastINS0_13AUnaryFunctorIllbNS0_12_GLOBAL__N_116CompareEqFunctorIlEEEEEEvRNS_18TensorIteratorBaseERKT_EUlibE_EEviT1_
                                        ; -- End function
	.set _ZN2at6native32elementwise_kernel_manual_unrollILi128ELi8EZNS0_22gpu_kernel_impl_nocastINS0_13AUnaryFunctorIllbNS0_12_GLOBAL__N_116CompareEqFunctorIlEEEEEEvRNS_18TensorIteratorBaseERKT_EUlibE_EEviT1_.num_vgpr, 28
	.set _ZN2at6native32elementwise_kernel_manual_unrollILi128ELi8EZNS0_22gpu_kernel_impl_nocastINS0_13AUnaryFunctorIllbNS0_12_GLOBAL__N_116CompareEqFunctorIlEEEEEEvRNS_18TensorIteratorBaseERKT_EUlibE_EEviT1_.num_agpr, 0
	.set _ZN2at6native32elementwise_kernel_manual_unrollILi128ELi8EZNS0_22gpu_kernel_impl_nocastINS0_13AUnaryFunctorIllbNS0_12_GLOBAL__N_116CompareEqFunctorIlEEEEEEvRNS_18TensorIteratorBaseERKT_EUlibE_EEviT1_.numbered_sgpr, 64
	.set _ZN2at6native32elementwise_kernel_manual_unrollILi128ELi8EZNS0_22gpu_kernel_impl_nocastINS0_13AUnaryFunctorIllbNS0_12_GLOBAL__N_116CompareEqFunctorIlEEEEEEvRNS_18TensorIteratorBaseERKT_EUlibE_EEviT1_.num_named_barrier, 0
	.set _ZN2at6native32elementwise_kernel_manual_unrollILi128ELi8EZNS0_22gpu_kernel_impl_nocastINS0_13AUnaryFunctorIllbNS0_12_GLOBAL__N_116CompareEqFunctorIlEEEEEEvRNS_18TensorIteratorBaseERKT_EUlibE_EEviT1_.private_seg_size, 0
	.set _ZN2at6native32elementwise_kernel_manual_unrollILi128ELi8EZNS0_22gpu_kernel_impl_nocastINS0_13AUnaryFunctorIllbNS0_12_GLOBAL__N_116CompareEqFunctorIlEEEEEEvRNS_18TensorIteratorBaseERKT_EUlibE_EEviT1_.uses_vcc, 1
	.set _ZN2at6native32elementwise_kernel_manual_unrollILi128ELi8EZNS0_22gpu_kernel_impl_nocastINS0_13AUnaryFunctorIllbNS0_12_GLOBAL__N_116CompareEqFunctorIlEEEEEEvRNS_18TensorIteratorBaseERKT_EUlibE_EEviT1_.uses_flat_scratch, 0
	.set _ZN2at6native32elementwise_kernel_manual_unrollILi128ELi8EZNS0_22gpu_kernel_impl_nocastINS0_13AUnaryFunctorIllbNS0_12_GLOBAL__N_116CompareEqFunctorIlEEEEEEvRNS_18TensorIteratorBaseERKT_EUlibE_EEviT1_.has_dyn_sized_stack, 0
	.set _ZN2at6native32elementwise_kernel_manual_unrollILi128ELi8EZNS0_22gpu_kernel_impl_nocastINS0_13AUnaryFunctorIllbNS0_12_GLOBAL__N_116CompareEqFunctorIlEEEEEEvRNS_18TensorIteratorBaseERKT_EUlibE_EEviT1_.has_recursion, 0
	.set _ZN2at6native32elementwise_kernel_manual_unrollILi128ELi8EZNS0_22gpu_kernel_impl_nocastINS0_13AUnaryFunctorIllbNS0_12_GLOBAL__N_116CompareEqFunctorIlEEEEEEvRNS_18TensorIteratorBaseERKT_EUlibE_EEviT1_.has_indirect_call, 0
	.section	.AMDGPU.csdata,"",@progbits
; Kernel info:
; codeLenInByte = 11444
; TotalNumSgprs: 68
; NumVgprs: 28
; ScratchSize: 0
; MemoryBound: 0
; FloatMode: 240
; IeeeMode: 1
; LDSByteSize: 0 bytes/workgroup (compile time only)
; SGPRBlocks: 8
; VGPRBlocks: 6
; NumSGPRsForWavesPerEU: 68
; NumVGPRsForWavesPerEU: 28
; Occupancy: 9
; WaveLimiterHint : 1
; COMPUTE_PGM_RSRC2:SCRATCH_EN: 0
; COMPUTE_PGM_RSRC2:USER_SGPR: 6
; COMPUTE_PGM_RSRC2:TRAP_HANDLER: 0
; COMPUTE_PGM_RSRC2:TGID_X_EN: 1
; COMPUTE_PGM_RSRC2:TGID_Y_EN: 0
; COMPUTE_PGM_RSRC2:TGID_Z_EN: 0
; COMPUTE_PGM_RSRC2:TIDIG_COMP_CNT: 0
	.section	.text._ZN2at6native32elementwise_kernel_manual_unrollILi128ELi4EZNS0_15gpu_kernel_implINS0_13AUnaryFunctorIllbNS0_12_GLOBAL__N_116CompareEqFunctorIlEEEEEEvRNS_18TensorIteratorBaseERKT_EUlibE_EEviT1_,"axG",@progbits,_ZN2at6native32elementwise_kernel_manual_unrollILi128ELi4EZNS0_15gpu_kernel_implINS0_13AUnaryFunctorIllbNS0_12_GLOBAL__N_116CompareEqFunctorIlEEEEEEvRNS_18TensorIteratorBaseERKT_EUlibE_EEviT1_,comdat
	.globl	_ZN2at6native32elementwise_kernel_manual_unrollILi128ELi4EZNS0_15gpu_kernel_implINS0_13AUnaryFunctorIllbNS0_12_GLOBAL__N_116CompareEqFunctorIlEEEEEEvRNS_18TensorIteratorBaseERKT_EUlibE_EEviT1_ ; -- Begin function _ZN2at6native32elementwise_kernel_manual_unrollILi128ELi4EZNS0_15gpu_kernel_implINS0_13AUnaryFunctorIllbNS0_12_GLOBAL__N_116CompareEqFunctorIlEEEEEEvRNS_18TensorIteratorBaseERKT_EUlibE_EEviT1_
	.p2align	8
	.type	_ZN2at6native32elementwise_kernel_manual_unrollILi128ELi4EZNS0_15gpu_kernel_implINS0_13AUnaryFunctorIllbNS0_12_GLOBAL__N_116CompareEqFunctorIlEEEEEEvRNS_18TensorIteratorBaseERKT_EUlibE_EEviT1_,@function
_ZN2at6native32elementwise_kernel_manual_unrollILi128ELi4EZNS0_15gpu_kernel_implINS0_13AUnaryFunctorIllbNS0_12_GLOBAL__N_116CompareEqFunctorIlEEEEEEvRNS_18TensorIteratorBaseERKT_EUlibE_EEviT1_: ; @_ZN2at6native32elementwise_kernel_manual_unrollILi128ELi4EZNS0_15gpu_kernel_implINS0_13AUnaryFunctorIllbNS0_12_GLOBAL__N_116CompareEqFunctorIlEEEEEEvRNS_18TensorIteratorBaseERKT_EUlibE_EEviT1_
; %bb.0:
	s_load_dword s33, s[4:5], 0x30
	s_load_dwordx2 s[2:3], s[4:5], 0x28
	s_load_dword s44, s[4:5], 0x0
	s_load_dwordx8 s[8:15], s[4:5], 0x8
	v_lshl_or_b32 v10, s6, 9, v0
	v_or_b32_e32 v0, 0x180, v10
	s_waitcnt lgkmcnt(0)
	s_bfe_u32 s15, s33, 0x80008
	v_cmp_le_i32_e32 vcc, s44, v0
	s_mov_b64 s[4:5], 0
	s_mov_b64 s[16:17], 0
	s_and_saveexec_b64 s[0:1], vcc
	s_xor_b64 s[6:7], exec, s[0:1]
	s_cbranch_execz .LBB62_1011
; %bb.1:
	s_cmp_eq_u32 s14, 0
	s_cselect_b64 s[16:17], -1, 0
	v_cmp_gt_i32_e32 vcc, s44, v10
	s_mov_b64 s[24:25], -1
	s_mov_b64 s[26:27], 0
	s_mov_b64 s[20:21], 0
	;; [unrolled: 1-line block ×3, first 2 shown]
	s_and_saveexec_b64 s[22:23], vcc
	s_cbranch_execz .LBB62_248
; %bb.2:
	v_mul_lo_u32 v0, v10, s13
	v_mov_b32_e32 v1, s11
	s_and_b32 s24, 0xffff, s15
	s_cmp_lt_i32 s24, 11
	v_ashrrev_i32_e32 v2, 31, v0
	v_add_co_u32_e32 v0, vcc, s10, v0
	v_addc_co_u32_e32 v1, vcc, v1, v2, vcc
	s_cbranch_scc1 .LBB62_9
; %bb.3:
	s_cmp_gt_i32 s24, 25
	s_cbranch_scc0 .LBB62_18
; %bb.4:
	s_cmp_gt_i32 s24, 28
	s_cbranch_scc0 .LBB62_22
	;; [unrolled: 3-line block ×4, first 2 shown]
; %bb.7:
	s_cmp_eq_u32 s24, 46
	s_cbranch_scc0 .LBB62_28
; %bb.8:
	global_load_dword v2, v[0:1], off
	s_mov_b32 s0, 0x2f800000
	s_mov_b32 s1, 0xcf800000
	s_waitcnt vmcnt(0)
	v_lshlrev_b32_e32 v2, 16, v2
	v_trunc_f32_e32 v2, v2
	v_mul_f32_e64 v3, |v2|, s0
	v_floor_f32_e32 v3, v3
	v_fma_f32 v4, v3, s1, |v2|
	v_cvt_u32_f32_e32 v4, v4
	v_cvt_u32_f32_e32 v3, v3
	v_ashrrev_i32_e32 v5, 31, v2
	s_mov_b64 s[0:1], -1
	v_xor_b32_e32 v2, v4, v5
	v_xor_b32_e32 v3, v3, v5
	v_sub_co_u32_e32 v2, vcc, v2, v5
	v_subb_co_u32_e32 v3, vcc, v3, v5, vcc
	s_branch .LBB62_30
.LBB62_9:
                                        ; implicit-def: $vgpr2_vgpr3
	s_mov_b64 s[0:1], 0
	s_cbranch_execnz .LBB62_199
.LBB62_10:
	s_andn2_b64 vcc, exec, s[0:1]
	s_cbranch_vccnz .LBB62_246
.LBB62_11:
	v_mul_lo_u32 v0, v10, s12
	s_waitcnt vmcnt(0)
	v_cmp_ne_u64_e32 vcc, s[2:3], v[2:3]
	v_mov_b32_e32 v1, s9
	s_xor_b64 s[18:19], s[16:17], vcc
	v_ashrrev_i32_e32 v2, 31, v0
	s_and_b32 s34, s33, 0xff
	v_add_co_u32_e32 v0, vcc, s8, v0
	s_cmp_lt_i32 s34, 11
	v_addc_co_u32_e32 v1, vcc, v1, v2, vcc
	s_cbranch_scc1 .LBB62_19
; %bb.12:
	s_and_b32 s35, 0xffff, s34
	s_cmp_gt_i32 s35, 25
	s_cbranch_scc0 .LBB62_23
; %bb.13:
	s_cmp_gt_i32 s35, 28
	s_cbranch_scc0 .LBB62_25
; %bb.14:
	;; [unrolled: 3-line block ×4, first 2 shown]
	s_mov_b64 s[28:29], 0
	s_mov_b64 s[0:1], -1
	s_cmp_eq_u32 s35, 46
	s_mov_b64 s[24:25], 0
	s_cbranch_scc0 .LBB62_34
; %bb.17:
	v_cndmask_b32_e64 v2, 0, 1.0, s[18:19]
	v_bfe_u32 v3, v2, 16, 1
	s_movk_i32 s0, 0x7fff
	v_add3_u32 v2, v2, v3, s0
	v_lshrrev_b32_e32 v2, 16, v2
	global_store_dword v[0:1], v2, off
	s_mov_b64 s[24:25], -1
	s_mov_b64 s[0:1], 0
	s_branch .LBB62_34
.LBB62_18:
	s_mov_b64 s[0:1], 0
                                        ; implicit-def: $vgpr2_vgpr3
	s_cbranch_execnz .LBB62_168
	s_branch .LBB62_198
.LBB62_19:
	s_mov_b64 s[0:1], 0
	s_mov_b64 s[24:25], 0
	s_cbranch_execnz .LBB62_103
.LBB62_20:
	s_andn2_b64 vcc, exec, s[24:25]
	s_cbranch_vccnz .LBB62_141
.LBB62_21:
	v_add_u32_e32 v10, 0x80, v10
	s_mov_b64 s[24:25], -1
	s_branch .LBB62_247
.LBB62_22:
	s_mov_b64 s[18:19], -1
	s_mov_b64 s[0:1], 0
                                        ; implicit-def: $vgpr2_vgpr3
	s_branch .LBB62_149
.LBB62_23:
	s_mov_b64 s[28:29], -1
	s_mov_b64 s[0:1], 0
	s_mov_b64 s[24:25], 0
	s_branch .LBB62_61
.LBB62_24:
	s_mov_b64 s[18:19], -1
	s_mov_b64 s[0:1], 0
                                        ; implicit-def: $vgpr2_vgpr3
	s_branch .LBB62_144
.LBB62_25:
	s_mov_b64 s[28:29], -1
	s_mov_b64 s[0:1], 0
	s_mov_b64 s[24:25], 0
	s_branch .LBB62_44
.LBB62_26:
	s_mov_b64 s[18:19], -1
	s_branch .LBB62_29
.LBB62_27:
	s_mov_b64 s[28:29], -1
	s_mov_b64 s[0:1], 0
	s_mov_b64 s[24:25], 0
	s_branch .LBB62_40
.LBB62_28:
	s_mov_b64 s[20:21], -1
.LBB62_29:
	s_mov_b64 s[0:1], 0
                                        ; implicit-def: $vgpr2_vgpr3
.LBB62_30:
	s_and_b64 vcc, exec, s[18:19]
	s_cbranch_vccz .LBB62_143
; %bb.31:
	s_cmp_eq_u32 s24, 44
	s_cbranch_scc0 .LBB62_142
; %bb.32:
	global_load_ubyte v2, v[0:1], off
	s_mov_b32 s0, 0x2f800000
	s_mov_b32 s1, 0xcf800000
	s_mov_b64 s[20:21], 0
	s_waitcnt vmcnt(0)
	v_lshlrev_b32_e32 v3, 23, v2
	v_trunc_f32_e32 v3, v3
	v_mul_f32_e64 v4, |v3|, s0
	v_floor_f32_e32 v4, v4
	v_fma_f32 v5, v4, s1, |v3|
	v_cvt_u32_f32_e32 v5, v5
	v_cvt_u32_f32_e32 v4, v4
	v_ashrrev_i32_e32 v3, 31, v3
	s_mov_b64 s[0:1], -1
	v_xor_b32_e32 v5, v5, v3
	v_xor_b32_e32 v4, v4, v3
	v_sub_co_u32_e32 v5, vcc, v5, v3
	v_subb_co_u32_e32 v3, vcc, v4, v3, vcc
	v_cmp_ne_u32_e32 vcc, 0, v2
	v_cndmask_b32_e32 v3, 0, v3, vcc
	v_cndmask_b32_e32 v2, 0, v5, vcc
	s_branch .LBB62_143
.LBB62_33:
	s_mov_b64 s[28:29], -1
	s_mov_b64 s[0:1], 0
	s_mov_b64 s[24:25], 0
.LBB62_34:
	s_and_b64 vcc, exec, s[28:29]
	s_cbranch_vccz .LBB62_39
; %bb.35:
	s_cmp_eq_u32 s35, 44
	s_mov_b64 s[0:1], -1
	s_cbranch_scc0 .LBB62_39
; %bb.36:
	v_cndmask_b32_e64 v3, 0, 1.0, s[18:19]
	v_lshrrev_b32_e32 v2, 23, v3
	s_movk_i32 s0, 0xff
	v_cmp_ne_u32_e32 vcc, s0, v2
	v_mov_b32_e32 v4, 0xff
	s_and_saveexec_b64 s[24:25], vcc
; %bb.37:
	s_mov_b32 s0, 0x3fffff
	v_and_b32_e32 v4, 0x400000, v3
	v_and_or_b32 v3, v3, s0, v2
	v_cmp_ne_u32_e32 vcc, 0, v4
	v_cmp_ne_u32_e64 s[0:1], 0, v3
	s_and_b64 s[0:1], vcc, s[0:1]
	v_cndmask_b32_e64 v3, 0, 1, s[0:1]
	v_add_u32_e32 v4, v2, v3
; %bb.38:
	s_or_b64 exec, exec, s[24:25]
	s_mov_b64 s[24:25], -1
	s_mov_b64 s[0:1], 0
	global_store_byte v[0:1], v4, off
.LBB62_39:
	s_mov_b64 s[28:29], 0
.LBB62_40:
	s_and_b64 vcc, exec, s[28:29]
	s_cbranch_vccz .LBB62_43
; %bb.41:
	s_cmp_eq_u32 s35, 29
	s_mov_b64 s[0:1], -1
	s_cbranch_scc0 .LBB62_43
; %bb.42:
	s_mov_b32 s0, 0
	v_cndmask_b32_e64 v2, 0, 1, s[18:19]
	v_mov_b32_e32 v3, s0
	global_store_dwordx2 v[0:1], v[2:3], off
	s_mov_b64 s[24:25], -1
	s_mov_b64 s[0:1], 0
.LBB62_43:
	s_mov_b64 s[28:29], 0
.LBB62_44:
	s_and_b64 vcc, exec, s[28:29]
	s_cbranch_vccz .LBB62_60
; %bb.45:
	s_cmp_lt_i32 s35, 27
	s_mov_b64 s[24:25], -1
	s_cbranch_scc1 .LBB62_51
; %bb.46:
	s_cmp_gt_i32 s35, 27
	s_cbranch_scc0 .LBB62_48
; %bb.47:
	v_cndmask_b32_e64 v2, 0, 1, s[18:19]
	s_mov_b64 s[24:25], 0
	global_store_dword v[0:1], v2, off
.LBB62_48:
	s_andn2_b64 vcc, exec, s[24:25]
	s_cbranch_vccnz .LBB62_50
; %bb.49:
	v_cndmask_b32_e64 v2, 0, 1, s[18:19]
	global_store_short v[0:1], v2, off
.LBB62_50:
	s_mov_b64 s[24:25], 0
.LBB62_51:
	s_andn2_b64 vcc, exec, s[24:25]
	s_cbranch_vccnz .LBB62_59
; %bb.52:
	v_cndmask_b32_e64 v3, 0, 1.0, s[18:19]
	s_mov_b32 s24, 0x43800000
	v_cmp_gt_u32_e32 vcc, s24, v3
	v_mov_b32_e32 v4, 0x80
	s_and_saveexec_b64 s[24:25], vcc
	s_cbranch_execz .LBB62_58
; %bb.53:
	s_mov_b32 s28, 0x3bffffff
	v_cmp_lt_u32_e32 vcc, s28, v3
	s_mov_b64 s[28:29], 0
                                        ; implicit-def: $vgpr2
	s_and_saveexec_b64 s[30:31], vcc
	s_xor_b64 s[30:31], exec, s[30:31]
	s_cbranch_execz .LBB62_275
; %bb.54:
	v_bfe_u32 v2, v3, 20, 1
	s_mov_b32 s36, 0x487ffff
	v_add3_u32 v2, v3, v2, s36
	s_mov_b64 s[28:29], exec
	v_lshrrev_b32_e32 v2, 20, v2
                                        ; implicit-def: $vgpr3
	s_andn2_saveexec_b64 s[30:31], s[30:31]
	s_cbranch_execnz .LBB62_276
.LBB62_55:
	s_or_b64 exec, exec, s[30:31]
	v_mov_b32_e32 v4, 0
	s_and_saveexec_b64 s[30:31], s[28:29]
.LBB62_56:
	v_mov_b32_e32 v4, v2
.LBB62_57:
	s_or_b64 exec, exec, s[30:31]
.LBB62_58:
	s_or_b64 exec, exec, s[24:25]
	global_store_byte v[0:1], v4, off
.LBB62_59:
	s_mov_b64 s[24:25], -1
.LBB62_60:
	s_mov_b64 s[28:29], 0
.LBB62_61:
	s_and_b64 vcc, exec, s[28:29]
	s_cbranch_vccz .LBB62_102
; %bb.62:
	s_cmp_gt_i32 s35, 22
	s_mov_b64 s[28:29], -1
	s_cbranch_scc0 .LBB62_94
; %bb.63:
	s_cmp_lt_i32 s35, 24
	s_mov_b64 s[24:25], -1
	s_cbranch_scc1 .LBB62_83
; %bb.64:
	s_cmp_gt_i32 s35, 24
	s_cbranch_scc0 .LBB62_72
; %bb.65:
	v_cndmask_b32_e64 v3, 0, 1.0, s[18:19]
	s_mov_b32 s24, 0x47800000
	v_cmp_gt_u32_e32 vcc, s24, v3
	v_mov_b32_e32 v4, 0x80
	s_and_saveexec_b64 s[24:25], vcc
	s_cbranch_execz .LBB62_71
; %bb.66:
	s_mov_b32 s28, 0x37ffffff
	v_cmp_lt_u32_e32 vcc, s28, v3
	s_mov_b64 s[28:29], 0
                                        ; implicit-def: $vgpr2
	s_and_saveexec_b64 s[30:31], vcc
	s_xor_b64 s[30:31], exec, s[30:31]
	s_cbranch_execz .LBB62_279
; %bb.67:
	v_bfe_u32 v2, v3, 21, 1
	s_mov_b32 s36, 0x88fffff
	v_add3_u32 v2, v3, v2, s36
	s_mov_b64 s[28:29], exec
	v_lshrrev_b32_e32 v2, 21, v2
                                        ; implicit-def: $vgpr3
	s_andn2_saveexec_b64 s[30:31], s[30:31]
	s_cbranch_execnz .LBB62_280
.LBB62_68:
	s_or_b64 exec, exec, s[30:31]
	v_mov_b32_e32 v4, 0
	s_and_saveexec_b64 s[30:31], s[28:29]
.LBB62_69:
	v_mov_b32_e32 v4, v2
.LBB62_70:
	s_or_b64 exec, exec, s[30:31]
.LBB62_71:
	s_or_b64 exec, exec, s[24:25]
	s_mov_b64 s[24:25], 0
	global_store_byte v[0:1], v4, off
.LBB62_72:
	s_and_b64 vcc, exec, s[24:25]
	s_cbranch_vccz .LBB62_82
; %bb.73:
	v_cndmask_b32_e64 v2, 0, 1.0, s[18:19]
	s_mov_b32 s24, 0x43f00000
	v_cmp_gt_u32_e32 vcc, s24, v2
                                        ; implicit-def: $vgpr3
	s_and_saveexec_b64 s[24:25], vcc
	s_xor_b64 s[24:25], exec, s[24:25]
	s_cbranch_execz .LBB62_79
; %bb.74:
	s_mov_b32 s28, 0x3c7fffff
	v_cmp_lt_u32_e32 vcc, s28, v2
                                        ; implicit-def: $vgpr3
	s_and_saveexec_b64 s[28:29], vcc
	s_xor_b64 s[28:29], exec, s[28:29]
; %bb.75:
	v_bfe_u32 v3, v2, 20, 1
	s_mov_b32 s30, 0x407ffff
	v_add3_u32 v2, v2, v3, s30
	v_lshrrev_b32_e32 v3, 20, v2
	v_and_b32_e32 v2, 0xff00000, v2
	s_mov_b32 s30, 0x7f00000
	v_mov_b32_e32 v4, 0x7e
	v_cmp_ne_u32_e32 vcc, s30, v2
	v_cndmask_b32_e32 v3, v4, v3, vcc
                                        ; implicit-def: $vgpr2
; %bb.76:
	s_andn2_saveexec_b64 s[28:29], s[28:29]
; %bb.77:
	v_add_f32_e32 v3, 0x46800000, v2
; %bb.78:
	s_or_b64 exec, exec, s[28:29]
                                        ; implicit-def: $vgpr2
.LBB62_79:
	s_andn2_saveexec_b64 s[24:25], s[24:25]
; %bb.80:
	s_mov_b32 s28, 0x7f800000
	v_mov_b32_e32 v3, 0x7e
	v_mov_b32_e32 v4, 0x7f
	v_cmp_lt_u32_e32 vcc, s28, v2
	v_cndmask_b32_e32 v3, v3, v4, vcc
; %bb.81:
	s_or_b64 exec, exec, s[24:25]
	global_store_byte v[0:1], v3, off
.LBB62_82:
	s_mov_b64 s[24:25], 0
.LBB62_83:
	s_andn2_b64 vcc, exec, s[24:25]
	s_cbranch_vccnz .LBB62_93
; %bb.84:
	v_cndmask_b32_e64 v2, 0, 1.0, s[18:19]
	s_mov_b32 s24, 0x47800000
	v_cmp_gt_u32_e32 vcc, s24, v2
                                        ; implicit-def: $vgpr3
	s_and_saveexec_b64 s[24:25], vcc
	s_xor_b64 s[24:25], exec, s[24:25]
	s_cbranch_execz .LBB62_90
; %bb.85:
	s_mov_b32 s28, 0x387fffff
	v_cmp_lt_u32_e32 vcc, s28, v2
                                        ; implicit-def: $vgpr3
	s_and_saveexec_b64 s[28:29], vcc
	s_xor_b64 s[28:29], exec, s[28:29]
; %bb.86:
	v_bfe_u32 v3, v2, 21, 1
	s_mov_b32 s30, 0x80fffff
	v_add3_u32 v2, v2, v3, s30
	v_lshrrev_b32_e32 v3, 21, v2
                                        ; implicit-def: $vgpr2
; %bb.87:
	s_andn2_saveexec_b64 s[28:29], s[28:29]
; %bb.88:
	v_add_f32_e32 v3, 0x43000000, v2
; %bb.89:
	s_or_b64 exec, exec, s[28:29]
                                        ; implicit-def: $vgpr2
.LBB62_90:
	s_andn2_saveexec_b64 s[24:25], s[24:25]
; %bb.91:
	s_mov_b32 s28, 0x7f800000
	v_mov_b32_e32 v3, 0x7c
	v_mov_b32_e32 v4, 0x7f
	v_cmp_lt_u32_e32 vcc, s28, v2
	v_cndmask_b32_e32 v3, v3, v4, vcc
; %bb.92:
	s_or_b64 exec, exec, s[24:25]
	global_store_byte v[0:1], v3, off
.LBB62_93:
	s_mov_b64 s[28:29], 0
	s_mov_b64 s[24:25], -1
.LBB62_94:
	s_andn2_b64 vcc, exec, s[28:29]
	s_cbranch_vccnz .LBB62_102
; %bb.95:
	s_cmp_gt_i32 s35, 14
	s_mov_b64 s[28:29], -1
	s_cbranch_scc0 .LBB62_99
; %bb.96:
	s_cmp_eq_u32 s35, 15
	s_mov_b64 s[0:1], -1
	s_cbranch_scc0 .LBB62_98
; %bb.97:
	v_cndmask_b32_e64 v2, 0, 1.0, s[18:19]
	v_bfe_u32 v3, v2, 16, 1
	s_movk_i32 s0, 0x7fff
	v_add3_u32 v2, v2, v3, s0
	global_store_short_d16_hi v[0:1], v2, off
	s_mov_b64 s[24:25], -1
	s_mov_b64 s[0:1], 0
.LBB62_98:
	s_mov_b64 s[28:29], 0
.LBB62_99:
	s_and_b64 vcc, exec, s[28:29]
	s_cbranch_vccz .LBB62_102
; %bb.100:
	s_cmp_eq_u32 s35, 11
	s_mov_b64 s[0:1], -1
	s_cbranch_scc0 .LBB62_102
; %bb.101:
	v_cndmask_b32_e64 v2, 0, 1, s[18:19]
	s_mov_b64 s[24:25], -1
	s_mov_b64 s[0:1], 0
	global_store_byte v[0:1], v2, off
.LBB62_102:
	s_branch .LBB62_20
.LBB62_103:
	s_and_b32 s28, 0xffff, s34
	s_cmp_lt_i32 s28, 5
	s_mov_b64 s[24:25], -1
	s_cbranch_scc1 .LBB62_124
; %bb.104:
	s_cmp_lt_i32 s28, 8
	s_cbranch_scc1 .LBB62_114
; %bb.105:
	s_cmp_lt_i32 s28, 9
	s_cbranch_scc1 .LBB62_111
; %bb.106:
	s_cmp_gt_i32 s28, 9
	s_cbranch_scc0 .LBB62_108
; %bb.107:
	v_cndmask_b32_e64 v2, 0, 1, s[18:19]
	v_cvt_f64_u32_e32 v[2:3], v2
	v_mov_b32_e32 v4, 0
	v_mov_b32_e32 v5, v4
	s_mov_b64 s[24:25], 0
	global_store_dwordx4 v[0:1], v[2:5], off
.LBB62_108:
	s_andn2_b64 vcc, exec, s[24:25]
	s_cbranch_vccnz .LBB62_110
; %bb.109:
	v_cndmask_b32_e64 v2, 0, 1.0, s[18:19]
	v_mov_b32_e32 v3, 0
	global_store_dwordx2 v[0:1], v[2:3], off
.LBB62_110:
	s_mov_b64 s[24:25], 0
.LBB62_111:
	s_andn2_b64 vcc, exec, s[24:25]
	s_cbranch_vccnz .LBB62_113
; %bb.112:
	v_cndmask_b32_e64 v2, 0, 1.0, s[18:19]
	v_cvt_f16_f32_e32 v2, v2
	global_store_dword v[0:1], v2, off
.LBB62_113:
	s_mov_b64 s[24:25], 0
.LBB62_114:
	s_andn2_b64 vcc, exec, s[24:25]
	s_cbranch_vccnz .LBB62_123
; %bb.115:
	s_cmp_lt_i32 s28, 6
	s_mov_b64 s[24:25], -1
	s_cbranch_scc1 .LBB62_121
; %bb.116:
	s_cmp_gt_i32 s28, 6
	s_cbranch_scc0 .LBB62_118
; %bb.117:
	v_cndmask_b32_e64 v2, 0, 1, s[18:19]
	v_cvt_f64_u32_e32 v[2:3], v2
	s_mov_b64 s[24:25], 0
	global_store_dwordx2 v[0:1], v[2:3], off
.LBB62_118:
	s_andn2_b64 vcc, exec, s[24:25]
	s_cbranch_vccnz .LBB62_120
; %bb.119:
	v_cndmask_b32_e64 v2, 0, 1.0, s[18:19]
	global_store_dword v[0:1], v2, off
.LBB62_120:
	s_mov_b64 s[24:25], 0
.LBB62_121:
	s_andn2_b64 vcc, exec, s[24:25]
	s_cbranch_vccnz .LBB62_123
; %bb.122:
	v_cndmask_b32_e64 v2, 0, 1.0, s[18:19]
	v_cvt_f16_f32_e32 v2, v2
	global_store_short v[0:1], v2, off
.LBB62_123:
	s_mov_b64 s[24:25], 0
.LBB62_124:
	s_andn2_b64 vcc, exec, s[24:25]
	s_cbranch_vccnz .LBB62_140
; %bb.125:
	s_cmp_lt_i32 s28, 2
	s_mov_b64 s[24:25], -1
	s_cbranch_scc1 .LBB62_135
; %bb.126:
	s_cmp_lt_i32 s28, 3
	s_cbranch_scc1 .LBB62_132
; %bb.127:
	s_cmp_gt_i32 s28, 3
	s_cbranch_scc0 .LBB62_129
; %bb.128:
	s_mov_b32 s24, 0
	v_cndmask_b32_e64 v2, 0, 1, s[18:19]
	v_mov_b32_e32 v3, s24
	global_store_dwordx2 v[0:1], v[2:3], off
	s_mov_b64 s[24:25], 0
.LBB62_129:
	s_andn2_b64 vcc, exec, s[24:25]
	s_cbranch_vccnz .LBB62_131
; %bb.130:
	v_cndmask_b32_e64 v2, 0, 1, s[18:19]
	global_store_dword v[0:1], v2, off
.LBB62_131:
	s_mov_b64 s[24:25], 0
.LBB62_132:
	s_andn2_b64 vcc, exec, s[24:25]
	s_cbranch_vccnz .LBB62_134
; %bb.133:
	v_cndmask_b32_e64 v2, 0, 1, s[18:19]
	global_store_short v[0:1], v2, off
.LBB62_134:
	s_mov_b64 s[24:25], 0
.LBB62_135:
	s_andn2_b64 vcc, exec, s[24:25]
	s_cbranch_vccnz .LBB62_140
; %bb.136:
	s_mov_b64 s[24:25], -1
	s_cmp_gt_i32 s28, 0
	v_cndmask_b32_e64 v2, 0, 1, s[18:19]
	s_cbranch_scc0 .LBB62_138
; %bb.137:
	global_store_byte v[0:1], v2, off
	s_mov_b64 s[24:25], 0
.LBB62_138:
	s_andn2_b64 vcc, exec, s[24:25]
	s_cbranch_vccnz .LBB62_140
; %bb.139:
	global_store_byte v[0:1], v2, off
.LBB62_140:
	s_branch .LBB62_21
.LBB62_141:
	s_mov_b64 s[24:25], 0
                                        ; implicit-def: $vgpr10
	s_branch .LBB62_247
.LBB62_142:
	s_mov_b64 s[20:21], -1
                                        ; implicit-def: $vgpr2_vgpr3
.LBB62_143:
	s_mov_b64 s[18:19], 0
.LBB62_144:
	s_and_b64 vcc, exec, s[18:19]
	s_cbranch_vccz .LBB62_148
; %bb.145:
	s_cmp_eq_u32 s24, 29
	s_cbranch_scc0 .LBB62_147
; %bb.146:
	global_load_dwordx2 v[2:3], v[0:1], off
	s_mov_b64 s[0:1], -1
	s_mov_b64 s[20:21], 0
	s_branch .LBB62_148
.LBB62_147:
	s_mov_b64 s[20:21], -1
                                        ; implicit-def: $vgpr2_vgpr3
.LBB62_148:
	s_mov_b64 s[18:19], 0
.LBB62_149:
	s_and_b64 vcc, exec, s[18:19]
	s_cbranch_vccz .LBB62_167
; %bb.150:
	s_cmp_lt_i32 s24, 27
	s_cbranch_scc1 .LBB62_153
; %bb.151:
	s_cmp_gt_i32 s24, 27
	s_cbranch_scc0 .LBB62_154
; %bb.152:
	global_load_dword v2, v[0:1], off
	s_waitcnt vmcnt(1)
	v_mov_b32_e32 v3, 0
	s_mov_b64 s[0:1], 0
	s_branch .LBB62_155
.LBB62_153:
	s_mov_b64 s[0:1], -1
                                        ; implicit-def: $vgpr2_vgpr3
	s_branch .LBB62_158
.LBB62_154:
	s_mov_b64 s[0:1], -1
                                        ; implicit-def: $vgpr2_vgpr3
.LBB62_155:
	s_andn2_b64 vcc, exec, s[0:1]
	s_cbranch_vccnz .LBB62_157
; %bb.156:
	global_load_ushort v2, v[0:1], off
	s_mov_b32 s0, 0
	s_waitcnt vmcnt(1)
	v_mov_b32_e32 v3, s0
	s_waitcnt vmcnt(0)
	v_and_b32_e32 v2, 0xffff, v2
.LBB62_157:
	s_mov_b64 s[0:1], 0
.LBB62_158:
	s_andn2_b64 vcc, exec, s[0:1]
	s_cbranch_vccnz .LBB62_166
; %bb.159:
	global_load_ubyte v4, v[0:1], off
	s_movk_i32 s0, 0x7f
	s_mov_b64 s[18:19], 0
	s_waitcnt vmcnt(0)
	v_cmp_lt_i16_e32 vcc, s0, v4
	s_and_saveexec_b64 s[0:1], vcc
	s_xor_b64 s[0:1], exec, s[0:1]
; %bb.160:
	s_movk_i32 s18, 0x80
	v_cmp_ne_u16_e32 vcc, s18, v4
	s_and_b64 s[18:19], vcc, exec
; %bb.161:
	s_andn2_saveexec_b64 s[0:1], s[0:1]
; %bb.162:
	v_cmp_ne_u16_e32 vcc, 0, v4
	s_andn2_b64 s[18:19], s[18:19], exec
	s_and_b64 s[28:29], vcc, exec
	s_or_b64 s[18:19], s[18:19], s[28:29]
; %bb.163:
	s_or_b64 exec, exec, s[0:1]
	v_mov_b32_e32 v2, 0
	v_mov_b32_e32 v3, 0
	s_and_saveexec_b64 s[0:1], s[18:19]
	s_cbranch_execz .LBB62_165
; %bb.164:
	v_and_b32_e32 v3, 0xffff, v4
	v_lshlrev_b32_e32 v2, 24, v4
	v_and_b32_e32 v4, 7, v3
	v_ffbh_u32_e32 v6, v4
	v_min_u32_e32 v6, 32, v6
	v_subrev_u32_e32 v7, 28, v6
	v_bfe_u32 v5, v3, 3, 4
	v_lshlrev_b32_e32 v3, v7, v3
	v_sub_u32_e32 v6, 29, v6
	v_and_b32_e32 v3, 7, v3
	v_cmp_eq_u32_e32 vcc, 0, v5
	v_cndmask_b32_e32 v5, v5, v6, vcc
	v_cndmask_b32_e32 v3, v4, v3, vcc
	v_mov_b32_e32 v4, 0x3b800000
	v_lshlrev_b32_e32 v3, 20, v3
	v_and_b32_e32 v2, 0x80000000, v2
	v_lshl_add_u32 v4, v5, 23, v4
	v_or3_b32 v2, v2, v4, v3
	v_trunc_f32_e32 v2, v2
	s_mov_b32 s18, 0x2f800000
	v_mul_f32_e64 v3, |v2|, s18
	v_floor_f32_e32 v3, v3
	s_mov_b32 s18, 0xcf800000
	v_fma_f32 v4, v3, s18, |v2|
	v_cvt_u32_f32_e32 v4, v4
	v_cvt_u32_f32_e32 v3, v3
	v_ashrrev_i32_e32 v5, 31, v2
	v_xor_b32_e32 v2, v4, v5
	v_xor_b32_e32 v3, v3, v5
	v_sub_co_u32_e32 v2, vcc, v2, v5
	v_subb_co_u32_e32 v3, vcc, v3, v5, vcc
.LBB62_165:
	s_or_b64 exec, exec, s[0:1]
.LBB62_166:
	s_mov_b64 s[0:1], -1
.LBB62_167:
	s_branch .LBB62_198
.LBB62_168:
	s_cmp_gt_i32 s24, 22
	s_cbranch_scc0 .LBB62_178
; %bb.169:
	s_cmp_lt_i32 s24, 24
	s_cbranch_scc1 .LBB62_179
; %bb.170:
	s_cmp_gt_i32 s24, 24
	s_cbranch_scc0 .LBB62_180
; %bb.171:
	global_load_ubyte v4, v[0:1], off
	s_movk_i32 s0, 0x7f
	s_mov_b64 s[18:19], 0
	s_waitcnt vmcnt(0)
	v_cmp_lt_i16_e32 vcc, s0, v4
	s_and_saveexec_b64 s[0:1], vcc
	s_xor_b64 s[0:1], exec, s[0:1]
; %bb.172:
	s_movk_i32 s18, 0x80
	v_cmp_ne_u16_e32 vcc, s18, v4
	s_and_b64 s[18:19], vcc, exec
; %bb.173:
	s_andn2_saveexec_b64 s[0:1], s[0:1]
; %bb.174:
	v_cmp_ne_u16_e32 vcc, 0, v4
	s_andn2_b64 s[18:19], s[18:19], exec
	s_and_b64 s[28:29], vcc, exec
	s_or_b64 s[18:19], s[18:19], s[28:29]
; %bb.175:
	s_or_b64 exec, exec, s[0:1]
	v_mov_b32_e32 v2, 0
	v_mov_b32_e32 v3, 0
	s_and_saveexec_b64 s[0:1], s[18:19]
	s_cbranch_execz .LBB62_177
; %bb.176:
	v_and_b32_e32 v3, 0xffff, v4
	v_lshlrev_b32_e32 v2, 24, v4
	v_and_b32_e32 v4, 3, v3
	v_ffbh_u32_e32 v6, v4
	v_min_u32_e32 v6, 32, v6
	v_subrev_u32_e32 v7, 29, v6
	v_bfe_u32 v5, v3, 2, 5
	v_lshlrev_b32_e32 v3, v7, v3
	v_sub_u32_e32 v6, 30, v6
	v_and_b32_e32 v3, 3, v3
	v_cmp_eq_u32_e32 vcc, 0, v5
	v_cndmask_b32_e32 v5, v5, v6, vcc
	v_cndmask_b32_e32 v3, v4, v3, vcc
	v_mov_b32_e32 v4, 0x37800000
	v_lshlrev_b32_e32 v3, 21, v3
	v_and_b32_e32 v2, 0x80000000, v2
	v_lshl_add_u32 v4, v5, 23, v4
	v_or3_b32 v2, v2, v4, v3
	v_trunc_f32_e32 v2, v2
	s_mov_b32 s18, 0x2f800000
	v_mul_f32_e64 v3, |v2|, s18
	v_floor_f32_e32 v3, v3
	s_mov_b32 s18, 0xcf800000
	v_fma_f32 v4, v3, s18, |v2|
	v_cvt_u32_f32_e32 v4, v4
	v_cvt_u32_f32_e32 v3, v3
	v_ashrrev_i32_e32 v5, 31, v2
	v_xor_b32_e32 v2, v4, v5
	v_xor_b32_e32 v3, v3, v5
	v_sub_co_u32_e32 v2, vcc, v2, v5
	v_subb_co_u32_e32 v3, vcc, v3, v5, vcc
.LBB62_177:
	s_or_b64 exec, exec, s[0:1]
	s_mov_b64 s[0:1], 0
	s_branch .LBB62_181
.LBB62_178:
	s_mov_b64 s[18:19], -1
                                        ; implicit-def: $vgpr2_vgpr3
	s_branch .LBB62_187
.LBB62_179:
	s_mov_b64 s[0:1], -1
                                        ; implicit-def: $vgpr2_vgpr3
	s_branch .LBB62_184
.LBB62_180:
	s_mov_b64 s[0:1], -1
                                        ; implicit-def: $vgpr2_vgpr3
.LBB62_181:
	s_and_b64 vcc, exec, s[0:1]
	s_cbranch_vccz .LBB62_183
; %bb.182:
	global_load_ubyte v2, v[0:1], off
	s_mov_b32 s0, 0x7f800000
	s_brev_b32 s1, 1
	s_mov_b32 s18, 0x2f800000
	s_mov_b32 s19, 0xcf800000
	s_waitcnt vmcnt(0)
	v_lshlrev_b32_e32 v2, 24, v2
	v_and_b32_e32 v3, 0x7f000000, v2
	v_ffbh_u32_e32 v4, v3
	v_min_u32_e32 v4, 32, v4
	v_sub_u32_e64 v4, v4, 4 clamp
	v_lshlrev_b32_e32 v6, v4, v3
	v_lshlrev_b32_e32 v4, 23, v4
	v_lshrrev_b32_e32 v6, 4, v6
	v_add_u32_e32 v5, 0x1000000, v3
	v_sub_u32_e32 v4, v6, v4
	v_ashrrev_i32_e32 v5, 8, v5
	v_add_u32_e32 v4, 0x3c000000, v4
	v_and_or_b32 v4, v5, s0, v4
	v_cmp_ne_u32_e32 vcc, 0, v3
	v_cndmask_b32_e32 v3, 0, v4, vcc
	v_and_or_b32 v2, v2, s1, v3
	v_trunc_f32_e32 v2, v2
	v_mul_f32_e64 v3, |v2|, s18
	v_floor_f32_e32 v3, v3
	v_fma_f32 v4, v3, s19, |v2|
	v_cvt_u32_f32_e32 v4, v4
	v_cvt_u32_f32_e32 v3, v3
	v_ashrrev_i32_e32 v5, 31, v2
	v_xor_b32_e32 v2, v4, v5
	v_xor_b32_e32 v3, v3, v5
	v_sub_co_u32_e32 v2, vcc, v2, v5
	v_subb_co_u32_e32 v3, vcc, v3, v5, vcc
.LBB62_183:
	s_mov_b64 s[0:1], 0
.LBB62_184:
	s_andn2_b64 vcc, exec, s[0:1]
	s_cbranch_vccnz .LBB62_186
; %bb.185:
	global_load_ubyte v2, v[0:1], off
	s_movk_i32 s0, 0x7f00
	s_brev_b32 s1, 16
	s_brev_b32 s18, 1
	s_mov_b32 s19, 0x2f800000
	s_mov_b32 s25, 0xcf800000
	s_waitcnt vmcnt(0)
	v_lshlrev_b16_e32 v3, 8, v2
	v_lshlrev_b32_e32 v2, 25, v2
	v_lshrrev_b32_e32 v4, 4, v2
	v_and_or_b32 v5, v3, s0, 0.5
	v_or_b32_e32 v4, 0x70000000, v4
	v_add_f32_e32 v5, -0.5, v5
	v_mul_f32_e32 v4, 0x7800000, v4
	v_cmp_gt_u32_e32 vcc, s1, v2
	v_bfe_i32 v3, v3, 0, 16
	v_cndmask_b32_e32 v2, v4, v5, vcc
	v_and_or_b32 v2, v3, s18, v2
	v_trunc_f32_e32 v2, v2
	v_mul_f32_e64 v3, |v2|, s19
	v_floor_f32_e32 v3, v3
	v_fma_f32 v4, v3, s25, |v2|
	v_cvt_u32_f32_e32 v4, v4
	v_cvt_u32_f32_e32 v3, v3
	v_ashrrev_i32_e32 v5, 31, v2
	v_xor_b32_e32 v2, v4, v5
	v_xor_b32_e32 v3, v3, v5
	v_sub_co_u32_e32 v2, vcc, v2, v5
	v_subb_co_u32_e32 v3, vcc, v3, v5, vcc
.LBB62_186:
	s_mov_b64 s[18:19], 0
	s_mov_b64 s[0:1], -1
.LBB62_187:
	s_andn2_b64 vcc, exec, s[18:19]
	s_cbranch_vccnz .LBB62_198
; %bb.188:
	s_cmp_gt_i32 s24, 14
	s_cbranch_scc0 .LBB62_191
; %bb.189:
	s_cmp_eq_u32 s24, 15
	s_cbranch_scc0 .LBB62_192
; %bb.190:
	global_load_ushort v2, v[0:1], off
	s_mov_b32 s0, 0x2f800000
	s_mov_b32 s1, 0xcf800000
	s_mov_b64 s[20:21], 0
	s_waitcnt vmcnt(0)
	v_lshlrev_b32_e32 v2, 16, v2
	v_trunc_f32_e32 v2, v2
	v_mul_f32_e64 v3, |v2|, s0
	v_floor_f32_e32 v3, v3
	v_fma_f32 v4, v3, s1, |v2|
	v_cvt_u32_f32_e32 v4, v4
	v_cvt_u32_f32_e32 v3, v3
	v_ashrrev_i32_e32 v5, 31, v2
	s_mov_b64 s[0:1], -1
	v_xor_b32_e32 v2, v4, v5
	v_xor_b32_e32 v3, v3, v5
	v_sub_co_u32_e32 v2, vcc, v2, v5
	v_subb_co_u32_e32 v3, vcc, v3, v5, vcc
	s_branch .LBB62_193
.LBB62_191:
	s_mov_b64 s[18:19], -1
                                        ; implicit-def: $vgpr2_vgpr3
	s_branch .LBB62_194
.LBB62_192:
	s_mov_b64 s[20:21], -1
                                        ; implicit-def: $vgpr2_vgpr3
.LBB62_193:
	s_mov_b64 s[18:19], 0
.LBB62_194:
	s_and_b64 vcc, exec, s[18:19]
	s_cbranch_vccz .LBB62_198
; %bb.195:
	s_cmp_eq_u32 s24, 11
	s_cbranch_scc0 .LBB62_197
; %bb.196:
	global_load_ubyte v2, v[0:1], off
	s_mov_b32 s18, 0
	s_mov_b64 s[0:1], -1
	s_waitcnt vmcnt(1)
	v_mov_b32_e32 v3, s18
	s_mov_b64 s[20:21], 0
	s_waitcnt vmcnt(0)
	v_cmp_ne_u16_e32 vcc, 0, v2
	v_cndmask_b32_e64 v2, 0, 1, vcc
	s_branch .LBB62_198
.LBB62_197:
	s_mov_b64 s[20:21], -1
                                        ; implicit-def: $vgpr2_vgpr3
.LBB62_198:
	s_branch .LBB62_10
.LBB62_199:
	s_cmp_lt_i32 s24, 5
	s_cbranch_scc1 .LBB62_204
; %bb.200:
	s_cmp_lt_i32 s24, 8
	s_cbranch_scc1 .LBB62_205
; %bb.201:
	;; [unrolled: 3-line block ×3, first 2 shown]
	s_cmp_gt_i32 s24, 9
	s_cbranch_scc0 .LBB62_207
; %bb.203:
	global_load_dwordx2 v[2:3], v[0:1], off
	s_movk_i32 s0, 0xffe0
	s_waitcnt vmcnt(0)
	v_trunc_f64_e32 v[2:3], v[2:3]
	v_ldexp_f64 v[4:5], v[2:3], s0
	s_mov_b32 s0, 0
	s_mov_b32 s1, 0xc1f00000
	v_floor_f64_e32 v[4:5], v[4:5]
	v_fma_f64 v[6:7], v[4:5], s[0:1], v[2:3]
	v_cvt_i32_f64_e32 v3, v[4:5]
	s_mov_b64 s[0:1], 0
	v_cvt_u32_f64_e32 v2, v[6:7]
	s_branch .LBB62_208
.LBB62_204:
                                        ; implicit-def: $vgpr2_vgpr3
	s_branch .LBB62_226
.LBB62_205:
	s_mov_b64 s[0:1], -1
                                        ; implicit-def: $vgpr2_vgpr3
	s_branch .LBB62_214
.LBB62_206:
	s_mov_b64 s[0:1], -1
                                        ; implicit-def: $vgpr2_vgpr3
	s_branch .LBB62_211
.LBB62_207:
	s_mov_b64 s[0:1], -1
                                        ; implicit-def: $vgpr2_vgpr3
.LBB62_208:
	s_andn2_b64 vcc, exec, s[0:1]
	s_cbranch_vccnz .LBB62_210
; %bb.209:
	global_load_dword v2, v[0:1], off
	s_mov_b32 s0, 0x2f800000
	s_mov_b32 s1, 0xcf800000
	s_waitcnt vmcnt(0)
	v_trunc_f32_e32 v2, v2
	v_mul_f32_e64 v3, |v2|, s0
	v_floor_f32_e32 v3, v3
	v_cvt_u32_f32_e32 v4, v3
	v_fma_f32 v3, v3, s1, |v2|
	v_cvt_u32_f32_e32 v3, v3
	v_ashrrev_i32_e32 v5, 31, v2
	v_xor_b32_e32 v4, v4, v5
	v_xor_b32_e32 v2, v3, v5
	v_sub_co_u32_e32 v2, vcc, v2, v5
	v_subb_co_u32_e32 v3, vcc, v4, v5, vcc
.LBB62_210:
	s_mov_b64 s[0:1], 0
.LBB62_211:
	s_andn2_b64 vcc, exec, s[0:1]
	s_cbranch_vccnz .LBB62_213
; %bb.212:
	global_load_dword v2, v[0:1], off
	s_waitcnt vmcnt(0)
	v_cvt_f32_f16_e32 v2, v2
	v_cvt_i32_f32_e32 v2, v2
	v_ashrrev_i32_e32 v3, 31, v2
.LBB62_213:
	s_mov_b64 s[0:1], 0
.LBB62_214:
	s_andn2_b64 vcc, exec, s[0:1]
	s_cbranch_vccnz .LBB62_225
; %bb.215:
	s_cmp_lt_i32 s24, 6
	s_cbranch_scc1 .LBB62_218
; %bb.216:
	s_cmp_gt_i32 s24, 6
	s_cbranch_scc0 .LBB62_219
; %bb.217:
	global_load_dwordx2 v[2:3], v[0:1], off
	s_movk_i32 s0, 0xffe0
	s_waitcnt vmcnt(0)
	v_trunc_f64_e32 v[2:3], v[2:3]
	v_ldexp_f64 v[4:5], v[2:3], s0
	s_mov_b32 s0, 0
	s_mov_b32 s1, 0xc1f00000
	v_floor_f64_e32 v[4:5], v[4:5]
	v_fma_f64 v[6:7], v[4:5], s[0:1], v[2:3]
	v_cvt_i32_f64_e32 v3, v[4:5]
	s_mov_b64 s[0:1], 0
	v_cvt_u32_f64_e32 v2, v[6:7]
	s_branch .LBB62_220
.LBB62_218:
	s_mov_b64 s[0:1], -1
                                        ; implicit-def: $vgpr2_vgpr3
	s_branch .LBB62_223
.LBB62_219:
	s_mov_b64 s[0:1], -1
                                        ; implicit-def: $vgpr2_vgpr3
.LBB62_220:
	s_andn2_b64 vcc, exec, s[0:1]
	s_cbranch_vccnz .LBB62_222
; %bb.221:
	global_load_dword v2, v[0:1], off
	s_mov_b32 s0, 0x2f800000
	s_mov_b32 s1, 0xcf800000
	s_waitcnt vmcnt(0)
	v_trunc_f32_e32 v2, v2
	v_mul_f32_e64 v3, |v2|, s0
	v_floor_f32_e32 v3, v3
	v_cvt_u32_f32_e32 v4, v3
	v_fma_f32 v3, v3, s1, |v2|
	v_cvt_u32_f32_e32 v3, v3
	v_ashrrev_i32_e32 v5, 31, v2
	v_xor_b32_e32 v4, v4, v5
	v_xor_b32_e32 v2, v3, v5
	v_sub_co_u32_e32 v2, vcc, v2, v5
	v_subb_co_u32_e32 v3, vcc, v4, v5, vcc
.LBB62_222:
	s_mov_b64 s[0:1], 0
.LBB62_223:
	s_andn2_b64 vcc, exec, s[0:1]
	s_cbranch_vccnz .LBB62_225
; %bb.224:
	global_load_ushort v2, v[0:1], off
	s_waitcnt vmcnt(0)
	v_cvt_f32_f16_e32 v2, v2
	v_cvt_i32_f32_e32 v2, v2
	v_ashrrev_i32_e32 v3, 31, v2
.LBB62_225:
	s_cbranch_execnz .LBB62_245
.LBB62_226:
	s_cmp_lt_i32 s24, 2
	s_cbranch_scc1 .LBB62_230
; %bb.227:
	s_cmp_lt_i32 s24, 3
	s_cbranch_scc1 .LBB62_231
; %bb.228:
	s_cmp_gt_i32 s24, 3
	s_cbranch_scc0 .LBB62_232
; %bb.229:
	global_load_dwordx2 v[2:3], v[0:1], off
	s_mov_b64 s[0:1], 0
	s_branch .LBB62_233
.LBB62_230:
	s_mov_b64 s[0:1], -1
                                        ; implicit-def: $vgpr2_vgpr3
	s_branch .LBB62_239
.LBB62_231:
	s_mov_b64 s[0:1], -1
                                        ; implicit-def: $vgpr2_vgpr3
	s_branch .LBB62_236
.LBB62_232:
	s_mov_b64 s[0:1], -1
                                        ; implicit-def: $vgpr2_vgpr3
.LBB62_233:
	s_andn2_b64 vcc, exec, s[0:1]
	s_cbranch_vccnz .LBB62_235
; %bb.234:
	global_load_dword v2, v[0:1], off
	s_waitcnt vmcnt(0)
	v_ashrrev_i32_e32 v3, 31, v2
.LBB62_235:
	s_mov_b64 s[0:1], 0
.LBB62_236:
	s_andn2_b64 vcc, exec, s[0:1]
	s_cbranch_vccnz .LBB62_238
; %bb.237:
	global_load_ushort v2, v[0:1], off
	s_waitcnt vmcnt(0)
	v_bfe_i32 v2, v2, 0, 16
	v_ashrrev_i32_e32 v3, 31, v2
.LBB62_238:
	s_mov_b64 s[0:1], 0
.LBB62_239:
	s_andn2_b64 vcc, exec, s[0:1]
	s_cbranch_vccnz .LBB62_245
; %bb.240:
	s_cmp_gt_i32 s24, 0
	s_cbranch_scc0 .LBB62_242
; %bb.241:
	global_load_sbyte v2, v[0:1], off
	s_mov_b64 s[0:1], 0
	s_waitcnt vmcnt(0)
	v_bfe_i32 v2, v2, 0, 16
	v_ashrrev_i32_e32 v3, 31, v2
	s_branch .LBB62_243
.LBB62_242:
	s_mov_b64 s[0:1], -1
                                        ; implicit-def: $vgpr2_vgpr3
.LBB62_243:
	s_andn2_b64 vcc, exec, s[0:1]
	s_cbranch_vccnz .LBB62_245
; %bb.244:
	global_load_ubyte v0, v[0:1], off
	s_mov_b32 s0, 0
	s_waitcnt vmcnt(1)
	v_mov_b32_e32 v3, s0
	s_waitcnt vmcnt(0)
	v_and_b32_e32 v2, 0xffff, v0
.LBB62_245:
	s_branch .LBB62_11
.LBB62_246:
	s_mov_b64 s[0:1], 0
                                        ; implicit-def: $vgpr10
	s_mov_b64 s[24:25], 0
.LBB62_247:
	s_and_b64 s[18:19], s[0:1], exec
	s_and_b64 s[20:21], s[20:21], exec
	s_orn2_b64 s[24:25], s[24:25], exec
.LBB62_248:
	s_or_b64 exec, exec, s[22:23]
	s_mov_b64 s[28:29], 0
	s_mov_b64 s[0:1], 0
                                        ; implicit-def: $vgpr0_vgpr1
                                        ; implicit-def: $vgpr2_vgpr3
	s_and_saveexec_b64 s[22:23], s[24:25]
	s_cbranch_execz .LBB62_257
; %bb.249:
	v_cmp_gt_i32_e32 vcc, s44, v10
	s_mov_b64 s[0:1], -1
	s_mov_b64 s[24:25], s[20:21]
	s_mov_b64 s[26:27], s[18:19]
	s_and_saveexec_b64 s[28:29], vcc
	s_cbranch_execz .LBB62_505
; %bb.250:
	v_mul_lo_u32 v0, v10, s13
	v_mov_b32_e32 v1, s11
	s_and_b32 s30, 0xffff, s15
	s_cmp_lt_i32 s30, 11
	s_waitcnt vmcnt(0)
	v_ashrrev_i32_e32 v2, 31, v0
	v_add_co_u32_e32 v0, vcc, s10, v0
	v_addc_co_u32_e32 v1, vcc, v1, v2, vcc
	s_cbranch_scc1 .LBB62_260
; %bb.251:
	s_cmp_gt_i32 s30, 25
	s_cbranch_scc0 .LBB62_269
; %bb.252:
	s_cmp_gt_i32 s30, 28
	s_cbranch_scc0 .LBB62_271
	;; [unrolled: 3-line block ×4, first 2 shown]
; %bb.255:
	s_cmp_eq_u32 s30, 46
	s_mov_b64 s[26:27], 0
	s_cbranch_scc0 .LBB62_281
; %bb.256:
	global_load_dword v2, v[0:1], off
	s_mov_b32 s0, 0x2f800000
	s_mov_b32 s1, 0xcf800000
	s_mov_b64 s[24:25], 0
	s_waitcnt vmcnt(0)
	v_lshlrev_b32_e32 v2, 16, v2
	v_trunc_f32_e32 v2, v2
	v_mul_f32_e64 v3, |v2|, s0
	v_floor_f32_e32 v3, v3
	v_fma_f32 v4, v3, s1, |v2|
	v_cvt_u32_f32_e32 v4, v4
	v_cvt_u32_f32_e32 v3, v3
	v_ashrrev_i32_e32 v5, 31, v2
	s_mov_b64 s[0:1], -1
	v_xor_b32_e32 v2, v4, v5
	v_xor_b32_e32 v3, v3, v5
	v_sub_co_u32_e32 v2, vcc, v2, v5
	v_subb_co_u32_e32 v3, vcc, v3, v5, vcc
	s_branch .LBB62_282
.LBB62_257:
	s_or_b64 exec, exec, s[22:23]
	s_mov_b64 s[22:23], 0
	s_and_saveexec_b64 s[24:25], s[20:21]
	s_cbranch_execnz .LBB62_843
.LBB62_258:
	s_or_b64 exec, exec, s[24:25]
	s_and_saveexec_b64 s[20:21], s[26:27]
	s_xor_b64 s[20:21], exec, s[20:21]
	s_cbranch_execz .LBB62_844
.LBB62_259:
	global_load_ubyte v2, v[0:1], off
	s_mov_b32 s24, 0
	s_waitcnt vmcnt(1)
	v_mov_b32_e32 v3, s24
	s_or_b64 s[0:1], s[0:1], exec
	s_waitcnt vmcnt(0)
	v_cmp_ne_u16_e32 vcc, 0, v2
	v_cndmask_b32_e64 v2, 0, 1, vcc
	s_or_b64 exec, exec, s[20:21]
	s_and_saveexec_b64 s[20:21], s[28:29]
	s_cbranch_execz .LBB62_890
	s_branch .LBB62_845
.LBB62_260:
	s_mov_b64 s[0:1], 0
                                        ; implicit-def: $vgpr2_vgpr3
	s_mov_b64 s[24:25], s[20:21]
	s_cbranch_execnz .LBB62_455
.LBB62_261:
	s_andn2_b64 vcc, exec, s[0:1]
	s_cbranch_vccnz .LBB62_503
.LBB62_262:
	v_mul_lo_u32 v0, v10, s12
	s_waitcnt vmcnt(0)
	v_cmp_ne_u64_e32 vcc, s[2:3], v[2:3]
	v_mov_b32_e32 v1, s9
	s_xor_b64 s[26:27], s[16:17], vcc
	v_ashrrev_i32_e32 v2, 31, v0
	s_and_b32 s38, s33, 0xff
	v_add_co_u32_e32 v0, vcc, s8, v0
	s_cmp_lt_i32 s38, 11
	v_addc_co_u32_e32 v1, vcc, v1, v2, vcc
	s_cbranch_scc1 .LBB62_270
; %bb.263:
	s_and_b32 s39, 0xffff, s38
	s_cmp_gt_i32 s39, 25
	s_cbranch_scc0 .LBB62_272
; %bb.264:
	s_cmp_gt_i32 s39, 28
	s_cbranch_scc0 .LBB62_274
; %bb.265:
	;; [unrolled: 3-line block ×4, first 2 shown]
	s_mov_b64 s[34:35], 0
	s_mov_b64 s[0:1], -1
	s_cmp_eq_u32 s39, 46
	s_mov_b64 s[30:31], 0
	s_cbranch_scc0 .LBB62_286
; %bb.268:
	v_cndmask_b32_e64 v2, 0, 1.0, s[26:27]
	v_bfe_u32 v3, v2, 16, 1
	s_movk_i32 s0, 0x7fff
	v_add3_u32 v2, v2, v3, s0
	v_lshrrev_b32_e32 v2, 16, v2
	global_store_dword v[0:1], v2, off
	s_mov_b64 s[30:31], -1
	s_mov_b64 s[0:1], 0
	s_branch .LBB62_286
.LBB62_269:
	s_mov_b64 s[26:27], -1
	s_mov_b64 s[0:1], 0
	s_mov_b64 s[24:25], s[20:21]
                                        ; implicit-def: $vgpr2_vgpr3
	s_branch .LBB62_423
.LBB62_270:
	s_mov_b64 s[34:35], -1
	s_mov_b64 s[30:31], 0
	s_mov_b64 s[0:1], s[18:19]
	s_branch .LBB62_355
.LBB62_271:
	s_mov_b64 s[26:27], -1
	s_mov_b64 s[0:1], 0
	s_mov_b64 s[24:25], s[20:21]
                                        ; implicit-def: $vgpr2_vgpr3
	s_branch .LBB62_404
.LBB62_272:
	s_mov_b64 s[34:35], -1
	s_mov_b64 s[30:31], 0
	s_mov_b64 s[0:1], s[18:19]
	s_branch .LBB62_313
.LBB62_273:
	s_mov_b64 s[26:27], -1
	s_mov_b64 s[0:1], 0
	s_mov_b64 s[24:25], s[20:21]
                                        ; implicit-def: $vgpr2_vgpr3
	s_branch .LBB62_399
.LBB62_274:
	s_mov_b64 s[34:35], -1
	s_mov_b64 s[30:31], 0
	s_mov_b64 s[0:1], s[18:19]
	s_branch .LBB62_296
.LBB62_275:
	s_andn2_saveexec_b64 s[30:31], s[30:31]
	s_cbranch_execz .LBB62_55
.LBB62_276:
	v_add_f32_e32 v2, 0x46000000, v3
	v_and_b32_e32 v2, 0xff, v2
	v_cmp_ne_u32_e32 vcc, 0, v2
	s_andn2_b64 s[28:29], s[28:29], exec
	s_and_b64 s[36:37], vcc, exec
	s_or_b64 s[28:29], s[28:29], s[36:37]
	s_or_b64 exec, exec, s[30:31]
	v_mov_b32_e32 v4, 0
	s_and_saveexec_b64 s[30:31], s[28:29]
	s_cbranch_execnz .LBB62_56
	s_branch .LBB62_57
.LBB62_277:
	s_mov_b64 s[26:27], -1
	s_mov_b64 s[0:1], 0
	s_mov_b64 s[24:25], s[20:21]
                                        ; implicit-def: $vgpr2_vgpr3
	s_branch .LBB62_282
.LBB62_278:
	s_mov_b64 s[34:35], -1
	s_mov_b64 s[30:31], 0
	s_mov_b64 s[0:1], s[18:19]
	s_branch .LBB62_292
.LBB62_279:
	s_andn2_saveexec_b64 s[30:31], s[30:31]
	s_cbranch_execz .LBB62_68
.LBB62_280:
	v_add_f32_e32 v2, 0x42800000, v3
	v_and_b32_e32 v2, 0xff, v2
	v_cmp_ne_u32_e32 vcc, 0, v2
	s_andn2_b64 s[28:29], s[28:29], exec
	s_and_b64 s[36:37], vcc, exec
	s_or_b64 s[28:29], s[28:29], s[36:37]
	s_or_b64 exec, exec, s[30:31]
	v_mov_b32_e32 v4, 0
	s_and_saveexec_b64 s[30:31], s[28:29]
	s_cbranch_execnz .LBB62_69
	s_branch .LBB62_70
.LBB62_281:
	s_mov_b64 s[24:25], -1
                                        ; implicit-def: $vgpr2_vgpr3
	s_mov_b64 s[0:1], 0
.LBB62_282:
	s_and_b64 vcc, exec, s[26:27]
	s_cbranch_vccz .LBB62_398
; %bb.283:
	s_cmp_eq_u32 s30, 44
	s_cbranch_scc0 .LBB62_397
; %bb.284:
	global_load_ubyte v2, v[0:1], off
	s_mov_b32 s0, 0x2f800000
	s_mov_b32 s1, 0xcf800000
	s_mov_b64 s[24:25], 0
	s_waitcnt vmcnt(0)
	v_lshlrev_b32_e32 v3, 23, v2
	v_trunc_f32_e32 v3, v3
	v_mul_f32_e64 v4, |v3|, s0
	v_floor_f32_e32 v4, v4
	v_fma_f32 v5, v4, s1, |v3|
	v_cvt_u32_f32_e32 v5, v5
	v_cvt_u32_f32_e32 v4, v4
	v_ashrrev_i32_e32 v3, 31, v3
	s_mov_b64 s[0:1], -1
	v_xor_b32_e32 v5, v5, v3
	v_xor_b32_e32 v4, v4, v3
	v_sub_co_u32_e32 v5, vcc, v5, v3
	v_subb_co_u32_e32 v3, vcc, v4, v3, vcc
	v_cmp_ne_u32_e32 vcc, 0, v2
	v_cndmask_b32_e32 v3, 0, v3, vcc
	v_cndmask_b32_e32 v2, 0, v5, vcc
	s_branch .LBB62_398
.LBB62_285:
	s_mov_b64 s[34:35], -1
	s_mov_b64 s[30:31], 0
	s_mov_b64 s[0:1], s[18:19]
.LBB62_286:
	s_and_b64 vcc, exec, s[34:35]
	s_cbranch_vccz .LBB62_291
; %bb.287:
	s_cmp_eq_u32 s39, 44
	s_mov_b64 s[0:1], -1
	s_cbranch_scc0 .LBB62_291
; %bb.288:
	v_cndmask_b32_e64 v3, 0, 1.0, s[26:27]
	v_lshrrev_b32_e32 v2, 23, v3
	s_movk_i32 s0, 0xff
	v_cmp_ne_u32_e32 vcc, s0, v2
	v_mov_b32_e32 v4, 0xff
	s_and_saveexec_b64 s[30:31], vcc
; %bb.289:
	s_mov_b32 s0, 0x3fffff
	v_and_b32_e32 v4, 0x400000, v3
	v_and_or_b32 v3, v3, s0, v2
	v_cmp_ne_u32_e32 vcc, 0, v4
	v_cmp_ne_u32_e64 s[0:1], 0, v3
	s_and_b64 s[0:1], vcc, s[0:1]
	v_cndmask_b32_e64 v3, 0, 1, s[0:1]
	v_add_u32_e32 v4, v2, v3
; %bb.290:
	s_or_b64 exec, exec, s[30:31]
	s_mov_b64 s[30:31], -1
	s_mov_b64 s[0:1], 0
	global_store_byte v[0:1], v4, off
.LBB62_291:
	s_mov_b64 s[34:35], 0
.LBB62_292:
	s_and_b64 vcc, exec, s[34:35]
	s_cbranch_vccz .LBB62_295
; %bb.293:
	s_cmp_eq_u32 s39, 29
	s_mov_b64 s[0:1], -1
	s_cbranch_scc0 .LBB62_295
; %bb.294:
	s_mov_b32 s0, 0
	v_cndmask_b32_e64 v2, 0, 1, s[26:27]
	v_mov_b32_e32 v3, s0
	global_store_dwordx2 v[0:1], v[2:3], off
	s_mov_b64 s[30:31], -1
	s_mov_b64 s[0:1], 0
.LBB62_295:
	s_mov_b64 s[34:35], 0
.LBB62_296:
	s_and_b64 vcc, exec, s[34:35]
	s_cbranch_vccz .LBB62_312
; %bb.297:
	s_cmp_lt_i32 s39, 27
	s_mov_b64 s[30:31], -1
	s_cbranch_scc1 .LBB62_303
; %bb.298:
	s_cmp_gt_i32 s39, 27
	s_cbranch_scc0 .LBB62_300
; %bb.299:
	v_cndmask_b32_e64 v2, 0, 1, s[26:27]
	s_mov_b64 s[30:31], 0
	global_store_dword v[0:1], v2, off
.LBB62_300:
	s_andn2_b64 vcc, exec, s[30:31]
	s_cbranch_vccnz .LBB62_302
; %bb.301:
	v_cndmask_b32_e64 v2, 0, 1, s[26:27]
	global_store_short v[0:1], v2, off
.LBB62_302:
	s_mov_b64 s[30:31], 0
.LBB62_303:
	s_andn2_b64 vcc, exec, s[30:31]
	s_cbranch_vccnz .LBB62_311
; %bb.304:
	v_cndmask_b32_e64 v3, 0, 1.0, s[26:27]
	s_mov_b32 s30, 0x43800000
	v_cmp_gt_u32_e32 vcc, s30, v3
	v_mov_b32_e32 v4, 0x80
	s_and_saveexec_b64 s[30:31], vcc
	s_cbranch_execz .LBB62_310
; %bb.305:
	s_mov_b32 s34, 0x3bffffff
	v_cmp_lt_u32_e32 vcc, s34, v3
	s_mov_b64 s[34:35], 0
                                        ; implicit-def: $vgpr2
	s_and_saveexec_b64 s[36:37], vcc
	s_xor_b64 s[36:37], exec, s[36:37]
	s_cbranch_execz .LBB62_518
; %bb.306:
	v_bfe_u32 v2, v3, 20, 1
	s_mov_b32 s40, 0x487ffff
	v_add3_u32 v2, v3, v2, s40
	s_mov_b64 s[34:35], exec
	v_lshrrev_b32_e32 v2, 20, v2
                                        ; implicit-def: $vgpr3
	s_andn2_saveexec_b64 s[36:37], s[36:37]
	s_cbranch_execnz .LBB62_519
.LBB62_307:
	s_or_b64 exec, exec, s[36:37]
	v_mov_b32_e32 v4, 0
	s_and_saveexec_b64 s[36:37], s[34:35]
.LBB62_308:
	v_mov_b32_e32 v4, v2
.LBB62_309:
	s_or_b64 exec, exec, s[36:37]
.LBB62_310:
	s_or_b64 exec, exec, s[30:31]
	global_store_byte v[0:1], v4, off
.LBB62_311:
	s_mov_b64 s[30:31], -1
.LBB62_312:
	s_mov_b64 s[34:35], 0
.LBB62_313:
	s_and_b64 vcc, exec, s[34:35]
	s_cbranch_vccz .LBB62_354
; %bb.314:
	s_cmp_gt_i32 s39, 22
	s_mov_b64 s[34:35], -1
	s_cbranch_scc0 .LBB62_346
; %bb.315:
	s_cmp_lt_i32 s39, 24
	s_mov_b64 s[30:31], -1
	s_cbranch_scc1 .LBB62_335
; %bb.316:
	s_cmp_gt_i32 s39, 24
	s_cbranch_scc0 .LBB62_324
; %bb.317:
	v_cndmask_b32_e64 v3, 0, 1.0, s[26:27]
	s_mov_b32 s30, 0x47800000
	v_cmp_gt_u32_e32 vcc, s30, v3
	v_mov_b32_e32 v4, 0x80
	s_and_saveexec_b64 s[30:31], vcc
	s_cbranch_execz .LBB62_323
; %bb.318:
	s_mov_b32 s34, 0x37ffffff
	v_cmp_lt_u32_e32 vcc, s34, v3
	s_mov_b64 s[34:35], 0
                                        ; implicit-def: $vgpr2
	s_and_saveexec_b64 s[36:37], vcc
	s_xor_b64 s[36:37], exec, s[36:37]
	s_cbranch_execz .LBB62_521
; %bb.319:
	v_bfe_u32 v2, v3, 21, 1
	s_mov_b32 s40, 0x88fffff
	v_add3_u32 v2, v3, v2, s40
	s_mov_b64 s[34:35], exec
	v_lshrrev_b32_e32 v2, 21, v2
                                        ; implicit-def: $vgpr3
	s_andn2_saveexec_b64 s[36:37], s[36:37]
	s_cbranch_execnz .LBB62_522
.LBB62_320:
	s_or_b64 exec, exec, s[36:37]
	v_mov_b32_e32 v4, 0
	s_and_saveexec_b64 s[36:37], s[34:35]
.LBB62_321:
	v_mov_b32_e32 v4, v2
.LBB62_322:
	s_or_b64 exec, exec, s[36:37]
.LBB62_323:
	s_or_b64 exec, exec, s[30:31]
	s_mov_b64 s[30:31], 0
	global_store_byte v[0:1], v4, off
.LBB62_324:
	s_and_b64 vcc, exec, s[30:31]
	s_cbranch_vccz .LBB62_334
; %bb.325:
	v_cndmask_b32_e64 v2, 0, 1.0, s[26:27]
	s_mov_b32 s30, 0x43f00000
	v_cmp_gt_u32_e32 vcc, s30, v2
                                        ; implicit-def: $vgpr3
	s_and_saveexec_b64 s[30:31], vcc
	s_xor_b64 s[30:31], exec, s[30:31]
	s_cbranch_execz .LBB62_331
; %bb.326:
	s_mov_b32 s34, 0x3c7fffff
	v_cmp_lt_u32_e32 vcc, s34, v2
                                        ; implicit-def: $vgpr3
	s_and_saveexec_b64 s[34:35], vcc
	s_xor_b64 s[34:35], exec, s[34:35]
; %bb.327:
	v_bfe_u32 v3, v2, 20, 1
	s_mov_b32 s36, 0x407ffff
	v_add3_u32 v2, v2, v3, s36
	v_lshrrev_b32_e32 v3, 20, v2
	v_and_b32_e32 v2, 0xff00000, v2
	s_mov_b32 s36, 0x7f00000
	v_mov_b32_e32 v4, 0x7e
	v_cmp_ne_u32_e32 vcc, s36, v2
	v_cndmask_b32_e32 v3, v4, v3, vcc
                                        ; implicit-def: $vgpr2
; %bb.328:
	s_andn2_saveexec_b64 s[34:35], s[34:35]
; %bb.329:
	v_add_f32_e32 v3, 0x46800000, v2
; %bb.330:
	s_or_b64 exec, exec, s[34:35]
                                        ; implicit-def: $vgpr2
.LBB62_331:
	s_andn2_saveexec_b64 s[30:31], s[30:31]
; %bb.332:
	s_mov_b32 s34, 0x7f800000
	v_mov_b32_e32 v3, 0x7e
	v_mov_b32_e32 v4, 0x7f
	v_cmp_lt_u32_e32 vcc, s34, v2
	v_cndmask_b32_e32 v3, v3, v4, vcc
; %bb.333:
	s_or_b64 exec, exec, s[30:31]
	global_store_byte v[0:1], v3, off
.LBB62_334:
	s_mov_b64 s[30:31], 0
.LBB62_335:
	s_andn2_b64 vcc, exec, s[30:31]
	s_cbranch_vccnz .LBB62_345
; %bb.336:
	v_cndmask_b32_e64 v2, 0, 1.0, s[26:27]
	s_mov_b32 s30, 0x47800000
	v_cmp_gt_u32_e32 vcc, s30, v2
                                        ; implicit-def: $vgpr3
	s_and_saveexec_b64 s[30:31], vcc
	s_xor_b64 s[30:31], exec, s[30:31]
	s_cbranch_execz .LBB62_342
; %bb.337:
	s_mov_b32 s34, 0x387fffff
	v_cmp_lt_u32_e32 vcc, s34, v2
                                        ; implicit-def: $vgpr3
	s_and_saveexec_b64 s[34:35], vcc
	s_xor_b64 s[34:35], exec, s[34:35]
; %bb.338:
	v_bfe_u32 v3, v2, 21, 1
	s_mov_b32 s36, 0x80fffff
	v_add3_u32 v2, v2, v3, s36
	v_lshrrev_b32_e32 v3, 21, v2
                                        ; implicit-def: $vgpr2
; %bb.339:
	s_andn2_saveexec_b64 s[34:35], s[34:35]
; %bb.340:
	v_add_f32_e32 v3, 0x43000000, v2
; %bb.341:
	s_or_b64 exec, exec, s[34:35]
                                        ; implicit-def: $vgpr2
.LBB62_342:
	s_andn2_saveexec_b64 s[30:31], s[30:31]
; %bb.343:
	s_mov_b32 s34, 0x7f800000
	v_mov_b32_e32 v3, 0x7c
	v_mov_b32_e32 v4, 0x7f
	v_cmp_lt_u32_e32 vcc, s34, v2
	v_cndmask_b32_e32 v3, v3, v4, vcc
; %bb.344:
	s_or_b64 exec, exec, s[30:31]
	global_store_byte v[0:1], v3, off
.LBB62_345:
	s_mov_b64 s[34:35], 0
	s_mov_b64 s[30:31], -1
.LBB62_346:
	s_andn2_b64 vcc, exec, s[34:35]
	s_cbranch_vccnz .LBB62_354
; %bb.347:
	s_cmp_gt_i32 s39, 14
	s_mov_b64 s[34:35], -1
	s_cbranch_scc0 .LBB62_351
; %bb.348:
	s_cmp_eq_u32 s39, 15
	s_mov_b64 s[0:1], -1
	s_cbranch_scc0 .LBB62_350
; %bb.349:
	v_cndmask_b32_e64 v2, 0, 1.0, s[26:27]
	v_bfe_u32 v3, v2, 16, 1
	s_movk_i32 s0, 0x7fff
	v_add3_u32 v2, v2, v3, s0
	global_store_short_d16_hi v[0:1], v2, off
	s_mov_b64 s[30:31], -1
	s_mov_b64 s[0:1], 0
.LBB62_350:
	s_mov_b64 s[34:35], 0
.LBB62_351:
	s_and_b64 vcc, exec, s[34:35]
	s_cbranch_vccz .LBB62_354
; %bb.352:
	s_cmp_eq_u32 s39, 11
	s_mov_b64 s[0:1], -1
	s_cbranch_scc0 .LBB62_354
; %bb.353:
	v_cndmask_b32_e64 v2, 0, 1, s[26:27]
	s_mov_b64 s[30:31], -1
	s_mov_b64 s[0:1], 0
	global_store_byte v[0:1], v2, off
.LBB62_354:
	s_mov_b64 s[34:35], 0
.LBB62_355:
	s_and_b64 vcc, exec, s[34:35]
	s_cbranch_vccz .LBB62_394
; %bb.356:
	s_and_b32 s34, 0xffff, s38
	s_cmp_lt_i32 s34, 5
	s_mov_b64 s[30:31], -1
	s_cbranch_scc1 .LBB62_377
; %bb.357:
	s_cmp_lt_i32 s34, 8
	s_cbranch_scc1 .LBB62_367
; %bb.358:
	s_cmp_lt_i32 s34, 9
	s_cbranch_scc1 .LBB62_364
; %bb.359:
	s_cmp_gt_i32 s34, 9
	s_cbranch_scc0 .LBB62_361
; %bb.360:
	v_cndmask_b32_e64 v2, 0, 1, s[26:27]
	v_cvt_f64_u32_e32 v[2:3], v2
	v_mov_b32_e32 v4, 0
	v_mov_b32_e32 v5, v4
	s_mov_b64 s[30:31], 0
	global_store_dwordx4 v[0:1], v[2:5], off
.LBB62_361:
	s_andn2_b64 vcc, exec, s[30:31]
	s_cbranch_vccnz .LBB62_363
; %bb.362:
	v_cndmask_b32_e64 v2, 0, 1.0, s[26:27]
	v_mov_b32_e32 v3, 0
	global_store_dwordx2 v[0:1], v[2:3], off
.LBB62_363:
	s_mov_b64 s[30:31], 0
.LBB62_364:
	s_andn2_b64 vcc, exec, s[30:31]
	s_cbranch_vccnz .LBB62_366
; %bb.365:
	v_cndmask_b32_e64 v2, 0, 1.0, s[26:27]
	v_cvt_f16_f32_e32 v2, v2
	global_store_dword v[0:1], v2, off
.LBB62_366:
	s_mov_b64 s[30:31], 0
.LBB62_367:
	s_andn2_b64 vcc, exec, s[30:31]
	s_cbranch_vccnz .LBB62_376
; %bb.368:
	s_cmp_lt_i32 s34, 6
	s_mov_b64 s[30:31], -1
	s_cbranch_scc1 .LBB62_374
; %bb.369:
	s_cmp_gt_i32 s34, 6
	s_cbranch_scc0 .LBB62_371
; %bb.370:
	v_cndmask_b32_e64 v2, 0, 1, s[26:27]
	v_cvt_f64_u32_e32 v[2:3], v2
	s_mov_b64 s[30:31], 0
	global_store_dwordx2 v[0:1], v[2:3], off
.LBB62_371:
	s_andn2_b64 vcc, exec, s[30:31]
	s_cbranch_vccnz .LBB62_373
; %bb.372:
	v_cndmask_b32_e64 v2, 0, 1.0, s[26:27]
	global_store_dword v[0:1], v2, off
.LBB62_373:
	s_mov_b64 s[30:31], 0
.LBB62_374:
	s_andn2_b64 vcc, exec, s[30:31]
	s_cbranch_vccnz .LBB62_376
; %bb.375:
	v_cndmask_b32_e64 v2, 0, 1.0, s[26:27]
	v_cvt_f16_f32_e32 v2, v2
	global_store_short v[0:1], v2, off
.LBB62_376:
	s_mov_b64 s[30:31], 0
.LBB62_377:
	s_andn2_b64 vcc, exec, s[30:31]
	s_cbranch_vccnz .LBB62_393
; %bb.378:
	s_cmp_lt_i32 s34, 2
	s_mov_b64 s[30:31], -1
	s_cbranch_scc1 .LBB62_388
; %bb.379:
	s_cmp_lt_i32 s34, 3
	s_cbranch_scc1 .LBB62_385
; %bb.380:
	s_cmp_gt_i32 s34, 3
	s_cbranch_scc0 .LBB62_382
; %bb.381:
	s_mov_b32 s30, 0
	v_cndmask_b32_e64 v2, 0, 1, s[26:27]
	v_mov_b32_e32 v3, s30
	s_mov_b64 s[30:31], 0
	global_store_dwordx2 v[0:1], v[2:3], off
.LBB62_382:
	s_andn2_b64 vcc, exec, s[30:31]
	s_cbranch_vccnz .LBB62_384
; %bb.383:
	v_cndmask_b32_e64 v2, 0, 1, s[26:27]
	global_store_dword v[0:1], v2, off
.LBB62_384:
	s_mov_b64 s[30:31], 0
.LBB62_385:
	s_andn2_b64 vcc, exec, s[30:31]
	s_cbranch_vccnz .LBB62_387
; %bb.386:
	v_cndmask_b32_e64 v2, 0, 1, s[26:27]
	global_store_short v[0:1], v2, off
.LBB62_387:
	s_mov_b64 s[30:31], 0
.LBB62_388:
	s_andn2_b64 vcc, exec, s[30:31]
	s_cbranch_vccnz .LBB62_393
; %bb.389:
	s_mov_b64 s[30:31], -1
	s_cmp_gt_i32 s34, 0
	v_cndmask_b32_e64 v2, 0, 1, s[26:27]
	s_cbranch_scc0 .LBB62_391
; %bb.390:
	s_mov_b64 s[30:31], 0
	global_store_byte v[0:1], v2, off
.LBB62_391:
	s_andn2_b64 vcc, exec, s[30:31]
	s_cbranch_vccnz .LBB62_393
; %bb.392:
	global_store_byte v[0:1], v2, off
.LBB62_393:
	s_mov_b64 s[30:31], -1
.LBB62_394:
	s_andn2_b64 vcc, exec, s[30:31]
	s_cbranch_vccnz .LBB62_396
; %bb.395:
	v_add_u32_e32 v10, 0x80, v10
	s_mov_b64 s[30:31], -1
	s_branch .LBB62_504
.LBB62_396:
	s_mov_b64 s[30:31], 0
                                        ; implicit-def: $vgpr10
	s_branch .LBB62_504
.LBB62_397:
	s_mov_b64 s[24:25], -1
                                        ; implicit-def: $vgpr2_vgpr3
.LBB62_398:
	s_mov_b64 s[26:27], 0
.LBB62_399:
	s_and_b64 vcc, exec, s[26:27]
	s_cbranch_vccz .LBB62_403
; %bb.400:
	s_cmp_eq_u32 s30, 29
	s_cbranch_scc0 .LBB62_402
; %bb.401:
	global_load_dwordx2 v[2:3], v[0:1], off
	s_mov_b64 s[0:1], -1
	s_mov_b64 s[24:25], 0
	s_branch .LBB62_403
.LBB62_402:
	s_mov_b64 s[24:25], -1
                                        ; implicit-def: $vgpr2_vgpr3
.LBB62_403:
	s_mov_b64 s[26:27], 0
.LBB62_404:
	s_and_b64 vcc, exec, s[26:27]
	s_cbranch_vccz .LBB62_422
; %bb.405:
	s_cmp_lt_i32 s30, 27
	s_cbranch_scc1 .LBB62_408
; %bb.406:
	s_cmp_gt_i32 s30, 27
	s_cbranch_scc0 .LBB62_409
; %bb.407:
	global_load_dword v2, v[0:1], off
	s_waitcnt vmcnt(1)
	v_mov_b32_e32 v3, 0
	s_mov_b64 s[0:1], 0
	s_branch .LBB62_410
.LBB62_408:
	s_mov_b64 s[0:1], -1
                                        ; implicit-def: $vgpr2_vgpr3
	s_branch .LBB62_413
.LBB62_409:
	s_mov_b64 s[0:1], -1
                                        ; implicit-def: $vgpr2_vgpr3
.LBB62_410:
	s_andn2_b64 vcc, exec, s[0:1]
	s_cbranch_vccnz .LBB62_412
; %bb.411:
	global_load_ushort v2, v[0:1], off
	s_mov_b32 s0, 0
	s_waitcnt vmcnt(1)
	v_mov_b32_e32 v3, s0
	s_waitcnt vmcnt(0)
	v_and_b32_e32 v2, 0xffff, v2
.LBB62_412:
	s_mov_b64 s[0:1], 0
.LBB62_413:
	s_andn2_b64 vcc, exec, s[0:1]
	s_cbranch_vccnz .LBB62_421
; %bb.414:
	global_load_ubyte v4, v[0:1], off
	s_movk_i32 s0, 0x7f
	s_mov_b64 s[26:27], 0
	s_waitcnt vmcnt(0)
	v_cmp_lt_i16_e32 vcc, s0, v4
	s_and_saveexec_b64 s[0:1], vcc
	s_xor_b64 s[0:1], exec, s[0:1]
; %bb.415:
	s_movk_i32 s26, 0x80
	v_cmp_ne_u16_e32 vcc, s26, v4
	s_and_b64 s[26:27], vcc, exec
; %bb.416:
	s_andn2_saveexec_b64 s[0:1], s[0:1]
; %bb.417:
	v_cmp_ne_u16_e32 vcc, 0, v4
	s_andn2_b64 s[26:27], s[26:27], exec
	s_and_b64 s[34:35], vcc, exec
	s_or_b64 s[26:27], s[26:27], s[34:35]
; %bb.418:
	s_or_b64 exec, exec, s[0:1]
	v_mov_b32_e32 v2, 0
	v_mov_b32_e32 v3, 0
	s_and_saveexec_b64 s[0:1], s[26:27]
	s_cbranch_execz .LBB62_420
; %bb.419:
	v_and_b32_e32 v3, 0xffff, v4
	v_lshlrev_b32_e32 v2, 24, v4
	v_and_b32_e32 v4, 7, v3
	v_ffbh_u32_e32 v6, v4
	v_min_u32_e32 v6, 32, v6
	v_subrev_u32_e32 v7, 28, v6
	v_bfe_u32 v5, v3, 3, 4
	v_lshlrev_b32_e32 v3, v7, v3
	v_sub_u32_e32 v6, 29, v6
	v_and_b32_e32 v3, 7, v3
	v_cmp_eq_u32_e32 vcc, 0, v5
	v_cndmask_b32_e32 v5, v5, v6, vcc
	v_cndmask_b32_e32 v3, v4, v3, vcc
	v_mov_b32_e32 v4, 0x3b800000
	v_lshlrev_b32_e32 v3, 20, v3
	v_and_b32_e32 v2, 0x80000000, v2
	v_lshl_add_u32 v4, v5, 23, v4
	v_or3_b32 v2, v2, v4, v3
	v_trunc_f32_e32 v2, v2
	s_mov_b32 s26, 0x2f800000
	v_mul_f32_e64 v3, |v2|, s26
	v_floor_f32_e32 v3, v3
	s_mov_b32 s26, 0xcf800000
	v_fma_f32 v4, v3, s26, |v2|
	v_cvt_u32_f32_e32 v4, v4
	v_cvt_u32_f32_e32 v3, v3
	v_ashrrev_i32_e32 v5, 31, v2
	v_xor_b32_e32 v2, v4, v5
	v_xor_b32_e32 v3, v3, v5
	v_sub_co_u32_e32 v2, vcc, v2, v5
	v_subb_co_u32_e32 v3, vcc, v3, v5, vcc
.LBB62_420:
	s_or_b64 exec, exec, s[0:1]
.LBB62_421:
	s_mov_b64 s[0:1], -1
.LBB62_422:
	s_mov_b64 s[26:27], 0
.LBB62_423:
	s_and_b64 vcc, exec, s[26:27]
	s_cbranch_vccz .LBB62_454
; %bb.424:
	s_cmp_gt_i32 s30, 22
	s_cbranch_scc0 .LBB62_434
; %bb.425:
	s_cmp_lt_i32 s30, 24
	s_cbranch_scc1 .LBB62_435
; %bb.426:
	s_cmp_gt_i32 s30, 24
	s_cbranch_scc0 .LBB62_436
; %bb.427:
	global_load_ubyte v4, v[0:1], off
	s_movk_i32 s0, 0x7f
	s_mov_b64 s[26:27], 0
	s_waitcnt vmcnt(0)
	v_cmp_lt_i16_e32 vcc, s0, v4
	s_and_saveexec_b64 s[0:1], vcc
	s_xor_b64 s[0:1], exec, s[0:1]
; %bb.428:
	s_movk_i32 s26, 0x80
	v_cmp_ne_u16_e32 vcc, s26, v4
	s_and_b64 s[26:27], vcc, exec
; %bb.429:
	s_andn2_saveexec_b64 s[0:1], s[0:1]
; %bb.430:
	v_cmp_ne_u16_e32 vcc, 0, v4
	s_andn2_b64 s[26:27], s[26:27], exec
	s_and_b64 s[34:35], vcc, exec
	s_or_b64 s[26:27], s[26:27], s[34:35]
; %bb.431:
	s_or_b64 exec, exec, s[0:1]
	v_mov_b32_e32 v2, 0
	v_mov_b32_e32 v3, 0
	s_and_saveexec_b64 s[0:1], s[26:27]
	s_cbranch_execz .LBB62_433
; %bb.432:
	v_and_b32_e32 v3, 0xffff, v4
	v_lshlrev_b32_e32 v2, 24, v4
	v_and_b32_e32 v4, 3, v3
	v_ffbh_u32_e32 v6, v4
	v_min_u32_e32 v6, 32, v6
	v_subrev_u32_e32 v7, 29, v6
	v_bfe_u32 v5, v3, 2, 5
	v_lshlrev_b32_e32 v3, v7, v3
	v_sub_u32_e32 v6, 30, v6
	v_and_b32_e32 v3, 3, v3
	v_cmp_eq_u32_e32 vcc, 0, v5
	v_cndmask_b32_e32 v5, v5, v6, vcc
	v_cndmask_b32_e32 v3, v4, v3, vcc
	v_mov_b32_e32 v4, 0x37800000
	v_lshlrev_b32_e32 v3, 21, v3
	v_and_b32_e32 v2, 0x80000000, v2
	v_lshl_add_u32 v4, v5, 23, v4
	v_or3_b32 v2, v2, v4, v3
	v_trunc_f32_e32 v2, v2
	s_mov_b32 s26, 0x2f800000
	v_mul_f32_e64 v3, |v2|, s26
	v_floor_f32_e32 v3, v3
	s_mov_b32 s26, 0xcf800000
	v_fma_f32 v4, v3, s26, |v2|
	v_cvt_u32_f32_e32 v4, v4
	v_cvt_u32_f32_e32 v3, v3
	v_ashrrev_i32_e32 v5, 31, v2
	v_xor_b32_e32 v2, v4, v5
	v_xor_b32_e32 v3, v3, v5
	v_sub_co_u32_e32 v2, vcc, v2, v5
	v_subb_co_u32_e32 v3, vcc, v3, v5, vcc
.LBB62_433:
	s_or_b64 exec, exec, s[0:1]
	s_mov_b64 s[0:1], 0
	s_branch .LBB62_437
.LBB62_434:
	s_mov_b64 s[26:27], -1
                                        ; implicit-def: $vgpr2_vgpr3
	s_branch .LBB62_443
.LBB62_435:
	s_mov_b64 s[0:1], -1
                                        ; implicit-def: $vgpr2_vgpr3
	s_branch .LBB62_440
.LBB62_436:
	s_mov_b64 s[0:1], -1
                                        ; implicit-def: $vgpr2_vgpr3
.LBB62_437:
	s_and_b64 vcc, exec, s[0:1]
	s_cbranch_vccz .LBB62_439
; %bb.438:
	global_load_ubyte v2, v[0:1], off
	s_mov_b32 s0, 0x7f800000
	s_brev_b32 s1, 1
	s_mov_b32 s26, 0x2f800000
	s_mov_b32 s27, 0xcf800000
	s_waitcnt vmcnt(0)
	v_lshlrev_b32_e32 v2, 24, v2
	v_and_b32_e32 v3, 0x7f000000, v2
	v_ffbh_u32_e32 v4, v3
	v_min_u32_e32 v4, 32, v4
	v_sub_u32_e64 v4, v4, 4 clamp
	v_lshlrev_b32_e32 v6, v4, v3
	v_lshlrev_b32_e32 v4, 23, v4
	v_lshrrev_b32_e32 v6, 4, v6
	v_add_u32_e32 v5, 0x1000000, v3
	v_sub_u32_e32 v4, v6, v4
	v_ashrrev_i32_e32 v5, 8, v5
	v_add_u32_e32 v4, 0x3c000000, v4
	v_and_or_b32 v4, v5, s0, v4
	v_cmp_ne_u32_e32 vcc, 0, v3
	v_cndmask_b32_e32 v3, 0, v4, vcc
	v_and_or_b32 v2, v2, s1, v3
	v_trunc_f32_e32 v2, v2
	v_mul_f32_e64 v3, |v2|, s26
	v_floor_f32_e32 v3, v3
	v_fma_f32 v4, v3, s27, |v2|
	v_cvt_u32_f32_e32 v4, v4
	v_cvt_u32_f32_e32 v3, v3
	v_ashrrev_i32_e32 v5, 31, v2
	v_xor_b32_e32 v2, v4, v5
	v_xor_b32_e32 v3, v3, v5
	v_sub_co_u32_e32 v2, vcc, v2, v5
	v_subb_co_u32_e32 v3, vcc, v3, v5, vcc
.LBB62_439:
	s_mov_b64 s[0:1], 0
.LBB62_440:
	s_andn2_b64 vcc, exec, s[0:1]
	s_cbranch_vccnz .LBB62_442
; %bb.441:
	global_load_ubyte v2, v[0:1], off
	s_movk_i32 s0, 0x7f00
	s_brev_b32 s1, 16
	s_brev_b32 s26, 1
	s_mov_b32 s27, 0x2f800000
	s_mov_b32 s31, 0xcf800000
	s_waitcnt vmcnt(0)
	v_lshlrev_b16_e32 v3, 8, v2
	v_lshlrev_b32_e32 v2, 25, v2
	v_lshrrev_b32_e32 v4, 4, v2
	v_and_or_b32 v5, v3, s0, 0.5
	v_or_b32_e32 v4, 0x70000000, v4
	v_add_f32_e32 v5, -0.5, v5
	v_mul_f32_e32 v4, 0x7800000, v4
	v_cmp_gt_u32_e32 vcc, s1, v2
	v_bfe_i32 v3, v3, 0, 16
	v_cndmask_b32_e32 v2, v4, v5, vcc
	v_and_or_b32 v2, v3, s26, v2
	v_trunc_f32_e32 v2, v2
	v_mul_f32_e64 v3, |v2|, s27
	v_floor_f32_e32 v3, v3
	v_fma_f32 v4, v3, s31, |v2|
	v_cvt_u32_f32_e32 v4, v4
	v_cvt_u32_f32_e32 v3, v3
	v_ashrrev_i32_e32 v5, 31, v2
	v_xor_b32_e32 v2, v4, v5
	v_xor_b32_e32 v3, v3, v5
	v_sub_co_u32_e32 v2, vcc, v2, v5
	v_subb_co_u32_e32 v3, vcc, v3, v5, vcc
.LBB62_442:
	s_mov_b64 s[26:27], 0
	s_mov_b64 s[0:1], -1
.LBB62_443:
	s_andn2_b64 vcc, exec, s[26:27]
	s_cbranch_vccnz .LBB62_454
; %bb.444:
	s_cmp_gt_i32 s30, 14
	s_cbranch_scc0 .LBB62_447
; %bb.445:
	s_cmp_eq_u32 s30, 15
	s_cbranch_scc0 .LBB62_448
; %bb.446:
	global_load_ushort v2, v[0:1], off
	s_mov_b32 s0, 0x2f800000
	s_mov_b32 s1, 0xcf800000
	s_mov_b64 s[24:25], 0
	s_waitcnt vmcnt(0)
	v_lshlrev_b32_e32 v2, 16, v2
	v_trunc_f32_e32 v2, v2
	v_mul_f32_e64 v3, |v2|, s0
	v_floor_f32_e32 v3, v3
	v_fma_f32 v4, v3, s1, |v2|
	v_cvt_u32_f32_e32 v4, v4
	v_cvt_u32_f32_e32 v3, v3
	v_ashrrev_i32_e32 v5, 31, v2
	s_mov_b64 s[0:1], -1
	v_xor_b32_e32 v2, v4, v5
	v_xor_b32_e32 v3, v3, v5
	v_sub_co_u32_e32 v2, vcc, v2, v5
	v_subb_co_u32_e32 v3, vcc, v3, v5, vcc
	s_branch .LBB62_449
.LBB62_447:
	s_mov_b64 s[26:27], -1
                                        ; implicit-def: $vgpr2_vgpr3
	s_branch .LBB62_450
.LBB62_448:
	s_mov_b64 s[24:25], -1
                                        ; implicit-def: $vgpr2_vgpr3
.LBB62_449:
	s_mov_b64 s[26:27], 0
.LBB62_450:
	s_and_b64 vcc, exec, s[26:27]
	s_cbranch_vccz .LBB62_454
; %bb.451:
	s_cmp_eq_u32 s30, 11
	s_cbranch_scc0 .LBB62_453
; %bb.452:
	global_load_ubyte v2, v[0:1], off
	s_mov_b32 s24, 0
	s_mov_b64 s[0:1], -1
	s_waitcnt vmcnt(1)
	v_mov_b32_e32 v3, s24
	s_mov_b64 s[24:25], 0
	s_waitcnt vmcnt(0)
	v_cmp_ne_u16_e32 vcc, 0, v2
	v_cndmask_b32_e64 v2, 0, 1, vcc
	s_branch .LBB62_454
.LBB62_453:
	s_mov_b64 s[24:25], -1
                                        ; implicit-def: $vgpr2_vgpr3
.LBB62_454:
	s_branch .LBB62_261
.LBB62_455:
	s_cmp_lt_i32 s30, 5
	s_cbranch_scc1 .LBB62_460
; %bb.456:
	s_cmp_lt_i32 s30, 8
	s_cbranch_scc1 .LBB62_461
; %bb.457:
	;; [unrolled: 3-line block ×3, first 2 shown]
	s_cmp_gt_i32 s30, 9
	s_cbranch_scc0 .LBB62_463
; %bb.459:
	global_load_dwordx2 v[2:3], v[0:1], off
	s_movk_i32 s0, 0xffe0
	s_waitcnt vmcnt(0)
	v_trunc_f64_e32 v[2:3], v[2:3]
	v_ldexp_f64 v[4:5], v[2:3], s0
	s_mov_b32 s0, 0
	s_mov_b32 s1, 0xc1f00000
	v_floor_f64_e32 v[4:5], v[4:5]
	v_fma_f64 v[6:7], v[4:5], s[0:1], v[2:3]
	v_cvt_i32_f64_e32 v3, v[4:5]
	s_mov_b64 s[0:1], 0
	v_cvt_u32_f64_e32 v2, v[6:7]
	s_branch .LBB62_464
.LBB62_460:
	s_mov_b64 s[0:1], -1
                                        ; implicit-def: $vgpr2_vgpr3
	s_branch .LBB62_482
.LBB62_461:
	s_mov_b64 s[0:1], -1
                                        ; implicit-def: $vgpr2_vgpr3
	s_branch .LBB62_470
.LBB62_462:
	s_mov_b64 s[0:1], -1
                                        ; implicit-def: $vgpr2_vgpr3
	s_branch .LBB62_467
.LBB62_463:
	s_mov_b64 s[0:1], -1
                                        ; implicit-def: $vgpr2_vgpr3
.LBB62_464:
	s_andn2_b64 vcc, exec, s[0:1]
	s_cbranch_vccnz .LBB62_466
; %bb.465:
	global_load_dword v2, v[0:1], off
	s_mov_b32 s0, 0x2f800000
	s_mov_b32 s1, 0xcf800000
	s_waitcnt vmcnt(0)
	v_trunc_f32_e32 v2, v2
	v_mul_f32_e64 v3, |v2|, s0
	v_floor_f32_e32 v3, v3
	v_cvt_u32_f32_e32 v4, v3
	v_fma_f32 v3, v3, s1, |v2|
	v_cvt_u32_f32_e32 v3, v3
	v_ashrrev_i32_e32 v5, 31, v2
	v_xor_b32_e32 v4, v4, v5
	v_xor_b32_e32 v2, v3, v5
	v_sub_co_u32_e32 v2, vcc, v2, v5
	v_subb_co_u32_e32 v3, vcc, v4, v5, vcc
.LBB62_466:
	s_mov_b64 s[0:1], 0
.LBB62_467:
	s_andn2_b64 vcc, exec, s[0:1]
	s_cbranch_vccnz .LBB62_469
; %bb.468:
	global_load_dword v2, v[0:1], off
	s_waitcnt vmcnt(0)
	v_cvt_f32_f16_e32 v2, v2
	v_cvt_i32_f32_e32 v2, v2
	v_ashrrev_i32_e32 v3, 31, v2
.LBB62_469:
	s_mov_b64 s[0:1], 0
.LBB62_470:
	s_andn2_b64 vcc, exec, s[0:1]
	s_cbranch_vccnz .LBB62_481
; %bb.471:
	s_cmp_lt_i32 s30, 6
	s_cbranch_scc1 .LBB62_474
; %bb.472:
	s_cmp_gt_i32 s30, 6
	s_cbranch_scc0 .LBB62_475
; %bb.473:
	global_load_dwordx2 v[2:3], v[0:1], off
	s_movk_i32 s0, 0xffe0
	s_waitcnt vmcnt(0)
	v_trunc_f64_e32 v[2:3], v[2:3]
	v_ldexp_f64 v[4:5], v[2:3], s0
	s_mov_b32 s0, 0
	s_mov_b32 s1, 0xc1f00000
	v_floor_f64_e32 v[4:5], v[4:5]
	v_fma_f64 v[6:7], v[4:5], s[0:1], v[2:3]
	v_cvt_i32_f64_e32 v3, v[4:5]
	s_mov_b64 s[0:1], 0
	v_cvt_u32_f64_e32 v2, v[6:7]
	s_branch .LBB62_476
.LBB62_474:
	s_mov_b64 s[0:1], -1
                                        ; implicit-def: $vgpr2_vgpr3
	s_branch .LBB62_479
.LBB62_475:
	s_mov_b64 s[0:1], -1
                                        ; implicit-def: $vgpr2_vgpr3
.LBB62_476:
	s_andn2_b64 vcc, exec, s[0:1]
	s_cbranch_vccnz .LBB62_478
; %bb.477:
	global_load_dword v2, v[0:1], off
	s_mov_b32 s0, 0x2f800000
	s_mov_b32 s1, 0xcf800000
	s_waitcnt vmcnt(0)
	v_trunc_f32_e32 v2, v2
	v_mul_f32_e64 v3, |v2|, s0
	v_floor_f32_e32 v3, v3
	v_cvt_u32_f32_e32 v4, v3
	v_fma_f32 v3, v3, s1, |v2|
	v_cvt_u32_f32_e32 v3, v3
	v_ashrrev_i32_e32 v5, 31, v2
	v_xor_b32_e32 v4, v4, v5
	v_xor_b32_e32 v2, v3, v5
	v_sub_co_u32_e32 v2, vcc, v2, v5
	v_subb_co_u32_e32 v3, vcc, v4, v5, vcc
.LBB62_478:
	s_mov_b64 s[0:1], 0
.LBB62_479:
	s_andn2_b64 vcc, exec, s[0:1]
	s_cbranch_vccnz .LBB62_481
; %bb.480:
	global_load_ushort v2, v[0:1], off
	s_waitcnt vmcnt(0)
	v_cvt_f32_f16_e32 v2, v2
	v_cvt_i32_f32_e32 v2, v2
	v_ashrrev_i32_e32 v3, 31, v2
.LBB62_481:
	s_mov_b64 s[0:1], 0
.LBB62_482:
	s_andn2_b64 vcc, exec, s[0:1]
	s_cbranch_vccnz .LBB62_502
; %bb.483:
	s_cmp_lt_i32 s30, 2
	s_cbranch_scc1 .LBB62_487
; %bb.484:
	s_cmp_lt_i32 s30, 3
	s_cbranch_scc1 .LBB62_488
; %bb.485:
	s_cmp_gt_i32 s30, 3
	s_cbranch_scc0 .LBB62_489
; %bb.486:
	global_load_dwordx2 v[2:3], v[0:1], off
	s_mov_b64 s[0:1], 0
	s_branch .LBB62_490
.LBB62_487:
	s_mov_b64 s[0:1], -1
                                        ; implicit-def: $vgpr2_vgpr3
	s_branch .LBB62_496
.LBB62_488:
	s_mov_b64 s[0:1], -1
                                        ; implicit-def: $vgpr2_vgpr3
	s_branch .LBB62_493
.LBB62_489:
	s_mov_b64 s[0:1], -1
                                        ; implicit-def: $vgpr2_vgpr3
.LBB62_490:
	s_andn2_b64 vcc, exec, s[0:1]
	s_cbranch_vccnz .LBB62_492
; %bb.491:
	global_load_dword v2, v[0:1], off
	s_waitcnt vmcnt(0)
	v_ashrrev_i32_e32 v3, 31, v2
.LBB62_492:
	s_mov_b64 s[0:1], 0
.LBB62_493:
	s_andn2_b64 vcc, exec, s[0:1]
	s_cbranch_vccnz .LBB62_495
; %bb.494:
	global_load_ushort v2, v[0:1], off
	s_waitcnt vmcnt(0)
	v_bfe_i32 v2, v2, 0, 16
	v_ashrrev_i32_e32 v3, 31, v2
.LBB62_495:
	s_mov_b64 s[0:1], 0
.LBB62_496:
	s_andn2_b64 vcc, exec, s[0:1]
	s_cbranch_vccnz .LBB62_502
; %bb.497:
	s_cmp_gt_i32 s30, 0
	s_cbranch_scc0 .LBB62_499
; %bb.498:
	global_load_sbyte v2, v[0:1], off
	s_mov_b64 s[0:1], 0
	s_waitcnt vmcnt(0)
	v_bfe_i32 v2, v2, 0, 16
	v_ashrrev_i32_e32 v3, 31, v2
	s_branch .LBB62_500
.LBB62_499:
	s_mov_b64 s[0:1], -1
                                        ; implicit-def: $vgpr2_vgpr3
.LBB62_500:
	s_andn2_b64 vcc, exec, s[0:1]
	s_cbranch_vccnz .LBB62_502
; %bb.501:
	global_load_ubyte v0, v[0:1], off
	s_mov_b32 s0, 0
	s_waitcnt vmcnt(1)
	v_mov_b32_e32 v3, s0
	s_waitcnt vmcnt(0)
	v_and_b32_e32 v2, 0xffff, v0
.LBB62_502:
	s_branch .LBB62_262
.LBB62_503:
	s_mov_b64 s[30:31], 0
                                        ; implicit-def: $vgpr10
	s_mov_b64 s[0:1], s[18:19]
.LBB62_504:
	s_andn2_b64 s[26:27], s[18:19], exec
	s_and_b64 s[0:1], s[0:1], exec
	s_or_b64 s[26:27], s[26:27], s[0:1]
	s_andn2_b64 s[0:1], s[20:21], exec
	s_and_b64 s[24:25], s[24:25], exec
	s_or_b64 s[24:25], s[0:1], s[24:25]
	s_orn2_b64 s[0:1], s[30:31], exec
.LBB62_505:
	s_or_b64 exec, exec, s[28:29]
	s_mov_b64 s[30:31], 0
	s_mov_b64 s[34:35], 0
	;; [unrolled: 1-line block ×3, first 2 shown]
                                        ; implicit-def: $vgpr0_vgpr1
                                        ; implicit-def: $vgpr2_vgpr3
	s_and_saveexec_b64 s[28:29], s[0:1]
	s_cbranch_execz .LBB62_842
; %bb.506:
	v_cmp_gt_i32_e32 vcc, s44, v10
	s_mov_b64 s[40:41], -1
	s_mov_b64 s[0:1], s[24:25]
	s_mov_b64 s[36:37], s[26:27]
	s_and_saveexec_b64 s[30:31], vcc
	s_cbranch_execz .LBB62_760
; %bb.507:
	v_mul_lo_u32 v0, v10, s13
	v_mov_b32_e32 v1, s11
	s_and_b32 s38, 0xffff, s15
	s_cmp_lt_i32 s38, 11
	s_waitcnt vmcnt(0)
	v_ashrrev_i32_e32 v2, 31, v0
	v_add_co_u32_e32 v0, vcc, s10, v0
	v_addc_co_u32_e32 v1, vcc, v1, v2, vcc
	s_cbranch_scc1 .LBB62_514
; %bb.508:
	s_cmp_gt_i32 s38, 25
	s_cbranch_scc0 .LBB62_515
; %bb.509:
	s_cmp_gt_i32 s38, 28
	s_cbranch_scc0 .LBB62_516
	;; [unrolled: 3-line block ×4, first 2 shown]
; %bb.512:
	s_cmp_eq_u32 s38, 46
	s_mov_b64 s[36:37], 0
	s_cbranch_scc0 .LBB62_523
; %bb.513:
	global_load_dword v2, v[0:1], off
	s_mov_b32 s0, 0x2f800000
	s_mov_b32 s1, 0xcf800000
	s_waitcnt vmcnt(0)
	v_lshlrev_b32_e32 v2, 16, v2
	v_trunc_f32_e32 v2, v2
	v_mul_f32_e64 v3, |v2|, s0
	v_floor_f32_e32 v3, v3
	v_fma_f32 v4, v3, s1, |v2|
	v_cvt_u32_f32_e32 v4, v4
	v_cvt_u32_f32_e32 v3, v3
	v_ashrrev_i32_e32 v5, 31, v2
	s_mov_b64 s[0:1], -1
	v_xor_b32_e32 v2, v4, v5
	v_xor_b32_e32 v3, v3, v5
	v_sub_co_u32_e32 v2, vcc, v2, v5
	v_subb_co_u32_e32 v3, vcc, v3, v5, vcc
	s_branch .LBB62_524
.LBB62_514:
	s_mov_b64 s[36:37], -1
	s_mov_b64 s[0:1], 0
                                        ; implicit-def: $vgpr2_vgpr3
	s_mov_b64 s[34:35], s[24:25]
	s_branch .LBB62_585
.LBB62_515:
	s_mov_b64 s[36:37], -1
	s_mov_b64 s[0:1], 0
	s_mov_b64 s[34:35], s[24:25]
                                        ; implicit-def: $vgpr2_vgpr3
	s_branch .LBB62_553
.LBB62_516:
	s_mov_b64 s[36:37], -1
	s_mov_b64 s[0:1], 0
	s_mov_b64 s[34:35], s[24:25]
                                        ; implicit-def: $vgpr2_vgpr3
	s_branch .LBB62_534
.LBB62_517:
	s_mov_b64 s[36:37], -1
	s_mov_b64 s[0:1], 0
	s_mov_b64 s[34:35], s[24:25]
                                        ; implicit-def: $vgpr2_vgpr3
	s_branch .LBB62_529
.LBB62_518:
	s_andn2_saveexec_b64 s[36:37], s[36:37]
	s_cbranch_execz .LBB62_307
.LBB62_519:
	v_add_f32_e32 v2, 0x46000000, v3
	v_and_b32_e32 v2, 0xff, v2
	v_cmp_ne_u32_e32 vcc, 0, v2
	s_andn2_b64 s[34:35], s[34:35], exec
	s_and_b64 s[40:41], vcc, exec
	s_or_b64 s[34:35], s[34:35], s[40:41]
	s_or_b64 exec, exec, s[36:37]
	v_mov_b32_e32 v4, 0
	s_and_saveexec_b64 s[36:37], s[34:35]
	s_cbranch_execnz .LBB62_308
	s_branch .LBB62_309
.LBB62_520:
	s_mov_b64 s[36:37], -1
	s_mov_b64 s[0:1], 0
	s_mov_b64 s[34:35], s[24:25]
                                        ; implicit-def: $vgpr2_vgpr3
	s_branch .LBB62_524
.LBB62_521:
	s_andn2_saveexec_b64 s[36:37], s[36:37]
	s_cbranch_execz .LBB62_320
.LBB62_522:
	v_add_f32_e32 v2, 0x42800000, v3
	v_and_b32_e32 v2, 0xff, v2
	v_cmp_ne_u32_e32 vcc, 0, v2
	s_andn2_b64 s[34:35], s[34:35], exec
	s_and_b64 s[40:41], vcc, exec
	s_or_b64 s[34:35], s[34:35], s[40:41]
	s_or_b64 exec, exec, s[36:37]
	v_mov_b32_e32 v4, 0
	s_and_saveexec_b64 s[36:37], s[34:35]
	s_cbranch_execnz .LBB62_321
	s_branch .LBB62_322
.LBB62_523:
	s_mov_b64 s[34:35], -1
                                        ; implicit-def: $vgpr2_vgpr3
	s_mov_b64 s[0:1], 0
.LBB62_524:
	s_and_b64 vcc, exec, s[36:37]
	s_cbranch_vccz .LBB62_528
; %bb.525:
	s_cmp_eq_u32 s38, 44
	s_cbranch_scc0 .LBB62_527
; %bb.526:
	global_load_ubyte v2, v[0:1], off
	s_mov_b32 s0, 0x2f800000
	s_mov_b32 s1, 0xcf800000
	s_mov_b64 s[34:35], 0
	s_waitcnt vmcnt(0)
	v_lshlrev_b32_e32 v3, 23, v2
	v_trunc_f32_e32 v3, v3
	v_mul_f32_e64 v4, |v3|, s0
	v_floor_f32_e32 v4, v4
	v_fma_f32 v5, v4, s1, |v3|
	v_cvt_u32_f32_e32 v5, v5
	v_cvt_u32_f32_e32 v4, v4
	v_ashrrev_i32_e32 v3, 31, v3
	s_mov_b64 s[0:1], -1
	v_xor_b32_e32 v5, v5, v3
	v_xor_b32_e32 v4, v4, v3
	v_sub_co_u32_e32 v5, vcc, v5, v3
	v_subb_co_u32_e32 v3, vcc, v4, v3, vcc
	v_cmp_ne_u32_e32 vcc, 0, v2
	v_cndmask_b32_e32 v3, 0, v3, vcc
	v_cndmask_b32_e32 v2, 0, v5, vcc
	s_branch .LBB62_528
.LBB62_527:
	s_mov_b64 s[34:35], -1
                                        ; implicit-def: $vgpr2_vgpr3
.LBB62_528:
	s_mov_b64 s[36:37], 0
.LBB62_529:
	s_and_b64 vcc, exec, s[36:37]
	s_cbranch_vccz .LBB62_533
; %bb.530:
	s_cmp_eq_u32 s38, 29
	s_cbranch_scc0 .LBB62_532
; %bb.531:
	global_load_dwordx2 v[2:3], v[0:1], off
	s_mov_b64 s[0:1], -1
	s_mov_b64 s[34:35], 0
	s_branch .LBB62_533
.LBB62_532:
	s_mov_b64 s[34:35], -1
                                        ; implicit-def: $vgpr2_vgpr3
.LBB62_533:
	s_mov_b64 s[36:37], 0
.LBB62_534:
	s_and_b64 vcc, exec, s[36:37]
	s_cbranch_vccz .LBB62_552
; %bb.535:
	s_cmp_lt_i32 s38, 27
	s_cbranch_scc1 .LBB62_538
; %bb.536:
	s_cmp_gt_i32 s38, 27
	s_cbranch_scc0 .LBB62_539
; %bb.537:
	global_load_dword v2, v[0:1], off
	s_waitcnt vmcnt(1)
	v_mov_b32_e32 v3, 0
	s_mov_b64 s[0:1], 0
	s_branch .LBB62_540
.LBB62_538:
	s_mov_b64 s[0:1], -1
                                        ; implicit-def: $vgpr2_vgpr3
	s_branch .LBB62_543
.LBB62_539:
	s_mov_b64 s[0:1], -1
                                        ; implicit-def: $vgpr2_vgpr3
.LBB62_540:
	s_andn2_b64 vcc, exec, s[0:1]
	s_cbranch_vccnz .LBB62_542
; %bb.541:
	global_load_ushort v2, v[0:1], off
	s_mov_b32 s0, 0
	s_waitcnt vmcnt(1)
	v_mov_b32_e32 v3, s0
	s_waitcnt vmcnt(0)
	v_and_b32_e32 v2, 0xffff, v2
.LBB62_542:
	s_mov_b64 s[0:1], 0
.LBB62_543:
	s_andn2_b64 vcc, exec, s[0:1]
	s_cbranch_vccnz .LBB62_551
; %bb.544:
	global_load_ubyte v4, v[0:1], off
	s_movk_i32 s0, 0x7f
	s_mov_b64 s[36:37], 0
	s_waitcnt vmcnt(0)
	v_cmp_lt_i16_e32 vcc, s0, v4
	s_and_saveexec_b64 s[0:1], vcc
	s_xor_b64 s[0:1], exec, s[0:1]
; %bb.545:
	s_movk_i32 s36, 0x80
	v_cmp_ne_u16_e32 vcc, s36, v4
	s_and_b64 s[36:37], vcc, exec
; %bb.546:
	s_andn2_saveexec_b64 s[0:1], s[0:1]
; %bb.547:
	v_cmp_ne_u16_e32 vcc, 0, v4
	s_andn2_b64 s[36:37], s[36:37], exec
	s_and_b64 s[40:41], vcc, exec
	s_or_b64 s[36:37], s[36:37], s[40:41]
; %bb.548:
	s_or_b64 exec, exec, s[0:1]
	v_mov_b32_e32 v2, 0
	v_mov_b32_e32 v3, 0
	s_and_saveexec_b64 s[0:1], s[36:37]
	s_cbranch_execz .LBB62_550
; %bb.549:
	v_and_b32_e32 v3, 0xffff, v4
	v_lshlrev_b32_e32 v2, 24, v4
	v_and_b32_e32 v4, 7, v3
	v_ffbh_u32_e32 v6, v4
	v_min_u32_e32 v6, 32, v6
	v_subrev_u32_e32 v7, 28, v6
	v_bfe_u32 v5, v3, 3, 4
	v_lshlrev_b32_e32 v3, v7, v3
	v_sub_u32_e32 v6, 29, v6
	v_and_b32_e32 v3, 7, v3
	v_cmp_eq_u32_e32 vcc, 0, v5
	v_cndmask_b32_e32 v5, v5, v6, vcc
	v_cndmask_b32_e32 v3, v4, v3, vcc
	v_mov_b32_e32 v4, 0x3b800000
	v_lshlrev_b32_e32 v3, 20, v3
	v_and_b32_e32 v2, 0x80000000, v2
	v_lshl_add_u32 v4, v5, 23, v4
	v_or3_b32 v2, v2, v4, v3
	v_trunc_f32_e32 v2, v2
	s_mov_b32 s36, 0x2f800000
	v_mul_f32_e64 v3, |v2|, s36
	v_floor_f32_e32 v3, v3
	s_mov_b32 s36, 0xcf800000
	v_fma_f32 v4, v3, s36, |v2|
	v_cvt_u32_f32_e32 v4, v4
	v_cvt_u32_f32_e32 v3, v3
	v_ashrrev_i32_e32 v5, 31, v2
	v_xor_b32_e32 v2, v4, v5
	v_xor_b32_e32 v3, v3, v5
	v_sub_co_u32_e32 v2, vcc, v2, v5
	v_subb_co_u32_e32 v3, vcc, v3, v5, vcc
.LBB62_550:
	s_or_b64 exec, exec, s[0:1]
.LBB62_551:
	s_mov_b64 s[0:1], -1
.LBB62_552:
	s_mov_b64 s[36:37], 0
.LBB62_553:
	s_and_b64 vcc, exec, s[36:37]
	s_cbranch_vccz .LBB62_584
; %bb.554:
	s_cmp_gt_i32 s38, 22
	s_cbranch_scc0 .LBB62_564
; %bb.555:
	s_cmp_lt_i32 s38, 24
	s_cbranch_scc1 .LBB62_565
; %bb.556:
	s_cmp_gt_i32 s38, 24
	s_cbranch_scc0 .LBB62_566
; %bb.557:
	global_load_ubyte v4, v[0:1], off
	s_movk_i32 s0, 0x7f
	s_mov_b64 s[36:37], 0
	s_waitcnt vmcnt(0)
	v_cmp_lt_i16_e32 vcc, s0, v4
	s_and_saveexec_b64 s[0:1], vcc
	s_xor_b64 s[0:1], exec, s[0:1]
; %bb.558:
	s_movk_i32 s36, 0x80
	v_cmp_ne_u16_e32 vcc, s36, v4
	s_and_b64 s[36:37], vcc, exec
; %bb.559:
	s_andn2_saveexec_b64 s[0:1], s[0:1]
; %bb.560:
	v_cmp_ne_u16_e32 vcc, 0, v4
	s_andn2_b64 s[36:37], s[36:37], exec
	s_and_b64 s[40:41], vcc, exec
	s_or_b64 s[36:37], s[36:37], s[40:41]
; %bb.561:
	s_or_b64 exec, exec, s[0:1]
	v_mov_b32_e32 v2, 0
	v_mov_b32_e32 v3, 0
	s_and_saveexec_b64 s[0:1], s[36:37]
	s_cbranch_execz .LBB62_563
; %bb.562:
	v_and_b32_e32 v3, 0xffff, v4
	v_lshlrev_b32_e32 v2, 24, v4
	v_and_b32_e32 v4, 3, v3
	v_ffbh_u32_e32 v6, v4
	v_min_u32_e32 v6, 32, v6
	v_subrev_u32_e32 v7, 29, v6
	v_bfe_u32 v5, v3, 2, 5
	v_lshlrev_b32_e32 v3, v7, v3
	v_sub_u32_e32 v6, 30, v6
	v_and_b32_e32 v3, 3, v3
	v_cmp_eq_u32_e32 vcc, 0, v5
	v_cndmask_b32_e32 v5, v5, v6, vcc
	v_cndmask_b32_e32 v3, v4, v3, vcc
	v_mov_b32_e32 v4, 0x37800000
	v_lshlrev_b32_e32 v3, 21, v3
	v_and_b32_e32 v2, 0x80000000, v2
	v_lshl_add_u32 v4, v5, 23, v4
	v_or3_b32 v2, v2, v4, v3
	v_trunc_f32_e32 v2, v2
	s_mov_b32 s36, 0x2f800000
	v_mul_f32_e64 v3, |v2|, s36
	v_floor_f32_e32 v3, v3
	s_mov_b32 s36, 0xcf800000
	v_fma_f32 v4, v3, s36, |v2|
	v_cvt_u32_f32_e32 v4, v4
	v_cvt_u32_f32_e32 v3, v3
	v_ashrrev_i32_e32 v5, 31, v2
	v_xor_b32_e32 v2, v4, v5
	v_xor_b32_e32 v3, v3, v5
	v_sub_co_u32_e32 v2, vcc, v2, v5
	v_subb_co_u32_e32 v3, vcc, v3, v5, vcc
.LBB62_563:
	s_or_b64 exec, exec, s[0:1]
	s_mov_b64 s[0:1], 0
	s_branch .LBB62_567
.LBB62_564:
	s_mov_b64 s[36:37], -1
                                        ; implicit-def: $vgpr2_vgpr3
	s_branch .LBB62_573
.LBB62_565:
	s_mov_b64 s[0:1], -1
                                        ; implicit-def: $vgpr2_vgpr3
	s_branch .LBB62_570
.LBB62_566:
	s_mov_b64 s[0:1], -1
                                        ; implicit-def: $vgpr2_vgpr3
.LBB62_567:
	s_and_b64 vcc, exec, s[0:1]
	s_cbranch_vccz .LBB62_569
; %bb.568:
	global_load_ubyte v2, v[0:1], off
	s_mov_b32 s0, 0x7f800000
	s_brev_b32 s1, 1
	s_mov_b32 s36, 0x2f800000
	s_mov_b32 s37, 0xcf800000
	s_waitcnt vmcnt(0)
	v_lshlrev_b32_e32 v2, 24, v2
	v_and_b32_e32 v3, 0x7f000000, v2
	v_ffbh_u32_e32 v4, v3
	v_min_u32_e32 v4, 32, v4
	v_sub_u32_e64 v4, v4, 4 clamp
	v_lshlrev_b32_e32 v6, v4, v3
	v_lshlrev_b32_e32 v4, 23, v4
	v_lshrrev_b32_e32 v6, 4, v6
	v_add_u32_e32 v5, 0x1000000, v3
	v_sub_u32_e32 v4, v6, v4
	v_ashrrev_i32_e32 v5, 8, v5
	v_add_u32_e32 v4, 0x3c000000, v4
	v_and_or_b32 v4, v5, s0, v4
	v_cmp_ne_u32_e32 vcc, 0, v3
	v_cndmask_b32_e32 v3, 0, v4, vcc
	v_and_or_b32 v2, v2, s1, v3
	v_trunc_f32_e32 v2, v2
	v_mul_f32_e64 v3, |v2|, s36
	v_floor_f32_e32 v3, v3
	v_fma_f32 v4, v3, s37, |v2|
	v_cvt_u32_f32_e32 v4, v4
	v_cvt_u32_f32_e32 v3, v3
	v_ashrrev_i32_e32 v5, 31, v2
	v_xor_b32_e32 v2, v4, v5
	v_xor_b32_e32 v3, v3, v5
	v_sub_co_u32_e32 v2, vcc, v2, v5
	v_subb_co_u32_e32 v3, vcc, v3, v5, vcc
.LBB62_569:
	s_mov_b64 s[0:1], 0
.LBB62_570:
	s_andn2_b64 vcc, exec, s[0:1]
	s_cbranch_vccnz .LBB62_572
; %bb.571:
	global_load_ubyte v2, v[0:1], off
	s_movk_i32 s0, 0x7f00
	s_brev_b32 s1, 16
	s_brev_b32 s36, 1
	s_mov_b32 s37, 0x2f800000
	s_mov_b32 s39, 0xcf800000
	s_waitcnt vmcnt(0)
	v_lshlrev_b16_e32 v3, 8, v2
	v_lshlrev_b32_e32 v2, 25, v2
	v_lshrrev_b32_e32 v4, 4, v2
	v_and_or_b32 v5, v3, s0, 0.5
	v_or_b32_e32 v4, 0x70000000, v4
	v_add_f32_e32 v5, -0.5, v5
	v_mul_f32_e32 v4, 0x7800000, v4
	v_cmp_gt_u32_e32 vcc, s1, v2
	v_bfe_i32 v3, v3, 0, 16
	v_cndmask_b32_e32 v2, v4, v5, vcc
	v_and_or_b32 v2, v3, s36, v2
	v_trunc_f32_e32 v2, v2
	v_mul_f32_e64 v3, |v2|, s37
	v_floor_f32_e32 v3, v3
	v_fma_f32 v4, v3, s39, |v2|
	v_cvt_u32_f32_e32 v4, v4
	v_cvt_u32_f32_e32 v3, v3
	v_ashrrev_i32_e32 v5, 31, v2
	v_xor_b32_e32 v2, v4, v5
	v_xor_b32_e32 v3, v3, v5
	v_sub_co_u32_e32 v2, vcc, v2, v5
	v_subb_co_u32_e32 v3, vcc, v3, v5, vcc
.LBB62_572:
	s_mov_b64 s[36:37], 0
	s_mov_b64 s[0:1], -1
.LBB62_573:
	s_andn2_b64 vcc, exec, s[36:37]
	s_cbranch_vccnz .LBB62_584
; %bb.574:
	s_cmp_gt_i32 s38, 14
	s_cbranch_scc0 .LBB62_577
; %bb.575:
	s_cmp_eq_u32 s38, 15
	s_cbranch_scc0 .LBB62_578
; %bb.576:
	global_load_ushort v2, v[0:1], off
	s_mov_b32 s0, 0x2f800000
	s_mov_b32 s1, 0xcf800000
	s_mov_b64 s[34:35], 0
	s_waitcnt vmcnt(0)
	v_lshlrev_b32_e32 v2, 16, v2
	v_trunc_f32_e32 v2, v2
	v_mul_f32_e64 v3, |v2|, s0
	v_floor_f32_e32 v3, v3
	v_fma_f32 v4, v3, s1, |v2|
	v_cvt_u32_f32_e32 v4, v4
	v_cvt_u32_f32_e32 v3, v3
	v_ashrrev_i32_e32 v5, 31, v2
	s_mov_b64 s[0:1], -1
	v_xor_b32_e32 v2, v4, v5
	v_xor_b32_e32 v3, v3, v5
	v_sub_co_u32_e32 v2, vcc, v2, v5
	v_subb_co_u32_e32 v3, vcc, v3, v5, vcc
	s_branch .LBB62_579
.LBB62_577:
	s_mov_b64 s[36:37], -1
                                        ; implicit-def: $vgpr2_vgpr3
	s_branch .LBB62_580
.LBB62_578:
	s_mov_b64 s[34:35], -1
                                        ; implicit-def: $vgpr2_vgpr3
.LBB62_579:
	s_mov_b64 s[36:37], 0
.LBB62_580:
	s_and_b64 vcc, exec, s[36:37]
	s_cbranch_vccz .LBB62_584
; %bb.581:
	s_cmp_eq_u32 s38, 11
	s_cbranch_scc0 .LBB62_583
; %bb.582:
	global_load_ubyte v2, v[0:1], off
	s_mov_b32 s34, 0
	s_mov_b64 s[0:1], -1
	s_waitcnt vmcnt(1)
	v_mov_b32_e32 v3, s34
	s_mov_b64 s[34:35], 0
	s_waitcnt vmcnt(0)
	v_cmp_ne_u16_e32 vcc, 0, v2
	v_cndmask_b32_e64 v2, 0, 1, vcc
	s_branch .LBB62_584
.LBB62_583:
	s_mov_b64 s[34:35], -1
                                        ; implicit-def: $vgpr2_vgpr3
.LBB62_584:
	s_mov_b64 s[36:37], 0
.LBB62_585:
	s_and_b64 vcc, exec, s[36:37]
	s_cbranch_vccz .LBB62_634
; %bb.586:
	s_cmp_lt_i32 s38, 5
	s_cbranch_scc1 .LBB62_591
; %bb.587:
	s_cmp_lt_i32 s38, 8
	s_cbranch_scc1 .LBB62_592
	;; [unrolled: 3-line block ×3, first 2 shown]
; %bb.589:
	s_cmp_gt_i32 s38, 9
	s_cbranch_scc0 .LBB62_594
; %bb.590:
	global_load_dwordx2 v[2:3], v[0:1], off
	s_movk_i32 s0, 0xffe0
	s_waitcnt vmcnt(0)
	v_trunc_f64_e32 v[2:3], v[2:3]
	v_ldexp_f64 v[4:5], v[2:3], s0
	s_mov_b32 s0, 0
	s_mov_b32 s1, 0xc1f00000
	v_floor_f64_e32 v[4:5], v[4:5]
	v_fma_f64 v[6:7], v[4:5], s[0:1], v[2:3]
	v_cvt_i32_f64_e32 v3, v[4:5]
	s_mov_b64 s[0:1], 0
	v_cvt_u32_f64_e32 v2, v[6:7]
	s_branch .LBB62_595
.LBB62_591:
	s_mov_b64 s[0:1], -1
                                        ; implicit-def: $vgpr2_vgpr3
	s_branch .LBB62_613
.LBB62_592:
	s_mov_b64 s[0:1], -1
                                        ; implicit-def: $vgpr2_vgpr3
	s_branch .LBB62_601
.LBB62_593:
	s_mov_b64 s[0:1], -1
                                        ; implicit-def: $vgpr2_vgpr3
	s_branch .LBB62_598
.LBB62_594:
	s_mov_b64 s[0:1], -1
                                        ; implicit-def: $vgpr2_vgpr3
.LBB62_595:
	s_andn2_b64 vcc, exec, s[0:1]
	s_cbranch_vccnz .LBB62_597
; %bb.596:
	global_load_dword v2, v[0:1], off
	s_mov_b32 s0, 0x2f800000
	s_mov_b32 s1, 0xcf800000
	s_waitcnt vmcnt(0)
	v_trunc_f32_e32 v2, v2
	v_mul_f32_e64 v3, |v2|, s0
	v_floor_f32_e32 v3, v3
	v_cvt_u32_f32_e32 v4, v3
	v_fma_f32 v3, v3, s1, |v2|
	v_cvt_u32_f32_e32 v3, v3
	v_ashrrev_i32_e32 v5, 31, v2
	v_xor_b32_e32 v4, v4, v5
	v_xor_b32_e32 v2, v3, v5
	v_sub_co_u32_e32 v2, vcc, v2, v5
	v_subb_co_u32_e32 v3, vcc, v4, v5, vcc
.LBB62_597:
	s_mov_b64 s[0:1], 0
.LBB62_598:
	s_andn2_b64 vcc, exec, s[0:1]
	s_cbranch_vccnz .LBB62_600
; %bb.599:
	global_load_dword v2, v[0:1], off
	s_waitcnt vmcnt(0)
	v_cvt_f32_f16_e32 v2, v2
	v_cvt_i32_f32_e32 v2, v2
	v_ashrrev_i32_e32 v3, 31, v2
.LBB62_600:
	s_mov_b64 s[0:1], 0
.LBB62_601:
	s_andn2_b64 vcc, exec, s[0:1]
	s_cbranch_vccnz .LBB62_612
; %bb.602:
	s_cmp_lt_i32 s38, 6
	s_cbranch_scc1 .LBB62_605
; %bb.603:
	s_cmp_gt_i32 s38, 6
	s_cbranch_scc0 .LBB62_606
; %bb.604:
	global_load_dwordx2 v[2:3], v[0:1], off
	s_movk_i32 s0, 0xffe0
	s_waitcnt vmcnt(0)
	v_trunc_f64_e32 v[2:3], v[2:3]
	v_ldexp_f64 v[4:5], v[2:3], s0
	s_mov_b32 s0, 0
	s_mov_b32 s1, 0xc1f00000
	v_floor_f64_e32 v[4:5], v[4:5]
	v_fma_f64 v[6:7], v[4:5], s[0:1], v[2:3]
	v_cvt_i32_f64_e32 v3, v[4:5]
	s_mov_b64 s[0:1], 0
	v_cvt_u32_f64_e32 v2, v[6:7]
	s_branch .LBB62_607
.LBB62_605:
	s_mov_b64 s[0:1], -1
                                        ; implicit-def: $vgpr2_vgpr3
	s_branch .LBB62_610
.LBB62_606:
	s_mov_b64 s[0:1], -1
                                        ; implicit-def: $vgpr2_vgpr3
.LBB62_607:
	s_andn2_b64 vcc, exec, s[0:1]
	s_cbranch_vccnz .LBB62_609
; %bb.608:
	global_load_dword v2, v[0:1], off
	s_mov_b32 s0, 0x2f800000
	s_mov_b32 s1, 0xcf800000
	s_waitcnt vmcnt(0)
	v_trunc_f32_e32 v2, v2
	v_mul_f32_e64 v3, |v2|, s0
	v_floor_f32_e32 v3, v3
	v_cvt_u32_f32_e32 v4, v3
	v_fma_f32 v3, v3, s1, |v2|
	v_cvt_u32_f32_e32 v3, v3
	v_ashrrev_i32_e32 v5, 31, v2
	v_xor_b32_e32 v4, v4, v5
	v_xor_b32_e32 v2, v3, v5
	v_sub_co_u32_e32 v2, vcc, v2, v5
	v_subb_co_u32_e32 v3, vcc, v4, v5, vcc
.LBB62_609:
	s_mov_b64 s[0:1], 0
.LBB62_610:
	s_andn2_b64 vcc, exec, s[0:1]
	s_cbranch_vccnz .LBB62_612
; %bb.611:
	global_load_ushort v2, v[0:1], off
	s_waitcnt vmcnt(0)
	v_cvt_f32_f16_e32 v2, v2
	v_cvt_i32_f32_e32 v2, v2
	v_ashrrev_i32_e32 v3, 31, v2
.LBB62_612:
	s_mov_b64 s[0:1], 0
.LBB62_613:
	s_andn2_b64 vcc, exec, s[0:1]
	s_cbranch_vccnz .LBB62_633
; %bb.614:
	s_cmp_lt_i32 s38, 2
	s_cbranch_scc1 .LBB62_618
; %bb.615:
	s_cmp_lt_i32 s38, 3
	s_cbranch_scc1 .LBB62_619
; %bb.616:
	s_cmp_gt_i32 s38, 3
	s_cbranch_scc0 .LBB62_620
; %bb.617:
	global_load_dwordx2 v[2:3], v[0:1], off
	s_mov_b64 s[0:1], 0
	s_branch .LBB62_621
.LBB62_618:
	s_mov_b64 s[0:1], -1
                                        ; implicit-def: $vgpr2_vgpr3
	s_branch .LBB62_627
.LBB62_619:
	s_mov_b64 s[0:1], -1
                                        ; implicit-def: $vgpr2_vgpr3
	s_branch .LBB62_624
.LBB62_620:
	s_mov_b64 s[0:1], -1
                                        ; implicit-def: $vgpr2_vgpr3
.LBB62_621:
	s_andn2_b64 vcc, exec, s[0:1]
	s_cbranch_vccnz .LBB62_623
; %bb.622:
	global_load_dword v2, v[0:1], off
	s_waitcnt vmcnt(0)
	v_ashrrev_i32_e32 v3, 31, v2
.LBB62_623:
	s_mov_b64 s[0:1], 0
.LBB62_624:
	s_andn2_b64 vcc, exec, s[0:1]
	s_cbranch_vccnz .LBB62_626
; %bb.625:
	global_load_ushort v2, v[0:1], off
	s_waitcnt vmcnt(0)
	v_bfe_i32 v2, v2, 0, 16
	v_ashrrev_i32_e32 v3, 31, v2
.LBB62_626:
	s_mov_b64 s[0:1], 0
.LBB62_627:
	s_andn2_b64 vcc, exec, s[0:1]
	s_cbranch_vccnz .LBB62_633
; %bb.628:
	s_cmp_gt_i32 s38, 0
	s_cbranch_scc0 .LBB62_630
; %bb.629:
	global_load_sbyte v2, v[0:1], off
	s_mov_b64 s[0:1], 0
	s_waitcnt vmcnt(0)
	v_bfe_i32 v2, v2, 0, 16
	v_ashrrev_i32_e32 v3, 31, v2
	s_branch .LBB62_631
.LBB62_630:
	s_mov_b64 s[0:1], -1
                                        ; implicit-def: $vgpr2_vgpr3
.LBB62_631:
	s_andn2_b64 vcc, exec, s[0:1]
	s_cbranch_vccnz .LBB62_633
; %bb.632:
	global_load_ubyte v0, v[0:1], off
	s_mov_b32 s0, 0
	s_waitcnt vmcnt(1)
	v_mov_b32_e32 v3, s0
	s_waitcnt vmcnt(0)
	v_and_b32_e32 v2, 0xffff, v0
.LBB62_633:
	s_mov_b64 s[0:1], -1
.LBB62_634:
	s_andn2_b64 vcc, exec, s[0:1]
	s_cbranch_vccnz .LBB62_642
; %bb.635:
	v_mul_lo_u32 v0, v10, s12
	s_waitcnt vmcnt(0)
	v_cmp_ne_u64_e32 vcc, s[2:3], v[2:3]
	v_mov_b32_e32 v1, s9
	s_xor_b64 s[36:37], s[16:17], vcc
	v_ashrrev_i32_e32 v2, 31, v0
	s_and_b32 s45, s33, 0xff
	v_add_co_u32_e32 v0, vcc, s8, v0
	s_cmp_lt_i32 s45, 11
	v_addc_co_u32_e32 v1, vcc, v1, v2, vcc
	s_cbranch_scc1 .LBB62_643
; %bb.636:
	s_and_b32 s46, 0xffff, s45
	s_cmp_gt_i32 s46, 25
	s_cbranch_scc0 .LBB62_644
; %bb.637:
	s_cmp_gt_i32 s46, 28
	s_cbranch_scc0 .LBB62_645
; %bb.638:
	;; [unrolled: 3-line block ×4, first 2 shown]
	s_mov_b64 s[40:41], 0
	s_mov_b64 s[0:1], -1
	s_cmp_eq_u32 s46, 46
	s_mov_b64 s[38:39], 0
	s_cbranch_scc0 .LBB62_648
; %bb.641:
	v_cndmask_b32_e64 v2, 0, 1.0, s[36:37]
	v_bfe_u32 v3, v2, 16, 1
	s_movk_i32 s0, 0x7fff
	v_add3_u32 v2, v2, v3, s0
	v_lshrrev_b32_e32 v2, 16, v2
	global_store_dword v[0:1], v2, off
	s_mov_b64 s[38:39], -1
	s_mov_b64 s[0:1], 0
	s_branch .LBB62_648
.LBB62_642:
	s_mov_b64 s[38:39], 0
                                        ; implicit-def: $vgpr10
	s_mov_b64 s[0:1], s[26:27]
	s_branch .LBB62_759
.LBB62_643:
	s_mov_b64 s[40:41], -1
	s_mov_b64 s[38:39], 0
	s_mov_b64 s[0:1], s[26:27]
	s_branch .LBB62_717
.LBB62_644:
	s_mov_b64 s[40:41], -1
	s_mov_b64 s[38:39], 0
	s_mov_b64 s[0:1], s[26:27]
	s_branch .LBB62_675
.LBB62_645:
	s_mov_b64 s[40:41], -1
	s_mov_b64 s[38:39], 0
	s_mov_b64 s[0:1], s[26:27]
	s_branch .LBB62_658
.LBB62_646:
	s_mov_b64 s[40:41], -1
	s_mov_b64 s[38:39], 0
	s_mov_b64 s[0:1], s[26:27]
	s_branch .LBB62_654
.LBB62_647:
	s_mov_b64 s[40:41], -1
	s_mov_b64 s[38:39], 0
	s_mov_b64 s[0:1], s[26:27]
.LBB62_648:
	s_and_b64 vcc, exec, s[40:41]
	s_cbranch_vccz .LBB62_653
; %bb.649:
	s_cmp_eq_u32 s46, 44
	s_mov_b64 s[0:1], -1
	s_cbranch_scc0 .LBB62_653
; %bb.650:
	v_cndmask_b32_e64 v3, 0, 1.0, s[36:37]
	v_lshrrev_b32_e32 v2, 23, v3
	s_movk_i32 s0, 0xff
	v_cmp_ne_u32_e32 vcc, s0, v2
	v_mov_b32_e32 v4, 0xff
	s_and_saveexec_b64 s[38:39], vcc
; %bb.651:
	s_mov_b32 s0, 0x3fffff
	v_and_b32_e32 v4, 0x400000, v3
	v_and_or_b32 v3, v3, s0, v2
	v_cmp_ne_u32_e32 vcc, 0, v4
	v_cmp_ne_u32_e64 s[0:1], 0, v3
	s_and_b64 s[0:1], vcc, s[0:1]
	v_cndmask_b32_e64 v3, 0, 1, s[0:1]
	v_add_u32_e32 v4, v2, v3
; %bb.652:
	s_or_b64 exec, exec, s[38:39]
	s_mov_b64 s[38:39], -1
	s_mov_b64 s[0:1], 0
	global_store_byte v[0:1], v4, off
.LBB62_653:
	s_mov_b64 s[40:41], 0
.LBB62_654:
	s_and_b64 vcc, exec, s[40:41]
	s_cbranch_vccz .LBB62_657
; %bb.655:
	s_cmp_eq_u32 s46, 29
	s_mov_b64 s[0:1], -1
	s_cbranch_scc0 .LBB62_657
; %bb.656:
	s_mov_b32 s0, 0
	v_cndmask_b32_e64 v2, 0, 1, s[36:37]
	v_mov_b32_e32 v3, s0
	global_store_dwordx2 v[0:1], v[2:3], off
	s_mov_b64 s[38:39], -1
	s_mov_b64 s[0:1], 0
.LBB62_657:
	s_mov_b64 s[40:41], 0
.LBB62_658:
	s_and_b64 vcc, exec, s[40:41]
	s_cbranch_vccz .LBB62_674
; %bb.659:
	s_cmp_lt_i32 s46, 27
	s_mov_b64 s[38:39], -1
	s_cbranch_scc1 .LBB62_665
; %bb.660:
	s_cmp_gt_i32 s46, 27
	s_cbranch_scc0 .LBB62_662
; %bb.661:
	v_cndmask_b32_e64 v2, 0, 1, s[36:37]
	s_mov_b64 s[38:39], 0
	global_store_dword v[0:1], v2, off
.LBB62_662:
	s_andn2_b64 vcc, exec, s[38:39]
	s_cbranch_vccnz .LBB62_664
; %bb.663:
	v_cndmask_b32_e64 v2, 0, 1, s[36:37]
	global_store_short v[0:1], v2, off
.LBB62_664:
	s_mov_b64 s[38:39], 0
.LBB62_665:
	s_andn2_b64 vcc, exec, s[38:39]
	s_cbranch_vccnz .LBB62_673
; %bb.666:
	v_cndmask_b32_e64 v3, 0, 1.0, s[36:37]
	s_mov_b32 s38, 0x43800000
	v_cmp_gt_u32_e32 vcc, s38, v3
	v_mov_b32_e32 v4, 0x80
	s_and_saveexec_b64 s[38:39], vcc
	s_cbranch_execz .LBB62_672
; %bb.667:
	s_mov_b32 s40, 0x3bffffff
	v_cmp_lt_u32_e32 vcc, s40, v3
	s_mov_b64 s[40:41], 0
                                        ; implicit-def: $vgpr2
	s_and_saveexec_b64 s[42:43], vcc
	s_xor_b64 s[42:43], exec, s[42:43]
	s_cbranch_execz .LBB62_773
; %bb.668:
	v_bfe_u32 v2, v3, 20, 1
	s_mov_b32 s47, 0x487ffff
	v_add3_u32 v2, v3, v2, s47
	s_mov_b64 s[40:41], exec
	v_lshrrev_b32_e32 v2, 20, v2
                                        ; implicit-def: $vgpr3
	s_andn2_saveexec_b64 s[42:43], s[42:43]
	s_cbranch_execnz .LBB62_774
.LBB62_669:
	s_or_b64 exec, exec, s[42:43]
	v_mov_b32_e32 v4, 0
	s_and_saveexec_b64 s[42:43], s[40:41]
.LBB62_670:
	v_mov_b32_e32 v4, v2
.LBB62_671:
	s_or_b64 exec, exec, s[42:43]
.LBB62_672:
	s_or_b64 exec, exec, s[38:39]
	global_store_byte v[0:1], v4, off
.LBB62_673:
	s_mov_b64 s[38:39], -1
.LBB62_674:
	s_mov_b64 s[40:41], 0
.LBB62_675:
	s_and_b64 vcc, exec, s[40:41]
	s_cbranch_vccz .LBB62_716
; %bb.676:
	s_cmp_gt_i32 s46, 22
	s_mov_b64 s[40:41], -1
	s_cbranch_scc0 .LBB62_708
; %bb.677:
	s_cmp_lt_i32 s46, 24
	s_mov_b64 s[38:39], -1
	s_cbranch_scc1 .LBB62_697
; %bb.678:
	s_cmp_gt_i32 s46, 24
	s_cbranch_scc0 .LBB62_686
; %bb.679:
	v_cndmask_b32_e64 v3, 0, 1.0, s[36:37]
	s_mov_b32 s38, 0x47800000
	v_cmp_gt_u32_e32 vcc, s38, v3
	v_mov_b32_e32 v4, 0x80
	s_and_saveexec_b64 s[38:39], vcc
	s_cbranch_execz .LBB62_685
; %bb.680:
	s_mov_b32 s40, 0x37ffffff
	v_cmp_lt_u32_e32 vcc, s40, v3
	s_mov_b64 s[40:41], 0
                                        ; implicit-def: $vgpr2
	s_and_saveexec_b64 s[42:43], vcc
	s_xor_b64 s[42:43], exec, s[42:43]
	s_cbranch_execz .LBB62_776
; %bb.681:
	v_bfe_u32 v2, v3, 21, 1
	s_mov_b32 s47, 0x88fffff
	v_add3_u32 v2, v3, v2, s47
	s_mov_b64 s[40:41], exec
	v_lshrrev_b32_e32 v2, 21, v2
                                        ; implicit-def: $vgpr3
	s_andn2_saveexec_b64 s[42:43], s[42:43]
	s_cbranch_execnz .LBB62_777
.LBB62_682:
	s_or_b64 exec, exec, s[42:43]
	v_mov_b32_e32 v4, 0
	s_and_saveexec_b64 s[42:43], s[40:41]
.LBB62_683:
	v_mov_b32_e32 v4, v2
.LBB62_684:
	s_or_b64 exec, exec, s[42:43]
.LBB62_685:
	s_or_b64 exec, exec, s[38:39]
	s_mov_b64 s[38:39], 0
	global_store_byte v[0:1], v4, off
.LBB62_686:
	s_and_b64 vcc, exec, s[38:39]
	s_cbranch_vccz .LBB62_696
; %bb.687:
	v_cndmask_b32_e64 v2, 0, 1.0, s[36:37]
	s_mov_b32 s38, 0x43f00000
	v_cmp_gt_u32_e32 vcc, s38, v2
                                        ; implicit-def: $vgpr3
	s_and_saveexec_b64 s[38:39], vcc
	s_xor_b64 s[38:39], exec, s[38:39]
	s_cbranch_execz .LBB62_693
; %bb.688:
	s_mov_b32 s40, 0x3c7fffff
	v_cmp_lt_u32_e32 vcc, s40, v2
                                        ; implicit-def: $vgpr3
	s_and_saveexec_b64 s[40:41], vcc
	s_xor_b64 s[40:41], exec, s[40:41]
; %bb.689:
	v_bfe_u32 v3, v2, 20, 1
	s_mov_b32 s42, 0x407ffff
	v_add3_u32 v2, v2, v3, s42
	v_lshrrev_b32_e32 v3, 20, v2
	v_and_b32_e32 v2, 0xff00000, v2
	s_mov_b32 s42, 0x7f00000
	v_mov_b32_e32 v4, 0x7e
	v_cmp_ne_u32_e32 vcc, s42, v2
	v_cndmask_b32_e32 v3, v4, v3, vcc
                                        ; implicit-def: $vgpr2
; %bb.690:
	s_andn2_saveexec_b64 s[40:41], s[40:41]
; %bb.691:
	v_add_f32_e32 v3, 0x46800000, v2
; %bb.692:
	s_or_b64 exec, exec, s[40:41]
                                        ; implicit-def: $vgpr2
.LBB62_693:
	s_andn2_saveexec_b64 s[38:39], s[38:39]
; %bb.694:
	s_mov_b32 s40, 0x7f800000
	v_mov_b32_e32 v3, 0x7e
	v_mov_b32_e32 v4, 0x7f
	v_cmp_lt_u32_e32 vcc, s40, v2
	v_cndmask_b32_e32 v3, v3, v4, vcc
; %bb.695:
	s_or_b64 exec, exec, s[38:39]
	global_store_byte v[0:1], v3, off
.LBB62_696:
	s_mov_b64 s[38:39], 0
.LBB62_697:
	s_andn2_b64 vcc, exec, s[38:39]
	s_cbranch_vccnz .LBB62_707
; %bb.698:
	v_cndmask_b32_e64 v2, 0, 1.0, s[36:37]
	s_mov_b32 s38, 0x47800000
	v_cmp_gt_u32_e32 vcc, s38, v2
                                        ; implicit-def: $vgpr3
	s_and_saveexec_b64 s[38:39], vcc
	s_xor_b64 s[38:39], exec, s[38:39]
	s_cbranch_execz .LBB62_704
; %bb.699:
	s_mov_b32 s40, 0x387fffff
	v_cmp_lt_u32_e32 vcc, s40, v2
                                        ; implicit-def: $vgpr3
	s_and_saveexec_b64 s[40:41], vcc
	s_xor_b64 s[40:41], exec, s[40:41]
; %bb.700:
	v_bfe_u32 v3, v2, 21, 1
	s_mov_b32 s42, 0x80fffff
	v_add3_u32 v2, v2, v3, s42
	v_lshrrev_b32_e32 v3, 21, v2
                                        ; implicit-def: $vgpr2
; %bb.701:
	s_andn2_saveexec_b64 s[40:41], s[40:41]
; %bb.702:
	v_add_f32_e32 v3, 0x43000000, v2
; %bb.703:
	s_or_b64 exec, exec, s[40:41]
                                        ; implicit-def: $vgpr2
.LBB62_704:
	s_andn2_saveexec_b64 s[38:39], s[38:39]
; %bb.705:
	s_mov_b32 s40, 0x7f800000
	v_mov_b32_e32 v3, 0x7c
	v_mov_b32_e32 v4, 0x7f
	v_cmp_lt_u32_e32 vcc, s40, v2
	v_cndmask_b32_e32 v3, v3, v4, vcc
; %bb.706:
	s_or_b64 exec, exec, s[38:39]
	global_store_byte v[0:1], v3, off
.LBB62_707:
	s_mov_b64 s[40:41], 0
	s_mov_b64 s[38:39], -1
.LBB62_708:
	s_andn2_b64 vcc, exec, s[40:41]
	s_cbranch_vccnz .LBB62_716
; %bb.709:
	s_cmp_gt_i32 s46, 14
	s_mov_b64 s[40:41], -1
	s_cbranch_scc0 .LBB62_713
; %bb.710:
	s_cmp_eq_u32 s46, 15
	s_mov_b64 s[0:1], -1
	s_cbranch_scc0 .LBB62_712
; %bb.711:
	v_cndmask_b32_e64 v2, 0, 1.0, s[36:37]
	v_bfe_u32 v3, v2, 16, 1
	s_movk_i32 s0, 0x7fff
	v_add3_u32 v2, v2, v3, s0
	global_store_short_d16_hi v[0:1], v2, off
	s_mov_b64 s[38:39], -1
	s_mov_b64 s[0:1], 0
.LBB62_712:
	s_mov_b64 s[40:41], 0
.LBB62_713:
	s_and_b64 vcc, exec, s[40:41]
	s_cbranch_vccz .LBB62_716
; %bb.714:
	s_cmp_eq_u32 s46, 11
	s_mov_b64 s[0:1], -1
	s_cbranch_scc0 .LBB62_716
; %bb.715:
	v_cndmask_b32_e64 v2, 0, 1, s[36:37]
	s_mov_b64 s[38:39], -1
	s_mov_b64 s[0:1], 0
	global_store_byte v[0:1], v2, off
.LBB62_716:
	s_mov_b64 s[40:41], 0
.LBB62_717:
	s_and_b64 vcc, exec, s[40:41]
	s_cbranch_vccz .LBB62_756
; %bb.718:
	s_and_b32 s40, 0xffff, s45
	s_cmp_lt_i32 s40, 5
	s_mov_b64 s[38:39], -1
	s_cbranch_scc1 .LBB62_739
; %bb.719:
	s_cmp_lt_i32 s40, 8
	s_cbranch_scc1 .LBB62_729
; %bb.720:
	s_cmp_lt_i32 s40, 9
	s_cbranch_scc1 .LBB62_726
; %bb.721:
	s_cmp_gt_i32 s40, 9
	s_cbranch_scc0 .LBB62_723
; %bb.722:
	v_cndmask_b32_e64 v2, 0, 1, s[36:37]
	v_cvt_f64_u32_e32 v[2:3], v2
	v_mov_b32_e32 v4, 0
	v_mov_b32_e32 v5, v4
	s_mov_b64 s[38:39], 0
	global_store_dwordx4 v[0:1], v[2:5], off
.LBB62_723:
	s_andn2_b64 vcc, exec, s[38:39]
	s_cbranch_vccnz .LBB62_725
; %bb.724:
	v_cndmask_b32_e64 v2, 0, 1.0, s[36:37]
	v_mov_b32_e32 v3, 0
	global_store_dwordx2 v[0:1], v[2:3], off
.LBB62_725:
	s_mov_b64 s[38:39], 0
.LBB62_726:
	s_andn2_b64 vcc, exec, s[38:39]
	s_cbranch_vccnz .LBB62_728
; %bb.727:
	v_cndmask_b32_e64 v2, 0, 1.0, s[36:37]
	v_cvt_f16_f32_e32 v2, v2
	global_store_dword v[0:1], v2, off
.LBB62_728:
	s_mov_b64 s[38:39], 0
.LBB62_729:
	s_andn2_b64 vcc, exec, s[38:39]
	s_cbranch_vccnz .LBB62_738
; %bb.730:
	s_cmp_lt_i32 s40, 6
	s_mov_b64 s[38:39], -1
	s_cbranch_scc1 .LBB62_736
; %bb.731:
	s_cmp_gt_i32 s40, 6
	s_cbranch_scc0 .LBB62_733
; %bb.732:
	v_cndmask_b32_e64 v2, 0, 1, s[36:37]
	v_cvt_f64_u32_e32 v[2:3], v2
	s_mov_b64 s[38:39], 0
	global_store_dwordx2 v[0:1], v[2:3], off
.LBB62_733:
	s_andn2_b64 vcc, exec, s[38:39]
	s_cbranch_vccnz .LBB62_735
; %bb.734:
	v_cndmask_b32_e64 v2, 0, 1.0, s[36:37]
	global_store_dword v[0:1], v2, off
.LBB62_735:
	s_mov_b64 s[38:39], 0
.LBB62_736:
	s_andn2_b64 vcc, exec, s[38:39]
	s_cbranch_vccnz .LBB62_738
; %bb.737:
	v_cndmask_b32_e64 v2, 0, 1.0, s[36:37]
	v_cvt_f16_f32_e32 v2, v2
	global_store_short v[0:1], v2, off
.LBB62_738:
	s_mov_b64 s[38:39], 0
.LBB62_739:
	s_andn2_b64 vcc, exec, s[38:39]
	s_cbranch_vccnz .LBB62_755
; %bb.740:
	s_cmp_lt_i32 s40, 2
	s_mov_b64 s[38:39], -1
	s_cbranch_scc1 .LBB62_750
; %bb.741:
	s_cmp_lt_i32 s40, 3
	s_cbranch_scc1 .LBB62_747
; %bb.742:
	s_cmp_gt_i32 s40, 3
	s_cbranch_scc0 .LBB62_744
; %bb.743:
	s_mov_b32 s38, 0
	v_cndmask_b32_e64 v2, 0, 1, s[36:37]
	v_mov_b32_e32 v3, s38
	s_mov_b64 s[38:39], 0
	global_store_dwordx2 v[0:1], v[2:3], off
.LBB62_744:
	s_andn2_b64 vcc, exec, s[38:39]
	s_cbranch_vccnz .LBB62_746
; %bb.745:
	v_cndmask_b32_e64 v2, 0, 1, s[36:37]
	global_store_dword v[0:1], v2, off
.LBB62_746:
	s_mov_b64 s[38:39], 0
.LBB62_747:
	s_andn2_b64 vcc, exec, s[38:39]
	s_cbranch_vccnz .LBB62_749
; %bb.748:
	v_cndmask_b32_e64 v2, 0, 1, s[36:37]
	global_store_short v[0:1], v2, off
.LBB62_749:
	s_mov_b64 s[38:39], 0
.LBB62_750:
	s_andn2_b64 vcc, exec, s[38:39]
	s_cbranch_vccnz .LBB62_755
; %bb.751:
	s_mov_b64 s[38:39], -1
	s_cmp_gt_i32 s40, 0
	v_cndmask_b32_e64 v2, 0, 1, s[36:37]
	s_cbranch_scc0 .LBB62_753
; %bb.752:
	s_mov_b64 s[38:39], 0
	global_store_byte v[0:1], v2, off
.LBB62_753:
	s_andn2_b64 vcc, exec, s[38:39]
	s_cbranch_vccnz .LBB62_755
; %bb.754:
	global_store_byte v[0:1], v2, off
.LBB62_755:
	s_mov_b64 s[38:39], -1
.LBB62_756:
	s_andn2_b64 vcc, exec, s[38:39]
	s_cbranch_vccnz .LBB62_758
; %bb.757:
	v_add_u32_e32 v10, 0x80, v10
	s_mov_b64 s[38:39], -1
	s_branch .LBB62_759
.LBB62_758:
	s_mov_b64 s[38:39], 0
                                        ; implicit-def: $vgpr10
.LBB62_759:
	s_andn2_b64 s[36:37], s[26:27], exec
	s_and_b64 s[0:1], s[0:1], exec
	s_or_b64 s[36:37], s[36:37], s[0:1]
	s_andn2_b64 s[0:1], s[24:25], exec
	s_and_b64 s[34:35], s[34:35], exec
	s_or_b64 s[0:1], s[0:1], s[34:35]
	s_orn2_b64 s[40:41], s[38:39], exec
.LBB62_760:
	s_or_b64 exec, exec, s[30:31]
	s_mov_b64 s[38:39], 0
	s_mov_b64 s[34:35], 0
	;; [unrolled: 1-line block ×3, first 2 shown]
                                        ; implicit-def: $vgpr0_vgpr1
                                        ; implicit-def: $vgpr2_vgpr3
	s_and_saveexec_b64 s[30:31], s[40:41]
	s_cbranch_execz .LBB62_841
; %bb.761:
	v_cmp_gt_i32_e32 vcc, s44, v10
	s_mov_b64 s[40:41], 0
	s_mov_b64 s[44:45], s[0:1]
	;; [unrolled: 1-line block ×3, first 2 shown]
                                        ; implicit-def: $vgpr0_vgpr1
                                        ; implicit-def: $vgpr2_vgpr3
	s_and_saveexec_b64 s[34:35], vcc
	s_cbranch_execz .LBB62_840
; %bb.762:
	v_mul_lo_u32 v0, v10, s13
	v_mov_b32_e32 v1, s11
	s_and_b32 s46, 0xffff, s15
	s_cmp_lt_i32 s46, 11
	s_waitcnt vmcnt(0)
	v_ashrrev_i32_e32 v2, 31, v0
	v_add_co_u32_e32 v0, vcc, s10, v0
	v_addc_co_u32_e32 v1, vcc, v1, v2, vcc
	s_cbranch_scc1 .LBB62_769
; %bb.763:
	s_cmp_gt_i32 s46, 25
	s_cbranch_scc0 .LBB62_770
; %bb.764:
	s_cmp_gt_i32 s46, 28
	s_cbranch_scc0 .LBB62_771
	;; [unrolled: 3-line block ×4, first 2 shown]
; %bb.767:
	s_cmp_eq_u32 s46, 46
	s_mov_b64 s[44:45], 0
	s_cbranch_scc0 .LBB62_778
; %bb.768:
	global_load_dword v2, v[0:1], off
	s_mov_b32 s38, 0x2f800000
	s_mov_b32 s39, 0xcf800000
	s_mov_b64 s[42:43], -1
	s_waitcnt vmcnt(0)
	v_lshlrev_b32_e32 v2, 16, v2
	v_trunc_f32_e32 v2, v2
	v_mul_f32_e64 v3, |v2|, s38
	v_floor_f32_e32 v3, v3
	v_fma_f32 v4, v3, s39, |v2|
	v_cvt_u32_f32_e32 v4, v4
	v_cvt_u32_f32_e32 v3, v3
	v_ashrrev_i32_e32 v5, 31, v2
	s_mov_b64 s[38:39], 0
	v_xor_b32_e32 v2, v4, v5
	v_xor_b32_e32 v3, v3, v5
	v_sub_co_u32_e32 v2, vcc, v2, v5
	v_subb_co_u32_e32 v3, vcc, v3, v5, vcc
	s_branch .LBB62_780
.LBB62_769:
	s_mov_b64 s[44:45], -1
                                        ; implicit-def: $vgpr2_vgpr3
	s_mov_b64 s[38:39], s[0:1]
	s_branch .LBB62_839
.LBB62_770:
	s_mov_b64 s[44:45], -1
	s_mov_b64 s[38:39], s[0:1]
                                        ; implicit-def: $vgpr2_vgpr3
	s_branch .LBB62_809
.LBB62_771:
	s_mov_b64 s[44:45], -1
	s_mov_b64 s[38:39], s[0:1]
                                        ; implicit-def: $vgpr2_vgpr3
	s_branch .LBB62_790
.LBB62_772:
	s_mov_b64 s[44:45], -1
	s_mov_b64 s[38:39], s[0:1]
                                        ; implicit-def: $vgpr2_vgpr3
	s_branch .LBB62_785
.LBB62_773:
	s_andn2_saveexec_b64 s[42:43], s[42:43]
	s_cbranch_execz .LBB62_669
.LBB62_774:
	v_add_f32_e32 v2, 0x46000000, v3
	v_and_b32_e32 v2, 0xff, v2
	v_cmp_ne_u32_e32 vcc, 0, v2
	s_andn2_b64 s[40:41], s[40:41], exec
	s_and_b64 s[48:49], vcc, exec
	s_or_b64 s[40:41], s[40:41], s[48:49]
	s_or_b64 exec, exec, s[42:43]
	v_mov_b32_e32 v4, 0
	s_and_saveexec_b64 s[42:43], s[40:41]
	s_cbranch_execnz .LBB62_670
	s_branch .LBB62_671
.LBB62_775:
	s_mov_b64 s[44:45], -1
	s_mov_b64 s[38:39], s[0:1]
	s_branch .LBB62_779
.LBB62_776:
	s_andn2_saveexec_b64 s[42:43], s[42:43]
	s_cbranch_execz .LBB62_682
.LBB62_777:
	v_add_f32_e32 v2, 0x42800000, v3
	v_and_b32_e32 v2, 0xff, v2
	v_cmp_ne_u32_e32 vcc, 0, v2
	s_andn2_b64 s[40:41], s[40:41], exec
	s_and_b64 s[48:49], vcc, exec
	s_or_b64 s[40:41], s[40:41], s[48:49]
	s_or_b64 exec, exec, s[42:43]
	v_mov_b32_e32 v4, 0
	s_and_saveexec_b64 s[42:43], s[40:41]
	s_cbranch_execnz .LBB62_683
	s_branch .LBB62_684
.LBB62_778:
	s_mov_b64 s[38:39], -1
.LBB62_779:
                                        ; implicit-def: $vgpr2_vgpr3
.LBB62_780:
	s_and_b64 vcc, exec, s[44:45]
	s_cbranch_vccz .LBB62_784
; %bb.781:
	s_cmp_eq_u32 s46, 44
	s_cbranch_scc0 .LBB62_783
; %bb.782:
	global_load_ubyte v2, v[0:1], off
	s_mov_b32 s38, 0x2f800000
	s_mov_b32 s39, 0xcf800000
	s_mov_b64 s[42:43], -1
	s_waitcnt vmcnt(0)
	v_lshlrev_b32_e32 v3, 23, v2
	v_trunc_f32_e32 v3, v3
	v_mul_f32_e64 v4, |v3|, s38
	v_floor_f32_e32 v4, v4
	v_fma_f32 v5, v4, s39, |v3|
	v_cvt_u32_f32_e32 v5, v5
	v_cvt_u32_f32_e32 v4, v4
	v_ashrrev_i32_e32 v3, 31, v3
	s_mov_b64 s[38:39], 0
	v_xor_b32_e32 v5, v5, v3
	v_xor_b32_e32 v4, v4, v3
	v_sub_co_u32_e32 v5, vcc, v5, v3
	v_subb_co_u32_e32 v3, vcc, v4, v3, vcc
	v_cmp_ne_u32_e32 vcc, 0, v2
	v_cndmask_b32_e32 v3, 0, v3, vcc
	v_cndmask_b32_e32 v2, 0, v5, vcc
	s_branch .LBB62_784
.LBB62_783:
	s_mov_b64 s[38:39], -1
                                        ; implicit-def: $vgpr2_vgpr3
.LBB62_784:
	s_mov_b64 s[44:45], 0
.LBB62_785:
	s_and_b64 vcc, exec, s[44:45]
	s_cbranch_vccz .LBB62_789
; %bb.786:
	s_cmp_eq_u32 s46, 29
	s_cbranch_scc0 .LBB62_788
; %bb.787:
	global_load_dwordx2 v[2:3], v[0:1], off
	s_mov_b64 s[38:39], 0
	s_mov_b64 s[42:43], -1
	s_branch .LBB62_789
.LBB62_788:
	s_mov_b64 s[38:39], -1
                                        ; implicit-def: $vgpr2_vgpr3
.LBB62_789:
	s_mov_b64 s[44:45], 0
.LBB62_790:
	s_and_b64 vcc, exec, s[44:45]
	s_cbranch_vccz .LBB62_808
; %bb.791:
	s_cmp_lt_i32 s46, 27
	s_cbranch_scc1 .LBB62_794
; %bb.792:
	s_cmp_gt_i32 s46, 27
	s_cbranch_scc0 .LBB62_795
; %bb.793:
	global_load_dword v2, v[0:1], off
	s_waitcnt vmcnt(1)
	v_mov_b32_e32 v3, 0
	s_mov_b64 s[42:43], 0
	s_branch .LBB62_796
.LBB62_794:
	s_mov_b64 s[42:43], -1
                                        ; implicit-def: $vgpr2_vgpr3
	s_branch .LBB62_799
.LBB62_795:
	s_mov_b64 s[42:43], -1
                                        ; implicit-def: $vgpr2_vgpr3
.LBB62_796:
	s_andn2_b64 vcc, exec, s[42:43]
	s_cbranch_vccnz .LBB62_798
; %bb.797:
	global_load_ushort v2, v[0:1], off
	s_mov_b32 s42, 0
	s_waitcnt vmcnt(1)
	v_mov_b32_e32 v3, s42
	s_waitcnt vmcnt(0)
	v_and_b32_e32 v2, 0xffff, v2
.LBB62_798:
	s_mov_b64 s[42:43], 0
.LBB62_799:
	s_andn2_b64 vcc, exec, s[42:43]
	s_cbranch_vccnz .LBB62_807
; %bb.800:
	global_load_ubyte v4, v[0:1], off
	s_movk_i32 s42, 0x7f
	s_mov_b64 s[44:45], 0
	s_waitcnt vmcnt(0)
	v_cmp_lt_i16_e32 vcc, s42, v4
	s_and_saveexec_b64 s[42:43], vcc
	s_xor_b64 s[42:43], exec, s[42:43]
; %bb.801:
	s_movk_i32 s44, 0x80
	v_cmp_ne_u16_e32 vcc, s44, v4
	s_and_b64 s[44:45], vcc, exec
; %bb.802:
	s_andn2_saveexec_b64 s[42:43], s[42:43]
; %bb.803:
	v_cmp_ne_u16_e32 vcc, 0, v4
	s_andn2_b64 s[44:45], s[44:45], exec
	s_and_b64 s[48:49], vcc, exec
	s_or_b64 s[44:45], s[44:45], s[48:49]
; %bb.804:
	s_or_b64 exec, exec, s[42:43]
	v_mov_b32_e32 v2, 0
	v_mov_b32_e32 v3, 0
	s_and_saveexec_b64 s[42:43], s[44:45]
	s_cbranch_execz .LBB62_806
; %bb.805:
	v_and_b32_e32 v3, 0xffff, v4
	v_lshlrev_b32_e32 v2, 24, v4
	v_and_b32_e32 v4, 7, v3
	v_ffbh_u32_e32 v6, v4
	v_min_u32_e32 v6, 32, v6
	v_subrev_u32_e32 v7, 28, v6
	v_bfe_u32 v5, v3, 3, 4
	v_lshlrev_b32_e32 v3, v7, v3
	v_sub_u32_e32 v6, 29, v6
	v_and_b32_e32 v3, 7, v3
	v_cmp_eq_u32_e32 vcc, 0, v5
	v_cndmask_b32_e32 v5, v5, v6, vcc
	v_cndmask_b32_e32 v3, v4, v3, vcc
	v_mov_b32_e32 v4, 0x3b800000
	v_lshlrev_b32_e32 v3, 20, v3
	v_and_b32_e32 v2, 0x80000000, v2
	v_lshl_add_u32 v4, v5, 23, v4
	v_or3_b32 v2, v2, v4, v3
	v_trunc_f32_e32 v2, v2
	s_mov_b32 s44, 0x2f800000
	v_mul_f32_e64 v3, |v2|, s44
	v_floor_f32_e32 v3, v3
	s_mov_b32 s44, 0xcf800000
	v_fma_f32 v4, v3, s44, |v2|
	v_cvt_u32_f32_e32 v4, v4
	v_cvt_u32_f32_e32 v3, v3
	v_ashrrev_i32_e32 v5, 31, v2
	v_xor_b32_e32 v2, v4, v5
	v_xor_b32_e32 v3, v3, v5
	v_sub_co_u32_e32 v2, vcc, v2, v5
	v_subb_co_u32_e32 v3, vcc, v3, v5, vcc
.LBB62_806:
	s_or_b64 exec, exec, s[42:43]
.LBB62_807:
	s_mov_b64 s[42:43], -1
.LBB62_808:
	s_mov_b64 s[44:45], 0
.LBB62_809:
	s_and_b64 vcc, exec, s[44:45]
	s_cbranch_vccz .LBB62_838
; %bb.810:
	s_cmp_gt_i32 s46, 22
	s_cbranch_scc0 .LBB62_820
; %bb.811:
	s_cmp_lt_i32 s46, 24
	s_cbranch_scc1 .LBB62_821
; %bb.812:
	s_cmp_gt_i32 s46, 24
	s_cbranch_scc0 .LBB62_822
; %bb.813:
	global_load_ubyte v4, v[0:1], off
	s_movk_i32 s40, 0x7f
	s_mov_b64 s[42:43], 0
	s_waitcnt vmcnt(0)
	v_cmp_lt_i16_e32 vcc, s40, v4
	s_and_saveexec_b64 s[40:41], vcc
	s_xor_b64 s[40:41], exec, s[40:41]
; %bb.814:
	s_movk_i32 s42, 0x80
	v_cmp_ne_u16_e32 vcc, s42, v4
	s_and_b64 s[42:43], vcc, exec
; %bb.815:
	s_andn2_saveexec_b64 s[40:41], s[40:41]
; %bb.816:
	v_cmp_ne_u16_e32 vcc, 0, v4
	s_andn2_b64 s[42:43], s[42:43], exec
	s_and_b64 s[44:45], vcc, exec
	s_or_b64 s[42:43], s[42:43], s[44:45]
; %bb.817:
	s_or_b64 exec, exec, s[40:41]
	v_mov_b32_e32 v2, 0
	v_mov_b32_e32 v3, 0
	s_and_saveexec_b64 s[40:41], s[42:43]
	s_cbranch_execz .LBB62_819
; %bb.818:
	v_and_b32_e32 v3, 0xffff, v4
	v_lshlrev_b32_e32 v2, 24, v4
	v_and_b32_e32 v4, 3, v3
	v_ffbh_u32_e32 v6, v4
	v_min_u32_e32 v6, 32, v6
	v_subrev_u32_e32 v7, 29, v6
	v_bfe_u32 v5, v3, 2, 5
	v_lshlrev_b32_e32 v3, v7, v3
	v_sub_u32_e32 v6, 30, v6
	v_and_b32_e32 v3, 3, v3
	v_cmp_eq_u32_e32 vcc, 0, v5
	v_cndmask_b32_e32 v5, v5, v6, vcc
	v_cndmask_b32_e32 v3, v4, v3, vcc
	v_mov_b32_e32 v4, 0x37800000
	v_lshlrev_b32_e32 v3, 21, v3
	v_and_b32_e32 v2, 0x80000000, v2
	v_lshl_add_u32 v4, v5, 23, v4
	v_or3_b32 v2, v2, v4, v3
	v_trunc_f32_e32 v2, v2
	s_mov_b32 s42, 0x2f800000
	v_mul_f32_e64 v3, |v2|, s42
	v_floor_f32_e32 v3, v3
	s_mov_b32 s42, 0xcf800000
	v_fma_f32 v4, v3, s42, |v2|
	v_cvt_u32_f32_e32 v4, v4
	v_cvt_u32_f32_e32 v3, v3
	v_ashrrev_i32_e32 v5, 31, v2
	v_xor_b32_e32 v2, v4, v5
	v_xor_b32_e32 v3, v3, v5
	v_sub_co_u32_e32 v2, vcc, v2, v5
	v_subb_co_u32_e32 v3, vcc, v3, v5, vcc
.LBB62_819:
	s_or_b64 exec, exec, s[40:41]
	s_mov_b64 s[40:41], 0
	s_branch .LBB62_823
.LBB62_820:
	s_mov_b64 s[40:41], -1
                                        ; implicit-def: $vgpr2_vgpr3
	s_branch .LBB62_829
.LBB62_821:
	s_mov_b64 s[40:41], -1
                                        ; implicit-def: $vgpr2_vgpr3
	s_branch .LBB62_826
.LBB62_822:
	s_mov_b64 s[40:41], -1
                                        ; implicit-def: $vgpr2_vgpr3
.LBB62_823:
	s_and_b64 vcc, exec, s[40:41]
	s_cbranch_vccz .LBB62_825
; %bb.824:
	global_load_ubyte v2, v[0:1], off
	s_mov_b32 s40, 0x7f800000
	s_brev_b32 s41, 1
	s_mov_b32 s42, 0x2f800000
	s_mov_b32 s43, 0xcf800000
	s_waitcnt vmcnt(0)
	v_lshlrev_b32_e32 v2, 24, v2
	v_and_b32_e32 v3, 0x7f000000, v2
	v_ffbh_u32_e32 v4, v3
	v_min_u32_e32 v4, 32, v4
	v_sub_u32_e64 v4, v4, 4 clamp
	v_lshlrev_b32_e32 v6, v4, v3
	v_lshlrev_b32_e32 v4, 23, v4
	v_lshrrev_b32_e32 v6, 4, v6
	v_add_u32_e32 v5, 0x1000000, v3
	v_sub_u32_e32 v4, v6, v4
	v_ashrrev_i32_e32 v5, 8, v5
	v_add_u32_e32 v4, 0x3c000000, v4
	v_and_or_b32 v4, v5, s40, v4
	v_cmp_ne_u32_e32 vcc, 0, v3
	v_cndmask_b32_e32 v3, 0, v4, vcc
	v_and_or_b32 v2, v2, s41, v3
	v_trunc_f32_e32 v2, v2
	v_mul_f32_e64 v3, |v2|, s42
	v_floor_f32_e32 v3, v3
	v_fma_f32 v4, v3, s43, |v2|
	v_cvt_u32_f32_e32 v4, v4
	v_cvt_u32_f32_e32 v3, v3
	v_ashrrev_i32_e32 v5, 31, v2
	v_xor_b32_e32 v2, v4, v5
	v_xor_b32_e32 v3, v3, v5
	v_sub_co_u32_e32 v2, vcc, v2, v5
	v_subb_co_u32_e32 v3, vcc, v3, v5, vcc
.LBB62_825:
	s_mov_b64 s[40:41], 0
.LBB62_826:
	s_andn2_b64 vcc, exec, s[40:41]
	s_cbranch_vccnz .LBB62_828
; %bb.827:
	global_load_ubyte v2, v[0:1], off
	s_movk_i32 s40, 0x7f00
	s_brev_b32 s41, 16
	s_brev_b32 s42, 1
	s_mov_b32 s43, 0x2f800000
	s_mov_b32 s44, 0xcf800000
	s_waitcnt vmcnt(0)
	v_lshlrev_b16_e32 v3, 8, v2
	v_lshlrev_b32_e32 v2, 25, v2
	v_lshrrev_b32_e32 v4, 4, v2
	v_and_or_b32 v5, v3, s40, 0.5
	v_or_b32_e32 v4, 0x70000000, v4
	v_add_f32_e32 v5, -0.5, v5
	v_mul_f32_e32 v4, 0x7800000, v4
	v_cmp_gt_u32_e32 vcc, s41, v2
	v_bfe_i32 v3, v3, 0, 16
	v_cndmask_b32_e32 v2, v4, v5, vcc
	v_and_or_b32 v2, v3, s42, v2
	v_trunc_f32_e32 v2, v2
	v_mul_f32_e64 v3, |v2|, s43
	v_floor_f32_e32 v3, v3
	v_fma_f32 v4, v3, s44, |v2|
	v_cvt_u32_f32_e32 v4, v4
	v_cvt_u32_f32_e32 v3, v3
	v_ashrrev_i32_e32 v5, 31, v2
	v_xor_b32_e32 v2, v4, v5
	v_xor_b32_e32 v3, v3, v5
	v_sub_co_u32_e32 v2, vcc, v2, v5
	v_subb_co_u32_e32 v3, vcc, v3, v5, vcc
.LBB62_828:
	s_mov_b64 s[40:41], 0
	s_mov_b64 s[42:43], -1
.LBB62_829:
	s_andn2_b64 vcc, exec, s[40:41]
	s_mov_b64 s[40:41], 0
	s_cbranch_vccnz .LBB62_838
; %bb.830:
	s_cmp_gt_i32 s46, 14
	s_cbranch_scc0 .LBB62_833
; %bb.831:
	s_cmp_eq_u32 s46, 15
	s_cbranch_scc0 .LBB62_834
; %bb.832:
	global_load_ushort v2, v[0:1], off
	s_mov_b32 s38, 0x2f800000
	s_mov_b32 s39, 0xcf800000
	s_mov_b64 s[42:43], -1
	s_waitcnt vmcnt(0)
	v_lshlrev_b32_e32 v2, 16, v2
	v_trunc_f32_e32 v2, v2
	v_mul_f32_e64 v3, |v2|, s38
	v_floor_f32_e32 v3, v3
	v_fma_f32 v4, v3, s39, |v2|
	v_cvt_u32_f32_e32 v4, v4
	v_cvt_u32_f32_e32 v3, v3
	v_ashrrev_i32_e32 v5, 31, v2
	s_mov_b64 s[38:39], 0
	v_xor_b32_e32 v2, v4, v5
	v_xor_b32_e32 v3, v3, v5
	v_sub_co_u32_e32 v2, vcc, v2, v5
	v_subb_co_u32_e32 v3, vcc, v3, v5, vcc
	s_branch .LBB62_835
.LBB62_833:
	s_mov_b64 s[44:45], -1
                                        ; implicit-def: $vgpr2_vgpr3
	s_branch .LBB62_836
.LBB62_834:
	s_mov_b64 s[38:39], -1
                                        ; implicit-def: $vgpr2_vgpr3
.LBB62_835:
	s_mov_b64 s[44:45], 0
.LBB62_836:
	s_and_b64 vcc, exec, s[44:45]
	s_cbranch_vccz .LBB62_838
; %bb.837:
	s_cmp_lg_u32 s46, 11
	s_cselect_b64 s[44:45], -1, 0
	s_andn2_b64 s[38:39], s[38:39], exec
	s_and_b64 s[44:45], s[44:45], exec
	s_mov_b64 s[40:41], -1
	s_or_b64 s[38:39], s[38:39], s[44:45]
.LBB62_838:
	s_mov_b64 s[44:45], 0
.LBB62_839:
	s_and_b64 s[46:47], s[44:45], exec
	s_andn2_b64 s[44:45], s[0:1], exec
	s_and_b64 s[38:39], s[38:39], exec
	s_and_b64 s[42:43], s[42:43], exec
	s_and_b64 s[40:41], s[40:41], exec
	s_or_b64 s[44:45], s[44:45], s[38:39]
.LBB62_840:
	s_or_b64 exec, exec, s[34:35]
	s_and_b64 s[38:39], s[40:41], exec
	s_andn2_b64 s[0:1], s[0:1], exec
	s_and_b64 s[40:41], s[44:45], exec
	s_and_b64 s[42:43], s[42:43], exec
	s_and_b64 s[34:35], s[46:47], exec
	s_or_b64 s[0:1], s[0:1], s[40:41]
.LBB62_841:
	s_or_b64 exec, exec, s[30:31]
	s_andn2_b64 s[26:27], s[26:27], exec
	s_and_b64 s[30:31], s[36:37], exec
	s_andn2_b64 s[24:25], s[24:25], exec
	s_and_b64 s[0:1], s[0:1], exec
	s_or_b64 s[26:27], s[26:27], s[30:31]
	s_and_b64 s[36:37], s[42:43], exec
	s_and_b64 s[34:35], s[34:35], exec
	;; [unrolled: 1-line block ×3, first 2 shown]
	s_or_b64 s[24:25], s[24:25], s[0:1]
.LBB62_842:
	s_or_b64 exec, exec, s[28:29]
	s_andn2_b64 s[0:1], s[18:19], exec
	s_and_b64 s[18:19], s[26:27], exec
	s_andn2_b64 s[20:21], s[20:21], exec
	s_and_b64 s[24:25], s[24:25], exec
	s_or_b64 s[18:19], s[0:1], s[18:19]
	s_and_b64 s[0:1], s[36:37], exec
	s_and_b64 s[28:29], s[34:35], exec
	;; [unrolled: 1-line block ×3, first 2 shown]
	s_or_b64 s[20:21], s[20:21], s[24:25]
	s_or_b64 exec, exec, s[22:23]
	s_mov_b64 s[22:23], 0
	s_and_saveexec_b64 s[24:25], s[20:21]
	s_cbranch_execz .LBB62_258
.LBB62_843:
	s_mov_b64 s[22:23], exec
	s_andn2_b64 s[26:27], s[26:27], exec
	s_trap 2
	s_or_b64 exec, exec, s[24:25]
	s_and_saveexec_b64 s[20:21], s[26:27]
	s_xor_b64 s[20:21], exec, s[20:21]
	s_cbranch_execnz .LBB62_259
.LBB62_844:
	s_or_b64 exec, exec, s[20:21]
	s_and_saveexec_b64 s[20:21], s[28:29]
	s_cbranch_execz .LBB62_890
.LBB62_845:
	s_sext_i32_i16 s24, s15
	s_cmp_lt_i32 s24, 5
	s_cbranch_scc1 .LBB62_850
; %bb.846:
	s_cmp_lt_i32 s24, 8
	s_cbranch_scc1 .LBB62_851
; %bb.847:
	;; [unrolled: 3-line block ×3, first 2 shown]
	s_cmp_gt_i32 s24, 9
	s_cbranch_scc0 .LBB62_853
; %bb.849:
	global_load_dwordx2 v[2:3], v[0:1], off
	s_movk_i32 s24, 0xffe0
	s_waitcnt vmcnt(0)
	v_trunc_f64_e32 v[2:3], v[2:3]
	v_ldexp_f64 v[4:5], v[2:3], s24
	s_mov_b32 s24, 0
	s_mov_b32 s25, 0xc1f00000
	v_floor_f64_e32 v[4:5], v[4:5]
	v_fma_f64 v[6:7], v[4:5], s[24:25], v[2:3]
	v_cvt_i32_f64_e32 v3, v[4:5]
	s_mov_b64 s[24:25], 0
	v_cvt_u32_f64_e32 v2, v[6:7]
	s_branch .LBB62_854
.LBB62_850:
                                        ; implicit-def: $vgpr2_vgpr3
	s_branch .LBB62_871
.LBB62_851:
                                        ; implicit-def: $vgpr2_vgpr3
	s_branch .LBB62_860
.LBB62_852:
	s_mov_b64 s[24:25], -1
                                        ; implicit-def: $vgpr2_vgpr3
	s_branch .LBB62_857
.LBB62_853:
	s_mov_b64 s[24:25], -1
                                        ; implicit-def: $vgpr2_vgpr3
.LBB62_854:
	s_andn2_b64 vcc, exec, s[24:25]
	s_cbranch_vccnz .LBB62_856
; %bb.855:
	global_load_dword v2, v[0:1], off
	s_mov_b32 s24, 0x2f800000
	s_mov_b32 s25, 0xcf800000
	s_waitcnt vmcnt(0)
	v_trunc_f32_e32 v2, v2
	v_mul_f32_e64 v3, |v2|, s24
	v_floor_f32_e32 v3, v3
	v_cvt_u32_f32_e32 v4, v3
	v_fma_f32 v3, v3, s25, |v2|
	v_cvt_u32_f32_e32 v3, v3
	v_ashrrev_i32_e32 v5, 31, v2
	v_xor_b32_e32 v4, v4, v5
	v_xor_b32_e32 v2, v3, v5
	v_sub_co_u32_e32 v2, vcc, v2, v5
	v_subb_co_u32_e32 v3, vcc, v4, v5, vcc
.LBB62_856:
	s_mov_b64 s[24:25], 0
.LBB62_857:
	s_andn2_b64 vcc, exec, s[24:25]
	s_cbranch_vccnz .LBB62_859
; %bb.858:
	global_load_dword v2, v[0:1], off
	s_waitcnt vmcnt(0)
	v_cvt_f32_f16_e32 v2, v2
	v_cvt_i32_f32_e32 v2, v2
	v_ashrrev_i32_e32 v3, 31, v2
.LBB62_859:
	s_cbranch_execnz .LBB62_870
.LBB62_860:
	s_sext_i32_i16 s24, s15
	s_cmp_lt_i32 s24, 6
	s_cbranch_scc1 .LBB62_863
; %bb.861:
	s_cmp_gt_i32 s24, 6
	s_cbranch_scc0 .LBB62_864
; %bb.862:
	global_load_dwordx2 v[2:3], v[0:1], off
	s_movk_i32 s24, 0xffe0
	s_waitcnt vmcnt(0)
	v_trunc_f64_e32 v[2:3], v[2:3]
	v_ldexp_f64 v[4:5], v[2:3], s24
	s_mov_b32 s24, 0
	s_mov_b32 s25, 0xc1f00000
	v_floor_f64_e32 v[4:5], v[4:5]
	v_fma_f64 v[6:7], v[4:5], s[24:25], v[2:3]
	v_cvt_i32_f64_e32 v3, v[4:5]
	s_mov_b64 s[24:25], 0
	v_cvt_u32_f64_e32 v2, v[6:7]
	s_branch .LBB62_865
.LBB62_863:
	s_mov_b64 s[24:25], -1
                                        ; implicit-def: $vgpr2_vgpr3
	s_branch .LBB62_868
.LBB62_864:
	s_mov_b64 s[24:25], -1
                                        ; implicit-def: $vgpr2_vgpr3
.LBB62_865:
	s_andn2_b64 vcc, exec, s[24:25]
	s_cbranch_vccnz .LBB62_867
; %bb.866:
	global_load_dword v2, v[0:1], off
	s_mov_b32 s24, 0x2f800000
	s_mov_b32 s25, 0xcf800000
	s_waitcnt vmcnt(0)
	v_trunc_f32_e32 v2, v2
	v_mul_f32_e64 v3, |v2|, s24
	v_floor_f32_e32 v3, v3
	v_cvt_u32_f32_e32 v4, v3
	v_fma_f32 v3, v3, s25, |v2|
	v_cvt_u32_f32_e32 v3, v3
	v_ashrrev_i32_e32 v5, 31, v2
	v_xor_b32_e32 v4, v4, v5
	v_xor_b32_e32 v2, v3, v5
	v_sub_co_u32_e32 v2, vcc, v2, v5
	v_subb_co_u32_e32 v3, vcc, v4, v5, vcc
.LBB62_867:
	s_mov_b64 s[24:25], 0
.LBB62_868:
	s_andn2_b64 vcc, exec, s[24:25]
	s_cbranch_vccnz .LBB62_870
; %bb.869:
	global_load_ushort v2, v[0:1], off
	s_waitcnt vmcnt(0)
	v_cvt_f32_f16_e32 v2, v2
	v_cvt_i32_f32_e32 v2, v2
	v_ashrrev_i32_e32 v3, 31, v2
.LBB62_870:
	s_cbranch_execnz .LBB62_889
.LBB62_871:
	s_sext_i32_i16 s24, s15
	s_cmp_lt_i32 s24, 2
	s_cbranch_scc1 .LBB62_875
; %bb.872:
	s_cmp_lt_i32 s24, 3
	s_cbranch_scc1 .LBB62_876
; %bb.873:
	s_cmp_gt_i32 s24, 3
	s_cbranch_scc0 .LBB62_877
; %bb.874:
	global_load_dwordx2 v[2:3], v[0:1], off
	s_mov_b64 s[24:25], 0
	s_branch .LBB62_878
.LBB62_875:
                                        ; implicit-def: $vgpr2_vgpr3
	s_branch .LBB62_884
.LBB62_876:
	s_mov_b64 s[24:25], -1
                                        ; implicit-def: $vgpr2_vgpr3
	s_branch .LBB62_881
.LBB62_877:
	s_mov_b64 s[24:25], -1
                                        ; implicit-def: $vgpr2_vgpr3
.LBB62_878:
	s_andn2_b64 vcc, exec, s[24:25]
	s_cbranch_vccnz .LBB62_880
; %bb.879:
	global_load_dword v2, v[0:1], off
	s_waitcnt vmcnt(0)
	v_ashrrev_i32_e32 v3, 31, v2
.LBB62_880:
	s_mov_b64 s[24:25], 0
.LBB62_881:
	s_andn2_b64 vcc, exec, s[24:25]
	s_cbranch_vccnz .LBB62_883
; %bb.882:
	global_load_ushort v2, v[0:1], off
	s_waitcnt vmcnt(0)
	v_bfe_i32 v2, v2, 0, 16
	v_ashrrev_i32_e32 v3, 31, v2
.LBB62_883:
	s_cbranch_execnz .LBB62_889
.LBB62_884:
	s_sext_i32_i16 s24, s15
	s_cmp_gt_i32 s24, 0
	s_cbranch_scc0 .LBB62_886
; %bb.885:
	global_load_sbyte v2, v[0:1], off
	s_mov_b64 s[24:25], 0
	s_waitcnt vmcnt(0)
	v_bfe_i32 v2, v2, 0, 16
	v_ashrrev_i32_e32 v3, 31, v2
	s_branch .LBB62_887
.LBB62_886:
	s_mov_b64 s[24:25], -1
                                        ; implicit-def: $vgpr2_vgpr3
.LBB62_887:
	s_andn2_b64 vcc, exec, s[24:25]
	s_cbranch_vccnz .LBB62_889
; %bb.888:
	global_load_ubyte v0, v[0:1], off
	s_mov_b32 s24, 0
	s_waitcnt vmcnt(1)
	v_mov_b32_e32 v3, s24
	s_waitcnt vmcnt(0)
	v_and_b32_e32 v2, 0xffff, v0
.LBB62_889:
	s_or_b64 s[0:1], s[0:1], exec
.LBB62_890:
	s_or_b64 exec, exec, s[20:21]
	s_mov_b64 s[28:29], 0
	s_mov_b64 s[26:27], 0
                                        ; implicit-def: $sgpr20_sgpr21
                                        ; implicit-def: $sgpr34
                                        ; implicit-def: $vgpr0_vgpr1
	s_and_saveexec_b64 s[24:25], s[0:1]
	s_cbranch_execz .LBB62_965
; %bb.891:
	v_mul_lo_u32 v0, v10, s12
	s_waitcnt vmcnt(0)
	v_cmp_ne_u64_e32 vcc, s[2:3], v[2:3]
	v_mov_b32_e32 v1, s9
	s_xor_b64 s[20:21], s[16:17], vcc
	v_ashrrev_i32_e32 v2, 31, v0
	s_and_b32 s34, s33, 0xff
	v_add_co_u32_e32 v0, vcc, s8, v0
	s_cmp_lt_i32 s34, 11
	v_addc_co_u32_e32 v1, vcc, v1, v2, vcc
	s_cbranch_scc1 .LBB62_968
; %bb.892:
	s_and_b32 s35, 0xffff, s34
	s_mov_b64 s[26:27], -1
	s_cmp_gt_i32 s35, 25
	s_mov_b64 s[0:1], s[18:19]
	s_cbranch_scc0 .LBB62_925
; %bb.893:
	s_mov_b64 s[16:17], -1
	s_cmp_gt_i32 s35, 28
	s_mov_b64 s[0:1], s[18:19]
	s_cbranch_scc0 .LBB62_909
; %bb.894:
	s_cmp_gt_i32 s35, 43
	s_mov_b64 s[0:1], s[18:19]
	s_cbranch_scc0 .LBB62_905
; %bb.895:
	;; [unrolled: 4-line block ×3, first 2 shown]
	s_cmp_eq_u32 s35, 46
	s_mov_b64 s[0:1], -1
	s_cbranch_scc0 .LBB62_898
; %bb.897:
	v_cndmask_b32_e64 v2, 0, 1.0, s[20:21]
	v_bfe_u32 v3, v2, 16, 1
	s_movk_i32 s0, 0x7fff
	v_add3_u32 v2, v2, v3, s0
	v_lshrrev_b32_e32 v2, 16, v2
	global_store_dword v[0:1], v2, off
	s_mov_b64 s[0:1], 0
.LBB62_898:
	s_mov_b64 s[16:17], 0
.LBB62_899:
	s_and_b64 vcc, exec, s[16:17]
	s_cbranch_vccz .LBB62_904
; %bb.900:
	s_cmp_eq_u32 s35, 44
	s_mov_b64 s[0:1], -1
	s_cbranch_scc0 .LBB62_904
; %bb.901:
	v_cndmask_b32_e64 v3, 0, 1.0, s[20:21]
	v_lshrrev_b32_e32 v2, 23, v3
	s_movk_i32 s0, 0xff
	v_cmp_ne_u32_e32 vcc, s0, v2
	v_mov_b32_e32 v4, 0xff
	s_and_saveexec_b64 s[16:17], vcc
; %bb.902:
	s_mov_b32 s0, 0x3fffff
	v_and_b32_e32 v4, 0x400000, v3
	v_and_or_b32 v3, v3, s0, v2
	v_cmp_ne_u32_e32 vcc, 0, v4
	v_cmp_ne_u32_e64 s[0:1], 0, v3
	s_and_b64 s[0:1], vcc, s[0:1]
	v_cndmask_b32_e64 v3, 0, 1, s[0:1]
	v_add_u32_e32 v4, v2, v3
; %bb.903:
	s_or_b64 exec, exec, s[16:17]
	s_mov_b64 s[0:1], 0
	global_store_byte v[0:1], v4, off
.LBB62_904:
	s_mov_b64 s[16:17], 0
.LBB62_905:
	s_and_b64 vcc, exec, s[16:17]
	s_cbranch_vccz .LBB62_908
; %bb.906:
	s_cmp_eq_u32 s35, 29
	s_mov_b64 s[0:1], -1
	s_cbranch_scc0 .LBB62_908
; %bb.907:
	s_mov_b32 s0, 0
	v_cndmask_b32_e64 v2, 0, 1, s[20:21]
	v_mov_b32_e32 v3, s0
	global_store_dwordx2 v[0:1], v[2:3], off
	s_mov_b64 s[0:1], 0
.LBB62_908:
	s_mov_b64 s[16:17], 0
.LBB62_909:
	s_and_b64 vcc, exec, s[16:17]
	s_cbranch_vccz .LBB62_924
; %bb.910:
	s_cmp_lt_i32 s35, 27
	s_mov_b64 s[16:17], -1
	s_cbranch_scc1 .LBB62_916
; %bb.911:
	s_cmp_gt_i32 s35, 27
	v_cndmask_b32_e64 v2, 0, 1, s[20:21]
	s_cbranch_scc0 .LBB62_913
; %bb.912:
	s_mov_b64 s[16:17], 0
	global_store_dword v[0:1], v2, off
.LBB62_913:
	s_andn2_b64 vcc, exec, s[16:17]
	s_cbranch_vccnz .LBB62_915
; %bb.914:
	global_store_short v[0:1], v2, off
.LBB62_915:
	s_mov_b64 s[16:17], 0
.LBB62_916:
	s_andn2_b64 vcc, exec, s[16:17]
	s_cbranch_vccnz .LBB62_924
; %bb.917:
	v_cndmask_b32_e64 v3, 0, 1.0, s[20:21]
	s_mov_b32 s16, 0x43800000
	v_cmp_gt_u32_e32 vcc, s16, v3
	v_mov_b32_e32 v4, 0x80
	s_and_saveexec_b64 s[16:17], vcc
	s_cbranch_execz .LBB62_923
; %bb.918:
	s_mov_b32 s26, 0x3bffffff
	v_cmp_lt_u32_e32 vcc, s26, v3
	s_mov_b64 s[26:27], 0
                                        ; implicit-def: $vgpr2
	s_and_saveexec_b64 s[28:29], vcc
	s_xor_b64 s[28:29], exec, s[28:29]
	s_cbranch_execz .LBB62_1025
; %bb.919:
	v_bfe_u32 v2, v3, 20, 1
	s_mov_b32 s30, 0x487ffff
	v_add3_u32 v2, v3, v2, s30
	s_mov_b64 s[26:27], exec
	v_lshrrev_b32_e32 v2, 20, v2
                                        ; implicit-def: $vgpr3
	s_andn2_saveexec_b64 s[28:29], s[28:29]
	s_cbranch_execnz .LBB62_1026
.LBB62_920:
	s_or_b64 exec, exec, s[28:29]
	v_mov_b32_e32 v4, 0
	s_and_saveexec_b64 s[28:29], s[26:27]
.LBB62_921:
	v_mov_b32_e32 v4, v2
.LBB62_922:
	s_or_b64 exec, exec, s[28:29]
.LBB62_923:
	s_or_b64 exec, exec, s[16:17]
	global_store_byte v[0:1], v4, off
.LBB62_924:
	s_mov_b64 s[26:27], 0
.LBB62_925:
	s_mov_b64 s[16:17], 0
	s_and_b64 vcc, exec, s[26:27]
	s_cbranch_vccz .LBB62_969
; %bb.926:
	s_cmp_gt_i32 s35, 22
	s_mov_b64 s[26:27], -1
	s_cbranch_scc0 .LBB62_958
; %bb.927:
	s_cmp_lt_i32 s35, 24
	s_cbranch_scc1 .LBB62_947
; %bb.928:
	s_cmp_gt_i32 s35, 24
	s_cbranch_scc0 .LBB62_936
; %bb.929:
	v_cndmask_b32_e64 v3, 0, 1.0, s[20:21]
	s_mov_b32 s26, 0x47800000
	v_cmp_gt_u32_e32 vcc, s26, v3
	v_mov_b32_e32 v4, 0x80
	s_and_saveexec_b64 s[26:27], vcc
	s_cbranch_execz .LBB62_935
; %bb.930:
	s_mov_b32 s28, 0x37ffffff
	v_cmp_lt_u32_e32 vcc, s28, v3
	s_mov_b64 s[28:29], 0
                                        ; implicit-def: $vgpr2
	s_and_saveexec_b64 s[30:31], vcc
	s_xor_b64 s[30:31], exec, s[30:31]
	s_cbranch_execz .LBB62_1145
; %bb.931:
	v_bfe_u32 v2, v3, 21, 1
	s_mov_b32 s36, 0x88fffff
	v_add3_u32 v2, v3, v2, s36
	s_mov_b64 s[28:29], exec
	v_lshrrev_b32_e32 v2, 21, v2
                                        ; implicit-def: $vgpr3
	s_andn2_saveexec_b64 s[30:31], s[30:31]
	s_cbranch_execnz .LBB62_1146
.LBB62_932:
	s_or_b64 exec, exec, s[30:31]
	v_mov_b32_e32 v4, 0
	s_and_saveexec_b64 s[30:31], s[28:29]
.LBB62_933:
	v_mov_b32_e32 v4, v2
.LBB62_934:
	s_or_b64 exec, exec, s[30:31]
.LBB62_935:
	s_or_b64 exec, exec, s[26:27]
	s_mov_b64 s[26:27], 0
	global_store_byte v[0:1], v4, off
.LBB62_936:
	s_and_b64 vcc, exec, s[26:27]
	s_cbranch_vccz .LBB62_946
; %bb.937:
	v_cndmask_b32_e64 v2, 0, 1.0, s[20:21]
	s_mov_b32 s26, 0x43f00000
	v_cmp_gt_u32_e32 vcc, s26, v2
                                        ; implicit-def: $vgpr3
	s_and_saveexec_b64 s[26:27], vcc
	s_xor_b64 s[26:27], exec, s[26:27]
	s_cbranch_execz .LBB62_943
; %bb.938:
	s_mov_b32 s28, 0x3c7fffff
	v_cmp_lt_u32_e32 vcc, s28, v2
                                        ; implicit-def: $vgpr3
	s_and_saveexec_b64 s[28:29], vcc
	s_xor_b64 s[28:29], exec, s[28:29]
; %bb.939:
	v_bfe_u32 v3, v2, 20, 1
	s_mov_b32 s30, 0x407ffff
	v_add3_u32 v2, v2, v3, s30
	v_lshrrev_b32_e32 v3, 20, v2
	v_and_b32_e32 v2, 0xff00000, v2
	s_mov_b32 s30, 0x7f00000
	v_mov_b32_e32 v4, 0x7e
	v_cmp_ne_u32_e32 vcc, s30, v2
	v_cndmask_b32_e32 v3, v4, v3, vcc
                                        ; implicit-def: $vgpr2
; %bb.940:
	s_andn2_saveexec_b64 s[28:29], s[28:29]
; %bb.941:
	v_add_f32_e32 v3, 0x46800000, v2
; %bb.942:
	s_or_b64 exec, exec, s[28:29]
                                        ; implicit-def: $vgpr2
.LBB62_943:
	s_andn2_saveexec_b64 s[26:27], s[26:27]
; %bb.944:
	s_mov_b32 s28, 0x7f800000
	v_mov_b32_e32 v3, 0x7e
	v_mov_b32_e32 v4, 0x7f
	v_cmp_lt_u32_e32 vcc, s28, v2
	v_cndmask_b32_e32 v3, v3, v4, vcc
; %bb.945:
	s_or_b64 exec, exec, s[26:27]
	global_store_byte v[0:1], v3, off
.LBB62_946:
	s_mov_b64 s[26:27], 0
.LBB62_947:
	s_andn2_b64 vcc, exec, s[26:27]
	s_cbranch_vccnz .LBB62_957
; %bb.948:
	v_cndmask_b32_e64 v2, 0, 1.0, s[20:21]
	s_mov_b32 s26, 0x47800000
	v_cmp_gt_u32_e32 vcc, s26, v2
                                        ; implicit-def: $vgpr3
	s_and_saveexec_b64 s[26:27], vcc
	s_xor_b64 s[26:27], exec, s[26:27]
	s_cbranch_execz .LBB62_954
; %bb.949:
	s_mov_b32 s28, 0x387fffff
	v_cmp_lt_u32_e32 vcc, s28, v2
                                        ; implicit-def: $vgpr3
	s_and_saveexec_b64 s[28:29], vcc
	s_xor_b64 s[28:29], exec, s[28:29]
; %bb.950:
	v_bfe_u32 v3, v2, 21, 1
	s_mov_b32 s30, 0x80fffff
	v_add3_u32 v2, v2, v3, s30
	v_lshrrev_b32_e32 v3, 21, v2
                                        ; implicit-def: $vgpr2
; %bb.951:
	s_andn2_saveexec_b64 s[28:29], s[28:29]
; %bb.952:
	v_add_f32_e32 v3, 0x43000000, v2
; %bb.953:
	s_or_b64 exec, exec, s[28:29]
                                        ; implicit-def: $vgpr2
.LBB62_954:
	s_andn2_saveexec_b64 s[26:27], s[26:27]
; %bb.955:
	s_mov_b32 s28, 0x7f800000
	v_mov_b32_e32 v3, 0x7c
	v_mov_b32_e32 v4, 0x7f
	v_cmp_lt_u32_e32 vcc, s28, v2
	v_cndmask_b32_e32 v3, v3, v4, vcc
; %bb.956:
	s_or_b64 exec, exec, s[26:27]
	global_store_byte v[0:1], v3, off
.LBB62_957:
	s_mov_b64 s[26:27], 0
.LBB62_958:
	s_andn2_b64 vcc, exec, s[26:27]
	s_mov_b64 s[28:29], 0
	s_cbranch_vccnz .LBB62_970
; %bb.959:
	s_cmp_gt_i32 s35, 14
	s_mov_b64 s[26:27], -1
	s_cbranch_scc0 .LBB62_963
; %bb.960:
	s_cmp_eq_u32 s35, 15
	s_mov_b64 s[0:1], -1
	s_cbranch_scc0 .LBB62_962
; %bb.961:
	v_cndmask_b32_e64 v2, 0, 1.0, s[20:21]
	v_bfe_u32 v3, v2, 16, 1
	s_movk_i32 s0, 0x7fff
	v_add3_u32 v2, v2, v3, s0
	global_store_short_d16_hi v[0:1], v2, off
	s_mov_b64 s[0:1], 0
.LBB62_962:
	s_mov_b64 s[26:27], 0
.LBB62_963:
	s_and_b64 vcc, exec, s[26:27]
	s_cbranch_vccz .LBB62_970
; %bb.964:
	s_cmp_lg_u32 s35, 11
	s_cselect_b64 s[26:27], -1, 0
	s_andn2_b64 s[0:1], s[0:1], exec
	s_and_b64 s[26:27], s[26:27], exec
	s_mov_b64 s[28:29], -1
	s_or_b64 s[0:1], s[0:1], s[26:27]
	s_branch .LBB62_970
.LBB62_965:
	s_or_b64 exec, exec, s[24:25]
	s_and_saveexec_b64 s[0:1], s[18:19]
	s_cbranch_execnz .LBB62_971
.LBB62_966:
	s_or_b64 exec, exec, s[0:1]
	s_and_saveexec_b64 s[0:1], s[28:29]
	s_xor_b64 s[0:1], exec, s[0:1]
	s_cbranch_execz .LBB62_972
.LBB62_967:
	s_waitcnt vmcnt(0)
	v_cndmask_b32_e64 v2, 0, 1, s[20:21]
	global_store_byte v[0:1], v2, off
	s_or_b64 exec, exec, s[0:1]
	s_and_saveexec_b64 s[0:1], s[26:27]
	s_xor_b64 s[0:1], exec, s[0:1]
	s_cbranch_execz .LBB62_1010
	s_branch .LBB62_973
.LBB62_968:
	s_mov_b64 s[16:17], -1
	s_mov_b64 s[0:1], s[18:19]
	s_branch .LBB62_970
.LBB62_969:
	s_mov_b64 s[28:29], 0
.LBB62_970:
	s_and_b64 s[26:27], s[16:17], exec
	s_andn2_b64 s[16:17], s[18:19], exec
	s_and_b64 s[0:1], s[0:1], exec
	s_and_b64 s[28:29], s[28:29], exec
	s_or_b64 s[18:19], s[16:17], s[0:1]
	s_or_b64 exec, exec, s[24:25]
	s_and_saveexec_b64 s[0:1], s[18:19]
	s_cbranch_execz .LBB62_966
.LBB62_971:
	s_or_b64 s[22:23], s[22:23], exec
	s_andn2_b64 s[28:29], s[28:29], exec
	s_trap 2
	s_or_b64 exec, exec, s[0:1]
	s_and_saveexec_b64 s[0:1], s[28:29]
	s_xor_b64 s[0:1], exec, s[0:1]
	s_cbranch_execnz .LBB62_967
.LBB62_972:
	s_or_b64 exec, exec, s[0:1]
	s_and_saveexec_b64 s[0:1], s[26:27]
	s_xor_b64 s[0:1], exec, s[0:1]
	s_cbranch_execz .LBB62_1010
.LBB62_973:
	s_sext_i32_i16 s18, s34
	s_cmp_lt_i32 s18, 5
	s_mov_b64 s[16:17], -1
	s_cbranch_scc1 .LBB62_994
; %bb.974:
	s_cmp_lt_i32 s18, 8
	s_cbranch_scc1 .LBB62_984
; %bb.975:
	s_cmp_lt_i32 s18, 9
	s_cbranch_scc1 .LBB62_981
; %bb.976:
	s_cmp_gt_i32 s18, 9
	s_cbranch_scc0 .LBB62_978
; %bb.977:
	s_waitcnt vmcnt(0)
	v_cndmask_b32_e64 v2, 0, 1, s[20:21]
	v_cvt_f64_u32_e32 v[2:3], v2
	v_mov_b32_e32 v4, 0
	v_mov_b32_e32 v5, v4
	s_mov_b64 s[16:17], 0
	global_store_dwordx4 v[0:1], v[2:5], off
.LBB62_978:
	s_andn2_b64 vcc, exec, s[16:17]
	s_cbranch_vccnz .LBB62_980
; %bb.979:
	s_waitcnt vmcnt(0)
	v_cndmask_b32_e64 v2, 0, 1.0, s[20:21]
	v_mov_b32_e32 v3, 0
	global_store_dwordx2 v[0:1], v[2:3], off
.LBB62_980:
	s_mov_b64 s[16:17], 0
.LBB62_981:
	s_andn2_b64 vcc, exec, s[16:17]
	s_cbranch_vccnz .LBB62_983
; %bb.982:
	s_waitcnt vmcnt(0)
	v_cndmask_b32_e64 v2, 0, 1.0, s[20:21]
	v_cvt_f16_f32_e32 v2, v2
	global_store_dword v[0:1], v2, off
.LBB62_983:
	s_mov_b64 s[16:17], 0
.LBB62_984:
	s_andn2_b64 vcc, exec, s[16:17]
	s_cbranch_vccnz .LBB62_993
; %bb.985:
	s_sext_i32_i16 s18, s34
	s_cmp_lt_i32 s18, 6
	s_mov_b64 s[16:17], -1
	s_cbranch_scc1 .LBB62_991
; %bb.986:
	s_cmp_gt_i32 s18, 6
	s_cbranch_scc0 .LBB62_988
; %bb.987:
	s_waitcnt vmcnt(0)
	v_cndmask_b32_e64 v2, 0, 1, s[20:21]
	v_cvt_f64_u32_e32 v[2:3], v2
	s_mov_b64 s[16:17], 0
	global_store_dwordx2 v[0:1], v[2:3], off
.LBB62_988:
	s_andn2_b64 vcc, exec, s[16:17]
	s_cbranch_vccnz .LBB62_990
; %bb.989:
	s_waitcnt vmcnt(0)
	v_cndmask_b32_e64 v2, 0, 1.0, s[20:21]
	global_store_dword v[0:1], v2, off
.LBB62_990:
	s_mov_b64 s[16:17], 0
.LBB62_991:
	s_andn2_b64 vcc, exec, s[16:17]
	s_cbranch_vccnz .LBB62_993
; %bb.992:
	s_waitcnt vmcnt(0)
	v_cndmask_b32_e64 v2, 0, 1.0, s[20:21]
	v_cvt_f16_f32_e32 v2, v2
	global_store_short v[0:1], v2, off
.LBB62_993:
	s_mov_b64 s[16:17], 0
.LBB62_994:
	s_andn2_b64 vcc, exec, s[16:17]
	s_cbranch_vccnz .LBB62_1010
; %bb.995:
	s_sext_i32_i16 s18, s34
	s_cmp_lt_i32 s18, 2
	s_mov_b64 s[16:17], -1
	s_cbranch_scc1 .LBB62_1005
; %bb.996:
	s_cmp_lt_i32 s18, 3
	s_cbranch_scc1 .LBB62_1002
; %bb.997:
	s_cmp_gt_i32 s18, 3
	s_cbranch_scc0 .LBB62_999
; %bb.998:
	s_mov_b32 s16, 0
	s_waitcnt vmcnt(0)
	v_cndmask_b32_e64 v2, 0, 1, s[20:21]
	v_mov_b32_e32 v3, s16
	s_mov_b64 s[16:17], 0
	global_store_dwordx2 v[0:1], v[2:3], off
.LBB62_999:
	s_andn2_b64 vcc, exec, s[16:17]
	s_cbranch_vccnz .LBB62_1001
; %bb.1000:
	s_waitcnt vmcnt(0)
	v_cndmask_b32_e64 v2, 0, 1, s[20:21]
	global_store_dword v[0:1], v2, off
.LBB62_1001:
	s_mov_b64 s[16:17], 0
.LBB62_1002:
	s_andn2_b64 vcc, exec, s[16:17]
	s_cbranch_vccnz .LBB62_1004
; %bb.1003:
	s_waitcnt vmcnt(0)
	v_cndmask_b32_e64 v2, 0, 1, s[20:21]
	global_store_short v[0:1], v2, off
.LBB62_1004:
	s_mov_b64 s[16:17], 0
.LBB62_1005:
	s_andn2_b64 vcc, exec, s[16:17]
	s_cbranch_vccnz .LBB62_1010
; %bb.1006:
	s_sext_i32_i16 s18, s34
	s_mov_b64 s[16:17], -1
	s_cmp_gt_i32 s18, 0
	s_waitcnt vmcnt(0)
	v_cndmask_b32_e64 v2, 0, 1, s[20:21]
	s_cbranch_scc0 .LBB62_1008
; %bb.1007:
	s_mov_b64 s[16:17], 0
	global_store_byte v[0:1], v2, off
.LBB62_1008:
	s_andn2_b64 vcc, exec, s[16:17]
	s_cbranch_vccnz .LBB62_1010
; %bb.1009:
	global_store_byte v[0:1], v2, off
.LBB62_1010:
	s_or_b64 exec, exec, s[0:1]
	s_and_b64 s[16:17], s[22:23], exec
                                        ; implicit-def: $vgpr10
.LBB62_1011:
	s_or_saveexec_b64 s[6:7], s[6:7]
	s_mov_b64 s[0:1], 0
                                        ; implicit-def: $sgpr20_sgpr21
                                        ; implicit-def: $sgpr26
                                        ; implicit-def: $vgpr0_vgpr1
	s_xor_b64 exec, exec, s[6:7]
	s_cbranch_execz .LBB62_1942
; %bb.1012:
	v_mul_lo_u32 v4, s13, v10
	v_mov_b32_e32 v0, s11
	s_and_b32 s15, 0xffff, s15
	s_cmp_lt_i32 s15, 11
	v_ashrrev_i32_e32 v1, 31, v4
	s_waitcnt vmcnt(0)
	v_add_co_u32_e32 v2, vcc, s10, v4
	v_addc_co_u32_e32 v3, vcc, v0, v1, vcc
	s_cbranch_scc1 .LBB62_1019
; %bb.1013:
	s_cmp_gt_i32 s15, 25
	s_cbranch_scc0 .LBB62_1021
; %bb.1014:
	s_cmp_gt_i32 s15, 28
	s_cbranch_scc0 .LBB62_1022
	;; [unrolled: 3-line block ×4, first 2 shown]
; %bb.1017:
	s_cmp_eq_u32 s15, 46
	s_mov_b64 s[18:19], 0
	s_cbranch_scc0 .LBB62_1027
; %bb.1018:
	global_load_dword v0, v[2:3], off
	s_mov_b32 s0, 0x2f800000
	s_mov_b32 s1, 0xcf800000
	s_mov_b64 s[20:21], -1
	s_waitcnt vmcnt(0)
	v_lshlrev_b32_e32 v0, 16, v0
	v_trunc_f32_e32 v0, v0
	v_mul_f32_e64 v1, |v0|, s0
	v_floor_f32_e32 v1, v1
	v_fma_f32 v5, v1, s1, |v0|
	v_cvt_u32_f32_e32 v5, v5
	v_cvt_u32_f32_e32 v1, v1
	v_ashrrev_i32_e32 v6, 31, v0
	s_mov_b64 s[0:1], 0
	v_xor_b32_e32 v0, v5, v6
	v_xor_b32_e32 v1, v1, v6
	v_sub_co_u32_e32 v0, vcc, v0, v6
	v_subb_co_u32_e32 v1, vcc, v1, v6, vcc
	s_branch .LBB62_1028
.LBB62_1019:
	s_mov_b64 s[20:21], 0
                                        ; implicit-def: $vgpr0_vgpr1
	s_mov_b64 s[18:19], s[16:17]
	s_cbranch_execnz .LBB62_1086
.LBB62_1020:
	s_andn2_b64 vcc, exec, s[20:21]
	s_cbranch_vccz .LBB62_1131
	s_branch .LBB62_1940
.LBB62_1021:
	s_mov_b64 s[20:21], 0
                                        ; implicit-def: $vgpr0_vgpr1
	s_cbranch_execnz .LBB62_1055
	s_branch .LBB62_1082
.LBB62_1022:
	s_mov_b64 s[20:21], 0
                                        ; implicit-def: $vgpr0_vgpr1
	s_cbranch_execz .LBB62_1054
	s_branch .LBB62_1037
.LBB62_1023:
	s_mov_b64 s[20:21], 0
                                        ; implicit-def: $vgpr0_vgpr1
	s_cbranch_execnz .LBB62_1033
	s_branch .LBB62_1036
.LBB62_1024:
	s_mov_b64 s[18:19], -1
	s_mov_b64 s[20:21], 0
                                        ; implicit-def: $vgpr0_vgpr1
	s_branch .LBB62_1028
.LBB62_1025:
	s_andn2_saveexec_b64 s[28:29], s[28:29]
	s_cbranch_execz .LBB62_920
.LBB62_1026:
	v_add_f32_e32 v2, 0x46000000, v3
	v_and_b32_e32 v2, 0xff, v2
	v_cmp_ne_u32_e32 vcc, 0, v2
	s_andn2_b64 s[26:27], s[26:27], exec
	s_and_b64 s[30:31], vcc, exec
	s_or_b64 s[26:27], s[26:27], s[30:31]
	s_or_b64 exec, exec, s[28:29]
	v_mov_b32_e32 v4, 0
	s_and_saveexec_b64 s[28:29], s[26:27]
	s_cbranch_execnz .LBB62_921
	s_branch .LBB62_922
.LBB62_1027:
	s_mov_b64 s[0:1], -1
                                        ; implicit-def: $vgpr0_vgpr1
	s_mov_b64 s[20:21], 0
.LBB62_1028:
	s_and_b64 vcc, exec, s[18:19]
	s_cbranch_vccz .LBB62_1031
; %bb.1029:
	s_cmp_eq_u32 s15, 44
	s_cbranch_scc0 .LBB62_1032
; %bb.1030:
	global_load_ubyte v0, v[2:3], off
	s_mov_b32 s0, 0x2f800000
	s_mov_b32 s1, 0xcf800000
	s_mov_b64 s[20:21], -1
	s_waitcnt vmcnt(0)
	v_lshlrev_b32_e32 v1, 23, v0
	v_trunc_f32_e32 v1, v1
	v_mul_f32_e64 v5, |v1|, s0
	v_floor_f32_e32 v5, v5
	v_fma_f32 v6, v5, s1, |v1|
	v_cvt_u32_f32_e32 v6, v6
	v_cvt_u32_f32_e32 v5, v5
	v_ashrrev_i32_e32 v1, 31, v1
	s_mov_b64 s[0:1], 0
	v_xor_b32_e32 v6, v6, v1
	v_xor_b32_e32 v5, v5, v1
	v_sub_co_u32_e32 v6, vcc, v6, v1
	v_subb_co_u32_e32 v1, vcc, v5, v1, vcc
	v_cmp_ne_u32_e32 vcc, 0, v0
	v_cndmask_b32_e32 v1, 0, v1, vcc
	v_cndmask_b32_e32 v0, 0, v6, vcc
.LBB62_1031:
	s_branch .LBB62_1036
.LBB62_1032:
	s_mov_b64 s[0:1], -1
                                        ; implicit-def: $vgpr0_vgpr1
	s_branch .LBB62_1036
.LBB62_1033:
	s_cmp_eq_u32 s15, 29
	s_cbranch_scc0 .LBB62_1035
; %bb.1034:
	global_load_dwordx2 v[0:1], v[2:3], off
	s_mov_b64 s[0:1], 0
	s_mov_b64 s[20:21], -1
	s_branch .LBB62_1036
.LBB62_1035:
	s_mov_b64 s[0:1], -1
                                        ; implicit-def: $vgpr0_vgpr1
.LBB62_1036:
	s_branch .LBB62_1054
.LBB62_1037:
	s_cmp_lt_i32 s15, 27
	s_cbranch_scc1 .LBB62_1040
; %bb.1038:
	s_cmp_gt_i32 s15, 27
	s_cbranch_scc0 .LBB62_1041
; %bb.1039:
	global_load_dword v0, v[2:3], off
	s_waitcnt vmcnt(1)
	v_mov_b32_e32 v1, 0
	s_mov_b64 s[18:19], 0
	s_branch .LBB62_1042
.LBB62_1040:
	s_mov_b64 s[18:19], -1
                                        ; implicit-def: $vgpr0_vgpr1
	s_branch .LBB62_1045
.LBB62_1041:
	s_mov_b64 s[18:19], -1
                                        ; implicit-def: $vgpr0_vgpr1
.LBB62_1042:
	s_andn2_b64 vcc, exec, s[18:19]
	s_cbranch_vccnz .LBB62_1044
; %bb.1043:
	global_load_ushort v0, v[2:3], off
	s_mov_b32 s18, 0
	s_waitcnt vmcnt(1)
	v_mov_b32_e32 v1, s18
	s_waitcnt vmcnt(0)
	v_and_b32_e32 v0, 0xffff, v0
.LBB62_1044:
	s_mov_b64 s[18:19], 0
.LBB62_1045:
	s_andn2_b64 vcc, exec, s[18:19]
	s_cbranch_vccnz .LBB62_1053
; %bb.1046:
	global_load_ubyte v5, v[2:3], off
	s_movk_i32 s18, 0x7f
	s_mov_b64 s[20:21], 0
	s_waitcnt vmcnt(0)
	v_cmp_lt_i16_e32 vcc, s18, v5
	s_and_saveexec_b64 s[18:19], vcc
	s_xor_b64 s[18:19], exec, s[18:19]
; %bb.1047:
	s_movk_i32 s20, 0x80
	v_cmp_ne_u16_e32 vcc, s20, v5
	s_and_b64 s[20:21], vcc, exec
; %bb.1048:
	s_andn2_saveexec_b64 s[18:19], s[18:19]
; %bb.1049:
	v_cmp_ne_u16_e32 vcc, 0, v5
	s_andn2_b64 s[20:21], s[20:21], exec
	s_and_b64 s[22:23], vcc, exec
	s_or_b64 s[20:21], s[20:21], s[22:23]
; %bb.1050:
	s_or_b64 exec, exec, s[18:19]
	v_mov_b32_e32 v0, 0
	v_mov_b32_e32 v1, 0
	s_and_saveexec_b64 s[18:19], s[20:21]
	s_cbranch_execz .LBB62_1052
; %bb.1051:
	v_and_b32_e32 v1, 0xffff, v5
	v_lshlrev_b32_e32 v0, 24, v5
	v_and_b32_e32 v5, 7, v1
	v_ffbh_u32_e32 v7, v5
	v_min_u32_e32 v7, 32, v7
	v_subrev_u32_e32 v8, 28, v7
	v_bfe_u32 v6, v1, 3, 4
	v_lshlrev_b32_e32 v1, v8, v1
	v_sub_u32_e32 v7, 29, v7
	v_and_b32_e32 v1, 7, v1
	v_cmp_eq_u32_e32 vcc, 0, v6
	v_cndmask_b32_e32 v6, v6, v7, vcc
	v_cndmask_b32_e32 v1, v5, v1, vcc
	v_mov_b32_e32 v5, 0x3b800000
	v_lshlrev_b32_e32 v1, 20, v1
	v_and_b32_e32 v0, 0x80000000, v0
	v_lshl_add_u32 v5, v6, 23, v5
	v_or3_b32 v0, v0, v5, v1
	v_trunc_f32_e32 v0, v0
	s_mov_b32 s20, 0x2f800000
	v_mul_f32_e64 v1, |v0|, s20
	v_floor_f32_e32 v1, v1
	s_mov_b32 s20, 0xcf800000
	v_fma_f32 v5, v1, s20, |v0|
	v_cvt_u32_f32_e32 v5, v5
	v_cvt_u32_f32_e32 v1, v1
	v_ashrrev_i32_e32 v6, 31, v0
	v_xor_b32_e32 v0, v5, v6
	v_xor_b32_e32 v1, v1, v6
	v_sub_co_u32_e32 v0, vcc, v0, v6
	v_subb_co_u32_e32 v1, vcc, v1, v6, vcc
.LBB62_1052:
	s_or_b64 exec, exec, s[18:19]
.LBB62_1053:
	s_mov_b64 s[20:21], -1
.LBB62_1054:
	s_branch .LBB62_1082
.LBB62_1055:
	s_cmp_gt_i32 s15, 22
	s_cbranch_scc0 .LBB62_1065
; %bb.1056:
	s_cmp_lt_i32 s15, 24
	s_cbranch_scc1 .LBB62_1066
; %bb.1057:
	s_cmp_gt_i32 s15, 24
	s_cbranch_scc0 .LBB62_1067
; %bb.1058:
	global_load_ubyte v5, v[2:3], off
	s_movk_i32 s4, 0x7f
	s_mov_b64 s[18:19], 0
	s_waitcnt vmcnt(0)
	v_cmp_lt_i16_e32 vcc, s4, v5
	s_and_saveexec_b64 s[4:5], vcc
	s_xor_b64 s[4:5], exec, s[4:5]
; %bb.1059:
	s_movk_i32 s18, 0x80
	v_cmp_ne_u16_e32 vcc, s18, v5
	s_and_b64 s[18:19], vcc, exec
; %bb.1060:
	s_andn2_saveexec_b64 s[4:5], s[4:5]
; %bb.1061:
	v_cmp_ne_u16_e32 vcc, 0, v5
	s_andn2_b64 s[18:19], s[18:19], exec
	s_and_b64 s[20:21], vcc, exec
	s_or_b64 s[18:19], s[18:19], s[20:21]
; %bb.1062:
	s_or_b64 exec, exec, s[4:5]
	v_mov_b32_e32 v0, 0
	v_mov_b32_e32 v1, 0
	s_and_saveexec_b64 s[4:5], s[18:19]
	s_cbranch_execz .LBB62_1064
; %bb.1063:
	v_and_b32_e32 v1, 0xffff, v5
	v_lshlrev_b32_e32 v0, 24, v5
	v_and_b32_e32 v5, 3, v1
	v_ffbh_u32_e32 v7, v5
	v_min_u32_e32 v7, 32, v7
	v_subrev_u32_e32 v8, 29, v7
	v_bfe_u32 v6, v1, 2, 5
	v_lshlrev_b32_e32 v1, v8, v1
	v_sub_u32_e32 v7, 30, v7
	v_and_b32_e32 v1, 3, v1
	v_cmp_eq_u32_e32 vcc, 0, v6
	v_cndmask_b32_e32 v6, v6, v7, vcc
	v_cndmask_b32_e32 v1, v5, v1, vcc
	v_mov_b32_e32 v5, 0x37800000
	v_lshlrev_b32_e32 v1, 21, v1
	v_and_b32_e32 v0, 0x80000000, v0
	v_lshl_add_u32 v5, v6, 23, v5
	v_or3_b32 v0, v0, v5, v1
	v_trunc_f32_e32 v0, v0
	s_mov_b32 s18, 0x2f800000
	v_mul_f32_e64 v1, |v0|, s18
	v_floor_f32_e32 v1, v1
	s_mov_b32 s18, 0xcf800000
	v_fma_f32 v5, v1, s18, |v0|
	v_cvt_u32_f32_e32 v5, v5
	v_cvt_u32_f32_e32 v1, v1
	v_ashrrev_i32_e32 v6, 31, v0
	v_xor_b32_e32 v0, v5, v6
	v_xor_b32_e32 v1, v1, v6
	v_sub_co_u32_e32 v0, vcc, v0, v6
	v_subb_co_u32_e32 v1, vcc, v1, v6, vcc
.LBB62_1064:
	s_or_b64 exec, exec, s[4:5]
	s_mov_b64 s[4:5], 0
	s_branch .LBB62_1068
.LBB62_1065:
                                        ; implicit-def: $vgpr0_vgpr1
	s_mov_b64 s[4:5], 0
	s_branch .LBB62_1074
.LBB62_1066:
	s_mov_b64 s[4:5], -1
                                        ; implicit-def: $vgpr0_vgpr1
	s_branch .LBB62_1071
.LBB62_1067:
	s_mov_b64 s[4:5], -1
                                        ; implicit-def: $vgpr0_vgpr1
.LBB62_1068:
	s_and_b64 vcc, exec, s[4:5]
	s_cbranch_vccz .LBB62_1070
; %bb.1069:
	global_load_ubyte v0, v[2:3], off
	s_mov_b32 s4, 0x7f800000
	s_brev_b32 s5, 1
	s_mov_b32 s18, 0x2f800000
	s_mov_b32 s19, 0xcf800000
	s_waitcnt vmcnt(0)
	v_lshlrev_b32_e32 v0, 24, v0
	v_and_b32_e32 v1, 0x7f000000, v0
	v_ffbh_u32_e32 v5, v1
	v_min_u32_e32 v5, 32, v5
	v_sub_u32_e64 v5, v5, 4 clamp
	v_lshlrev_b32_e32 v7, v5, v1
	v_lshlrev_b32_e32 v5, 23, v5
	v_lshrrev_b32_e32 v7, 4, v7
	v_add_u32_e32 v6, 0x1000000, v1
	v_sub_u32_e32 v5, v7, v5
	v_ashrrev_i32_e32 v6, 8, v6
	v_add_u32_e32 v5, 0x3c000000, v5
	v_and_or_b32 v5, v6, s4, v5
	v_cmp_ne_u32_e32 vcc, 0, v1
	v_cndmask_b32_e32 v1, 0, v5, vcc
	v_and_or_b32 v0, v0, s5, v1
	v_trunc_f32_e32 v0, v0
	v_mul_f32_e64 v1, |v0|, s18
	v_floor_f32_e32 v1, v1
	v_fma_f32 v5, v1, s19, |v0|
	v_cvt_u32_f32_e32 v5, v5
	v_cvt_u32_f32_e32 v1, v1
	v_ashrrev_i32_e32 v6, 31, v0
	v_xor_b32_e32 v0, v5, v6
	v_xor_b32_e32 v1, v1, v6
	v_sub_co_u32_e32 v0, vcc, v0, v6
	v_subb_co_u32_e32 v1, vcc, v1, v6, vcc
.LBB62_1070:
	s_mov_b64 s[4:5], 0
.LBB62_1071:
	s_andn2_b64 vcc, exec, s[4:5]
	s_cbranch_vccnz .LBB62_1073
; %bb.1072:
	global_load_ubyte v0, v[2:3], off
	s_movk_i32 s4, 0x7f00
	s_brev_b32 s5, 16
	s_brev_b32 s18, 1
	s_mov_b32 s19, 0x2f800000
	s_mov_b32 s20, 0xcf800000
	s_waitcnt vmcnt(0)
	v_lshlrev_b16_e32 v1, 8, v0
	v_lshlrev_b32_e32 v0, 25, v0
	v_lshrrev_b32_e32 v5, 4, v0
	v_and_or_b32 v6, v1, s4, 0.5
	v_or_b32_e32 v5, 0x70000000, v5
	v_add_f32_e32 v6, -0.5, v6
	v_mul_f32_e32 v5, 0x7800000, v5
	v_cmp_gt_u32_e32 vcc, s5, v0
	v_bfe_i32 v1, v1, 0, 16
	v_cndmask_b32_e32 v0, v5, v6, vcc
	v_and_or_b32 v0, v1, s18, v0
	v_trunc_f32_e32 v0, v0
	v_mul_f32_e64 v1, |v0|, s19
	v_floor_f32_e32 v1, v1
	v_fma_f32 v5, v1, s20, |v0|
	v_cvt_u32_f32_e32 v5, v5
	v_cvt_u32_f32_e32 v1, v1
	v_ashrrev_i32_e32 v6, 31, v0
	v_xor_b32_e32 v0, v5, v6
	v_xor_b32_e32 v1, v1, v6
	v_sub_co_u32_e32 v0, vcc, v0, v6
	v_subb_co_u32_e32 v1, vcc, v1, v6, vcc
.LBB62_1073:
	s_mov_b64 s[20:21], -1
	s_mov_b64 s[4:5], 0
	s_cbranch_execnz .LBB62_1082
.LBB62_1074:
	s_cmp_gt_i32 s15, 14
	s_cbranch_scc0 .LBB62_1077
; %bb.1075:
	s_cmp_eq_u32 s15, 15
	s_cbranch_scc0 .LBB62_1078
; %bb.1076:
	global_load_ushort v0, v[2:3], off
	s_mov_b32 s0, 0x2f800000
	s_mov_b32 s1, 0xcf800000
	s_mov_b64 s[20:21], -1
	s_waitcnt vmcnt(0)
	v_lshlrev_b32_e32 v0, 16, v0
	v_trunc_f32_e32 v0, v0
	v_mul_f32_e64 v1, |v0|, s0
	v_floor_f32_e32 v1, v1
	v_fma_f32 v5, v1, s1, |v0|
	v_cvt_u32_f32_e32 v5, v5
	v_cvt_u32_f32_e32 v1, v1
	v_ashrrev_i32_e32 v6, 31, v0
	s_mov_b64 s[0:1], 0
	v_xor_b32_e32 v0, v5, v6
	v_xor_b32_e32 v1, v1, v6
	v_sub_co_u32_e32 v0, vcc, v0, v6
	v_subb_co_u32_e32 v1, vcc, v1, v6, vcc
	s_branch .LBB62_1079
.LBB62_1077:
	s_mov_b64 s[18:19], -1
                                        ; implicit-def: $vgpr0_vgpr1
	s_branch .LBB62_1080
.LBB62_1078:
	s_mov_b64 s[0:1], -1
                                        ; implicit-def: $vgpr0_vgpr1
.LBB62_1079:
	s_mov_b64 s[18:19], 0
.LBB62_1080:
	s_and_b64 vcc, exec, s[18:19]
	s_cbranch_vccz .LBB62_1082
; %bb.1081:
	s_cmp_lg_u32 s15, 11
	s_mov_b64 s[4:5], -1
	s_cselect_b64 s[0:1], -1, 0
.LBB62_1082:
	s_and_b64 vcc, exec, s[0:1]
	s_mov_b64 s[18:19], s[16:17]
	s_cbranch_vccnz .LBB62_1143
; %bb.1083:
	s_andn2_b64 vcc, exec, s[4:5]
	s_cbranch_vccnz .LBB62_1085
.LBB62_1084:
	global_load_ubyte v0, v[2:3], off
	s_mov_b32 s0, 0
	s_waitcnt vmcnt(1)
	v_mov_b32_e32 v1, s0
	s_mov_b64 s[20:21], -1
	s_waitcnt vmcnt(0)
	v_cmp_ne_u16_e32 vcc, 0, v0
	v_cndmask_b32_e64 v0, 0, 1, vcc
.LBB62_1085:
	s_branch .LBB62_1020
.LBB62_1086:
	s_cmp_lt_i32 s15, 5
	s_cbranch_scc1 .LBB62_1091
; %bb.1087:
	s_cmp_lt_i32 s15, 8
	s_cbranch_scc1 .LBB62_1092
; %bb.1088:
	;; [unrolled: 3-line block ×3, first 2 shown]
	s_cmp_gt_i32 s15, 9
	s_cbranch_scc0 .LBB62_1094
; %bb.1090:
	global_load_dwordx2 v[0:1], v[2:3], off
	s_movk_i32 s0, 0xffe0
	s_waitcnt vmcnt(0)
	v_trunc_f64_e32 v[0:1], v[0:1]
	v_ldexp_f64 v[5:6], v[0:1], s0
	s_mov_b32 s0, 0
	s_mov_b32 s1, 0xc1f00000
	v_floor_f64_e32 v[5:6], v[5:6]
	v_fma_f64 v[7:8], v[5:6], s[0:1], v[0:1]
	v_cvt_i32_f64_e32 v1, v[5:6]
	s_mov_b64 s[0:1], 0
	v_cvt_u32_f64_e32 v0, v[7:8]
	s_branch .LBB62_1095
.LBB62_1091:
                                        ; implicit-def: $vgpr0_vgpr1
	s_branch .LBB62_1112
.LBB62_1092:
                                        ; implicit-def: $vgpr0_vgpr1
	s_branch .LBB62_1101
.LBB62_1093:
	s_mov_b64 s[0:1], -1
                                        ; implicit-def: $vgpr0_vgpr1
	s_branch .LBB62_1098
.LBB62_1094:
	s_mov_b64 s[0:1], -1
                                        ; implicit-def: $vgpr0_vgpr1
.LBB62_1095:
	s_andn2_b64 vcc, exec, s[0:1]
	s_cbranch_vccnz .LBB62_1097
; %bb.1096:
	global_load_dword v0, v[2:3], off
	s_mov_b32 s0, 0x2f800000
	s_mov_b32 s1, 0xcf800000
	s_waitcnt vmcnt(0)
	v_trunc_f32_e32 v0, v0
	v_mul_f32_e64 v1, |v0|, s0
	v_floor_f32_e32 v1, v1
	v_cvt_u32_f32_e32 v5, v1
	v_fma_f32 v1, v1, s1, |v0|
	v_cvt_u32_f32_e32 v1, v1
	v_ashrrev_i32_e32 v6, 31, v0
	v_xor_b32_e32 v5, v5, v6
	v_xor_b32_e32 v0, v1, v6
	v_sub_co_u32_e32 v0, vcc, v0, v6
	v_subb_co_u32_e32 v1, vcc, v5, v6, vcc
.LBB62_1097:
	s_mov_b64 s[0:1], 0
.LBB62_1098:
	s_andn2_b64 vcc, exec, s[0:1]
	s_cbranch_vccnz .LBB62_1100
; %bb.1099:
	global_load_dword v0, v[2:3], off
	s_waitcnt vmcnt(0)
	v_cvt_f32_f16_e32 v0, v0
	v_cvt_i32_f32_e32 v0, v0
	v_ashrrev_i32_e32 v1, 31, v0
.LBB62_1100:
	s_cbranch_execnz .LBB62_1111
.LBB62_1101:
	s_cmp_lt_i32 s15, 6
	s_cbranch_scc1 .LBB62_1104
; %bb.1102:
	s_cmp_gt_i32 s15, 6
	s_cbranch_scc0 .LBB62_1105
; %bb.1103:
	global_load_dwordx2 v[0:1], v[2:3], off
	s_movk_i32 s0, 0xffe0
	s_waitcnt vmcnt(0)
	v_trunc_f64_e32 v[0:1], v[0:1]
	v_ldexp_f64 v[5:6], v[0:1], s0
	s_mov_b32 s0, 0
	s_mov_b32 s1, 0xc1f00000
	v_floor_f64_e32 v[5:6], v[5:6]
	v_fma_f64 v[7:8], v[5:6], s[0:1], v[0:1]
	v_cvt_i32_f64_e32 v1, v[5:6]
	s_mov_b64 s[0:1], 0
	v_cvt_u32_f64_e32 v0, v[7:8]
	s_branch .LBB62_1106
.LBB62_1104:
	s_mov_b64 s[0:1], -1
                                        ; implicit-def: $vgpr0_vgpr1
	s_branch .LBB62_1109
.LBB62_1105:
	s_mov_b64 s[0:1], -1
                                        ; implicit-def: $vgpr0_vgpr1
.LBB62_1106:
	s_andn2_b64 vcc, exec, s[0:1]
	s_cbranch_vccnz .LBB62_1108
; %bb.1107:
	global_load_dword v0, v[2:3], off
	s_mov_b32 s0, 0x2f800000
	s_mov_b32 s1, 0xcf800000
	s_waitcnt vmcnt(0)
	v_trunc_f32_e32 v0, v0
	v_mul_f32_e64 v1, |v0|, s0
	v_floor_f32_e32 v1, v1
	v_cvt_u32_f32_e32 v5, v1
	v_fma_f32 v1, v1, s1, |v0|
	v_cvt_u32_f32_e32 v1, v1
	v_ashrrev_i32_e32 v6, 31, v0
	v_xor_b32_e32 v5, v5, v6
	v_xor_b32_e32 v0, v1, v6
	v_sub_co_u32_e32 v0, vcc, v0, v6
	v_subb_co_u32_e32 v1, vcc, v5, v6, vcc
.LBB62_1108:
	s_mov_b64 s[0:1], 0
.LBB62_1109:
	s_andn2_b64 vcc, exec, s[0:1]
	s_cbranch_vccnz .LBB62_1111
; %bb.1110:
	global_load_ushort v0, v[2:3], off
	s_waitcnt vmcnt(0)
	v_cvt_f32_f16_e32 v0, v0
	v_cvt_i32_f32_e32 v0, v0
	v_ashrrev_i32_e32 v1, 31, v0
.LBB62_1111:
	s_cbranch_execnz .LBB62_1130
.LBB62_1112:
	s_cmp_lt_i32 s15, 2
	s_cbranch_scc1 .LBB62_1116
; %bb.1113:
	s_cmp_lt_i32 s15, 3
	s_cbranch_scc1 .LBB62_1117
; %bb.1114:
	s_cmp_gt_i32 s15, 3
	s_cbranch_scc0 .LBB62_1118
; %bb.1115:
	global_load_dwordx2 v[0:1], v[2:3], off
	s_mov_b64 s[0:1], 0
	s_branch .LBB62_1119
.LBB62_1116:
                                        ; implicit-def: $vgpr0_vgpr1
	s_branch .LBB62_1125
.LBB62_1117:
	s_mov_b64 s[0:1], -1
                                        ; implicit-def: $vgpr0_vgpr1
	s_branch .LBB62_1122
.LBB62_1118:
	s_mov_b64 s[0:1], -1
                                        ; implicit-def: $vgpr0_vgpr1
.LBB62_1119:
	s_andn2_b64 vcc, exec, s[0:1]
	s_cbranch_vccnz .LBB62_1121
; %bb.1120:
	global_load_dword v0, v[2:3], off
	s_waitcnt vmcnt(0)
	v_ashrrev_i32_e32 v1, 31, v0
.LBB62_1121:
	s_mov_b64 s[0:1], 0
.LBB62_1122:
	s_andn2_b64 vcc, exec, s[0:1]
	s_cbranch_vccnz .LBB62_1124
; %bb.1123:
	global_load_ushort v0, v[2:3], off
	s_waitcnt vmcnt(0)
	v_bfe_i32 v0, v0, 0, 16
	v_ashrrev_i32_e32 v1, 31, v0
.LBB62_1124:
	s_cbranch_execnz .LBB62_1130
.LBB62_1125:
	s_cmp_gt_i32 s15, 0
	s_cbranch_scc0 .LBB62_1127
; %bb.1126:
	global_load_sbyte v0, v[2:3], off
	s_mov_b64 s[0:1], 0
	s_waitcnt vmcnt(0)
	v_bfe_i32 v0, v0, 0, 16
	v_ashrrev_i32_e32 v1, 31, v0
	s_branch .LBB62_1128
.LBB62_1127:
	s_mov_b64 s[0:1], -1
                                        ; implicit-def: $vgpr0_vgpr1
.LBB62_1128:
	s_andn2_b64 vcc, exec, s[0:1]
	s_cbranch_vccnz .LBB62_1130
; %bb.1129:
	global_load_ubyte v0, v[2:3], off
	s_mov_b32 s0, 0
	s_waitcnt vmcnt(1)
	v_mov_b32_e32 v1, s0
	s_waitcnt vmcnt(0)
	v_and_b32_e32 v0, 0xffff, v0
.LBB62_1130:
.LBB62_1131:
	s_lshl_b32 s13, s13, 7
	v_add_u32_e32 v6, s13, v4
	v_ashrrev_i32_e32 v2, 31, v6
	v_mov_b32_e32 v3, s11
	v_add_co_u32_e32 v4, vcc, s10, v6
	s_cmp_lt_i32 s15, 11
	v_addc_co_u32_e32 v5, vcc, v3, v2, vcc
	s_cbranch_scc1 .LBB62_1138
; %bb.1132:
	s_cmp_gt_i32 s15, 25
	s_mov_b64 s[4:5], 0
	s_cbranch_scc0 .LBB62_1140
; %bb.1133:
	s_cmp_gt_i32 s15, 28
	s_cbranch_scc0 .LBB62_1141
; %bb.1134:
	s_cmp_gt_i32 s15, 43
	;; [unrolled: 3-line block ×3, first 2 shown]
	s_cbranch_scc0 .LBB62_1144
; %bb.1136:
	s_cmp_eq_u32 s15, 46
	s_mov_b64 s[22:23], 0
	s_cbranch_scc0 .LBB62_1147
; %bb.1137:
	global_load_dword v2, v[4:5], off
	s_mov_b32 s0, 0x2f800000
	s_mov_b32 s1, 0xcf800000
	s_mov_b64 s[20:21], -1
	s_waitcnt vmcnt(0)
	v_lshlrev_b32_e32 v2, 16, v2
	v_trunc_f32_e32 v2, v2
	v_mul_f32_e64 v3, |v2|, s0
	v_floor_f32_e32 v3, v3
	v_fma_f32 v7, v3, s1, |v2|
	v_cvt_u32_f32_e32 v7, v7
	v_cvt_u32_f32_e32 v3, v3
	v_ashrrev_i32_e32 v8, 31, v2
	s_mov_b64 s[0:1], 0
	v_xor_b32_e32 v2, v7, v8
	v_xor_b32_e32 v3, v3, v8
	v_sub_co_u32_e32 v2, vcc, v2, v8
	v_subb_co_u32_e32 v3, vcc, v3, v8, vcc
	s_branch .LBB62_1148
.LBB62_1138:
	s_mov_b64 s[20:21], 0
                                        ; implicit-def: $vgpr2_vgpr3
	s_cbranch_execnz .LBB62_1209
.LBB62_1139:
	s_andn2_b64 vcc, exec, s[20:21]
	s_cbranch_vccnz .LBB62_1940
	s_branch .LBB62_1256
.LBB62_1140:
	s_mov_b64 s[20:21], 0
	s_mov_b64 s[0:1], 0
                                        ; implicit-def: $vgpr2_vgpr3
	s_cbranch_execnz .LBB62_1177
	s_branch .LBB62_1205
.LBB62_1141:
	s_mov_b64 s[22:23], -1
	s_mov_b64 s[20:21], 0
	s_mov_b64 s[0:1], 0
                                        ; implicit-def: $vgpr2_vgpr3
	s_branch .LBB62_1158
.LBB62_1142:
	s_mov_b64 s[22:23], -1
	s_mov_b64 s[20:21], 0
	s_mov_b64 s[0:1], 0
                                        ; implicit-def: $vgpr2_vgpr3
	s_branch .LBB62_1153
.LBB62_1143:
	s_or_b64 s[18:19], s[16:17], exec
	s_trap 2
	s_cbranch_execz .LBB62_1084
	s_branch .LBB62_1085
.LBB62_1144:
	s_mov_b64 s[22:23], -1
	s_mov_b64 s[20:21], 0
	s_mov_b64 s[0:1], 0
                                        ; implicit-def: $vgpr2_vgpr3
	s_branch .LBB62_1148
.LBB62_1145:
	s_andn2_saveexec_b64 s[30:31], s[30:31]
	s_cbranch_execz .LBB62_932
.LBB62_1146:
	v_add_f32_e32 v2, 0x42800000, v3
	v_and_b32_e32 v2, 0xff, v2
	v_cmp_ne_u32_e32 vcc, 0, v2
	s_andn2_b64 s[28:29], s[28:29], exec
	s_and_b64 s[36:37], vcc, exec
	s_or_b64 s[28:29], s[28:29], s[36:37]
	s_or_b64 exec, exec, s[30:31]
	v_mov_b32_e32 v4, 0
	s_and_saveexec_b64 s[30:31], s[28:29]
	s_cbranch_execnz .LBB62_933
	s_branch .LBB62_934
.LBB62_1147:
	s_mov_b64 s[0:1], -1
                                        ; implicit-def: $vgpr2_vgpr3
	s_mov_b64 s[20:21], 0
.LBB62_1148:
	s_and_b64 vcc, exec, s[22:23]
	s_cbranch_vccz .LBB62_1152
; %bb.1149:
	s_cmp_eq_u32 s15, 44
	s_cbranch_scc0 .LBB62_1151
; %bb.1150:
	global_load_ubyte v2, v[4:5], off
	s_mov_b32 s0, 0x2f800000
	s_mov_b32 s1, 0xcf800000
	s_mov_b64 s[20:21], -1
	s_waitcnt vmcnt(0)
	v_lshlrev_b32_e32 v3, 23, v2
	v_trunc_f32_e32 v3, v3
	v_mul_f32_e64 v7, |v3|, s0
	v_floor_f32_e32 v7, v7
	v_fma_f32 v8, v7, s1, |v3|
	v_cvt_u32_f32_e32 v8, v8
	v_cvt_u32_f32_e32 v7, v7
	v_ashrrev_i32_e32 v3, 31, v3
	s_mov_b64 s[0:1], 0
	v_xor_b32_e32 v8, v8, v3
	v_xor_b32_e32 v7, v7, v3
	v_sub_co_u32_e32 v8, vcc, v8, v3
	v_subb_co_u32_e32 v3, vcc, v7, v3, vcc
	v_cmp_ne_u32_e32 vcc, 0, v2
	v_cndmask_b32_e32 v3, 0, v3, vcc
	v_cndmask_b32_e32 v2, 0, v8, vcc
	s_branch .LBB62_1152
.LBB62_1151:
	s_mov_b64 s[0:1], -1
                                        ; implicit-def: $vgpr2_vgpr3
.LBB62_1152:
	s_mov_b64 s[22:23], 0
.LBB62_1153:
	s_and_b64 vcc, exec, s[22:23]
	s_cbranch_vccz .LBB62_1157
; %bb.1154:
	s_cmp_eq_u32 s15, 29
	s_cbranch_scc0 .LBB62_1156
; %bb.1155:
	global_load_dwordx2 v[2:3], v[4:5], off
	s_mov_b64 s[0:1], 0
	s_mov_b64 s[20:21], -1
	s_branch .LBB62_1157
.LBB62_1156:
	s_mov_b64 s[0:1], -1
                                        ; implicit-def: $vgpr2_vgpr3
.LBB62_1157:
	s_mov_b64 s[22:23], 0
.LBB62_1158:
	s_and_b64 vcc, exec, s[22:23]
	s_cbranch_vccz .LBB62_1176
; %bb.1159:
	s_cmp_lt_i32 s15, 27
	s_cbranch_scc1 .LBB62_1162
; %bb.1160:
	s_cmp_gt_i32 s15, 27
	s_cbranch_scc0 .LBB62_1163
; %bb.1161:
	global_load_dword v2, v[4:5], off
	s_waitcnt vmcnt(1)
	v_mov_b32_e32 v3, 0
	s_mov_b64 s[20:21], 0
	s_branch .LBB62_1164
.LBB62_1162:
	s_mov_b64 s[20:21], -1
                                        ; implicit-def: $vgpr2_vgpr3
	s_branch .LBB62_1167
.LBB62_1163:
	s_mov_b64 s[20:21], -1
                                        ; implicit-def: $vgpr2_vgpr3
.LBB62_1164:
	s_andn2_b64 vcc, exec, s[20:21]
	s_cbranch_vccnz .LBB62_1166
; %bb.1165:
	global_load_ushort v2, v[4:5], off
	s_mov_b32 s20, 0
	s_waitcnt vmcnt(1)
	v_mov_b32_e32 v3, s20
	s_waitcnt vmcnt(0)
	v_and_b32_e32 v2, 0xffff, v2
.LBB62_1166:
	s_mov_b64 s[20:21], 0
.LBB62_1167:
	s_andn2_b64 vcc, exec, s[20:21]
	s_cbranch_vccnz .LBB62_1175
; %bb.1168:
	global_load_ubyte v7, v[4:5], off
	s_movk_i32 s20, 0x7f
	s_mov_b64 s[22:23], 0
	s_waitcnt vmcnt(0)
	v_cmp_lt_i16_e32 vcc, s20, v7
	s_and_saveexec_b64 s[20:21], vcc
	s_xor_b64 s[20:21], exec, s[20:21]
; %bb.1169:
	s_movk_i32 s22, 0x80
	v_cmp_ne_u16_e32 vcc, s22, v7
	s_and_b64 s[22:23], vcc, exec
; %bb.1170:
	s_andn2_saveexec_b64 s[20:21], s[20:21]
; %bb.1171:
	v_cmp_ne_u16_e32 vcc, 0, v7
	s_andn2_b64 s[22:23], s[22:23], exec
	s_and_b64 s[24:25], vcc, exec
	s_or_b64 s[22:23], s[22:23], s[24:25]
; %bb.1172:
	s_or_b64 exec, exec, s[20:21]
	v_mov_b32_e32 v2, 0
	v_mov_b32_e32 v3, 0
	s_and_saveexec_b64 s[20:21], s[22:23]
	s_cbranch_execz .LBB62_1174
; %bb.1173:
	v_and_b32_e32 v3, 0xffff, v7
	v_lshlrev_b32_e32 v2, 24, v7
	v_and_b32_e32 v7, 7, v3
	v_ffbh_u32_e32 v9, v7
	v_min_u32_e32 v9, 32, v9
	v_subrev_u32_e32 v11, 28, v9
	v_bfe_u32 v8, v3, 3, 4
	v_lshlrev_b32_e32 v3, v11, v3
	v_sub_u32_e32 v9, 29, v9
	v_and_b32_e32 v3, 7, v3
	v_cmp_eq_u32_e32 vcc, 0, v8
	v_cndmask_b32_e32 v8, v8, v9, vcc
	v_cndmask_b32_e32 v3, v7, v3, vcc
	v_mov_b32_e32 v7, 0x3b800000
	v_lshlrev_b32_e32 v3, 20, v3
	v_and_b32_e32 v2, 0x80000000, v2
	v_lshl_add_u32 v7, v8, 23, v7
	v_or3_b32 v2, v2, v7, v3
	v_trunc_f32_e32 v2, v2
	s_mov_b32 s22, 0x2f800000
	v_mul_f32_e64 v3, |v2|, s22
	v_floor_f32_e32 v3, v3
	s_mov_b32 s22, 0xcf800000
	v_fma_f32 v7, v3, s22, |v2|
	v_cvt_u32_f32_e32 v7, v7
	v_cvt_u32_f32_e32 v3, v3
	v_ashrrev_i32_e32 v8, 31, v2
	v_xor_b32_e32 v2, v7, v8
	v_xor_b32_e32 v3, v3, v8
	v_sub_co_u32_e32 v2, vcc, v2, v8
	v_subb_co_u32_e32 v3, vcc, v3, v8, vcc
.LBB62_1174:
	s_or_b64 exec, exec, s[20:21]
.LBB62_1175:
	s_mov_b64 s[20:21], -1
.LBB62_1176:
	s_branch .LBB62_1205
.LBB62_1177:
	s_cmp_gt_i32 s15, 22
	s_cbranch_scc0 .LBB62_1187
; %bb.1178:
	s_cmp_lt_i32 s15, 24
	s_cbranch_scc1 .LBB62_1188
; %bb.1179:
	s_cmp_gt_i32 s15, 24
	s_cbranch_scc0 .LBB62_1189
; %bb.1180:
	global_load_ubyte v7, v[4:5], off
	s_movk_i32 s4, 0x7f
	s_mov_b64 s[20:21], 0
	s_waitcnt vmcnt(0)
	v_cmp_lt_i16_e32 vcc, s4, v7
	s_and_saveexec_b64 s[4:5], vcc
	s_xor_b64 s[4:5], exec, s[4:5]
; %bb.1181:
	s_movk_i32 s20, 0x80
	v_cmp_ne_u16_e32 vcc, s20, v7
	s_and_b64 s[20:21], vcc, exec
; %bb.1182:
	s_andn2_saveexec_b64 s[4:5], s[4:5]
; %bb.1183:
	v_cmp_ne_u16_e32 vcc, 0, v7
	s_andn2_b64 s[20:21], s[20:21], exec
	s_and_b64 s[22:23], vcc, exec
	s_or_b64 s[20:21], s[20:21], s[22:23]
; %bb.1184:
	s_or_b64 exec, exec, s[4:5]
	v_mov_b32_e32 v2, 0
	v_mov_b32_e32 v3, 0
	s_and_saveexec_b64 s[4:5], s[20:21]
	s_cbranch_execz .LBB62_1186
; %bb.1185:
	v_and_b32_e32 v3, 0xffff, v7
	v_lshlrev_b32_e32 v2, 24, v7
	v_and_b32_e32 v7, 3, v3
	v_ffbh_u32_e32 v9, v7
	v_min_u32_e32 v9, 32, v9
	v_subrev_u32_e32 v11, 29, v9
	v_bfe_u32 v8, v3, 2, 5
	v_lshlrev_b32_e32 v3, v11, v3
	v_sub_u32_e32 v9, 30, v9
	v_and_b32_e32 v3, 3, v3
	v_cmp_eq_u32_e32 vcc, 0, v8
	v_cndmask_b32_e32 v8, v8, v9, vcc
	v_cndmask_b32_e32 v3, v7, v3, vcc
	v_mov_b32_e32 v7, 0x37800000
	v_lshlrev_b32_e32 v3, 21, v3
	v_and_b32_e32 v2, 0x80000000, v2
	v_lshl_add_u32 v7, v8, 23, v7
	v_or3_b32 v2, v2, v7, v3
	v_trunc_f32_e32 v2, v2
	s_mov_b32 s20, 0x2f800000
	v_mul_f32_e64 v3, |v2|, s20
	v_floor_f32_e32 v3, v3
	s_mov_b32 s20, 0xcf800000
	v_fma_f32 v7, v3, s20, |v2|
	v_cvt_u32_f32_e32 v7, v7
	v_cvt_u32_f32_e32 v3, v3
	v_ashrrev_i32_e32 v8, 31, v2
	v_xor_b32_e32 v2, v7, v8
	v_xor_b32_e32 v3, v3, v8
	v_sub_co_u32_e32 v2, vcc, v2, v8
	v_subb_co_u32_e32 v3, vcc, v3, v8, vcc
.LBB62_1186:
	s_or_b64 exec, exec, s[4:5]
	s_mov_b64 s[4:5], 0
	s_branch .LBB62_1190
.LBB62_1187:
	s_mov_b64 s[4:5], -1
                                        ; implicit-def: $vgpr2_vgpr3
	s_branch .LBB62_1196
.LBB62_1188:
	s_mov_b64 s[4:5], -1
                                        ; implicit-def: $vgpr2_vgpr3
	s_branch .LBB62_1193
.LBB62_1189:
	s_mov_b64 s[4:5], -1
                                        ; implicit-def: $vgpr2_vgpr3
.LBB62_1190:
	s_and_b64 vcc, exec, s[4:5]
	s_cbranch_vccz .LBB62_1192
; %bb.1191:
	global_load_ubyte v2, v[4:5], off
	s_mov_b32 s4, 0x7f800000
	s_brev_b32 s5, 1
	s_mov_b32 s20, 0x2f800000
	s_mov_b32 s21, 0xcf800000
	s_waitcnt vmcnt(0)
	v_lshlrev_b32_e32 v2, 24, v2
	v_and_b32_e32 v3, 0x7f000000, v2
	v_ffbh_u32_e32 v7, v3
	v_min_u32_e32 v7, 32, v7
	v_sub_u32_e64 v7, v7, 4 clamp
	v_lshlrev_b32_e32 v9, v7, v3
	v_lshlrev_b32_e32 v7, 23, v7
	v_lshrrev_b32_e32 v9, 4, v9
	v_add_u32_e32 v8, 0x1000000, v3
	v_sub_u32_e32 v7, v9, v7
	v_ashrrev_i32_e32 v8, 8, v8
	v_add_u32_e32 v7, 0x3c000000, v7
	v_and_or_b32 v7, v8, s4, v7
	v_cmp_ne_u32_e32 vcc, 0, v3
	v_cndmask_b32_e32 v3, 0, v7, vcc
	v_and_or_b32 v2, v2, s5, v3
	v_trunc_f32_e32 v2, v2
	v_mul_f32_e64 v3, |v2|, s20
	v_floor_f32_e32 v3, v3
	v_fma_f32 v7, v3, s21, |v2|
	v_cvt_u32_f32_e32 v7, v7
	v_cvt_u32_f32_e32 v3, v3
	v_ashrrev_i32_e32 v8, 31, v2
	v_xor_b32_e32 v2, v7, v8
	v_xor_b32_e32 v3, v3, v8
	v_sub_co_u32_e32 v2, vcc, v2, v8
	v_subb_co_u32_e32 v3, vcc, v3, v8, vcc
.LBB62_1192:
	s_mov_b64 s[4:5], 0
.LBB62_1193:
	s_andn2_b64 vcc, exec, s[4:5]
	s_cbranch_vccnz .LBB62_1195
; %bb.1194:
	global_load_ubyte v2, v[4:5], off
	s_movk_i32 s4, 0x7f00
	s_brev_b32 s5, 16
	s_brev_b32 s20, 1
	s_mov_b32 s21, 0x2f800000
	s_mov_b32 s22, 0xcf800000
	s_waitcnt vmcnt(0)
	v_lshlrev_b16_e32 v3, 8, v2
	v_lshlrev_b32_e32 v2, 25, v2
	v_lshrrev_b32_e32 v7, 4, v2
	v_and_or_b32 v8, v3, s4, 0.5
	v_or_b32_e32 v7, 0x70000000, v7
	v_add_f32_e32 v8, -0.5, v8
	v_mul_f32_e32 v7, 0x7800000, v7
	v_cmp_gt_u32_e32 vcc, s5, v2
	v_bfe_i32 v3, v3, 0, 16
	v_cndmask_b32_e32 v2, v7, v8, vcc
	v_and_or_b32 v2, v3, s20, v2
	v_trunc_f32_e32 v2, v2
	v_mul_f32_e64 v3, |v2|, s21
	v_floor_f32_e32 v3, v3
	v_fma_f32 v7, v3, s22, |v2|
	v_cvt_u32_f32_e32 v7, v7
	v_cvt_u32_f32_e32 v3, v3
	v_ashrrev_i32_e32 v8, 31, v2
	v_xor_b32_e32 v2, v7, v8
	v_xor_b32_e32 v3, v3, v8
	v_sub_co_u32_e32 v2, vcc, v2, v8
	v_subb_co_u32_e32 v3, vcc, v3, v8, vcc
.LBB62_1195:
	s_mov_b64 s[4:5], 0
	s_mov_b64 s[20:21], -1
.LBB62_1196:
	s_andn2_b64 vcc, exec, s[4:5]
	s_mov_b64 s[4:5], 0
	s_cbranch_vccnz .LBB62_1205
; %bb.1197:
	s_cmp_gt_i32 s15, 14
	s_cbranch_scc0 .LBB62_1200
; %bb.1198:
	s_cmp_eq_u32 s15, 15
	s_cbranch_scc0 .LBB62_1201
; %bb.1199:
	global_load_ushort v2, v[4:5], off
	s_mov_b32 s0, 0x2f800000
	s_mov_b32 s1, 0xcf800000
	s_mov_b64 s[20:21], -1
	s_waitcnt vmcnt(0)
	v_lshlrev_b32_e32 v2, 16, v2
	v_trunc_f32_e32 v2, v2
	v_mul_f32_e64 v3, |v2|, s0
	v_floor_f32_e32 v3, v3
	v_fma_f32 v7, v3, s1, |v2|
	v_cvt_u32_f32_e32 v7, v7
	v_cvt_u32_f32_e32 v3, v3
	v_ashrrev_i32_e32 v8, 31, v2
	s_mov_b64 s[0:1], 0
	v_xor_b32_e32 v2, v7, v8
	v_xor_b32_e32 v3, v3, v8
	v_sub_co_u32_e32 v2, vcc, v2, v8
	v_subb_co_u32_e32 v3, vcc, v3, v8, vcc
	s_branch .LBB62_1202
.LBB62_1200:
	s_mov_b64 s[22:23], -1
                                        ; implicit-def: $vgpr2_vgpr3
	s_branch .LBB62_1203
.LBB62_1201:
	s_mov_b64 s[0:1], -1
                                        ; implicit-def: $vgpr2_vgpr3
.LBB62_1202:
	s_mov_b64 s[22:23], 0
.LBB62_1203:
	s_and_b64 vcc, exec, s[22:23]
	s_cbranch_vccz .LBB62_1205
; %bb.1204:
	s_cmp_lg_u32 s15, 11
	s_mov_b64 s[4:5], -1
	s_cselect_b64 s[0:1], -1, 0
.LBB62_1205:
	s_and_b64 vcc, exec, s[0:1]
	s_cbranch_vccnz .LBB62_1268
; %bb.1206:
	s_andn2_b64 vcc, exec, s[4:5]
	s_cbranch_vccnz .LBB62_1208
.LBB62_1207:
	global_load_ubyte v2, v[4:5], off
	s_mov_b32 s0, 0
	s_waitcnt vmcnt(1)
	v_mov_b32_e32 v3, s0
	s_mov_b64 s[20:21], -1
	s_waitcnt vmcnt(0)
	v_cmp_ne_u16_e32 vcc, 0, v2
	v_cndmask_b32_e64 v2, 0, 1, vcc
.LBB62_1208:
	s_branch .LBB62_1139
.LBB62_1209:
	s_cmp_lt_i32 s15, 5
	s_cbranch_scc1 .LBB62_1214
; %bb.1210:
	s_cmp_lt_i32 s15, 8
	s_cbranch_scc1 .LBB62_1215
; %bb.1211:
	;; [unrolled: 3-line block ×3, first 2 shown]
	s_cmp_gt_i32 s15, 9
	s_cbranch_scc0 .LBB62_1217
; %bb.1213:
	global_load_dwordx2 v[2:3], v[4:5], off
	s_movk_i32 s0, 0xffe0
	s_waitcnt vmcnt(0)
	v_trunc_f64_e32 v[2:3], v[2:3]
	v_ldexp_f64 v[7:8], v[2:3], s0
	s_mov_b32 s0, 0
	s_mov_b32 s1, 0xc1f00000
	v_floor_f64_e32 v[7:8], v[7:8]
	v_fma_f64 v[11:12], v[7:8], s[0:1], v[2:3]
	v_cvt_i32_f64_e32 v3, v[7:8]
	s_mov_b64 s[0:1], 0
	v_cvt_u32_f64_e32 v2, v[11:12]
	s_branch .LBB62_1218
.LBB62_1214:
                                        ; implicit-def: $vgpr2_vgpr3
	s_branch .LBB62_1236
.LBB62_1215:
	s_mov_b64 s[0:1], -1
                                        ; implicit-def: $vgpr2_vgpr3
	s_branch .LBB62_1224
.LBB62_1216:
	s_mov_b64 s[0:1], -1
                                        ; implicit-def: $vgpr2_vgpr3
	s_branch .LBB62_1221
.LBB62_1217:
	s_mov_b64 s[0:1], -1
                                        ; implicit-def: $vgpr2_vgpr3
.LBB62_1218:
	s_andn2_b64 vcc, exec, s[0:1]
	s_cbranch_vccnz .LBB62_1220
; %bb.1219:
	global_load_dword v2, v[4:5], off
	s_mov_b32 s0, 0x2f800000
	s_mov_b32 s1, 0xcf800000
	s_waitcnt vmcnt(0)
	v_trunc_f32_e32 v2, v2
	v_mul_f32_e64 v3, |v2|, s0
	v_floor_f32_e32 v3, v3
	v_cvt_u32_f32_e32 v7, v3
	v_fma_f32 v3, v3, s1, |v2|
	v_cvt_u32_f32_e32 v3, v3
	v_ashrrev_i32_e32 v8, 31, v2
	v_xor_b32_e32 v7, v7, v8
	v_xor_b32_e32 v2, v3, v8
	v_sub_co_u32_e32 v2, vcc, v2, v8
	v_subb_co_u32_e32 v3, vcc, v7, v8, vcc
.LBB62_1220:
	s_mov_b64 s[0:1], 0
.LBB62_1221:
	s_andn2_b64 vcc, exec, s[0:1]
	s_cbranch_vccnz .LBB62_1223
; %bb.1222:
	global_load_dword v2, v[4:5], off
	s_waitcnt vmcnt(0)
	v_cvt_f32_f16_e32 v2, v2
	v_cvt_i32_f32_e32 v2, v2
	v_ashrrev_i32_e32 v3, 31, v2
.LBB62_1223:
	s_mov_b64 s[0:1], 0
.LBB62_1224:
	s_andn2_b64 vcc, exec, s[0:1]
	s_cbranch_vccnz .LBB62_1235
; %bb.1225:
	s_cmp_lt_i32 s15, 6
	s_cbranch_scc1 .LBB62_1228
; %bb.1226:
	s_cmp_gt_i32 s15, 6
	s_cbranch_scc0 .LBB62_1229
; %bb.1227:
	global_load_dwordx2 v[2:3], v[4:5], off
	s_movk_i32 s0, 0xffe0
	s_waitcnt vmcnt(0)
	v_trunc_f64_e32 v[2:3], v[2:3]
	v_ldexp_f64 v[7:8], v[2:3], s0
	s_mov_b32 s0, 0
	s_mov_b32 s1, 0xc1f00000
	v_floor_f64_e32 v[7:8], v[7:8]
	v_fma_f64 v[11:12], v[7:8], s[0:1], v[2:3]
	v_cvt_i32_f64_e32 v3, v[7:8]
	s_mov_b64 s[0:1], 0
	v_cvt_u32_f64_e32 v2, v[11:12]
	s_branch .LBB62_1230
.LBB62_1228:
	s_mov_b64 s[0:1], -1
                                        ; implicit-def: $vgpr2_vgpr3
	s_branch .LBB62_1233
.LBB62_1229:
	s_mov_b64 s[0:1], -1
                                        ; implicit-def: $vgpr2_vgpr3
.LBB62_1230:
	s_andn2_b64 vcc, exec, s[0:1]
	s_cbranch_vccnz .LBB62_1232
; %bb.1231:
	global_load_dword v2, v[4:5], off
	s_mov_b32 s0, 0x2f800000
	s_mov_b32 s1, 0xcf800000
	s_waitcnt vmcnt(0)
	v_trunc_f32_e32 v2, v2
	v_mul_f32_e64 v3, |v2|, s0
	v_floor_f32_e32 v3, v3
	v_cvt_u32_f32_e32 v7, v3
	v_fma_f32 v3, v3, s1, |v2|
	v_cvt_u32_f32_e32 v3, v3
	v_ashrrev_i32_e32 v8, 31, v2
	v_xor_b32_e32 v7, v7, v8
	v_xor_b32_e32 v2, v3, v8
	v_sub_co_u32_e32 v2, vcc, v2, v8
	v_subb_co_u32_e32 v3, vcc, v7, v8, vcc
.LBB62_1232:
	s_mov_b64 s[0:1], 0
.LBB62_1233:
	s_andn2_b64 vcc, exec, s[0:1]
	s_cbranch_vccnz .LBB62_1235
; %bb.1234:
	global_load_ushort v2, v[4:5], off
	s_waitcnt vmcnt(0)
	v_cvt_f32_f16_e32 v2, v2
	v_cvt_i32_f32_e32 v2, v2
	v_ashrrev_i32_e32 v3, 31, v2
.LBB62_1235:
	s_cbranch_execnz .LBB62_1255
.LBB62_1236:
	s_cmp_lt_i32 s15, 2
	s_cbranch_scc1 .LBB62_1240
; %bb.1237:
	s_cmp_lt_i32 s15, 3
	s_cbranch_scc1 .LBB62_1241
; %bb.1238:
	s_cmp_gt_i32 s15, 3
	s_cbranch_scc0 .LBB62_1242
; %bb.1239:
	global_load_dwordx2 v[2:3], v[4:5], off
	s_mov_b64 s[0:1], 0
	s_branch .LBB62_1243
.LBB62_1240:
	s_mov_b64 s[0:1], -1
                                        ; implicit-def: $vgpr2_vgpr3
	s_branch .LBB62_1249
.LBB62_1241:
	s_mov_b64 s[0:1], -1
                                        ; implicit-def: $vgpr2_vgpr3
	s_branch .LBB62_1246
.LBB62_1242:
	s_mov_b64 s[0:1], -1
                                        ; implicit-def: $vgpr2_vgpr3
.LBB62_1243:
	s_andn2_b64 vcc, exec, s[0:1]
	s_cbranch_vccnz .LBB62_1245
; %bb.1244:
	global_load_dword v2, v[4:5], off
	s_waitcnt vmcnt(0)
	v_ashrrev_i32_e32 v3, 31, v2
.LBB62_1245:
	s_mov_b64 s[0:1], 0
.LBB62_1246:
	s_andn2_b64 vcc, exec, s[0:1]
	s_cbranch_vccnz .LBB62_1248
; %bb.1247:
	global_load_ushort v2, v[4:5], off
	s_waitcnt vmcnt(0)
	v_bfe_i32 v2, v2, 0, 16
	v_ashrrev_i32_e32 v3, 31, v2
.LBB62_1248:
	s_mov_b64 s[0:1], 0
.LBB62_1249:
	s_andn2_b64 vcc, exec, s[0:1]
	s_cbranch_vccnz .LBB62_1255
; %bb.1250:
	s_cmp_gt_i32 s15, 0
	s_cbranch_scc0 .LBB62_1252
; %bb.1251:
	global_load_sbyte v2, v[4:5], off
	s_mov_b64 s[0:1], 0
	s_waitcnt vmcnt(0)
	v_bfe_i32 v2, v2, 0, 16
	v_ashrrev_i32_e32 v3, 31, v2
	s_branch .LBB62_1253
.LBB62_1252:
	s_mov_b64 s[0:1], -1
                                        ; implicit-def: $vgpr2_vgpr3
.LBB62_1253:
	s_andn2_b64 vcc, exec, s[0:1]
	s_cbranch_vccnz .LBB62_1255
; %bb.1254:
	global_load_ubyte v2, v[4:5], off
	s_mov_b32 s0, 0
	s_waitcnt vmcnt(1)
	v_mov_b32_e32 v3, s0
	s_waitcnt vmcnt(0)
	v_and_b32_e32 v2, 0xffff, v2
.LBB62_1255:
.LBB62_1256:
	v_add_u32_e32 v8, s13, v6
	v_ashrrev_i32_e32 v4, 31, v8
	v_mov_b32_e32 v5, s11
	v_add_co_u32_e32 v6, vcc, s10, v8
	s_cmp_lt_i32 s15, 11
	v_addc_co_u32_e32 v7, vcc, v5, v4, vcc
	s_cbranch_scc1 .LBB62_1263
; %bb.1257:
	s_cmp_gt_i32 s15, 25
	s_mov_b64 s[4:5], 0
	s_cbranch_scc0 .LBB62_1265
; %bb.1258:
	s_cmp_gt_i32 s15, 28
	s_cbranch_scc0 .LBB62_1266
; %bb.1259:
	s_cmp_gt_i32 s15, 43
	;; [unrolled: 3-line block ×3, first 2 shown]
	s_cbranch_scc0 .LBB62_1269
; %bb.1261:
	s_cmp_eq_u32 s15, 46
	s_mov_b64 s[22:23], 0
	s_cbranch_scc0 .LBB62_1270
; %bb.1262:
	global_load_dword v4, v[6:7], off
	s_mov_b32 s0, 0x2f800000
	s_mov_b32 s1, 0xcf800000
	s_mov_b64 s[20:21], -1
	s_waitcnt vmcnt(0)
	v_lshlrev_b32_e32 v4, 16, v4
	v_trunc_f32_e32 v4, v4
	v_mul_f32_e64 v5, |v4|, s0
	v_floor_f32_e32 v5, v5
	v_fma_f32 v9, v5, s1, |v4|
	v_cvt_u32_f32_e32 v9, v9
	v_cvt_u32_f32_e32 v5, v5
	v_ashrrev_i32_e32 v11, 31, v4
	s_mov_b64 s[0:1], 0
	v_xor_b32_e32 v4, v9, v11
	v_xor_b32_e32 v5, v5, v11
	v_sub_co_u32_e32 v4, vcc, v4, v11
	v_subb_co_u32_e32 v5, vcc, v5, v11, vcc
	s_branch .LBB62_1271
.LBB62_1263:
	s_mov_b64 s[20:21], 0
                                        ; implicit-def: $vgpr4_vgpr5
	s_cbranch_execnz .LBB62_1333
.LBB62_1264:
	s_andn2_b64 vcc, exec, s[20:21]
	s_cbranch_vccnz .LBB62_1940
	s_branch .LBB62_1381
.LBB62_1265:
	s_mov_b64 s[22:23], -1
	s_mov_b64 s[20:21], 0
	s_mov_b64 s[0:1], 0
                                        ; implicit-def: $vgpr4_vgpr5
	s_branch .LBB62_1300
.LBB62_1266:
	s_mov_b64 s[22:23], -1
	s_mov_b64 s[20:21], 0
	s_mov_b64 s[0:1], 0
                                        ; implicit-def: $vgpr4_vgpr5
	s_branch .LBB62_1281
.LBB62_1267:
	s_mov_b64 s[22:23], -1
	s_mov_b64 s[20:21], 0
	s_mov_b64 s[0:1], 0
                                        ; implicit-def: $vgpr4_vgpr5
	s_branch .LBB62_1276
.LBB62_1268:
	s_trap 2
	s_or_b64 s[18:19], s[18:19], exec
	s_cbranch_execz .LBB62_1207
	s_branch .LBB62_1208
.LBB62_1269:
	s_mov_b64 s[22:23], -1
	s_mov_b64 s[20:21], 0
	s_mov_b64 s[0:1], 0
                                        ; implicit-def: $vgpr4_vgpr5
	s_branch .LBB62_1271
.LBB62_1270:
	s_mov_b64 s[0:1], -1
                                        ; implicit-def: $vgpr4_vgpr5
	s_mov_b64 s[20:21], 0
.LBB62_1271:
	s_and_b64 vcc, exec, s[22:23]
	s_cbranch_vccz .LBB62_1275
; %bb.1272:
	s_cmp_eq_u32 s15, 44
	s_cbranch_scc0 .LBB62_1274
; %bb.1273:
	global_load_ubyte v4, v[6:7], off
	s_mov_b32 s0, 0x2f800000
	s_mov_b32 s1, 0xcf800000
	s_mov_b64 s[20:21], -1
	s_waitcnt vmcnt(0)
	v_lshlrev_b32_e32 v5, 23, v4
	v_trunc_f32_e32 v5, v5
	v_mul_f32_e64 v9, |v5|, s0
	v_floor_f32_e32 v9, v9
	v_fma_f32 v11, v9, s1, |v5|
	v_cvt_u32_f32_e32 v11, v11
	v_cvt_u32_f32_e32 v9, v9
	v_ashrrev_i32_e32 v5, 31, v5
	s_mov_b64 s[0:1], 0
	v_xor_b32_e32 v11, v11, v5
	v_xor_b32_e32 v9, v9, v5
	v_sub_co_u32_e32 v11, vcc, v11, v5
	v_subb_co_u32_e32 v5, vcc, v9, v5, vcc
	v_cmp_ne_u32_e32 vcc, 0, v4
	v_cndmask_b32_e32 v5, 0, v5, vcc
	v_cndmask_b32_e32 v4, 0, v11, vcc
	s_branch .LBB62_1275
.LBB62_1274:
	s_mov_b64 s[0:1], -1
                                        ; implicit-def: $vgpr4_vgpr5
.LBB62_1275:
	s_mov_b64 s[22:23], 0
.LBB62_1276:
	s_and_b64 vcc, exec, s[22:23]
	s_cbranch_vccz .LBB62_1280
; %bb.1277:
	s_cmp_eq_u32 s15, 29
	s_cbranch_scc0 .LBB62_1279
; %bb.1278:
	global_load_dwordx2 v[4:5], v[6:7], off
	s_mov_b64 s[0:1], 0
	s_mov_b64 s[20:21], -1
	s_branch .LBB62_1280
.LBB62_1279:
	s_mov_b64 s[0:1], -1
                                        ; implicit-def: $vgpr4_vgpr5
.LBB62_1280:
	s_mov_b64 s[22:23], 0
.LBB62_1281:
	s_and_b64 vcc, exec, s[22:23]
	s_cbranch_vccz .LBB62_1299
; %bb.1282:
	s_cmp_lt_i32 s15, 27
	s_cbranch_scc1 .LBB62_1285
; %bb.1283:
	s_cmp_gt_i32 s15, 27
	s_cbranch_scc0 .LBB62_1286
; %bb.1284:
	global_load_dword v4, v[6:7], off
	s_waitcnt vmcnt(1)
	v_mov_b32_e32 v5, 0
	s_mov_b64 s[20:21], 0
	s_branch .LBB62_1287
.LBB62_1285:
	s_mov_b64 s[20:21], -1
                                        ; implicit-def: $vgpr4_vgpr5
	s_branch .LBB62_1290
.LBB62_1286:
	s_mov_b64 s[20:21], -1
                                        ; implicit-def: $vgpr4_vgpr5
.LBB62_1287:
	s_andn2_b64 vcc, exec, s[20:21]
	s_cbranch_vccnz .LBB62_1289
; %bb.1288:
	global_load_ushort v4, v[6:7], off
	s_mov_b32 s20, 0
	s_waitcnt vmcnt(1)
	v_mov_b32_e32 v5, s20
	s_waitcnt vmcnt(0)
	v_and_b32_e32 v4, 0xffff, v4
.LBB62_1289:
	s_mov_b64 s[20:21], 0
.LBB62_1290:
	s_andn2_b64 vcc, exec, s[20:21]
	s_cbranch_vccnz .LBB62_1298
; %bb.1291:
	global_load_ubyte v9, v[6:7], off
	s_movk_i32 s20, 0x7f
	s_mov_b64 s[22:23], 0
	s_waitcnt vmcnt(0)
	v_cmp_lt_i16_e32 vcc, s20, v9
	s_and_saveexec_b64 s[20:21], vcc
	s_xor_b64 s[20:21], exec, s[20:21]
; %bb.1292:
	s_movk_i32 s22, 0x80
	v_cmp_ne_u16_e32 vcc, s22, v9
	s_and_b64 s[22:23], vcc, exec
; %bb.1293:
	s_andn2_saveexec_b64 s[20:21], s[20:21]
; %bb.1294:
	v_cmp_ne_u16_e32 vcc, 0, v9
	s_andn2_b64 s[22:23], s[22:23], exec
	s_and_b64 s[24:25], vcc, exec
	s_or_b64 s[22:23], s[22:23], s[24:25]
; %bb.1295:
	s_or_b64 exec, exec, s[20:21]
	v_mov_b32_e32 v4, 0
	v_mov_b32_e32 v5, 0
	s_and_saveexec_b64 s[20:21], s[22:23]
	s_cbranch_execz .LBB62_1297
; %bb.1296:
	v_and_b32_e32 v5, 0xffff, v9
	v_lshlrev_b32_e32 v4, 24, v9
	v_and_b32_e32 v9, 7, v5
	v_ffbh_u32_e32 v12, v9
	v_min_u32_e32 v12, 32, v12
	v_subrev_u32_e32 v13, 28, v12
	v_bfe_u32 v11, v5, 3, 4
	v_lshlrev_b32_e32 v5, v13, v5
	v_sub_u32_e32 v12, 29, v12
	v_and_b32_e32 v5, 7, v5
	v_cmp_eq_u32_e32 vcc, 0, v11
	v_cndmask_b32_e32 v11, v11, v12, vcc
	v_cndmask_b32_e32 v5, v9, v5, vcc
	v_mov_b32_e32 v9, 0x3b800000
	v_lshlrev_b32_e32 v5, 20, v5
	v_and_b32_e32 v4, 0x80000000, v4
	v_lshl_add_u32 v9, v11, 23, v9
	v_or3_b32 v4, v4, v9, v5
	v_trunc_f32_e32 v4, v4
	s_mov_b32 s22, 0x2f800000
	v_mul_f32_e64 v5, |v4|, s22
	v_floor_f32_e32 v5, v5
	s_mov_b32 s22, 0xcf800000
	v_fma_f32 v9, v5, s22, |v4|
	v_cvt_u32_f32_e32 v9, v9
	v_cvt_u32_f32_e32 v5, v5
	v_ashrrev_i32_e32 v11, 31, v4
	v_xor_b32_e32 v4, v9, v11
	v_xor_b32_e32 v5, v5, v11
	v_sub_co_u32_e32 v4, vcc, v4, v11
	v_subb_co_u32_e32 v5, vcc, v5, v11, vcc
.LBB62_1297:
	s_or_b64 exec, exec, s[20:21]
.LBB62_1298:
	s_mov_b64 s[20:21], -1
.LBB62_1299:
	s_mov_b64 s[22:23], 0
.LBB62_1300:
	s_and_b64 vcc, exec, s[22:23]
	s_cbranch_vccz .LBB62_1329
; %bb.1301:
	s_cmp_gt_i32 s15, 22
	s_cbranch_scc0 .LBB62_1311
; %bb.1302:
	s_cmp_lt_i32 s15, 24
	s_cbranch_scc1 .LBB62_1312
; %bb.1303:
	s_cmp_gt_i32 s15, 24
	s_cbranch_scc0 .LBB62_1313
; %bb.1304:
	global_load_ubyte v9, v[6:7], off
	s_movk_i32 s4, 0x7f
	s_mov_b64 s[20:21], 0
	s_waitcnt vmcnt(0)
	v_cmp_lt_i16_e32 vcc, s4, v9
	s_and_saveexec_b64 s[4:5], vcc
	s_xor_b64 s[4:5], exec, s[4:5]
; %bb.1305:
	s_movk_i32 s20, 0x80
	v_cmp_ne_u16_e32 vcc, s20, v9
	s_and_b64 s[20:21], vcc, exec
; %bb.1306:
	s_andn2_saveexec_b64 s[4:5], s[4:5]
; %bb.1307:
	v_cmp_ne_u16_e32 vcc, 0, v9
	s_andn2_b64 s[20:21], s[20:21], exec
	s_and_b64 s[22:23], vcc, exec
	s_or_b64 s[20:21], s[20:21], s[22:23]
; %bb.1308:
	s_or_b64 exec, exec, s[4:5]
	v_mov_b32_e32 v4, 0
	v_mov_b32_e32 v5, 0
	s_and_saveexec_b64 s[4:5], s[20:21]
	s_cbranch_execz .LBB62_1310
; %bb.1309:
	v_and_b32_e32 v5, 0xffff, v9
	v_lshlrev_b32_e32 v4, 24, v9
	v_and_b32_e32 v9, 3, v5
	v_ffbh_u32_e32 v12, v9
	v_min_u32_e32 v12, 32, v12
	v_subrev_u32_e32 v13, 29, v12
	v_bfe_u32 v11, v5, 2, 5
	v_lshlrev_b32_e32 v5, v13, v5
	v_sub_u32_e32 v12, 30, v12
	v_and_b32_e32 v5, 3, v5
	v_cmp_eq_u32_e32 vcc, 0, v11
	v_cndmask_b32_e32 v11, v11, v12, vcc
	v_cndmask_b32_e32 v5, v9, v5, vcc
	v_mov_b32_e32 v9, 0x37800000
	v_lshlrev_b32_e32 v5, 21, v5
	v_and_b32_e32 v4, 0x80000000, v4
	v_lshl_add_u32 v9, v11, 23, v9
	v_or3_b32 v4, v4, v9, v5
	v_trunc_f32_e32 v4, v4
	s_mov_b32 s20, 0x2f800000
	v_mul_f32_e64 v5, |v4|, s20
	v_floor_f32_e32 v5, v5
	s_mov_b32 s20, 0xcf800000
	v_fma_f32 v9, v5, s20, |v4|
	v_cvt_u32_f32_e32 v9, v9
	v_cvt_u32_f32_e32 v5, v5
	v_ashrrev_i32_e32 v11, 31, v4
	v_xor_b32_e32 v4, v9, v11
	v_xor_b32_e32 v5, v5, v11
	v_sub_co_u32_e32 v4, vcc, v4, v11
	v_subb_co_u32_e32 v5, vcc, v5, v11, vcc
.LBB62_1310:
	s_or_b64 exec, exec, s[4:5]
	s_mov_b64 s[4:5], 0
	s_branch .LBB62_1314
.LBB62_1311:
	s_mov_b64 s[4:5], -1
                                        ; implicit-def: $vgpr4_vgpr5
	s_branch .LBB62_1320
.LBB62_1312:
	s_mov_b64 s[4:5], -1
                                        ; implicit-def: $vgpr4_vgpr5
	s_branch .LBB62_1317
.LBB62_1313:
	s_mov_b64 s[4:5], -1
                                        ; implicit-def: $vgpr4_vgpr5
.LBB62_1314:
	s_and_b64 vcc, exec, s[4:5]
	s_cbranch_vccz .LBB62_1316
; %bb.1315:
	global_load_ubyte v4, v[6:7], off
	s_mov_b32 s4, 0x7f800000
	s_brev_b32 s5, 1
	s_mov_b32 s20, 0x2f800000
	s_mov_b32 s21, 0xcf800000
	s_waitcnt vmcnt(0)
	v_lshlrev_b32_e32 v4, 24, v4
	v_and_b32_e32 v5, 0x7f000000, v4
	v_ffbh_u32_e32 v9, v5
	v_min_u32_e32 v9, 32, v9
	v_sub_u32_e64 v9, v9, 4 clamp
	v_lshlrev_b32_e32 v12, v9, v5
	v_lshlrev_b32_e32 v9, 23, v9
	v_lshrrev_b32_e32 v12, 4, v12
	v_add_u32_e32 v11, 0x1000000, v5
	v_sub_u32_e32 v9, v12, v9
	v_ashrrev_i32_e32 v11, 8, v11
	v_add_u32_e32 v9, 0x3c000000, v9
	v_and_or_b32 v9, v11, s4, v9
	v_cmp_ne_u32_e32 vcc, 0, v5
	v_cndmask_b32_e32 v5, 0, v9, vcc
	v_and_or_b32 v4, v4, s5, v5
	v_trunc_f32_e32 v4, v4
	v_mul_f32_e64 v5, |v4|, s20
	v_floor_f32_e32 v5, v5
	v_fma_f32 v9, v5, s21, |v4|
	v_cvt_u32_f32_e32 v9, v9
	v_cvt_u32_f32_e32 v5, v5
	v_ashrrev_i32_e32 v11, 31, v4
	v_xor_b32_e32 v4, v9, v11
	v_xor_b32_e32 v5, v5, v11
	v_sub_co_u32_e32 v4, vcc, v4, v11
	v_subb_co_u32_e32 v5, vcc, v5, v11, vcc
.LBB62_1316:
	s_mov_b64 s[4:5], 0
.LBB62_1317:
	s_andn2_b64 vcc, exec, s[4:5]
	s_cbranch_vccnz .LBB62_1319
; %bb.1318:
	global_load_ubyte v4, v[6:7], off
	s_movk_i32 s4, 0x7f00
	s_brev_b32 s5, 16
	s_brev_b32 s20, 1
	s_mov_b32 s21, 0x2f800000
	s_mov_b32 s22, 0xcf800000
	s_waitcnt vmcnt(0)
	v_lshlrev_b16_e32 v5, 8, v4
	v_lshlrev_b32_e32 v4, 25, v4
	v_lshrrev_b32_e32 v9, 4, v4
	v_and_or_b32 v11, v5, s4, 0.5
	v_or_b32_e32 v9, 0x70000000, v9
	v_add_f32_e32 v11, -0.5, v11
	v_mul_f32_e32 v9, 0x7800000, v9
	v_cmp_gt_u32_e32 vcc, s5, v4
	v_bfe_i32 v5, v5, 0, 16
	v_cndmask_b32_e32 v4, v9, v11, vcc
	v_and_or_b32 v4, v5, s20, v4
	v_trunc_f32_e32 v4, v4
	v_mul_f32_e64 v5, |v4|, s21
	v_floor_f32_e32 v5, v5
	v_fma_f32 v9, v5, s22, |v4|
	v_cvt_u32_f32_e32 v9, v9
	v_cvt_u32_f32_e32 v5, v5
	v_ashrrev_i32_e32 v11, 31, v4
	v_xor_b32_e32 v4, v9, v11
	v_xor_b32_e32 v5, v5, v11
	v_sub_co_u32_e32 v4, vcc, v4, v11
	v_subb_co_u32_e32 v5, vcc, v5, v11, vcc
.LBB62_1319:
	s_mov_b64 s[4:5], 0
	s_mov_b64 s[20:21], -1
.LBB62_1320:
	s_andn2_b64 vcc, exec, s[4:5]
	s_mov_b64 s[4:5], 0
	s_cbranch_vccnz .LBB62_1329
; %bb.1321:
	s_cmp_gt_i32 s15, 14
	s_cbranch_scc0 .LBB62_1324
; %bb.1322:
	s_cmp_eq_u32 s15, 15
	s_cbranch_scc0 .LBB62_1325
; %bb.1323:
	global_load_ushort v4, v[6:7], off
	s_mov_b32 s0, 0x2f800000
	s_mov_b32 s1, 0xcf800000
	s_mov_b64 s[20:21], -1
	s_waitcnt vmcnt(0)
	v_lshlrev_b32_e32 v4, 16, v4
	v_trunc_f32_e32 v4, v4
	v_mul_f32_e64 v5, |v4|, s0
	v_floor_f32_e32 v5, v5
	v_fma_f32 v9, v5, s1, |v4|
	v_cvt_u32_f32_e32 v9, v9
	v_cvt_u32_f32_e32 v5, v5
	v_ashrrev_i32_e32 v11, 31, v4
	s_mov_b64 s[0:1], 0
	v_xor_b32_e32 v4, v9, v11
	v_xor_b32_e32 v5, v5, v11
	v_sub_co_u32_e32 v4, vcc, v4, v11
	v_subb_co_u32_e32 v5, vcc, v5, v11, vcc
	s_branch .LBB62_1326
.LBB62_1324:
	s_mov_b64 s[22:23], -1
                                        ; implicit-def: $vgpr4_vgpr5
	s_branch .LBB62_1327
.LBB62_1325:
	s_mov_b64 s[0:1], -1
                                        ; implicit-def: $vgpr4_vgpr5
.LBB62_1326:
	s_mov_b64 s[22:23], 0
.LBB62_1327:
	s_and_b64 vcc, exec, s[22:23]
	s_cbranch_vccz .LBB62_1329
; %bb.1328:
	s_cmp_lg_u32 s15, 11
	s_mov_b64 s[4:5], -1
	s_cselect_b64 s[0:1], -1, 0
.LBB62_1329:
	s_and_b64 vcc, exec, s[0:1]
	s_cbranch_vccnz .LBB62_1392
; %bb.1330:
	s_andn2_b64 vcc, exec, s[4:5]
	s_cbranch_vccnz .LBB62_1332
.LBB62_1331:
	global_load_ubyte v4, v[6:7], off
	s_mov_b32 s0, 0
	s_waitcnt vmcnt(1)
	v_mov_b32_e32 v5, s0
	s_mov_b64 s[20:21], -1
	s_waitcnt vmcnt(0)
	v_cmp_ne_u16_e32 vcc, 0, v4
	v_cndmask_b32_e64 v4, 0, 1, vcc
.LBB62_1332:
	s_branch .LBB62_1264
.LBB62_1333:
	s_cmp_lt_i32 s15, 5
	s_cbranch_scc1 .LBB62_1338
; %bb.1334:
	s_cmp_lt_i32 s15, 8
	s_cbranch_scc1 .LBB62_1339
; %bb.1335:
	;; [unrolled: 3-line block ×3, first 2 shown]
	s_cmp_gt_i32 s15, 9
	s_cbranch_scc0 .LBB62_1341
; %bb.1337:
	global_load_dwordx2 v[4:5], v[6:7], off
	s_movk_i32 s0, 0xffe0
	s_waitcnt vmcnt(0)
	v_trunc_f64_e32 v[4:5], v[4:5]
	v_ldexp_f64 v[11:12], v[4:5], s0
	s_mov_b32 s0, 0
	s_mov_b32 s1, 0xc1f00000
	v_floor_f64_e32 v[11:12], v[11:12]
	v_fma_f64 v[13:14], v[11:12], s[0:1], v[4:5]
	v_cvt_i32_f64_e32 v5, v[11:12]
	s_mov_b64 s[0:1], 0
	v_cvt_u32_f64_e32 v4, v[13:14]
	s_branch .LBB62_1342
.LBB62_1338:
	s_mov_b64 s[0:1], -1
                                        ; implicit-def: $vgpr4_vgpr5
	s_branch .LBB62_1360
.LBB62_1339:
	s_mov_b64 s[0:1], -1
                                        ; implicit-def: $vgpr4_vgpr5
	s_branch .LBB62_1348
.LBB62_1340:
	s_mov_b64 s[0:1], -1
                                        ; implicit-def: $vgpr4_vgpr5
	s_branch .LBB62_1345
.LBB62_1341:
	s_mov_b64 s[0:1], -1
                                        ; implicit-def: $vgpr4_vgpr5
.LBB62_1342:
	s_andn2_b64 vcc, exec, s[0:1]
	s_cbranch_vccnz .LBB62_1344
; %bb.1343:
	global_load_dword v4, v[6:7], off
	s_mov_b32 s0, 0x2f800000
	s_mov_b32 s1, 0xcf800000
	s_waitcnt vmcnt(0)
	v_trunc_f32_e32 v4, v4
	v_mul_f32_e64 v5, |v4|, s0
	v_floor_f32_e32 v5, v5
	v_cvt_u32_f32_e32 v9, v5
	v_fma_f32 v5, v5, s1, |v4|
	v_cvt_u32_f32_e32 v5, v5
	v_ashrrev_i32_e32 v11, 31, v4
	v_xor_b32_e32 v9, v9, v11
	v_xor_b32_e32 v4, v5, v11
	v_sub_co_u32_e32 v4, vcc, v4, v11
	v_subb_co_u32_e32 v5, vcc, v9, v11, vcc
.LBB62_1344:
	s_mov_b64 s[0:1], 0
.LBB62_1345:
	s_andn2_b64 vcc, exec, s[0:1]
	s_cbranch_vccnz .LBB62_1347
; %bb.1346:
	global_load_dword v4, v[6:7], off
	s_waitcnt vmcnt(0)
	v_cvt_f32_f16_e32 v4, v4
	v_cvt_i32_f32_e32 v4, v4
	v_ashrrev_i32_e32 v5, 31, v4
.LBB62_1347:
	s_mov_b64 s[0:1], 0
.LBB62_1348:
	s_andn2_b64 vcc, exec, s[0:1]
	s_cbranch_vccnz .LBB62_1359
; %bb.1349:
	s_cmp_lt_i32 s15, 6
	s_cbranch_scc1 .LBB62_1352
; %bb.1350:
	s_cmp_gt_i32 s15, 6
	s_cbranch_scc0 .LBB62_1353
; %bb.1351:
	global_load_dwordx2 v[4:5], v[6:7], off
	s_movk_i32 s0, 0xffe0
	s_waitcnt vmcnt(0)
	v_trunc_f64_e32 v[4:5], v[4:5]
	v_ldexp_f64 v[11:12], v[4:5], s0
	s_mov_b32 s0, 0
	s_mov_b32 s1, 0xc1f00000
	v_floor_f64_e32 v[11:12], v[11:12]
	v_fma_f64 v[13:14], v[11:12], s[0:1], v[4:5]
	v_cvt_i32_f64_e32 v5, v[11:12]
	s_mov_b64 s[0:1], 0
	v_cvt_u32_f64_e32 v4, v[13:14]
	s_branch .LBB62_1354
.LBB62_1352:
	s_mov_b64 s[0:1], -1
                                        ; implicit-def: $vgpr4_vgpr5
	s_branch .LBB62_1357
.LBB62_1353:
	s_mov_b64 s[0:1], -1
                                        ; implicit-def: $vgpr4_vgpr5
.LBB62_1354:
	s_andn2_b64 vcc, exec, s[0:1]
	s_cbranch_vccnz .LBB62_1356
; %bb.1355:
	global_load_dword v4, v[6:7], off
	s_mov_b32 s0, 0x2f800000
	s_mov_b32 s1, 0xcf800000
	s_waitcnt vmcnt(0)
	v_trunc_f32_e32 v4, v4
	v_mul_f32_e64 v5, |v4|, s0
	v_floor_f32_e32 v5, v5
	v_cvt_u32_f32_e32 v9, v5
	v_fma_f32 v5, v5, s1, |v4|
	v_cvt_u32_f32_e32 v5, v5
	v_ashrrev_i32_e32 v11, 31, v4
	v_xor_b32_e32 v9, v9, v11
	v_xor_b32_e32 v4, v5, v11
	v_sub_co_u32_e32 v4, vcc, v4, v11
	v_subb_co_u32_e32 v5, vcc, v9, v11, vcc
.LBB62_1356:
	s_mov_b64 s[0:1], 0
.LBB62_1357:
	s_andn2_b64 vcc, exec, s[0:1]
	s_cbranch_vccnz .LBB62_1359
; %bb.1358:
	global_load_ushort v4, v[6:7], off
	s_waitcnt vmcnt(0)
	v_cvt_f32_f16_e32 v4, v4
	v_cvt_i32_f32_e32 v4, v4
	v_ashrrev_i32_e32 v5, 31, v4
.LBB62_1359:
	s_mov_b64 s[0:1], 0
.LBB62_1360:
	s_andn2_b64 vcc, exec, s[0:1]
	s_cbranch_vccnz .LBB62_1380
; %bb.1361:
	s_cmp_lt_i32 s15, 2
	s_cbranch_scc1 .LBB62_1365
; %bb.1362:
	s_cmp_lt_i32 s15, 3
	s_cbranch_scc1 .LBB62_1366
; %bb.1363:
	s_cmp_gt_i32 s15, 3
	s_cbranch_scc0 .LBB62_1367
; %bb.1364:
	global_load_dwordx2 v[4:5], v[6:7], off
	s_mov_b64 s[0:1], 0
	s_branch .LBB62_1368
.LBB62_1365:
	s_mov_b64 s[0:1], -1
                                        ; implicit-def: $vgpr4_vgpr5
	s_branch .LBB62_1374
.LBB62_1366:
	s_mov_b64 s[0:1], -1
                                        ; implicit-def: $vgpr4_vgpr5
	s_branch .LBB62_1371
.LBB62_1367:
	s_mov_b64 s[0:1], -1
                                        ; implicit-def: $vgpr4_vgpr5
.LBB62_1368:
	s_andn2_b64 vcc, exec, s[0:1]
	s_cbranch_vccnz .LBB62_1370
; %bb.1369:
	global_load_dword v4, v[6:7], off
	s_waitcnt vmcnt(0)
	v_ashrrev_i32_e32 v5, 31, v4
.LBB62_1370:
	s_mov_b64 s[0:1], 0
.LBB62_1371:
	s_andn2_b64 vcc, exec, s[0:1]
	s_cbranch_vccnz .LBB62_1373
; %bb.1372:
	global_load_ushort v4, v[6:7], off
	s_waitcnt vmcnt(0)
	v_bfe_i32 v4, v4, 0, 16
	v_ashrrev_i32_e32 v5, 31, v4
.LBB62_1373:
	s_mov_b64 s[0:1], 0
.LBB62_1374:
	s_andn2_b64 vcc, exec, s[0:1]
	s_cbranch_vccnz .LBB62_1380
; %bb.1375:
	s_cmp_gt_i32 s15, 0
	s_cbranch_scc0 .LBB62_1377
; %bb.1376:
	global_load_sbyte v4, v[6:7], off
	s_mov_b64 s[0:1], 0
	s_waitcnt vmcnt(0)
	v_bfe_i32 v4, v4, 0, 16
	v_ashrrev_i32_e32 v5, 31, v4
	s_branch .LBB62_1378
.LBB62_1377:
	s_mov_b64 s[0:1], -1
                                        ; implicit-def: $vgpr4_vgpr5
.LBB62_1378:
	s_andn2_b64 vcc, exec, s[0:1]
	s_cbranch_vccnz .LBB62_1380
; %bb.1379:
	global_load_ubyte v4, v[6:7], off
	s_mov_b32 s0, 0
	s_waitcnt vmcnt(1)
	v_mov_b32_e32 v5, s0
	s_waitcnt vmcnt(0)
	v_and_b32_e32 v4, 0xffff, v4
.LBB62_1380:
.LBB62_1381:
	v_add_u32_e32 v6, s13, v8
	v_ashrrev_i32_e32 v7, 31, v6
	v_mov_b32_e32 v9, s11
	v_add_co_u32_e32 v8, vcc, s10, v6
	s_cmp_lt_i32 s15, 11
	v_addc_co_u32_e32 v9, vcc, v9, v7, vcc
	s_cbranch_scc1 .LBB62_1388
; %bb.1382:
	s_cmp_gt_i32 s15, 25
	s_mov_b64 s[4:5], 0
	s_cbranch_scc0 .LBB62_1389
; %bb.1383:
	s_cmp_gt_i32 s15, 28
	s_cbranch_scc0 .LBB62_1390
; %bb.1384:
	s_cmp_gt_i32 s15, 43
	;; [unrolled: 3-line block ×3, first 2 shown]
	s_cbranch_scc0 .LBB62_1393
; %bb.1386:
	s_cmp_eq_u32 s15, 46
	s_mov_b64 s[20:21], 0
	s_cbranch_scc0 .LBB62_1394
; %bb.1387:
	global_load_dword v6, v[8:9], off
	s_mov_b32 s0, 0x2f800000
	s_mov_b32 s1, 0xcf800000
	s_mov_b64 s[10:11], -1
	s_waitcnt vmcnt(0)
	v_lshlrev_b32_e32 v6, 16, v6
	v_trunc_f32_e32 v6, v6
	v_mul_f32_e64 v7, |v6|, s0
	v_floor_f32_e32 v7, v7
	v_fma_f32 v11, v7, s1, |v6|
	v_cvt_u32_f32_e32 v11, v11
	v_cvt_u32_f32_e32 v7, v7
	v_ashrrev_i32_e32 v12, 31, v6
	s_mov_b64 s[0:1], 0
	v_xor_b32_e32 v6, v11, v12
	v_xor_b32_e32 v7, v7, v12
	v_sub_co_u32_e32 v6, vcc, v6, v12
	v_subb_co_u32_e32 v7, vcc, v7, v12, vcc
	s_branch .LBB62_1395
.LBB62_1388:
	s_mov_b64 s[0:1], -1
	s_mov_b64 s[10:11], 0
                                        ; implicit-def: $vgpr6_vgpr7
	s_branch .LBB62_1457
.LBB62_1389:
	s_mov_b64 s[20:21], -1
	s_mov_b64 s[10:11], 0
	s_mov_b64 s[0:1], 0
                                        ; implicit-def: $vgpr6_vgpr7
	s_branch .LBB62_1424
.LBB62_1390:
	s_mov_b64 s[20:21], -1
	s_mov_b64 s[10:11], 0
	s_mov_b64 s[0:1], 0
                                        ; implicit-def: $vgpr6_vgpr7
	s_branch .LBB62_1405
.LBB62_1391:
	s_mov_b64 s[20:21], -1
	s_mov_b64 s[10:11], 0
	s_mov_b64 s[0:1], 0
                                        ; implicit-def: $vgpr6_vgpr7
	s_branch .LBB62_1400
.LBB62_1392:
	s_trap 2
	s_or_b64 s[18:19], s[18:19], exec
	s_cbranch_execz .LBB62_1331
	s_branch .LBB62_1332
.LBB62_1393:
	s_mov_b64 s[20:21], -1
	s_mov_b64 s[10:11], 0
	s_mov_b64 s[0:1], 0
                                        ; implicit-def: $vgpr6_vgpr7
	s_branch .LBB62_1395
.LBB62_1394:
	s_mov_b64 s[0:1], -1
                                        ; implicit-def: $vgpr6_vgpr7
	s_mov_b64 s[10:11], 0
.LBB62_1395:
	s_and_b64 vcc, exec, s[20:21]
	s_cbranch_vccz .LBB62_1399
; %bb.1396:
	s_cmp_eq_u32 s15, 44
	s_cbranch_scc0 .LBB62_1398
; %bb.1397:
	global_load_ubyte v6, v[8:9], off
	s_mov_b32 s0, 0x2f800000
	s_mov_b32 s1, 0xcf800000
	s_mov_b64 s[10:11], -1
	s_waitcnt vmcnt(0)
	v_lshlrev_b32_e32 v7, 23, v6
	v_trunc_f32_e32 v7, v7
	v_mul_f32_e64 v11, |v7|, s0
	v_floor_f32_e32 v11, v11
	v_fma_f32 v12, v11, s1, |v7|
	v_cvt_u32_f32_e32 v12, v12
	v_cvt_u32_f32_e32 v11, v11
	v_ashrrev_i32_e32 v7, 31, v7
	s_mov_b64 s[0:1], 0
	v_xor_b32_e32 v12, v12, v7
	v_xor_b32_e32 v11, v11, v7
	v_sub_co_u32_e32 v12, vcc, v12, v7
	v_subb_co_u32_e32 v7, vcc, v11, v7, vcc
	v_cmp_ne_u32_e32 vcc, 0, v6
	v_cndmask_b32_e32 v7, 0, v7, vcc
	v_cndmask_b32_e32 v6, 0, v12, vcc
	s_branch .LBB62_1399
.LBB62_1398:
	s_mov_b64 s[0:1], -1
                                        ; implicit-def: $vgpr6_vgpr7
.LBB62_1399:
	s_mov_b64 s[20:21], 0
.LBB62_1400:
	s_and_b64 vcc, exec, s[20:21]
	s_cbranch_vccz .LBB62_1404
; %bb.1401:
	s_cmp_eq_u32 s15, 29
	s_cbranch_scc0 .LBB62_1403
; %bb.1402:
	global_load_dwordx2 v[6:7], v[8:9], off
	s_mov_b64 s[0:1], 0
	s_mov_b64 s[10:11], -1
	s_branch .LBB62_1404
.LBB62_1403:
	s_mov_b64 s[0:1], -1
                                        ; implicit-def: $vgpr6_vgpr7
.LBB62_1404:
	s_mov_b64 s[20:21], 0
.LBB62_1405:
	s_and_b64 vcc, exec, s[20:21]
	s_cbranch_vccz .LBB62_1423
; %bb.1406:
	s_cmp_lt_i32 s15, 27
	s_cbranch_scc1 .LBB62_1409
; %bb.1407:
	s_cmp_gt_i32 s15, 27
	s_cbranch_scc0 .LBB62_1410
; %bb.1408:
	global_load_dword v6, v[8:9], off
	s_waitcnt vmcnt(1)
	v_mov_b32_e32 v7, 0
	s_mov_b64 s[10:11], 0
	s_branch .LBB62_1411
.LBB62_1409:
	s_mov_b64 s[10:11], -1
                                        ; implicit-def: $vgpr6_vgpr7
	s_branch .LBB62_1414
.LBB62_1410:
	s_mov_b64 s[10:11], -1
                                        ; implicit-def: $vgpr6_vgpr7
.LBB62_1411:
	s_andn2_b64 vcc, exec, s[10:11]
	s_cbranch_vccnz .LBB62_1413
; %bb.1412:
	global_load_ushort v6, v[8:9], off
	s_mov_b32 s10, 0
	s_waitcnt vmcnt(1)
	v_mov_b32_e32 v7, s10
	s_waitcnt vmcnt(0)
	v_and_b32_e32 v6, 0xffff, v6
.LBB62_1413:
	s_mov_b64 s[10:11], 0
.LBB62_1414:
	s_andn2_b64 vcc, exec, s[10:11]
	s_cbranch_vccnz .LBB62_1422
; %bb.1415:
	global_load_ubyte v11, v[8:9], off
	s_movk_i32 s10, 0x7f
	s_mov_b64 s[20:21], 0
	s_waitcnt vmcnt(0)
	v_cmp_lt_i16_e32 vcc, s10, v11
	s_and_saveexec_b64 s[10:11], vcc
	s_xor_b64 s[10:11], exec, s[10:11]
; %bb.1416:
	s_movk_i32 s13, 0x80
	v_cmp_ne_u16_e32 vcc, s13, v11
	s_and_b64 s[20:21], vcc, exec
; %bb.1417:
	s_andn2_saveexec_b64 s[10:11], s[10:11]
; %bb.1418:
	v_cmp_ne_u16_e32 vcc, 0, v11
	s_andn2_b64 s[20:21], s[20:21], exec
	s_and_b64 s[22:23], vcc, exec
	s_or_b64 s[20:21], s[20:21], s[22:23]
; %bb.1419:
	s_or_b64 exec, exec, s[10:11]
	v_mov_b32_e32 v6, 0
	v_mov_b32_e32 v7, 0
	s_and_saveexec_b64 s[10:11], s[20:21]
	s_cbranch_execz .LBB62_1421
; %bb.1420:
	v_and_b32_e32 v7, 0xffff, v11
	v_lshlrev_b32_e32 v6, 24, v11
	v_and_b32_e32 v11, 7, v7
	v_ffbh_u32_e32 v13, v11
	v_min_u32_e32 v13, 32, v13
	v_subrev_u32_e32 v14, 28, v13
	v_bfe_u32 v12, v7, 3, 4
	v_lshlrev_b32_e32 v7, v14, v7
	v_sub_u32_e32 v13, 29, v13
	v_and_b32_e32 v7, 7, v7
	v_cmp_eq_u32_e32 vcc, 0, v12
	v_cndmask_b32_e32 v12, v12, v13, vcc
	v_cndmask_b32_e32 v7, v11, v7, vcc
	v_mov_b32_e32 v11, 0x3b800000
	v_lshlrev_b32_e32 v7, 20, v7
	v_and_b32_e32 v6, 0x80000000, v6
	v_lshl_add_u32 v11, v12, 23, v11
	v_or3_b32 v6, v6, v11, v7
	v_trunc_f32_e32 v6, v6
	s_mov_b32 s13, 0x2f800000
	v_mul_f32_e64 v7, |v6|, s13
	v_floor_f32_e32 v7, v7
	s_mov_b32 s13, 0xcf800000
	v_fma_f32 v11, v7, s13, |v6|
	v_cvt_u32_f32_e32 v11, v11
	v_cvt_u32_f32_e32 v7, v7
	v_ashrrev_i32_e32 v12, 31, v6
	v_xor_b32_e32 v6, v11, v12
	v_xor_b32_e32 v7, v7, v12
	v_sub_co_u32_e32 v6, vcc, v6, v12
	v_subb_co_u32_e32 v7, vcc, v7, v12, vcc
.LBB62_1421:
	s_or_b64 exec, exec, s[10:11]
.LBB62_1422:
	s_mov_b64 s[10:11], -1
.LBB62_1423:
	s_mov_b64 s[20:21], 0
.LBB62_1424:
	s_and_b64 vcc, exec, s[20:21]
	s_cbranch_vccz .LBB62_1453
; %bb.1425:
	s_cmp_gt_i32 s15, 22
	s_cbranch_scc0 .LBB62_1435
; %bb.1426:
	s_cmp_lt_i32 s15, 24
	s_cbranch_scc1 .LBB62_1436
; %bb.1427:
	s_cmp_gt_i32 s15, 24
	s_cbranch_scc0 .LBB62_1437
; %bb.1428:
	global_load_ubyte v11, v[8:9], off
	s_movk_i32 s4, 0x7f
	s_mov_b64 s[10:11], 0
	s_waitcnt vmcnt(0)
	v_cmp_lt_i16_e32 vcc, s4, v11
	s_and_saveexec_b64 s[4:5], vcc
	s_xor_b64 s[4:5], exec, s[4:5]
; %bb.1429:
	s_movk_i32 s10, 0x80
	v_cmp_ne_u16_e32 vcc, s10, v11
	s_and_b64 s[10:11], vcc, exec
; %bb.1430:
	s_andn2_saveexec_b64 s[4:5], s[4:5]
; %bb.1431:
	v_cmp_ne_u16_e32 vcc, 0, v11
	s_andn2_b64 s[10:11], s[10:11], exec
	s_and_b64 s[20:21], vcc, exec
	s_or_b64 s[10:11], s[10:11], s[20:21]
; %bb.1432:
	s_or_b64 exec, exec, s[4:5]
	v_mov_b32_e32 v6, 0
	v_mov_b32_e32 v7, 0
	s_and_saveexec_b64 s[4:5], s[10:11]
	s_cbranch_execz .LBB62_1434
; %bb.1433:
	v_and_b32_e32 v7, 0xffff, v11
	v_lshlrev_b32_e32 v6, 24, v11
	v_and_b32_e32 v11, 3, v7
	v_ffbh_u32_e32 v13, v11
	v_min_u32_e32 v13, 32, v13
	v_subrev_u32_e32 v14, 29, v13
	v_bfe_u32 v12, v7, 2, 5
	v_lshlrev_b32_e32 v7, v14, v7
	v_sub_u32_e32 v13, 30, v13
	v_and_b32_e32 v7, 3, v7
	v_cmp_eq_u32_e32 vcc, 0, v12
	v_cndmask_b32_e32 v12, v12, v13, vcc
	v_cndmask_b32_e32 v7, v11, v7, vcc
	v_mov_b32_e32 v11, 0x37800000
	v_lshlrev_b32_e32 v7, 21, v7
	v_and_b32_e32 v6, 0x80000000, v6
	v_lshl_add_u32 v11, v12, 23, v11
	v_or3_b32 v6, v6, v11, v7
	v_trunc_f32_e32 v6, v6
	s_mov_b32 s10, 0x2f800000
	v_mul_f32_e64 v7, |v6|, s10
	v_floor_f32_e32 v7, v7
	s_mov_b32 s10, 0xcf800000
	v_fma_f32 v11, v7, s10, |v6|
	v_cvt_u32_f32_e32 v11, v11
	v_cvt_u32_f32_e32 v7, v7
	v_ashrrev_i32_e32 v12, 31, v6
	v_xor_b32_e32 v6, v11, v12
	v_xor_b32_e32 v7, v7, v12
	v_sub_co_u32_e32 v6, vcc, v6, v12
	v_subb_co_u32_e32 v7, vcc, v7, v12, vcc
.LBB62_1434:
	s_or_b64 exec, exec, s[4:5]
	s_mov_b64 s[4:5], 0
	s_branch .LBB62_1438
.LBB62_1435:
	s_mov_b64 s[4:5], -1
                                        ; implicit-def: $vgpr6_vgpr7
	s_branch .LBB62_1444
.LBB62_1436:
	s_mov_b64 s[4:5], -1
                                        ; implicit-def: $vgpr6_vgpr7
	s_branch .LBB62_1441
.LBB62_1437:
	s_mov_b64 s[4:5], -1
                                        ; implicit-def: $vgpr6_vgpr7
.LBB62_1438:
	s_and_b64 vcc, exec, s[4:5]
	s_cbranch_vccz .LBB62_1440
; %bb.1439:
	global_load_ubyte v6, v[8:9], off
	s_mov_b32 s4, 0x7f800000
	s_brev_b32 s5, 1
	s_mov_b32 s10, 0x2f800000
	s_mov_b32 s11, 0xcf800000
	s_waitcnt vmcnt(0)
	v_lshlrev_b32_e32 v6, 24, v6
	v_and_b32_e32 v7, 0x7f000000, v6
	v_ffbh_u32_e32 v11, v7
	v_min_u32_e32 v11, 32, v11
	v_sub_u32_e64 v11, v11, 4 clamp
	v_lshlrev_b32_e32 v13, v11, v7
	v_lshlrev_b32_e32 v11, 23, v11
	v_lshrrev_b32_e32 v13, 4, v13
	v_add_u32_e32 v12, 0x1000000, v7
	v_sub_u32_e32 v11, v13, v11
	v_ashrrev_i32_e32 v12, 8, v12
	v_add_u32_e32 v11, 0x3c000000, v11
	v_and_or_b32 v11, v12, s4, v11
	v_cmp_ne_u32_e32 vcc, 0, v7
	v_cndmask_b32_e32 v7, 0, v11, vcc
	v_and_or_b32 v6, v6, s5, v7
	v_trunc_f32_e32 v6, v6
	v_mul_f32_e64 v7, |v6|, s10
	v_floor_f32_e32 v7, v7
	v_fma_f32 v11, v7, s11, |v6|
	v_cvt_u32_f32_e32 v11, v11
	v_cvt_u32_f32_e32 v7, v7
	v_ashrrev_i32_e32 v12, 31, v6
	v_xor_b32_e32 v6, v11, v12
	v_xor_b32_e32 v7, v7, v12
	v_sub_co_u32_e32 v6, vcc, v6, v12
	v_subb_co_u32_e32 v7, vcc, v7, v12, vcc
.LBB62_1440:
	s_mov_b64 s[4:5], 0
.LBB62_1441:
	s_andn2_b64 vcc, exec, s[4:5]
	s_cbranch_vccnz .LBB62_1443
; %bb.1442:
	global_load_ubyte v6, v[8:9], off
	s_movk_i32 s4, 0x7f00
	s_brev_b32 s5, 16
	s_brev_b32 s10, 1
	s_mov_b32 s11, 0x2f800000
	s_mov_b32 s13, 0xcf800000
	s_waitcnt vmcnt(0)
	v_lshlrev_b16_e32 v7, 8, v6
	v_lshlrev_b32_e32 v6, 25, v6
	v_lshrrev_b32_e32 v11, 4, v6
	v_and_or_b32 v12, v7, s4, 0.5
	v_or_b32_e32 v11, 0x70000000, v11
	v_add_f32_e32 v12, -0.5, v12
	v_mul_f32_e32 v11, 0x7800000, v11
	v_cmp_gt_u32_e32 vcc, s5, v6
	v_bfe_i32 v7, v7, 0, 16
	v_cndmask_b32_e32 v6, v11, v12, vcc
	v_and_or_b32 v6, v7, s10, v6
	v_trunc_f32_e32 v6, v6
	v_mul_f32_e64 v7, |v6|, s11
	v_floor_f32_e32 v7, v7
	v_fma_f32 v11, v7, s13, |v6|
	v_cvt_u32_f32_e32 v11, v11
	v_cvt_u32_f32_e32 v7, v7
	v_ashrrev_i32_e32 v12, 31, v6
	v_xor_b32_e32 v6, v11, v12
	v_xor_b32_e32 v7, v7, v12
	v_sub_co_u32_e32 v6, vcc, v6, v12
	v_subb_co_u32_e32 v7, vcc, v7, v12, vcc
.LBB62_1443:
	s_mov_b64 s[4:5], 0
	s_mov_b64 s[10:11], -1
.LBB62_1444:
	s_andn2_b64 vcc, exec, s[4:5]
	s_mov_b64 s[4:5], 0
	s_cbranch_vccnz .LBB62_1453
; %bb.1445:
	s_cmp_gt_i32 s15, 14
	s_cbranch_scc0 .LBB62_1448
; %bb.1446:
	s_cmp_eq_u32 s15, 15
	s_cbranch_scc0 .LBB62_1449
; %bb.1447:
	global_load_ushort v6, v[8:9], off
	s_mov_b32 s0, 0x2f800000
	s_mov_b32 s1, 0xcf800000
	s_mov_b64 s[10:11], -1
	s_waitcnt vmcnt(0)
	v_lshlrev_b32_e32 v6, 16, v6
	v_trunc_f32_e32 v6, v6
	v_mul_f32_e64 v7, |v6|, s0
	v_floor_f32_e32 v7, v7
	v_fma_f32 v11, v7, s1, |v6|
	v_cvt_u32_f32_e32 v11, v11
	v_cvt_u32_f32_e32 v7, v7
	v_ashrrev_i32_e32 v12, 31, v6
	s_mov_b64 s[0:1], 0
	v_xor_b32_e32 v6, v11, v12
	v_xor_b32_e32 v7, v7, v12
	v_sub_co_u32_e32 v6, vcc, v6, v12
	v_subb_co_u32_e32 v7, vcc, v7, v12, vcc
	s_branch .LBB62_1450
.LBB62_1448:
	s_mov_b64 s[20:21], -1
                                        ; implicit-def: $vgpr6_vgpr7
	s_branch .LBB62_1451
.LBB62_1449:
	s_mov_b64 s[0:1], -1
                                        ; implicit-def: $vgpr6_vgpr7
.LBB62_1450:
	s_mov_b64 s[20:21], 0
.LBB62_1451:
	s_and_b64 vcc, exec, s[20:21]
	s_cbranch_vccz .LBB62_1453
; %bb.1452:
	s_cmp_lg_u32 s15, 11
	s_mov_b64 s[4:5], -1
	s_cselect_b64 s[0:1], -1, 0
.LBB62_1453:
	s_and_b64 vcc, exec, s[0:1]
	s_cbranch_vccnz .LBB62_1986
; %bb.1454:
	s_andn2_b64 vcc, exec, s[4:5]
	s_cbranch_vccnz .LBB62_1456
.LBB62_1455:
	global_load_ubyte v6, v[8:9], off
	s_mov_b32 s0, 0
	s_waitcnt vmcnt(1)
	v_mov_b32_e32 v7, s0
	s_mov_b64 s[10:11], -1
	s_waitcnt vmcnt(0)
	v_cmp_ne_u16_e32 vcc, 0, v6
	v_cndmask_b32_e64 v6, 0, 1, vcc
.LBB62_1456:
	s_mov_b64 s[0:1], 0
.LBB62_1457:
	s_and_b64 vcc, exec, s[0:1]
	s_cbranch_vccz .LBB62_1506
; %bb.1458:
	s_cmp_lt_i32 s15, 5
	s_cbranch_scc1 .LBB62_1463
; %bb.1459:
	s_cmp_lt_i32 s15, 8
	s_cbranch_scc1 .LBB62_1464
	;; [unrolled: 3-line block ×3, first 2 shown]
; %bb.1461:
	s_cmp_gt_i32 s15, 9
	s_cbranch_scc0 .LBB62_1466
; %bb.1462:
	global_load_dwordx2 v[6:7], v[8:9], off
	s_movk_i32 s0, 0xffe0
	s_waitcnt vmcnt(0)
	v_trunc_f64_e32 v[6:7], v[6:7]
	v_ldexp_f64 v[11:12], v[6:7], s0
	s_mov_b32 s0, 0
	s_mov_b32 s1, 0xc1f00000
	v_floor_f64_e32 v[11:12], v[11:12]
	v_fma_f64 v[13:14], v[11:12], s[0:1], v[6:7]
	v_cvt_i32_f64_e32 v7, v[11:12]
	s_mov_b64 s[0:1], 0
	v_cvt_u32_f64_e32 v6, v[13:14]
	s_branch .LBB62_1467
.LBB62_1463:
	s_mov_b64 s[0:1], -1
                                        ; implicit-def: $vgpr6_vgpr7
	s_branch .LBB62_1485
.LBB62_1464:
	s_mov_b64 s[0:1], -1
                                        ; implicit-def: $vgpr6_vgpr7
	s_branch .LBB62_1473
.LBB62_1465:
	s_mov_b64 s[0:1], -1
                                        ; implicit-def: $vgpr6_vgpr7
	s_branch .LBB62_1470
.LBB62_1466:
	s_mov_b64 s[0:1], -1
                                        ; implicit-def: $vgpr6_vgpr7
.LBB62_1467:
	s_andn2_b64 vcc, exec, s[0:1]
	s_cbranch_vccnz .LBB62_1469
; %bb.1468:
	global_load_dword v6, v[8:9], off
	s_mov_b32 s0, 0x2f800000
	s_mov_b32 s1, 0xcf800000
	s_waitcnt vmcnt(0)
	v_trunc_f32_e32 v6, v6
	v_mul_f32_e64 v7, |v6|, s0
	v_floor_f32_e32 v7, v7
	v_cvt_u32_f32_e32 v11, v7
	v_fma_f32 v7, v7, s1, |v6|
	v_cvt_u32_f32_e32 v7, v7
	v_ashrrev_i32_e32 v12, 31, v6
	v_xor_b32_e32 v11, v11, v12
	v_xor_b32_e32 v6, v7, v12
	v_sub_co_u32_e32 v6, vcc, v6, v12
	v_subb_co_u32_e32 v7, vcc, v11, v12, vcc
.LBB62_1469:
	s_mov_b64 s[0:1], 0
.LBB62_1470:
	s_andn2_b64 vcc, exec, s[0:1]
	s_cbranch_vccnz .LBB62_1472
; %bb.1471:
	global_load_dword v6, v[8:9], off
	s_waitcnt vmcnt(0)
	v_cvt_f32_f16_e32 v6, v6
	v_cvt_i32_f32_e32 v6, v6
	v_ashrrev_i32_e32 v7, 31, v6
.LBB62_1472:
	s_mov_b64 s[0:1], 0
.LBB62_1473:
	s_andn2_b64 vcc, exec, s[0:1]
	s_cbranch_vccnz .LBB62_1484
; %bb.1474:
	s_cmp_lt_i32 s15, 6
	s_cbranch_scc1 .LBB62_1477
; %bb.1475:
	s_cmp_gt_i32 s15, 6
	s_cbranch_scc0 .LBB62_1478
; %bb.1476:
	global_load_dwordx2 v[6:7], v[8:9], off
	s_movk_i32 s0, 0xffe0
	s_waitcnt vmcnt(0)
	v_trunc_f64_e32 v[6:7], v[6:7]
	v_ldexp_f64 v[11:12], v[6:7], s0
	s_mov_b32 s0, 0
	s_mov_b32 s1, 0xc1f00000
	v_floor_f64_e32 v[11:12], v[11:12]
	v_fma_f64 v[13:14], v[11:12], s[0:1], v[6:7]
	v_cvt_i32_f64_e32 v7, v[11:12]
	s_mov_b64 s[0:1], 0
	v_cvt_u32_f64_e32 v6, v[13:14]
	s_branch .LBB62_1479
.LBB62_1477:
	s_mov_b64 s[0:1], -1
                                        ; implicit-def: $vgpr6_vgpr7
	s_branch .LBB62_1482
.LBB62_1478:
	s_mov_b64 s[0:1], -1
                                        ; implicit-def: $vgpr6_vgpr7
.LBB62_1479:
	s_andn2_b64 vcc, exec, s[0:1]
	s_cbranch_vccnz .LBB62_1481
; %bb.1480:
	global_load_dword v6, v[8:9], off
	s_mov_b32 s0, 0x2f800000
	s_mov_b32 s1, 0xcf800000
	s_waitcnt vmcnt(0)
	v_trunc_f32_e32 v6, v6
	v_mul_f32_e64 v7, |v6|, s0
	v_floor_f32_e32 v7, v7
	v_cvt_u32_f32_e32 v11, v7
	v_fma_f32 v7, v7, s1, |v6|
	v_cvt_u32_f32_e32 v7, v7
	v_ashrrev_i32_e32 v12, 31, v6
	v_xor_b32_e32 v11, v11, v12
	v_xor_b32_e32 v6, v7, v12
	v_sub_co_u32_e32 v6, vcc, v6, v12
	v_subb_co_u32_e32 v7, vcc, v11, v12, vcc
.LBB62_1481:
	s_mov_b64 s[0:1], 0
.LBB62_1482:
	s_andn2_b64 vcc, exec, s[0:1]
	s_cbranch_vccnz .LBB62_1484
; %bb.1483:
	global_load_ushort v6, v[8:9], off
	s_waitcnt vmcnt(0)
	v_cvt_f32_f16_e32 v6, v6
	v_cvt_i32_f32_e32 v6, v6
	v_ashrrev_i32_e32 v7, 31, v6
.LBB62_1484:
	s_mov_b64 s[0:1], 0
.LBB62_1485:
	s_andn2_b64 vcc, exec, s[0:1]
	s_cbranch_vccnz .LBB62_1505
; %bb.1486:
	s_cmp_lt_i32 s15, 2
	s_cbranch_scc1 .LBB62_1490
; %bb.1487:
	s_cmp_lt_i32 s15, 3
	s_cbranch_scc1 .LBB62_1491
; %bb.1488:
	s_cmp_gt_i32 s15, 3
	s_cbranch_scc0 .LBB62_1492
; %bb.1489:
	global_load_dwordx2 v[6:7], v[8:9], off
	s_mov_b64 s[0:1], 0
	s_branch .LBB62_1493
.LBB62_1490:
	s_mov_b64 s[0:1], -1
                                        ; implicit-def: $vgpr6_vgpr7
	s_branch .LBB62_1499
.LBB62_1491:
	s_mov_b64 s[0:1], -1
                                        ; implicit-def: $vgpr6_vgpr7
	s_branch .LBB62_1496
.LBB62_1492:
	s_mov_b64 s[0:1], -1
                                        ; implicit-def: $vgpr6_vgpr7
.LBB62_1493:
	s_andn2_b64 vcc, exec, s[0:1]
	s_cbranch_vccnz .LBB62_1495
; %bb.1494:
	global_load_dword v6, v[8:9], off
	s_waitcnt vmcnt(0)
	v_ashrrev_i32_e32 v7, 31, v6
.LBB62_1495:
	s_mov_b64 s[0:1], 0
.LBB62_1496:
	s_andn2_b64 vcc, exec, s[0:1]
	s_cbranch_vccnz .LBB62_1498
; %bb.1497:
	global_load_ushort v6, v[8:9], off
	s_waitcnt vmcnt(0)
	v_bfe_i32 v6, v6, 0, 16
	v_ashrrev_i32_e32 v7, 31, v6
.LBB62_1498:
	s_mov_b64 s[0:1], 0
.LBB62_1499:
	s_andn2_b64 vcc, exec, s[0:1]
	s_cbranch_vccnz .LBB62_1505
; %bb.1500:
	s_cmp_gt_i32 s15, 0
	s_cbranch_scc0 .LBB62_1502
; %bb.1501:
	global_load_sbyte v6, v[8:9], off
	s_mov_b64 s[0:1], 0
	s_waitcnt vmcnt(0)
	v_bfe_i32 v6, v6, 0, 16
	v_ashrrev_i32_e32 v7, 31, v6
	s_branch .LBB62_1503
.LBB62_1502:
	s_mov_b64 s[0:1], -1
                                        ; implicit-def: $vgpr6_vgpr7
.LBB62_1503:
	s_andn2_b64 vcc, exec, s[0:1]
	s_cbranch_vccnz .LBB62_1505
; %bb.1504:
	global_load_ubyte v6, v[8:9], off
	s_mov_b32 s0, 0
	s_waitcnt vmcnt(1)
	v_mov_b32_e32 v7, s0
	s_waitcnt vmcnt(0)
	v_and_b32_e32 v6, 0xffff, v6
.LBB62_1505:
	s_mov_b64 s[10:11], -1
.LBB62_1506:
	s_andn2_b64 vcc, exec, s[10:11]
	s_cbranch_vccnz .LBB62_1940
; %bb.1507:
	v_mul_lo_u32 v8, s12, v10
	s_cmp_eq_u32 s14, 0
	s_waitcnt vmcnt(0)
	v_cmp_ne_u64_e32 vcc, s[2:3], v[0:1]
	s_cselect_b64 s[4:5], -1, 0
	s_xor_b64 s[10:11], s[4:5], vcc
	v_ashrrev_i32_e32 v1, 31, v8
	v_mov_b32_e32 v9, s9
	s_and_b32 s26, s33, 0xff
	v_add_co_u32_e32 v0, vcc, s8, v8
	s_cmp_lt_i32 s26, 11
	v_addc_co_u32_e32 v1, vcc, v9, v1, vcc
	s_cbranch_scc1 .LBB62_1585
; %bb.1508:
	s_and_b32 s13, 0xffff, s26
	s_mov_b64 s[22:23], -1
	s_mov_b64 s[14:15], 0
	s_cmp_gt_i32 s13, 25
	s_mov_b64 s[20:21], 0
	s_mov_b64 s[0:1], 0
	s_cbranch_scc0 .LBB62_1541
; %bb.1509:
	s_cmp_gt_i32 s13, 28
	s_cbranch_scc0 .LBB62_1524
; %bb.1510:
	s_cmp_gt_i32 s13, 43
	;; [unrolled: 3-line block ×3, first 2 shown]
	s_cbranch_scc0 .LBB62_1514
; %bb.1512:
	s_mov_b64 s[0:1], -1
	s_mov_b64 s[22:23], 0
	s_cmp_eq_u32 s13, 46
	s_cbranch_scc0 .LBB62_1514
; %bb.1513:
	v_cndmask_b32_e64 v9, 0, 1.0, s[10:11]
	v_bfe_u32 v10, v9, 16, 1
	s_movk_i32 s0, 0x7fff
	v_add3_u32 v9, v9, v10, s0
	v_lshrrev_b32_e32 v9, 16, v9
	global_store_dword v[0:1], v9, off
	s_mov_b64 s[0:1], 0
	s_mov_b64 s[20:21], -1
.LBB62_1514:
	s_and_b64 vcc, exec, s[22:23]
	s_cbranch_vccz .LBB62_1519
; %bb.1515:
	s_cmp_eq_u32 s13, 44
	s_mov_b64 s[0:1], -1
	s_cbranch_scc0 .LBB62_1519
; %bb.1516:
	v_cndmask_b32_e64 v10, 0, 1.0, s[10:11]
	v_lshrrev_b32_e32 v9, 23, v10
	s_movk_i32 s0, 0xff
	v_cmp_ne_u32_e32 vcc, s0, v9
	v_mov_b32_e32 v11, 0xff
	s_and_saveexec_b64 s[20:21], vcc
; %bb.1517:
	s_mov_b32 s0, 0x3fffff
	v_and_b32_e32 v11, 0x400000, v10
	v_and_or_b32 v10, v10, s0, v9
	v_cmp_ne_u32_e32 vcc, 0, v11
	v_cmp_ne_u32_e64 s[0:1], 0, v10
	s_and_b64 s[0:1], vcc, s[0:1]
	v_cndmask_b32_e64 v10, 0, 1, s[0:1]
	v_add_u32_e32 v11, v9, v10
; %bb.1518:
	s_or_b64 exec, exec, s[20:21]
	s_mov_b64 s[0:1], 0
	s_mov_b64 s[20:21], -1
	global_store_byte v[0:1], v11, off
.LBB62_1519:
	s_mov_b64 s[22:23], 0
.LBB62_1520:
	s_and_b64 vcc, exec, s[22:23]
	s_cbranch_vccz .LBB62_1523
; %bb.1521:
	s_cmp_eq_u32 s13, 29
	s_mov_b64 s[0:1], -1
	s_cbranch_scc0 .LBB62_1523
; %bb.1522:
	s_mov_b32 s0, 0
	v_cndmask_b32_e64 v9, 0, 1, s[10:11]
	v_mov_b32_e32 v10, s0
	global_store_dwordx2 v[0:1], v[9:10], off
	s_mov_b64 s[0:1], 0
	s_mov_b64 s[20:21], -1
.LBB62_1523:
	s_mov_b64 s[22:23], 0
.LBB62_1524:
	s_and_b64 vcc, exec, s[22:23]
	s_cbranch_vccz .LBB62_1540
; %bb.1525:
	s_cmp_lt_i32 s13, 27
	s_mov_b64 s[20:21], -1
	s_cbranch_scc1 .LBB62_1531
; %bb.1526:
	s_cmp_gt_i32 s13, 27
	s_cbranch_scc0 .LBB62_1528
; %bb.1527:
	v_cndmask_b32_e64 v9, 0, 1, s[10:11]
	s_mov_b64 s[20:21], 0
	global_store_dword v[0:1], v9, off
.LBB62_1528:
	s_andn2_b64 vcc, exec, s[20:21]
	s_cbranch_vccnz .LBB62_1530
; %bb.1529:
	v_cndmask_b32_e64 v9, 0, 1, s[10:11]
	global_store_short v[0:1], v9, off
.LBB62_1530:
	s_mov_b64 s[20:21], 0
.LBB62_1531:
	s_andn2_b64 vcc, exec, s[20:21]
	s_cbranch_vccnz .LBB62_1539
; %bb.1532:
	v_cndmask_b32_e64 v10, 0, 1.0, s[10:11]
	s_mov_b32 s20, 0x43800000
	v_cmp_gt_u32_e32 vcc, s20, v10
	v_mov_b32_e32 v11, 0x80
	s_and_saveexec_b64 s[20:21], vcc
	s_cbranch_execz .LBB62_1538
; %bb.1533:
	s_mov_b32 s22, 0x3bffffff
	v_cmp_lt_u32_e32 vcc, s22, v10
	s_mov_b64 s[22:23], 0
                                        ; implicit-def: $vgpr9
	s_and_saveexec_b64 s[24:25], vcc
	s_xor_b64 s[24:25], exec, s[24:25]
	s_cbranch_execz .LBB62_1987
; %bb.1534:
	v_bfe_u32 v9, v10, 20, 1
	s_mov_b32 s27, 0x487ffff
	v_add3_u32 v9, v10, v9, s27
	s_mov_b64 s[22:23], exec
	v_lshrrev_b32_e32 v9, 20, v9
                                        ; implicit-def: $vgpr10
	s_andn2_saveexec_b64 s[24:25], s[24:25]
	s_cbranch_execnz .LBB62_1988
.LBB62_1535:
	s_or_b64 exec, exec, s[24:25]
	v_mov_b32_e32 v11, 0
	s_and_saveexec_b64 s[24:25], s[22:23]
.LBB62_1536:
	v_mov_b32_e32 v11, v9
.LBB62_1537:
	s_or_b64 exec, exec, s[24:25]
.LBB62_1538:
	s_or_b64 exec, exec, s[20:21]
	global_store_byte v[0:1], v11, off
.LBB62_1539:
	s_mov_b64 s[20:21], -1
.LBB62_1540:
	s_mov_b64 s[22:23], 0
.LBB62_1541:
	s_and_b64 vcc, exec, s[22:23]
	s_cbranch_vccz .LBB62_1581
; %bb.1542:
	s_cmp_gt_i32 s13, 22
	s_mov_b64 s[14:15], -1
	s_cbranch_scc0 .LBB62_1574
; %bb.1543:
	s_cmp_lt_i32 s13, 24
	s_cbranch_scc1 .LBB62_1563
; %bb.1544:
	s_cmp_gt_i32 s13, 24
	s_cbranch_scc0 .LBB62_1552
; %bb.1545:
	v_cndmask_b32_e64 v10, 0, 1.0, s[10:11]
	s_mov_b32 s14, 0x47800000
	v_cmp_gt_u32_e32 vcc, s14, v10
	v_mov_b32_e32 v11, 0x80
	s_and_saveexec_b64 s[14:15], vcc
	s_cbranch_execz .LBB62_1551
; %bb.1546:
	s_mov_b32 s20, 0x37ffffff
	v_cmp_lt_u32_e32 vcc, s20, v10
	s_mov_b64 s[20:21], 0
                                        ; implicit-def: $vgpr9
	s_and_saveexec_b64 s[22:23], vcc
	s_xor_b64 s[22:23], exec, s[22:23]
	s_cbranch_execz .LBB62_1990
; %bb.1547:
	v_bfe_u32 v9, v10, 21, 1
	s_mov_b32 s24, 0x88fffff
	v_add3_u32 v9, v10, v9, s24
	s_mov_b64 s[20:21], exec
	v_lshrrev_b32_e32 v9, 21, v9
                                        ; implicit-def: $vgpr10
	s_andn2_saveexec_b64 s[22:23], s[22:23]
	s_cbranch_execnz .LBB62_1991
.LBB62_1548:
	s_or_b64 exec, exec, s[22:23]
	v_mov_b32_e32 v11, 0
	s_and_saveexec_b64 s[22:23], s[20:21]
.LBB62_1549:
	v_mov_b32_e32 v11, v9
.LBB62_1550:
	s_or_b64 exec, exec, s[22:23]
.LBB62_1551:
	s_or_b64 exec, exec, s[14:15]
	s_mov_b64 s[14:15], 0
	global_store_byte v[0:1], v11, off
.LBB62_1552:
	s_and_b64 vcc, exec, s[14:15]
	s_cbranch_vccz .LBB62_1562
; %bb.1553:
	v_cndmask_b32_e64 v9, 0, 1.0, s[10:11]
	s_mov_b32 s14, 0x43f00000
	v_cmp_gt_u32_e32 vcc, s14, v9
                                        ; implicit-def: $vgpr10
	s_and_saveexec_b64 s[14:15], vcc
	s_xor_b64 s[14:15], exec, s[14:15]
	s_cbranch_execz .LBB62_1559
; %bb.1554:
	s_mov_b32 s20, 0x3c7fffff
	v_cmp_lt_u32_e32 vcc, s20, v9
                                        ; implicit-def: $vgpr10
	s_and_saveexec_b64 s[20:21], vcc
	s_xor_b64 s[20:21], exec, s[20:21]
; %bb.1555:
	v_bfe_u32 v10, v9, 20, 1
	s_mov_b32 s22, 0x407ffff
	v_add3_u32 v9, v9, v10, s22
	v_lshrrev_b32_e32 v10, 20, v9
	v_and_b32_e32 v9, 0xff00000, v9
	s_mov_b32 s22, 0x7f00000
	v_mov_b32_e32 v11, 0x7e
	v_cmp_ne_u32_e32 vcc, s22, v9
	v_cndmask_b32_e32 v10, v11, v10, vcc
                                        ; implicit-def: $vgpr9
; %bb.1556:
	s_andn2_saveexec_b64 s[20:21], s[20:21]
; %bb.1557:
	v_add_f32_e32 v10, 0x46800000, v9
; %bb.1558:
	s_or_b64 exec, exec, s[20:21]
                                        ; implicit-def: $vgpr9
.LBB62_1559:
	s_andn2_saveexec_b64 s[14:15], s[14:15]
; %bb.1560:
	s_mov_b32 s20, 0x7f800000
	v_mov_b32_e32 v10, 0x7e
	v_mov_b32_e32 v11, 0x7f
	v_cmp_lt_u32_e32 vcc, s20, v9
	v_cndmask_b32_e32 v10, v10, v11, vcc
; %bb.1561:
	s_or_b64 exec, exec, s[14:15]
	global_store_byte v[0:1], v10, off
.LBB62_1562:
	s_mov_b64 s[14:15], 0
.LBB62_1563:
	s_andn2_b64 vcc, exec, s[14:15]
	s_cbranch_vccnz .LBB62_1573
; %bb.1564:
	v_cndmask_b32_e64 v9, 0, 1.0, s[10:11]
	s_mov_b32 s14, 0x47800000
	v_cmp_gt_u32_e32 vcc, s14, v9
                                        ; implicit-def: $vgpr10
	s_and_saveexec_b64 s[14:15], vcc
	s_xor_b64 s[14:15], exec, s[14:15]
	s_cbranch_execz .LBB62_1570
; %bb.1565:
	s_mov_b32 s20, 0x387fffff
	v_cmp_lt_u32_e32 vcc, s20, v9
                                        ; implicit-def: $vgpr10
	s_and_saveexec_b64 s[20:21], vcc
	s_xor_b64 s[20:21], exec, s[20:21]
; %bb.1566:
	v_bfe_u32 v10, v9, 21, 1
	s_mov_b32 s22, 0x80fffff
	v_add3_u32 v9, v9, v10, s22
	v_lshrrev_b32_e32 v10, 21, v9
                                        ; implicit-def: $vgpr9
; %bb.1567:
	s_andn2_saveexec_b64 s[20:21], s[20:21]
; %bb.1568:
	v_add_f32_e32 v10, 0x43000000, v9
; %bb.1569:
	s_or_b64 exec, exec, s[20:21]
                                        ; implicit-def: $vgpr9
.LBB62_1570:
	s_andn2_saveexec_b64 s[14:15], s[14:15]
; %bb.1571:
	s_mov_b32 s20, 0x7f800000
	v_mov_b32_e32 v10, 0x7c
	v_mov_b32_e32 v11, 0x7f
	v_cmp_lt_u32_e32 vcc, s20, v9
	v_cndmask_b32_e32 v10, v10, v11, vcc
; %bb.1572:
	s_or_b64 exec, exec, s[14:15]
	global_store_byte v[0:1], v10, off
.LBB62_1573:
	s_mov_b64 s[14:15], 0
	s_mov_b64 s[20:21], -1
.LBB62_1574:
	s_andn2_b64 vcc, exec, s[14:15]
	s_mov_b64 s[14:15], 0
	s_cbranch_vccnz .LBB62_1581
; %bb.1575:
	s_cmp_gt_i32 s13, 14
	s_mov_b64 s[22:23], -1
	s_cbranch_scc0 .LBB62_1579
; %bb.1576:
	s_cmp_eq_u32 s13, 15
	s_mov_b64 s[0:1], -1
	s_cbranch_scc0 .LBB62_1578
; %bb.1577:
	v_cndmask_b32_e64 v9, 0, 1.0, s[10:11]
	v_bfe_u32 v10, v9, 16, 1
	s_movk_i32 s0, 0x7fff
	v_add3_u32 v9, v9, v10, s0
	global_store_short_d16_hi v[0:1], v9, off
	s_mov_b64 s[0:1], 0
	s_mov_b64 s[20:21], -1
.LBB62_1578:
	s_mov_b64 s[22:23], 0
.LBB62_1579:
	s_and_b64 vcc, exec, s[22:23]
	s_cbranch_vccz .LBB62_1581
; %bb.1580:
	s_cmp_lg_u32 s13, 11
	s_mov_b64 s[14:15], -1
	s_cselect_b64 s[0:1], -1, 0
.LBB62_1581:
	s_and_b64 vcc, exec, s[0:1]
	s_cbranch_vccnz .LBB62_1989
; %bb.1582:
	s_andn2_b64 vcc, exec, s[14:15]
	s_cbranch_vccnz .LBB62_1584
.LBB62_1583:
	v_cndmask_b32_e64 v9, 0, 1, s[10:11]
	s_mov_b64 s[20:21], -1
	global_store_byte v[0:1], v9, off
.LBB62_1584:
	s_mov_b64 s[0:1], 0
	s_branch .LBB62_1586
.LBB62_1585:
	s_mov_b64 s[0:1], -1
	s_mov_b64 s[20:21], 0
.LBB62_1586:
	s_and_b64 vcc, exec, s[0:1]
	s_cbranch_vccz .LBB62_1625
; %bb.1587:
	s_and_b32 s13, 0xffff, s26
	s_cmp_lt_i32 s13, 5
	s_mov_b64 s[0:1], -1
	s_cbranch_scc1 .LBB62_1608
; %bb.1588:
	s_cmp_lt_i32 s13, 8
	s_cbranch_scc1 .LBB62_1598
; %bb.1589:
	s_cmp_lt_i32 s13, 9
	s_cbranch_scc1 .LBB62_1595
; %bb.1590:
	s_cmp_gt_i32 s13, 9
	s_cbranch_scc0 .LBB62_1592
; %bb.1591:
	v_cndmask_b32_e64 v9, 0, 1, s[10:11]
	v_cvt_f64_u32_e32 v[9:10], v9
	v_mov_b32_e32 v11, 0
	v_mov_b32_e32 v12, v11
	s_mov_b64 s[0:1], 0
	global_store_dwordx4 v[0:1], v[9:12], off
.LBB62_1592:
	s_andn2_b64 vcc, exec, s[0:1]
	s_cbranch_vccnz .LBB62_1594
; %bb.1593:
	v_cndmask_b32_e64 v9, 0, 1.0, s[10:11]
	v_mov_b32_e32 v10, 0
	global_store_dwordx2 v[0:1], v[9:10], off
.LBB62_1594:
	s_mov_b64 s[0:1], 0
.LBB62_1595:
	s_andn2_b64 vcc, exec, s[0:1]
	s_cbranch_vccnz .LBB62_1597
; %bb.1596:
	v_cndmask_b32_e64 v9, 0, 1.0, s[10:11]
	v_cvt_f16_f32_e32 v9, v9
	global_store_dword v[0:1], v9, off
.LBB62_1597:
	s_mov_b64 s[0:1], 0
.LBB62_1598:
	s_andn2_b64 vcc, exec, s[0:1]
	s_cbranch_vccnz .LBB62_1607
; %bb.1599:
	s_cmp_lt_i32 s13, 6
	s_mov_b64 s[0:1], -1
	s_cbranch_scc1 .LBB62_1605
; %bb.1600:
	s_cmp_gt_i32 s13, 6
	s_cbranch_scc0 .LBB62_1602
; %bb.1601:
	v_cndmask_b32_e64 v9, 0, 1, s[10:11]
	v_cvt_f64_u32_e32 v[9:10], v9
	s_mov_b64 s[0:1], 0
	global_store_dwordx2 v[0:1], v[9:10], off
.LBB62_1602:
	s_andn2_b64 vcc, exec, s[0:1]
	s_cbranch_vccnz .LBB62_1604
; %bb.1603:
	v_cndmask_b32_e64 v9, 0, 1.0, s[10:11]
	global_store_dword v[0:1], v9, off
.LBB62_1604:
	s_mov_b64 s[0:1], 0
.LBB62_1605:
	s_andn2_b64 vcc, exec, s[0:1]
	s_cbranch_vccnz .LBB62_1607
; %bb.1606:
	v_cndmask_b32_e64 v9, 0, 1.0, s[10:11]
	v_cvt_f16_f32_e32 v9, v9
	global_store_short v[0:1], v9, off
.LBB62_1607:
	s_mov_b64 s[0:1], 0
.LBB62_1608:
	s_andn2_b64 vcc, exec, s[0:1]
	s_cbranch_vccnz .LBB62_1624
; %bb.1609:
	s_cmp_lt_i32 s13, 2
	s_mov_b64 s[0:1], -1
	s_cbranch_scc1 .LBB62_1619
; %bb.1610:
	s_cmp_lt_i32 s13, 3
	s_cbranch_scc1 .LBB62_1616
; %bb.1611:
	s_cmp_gt_i32 s13, 3
	s_cbranch_scc0 .LBB62_1613
; %bb.1612:
	s_mov_b32 s0, 0
	v_cndmask_b32_e64 v9, 0, 1, s[10:11]
	v_mov_b32_e32 v10, s0
	global_store_dwordx2 v[0:1], v[9:10], off
	s_mov_b64 s[0:1], 0
.LBB62_1613:
	s_andn2_b64 vcc, exec, s[0:1]
	s_cbranch_vccnz .LBB62_1615
; %bb.1614:
	v_cndmask_b32_e64 v9, 0, 1, s[10:11]
	global_store_dword v[0:1], v9, off
.LBB62_1615:
	s_mov_b64 s[0:1], 0
.LBB62_1616:
	s_andn2_b64 vcc, exec, s[0:1]
	s_cbranch_vccnz .LBB62_1618
; %bb.1617:
	v_cndmask_b32_e64 v9, 0, 1, s[10:11]
	global_store_short v[0:1], v9, off
.LBB62_1618:
	s_mov_b64 s[0:1], 0
.LBB62_1619:
	s_andn2_b64 vcc, exec, s[0:1]
	s_cbranch_vccnz .LBB62_1624
; %bb.1620:
	s_mov_b64 s[0:1], -1
	s_cmp_gt_i32 s13, 0
	v_cndmask_b32_e64 v9, 0, 1, s[10:11]
	s_cbranch_scc0 .LBB62_1622
; %bb.1621:
	global_store_byte v[0:1], v9, off
	s_mov_b64 s[0:1], 0
.LBB62_1622:
	s_andn2_b64 vcc, exec, s[0:1]
	s_cbranch_vccnz .LBB62_1624
; %bb.1623:
	global_store_byte v[0:1], v9, off
.LBB62_1624:
	s_mov_b64 s[20:21], -1
.LBB62_1625:
	s_andn2_b64 vcc, exec, s[20:21]
	s_cbranch_vccnz .LBB62_1940
; %bb.1626:
	v_cmp_ne_u64_e32 vcc, s[2:3], v[2:3]
	s_lshl_b32 s24, s12, 7
	v_add_u32_e32 v2, s24, v8
	s_xor_b64 s[10:11], s[4:5], vcc
	v_ashrrev_i32_e32 v1, 31, v2
	v_mov_b32_e32 v3, s9
	v_add_co_u32_e32 v0, vcc, s8, v2
	s_cmp_lt_i32 s26, 11
	v_addc_co_u32_e32 v1, vcc, v3, v1, vcc
	s_cbranch_scc1 .LBB62_1704
; %bb.1627:
	s_and_b32 s25, 0xffff, s26
	s_mov_b64 s[20:21], -1
	s_mov_b64 s[12:13], 0
	s_cmp_gt_i32 s25, 25
	s_mov_b64 s[14:15], 0
	s_mov_b64 s[0:1], 0
	s_cbranch_scc0 .LBB62_1660
; %bb.1628:
	s_cmp_gt_i32 s25, 28
	s_cbranch_scc0 .LBB62_1643
; %bb.1629:
	s_cmp_gt_i32 s25, 43
	;; [unrolled: 3-line block ×3, first 2 shown]
	s_cbranch_scc0 .LBB62_1633
; %bb.1631:
	s_mov_b64 s[0:1], -1
	s_mov_b64 s[20:21], 0
	s_cmp_eq_u32 s25, 46
	s_cbranch_scc0 .LBB62_1633
; %bb.1632:
	v_cndmask_b32_e64 v3, 0, 1.0, s[10:11]
	v_bfe_u32 v8, v3, 16, 1
	s_movk_i32 s0, 0x7fff
	v_add3_u32 v3, v3, v8, s0
	v_lshrrev_b32_e32 v3, 16, v3
	global_store_dword v[0:1], v3, off
	s_mov_b64 s[0:1], 0
	s_mov_b64 s[14:15], -1
.LBB62_1633:
	s_and_b64 vcc, exec, s[20:21]
	s_cbranch_vccz .LBB62_1638
; %bb.1634:
	s_cmp_eq_u32 s25, 44
	s_mov_b64 s[0:1], -1
	s_cbranch_scc0 .LBB62_1638
; %bb.1635:
	v_cndmask_b32_e64 v8, 0, 1.0, s[10:11]
	v_lshrrev_b32_e32 v3, 23, v8
	s_movk_i32 s0, 0xff
	v_cmp_ne_u32_e32 vcc, s0, v3
	v_mov_b32_e32 v9, 0xff
	s_and_saveexec_b64 s[14:15], vcc
; %bb.1636:
	s_mov_b32 s0, 0x3fffff
	v_and_b32_e32 v9, 0x400000, v8
	v_and_or_b32 v8, v8, s0, v3
	v_cmp_ne_u32_e32 vcc, 0, v9
	v_cmp_ne_u32_e64 s[0:1], 0, v8
	s_and_b64 s[0:1], vcc, s[0:1]
	v_cndmask_b32_e64 v8, 0, 1, s[0:1]
	v_add_u32_e32 v9, v3, v8
; %bb.1637:
	s_or_b64 exec, exec, s[14:15]
	s_mov_b64 s[0:1], 0
	s_mov_b64 s[14:15], -1
	global_store_byte v[0:1], v9, off
.LBB62_1638:
	s_mov_b64 s[20:21], 0
.LBB62_1639:
	s_and_b64 vcc, exec, s[20:21]
	s_cbranch_vccz .LBB62_1642
; %bb.1640:
	s_cmp_eq_u32 s25, 29
	s_mov_b64 s[0:1], -1
	s_cbranch_scc0 .LBB62_1642
; %bb.1641:
	s_mov_b32 s0, 0
	v_cndmask_b32_e64 v8, 0, 1, s[10:11]
	v_mov_b32_e32 v9, s0
	global_store_dwordx2 v[0:1], v[8:9], off
	s_mov_b64 s[0:1], 0
	s_mov_b64 s[14:15], -1
.LBB62_1642:
	s_mov_b64 s[20:21], 0
.LBB62_1643:
	s_and_b64 vcc, exec, s[20:21]
	s_cbranch_vccz .LBB62_1659
; %bb.1644:
	s_cmp_lt_i32 s25, 27
	s_mov_b64 s[14:15], -1
	s_cbranch_scc1 .LBB62_1650
; %bb.1645:
	s_cmp_gt_i32 s25, 27
	s_cbranch_scc0 .LBB62_1647
; %bb.1646:
	v_cndmask_b32_e64 v3, 0, 1, s[10:11]
	s_mov_b64 s[14:15], 0
	global_store_dword v[0:1], v3, off
.LBB62_1647:
	s_andn2_b64 vcc, exec, s[14:15]
	s_cbranch_vccnz .LBB62_1649
; %bb.1648:
	v_cndmask_b32_e64 v3, 0, 1, s[10:11]
	global_store_short v[0:1], v3, off
.LBB62_1649:
	s_mov_b64 s[14:15], 0
.LBB62_1650:
	s_andn2_b64 vcc, exec, s[14:15]
	s_cbranch_vccnz .LBB62_1658
; %bb.1651:
	v_cndmask_b32_e64 v8, 0, 1.0, s[10:11]
	s_mov_b32 s14, 0x43800000
	v_cmp_gt_u32_e32 vcc, s14, v8
	v_mov_b32_e32 v9, 0x80
	s_and_saveexec_b64 s[14:15], vcc
	s_cbranch_execz .LBB62_1657
; %bb.1652:
	s_mov_b32 s20, 0x3bffffff
	v_cmp_lt_u32_e32 vcc, s20, v8
	s_mov_b64 s[20:21], 0
                                        ; implicit-def: $vgpr3
	s_and_saveexec_b64 s[22:23], vcc
	s_xor_b64 s[22:23], exec, s[22:23]
	s_cbranch_execz .LBB62_1992
; %bb.1653:
	v_bfe_u32 v3, v8, 20, 1
	s_mov_b32 s27, 0x487ffff
	v_add3_u32 v3, v8, v3, s27
	s_mov_b64 s[20:21], exec
	v_lshrrev_b32_e32 v3, 20, v3
                                        ; implicit-def: $vgpr8
	s_andn2_saveexec_b64 s[22:23], s[22:23]
	s_cbranch_execnz .LBB62_1993
.LBB62_1654:
	s_or_b64 exec, exec, s[22:23]
	v_mov_b32_e32 v9, 0
	s_and_saveexec_b64 s[22:23], s[20:21]
.LBB62_1655:
	v_mov_b32_e32 v9, v3
.LBB62_1656:
	s_or_b64 exec, exec, s[22:23]
.LBB62_1657:
	s_or_b64 exec, exec, s[14:15]
	global_store_byte v[0:1], v9, off
.LBB62_1658:
	s_mov_b64 s[14:15], -1
.LBB62_1659:
	s_mov_b64 s[20:21], 0
.LBB62_1660:
	s_and_b64 vcc, exec, s[20:21]
	s_cbranch_vccz .LBB62_1700
; %bb.1661:
	s_cmp_gt_i32 s25, 22
	s_mov_b64 s[12:13], -1
	s_cbranch_scc0 .LBB62_1693
; %bb.1662:
	s_cmp_lt_i32 s25, 24
	s_cbranch_scc1 .LBB62_1682
; %bb.1663:
	s_cmp_gt_i32 s25, 24
	s_cbranch_scc0 .LBB62_1671
; %bb.1664:
	v_cndmask_b32_e64 v8, 0, 1.0, s[10:11]
	s_mov_b32 s12, 0x47800000
	v_cmp_gt_u32_e32 vcc, s12, v8
	v_mov_b32_e32 v9, 0x80
	s_and_saveexec_b64 s[12:13], vcc
	s_cbranch_execz .LBB62_1670
; %bb.1665:
	s_mov_b32 s14, 0x37ffffff
	v_cmp_lt_u32_e32 vcc, s14, v8
	s_mov_b64 s[14:15], 0
                                        ; implicit-def: $vgpr3
	s_and_saveexec_b64 s[20:21], vcc
	s_xor_b64 s[20:21], exec, s[20:21]
	s_cbranch_execz .LBB62_1995
; %bb.1666:
	v_bfe_u32 v3, v8, 21, 1
	s_mov_b32 s22, 0x88fffff
	v_add3_u32 v3, v8, v3, s22
	s_mov_b64 s[14:15], exec
	v_lshrrev_b32_e32 v3, 21, v3
                                        ; implicit-def: $vgpr8
	s_andn2_saveexec_b64 s[20:21], s[20:21]
	s_cbranch_execnz .LBB62_1996
.LBB62_1667:
	s_or_b64 exec, exec, s[20:21]
	v_mov_b32_e32 v9, 0
	s_and_saveexec_b64 s[20:21], s[14:15]
.LBB62_1668:
	v_mov_b32_e32 v9, v3
.LBB62_1669:
	s_or_b64 exec, exec, s[20:21]
.LBB62_1670:
	s_or_b64 exec, exec, s[12:13]
	s_mov_b64 s[12:13], 0
	global_store_byte v[0:1], v9, off
.LBB62_1671:
	s_and_b64 vcc, exec, s[12:13]
	s_cbranch_vccz .LBB62_1681
; %bb.1672:
	v_cndmask_b32_e64 v3, 0, 1.0, s[10:11]
	s_mov_b32 s12, 0x43f00000
	v_cmp_gt_u32_e32 vcc, s12, v3
                                        ; implicit-def: $vgpr8
	s_and_saveexec_b64 s[12:13], vcc
	s_xor_b64 s[12:13], exec, s[12:13]
	s_cbranch_execz .LBB62_1678
; %bb.1673:
	s_mov_b32 s14, 0x3c7fffff
	v_cmp_lt_u32_e32 vcc, s14, v3
                                        ; implicit-def: $vgpr8
	s_and_saveexec_b64 s[14:15], vcc
	s_xor_b64 s[14:15], exec, s[14:15]
; %bb.1674:
	v_bfe_u32 v8, v3, 20, 1
	s_mov_b32 s20, 0x407ffff
	v_add3_u32 v3, v3, v8, s20
	v_lshrrev_b32_e32 v8, 20, v3
	v_and_b32_e32 v3, 0xff00000, v3
	s_mov_b32 s20, 0x7f00000
	v_mov_b32_e32 v9, 0x7e
	v_cmp_ne_u32_e32 vcc, s20, v3
	v_cndmask_b32_e32 v8, v9, v8, vcc
                                        ; implicit-def: $vgpr3
; %bb.1675:
	s_andn2_saveexec_b64 s[14:15], s[14:15]
; %bb.1676:
	v_add_f32_e32 v8, 0x46800000, v3
; %bb.1677:
	s_or_b64 exec, exec, s[14:15]
                                        ; implicit-def: $vgpr3
.LBB62_1678:
	s_andn2_saveexec_b64 s[12:13], s[12:13]
; %bb.1679:
	s_mov_b32 s14, 0x7f800000
	v_mov_b32_e32 v8, 0x7e
	v_mov_b32_e32 v9, 0x7f
	v_cmp_lt_u32_e32 vcc, s14, v3
	v_cndmask_b32_e32 v8, v8, v9, vcc
; %bb.1680:
	s_or_b64 exec, exec, s[12:13]
	global_store_byte v[0:1], v8, off
.LBB62_1681:
	s_mov_b64 s[12:13], 0
.LBB62_1682:
	s_andn2_b64 vcc, exec, s[12:13]
	s_cbranch_vccnz .LBB62_1692
; %bb.1683:
	v_cndmask_b32_e64 v3, 0, 1.0, s[10:11]
	s_mov_b32 s12, 0x47800000
	v_cmp_gt_u32_e32 vcc, s12, v3
                                        ; implicit-def: $vgpr8
	s_and_saveexec_b64 s[12:13], vcc
	s_xor_b64 s[12:13], exec, s[12:13]
	s_cbranch_execz .LBB62_1689
; %bb.1684:
	s_mov_b32 s14, 0x387fffff
	v_cmp_lt_u32_e32 vcc, s14, v3
                                        ; implicit-def: $vgpr8
	s_and_saveexec_b64 s[14:15], vcc
	s_xor_b64 s[14:15], exec, s[14:15]
; %bb.1685:
	v_bfe_u32 v8, v3, 21, 1
	s_mov_b32 s20, 0x80fffff
	v_add3_u32 v3, v3, v8, s20
	v_lshrrev_b32_e32 v8, 21, v3
                                        ; implicit-def: $vgpr3
; %bb.1686:
	s_andn2_saveexec_b64 s[14:15], s[14:15]
; %bb.1687:
	v_add_f32_e32 v8, 0x43000000, v3
; %bb.1688:
	s_or_b64 exec, exec, s[14:15]
                                        ; implicit-def: $vgpr3
.LBB62_1689:
	s_andn2_saveexec_b64 s[12:13], s[12:13]
; %bb.1690:
	s_mov_b32 s14, 0x7f800000
	v_mov_b32_e32 v8, 0x7c
	v_mov_b32_e32 v9, 0x7f
	v_cmp_lt_u32_e32 vcc, s14, v3
	v_cndmask_b32_e32 v8, v8, v9, vcc
; %bb.1691:
	s_or_b64 exec, exec, s[12:13]
	global_store_byte v[0:1], v8, off
.LBB62_1692:
	s_mov_b64 s[12:13], 0
	s_mov_b64 s[14:15], -1
.LBB62_1693:
	s_andn2_b64 vcc, exec, s[12:13]
	s_mov_b64 s[12:13], 0
	s_cbranch_vccnz .LBB62_1700
; %bb.1694:
	s_cmp_gt_i32 s25, 14
	s_mov_b64 s[20:21], -1
	s_cbranch_scc0 .LBB62_1698
; %bb.1695:
	s_cmp_eq_u32 s25, 15
	s_mov_b64 s[0:1], -1
	s_cbranch_scc0 .LBB62_1697
; %bb.1696:
	v_cndmask_b32_e64 v3, 0, 1.0, s[10:11]
	v_bfe_u32 v8, v3, 16, 1
	s_movk_i32 s0, 0x7fff
	v_add3_u32 v3, v3, v8, s0
	global_store_short_d16_hi v[0:1], v3, off
	s_mov_b64 s[0:1], 0
	s_mov_b64 s[14:15], -1
.LBB62_1697:
	s_mov_b64 s[20:21], 0
.LBB62_1698:
	s_and_b64 vcc, exec, s[20:21]
	s_cbranch_vccz .LBB62_1700
; %bb.1699:
	s_cmp_lg_u32 s25, 11
	s_mov_b64 s[12:13], -1
	s_cselect_b64 s[0:1], -1, 0
.LBB62_1700:
	s_and_b64 vcc, exec, s[0:1]
	s_cbranch_vccnz .LBB62_1994
; %bb.1701:
	s_andn2_b64 vcc, exec, s[12:13]
	s_cbranch_vccnz .LBB62_1703
.LBB62_1702:
	v_cndmask_b32_e64 v3, 0, 1, s[10:11]
	s_mov_b64 s[14:15], -1
	global_store_byte v[0:1], v3, off
.LBB62_1703:
	s_mov_b64 s[0:1], 0
	s_branch .LBB62_1705
.LBB62_1704:
	s_mov_b64 s[0:1], -1
	s_mov_b64 s[14:15], 0
.LBB62_1705:
	s_and_b64 vcc, exec, s[0:1]
	s_cbranch_vccz .LBB62_1744
; %bb.1706:
	s_and_b32 s12, 0xffff, s26
	s_cmp_lt_i32 s12, 5
	s_mov_b64 s[0:1], -1
	s_cbranch_scc1 .LBB62_1727
; %bb.1707:
	s_cmp_lt_i32 s12, 8
	s_cbranch_scc1 .LBB62_1717
; %bb.1708:
	s_cmp_lt_i32 s12, 9
	s_cbranch_scc1 .LBB62_1714
; %bb.1709:
	s_cmp_gt_i32 s12, 9
	s_cbranch_scc0 .LBB62_1711
; %bb.1710:
	v_cndmask_b32_e64 v3, 0, 1, s[10:11]
	v_cvt_f64_u32_e32 v[8:9], v3
	v_mov_b32_e32 v10, 0
	v_mov_b32_e32 v11, v10
	s_mov_b64 s[0:1], 0
	global_store_dwordx4 v[0:1], v[8:11], off
.LBB62_1711:
	s_andn2_b64 vcc, exec, s[0:1]
	s_cbranch_vccnz .LBB62_1713
; %bb.1712:
	v_cndmask_b32_e64 v8, 0, 1.0, s[10:11]
	v_mov_b32_e32 v9, 0
	global_store_dwordx2 v[0:1], v[8:9], off
.LBB62_1713:
	s_mov_b64 s[0:1], 0
.LBB62_1714:
	s_andn2_b64 vcc, exec, s[0:1]
	s_cbranch_vccnz .LBB62_1716
; %bb.1715:
	v_cndmask_b32_e64 v3, 0, 1.0, s[10:11]
	v_cvt_f16_f32_e32 v3, v3
	global_store_dword v[0:1], v3, off
.LBB62_1716:
	s_mov_b64 s[0:1], 0
.LBB62_1717:
	s_andn2_b64 vcc, exec, s[0:1]
	s_cbranch_vccnz .LBB62_1726
; %bb.1718:
	s_cmp_lt_i32 s12, 6
	s_mov_b64 s[0:1], -1
	s_cbranch_scc1 .LBB62_1724
; %bb.1719:
	s_cmp_gt_i32 s12, 6
	s_cbranch_scc0 .LBB62_1721
; %bb.1720:
	v_cndmask_b32_e64 v3, 0, 1, s[10:11]
	v_cvt_f64_u32_e32 v[8:9], v3
	s_mov_b64 s[0:1], 0
	global_store_dwordx2 v[0:1], v[8:9], off
.LBB62_1721:
	s_andn2_b64 vcc, exec, s[0:1]
	s_cbranch_vccnz .LBB62_1723
; %bb.1722:
	v_cndmask_b32_e64 v3, 0, 1.0, s[10:11]
	global_store_dword v[0:1], v3, off
.LBB62_1723:
	s_mov_b64 s[0:1], 0
.LBB62_1724:
	s_andn2_b64 vcc, exec, s[0:1]
	s_cbranch_vccnz .LBB62_1726
; %bb.1725:
	v_cndmask_b32_e64 v3, 0, 1.0, s[10:11]
	v_cvt_f16_f32_e32 v3, v3
	global_store_short v[0:1], v3, off
.LBB62_1726:
	s_mov_b64 s[0:1], 0
.LBB62_1727:
	s_andn2_b64 vcc, exec, s[0:1]
	s_cbranch_vccnz .LBB62_1743
; %bb.1728:
	s_cmp_lt_i32 s12, 2
	s_mov_b64 s[0:1], -1
	s_cbranch_scc1 .LBB62_1738
; %bb.1729:
	s_cmp_lt_i32 s12, 3
	s_cbranch_scc1 .LBB62_1735
; %bb.1730:
	s_cmp_gt_i32 s12, 3
	s_cbranch_scc0 .LBB62_1732
; %bb.1731:
	s_mov_b32 s0, 0
	v_cndmask_b32_e64 v8, 0, 1, s[10:11]
	v_mov_b32_e32 v9, s0
	global_store_dwordx2 v[0:1], v[8:9], off
	s_mov_b64 s[0:1], 0
.LBB62_1732:
	s_andn2_b64 vcc, exec, s[0:1]
	s_cbranch_vccnz .LBB62_1734
; %bb.1733:
	v_cndmask_b32_e64 v3, 0, 1, s[10:11]
	global_store_dword v[0:1], v3, off
.LBB62_1734:
	s_mov_b64 s[0:1], 0
.LBB62_1735:
	s_andn2_b64 vcc, exec, s[0:1]
	s_cbranch_vccnz .LBB62_1737
; %bb.1736:
	v_cndmask_b32_e64 v3, 0, 1, s[10:11]
	global_store_short v[0:1], v3, off
.LBB62_1737:
	s_mov_b64 s[0:1], 0
.LBB62_1738:
	s_andn2_b64 vcc, exec, s[0:1]
	s_cbranch_vccnz .LBB62_1743
; %bb.1739:
	s_mov_b64 s[0:1], -1
	s_cmp_gt_i32 s12, 0
	v_cndmask_b32_e64 v3, 0, 1, s[10:11]
	s_cbranch_scc0 .LBB62_1741
; %bb.1740:
	global_store_byte v[0:1], v3, off
	s_mov_b64 s[0:1], 0
.LBB62_1741:
	s_andn2_b64 vcc, exec, s[0:1]
	s_cbranch_vccnz .LBB62_1743
; %bb.1742:
	global_store_byte v[0:1], v3, off
.LBB62_1743:
	s_mov_b64 s[14:15], -1
.LBB62_1744:
	s_andn2_b64 vcc, exec, s[14:15]
	s_cbranch_vccnz .LBB62_1940
; %bb.1745:
	v_cmp_ne_u64_e32 vcc, s[2:3], v[4:5]
	v_add_u32_e32 v2, s24, v2
	s_xor_b64 s[10:11], s[4:5], vcc
	v_ashrrev_i32_e32 v1, 31, v2
	v_mov_b32_e32 v3, s9
	v_add_co_u32_e32 v0, vcc, s8, v2
	s_cmp_lt_i32 s26, 11
	v_addc_co_u32_e32 v1, vcc, v3, v1, vcc
	s_cbranch_scc1 .LBB62_1823
; %bb.1746:
	s_and_b32 s25, 0xffff, s26
	s_mov_b64 s[20:21], -1
	s_mov_b64 s[12:13], 0
	s_cmp_gt_i32 s25, 25
	s_mov_b64 s[14:15], 0
	s_mov_b64 s[0:1], 0
	s_cbranch_scc0 .LBB62_1779
; %bb.1747:
	s_cmp_gt_i32 s25, 28
	s_cbranch_scc0 .LBB62_1762
; %bb.1748:
	s_cmp_gt_i32 s25, 43
	;; [unrolled: 3-line block ×3, first 2 shown]
	s_cbranch_scc0 .LBB62_1752
; %bb.1750:
	s_mov_b64 s[0:1], -1
	s_mov_b64 s[20:21], 0
	s_cmp_eq_u32 s25, 46
	s_cbranch_scc0 .LBB62_1752
; %bb.1751:
	v_cndmask_b32_e64 v3, 0, 1.0, s[10:11]
	v_bfe_u32 v4, v3, 16, 1
	s_movk_i32 s0, 0x7fff
	v_add3_u32 v3, v3, v4, s0
	v_lshrrev_b32_e32 v3, 16, v3
	global_store_dword v[0:1], v3, off
	s_mov_b64 s[0:1], 0
	s_mov_b64 s[14:15], -1
.LBB62_1752:
	s_and_b64 vcc, exec, s[20:21]
	s_cbranch_vccz .LBB62_1757
; %bb.1753:
	s_cmp_eq_u32 s25, 44
	s_mov_b64 s[0:1], -1
	s_cbranch_scc0 .LBB62_1757
; %bb.1754:
	v_cndmask_b32_e64 v4, 0, 1.0, s[10:11]
	v_lshrrev_b32_e32 v3, 23, v4
	s_movk_i32 s0, 0xff
	v_cmp_ne_u32_e32 vcc, s0, v3
	v_mov_b32_e32 v5, 0xff
	s_and_saveexec_b64 s[14:15], vcc
; %bb.1755:
	s_mov_b32 s0, 0x3fffff
	v_and_b32_e32 v5, 0x400000, v4
	v_and_or_b32 v4, v4, s0, v3
	v_cmp_ne_u32_e32 vcc, 0, v5
	v_cmp_ne_u32_e64 s[0:1], 0, v4
	s_and_b64 s[0:1], vcc, s[0:1]
	v_cndmask_b32_e64 v4, 0, 1, s[0:1]
	v_add_u32_e32 v5, v3, v4
; %bb.1756:
	s_or_b64 exec, exec, s[14:15]
	s_mov_b64 s[0:1], 0
	s_mov_b64 s[14:15], -1
	global_store_byte v[0:1], v5, off
.LBB62_1757:
	s_mov_b64 s[20:21], 0
.LBB62_1758:
	s_and_b64 vcc, exec, s[20:21]
	s_cbranch_vccz .LBB62_1761
; %bb.1759:
	s_cmp_eq_u32 s25, 29
	s_mov_b64 s[0:1], -1
	s_cbranch_scc0 .LBB62_1761
; %bb.1760:
	s_mov_b32 s0, 0
	v_cndmask_b32_e64 v3, 0, 1, s[10:11]
	v_mov_b32_e32 v4, s0
	global_store_dwordx2 v[0:1], v[3:4], off
	s_mov_b64 s[0:1], 0
	s_mov_b64 s[14:15], -1
.LBB62_1761:
	s_mov_b64 s[20:21], 0
.LBB62_1762:
	s_and_b64 vcc, exec, s[20:21]
	s_cbranch_vccz .LBB62_1778
; %bb.1763:
	s_cmp_lt_i32 s25, 27
	s_mov_b64 s[14:15], -1
	s_cbranch_scc1 .LBB62_1769
; %bb.1764:
	s_cmp_gt_i32 s25, 27
	s_cbranch_scc0 .LBB62_1766
; %bb.1765:
	v_cndmask_b32_e64 v3, 0, 1, s[10:11]
	s_mov_b64 s[14:15], 0
	global_store_dword v[0:1], v3, off
.LBB62_1766:
	s_andn2_b64 vcc, exec, s[14:15]
	s_cbranch_vccnz .LBB62_1768
; %bb.1767:
	v_cndmask_b32_e64 v3, 0, 1, s[10:11]
	global_store_short v[0:1], v3, off
.LBB62_1768:
	s_mov_b64 s[14:15], 0
.LBB62_1769:
	s_andn2_b64 vcc, exec, s[14:15]
	s_cbranch_vccnz .LBB62_1777
; %bb.1770:
	v_cndmask_b32_e64 v4, 0, 1.0, s[10:11]
	s_mov_b32 s14, 0x43800000
	v_cmp_gt_u32_e32 vcc, s14, v4
	v_mov_b32_e32 v5, 0x80
	s_and_saveexec_b64 s[14:15], vcc
	s_cbranch_execz .LBB62_1776
; %bb.1771:
	s_mov_b32 s20, 0x3bffffff
	v_cmp_lt_u32_e32 vcc, s20, v4
	s_mov_b64 s[20:21], 0
                                        ; implicit-def: $vgpr3
	s_and_saveexec_b64 s[22:23], vcc
	s_xor_b64 s[22:23], exec, s[22:23]
	s_cbranch_execz .LBB62_1997
; %bb.1772:
	v_bfe_u32 v3, v4, 20, 1
	s_mov_b32 s27, 0x487ffff
	v_add3_u32 v3, v4, v3, s27
	s_mov_b64 s[20:21], exec
	v_lshrrev_b32_e32 v3, 20, v3
                                        ; implicit-def: $vgpr4
	s_andn2_saveexec_b64 s[22:23], s[22:23]
	s_cbranch_execnz .LBB62_1998
.LBB62_1773:
	s_or_b64 exec, exec, s[22:23]
	v_mov_b32_e32 v5, 0
	s_and_saveexec_b64 s[22:23], s[20:21]
.LBB62_1774:
	v_mov_b32_e32 v5, v3
.LBB62_1775:
	s_or_b64 exec, exec, s[22:23]
.LBB62_1776:
	s_or_b64 exec, exec, s[14:15]
	global_store_byte v[0:1], v5, off
.LBB62_1777:
	s_mov_b64 s[14:15], -1
.LBB62_1778:
	s_mov_b64 s[20:21], 0
.LBB62_1779:
	s_and_b64 vcc, exec, s[20:21]
	s_cbranch_vccz .LBB62_1819
; %bb.1780:
	s_cmp_gt_i32 s25, 22
	s_mov_b64 s[12:13], -1
	s_cbranch_scc0 .LBB62_1812
; %bb.1781:
	s_cmp_lt_i32 s25, 24
	s_cbranch_scc1 .LBB62_1801
; %bb.1782:
	s_cmp_gt_i32 s25, 24
	s_cbranch_scc0 .LBB62_1790
; %bb.1783:
	v_cndmask_b32_e64 v4, 0, 1.0, s[10:11]
	s_mov_b32 s12, 0x47800000
	v_cmp_gt_u32_e32 vcc, s12, v4
	v_mov_b32_e32 v5, 0x80
	s_and_saveexec_b64 s[12:13], vcc
	s_cbranch_execz .LBB62_1789
; %bb.1784:
	s_mov_b32 s14, 0x37ffffff
	v_cmp_lt_u32_e32 vcc, s14, v4
	s_mov_b64 s[14:15], 0
                                        ; implicit-def: $vgpr3
	s_and_saveexec_b64 s[20:21], vcc
	s_xor_b64 s[20:21], exec, s[20:21]
	s_cbranch_execz .LBB62_2000
; %bb.1785:
	v_bfe_u32 v3, v4, 21, 1
	s_mov_b32 s22, 0x88fffff
	v_add3_u32 v3, v4, v3, s22
	s_mov_b64 s[14:15], exec
	v_lshrrev_b32_e32 v3, 21, v3
                                        ; implicit-def: $vgpr4
	s_andn2_saveexec_b64 s[20:21], s[20:21]
	s_cbranch_execnz .LBB62_2001
.LBB62_1786:
	s_or_b64 exec, exec, s[20:21]
	v_mov_b32_e32 v5, 0
	s_and_saveexec_b64 s[20:21], s[14:15]
.LBB62_1787:
	v_mov_b32_e32 v5, v3
.LBB62_1788:
	s_or_b64 exec, exec, s[20:21]
.LBB62_1789:
	s_or_b64 exec, exec, s[12:13]
	s_mov_b64 s[12:13], 0
	global_store_byte v[0:1], v5, off
.LBB62_1790:
	s_and_b64 vcc, exec, s[12:13]
	s_cbranch_vccz .LBB62_1800
; %bb.1791:
	v_cndmask_b32_e64 v3, 0, 1.0, s[10:11]
	s_mov_b32 s12, 0x43f00000
	v_cmp_gt_u32_e32 vcc, s12, v3
                                        ; implicit-def: $vgpr4
	s_and_saveexec_b64 s[12:13], vcc
	s_xor_b64 s[12:13], exec, s[12:13]
	s_cbranch_execz .LBB62_1797
; %bb.1792:
	s_mov_b32 s14, 0x3c7fffff
	v_cmp_lt_u32_e32 vcc, s14, v3
                                        ; implicit-def: $vgpr4
	s_and_saveexec_b64 s[14:15], vcc
	s_xor_b64 s[14:15], exec, s[14:15]
; %bb.1793:
	v_bfe_u32 v4, v3, 20, 1
	s_mov_b32 s20, 0x407ffff
	v_add3_u32 v3, v3, v4, s20
	v_lshrrev_b32_e32 v4, 20, v3
	v_and_b32_e32 v3, 0xff00000, v3
	s_mov_b32 s20, 0x7f00000
	v_mov_b32_e32 v5, 0x7e
	v_cmp_ne_u32_e32 vcc, s20, v3
	v_cndmask_b32_e32 v4, v5, v4, vcc
                                        ; implicit-def: $vgpr3
; %bb.1794:
	s_andn2_saveexec_b64 s[14:15], s[14:15]
; %bb.1795:
	v_add_f32_e32 v4, 0x46800000, v3
; %bb.1796:
	s_or_b64 exec, exec, s[14:15]
                                        ; implicit-def: $vgpr3
.LBB62_1797:
	s_andn2_saveexec_b64 s[12:13], s[12:13]
; %bb.1798:
	s_mov_b32 s14, 0x7f800000
	v_mov_b32_e32 v4, 0x7e
	v_mov_b32_e32 v5, 0x7f
	v_cmp_lt_u32_e32 vcc, s14, v3
	v_cndmask_b32_e32 v4, v4, v5, vcc
; %bb.1799:
	s_or_b64 exec, exec, s[12:13]
	global_store_byte v[0:1], v4, off
.LBB62_1800:
	s_mov_b64 s[12:13], 0
.LBB62_1801:
	s_andn2_b64 vcc, exec, s[12:13]
	s_cbranch_vccnz .LBB62_1811
; %bb.1802:
	v_cndmask_b32_e64 v3, 0, 1.0, s[10:11]
	s_mov_b32 s12, 0x47800000
	v_cmp_gt_u32_e32 vcc, s12, v3
                                        ; implicit-def: $vgpr4
	s_and_saveexec_b64 s[12:13], vcc
	s_xor_b64 s[12:13], exec, s[12:13]
	s_cbranch_execz .LBB62_1808
; %bb.1803:
	s_mov_b32 s14, 0x387fffff
	v_cmp_lt_u32_e32 vcc, s14, v3
                                        ; implicit-def: $vgpr4
	s_and_saveexec_b64 s[14:15], vcc
	s_xor_b64 s[14:15], exec, s[14:15]
; %bb.1804:
	v_bfe_u32 v4, v3, 21, 1
	s_mov_b32 s20, 0x80fffff
	v_add3_u32 v3, v3, v4, s20
	v_lshrrev_b32_e32 v4, 21, v3
                                        ; implicit-def: $vgpr3
; %bb.1805:
	s_andn2_saveexec_b64 s[14:15], s[14:15]
; %bb.1806:
	v_add_f32_e32 v4, 0x43000000, v3
; %bb.1807:
	s_or_b64 exec, exec, s[14:15]
                                        ; implicit-def: $vgpr3
.LBB62_1808:
	s_andn2_saveexec_b64 s[12:13], s[12:13]
; %bb.1809:
	s_mov_b32 s14, 0x7f800000
	v_mov_b32_e32 v4, 0x7c
	v_mov_b32_e32 v5, 0x7f
	v_cmp_lt_u32_e32 vcc, s14, v3
	v_cndmask_b32_e32 v4, v4, v5, vcc
; %bb.1810:
	s_or_b64 exec, exec, s[12:13]
	global_store_byte v[0:1], v4, off
.LBB62_1811:
	s_mov_b64 s[12:13], 0
	s_mov_b64 s[14:15], -1
.LBB62_1812:
	s_andn2_b64 vcc, exec, s[12:13]
	s_mov_b64 s[12:13], 0
	s_cbranch_vccnz .LBB62_1819
; %bb.1813:
	s_cmp_gt_i32 s25, 14
	s_mov_b64 s[20:21], -1
	s_cbranch_scc0 .LBB62_1817
; %bb.1814:
	s_cmp_eq_u32 s25, 15
	s_mov_b64 s[0:1], -1
	s_cbranch_scc0 .LBB62_1816
; %bb.1815:
	v_cndmask_b32_e64 v3, 0, 1.0, s[10:11]
	v_bfe_u32 v4, v3, 16, 1
	s_movk_i32 s0, 0x7fff
	v_add3_u32 v3, v3, v4, s0
	global_store_short_d16_hi v[0:1], v3, off
	s_mov_b64 s[0:1], 0
	s_mov_b64 s[14:15], -1
.LBB62_1816:
	s_mov_b64 s[20:21], 0
.LBB62_1817:
	s_and_b64 vcc, exec, s[20:21]
	s_cbranch_vccz .LBB62_1819
; %bb.1818:
	s_cmp_lg_u32 s25, 11
	s_mov_b64 s[12:13], -1
	s_cselect_b64 s[0:1], -1, 0
.LBB62_1819:
	s_and_b64 vcc, exec, s[0:1]
	s_cbranch_vccnz .LBB62_1999
; %bb.1820:
	s_andn2_b64 vcc, exec, s[12:13]
	s_cbranch_vccnz .LBB62_1822
.LBB62_1821:
	v_cndmask_b32_e64 v3, 0, 1, s[10:11]
	s_mov_b64 s[14:15], -1
	global_store_byte v[0:1], v3, off
.LBB62_1822:
	s_mov_b64 s[0:1], 0
	s_branch .LBB62_1824
.LBB62_1823:
	s_mov_b64 s[0:1], -1
	s_mov_b64 s[14:15], 0
.LBB62_1824:
	s_and_b64 vcc, exec, s[0:1]
	s_cbranch_vccz .LBB62_1863
; %bb.1825:
	s_and_b32 s12, 0xffff, s26
	s_cmp_lt_i32 s12, 5
	s_mov_b64 s[0:1], -1
	s_cbranch_scc1 .LBB62_1846
; %bb.1826:
	s_cmp_lt_i32 s12, 8
	s_cbranch_scc1 .LBB62_1836
; %bb.1827:
	s_cmp_lt_i32 s12, 9
	s_cbranch_scc1 .LBB62_1833
; %bb.1828:
	s_cmp_gt_i32 s12, 9
	s_cbranch_scc0 .LBB62_1830
; %bb.1829:
	v_cndmask_b32_e64 v3, 0, 1, s[10:11]
	v_cvt_f64_u32_e32 v[8:9], v3
	v_mov_b32_e32 v10, 0
	v_mov_b32_e32 v11, v10
	s_mov_b64 s[0:1], 0
	global_store_dwordx4 v[0:1], v[8:11], off
.LBB62_1830:
	s_andn2_b64 vcc, exec, s[0:1]
	s_cbranch_vccnz .LBB62_1832
; %bb.1831:
	v_cndmask_b32_e64 v3, 0, 1.0, s[10:11]
	v_mov_b32_e32 v4, 0
	global_store_dwordx2 v[0:1], v[3:4], off
.LBB62_1832:
	s_mov_b64 s[0:1], 0
.LBB62_1833:
	s_andn2_b64 vcc, exec, s[0:1]
	s_cbranch_vccnz .LBB62_1835
; %bb.1834:
	v_cndmask_b32_e64 v3, 0, 1.0, s[10:11]
	v_cvt_f16_f32_e32 v3, v3
	global_store_dword v[0:1], v3, off
.LBB62_1835:
	s_mov_b64 s[0:1], 0
.LBB62_1836:
	s_andn2_b64 vcc, exec, s[0:1]
	s_cbranch_vccnz .LBB62_1845
; %bb.1837:
	s_cmp_lt_i32 s12, 6
	s_mov_b64 s[0:1], -1
	s_cbranch_scc1 .LBB62_1843
; %bb.1838:
	s_cmp_gt_i32 s12, 6
	s_cbranch_scc0 .LBB62_1840
; %bb.1839:
	v_cndmask_b32_e64 v3, 0, 1, s[10:11]
	v_cvt_f64_u32_e32 v[3:4], v3
	s_mov_b64 s[0:1], 0
	global_store_dwordx2 v[0:1], v[3:4], off
.LBB62_1840:
	s_andn2_b64 vcc, exec, s[0:1]
	s_cbranch_vccnz .LBB62_1842
; %bb.1841:
	v_cndmask_b32_e64 v3, 0, 1.0, s[10:11]
	global_store_dword v[0:1], v3, off
.LBB62_1842:
	s_mov_b64 s[0:1], 0
.LBB62_1843:
	s_andn2_b64 vcc, exec, s[0:1]
	s_cbranch_vccnz .LBB62_1845
; %bb.1844:
	v_cndmask_b32_e64 v3, 0, 1.0, s[10:11]
	v_cvt_f16_f32_e32 v3, v3
	global_store_short v[0:1], v3, off
.LBB62_1845:
	s_mov_b64 s[0:1], 0
.LBB62_1846:
	s_andn2_b64 vcc, exec, s[0:1]
	s_cbranch_vccnz .LBB62_1862
; %bb.1847:
	s_cmp_lt_i32 s12, 2
	s_mov_b64 s[0:1], -1
	s_cbranch_scc1 .LBB62_1857
; %bb.1848:
	s_cmp_lt_i32 s12, 3
	s_cbranch_scc1 .LBB62_1854
; %bb.1849:
	s_cmp_gt_i32 s12, 3
	s_cbranch_scc0 .LBB62_1851
; %bb.1850:
	s_mov_b32 s0, 0
	v_cndmask_b32_e64 v3, 0, 1, s[10:11]
	v_mov_b32_e32 v4, s0
	global_store_dwordx2 v[0:1], v[3:4], off
	s_mov_b64 s[0:1], 0
.LBB62_1851:
	s_andn2_b64 vcc, exec, s[0:1]
	s_cbranch_vccnz .LBB62_1853
; %bb.1852:
	v_cndmask_b32_e64 v3, 0, 1, s[10:11]
	global_store_dword v[0:1], v3, off
.LBB62_1853:
	s_mov_b64 s[0:1], 0
.LBB62_1854:
	s_andn2_b64 vcc, exec, s[0:1]
	s_cbranch_vccnz .LBB62_1856
; %bb.1855:
	v_cndmask_b32_e64 v3, 0, 1, s[10:11]
	global_store_short v[0:1], v3, off
.LBB62_1856:
	s_mov_b64 s[0:1], 0
.LBB62_1857:
	s_andn2_b64 vcc, exec, s[0:1]
	s_cbranch_vccnz .LBB62_1862
; %bb.1858:
	s_mov_b64 s[0:1], -1
	s_cmp_gt_i32 s12, 0
	v_cndmask_b32_e64 v3, 0, 1, s[10:11]
	s_cbranch_scc0 .LBB62_1860
; %bb.1859:
	global_store_byte v[0:1], v3, off
	s_mov_b64 s[0:1], 0
.LBB62_1860:
	s_andn2_b64 vcc, exec, s[0:1]
	s_cbranch_vccnz .LBB62_1862
; %bb.1861:
	global_store_byte v[0:1], v3, off
.LBB62_1862:
	s_mov_b64 s[14:15], -1
.LBB62_1863:
	s_andn2_b64 vcc, exec, s[14:15]
	s_cbranch_vccnz .LBB62_1940
; %bb.1864:
	v_cmp_ne_u64_e32 vcc, s[2:3], v[6:7]
	v_add_u32_e32 v0, s24, v2
	s_xor_b64 s[20:21], s[4:5], vcc
	v_ashrrev_i32_e32 v1, 31, v0
	v_mov_b32_e32 v2, s9
	v_add_co_u32_e32 v0, vcc, s8, v0
	s_cmp_lt_i32 s26, 11
	v_addc_co_u32_e32 v1, vcc, v2, v1, vcc
	s_cbranch_scc1 .LBB62_1985
; %bb.1865:
	s_and_b32 s12, 0xffff, s26
	s_mov_b64 s[4:5], -1
	s_mov_b64 s[2:3], 0
	s_cmp_gt_i32 s12, 25
	s_mov_b64 s[0:1], 0
	s_cbranch_scc0 .LBB62_1898
; %bb.1866:
	s_cmp_gt_i32 s12, 28
	s_cbranch_scc0 .LBB62_1882
; %bb.1867:
	s_cmp_gt_i32 s12, 43
	;; [unrolled: 3-line block ×3, first 2 shown]
	s_cbranch_scc0 .LBB62_1872
; %bb.1869:
	s_cmp_eq_u32 s12, 46
	s_mov_b64 s[0:1], -1
	s_cbranch_scc0 .LBB62_1871
; %bb.1870:
	v_cndmask_b32_e64 v2, 0, 1.0, s[20:21]
	v_bfe_u32 v3, v2, 16, 1
	s_movk_i32 s0, 0x7fff
	v_add3_u32 v2, v2, v3, s0
	v_lshrrev_b32_e32 v2, 16, v2
	global_store_dword v[0:1], v2, off
	s_mov_b64 s[0:1], 0
.LBB62_1871:
	s_mov_b64 s[4:5], 0
.LBB62_1872:
	s_and_b64 vcc, exec, s[4:5]
	s_cbranch_vccz .LBB62_1877
; %bb.1873:
	s_cmp_eq_u32 s12, 44
	s_mov_b64 s[0:1], -1
	s_cbranch_scc0 .LBB62_1877
; %bb.1874:
	v_cndmask_b32_e64 v3, 0, 1.0, s[20:21]
	v_lshrrev_b32_e32 v2, 23, v3
	s_movk_i32 s0, 0xff
	v_cmp_ne_u32_e32 vcc, s0, v2
	v_mov_b32_e32 v4, 0xff
	s_and_saveexec_b64 s[4:5], vcc
; %bb.1875:
	s_mov_b32 s0, 0x3fffff
	v_and_b32_e32 v4, 0x400000, v3
	v_and_or_b32 v3, v3, s0, v2
	v_cmp_ne_u32_e32 vcc, 0, v4
	v_cmp_ne_u32_e64 s[0:1], 0, v3
	s_and_b64 s[0:1], vcc, s[0:1]
	v_cndmask_b32_e64 v3, 0, 1, s[0:1]
	v_add_u32_e32 v4, v2, v3
; %bb.1876:
	s_or_b64 exec, exec, s[4:5]
	s_mov_b64 s[0:1], 0
	global_store_byte v[0:1], v4, off
.LBB62_1877:
	s_mov_b64 s[4:5], 0
.LBB62_1878:
	s_and_b64 vcc, exec, s[4:5]
	s_cbranch_vccz .LBB62_1881
; %bb.1879:
	s_cmp_eq_u32 s12, 29
	s_mov_b64 s[0:1], -1
	s_cbranch_scc0 .LBB62_1881
; %bb.1880:
	s_mov_b32 s0, 0
	v_cndmask_b32_e64 v2, 0, 1, s[20:21]
	v_mov_b32_e32 v3, s0
	global_store_dwordx2 v[0:1], v[2:3], off
	s_mov_b64 s[0:1], 0
.LBB62_1881:
	s_mov_b64 s[4:5], 0
.LBB62_1882:
	s_and_b64 vcc, exec, s[4:5]
	s_cbranch_vccz .LBB62_1897
; %bb.1883:
	s_cmp_lt_i32 s12, 27
	s_mov_b64 s[4:5], -1
	s_cbranch_scc1 .LBB62_1889
; %bb.1884:
	s_cmp_gt_i32 s12, 27
	v_cndmask_b32_e64 v2, 0, 1, s[20:21]
	s_cbranch_scc0 .LBB62_1886
; %bb.1885:
	global_store_dword v[0:1], v2, off
	s_mov_b64 s[4:5], 0
.LBB62_1886:
	s_andn2_b64 vcc, exec, s[4:5]
	s_cbranch_vccnz .LBB62_1888
; %bb.1887:
	global_store_short v[0:1], v2, off
.LBB62_1888:
	s_mov_b64 s[4:5], 0
.LBB62_1889:
	s_andn2_b64 vcc, exec, s[4:5]
	s_cbranch_vccnz .LBB62_1897
; %bb.1890:
	v_cndmask_b32_e64 v3, 0, 1.0, s[20:21]
	s_mov_b32 s4, 0x43800000
	v_cmp_gt_u32_e32 vcc, s4, v3
	v_mov_b32_e32 v4, 0x80
	s_and_saveexec_b64 s[4:5], vcc
	s_cbranch_execz .LBB62_1896
; %bb.1891:
	s_mov_b32 s8, 0x3bffffff
	v_cmp_lt_u32_e32 vcc, s8, v3
	s_mov_b64 s[8:9], 0
                                        ; implicit-def: $vgpr2
	s_and_saveexec_b64 s[10:11], vcc
	s_xor_b64 s[10:11], exec, s[10:11]
	s_cbranch_execz .LBB62_2002
; %bb.1892:
	v_bfe_u32 v2, v3, 20, 1
	s_mov_b32 s13, 0x487ffff
	v_add3_u32 v2, v3, v2, s13
	s_mov_b64 s[8:9], exec
	v_lshrrev_b32_e32 v2, 20, v2
                                        ; implicit-def: $vgpr3
	s_andn2_saveexec_b64 s[10:11], s[10:11]
	s_cbranch_execnz .LBB62_2003
.LBB62_1893:
	s_or_b64 exec, exec, s[10:11]
	v_mov_b32_e32 v4, 0
	s_and_saveexec_b64 s[10:11], s[8:9]
.LBB62_1894:
	v_mov_b32_e32 v4, v2
.LBB62_1895:
	s_or_b64 exec, exec, s[10:11]
.LBB62_1896:
	s_or_b64 exec, exec, s[4:5]
	global_store_byte v[0:1], v4, off
.LBB62_1897:
	s_mov_b64 s[4:5], 0
.LBB62_1898:
	s_and_b64 vcc, exec, s[4:5]
	s_cbranch_vccz .LBB62_1938
; %bb.1899:
	s_cmp_gt_i32 s12, 22
	s_mov_b64 s[2:3], -1
	s_cbranch_scc0 .LBB62_1931
; %bb.1900:
	s_cmp_lt_i32 s12, 24
	s_cbranch_scc1 .LBB62_1920
; %bb.1901:
	s_cmp_gt_i32 s12, 24
	s_cbranch_scc0 .LBB62_1909
; %bb.1902:
	v_cndmask_b32_e64 v3, 0, 1.0, s[20:21]
	s_mov_b32 s2, 0x47800000
	v_cmp_gt_u32_e32 vcc, s2, v3
	v_mov_b32_e32 v4, 0x80
	s_and_saveexec_b64 s[2:3], vcc
	s_cbranch_execz .LBB62_1908
; %bb.1903:
	s_mov_b32 s4, 0x37ffffff
	v_cmp_lt_u32_e32 vcc, s4, v3
	s_mov_b64 s[4:5], 0
                                        ; implicit-def: $vgpr2
	s_and_saveexec_b64 s[8:9], vcc
	s_xor_b64 s[8:9], exec, s[8:9]
	s_cbranch_execz .LBB62_2005
; %bb.1904:
	v_bfe_u32 v2, v3, 21, 1
	s_mov_b32 s10, 0x88fffff
	v_add3_u32 v2, v3, v2, s10
	s_mov_b64 s[4:5], exec
	v_lshrrev_b32_e32 v2, 21, v2
                                        ; implicit-def: $vgpr3
	s_andn2_saveexec_b64 s[8:9], s[8:9]
	s_cbranch_execnz .LBB62_2006
.LBB62_1905:
	s_or_b64 exec, exec, s[8:9]
	v_mov_b32_e32 v4, 0
	s_and_saveexec_b64 s[8:9], s[4:5]
.LBB62_1906:
	v_mov_b32_e32 v4, v2
.LBB62_1907:
	s_or_b64 exec, exec, s[8:9]
.LBB62_1908:
	s_or_b64 exec, exec, s[2:3]
	s_mov_b64 s[2:3], 0
	global_store_byte v[0:1], v4, off
.LBB62_1909:
	s_and_b64 vcc, exec, s[2:3]
	s_cbranch_vccz .LBB62_1919
; %bb.1910:
	v_cndmask_b32_e64 v2, 0, 1.0, s[20:21]
	s_mov_b32 s2, 0x43f00000
	v_cmp_gt_u32_e32 vcc, s2, v2
                                        ; implicit-def: $vgpr3
	s_and_saveexec_b64 s[2:3], vcc
	s_xor_b64 s[2:3], exec, s[2:3]
	s_cbranch_execz .LBB62_1916
; %bb.1911:
	s_mov_b32 s4, 0x3c7fffff
	v_cmp_lt_u32_e32 vcc, s4, v2
                                        ; implicit-def: $vgpr3
	s_and_saveexec_b64 s[4:5], vcc
	s_xor_b64 s[4:5], exec, s[4:5]
; %bb.1912:
	v_bfe_u32 v3, v2, 20, 1
	s_mov_b32 s8, 0x407ffff
	v_add3_u32 v2, v2, v3, s8
	v_lshrrev_b32_e32 v3, 20, v2
	v_and_b32_e32 v2, 0xff00000, v2
	s_mov_b32 s8, 0x7f00000
	v_mov_b32_e32 v4, 0x7e
	v_cmp_ne_u32_e32 vcc, s8, v2
	v_cndmask_b32_e32 v3, v4, v3, vcc
                                        ; implicit-def: $vgpr2
; %bb.1913:
	s_andn2_saveexec_b64 s[4:5], s[4:5]
; %bb.1914:
	v_add_f32_e32 v3, 0x46800000, v2
; %bb.1915:
	s_or_b64 exec, exec, s[4:5]
                                        ; implicit-def: $vgpr2
.LBB62_1916:
	s_andn2_saveexec_b64 s[2:3], s[2:3]
; %bb.1917:
	s_mov_b32 s4, 0x7f800000
	v_mov_b32_e32 v3, 0x7e
	v_mov_b32_e32 v4, 0x7f
	v_cmp_lt_u32_e32 vcc, s4, v2
	v_cndmask_b32_e32 v3, v3, v4, vcc
; %bb.1918:
	s_or_b64 exec, exec, s[2:3]
	global_store_byte v[0:1], v3, off
.LBB62_1919:
	s_mov_b64 s[2:3], 0
.LBB62_1920:
	s_andn2_b64 vcc, exec, s[2:3]
	s_cbranch_vccnz .LBB62_1930
; %bb.1921:
	v_cndmask_b32_e64 v2, 0, 1.0, s[20:21]
	s_mov_b32 s2, 0x47800000
	v_cmp_gt_u32_e32 vcc, s2, v2
                                        ; implicit-def: $vgpr3
	s_and_saveexec_b64 s[2:3], vcc
	s_xor_b64 s[2:3], exec, s[2:3]
	s_cbranch_execz .LBB62_1927
; %bb.1922:
	s_mov_b32 s4, 0x387fffff
	v_cmp_lt_u32_e32 vcc, s4, v2
                                        ; implicit-def: $vgpr3
	s_and_saveexec_b64 s[4:5], vcc
	s_xor_b64 s[4:5], exec, s[4:5]
; %bb.1923:
	v_bfe_u32 v3, v2, 21, 1
	s_mov_b32 s8, 0x80fffff
	v_add3_u32 v2, v2, v3, s8
	v_lshrrev_b32_e32 v3, 21, v2
                                        ; implicit-def: $vgpr2
; %bb.1924:
	s_andn2_saveexec_b64 s[4:5], s[4:5]
; %bb.1925:
	v_add_f32_e32 v3, 0x43000000, v2
; %bb.1926:
	s_or_b64 exec, exec, s[4:5]
                                        ; implicit-def: $vgpr2
.LBB62_1927:
	s_andn2_saveexec_b64 s[2:3], s[2:3]
; %bb.1928:
	s_mov_b32 s4, 0x7f800000
	v_mov_b32_e32 v3, 0x7c
	v_mov_b32_e32 v4, 0x7f
	v_cmp_lt_u32_e32 vcc, s4, v2
	v_cndmask_b32_e32 v3, v3, v4, vcc
; %bb.1929:
	s_or_b64 exec, exec, s[2:3]
	global_store_byte v[0:1], v3, off
.LBB62_1930:
	s_mov_b64 s[2:3], 0
.LBB62_1931:
	s_andn2_b64 vcc, exec, s[2:3]
	s_mov_b64 s[2:3], 0
	s_cbranch_vccnz .LBB62_1938
; %bb.1932:
	s_cmp_gt_i32 s12, 14
	s_mov_b64 s[4:5], -1
	s_cbranch_scc0 .LBB62_1936
; %bb.1933:
	s_cmp_eq_u32 s12, 15
	s_mov_b64 s[0:1], -1
	s_cbranch_scc0 .LBB62_1935
; %bb.1934:
	v_cndmask_b32_e64 v2, 0, 1.0, s[20:21]
	v_bfe_u32 v3, v2, 16, 1
	s_movk_i32 s0, 0x7fff
	v_add3_u32 v2, v2, v3, s0
	global_store_short_d16_hi v[0:1], v2, off
	s_mov_b64 s[0:1], 0
.LBB62_1935:
	s_mov_b64 s[4:5], 0
.LBB62_1936:
	s_and_b64 vcc, exec, s[4:5]
	s_cbranch_vccz .LBB62_1938
; %bb.1937:
	s_cmp_lg_u32 s12, 11
	s_mov_b64 s[2:3], -1
	s_cselect_b64 s[0:1], -1, 0
.LBB62_1938:
	s_and_b64 vcc, exec, s[0:1]
	s_cbranch_vccnz .LBB62_2004
.LBB62_1939:
	s_mov_b64 s[0:1], 0
	s_branch .LBB62_1941
.LBB62_1940:
	s_mov_b64 s[0:1], 0
	s_mov_b64 s[2:3], 0
                                        ; implicit-def: $sgpr20_sgpr21
                                        ; implicit-def: $sgpr26
                                        ; implicit-def: $vgpr0_vgpr1
.LBB62_1941:
	s_and_b64 s[4:5], s[2:3], exec
	s_andn2_b64 s[2:3], s[16:17], exec
	s_and_b64 s[8:9], s[18:19], exec
	s_and_b64 s[0:1], s[0:1], exec
	s_or_b64 s[16:17], s[2:3], s[8:9]
.LBB62_1942:
	s_or_b64 exec, exec, s[6:7]
	s_and_saveexec_b64 s[2:3], s[16:17]
	s_cbranch_execz .LBB62_1945
; %bb.1943:
	; divergent unreachable
	s_or_b64 exec, exec, s[2:3]
	s_and_saveexec_b64 s[2:3], s[4:5]
	s_xor_b64 s[2:3], exec, s[2:3]
	s_cbranch_execnz .LBB62_1946
.LBB62_1944:
	s_or_b64 exec, exec, s[2:3]
	s_and_saveexec_b64 s[2:3], s[0:1]
	s_cbranch_execnz .LBB62_1947
	s_branch .LBB62_1984
.LBB62_1945:
	s_or_b64 exec, exec, s[2:3]
	s_and_saveexec_b64 s[2:3], s[4:5]
	s_xor_b64 s[2:3], exec, s[2:3]
	s_cbranch_execz .LBB62_1944
.LBB62_1946:
	s_waitcnt vmcnt(0)
	v_cndmask_b32_e64 v2, 0, 1, s[20:21]
	global_store_byte v[0:1], v2, off
	s_or_b64 exec, exec, s[2:3]
	s_and_saveexec_b64 s[2:3], s[0:1]
	s_cbranch_execz .LBB62_1984
.LBB62_1947:
	s_sext_i32_i16 s2, s26
	s_cmp_lt_i32 s2, 5
	s_mov_b64 s[0:1], -1
	s_cbranch_scc1 .LBB62_1968
; %bb.1948:
	s_cmp_lt_i32 s2, 8
	s_cbranch_scc1 .LBB62_1958
; %bb.1949:
	s_cmp_lt_i32 s2, 9
	s_cbranch_scc1 .LBB62_1955
; %bb.1950:
	s_cmp_gt_i32 s2, 9
	s_cbranch_scc0 .LBB62_1952
; %bb.1951:
	s_waitcnt vmcnt(0)
	v_cndmask_b32_e64 v2, 0, 1, s[20:21]
	v_cvt_f64_u32_e32 v[2:3], v2
	v_mov_b32_e32 v4, 0
	v_mov_b32_e32 v5, v4
	s_mov_b64 s[0:1], 0
	global_store_dwordx4 v[0:1], v[2:5], off
.LBB62_1952:
	s_andn2_b64 vcc, exec, s[0:1]
	s_cbranch_vccnz .LBB62_1954
; %bb.1953:
	s_waitcnt vmcnt(0)
	v_cndmask_b32_e64 v2, 0, 1.0, s[20:21]
	v_mov_b32_e32 v3, 0
	global_store_dwordx2 v[0:1], v[2:3], off
.LBB62_1954:
	s_mov_b64 s[0:1], 0
.LBB62_1955:
	s_andn2_b64 vcc, exec, s[0:1]
	s_cbranch_vccnz .LBB62_1957
; %bb.1956:
	s_waitcnt vmcnt(0)
	v_cndmask_b32_e64 v2, 0, 1.0, s[20:21]
	v_cvt_f16_f32_e32 v2, v2
	global_store_dword v[0:1], v2, off
.LBB62_1957:
	s_mov_b64 s[0:1], 0
.LBB62_1958:
	s_andn2_b64 vcc, exec, s[0:1]
	s_cbranch_vccnz .LBB62_1967
; %bb.1959:
	s_sext_i32_i16 s2, s26
	s_cmp_lt_i32 s2, 6
	s_mov_b64 s[0:1], -1
	s_cbranch_scc1 .LBB62_1965
; %bb.1960:
	s_cmp_gt_i32 s2, 6
	s_cbranch_scc0 .LBB62_1962
; %bb.1961:
	s_waitcnt vmcnt(0)
	v_cndmask_b32_e64 v2, 0, 1, s[20:21]
	v_cvt_f64_u32_e32 v[2:3], v2
	s_mov_b64 s[0:1], 0
	global_store_dwordx2 v[0:1], v[2:3], off
.LBB62_1962:
	s_andn2_b64 vcc, exec, s[0:1]
	s_cbranch_vccnz .LBB62_1964
; %bb.1963:
	s_waitcnt vmcnt(0)
	v_cndmask_b32_e64 v2, 0, 1.0, s[20:21]
	global_store_dword v[0:1], v2, off
.LBB62_1964:
	s_mov_b64 s[0:1], 0
.LBB62_1965:
	s_andn2_b64 vcc, exec, s[0:1]
	s_cbranch_vccnz .LBB62_1967
; %bb.1966:
	s_waitcnt vmcnt(0)
	v_cndmask_b32_e64 v2, 0, 1.0, s[20:21]
	v_cvt_f16_f32_e32 v2, v2
	global_store_short v[0:1], v2, off
.LBB62_1967:
	s_mov_b64 s[0:1], 0
.LBB62_1968:
	s_andn2_b64 vcc, exec, s[0:1]
	s_cbranch_vccnz .LBB62_1984
; %bb.1969:
	s_sext_i32_i16 s2, s26
	s_cmp_lt_i32 s2, 2
	s_mov_b64 s[0:1], -1
	s_cbranch_scc1 .LBB62_1979
; %bb.1970:
	s_cmp_lt_i32 s2, 3
	s_cbranch_scc1 .LBB62_1976
; %bb.1971:
	s_cmp_gt_i32 s2, 3
	s_cbranch_scc0 .LBB62_1973
; %bb.1972:
	s_mov_b32 s0, 0
	s_waitcnt vmcnt(0)
	v_cndmask_b32_e64 v2, 0, 1, s[20:21]
	v_mov_b32_e32 v3, s0
	global_store_dwordx2 v[0:1], v[2:3], off
	s_mov_b64 s[0:1], 0
.LBB62_1973:
	s_andn2_b64 vcc, exec, s[0:1]
	s_cbranch_vccnz .LBB62_1975
; %bb.1974:
	s_waitcnt vmcnt(0)
	v_cndmask_b32_e64 v2, 0, 1, s[20:21]
	global_store_dword v[0:1], v2, off
.LBB62_1975:
	s_mov_b64 s[0:1], 0
.LBB62_1976:
	s_andn2_b64 vcc, exec, s[0:1]
	s_cbranch_vccnz .LBB62_1978
; %bb.1977:
	s_waitcnt vmcnt(0)
	v_cndmask_b32_e64 v2, 0, 1, s[20:21]
	global_store_short v[0:1], v2, off
.LBB62_1978:
	s_mov_b64 s[0:1], 0
.LBB62_1979:
	s_andn2_b64 vcc, exec, s[0:1]
	s_cbranch_vccnz .LBB62_1984
; %bb.1980:
	s_sext_i32_i16 s2, s26
	s_mov_b64 s[0:1], -1
	s_cmp_gt_i32 s2, 0
	s_waitcnt vmcnt(0)
	v_cndmask_b32_e64 v2, 0, 1, s[20:21]
	s_cbranch_scc0 .LBB62_1982
; %bb.1981:
	global_store_byte v[0:1], v2, off
	s_mov_b64 s[0:1], 0
.LBB62_1982:
	s_andn2_b64 vcc, exec, s[0:1]
	s_cbranch_vccnz .LBB62_1984
; %bb.1983:
	global_store_byte v[0:1], v2, off
	s_endpgm
.LBB62_1984:
	s_endpgm
.LBB62_1985:
	s_mov_b64 s[2:3], 0
	s_mov_b64 s[0:1], -1
	s_branch .LBB62_1941
.LBB62_1986:
	s_trap 2
	s_or_b64 s[18:19], s[18:19], exec
	s_cbranch_execz .LBB62_1455
	s_branch .LBB62_1456
.LBB62_1987:
	s_andn2_saveexec_b64 s[24:25], s[24:25]
	s_cbranch_execz .LBB62_1535
.LBB62_1988:
	v_add_f32_e32 v9, 0x46000000, v10
	v_and_b32_e32 v9, 0xff, v9
	v_cmp_ne_u32_e32 vcc, 0, v9
	s_andn2_b64 s[22:23], s[22:23], exec
	s_and_b64 s[28:29], vcc, exec
	s_or_b64 s[22:23], s[22:23], s[28:29]
	s_or_b64 exec, exec, s[24:25]
	v_mov_b32_e32 v11, 0
	s_and_saveexec_b64 s[24:25], s[22:23]
	s_cbranch_execnz .LBB62_1536
	s_branch .LBB62_1537
.LBB62_1989:
	s_trap 2
	s_or_b64 s[18:19], s[18:19], exec
	s_cbranch_execz .LBB62_1583
	s_branch .LBB62_1584
.LBB62_1990:
	s_andn2_saveexec_b64 s[22:23], s[22:23]
	s_cbranch_execz .LBB62_1548
.LBB62_1991:
	v_add_f32_e32 v9, 0x42800000, v10
	v_and_b32_e32 v9, 0xff, v9
	v_cmp_ne_u32_e32 vcc, 0, v9
	s_andn2_b64 s[20:21], s[20:21], exec
	s_and_b64 s[24:25], vcc, exec
	s_or_b64 s[20:21], s[20:21], s[24:25]
	s_or_b64 exec, exec, s[22:23]
	v_mov_b32_e32 v11, 0
	s_and_saveexec_b64 s[22:23], s[20:21]
	s_cbranch_execnz .LBB62_1549
	s_branch .LBB62_1550
.LBB62_1992:
	s_andn2_saveexec_b64 s[22:23], s[22:23]
	s_cbranch_execz .LBB62_1654
.LBB62_1993:
	v_add_f32_e32 v3, 0x46000000, v8
	v_and_b32_e32 v3, 0xff, v3
	v_cmp_ne_u32_e32 vcc, 0, v3
	s_andn2_b64 s[20:21], s[20:21], exec
	s_and_b64 s[28:29], vcc, exec
	s_or_b64 s[20:21], s[20:21], s[28:29]
	s_or_b64 exec, exec, s[22:23]
	v_mov_b32_e32 v9, 0
	s_and_saveexec_b64 s[22:23], s[20:21]
	s_cbranch_execnz .LBB62_1655
	s_branch .LBB62_1656
.LBB62_1994:
	s_trap 2
	s_or_b64 s[18:19], s[18:19], exec
	s_cbranch_execz .LBB62_1702
	s_branch .LBB62_1703
.LBB62_1995:
	s_andn2_saveexec_b64 s[20:21], s[20:21]
	s_cbranch_execz .LBB62_1667
.LBB62_1996:
	v_add_f32_e32 v3, 0x42800000, v8
	v_and_b32_e32 v3, 0xff, v3
	v_cmp_ne_u32_e32 vcc, 0, v3
	s_andn2_b64 s[14:15], s[14:15], exec
	s_and_b64 s[22:23], vcc, exec
	s_or_b64 s[14:15], s[14:15], s[22:23]
	s_or_b64 exec, exec, s[20:21]
	v_mov_b32_e32 v9, 0
	s_and_saveexec_b64 s[20:21], s[14:15]
	s_cbranch_execnz .LBB62_1668
	s_branch .LBB62_1669
.LBB62_1997:
	s_andn2_saveexec_b64 s[22:23], s[22:23]
	s_cbranch_execz .LBB62_1773
.LBB62_1998:
	v_add_f32_e32 v3, 0x46000000, v4
	v_and_b32_e32 v3, 0xff, v3
	v_cmp_ne_u32_e32 vcc, 0, v3
	s_andn2_b64 s[20:21], s[20:21], exec
	s_and_b64 s[28:29], vcc, exec
	s_or_b64 s[20:21], s[20:21], s[28:29]
	s_or_b64 exec, exec, s[22:23]
	v_mov_b32_e32 v5, 0
	s_and_saveexec_b64 s[22:23], s[20:21]
	s_cbranch_execnz .LBB62_1774
	s_branch .LBB62_1775
.LBB62_1999:
	s_trap 2
	s_or_b64 s[18:19], s[18:19], exec
	s_cbranch_execz .LBB62_1821
	s_branch .LBB62_1822
.LBB62_2000:
	s_andn2_saveexec_b64 s[20:21], s[20:21]
	s_cbranch_execz .LBB62_1786
.LBB62_2001:
	v_add_f32_e32 v3, 0x42800000, v4
	v_and_b32_e32 v3, 0xff, v3
	v_cmp_ne_u32_e32 vcc, 0, v3
	s_andn2_b64 s[14:15], s[14:15], exec
	s_and_b64 s[22:23], vcc, exec
	s_or_b64 s[14:15], s[14:15], s[22:23]
	s_or_b64 exec, exec, s[20:21]
	v_mov_b32_e32 v5, 0
	s_and_saveexec_b64 s[20:21], s[14:15]
	s_cbranch_execnz .LBB62_1787
	s_branch .LBB62_1788
.LBB62_2002:
	s_andn2_saveexec_b64 s[10:11], s[10:11]
	s_cbranch_execz .LBB62_1893
.LBB62_2003:
	v_add_f32_e32 v2, 0x46000000, v3
	v_and_b32_e32 v2, 0xff, v2
	v_cmp_ne_u32_e32 vcc, 0, v2
	s_andn2_b64 s[8:9], s[8:9], exec
	s_and_b64 s[14:15], vcc, exec
	s_or_b64 s[8:9], s[8:9], s[14:15]
	s_or_b64 exec, exec, s[10:11]
	v_mov_b32_e32 v4, 0
	s_and_saveexec_b64 s[10:11], s[8:9]
	s_cbranch_execnz .LBB62_1894
	s_branch .LBB62_1895
.LBB62_2004:
	s_mov_b64 s[2:3], 0
	s_or_b64 s[18:19], s[18:19], exec
	s_trap 2
	s_branch .LBB62_1939
.LBB62_2005:
	s_andn2_saveexec_b64 s[8:9], s[8:9]
	s_cbranch_execz .LBB62_1905
.LBB62_2006:
	v_add_f32_e32 v2, 0x42800000, v3
	v_and_b32_e32 v2, 0xff, v2
	v_cmp_ne_u32_e32 vcc, 0, v2
	s_andn2_b64 s[4:5], s[4:5], exec
	s_and_b64 s[10:11], vcc, exec
	s_or_b64 s[4:5], s[4:5], s[10:11]
	s_or_b64 exec, exec, s[8:9]
	v_mov_b32_e32 v4, 0
	s_and_saveexec_b64 s[8:9], s[4:5]
	s_cbranch_execnz .LBB62_1906
	s_branch .LBB62_1907
	.section	.rodata,"a",@progbits
	.p2align	6, 0x0
	.amdhsa_kernel _ZN2at6native32elementwise_kernel_manual_unrollILi128ELi4EZNS0_15gpu_kernel_implINS0_13AUnaryFunctorIllbNS0_12_GLOBAL__N_116CompareEqFunctorIlEEEEEEvRNS_18TensorIteratorBaseERKT_EUlibE_EEviT1_
		.amdhsa_group_segment_fixed_size 0
		.amdhsa_private_segment_fixed_size 0
		.amdhsa_kernarg_size 56
		.amdhsa_user_sgpr_count 6
		.amdhsa_user_sgpr_private_segment_buffer 1
		.amdhsa_user_sgpr_dispatch_ptr 0
		.amdhsa_user_sgpr_queue_ptr 0
		.amdhsa_user_sgpr_kernarg_segment_ptr 1
		.amdhsa_user_sgpr_dispatch_id 0
		.amdhsa_user_sgpr_flat_scratch_init 0
		.amdhsa_user_sgpr_private_segment_size 0
		.amdhsa_uses_dynamic_stack 0
		.amdhsa_system_sgpr_private_segment_wavefront_offset 0
		.amdhsa_system_sgpr_workgroup_id_x 1
		.amdhsa_system_sgpr_workgroup_id_y 0
		.amdhsa_system_sgpr_workgroup_id_z 0
		.amdhsa_system_sgpr_workgroup_info 0
		.amdhsa_system_vgpr_workitem_id 0
		.amdhsa_next_free_vgpr 15
		.amdhsa_next_free_sgpr 50
		.amdhsa_reserve_vcc 1
		.amdhsa_reserve_flat_scratch 0
		.amdhsa_float_round_mode_32 0
		.amdhsa_float_round_mode_16_64 0
		.amdhsa_float_denorm_mode_32 3
		.amdhsa_float_denorm_mode_16_64 3
		.amdhsa_dx10_clamp 1
		.amdhsa_ieee_mode 1
		.amdhsa_fp16_overflow 0
		.amdhsa_exception_fp_ieee_invalid_op 0
		.amdhsa_exception_fp_denorm_src 0
		.amdhsa_exception_fp_ieee_div_zero 0
		.amdhsa_exception_fp_ieee_overflow 0
		.amdhsa_exception_fp_ieee_underflow 0
		.amdhsa_exception_fp_ieee_inexact 0
		.amdhsa_exception_int_div_zero 0
	.end_amdhsa_kernel
	.section	.text._ZN2at6native32elementwise_kernel_manual_unrollILi128ELi4EZNS0_15gpu_kernel_implINS0_13AUnaryFunctorIllbNS0_12_GLOBAL__N_116CompareEqFunctorIlEEEEEEvRNS_18TensorIteratorBaseERKT_EUlibE_EEviT1_,"axG",@progbits,_ZN2at6native32elementwise_kernel_manual_unrollILi128ELi4EZNS0_15gpu_kernel_implINS0_13AUnaryFunctorIllbNS0_12_GLOBAL__N_116CompareEqFunctorIlEEEEEEvRNS_18TensorIteratorBaseERKT_EUlibE_EEviT1_,comdat
.Lfunc_end62:
	.size	_ZN2at6native32elementwise_kernel_manual_unrollILi128ELi4EZNS0_15gpu_kernel_implINS0_13AUnaryFunctorIllbNS0_12_GLOBAL__N_116CompareEqFunctorIlEEEEEEvRNS_18TensorIteratorBaseERKT_EUlibE_EEviT1_, .Lfunc_end62-_ZN2at6native32elementwise_kernel_manual_unrollILi128ELi4EZNS0_15gpu_kernel_implINS0_13AUnaryFunctorIllbNS0_12_GLOBAL__N_116CompareEqFunctorIlEEEEEEvRNS_18TensorIteratorBaseERKT_EUlibE_EEviT1_
                                        ; -- End function
	.set _ZN2at6native32elementwise_kernel_manual_unrollILi128ELi4EZNS0_15gpu_kernel_implINS0_13AUnaryFunctorIllbNS0_12_GLOBAL__N_116CompareEqFunctorIlEEEEEEvRNS_18TensorIteratorBaseERKT_EUlibE_EEviT1_.num_vgpr, 15
	.set _ZN2at6native32elementwise_kernel_manual_unrollILi128ELi4EZNS0_15gpu_kernel_implINS0_13AUnaryFunctorIllbNS0_12_GLOBAL__N_116CompareEqFunctorIlEEEEEEvRNS_18TensorIteratorBaseERKT_EUlibE_EEviT1_.num_agpr, 0
	.set _ZN2at6native32elementwise_kernel_manual_unrollILi128ELi4EZNS0_15gpu_kernel_implINS0_13AUnaryFunctorIllbNS0_12_GLOBAL__N_116CompareEqFunctorIlEEEEEEvRNS_18TensorIteratorBaseERKT_EUlibE_EEviT1_.numbered_sgpr, 50
	.set _ZN2at6native32elementwise_kernel_manual_unrollILi128ELi4EZNS0_15gpu_kernel_implINS0_13AUnaryFunctorIllbNS0_12_GLOBAL__N_116CompareEqFunctorIlEEEEEEvRNS_18TensorIteratorBaseERKT_EUlibE_EEviT1_.num_named_barrier, 0
	.set _ZN2at6native32elementwise_kernel_manual_unrollILi128ELi4EZNS0_15gpu_kernel_implINS0_13AUnaryFunctorIllbNS0_12_GLOBAL__N_116CompareEqFunctorIlEEEEEEvRNS_18TensorIteratorBaseERKT_EUlibE_EEviT1_.private_seg_size, 0
	.set _ZN2at6native32elementwise_kernel_manual_unrollILi128ELi4EZNS0_15gpu_kernel_implINS0_13AUnaryFunctorIllbNS0_12_GLOBAL__N_116CompareEqFunctorIlEEEEEEvRNS_18TensorIteratorBaseERKT_EUlibE_EEviT1_.uses_vcc, 1
	.set _ZN2at6native32elementwise_kernel_manual_unrollILi128ELi4EZNS0_15gpu_kernel_implINS0_13AUnaryFunctorIllbNS0_12_GLOBAL__N_116CompareEqFunctorIlEEEEEEvRNS_18TensorIteratorBaseERKT_EUlibE_EEviT1_.uses_flat_scratch, 0
	.set _ZN2at6native32elementwise_kernel_manual_unrollILi128ELi4EZNS0_15gpu_kernel_implINS0_13AUnaryFunctorIllbNS0_12_GLOBAL__N_116CompareEqFunctorIlEEEEEEvRNS_18TensorIteratorBaseERKT_EUlibE_EEviT1_.has_dyn_sized_stack, 0
	.set _ZN2at6native32elementwise_kernel_manual_unrollILi128ELi4EZNS0_15gpu_kernel_implINS0_13AUnaryFunctorIllbNS0_12_GLOBAL__N_116CompareEqFunctorIlEEEEEEvRNS_18TensorIteratorBaseERKT_EUlibE_EEviT1_.has_recursion, 0
	.set _ZN2at6native32elementwise_kernel_manual_unrollILi128ELi4EZNS0_15gpu_kernel_implINS0_13AUnaryFunctorIllbNS0_12_GLOBAL__N_116CompareEqFunctorIlEEEEEEvRNS_18TensorIteratorBaseERKT_EUlibE_EEviT1_.has_indirect_call, 0
	.section	.AMDGPU.csdata,"",@progbits
; Kernel info:
; codeLenInByte = 35020
; TotalNumSgprs: 54
; NumVgprs: 15
; ScratchSize: 0
; MemoryBound: 1
; FloatMode: 240
; IeeeMode: 1
; LDSByteSize: 0 bytes/workgroup (compile time only)
; SGPRBlocks: 6
; VGPRBlocks: 3
; NumSGPRsForWavesPerEU: 54
; NumVGPRsForWavesPerEU: 15
; Occupancy: 10
; WaveLimiterHint : 0
; COMPUTE_PGM_RSRC2:SCRATCH_EN: 0
; COMPUTE_PGM_RSRC2:USER_SGPR: 6
; COMPUTE_PGM_RSRC2:TRAP_HANDLER: 0
; COMPUTE_PGM_RSRC2:TGID_X_EN: 1
; COMPUTE_PGM_RSRC2:TGID_Y_EN: 0
; COMPUTE_PGM_RSRC2:TGID_Z_EN: 0
; COMPUTE_PGM_RSRC2:TIDIG_COMP_CNT: 0
	.section	.text._ZN2at6native32elementwise_kernel_manual_unrollILi128ELi4EZNS0_15gpu_kernel_implINS0_13AUnaryFunctorIllbNS0_12_GLOBAL__N_116CompareEqFunctorIlEEEEEEvRNS_18TensorIteratorBaseERKT_EUlibE0_EEviT1_,"axG",@progbits,_ZN2at6native32elementwise_kernel_manual_unrollILi128ELi4EZNS0_15gpu_kernel_implINS0_13AUnaryFunctorIllbNS0_12_GLOBAL__N_116CompareEqFunctorIlEEEEEEvRNS_18TensorIteratorBaseERKT_EUlibE0_EEviT1_,comdat
	.globl	_ZN2at6native32elementwise_kernel_manual_unrollILi128ELi4EZNS0_15gpu_kernel_implINS0_13AUnaryFunctorIllbNS0_12_GLOBAL__N_116CompareEqFunctorIlEEEEEEvRNS_18TensorIteratorBaseERKT_EUlibE0_EEviT1_ ; -- Begin function _ZN2at6native32elementwise_kernel_manual_unrollILi128ELi4EZNS0_15gpu_kernel_implINS0_13AUnaryFunctorIllbNS0_12_GLOBAL__N_116CompareEqFunctorIlEEEEEEvRNS_18TensorIteratorBaseERKT_EUlibE0_EEviT1_
	.p2align	8
	.type	_ZN2at6native32elementwise_kernel_manual_unrollILi128ELi4EZNS0_15gpu_kernel_implINS0_13AUnaryFunctorIllbNS0_12_GLOBAL__N_116CompareEqFunctorIlEEEEEEvRNS_18TensorIteratorBaseERKT_EUlibE0_EEviT1_,@function
_ZN2at6native32elementwise_kernel_manual_unrollILi128ELi4EZNS0_15gpu_kernel_implINS0_13AUnaryFunctorIllbNS0_12_GLOBAL__N_116CompareEqFunctorIlEEEEEEvRNS_18TensorIteratorBaseERKT_EUlibE0_EEviT1_: ; @_ZN2at6native32elementwise_kernel_manual_unrollILi128ELi4EZNS0_15gpu_kernel_implINS0_13AUnaryFunctorIllbNS0_12_GLOBAL__N_116CompareEqFunctorIlEEEEEEvRNS_18TensorIteratorBaseERKT_EUlibE0_EEviT1_
; %bb.0:
	s_load_dword s74, s[4:5], 0x0
	s_load_dword s33, s[4:5], 0x8
	s_add_u32 s34, s4, 8
	s_addc_u32 s35, s5, 0
	v_lshl_or_b32 v11, s6, 9, v0
	v_or_b32_e32 v15, 0x180, v11
	s_waitcnt lgkmcnt(0)
	s_add_i32 s76, s33, -1
	s_cmp_gt_u32 s76, 1
	v_cmp_le_i32_e32 vcc, s74, v15
	s_cselect_b64 s[40:41], -1, 0
	s_mov_b64 s[6:7], 0
	s_mov_b64 s[28:29], 0
	s_and_saveexec_b64 s[0:1], vcc
	s_xor_b64 s[42:43], exec, s[0:1]
	s_cbranch_execz .LBB63_1070
; %bb.1:
	s_load_dwordx4 s[28:31], s[34:35], 0x4
	s_load_dwordx2 s[48:49], s[34:35], 0x14
	s_load_dword s0, s[34:35], 0x158
	s_load_dwordx2 s[44:45], s[34:35], 0x160
	s_load_dword s77, s[34:35], 0x168
	s_cmp_lg_u32 s33, 0
	s_cselect_b64 s[54:55], -1, 0
	s_add_u32 s52, s34, 0xc4
	s_addc_u32 s53, s35, 0
	s_min_u32 s79, s76, 15
	s_load_dwordx4 s[36:39], s[34:35], 0xc4
	s_load_dwordx4 s[24:27], s[34:35], 0x148
	s_cmp_gt_u32 s33, 1
	s_cselect_b64 s[50:51], -1, 0
	s_waitcnt lgkmcnt(0)
	s_bfe_u32 s78, s77, 0x80008
	s_cmp_eq_u32 s0, 0
	s_cselect_b64 s[46:47], -1, 0
	v_cmp_gt_i32_e32 vcc, s74, v11
	s_mov_b64 s[2:3], -1
	s_mov_b64 s[64:65], 0
	s_mov_b64 s[58:59], 0
	;; [unrolled: 1-line block ×3, first 2 shown]
	s_and_saveexec_b64 s[60:61], vcc
	s_cbranch_execz .LBB63_262
; %bb.2:
	s_andn2_b64 vcc, exec, s[40:41]
	s_cbranch_vccnz .LBB63_7
; %bb.3:
	s_andn2_b64 vcc, exec, s[54:55]
	s_cbranch_vccnz .LBB63_8
; %bb.4:
	s_add_i32 s63, s79, 1
	s_cmp_eq_u32 s76, 2
	s_cbranch_scc1 .LBB63_9
; %bb.5:
	s_and_b32 s62, s63, 28
	v_mov_b32_e32 v2, 0
	s_mov_b32 s66, 0
	s_mov_b64 s[56:57], s[34:35]
	s_mov_b64 s[58:59], s[52:53]
	v_mov_b32_e32 v0, 0
	v_mov_b32_e32 v1, v11
.LBB63_6:                               ; =>This Inner Loop Header: Depth=1
	s_load_dwordx8 s[16:23], s[56:57], 0x4
	s_load_dwordx4 s[0:3], s[56:57], 0x24
	s_load_dwordx8 s[8:15], s[58:59], 0x0
	s_add_u32 s56, s56, 48
	s_addc_u32 s57, s57, 0
	s_waitcnt lgkmcnt(0)
	v_mul_hi_u32 v3, s17, v1
	s_add_i32 s66, s66, 4
	s_add_u32 s58, s58, 32
	s_addc_u32 s59, s59, 0
	v_add_u32_e32 v3, v1, v3
	v_lshrrev_b32_e32 v3, s18, v3
	v_mul_lo_u32 v4, v3, s16
	v_mul_hi_u32 v5, s20, v3
	s_cmp_lg_u32 s62, s66
	v_sub_u32_e32 v1, v1, v4
	v_add_u32_e32 v4, v3, v5
	v_mul_lo_u32 v5, v1, s8
	v_mul_lo_u32 v6, v1, s9
	v_lshrrev_b32_e32 v1, s21, v4
	v_mul_lo_u32 v4, v1, s19
	v_mul_hi_u32 v7, s23, v1
	v_sub_u32_e32 v3, v3, v4
	v_add_u32_e32 v4, v1, v7
	v_lshrrev_b32_e32 v4, s0, v4
	v_mul_hi_u32 v8, s2, v4
	v_mul_lo_u32 v9, v4, s22
	v_mul_lo_u32 v7, v3, s10
	;; [unrolled: 1-line block ×3, first 2 shown]
	v_sub_u32_e32 v9, v1, v9
	v_add_u32_e32 v1, v4, v8
	v_lshrrev_b32_e32 v1, s3, v1
	v_mul_lo_u32 v8, v1, s1
	v_mul_lo_u32 v10, v9, s12
	;; [unrolled: 1-line block ×3, first 2 shown]
	v_add3_u32 v0, v5, v0, v7
	v_sub_u32_e32 v4, v4, v8
	v_mul_lo_u32 v8, v4, s14
	v_mul_lo_u32 v4, v4, s15
	v_add3_u32 v2, v6, v2, v3
	v_add3_u32 v0, v10, v0, v8
	v_add3_u32 v2, v9, v2, v4
	s_cbranch_scc1 .LBB63_6
	s_branch .LBB63_10
.LBB63_7:
                                        ; implicit-def: $vgpr0
                                        ; implicit-def: $vgpr2
	s_branch .LBB63_14
.LBB63_8:
	v_mov_b32_e32 v0, 0
	v_mov_b32_e32 v2, 0
	s_branch .LBB63_13
.LBB63_9:
	s_mov_b32 s62, 0
	v_mov_b32_e32 v0, 0
	v_mov_b32_e32 v2, 0
	;; [unrolled: 1-line block ×3, first 2 shown]
.LBB63_10:
	s_and_b32 s8, s63, 3
	s_cmp_eq_u32 s8, 0
	s_cbranch_scc1 .LBB63_13
; %bb.11:
	s_lshl_b32 s0, s62, 3
	s_add_u32 s0, s34, s0
	s_addc_u32 s1, s35, 0
	s_add_u32 s0, s0, 0xc4
	s_addc_u32 s1, s1, 0
	s_mul_i32 s2, s62, 12
	s_add_u32 s2, s34, s2
	s_addc_u32 s3, s35, 0
.LBB63_12:                              ; =>This Inner Loop Header: Depth=1
	s_load_dwordx2 s[10:11], s[2:3], 0x4
	s_load_dword s9, s[2:3], 0xc
	s_load_dwordx2 s[12:13], s[0:1], 0x0
	s_add_u32 s2, s2, 12
	s_addc_u32 s3, s3, 0
	s_waitcnt lgkmcnt(0)
	v_mul_hi_u32 v3, s11, v1
	s_add_u32 s0, s0, 8
	s_addc_u32 s1, s1, 0
	s_add_i32 s8, s8, -1
	v_add_u32_e32 v3, v1, v3
	v_lshrrev_b32_e32 v4, s9, v3
	v_mul_lo_u32 v3, v4, s10
	s_cmp_lg_u32 s8, 0
	v_sub_u32_e32 v3, v1, v3
	v_mad_u64_u32 v[0:1], s[10:11], v3, s12, v[0:1]
	v_mad_u64_u32 v[2:3], s[10:11], v3, s13, v[2:3]
	v_mov_b32_e32 v1, v4
	s_cbranch_scc1 .LBB63_12
.LBB63_13:
	s_cbranch_execnz .LBB63_16
.LBB63_14:
	v_mul_hi_u32 v0, s29, v11
	s_andn2_b64 vcc, exec, s[50:51]
	v_add_u32_e32 v0, v11, v0
	v_lshrrev_b32_e32 v1, s30, v0
	v_mul_lo_u32 v0, v1, s28
	v_sub_u32_e32 v2, v11, v0
	v_mul_lo_u32 v0, v2, s36
	v_mul_lo_u32 v2, v2, s37
	s_cbranch_vccnz .LBB63_16
; %bb.15:
	v_mul_hi_u32 v3, s48, v1
	v_add_u32_e32 v3, v1, v3
	v_lshrrev_b32_e32 v3, s49, v3
	v_mul_lo_u32 v3, v3, s31
	v_sub_u32_e32 v3, v1, v3
	v_mad_u64_u32 v[0:1], s[0:1], v3, s38, v[0:1]
	v_mad_u64_u32 v[2:3], s[0:1], v3, s39, v[2:3]
.LBB63_16:
	v_mov_b32_e32 v3, s27
	s_and_b32 s10, 0xffff, s78
	v_add_co_u32_e32 v1, vcc, s26, v2
	s_cmp_lt_i32 s10, 11
	v_addc_co_u32_e32 v2, vcc, 0, v3, vcc
	s_cbranch_scc1 .LBB63_23
; %bb.17:
	s_cmp_gt_i32 s10, 25
	s_cbranch_scc0 .LBB63_32
; %bb.18:
	s_cmp_gt_i32 s10, 28
	s_cbranch_scc0 .LBB63_35
	;; [unrolled: 3-line block ×4, first 2 shown]
; %bb.21:
	s_cmp_eq_u32 s10, 46
	s_mov_b64 s[8:9], 0
	s_cbranch_scc0 .LBB63_41
; %bb.22:
	global_load_dword v3, v[1:2], off
	s_mov_b32 s0, 0x2f800000
	s_mov_b32 s1, 0xcf800000
	s_mov_b64 s[2:3], 0
	s_waitcnt vmcnt(0)
	v_lshlrev_b32_e32 v3, 16, v3
	v_trunc_f32_e32 v3, v3
	v_mul_f32_e64 v4, |v3|, s0
	v_floor_f32_e32 v4, v4
	v_fma_f32 v5, v4, s1, |v3|
	v_cvt_u32_f32_e32 v5, v5
	v_cvt_u32_f32_e32 v4, v4
	v_ashrrev_i32_e32 v6, 31, v3
	s_mov_b64 s[0:1], -1
	v_xor_b32_e32 v3, v5, v6
	v_xor_b32_e32 v4, v4, v6
	v_sub_co_u32_e32 v3, vcc, v3, v6
	v_subb_co_u32_e32 v4, vcc, v4, v6, vcc
	s_branch .LBB63_43
.LBB63_23:
	s_mov_b64 s[2:3], 0
                                        ; implicit-def: $vgpr3_vgpr4
	s_mov_b64 s[0:1], 0
	s_cbranch_execnz .LBB63_212
.LBB63_24:
	s_andn2_b64 vcc, exec, s[0:1]
	s_cbranch_vccnz .LBB63_259
.LBB63_25:
	s_waitcnt vmcnt(0)
	v_cmp_ne_u64_e32 vcc, s[44:45], v[3:4]
	v_mov_b32_e32 v1, s25
	s_xor_b64 s[8:9], s[46:47], vcc
	s_and_b32 s16, s77, 0xff
	v_add_co_u32_e32 v0, vcc, s24, v0
	s_cmp_lt_i32 s16, 11
	v_addc_co_u32_e32 v1, vcc, 0, v1, vcc
	s_cbranch_scc1 .LBB63_33
; %bb.26:
	s_and_b32 s17, 0xffff, s16
	s_cmp_gt_i32 s17, 25
	s_cbranch_scc0 .LBB63_36
; %bb.27:
	s_cmp_gt_i32 s17, 28
	s_cbranch_scc0 .LBB63_38
; %bb.28:
	;; [unrolled: 3-line block ×4, first 2 shown]
	s_mov_b64 s[12:13], 0
	s_mov_b64 s[0:1], -1
	s_cmp_eq_u32 s17, 46
	s_mov_b64 s[10:11], 0
	s_cbranch_scc0 .LBB63_47
; %bb.31:
	v_cndmask_b32_e64 v2, 0, 1.0, s[8:9]
	v_bfe_u32 v3, v2, 16, 1
	s_movk_i32 s0, 0x7fff
	v_add3_u32 v2, v2, v3, s0
	v_lshrrev_b32_e32 v2, 16, v2
	global_store_dword v[0:1], v2, off
	s_mov_b64 s[10:11], -1
	s_mov_b64 s[0:1], 0
	s_branch .LBB63_47
.LBB63_32:
	s_mov_b64 s[2:3], 0
	s_mov_b64 s[0:1], 0
                                        ; implicit-def: $vgpr3_vgpr4
	s_cbranch_execnz .LBB63_181
	s_branch .LBB63_211
.LBB63_33:
	s_mov_b64 s[0:1], 0
	s_mov_b64 s[10:11], 0
	s_cbranch_execnz .LBB63_116
.LBB63_34:
	s_andn2_b64 vcc, exec, s[10:11]
	s_cbranch_vccnz .LBB63_260
	s_branch .LBB63_154
.LBB63_35:
	s_mov_b64 s[8:9], -1
	s_mov_b64 s[2:3], 0
	s_mov_b64 s[0:1], 0
                                        ; implicit-def: $vgpr3_vgpr4
	s_branch .LBB63_162
.LBB63_36:
	s_mov_b64 s[12:13], -1
	s_mov_b64 s[0:1], 0
	s_mov_b64 s[10:11], 0
	s_branch .LBB63_74
.LBB63_37:
	s_mov_b64 s[8:9], -1
	s_mov_b64 s[2:3], 0
	s_mov_b64 s[0:1], 0
                                        ; implicit-def: $vgpr3_vgpr4
	s_branch .LBB63_157
.LBB63_38:
	s_mov_b64 s[12:13], -1
	s_mov_b64 s[0:1], 0
	s_mov_b64 s[10:11], 0
	s_branch .LBB63_57
.LBB63_39:
	s_mov_b64 s[8:9], -1
	s_mov_b64 s[2:3], 0
	s_branch .LBB63_42
.LBB63_40:
	s_mov_b64 s[12:13], -1
	s_mov_b64 s[0:1], 0
	s_mov_b64 s[10:11], 0
	s_branch .LBB63_53
.LBB63_41:
	s_mov_b64 s[2:3], -1
.LBB63_42:
	s_mov_b64 s[0:1], 0
                                        ; implicit-def: $vgpr3_vgpr4
.LBB63_43:
	s_and_b64 vcc, exec, s[8:9]
	s_cbranch_vccz .LBB63_156
; %bb.44:
	s_cmp_eq_u32 s10, 44
	s_cbranch_scc0 .LBB63_155
; %bb.45:
	global_load_ubyte v3, v[1:2], off
	s_mov_b32 s0, 0x2f800000
	s_mov_b32 s1, 0xcf800000
	s_mov_b64 s[2:3], 0
	s_waitcnt vmcnt(0)
	v_lshlrev_b32_e32 v4, 23, v3
	v_trunc_f32_e32 v4, v4
	v_mul_f32_e64 v5, |v4|, s0
	v_floor_f32_e32 v5, v5
	v_fma_f32 v6, v5, s1, |v4|
	v_cvt_u32_f32_e32 v6, v6
	v_cvt_u32_f32_e32 v5, v5
	v_ashrrev_i32_e32 v4, 31, v4
	s_mov_b64 s[0:1], -1
	v_xor_b32_e32 v6, v6, v4
	v_xor_b32_e32 v5, v5, v4
	v_sub_co_u32_e32 v6, vcc, v6, v4
	v_subb_co_u32_e32 v4, vcc, v5, v4, vcc
	v_cmp_ne_u32_e32 vcc, 0, v3
	v_cndmask_b32_e32 v4, 0, v4, vcc
	v_cndmask_b32_e32 v3, 0, v6, vcc
	s_branch .LBB63_156
.LBB63_46:
	s_mov_b64 s[12:13], -1
	s_mov_b64 s[0:1], 0
	s_mov_b64 s[10:11], 0
.LBB63_47:
	s_and_b64 vcc, exec, s[12:13]
	s_cbranch_vccz .LBB63_52
; %bb.48:
	s_cmp_eq_u32 s17, 44
	s_mov_b64 s[0:1], -1
	s_cbranch_scc0 .LBB63_52
; %bb.49:
	v_cndmask_b32_e64 v3, 0, 1.0, s[8:9]
	v_lshrrev_b32_e32 v2, 23, v3
	s_movk_i32 s0, 0xff
	v_cmp_ne_u32_e32 vcc, s0, v2
	v_mov_b32_e32 v4, 0xff
	s_and_saveexec_b64 s[10:11], vcc
; %bb.50:
	s_mov_b32 s0, 0x3fffff
	v_and_b32_e32 v4, 0x400000, v3
	v_and_or_b32 v3, v3, s0, v2
	v_cmp_ne_u32_e32 vcc, 0, v4
	v_cmp_ne_u32_e64 s[0:1], 0, v3
	s_and_b64 s[0:1], vcc, s[0:1]
	v_cndmask_b32_e64 v3, 0, 1, s[0:1]
	v_add_u32_e32 v4, v2, v3
; %bb.51:
	s_or_b64 exec, exec, s[10:11]
	s_mov_b64 s[10:11], -1
	s_mov_b64 s[0:1], 0
	global_store_byte v[0:1], v4, off
.LBB63_52:
	s_mov_b64 s[12:13], 0
.LBB63_53:
	s_and_b64 vcc, exec, s[12:13]
	s_cbranch_vccz .LBB63_56
; %bb.54:
	s_cmp_eq_u32 s17, 29
	s_mov_b64 s[0:1], -1
	s_cbranch_scc0 .LBB63_56
; %bb.55:
	s_mov_b32 s0, 0
	v_cndmask_b32_e64 v2, 0, 1, s[8:9]
	v_mov_b32_e32 v3, s0
	global_store_dwordx2 v[0:1], v[2:3], off
	s_mov_b64 s[10:11], -1
	s_mov_b64 s[0:1], 0
.LBB63_56:
	s_mov_b64 s[12:13], 0
.LBB63_57:
	s_and_b64 vcc, exec, s[12:13]
	s_cbranch_vccz .LBB63_73
; %bb.58:
	s_cmp_lt_i32 s17, 27
	s_mov_b64 s[10:11], -1
	s_cbranch_scc1 .LBB63_64
; %bb.59:
	s_cmp_gt_i32 s17, 27
	s_cbranch_scc0 .LBB63_61
; %bb.60:
	v_cndmask_b32_e64 v2, 0, 1, s[8:9]
	s_mov_b64 s[10:11], 0
	global_store_dword v[0:1], v2, off
.LBB63_61:
	s_andn2_b64 vcc, exec, s[10:11]
	s_cbranch_vccnz .LBB63_63
; %bb.62:
	v_cndmask_b32_e64 v2, 0, 1, s[8:9]
	global_store_short v[0:1], v2, off
.LBB63_63:
	s_mov_b64 s[10:11], 0
.LBB63_64:
	s_andn2_b64 vcc, exec, s[10:11]
	s_cbranch_vccnz .LBB63_72
; %bb.65:
	v_cndmask_b32_e64 v3, 0, 1.0, s[8:9]
	s_mov_b32 s10, 0x43800000
	v_cmp_gt_u32_e32 vcc, s10, v3
	v_mov_b32_e32 v4, 0x80
	s_and_saveexec_b64 s[10:11], vcc
	s_cbranch_execz .LBB63_71
; %bb.66:
	s_mov_b32 s12, 0x3bffffff
	v_cmp_lt_u32_e32 vcc, s12, v3
	s_mov_b64 s[12:13], 0
                                        ; implicit-def: $vgpr2
	s_and_saveexec_b64 s[14:15], vcc
	s_xor_b64 s[14:15], exec, s[14:15]
	s_cbranch_execz .LBB63_303
; %bb.67:
	v_bfe_u32 v2, v3, 20, 1
	s_mov_b32 s18, 0x487ffff
	v_add3_u32 v2, v3, v2, s18
	s_mov_b64 s[12:13], exec
	v_lshrrev_b32_e32 v2, 20, v2
                                        ; implicit-def: $vgpr3
	s_andn2_saveexec_b64 s[14:15], s[14:15]
	s_cbranch_execnz .LBB63_304
.LBB63_68:
	s_or_b64 exec, exec, s[14:15]
	v_mov_b32_e32 v4, 0
	s_and_saveexec_b64 s[14:15], s[12:13]
.LBB63_69:
	v_mov_b32_e32 v4, v2
.LBB63_70:
	s_or_b64 exec, exec, s[14:15]
.LBB63_71:
	s_or_b64 exec, exec, s[10:11]
	global_store_byte v[0:1], v4, off
.LBB63_72:
	s_mov_b64 s[10:11], -1
.LBB63_73:
	s_mov_b64 s[12:13], 0
.LBB63_74:
	s_and_b64 vcc, exec, s[12:13]
	s_cbranch_vccz .LBB63_115
; %bb.75:
	s_cmp_gt_i32 s17, 22
	s_mov_b64 s[12:13], -1
	s_cbranch_scc0 .LBB63_107
; %bb.76:
	s_cmp_lt_i32 s17, 24
	s_mov_b64 s[10:11], -1
	s_cbranch_scc1 .LBB63_96
; %bb.77:
	s_cmp_gt_i32 s17, 24
	s_cbranch_scc0 .LBB63_85
; %bb.78:
	v_cndmask_b32_e64 v3, 0, 1.0, s[8:9]
	s_mov_b32 s10, 0x47800000
	v_cmp_gt_u32_e32 vcc, s10, v3
	v_mov_b32_e32 v4, 0x80
	s_and_saveexec_b64 s[10:11], vcc
	s_cbranch_execz .LBB63_84
; %bb.79:
	s_mov_b32 s12, 0x37ffffff
	v_cmp_lt_u32_e32 vcc, s12, v3
	s_mov_b64 s[12:13], 0
                                        ; implicit-def: $vgpr2
	s_and_saveexec_b64 s[14:15], vcc
	s_xor_b64 s[14:15], exec, s[14:15]
	s_cbranch_execz .LBB63_307
; %bb.80:
	v_bfe_u32 v2, v3, 21, 1
	s_mov_b32 s18, 0x88fffff
	v_add3_u32 v2, v3, v2, s18
	s_mov_b64 s[12:13], exec
	v_lshrrev_b32_e32 v2, 21, v2
                                        ; implicit-def: $vgpr3
	s_andn2_saveexec_b64 s[14:15], s[14:15]
	s_cbranch_execnz .LBB63_308
.LBB63_81:
	s_or_b64 exec, exec, s[14:15]
	v_mov_b32_e32 v4, 0
	s_and_saveexec_b64 s[14:15], s[12:13]
.LBB63_82:
	v_mov_b32_e32 v4, v2
.LBB63_83:
	s_or_b64 exec, exec, s[14:15]
.LBB63_84:
	s_or_b64 exec, exec, s[10:11]
	s_mov_b64 s[10:11], 0
	global_store_byte v[0:1], v4, off
.LBB63_85:
	s_and_b64 vcc, exec, s[10:11]
	s_cbranch_vccz .LBB63_95
; %bb.86:
	v_cndmask_b32_e64 v2, 0, 1.0, s[8:9]
	s_mov_b32 s10, 0x43f00000
	v_cmp_gt_u32_e32 vcc, s10, v2
                                        ; implicit-def: $vgpr3
	s_and_saveexec_b64 s[10:11], vcc
	s_xor_b64 s[10:11], exec, s[10:11]
	s_cbranch_execz .LBB63_92
; %bb.87:
	s_mov_b32 s12, 0x3c7fffff
	v_cmp_lt_u32_e32 vcc, s12, v2
                                        ; implicit-def: $vgpr3
	s_and_saveexec_b64 s[12:13], vcc
	s_xor_b64 s[12:13], exec, s[12:13]
; %bb.88:
	v_bfe_u32 v3, v2, 20, 1
	s_mov_b32 s14, 0x407ffff
	v_add3_u32 v2, v2, v3, s14
	v_lshrrev_b32_e32 v3, 20, v2
	v_and_b32_e32 v2, 0xff00000, v2
	s_mov_b32 s14, 0x7f00000
	v_mov_b32_e32 v4, 0x7e
	v_cmp_ne_u32_e32 vcc, s14, v2
	v_cndmask_b32_e32 v3, v4, v3, vcc
                                        ; implicit-def: $vgpr2
; %bb.89:
	s_andn2_saveexec_b64 s[12:13], s[12:13]
; %bb.90:
	v_add_f32_e32 v3, 0x46800000, v2
; %bb.91:
	s_or_b64 exec, exec, s[12:13]
                                        ; implicit-def: $vgpr2
.LBB63_92:
	s_andn2_saveexec_b64 s[10:11], s[10:11]
; %bb.93:
	s_mov_b32 s12, 0x7f800000
	v_mov_b32_e32 v3, 0x7e
	v_mov_b32_e32 v4, 0x7f
	v_cmp_lt_u32_e32 vcc, s12, v2
	v_cndmask_b32_e32 v3, v3, v4, vcc
; %bb.94:
	s_or_b64 exec, exec, s[10:11]
	global_store_byte v[0:1], v3, off
.LBB63_95:
	s_mov_b64 s[10:11], 0
.LBB63_96:
	s_andn2_b64 vcc, exec, s[10:11]
	s_cbranch_vccnz .LBB63_106
; %bb.97:
	v_cndmask_b32_e64 v2, 0, 1.0, s[8:9]
	s_mov_b32 s10, 0x47800000
	v_cmp_gt_u32_e32 vcc, s10, v2
                                        ; implicit-def: $vgpr3
	s_and_saveexec_b64 s[10:11], vcc
	s_xor_b64 s[10:11], exec, s[10:11]
	s_cbranch_execz .LBB63_103
; %bb.98:
	s_mov_b32 s12, 0x387fffff
	v_cmp_lt_u32_e32 vcc, s12, v2
                                        ; implicit-def: $vgpr3
	s_and_saveexec_b64 s[12:13], vcc
	s_xor_b64 s[12:13], exec, s[12:13]
; %bb.99:
	v_bfe_u32 v3, v2, 21, 1
	s_mov_b32 s14, 0x80fffff
	v_add3_u32 v2, v2, v3, s14
	v_lshrrev_b32_e32 v3, 21, v2
                                        ; implicit-def: $vgpr2
; %bb.100:
	s_andn2_saveexec_b64 s[12:13], s[12:13]
; %bb.101:
	v_add_f32_e32 v3, 0x43000000, v2
; %bb.102:
	s_or_b64 exec, exec, s[12:13]
                                        ; implicit-def: $vgpr2
.LBB63_103:
	s_andn2_saveexec_b64 s[10:11], s[10:11]
; %bb.104:
	s_mov_b32 s12, 0x7f800000
	v_mov_b32_e32 v3, 0x7c
	v_mov_b32_e32 v4, 0x7f
	v_cmp_lt_u32_e32 vcc, s12, v2
	v_cndmask_b32_e32 v3, v3, v4, vcc
; %bb.105:
	s_or_b64 exec, exec, s[10:11]
	global_store_byte v[0:1], v3, off
.LBB63_106:
	s_mov_b64 s[12:13], 0
	s_mov_b64 s[10:11], -1
.LBB63_107:
	s_andn2_b64 vcc, exec, s[12:13]
	s_cbranch_vccnz .LBB63_115
; %bb.108:
	s_cmp_gt_i32 s17, 14
	s_mov_b64 s[12:13], -1
	s_cbranch_scc0 .LBB63_112
; %bb.109:
	s_cmp_eq_u32 s17, 15
	s_mov_b64 s[0:1], -1
	s_cbranch_scc0 .LBB63_111
; %bb.110:
	v_cndmask_b32_e64 v2, 0, 1.0, s[8:9]
	v_bfe_u32 v3, v2, 16, 1
	s_movk_i32 s0, 0x7fff
	v_add3_u32 v2, v2, v3, s0
	global_store_short_d16_hi v[0:1], v2, off
	s_mov_b64 s[10:11], -1
	s_mov_b64 s[0:1], 0
.LBB63_111:
	s_mov_b64 s[12:13], 0
.LBB63_112:
	s_and_b64 vcc, exec, s[12:13]
	s_cbranch_vccz .LBB63_115
; %bb.113:
	s_cmp_eq_u32 s17, 11
	s_mov_b64 s[0:1], -1
	s_cbranch_scc0 .LBB63_115
; %bb.114:
	v_cndmask_b32_e64 v2, 0, 1, s[8:9]
	s_mov_b64 s[10:11], -1
	s_mov_b64 s[0:1], 0
	global_store_byte v[0:1], v2, off
.LBB63_115:
	s_branch .LBB63_34
.LBB63_116:
	s_and_b32 s12, 0xffff, s16
	s_cmp_lt_i32 s12, 5
	s_mov_b64 s[10:11], -1
	s_cbranch_scc1 .LBB63_137
; %bb.117:
	s_cmp_lt_i32 s12, 8
	s_cbranch_scc1 .LBB63_127
; %bb.118:
	s_cmp_lt_i32 s12, 9
	s_cbranch_scc1 .LBB63_124
; %bb.119:
	s_cmp_gt_i32 s12, 9
	s_cbranch_scc0 .LBB63_121
; %bb.120:
	v_cndmask_b32_e64 v2, 0, 1, s[8:9]
	v_cvt_f64_u32_e32 v[2:3], v2
	v_mov_b32_e32 v4, 0
	v_mov_b32_e32 v5, v4
	s_mov_b64 s[10:11], 0
	global_store_dwordx4 v[0:1], v[2:5], off
.LBB63_121:
	s_andn2_b64 vcc, exec, s[10:11]
	s_cbranch_vccnz .LBB63_123
; %bb.122:
	v_cndmask_b32_e64 v2, 0, 1.0, s[8:9]
	v_mov_b32_e32 v3, 0
	global_store_dwordx2 v[0:1], v[2:3], off
.LBB63_123:
	s_mov_b64 s[10:11], 0
.LBB63_124:
	s_andn2_b64 vcc, exec, s[10:11]
	s_cbranch_vccnz .LBB63_126
; %bb.125:
	v_cndmask_b32_e64 v2, 0, 1.0, s[8:9]
	v_cvt_f16_f32_e32 v2, v2
	global_store_dword v[0:1], v2, off
.LBB63_126:
	s_mov_b64 s[10:11], 0
.LBB63_127:
	s_andn2_b64 vcc, exec, s[10:11]
	s_cbranch_vccnz .LBB63_136
; %bb.128:
	s_cmp_lt_i32 s12, 6
	s_mov_b64 s[10:11], -1
	s_cbranch_scc1 .LBB63_134
; %bb.129:
	s_cmp_gt_i32 s12, 6
	s_cbranch_scc0 .LBB63_131
; %bb.130:
	v_cndmask_b32_e64 v2, 0, 1, s[8:9]
	v_cvt_f64_u32_e32 v[2:3], v2
	s_mov_b64 s[10:11], 0
	global_store_dwordx2 v[0:1], v[2:3], off
.LBB63_131:
	s_andn2_b64 vcc, exec, s[10:11]
	s_cbranch_vccnz .LBB63_133
; %bb.132:
	v_cndmask_b32_e64 v2, 0, 1.0, s[8:9]
	global_store_dword v[0:1], v2, off
.LBB63_133:
	s_mov_b64 s[10:11], 0
.LBB63_134:
	s_andn2_b64 vcc, exec, s[10:11]
	s_cbranch_vccnz .LBB63_136
; %bb.135:
	v_cndmask_b32_e64 v2, 0, 1.0, s[8:9]
	v_cvt_f16_f32_e32 v2, v2
	global_store_short v[0:1], v2, off
.LBB63_136:
	s_mov_b64 s[10:11], 0
.LBB63_137:
	s_andn2_b64 vcc, exec, s[10:11]
	s_cbranch_vccnz .LBB63_153
; %bb.138:
	s_cmp_lt_i32 s12, 2
	s_mov_b64 s[10:11], -1
	s_cbranch_scc1 .LBB63_148
; %bb.139:
	s_cmp_lt_i32 s12, 3
	s_cbranch_scc1 .LBB63_145
; %bb.140:
	s_cmp_gt_i32 s12, 3
	s_cbranch_scc0 .LBB63_142
; %bb.141:
	s_mov_b32 s10, 0
	v_cndmask_b32_e64 v2, 0, 1, s[8:9]
	v_mov_b32_e32 v3, s10
	global_store_dwordx2 v[0:1], v[2:3], off
	s_mov_b64 s[10:11], 0
.LBB63_142:
	s_andn2_b64 vcc, exec, s[10:11]
	s_cbranch_vccnz .LBB63_144
; %bb.143:
	v_cndmask_b32_e64 v2, 0, 1, s[8:9]
	global_store_dword v[0:1], v2, off
.LBB63_144:
	s_mov_b64 s[10:11], 0
.LBB63_145:
	s_andn2_b64 vcc, exec, s[10:11]
	s_cbranch_vccnz .LBB63_147
; %bb.146:
	v_cndmask_b32_e64 v2, 0, 1, s[8:9]
	global_store_short v[0:1], v2, off
.LBB63_147:
	s_mov_b64 s[10:11], 0
.LBB63_148:
	s_andn2_b64 vcc, exec, s[10:11]
	s_cbranch_vccnz .LBB63_153
; %bb.149:
	s_cmp_gt_i32 s12, 0
	s_mov_b64 s[10:11], -1
	s_cbranch_scc0 .LBB63_151
; %bb.150:
	v_cndmask_b32_e64 v2, 0, 1, s[8:9]
	global_store_byte v[0:1], v2, off
	s_mov_b64 s[10:11], 0
.LBB63_151:
	s_andn2_b64 vcc, exec, s[10:11]
	s_cbranch_vccnz .LBB63_153
; %bb.152:
	v_cndmask_b32_e64 v2, 0, 1, s[8:9]
	global_store_byte v[0:1], v2, off
.LBB63_153:
.LBB63_154:
	v_add_u32_e32 v11, 0x80, v11
	s_mov_b64 s[8:9], -1
	s_branch .LBB63_261
.LBB63_155:
	s_mov_b64 s[2:3], -1
                                        ; implicit-def: $vgpr3_vgpr4
.LBB63_156:
	s_mov_b64 s[8:9], 0
.LBB63_157:
	s_and_b64 vcc, exec, s[8:9]
	s_cbranch_vccz .LBB63_161
; %bb.158:
	s_cmp_eq_u32 s10, 29
	s_cbranch_scc0 .LBB63_160
; %bb.159:
	global_load_dwordx2 v[3:4], v[1:2], off
	s_mov_b64 s[0:1], -1
	s_mov_b64 s[2:3], 0
	s_branch .LBB63_161
.LBB63_160:
	s_mov_b64 s[2:3], -1
                                        ; implicit-def: $vgpr3_vgpr4
.LBB63_161:
	s_mov_b64 s[8:9], 0
.LBB63_162:
	s_and_b64 vcc, exec, s[8:9]
	s_cbranch_vccz .LBB63_180
; %bb.163:
	s_cmp_lt_i32 s10, 27
	s_cbranch_scc1 .LBB63_166
; %bb.164:
	s_cmp_gt_i32 s10, 27
	s_cbranch_scc0 .LBB63_167
; %bb.165:
	global_load_dword v3, v[1:2], off
	s_waitcnt vmcnt(1)
	v_mov_b32_e32 v4, 0
	s_mov_b64 s[0:1], 0
	s_branch .LBB63_168
.LBB63_166:
	s_mov_b64 s[0:1], -1
                                        ; implicit-def: $vgpr3_vgpr4
	s_branch .LBB63_171
.LBB63_167:
	s_mov_b64 s[0:1], -1
                                        ; implicit-def: $vgpr3_vgpr4
.LBB63_168:
	s_andn2_b64 vcc, exec, s[0:1]
	s_cbranch_vccnz .LBB63_170
; %bb.169:
	global_load_ushort v3, v[1:2], off
	s_mov_b32 s0, 0
	s_waitcnt vmcnt(1)
	v_mov_b32_e32 v4, s0
	s_waitcnt vmcnt(0)
	v_and_b32_e32 v3, 0xffff, v3
.LBB63_170:
	s_mov_b64 s[0:1], 0
.LBB63_171:
	s_andn2_b64 vcc, exec, s[0:1]
	s_cbranch_vccnz .LBB63_179
; %bb.172:
	global_load_ubyte v5, v[1:2], off
	s_movk_i32 s0, 0x7f
	s_mov_b64 s[8:9], 0
	s_waitcnt vmcnt(0)
	v_cmp_lt_i16_e32 vcc, s0, v5
	s_and_saveexec_b64 s[0:1], vcc
	s_xor_b64 s[0:1], exec, s[0:1]
; %bb.173:
	s_movk_i32 s8, 0x80
	v_cmp_ne_u16_e32 vcc, s8, v5
	s_and_b64 s[8:9], vcc, exec
; %bb.174:
	s_andn2_saveexec_b64 s[0:1], s[0:1]
; %bb.175:
	v_cmp_ne_u16_e32 vcc, 0, v5
	s_andn2_b64 s[8:9], s[8:9], exec
	s_and_b64 s[12:13], vcc, exec
	s_or_b64 s[8:9], s[8:9], s[12:13]
; %bb.176:
	s_or_b64 exec, exec, s[0:1]
	v_mov_b32_e32 v3, 0
	v_mov_b32_e32 v4, 0
	s_and_saveexec_b64 s[0:1], s[8:9]
	s_cbranch_execz .LBB63_178
; %bb.177:
	v_and_b32_e32 v4, 0xffff, v5
	v_lshlrev_b32_e32 v3, 24, v5
	v_and_b32_e32 v5, 7, v4
	v_ffbh_u32_e32 v7, v5
	v_min_u32_e32 v7, 32, v7
	v_subrev_u32_e32 v8, 28, v7
	v_bfe_u32 v6, v4, 3, 4
	v_lshlrev_b32_e32 v4, v8, v4
	v_sub_u32_e32 v7, 29, v7
	v_and_b32_e32 v4, 7, v4
	v_cmp_eq_u32_e32 vcc, 0, v6
	v_cndmask_b32_e32 v6, v6, v7, vcc
	v_cndmask_b32_e32 v4, v5, v4, vcc
	v_mov_b32_e32 v5, 0x3b800000
	v_lshlrev_b32_e32 v4, 20, v4
	v_and_b32_e32 v3, 0x80000000, v3
	v_lshl_add_u32 v5, v6, 23, v5
	v_or3_b32 v3, v3, v5, v4
	v_trunc_f32_e32 v3, v3
	s_mov_b32 s8, 0x2f800000
	v_mul_f32_e64 v4, |v3|, s8
	v_floor_f32_e32 v4, v4
	s_mov_b32 s8, 0xcf800000
	v_fma_f32 v5, v4, s8, |v3|
	v_cvt_u32_f32_e32 v5, v5
	v_cvt_u32_f32_e32 v4, v4
	v_ashrrev_i32_e32 v6, 31, v3
	v_xor_b32_e32 v3, v5, v6
	v_xor_b32_e32 v4, v4, v6
	v_sub_co_u32_e32 v3, vcc, v3, v6
	v_subb_co_u32_e32 v4, vcc, v4, v6, vcc
.LBB63_178:
	s_or_b64 exec, exec, s[0:1]
.LBB63_179:
	s_mov_b64 s[0:1], -1
.LBB63_180:
	s_branch .LBB63_211
.LBB63_181:
	s_cmp_gt_i32 s10, 22
	s_cbranch_scc0 .LBB63_191
; %bb.182:
	s_cmp_lt_i32 s10, 24
	s_cbranch_scc1 .LBB63_192
; %bb.183:
	s_cmp_gt_i32 s10, 24
	s_cbranch_scc0 .LBB63_193
; %bb.184:
	global_load_ubyte v5, v[1:2], off
	s_movk_i32 s0, 0x7f
	s_mov_b64 s[8:9], 0
	s_waitcnt vmcnt(0)
	v_cmp_lt_i16_e32 vcc, s0, v5
	s_and_saveexec_b64 s[0:1], vcc
	s_xor_b64 s[0:1], exec, s[0:1]
; %bb.185:
	s_movk_i32 s8, 0x80
	v_cmp_ne_u16_e32 vcc, s8, v5
	s_and_b64 s[8:9], vcc, exec
; %bb.186:
	s_andn2_saveexec_b64 s[0:1], s[0:1]
; %bb.187:
	v_cmp_ne_u16_e32 vcc, 0, v5
	s_andn2_b64 s[8:9], s[8:9], exec
	s_and_b64 s[12:13], vcc, exec
	s_or_b64 s[8:9], s[8:9], s[12:13]
; %bb.188:
	s_or_b64 exec, exec, s[0:1]
	v_mov_b32_e32 v3, 0
	v_mov_b32_e32 v4, 0
	s_and_saveexec_b64 s[0:1], s[8:9]
	s_cbranch_execz .LBB63_190
; %bb.189:
	v_and_b32_e32 v4, 0xffff, v5
	v_lshlrev_b32_e32 v3, 24, v5
	v_and_b32_e32 v5, 3, v4
	v_ffbh_u32_e32 v7, v5
	v_min_u32_e32 v7, 32, v7
	v_subrev_u32_e32 v8, 29, v7
	v_bfe_u32 v6, v4, 2, 5
	v_lshlrev_b32_e32 v4, v8, v4
	v_sub_u32_e32 v7, 30, v7
	v_and_b32_e32 v4, 3, v4
	v_cmp_eq_u32_e32 vcc, 0, v6
	v_cndmask_b32_e32 v6, v6, v7, vcc
	v_cndmask_b32_e32 v4, v5, v4, vcc
	v_mov_b32_e32 v5, 0x37800000
	v_lshlrev_b32_e32 v4, 21, v4
	v_and_b32_e32 v3, 0x80000000, v3
	v_lshl_add_u32 v5, v6, 23, v5
	v_or3_b32 v3, v3, v5, v4
	v_trunc_f32_e32 v3, v3
	s_mov_b32 s8, 0x2f800000
	v_mul_f32_e64 v4, |v3|, s8
	v_floor_f32_e32 v4, v4
	s_mov_b32 s8, 0xcf800000
	v_fma_f32 v5, v4, s8, |v3|
	v_cvt_u32_f32_e32 v5, v5
	v_cvt_u32_f32_e32 v4, v4
	v_ashrrev_i32_e32 v6, 31, v3
	v_xor_b32_e32 v3, v5, v6
	v_xor_b32_e32 v4, v4, v6
	v_sub_co_u32_e32 v3, vcc, v3, v6
	v_subb_co_u32_e32 v4, vcc, v4, v6, vcc
.LBB63_190:
	s_or_b64 exec, exec, s[0:1]
	s_mov_b64 s[0:1], 0
	s_branch .LBB63_194
.LBB63_191:
	s_mov_b64 s[8:9], -1
                                        ; implicit-def: $vgpr3_vgpr4
	s_branch .LBB63_200
.LBB63_192:
	s_mov_b64 s[0:1], -1
                                        ; implicit-def: $vgpr3_vgpr4
	s_branch .LBB63_197
.LBB63_193:
	s_mov_b64 s[0:1], -1
                                        ; implicit-def: $vgpr3_vgpr4
.LBB63_194:
	s_and_b64 vcc, exec, s[0:1]
	s_cbranch_vccz .LBB63_196
; %bb.195:
	global_load_ubyte v3, v[1:2], off
	s_mov_b32 s0, 0x7f800000
	s_brev_b32 s1, 1
	s_mov_b32 s8, 0x2f800000
	s_mov_b32 s9, 0xcf800000
	s_waitcnt vmcnt(0)
	v_lshlrev_b32_e32 v3, 24, v3
	v_and_b32_e32 v4, 0x7f000000, v3
	v_ffbh_u32_e32 v5, v4
	v_min_u32_e32 v5, 32, v5
	v_sub_u32_e64 v5, v5, 4 clamp
	v_lshlrev_b32_e32 v7, v5, v4
	v_lshlrev_b32_e32 v5, 23, v5
	v_lshrrev_b32_e32 v7, 4, v7
	v_add_u32_e32 v6, 0x1000000, v4
	v_sub_u32_e32 v5, v7, v5
	v_ashrrev_i32_e32 v6, 8, v6
	v_add_u32_e32 v5, 0x3c000000, v5
	v_and_or_b32 v5, v6, s0, v5
	v_cmp_ne_u32_e32 vcc, 0, v4
	v_cndmask_b32_e32 v4, 0, v5, vcc
	v_and_or_b32 v3, v3, s1, v4
	v_trunc_f32_e32 v3, v3
	v_mul_f32_e64 v4, |v3|, s8
	v_floor_f32_e32 v4, v4
	v_fma_f32 v5, v4, s9, |v3|
	v_cvt_u32_f32_e32 v5, v5
	v_cvt_u32_f32_e32 v4, v4
	v_ashrrev_i32_e32 v6, 31, v3
	v_xor_b32_e32 v3, v5, v6
	v_xor_b32_e32 v4, v4, v6
	v_sub_co_u32_e32 v3, vcc, v3, v6
	v_subb_co_u32_e32 v4, vcc, v4, v6, vcc
.LBB63_196:
	s_mov_b64 s[0:1], 0
.LBB63_197:
	s_andn2_b64 vcc, exec, s[0:1]
	s_cbranch_vccnz .LBB63_199
; %bb.198:
	global_load_ubyte v3, v[1:2], off
	s_movk_i32 s0, 0x7f00
	s_brev_b32 s1, 16
	s_brev_b32 s8, 1
	s_mov_b32 s9, 0x2f800000
	s_mov_b32 s11, 0xcf800000
	s_waitcnt vmcnt(0)
	v_lshlrev_b16_e32 v4, 8, v3
	v_lshlrev_b32_e32 v3, 25, v3
	v_lshrrev_b32_e32 v5, 4, v3
	v_and_or_b32 v6, v4, s0, 0.5
	v_or_b32_e32 v5, 0x70000000, v5
	v_add_f32_e32 v6, -0.5, v6
	v_mul_f32_e32 v5, 0x7800000, v5
	v_cmp_gt_u32_e32 vcc, s1, v3
	v_bfe_i32 v4, v4, 0, 16
	v_cndmask_b32_e32 v3, v5, v6, vcc
	v_and_or_b32 v3, v4, s8, v3
	v_trunc_f32_e32 v3, v3
	v_mul_f32_e64 v4, |v3|, s9
	v_floor_f32_e32 v4, v4
	v_fma_f32 v5, v4, s11, |v3|
	v_cvt_u32_f32_e32 v5, v5
	v_cvt_u32_f32_e32 v4, v4
	v_ashrrev_i32_e32 v6, 31, v3
	v_xor_b32_e32 v3, v5, v6
	v_xor_b32_e32 v4, v4, v6
	v_sub_co_u32_e32 v3, vcc, v3, v6
	v_subb_co_u32_e32 v4, vcc, v4, v6, vcc
.LBB63_199:
	s_mov_b64 s[8:9], 0
	s_mov_b64 s[0:1], -1
.LBB63_200:
	s_andn2_b64 vcc, exec, s[8:9]
	s_cbranch_vccnz .LBB63_211
; %bb.201:
	s_cmp_gt_i32 s10, 14
	s_cbranch_scc0 .LBB63_204
; %bb.202:
	s_cmp_eq_u32 s10, 15
	s_cbranch_scc0 .LBB63_205
; %bb.203:
	global_load_ushort v3, v[1:2], off
	s_mov_b32 s0, 0x2f800000
	s_mov_b32 s1, 0xcf800000
	s_mov_b64 s[2:3], 0
	s_waitcnt vmcnt(0)
	v_lshlrev_b32_e32 v3, 16, v3
	v_trunc_f32_e32 v3, v3
	v_mul_f32_e64 v4, |v3|, s0
	v_floor_f32_e32 v4, v4
	v_fma_f32 v5, v4, s1, |v3|
	v_cvt_u32_f32_e32 v5, v5
	v_cvt_u32_f32_e32 v4, v4
	v_ashrrev_i32_e32 v6, 31, v3
	s_mov_b64 s[0:1], -1
	v_xor_b32_e32 v3, v5, v6
	v_xor_b32_e32 v4, v4, v6
	v_sub_co_u32_e32 v3, vcc, v3, v6
	v_subb_co_u32_e32 v4, vcc, v4, v6, vcc
	s_branch .LBB63_206
.LBB63_204:
	s_mov_b64 s[8:9], -1
                                        ; implicit-def: $vgpr3_vgpr4
	s_branch .LBB63_207
.LBB63_205:
	s_mov_b64 s[2:3], -1
                                        ; implicit-def: $vgpr3_vgpr4
.LBB63_206:
	s_mov_b64 s[8:9], 0
.LBB63_207:
	s_and_b64 vcc, exec, s[8:9]
	s_cbranch_vccz .LBB63_211
; %bb.208:
	s_cmp_eq_u32 s10, 11
	s_cbranch_scc0 .LBB63_210
; %bb.209:
	global_load_ubyte v3, v[1:2], off
	s_mov_b32 s2, 0
	s_mov_b64 s[0:1], -1
	s_waitcnt vmcnt(1)
	v_mov_b32_e32 v4, s2
	s_mov_b64 s[2:3], 0
	s_waitcnt vmcnt(0)
	v_cmp_ne_u16_e32 vcc, 0, v3
	v_cndmask_b32_e64 v3, 0, 1, vcc
	s_branch .LBB63_211
.LBB63_210:
	s_mov_b64 s[2:3], -1
                                        ; implicit-def: $vgpr3_vgpr4
.LBB63_211:
	s_branch .LBB63_24
.LBB63_212:
	s_cmp_lt_i32 s10, 5
	s_cbranch_scc1 .LBB63_217
; %bb.213:
	s_cmp_lt_i32 s10, 8
	s_cbranch_scc1 .LBB63_218
; %bb.214:
	;; [unrolled: 3-line block ×3, first 2 shown]
	s_cmp_gt_i32 s10, 9
	s_cbranch_scc0 .LBB63_220
; %bb.216:
	global_load_dwordx2 v[3:4], v[1:2], off
	s_movk_i32 s0, 0xffe0
	s_waitcnt vmcnt(0)
	v_trunc_f64_e32 v[3:4], v[3:4]
	v_ldexp_f64 v[5:6], v[3:4], s0
	s_mov_b32 s0, 0
	s_mov_b32 s1, 0xc1f00000
	v_floor_f64_e32 v[5:6], v[5:6]
	v_fma_f64 v[7:8], v[5:6], s[0:1], v[3:4]
	v_cvt_i32_f64_e32 v4, v[5:6]
	s_mov_b64 s[0:1], 0
	v_cvt_u32_f64_e32 v3, v[7:8]
	s_branch .LBB63_221
.LBB63_217:
                                        ; implicit-def: $vgpr3_vgpr4
	s_branch .LBB63_239
.LBB63_218:
	s_mov_b64 s[0:1], -1
                                        ; implicit-def: $vgpr3_vgpr4
	s_branch .LBB63_227
.LBB63_219:
	s_mov_b64 s[0:1], -1
                                        ; implicit-def: $vgpr3_vgpr4
	s_branch .LBB63_224
.LBB63_220:
	s_mov_b64 s[0:1], -1
                                        ; implicit-def: $vgpr3_vgpr4
.LBB63_221:
	s_andn2_b64 vcc, exec, s[0:1]
	s_cbranch_vccnz .LBB63_223
; %bb.222:
	global_load_dword v3, v[1:2], off
	s_mov_b32 s0, 0x2f800000
	s_mov_b32 s1, 0xcf800000
	s_waitcnt vmcnt(0)
	v_trunc_f32_e32 v3, v3
	v_mul_f32_e64 v4, |v3|, s0
	v_floor_f32_e32 v4, v4
	v_cvt_u32_f32_e32 v5, v4
	v_fma_f32 v4, v4, s1, |v3|
	v_cvt_u32_f32_e32 v4, v4
	v_ashrrev_i32_e32 v6, 31, v3
	v_xor_b32_e32 v5, v5, v6
	v_xor_b32_e32 v3, v4, v6
	v_sub_co_u32_e32 v3, vcc, v3, v6
	v_subb_co_u32_e32 v4, vcc, v5, v6, vcc
.LBB63_223:
	s_mov_b64 s[0:1], 0
.LBB63_224:
	s_andn2_b64 vcc, exec, s[0:1]
	s_cbranch_vccnz .LBB63_226
; %bb.225:
	global_load_dword v3, v[1:2], off
	s_waitcnt vmcnt(0)
	v_cvt_f32_f16_e32 v3, v3
	v_cvt_i32_f32_e32 v3, v3
	v_ashrrev_i32_e32 v4, 31, v3
.LBB63_226:
	s_mov_b64 s[0:1], 0
.LBB63_227:
	s_andn2_b64 vcc, exec, s[0:1]
	s_cbranch_vccnz .LBB63_238
; %bb.228:
	s_cmp_lt_i32 s10, 6
	s_cbranch_scc1 .LBB63_231
; %bb.229:
	s_cmp_gt_i32 s10, 6
	s_cbranch_scc0 .LBB63_232
; %bb.230:
	global_load_dwordx2 v[3:4], v[1:2], off
	s_movk_i32 s0, 0xffe0
	s_waitcnt vmcnt(0)
	v_trunc_f64_e32 v[3:4], v[3:4]
	v_ldexp_f64 v[5:6], v[3:4], s0
	s_mov_b32 s0, 0
	s_mov_b32 s1, 0xc1f00000
	v_floor_f64_e32 v[5:6], v[5:6]
	v_fma_f64 v[7:8], v[5:6], s[0:1], v[3:4]
	v_cvt_i32_f64_e32 v4, v[5:6]
	s_mov_b64 s[0:1], 0
	v_cvt_u32_f64_e32 v3, v[7:8]
	s_branch .LBB63_233
.LBB63_231:
	s_mov_b64 s[0:1], -1
                                        ; implicit-def: $vgpr3_vgpr4
	s_branch .LBB63_236
.LBB63_232:
	s_mov_b64 s[0:1], -1
                                        ; implicit-def: $vgpr3_vgpr4
.LBB63_233:
	s_andn2_b64 vcc, exec, s[0:1]
	s_cbranch_vccnz .LBB63_235
; %bb.234:
	global_load_dword v3, v[1:2], off
	s_mov_b32 s0, 0x2f800000
	s_mov_b32 s1, 0xcf800000
	s_waitcnt vmcnt(0)
	v_trunc_f32_e32 v3, v3
	v_mul_f32_e64 v4, |v3|, s0
	v_floor_f32_e32 v4, v4
	v_cvt_u32_f32_e32 v5, v4
	v_fma_f32 v4, v4, s1, |v3|
	v_cvt_u32_f32_e32 v4, v4
	v_ashrrev_i32_e32 v6, 31, v3
	v_xor_b32_e32 v5, v5, v6
	v_xor_b32_e32 v3, v4, v6
	v_sub_co_u32_e32 v3, vcc, v3, v6
	v_subb_co_u32_e32 v4, vcc, v5, v6, vcc
.LBB63_235:
	s_mov_b64 s[0:1], 0
.LBB63_236:
	s_andn2_b64 vcc, exec, s[0:1]
	s_cbranch_vccnz .LBB63_238
; %bb.237:
	global_load_ushort v3, v[1:2], off
	s_waitcnt vmcnt(0)
	v_cvt_f32_f16_e32 v3, v3
	v_cvt_i32_f32_e32 v3, v3
	v_ashrrev_i32_e32 v4, 31, v3
.LBB63_238:
	s_cbranch_execnz .LBB63_258
.LBB63_239:
	s_cmp_lt_i32 s10, 2
	s_cbranch_scc1 .LBB63_243
; %bb.240:
	s_cmp_lt_i32 s10, 3
	s_cbranch_scc1 .LBB63_244
; %bb.241:
	s_cmp_gt_i32 s10, 3
	s_cbranch_scc0 .LBB63_245
; %bb.242:
	global_load_dwordx2 v[3:4], v[1:2], off
	s_mov_b64 s[0:1], 0
	s_branch .LBB63_246
.LBB63_243:
	s_mov_b64 s[0:1], -1
                                        ; implicit-def: $vgpr3_vgpr4
	s_branch .LBB63_252
.LBB63_244:
	s_mov_b64 s[0:1], -1
                                        ; implicit-def: $vgpr3_vgpr4
	s_branch .LBB63_249
.LBB63_245:
	s_mov_b64 s[0:1], -1
                                        ; implicit-def: $vgpr3_vgpr4
.LBB63_246:
	s_andn2_b64 vcc, exec, s[0:1]
	s_cbranch_vccnz .LBB63_248
; %bb.247:
	global_load_dword v3, v[1:2], off
	s_waitcnt vmcnt(0)
	v_ashrrev_i32_e32 v4, 31, v3
.LBB63_248:
	s_mov_b64 s[0:1], 0
.LBB63_249:
	s_andn2_b64 vcc, exec, s[0:1]
	s_cbranch_vccnz .LBB63_251
; %bb.250:
	global_load_ushort v3, v[1:2], off
	s_waitcnt vmcnt(0)
	v_bfe_i32 v3, v3, 0, 16
	v_ashrrev_i32_e32 v4, 31, v3
.LBB63_251:
	s_mov_b64 s[0:1], 0
.LBB63_252:
	s_andn2_b64 vcc, exec, s[0:1]
	s_cbranch_vccnz .LBB63_258
; %bb.253:
	s_cmp_gt_i32 s10, 0
	s_cbranch_scc0 .LBB63_255
; %bb.254:
	global_load_sbyte v3, v[1:2], off
	s_mov_b64 s[0:1], 0
	s_waitcnt vmcnt(0)
	v_bfe_i32 v3, v3, 0, 16
	v_ashrrev_i32_e32 v4, 31, v3
	s_branch .LBB63_256
.LBB63_255:
	s_mov_b64 s[0:1], -1
                                        ; implicit-def: $vgpr3_vgpr4
.LBB63_256:
	s_andn2_b64 vcc, exec, s[0:1]
	s_cbranch_vccnz .LBB63_258
; %bb.257:
	global_load_ubyte v1, v[1:2], off
	s_mov_b32 s0, 0
	s_waitcnt vmcnt(1)
	v_mov_b32_e32 v4, s0
	s_waitcnt vmcnt(0)
	v_and_b32_e32 v3, 0xffff, v1
.LBB63_258:
	s_branch .LBB63_25
.LBB63_259:
	s_mov_b64 s[0:1], 0
.LBB63_260:
	s_mov_b64 s[8:9], 0
                                        ; implicit-def: $vgpr11
.LBB63_261:
	s_and_b64 s[56:57], s[0:1], exec
	s_and_b64 s[58:59], s[2:3], exec
	s_orn2_b64 s[2:3], s[8:9], exec
.LBB63_262:
	s_or_b64 exec, exec, s[60:61]
	s_mov_b64 s[10:11], 0
	s_mov_b64 s[0:1], 0
                                        ; implicit-def: $vgpr1_vgpr2
                                        ; implicit-def: $vgpr0
                                        ; implicit-def: $vgpr3_vgpr4
	s_and_saveexec_b64 s[60:61], s[2:3]
	s_cbranch_execz .LBB63_269
; %bb.263:
	v_cmp_gt_i32_e32 vcc, s74, v11
	s_mov_b64 s[0:1], -1
	s_mov_b64 s[62:63], s[58:59]
	s_mov_b64 s[64:65], s[56:57]
	s_and_saveexec_b64 s[66:67], vcc
	s_cbranch_execz .LBB63_534
; %bb.264:
	s_andn2_b64 vcc, exec, s[40:41]
	s_cbranch_vccnz .LBB63_272
; %bb.265:
	s_andn2_b64 vcc, exec, s[54:55]
	s_cbranch_vccnz .LBB63_273
; %bb.266:
	s_add_i32 s69, s79, 1
	s_cmp_eq_u32 s76, 2
	s_cbranch_scc1 .LBB63_274
; %bb.267:
	s_and_b32 s68, s69, 28
	v_mov_b32_e32 v2, 0
	s_mov_b32 s70, 0
	s_mov_b64 s[62:63], s[34:35]
	s_mov_b64 s[64:65], s[52:53]
	v_mov_b32_e32 v0, 0
	v_mov_b32_e32 v1, v11
.LBB63_268:                             ; =>This Inner Loop Header: Depth=1
	s_load_dwordx8 s[16:23], s[62:63], 0x4
	s_load_dwordx4 s[0:3], s[62:63], 0x24
	s_load_dwordx8 s[8:15], s[64:65], 0x0
	s_add_u32 s62, s62, 48
	s_addc_u32 s63, s63, 0
	s_waitcnt vmcnt(0) lgkmcnt(0)
	v_mul_hi_u32 v3, s17, v1
	s_add_i32 s70, s70, 4
	s_add_u32 s64, s64, 32
	s_addc_u32 s65, s65, 0
	v_add_u32_e32 v3, v1, v3
	v_lshrrev_b32_e32 v3, s18, v3
	v_mul_lo_u32 v4, v3, s16
	v_mul_hi_u32 v5, s20, v3
	s_cmp_eq_u32 s68, s70
	v_sub_u32_e32 v1, v1, v4
	v_add_u32_e32 v4, v3, v5
	v_mul_lo_u32 v5, v1, s8
	v_mul_lo_u32 v6, v1, s9
	v_lshrrev_b32_e32 v1, s21, v4
	v_mul_lo_u32 v4, v1, s19
	v_mul_hi_u32 v7, s23, v1
	v_sub_u32_e32 v3, v3, v4
	v_add_u32_e32 v4, v1, v7
	v_lshrrev_b32_e32 v4, s0, v4
	v_mul_hi_u32 v8, s2, v4
	v_mul_lo_u32 v9, v4, s22
	v_mul_lo_u32 v7, v3, s10
	;; [unrolled: 1-line block ×3, first 2 shown]
	v_sub_u32_e32 v9, v1, v9
	v_add_u32_e32 v1, v4, v8
	v_lshrrev_b32_e32 v1, s3, v1
	v_mul_lo_u32 v8, v1, s1
	v_mul_lo_u32 v10, v9, s12
	;; [unrolled: 1-line block ×3, first 2 shown]
	v_add3_u32 v0, v5, v0, v7
	v_sub_u32_e32 v4, v4, v8
	v_mul_lo_u32 v8, v4, s14
	v_mul_lo_u32 v4, v4, s15
	v_add3_u32 v2, v6, v2, v3
	v_add3_u32 v0, v10, v0, v8
	;; [unrolled: 1-line block ×3, first 2 shown]
	s_cbranch_scc0 .LBB63_268
	s_branch .LBB63_275
.LBB63_269:
	s_or_b64 exec, exec, s[60:61]
	s_mov_b64 s[2:3], 0
	s_and_saveexec_b64 s[8:9], s[58:59]
	s_cbranch_execnz .LBB63_902
.LBB63_270:
	s_or_b64 exec, exec, s[8:9]
	s_and_saveexec_b64 s[8:9], s[64:65]
	s_xor_b64 s[8:9], exec, s[8:9]
	s_cbranch_execz .LBB63_903
.LBB63_271:
	global_load_ubyte v3, v[1:2], off
	s_mov_b32 s12, 0
	s_waitcnt vmcnt(1)
	v_mov_b32_e32 v4, s12
	s_or_b64 s[0:1], s[0:1], exec
	s_waitcnt vmcnt(0)
	v_cmp_ne_u16_e32 vcc, 0, v3
	v_cndmask_b32_e64 v3, 0, 1, vcc
	s_or_b64 exec, exec, s[8:9]
	s_and_saveexec_b64 s[8:9], s[10:11]
	s_cbranch_execz .LBB63_949
	s_branch .LBB63_904
.LBB63_272:
                                        ; implicit-def: $vgpr0
                                        ; implicit-def: $vgpr2
	s_andn2_b64 vcc, exec, s[0:1]
	s_cbranch_vccz .LBB63_279
	s_branch .LBB63_281
.LBB63_273:
	v_mov_b32_e32 v0, 0
	v_mov_b32_e32 v2, 0
	s_branch .LBB63_278
.LBB63_274:
	s_mov_b32 s68, 0
	v_mov_b32_e32 v0, 0
	v_mov_b32_e32 v2, 0
	;; [unrolled: 1-line block ×3, first 2 shown]
.LBB63_275:
	s_and_b32 s8, s69, 3
	s_cmp_eq_u32 s8, 0
	s_cbranch_scc1 .LBB63_278
; %bb.276:
	s_lshl_b32 s0, s68, 3
	s_add_u32 s0, s34, s0
	s_addc_u32 s1, s35, 0
	s_add_u32 s0, s0, 0xc4
	s_addc_u32 s1, s1, 0
	s_mul_i32 s2, s68, 12
	s_add_u32 s2, s34, s2
	s_addc_u32 s3, s35, 0
.LBB63_277:                             ; =>This Inner Loop Header: Depth=1
	s_load_dwordx2 s[10:11], s[2:3], 0x4
	s_load_dword s9, s[2:3], 0xc
	s_load_dwordx2 s[12:13], s[0:1], 0x0
	s_add_u32 s2, s2, 12
	s_addc_u32 s3, s3, 0
	s_waitcnt vmcnt(0) lgkmcnt(0)
	v_mul_hi_u32 v3, s11, v1
	s_add_u32 s0, s0, 8
	s_addc_u32 s1, s1, 0
	s_add_i32 s8, s8, -1
	v_add_u32_e32 v3, v1, v3
	v_lshrrev_b32_e32 v4, s9, v3
	v_mul_lo_u32 v3, v4, s10
	s_cmp_lg_u32 s8, 0
	v_sub_u32_e32 v3, v1, v3
	v_mad_u64_u32 v[0:1], s[10:11], v3, s12, v[0:1]
	v_mad_u64_u32 v[2:3], s[10:11], v3, s13, v[2:3]
	v_mov_b32_e32 v1, v4
	s_cbranch_scc1 .LBB63_277
.LBB63_278:
	s_cbranch_execnz .LBB63_281
.LBB63_279:
	v_mul_hi_u32 v0, s29, v11
	s_andn2_b64 vcc, exec, s[50:51]
	v_add_u32_e32 v0, v11, v0
	v_lshrrev_b32_e32 v1, s30, v0
	v_mul_lo_u32 v0, v1, s28
	v_sub_u32_e32 v2, v11, v0
	v_mul_lo_u32 v0, v2, s36
	v_mul_lo_u32 v2, v2, s37
	s_cbranch_vccnz .LBB63_281
; %bb.280:
	s_waitcnt vmcnt(0)
	v_mul_hi_u32 v3, s48, v1
	v_add_u32_e32 v3, v1, v3
	v_lshrrev_b32_e32 v3, s49, v3
	v_mul_lo_u32 v3, v3, s31
	v_sub_u32_e32 v3, v1, v3
	v_mad_u64_u32 v[0:1], s[0:1], v3, s38, v[0:1]
	v_mad_u64_u32 v[2:3], s[0:1], v3, s39, v[2:3]
.LBB63_281:
	s_waitcnt vmcnt(0)
	v_mov_b32_e32 v3, s27
	s_and_b32 s10, 0xffff, s78
	v_add_co_u32_e32 v1, vcc, s26, v2
	s_cmp_lt_i32 s10, 11
	v_addc_co_u32_e32 v2, vcc, 0, v3, vcc
	s_cbranch_scc1 .LBB63_288
; %bb.282:
	s_cmp_gt_i32 s10, 25
	s_cbranch_scc0 .LBB63_297
; %bb.283:
	s_cmp_gt_i32 s10, 28
	s_cbranch_scc0 .LBB63_299
	;; [unrolled: 3-line block ×4, first 2 shown]
; %bb.286:
	s_cmp_eq_u32 s10, 46
	s_mov_b64 s[8:9], 0
	s_cbranch_scc0 .LBB63_309
; %bb.287:
	global_load_dword v3, v[1:2], off
	s_mov_b32 s0, 0x2f800000
	s_mov_b32 s1, 0xcf800000
	s_mov_b64 s[2:3], 0
	s_waitcnt vmcnt(0)
	v_lshlrev_b32_e32 v3, 16, v3
	v_trunc_f32_e32 v3, v3
	v_mul_f32_e64 v4, |v3|, s0
	v_floor_f32_e32 v4, v4
	v_fma_f32 v5, v4, s1, |v3|
	v_cvt_u32_f32_e32 v5, v5
	v_cvt_u32_f32_e32 v4, v4
	v_ashrrev_i32_e32 v6, 31, v3
	s_mov_b64 s[0:1], -1
	v_xor_b32_e32 v3, v5, v6
	v_xor_b32_e32 v4, v4, v6
	v_sub_co_u32_e32 v3, vcc, v3, v6
	v_subb_co_u32_e32 v4, vcc, v4, v6, vcc
	s_branch .LBB63_310
.LBB63_288:
	s_mov_b64 s[0:1], 0
                                        ; implicit-def: $vgpr3_vgpr4
	s_mov_b64 s[2:3], s[58:59]
	s_cbranch_execnz .LBB63_483
.LBB63_289:
	s_andn2_b64 vcc, exec, s[0:1]
	s_cbranch_vccnz .LBB63_531
.LBB63_290:
	s_waitcnt vmcnt(0)
	v_cmp_ne_u64_e32 vcc, s[44:45], v[3:4]
	v_mov_b32_e32 v1, s25
	s_xor_b64 s[8:9], s[46:47], vcc
	s_and_b32 s16, s77, 0xff
	v_add_co_u32_e32 v0, vcc, s24, v0
	s_cmp_lt_i32 s16, 11
	v_addc_co_u32_e32 v1, vcc, 0, v1, vcc
	s_cbranch_scc1 .LBB63_298
; %bb.291:
	s_and_b32 s17, 0xffff, s16
	s_cmp_gt_i32 s17, 25
	s_cbranch_scc0 .LBB63_300
; %bb.292:
	s_cmp_gt_i32 s17, 28
	s_cbranch_scc0 .LBB63_302
; %bb.293:
	;; [unrolled: 3-line block ×4, first 2 shown]
	s_mov_b64 s[12:13], 0
	s_mov_b64 s[0:1], -1
	s_cmp_eq_u32 s17, 46
	s_mov_b64 s[10:11], 0
	s_cbranch_scc0 .LBB63_314
; %bb.296:
	v_cndmask_b32_e64 v2, 0, 1.0, s[8:9]
	v_bfe_u32 v3, v2, 16, 1
	s_movk_i32 s0, 0x7fff
	v_add3_u32 v2, v2, v3, s0
	v_lshrrev_b32_e32 v2, 16, v2
	global_store_dword v[0:1], v2, off
	s_mov_b64 s[10:11], -1
	s_mov_b64 s[0:1], 0
	s_branch .LBB63_314
.LBB63_297:
	s_mov_b64 s[8:9], -1
	s_mov_b64 s[0:1], 0
	s_mov_b64 s[2:3], s[58:59]
                                        ; implicit-def: $vgpr3_vgpr4
	s_branch .LBB63_451
.LBB63_298:
	s_mov_b64 s[12:13], -1
	s_mov_b64 s[10:11], 0
	s_mov_b64 s[0:1], s[56:57]
	s_branch .LBB63_383
.LBB63_299:
	s_mov_b64 s[8:9], -1
	s_mov_b64 s[0:1], 0
	s_mov_b64 s[2:3], s[58:59]
                                        ; implicit-def: $vgpr3_vgpr4
	s_branch .LBB63_432
.LBB63_300:
	s_mov_b64 s[12:13], -1
	s_mov_b64 s[10:11], 0
	s_mov_b64 s[0:1], s[56:57]
	s_branch .LBB63_341
.LBB63_301:
	s_mov_b64 s[8:9], -1
	s_mov_b64 s[0:1], 0
	s_mov_b64 s[2:3], s[58:59]
                                        ; implicit-def: $vgpr3_vgpr4
	s_branch .LBB63_427
.LBB63_302:
	s_mov_b64 s[12:13], -1
	s_mov_b64 s[10:11], 0
	s_mov_b64 s[0:1], s[56:57]
	s_branch .LBB63_324
.LBB63_303:
	s_andn2_saveexec_b64 s[14:15], s[14:15]
	s_cbranch_execz .LBB63_68
.LBB63_304:
	v_add_f32_e32 v2, 0x46000000, v3
	v_and_b32_e32 v2, 0xff, v2
	v_cmp_ne_u32_e32 vcc, 0, v2
	s_andn2_b64 s[12:13], s[12:13], exec
	s_and_b64 s[18:19], vcc, exec
	s_or_b64 s[12:13], s[12:13], s[18:19]
	s_or_b64 exec, exec, s[14:15]
	v_mov_b32_e32 v4, 0
	s_and_saveexec_b64 s[14:15], s[12:13]
	s_cbranch_execnz .LBB63_69
	s_branch .LBB63_70
.LBB63_305:
	s_mov_b64 s[8:9], -1
	s_mov_b64 s[0:1], 0
	s_mov_b64 s[2:3], s[58:59]
                                        ; implicit-def: $vgpr3_vgpr4
	s_branch .LBB63_310
.LBB63_306:
	s_mov_b64 s[12:13], -1
	s_mov_b64 s[10:11], 0
	s_mov_b64 s[0:1], s[56:57]
	s_branch .LBB63_320
.LBB63_307:
	s_andn2_saveexec_b64 s[14:15], s[14:15]
	s_cbranch_execz .LBB63_81
.LBB63_308:
	v_add_f32_e32 v2, 0x42800000, v3
	v_and_b32_e32 v2, 0xff, v2
	v_cmp_ne_u32_e32 vcc, 0, v2
	s_andn2_b64 s[12:13], s[12:13], exec
	s_and_b64 s[18:19], vcc, exec
	s_or_b64 s[12:13], s[12:13], s[18:19]
	s_or_b64 exec, exec, s[14:15]
	v_mov_b32_e32 v4, 0
	s_and_saveexec_b64 s[14:15], s[12:13]
	s_cbranch_execnz .LBB63_82
	s_branch .LBB63_83
.LBB63_309:
	s_mov_b64 s[2:3], -1
                                        ; implicit-def: $vgpr3_vgpr4
	s_mov_b64 s[0:1], 0
.LBB63_310:
	s_and_b64 vcc, exec, s[8:9]
	s_cbranch_vccz .LBB63_426
; %bb.311:
	s_cmp_eq_u32 s10, 44
	s_cbranch_scc0 .LBB63_425
; %bb.312:
	global_load_ubyte v3, v[1:2], off
	s_mov_b32 s0, 0x2f800000
	s_mov_b32 s1, 0xcf800000
	s_mov_b64 s[2:3], 0
	s_waitcnt vmcnt(0)
	v_lshlrev_b32_e32 v4, 23, v3
	v_trunc_f32_e32 v4, v4
	v_mul_f32_e64 v5, |v4|, s0
	v_floor_f32_e32 v5, v5
	v_fma_f32 v6, v5, s1, |v4|
	v_cvt_u32_f32_e32 v6, v6
	v_cvt_u32_f32_e32 v5, v5
	v_ashrrev_i32_e32 v4, 31, v4
	s_mov_b64 s[0:1], -1
	v_xor_b32_e32 v6, v6, v4
	v_xor_b32_e32 v5, v5, v4
	v_sub_co_u32_e32 v6, vcc, v6, v4
	v_subb_co_u32_e32 v4, vcc, v5, v4, vcc
	v_cmp_ne_u32_e32 vcc, 0, v3
	v_cndmask_b32_e32 v4, 0, v4, vcc
	v_cndmask_b32_e32 v3, 0, v6, vcc
	s_branch .LBB63_426
.LBB63_313:
	s_mov_b64 s[12:13], -1
	s_mov_b64 s[10:11], 0
	s_mov_b64 s[0:1], s[56:57]
.LBB63_314:
	s_and_b64 vcc, exec, s[12:13]
	s_cbranch_vccz .LBB63_319
; %bb.315:
	s_cmp_eq_u32 s17, 44
	s_mov_b64 s[0:1], -1
	s_cbranch_scc0 .LBB63_319
; %bb.316:
	v_cndmask_b32_e64 v3, 0, 1.0, s[8:9]
	v_lshrrev_b32_e32 v2, 23, v3
	s_movk_i32 s0, 0xff
	v_cmp_ne_u32_e32 vcc, s0, v2
	v_mov_b32_e32 v4, 0xff
	s_and_saveexec_b64 s[10:11], vcc
; %bb.317:
	s_mov_b32 s0, 0x3fffff
	v_and_b32_e32 v4, 0x400000, v3
	v_and_or_b32 v3, v3, s0, v2
	v_cmp_ne_u32_e32 vcc, 0, v4
	v_cmp_ne_u32_e64 s[0:1], 0, v3
	s_and_b64 s[0:1], vcc, s[0:1]
	v_cndmask_b32_e64 v3, 0, 1, s[0:1]
	v_add_u32_e32 v4, v2, v3
; %bb.318:
	s_or_b64 exec, exec, s[10:11]
	s_mov_b64 s[10:11], -1
	s_mov_b64 s[0:1], 0
	global_store_byte v[0:1], v4, off
.LBB63_319:
	s_mov_b64 s[12:13], 0
.LBB63_320:
	s_and_b64 vcc, exec, s[12:13]
	s_cbranch_vccz .LBB63_323
; %bb.321:
	s_cmp_eq_u32 s17, 29
	s_mov_b64 s[0:1], -1
	s_cbranch_scc0 .LBB63_323
; %bb.322:
	s_mov_b32 s0, 0
	v_cndmask_b32_e64 v2, 0, 1, s[8:9]
	v_mov_b32_e32 v3, s0
	global_store_dwordx2 v[0:1], v[2:3], off
	s_mov_b64 s[10:11], -1
	s_mov_b64 s[0:1], 0
.LBB63_323:
	s_mov_b64 s[12:13], 0
.LBB63_324:
	s_and_b64 vcc, exec, s[12:13]
	s_cbranch_vccz .LBB63_340
; %bb.325:
	s_cmp_lt_i32 s17, 27
	s_mov_b64 s[10:11], -1
	s_cbranch_scc1 .LBB63_331
; %bb.326:
	s_cmp_gt_i32 s17, 27
	s_cbranch_scc0 .LBB63_328
; %bb.327:
	v_cndmask_b32_e64 v2, 0, 1, s[8:9]
	s_mov_b64 s[10:11], 0
	global_store_dword v[0:1], v2, off
.LBB63_328:
	s_andn2_b64 vcc, exec, s[10:11]
	s_cbranch_vccnz .LBB63_330
; %bb.329:
	v_cndmask_b32_e64 v2, 0, 1, s[8:9]
	global_store_short v[0:1], v2, off
.LBB63_330:
	s_mov_b64 s[10:11], 0
.LBB63_331:
	s_andn2_b64 vcc, exec, s[10:11]
	s_cbranch_vccnz .LBB63_339
; %bb.332:
	v_cndmask_b32_e64 v3, 0, 1.0, s[8:9]
	s_mov_b32 s10, 0x43800000
	v_cmp_gt_u32_e32 vcc, s10, v3
	v_mov_b32_e32 v4, 0x80
	s_and_saveexec_b64 s[10:11], vcc
	s_cbranch_execz .LBB63_338
; %bb.333:
	s_mov_b32 s12, 0x3bffffff
	v_cmp_lt_u32_e32 vcc, s12, v3
	s_mov_b64 s[12:13], 0
                                        ; implicit-def: $vgpr2
	s_and_saveexec_b64 s[14:15], vcc
	s_xor_b64 s[14:15], exec, s[14:15]
	s_cbranch_execz .LBB63_562
; %bb.334:
	v_bfe_u32 v2, v3, 20, 1
	s_mov_b32 s18, 0x487ffff
	v_add3_u32 v2, v3, v2, s18
	s_mov_b64 s[12:13], exec
	v_lshrrev_b32_e32 v2, 20, v2
                                        ; implicit-def: $vgpr3
	s_andn2_saveexec_b64 s[14:15], s[14:15]
	s_cbranch_execnz .LBB63_563
.LBB63_335:
	s_or_b64 exec, exec, s[14:15]
	v_mov_b32_e32 v4, 0
	s_and_saveexec_b64 s[14:15], s[12:13]
.LBB63_336:
	v_mov_b32_e32 v4, v2
.LBB63_337:
	s_or_b64 exec, exec, s[14:15]
.LBB63_338:
	s_or_b64 exec, exec, s[10:11]
	global_store_byte v[0:1], v4, off
.LBB63_339:
	s_mov_b64 s[10:11], -1
.LBB63_340:
	s_mov_b64 s[12:13], 0
.LBB63_341:
	s_and_b64 vcc, exec, s[12:13]
	s_cbranch_vccz .LBB63_382
; %bb.342:
	s_cmp_gt_i32 s17, 22
	s_mov_b64 s[12:13], -1
	s_cbranch_scc0 .LBB63_374
; %bb.343:
	s_cmp_lt_i32 s17, 24
	s_mov_b64 s[10:11], -1
	s_cbranch_scc1 .LBB63_363
; %bb.344:
	s_cmp_gt_i32 s17, 24
	s_cbranch_scc0 .LBB63_352
; %bb.345:
	v_cndmask_b32_e64 v3, 0, 1.0, s[8:9]
	s_mov_b32 s10, 0x47800000
	v_cmp_gt_u32_e32 vcc, s10, v3
	v_mov_b32_e32 v4, 0x80
	s_and_saveexec_b64 s[10:11], vcc
	s_cbranch_execz .LBB63_351
; %bb.346:
	s_mov_b32 s12, 0x37ffffff
	v_cmp_lt_u32_e32 vcc, s12, v3
	s_mov_b64 s[12:13], 0
                                        ; implicit-def: $vgpr2
	s_and_saveexec_b64 s[14:15], vcc
	s_xor_b64 s[14:15], exec, s[14:15]
	s_cbranch_execz .LBB63_565
; %bb.347:
	v_bfe_u32 v2, v3, 21, 1
	s_mov_b32 s18, 0x88fffff
	v_add3_u32 v2, v3, v2, s18
	s_mov_b64 s[12:13], exec
	v_lshrrev_b32_e32 v2, 21, v2
                                        ; implicit-def: $vgpr3
	s_andn2_saveexec_b64 s[14:15], s[14:15]
	s_cbranch_execnz .LBB63_566
.LBB63_348:
	s_or_b64 exec, exec, s[14:15]
	v_mov_b32_e32 v4, 0
	s_and_saveexec_b64 s[14:15], s[12:13]
.LBB63_349:
	v_mov_b32_e32 v4, v2
.LBB63_350:
	s_or_b64 exec, exec, s[14:15]
.LBB63_351:
	s_or_b64 exec, exec, s[10:11]
	s_mov_b64 s[10:11], 0
	global_store_byte v[0:1], v4, off
.LBB63_352:
	s_and_b64 vcc, exec, s[10:11]
	s_cbranch_vccz .LBB63_362
; %bb.353:
	v_cndmask_b32_e64 v2, 0, 1.0, s[8:9]
	s_mov_b32 s10, 0x43f00000
	v_cmp_gt_u32_e32 vcc, s10, v2
                                        ; implicit-def: $vgpr3
	s_and_saveexec_b64 s[10:11], vcc
	s_xor_b64 s[10:11], exec, s[10:11]
	s_cbranch_execz .LBB63_359
; %bb.354:
	s_mov_b32 s12, 0x3c7fffff
	v_cmp_lt_u32_e32 vcc, s12, v2
                                        ; implicit-def: $vgpr3
	s_and_saveexec_b64 s[12:13], vcc
	s_xor_b64 s[12:13], exec, s[12:13]
; %bb.355:
	v_bfe_u32 v3, v2, 20, 1
	s_mov_b32 s14, 0x407ffff
	v_add3_u32 v2, v2, v3, s14
	v_lshrrev_b32_e32 v3, 20, v2
	v_and_b32_e32 v2, 0xff00000, v2
	s_mov_b32 s14, 0x7f00000
	v_mov_b32_e32 v4, 0x7e
	v_cmp_ne_u32_e32 vcc, s14, v2
	v_cndmask_b32_e32 v3, v4, v3, vcc
                                        ; implicit-def: $vgpr2
; %bb.356:
	s_andn2_saveexec_b64 s[12:13], s[12:13]
; %bb.357:
	v_add_f32_e32 v3, 0x46800000, v2
; %bb.358:
	s_or_b64 exec, exec, s[12:13]
                                        ; implicit-def: $vgpr2
.LBB63_359:
	s_andn2_saveexec_b64 s[10:11], s[10:11]
; %bb.360:
	s_mov_b32 s12, 0x7f800000
	v_mov_b32_e32 v3, 0x7e
	v_mov_b32_e32 v4, 0x7f
	v_cmp_lt_u32_e32 vcc, s12, v2
	v_cndmask_b32_e32 v3, v3, v4, vcc
; %bb.361:
	s_or_b64 exec, exec, s[10:11]
	global_store_byte v[0:1], v3, off
.LBB63_362:
	s_mov_b64 s[10:11], 0
.LBB63_363:
	s_andn2_b64 vcc, exec, s[10:11]
	s_cbranch_vccnz .LBB63_373
; %bb.364:
	v_cndmask_b32_e64 v2, 0, 1.0, s[8:9]
	s_mov_b32 s10, 0x47800000
	v_cmp_gt_u32_e32 vcc, s10, v2
                                        ; implicit-def: $vgpr3
	s_and_saveexec_b64 s[10:11], vcc
	s_xor_b64 s[10:11], exec, s[10:11]
	s_cbranch_execz .LBB63_370
; %bb.365:
	s_mov_b32 s12, 0x387fffff
	v_cmp_lt_u32_e32 vcc, s12, v2
                                        ; implicit-def: $vgpr3
	s_and_saveexec_b64 s[12:13], vcc
	s_xor_b64 s[12:13], exec, s[12:13]
; %bb.366:
	v_bfe_u32 v3, v2, 21, 1
	s_mov_b32 s14, 0x80fffff
	v_add3_u32 v2, v2, v3, s14
	v_lshrrev_b32_e32 v3, 21, v2
                                        ; implicit-def: $vgpr2
; %bb.367:
	s_andn2_saveexec_b64 s[12:13], s[12:13]
; %bb.368:
	v_add_f32_e32 v3, 0x43000000, v2
; %bb.369:
	s_or_b64 exec, exec, s[12:13]
                                        ; implicit-def: $vgpr2
.LBB63_370:
	s_andn2_saveexec_b64 s[10:11], s[10:11]
; %bb.371:
	s_mov_b32 s12, 0x7f800000
	v_mov_b32_e32 v3, 0x7c
	v_mov_b32_e32 v4, 0x7f
	v_cmp_lt_u32_e32 vcc, s12, v2
	v_cndmask_b32_e32 v3, v3, v4, vcc
; %bb.372:
	s_or_b64 exec, exec, s[10:11]
	global_store_byte v[0:1], v3, off
.LBB63_373:
	s_mov_b64 s[12:13], 0
	s_mov_b64 s[10:11], -1
.LBB63_374:
	s_andn2_b64 vcc, exec, s[12:13]
	s_cbranch_vccnz .LBB63_382
; %bb.375:
	s_cmp_gt_i32 s17, 14
	s_mov_b64 s[12:13], -1
	s_cbranch_scc0 .LBB63_379
; %bb.376:
	s_cmp_eq_u32 s17, 15
	s_mov_b64 s[0:1], -1
	s_cbranch_scc0 .LBB63_378
; %bb.377:
	v_cndmask_b32_e64 v2, 0, 1.0, s[8:9]
	v_bfe_u32 v3, v2, 16, 1
	s_movk_i32 s0, 0x7fff
	v_add3_u32 v2, v2, v3, s0
	global_store_short_d16_hi v[0:1], v2, off
	s_mov_b64 s[10:11], -1
	s_mov_b64 s[0:1], 0
.LBB63_378:
	s_mov_b64 s[12:13], 0
.LBB63_379:
	s_and_b64 vcc, exec, s[12:13]
	s_cbranch_vccz .LBB63_382
; %bb.380:
	s_cmp_eq_u32 s17, 11
	s_mov_b64 s[0:1], -1
	s_cbranch_scc0 .LBB63_382
; %bb.381:
	v_cndmask_b32_e64 v2, 0, 1, s[8:9]
	s_mov_b64 s[10:11], -1
	s_mov_b64 s[0:1], 0
	global_store_byte v[0:1], v2, off
.LBB63_382:
	s_mov_b64 s[12:13], 0
.LBB63_383:
	s_and_b64 vcc, exec, s[12:13]
	s_cbranch_vccz .LBB63_422
; %bb.384:
	s_and_b32 s12, 0xffff, s16
	s_cmp_lt_i32 s12, 5
	s_mov_b64 s[10:11], -1
	s_cbranch_scc1 .LBB63_405
; %bb.385:
	s_cmp_lt_i32 s12, 8
	s_cbranch_scc1 .LBB63_395
; %bb.386:
	s_cmp_lt_i32 s12, 9
	s_cbranch_scc1 .LBB63_392
; %bb.387:
	s_cmp_gt_i32 s12, 9
	s_cbranch_scc0 .LBB63_389
; %bb.388:
	v_cndmask_b32_e64 v2, 0, 1, s[8:9]
	v_cvt_f64_u32_e32 v[2:3], v2
	v_mov_b32_e32 v4, 0
	v_mov_b32_e32 v5, v4
	s_mov_b64 s[10:11], 0
	global_store_dwordx4 v[0:1], v[2:5], off
.LBB63_389:
	s_andn2_b64 vcc, exec, s[10:11]
	s_cbranch_vccnz .LBB63_391
; %bb.390:
	v_cndmask_b32_e64 v2, 0, 1.0, s[8:9]
	v_mov_b32_e32 v3, 0
	global_store_dwordx2 v[0:1], v[2:3], off
.LBB63_391:
	s_mov_b64 s[10:11], 0
.LBB63_392:
	s_andn2_b64 vcc, exec, s[10:11]
	s_cbranch_vccnz .LBB63_394
; %bb.393:
	v_cndmask_b32_e64 v2, 0, 1.0, s[8:9]
	v_cvt_f16_f32_e32 v2, v2
	global_store_dword v[0:1], v2, off
.LBB63_394:
	s_mov_b64 s[10:11], 0
.LBB63_395:
	s_andn2_b64 vcc, exec, s[10:11]
	s_cbranch_vccnz .LBB63_404
; %bb.396:
	s_cmp_lt_i32 s12, 6
	s_mov_b64 s[10:11], -1
	s_cbranch_scc1 .LBB63_402
; %bb.397:
	s_cmp_gt_i32 s12, 6
	s_cbranch_scc0 .LBB63_399
; %bb.398:
	v_cndmask_b32_e64 v2, 0, 1, s[8:9]
	v_cvt_f64_u32_e32 v[2:3], v2
	s_mov_b64 s[10:11], 0
	global_store_dwordx2 v[0:1], v[2:3], off
.LBB63_399:
	s_andn2_b64 vcc, exec, s[10:11]
	s_cbranch_vccnz .LBB63_401
; %bb.400:
	v_cndmask_b32_e64 v2, 0, 1.0, s[8:9]
	global_store_dword v[0:1], v2, off
.LBB63_401:
	s_mov_b64 s[10:11], 0
.LBB63_402:
	s_andn2_b64 vcc, exec, s[10:11]
	s_cbranch_vccnz .LBB63_404
; %bb.403:
	v_cndmask_b32_e64 v2, 0, 1.0, s[8:9]
	v_cvt_f16_f32_e32 v2, v2
	global_store_short v[0:1], v2, off
.LBB63_404:
	s_mov_b64 s[10:11], 0
.LBB63_405:
	s_andn2_b64 vcc, exec, s[10:11]
	s_cbranch_vccnz .LBB63_421
; %bb.406:
	s_cmp_lt_i32 s12, 2
	s_mov_b64 s[10:11], -1
	s_cbranch_scc1 .LBB63_416
; %bb.407:
	s_cmp_lt_i32 s12, 3
	s_cbranch_scc1 .LBB63_413
; %bb.408:
	s_cmp_gt_i32 s12, 3
	s_cbranch_scc0 .LBB63_410
; %bb.409:
	s_mov_b32 s10, 0
	v_cndmask_b32_e64 v2, 0, 1, s[8:9]
	v_mov_b32_e32 v3, s10
	s_mov_b64 s[10:11], 0
	global_store_dwordx2 v[0:1], v[2:3], off
.LBB63_410:
	s_andn2_b64 vcc, exec, s[10:11]
	s_cbranch_vccnz .LBB63_412
; %bb.411:
	v_cndmask_b32_e64 v2, 0, 1, s[8:9]
	global_store_dword v[0:1], v2, off
.LBB63_412:
	s_mov_b64 s[10:11], 0
.LBB63_413:
	s_andn2_b64 vcc, exec, s[10:11]
	s_cbranch_vccnz .LBB63_415
; %bb.414:
	v_cndmask_b32_e64 v2, 0, 1, s[8:9]
	global_store_short v[0:1], v2, off
.LBB63_415:
	s_mov_b64 s[10:11], 0
.LBB63_416:
	s_andn2_b64 vcc, exec, s[10:11]
	s_cbranch_vccnz .LBB63_421
; %bb.417:
	s_mov_b64 s[10:11], -1
	s_cmp_gt_i32 s12, 0
	v_cndmask_b32_e64 v2, 0, 1, s[8:9]
	s_cbranch_scc0 .LBB63_419
; %bb.418:
	s_mov_b64 s[10:11], 0
	global_store_byte v[0:1], v2, off
.LBB63_419:
	s_andn2_b64 vcc, exec, s[10:11]
	s_cbranch_vccnz .LBB63_421
; %bb.420:
	global_store_byte v[0:1], v2, off
.LBB63_421:
	s_mov_b64 s[10:11], -1
.LBB63_422:
	s_andn2_b64 vcc, exec, s[10:11]
	s_cbranch_vccnz .LBB63_424
; %bb.423:
	v_add_u32_e32 v11, 0x80, v11
	s_mov_b64 s[8:9], -1
	s_branch .LBB63_533
.LBB63_424:
	s_mov_b64 s[8:9], 0
	s_branch .LBB63_532
.LBB63_425:
	s_mov_b64 s[2:3], -1
                                        ; implicit-def: $vgpr3_vgpr4
.LBB63_426:
	s_mov_b64 s[8:9], 0
.LBB63_427:
	s_and_b64 vcc, exec, s[8:9]
	s_cbranch_vccz .LBB63_431
; %bb.428:
	s_cmp_eq_u32 s10, 29
	s_cbranch_scc0 .LBB63_430
; %bb.429:
	global_load_dwordx2 v[3:4], v[1:2], off
	s_mov_b64 s[0:1], -1
	s_mov_b64 s[2:3], 0
	s_branch .LBB63_431
.LBB63_430:
	s_mov_b64 s[2:3], -1
                                        ; implicit-def: $vgpr3_vgpr4
.LBB63_431:
	s_mov_b64 s[8:9], 0
.LBB63_432:
	s_and_b64 vcc, exec, s[8:9]
	s_cbranch_vccz .LBB63_450
; %bb.433:
	s_cmp_lt_i32 s10, 27
	s_cbranch_scc1 .LBB63_436
; %bb.434:
	s_cmp_gt_i32 s10, 27
	s_cbranch_scc0 .LBB63_437
; %bb.435:
	global_load_dword v3, v[1:2], off
	s_waitcnt vmcnt(1)
	v_mov_b32_e32 v4, 0
	s_mov_b64 s[0:1], 0
	s_branch .LBB63_438
.LBB63_436:
	s_mov_b64 s[0:1], -1
                                        ; implicit-def: $vgpr3_vgpr4
	s_branch .LBB63_441
.LBB63_437:
	s_mov_b64 s[0:1], -1
                                        ; implicit-def: $vgpr3_vgpr4
.LBB63_438:
	s_andn2_b64 vcc, exec, s[0:1]
	s_cbranch_vccnz .LBB63_440
; %bb.439:
	global_load_ushort v3, v[1:2], off
	s_mov_b32 s0, 0
	s_waitcnt vmcnt(1)
	v_mov_b32_e32 v4, s0
	s_waitcnt vmcnt(0)
	v_and_b32_e32 v3, 0xffff, v3
.LBB63_440:
	s_mov_b64 s[0:1], 0
.LBB63_441:
	s_andn2_b64 vcc, exec, s[0:1]
	s_cbranch_vccnz .LBB63_449
; %bb.442:
	global_load_ubyte v5, v[1:2], off
	s_movk_i32 s0, 0x7f
	s_mov_b64 s[8:9], 0
	s_waitcnt vmcnt(0)
	v_cmp_lt_i16_e32 vcc, s0, v5
	s_and_saveexec_b64 s[0:1], vcc
	s_xor_b64 s[0:1], exec, s[0:1]
; %bb.443:
	s_movk_i32 s8, 0x80
	v_cmp_ne_u16_e32 vcc, s8, v5
	s_and_b64 s[8:9], vcc, exec
; %bb.444:
	s_andn2_saveexec_b64 s[0:1], s[0:1]
; %bb.445:
	v_cmp_ne_u16_e32 vcc, 0, v5
	s_andn2_b64 s[8:9], s[8:9], exec
	s_and_b64 s[12:13], vcc, exec
	s_or_b64 s[8:9], s[8:9], s[12:13]
; %bb.446:
	s_or_b64 exec, exec, s[0:1]
	v_mov_b32_e32 v3, 0
	v_mov_b32_e32 v4, 0
	s_and_saveexec_b64 s[0:1], s[8:9]
	s_cbranch_execz .LBB63_448
; %bb.447:
	v_and_b32_e32 v4, 0xffff, v5
	v_lshlrev_b32_e32 v3, 24, v5
	v_and_b32_e32 v5, 7, v4
	v_ffbh_u32_e32 v7, v5
	v_min_u32_e32 v7, 32, v7
	v_subrev_u32_e32 v8, 28, v7
	v_bfe_u32 v6, v4, 3, 4
	v_lshlrev_b32_e32 v4, v8, v4
	v_sub_u32_e32 v7, 29, v7
	v_and_b32_e32 v4, 7, v4
	v_cmp_eq_u32_e32 vcc, 0, v6
	v_cndmask_b32_e32 v6, v6, v7, vcc
	v_cndmask_b32_e32 v4, v5, v4, vcc
	v_mov_b32_e32 v5, 0x3b800000
	v_lshlrev_b32_e32 v4, 20, v4
	v_and_b32_e32 v3, 0x80000000, v3
	v_lshl_add_u32 v5, v6, 23, v5
	v_or3_b32 v3, v3, v5, v4
	v_trunc_f32_e32 v3, v3
	s_mov_b32 s8, 0x2f800000
	v_mul_f32_e64 v4, |v3|, s8
	v_floor_f32_e32 v4, v4
	s_mov_b32 s8, 0xcf800000
	v_fma_f32 v5, v4, s8, |v3|
	v_cvt_u32_f32_e32 v5, v5
	v_cvt_u32_f32_e32 v4, v4
	v_ashrrev_i32_e32 v6, 31, v3
	v_xor_b32_e32 v3, v5, v6
	v_xor_b32_e32 v4, v4, v6
	v_sub_co_u32_e32 v3, vcc, v3, v6
	v_subb_co_u32_e32 v4, vcc, v4, v6, vcc
.LBB63_448:
	s_or_b64 exec, exec, s[0:1]
.LBB63_449:
	s_mov_b64 s[0:1], -1
.LBB63_450:
	s_mov_b64 s[8:9], 0
.LBB63_451:
	s_and_b64 vcc, exec, s[8:9]
	s_cbranch_vccz .LBB63_482
; %bb.452:
	s_cmp_gt_i32 s10, 22
	s_cbranch_scc0 .LBB63_462
; %bb.453:
	s_cmp_lt_i32 s10, 24
	s_cbranch_scc1 .LBB63_463
; %bb.454:
	s_cmp_gt_i32 s10, 24
	s_cbranch_scc0 .LBB63_464
; %bb.455:
	global_load_ubyte v5, v[1:2], off
	s_movk_i32 s0, 0x7f
	s_mov_b64 s[8:9], 0
	s_waitcnt vmcnt(0)
	v_cmp_lt_i16_e32 vcc, s0, v5
	s_and_saveexec_b64 s[0:1], vcc
	s_xor_b64 s[0:1], exec, s[0:1]
; %bb.456:
	s_movk_i32 s8, 0x80
	v_cmp_ne_u16_e32 vcc, s8, v5
	s_and_b64 s[8:9], vcc, exec
; %bb.457:
	s_andn2_saveexec_b64 s[0:1], s[0:1]
; %bb.458:
	v_cmp_ne_u16_e32 vcc, 0, v5
	s_andn2_b64 s[8:9], s[8:9], exec
	s_and_b64 s[12:13], vcc, exec
	s_or_b64 s[8:9], s[8:9], s[12:13]
; %bb.459:
	s_or_b64 exec, exec, s[0:1]
	v_mov_b32_e32 v3, 0
	v_mov_b32_e32 v4, 0
	s_and_saveexec_b64 s[0:1], s[8:9]
	s_cbranch_execz .LBB63_461
; %bb.460:
	v_and_b32_e32 v4, 0xffff, v5
	v_lshlrev_b32_e32 v3, 24, v5
	v_and_b32_e32 v5, 3, v4
	v_ffbh_u32_e32 v7, v5
	v_min_u32_e32 v7, 32, v7
	v_subrev_u32_e32 v8, 29, v7
	v_bfe_u32 v6, v4, 2, 5
	v_lshlrev_b32_e32 v4, v8, v4
	v_sub_u32_e32 v7, 30, v7
	v_and_b32_e32 v4, 3, v4
	v_cmp_eq_u32_e32 vcc, 0, v6
	v_cndmask_b32_e32 v6, v6, v7, vcc
	v_cndmask_b32_e32 v4, v5, v4, vcc
	v_mov_b32_e32 v5, 0x37800000
	v_lshlrev_b32_e32 v4, 21, v4
	v_and_b32_e32 v3, 0x80000000, v3
	v_lshl_add_u32 v5, v6, 23, v5
	v_or3_b32 v3, v3, v5, v4
	v_trunc_f32_e32 v3, v3
	s_mov_b32 s8, 0x2f800000
	v_mul_f32_e64 v4, |v3|, s8
	v_floor_f32_e32 v4, v4
	s_mov_b32 s8, 0xcf800000
	v_fma_f32 v5, v4, s8, |v3|
	v_cvt_u32_f32_e32 v5, v5
	v_cvt_u32_f32_e32 v4, v4
	v_ashrrev_i32_e32 v6, 31, v3
	v_xor_b32_e32 v3, v5, v6
	v_xor_b32_e32 v4, v4, v6
	v_sub_co_u32_e32 v3, vcc, v3, v6
	v_subb_co_u32_e32 v4, vcc, v4, v6, vcc
.LBB63_461:
	s_or_b64 exec, exec, s[0:1]
	s_mov_b64 s[0:1], 0
	s_branch .LBB63_465
.LBB63_462:
	s_mov_b64 s[8:9], -1
                                        ; implicit-def: $vgpr3_vgpr4
	s_branch .LBB63_471
.LBB63_463:
	s_mov_b64 s[0:1], -1
                                        ; implicit-def: $vgpr3_vgpr4
	s_branch .LBB63_468
.LBB63_464:
	s_mov_b64 s[0:1], -1
                                        ; implicit-def: $vgpr3_vgpr4
.LBB63_465:
	s_and_b64 vcc, exec, s[0:1]
	s_cbranch_vccz .LBB63_467
; %bb.466:
	global_load_ubyte v3, v[1:2], off
	s_mov_b32 s0, 0x7f800000
	s_brev_b32 s1, 1
	s_mov_b32 s8, 0x2f800000
	s_mov_b32 s9, 0xcf800000
	s_waitcnt vmcnt(0)
	v_lshlrev_b32_e32 v3, 24, v3
	v_and_b32_e32 v4, 0x7f000000, v3
	v_ffbh_u32_e32 v5, v4
	v_min_u32_e32 v5, 32, v5
	v_sub_u32_e64 v5, v5, 4 clamp
	v_lshlrev_b32_e32 v7, v5, v4
	v_lshlrev_b32_e32 v5, 23, v5
	v_lshrrev_b32_e32 v7, 4, v7
	v_add_u32_e32 v6, 0x1000000, v4
	v_sub_u32_e32 v5, v7, v5
	v_ashrrev_i32_e32 v6, 8, v6
	v_add_u32_e32 v5, 0x3c000000, v5
	v_and_or_b32 v5, v6, s0, v5
	v_cmp_ne_u32_e32 vcc, 0, v4
	v_cndmask_b32_e32 v4, 0, v5, vcc
	v_and_or_b32 v3, v3, s1, v4
	v_trunc_f32_e32 v3, v3
	v_mul_f32_e64 v4, |v3|, s8
	v_floor_f32_e32 v4, v4
	v_fma_f32 v5, v4, s9, |v3|
	v_cvt_u32_f32_e32 v5, v5
	v_cvt_u32_f32_e32 v4, v4
	v_ashrrev_i32_e32 v6, 31, v3
	v_xor_b32_e32 v3, v5, v6
	v_xor_b32_e32 v4, v4, v6
	v_sub_co_u32_e32 v3, vcc, v3, v6
	v_subb_co_u32_e32 v4, vcc, v4, v6, vcc
.LBB63_467:
	s_mov_b64 s[0:1], 0
.LBB63_468:
	s_andn2_b64 vcc, exec, s[0:1]
	s_cbranch_vccnz .LBB63_470
; %bb.469:
	global_load_ubyte v3, v[1:2], off
	s_movk_i32 s0, 0x7f00
	s_brev_b32 s1, 16
	s_brev_b32 s8, 1
	s_mov_b32 s9, 0x2f800000
	s_mov_b32 s11, 0xcf800000
	s_waitcnt vmcnt(0)
	v_lshlrev_b16_e32 v4, 8, v3
	v_lshlrev_b32_e32 v3, 25, v3
	v_lshrrev_b32_e32 v5, 4, v3
	v_and_or_b32 v6, v4, s0, 0.5
	v_or_b32_e32 v5, 0x70000000, v5
	v_add_f32_e32 v6, -0.5, v6
	v_mul_f32_e32 v5, 0x7800000, v5
	v_cmp_gt_u32_e32 vcc, s1, v3
	v_bfe_i32 v4, v4, 0, 16
	v_cndmask_b32_e32 v3, v5, v6, vcc
	v_and_or_b32 v3, v4, s8, v3
	v_trunc_f32_e32 v3, v3
	v_mul_f32_e64 v4, |v3|, s9
	v_floor_f32_e32 v4, v4
	v_fma_f32 v5, v4, s11, |v3|
	v_cvt_u32_f32_e32 v5, v5
	v_cvt_u32_f32_e32 v4, v4
	v_ashrrev_i32_e32 v6, 31, v3
	v_xor_b32_e32 v3, v5, v6
	v_xor_b32_e32 v4, v4, v6
	v_sub_co_u32_e32 v3, vcc, v3, v6
	v_subb_co_u32_e32 v4, vcc, v4, v6, vcc
.LBB63_470:
	s_mov_b64 s[8:9], 0
	s_mov_b64 s[0:1], -1
.LBB63_471:
	s_andn2_b64 vcc, exec, s[8:9]
	s_cbranch_vccnz .LBB63_482
; %bb.472:
	s_cmp_gt_i32 s10, 14
	s_cbranch_scc0 .LBB63_475
; %bb.473:
	s_cmp_eq_u32 s10, 15
	s_cbranch_scc0 .LBB63_476
; %bb.474:
	global_load_ushort v3, v[1:2], off
	s_mov_b32 s0, 0x2f800000
	s_mov_b32 s1, 0xcf800000
	s_mov_b64 s[2:3], 0
	s_waitcnt vmcnt(0)
	v_lshlrev_b32_e32 v3, 16, v3
	v_trunc_f32_e32 v3, v3
	v_mul_f32_e64 v4, |v3|, s0
	v_floor_f32_e32 v4, v4
	v_fma_f32 v5, v4, s1, |v3|
	v_cvt_u32_f32_e32 v5, v5
	v_cvt_u32_f32_e32 v4, v4
	v_ashrrev_i32_e32 v6, 31, v3
	s_mov_b64 s[0:1], -1
	v_xor_b32_e32 v3, v5, v6
	v_xor_b32_e32 v4, v4, v6
	v_sub_co_u32_e32 v3, vcc, v3, v6
	v_subb_co_u32_e32 v4, vcc, v4, v6, vcc
	s_branch .LBB63_477
.LBB63_475:
	s_mov_b64 s[8:9], -1
                                        ; implicit-def: $vgpr3_vgpr4
	s_branch .LBB63_478
.LBB63_476:
	s_mov_b64 s[2:3], -1
                                        ; implicit-def: $vgpr3_vgpr4
.LBB63_477:
	s_mov_b64 s[8:9], 0
.LBB63_478:
	s_and_b64 vcc, exec, s[8:9]
	s_cbranch_vccz .LBB63_482
; %bb.479:
	s_cmp_eq_u32 s10, 11
	s_cbranch_scc0 .LBB63_481
; %bb.480:
	global_load_ubyte v3, v[1:2], off
	s_mov_b32 s2, 0
	s_mov_b64 s[0:1], -1
	s_waitcnt vmcnt(1)
	v_mov_b32_e32 v4, s2
	s_mov_b64 s[2:3], 0
	s_waitcnt vmcnt(0)
	v_cmp_ne_u16_e32 vcc, 0, v3
	v_cndmask_b32_e64 v3, 0, 1, vcc
	s_branch .LBB63_482
.LBB63_481:
	s_mov_b64 s[2:3], -1
                                        ; implicit-def: $vgpr3_vgpr4
.LBB63_482:
	s_branch .LBB63_289
.LBB63_483:
	s_cmp_lt_i32 s10, 5
	s_cbranch_scc1 .LBB63_488
; %bb.484:
	s_cmp_lt_i32 s10, 8
	s_cbranch_scc1 .LBB63_489
; %bb.485:
	;; [unrolled: 3-line block ×3, first 2 shown]
	s_cmp_gt_i32 s10, 9
	s_cbranch_scc0 .LBB63_491
; %bb.487:
	global_load_dwordx2 v[3:4], v[1:2], off
	s_movk_i32 s0, 0xffe0
	s_waitcnt vmcnt(0)
	v_trunc_f64_e32 v[3:4], v[3:4]
	v_ldexp_f64 v[5:6], v[3:4], s0
	s_mov_b32 s0, 0
	s_mov_b32 s1, 0xc1f00000
	v_floor_f64_e32 v[5:6], v[5:6]
	v_fma_f64 v[7:8], v[5:6], s[0:1], v[3:4]
	v_cvt_i32_f64_e32 v4, v[5:6]
	s_mov_b64 s[0:1], 0
	v_cvt_u32_f64_e32 v3, v[7:8]
	s_branch .LBB63_492
.LBB63_488:
	s_mov_b64 s[0:1], -1
                                        ; implicit-def: $vgpr3_vgpr4
	s_branch .LBB63_510
.LBB63_489:
	s_mov_b64 s[0:1], -1
                                        ; implicit-def: $vgpr3_vgpr4
	s_branch .LBB63_498
.LBB63_490:
	s_mov_b64 s[0:1], -1
                                        ; implicit-def: $vgpr3_vgpr4
	s_branch .LBB63_495
.LBB63_491:
	s_mov_b64 s[0:1], -1
                                        ; implicit-def: $vgpr3_vgpr4
.LBB63_492:
	s_andn2_b64 vcc, exec, s[0:1]
	s_cbranch_vccnz .LBB63_494
; %bb.493:
	global_load_dword v3, v[1:2], off
	s_mov_b32 s0, 0x2f800000
	s_mov_b32 s1, 0xcf800000
	s_waitcnt vmcnt(0)
	v_trunc_f32_e32 v3, v3
	v_mul_f32_e64 v4, |v3|, s0
	v_floor_f32_e32 v4, v4
	v_cvt_u32_f32_e32 v5, v4
	v_fma_f32 v4, v4, s1, |v3|
	v_cvt_u32_f32_e32 v4, v4
	v_ashrrev_i32_e32 v6, 31, v3
	v_xor_b32_e32 v5, v5, v6
	v_xor_b32_e32 v3, v4, v6
	v_sub_co_u32_e32 v3, vcc, v3, v6
	v_subb_co_u32_e32 v4, vcc, v5, v6, vcc
.LBB63_494:
	s_mov_b64 s[0:1], 0
.LBB63_495:
	s_andn2_b64 vcc, exec, s[0:1]
	s_cbranch_vccnz .LBB63_497
; %bb.496:
	global_load_dword v3, v[1:2], off
	s_waitcnt vmcnt(0)
	v_cvt_f32_f16_e32 v3, v3
	v_cvt_i32_f32_e32 v3, v3
	v_ashrrev_i32_e32 v4, 31, v3
.LBB63_497:
	s_mov_b64 s[0:1], 0
.LBB63_498:
	s_andn2_b64 vcc, exec, s[0:1]
	s_cbranch_vccnz .LBB63_509
; %bb.499:
	s_cmp_lt_i32 s10, 6
	s_cbranch_scc1 .LBB63_502
; %bb.500:
	s_cmp_gt_i32 s10, 6
	s_cbranch_scc0 .LBB63_503
; %bb.501:
	global_load_dwordx2 v[3:4], v[1:2], off
	s_movk_i32 s0, 0xffe0
	s_waitcnt vmcnt(0)
	v_trunc_f64_e32 v[3:4], v[3:4]
	v_ldexp_f64 v[5:6], v[3:4], s0
	s_mov_b32 s0, 0
	s_mov_b32 s1, 0xc1f00000
	v_floor_f64_e32 v[5:6], v[5:6]
	v_fma_f64 v[7:8], v[5:6], s[0:1], v[3:4]
	v_cvt_i32_f64_e32 v4, v[5:6]
	s_mov_b64 s[0:1], 0
	v_cvt_u32_f64_e32 v3, v[7:8]
	s_branch .LBB63_504
.LBB63_502:
	s_mov_b64 s[0:1], -1
                                        ; implicit-def: $vgpr3_vgpr4
	s_branch .LBB63_507
.LBB63_503:
	s_mov_b64 s[0:1], -1
                                        ; implicit-def: $vgpr3_vgpr4
.LBB63_504:
	s_andn2_b64 vcc, exec, s[0:1]
	s_cbranch_vccnz .LBB63_506
; %bb.505:
	global_load_dword v3, v[1:2], off
	s_mov_b32 s0, 0x2f800000
	s_mov_b32 s1, 0xcf800000
	s_waitcnt vmcnt(0)
	v_trunc_f32_e32 v3, v3
	v_mul_f32_e64 v4, |v3|, s0
	v_floor_f32_e32 v4, v4
	v_cvt_u32_f32_e32 v5, v4
	v_fma_f32 v4, v4, s1, |v3|
	v_cvt_u32_f32_e32 v4, v4
	v_ashrrev_i32_e32 v6, 31, v3
	v_xor_b32_e32 v5, v5, v6
	v_xor_b32_e32 v3, v4, v6
	v_sub_co_u32_e32 v3, vcc, v3, v6
	v_subb_co_u32_e32 v4, vcc, v5, v6, vcc
.LBB63_506:
	s_mov_b64 s[0:1], 0
.LBB63_507:
	s_andn2_b64 vcc, exec, s[0:1]
	s_cbranch_vccnz .LBB63_509
; %bb.508:
	global_load_ushort v3, v[1:2], off
	s_waitcnt vmcnt(0)
	v_cvt_f32_f16_e32 v3, v3
	v_cvt_i32_f32_e32 v3, v3
	v_ashrrev_i32_e32 v4, 31, v3
.LBB63_509:
	s_mov_b64 s[0:1], 0
.LBB63_510:
	s_andn2_b64 vcc, exec, s[0:1]
	s_cbranch_vccnz .LBB63_530
; %bb.511:
	s_cmp_lt_i32 s10, 2
	s_cbranch_scc1 .LBB63_515
; %bb.512:
	s_cmp_lt_i32 s10, 3
	s_cbranch_scc1 .LBB63_516
; %bb.513:
	s_cmp_gt_i32 s10, 3
	s_cbranch_scc0 .LBB63_517
; %bb.514:
	global_load_dwordx2 v[3:4], v[1:2], off
	s_mov_b64 s[0:1], 0
	s_branch .LBB63_518
.LBB63_515:
	s_mov_b64 s[0:1], -1
                                        ; implicit-def: $vgpr3_vgpr4
	s_branch .LBB63_524
.LBB63_516:
	s_mov_b64 s[0:1], -1
                                        ; implicit-def: $vgpr3_vgpr4
	s_branch .LBB63_521
.LBB63_517:
	s_mov_b64 s[0:1], -1
                                        ; implicit-def: $vgpr3_vgpr4
.LBB63_518:
	s_andn2_b64 vcc, exec, s[0:1]
	s_cbranch_vccnz .LBB63_520
; %bb.519:
	global_load_dword v3, v[1:2], off
	s_waitcnt vmcnt(0)
	v_ashrrev_i32_e32 v4, 31, v3
.LBB63_520:
	s_mov_b64 s[0:1], 0
.LBB63_521:
	s_andn2_b64 vcc, exec, s[0:1]
	s_cbranch_vccnz .LBB63_523
; %bb.522:
	global_load_ushort v3, v[1:2], off
	s_waitcnt vmcnt(0)
	v_bfe_i32 v3, v3, 0, 16
	v_ashrrev_i32_e32 v4, 31, v3
.LBB63_523:
	s_mov_b64 s[0:1], 0
.LBB63_524:
	s_andn2_b64 vcc, exec, s[0:1]
	s_cbranch_vccnz .LBB63_530
; %bb.525:
	s_cmp_gt_i32 s10, 0
	s_cbranch_scc0 .LBB63_527
; %bb.526:
	global_load_sbyte v3, v[1:2], off
	s_mov_b64 s[0:1], 0
	s_waitcnt vmcnt(0)
	v_bfe_i32 v3, v3, 0, 16
	v_ashrrev_i32_e32 v4, 31, v3
	s_branch .LBB63_528
.LBB63_527:
	s_mov_b64 s[0:1], -1
                                        ; implicit-def: $vgpr3_vgpr4
.LBB63_528:
	s_andn2_b64 vcc, exec, s[0:1]
	s_cbranch_vccnz .LBB63_530
; %bb.529:
	global_load_ubyte v1, v[1:2], off
	s_mov_b32 s0, 0
	s_waitcnt vmcnt(1)
	v_mov_b32_e32 v4, s0
	s_waitcnt vmcnt(0)
	v_and_b32_e32 v3, 0xffff, v1
.LBB63_530:
	s_branch .LBB63_290
.LBB63_531:
	s_mov_b64 s[8:9], 0
	s_mov_b64 s[0:1], s[56:57]
.LBB63_532:
                                        ; implicit-def: $vgpr11
.LBB63_533:
	s_andn2_b64 s[10:11], s[56:57], exec
	s_and_b64 s[0:1], s[0:1], exec
	s_or_b64 s[64:65], s[10:11], s[0:1]
	s_andn2_b64 s[0:1], s[58:59], exec
	s_and_b64 s[2:3], s[2:3], exec
	s_or_b64 s[62:63], s[0:1], s[2:3]
	s_orn2_b64 s[0:1], s[8:9], exec
.LBB63_534:
	s_or_b64 exec, exec, s[66:67]
	s_mov_b64 s[2:3], 0
	s_mov_b64 s[8:9], 0
	;; [unrolled: 1-line block ×3, first 2 shown]
                                        ; implicit-def: $vgpr1_vgpr2
                                        ; implicit-def: $vgpr0
                                        ; implicit-def: $vgpr3_vgpr4
	s_and_saveexec_b64 s[66:67], s[0:1]
	s_cbranch_execz .LBB63_901
; %bb.535:
	v_cmp_gt_i32_e32 vcc, s74, v11
	s_mov_b64 s[2:3], -1
	s_mov_b64 s[70:71], s[62:63]
	s_mov_b64 s[72:73], s[64:65]
	s_and_saveexec_b64 s[68:69], vcc
	s_cbranch_execz .LBB63_805
; %bb.536:
	s_andn2_b64 vcc, exec, s[40:41]
	s_cbranch_vccnz .LBB63_541
; %bb.537:
	s_andn2_b64 vcc, exec, s[54:55]
	s_cbranch_vccnz .LBB63_542
; %bb.538:
	s_add_i32 s80, s79, 1
	s_cmp_eq_u32 s76, 2
	s_cbranch_scc1 .LBB63_543
; %bb.539:
	s_and_b32 s75, s80, 28
	v_mov_b32_e32 v2, 0
	s_mov_b32 s81, 0
	s_mov_b64 s[70:71], s[34:35]
	s_mov_b64 s[72:73], s[52:53]
	v_mov_b32_e32 v0, 0
	v_mov_b32_e32 v1, v11
.LBB63_540:                             ; =>This Inner Loop Header: Depth=1
	s_load_dwordx8 s[16:23], s[70:71], 0x4
	s_load_dwordx4 s[0:3], s[70:71], 0x24
	s_load_dwordx8 s[8:15], s[72:73], 0x0
	s_add_u32 s70, s70, 48
	s_addc_u32 s71, s71, 0
	s_waitcnt vmcnt(0) lgkmcnt(0)
	v_mul_hi_u32 v3, s17, v1
	s_add_i32 s81, s81, 4
	s_add_u32 s72, s72, 32
	s_addc_u32 s73, s73, 0
	v_add_u32_e32 v3, v1, v3
	v_lshrrev_b32_e32 v3, s18, v3
	v_mul_lo_u32 v4, v3, s16
	v_mul_hi_u32 v5, s20, v3
	s_cmp_eq_u32 s75, s81
	v_sub_u32_e32 v1, v1, v4
	v_add_u32_e32 v4, v3, v5
	v_mul_lo_u32 v5, v1, s8
	v_mul_lo_u32 v6, v1, s9
	v_lshrrev_b32_e32 v1, s21, v4
	v_mul_lo_u32 v4, v1, s19
	v_mul_hi_u32 v7, s23, v1
	v_sub_u32_e32 v3, v3, v4
	v_add_u32_e32 v4, v1, v7
	v_lshrrev_b32_e32 v4, s0, v4
	v_mul_hi_u32 v8, s2, v4
	v_mul_lo_u32 v9, v4, s22
	v_mul_lo_u32 v7, v3, s10
	;; [unrolled: 1-line block ×3, first 2 shown]
	v_sub_u32_e32 v9, v1, v9
	v_add_u32_e32 v1, v4, v8
	v_lshrrev_b32_e32 v1, s3, v1
	v_mul_lo_u32 v8, v1, s1
	v_mul_lo_u32 v10, v9, s12
	v_mul_lo_u32 v9, v9, s13
	v_add3_u32 v0, v5, v0, v7
	v_sub_u32_e32 v4, v4, v8
	v_mul_lo_u32 v8, v4, s14
	v_mul_lo_u32 v4, v4, s15
	v_add3_u32 v2, v6, v2, v3
	v_add3_u32 v0, v10, v0, v8
	;; [unrolled: 1-line block ×3, first 2 shown]
	s_cbranch_scc0 .LBB63_540
	s_branch .LBB63_544
.LBB63_541:
	s_mov_b64 s[0:1], -1
                                        ; implicit-def: $vgpr0
                                        ; implicit-def: $vgpr2
	s_branch .LBB63_548
.LBB63_542:
	v_mov_b32_e32 v0, 0
	v_mov_b32_e32 v2, 0
	s_branch .LBB63_547
.LBB63_543:
	s_mov_b32 s75, 0
	v_mov_b32_e32 v0, 0
	v_mov_b32_e32 v2, 0
	;; [unrolled: 1-line block ×3, first 2 shown]
.LBB63_544:
	s_and_b32 s8, s80, 3
	s_cmp_eq_u32 s8, 0
	s_cbranch_scc1 .LBB63_547
; %bb.545:
	s_lshl_b32 s0, s75, 3
	s_add_u32 s0, s34, s0
	s_addc_u32 s1, s35, 0
	s_add_u32 s0, s0, 0xc4
	s_addc_u32 s1, s1, 0
	s_mul_i32 s2, s75, 12
	s_add_u32 s2, s34, s2
	s_addc_u32 s3, s35, 0
.LBB63_546:                             ; =>This Inner Loop Header: Depth=1
	s_load_dwordx2 s[10:11], s[2:3], 0x4
	s_load_dword s9, s[2:3], 0xc
	s_load_dwordx2 s[12:13], s[0:1], 0x0
	s_add_u32 s2, s2, 12
	s_addc_u32 s3, s3, 0
	s_waitcnt vmcnt(0) lgkmcnt(0)
	v_mul_hi_u32 v3, s11, v1
	s_add_u32 s0, s0, 8
	s_addc_u32 s1, s1, 0
	s_add_i32 s8, s8, -1
	v_add_u32_e32 v3, v1, v3
	v_lshrrev_b32_e32 v4, s9, v3
	v_mul_lo_u32 v3, v4, s10
	s_cmp_lg_u32 s8, 0
	v_sub_u32_e32 v3, v1, v3
	v_mad_u64_u32 v[0:1], s[10:11], v3, s12, v[0:1]
	v_mad_u64_u32 v[2:3], s[10:11], v3, s13, v[2:3]
	v_mov_b32_e32 v1, v4
	s_cbranch_scc1 .LBB63_546
.LBB63_547:
	s_mov_b64 s[0:1], 0
.LBB63_548:
	s_andn2_b64 vcc, exec, s[0:1]
	s_cbranch_vccnz .LBB63_551
; %bb.549:
	v_mul_hi_u32 v0, s29, v11
	s_andn2_b64 vcc, exec, s[50:51]
	v_add_u32_e32 v0, v11, v0
	v_lshrrev_b32_e32 v1, s30, v0
	v_mul_lo_u32 v0, v1, s28
	v_sub_u32_e32 v2, v11, v0
	v_mul_lo_u32 v0, v2, s36
	v_mul_lo_u32 v2, v2, s37
	s_cbranch_vccnz .LBB63_551
; %bb.550:
	s_waitcnt vmcnt(0)
	v_mul_hi_u32 v3, s48, v1
	v_add_u32_e32 v3, v1, v3
	v_lshrrev_b32_e32 v3, s49, v3
	v_mul_lo_u32 v3, v3, s31
	v_sub_u32_e32 v3, v1, v3
	v_mad_u64_u32 v[0:1], s[0:1], v3, s38, v[0:1]
	v_mad_u64_u32 v[2:3], s[0:1], v3, s39, v[2:3]
.LBB63_551:
	s_waitcnt vmcnt(0)
	v_mov_b32_e32 v3, s27
	s_and_b32 s10, 0xffff, s78
	v_add_co_u32_e32 v1, vcc, s26, v2
	s_cmp_lt_i32 s10, 11
	v_addc_co_u32_e32 v2, vcc, 0, v3, vcc
	s_cbranch_scc1 .LBB63_558
; %bb.552:
	s_cmp_gt_i32 s10, 25
	s_cbranch_scc0 .LBB63_559
; %bb.553:
	s_cmp_gt_i32 s10, 28
	s_cbranch_scc0 .LBB63_560
	;; [unrolled: 3-line block ×4, first 2 shown]
; %bb.556:
	s_cmp_eq_u32 s10, 46
	s_mov_b64 s[8:9], 0
	s_cbranch_scc0 .LBB63_567
; %bb.557:
	global_load_dword v3, v[1:2], off
	s_mov_b32 s0, 0x2f800000
	s_mov_b32 s1, 0xcf800000
	s_mov_b64 s[2:3], 0
	s_waitcnt vmcnt(0)
	v_lshlrev_b32_e32 v3, 16, v3
	v_trunc_f32_e32 v3, v3
	v_mul_f32_e64 v4, |v3|, s0
	v_floor_f32_e32 v4, v4
	v_fma_f32 v5, v4, s1, |v3|
	v_cvt_u32_f32_e32 v5, v5
	v_cvt_u32_f32_e32 v4, v4
	v_ashrrev_i32_e32 v6, 31, v3
	s_mov_b64 s[0:1], -1
	v_xor_b32_e32 v3, v5, v6
	v_xor_b32_e32 v4, v4, v6
	v_sub_co_u32_e32 v3, vcc, v3, v6
	v_subb_co_u32_e32 v4, vcc, v4, v6, vcc
	s_branch .LBB63_568
.LBB63_558:
	s_mov_b64 s[8:9], -1
	s_mov_b64 s[0:1], 0
                                        ; implicit-def: $vgpr3_vgpr4
	s_mov_b64 s[2:3], s[62:63]
	s_branch .LBB63_629
.LBB63_559:
	s_mov_b64 s[8:9], -1
	s_mov_b64 s[0:1], 0
	s_mov_b64 s[2:3], s[62:63]
                                        ; implicit-def: $vgpr3_vgpr4
	s_branch .LBB63_597
.LBB63_560:
	s_mov_b64 s[8:9], -1
	s_mov_b64 s[0:1], 0
	s_mov_b64 s[2:3], s[62:63]
                                        ; implicit-def: $vgpr3_vgpr4
	s_branch .LBB63_578
.LBB63_561:
	s_mov_b64 s[8:9], -1
	s_mov_b64 s[0:1], 0
	s_mov_b64 s[2:3], s[62:63]
                                        ; implicit-def: $vgpr3_vgpr4
	s_branch .LBB63_573
.LBB63_562:
	s_andn2_saveexec_b64 s[14:15], s[14:15]
	s_cbranch_execz .LBB63_335
.LBB63_563:
	v_add_f32_e32 v2, 0x46000000, v3
	v_and_b32_e32 v2, 0xff, v2
	v_cmp_ne_u32_e32 vcc, 0, v2
	s_andn2_b64 s[12:13], s[12:13], exec
	s_and_b64 s[18:19], vcc, exec
	s_or_b64 s[12:13], s[12:13], s[18:19]
	s_or_b64 exec, exec, s[14:15]
	v_mov_b32_e32 v4, 0
	s_and_saveexec_b64 s[14:15], s[12:13]
	s_cbranch_execnz .LBB63_336
	s_branch .LBB63_337
.LBB63_564:
	s_mov_b64 s[8:9], -1
	s_mov_b64 s[0:1], 0
	s_mov_b64 s[2:3], s[62:63]
                                        ; implicit-def: $vgpr3_vgpr4
	s_branch .LBB63_568
.LBB63_565:
	s_andn2_saveexec_b64 s[14:15], s[14:15]
	s_cbranch_execz .LBB63_348
.LBB63_566:
	v_add_f32_e32 v2, 0x42800000, v3
	v_and_b32_e32 v2, 0xff, v2
	v_cmp_ne_u32_e32 vcc, 0, v2
	s_andn2_b64 s[12:13], s[12:13], exec
	s_and_b64 s[18:19], vcc, exec
	s_or_b64 s[12:13], s[12:13], s[18:19]
	s_or_b64 exec, exec, s[14:15]
	v_mov_b32_e32 v4, 0
	s_and_saveexec_b64 s[14:15], s[12:13]
	s_cbranch_execnz .LBB63_349
	s_branch .LBB63_350
.LBB63_567:
	s_mov_b64 s[2:3], -1
                                        ; implicit-def: $vgpr3_vgpr4
	s_mov_b64 s[0:1], 0
.LBB63_568:
	s_and_b64 vcc, exec, s[8:9]
	s_cbranch_vccz .LBB63_572
; %bb.569:
	s_cmp_eq_u32 s10, 44
	s_cbranch_scc0 .LBB63_571
; %bb.570:
	global_load_ubyte v3, v[1:2], off
	s_mov_b32 s0, 0x2f800000
	s_mov_b32 s1, 0xcf800000
	s_mov_b64 s[2:3], 0
	s_waitcnt vmcnt(0)
	v_lshlrev_b32_e32 v4, 23, v3
	v_trunc_f32_e32 v4, v4
	v_mul_f32_e64 v5, |v4|, s0
	v_floor_f32_e32 v5, v5
	v_fma_f32 v6, v5, s1, |v4|
	v_cvt_u32_f32_e32 v6, v6
	v_cvt_u32_f32_e32 v5, v5
	v_ashrrev_i32_e32 v4, 31, v4
	s_mov_b64 s[0:1], -1
	v_xor_b32_e32 v6, v6, v4
	v_xor_b32_e32 v5, v5, v4
	v_sub_co_u32_e32 v6, vcc, v6, v4
	v_subb_co_u32_e32 v4, vcc, v5, v4, vcc
	v_cmp_ne_u32_e32 vcc, 0, v3
	v_cndmask_b32_e32 v4, 0, v4, vcc
	v_cndmask_b32_e32 v3, 0, v6, vcc
	s_branch .LBB63_572
.LBB63_571:
	s_mov_b64 s[2:3], -1
                                        ; implicit-def: $vgpr3_vgpr4
.LBB63_572:
	s_mov_b64 s[8:9], 0
.LBB63_573:
	s_and_b64 vcc, exec, s[8:9]
	s_cbranch_vccz .LBB63_577
; %bb.574:
	s_cmp_eq_u32 s10, 29
	s_cbranch_scc0 .LBB63_576
; %bb.575:
	global_load_dwordx2 v[3:4], v[1:2], off
	s_mov_b64 s[0:1], -1
	s_mov_b64 s[2:3], 0
	s_branch .LBB63_577
.LBB63_576:
	s_mov_b64 s[2:3], -1
                                        ; implicit-def: $vgpr3_vgpr4
.LBB63_577:
	s_mov_b64 s[8:9], 0
.LBB63_578:
	s_and_b64 vcc, exec, s[8:9]
	s_cbranch_vccz .LBB63_596
; %bb.579:
	s_cmp_lt_i32 s10, 27
	s_cbranch_scc1 .LBB63_582
; %bb.580:
	s_cmp_gt_i32 s10, 27
	s_cbranch_scc0 .LBB63_583
; %bb.581:
	global_load_dword v3, v[1:2], off
	s_waitcnt vmcnt(1)
	v_mov_b32_e32 v4, 0
	s_mov_b64 s[0:1], 0
	s_branch .LBB63_584
.LBB63_582:
	s_mov_b64 s[0:1], -1
                                        ; implicit-def: $vgpr3_vgpr4
	s_branch .LBB63_587
.LBB63_583:
	s_mov_b64 s[0:1], -1
                                        ; implicit-def: $vgpr3_vgpr4
.LBB63_584:
	s_andn2_b64 vcc, exec, s[0:1]
	s_cbranch_vccnz .LBB63_586
; %bb.585:
	global_load_ushort v3, v[1:2], off
	s_mov_b32 s0, 0
	s_waitcnt vmcnt(1)
	v_mov_b32_e32 v4, s0
	s_waitcnt vmcnt(0)
	v_and_b32_e32 v3, 0xffff, v3
.LBB63_586:
	s_mov_b64 s[0:1], 0
.LBB63_587:
	s_andn2_b64 vcc, exec, s[0:1]
	s_cbranch_vccnz .LBB63_595
; %bb.588:
	global_load_ubyte v5, v[1:2], off
	s_movk_i32 s0, 0x7f
	s_mov_b64 s[8:9], 0
	s_waitcnt vmcnt(0)
	v_cmp_lt_i16_e32 vcc, s0, v5
	s_and_saveexec_b64 s[0:1], vcc
	s_xor_b64 s[0:1], exec, s[0:1]
; %bb.589:
	s_movk_i32 s8, 0x80
	v_cmp_ne_u16_e32 vcc, s8, v5
	s_and_b64 s[8:9], vcc, exec
; %bb.590:
	s_andn2_saveexec_b64 s[0:1], s[0:1]
; %bb.591:
	v_cmp_ne_u16_e32 vcc, 0, v5
	s_andn2_b64 s[8:9], s[8:9], exec
	s_and_b64 s[12:13], vcc, exec
	s_or_b64 s[8:9], s[8:9], s[12:13]
; %bb.592:
	s_or_b64 exec, exec, s[0:1]
	v_mov_b32_e32 v3, 0
	v_mov_b32_e32 v4, 0
	s_and_saveexec_b64 s[0:1], s[8:9]
	s_cbranch_execz .LBB63_594
; %bb.593:
	v_and_b32_e32 v4, 0xffff, v5
	v_lshlrev_b32_e32 v3, 24, v5
	v_and_b32_e32 v5, 7, v4
	v_ffbh_u32_e32 v7, v5
	v_min_u32_e32 v7, 32, v7
	v_subrev_u32_e32 v8, 28, v7
	v_bfe_u32 v6, v4, 3, 4
	v_lshlrev_b32_e32 v4, v8, v4
	v_sub_u32_e32 v7, 29, v7
	v_and_b32_e32 v4, 7, v4
	v_cmp_eq_u32_e32 vcc, 0, v6
	v_cndmask_b32_e32 v6, v6, v7, vcc
	v_cndmask_b32_e32 v4, v5, v4, vcc
	v_mov_b32_e32 v5, 0x3b800000
	v_lshlrev_b32_e32 v4, 20, v4
	v_and_b32_e32 v3, 0x80000000, v3
	v_lshl_add_u32 v5, v6, 23, v5
	v_or3_b32 v3, v3, v5, v4
	v_trunc_f32_e32 v3, v3
	s_mov_b32 s8, 0x2f800000
	v_mul_f32_e64 v4, |v3|, s8
	v_floor_f32_e32 v4, v4
	s_mov_b32 s8, 0xcf800000
	v_fma_f32 v5, v4, s8, |v3|
	v_cvt_u32_f32_e32 v5, v5
	v_cvt_u32_f32_e32 v4, v4
	v_ashrrev_i32_e32 v6, 31, v3
	v_xor_b32_e32 v3, v5, v6
	v_xor_b32_e32 v4, v4, v6
	v_sub_co_u32_e32 v3, vcc, v3, v6
	v_subb_co_u32_e32 v4, vcc, v4, v6, vcc
.LBB63_594:
	s_or_b64 exec, exec, s[0:1]
.LBB63_595:
	s_mov_b64 s[0:1], -1
.LBB63_596:
	s_mov_b64 s[8:9], 0
.LBB63_597:
	s_and_b64 vcc, exec, s[8:9]
	s_cbranch_vccz .LBB63_628
; %bb.598:
	s_cmp_gt_i32 s10, 22
	s_cbranch_scc0 .LBB63_608
; %bb.599:
	s_cmp_lt_i32 s10, 24
	s_cbranch_scc1 .LBB63_609
; %bb.600:
	s_cmp_gt_i32 s10, 24
	s_cbranch_scc0 .LBB63_610
; %bb.601:
	global_load_ubyte v5, v[1:2], off
	s_movk_i32 s0, 0x7f
	s_mov_b64 s[8:9], 0
	s_waitcnt vmcnt(0)
	v_cmp_lt_i16_e32 vcc, s0, v5
	s_and_saveexec_b64 s[0:1], vcc
	s_xor_b64 s[0:1], exec, s[0:1]
; %bb.602:
	s_movk_i32 s8, 0x80
	v_cmp_ne_u16_e32 vcc, s8, v5
	s_and_b64 s[8:9], vcc, exec
; %bb.603:
	s_andn2_saveexec_b64 s[0:1], s[0:1]
; %bb.604:
	v_cmp_ne_u16_e32 vcc, 0, v5
	s_andn2_b64 s[8:9], s[8:9], exec
	s_and_b64 s[12:13], vcc, exec
	s_or_b64 s[8:9], s[8:9], s[12:13]
; %bb.605:
	s_or_b64 exec, exec, s[0:1]
	v_mov_b32_e32 v3, 0
	v_mov_b32_e32 v4, 0
	s_and_saveexec_b64 s[0:1], s[8:9]
	s_cbranch_execz .LBB63_607
; %bb.606:
	v_and_b32_e32 v4, 0xffff, v5
	v_lshlrev_b32_e32 v3, 24, v5
	v_and_b32_e32 v5, 3, v4
	v_ffbh_u32_e32 v7, v5
	v_min_u32_e32 v7, 32, v7
	v_subrev_u32_e32 v8, 29, v7
	v_bfe_u32 v6, v4, 2, 5
	v_lshlrev_b32_e32 v4, v8, v4
	v_sub_u32_e32 v7, 30, v7
	v_and_b32_e32 v4, 3, v4
	v_cmp_eq_u32_e32 vcc, 0, v6
	v_cndmask_b32_e32 v6, v6, v7, vcc
	v_cndmask_b32_e32 v4, v5, v4, vcc
	v_mov_b32_e32 v5, 0x37800000
	v_lshlrev_b32_e32 v4, 21, v4
	v_and_b32_e32 v3, 0x80000000, v3
	v_lshl_add_u32 v5, v6, 23, v5
	v_or3_b32 v3, v3, v5, v4
	v_trunc_f32_e32 v3, v3
	s_mov_b32 s8, 0x2f800000
	v_mul_f32_e64 v4, |v3|, s8
	v_floor_f32_e32 v4, v4
	s_mov_b32 s8, 0xcf800000
	v_fma_f32 v5, v4, s8, |v3|
	v_cvt_u32_f32_e32 v5, v5
	v_cvt_u32_f32_e32 v4, v4
	v_ashrrev_i32_e32 v6, 31, v3
	v_xor_b32_e32 v3, v5, v6
	v_xor_b32_e32 v4, v4, v6
	v_sub_co_u32_e32 v3, vcc, v3, v6
	v_subb_co_u32_e32 v4, vcc, v4, v6, vcc
.LBB63_607:
	s_or_b64 exec, exec, s[0:1]
	s_mov_b64 s[0:1], 0
	s_branch .LBB63_611
.LBB63_608:
	s_mov_b64 s[8:9], -1
                                        ; implicit-def: $vgpr3_vgpr4
	s_branch .LBB63_617
.LBB63_609:
	s_mov_b64 s[0:1], -1
                                        ; implicit-def: $vgpr3_vgpr4
	s_branch .LBB63_614
.LBB63_610:
	s_mov_b64 s[0:1], -1
                                        ; implicit-def: $vgpr3_vgpr4
.LBB63_611:
	s_and_b64 vcc, exec, s[0:1]
	s_cbranch_vccz .LBB63_613
; %bb.612:
	global_load_ubyte v3, v[1:2], off
	s_mov_b32 s0, 0x7f800000
	s_brev_b32 s1, 1
	s_mov_b32 s8, 0x2f800000
	s_mov_b32 s9, 0xcf800000
	s_waitcnt vmcnt(0)
	v_lshlrev_b32_e32 v3, 24, v3
	v_and_b32_e32 v4, 0x7f000000, v3
	v_ffbh_u32_e32 v5, v4
	v_min_u32_e32 v5, 32, v5
	v_sub_u32_e64 v5, v5, 4 clamp
	v_lshlrev_b32_e32 v7, v5, v4
	v_lshlrev_b32_e32 v5, 23, v5
	v_lshrrev_b32_e32 v7, 4, v7
	v_add_u32_e32 v6, 0x1000000, v4
	v_sub_u32_e32 v5, v7, v5
	v_ashrrev_i32_e32 v6, 8, v6
	v_add_u32_e32 v5, 0x3c000000, v5
	v_and_or_b32 v5, v6, s0, v5
	v_cmp_ne_u32_e32 vcc, 0, v4
	v_cndmask_b32_e32 v4, 0, v5, vcc
	v_and_or_b32 v3, v3, s1, v4
	v_trunc_f32_e32 v3, v3
	v_mul_f32_e64 v4, |v3|, s8
	v_floor_f32_e32 v4, v4
	v_fma_f32 v5, v4, s9, |v3|
	v_cvt_u32_f32_e32 v5, v5
	v_cvt_u32_f32_e32 v4, v4
	v_ashrrev_i32_e32 v6, 31, v3
	v_xor_b32_e32 v3, v5, v6
	v_xor_b32_e32 v4, v4, v6
	v_sub_co_u32_e32 v3, vcc, v3, v6
	v_subb_co_u32_e32 v4, vcc, v4, v6, vcc
.LBB63_613:
	s_mov_b64 s[0:1], 0
.LBB63_614:
	s_andn2_b64 vcc, exec, s[0:1]
	s_cbranch_vccnz .LBB63_616
; %bb.615:
	global_load_ubyte v3, v[1:2], off
	s_movk_i32 s0, 0x7f00
	s_brev_b32 s1, 16
	s_brev_b32 s8, 1
	s_mov_b32 s9, 0x2f800000
	s_mov_b32 s11, 0xcf800000
	s_waitcnt vmcnt(0)
	v_lshlrev_b16_e32 v4, 8, v3
	v_lshlrev_b32_e32 v3, 25, v3
	v_lshrrev_b32_e32 v5, 4, v3
	v_and_or_b32 v6, v4, s0, 0.5
	v_or_b32_e32 v5, 0x70000000, v5
	v_add_f32_e32 v6, -0.5, v6
	v_mul_f32_e32 v5, 0x7800000, v5
	v_cmp_gt_u32_e32 vcc, s1, v3
	v_bfe_i32 v4, v4, 0, 16
	v_cndmask_b32_e32 v3, v5, v6, vcc
	v_and_or_b32 v3, v4, s8, v3
	v_trunc_f32_e32 v3, v3
	v_mul_f32_e64 v4, |v3|, s9
	v_floor_f32_e32 v4, v4
	v_fma_f32 v5, v4, s11, |v3|
	v_cvt_u32_f32_e32 v5, v5
	v_cvt_u32_f32_e32 v4, v4
	v_ashrrev_i32_e32 v6, 31, v3
	v_xor_b32_e32 v3, v5, v6
	v_xor_b32_e32 v4, v4, v6
	v_sub_co_u32_e32 v3, vcc, v3, v6
	v_subb_co_u32_e32 v4, vcc, v4, v6, vcc
.LBB63_616:
	s_mov_b64 s[8:9], 0
	s_mov_b64 s[0:1], -1
.LBB63_617:
	s_andn2_b64 vcc, exec, s[8:9]
	s_cbranch_vccnz .LBB63_628
; %bb.618:
	s_cmp_gt_i32 s10, 14
	s_cbranch_scc0 .LBB63_621
; %bb.619:
	s_cmp_eq_u32 s10, 15
	s_cbranch_scc0 .LBB63_622
; %bb.620:
	global_load_ushort v3, v[1:2], off
	s_mov_b32 s0, 0x2f800000
	s_mov_b32 s1, 0xcf800000
	s_mov_b64 s[2:3], 0
	s_waitcnt vmcnt(0)
	v_lshlrev_b32_e32 v3, 16, v3
	v_trunc_f32_e32 v3, v3
	v_mul_f32_e64 v4, |v3|, s0
	v_floor_f32_e32 v4, v4
	v_fma_f32 v5, v4, s1, |v3|
	v_cvt_u32_f32_e32 v5, v5
	v_cvt_u32_f32_e32 v4, v4
	v_ashrrev_i32_e32 v6, 31, v3
	s_mov_b64 s[0:1], -1
	v_xor_b32_e32 v3, v5, v6
	v_xor_b32_e32 v4, v4, v6
	v_sub_co_u32_e32 v3, vcc, v3, v6
	v_subb_co_u32_e32 v4, vcc, v4, v6, vcc
	s_branch .LBB63_623
.LBB63_621:
	s_mov_b64 s[8:9], -1
                                        ; implicit-def: $vgpr3_vgpr4
	s_branch .LBB63_624
.LBB63_622:
	s_mov_b64 s[2:3], -1
                                        ; implicit-def: $vgpr3_vgpr4
.LBB63_623:
	s_mov_b64 s[8:9], 0
.LBB63_624:
	s_and_b64 vcc, exec, s[8:9]
	s_cbranch_vccz .LBB63_628
; %bb.625:
	s_cmp_eq_u32 s10, 11
	s_cbranch_scc0 .LBB63_627
; %bb.626:
	global_load_ubyte v3, v[1:2], off
	s_mov_b32 s2, 0
	s_mov_b64 s[0:1], -1
	s_waitcnt vmcnt(1)
	v_mov_b32_e32 v4, s2
	s_mov_b64 s[2:3], 0
	s_waitcnt vmcnt(0)
	v_cmp_ne_u16_e32 vcc, 0, v3
	v_cndmask_b32_e64 v3, 0, 1, vcc
	s_branch .LBB63_628
.LBB63_627:
	s_mov_b64 s[2:3], -1
                                        ; implicit-def: $vgpr3_vgpr4
.LBB63_628:
	s_mov_b64 s[8:9], 0
.LBB63_629:
	s_and_b64 vcc, exec, s[8:9]
	s_cbranch_vccz .LBB63_678
; %bb.630:
	s_cmp_lt_i32 s10, 5
	s_cbranch_scc1 .LBB63_635
; %bb.631:
	s_cmp_lt_i32 s10, 8
	s_cbranch_scc1 .LBB63_636
	;; [unrolled: 3-line block ×3, first 2 shown]
; %bb.633:
	s_cmp_gt_i32 s10, 9
	s_cbranch_scc0 .LBB63_638
; %bb.634:
	global_load_dwordx2 v[3:4], v[1:2], off
	s_movk_i32 s0, 0xffe0
	s_waitcnt vmcnt(0)
	v_trunc_f64_e32 v[3:4], v[3:4]
	v_ldexp_f64 v[5:6], v[3:4], s0
	s_mov_b32 s0, 0
	s_mov_b32 s1, 0xc1f00000
	v_floor_f64_e32 v[5:6], v[5:6]
	v_fma_f64 v[7:8], v[5:6], s[0:1], v[3:4]
	v_cvt_i32_f64_e32 v4, v[5:6]
	s_mov_b64 s[0:1], 0
	v_cvt_u32_f64_e32 v3, v[7:8]
	s_branch .LBB63_639
.LBB63_635:
	s_mov_b64 s[0:1], -1
                                        ; implicit-def: $vgpr3_vgpr4
	s_branch .LBB63_657
.LBB63_636:
	s_mov_b64 s[0:1], -1
                                        ; implicit-def: $vgpr3_vgpr4
	s_branch .LBB63_645
.LBB63_637:
	s_mov_b64 s[0:1], -1
                                        ; implicit-def: $vgpr3_vgpr4
	s_branch .LBB63_642
.LBB63_638:
	s_mov_b64 s[0:1], -1
                                        ; implicit-def: $vgpr3_vgpr4
.LBB63_639:
	s_andn2_b64 vcc, exec, s[0:1]
	s_cbranch_vccnz .LBB63_641
; %bb.640:
	global_load_dword v3, v[1:2], off
	s_mov_b32 s0, 0x2f800000
	s_mov_b32 s1, 0xcf800000
	s_waitcnt vmcnt(0)
	v_trunc_f32_e32 v3, v3
	v_mul_f32_e64 v4, |v3|, s0
	v_floor_f32_e32 v4, v4
	v_cvt_u32_f32_e32 v5, v4
	v_fma_f32 v4, v4, s1, |v3|
	v_cvt_u32_f32_e32 v4, v4
	v_ashrrev_i32_e32 v6, 31, v3
	v_xor_b32_e32 v5, v5, v6
	v_xor_b32_e32 v3, v4, v6
	v_sub_co_u32_e32 v3, vcc, v3, v6
	v_subb_co_u32_e32 v4, vcc, v5, v6, vcc
.LBB63_641:
	s_mov_b64 s[0:1], 0
.LBB63_642:
	s_andn2_b64 vcc, exec, s[0:1]
	s_cbranch_vccnz .LBB63_644
; %bb.643:
	global_load_dword v3, v[1:2], off
	s_waitcnt vmcnt(0)
	v_cvt_f32_f16_e32 v3, v3
	v_cvt_i32_f32_e32 v3, v3
	v_ashrrev_i32_e32 v4, 31, v3
.LBB63_644:
	s_mov_b64 s[0:1], 0
.LBB63_645:
	s_andn2_b64 vcc, exec, s[0:1]
	s_cbranch_vccnz .LBB63_656
; %bb.646:
	s_cmp_lt_i32 s10, 6
	s_cbranch_scc1 .LBB63_649
; %bb.647:
	s_cmp_gt_i32 s10, 6
	s_cbranch_scc0 .LBB63_650
; %bb.648:
	global_load_dwordx2 v[3:4], v[1:2], off
	s_movk_i32 s0, 0xffe0
	s_waitcnt vmcnt(0)
	v_trunc_f64_e32 v[3:4], v[3:4]
	v_ldexp_f64 v[5:6], v[3:4], s0
	s_mov_b32 s0, 0
	s_mov_b32 s1, 0xc1f00000
	v_floor_f64_e32 v[5:6], v[5:6]
	v_fma_f64 v[7:8], v[5:6], s[0:1], v[3:4]
	v_cvt_i32_f64_e32 v4, v[5:6]
	s_mov_b64 s[0:1], 0
	v_cvt_u32_f64_e32 v3, v[7:8]
	s_branch .LBB63_651
.LBB63_649:
	s_mov_b64 s[0:1], -1
                                        ; implicit-def: $vgpr3_vgpr4
	s_branch .LBB63_654
.LBB63_650:
	s_mov_b64 s[0:1], -1
                                        ; implicit-def: $vgpr3_vgpr4
.LBB63_651:
	s_andn2_b64 vcc, exec, s[0:1]
	s_cbranch_vccnz .LBB63_653
; %bb.652:
	global_load_dword v3, v[1:2], off
	s_mov_b32 s0, 0x2f800000
	s_mov_b32 s1, 0xcf800000
	s_waitcnt vmcnt(0)
	v_trunc_f32_e32 v3, v3
	v_mul_f32_e64 v4, |v3|, s0
	v_floor_f32_e32 v4, v4
	v_cvt_u32_f32_e32 v5, v4
	v_fma_f32 v4, v4, s1, |v3|
	v_cvt_u32_f32_e32 v4, v4
	v_ashrrev_i32_e32 v6, 31, v3
	v_xor_b32_e32 v5, v5, v6
	v_xor_b32_e32 v3, v4, v6
	v_sub_co_u32_e32 v3, vcc, v3, v6
	v_subb_co_u32_e32 v4, vcc, v5, v6, vcc
.LBB63_653:
	s_mov_b64 s[0:1], 0
.LBB63_654:
	s_andn2_b64 vcc, exec, s[0:1]
	s_cbranch_vccnz .LBB63_656
; %bb.655:
	global_load_ushort v3, v[1:2], off
	s_waitcnt vmcnt(0)
	v_cvt_f32_f16_e32 v3, v3
	v_cvt_i32_f32_e32 v3, v3
	v_ashrrev_i32_e32 v4, 31, v3
.LBB63_656:
	s_mov_b64 s[0:1], 0
.LBB63_657:
	s_andn2_b64 vcc, exec, s[0:1]
	s_cbranch_vccnz .LBB63_677
; %bb.658:
	s_cmp_lt_i32 s10, 2
	s_cbranch_scc1 .LBB63_662
; %bb.659:
	s_cmp_lt_i32 s10, 3
	s_cbranch_scc1 .LBB63_663
; %bb.660:
	s_cmp_gt_i32 s10, 3
	s_cbranch_scc0 .LBB63_664
; %bb.661:
	global_load_dwordx2 v[3:4], v[1:2], off
	s_mov_b64 s[0:1], 0
	s_branch .LBB63_665
.LBB63_662:
	s_mov_b64 s[0:1], -1
                                        ; implicit-def: $vgpr3_vgpr4
	s_branch .LBB63_671
.LBB63_663:
	s_mov_b64 s[0:1], -1
                                        ; implicit-def: $vgpr3_vgpr4
	s_branch .LBB63_668
.LBB63_664:
	s_mov_b64 s[0:1], -1
                                        ; implicit-def: $vgpr3_vgpr4
.LBB63_665:
	s_andn2_b64 vcc, exec, s[0:1]
	s_cbranch_vccnz .LBB63_667
; %bb.666:
	global_load_dword v3, v[1:2], off
	s_waitcnt vmcnt(0)
	v_ashrrev_i32_e32 v4, 31, v3
.LBB63_667:
	s_mov_b64 s[0:1], 0
.LBB63_668:
	s_andn2_b64 vcc, exec, s[0:1]
	s_cbranch_vccnz .LBB63_670
; %bb.669:
	global_load_ushort v3, v[1:2], off
	s_waitcnt vmcnt(0)
	v_bfe_i32 v3, v3, 0, 16
	v_ashrrev_i32_e32 v4, 31, v3
.LBB63_670:
	s_mov_b64 s[0:1], 0
.LBB63_671:
	s_andn2_b64 vcc, exec, s[0:1]
	s_cbranch_vccnz .LBB63_677
; %bb.672:
	s_cmp_gt_i32 s10, 0
	s_cbranch_scc0 .LBB63_674
; %bb.673:
	global_load_sbyte v3, v[1:2], off
	s_mov_b64 s[0:1], 0
	s_waitcnt vmcnt(0)
	v_bfe_i32 v3, v3, 0, 16
	v_ashrrev_i32_e32 v4, 31, v3
	s_branch .LBB63_675
.LBB63_674:
	s_mov_b64 s[0:1], -1
                                        ; implicit-def: $vgpr3_vgpr4
.LBB63_675:
	s_andn2_b64 vcc, exec, s[0:1]
	s_cbranch_vccnz .LBB63_677
; %bb.676:
	global_load_ubyte v1, v[1:2], off
	s_mov_b32 s0, 0
	s_waitcnt vmcnt(1)
	v_mov_b32_e32 v4, s0
	s_waitcnt vmcnt(0)
	v_and_b32_e32 v3, 0xffff, v1
.LBB63_677:
	s_mov_b64 s[0:1], -1
.LBB63_678:
	s_andn2_b64 vcc, exec, s[0:1]
	s_cbranch_vccnz .LBB63_686
; %bb.679:
	s_waitcnt vmcnt(0)
	v_cmp_ne_u64_e32 vcc, s[44:45], v[3:4]
	v_mov_b32_e32 v1, s25
	s_xor_b64 s[8:9], s[46:47], vcc
	s_and_b32 s16, s77, 0xff
	v_add_co_u32_e32 v0, vcc, s24, v0
	s_cmp_lt_i32 s16, 11
	v_addc_co_u32_e32 v1, vcc, 0, v1, vcc
	s_cbranch_scc1 .LBB63_687
; %bb.680:
	s_and_b32 s17, 0xffff, s16
	s_cmp_gt_i32 s17, 25
	s_cbranch_scc0 .LBB63_688
; %bb.681:
	s_cmp_gt_i32 s17, 28
	s_cbranch_scc0 .LBB63_689
; %bb.682:
	;; [unrolled: 3-line block ×4, first 2 shown]
	s_mov_b64 s[12:13], 0
	s_mov_b64 s[0:1], -1
	s_cmp_eq_u32 s17, 46
	s_mov_b64 s[10:11], 0
	s_cbranch_scc0 .LBB63_692
; %bb.685:
	v_cndmask_b32_e64 v2, 0, 1.0, s[8:9]
	v_bfe_u32 v3, v2, 16, 1
	s_movk_i32 s0, 0x7fff
	v_add3_u32 v2, v2, v3, s0
	v_lshrrev_b32_e32 v2, 16, v2
	global_store_dword v[0:1], v2, off
	s_mov_b64 s[10:11], -1
	s_mov_b64 s[0:1], 0
	s_branch .LBB63_692
.LBB63_686:
	s_mov_b64 s[8:9], 0
	s_mov_b64 s[0:1], s[64:65]
	s_branch .LBB63_803
.LBB63_687:
	s_mov_b64 s[12:13], -1
	s_mov_b64 s[10:11], 0
	s_mov_b64 s[0:1], s[64:65]
	s_branch .LBB63_761
.LBB63_688:
	s_mov_b64 s[12:13], -1
	s_mov_b64 s[10:11], 0
	s_mov_b64 s[0:1], s[64:65]
	s_branch .LBB63_719
.LBB63_689:
	s_mov_b64 s[12:13], -1
	s_mov_b64 s[10:11], 0
	s_mov_b64 s[0:1], s[64:65]
	s_branch .LBB63_702
.LBB63_690:
	s_mov_b64 s[12:13], -1
	s_mov_b64 s[10:11], 0
	s_mov_b64 s[0:1], s[64:65]
	s_branch .LBB63_698
.LBB63_691:
	s_mov_b64 s[12:13], -1
	s_mov_b64 s[10:11], 0
	s_mov_b64 s[0:1], s[64:65]
.LBB63_692:
	s_and_b64 vcc, exec, s[12:13]
	s_cbranch_vccz .LBB63_697
; %bb.693:
	s_cmp_eq_u32 s17, 44
	s_mov_b64 s[0:1], -1
	s_cbranch_scc0 .LBB63_697
; %bb.694:
	v_cndmask_b32_e64 v3, 0, 1.0, s[8:9]
	v_lshrrev_b32_e32 v2, 23, v3
	s_movk_i32 s0, 0xff
	v_cmp_ne_u32_e32 vcc, s0, v2
	v_mov_b32_e32 v4, 0xff
	s_and_saveexec_b64 s[10:11], vcc
; %bb.695:
	s_mov_b32 s0, 0x3fffff
	v_and_b32_e32 v4, 0x400000, v3
	v_and_or_b32 v3, v3, s0, v2
	v_cmp_ne_u32_e32 vcc, 0, v4
	v_cmp_ne_u32_e64 s[0:1], 0, v3
	s_and_b64 s[0:1], vcc, s[0:1]
	v_cndmask_b32_e64 v3, 0, 1, s[0:1]
	v_add_u32_e32 v4, v2, v3
; %bb.696:
	s_or_b64 exec, exec, s[10:11]
	s_mov_b64 s[10:11], -1
	s_mov_b64 s[0:1], 0
	global_store_byte v[0:1], v4, off
.LBB63_697:
	s_mov_b64 s[12:13], 0
.LBB63_698:
	s_and_b64 vcc, exec, s[12:13]
	s_cbranch_vccz .LBB63_701
; %bb.699:
	s_cmp_eq_u32 s17, 29
	s_mov_b64 s[0:1], -1
	s_cbranch_scc0 .LBB63_701
; %bb.700:
	s_mov_b32 s0, 0
	v_cndmask_b32_e64 v2, 0, 1, s[8:9]
	v_mov_b32_e32 v3, s0
	global_store_dwordx2 v[0:1], v[2:3], off
	s_mov_b64 s[10:11], -1
	s_mov_b64 s[0:1], 0
.LBB63_701:
	s_mov_b64 s[12:13], 0
.LBB63_702:
	s_and_b64 vcc, exec, s[12:13]
	s_cbranch_vccz .LBB63_718
; %bb.703:
	s_cmp_lt_i32 s17, 27
	s_mov_b64 s[10:11], -1
	s_cbranch_scc1 .LBB63_709
; %bb.704:
	s_cmp_gt_i32 s17, 27
	s_cbranch_scc0 .LBB63_706
; %bb.705:
	v_cndmask_b32_e64 v2, 0, 1, s[8:9]
	s_mov_b64 s[10:11], 0
	global_store_dword v[0:1], v2, off
.LBB63_706:
	s_andn2_b64 vcc, exec, s[10:11]
	s_cbranch_vccnz .LBB63_708
; %bb.707:
	v_cndmask_b32_e64 v2, 0, 1, s[8:9]
	global_store_short v[0:1], v2, off
.LBB63_708:
	s_mov_b64 s[10:11], 0
.LBB63_709:
	s_andn2_b64 vcc, exec, s[10:11]
	s_cbranch_vccnz .LBB63_717
; %bb.710:
	v_cndmask_b32_e64 v3, 0, 1.0, s[8:9]
	s_mov_b32 s10, 0x43800000
	v_cmp_gt_u32_e32 vcc, s10, v3
	v_mov_b32_e32 v4, 0x80
	s_and_saveexec_b64 s[10:11], vcc
	s_cbranch_execz .LBB63_716
; %bb.711:
	s_mov_b32 s12, 0x3bffffff
	v_cmp_lt_u32_e32 vcc, s12, v3
	s_mov_b64 s[12:13], 0
                                        ; implicit-def: $vgpr2
	s_and_saveexec_b64 s[14:15], vcc
	s_xor_b64 s[14:15], exec, s[14:15]
	s_cbranch_execz .LBB63_833
; %bb.712:
	v_bfe_u32 v2, v3, 20, 1
	s_mov_b32 s18, 0x487ffff
	v_add3_u32 v2, v3, v2, s18
	s_mov_b64 s[12:13], exec
	v_lshrrev_b32_e32 v2, 20, v2
                                        ; implicit-def: $vgpr3
	s_andn2_saveexec_b64 s[14:15], s[14:15]
	s_cbranch_execnz .LBB63_834
.LBB63_713:
	s_or_b64 exec, exec, s[14:15]
	v_mov_b32_e32 v4, 0
	s_and_saveexec_b64 s[14:15], s[12:13]
.LBB63_714:
	v_mov_b32_e32 v4, v2
.LBB63_715:
	s_or_b64 exec, exec, s[14:15]
.LBB63_716:
	s_or_b64 exec, exec, s[10:11]
	global_store_byte v[0:1], v4, off
.LBB63_717:
	s_mov_b64 s[10:11], -1
.LBB63_718:
	s_mov_b64 s[12:13], 0
.LBB63_719:
	s_and_b64 vcc, exec, s[12:13]
	s_cbranch_vccz .LBB63_760
; %bb.720:
	s_cmp_gt_i32 s17, 22
	s_mov_b64 s[12:13], -1
	s_cbranch_scc0 .LBB63_752
; %bb.721:
	s_cmp_lt_i32 s17, 24
	s_mov_b64 s[10:11], -1
	s_cbranch_scc1 .LBB63_741
; %bb.722:
	s_cmp_gt_i32 s17, 24
	s_cbranch_scc0 .LBB63_730
; %bb.723:
	v_cndmask_b32_e64 v3, 0, 1.0, s[8:9]
	s_mov_b32 s10, 0x47800000
	v_cmp_gt_u32_e32 vcc, s10, v3
	v_mov_b32_e32 v4, 0x80
	s_and_saveexec_b64 s[10:11], vcc
	s_cbranch_execz .LBB63_729
; %bb.724:
	s_mov_b32 s12, 0x37ffffff
	v_cmp_lt_u32_e32 vcc, s12, v3
	s_mov_b64 s[12:13], 0
                                        ; implicit-def: $vgpr2
	s_and_saveexec_b64 s[14:15], vcc
	s_xor_b64 s[14:15], exec, s[14:15]
	s_cbranch_execz .LBB63_836
; %bb.725:
	v_bfe_u32 v2, v3, 21, 1
	s_mov_b32 s18, 0x88fffff
	v_add3_u32 v2, v3, v2, s18
	s_mov_b64 s[12:13], exec
	v_lshrrev_b32_e32 v2, 21, v2
                                        ; implicit-def: $vgpr3
	s_andn2_saveexec_b64 s[14:15], s[14:15]
	s_cbranch_execnz .LBB63_837
.LBB63_726:
	s_or_b64 exec, exec, s[14:15]
	v_mov_b32_e32 v4, 0
	s_and_saveexec_b64 s[14:15], s[12:13]
.LBB63_727:
	v_mov_b32_e32 v4, v2
.LBB63_728:
	s_or_b64 exec, exec, s[14:15]
.LBB63_729:
	s_or_b64 exec, exec, s[10:11]
	s_mov_b64 s[10:11], 0
	global_store_byte v[0:1], v4, off
.LBB63_730:
	s_and_b64 vcc, exec, s[10:11]
	s_cbranch_vccz .LBB63_740
; %bb.731:
	v_cndmask_b32_e64 v2, 0, 1.0, s[8:9]
	s_mov_b32 s10, 0x43f00000
	v_cmp_gt_u32_e32 vcc, s10, v2
                                        ; implicit-def: $vgpr3
	s_and_saveexec_b64 s[10:11], vcc
	s_xor_b64 s[10:11], exec, s[10:11]
	s_cbranch_execz .LBB63_737
; %bb.732:
	s_mov_b32 s12, 0x3c7fffff
	v_cmp_lt_u32_e32 vcc, s12, v2
                                        ; implicit-def: $vgpr3
	s_and_saveexec_b64 s[12:13], vcc
	s_xor_b64 s[12:13], exec, s[12:13]
; %bb.733:
	v_bfe_u32 v3, v2, 20, 1
	s_mov_b32 s14, 0x407ffff
	v_add3_u32 v2, v2, v3, s14
	v_lshrrev_b32_e32 v3, 20, v2
	v_and_b32_e32 v2, 0xff00000, v2
	s_mov_b32 s14, 0x7f00000
	v_mov_b32_e32 v4, 0x7e
	v_cmp_ne_u32_e32 vcc, s14, v2
	v_cndmask_b32_e32 v3, v4, v3, vcc
                                        ; implicit-def: $vgpr2
; %bb.734:
	s_andn2_saveexec_b64 s[12:13], s[12:13]
; %bb.735:
	v_add_f32_e32 v3, 0x46800000, v2
; %bb.736:
	s_or_b64 exec, exec, s[12:13]
                                        ; implicit-def: $vgpr2
.LBB63_737:
	s_andn2_saveexec_b64 s[10:11], s[10:11]
; %bb.738:
	s_mov_b32 s12, 0x7f800000
	v_mov_b32_e32 v3, 0x7e
	v_mov_b32_e32 v4, 0x7f
	v_cmp_lt_u32_e32 vcc, s12, v2
	v_cndmask_b32_e32 v3, v3, v4, vcc
; %bb.739:
	s_or_b64 exec, exec, s[10:11]
	global_store_byte v[0:1], v3, off
.LBB63_740:
	s_mov_b64 s[10:11], 0
.LBB63_741:
	s_andn2_b64 vcc, exec, s[10:11]
	s_cbranch_vccnz .LBB63_751
; %bb.742:
	v_cndmask_b32_e64 v2, 0, 1.0, s[8:9]
	s_mov_b32 s10, 0x47800000
	v_cmp_gt_u32_e32 vcc, s10, v2
                                        ; implicit-def: $vgpr3
	s_and_saveexec_b64 s[10:11], vcc
	s_xor_b64 s[10:11], exec, s[10:11]
	s_cbranch_execz .LBB63_748
; %bb.743:
	s_mov_b32 s12, 0x387fffff
	v_cmp_lt_u32_e32 vcc, s12, v2
                                        ; implicit-def: $vgpr3
	s_and_saveexec_b64 s[12:13], vcc
	s_xor_b64 s[12:13], exec, s[12:13]
; %bb.744:
	v_bfe_u32 v3, v2, 21, 1
	s_mov_b32 s14, 0x80fffff
	v_add3_u32 v2, v2, v3, s14
	v_lshrrev_b32_e32 v3, 21, v2
                                        ; implicit-def: $vgpr2
; %bb.745:
	s_andn2_saveexec_b64 s[12:13], s[12:13]
; %bb.746:
	v_add_f32_e32 v3, 0x43000000, v2
; %bb.747:
	s_or_b64 exec, exec, s[12:13]
                                        ; implicit-def: $vgpr2
.LBB63_748:
	s_andn2_saveexec_b64 s[10:11], s[10:11]
; %bb.749:
	s_mov_b32 s12, 0x7f800000
	v_mov_b32_e32 v3, 0x7c
	v_mov_b32_e32 v4, 0x7f
	v_cmp_lt_u32_e32 vcc, s12, v2
	v_cndmask_b32_e32 v3, v3, v4, vcc
; %bb.750:
	s_or_b64 exec, exec, s[10:11]
	global_store_byte v[0:1], v3, off
.LBB63_751:
	s_mov_b64 s[12:13], 0
	s_mov_b64 s[10:11], -1
.LBB63_752:
	s_andn2_b64 vcc, exec, s[12:13]
	s_cbranch_vccnz .LBB63_760
; %bb.753:
	s_cmp_gt_i32 s17, 14
	s_mov_b64 s[12:13], -1
	s_cbranch_scc0 .LBB63_757
; %bb.754:
	s_cmp_eq_u32 s17, 15
	s_mov_b64 s[0:1], -1
	s_cbranch_scc0 .LBB63_756
; %bb.755:
	v_cndmask_b32_e64 v2, 0, 1.0, s[8:9]
	v_bfe_u32 v3, v2, 16, 1
	s_movk_i32 s0, 0x7fff
	v_add3_u32 v2, v2, v3, s0
	global_store_short_d16_hi v[0:1], v2, off
	s_mov_b64 s[10:11], -1
	s_mov_b64 s[0:1], 0
.LBB63_756:
	s_mov_b64 s[12:13], 0
.LBB63_757:
	s_and_b64 vcc, exec, s[12:13]
	s_cbranch_vccz .LBB63_760
; %bb.758:
	s_cmp_eq_u32 s17, 11
	s_mov_b64 s[0:1], -1
	s_cbranch_scc0 .LBB63_760
; %bb.759:
	v_cndmask_b32_e64 v2, 0, 1, s[8:9]
	s_mov_b64 s[10:11], -1
	s_mov_b64 s[0:1], 0
	global_store_byte v[0:1], v2, off
.LBB63_760:
	s_mov_b64 s[12:13], 0
.LBB63_761:
	s_and_b64 vcc, exec, s[12:13]
	s_cbranch_vccz .LBB63_800
; %bb.762:
	s_and_b32 s12, 0xffff, s16
	s_cmp_lt_i32 s12, 5
	s_mov_b64 s[10:11], -1
	s_cbranch_scc1 .LBB63_783
; %bb.763:
	s_cmp_lt_i32 s12, 8
	s_cbranch_scc1 .LBB63_773
; %bb.764:
	s_cmp_lt_i32 s12, 9
	s_cbranch_scc1 .LBB63_770
; %bb.765:
	s_cmp_gt_i32 s12, 9
	s_cbranch_scc0 .LBB63_767
; %bb.766:
	v_cndmask_b32_e64 v2, 0, 1, s[8:9]
	v_cvt_f64_u32_e32 v[2:3], v2
	v_mov_b32_e32 v4, 0
	v_mov_b32_e32 v5, v4
	s_mov_b64 s[10:11], 0
	global_store_dwordx4 v[0:1], v[2:5], off
.LBB63_767:
	s_andn2_b64 vcc, exec, s[10:11]
	s_cbranch_vccnz .LBB63_769
; %bb.768:
	v_cndmask_b32_e64 v2, 0, 1.0, s[8:9]
	v_mov_b32_e32 v3, 0
	global_store_dwordx2 v[0:1], v[2:3], off
.LBB63_769:
	s_mov_b64 s[10:11], 0
.LBB63_770:
	s_andn2_b64 vcc, exec, s[10:11]
	s_cbranch_vccnz .LBB63_772
; %bb.771:
	v_cndmask_b32_e64 v2, 0, 1.0, s[8:9]
	v_cvt_f16_f32_e32 v2, v2
	global_store_dword v[0:1], v2, off
.LBB63_772:
	s_mov_b64 s[10:11], 0
.LBB63_773:
	s_andn2_b64 vcc, exec, s[10:11]
	s_cbranch_vccnz .LBB63_782
; %bb.774:
	s_cmp_lt_i32 s12, 6
	s_mov_b64 s[10:11], -1
	s_cbranch_scc1 .LBB63_780
; %bb.775:
	s_cmp_gt_i32 s12, 6
	s_cbranch_scc0 .LBB63_777
; %bb.776:
	v_cndmask_b32_e64 v2, 0, 1, s[8:9]
	v_cvt_f64_u32_e32 v[2:3], v2
	s_mov_b64 s[10:11], 0
	global_store_dwordx2 v[0:1], v[2:3], off
.LBB63_777:
	s_andn2_b64 vcc, exec, s[10:11]
	s_cbranch_vccnz .LBB63_779
; %bb.778:
	v_cndmask_b32_e64 v2, 0, 1.0, s[8:9]
	global_store_dword v[0:1], v2, off
.LBB63_779:
	s_mov_b64 s[10:11], 0
.LBB63_780:
	s_andn2_b64 vcc, exec, s[10:11]
	s_cbranch_vccnz .LBB63_782
; %bb.781:
	v_cndmask_b32_e64 v2, 0, 1.0, s[8:9]
	v_cvt_f16_f32_e32 v2, v2
	global_store_short v[0:1], v2, off
.LBB63_782:
	s_mov_b64 s[10:11], 0
.LBB63_783:
	s_andn2_b64 vcc, exec, s[10:11]
	s_cbranch_vccnz .LBB63_799
; %bb.784:
	s_cmp_lt_i32 s12, 2
	s_mov_b64 s[10:11], -1
	s_cbranch_scc1 .LBB63_794
; %bb.785:
	s_cmp_lt_i32 s12, 3
	s_cbranch_scc1 .LBB63_791
; %bb.786:
	s_cmp_gt_i32 s12, 3
	s_cbranch_scc0 .LBB63_788
; %bb.787:
	s_mov_b32 s10, 0
	v_cndmask_b32_e64 v2, 0, 1, s[8:9]
	v_mov_b32_e32 v3, s10
	s_mov_b64 s[10:11], 0
	global_store_dwordx2 v[0:1], v[2:3], off
.LBB63_788:
	s_andn2_b64 vcc, exec, s[10:11]
	s_cbranch_vccnz .LBB63_790
; %bb.789:
	v_cndmask_b32_e64 v2, 0, 1, s[8:9]
	global_store_dword v[0:1], v2, off
.LBB63_790:
	s_mov_b64 s[10:11], 0
.LBB63_791:
	s_andn2_b64 vcc, exec, s[10:11]
	s_cbranch_vccnz .LBB63_793
; %bb.792:
	v_cndmask_b32_e64 v2, 0, 1, s[8:9]
	global_store_short v[0:1], v2, off
.LBB63_793:
	s_mov_b64 s[10:11], 0
.LBB63_794:
	s_andn2_b64 vcc, exec, s[10:11]
	s_cbranch_vccnz .LBB63_799
; %bb.795:
	s_mov_b64 s[10:11], -1
	s_cmp_gt_i32 s12, 0
	v_cndmask_b32_e64 v2, 0, 1, s[8:9]
	s_cbranch_scc0 .LBB63_797
; %bb.796:
	s_mov_b64 s[10:11], 0
	global_store_byte v[0:1], v2, off
.LBB63_797:
	s_andn2_b64 vcc, exec, s[10:11]
	s_cbranch_vccnz .LBB63_799
; %bb.798:
	global_store_byte v[0:1], v2, off
.LBB63_799:
	s_mov_b64 s[10:11], -1
.LBB63_800:
	s_andn2_b64 vcc, exec, s[10:11]
	s_cbranch_vccnz .LBB63_802
; %bb.801:
	v_add_u32_e32 v11, 0x80, v11
	s_mov_b64 s[8:9], -1
	s_branch .LBB63_804
.LBB63_802:
	s_mov_b64 s[8:9], 0
.LBB63_803:
                                        ; implicit-def: $vgpr11
.LBB63_804:
	s_andn2_b64 s[10:11], s[64:65], exec
	s_and_b64 s[0:1], s[0:1], exec
	s_or_b64 s[72:73], s[10:11], s[0:1]
	s_andn2_b64 s[0:1], s[62:63], exec
	s_and_b64 s[2:3], s[2:3], exec
	s_or_b64 s[70:71], s[0:1], s[2:3]
	s_orn2_b64 s[2:3], s[8:9], exec
.LBB63_805:
	s_or_b64 exec, exec, s[68:69]
	s_mov_b64 s[0:1], 0
	s_mov_b64 s[8:9], 0
	;; [unrolled: 1-line block ×3, first 2 shown]
                                        ; implicit-def: $vgpr1_vgpr2
                                        ; implicit-def: $vgpr0
                                        ; implicit-def: $vgpr3_vgpr4
	s_and_saveexec_b64 s[68:69], s[2:3]
	s_cbranch_execz .LBB63_900
; %bb.806:
	v_cmp_gt_i32_e32 vcc, s74, v11
	s_mov_b64 s[2:3], 0
	s_mov_b64 s[12:13], s[70:71]
                                        ; implicit-def: $vgpr1_vgpr2
                                        ; implicit-def: $vgpr0
                                        ; implicit-def: $vgpr3_vgpr4
	s_and_saveexec_b64 s[74:75], vcc
	s_cbranch_execz .LBB63_899
; %bb.807:
	s_andn2_b64 vcc, exec, s[40:41]
	s_cbranch_vccnz .LBB63_812
; %bb.808:
	s_andn2_b64 vcc, exec, s[54:55]
	s_cbranch_vccnz .LBB63_813
; %bb.809:
	s_add_i32 s80, s79, 1
	s_cmp_eq_u32 s76, 2
	s_cbranch_scc1 .LBB63_814
; %bb.810:
	s_and_b32 s79, s80, 28
	v_mov_b32_e32 v2, 0
	s_mov_b32 s81, 0
	s_mov_b64 s[54:55], s[34:35]
	v_mov_b32_e32 v0, 0
	v_mov_b32_e32 v1, v11
.LBB63_811:                             ; =>This Inner Loop Header: Depth=1
	s_load_dwordx8 s[16:23], s[54:55], 0x4
	s_load_dwordx4 s[0:3], s[54:55], 0x24
	s_load_dwordx8 s[8:15], s[52:53], 0x0
	s_add_u32 s54, s54, 48
	s_addc_u32 s55, s55, 0
	s_waitcnt vmcnt(0) lgkmcnt(0)
	v_mul_hi_u32 v3, s17, v1
	s_add_i32 s81, s81, 4
	s_add_u32 s52, s52, 32
	s_addc_u32 s53, s53, 0
	v_add_u32_e32 v3, v1, v3
	v_lshrrev_b32_e32 v3, s18, v3
	v_mul_lo_u32 v4, v3, s16
	v_mul_hi_u32 v5, s20, v3
	s_cmp_eq_u32 s79, s81
	v_sub_u32_e32 v1, v1, v4
	v_add_u32_e32 v4, v3, v5
	v_mul_lo_u32 v5, v1, s8
	v_mul_lo_u32 v6, v1, s9
	v_lshrrev_b32_e32 v1, s21, v4
	v_mul_lo_u32 v4, v1, s19
	v_mul_hi_u32 v7, s23, v1
	v_sub_u32_e32 v3, v3, v4
	v_add_u32_e32 v4, v1, v7
	v_lshrrev_b32_e32 v4, s0, v4
	v_mul_hi_u32 v8, s2, v4
	v_mul_lo_u32 v9, v4, s22
	v_mul_lo_u32 v7, v3, s10
	;; [unrolled: 1-line block ×3, first 2 shown]
	v_sub_u32_e32 v9, v1, v9
	v_add_u32_e32 v1, v4, v8
	v_lshrrev_b32_e32 v1, s3, v1
	v_mul_lo_u32 v8, v1, s1
	v_mul_lo_u32 v10, v9, s12
	;; [unrolled: 1-line block ×3, first 2 shown]
	v_add3_u32 v0, v5, v0, v7
	v_sub_u32_e32 v4, v4, v8
	v_mul_lo_u32 v8, v4, s14
	v_mul_lo_u32 v4, v4, s15
	v_add3_u32 v2, v6, v2, v3
	v_add3_u32 v0, v10, v0, v8
	;; [unrolled: 1-line block ×3, first 2 shown]
	s_cbranch_scc0 .LBB63_811
	s_branch .LBB63_815
.LBB63_812:
	s_mov_b64 s[0:1], -1
                                        ; implicit-def: $vgpr0
                                        ; implicit-def: $vgpr2
	s_branch .LBB63_819
.LBB63_813:
	v_mov_b32_e32 v0, 0
	v_mov_b32_e32 v2, 0
	s_branch .LBB63_818
.LBB63_814:
	s_mov_b32 s79, 0
	v_mov_b32_e32 v0, 0
	v_mov_b32_e32 v2, 0
	;; [unrolled: 1-line block ×3, first 2 shown]
.LBB63_815:
	s_and_b32 s8, s80, 3
	s_cmp_eq_u32 s8, 0
	s_cbranch_scc1 .LBB63_818
; %bb.816:
	s_lshl_b32 s0, s79, 3
	s_add_u32 s0, s34, s0
	s_addc_u32 s1, s35, 0
	s_add_u32 s0, s0, 0xc4
	s_addc_u32 s1, s1, 0
	s_mul_i32 s2, s79, 12
	s_add_u32 s2, s34, s2
	s_addc_u32 s3, s35, 0
.LBB63_817:                             ; =>This Inner Loop Header: Depth=1
	s_load_dwordx2 s[10:11], s[2:3], 0x4
	s_load_dword s9, s[2:3], 0xc
	s_load_dwordx2 s[12:13], s[0:1], 0x0
	s_add_u32 s2, s2, 12
	s_addc_u32 s3, s3, 0
	s_waitcnt vmcnt(0) lgkmcnt(0)
	v_mul_hi_u32 v3, s11, v1
	s_add_u32 s0, s0, 8
	s_addc_u32 s1, s1, 0
	s_add_i32 s8, s8, -1
	v_add_u32_e32 v3, v1, v3
	v_lshrrev_b32_e32 v4, s9, v3
	v_mul_lo_u32 v3, v4, s10
	s_cmp_lg_u32 s8, 0
	v_sub_u32_e32 v3, v1, v3
	v_mad_u64_u32 v[0:1], s[10:11], v3, s12, v[0:1]
	v_mad_u64_u32 v[2:3], s[10:11], v3, s13, v[2:3]
	v_mov_b32_e32 v1, v4
	s_cbranch_scc1 .LBB63_817
.LBB63_818:
	s_mov_b64 s[0:1], 0
.LBB63_819:
	s_andn2_b64 vcc, exec, s[0:1]
	s_cbranch_vccnz .LBB63_822
; %bb.820:
	v_mul_hi_u32 v0, s29, v11
	s_andn2_b64 vcc, exec, s[50:51]
	v_add_u32_e32 v0, v11, v0
	v_lshrrev_b32_e32 v1, s30, v0
	v_mul_lo_u32 v0, v1, s28
	v_sub_u32_e32 v2, v11, v0
	v_mul_lo_u32 v0, v2, s36
	v_mul_lo_u32 v2, v2, s37
	s_cbranch_vccnz .LBB63_822
; %bb.821:
	s_waitcnt vmcnt(0)
	v_mul_hi_u32 v3, s48, v1
	v_add_u32_e32 v3, v1, v3
	v_lshrrev_b32_e32 v3, s49, v3
	v_mul_lo_u32 v3, v3, s31
	v_sub_u32_e32 v3, v1, v3
	v_mad_u64_u32 v[0:1], s[0:1], v3, s38, v[0:1]
	v_mad_u64_u32 v[2:3], s[0:1], v3, s39, v[2:3]
.LBB63_822:
	s_waitcnt vmcnt(0)
	v_mov_b32_e32 v3, s27
	s_and_b32 s12, 0xffff, s78
	v_add_co_u32_e32 v1, vcc, s26, v2
	s_cmp_lt_i32 s12, 11
	v_addc_co_u32_e32 v2, vcc, 0, v3, vcc
	s_cbranch_scc1 .LBB63_829
; %bb.823:
	s_cmp_gt_i32 s12, 25
	s_mov_b64 s[2:3], 0
	s_cbranch_scc0 .LBB63_830
; %bb.824:
	s_cmp_gt_i32 s12, 28
	s_cbranch_scc0 .LBB63_831
; %bb.825:
	s_cmp_gt_i32 s12, 43
	;; [unrolled: 3-line block ×3, first 2 shown]
	s_cbranch_scc0 .LBB63_835
; %bb.827:
	s_cmp_eq_u32 s12, 46
	s_mov_b64 s[10:11], 0
	s_cbranch_scc0 .LBB63_838
; %bb.828:
	global_load_dword v3, v[1:2], off
	s_mov_b32 s0, 0x2f800000
	s_mov_b32 s1, 0xcf800000
	s_mov_b64 s[8:9], -1
	s_waitcnt vmcnt(0)
	v_lshlrev_b32_e32 v3, 16, v3
	v_trunc_f32_e32 v3, v3
	v_mul_f32_e64 v4, |v3|, s0
	v_floor_f32_e32 v4, v4
	v_fma_f32 v5, v4, s1, |v3|
	v_cvt_u32_f32_e32 v5, v5
	v_cvt_u32_f32_e32 v4, v4
	v_ashrrev_i32_e32 v6, 31, v3
	s_mov_b64 s[0:1], 0
	v_xor_b32_e32 v3, v5, v6
	v_xor_b32_e32 v4, v4, v6
	v_sub_co_u32_e32 v3, vcc, v3, v6
	v_subb_co_u32_e32 v4, vcc, v4, v6, vcc
	s_branch .LBB63_839
.LBB63_829:
	s_mov_b64 s[12:13], -1
	s_mov_b64 s[8:9], 0
	s_mov_b64 s[2:3], 0
	;; [unrolled: 1-line block ×3, first 2 shown]
                                        ; implicit-def: $vgpr3_vgpr4
	s_branch .LBB63_898
.LBB63_830:
	s_mov_b64 s[10:11], -1
	s_mov_b64 s[8:9], 0
	s_mov_b64 s[0:1], s[70:71]
                                        ; implicit-def: $vgpr3_vgpr4
	s_branch .LBB63_868
.LBB63_831:
	s_mov_b64 s[10:11], -1
	s_mov_b64 s[8:9], 0
	s_mov_b64 s[0:1], s[70:71]
                                        ; implicit-def: $vgpr3_vgpr4
	s_branch .LBB63_849
.LBB63_832:
	s_mov_b64 s[10:11], -1
	s_mov_b64 s[8:9], 0
	s_mov_b64 s[0:1], s[70:71]
                                        ; implicit-def: $vgpr3_vgpr4
	s_branch .LBB63_844
.LBB63_833:
	s_andn2_saveexec_b64 s[14:15], s[14:15]
	s_cbranch_execz .LBB63_713
.LBB63_834:
	v_add_f32_e32 v2, 0x46000000, v3
	v_and_b32_e32 v2, 0xff, v2
	v_cmp_ne_u32_e32 vcc, 0, v2
	s_andn2_b64 s[12:13], s[12:13], exec
	s_and_b64 s[18:19], vcc, exec
	s_or_b64 s[12:13], s[12:13], s[18:19]
	s_or_b64 exec, exec, s[14:15]
	v_mov_b32_e32 v4, 0
	s_and_saveexec_b64 s[14:15], s[12:13]
	s_cbranch_execnz .LBB63_714
	s_branch .LBB63_715
.LBB63_835:
	s_mov_b64 s[10:11], -1
	s_mov_b64 s[8:9], 0
	s_mov_b64 s[0:1], s[70:71]
                                        ; implicit-def: $vgpr3_vgpr4
	s_branch .LBB63_839
.LBB63_836:
	s_andn2_saveexec_b64 s[14:15], s[14:15]
	s_cbranch_execz .LBB63_726
.LBB63_837:
	v_add_f32_e32 v2, 0x42800000, v3
	v_and_b32_e32 v2, 0xff, v2
	v_cmp_ne_u32_e32 vcc, 0, v2
	s_andn2_b64 s[12:13], s[12:13], exec
	s_and_b64 s[18:19], vcc, exec
	s_or_b64 s[12:13], s[12:13], s[18:19]
	s_or_b64 exec, exec, s[14:15]
	v_mov_b32_e32 v4, 0
	s_and_saveexec_b64 s[14:15], s[12:13]
	s_cbranch_execnz .LBB63_727
	s_branch .LBB63_728
.LBB63_838:
	s_mov_b64 s[0:1], -1
                                        ; implicit-def: $vgpr3_vgpr4
	s_mov_b64 s[8:9], 0
.LBB63_839:
	s_and_b64 vcc, exec, s[10:11]
	s_cbranch_vccz .LBB63_843
; %bb.840:
	s_cmp_eq_u32 s12, 44
	s_cbranch_scc0 .LBB63_842
; %bb.841:
	global_load_ubyte v3, v[1:2], off
	s_mov_b32 s0, 0x2f800000
	s_mov_b32 s1, 0xcf800000
	s_mov_b64 s[8:9], -1
	s_waitcnt vmcnt(0)
	v_lshlrev_b32_e32 v4, 23, v3
	v_trunc_f32_e32 v4, v4
	v_mul_f32_e64 v5, |v4|, s0
	v_floor_f32_e32 v5, v5
	v_fma_f32 v6, v5, s1, |v4|
	v_cvt_u32_f32_e32 v6, v6
	v_cvt_u32_f32_e32 v5, v5
	v_ashrrev_i32_e32 v4, 31, v4
	s_mov_b64 s[0:1], 0
	v_xor_b32_e32 v6, v6, v4
	v_xor_b32_e32 v5, v5, v4
	v_sub_co_u32_e32 v6, vcc, v6, v4
	v_subb_co_u32_e32 v4, vcc, v5, v4, vcc
	v_cmp_ne_u32_e32 vcc, 0, v3
	v_cndmask_b32_e32 v4, 0, v4, vcc
	v_cndmask_b32_e32 v3, 0, v6, vcc
	s_branch .LBB63_843
.LBB63_842:
	s_mov_b64 s[0:1], -1
                                        ; implicit-def: $vgpr3_vgpr4
.LBB63_843:
	s_mov_b64 s[10:11], 0
.LBB63_844:
	s_and_b64 vcc, exec, s[10:11]
	s_cbranch_vccz .LBB63_848
; %bb.845:
	s_cmp_eq_u32 s12, 29
	s_cbranch_scc0 .LBB63_847
; %bb.846:
	global_load_dwordx2 v[3:4], v[1:2], off
	s_mov_b64 s[0:1], 0
	s_mov_b64 s[8:9], -1
	s_branch .LBB63_848
.LBB63_847:
	s_mov_b64 s[0:1], -1
                                        ; implicit-def: $vgpr3_vgpr4
.LBB63_848:
	s_mov_b64 s[10:11], 0
.LBB63_849:
	s_and_b64 vcc, exec, s[10:11]
	s_cbranch_vccz .LBB63_867
; %bb.850:
	s_cmp_lt_i32 s12, 27
	s_cbranch_scc1 .LBB63_853
; %bb.851:
	s_cmp_gt_i32 s12, 27
	s_cbranch_scc0 .LBB63_854
; %bb.852:
	global_load_dword v3, v[1:2], off
	s_waitcnt vmcnt(1)
	v_mov_b32_e32 v4, 0
	s_mov_b64 s[8:9], 0
	s_branch .LBB63_855
.LBB63_853:
	s_mov_b64 s[8:9], -1
                                        ; implicit-def: $vgpr3_vgpr4
	s_branch .LBB63_858
.LBB63_854:
	s_mov_b64 s[8:9], -1
                                        ; implicit-def: $vgpr3_vgpr4
.LBB63_855:
	s_andn2_b64 vcc, exec, s[8:9]
	s_cbranch_vccnz .LBB63_857
; %bb.856:
	global_load_ushort v3, v[1:2], off
	s_mov_b32 s8, 0
	s_waitcnt vmcnt(1)
	v_mov_b32_e32 v4, s8
	s_waitcnt vmcnt(0)
	v_and_b32_e32 v3, 0xffff, v3
.LBB63_857:
	s_mov_b64 s[8:9], 0
.LBB63_858:
	s_andn2_b64 vcc, exec, s[8:9]
	s_cbranch_vccnz .LBB63_866
; %bb.859:
	global_load_ubyte v5, v[1:2], off
	s_movk_i32 s8, 0x7f
	s_mov_b64 s[10:11], 0
	s_waitcnt vmcnt(0)
	v_cmp_lt_i16_e32 vcc, s8, v5
	s_and_saveexec_b64 s[8:9], vcc
	s_xor_b64 s[8:9], exec, s[8:9]
; %bb.860:
	s_movk_i32 s10, 0x80
	v_cmp_ne_u16_e32 vcc, s10, v5
	s_and_b64 s[10:11], vcc, exec
; %bb.861:
	s_andn2_saveexec_b64 s[8:9], s[8:9]
; %bb.862:
	v_cmp_ne_u16_e32 vcc, 0, v5
	s_andn2_b64 s[10:11], s[10:11], exec
	s_and_b64 s[14:15], vcc, exec
	s_or_b64 s[10:11], s[10:11], s[14:15]
; %bb.863:
	s_or_b64 exec, exec, s[8:9]
	v_mov_b32_e32 v3, 0
	v_mov_b32_e32 v4, 0
	s_and_saveexec_b64 s[8:9], s[10:11]
	s_cbranch_execz .LBB63_865
; %bb.864:
	v_and_b32_e32 v4, 0xffff, v5
	v_lshlrev_b32_e32 v3, 24, v5
	v_and_b32_e32 v5, 7, v4
	v_ffbh_u32_e32 v7, v5
	v_min_u32_e32 v7, 32, v7
	v_subrev_u32_e32 v8, 28, v7
	v_bfe_u32 v6, v4, 3, 4
	v_lshlrev_b32_e32 v4, v8, v4
	v_sub_u32_e32 v7, 29, v7
	v_and_b32_e32 v4, 7, v4
	v_cmp_eq_u32_e32 vcc, 0, v6
	v_cndmask_b32_e32 v6, v6, v7, vcc
	v_cndmask_b32_e32 v4, v5, v4, vcc
	v_mov_b32_e32 v5, 0x3b800000
	v_lshlrev_b32_e32 v4, 20, v4
	v_and_b32_e32 v3, 0x80000000, v3
	v_lshl_add_u32 v5, v6, 23, v5
	v_or3_b32 v3, v3, v5, v4
	v_trunc_f32_e32 v3, v3
	s_mov_b32 s10, 0x2f800000
	v_mul_f32_e64 v4, |v3|, s10
	v_floor_f32_e32 v4, v4
	s_mov_b32 s10, 0xcf800000
	v_fma_f32 v5, v4, s10, |v3|
	v_cvt_u32_f32_e32 v5, v5
	v_cvt_u32_f32_e32 v4, v4
	v_ashrrev_i32_e32 v6, 31, v3
	v_xor_b32_e32 v3, v5, v6
	v_xor_b32_e32 v4, v4, v6
	v_sub_co_u32_e32 v3, vcc, v3, v6
	v_subb_co_u32_e32 v4, vcc, v4, v6, vcc
.LBB63_865:
	s_or_b64 exec, exec, s[8:9]
.LBB63_866:
	s_mov_b64 s[8:9], -1
.LBB63_867:
	s_mov_b64 s[10:11], 0
.LBB63_868:
	s_and_b64 vcc, exec, s[10:11]
	s_cbranch_vccz .LBB63_897
; %bb.869:
	s_cmp_gt_i32 s12, 22
	s_cbranch_scc0 .LBB63_879
; %bb.870:
	s_cmp_lt_i32 s12, 24
	s_cbranch_scc1 .LBB63_880
; %bb.871:
	s_cmp_gt_i32 s12, 24
	s_cbranch_scc0 .LBB63_881
; %bb.872:
	global_load_ubyte v5, v[1:2], off
	s_movk_i32 s2, 0x7f
	s_mov_b64 s[8:9], 0
	s_waitcnt vmcnt(0)
	v_cmp_lt_i16_e32 vcc, s2, v5
	s_and_saveexec_b64 s[2:3], vcc
	s_xor_b64 s[2:3], exec, s[2:3]
; %bb.873:
	s_movk_i32 s8, 0x80
	v_cmp_ne_u16_e32 vcc, s8, v5
	s_and_b64 s[8:9], vcc, exec
; %bb.874:
	s_andn2_saveexec_b64 s[2:3], s[2:3]
; %bb.875:
	v_cmp_ne_u16_e32 vcc, 0, v5
	s_andn2_b64 s[8:9], s[8:9], exec
	s_and_b64 s[10:11], vcc, exec
	s_or_b64 s[8:9], s[8:9], s[10:11]
; %bb.876:
	s_or_b64 exec, exec, s[2:3]
	v_mov_b32_e32 v3, 0
	v_mov_b32_e32 v4, 0
	s_and_saveexec_b64 s[2:3], s[8:9]
	s_cbranch_execz .LBB63_878
; %bb.877:
	v_and_b32_e32 v4, 0xffff, v5
	v_lshlrev_b32_e32 v3, 24, v5
	v_and_b32_e32 v5, 3, v4
	v_ffbh_u32_e32 v7, v5
	v_min_u32_e32 v7, 32, v7
	v_subrev_u32_e32 v8, 29, v7
	v_bfe_u32 v6, v4, 2, 5
	v_lshlrev_b32_e32 v4, v8, v4
	v_sub_u32_e32 v7, 30, v7
	v_and_b32_e32 v4, 3, v4
	v_cmp_eq_u32_e32 vcc, 0, v6
	v_cndmask_b32_e32 v6, v6, v7, vcc
	v_cndmask_b32_e32 v4, v5, v4, vcc
	v_mov_b32_e32 v5, 0x37800000
	v_lshlrev_b32_e32 v4, 21, v4
	v_and_b32_e32 v3, 0x80000000, v3
	v_lshl_add_u32 v5, v6, 23, v5
	v_or3_b32 v3, v3, v5, v4
	v_trunc_f32_e32 v3, v3
	s_mov_b32 s8, 0x2f800000
	v_mul_f32_e64 v4, |v3|, s8
	v_floor_f32_e32 v4, v4
	s_mov_b32 s8, 0xcf800000
	v_fma_f32 v5, v4, s8, |v3|
	v_cvt_u32_f32_e32 v5, v5
	v_cvt_u32_f32_e32 v4, v4
	v_ashrrev_i32_e32 v6, 31, v3
	v_xor_b32_e32 v3, v5, v6
	v_xor_b32_e32 v4, v4, v6
	v_sub_co_u32_e32 v3, vcc, v3, v6
	v_subb_co_u32_e32 v4, vcc, v4, v6, vcc
.LBB63_878:
	s_or_b64 exec, exec, s[2:3]
	s_mov_b64 s[2:3], 0
	s_branch .LBB63_882
.LBB63_879:
	s_mov_b64 s[2:3], -1
                                        ; implicit-def: $vgpr3_vgpr4
	s_branch .LBB63_888
.LBB63_880:
	s_mov_b64 s[2:3], -1
                                        ; implicit-def: $vgpr3_vgpr4
	s_branch .LBB63_885
.LBB63_881:
	s_mov_b64 s[2:3], -1
                                        ; implicit-def: $vgpr3_vgpr4
.LBB63_882:
	s_and_b64 vcc, exec, s[2:3]
	s_cbranch_vccz .LBB63_884
; %bb.883:
	global_load_ubyte v3, v[1:2], off
	s_mov_b32 s2, 0x7f800000
	s_brev_b32 s3, 1
	s_mov_b32 s8, 0x2f800000
	s_mov_b32 s9, 0xcf800000
	s_waitcnt vmcnt(0)
	v_lshlrev_b32_e32 v3, 24, v3
	v_and_b32_e32 v4, 0x7f000000, v3
	v_ffbh_u32_e32 v5, v4
	v_min_u32_e32 v5, 32, v5
	v_sub_u32_e64 v5, v5, 4 clamp
	v_lshlrev_b32_e32 v7, v5, v4
	v_lshlrev_b32_e32 v5, 23, v5
	v_lshrrev_b32_e32 v7, 4, v7
	v_add_u32_e32 v6, 0x1000000, v4
	v_sub_u32_e32 v5, v7, v5
	v_ashrrev_i32_e32 v6, 8, v6
	v_add_u32_e32 v5, 0x3c000000, v5
	v_and_or_b32 v5, v6, s2, v5
	v_cmp_ne_u32_e32 vcc, 0, v4
	v_cndmask_b32_e32 v4, 0, v5, vcc
	v_and_or_b32 v3, v3, s3, v4
	v_trunc_f32_e32 v3, v3
	v_mul_f32_e64 v4, |v3|, s8
	v_floor_f32_e32 v4, v4
	v_fma_f32 v5, v4, s9, |v3|
	v_cvt_u32_f32_e32 v5, v5
	v_cvt_u32_f32_e32 v4, v4
	v_ashrrev_i32_e32 v6, 31, v3
	v_xor_b32_e32 v3, v5, v6
	v_xor_b32_e32 v4, v4, v6
	v_sub_co_u32_e32 v3, vcc, v3, v6
	v_subb_co_u32_e32 v4, vcc, v4, v6, vcc
.LBB63_884:
	s_mov_b64 s[2:3], 0
.LBB63_885:
	s_andn2_b64 vcc, exec, s[2:3]
	s_cbranch_vccnz .LBB63_887
; %bb.886:
	global_load_ubyte v3, v[1:2], off
	s_movk_i32 s2, 0x7f00
	s_brev_b32 s3, 16
	s_brev_b32 s8, 1
	s_mov_b32 s9, 0x2f800000
	s_mov_b32 s10, 0xcf800000
	s_waitcnt vmcnt(0)
	v_lshlrev_b16_e32 v4, 8, v3
	v_lshlrev_b32_e32 v3, 25, v3
	v_lshrrev_b32_e32 v5, 4, v3
	v_and_or_b32 v6, v4, s2, 0.5
	v_or_b32_e32 v5, 0x70000000, v5
	v_add_f32_e32 v6, -0.5, v6
	v_mul_f32_e32 v5, 0x7800000, v5
	v_cmp_gt_u32_e32 vcc, s3, v3
	v_bfe_i32 v4, v4, 0, 16
	v_cndmask_b32_e32 v3, v5, v6, vcc
	v_and_or_b32 v3, v4, s8, v3
	v_trunc_f32_e32 v3, v3
	v_mul_f32_e64 v4, |v3|, s9
	v_floor_f32_e32 v4, v4
	v_fma_f32 v5, v4, s10, |v3|
	v_cvt_u32_f32_e32 v5, v5
	v_cvt_u32_f32_e32 v4, v4
	v_ashrrev_i32_e32 v6, 31, v3
	v_xor_b32_e32 v3, v5, v6
	v_xor_b32_e32 v4, v4, v6
	v_sub_co_u32_e32 v3, vcc, v3, v6
	v_subb_co_u32_e32 v4, vcc, v4, v6, vcc
.LBB63_887:
	s_mov_b64 s[2:3], 0
	s_mov_b64 s[8:9], -1
.LBB63_888:
	s_andn2_b64 vcc, exec, s[2:3]
	s_mov_b64 s[2:3], 0
	s_cbranch_vccnz .LBB63_897
; %bb.889:
	s_cmp_gt_i32 s12, 14
	s_cbranch_scc0 .LBB63_892
; %bb.890:
	s_cmp_eq_u32 s12, 15
	s_cbranch_scc0 .LBB63_893
; %bb.891:
	global_load_ushort v3, v[1:2], off
	s_mov_b32 s0, 0x2f800000
	s_mov_b32 s1, 0xcf800000
	s_mov_b64 s[8:9], -1
	s_waitcnt vmcnt(0)
	v_lshlrev_b32_e32 v3, 16, v3
	v_trunc_f32_e32 v3, v3
	v_mul_f32_e64 v4, |v3|, s0
	v_floor_f32_e32 v4, v4
	v_fma_f32 v5, v4, s1, |v3|
	v_cvt_u32_f32_e32 v5, v5
	v_cvt_u32_f32_e32 v4, v4
	v_ashrrev_i32_e32 v6, 31, v3
	s_mov_b64 s[0:1], 0
	v_xor_b32_e32 v3, v5, v6
	v_xor_b32_e32 v4, v4, v6
	v_sub_co_u32_e32 v3, vcc, v3, v6
	v_subb_co_u32_e32 v4, vcc, v4, v6, vcc
	s_branch .LBB63_894
.LBB63_892:
	s_mov_b64 s[10:11], -1
                                        ; implicit-def: $vgpr3_vgpr4
	s_branch .LBB63_895
.LBB63_893:
	s_mov_b64 s[0:1], -1
                                        ; implicit-def: $vgpr3_vgpr4
.LBB63_894:
	s_mov_b64 s[10:11], 0
.LBB63_895:
	s_and_b64 vcc, exec, s[10:11]
	s_cbranch_vccz .LBB63_897
; %bb.896:
	s_cmp_lg_u32 s12, 11
	s_cselect_b64 s[10:11], -1, 0
	s_andn2_b64 s[0:1], s[0:1], exec
	s_and_b64 s[10:11], s[10:11], exec
	s_mov_b64 s[2:3], -1
	s_or_b64 s[0:1], s[0:1], s[10:11]
.LBB63_897:
	s_mov_b64 s[12:13], 0
.LBB63_898:
	s_and_b64 s[10:11], s[8:9], exec
	s_and_b64 s[8:9], s[12:13], exec
	s_andn2_b64 s[12:13], s[70:71], exec
	s_and_b64 s[0:1], s[0:1], exec
	s_and_b64 s[2:3], s[2:3], exec
	s_or_b64 s[12:13], s[12:13], s[0:1]
.LBB63_899:
	s_or_b64 exec, exec, s[74:75]
	s_and_b64 s[0:1], s[2:3], exec
	s_andn2_b64 s[2:3], s[70:71], exec
	s_and_b64 s[12:13], s[12:13], exec
	s_and_b64 s[10:11], s[10:11], exec
	;; [unrolled: 1-line block ×3, first 2 shown]
	s_or_b64 s[70:71], s[2:3], s[12:13]
.LBB63_900:
	s_or_b64 exec, exec, s[68:69]
	s_andn2_b64 s[2:3], s[64:65], exec
	s_and_b64 s[12:13], s[72:73], exec
	s_or_b64 s[64:65], s[2:3], s[12:13]
	s_and_b64 s[2:3], s[0:1], exec
	s_andn2_b64 s[0:1], s[62:63], exec
	s_and_b64 s[12:13], s[70:71], exec
	s_and_b64 s[10:11], s[10:11], exec
	;; [unrolled: 1-line block ×3, first 2 shown]
	s_or_b64 s[62:63], s[0:1], s[12:13]
.LBB63_901:
	s_or_b64 exec, exec, s[66:67]
	s_andn2_b64 s[0:1], s[56:57], exec
	s_and_b64 s[12:13], s[64:65], exec
	s_or_b64 s[56:57], s[0:1], s[12:13]
	s_and_b64 s[0:1], s[10:11], exec
	s_and_b64 s[10:11], s[8:9], exec
	;; [unrolled: 1-line block ×3, first 2 shown]
	s_andn2_b64 s[2:3], s[58:59], exec
	s_and_b64 s[8:9], s[62:63], exec
	s_or_b64 s[58:59], s[2:3], s[8:9]
	s_or_b64 exec, exec, s[60:61]
	s_mov_b64 s[2:3], 0
	s_and_saveexec_b64 s[8:9], s[58:59]
	s_cbranch_execz .LBB63_270
.LBB63_902:
	s_mov_b64 s[2:3], exec
	s_andn2_b64 s[64:65], s[64:65], exec
	s_trap 2
	s_or_b64 exec, exec, s[8:9]
	s_and_saveexec_b64 s[8:9], s[64:65]
	s_xor_b64 s[8:9], exec, s[8:9]
	s_cbranch_execnz .LBB63_271
.LBB63_903:
	s_or_b64 exec, exec, s[8:9]
	s_and_saveexec_b64 s[8:9], s[10:11]
	s_cbranch_execz .LBB63_949
.LBB63_904:
	s_sext_i32_i16 s10, s78
	s_cmp_lt_i32 s10, 5
	s_cbranch_scc1 .LBB63_909
; %bb.905:
	s_cmp_lt_i32 s10, 8
	s_cbranch_scc1 .LBB63_910
; %bb.906:
	;; [unrolled: 3-line block ×3, first 2 shown]
	s_cmp_gt_i32 s10, 9
	s_cbranch_scc0 .LBB63_912
; %bb.908:
	global_load_dwordx2 v[3:4], v[1:2], off
	s_movk_i32 s10, 0xffe0
	s_waitcnt vmcnt(0)
	v_trunc_f64_e32 v[3:4], v[3:4]
	v_ldexp_f64 v[5:6], v[3:4], s10
	s_mov_b32 s10, 0
	s_mov_b32 s11, 0xc1f00000
	v_floor_f64_e32 v[5:6], v[5:6]
	v_fma_f64 v[7:8], v[5:6], s[10:11], v[3:4]
	v_cvt_i32_f64_e32 v4, v[5:6]
	s_mov_b64 s[10:11], 0
	v_cvt_u32_f64_e32 v3, v[7:8]
	s_branch .LBB63_913
.LBB63_909:
                                        ; implicit-def: $vgpr3_vgpr4
	s_branch .LBB63_930
.LBB63_910:
                                        ; implicit-def: $vgpr3_vgpr4
	s_branch .LBB63_919
.LBB63_911:
	s_mov_b64 s[10:11], -1
                                        ; implicit-def: $vgpr3_vgpr4
	s_branch .LBB63_916
.LBB63_912:
	s_mov_b64 s[10:11], -1
                                        ; implicit-def: $vgpr3_vgpr4
.LBB63_913:
	s_andn2_b64 vcc, exec, s[10:11]
	s_cbranch_vccnz .LBB63_915
; %bb.914:
	global_load_dword v3, v[1:2], off
	s_mov_b32 s10, 0x2f800000
	s_mov_b32 s11, 0xcf800000
	s_waitcnt vmcnt(0)
	v_trunc_f32_e32 v3, v3
	v_mul_f32_e64 v4, |v3|, s10
	v_floor_f32_e32 v4, v4
	v_cvt_u32_f32_e32 v5, v4
	v_fma_f32 v4, v4, s11, |v3|
	v_cvt_u32_f32_e32 v4, v4
	v_ashrrev_i32_e32 v6, 31, v3
	v_xor_b32_e32 v5, v5, v6
	v_xor_b32_e32 v3, v4, v6
	v_sub_co_u32_e32 v3, vcc, v3, v6
	v_subb_co_u32_e32 v4, vcc, v5, v6, vcc
.LBB63_915:
	s_mov_b64 s[10:11], 0
.LBB63_916:
	s_andn2_b64 vcc, exec, s[10:11]
	s_cbranch_vccnz .LBB63_918
; %bb.917:
	global_load_dword v3, v[1:2], off
	s_waitcnt vmcnt(0)
	v_cvt_f32_f16_e32 v3, v3
	v_cvt_i32_f32_e32 v3, v3
	v_ashrrev_i32_e32 v4, 31, v3
.LBB63_918:
	s_cbranch_execnz .LBB63_929
.LBB63_919:
	s_sext_i32_i16 s10, s78
	s_cmp_lt_i32 s10, 6
	s_cbranch_scc1 .LBB63_922
; %bb.920:
	s_cmp_gt_i32 s10, 6
	s_cbranch_scc0 .LBB63_923
; %bb.921:
	global_load_dwordx2 v[3:4], v[1:2], off
	s_movk_i32 s10, 0xffe0
	s_waitcnt vmcnt(0)
	v_trunc_f64_e32 v[3:4], v[3:4]
	v_ldexp_f64 v[5:6], v[3:4], s10
	s_mov_b32 s10, 0
	s_mov_b32 s11, 0xc1f00000
	v_floor_f64_e32 v[5:6], v[5:6]
	v_fma_f64 v[7:8], v[5:6], s[10:11], v[3:4]
	v_cvt_i32_f64_e32 v4, v[5:6]
	s_mov_b64 s[10:11], 0
	v_cvt_u32_f64_e32 v3, v[7:8]
	s_branch .LBB63_924
.LBB63_922:
	s_mov_b64 s[10:11], -1
                                        ; implicit-def: $vgpr3_vgpr4
	s_branch .LBB63_927
.LBB63_923:
	s_mov_b64 s[10:11], -1
                                        ; implicit-def: $vgpr3_vgpr4
.LBB63_924:
	s_andn2_b64 vcc, exec, s[10:11]
	s_cbranch_vccnz .LBB63_926
; %bb.925:
	global_load_dword v3, v[1:2], off
	s_mov_b32 s10, 0x2f800000
	s_mov_b32 s11, 0xcf800000
	s_waitcnt vmcnt(0)
	v_trunc_f32_e32 v3, v3
	v_mul_f32_e64 v4, |v3|, s10
	v_floor_f32_e32 v4, v4
	v_cvt_u32_f32_e32 v5, v4
	v_fma_f32 v4, v4, s11, |v3|
	v_cvt_u32_f32_e32 v4, v4
	v_ashrrev_i32_e32 v6, 31, v3
	v_xor_b32_e32 v5, v5, v6
	v_xor_b32_e32 v3, v4, v6
	v_sub_co_u32_e32 v3, vcc, v3, v6
	v_subb_co_u32_e32 v4, vcc, v5, v6, vcc
.LBB63_926:
	s_mov_b64 s[10:11], 0
.LBB63_927:
	s_andn2_b64 vcc, exec, s[10:11]
	s_cbranch_vccnz .LBB63_929
; %bb.928:
	global_load_ushort v3, v[1:2], off
	s_waitcnt vmcnt(0)
	v_cvt_f32_f16_e32 v3, v3
	v_cvt_i32_f32_e32 v3, v3
	v_ashrrev_i32_e32 v4, 31, v3
.LBB63_929:
	s_cbranch_execnz .LBB63_948
.LBB63_930:
	s_sext_i32_i16 s10, s78
	s_cmp_lt_i32 s10, 2
	s_cbranch_scc1 .LBB63_934
; %bb.931:
	s_cmp_lt_i32 s10, 3
	s_cbranch_scc1 .LBB63_935
; %bb.932:
	s_cmp_gt_i32 s10, 3
	s_cbranch_scc0 .LBB63_936
; %bb.933:
	global_load_dwordx2 v[3:4], v[1:2], off
	s_mov_b64 s[10:11], 0
	s_branch .LBB63_937
.LBB63_934:
                                        ; implicit-def: $vgpr3_vgpr4
	s_branch .LBB63_943
.LBB63_935:
	s_mov_b64 s[10:11], -1
                                        ; implicit-def: $vgpr3_vgpr4
	s_branch .LBB63_940
.LBB63_936:
	s_mov_b64 s[10:11], -1
                                        ; implicit-def: $vgpr3_vgpr4
.LBB63_937:
	s_andn2_b64 vcc, exec, s[10:11]
	s_cbranch_vccnz .LBB63_939
; %bb.938:
	global_load_dword v3, v[1:2], off
	s_waitcnt vmcnt(0)
	v_ashrrev_i32_e32 v4, 31, v3
.LBB63_939:
	s_mov_b64 s[10:11], 0
.LBB63_940:
	s_andn2_b64 vcc, exec, s[10:11]
	s_cbranch_vccnz .LBB63_942
; %bb.941:
	global_load_ushort v3, v[1:2], off
	s_waitcnt vmcnt(0)
	v_bfe_i32 v3, v3, 0, 16
	v_ashrrev_i32_e32 v4, 31, v3
.LBB63_942:
	s_cbranch_execnz .LBB63_948
.LBB63_943:
	s_sext_i32_i16 s10, s78
	s_cmp_gt_i32 s10, 0
	s_cbranch_scc0 .LBB63_945
; %bb.944:
	global_load_sbyte v3, v[1:2], off
	s_mov_b64 s[10:11], 0
	s_waitcnt vmcnt(0)
	v_bfe_i32 v3, v3, 0, 16
	v_ashrrev_i32_e32 v4, 31, v3
	s_branch .LBB63_946
.LBB63_945:
	s_mov_b64 s[10:11], -1
                                        ; implicit-def: $vgpr3_vgpr4
.LBB63_946:
	s_andn2_b64 vcc, exec, s[10:11]
	s_cbranch_vccnz .LBB63_948
; %bb.947:
	global_load_ubyte v1, v[1:2], off
	s_mov_b32 s10, 0
	s_waitcnt vmcnt(1)
	v_mov_b32_e32 v4, s10
	s_waitcnt vmcnt(0)
	v_and_b32_e32 v3, 0xffff, v1
.LBB63_948:
	s_or_b64 s[0:1], s[0:1], exec
.LBB63_949:
	s_or_b64 exec, exec, s[8:9]
	s_mov_b64 s[14:15], 0
	s_mov_b64 s[12:13], 0
                                        ; implicit-def: $sgpr8_sgpr9
                                        ; implicit-def: $sgpr20
                                        ; implicit-def: $vgpr1_vgpr2
	s_and_saveexec_b64 s[10:11], s[0:1]
	s_cbranch_execz .LBB63_1024
; %bb.950:
	s_waitcnt vmcnt(0)
	v_cmp_ne_u64_e32 vcc, s[44:45], v[3:4]
	v_mov_b32_e32 v2, s25
	s_xor_b64 s[8:9], s[46:47], vcc
	s_and_b32 s20, s77, 0xff
	v_add_co_u32_e32 v1, vcc, s24, v0
	s_cmp_lt_i32 s20, 11
	v_addc_co_u32_e32 v2, vcc, 0, v2, vcc
	s_cbranch_scc1 .LBB63_1027
; %bb.951:
	s_and_b32 s21, 0xffff, s20
	s_mov_b64 s[14:15], -1
	s_cmp_gt_i32 s21, 25
	s_mov_b64 s[0:1], s[56:57]
	s_cbranch_scc0 .LBB63_984
; %bb.952:
	s_mov_b64 s[12:13], -1
	s_cmp_gt_i32 s21, 28
	s_mov_b64 s[0:1], s[56:57]
	s_cbranch_scc0 .LBB63_968
; %bb.953:
	s_cmp_gt_i32 s21, 43
	s_mov_b64 s[0:1], s[56:57]
	s_cbranch_scc0 .LBB63_964
; %bb.954:
	;; [unrolled: 4-line block ×3, first 2 shown]
	s_cmp_eq_u32 s21, 46
	s_mov_b64 s[0:1], -1
	s_cbranch_scc0 .LBB63_957
; %bb.956:
	v_cndmask_b32_e64 v0, 0, 1.0, s[8:9]
	v_bfe_u32 v3, v0, 16, 1
	s_movk_i32 s0, 0x7fff
	v_add3_u32 v0, v0, v3, s0
	v_lshrrev_b32_e32 v0, 16, v0
	global_store_dword v[1:2], v0, off
	s_mov_b64 s[0:1], 0
.LBB63_957:
	s_mov_b64 s[12:13], 0
.LBB63_958:
	s_and_b64 vcc, exec, s[12:13]
	s_cbranch_vccz .LBB63_963
; %bb.959:
	s_cmp_eq_u32 s21, 44
	s_mov_b64 s[0:1], -1
	s_cbranch_scc0 .LBB63_963
; %bb.960:
	v_cndmask_b32_e64 v3, 0, 1.0, s[8:9]
	v_lshrrev_b32_e32 v0, 23, v3
	s_movk_i32 s0, 0xff
	v_cmp_ne_u32_e32 vcc, s0, v0
	v_mov_b32_e32 v4, 0xff
	s_and_saveexec_b64 s[12:13], vcc
; %bb.961:
	s_mov_b32 s0, 0x3fffff
	v_and_b32_e32 v4, 0x400000, v3
	v_and_or_b32 v3, v3, s0, v0
	v_cmp_ne_u32_e32 vcc, 0, v4
	v_cmp_ne_u32_e64 s[0:1], 0, v3
	s_and_b64 s[0:1], vcc, s[0:1]
	v_cndmask_b32_e64 v3, 0, 1, s[0:1]
	v_add_u32_e32 v4, v0, v3
; %bb.962:
	s_or_b64 exec, exec, s[12:13]
	s_mov_b64 s[0:1], 0
	global_store_byte v[1:2], v4, off
.LBB63_963:
	s_mov_b64 s[12:13], 0
.LBB63_964:
	s_and_b64 vcc, exec, s[12:13]
	s_cbranch_vccz .LBB63_967
; %bb.965:
	s_cmp_eq_u32 s21, 29
	s_mov_b64 s[0:1], -1
	s_cbranch_scc0 .LBB63_967
; %bb.966:
	s_mov_b32 s0, 0
	v_cndmask_b32_e64 v3, 0, 1, s[8:9]
	v_mov_b32_e32 v4, s0
	global_store_dwordx2 v[1:2], v[3:4], off
	s_mov_b64 s[0:1], 0
.LBB63_967:
	s_mov_b64 s[12:13], 0
.LBB63_968:
	s_and_b64 vcc, exec, s[12:13]
	s_cbranch_vccz .LBB63_983
; %bb.969:
	s_cmp_lt_i32 s21, 27
	s_mov_b64 s[12:13], -1
	s_cbranch_scc1 .LBB63_975
; %bb.970:
	s_cmp_gt_i32 s21, 27
	s_cbranch_scc0 .LBB63_972
; %bb.971:
	v_cndmask_b32_e64 v0, 0, 1, s[8:9]
	s_mov_b64 s[12:13], 0
	global_store_dword v[1:2], v0, off
.LBB63_972:
	s_andn2_b64 vcc, exec, s[12:13]
	s_cbranch_vccnz .LBB63_974
; %bb.973:
	v_cndmask_b32_e64 v0, 0, 1, s[8:9]
	global_store_short v[1:2], v0, off
.LBB63_974:
	s_mov_b64 s[12:13], 0
.LBB63_975:
	s_andn2_b64 vcc, exec, s[12:13]
	s_cbranch_vccnz .LBB63_983
; %bb.976:
	v_cndmask_b32_e64 v3, 0, 1.0, s[8:9]
	s_mov_b32 s12, 0x43800000
	v_cmp_gt_u32_e32 vcc, s12, v3
	v_mov_b32_e32 v4, 0x80
	s_and_saveexec_b64 s[12:13], vcc
	s_cbranch_execz .LBB63_982
; %bb.977:
	s_mov_b32 s14, 0x3bffffff
	v_cmp_lt_u32_e32 vcc, s14, v3
	s_mov_b64 s[14:15], 0
                                        ; implicit-def: $vgpr0
	s_and_saveexec_b64 s[16:17], vcc
	s_xor_b64 s[16:17], exec, s[16:17]
	s_cbranch_execz .LBB63_1140
; %bb.978:
	v_bfe_u32 v0, v3, 20, 1
	s_mov_b32 s18, 0x487ffff
	v_add3_u32 v0, v3, v0, s18
	s_mov_b64 s[14:15], exec
	v_lshrrev_b32_e32 v0, 20, v0
                                        ; implicit-def: $vgpr3
	s_andn2_saveexec_b64 s[16:17], s[16:17]
	s_cbranch_execnz .LBB63_1141
.LBB63_979:
	s_or_b64 exec, exec, s[16:17]
	v_mov_b32_e32 v4, 0
	s_and_saveexec_b64 s[16:17], s[14:15]
.LBB63_980:
	v_mov_b32_e32 v4, v0
.LBB63_981:
	s_or_b64 exec, exec, s[16:17]
.LBB63_982:
	s_or_b64 exec, exec, s[12:13]
	global_store_byte v[1:2], v4, off
.LBB63_983:
	s_mov_b64 s[14:15], 0
.LBB63_984:
	s_mov_b64 s[12:13], 0
	s_and_b64 vcc, exec, s[14:15]
	s_cbranch_vccz .LBB63_1028
; %bb.985:
	s_cmp_gt_i32 s21, 22
	s_mov_b64 s[14:15], -1
	s_cbranch_scc0 .LBB63_1017
; %bb.986:
	s_cmp_lt_i32 s21, 24
	s_cbranch_scc1 .LBB63_1006
; %bb.987:
	s_cmp_gt_i32 s21, 24
	s_cbranch_scc0 .LBB63_995
; %bb.988:
	v_cndmask_b32_e64 v3, 0, 1.0, s[8:9]
	s_mov_b32 s14, 0x47800000
	v_cmp_gt_u32_e32 vcc, s14, v3
	v_mov_b32_e32 v4, 0x80
	s_and_saveexec_b64 s[14:15], vcc
	s_cbranch_execz .LBB63_994
; %bb.989:
	s_mov_b32 s16, 0x37ffffff
	v_cmp_lt_u32_e32 vcc, s16, v3
	s_mov_b64 s[16:17], 0
                                        ; implicit-def: $vgpr0
	s_and_saveexec_b64 s[18:19], vcc
	s_xor_b64 s[18:19], exec, s[18:19]
	s_cbranch_execz .LBB63_1260
; %bb.990:
	v_bfe_u32 v0, v3, 21, 1
	s_mov_b32 s22, 0x88fffff
	v_add3_u32 v0, v3, v0, s22
	s_mov_b64 s[16:17], exec
	v_lshrrev_b32_e32 v0, 21, v0
                                        ; implicit-def: $vgpr3
	s_andn2_saveexec_b64 s[18:19], s[18:19]
	s_cbranch_execnz .LBB63_1261
.LBB63_991:
	s_or_b64 exec, exec, s[18:19]
	v_mov_b32_e32 v4, 0
	s_and_saveexec_b64 s[18:19], s[16:17]
.LBB63_992:
	v_mov_b32_e32 v4, v0
.LBB63_993:
	s_or_b64 exec, exec, s[18:19]
.LBB63_994:
	s_or_b64 exec, exec, s[14:15]
	s_mov_b64 s[14:15], 0
	global_store_byte v[1:2], v4, off
.LBB63_995:
	s_and_b64 vcc, exec, s[14:15]
	s_cbranch_vccz .LBB63_1005
; %bb.996:
	v_cndmask_b32_e64 v0, 0, 1.0, s[8:9]
	s_mov_b32 s14, 0x43f00000
	v_cmp_gt_u32_e32 vcc, s14, v0
                                        ; implicit-def: $vgpr3
	s_and_saveexec_b64 s[14:15], vcc
	s_xor_b64 s[14:15], exec, s[14:15]
	s_cbranch_execz .LBB63_1002
; %bb.997:
	s_mov_b32 s16, 0x3c7fffff
	v_cmp_lt_u32_e32 vcc, s16, v0
                                        ; implicit-def: $vgpr3
	s_and_saveexec_b64 s[16:17], vcc
	s_xor_b64 s[16:17], exec, s[16:17]
; %bb.998:
	v_bfe_u32 v3, v0, 20, 1
	s_mov_b32 s18, 0x407ffff
	v_add3_u32 v0, v0, v3, s18
	v_lshrrev_b32_e32 v3, 20, v0
	v_and_b32_e32 v0, 0xff00000, v0
	s_mov_b32 s18, 0x7f00000
	v_mov_b32_e32 v4, 0x7e
	v_cmp_ne_u32_e32 vcc, s18, v0
	v_cndmask_b32_e32 v3, v4, v3, vcc
                                        ; implicit-def: $vgpr0
; %bb.999:
	s_andn2_saveexec_b64 s[16:17], s[16:17]
; %bb.1000:
	v_add_f32_e32 v3, 0x46800000, v0
; %bb.1001:
	s_or_b64 exec, exec, s[16:17]
                                        ; implicit-def: $vgpr0
.LBB63_1002:
	s_andn2_saveexec_b64 s[14:15], s[14:15]
; %bb.1003:
	s_mov_b32 s16, 0x7f800000
	v_mov_b32_e32 v3, 0x7e
	v_mov_b32_e32 v4, 0x7f
	v_cmp_lt_u32_e32 vcc, s16, v0
	v_cndmask_b32_e32 v3, v3, v4, vcc
; %bb.1004:
	s_or_b64 exec, exec, s[14:15]
	global_store_byte v[1:2], v3, off
.LBB63_1005:
	s_mov_b64 s[14:15], 0
.LBB63_1006:
	s_andn2_b64 vcc, exec, s[14:15]
	s_cbranch_vccnz .LBB63_1016
; %bb.1007:
	v_cndmask_b32_e64 v0, 0, 1.0, s[8:9]
	s_mov_b32 s14, 0x47800000
	v_cmp_gt_u32_e32 vcc, s14, v0
                                        ; implicit-def: $vgpr3
	s_and_saveexec_b64 s[14:15], vcc
	s_xor_b64 s[14:15], exec, s[14:15]
	s_cbranch_execz .LBB63_1013
; %bb.1008:
	s_mov_b32 s16, 0x387fffff
	v_cmp_lt_u32_e32 vcc, s16, v0
                                        ; implicit-def: $vgpr3
	s_and_saveexec_b64 s[16:17], vcc
	s_xor_b64 s[16:17], exec, s[16:17]
; %bb.1009:
	v_bfe_u32 v3, v0, 21, 1
	s_mov_b32 s18, 0x80fffff
	v_add3_u32 v0, v0, v3, s18
	v_lshrrev_b32_e32 v3, 21, v0
                                        ; implicit-def: $vgpr0
; %bb.1010:
	s_andn2_saveexec_b64 s[16:17], s[16:17]
; %bb.1011:
	v_add_f32_e32 v3, 0x43000000, v0
; %bb.1012:
	s_or_b64 exec, exec, s[16:17]
                                        ; implicit-def: $vgpr0
.LBB63_1013:
	s_andn2_saveexec_b64 s[14:15], s[14:15]
; %bb.1014:
	s_mov_b32 s16, 0x7f800000
	v_mov_b32_e32 v3, 0x7c
	v_mov_b32_e32 v4, 0x7f
	v_cmp_lt_u32_e32 vcc, s16, v0
	v_cndmask_b32_e32 v3, v3, v4, vcc
; %bb.1015:
	s_or_b64 exec, exec, s[14:15]
	global_store_byte v[1:2], v3, off
.LBB63_1016:
	s_mov_b64 s[14:15], 0
.LBB63_1017:
	s_andn2_b64 vcc, exec, s[14:15]
	s_mov_b64 s[14:15], 0
	s_cbranch_vccnz .LBB63_1029
; %bb.1018:
	s_cmp_gt_i32 s21, 14
	s_mov_b64 s[16:17], -1
	s_cbranch_scc0 .LBB63_1022
; %bb.1019:
	s_cmp_eq_u32 s21, 15
	s_mov_b64 s[0:1], -1
	s_cbranch_scc0 .LBB63_1021
; %bb.1020:
	v_cndmask_b32_e64 v0, 0, 1.0, s[8:9]
	v_bfe_u32 v3, v0, 16, 1
	s_movk_i32 s0, 0x7fff
	v_add3_u32 v0, v0, v3, s0
	global_store_short_d16_hi v[1:2], v0, off
	s_mov_b64 s[0:1], 0
.LBB63_1021:
	s_mov_b64 s[16:17], 0
.LBB63_1022:
	s_and_b64 vcc, exec, s[16:17]
	s_cbranch_vccz .LBB63_1029
; %bb.1023:
	s_cmp_lg_u32 s21, 11
	s_cselect_b64 s[16:17], -1, 0
	s_andn2_b64 s[0:1], s[0:1], exec
	s_and_b64 s[16:17], s[16:17], exec
	s_mov_b64 s[14:15], -1
	s_or_b64 s[0:1], s[0:1], s[16:17]
	s_branch .LBB63_1029
.LBB63_1024:
	s_or_b64 exec, exec, s[10:11]
	s_and_saveexec_b64 s[0:1], s[56:57]
	s_cbranch_execnz .LBB63_1030
.LBB63_1025:
	s_or_b64 exec, exec, s[0:1]
	s_and_saveexec_b64 s[0:1], s[14:15]
	s_xor_b64 s[0:1], exec, s[0:1]
	s_cbranch_execz .LBB63_1031
.LBB63_1026:
	v_cndmask_b32_e64 v0, 0, 1, s[8:9]
	global_store_byte v[1:2], v0, off
	s_or_b64 exec, exec, s[0:1]
	s_and_saveexec_b64 s[0:1], s[12:13]
	s_xor_b64 s[0:1], exec, s[0:1]
	s_cbranch_execz .LBB63_1069
	s_branch .LBB63_1032
.LBB63_1027:
	s_mov_b64 s[12:13], -1
	s_mov_b64 s[0:1], s[56:57]
	s_branch .LBB63_1029
.LBB63_1028:
	s_mov_b64 s[14:15], 0
.LBB63_1029:
	s_andn2_b64 s[16:17], s[56:57], exec
	s_and_b64 s[0:1], s[0:1], exec
	s_and_b64 s[12:13], s[12:13], exec
	;; [unrolled: 1-line block ×3, first 2 shown]
	s_or_b64 s[56:57], s[16:17], s[0:1]
	s_or_b64 exec, exec, s[10:11]
	s_and_saveexec_b64 s[0:1], s[56:57]
	s_cbranch_execz .LBB63_1025
.LBB63_1030:
	s_or_b64 s[2:3], s[2:3], exec
	s_andn2_b64 s[14:15], s[14:15], exec
	s_trap 2
	s_or_b64 exec, exec, s[0:1]
	s_and_saveexec_b64 s[0:1], s[14:15]
	s_xor_b64 s[0:1], exec, s[0:1]
	s_cbranch_execnz .LBB63_1026
.LBB63_1031:
	s_or_b64 exec, exec, s[0:1]
	s_and_saveexec_b64 s[0:1], s[12:13]
	s_xor_b64 s[0:1], exec, s[0:1]
	s_cbranch_execz .LBB63_1069
.LBB63_1032:
	s_sext_i32_i16 s12, s20
	s_cmp_lt_i32 s12, 5
	s_mov_b64 s[10:11], -1
	s_cbranch_scc1 .LBB63_1053
; %bb.1033:
	s_cmp_lt_i32 s12, 8
	s_cbranch_scc1 .LBB63_1043
; %bb.1034:
	s_cmp_lt_i32 s12, 9
	s_cbranch_scc1 .LBB63_1040
; %bb.1035:
	s_cmp_gt_i32 s12, 9
	s_cbranch_scc0 .LBB63_1037
; %bb.1036:
	v_cndmask_b32_e64 v0, 0, 1, s[8:9]
	s_waitcnt vmcnt(0)
	v_cvt_f64_u32_e32 v[3:4], v0
	v_mov_b32_e32 v5, 0
	v_mov_b32_e32 v6, v5
	s_mov_b64 s[10:11], 0
	global_store_dwordx4 v[1:2], v[3:6], off
.LBB63_1037:
	s_andn2_b64 vcc, exec, s[10:11]
	s_cbranch_vccnz .LBB63_1039
; %bb.1038:
	s_waitcnt vmcnt(0)
	v_cndmask_b32_e64 v3, 0, 1.0, s[8:9]
	v_mov_b32_e32 v4, 0
	global_store_dwordx2 v[1:2], v[3:4], off
.LBB63_1039:
	s_mov_b64 s[10:11], 0
.LBB63_1040:
	s_andn2_b64 vcc, exec, s[10:11]
	s_cbranch_vccnz .LBB63_1042
; %bb.1041:
	v_cndmask_b32_e64 v0, 0, 1.0, s[8:9]
	v_cvt_f16_f32_e32 v0, v0
	global_store_dword v[1:2], v0, off
.LBB63_1042:
	s_mov_b64 s[10:11], 0
.LBB63_1043:
	s_andn2_b64 vcc, exec, s[10:11]
	s_cbranch_vccnz .LBB63_1052
; %bb.1044:
	s_sext_i32_i16 s12, s20
	s_cmp_lt_i32 s12, 6
	s_mov_b64 s[10:11], -1
	s_cbranch_scc1 .LBB63_1050
; %bb.1045:
	s_cmp_gt_i32 s12, 6
	s_cbranch_scc0 .LBB63_1047
; %bb.1046:
	v_cndmask_b32_e64 v0, 0, 1, s[8:9]
	s_waitcnt vmcnt(0)
	v_cvt_f64_u32_e32 v[3:4], v0
	s_mov_b64 s[10:11], 0
	global_store_dwordx2 v[1:2], v[3:4], off
.LBB63_1047:
	s_andn2_b64 vcc, exec, s[10:11]
	s_cbranch_vccnz .LBB63_1049
; %bb.1048:
	v_cndmask_b32_e64 v0, 0, 1.0, s[8:9]
	global_store_dword v[1:2], v0, off
.LBB63_1049:
	s_mov_b64 s[10:11], 0
.LBB63_1050:
	s_andn2_b64 vcc, exec, s[10:11]
	s_cbranch_vccnz .LBB63_1052
; %bb.1051:
	v_cndmask_b32_e64 v0, 0, 1.0, s[8:9]
	v_cvt_f16_f32_e32 v0, v0
	global_store_short v[1:2], v0, off
.LBB63_1052:
	s_mov_b64 s[10:11], 0
.LBB63_1053:
	s_andn2_b64 vcc, exec, s[10:11]
	s_cbranch_vccnz .LBB63_1069
; %bb.1054:
	s_sext_i32_i16 s12, s20
	s_cmp_lt_i32 s12, 2
	s_mov_b64 s[10:11], -1
	s_cbranch_scc1 .LBB63_1064
; %bb.1055:
	s_cmp_lt_i32 s12, 3
	s_cbranch_scc1 .LBB63_1061
; %bb.1056:
	s_cmp_gt_i32 s12, 3
	s_cbranch_scc0 .LBB63_1058
; %bb.1057:
	s_mov_b32 s10, 0
	s_waitcnt vmcnt(0)
	v_cndmask_b32_e64 v3, 0, 1, s[8:9]
	v_mov_b32_e32 v4, s10
	s_mov_b64 s[10:11], 0
	global_store_dwordx2 v[1:2], v[3:4], off
.LBB63_1058:
	s_andn2_b64 vcc, exec, s[10:11]
	s_cbranch_vccnz .LBB63_1060
; %bb.1059:
	v_cndmask_b32_e64 v0, 0, 1, s[8:9]
	global_store_dword v[1:2], v0, off
.LBB63_1060:
	s_mov_b64 s[10:11], 0
.LBB63_1061:
	s_andn2_b64 vcc, exec, s[10:11]
	s_cbranch_vccnz .LBB63_1063
; %bb.1062:
	v_cndmask_b32_e64 v0, 0, 1, s[8:9]
	global_store_short v[1:2], v0, off
.LBB63_1063:
	s_mov_b64 s[10:11], 0
.LBB63_1064:
	s_andn2_b64 vcc, exec, s[10:11]
	s_cbranch_vccnz .LBB63_1069
; %bb.1065:
	s_sext_i32_i16 s10, s20
	s_cmp_gt_i32 s10, 0
	s_mov_b64 s[10:11], -1
	s_cbranch_scc0 .LBB63_1067
; %bb.1066:
	v_cndmask_b32_e64 v0, 0, 1, s[8:9]
	s_mov_b64 s[10:11], 0
	global_store_byte v[1:2], v0, off
.LBB63_1067:
	s_andn2_b64 vcc, exec, s[10:11]
	s_cbranch_vccnz .LBB63_1069
; %bb.1068:
	v_cndmask_b32_e64 v0, 0, 1, s[8:9]
	global_store_byte v[1:2], v0, off
.LBB63_1069:
	s_or_b64 exec, exec, s[0:1]
	s_and_b64 s[28:29], s[2:3], exec
                                        ; implicit-def: $vgpr15
                                        ; implicit-def: $vgpr11
.LBB63_1070:
	s_or_saveexec_b64 s[30:31], s[42:43]
	s_mov_b64 s[0:1], 0
                                        ; implicit-def: $sgpr10_sgpr11
                                        ; implicit-def: $vgpr0_vgpr1
                                        ; implicit-def: $sgpr20
	s_xor_b64 exec, exec, s[30:31]
	s_cbranch_execz .LBB63_2057
; %bb.1071:
	v_cndmask_b32_e64 v0, 0, 1, s[40:41]
	v_cmp_ne_u32_e64 s[0:1], 1, v0
	s_andn2_b64 vcc, exec, s[40:41]
	s_cbranch_vccnz .LBB63_1077
; %bb.1072:
	s_cmp_lg_u32 s33, 0
	s_mov_b32 s36, 0
	s_cbranch_scc0 .LBB63_1078
; %bb.1073:
	s_min_u32 s37, s76, 15
	s_add_i32 s37, s37, 1
	s_cmp_eq_u32 s76, 2
	s_cbranch_scc1 .LBB63_1079
; %bb.1074:
	s_and_b32 s36, s37, 28
	s_add_u32 s2, s34, 0xc4
	s_addc_u32 s3, s35, 0
	v_mov_b32_e32 v8, 0
	s_mov_b32 s38, 0
	s_mov_b64 s[6:7], s[34:35]
	v_mov_b32_e32 v6, 0
	v_mov_b32_e32 v0, v11
.LBB63_1075:                            ; =>This Inner Loop Header: Depth=1
	s_load_dwordx8 s[16:23], s[6:7], 0x4
	s_load_dwordx4 s[24:27], s[6:7], 0x24
	s_load_dwordx8 s[8:15], s[2:3], 0x0
	s_add_u32 s6, s6, 48
	s_addc_u32 s7, s7, 0
	s_waitcnt lgkmcnt(0)
	v_mul_hi_u32 v1, s17, v0
	s_add_i32 s38, s38, 4
	s_add_u32 s2, s2, 32
	s_addc_u32 s3, s3, 0
	v_add_u32_e32 v1, v0, v1
	v_lshrrev_b32_e32 v1, s18, v1
	v_mul_lo_u32 v2, v1, s16
	s_waitcnt vmcnt(0)
	v_mul_hi_u32 v3, s20, v1
	s_cmp_lg_u32 s36, s38
	v_sub_u32_e32 v0, v0, v2
	v_add_u32_e32 v2, v1, v3
	v_mul_lo_u32 v3, v0, s8
	v_mul_lo_u32 v4, v0, s9
	v_lshrrev_b32_e32 v0, s21, v2
	v_mul_lo_u32 v2, v0, s19
	v_mul_hi_u32 v5, s23, v0
	v_sub_u32_e32 v1, v1, v2
	v_add_u32_e32 v2, v0, v5
	v_lshrrev_b32_e32 v2, s24, v2
	v_mul_hi_u32 v7, s26, v2
	v_mul_lo_u32 v9, v2, s22
	v_mul_lo_u32 v5, v1, s10
	;; [unrolled: 1-line block ×3, first 2 shown]
	v_sub_u32_e32 v9, v0, v9
	v_add_u32_e32 v0, v2, v7
	v_lshrrev_b32_e32 v0, s27, v0
	v_mul_lo_u32 v7, v0, s25
	v_mul_lo_u32 v10, v9, s12
	;; [unrolled: 1-line block ×3, first 2 shown]
	v_add3_u32 v3, v3, v6, v5
	v_sub_u32_e32 v2, v2, v7
	v_mul_lo_u32 v7, v2, s14
	v_mul_lo_u32 v2, v2, s15
	v_add3_u32 v1, v4, v8, v1
	v_add3_u32 v6, v10, v3, v7
	;; [unrolled: 1-line block ×3, first 2 shown]
	s_cbranch_scc1 .LBB63_1075
; %bb.1076:
	s_and_b32 s8, s37, 3
	s_cmp_eq_u32 s8, 0
	s_cbranch_scc0 .LBB63_1080
	s_branch .LBB63_1082
.LBB63_1077:
                                        ; implicit-def: $vgpr6
                                        ; implicit-def: $vgpr8
	s_branch .LBB63_1083
.LBB63_1078:
	v_mov_b32_e32 v6, 0
	v_mov_b32_e32 v8, 0
	s_branch .LBB63_1082
.LBB63_1079:
	v_mov_b32_e32 v6, 0
	v_mov_b32_e32 v8, 0
	;; [unrolled: 1-line block ×3, first 2 shown]
	s_and_b32 s8, s37, 3
	s_cmp_eq_u32 s8, 0
	s_cbranch_scc1 .LBB63_1082
.LBB63_1080:
	s_lshl_b32 s2, s36, 3
	s_add_u32 s2, s34, s2
	s_addc_u32 s3, s35, 0
	s_add_u32 s2, s2, 0xc4
	s_addc_u32 s3, s3, 0
	s_mul_i32 s6, s36, 12
	s_add_u32 s6, s34, s6
	s_addc_u32 s7, s35, 0
.LBB63_1081:                            ; =>This Inner Loop Header: Depth=1
	s_load_dwordx2 s[10:11], s[6:7], 0x4
	s_load_dword s9, s[6:7], 0xc
	s_load_dwordx2 s[12:13], s[2:3], 0x0
	s_add_u32 s6, s6, 12
	s_addc_u32 s7, s7, 0
	s_waitcnt lgkmcnt(0)
	v_mul_hi_u32 v1, s11, v0
	s_add_u32 s2, s2, 8
	s_addc_u32 s3, s3, 0
	s_add_i32 s8, s8, -1
	v_add_u32_e32 v1, v0, v1
	v_lshrrev_b32_e32 v1, s9, v1
	v_mul_lo_u32 v2, v1, s10
	s_cmp_lg_u32 s8, 0
	v_sub_u32_e32 v0, v0, v2
	v_mad_u64_u32 v[6:7], s[10:11], v0, s12, v[6:7]
	v_mad_u64_u32 v[8:9], s[10:11], v0, s13, v[8:9]
	v_mov_b32_e32 v0, v1
	s_cbranch_scc1 .LBB63_1081
.LBB63_1082:
	s_cbranch_execnz .LBB63_1085
.LBB63_1083:
	s_load_dwordx4 s[8:11], s[34:35], 0x4
	s_load_dwordx2 s[2:3], s[34:35], 0xc4
	s_cmp_lt_u32 s33, 2
	s_waitcnt lgkmcnt(0)
	v_mul_hi_u32 v0, s9, v11
	v_add_u32_e32 v0, v11, v0
	v_lshrrev_b32_e32 v0, s10, v0
	v_mul_lo_u32 v1, v0, s8
	v_sub_u32_e32 v1, v11, v1
	v_mul_lo_u32 v6, v1, s2
	v_mul_lo_u32 v8, v1, s3
	s_cbranch_scc1 .LBB63_1085
; %bb.1084:
	s_load_dwordx4 s[8:11], s[34:35], 0x10
	s_load_dwordx2 s[2:3], s[34:35], 0xcc
	s_waitcnt lgkmcnt(0)
	v_mul_hi_u32 v1, s9, v0
	v_add_u32_e32 v1, v0, v1
	v_lshrrev_b32_e32 v1, s10, v1
	v_mul_lo_u32 v1, v1, s8
	v_sub_u32_e32 v0, v0, v1
	v_mad_u64_u32 v[6:7], s[6:7], v0, s2, v[6:7]
	v_mad_u64_u32 v[8:9], s[2:3], v0, s3, v[8:9]
.LBB63_1085:
	s_and_b64 vcc, exec, s[0:1]
	v_add_u32_e32 v0, 0x80, v11
	s_cbranch_vccnz .LBB63_1091
; %bb.1086:
	s_cmp_lg_u32 s33, 0
	s_mov_b32 s36, 0
	s_cbranch_scc0 .LBB63_1092
; %bb.1087:
	s_min_u32 s37, s76, 15
	s_add_i32 s37, s37, 1
	s_cmp_eq_u32 s76, 2
	s_cbranch_scc1 .LBB63_1093
; %bb.1088:
	s_and_b32 s36, s37, 28
	s_add_u32 s2, s34, 0xc4
	s_addc_u32 s3, s35, 0
	v_mov_b32_e32 v9, 0
	s_mov_b32 s38, 0
	s_mov_b64 s[6:7], s[34:35]
	s_waitcnt vmcnt(0)
	v_mov_b32_e32 v4, 0
	v_mov_b32_e32 v1, v0
.LBB63_1089:                            ; =>This Inner Loop Header: Depth=1
	s_load_dwordx8 s[16:23], s[6:7], 0x4
	s_load_dwordx4 s[24:27], s[6:7], 0x24
	s_load_dwordx8 s[8:15], s[2:3], 0x0
	s_add_u32 s6, s6, 48
	s_addc_u32 s7, s7, 0
	s_waitcnt lgkmcnt(0)
	v_mul_hi_u32 v2, s17, v1
	s_add_i32 s38, s38, 4
	s_add_u32 s2, s2, 32
	s_addc_u32 s3, s3, 0
	v_add_u32_e32 v2, v1, v2
	v_lshrrev_b32_e32 v2, s18, v2
	v_mul_lo_u32 v3, v2, s16
	v_mul_hi_u32 v5, s20, v2
	s_cmp_lg_u32 s36, s38
	v_sub_u32_e32 v1, v1, v3
	v_add_u32_e32 v3, v2, v5
	v_mul_lo_u32 v5, v1, s8
	v_mul_lo_u32 v7, v1, s9
	v_lshrrev_b32_e32 v1, s21, v3
	v_mul_lo_u32 v3, v1, s19
	v_mul_hi_u32 v10, s23, v1
	v_sub_u32_e32 v2, v2, v3
	v_add_u32_e32 v3, v1, v10
	v_lshrrev_b32_e32 v3, s24, v3
	v_mul_hi_u32 v12, s26, v3
	v_mul_lo_u32 v13, v3, s22
	v_mul_lo_u32 v10, v2, s10
	;; [unrolled: 1-line block ×3, first 2 shown]
	v_sub_u32_e32 v13, v1, v13
	v_add_u32_e32 v1, v3, v12
	v_lshrrev_b32_e32 v1, s27, v1
	v_mul_lo_u32 v12, v1, s25
	v_mul_lo_u32 v14, v13, s12
	;; [unrolled: 1-line block ×3, first 2 shown]
	v_add3_u32 v4, v5, v4, v10
	v_sub_u32_e32 v3, v3, v12
	v_mul_lo_u32 v12, v3, s14
	v_mul_lo_u32 v3, v3, s15
	v_add3_u32 v2, v7, v9, v2
	v_add3_u32 v4, v14, v4, v12
	;; [unrolled: 1-line block ×3, first 2 shown]
	s_cbranch_scc1 .LBB63_1089
; %bb.1090:
	s_and_b32 s8, s37, 3
	s_cmp_eq_u32 s8, 0
	s_cbranch_scc0 .LBB63_1094
	s_branch .LBB63_1096
.LBB63_1091:
                                        ; implicit-def: $vgpr4
                                        ; implicit-def: $vgpr9
	s_branch .LBB63_1097
.LBB63_1092:
	s_waitcnt vmcnt(0)
	v_mov_b32_e32 v4, 0
	v_mov_b32_e32 v9, 0
	s_branch .LBB63_1096
.LBB63_1093:
	s_waitcnt vmcnt(0)
	v_mov_b32_e32 v4, 0
	v_mov_b32_e32 v9, 0
	;; [unrolled: 1-line block ×3, first 2 shown]
	s_and_b32 s8, s37, 3
	s_cmp_eq_u32 s8, 0
	s_cbranch_scc1 .LBB63_1096
.LBB63_1094:
	s_lshl_b32 s2, s36, 3
	s_add_u32 s2, s34, s2
	s_addc_u32 s3, s35, 0
	s_add_u32 s2, s2, 0xc4
	s_addc_u32 s3, s3, 0
	s_mul_i32 s6, s36, 12
	s_add_u32 s6, s34, s6
	s_addc_u32 s7, s35, 0
.LBB63_1095:                            ; =>This Inner Loop Header: Depth=1
	s_load_dwordx2 s[10:11], s[6:7], 0x4
	s_load_dword s9, s[6:7], 0xc
	s_load_dwordx2 s[12:13], s[2:3], 0x0
	s_add_u32 s6, s6, 12
	s_addc_u32 s7, s7, 0
	s_waitcnt lgkmcnt(0)
	v_mul_hi_u32 v2, s11, v1
	s_add_u32 s2, s2, 8
	s_addc_u32 s3, s3, 0
	s_add_i32 s8, s8, -1
	v_add_u32_e32 v2, v1, v2
	v_lshrrev_b32_e32 v2, s9, v2
	v_mul_lo_u32 v3, v2, s10
	s_cmp_lg_u32 s8, 0
	v_sub_u32_e32 v1, v1, v3
	v_mad_u64_u32 v[4:5], s[10:11], v1, s12, v[4:5]
	v_mad_u64_u32 v[9:10], s[10:11], v1, s13, v[9:10]
	v_mov_b32_e32 v1, v2
	s_cbranch_scc1 .LBB63_1095
.LBB63_1096:
	s_cbranch_execnz .LBB63_1099
.LBB63_1097:
	s_load_dwordx4 s[8:11], s[34:35], 0x4
	s_load_dwordx2 s[2:3], s[34:35], 0xc4
	s_cmp_lt_u32 s33, 2
	s_waitcnt lgkmcnt(0)
	v_mul_hi_u32 v1, s9, v0
	v_add_u32_e32 v1, v0, v1
	v_lshrrev_b32_e32 v1, s10, v1
	v_mul_lo_u32 v2, v1, s8
	v_sub_u32_e32 v0, v0, v2
	s_waitcnt vmcnt(0)
	v_mul_lo_u32 v4, v0, s2
	v_mul_lo_u32 v9, v0, s3
	s_cbranch_scc1 .LBB63_1099
; %bb.1098:
	s_load_dwordx4 s[8:11], s[34:35], 0x10
	s_load_dwordx2 s[2:3], s[34:35], 0xcc
	s_waitcnt lgkmcnt(0)
	v_mul_hi_u32 v0, s9, v1
	v_add_u32_e32 v0, v1, v0
	v_lshrrev_b32_e32 v0, s10, v0
	v_mul_lo_u32 v0, v0, s8
	v_sub_u32_e32 v0, v1, v0
	v_mad_u64_u32 v[4:5], s[6:7], v0, s2, v[4:5]
	v_mad_u64_u32 v[9:10], s[2:3], v0, s3, v[9:10]
.LBB63_1099:
	s_and_b64 vcc, exec, s[0:1]
	v_add_u32_e32 v0, 0x100, v11
	s_cbranch_vccnz .LBB63_1105
; %bb.1100:
	s_cmp_lg_u32 s33, 0
	s_mov_b32 s36, 0
	s_cbranch_scc0 .LBB63_1106
; %bb.1101:
	s_min_u32 s37, s76, 15
	s_add_i32 s37, s37, 1
	s_cmp_eq_u32 s76, 2
	s_cbranch_scc1 .LBB63_1107
; %bb.1102:
	s_and_b32 s36, s37, 28
	s_add_u32 s2, s34, 0xc4
	s_addc_u32 s3, s35, 0
	v_mov_b32_e32 v13, 0
	s_mov_b32 s38, 0
	s_mov_b64 s[6:7], s[34:35]
	v_mov_b32_e32 v2, 0
	v_mov_b32_e32 v1, v0
.LBB63_1103:                            ; =>This Inner Loop Header: Depth=1
	s_load_dwordx8 s[16:23], s[6:7], 0x4
	s_load_dwordx4 s[24:27], s[6:7], 0x24
	s_load_dwordx8 s[8:15], s[2:3], 0x0
	s_add_u32 s6, s6, 48
	s_addc_u32 s7, s7, 0
	s_waitcnt vmcnt(0) lgkmcnt(0)
	v_mul_hi_u32 v3, s17, v1
	s_add_i32 s38, s38, 4
	s_add_u32 s2, s2, 32
	s_addc_u32 s3, s3, 0
	v_add_u32_e32 v3, v1, v3
	v_lshrrev_b32_e32 v3, s18, v3
	v_mul_lo_u32 v5, v3, s16
	v_mul_hi_u32 v7, s20, v3
	s_cmp_lg_u32 s36, s38
	v_sub_u32_e32 v1, v1, v5
	v_add_u32_e32 v5, v3, v7
	v_mul_lo_u32 v7, v1, s8
	v_mul_lo_u32 v10, v1, s9
	v_lshrrev_b32_e32 v1, s21, v5
	v_mul_lo_u32 v5, v1, s19
	v_mul_hi_u32 v11, s23, v1
	v_sub_u32_e32 v3, v3, v5
	v_add_u32_e32 v5, v1, v11
	v_lshrrev_b32_e32 v5, s24, v5
	v_mul_hi_u32 v12, s26, v5
	v_mul_lo_u32 v14, v5, s22
	v_mul_lo_u32 v11, v3, s10
	;; [unrolled: 1-line block ×3, first 2 shown]
	v_sub_u32_e32 v14, v1, v14
	v_add_u32_e32 v1, v5, v12
	v_lshrrev_b32_e32 v1, s27, v1
	v_mul_lo_u32 v12, v1, s25
	v_mul_lo_u32 v16, v14, s12
	;; [unrolled: 1-line block ×3, first 2 shown]
	v_add3_u32 v2, v7, v2, v11
	v_sub_u32_e32 v5, v5, v12
	v_mul_lo_u32 v12, v5, s14
	v_mul_lo_u32 v5, v5, s15
	v_add3_u32 v3, v10, v13, v3
	v_add3_u32 v2, v16, v2, v12
	;; [unrolled: 1-line block ×3, first 2 shown]
	s_cbranch_scc1 .LBB63_1103
; %bb.1104:
	s_and_b32 s8, s37, 3
	s_cmp_eq_u32 s8, 0
	s_cbranch_scc0 .LBB63_1108
	s_branch .LBB63_1110
.LBB63_1105:
                                        ; implicit-def: $vgpr2
                                        ; implicit-def: $vgpr13
	s_branch .LBB63_1111
.LBB63_1106:
	v_mov_b32_e32 v2, 0
	v_mov_b32_e32 v13, 0
	s_branch .LBB63_1110
.LBB63_1107:
	v_mov_b32_e32 v2, 0
	v_mov_b32_e32 v13, 0
	;; [unrolled: 1-line block ×3, first 2 shown]
	s_and_b32 s8, s37, 3
	s_cmp_eq_u32 s8, 0
	s_cbranch_scc1 .LBB63_1110
.LBB63_1108:
	s_lshl_b32 s2, s36, 3
	s_add_u32 s2, s34, s2
	s_addc_u32 s3, s35, 0
	s_add_u32 s2, s2, 0xc4
	s_addc_u32 s3, s3, 0
	s_mul_i32 s6, s36, 12
	s_add_u32 s6, s34, s6
	s_addc_u32 s7, s35, 0
.LBB63_1109:                            ; =>This Inner Loop Header: Depth=1
	s_load_dwordx2 s[10:11], s[6:7], 0x4
	s_load_dword s9, s[6:7], 0xc
	s_load_dwordx2 s[12:13], s[2:3], 0x0
	s_add_u32 s6, s6, 12
	s_addc_u32 s7, s7, 0
	s_waitcnt vmcnt(0) lgkmcnt(0)
	v_mul_hi_u32 v3, s11, v1
	s_add_u32 s2, s2, 8
	s_addc_u32 s3, s3, 0
	s_add_i32 s8, s8, -1
	v_add_u32_e32 v3, v1, v3
	v_lshrrev_b32_e32 v5, s9, v3
	v_mul_lo_u32 v3, v5, s10
	s_cmp_lg_u32 s8, 0
	v_sub_u32_e32 v1, v1, v3
	v_mad_u64_u32 v[2:3], s[10:11], v1, s12, v[2:3]
	v_mad_u64_u32 v[13:14], s[10:11], v1, s13, v[13:14]
	v_mov_b32_e32 v1, v5
	s_cbranch_scc1 .LBB63_1109
.LBB63_1110:
	s_cbranch_execnz .LBB63_1113
.LBB63_1111:
	s_load_dwordx4 s[8:11], s[34:35], 0x4
	s_load_dwordx2 s[2:3], s[34:35], 0xc4
	s_cmp_lt_u32 s33, 2
	s_waitcnt lgkmcnt(0)
	v_mul_hi_u32 v1, s9, v0
	v_add_u32_e32 v1, v0, v1
	v_lshrrev_b32_e32 v1, s10, v1
	v_mul_lo_u32 v2, v1, s8
	v_sub_u32_e32 v0, v0, v2
	v_mul_lo_u32 v2, v0, s2
	v_mul_lo_u32 v13, v0, s3
	s_cbranch_scc1 .LBB63_1113
; %bb.1112:
	s_load_dwordx4 s[8:11], s[34:35], 0x10
	s_load_dwordx2 s[2:3], s[34:35], 0xcc
	s_waitcnt lgkmcnt(0)
	v_mul_hi_u32 v0, s9, v1
	v_add_u32_e32 v0, v1, v0
	v_lshrrev_b32_e32 v0, s10, v0
	v_mul_lo_u32 v0, v0, s8
	v_sub_u32_e32 v0, v1, v0
	s_waitcnt vmcnt(0)
	v_mad_u64_u32 v[2:3], s[6:7], v0, s2, v[2:3]
	v_mad_u64_u32 v[13:14], s[2:3], v0, s3, v[13:14]
.LBB63_1113:
	s_and_b64 vcc, exec, s[0:1]
	s_cbranch_vccnz .LBB63_1119
; %bb.1114:
	s_cmp_lg_u32 s33, 0
	s_mov_b32 s26, 0
	s_cbranch_scc0 .LBB63_1120
; %bb.1115:
	s_min_u32 s27, s76, 15
	s_add_i32 s27, s27, 1
	s_cmp_eq_u32 s76, 2
	s_cbranch_scc1 .LBB63_1121
; %bb.1116:
	s_and_b32 s26, s27, 28
	s_add_u32 s6, s34, 0xc4
	s_addc_u32 s7, s35, 0
	v_mov_b32_e32 v11, 0
	s_mov_b32 s36, 0
	s_mov_b64 s[24:25], s[34:35]
	v_mov_b32_e32 v0, 0
	v_mov_b32_e32 v1, v15
.LBB63_1117:                            ; =>This Inner Loop Header: Depth=1
	s_load_dwordx8 s[16:23], s[24:25], 0x4
	s_load_dwordx4 s[0:3], s[24:25], 0x24
	s_load_dwordx8 s[8:15], s[6:7], 0x0
	s_add_u32 s24, s24, 48
	s_addc_u32 s25, s25, 0
	s_waitcnt vmcnt(0) lgkmcnt(0)
	v_mul_hi_u32 v3, s17, v1
	s_add_i32 s36, s36, 4
	s_add_u32 s6, s6, 32
	s_addc_u32 s7, s7, 0
	v_add_u32_e32 v3, v1, v3
	v_lshrrev_b32_e32 v3, s18, v3
	v_mul_lo_u32 v5, v3, s16
	v_mul_hi_u32 v7, s20, v3
	s_cmp_lg_u32 s26, s36
	v_sub_u32_e32 v1, v1, v5
	v_add_u32_e32 v5, v3, v7
	v_mul_lo_u32 v7, v1, s8
	v_mul_lo_u32 v10, v1, s9
	v_lshrrev_b32_e32 v1, s21, v5
	v_mul_lo_u32 v5, v1, s19
	v_mul_hi_u32 v12, s23, v1
	v_sub_u32_e32 v3, v3, v5
	v_add_u32_e32 v5, v1, v12
	v_lshrrev_b32_e32 v5, s0, v5
	v_mul_hi_u32 v14, s2, v5
	v_mul_lo_u32 v16, v5, s22
	v_mul_lo_u32 v12, v3, s10
	;; [unrolled: 1-line block ×3, first 2 shown]
	v_sub_u32_e32 v16, v1, v16
	v_add_u32_e32 v1, v5, v14
	v_lshrrev_b32_e32 v1, s3, v1
	v_mul_lo_u32 v14, v1, s1
	v_mul_lo_u32 v17, v16, s12
	;; [unrolled: 1-line block ×3, first 2 shown]
	v_add3_u32 v0, v7, v0, v12
	v_sub_u32_e32 v5, v5, v14
	v_mul_lo_u32 v14, v5, s14
	v_mul_lo_u32 v5, v5, s15
	v_add3_u32 v3, v10, v11, v3
	v_add3_u32 v0, v17, v0, v14
	;; [unrolled: 1-line block ×3, first 2 shown]
	s_cbranch_scc1 .LBB63_1117
; %bb.1118:
	s_and_b32 s6, s27, 3
	s_cmp_eq_u32 s6, 0
	s_cbranch_scc0 .LBB63_1122
	s_branch .LBB63_1124
.LBB63_1119:
                                        ; implicit-def: $vgpr0
                                        ; implicit-def: $vgpr11
	s_branch .LBB63_1125
.LBB63_1120:
	v_mov_b32_e32 v0, 0
	v_mov_b32_e32 v11, 0
	s_branch .LBB63_1124
.LBB63_1121:
	v_mov_b32_e32 v0, 0
	v_mov_b32_e32 v11, 0
	;; [unrolled: 1-line block ×3, first 2 shown]
	s_and_b32 s6, s27, 3
	s_cmp_eq_u32 s6, 0
	s_cbranch_scc1 .LBB63_1124
.LBB63_1122:
	s_lshl_b32 s0, s26, 3
	s_add_u32 s0, s34, s0
	s_addc_u32 s1, s35, 0
	s_add_u32 s0, s0, 0xc4
	s_addc_u32 s1, s1, 0
	s_mul_i32 s2, s26, 12
	s_add_u32 s2, s34, s2
	s_addc_u32 s3, s35, 0
.LBB63_1123:                            ; =>This Inner Loop Header: Depth=1
	s_load_dwordx2 s[8:9], s[2:3], 0x4
	s_load_dword s7, s[2:3], 0xc
	s_load_dwordx2 s[10:11], s[0:1], 0x0
	s_add_u32 s2, s2, 12
	s_addc_u32 s3, s3, 0
	s_waitcnt vmcnt(0) lgkmcnt(0)
	v_mul_hi_u32 v3, s9, v1
	s_add_u32 s0, s0, 8
	s_addc_u32 s1, s1, 0
	s_add_i32 s6, s6, -1
	v_add_u32_e32 v3, v1, v3
	v_lshrrev_b32_e32 v3, s7, v3
	v_mul_lo_u32 v5, v3, s8
	s_cmp_lg_u32 s6, 0
	v_sub_u32_e32 v5, v1, v5
	v_mad_u64_u32 v[0:1], s[8:9], v5, s10, v[0:1]
	v_mad_u64_u32 v[11:12], s[8:9], v5, s11, v[11:12]
	v_mov_b32_e32 v1, v3
	s_cbranch_scc1 .LBB63_1123
.LBB63_1124:
	s_cbranch_execnz .LBB63_1127
.LBB63_1125:
	s_load_dwordx4 s[0:3], s[34:35], 0x4
	s_load_dwordx2 s[6:7], s[34:35], 0xc4
	s_cmp_lt_u32 s33, 2
	s_waitcnt lgkmcnt(0)
	v_mul_hi_u32 v0, s1, v15
	v_add_u32_e32 v0, v15, v0
	v_lshrrev_b32_e32 v1, s2, v0
	v_mul_lo_u32 v0, v1, s0
	s_waitcnt vmcnt(0)
	v_sub_u32_e32 v3, v15, v0
	v_mul_lo_u32 v0, v3, s6
	v_mul_lo_u32 v11, v3, s7
	s_cbranch_scc1 .LBB63_1127
; %bb.1126:
	s_load_dwordx4 s[0:3], s[34:35], 0x10
	s_load_dwordx2 s[6:7], s[34:35], 0xcc
	s_waitcnt lgkmcnt(0)
	v_mul_hi_u32 v3, s1, v1
	v_add_u32_e32 v3, v1, v3
	v_lshrrev_b32_e32 v3, s2, v3
	v_mul_lo_u32 v3, v3, s0
	v_sub_u32_e32 v3, v1, v3
	v_mad_u64_u32 v[0:1], s[0:1], v3, s6, v[0:1]
	v_mad_u64_u32 v[11:12], s[0:1], v3, s7, v[11:12]
.LBB63_1127:
	s_load_dwordx4 s[8:11], s[34:35], 0x148
	s_load_dword s12, s[4:5], 0x170
	s_waitcnt lgkmcnt(0)
	v_mov_b32_e32 v1, s11
	s_bfe_u32 s13, s12, 0x80008
	v_add_co_u32_e32 v14, vcc, s10, v8
	s_cmp_lt_i32 s13, 11
	v_addc_co_u32_e32 v15, vcc, 0, v1, vcc
	s_cbranch_scc1 .LBB63_1134
; %bb.1128:
	s_and_b32 s14, 0xffff, s13
	s_cmp_gt_i32 s14, 25
	s_mov_b64 s[4:5], 0
	s_cbranch_scc0 .LBB63_1136
; %bb.1129:
	s_cmp_gt_i32 s14, 28
	s_cbranch_scc0 .LBB63_1137
; %bb.1130:
	s_cmp_gt_i32 s14, 43
	;; [unrolled: 3-line block ×3, first 2 shown]
	s_cbranch_scc0 .LBB63_1139
; %bb.1132:
	s_cmp_eq_u32 s14, 46
	s_mov_b64 s[2:3], 0
	s_cbranch_scc0 .LBB63_1142
; %bb.1133:
	global_load_dword v1, v[14:15], off
	s_mov_b32 s0, 0x2f800000
	s_mov_b32 s1, 0xcf800000
	s_mov_b64 s[6:7], -1
	s_waitcnt vmcnt(0)
	v_lshlrev_b32_e32 v1, 16, v1
	v_trunc_f32_e32 v1, v1
	v_mul_f32_e64 v3, |v1|, s0
	v_floor_f32_e32 v3, v3
	v_fma_f32 v5, v3, s1, |v1|
	v_cvt_u32_f32_e32 v5, v5
	v_cvt_u32_f32_e32 v3, v3
	v_ashrrev_i32_e32 v1, 31, v1
	s_mov_b64 s[0:1], 0
	v_xor_b32_e32 v5, v5, v1
	v_xor_b32_e32 v3, v3, v1
	v_sub_co_u32_e32 v7, vcc, v5, v1
	v_subb_co_u32_e32 v8, vcc, v3, v1, vcc
	s_branch .LBB63_1143
.LBB63_1134:
	s_mov_b64 s[6:7], 0
                                        ; implicit-def: $vgpr7_vgpr8
	s_mov_b64 s[2:3], s[28:29]
	s_cbranch_execnz .LBB63_1201
.LBB63_1135:
	s_andn2_b64 vcc, exec, s[6:7]
	s_cbranch_vccz .LBB63_1246
	s_branch .LBB63_2055
.LBB63_1136:
	s_mov_b64 s[6:7], 0
	s_mov_b64 s[0:1], 0
                                        ; implicit-def: $vgpr7_vgpr8
	s_cbranch_execnz .LBB63_1170
	s_branch .LBB63_1197
.LBB63_1137:
	s_mov_b64 s[6:7], 0
	s_mov_b64 s[0:1], 0
                                        ; implicit-def: $vgpr7_vgpr8
	s_cbranch_execz .LBB63_1169
	s_branch .LBB63_1152
.LBB63_1138:
	s_mov_b64 s[6:7], 0
	s_mov_b64 s[0:1], 0
                                        ; implicit-def: $vgpr7_vgpr8
	s_cbranch_execnz .LBB63_1148
	s_branch .LBB63_1151
.LBB63_1139:
	s_mov_b64 s[2:3], -1
	s_mov_b64 s[6:7], 0
	s_mov_b64 s[0:1], 0
                                        ; implicit-def: $vgpr7_vgpr8
	s_branch .LBB63_1143
.LBB63_1140:
	s_andn2_saveexec_b64 s[16:17], s[16:17]
	s_cbranch_execz .LBB63_979
.LBB63_1141:
	v_add_f32_e32 v0, 0x46000000, v3
	v_and_b32_e32 v0, 0xff, v0
	v_cmp_ne_u32_e32 vcc, 0, v0
	s_andn2_b64 s[14:15], s[14:15], exec
	s_and_b64 s[18:19], vcc, exec
	s_or_b64 s[14:15], s[14:15], s[18:19]
	s_or_b64 exec, exec, s[16:17]
	v_mov_b32_e32 v4, 0
	s_and_saveexec_b64 s[16:17], s[14:15]
	s_cbranch_execnz .LBB63_980
	s_branch .LBB63_981
.LBB63_1142:
	s_mov_b64 s[0:1], -1
                                        ; implicit-def: $vgpr7_vgpr8
	s_mov_b64 s[6:7], 0
.LBB63_1143:
	s_and_b64 vcc, exec, s[2:3]
	s_cbranch_vccz .LBB63_1146
; %bb.1144:
	s_cmp_eq_u32 s14, 44
	s_cbranch_scc0 .LBB63_1147
; %bb.1145:
	global_load_ubyte v1, v[14:15], off
	s_mov_b32 s0, 0x2f800000
	s_mov_b32 s1, 0xcf800000
	s_mov_b64 s[6:7], -1
	s_waitcnt vmcnt(0)
	v_lshlrev_b32_e32 v3, 23, v1
	v_trunc_f32_e32 v3, v3
	v_mul_f32_e64 v5, |v3|, s0
	v_floor_f32_e32 v5, v5
	v_fma_f32 v7, v5, s1, |v3|
	v_cvt_u32_f32_e32 v7, v7
	v_cvt_u32_f32_e32 v5, v5
	v_ashrrev_i32_e32 v3, 31, v3
	s_mov_b64 s[0:1], 0
	v_xor_b32_e32 v7, v7, v3
	v_xor_b32_e32 v5, v5, v3
	v_sub_co_u32_e32 v7, vcc, v7, v3
	v_subb_co_u32_e32 v3, vcc, v5, v3, vcc
	v_cmp_ne_u32_e32 vcc, 0, v1
	v_cndmask_b32_e32 v8, 0, v3, vcc
	v_cndmask_b32_e32 v7, 0, v7, vcc
.LBB63_1146:
	s_branch .LBB63_1151
.LBB63_1147:
	s_mov_b64 s[0:1], -1
                                        ; implicit-def: $vgpr7_vgpr8
	s_branch .LBB63_1151
.LBB63_1148:
	s_cmp_eq_u32 s14, 29
	s_cbranch_scc0 .LBB63_1150
; %bb.1149:
	global_load_dwordx2 v[7:8], v[14:15], off
	s_mov_b64 s[0:1], 0
	s_mov_b64 s[6:7], -1
	s_branch .LBB63_1151
.LBB63_1150:
	s_mov_b64 s[0:1], -1
                                        ; implicit-def: $vgpr7_vgpr8
.LBB63_1151:
	s_branch .LBB63_1169
.LBB63_1152:
	s_cmp_lt_i32 s14, 27
	s_cbranch_scc1 .LBB63_1155
; %bb.1153:
	s_cmp_gt_i32 s14, 27
	s_cbranch_scc0 .LBB63_1156
; %bb.1154:
	global_load_dword v7, v[14:15], off
	s_waitcnt vmcnt(1)
	v_mov_b32_e32 v8, 0
	s_mov_b64 s[2:3], 0
	s_branch .LBB63_1157
.LBB63_1155:
	s_mov_b64 s[2:3], -1
                                        ; implicit-def: $vgpr7_vgpr8
	s_branch .LBB63_1160
.LBB63_1156:
	s_mov_b64 s[2:3], -1
                                        ; implicit-def: $vgpr7_vgpr8
.LBB63_1157:
	s_andn2_b64 vcc, exec, s[2:3]
	s_cbranch_vccnz .LBB63_1159
; %bb.1158:
	global_load_ushort v1, v[14:15], off
	s_mov_b32 s2, 0
	s_waitcnt vmcnt(1)
	v_mov_b32_e32 v8, s2
	s_waitcnt vmcnt(0)
	v_and_b32_e32 v7, 0xffff, v1
.LBB63_1159:
	s_mov_b64 s[2:3], 0
.LBB63_1160:
	s_andn2_b64 vcc, exec, s[2:3]
	s_cbranch_vccnz .LBB63_1168
; %bb.1161:
	global_load_ubyte v1, v[14:15], off
	s_movk_i32 s2, 0x7f
	s_mov_b64 s[6:7], 0
	s_waitcnt vmcnt(0)
	v_cmp_lt_i16_e32 vcc, s2, v1
	s_and_saveexec_b64 s[2:3], vcc
	s_xor_b64 s[2:3], exec, s[2:3]
; %bb.1162:
	s_movk_i32 s6, 0x80
	v_cmp_ne_u16_e32 vcc, s6, v1
	s_and_b64 s[6:7], vcc, exec
; %bb.1163:
	s_andn2_saveexec_b64 s[2:3], s[2:3]
; %bb.1164:
	v_cmp_ne_u16_e32 vcc, 0, v1
	s_andn2_b64 s[6:7], s[6:7], exec
	s_and_b64 s[16:17], vcc, exec
	s_or_b64 s[6:7], s[6:7], s[16:17]
; %bb.1165:
	s_or_b64 exec, exec, s[2:3]
	v_mov_b32_e32 v7, 0
	v_mov_b32_e32 v8, 0
	s_and_saveexec_b64 s[2:3], s[6:7]
	s_cbranch_execz .LBB63_1167
; %bb.1166:
	v_lshlrev_b32_e32 v3, 24, v1
	v_and_b32_e32 v1, 0xffff, v1
	v_and_b32_e32 v5, 7, v1
	v_ffbh_u32_e32 v8, v5
	v_min_u32_e32 v8, 32, v8
	v_subrev_u32_e32 v10, 28, v8
	v_bfe_u32 v7, v1, 3, 4
	v_lshlrev_b32_e32 v1, v10, v1
	v_sub_u32_e32 v8, 29, v8
	v_and_b32_e32 v1, 7, v1
	v_cmp_eq_u32_e32 vcc, 0, v7
	v_cndmask_b32_e32 v7, v7, v8, vcc
	v_cndmask_b32_e32 v1, v5, v1, vcc
	v_mov_b32_e32 v5, 0x3b800000
	v_lshlrev_b32_e32 v1, 20, v1
	v_and_b32_e32 v3, 0x80000000, v3
	v_lshl_add_u32 v5, v7, 23, v5
	v_or3_b32 v1, v3, v5, v1
	v_trunc_f32_e32 v1, v1
	s_mov_b32 s6, 0x2f800000
	v_mul_f32_e64 v3, |v1|, s6
	v_floor_f32_e32 v3, v3
	s_mov_b32 s6, 0xcf800000
	v_fma_f32 v5, v3, s6, |v1|
	v_cvt_u32_f32_e32 v5, v5
	v_cvt_u32_f32_e32 v3, v3
	v_ashrrev_i32_e32 v1, 31, v1
	v_xor_b32_e32 v5, v5, v1
	v_xor_b32_e32 v3, v3, v1
	v_sub_co_u32_e32 v7, vcc, v5, v1
	v_subb_co_u32_e32 v8, vcc, v3, v1, vcc
.LBB63_1167:
	s_or_b64 exec, exec, s[2:3]
.LBB63_1168:
	s_mov_b64 s[6:7], -1
.LBB63_1169:
	s_branch .LBB63_1197
.LBB63_1170:
	s_cmp_gt_i32 s14, 22
	s_cbranch_scc0 .LBB63_1180
; %bb.1171:
	s_cmp_lt_i32 s14, 24
	s_cbranch_scc1 .LBB63_1181
; %bb.1172:
	s_cmp_gt_i32 s14, 24
	s_cbranch_scc0 .LBB63_1182
; %bb.1173:
	global_load_ubyte v1, v[14:15], off
	s_movk_i32 s2, 0x7f
	s_waitcnt vmcnt(0)
	v_cmp_lt_i16_e32 vcc, s2, v1
	s_and_saveexec_b64 s[2:3], vcc
	s_xor_b64 s[2:3], exec, s[2:3]
; %bb.1174:
	s_movk_i32 s4, 0x80
	v_cmp_ne_u16_e32 vcc, s4, v1
	s_and_b64 s[4:5], vcc, exec
; %bb.1175:
	s_andn2_saveexec_b64 s[2:3], s[2:3]
; %bb.1176:
	v_cmp_ne_u16_e32 vcc, 0, v1
	s_andn2_b64 s[4:5], s[4:5], exec
	s_and_b64 s[6:7], vcc, exec
	s_or_b64 s[4:5], s[4:5], s[6:7]
; %bb.1177:
	s_or_b64 exec, exec, s[2:3]
	v_mov_b32_e32 v7, 0
	v_mov_b32_e32 v8, 0
	s_and_saveexec_b64 s[2:3], s[4:5]
	s_cbranch_execz .LBB63_1179
; %bb.1178:
	v_lshlrev_b32_e32 v3, 24, v1
	v_and_b32_e32 v1, 0xffff, v1
	v_and_b32_e32 v5, 3, v1
	v_ffbh_u32_e32 v8, v5
	v_min_u32_e32 v8, 32, v8
	v_subrev_u32_e32 v10, 29, v8
	v_bfe_u32 v7, v1, 2, 5
	v_lshlrev_b32_e32 v1, v10, v1
	v_sub_u32_e32 v8, 30, v8
	v_and_b32_e32 v1, 3, v1
	v_cmp_eq_u32_e32 vcc, 0, v7
	v_cndmask_b32_e32 v7, v7, v8, vcc
	v_cndmask_b32_e32 v1, v5, v1, vcc
	v_mov_b32_e32 v5, 0x37800000
	v_lshlrev_b32_e32 v1, 21, v1
	v_and_b32_e32 v3, 0x80000000, v3
	v_lshl_add_u32 v5, v7, 23, v5
	v_or3_b32 v1, v3, v5, v1
	v_trunc_f32_e32 v1, v1
	s_mov_b32 s4, 0x2f800000
	v_mul_f32_e64 v3, |v1|, s4
	v_floor_f32_e32 v3, v3
	s_mov_b32 s4, 0xcf800000
	v_fma_f32 v5, v3, s4, |v1|
	v_cvt_u32_f32_e32 v5, v5
	v_cvt_u32_f32_e32 v3, v3
	v_ashrrev_i32_e32 v1, 31, v1
	v_xor_b32_e32 v5, v5, v1
	v_xor_b32_e32 v3, v3, v1
	v_sub_co_u32_e32 v7, vcc, v5, v1
	v_subb_co_u32_e32 v8, vcc, v3, v1, vcc
.LBB63_1179:
	s_or_b64 exec, exec, s[2:3]
	s_mov_b64 s[2:3], 0
	s_branch .LBB63_1183
.LBB63_1180:
                                        ; implicit-def: $vgpr7_vgpr8
	s_mov_b64 s[4:5], 0
	s_branch .LBB63_1189
.LBB63_1181:
	s_mov_b64 s[2:3], -1
                                        ; implicit-def: $vgpr7_vgpr8
	s_branch .LBB63_1186
.LBB63_1182:
	s_mov_b64 s[2:3], -1
                                        ; implicit-def: $vgpr7_vgpr8
.LBB63_1183:
	s_and_b64 vcc, exec, s[2:3]
	s_cbranch_vccz .LBB63_1185
; %bb.1184:
	global_load_ubyte v1, v[14:15], off
	s_mov_b32 s2, 0x7f800000
	s_brev_b32 s3, 1
	s_mov_b32 s4, 0x2f800000
	s_mov_b32 s5, 0xcf800000
	s_waitcnt vmcnt(0)
	v_lshlrev_b32_e32 v1, 24, v1
	v_and_b32_e32 v3, 0x7f000000, v1
	v_ffbh_u32_e32 v5, v3
	v_min_u32_e32 v5, 32, v5
	v_sub_u32_e64 v5, v5, 4 clamp
	v_lshlrev_b32_e32 v8, v5, v3
	v_lshlrev_b32_e32 v5, 23, v5
	v_lshrrev_b32_e32 v8, 4, v8
	v_add_u32_e32 v7, 0x1000000, v3
	v_sub_u32_e32 v5, v8, v5
	v_ashrrev_i32_e32 v7, 8, v7
	v_add_u32_e32 v5, 0x3c000000, v5
	v_and_or_b32 v5, v7, s2, v5
	v_cmp_ne_u32_e32 vcc, 0, v3
	v_cndmask_b32_e32 v3, 0, v5, vcc
	v_and_or_b32 v1, v1, s3, v3
	v_trunc_f32_e32 v1, v1
	v_mul_f32_e64 v3, |v1|, s4
	v_floor_f32_e32 v3, v3
	v_fma_f32 v5, v3, s5, |v1|
	v_cvt_u32_f32_e32 v5, v5
	v_cvt_u32_f32_e32 v3, v3
	v_ashrrev_i32_e32 v1, 31, v1
	v_xor_b32_e32 v5, v5, v1
	v_xor_b32_e32 v3, v3, v1
	v_sub_co_u32_e32 v7, vcc, v5, v1
	v_subb_co_u32_e32 v8, vcc, v3, v1, vcc
.LBB63_1185:
	s_mov_b64 s[2:3], 0
.LBB63_1186:
	s_andn2_b64 vcc, exec, s[2:3]
	s_cbranch_vccnz .LBB63_1188
; %bb.1187:
	global_load_ubyte v1, v[14:15], off
	s_movk_i32 s2, 0x7f00
	s_brev_b32 s3, 16
	s_brev_b32 s4, 1
	s_mov_b32 s5, 0x2f800000
	s_mov_b32 s6, 0xcf800000
	s_waitcnt vmcnt(0)
	v_lshlrev_b16_e32 v3, 8, v1
	v_lshlrev_b32_e32 v1, 25, v1
	v_lshrrev_b32_e32 v5, 4, v1
	v_and_or_b32 v7, v3, s2, 0.5
	v_or_b32_e32 v5, 0x70000000, v5
	v_add_f32_e32 v7, -0.5, v7
	v_mul_f32_e32 v5, 0x7800000, v5
	v_cmp_gt_u32_e32 vcc, s3, v1
	v_bfe_i32 v3, v3, 0, 16
	v_cndmask_b32_e32 v1, v5, v7, vcc
	v_and_or_b32 v1, v3, s4, v1
	v_trunc_f32_e32 v1, v1
	v_mul_f32_e64 v3, |v1|, s5
	v_floor_f32_e32 v3, v3
	v_fma_f32 v5, v3, s6, |v1|
	v_cvt_u32_f32_e32 v5, v5
	v_cvt_u32_f32_e32 v3, v3
	v_ashrrev_i32_e32 v1, 31, v1
	v_xor_b32_e32 v5, v5, v1
	v_xor_b32_e32 v3, v3, v1
	v_sub_co_u32_e32 v7, vcc, v5, v1
	v_subb_co_u32_e32 v8, vcc, v3, v1, vcc
.LBB63_1188:
	s_mov_b64 s[6:7], -1
	s_mov_b64 s[4:5], 0
	s_cbranch_execnz .LBB63_1197
.LBB63_1189:
	s_cmp_gt_i32 s14, 14
	s_cbranch_scc0 .LBB63_1192
; %bb.1190:
	s_cmp_eq_u32 s14, 15
	s_cbranch_scc0 .LBB63_1193
; %bb.1191:
	global_load_ushort v1, v[14:15], off
	s_mov_b32 s0, 0x2f800000
	s_mov_b32 s1, 0xcf800000
	s_mov_b64 s[6:7], -1
	s_waitcnt vmcnt(0)
	v_lshlrev_b32_e32 v1, 16, v1
	v_trunc_f32_e32 v1, v1
	v_mul_f32_e64 v3, |v1|, s0
	v_floor_f32_e32 v3, v3
	v_fma_f32 v5, v3, s1, |v1|
	v_cvt_u32_f32_e32 v5, v5
	v_cvt_u32_f32_e32 v3, v3
	v_ashrrev_i32_e32 v1, 31, v1
	s_mov_b64 s[0:1], 0
	v_xor_b32_e32 v5, v5, v1
	v_xor_b32_e32 v3, v3, v1
	v_sub_co_u32_e32 v7, vcc, v5, v1
	v_subb_co_u32_e32 v8, vcc, v3, v1, vcc
	s_branch .LBB63_1194
.LBB63_1192:
	s_mov_b64 s[2:3], -1
                                        ; implicit-def: $vgpr7_vgpr8
	s_branch .LBB63_1195
.LBB63_1193:
	s_mov_b64 s[0:1], -1
                                        ; implicit-def: $vgpr7_vgpr8
.LBB63_1194:
	s_mov_b64 s[2:3], 0
.LBB63_1195:
	s_and_b64 vcc, exec, s[2:3]
	s_cbranch_vccz .LBB63_1197
; %bb.1196:
	s_cmp_lg_u32 s14, 11
	s_mov_b64 s[4:5], -1
	s_cselect_b64 s[0:1], -1, 0
.LBB63_1197:
	s_and_b64 vcc, exec, s[0:1]
	s_mov_b64 s[2:3], s[28:29]
	s_cbranch_vccnz .LBB63_1258
; %bb.1198:
	s_andn2_b64 vcc, exec, s[4:5]
	s_cbranch_vccnz .LBB63_1200
.LBB63_1199:
	global_load_ubyte v1, v[14:15], off
	s_mov_b32 s0, 0
	s_waitcnt vmcnt(1)
	v_mov_b32_e32 v8, s0
	s_mov_b64 s[6:7], -1
	s_waitcnt vmcnt(0)
	v_cmp_ne_u16_e32 vcc, 0, v1
	v_cndmask_b32_e64 v7, 0, 1, vcc
.LBB63_1200:
	s_branch .LBB63_1135
.LBB63_1201:
	s_and_b32 s4, 0xffff, s13
	s_cmp_lt_i32 s4, 5
	s_cbranch_scc1 .LBB63_1206
; %bb.1202:
	s_cmp_lt_i32 s4, 8
	s_cbranch_scc1 .LBB63_1207
; %bb.1203:
	;; [unrolled: 3-line block ×3, first 2 shown]
	s_cmp_gt_i32 s4, 9
	s_cbranch_scc0 .LBB63_1209
; %bb.1205:
	global_load_dwordx2 v[7:8], v[14:15], off
	s_movk_i32 s0, 0xffe0
	s_waitcnt vmcnt(0)
	v_trunc_f64_e32 v[7:8], v[7:8]
	v_ldexp_f64 v[16:17], v[7:8], s0
	s_mov_b32 s0, 0
	s_mov_b32 s1, 0xc1f00000
	v_floor_f64_e32 v[16:17], v[16:17]
	v_fma_f64 v[18:19], v[16:17], s[0:1], v[7:8]
	v_cvt_i32_f64_e32 v8, v[16:17]
	s_mov_b64 s[0:1], 0
	v_cvt_u32_f64_e32 v7, v[18:19]
	s_branch .LBB63_1210
.LBB63_1206:
                                        ; implicit-def: $vgpr7_vgpr8
	s_branch .LBB63_1227
.LBB63_1207:
                                        ; implicit-def: $vgpr7_vgpr8
	s_branch .LBB63_1216
.LBB63_1208:
	s_mov_b64 s[0:1], -1
                                        ; implicit-def: $vgpr7_vgpr8
	s_branch .LBB63_1213
.LBB63_1209:
	s_mov_b64 s[0:1], -1
                                        ; implicit-def: $vgpr7_vgpr8
.LBB63_1210:
	s_andn2_b64 vcc, exec, s[0:1]
	s_cbranch_vccnz .LBB63_1212
; %bb.1211:
	global_load_dword v1, v[14:15], off
	s_mov_b32 s0, 0x2f800000
	s_mov_b32 s1, 0xcf800000
	s_waitcnt vmcnt(0)
	v_trunc_f32_e32 v1, v1
	v_mul_f32_e64 v3, |v1|, s0
	v_floor_f32_e32 v3, v3
	v_cvt_u32_f32_e32 v5, v3
	v_fma_f32 v3, v3, s1, |v1|
	v_cvt_u32_f32_e32 v3, v3
	v_ashrrev_i32_e32 v1, 31, v1
	v_xor_b32_e32 v5, v5, v1
	v_xor_b32_e32 v3, v3, v1
	v_sub_co_u32_e32 v7, vcc, v3, v1
	v_subb_co_u32_e32 v8, vcc, v5, v1, vcc
.LBB63_1212:
	s_mov_b64 s[0:1], 0
.LBB63_1213:
	s_andn2_b64 vcc, exec, s[0:1]
	s_cbranch_vccnz .LBB63_1215
; %bb.1214:
	global_load_dword v1, v[14:15], off
	s_waitcnt vmcnt(0)
	v_cvt_f32_f16_e32 v1, v1
	v_cvt_i32_f32_e32 v7, v1
	v_ashrrev_i32_e32 v8, 31, v7
.LBB63_1215:
	s_cbranch_execnz .LBB63_1226
.LBB63_1216:
	s_cmp_lt_i32 s4, 6
	s_cbranch_scc1 .LBB63_1219
; %bb.1217:
	s_cmp_gt_i32 s4, 6
	s_cbranch_scc0 .LBB63_1220
; %bb.1218:
	global_load_dwordx2 v[7:8], v[14:15], off
	s_movk_i32 s0, 0xffe0
	s_waitcnt vmcnt(0)
	v_trunc_f64_e32 v[7:8], v[7:8]
	v_ldexp_f64 v[16:17], v[7:8], s0
	s_mov_b32 s0, 0
	s_mov_b32 s1, 0xc1f00000
	v_floor_f64_e32 v[16:17], v[16:17]
	v_fma_f64 v[18:19], v[16:17], s[0:1], v[7:8]
	v_cvt_i32_f64_e32 v8, v[16:17]
	s_mov_b64 s[0:1], 0
	v_cvt_u32_f64_e32 v7, v[18:19]
	s_branch .LBB63_1221
.LBB63_1219:
	s_mov_b64 s[0:1], -1
                                        ; implicit-def: $vgpr7_vgpr8
	s_branch .LBB63_1224
.LBB63_1220:
	s_mov_b64 s[0:1], -1
                                        ; implicit-def: $vgpr7_vgpr8
.LBB63_1221:
	s_andn2_b64 vcc, exec, s[0:1]
	s_cbranch_vccnz .LBB63_1223
; %bb.1222:
	global_load_dword v1, v[14:15], off
	s_mov_b32 s0, 0x2f800000
	s_mov_b32 s1, 0xcf800000
	s_waitcnt vmcnt(0)
	v_trunc_f32_e32 v1, v1
	v_mul_f32_e64 v3, |v1|, s0
	v_floor_f32_e32 v3, v3
	v_cvt_u32_f32_e32 v5, v3
	v_fma_f32 v3, v3, s1, |v1|
	v_cvt_u32_f32_e32 v3, v3
	v_ashrrev_i32_e32 v1, 31, v1
	v_xor_b32_e32 v5, v5, v1
	v_xor_b32_e32 v3, v3, v1
	v_sub_co_u32_e32 v7, vcc, v3, v1
	v_subb_co_u32_e32 v8, vcc, v5, v1, vcc
.LBB63_1223:
	s_mov_b64 s[0:1], 0
.LBB63_1224:
	s_andn2_b64 vcc, exec, s[0:1]
	s_cbranch_vccnz .LBB63_1226
; %bb.1225:
	global_load_ushort v1, v[14:15], off
	s_waitcnt vmcnt(0)
	v_cvt_f32_f16_e32 v1, v1
	v_cvt_i32_f32_e32 v7, v1
	v_ashrrev_i32_e32 v8, 31, v7
.LBB63_1226:
	s_cbranch_execnz .LBB63_1245
.LBB63_1227:
	s_cmp_lt_i32 s4, 2
	s_cbranch_scc1 .LBB63_1231
; %bb.1228:
	s_cmp_lt_i32 s4, 3
	s_cbranch_scc1 .LBB63_1232
; %bb.1229:
	s_cmp_gt_i32 s4, 3
	s_cbranch_scc0 .LBB63_1233
; %bb.1230:
	global_load_dwordx2 v[7:8], v[14:15], off
	s_mov_b64 s[0:1], 0
	s_branch .LBB63_1234
.LBB63_1231:
                                        ; implicit-def: $vgpr7_vgpr8
	s_branch .LBB63_1240
.LBB63_1232:
	s_mov_b64 s[0:1], -1
                                        ; implicit-def: $vgpr7_vgpr8
	s_branch .LBB63_1237
.LBB63_1233:
	s_mov_b64 s[0:1], -1
                                        ; implicit-def: $vgpr7_vgpr8
.LBB63_1234:
	s_andn2_b64 vcc, exec, s[0:1]
	s_cbranch_vccnz .LBB63_1236
; %bb.1235:
	global_load_dword v7, v[14:15], off
	s_waitcnt vmcnt(0)
	v_ashrrev_i32_e32 v8, 31, v7
.LBB63_1236:
	s_mov_b64 s[0:1], 0
.LBB63_1237:
	s_andn2_b64 vcc, exec, s[0:1]
	s_cbranch_vccnz .LBB63_1239
; %bb.1238:
	global_load_ushort v1, v[14:15], off
	s_waitcnt vmcnt(0)
	v_bfe_i32 v7, v1, 0, 16
	v_ashrrev_i32_e32 v8, 31, v7
.LBB63_1239:
	s_cbranch_execnz .LBB63_1245
.LBB63_1240:
	s_cmp_gt_i32 s4, 0
	s_cbranch_scc0 .LBB63_1242
; %bb.1241:
	global_load_sbyte v1, v[14:15], off
	s_mov_b64 s[0:1], 0
	s_waitcnt vmcnt(0)
	v_bfe_i32 v7, v1, 0, 16
	v_ashrrev_i32_e32 v8, 31, v7
	s_branch .LBB63_1243
.LBB63_1242:
	s_mov_b64 s[0:1], -1
                                        ; implicit-def: $vgpr7_vgpr8
.LBB63_1243:
	s_andn2_b64 vcc, exec, s[0:1]
	s_cbranch_vccnz .LBB63_1245
; %bb.1244:
	global_load_ubyte v1, v[14:15], off
	s_mov_b32 s0, 0
	s_waitcnt vmcnt(1)
	v_mov_b32_e32 v8, s0
	s_waitcnt vmcnt(0)
	v_and_b32_e32 v7, 0xffff, v1
.LBB63_1245:
.LBB63_1246:
	s_lshr_b32 s0, s12, 8
	v_mov_b32_e32 v1, s11
	s_and_b32 s14, s0, 0xff
	v_add_co_u32_e32 v14, vcc, s10, v9
	s_cmp_lt_i32 s14, 11
	v_addc_co_u32_e32 v15, vcc, 0, v1, vcc
	s_cbranch_scc1 .LBB63_1253
; %bb.1247:
	s_and_b32 s15, 0xffff, s14
	s_cmp_gt_i32 s15, 25
	s_mov_b64 s[4:5], 0
	s_cbranch_scc0 .LBB63_1255
; %bb.1248:
	s_cmp_gt_i32 s15, 28
	s_cbranch_scc0 .LBB63_1256
; %bb.1249:
	s_cmp_gt_i32 s15, 43
	;; [unrolled: 3-line block ×3, first 2 shown]
	s_cbranch_scc0 .LBB63_1259
; %bb.1251:
	s_cmp_eq_u32 s15, 46
	s_mov_b64 s[12:13], 0
	s_cbranch_scc0 .LBB63_1262
; %bb.1252:
	global_load_dword v1, v[14:15], off
	s_mov_b32 s0, 0x2f800000
	s_mov_b32 s1, 0xcf800000
	s_mov_b64 s[6:7], -1
	s_waitcnt vmcnt(0)
	v_lshlrev_b32_e32 v1, 16, v1
	v_trunc_f32_e32 v1, v1
	v_mul_f32_e64 v3, |v1|, s0
	v_floor_f32_e32 v3, v3
	v_fma_f32 v5, v3, s1, |v1|
	v_cvt_u32_f32_e32 v5, v5
	v_cvt_u32_f32_e32 v3, v3
	v_ashrrev_i32_e32 v1, 31, v1
	s_mov_b64 s[0:1], 0
	v_xor_b32_e32 v5, v5, v1
	v_xor_b32_e32 v3, v3, v1
	v_sub_co_u32_e32 v9, vcc, v5, v1
	v_subb_co_u32_e32 v10, vcc, v3, v1, vcc
	s_branch .LBB63_1263
.LBB63_1253:
	s_mov_b64 s[6:7], 0
                                        ; implicit-def: $vgpr9_vgpr10
	s_cbranch_execnz .LBB63_1324
.LBB63_1254:
	s_andn2_b64 vcc, exec, s[6:7]
	s_cbranch_vccnz .LBB63_2055
	s_branch .LBB63_1371
.LBB63_1255:
	s_mov_b64 s[6:7], 0
	s_mov_b64 s[0:1], 0
                                        ; implicit-def: $vgpr9_vgpr10
	s_cbranch_execnz .LBB63_1292
	s_branch .LBB63_1320
.LBB63_1256:
	s_mov_b64 s[12:13], -1
	s_mov_b64 s[6:7], 0
	s_mov_b64 s[0:1], 0
                                        ; implicit-def: $vgpr9_vgpr10
	s_branch .LBB63_1273
.LBB63_1257:
	s_mov_b64 s[12:13], -1
	s_mov_b64 s[6:7], 0
	s_mov_b64 s[0:1], 0
                                        ; implicit-def: $vgpr9_vgpr10
	s_branch .LBB63_1268
.LBB63_1258:
	s_or_b64 s[2:3], s[28:29], exec
	s_trap 2
	s_cbranch_execz .LBB63_1199
	s_branch .LBB63_1200
.LBB63_1259:
	s_mov_b64 s[12:13], -1
	s_mov_b64 s[6:7], 0
	s_mov_b64 s[0:1], 0
                                        ; implicit-def: $vgpr9_vgpr10
	s_branch .LBB63_1263
.LBB63_1260:
	s_andn2_saveexec_b64 s[18:19], s[18:19]
	s_cbranch_execz .LBB63_991
.LBB63_1261:
	v_add_f32_e32 v0, 0x42800000, v3
	v_and_b32_e32 v0, 0xff, v0
	v_cmp_ne_u32_e32 vcc, 0, v0
	s_andn2_b64 s[16:17], s[16:17], exec
	s_and_b64 s[22:23], vcc, exec
	s_or_b64 s[16:17], s[16:17], s[22:23]
	s_or_b64 exec, exec, s[18:19]
	v_mov_b32_e32 v4, 0
	s_and_saveexec_b64 s[18:19], s[16:17]
	s_cbranch_execnz .LBB63_992
	s_branch .LBB63_993
.LBB63_1262:
	s_mov_b64 s[0:1], -1
                                        ; implicit-def: $vgpr9_vgpr10
	s_mov_b64 s[6:7], 0
.LBB63_1263:
	s_and_b64 vcc, exec, s[12:13]
	s_cbranch_vccz .LBB63_1267
; %bb.1264:
	s_cmp_eq_u32 s15, 44
	s_cbranch_scc0 .LBB63_1266
; %bb.1265:
	global_load_ubyte v1, v[14:15], off
	s_mov_b32 s0, 0x2f800000
	s_mov_b32 s1, 0xcf800000
	s_mov_b64 s[6:7], -1
	s_waitcnt vmcnt(0)
	v_lshlrev_b32_e32 v3, 23, v1
	v_trunc_f32_e32 v3, v3
	v_mul_f32_e64 v5, |v3|, s0
	v_floor_f32_e32 v5, v5
	v_fma_f32 v9, v5, s1, |v3|
	v_cvt_u32_f32_e32 v9, v9
	v_cvt_u32_f32_e32 v5, v5
	v_ashrrev_i32_e32 v3, 31, v3
	s_mov_b64 s[0:1], 0
	v_xor_b32_e32 v9, v9, v3
	v_xor_b32_e32 v5, v5, v3
	v_sub_co_u32_e32 v9, vcc, v9, v3
	v_subb_co_u32_e32 v3, vcc, v5, v3, vcc
	v_cmp_ne_u32_e32 vcc, 0, v1
	v_cndmask_b32_e32 v10, 0, v3, vcc
	v_cndmask_b32_e32 v9, 0, v9, vcc
	s_branch .LBB63_1267
.LBB63_1266:
	s_mov_b64 s[0:1], -1
                                        ; implicit-def: $vgpr9_vgpr10
.LBB63_1267:
	s_mov_b64 s[12:13], 0
.LBB63_1268:
	s_and_b64 vcc, exec, s[12:13]
	s_cbranch_vccz .LBB63_1272
; %bb.1269:
	s_cmp_eq_u32 s15, 29
	s_cbranch_scc0 .LBB63_1271
; %bb.1270:
	global_load_dwordx2 v[9:10], v[14:15], off
	s_mov_b64 s[0:1], 0
	s_mov_b64 s[6:7], -1
	s_branch .LBB63_1272
.LBB63_1271:
	s_mov_b64 s[0:1], -1
                                        ; implicit-def: $vgpr9_vgpr10
.LBB63_1272:
	s_mov_b64 s[12:13], 0
.LBB63_1273:
	s_and_b64 vcc, exec, s[12:13]
	s_cbranch_vccz .LBB63_1291
; %bb.1274:
	s_cmp_lt_i32 s15, 27
	s_cbranch_scc1 .LBB63_1277
; %bb.1275:
	s_cmp_gt_i32 s15, 27
	s_cbranch_scc0 .LBB63_1278
; %bb.1276:
	global_load_dword v9, v[14:15], off
	s_waitcnt vmcnt(1)
	v_mov_b32_e32 v10, 0
	s_mov_b64 s[6:7], 0
	s_branch .LBB63_1279
.LBB63_1277:
	s_mov_b64 s[6:7], -1
                                        ; implicit-def: $vgpr9_vgpr10
	s_branch .LBB63_1282
.LBB63_1278:
	s_mov_b64 s[6:7], -1
                                        ; implicit-def: $vgpr9_vgpr10
.LBB63_1279:
	s_andn2_b64 vcc, exec, s[6:7]
	s_cbranch_vccnz .LBB63_1281
; %bb.1280:
	global_load_ushort v1, v[14:15], off
	s_mov_b32 s6, 0
	s_waitcnt vmcnt(1)
	v_mov_b32_e32 v10, s6
	s_waitcnt vmcnt(0)
	v_and_b32_e32 v9, 0xffff, v1
.LBB63_1281:
	s_mov_b64 s[6:7], 0
.LBB63_1282:
	s_andn2_b64 vcc, exec, s[6:7]
	s_cbranch_vccnz .LBB63_1290
; %bb.1283:
	global_load_ubyte v1, v[14:15], off
	s_movk_i32 s6, 0x7f
	s_mov_b64 s[12:13], 0
	s_waitcnt vmcnt(0)
	v_cmp_lt_i16_e32 vcc, s6, v1
	s_and_saveexec_b64 s[6:7], vcc
	s_xor_b64 s[6:7], exec, s[6:7]
; %bb.1284:
	s_movk_i32 s12, 0x80
	v_cmp_ne_u16_e32 vcc, s12, v1
	s_and_b64 s[12:13], vcc, exec
; %bb.1285:
	s_andn2_saveexec_b64 s[6:7], s[6:7]
; %bb.1286:
	v_cmp_ne_u16_e32 vcc, 0, v1
	s_andn2_b64 s[12:13], s[12:13], exec
	s_and_b64 s[16:17], vcc, exec
	s_or_b64 s[12:13], s[12:13], s[16:17]
; %bb.1287:
	s_or_b64 exec, exec, s[6:7]
	v_mov_b32_e32 v9, 0
	v_mov_b32_e32 v10, 0
	s_and_saveexec_b64 s[6:7], s[12:13]
	s_cbranch_execz .LBB63_1289
; %bb.1288:
	v_lshlrev_b32_e32 v3, 24, v1
	v_and_b32_e32 v1, 0xffff, v1
	v_and_b32_e32 v5, 7, v1
	v_ffbh_u32_e32 v10, v5
	v_min_u32_e32 v10, 32, v10
	v_subrev_u32_e32 v12, 28, v10
	v_bfe_u32 v9, v1, 3, 4
	v_lshlrev_b32_e32 v1, v12, v1
	v_sub_u32_e32 v10, 29, v10
	v_and_b32_e32 v1, 7, v1
	v_cmp_eq_u32_e32 vcc, 0, v9
	v_cndmask_b32_e32 v9, v9, v10, vcc
	v_cndmask_b32_e32 v1, v5, v1, vcc
	v_mov_b32_e32 v5, 0x3b800000
	v_lshlrev_b32_e32 v1, 20, v1
	v_and_b32_e32 v3, 0x80000000, v3
	v_lshl_add_u32 v5, v9, 23, v5
	v_or3_b32 v1, v3, v5, v1
	v_trunc_f32_e32 v1, v1
	s_mov_b32 s12, 0x2f800000
	v_mul_f32_e64 v3, |v1|, s12
	v_floor_f32_e32 v3, v3
	s_mov_b32 s12, 0xcf800000
	v_fma_f32 v5, v3, s12, |v1|
	v_cvt_u32_f32_e32 v5, v5
	v_cvt_u32_f32_e32 v3, v3
	v_ashrrev_i32_e32 v1, 31, v1
	v_xor_b32_e32 v5, v5, v1
	v_xor_b32_e32 v3, v3, v1
	v_sub_co_u32_e32 v9, vcc, v5, v1
	v_subb_co_u32_e32 v10, vcc, v3, v1, vcc
.LBB63_1289:
	s_or_b64 exec, exec, s[6:7]
.LBB63_1290:
	s_mov_b64 s[6:7], -1
.LBB63_1291:
	s_branch .LBB63_1320
.LBB63_1292:
	s_cmp_gt_i32 s15, 22
	s_cbranch_scc0 .LBB63_1302
; %bb.1293:
	s_cmp_lt_i32 s15, 24
	s_cbranch_scc1 .LBB63_1303
; %bb.1294:
	s_cmp_gt_i32 s15, 24
	s_cbranch_scc0 .LBB63_1304
; %bb.1295:
	global_load_ubyte v1, v[14:15], off
	s_movk_i32 s4, 0x7f
	s_mov_b64 s[6:7], 0
	s_waitcnt vmcnt(0)
	v_cmp_lt_i16_e32 vcc, s4, v1
	s_and_saveexec_b64 s[4:5], vcc
	s_xor_b64 s[4:5], exec, s[4:5]
; %bb.1296:
	s_movk_i32 s6, 0x80
	v_cmp_ne_u16_e32 vcc, s6, v1
	s_and_b64 s[6:7], vcc, exec
; %bb.1297:
	s_andn2_saveexec_b64 s[4:5], s[4:5]
; %bb.1298:
	v_cmp_ne_u16_e32 vcc, 0, v1
	s_andn2_b64 s[6:7], s[6:7], exec
	s_and_b64 s[12:13], vcc, exec
	s_or_b64 s[6:7], s[6:7], s[12:13]
; %bb.1299:
	s_or_b64 exec, exec, s[4:5]
	v_mov_b32_e32 v9, 0
	v_mov_b32_e32 v10, 0
	s_and_saveexec_b64 s[4:5], s[6:7]
	s_cbranch_execz .LBB63_1301
; %bb.1300:
	v_lshlrev_b32_e32 v3, 24, v1
	v_and_b32_e32 v1, 0xffff, v1
	v_and_b32_e32 v5, 3, v1
	v_ffbh_u32_e32 v10, v5
	v_min_u32_e32 v10, 32, v10
	v_subrev_u32_e32 v12, 29, v10
	v_bfe_u32 v9, v1, 2, 5
	v_lshlrev_b32_e32 v1, v12, v1
	v_sub_u32_e32 v10, 30, v10
	v_and_b32_e32 v1, 3, v1
	v_cmp_eq_u32_e32 vcc, 0, v9
	v_cndmask_b32_e32 v9, v9, v10, vcc
	v_cndmask_b32_e32 v1, v5, v1, vcc
	v_mov_b32_e32 v5, 0x37800000
	v_lshlrev_b32_e32 v1, 21, v1
	v_and_b32_e32 v3, 0x80000000, v3
	v_lshl_add_u32 v5, v9, 23, v5
	v_or3_b32 v1, v3, v5, v1
	v_trunc_f32_e32 v1, v1
	s_mov_b32 s6, 0x2f800000
	v_mul_f32_e64 v3, |v1|, s6
	v_floor_f32_e32 v3, v3
	s_mov_b32 s6, 0xcf800000
	v_fma_f32 v5, v3, s6, |v1|
	v_cvt_u32_f32_e32 v5, v5
	v_cvt_u32_f32_e32 v3, v3
	v_ashrrev_i32_e32 v1, 31, v1
	v_xor_b32_e32 v5, v5, v1
	v_xor_b32_e32 v3, v3, v1
	v_sub_co_u32_e32 v9, vcc, v5, v1
	v_subb_co_u32_e32 v10, vcc, v3, v1, vcc
.LBB63_1301:
	s_or_b64 exec, exec, s[4:5]
	s_mov_b64 s[4:5], 0
	s_branch .LBB63_1305
.LBB63_1302:
	s_mov_b64 s[4:5], -1
                                        ; implicit-def: $vgpr9_vgpr10
	s_branch .LBB63_1311
.LBB63_1303:
	s_mov_b64 s[4:5], -1
                                        ; implicit-def: $vgpr9_vgpr10
	s_branch .LBB63_1308
.LBB63_1304:
	s_mov_b64 s[4:5], -1
                                        ; implicit-def: $vgpr9_vgpr10
.LBB63_1305:
	s_and_b64 vcc, exec, s[4:5]
	s_cbranch_vccz .LBB63_1307
; %bb.1306:
	global_load_ubyte v1, v[14:15], off
	s_mov_b32 s4, 0x7f800000
	s_brev_b32 s5, 1
	s_mov_b32 s6, 0x2f800000
	s_mov_b32 s7, 0xcf800000
	s_waitcnt vmcnt(0)
	v_lshlrev_b32_e32 v1, 24, v1
	v_and_b32_e32 v3, 0x7f000000, v1
	v_ffbh_u32_e32 v5, v3
	v_min_u32_e32 v5, 32, v5
	v_sub_u32_e64 v5, v5, 4 clamp
	v_lshlrev_b32_e32 v10, v5, v3
	v_lshlrev_b32_e32 v5, 23, v5
	v_lshrrev_b32_e32 v10, 4, v10
	v_add_u32_e32 v9, 0x1000000, v3
	v_sub_u32_e32 v5, v10, v5
	v_ashrrev_i32_e32 v9, 8, v9
	v_add_u32_e32 v5, 0x3c000000, v5
	v_and_or_b32 v5, v9, s4, v5
	v_cmp_ne_u32_e32 vcc, 0, v3
	v_cndmask_b32_e32 v3, 0, v5, vcc
	v_and_or_b32 v1, v1, s5, v3
	v_trunc_f32_e32 v1, v1
	v_mul_f32_e64 v3, |v1|, s6
	v_floor_f32_e32 v3, v3
	v_fma_f32 v5, v3, s7, |v1|
	v_cvt_u32_f32_e32 v5, v5
	v_cvt_u32_f32_e32 v3, v3
	v_ashrrev_i32_e32 v1, 31, v1
	v_xor_b32_e32 v5, v5, v1
	v_xor_b32_e32 v3, v3, v1
	v_sub_co_u32_e32 v9, vcc, v5, v1
	v_subb_co_u32_e32 v10, vcc, v3, v1, vcc
.LBB63_1307:
	s_mov_b64 s[4:5], 0
.LBB63_1308:
	s_andn2_b64 vcc, exec, s[4:5]
	s_cbranch_vccnz .LBB63_1310
; %bb.1309:
	global_load_ubyte v1, v[14:15], off
	s_movk_i32 s4, 0x7f00
	s_brev_b32 s5, 16
	s_brev_b32 s6, 1
	s_mov_b32 s7, 0x2f800000
	s_mov_b32 s12, 0xcf800000
	s_waitcnt vmcnt(0)
	v_lshlrev_b16_e32 v3, 8, v1
	v_lshlrev_b32_e32 v1, 25, v1
	v_lshrrev_b32_e32 v5, 4, v1
	v_and_or_b32 v9, v3, s4, 0.5
	v_or_b32_e32 v5, 0x70000000, v5
	v_add_f32_e32 v9, -0.5, v9
	v_mul_f32_e32 v5, 0x7800000, v5
	v_cmp_gt_u32_e32 vcc, s5, v1
	v_bfe_i32 v3, v3, 0, 16
	v_cndmask_b32_e32 v1, v5, v9, vcc
	v_and_or_b32 v1, v3, s6, v1
	v_trunc_f32_e32 v1, v1
	v_mul_f32_e64 v3, |v1|, s7
	v_floor_f32_e32 v3, v3
	v_fma_f32 v5, v3, s12, |v1|
	v_cvt_u32_f32_e32 v5, v5
	v_cvt_u32_f32_e32 v3, v3
	v_ashrrev_i32_e32 v1, 31, v1
	v_xor_b32_e32 v5, v5, v1
	v_xor_b32_e32 v3, v3, v1
	v_sub_co_u32_e32 v9, vcc, v5, v1
	v_subb_co_u32_e32 v10, vcc, v3, v1, vcc
.LBB63_1310:
	s_mov_b64 s[4:5], 0
	s_mov_b64 s[6:7], -1
.LBB63_1311:
	s_andn2_b64 vcc, exec, s[4:5]
	s_mov_b64 s[4:5], 0
	s_cbranch_vccnz .LBB63_1320
; %bb.1312:
	s_cmp_gt_i32 s15, 14
	s_cbranch_scc0 .LBB63_1315
; %bb.1313:
	s_cmp_eq_u32 s15, 15
	s_cbranch_scc0 .LBB63_1316
; %bb.1314:
	global_load_ushort v1, v[14:15], off
	s_mov_b32 s0, 0x2f800000
	s_mov_b32 s1, 0xcf800000
	s_mov_b64 s[6:7], -1
	s_waitcnt vmcnt(0)
	v_lshlrev_b32_e32 v1, 16, v1
	v_trunc_f32_e32 v1, v1
	v_mul_f32_e64 v3, |v1|, s0
	v_floor_f32_e32 v3, v3
	v_fma_f32 v5, v3, s1, |v1|
	v_cvt_u32_f32_e32 v5, v5
	v_cvt_u32_f32_e32 v3, v3
	v_ashrrev_i32_e32 v1, 31, v1
	s_mov_b64 s[0:1], 0
	v_xor_b32_e32 v5, v5, v1
	v_xor_b32_e32 v3, v3, v1
	v_sub_co_u32_e32 v9, vcc, v5, v1
	v_subb_co_u32_e32 v10, vcc, v3, v1, vcc
	s_branch .LBB63_1317
.LBB63_1315:
	s_mov_b64 s[12:13], -1
                                        ; implicit-def: $vgpr9_vgpr10
	s_branch .LBB63_1318
.LBB63_1316:
	s_mov_b64 s[0:1], -1
                                        ; implicit-def: $vgpr9_vgpr10
.LBB63_1317:
	s_mov_b64 s[12:13], 0
.LBB63_1318:
	s_and_b64 vcc, exec, s[12:13]
	s_cbranch_vccz .LBB63_1320
; %bb.1319:
	s_cmp_lg_u32 s15, 11
	s_mov_b64 s[4:5], -1
	s_cselect_b64 s[0:1], -1, 0
.LBB63_1320:
	s_and_b64 vcc, exec, s[0:1]
	s_cbranch_vccnz .LBB63_1383
; %bb.1321:
	s_andn2_b64 vcc, exec, s[4:5]
	s_cbranch_vccnz .LBB63_1323
.LBB63_1322:
	global_load_ubyte v1, v[14:15], off
	s_mov_b32 s0, 0
	s_waitcnt vmcnt(1)
	v_mov_b32_e32 v10, s0
	s_mov_b64 s[6:7], -1
	s_waitcnt vmcnt(0)
	v_cmp_ne_u16_e32 vcc, 0, v1
	v_cndmask_b32_e64 v9, 0, 1, vcc
.LBB63_1323:
	s_branch .LBB63_1254
.LBB63_1324:
	s_and_b32 s4, 0xffff, s14
	s_cmp_lt_i32 s4, 5
	s_cbranch_scc1 .LBB63_1329
; %bb.1325:
	s_cmp_lt_i32 s4, 8
	s_cbranch_scc1 .LBB63_1330
; %bb.1326:
	;; [unrolled: 3-line block ×3, first 2 shown]
	s_cmp_gt_i32 s4, 9
	s_cbranch_scc0 .LBB63_1332
; %bb.1328:
	global_load_dwordx2 v[9:10], v[14:15], off
	s_movk_i32 s0, 0xffe0
	s_waitcnt vmcnt(0)
	v_trunc_f64_e32 v[9:10], v[9:10]
	v_ldexp_f64 v[16:17], v[9:10], s0
	s_mov_b32 s0, 0
	s_mov_b32 s1, 0xc1f00000
	v_floor_f64_e32 v[16:17], v[16:17]
	v_fma_f64 v[18:19], v[16:17], s[0:1], v[9:10]
	v_cvt_i32_f64_e32 v10, v[16:17]
	s_mov_b64 s[0:1], 0
	v_cvt_u32_f64_e32 v9, v[18:19]
	s_branch .LBB63_1333
.LBB63_1329:
                                        ; implicit-def: $vgpr9_vgpr10
	s_branch .LBB63_1351
.LBB63_1330:
	s_mov_b64 s[0:1], -1
                                        ; implicit-def: $vgpr9_vgpr10
	s_branch .LBB63_1339
.LBB63_1331:
	s_mov_b64 s[0:1], -1
                                        ; implicit-def: $vgpr9_vgpr10
	s_branch .LBB63_1336
.LBB63_1332:
	s_mov_b64 s[0:1], -1
                                        ; implicit-def: $vgpr9_vgpr10
.LBB63_1333:
	s_andn2_b64 vcc, exec, s[0:1]
	s_cbranch_vccnz .LBB63_1335
; %bb.1334:
	global_load_dword v1, v[14:15], off
	s_mov_b32 s0, 0x2f800000
	s_mov_b32 s1, 0xcf800000
	s_waitcnt vmcnt(0)
	v_trunc_f32_e32 v1, v1
	v_mul_f32_e64 v3, |v1|, s0
	v_floor_f32_e32 v3, v3
	v_cvt_u32_f32_e32 v5, v3
	v_fma_f32 v3, v3, s1, |v1|
	v_cvt_u32_f32_e32 v3, v3
	v_ashrrev_i32_e32 v1, 31, v1
	v_xor_b32_e32 v5, v5, v1
	v_xor_b32_e32 v3, v3, v1
	v_sub_co_u32_e32 v9, vcc, v3, v1
	v_subb_co_u32_e32 v10, vcc, v5, v1, vcc
.LBB63_1335:
	s_mov_b64 s[0:1], 0
.LBB63_1336:
	s_andn2_b64 vcc, exec, s[0:1]
	s_cbranch_vccnz .LBB63_1338
; %bb.1337:
	global_load_dword v1, v[14:15], off
	s_waitcnt vmcnt(0)
	v_cvt_f32_f16_e32 v1, v1
	v_cvt_i32_f32_e32 v9, v1
	v_ashrrev_i32_e32 v10, 31, v9
.LBB63_1338:
	s_mov_b64 s[0:1], 0
.LBB63_1339:
	s_andn2_b64 vcc, exec, s[0:1]
	s_cbranch_vccnz .LBB63_1350
; %bb.1340:
	s_cmp_lt_i32 s4, 6
	s_cbranch_scc1 .LBB63_1343
; %bb.1341:
	s_cmp_gt_i32 s4, 6
	s_cbranch_scc0 .LBB63_1344
; %bb.1342:
	global_load_dwordx2 v[9:10], v[14:15], off
	s_movk_i32 s0, 0xffe0
	s_waitcnt vmcnt(0)
	v_trunc_f64_e32 v[9:10], v[9:10]
	v_ldexp_f64 v[16:17], v[9:10], s0
	s_mov_b32 s0, 0
	s_mov_b32 s1, 0xc1f00000
	v_floor_f64_e32 v[16:17], v[16:17]
	v_fma_f64 v[18:19], v[16:17], s[0:1], v[9:10]
	v_cvt_i32_f64_e32 v10, v[16:17]
	s_mov_b64 s[0:1], 0
	v_cvt_u32_f64_e32 v9, v[18:19]
	s_branch .LBB63_1345
.LBB63_1343:
	s_mov_b64 s[0:1], -1
                                        ; implicit-def: $vgpr9_vgpr10
	s_branch .LBB63_1348
.LBB63_1344:
	s_mov_b64 s[0:1], -1
                                        ; implicit-def: $vgpr9_vgpr10
.LBB63_1345:
	s_andn2_b64 vcc, exec, s[0:1]
	s_cbranch_vccnz .LBB63_1347
; %bb.1346:
	global_load_dword v1, v[14:15], off
	s_mov_b32 s0, 0x2f800000
	s_mov_b32 s1, 0xcf800000
	s_waitcnt vmcnt(0)
	v_trunc_f32_e32 v1, v1
	v_mul_f32_e64 v3, |v1|, s0
	v_floor_f32_e32 v3, v3
	v_cvt_u32_f32_e32 v5, v3
	v_fma_f32 v3, v3, s1, |v1|
	v_cvt_u32_f32_e32 v3, v3
	v_ashrrev_i32_e32 v1, 31, v1
	v_xor_b32_e32 v5, v5, v1
	v_xor_b32_e32 v3, v3, v1
	v_sub_co_u32_e32 v9, vcc, v3, v1
	v_subb_co_u32_e32 v10, vcc, v5, v1, vcc
.LBB63_1347:
	s_mov_b64 s[0:1], 0
.LBB63_1348:
	s_andn2_b64 vcc, exec, s[0:1]
	s_cbranch_vccnz .LBB63_1350
; %bb.1349:
	global_load_ushort v1, v[14:15], off
	s_waitcnt vmcnt(0)
	v_cvt_f32_f16_e32 v1, v1
	v_cvt_i32_f32_e32 v9, v1
	v_ashrrev_i32_e32 v10, 31, v9
.LBB63_1350:
	s_cbranch_execnz .LBB63_1370
.LBB63_1351:
	s_cmp_lt_i32 s4, 2
	s_cbranch_scc1 .LBB63_1355
; %bb.1352:
	s_cmp_lt_i32 s4, 3
	s_cbranch_scc1 .LBB63_1356
; %bb.1353:
	s_cmp_gt_i32 s4, 3
	s_cbranch_scc0 .LBB63_1357
; %bb.1354:
	global_load_dwordx2 v[9:10], v[14:15], off
	s_mov_b64 s[0:1], 0
	s_branch .LBB63_1358
.LBB63_1355:
	s_mov_b64 s[0:1], -1
                                        ; implicit-def: $vgpr9_vgpr10
	s_branch .LBB63_1364
.LBB63_1356:
	s_mov_b64 s[0:1], -1
                                        ; implicit-def: $vgpr9_vgpr10
	s_branch .LBB63_1361
.LBB63_1357:
	s_mov_b64 s[0:1], -1
                                        ; implicit-def: $vgpr9_vgpr10
.LBB63_1358:
	s_andn2_b64 vcc, exec, s[0:1]
	s_cbranch_vccnz .LBB63_1360
; %bb.1359:
	global_load_dword v9, v[14:15], off
	s_waitcnt vmcnt(0)
	v_ashrrev_i32_e32 v10, 31, v9
.LBB63_1360:
	s_mov_b64 s[0:1], 0
.LBB63_1361:
	s_andn2_b64 vcc, exec, s[0:1]
	s_cbranch_vccnz .LBB63_1363
; %bb.1362:
	global_load_ushort v1, v[14:15], off
	s_waitcnt vmcnt(0)
	v_bfe_i32 v9, v1, 0, 16
	v_ashrrev_i32_e32 v10, 31, v9
.LBB63_1363:
	s_mov_b64 s[0:1], 0
.LBB63_1364:
	s_andn2_b64 vcc, exec, s[0:1]
	s_cbranch_vccnz .LBB63_1370
; %bb.1365:
	s_cmp_gt_i32 s4, 0
	s_cbranch_scc0 .LBB63_1367
; %bb.1366:
	global_load_sbyte v1, v[14:15], off
	s_mov_b64 s[0:1], 0
	s_waitcnt vmcnt(0)
	v_bfe_i32 v9, v1, 0, 16
	v_ashrrev_i32_e32 v10, 31, v9
	s_branch .LBB63_1368
.LBB63_1367:
	s_mov_b64 s[0:1], -1
                                        ; implicit-def: $vgpr9_vgpr10
.LBB63_1368:
	s_andn2_b64 vcc, exec, s[0:1]
	s_cbranch_vccnz .LBB63_1370
; %bb.1369:
	global_load_ubyte v1, v[14:15], off
	s_mov_b32 s0, 0
	s_waitcnt vmcnt(1)
	v_mov_b32_e32 v10, s0
	s_waitcnt vmcnt(0)
	v_and_b32_e32 v9, 0xffff, v1
.LBB63_1370:
.LBB63_1371:
	v_mov_b32_e32 v1, s11
	v_add_co_u32_e32 v14, vcc, s10, v13
	s_cmp_lt_i32 s14, 11
	v_addc_co_u32_e32 v15, vcc, 0, v1, vcc
	s_cbranch_scc1 .LBB63_1378
; %bb.1372:
	s_and_b32 s15, 0xffff, s14
	s_cmp_gt_i32 s15, 25
	s_mov_b64 s[4:5], 0
	s_cbranch_scc0 .LBB63_1380
; %bb.1373:
	s_cmp_gt_i32 s15, 28
	s_cbranch_scc0 .LBB63_1381
; %bb.1374:
	s_cmp_gt_i32 s15, 43
	;; [unrolled: 3-line block ×3, first 2 shown]
	s_cbranch_scc0 .LBB63_1384
; %bb.1376:
	s_cmp_eq_u32 s15, 46
	s_mov_b64 s[12:13], 0
	s_cbranch_scc0 .LBB63_1385
; %bb.1377:
	global_load_dword v1, v[14:15], off
	s_mov_b32 s0, 0x2f800000
	s_mov_b32 s1, 0xcf800000
	s_mov_b64 s[6:7], -1
	s_waitcnt vmcnt(0)
	v_lshlrev_b32_e32 v1, 16, v1
	v_trunc_f32_e32 v1, v1
	v_mul_f32_e64 v3, |v1|, s0
	v_floor_f32_e32 v3, v3
	v_fma_f32 v5, v3, s1, |v1|
	v_cvt_u32_f32_e32 v5, v5
	v_cvt_u32_f32_e32 v3, v3
	v_ashrrev_i32_e32 v1, 31, v1
	s_mov_b64 s[0:1], 0
	v_xor_b32_e32 v5, v5, v1
	v_xor_b32_e32 v3, v3, v1
	v_sub_co_u32_e32 v12, vcc, v5, v1
	v_subb_co_u32_e32 v13, vcc, v3, v1, vcc
	s_branch .LBB63_1386
.LBB63_1378:
	s_mov_b64 s[6:7], 0
                                        ; implicit-def: $vgpr12_vgpr13
	s_cbranch_execnz .LBB63_1448
.LBB63_1379:
	s_andn2_b64 vcc, exec, s[6:7]
	s_cbranch_vccnz .LBB63_2055
	s_branch .LBB63_1496
.LBB63_1380:
	s_mov_b64 s[12:13], -1
	s_mov_b64 s[6:7], 0
	s_mov_b64 s[0:1], 0
                                        ; implicit-def: $vgpr12_vgpr13
	s_branch .LBB63_1415
.LBB63_1381:
	s_mov_b64 s[12:13], -1
	s_mov_b64 s[6:7], 0
	s_mov_b64 s[0:1], 0
                                        ; implicit-def: $vgpr12_vgpr13
	s_branch .LBB63_1396
.LBB63_1382:
	s_mov_b64 s[12:13], -1
	s_mov_b64 s[6:7], 0
	s_mov_b64 s[0:1], 0
                                        ; implicit-def: $vgpr12_vgpr13
	s_branch .LBB63_1391
.LBB63_1383:
	s_trap 2
	s_or_b64 s[2:3], s[2:3], exec
	s_cbranch_execz .LBB63_1322
	s_branch .LBB63_1323
.LBB63_1384:
	s_mov_b64 s[12:13], -1
	s_mov_b64 s[6:7], 0
	s_mov_b64 s[0:1], 0
                                        ; implicit-def: $vgpr12_vgpr13
	s_branch .LBB63_1386
.LBB63_1385:
	s_mov_b64 s[0:1], -1
                                        ; implicit-def: $vgpr12_vgpr13
	s_mov_b64 s[6:7], 0
.LBB63_1386:
	s_and_b64 vcc, exec, s[12:13]
	s_cbranch_vccz .LBB63_1390
; %bb.1387:
	s_cmp_eq_u32 s15, 44
	s_cbranch_scc0 .LBB63_1389
; %bb.1388:
	global_load_ubyte v1, v[14:15], off
	s_mov_b32 s0, 0x2f800000
	s_mov_b32 s1, 0xcf800000
	s_mov_b64 s[6:7], -1
	s_waitcnt vmcnt(0)
	v_lshlrev_b32_e32 v3, 23, v1
	v_trunc_f32_e32 v3, v3
	v_mul_f32_e64 v5, |v3|, s0
	v_floor_f32_e32 v5, v5
	v_fma_f32 v12, v5, s1, |v3|
	v_cvt_u32_f32_e32 v12, v12
	v_cvt_u32_f32_e32 v5, v5
	v_ashrrev_i32_e32 v3, 31, v3
	s_mov_b64 s[0:1], 0
	v_xor_b32_e32 v12, v12, v3
	v_xor_b32_e32 v5, v5, v3
	v_sub_co_u32_e32 v12, vcc, v12, v3
	v_subb_co_u32_e32 v3, vcc, v5, v3, vcc
	v_cmp_ne_u32_e32 vcc, 0, v1
	v_cndmask_b32_e32 v13, 0, v3, vcc
	v_cndmask_b32_e32 v12, 0, v12, vcc
	s_branch .LBB63_1390
.LBB63_1389:
	s_mov_b64 s[0:1], -1
                                        ; implicit-def: $vgpr12_vgpr13
.LBB63_1390:
	s_mov_b64 s[12:13], 0
.LBB63_1391:
	s_and_b64 vcc, exec, s[12:13]
	s_cbranch_vccz .LBB63_1395
; %bb.1392:
	s_cmp_eq_u32 s15, 29
	s_cbranch_scc0 .LBB63_1394
; %bb.1393:
	global_load_dwordx2 v[12:13], v[14:15], off
	s_mov_b64 s[0:1], 0
	s_mov_b64 s[6:7], -1
	s_branch .LBB63_1395
.LBB63_1394:
	s_mov_b64 s[0:1], -1
                                        ; implicit-def: $vgpr12_vgpr13
.LBB63_1395:
	s_mov_b64 s[12:13], 0
.LBB63_1396:
	s_and_b64 vcc, exec, s[12:13]
	s_cbranch_vccz .LBB63_1414
; %bb.1397:
	s_cmp_lt_i32 s15, 27
	s_cbranch_scc1 .LBB63_1400
; %bb.1398:
	s_cmp_gt_i32 s15, 27
	s_cbranch_scc0 .LBB63_1401
; %bb.1399:
	global_load_dword v12, v[14:15], off
	s_waitcnt vmcnt(1)
	v_mov_b32_e32 v13, 0
	s_mov_b64 s[6:7], 0
	s_branch .LBB63_1402
.LBB63_1400:
	s_mov_b64 s[6:7], -1
                                        ; implicit-def: $vgpr12_vgpr13
	s_branch .LBB63_1405
.LBB63_1401:
	s_mov_b64 s[6:7], -1
                                        ; implicit-def: $vgpr12_vgpr13
.LBB63_1402:
	s_andn2_b64 vcc, exec, s[6:7]
	s_cbranch_vccnz .LBB63_1404
; %bb.1403:
	global_load_ushort v1, v[14:15], off
	s_mov_b32 s6, 0
	s_waitcnt vmcnt(1)
	v_mov_b32_e32 v13, s6
	s_waitcnt vmcnt(0)
	v_and_b32_e32 v12, 0xffff, v1
.LBB63_1404:
	s_mov_b64 s[6:7], 0
.LBB63_1405:
	s_andn2_b64 vcc, exec, s[6:7]
	s_cbranch_vccnz .LBB63_1413
; %bb.1406:
	global_load_ubyte v1, v[14:15], off
	s_movk_i32 s6, 0x7f
	s_mov_b64 s[12:13], 0
	s_waitcnt vmcnt(0)
	v_cmp_lt_i16_e32 vcc, s6, v1
	s_and_saveexec_b64 s[6:7], vcc
	s_xor_b64 s[6:7], exec, s[6:7]
; %bb.1407:
	s_movk_i32 s12, 0x80
	v_cmp_ne_u16_e32 vcc, s12, v1
	s_and_b64 s[12:13], vcc, exec
; %bb.1408:
	s_andn2_saveexec_b64 s[6:7], s[6:7]
; %bb.1409:
	v_cmp_ne_u16_e32 vcc, 0, v1
	s_andn2_b64 s[12:13], s[12:13], exec
	s_and_b64 s[16:17], vcc, exec
	s_or_b64 s[12:13], s[12:13], s[16:17]
; %bb.1410:
	s_or_b64 exec, exec, s[6:7]
	v_mov_b32_e32 v12, 0
	v_mov_b32_e32 v13, 0
	s_and_saveexec_b64 s[6:7], s[12:13]
	s_cbranch_execz .LBB63_1412
; %bb.1411:
	v_lshlrev_b32_e32 v3, 24, v1
	v_and_b32_e32 v1, 0xffff, v1
	v_and_b32_e32 v5, 7, v1
	v_ffbh_u32_e32 v13, v5
	v_min_u32_e32 v13, 32, v13
	v_subrev_u32_e32 v16, 28, v13
	v_bfe_u32 v12, v1, 3, 4
	v_lshlrev_b32_e32 v1, v16, v1
	v_sub_u32_e32 v13, 29, v13
	v_and_b32_e32 v1, 7, v1
	v_cmp_eq_u32_e32 vcc, 0, v12
	v_cndmask_b32_e32 v12, v12, v13, vcc
	v_cndmask_b32_e32 v1, v5, v1, vcc
	v_mov_b32_e32 v5, 0x3b800000
	v_lshlrev_b32_e32 v1, 20, v1
	v_and_b32_e32 v3, 0x80000000, v3
	v_lshl_add_u32 v5, v12, 23, v5
	v_or3_b32 v1, v3, v5, v1
	v_trunc_f32_e32 v1, v1
	s_mov_b32 s12, 0x2f800000
	v_mul_f32_e64 v3, |v1|, s12
	v_floor_f32_e32 v3, v3
	s_mov_b32 s12, 0xcf800000
	v_fma_f32 v5, v3, s12, |v1|
	v_cvt_u32_f32_e32 v5, v5
	v_cvt_u32_f32_e32 v3, v3
	v_ashrrev_i32_e32 v1, 31, v1
	v_xor_b32_e32 v5, v5, v1
	v_xor_b32_e32 v3, v3, v1
	v_sub_co_u32_e32 v12, vcc, v5, v1
	v_subb_co_u32_e32 v13, vcc, v3, v1, vcc
.LBB63_1412:
	s_or_b64 exec, exec, s[6:7]
.LBB63_1413:
	s_mov_b64 s[6:7], -1
.LBB63_1414:
	s_mov_b64 s[12:13], 0
.LBB63_1415:
	s_and_b64 vcc, exec, s[12:13]
	s_cbranch_vccz .LBB63_1444
; %bb.1416:
	s_cmp_gt_i32 s15, 22
	s_cbranch_scc0 .LBB63_1426
; %bb.1417:
	s_cmp_lt_i32 s15, 24
	s_cbranch_scc1 .LBB63_1427
; %bb.1418:
	s_cmp_gt_i32 s15, 24
	s_cbranch_scc0 .LBB63_1428
; %bb.1419:
	global_load_ubyte v1, v[14:15], off
	s_movk_i32 s4, 0x7f
	s_mov_b64 s[6:7], 0
	s_waitcnt vmcnt(0)
	v_cmp_lt_i16_e32 vcc, s4, v1
	s_and_saveexec_b64 s[4:5], vcc
	s_xor_b64 s[4:5], exec, s[4:5]
; %bb.1420:
	s_movk_i32 s6, 0x80
	v_cmp_ne_u16_e32 vcc, s6, v1
	s_and_b64 s[6:7], vcc, exec
; %bb.1421:
	s_andn2_saveexec_b64 s[4:5], s[4:5]
; %bb.1422:
	v_cmp_ne_u16_e32 vcc, 0, v1
	s_andn2_b64 s[6:7], s[6:7], exec
	s_and_b64 s[12:13], vcc, exec
	s_or_b64 s[6:7], s[6:7], s[12:13]
; %bb.1423:
	s_or_b64 exec, exec, s[4:5]
	v_mov_b32_e32 v12, 0
	v_mov_b32_e32 v13, 0
	s_and_saveexec_b64 s[4:5], s[6:7]
	s_cbranch_execz .LBB63_1425
; %bb.1424:
	v_lshlrev_b32_e32 v3, 24, v1
	v_and_b32_e32 v1, 0xffff, v1
	v_and_b32_e32 v5, 3, v1
	v_ffbh_u32_e32 v13, v5
	v_min_u32_e32 v13, 32, v13
	v_subrev_u32_e32 v16, 29, v13
	v_bfe_u32 v12, v1, 2, 5
	v_lshlrev_b32_e32 v1, v16, v1
	v_sub_u32_e32 v13, 30, v13
	v_and_b32_e32 v1, 3, v1
	v_cmp_eq_u32_e32 vcc, 0, v12
	v_cndmask_b32_e32 v12, v12, v13, vcc
	v_cndmask_b32_e32 v1, v5, v1, vcc
	v_mov_b32_e32 v5, 0x37800000
	v_lshlrev_b32_e32 v1, 21, v1
	v_and_b32_e32 v3, 0x80000000, v3
	v_lshl_add_u32 v5, v12, 23, v5
	v_or3_b32 v1, v3, v5, v1
	v_trunc_f32_e32 v1, v1
	s_mov_b32 s6, 0x2f800000
	v_mul_f32_e64 v3, |v1|, s6
	v_floor_f32_e32 v3, v3
	s_mov_b32 s6, 0xcf800000
	v_fma_f32 v5, v3, s6, |v1|
	v_cvt_u32_f32_e32 v5, v5
	v_cvt_u32_f32_e32 v3, v3
	v_ashrrev_i32_e32 v1, 31, v1
	v_xor_b32_e32 v5, v5, v1
	v_xor_b32_e32 v3, v3, v1
	v_sub_co_u32_e32 v12, vcc, v5, v1
	v_subb_co_u32_e32 v13, vcc, v3, v1, vcc
.LBB63_1425:
	s_or_b64 exec, exec, s[4:5]
	s_mov_b64 s[4:5], 0
	s_branch .LBB63_1429
.LBB63_1426:
	s_mov_b64 s[4:5], -1
                                        ; implicit-def: $vgpr12_vgpr13
	s_branch .LBB63_1435
.LBB63_1427:
	s_mov_b64 s[4:5], -1
                                        ; implicit-def: $vgpr12_vgpr13
	s_branch .LBB63_1432
.LBB63_1428:
	s_mov_b64 s[4:5], -1
                                        ; implicit-def: $vgpr12_vgpr13
.LBB63_1429:
	s_and_b64 vcc, exec, s[4:5]
	s_cbranch_vccz .LBB63_1431
; %bb.1430:
	global_load_ubyte v1, v[14:15], off
	s_mov_b32 s4, 0x7f800000
	s_brev_b32 s5, 1
	s_mov_b32 s6, 0x2f800000
	s_mov_b32 s7, 0xcf800000
	s_waitcnt vmcnt(0)
	v_lshlrev_b32_e32 v1, 24, v1
	v_and_b32_e32 v3, 0x7f000000, v1
	v_ffbh_u32_e32 v5, v3
	v_min_u32_e32 v5, 32, v5
	v_sub_u32_e64 v5, v5, 4 clamp
	v_lshlrev_b32_e32 v13, v5, v3
	v_lshlrev_b32_e32 v5, 23, v5
	v_lshrrev_b32_e32 v13, 4, v13
	v_add_u32_e32 v12, 0x1000000, v3
	v_sub_u32_e32 v5, v13, v5
	v_ashrrev_i32_e32 v12, 8, v12
	v_add_u32_e32 v5, 0x3c000000, v5
	v_and_or_b32 v5, v12, s4, v5
	v_cmp_ne_u32_e32 vcc, 0, v3
	v_cndmask_b32_e32 v3, 0, v5, vcc
	v_and_or_b32 v1, v1, s5, v3
	v_trunc_f32_e32 v1, v1
	v_mul_f32_e64 v3, |v1|, s6
	v_floor_f32_e32 v3, v3
	v_fma_f32 v5, v3, s7, |v1|
	v_cvt_u32_f32_e32 v5, v5
	v_cvt_u32_f32_e32 v3, v3
	v_ashrrev_i32_e32 v1, 31, v1
	v_xor_b32_e32 v5, v5, v1
	v_xor_b32_e32 v3, v3, v1
	v_sub_co_u32_e32 v12, vcc, v5, v1
	v_subb_co_u32_e32 v13, vcc, v3, v1, vcc
.LBB63_1431:
	s_mov_b64 s[4:5], 0
.LBB63_1432:
	s_andn2_b64 vcc, exec, s[4:5]
	s_cbranch_vccnz .LBB63_1434
; %bb.1433:
	global_load_ubyte v1, v[14:15], off
	s_movk_i32 s4, 0x7f00
	s_brev_b32 s5, 16
	s_brev_b32 s6, 1
	s_mov_b32 s7, 0x2f800000
	s_mov_b32 s12, 0xcf800000
	s_waitcnt vmcnt(0)
	v_lshlrev_b16_e32 v3, 8, v1
	v_lshlrev_b32_e32 v1, 25, v1
	v_lshrrev_b32_e32 v5, 4, v1
	v_and_or_b32 v12, v3, s4, 0.5
	v_or_b32_e32 v5, 0x70000000, v5
	v_add_f32_e32 v12, -0.5, v12
	v_mul_f32_e32 v5, 0x7800000, v5
	v_cmp_gt_u32_e32 vcc, s5, v1
	v_bfe_i32 v3, v3, 0, 16
	v_cndmask_b32_e32 v1, v5, v12, vcc
	v_and_or_b32 v1, v3, s6, v1
	v_trunc_f32_e32 v1, v1
	v_mul_f32_e64 v3, |v1|, s7
	v_floor_f32_e32 v3, v3
	v_fma_f32 v5, v3, s12, |v1|
	v_cvt_u32_f32_e32 v5, v5
	v_cvt_u32_f32_e32 v3, v3
	v_ashrrev_i32_e32 v1, 31, v1
	v_xor_b32_e32 v5, v5, v1
	v_xor_b32_e32 v3, v3, v1
	v_sub_co_u32_e32 v12, vcc, v5, v1
	v_subb_co_u32_e32 v13, vcc, v3, v1, vcc
.LBB63_1434:
	s_mov_b64 s[4:5], 0
	s_mov_b64 s[6:7], -1
.LBB63_1435:
	s_andn2_b64 vcc, exec, s[4:5]
	s_mov_b64 s[4:5], 0
	s_cbranch_vccnz .LBB63_1444
; %bb.1436:
	s_cmp_gt_i32 s15, 14
	s_cbranch_scc0 .LBB63_1439
; %bb.1437:
	s_cmp_eq_u32 s15, 15
	s_cbranch_scc0 .LBB63_1440
; %bb.1438:
	global_load_ushort v1, v[14:15], off
	s_mov_b32 s0, 0x2f800000
	s_mov_b32 s1, 0xcf800000
	s_mov_b64 s[6:7], -1
	s_waitcnt vmcnt(0)
	v_lshlrev_b32_e32 v1, 16, v1
	v_trunc_f32_e32 v1, v1
	v_mul_f32_e64 v3, |v1|, s0
	v_floor_f32_e32 v3, v3
	v_fma_f32 v5, v3, s1, |v1|
	v_cvt_u32_f32_e32 v5, v5
	v_cvt_u32_f32_e32 v3, v3
	v_ashrrev_i32_e32 v1, 31, v1
	s_mov_b64 s[0:1], 0
	v_xor_b32_e32 v5, v5, v1
	v_xor_b32_e32 v3, v3, v1
	v_sub_co_u32_e32 v12, vcc, v5, v1
	v_subb_co_u32_e32 v13, vcc, v3, v1, vcc
	s_branch .LBB63_1441
.LBB63_1439:
	s_mov_b64 s[12:13], -1
                                        ; implicit-def: $vgpr12_vgpr13
	s_branch .LBB63_1442
.LBB63_1440:
	s_mov_b64 s[0:1], -1
                                        ; implicit-def: $vgpr12_vgpr13
.LBB63_1441:
	s_mov_b64 s[12:13], 0
.LBB63_1442:
	s_and_b64 vcc, exec, s[12:13]
	s_cbranch_vccz .LBB63_1444
; %bb.1443:
	s_cmp_lg_u32 s15, 11
	s_mov_b64 s[4:5], -1
	s_cselect_b64 s[0:1], -1, 0
.LBB63_1444:
	s_and_b64 vcc, exec, s[0:1]
	s_cbranch_vccnz .LBB63_1507
; %bb.1445:
	s_andn2_b64 vcc, exec, s[4:5]
	s_cbranch_vccnz .LBB63_1447
.LBB63_1446:
	global_load_ubyte v1, v[14:15], off
	s_mov_b32 s0, 0
	s_waitcnt vmcnt(1)
	v_mov_b32_e32 v13, s0
	s_mov_b64 s[6:7], -1
	s_waitcnt vmcnt(0)
	v_cmp_ne_u16_e32 vcc, 0, v1
	v_cndmask_b32_e64 v12, 0, 1, vcc
.LBB63_1447:
	s_branch .LBB63_1379
.LBB63_1448:
	s_and_b32 s4, 0xffff, s14
	s_cmp_lt_i32 s4, 5
	s_cbranch_scc1 .LBB63_1453
; %bb.1449:
	s_cmp_lt_i32 s4, 8
	s_cbranch_scc1 .LBB63_1454
; %bb.1450:
	;; [unrolled: 3-line block ×3, first 2 shown]
	s_cmp_gt_i32 s4, 9
	s_cbranch_scc0 .LBB63_1456
; %bb.1452:
	global_load_dwordx2 v[12:13], v[14:15], off
	s_movk_i32 s0, 0xffe0
	s_waitcnt vmcnt(0)
	v_trunc_f64_e32 v[12:13], v[12:13]
	v_ldexp_f64 v[16:17], v[12:13], s0
	s_mov_b32 s0, 0
	s_mov_b32 s1, 0xc1f00000
	v_floor_f64_e32 v[16:17], v[16:17]
	v_fma_f64 v[18:19], v[16:17], s[0:1], v[12:13]
	v_cvt_i32_f64_e32 v13, v[16:17]
	s_mov_b64 s[0:1], 0
	v_cvt_u32_f64_e32 v12, v[18:19]
	s_branch .LBB63_1457
.LBB63_1453:
	s_mov_b64 s[0:1], -1
                                        ; implicit-def: $vgpr12_vgpr13
	s_branch .LBB63_1475
.LBB63_1454:
	s_mov_b64 s[0:1], -1
                                        ; implicit-def: $vgpr12_vgpr13
	s_branch .LBB63_1463
.LBB63_1455:
	s_mov_b64 s[0:1], -1
                                        ; implicit-def: $vgpr12_vgpr13
	s_branch .LBB63_1460
.LBB63_1456:
	s_mov_b64 s[0:1], -1
                                        ; implicit-def: $vgpr12_vgpr13
.LBB63_1457:
	s_andn2_b64 vcc, exec, s[0:1]
	s_cbranch_vccnz .LBB63_1459
; %bb.1458:
	global_load_dword v1, v[14:15], off
	s_mov_b32 s0, 0x2f800000
	s_mov_b32 s1, 0xcf800000
	s_waitcnt vmcnt(0)
	v_trunc_f32_e32 v1, v1
	v_mul_f32_e64 v3, |v1|, s0
	v_floor_f32_e32 v3, v3
	v_cvt_u32_f32_e32 v5, v3
	v_fma_f32 v3, v3, s1, |v1|
	v_cvt_u32_f32_e32 v3, v3
	v_ashrrev_i32_e32 v1, 31, v1
	v_xor_b32_e32 v5, v5, v1
	v_xor_b32_e32 v3, v3, v1
	v_sub_co_u32_e32 v12, vcc, v3, v1
	v_subb_co_u32_e32 v13, vcc, v5, v1, vcc
.LBB63_1459:
	s_mov_b64 s[0:1], 0
.LBB63_1460:
	s_andn2_b64 vcc, exec, s[0:1]
	s_cbranch_vccnz .LBB63_1462
; %bb.1461:
	global_load_dword v1, v[14:15], off
	s_waitcnt vmcnt(0)
	v_cvt_f32_f16_e32 v1, v1
	v_cvt_i32_f32_e32 v12, v1
	v_ashrrev_i32_e32 v13, 31, v12
.LBB63_1462:
	s_mov_b64 s[0:1], 0
.LBB63_1463:
	s_andn2_b64 vcc, exec, s[0:1]
	s_cbranch_vccnz .LBB63_1474
; %bb.1464:
	s_cmp_lt_i32 s4, 6
	s_cbranch_scc1 .LBB63_1467
; %bb.1465:
	s_cmp_gt_i32 s4, 6
	s_cbranch_scc0 .LBB63_1468
; %bb.1466:
	global_load_dwordx2 v[12:13], v[14:15], off
	s_movk_i32 s0, 0xffe0
	s_waitcnt vmcnt(0)
	v_trunc_f64_e32 v[12:13], v[12:13]
	v_ldexp_f64 v[16:17], v[12:13], s0
	s_mov_b32 s0, 0
	s_mov_b32 s1, 0xc1f00000
	v_floor_f64_e32 v[16:17], v[16:17]
	v_fma_f64 v[18:19], v[16:17], s[0:1], v[12:13]
	v_cvt_i32_f64_e32 v13, v[16:17]
	s_mov_b64 s[0:1], 0
	v_cvt_u32_f64_e32 v12, v[18:19]
	s_branch .LBB63_1469
.LBB63_1467:
	s_mov_b64 s[0:1], -1
                                        ; implicit-def: $vgpr12_vgpr13
	s_branch .LBB63_1472
.LBB63_1468:
	s_mov_b64 s[0:1], -1
                                        ; implicit-def: $vgpr12_vgpr13
.LBB63_1469:
	s_andn2_b64 vcc, exec, s[0:1]
	s_cbranch_vccnz .LBB63_1471
; %bb.1470:
	global_load_dword v1, v[14:15], off
	s_mov_b32 s0, 0x2f800000
	s_mov_b32 s1, 0xcf800000
	s_waitcnt vmcnt(0)
	v_trunc_f32_e32 v1, v1
	v_mul_f32_e64 v3, |v1|, s0
	v_floor_f32_e32 v3, v3
	v_cvt_u32_f32_e32 v5, v3
	v_fma_f32 v3, v3, s1, |v1|
	v_cvt_u32_f32_e32 v3, v3
	v_ashrrev_i32_e32 v1, 31, v1
	v_xor_b32_e32 v5, v5, v1
	v_xor_b32_e32 v3, v3, v1
	v_sub_co_u32_e32 v12, vcc, v3, v1
	v_subb_co_u32_e32 v13, vcc, v5, v1, vcc
.LBB63_1471:
	s_mov_b64 s[0:1], 0
.LBB63_1472:
	s_andn2_b64 vcc, exec, s[0:1]
	s_cbranch_vccnz .LBB63_1474
; %bb.1473:
	global_load_ushort v1, v[14:15], off
	s_waitcnt vmcnt(0)
	v_cvt_f32_f16_e32 v1, v1
	v_cvt_i32_f32_e32 v12, v1
	v_ashrrev_i32_e32 v13, 31, v12
.LBB63_1474:
	s_mov_b64 s[0:1], 0
.LBB63_1475:
	s_andn2_b64 vcc, exec, s[0:1]
	s_cbranch_vccnz .LBB63_1495
; %bb.1476:
	s_cmp_lt_i32 s4, 2
	s_cbranch_scc1 .LBB63_1480
; %bb.1477:
	s_cmp_lt_i32 s4, 3
	s_cbranch_scc1 .LBB63_1481
; %bb.1478:
	s_cmp_gt_i32 s4, 3
	s_cbranch_scc0 .LBB63_1482
; %bb.1479:
	global_load_dwordx2 v[12:13], v[14:15], off
	s_mov_b64 s[0:1], 0
	s_branch .LBB63_1483
.LBB63_1480:
	s_mov_b64 s[0:1], -1
                                        ; implicit-def: $vgpr12_vgpr13
	s_branch .LBB63_1489
.LBB63_1481:
	s_mov_b64 s[0:1], -1
                                        ; implicit-def: $vgpr12_vgpr13
	s_branch .LBB63_1486
.LBB63_1482:
	s_mov_b64 s[0:1], -1
                                        ; implicit-def: $vgpr12_vgpr13
.LBB63_1483:
	s_andn2_b64 vcc, exec, s[0:1]
	s_cbranch_vccnz .LBB63_1485
; %bb.1484:
	global_load_dword v12, v[14:15], off
	s_waitcnt vmcnt(0)
	v_ashrrev_i32_e32 v13, 31, v12
.LBB63_1485:
	s_mov_b64 s[0:1], 0
.LBB63_1486:
	s_andn2_b64 vcc, exec, s[0:1]
	s_cbranch_vccnz .LBB63_1488
; %bb.1487:
	global_load_ushort v1, v[14:15], off
	s_waitcnt vmcnt(0)
	v_bfe_i32 v12, v1, 0, 16
	v_ashrrev_i32_e32 v13, 31, v12
.LBB63_1488:
	s_mov_b64 s[0:1], 0
.LBB63_1489:
	s_andn2_b64 vcc, exec, s[0:1]
	s_cbranch_vccnz .LBB63_1495
; %bb.1490:
	s_cmp_gt_i32 s4, 0
	s_cbranch_scc0 .LBB63_1492
; %bb.1491:
	global_load_sbyte v1, v[14:15], off
	s_mov_b64 s[0:1], 0
	s_waitcnt vmcnt(0)
	v_bfe_i32 v12, v1, 0, 16
	v_ashrrev_i32_e32 v13, 31, v12
	s_branch .LBB63_1493
.LBB63_1492:
	s_mov_b64 s[0:1], -1
                                        ; implicit-def: $vgpr12_vgpr13
.LBB63_1493:
	s_andn2_b64 vcc, exec, s[0:1]
	s_cbranch_vccnz .LBB63_1495
; %bb.1494:
	global_load_ubyte v1, v[14:15], off
	s_mov_b32 s0, 0
	s_waitcnt vmcnt(1)
	v_mov_b32_e32 v13, s0
	s_waitcnt vmcnt(0)
	v_and_b32_e32 v12, 0xffff, v1
.LBB63_1495:
.LBB63_1496:
	v_mov_b32_e32 v1, s11
	v_add_co_u32_e32 v16, vcc, s10, v11
	s_cmp_lt_i32 s14, 11
	v_addc_co_u32_e32 v17, vcc, 0, v1, vcc
	s_cbranch_scc1 .LBB63_1503
; %bb.1497:
	s_and_b32 s12, 0xffff, s14
	s_cmp_gt_i32 s12, 25
	s_mov_b64 s[4:5], 0
	s_cbranch_scc0 .LBB63_1504
; %bb.1498:
	s_cmp_gt_i32 s12, 28
	s_cbranch_scc0 .LBB63_1505
; %bb.1499:
	s_cmp_gt_i32 s12, 43
	;; [unrolled: 3-line block ×3, first 2 shown]
	s_cbranch_scc0 .LBB63_1508
; %bb.1501:
	s_cmp_eq_u32 s12, 46
	s_mov_b64 s[10:11], 0
	s_cbranch_scc0 .LBB63_1509
; %bb.1502:
	global_load_dword v1, v[16:17], off
	s_mov_b32 s0, 0x2f800000
	s_mov_b32 s1, 0xcf800000
	s_mov_b64 s[6:7], -1
	s_waitcnt vmcnt(0)
	v_lshlrev_b32_e32 v1, 16, v1
	v_trunc_f32_e32 v1, v1
	v_mul_f32_e64 v3, |v1|, s0
	v_floor_f32_e32 v3, v3
	v_fma_f32 v5, v3, s1, |v1|
	v_cvt_u32_f32_e32 v5, v5
	v_cvt_u32_f32_e32 v3, v3
	v_ashrrev_i32_e32 v1, 31, v1
	s_mov_b64 s[0:1], 0
	v_xor_b32_e32 v5, v5, v1
	v_xor_b32_e32 v3, v3, v1
	v_sub_co_u32_e32 v14, vcc, v5, v1
	v_subb_co_u32_e32 v15, vcc, v3, v1, vcc
	s_branch .LBB63_1510
.LBB63_1503:
	s_mov_b64 s[0:1], -1
	s_mov_b64 s[6:7], 0
                                        ; implicit-def: $vgpr14_vgpr15
	s_branch .LBB63_1572
.LBB63_1504:
	s_mov_b64 s[10:11], -1
	s_mov_b64 s[6:7], 0
	s_mov_b64 s[0:1], 0
                                        ; implicit-def: $vgpr14_vgpr15
	s_branch .LBB63_1539
.LBB63_1505:
	s_mov_b64 s[10:11], -1
	s_mov_b64 s[6:7], 0
	s_mov_b64 s[0:1], 0
                                        ; implicit-def: $vgpr14_vgpr15
	s_branch .LBB63_1520
.LBB63_1506:
	s_mov_b64 s[10:11], -1
	s_mov_b64 s[6:7], 0
	s_mov_b64 s[0:1], 0
                                        ; implicit-def: $vgpr14_vgpr15
	s_branch .LBB63_1515
.LBB63_1507:
	s_trap 2
	s_or_b64 s[2:3], s[2:3], exec
	s_cbranch_execz .LBB63_1446
	s_branch .LBB63_1447
.LBB63_1508:
	s_mov_b64 s[10:11], -1
	s_mov_b64 s[6:7], 0
	s_mov_b64 s[0:1], 0
                                        ; implicit-def: $vgpr14_vgpr15
	s_branch .LBB63_1510
.LBB63_1509:
	s_mov_b64 s[0:1], -1
                                        ; implicit-def: $vgpr14_vgpr15
	s_mov_b64 s[6:7], 0
.LBB63_1510:
	s_and_b64 vcc, exec, s[10:11]
	s_cbranch_vccz .LBB63_1514
; %bb.1511:
	s_cmp_eq_u32 s12, 44
	s_cbranch_scc0 .LBB63_1513
; %bb.1512:
	global_load_ubyte v1, v[16:17], off
	s_mov_b32 s0, 0x2f800000
	s_mov_b32 s1, 0xcf800000
	s_mov_b64 s[6:7], -1
	s_waitcnt vmcnt(0)
	v_lshlrev_b32_e32 v3, 23, v1
	v_trunc_f32_e32 v3, v3
	v_mul_f32_e64 v5, |v3|, s0
	v_floor_f32_e32 v5, v5
	v_fma_f32 v11, v5, s1, |v3|
	v_cvt_u32_f32_e32 v11, v11
	v_cvt_u32_f32_e32 v5, v5
	v_ashrrev_i32_e32 v3, 31, v3
	s_mov_b64 s[0:1], 0
	v_xor_b32_e32 v11, v11, v3
	v_xor_b32_e32 v5, v5, v3
	v_sub_co_u32_e32 v11, vcc, v11, v3
	v_subb_co_u32_e32 v3, vcc, v5, v3, vcc
	v_cmp_ne_u32_e32 vcc, 0, v1
	v_cndmask_b32_e32 v15, 0, v3, vcc
	v_cndmask_b32_e32 v14, 0, v11, vcc
	s_branch .LBB63_1514
.LBB63_1513:
	s_mov_b64 s[0:1], -1
                                        ; implicit-def: $vgpr14_vgpr15
.LBB63_1514:
	s_mov_b64 s[10:11], 0
.LBB63_1515:
	s_and_b64 vcc, exec, s[10:11]
	s_cbranch_vccz .LBB63_1519
; %bb.1516:
	s_cmp_eq_u32 s12, 29
	s_cbranch_scc0 .LBB63_1518
; %bb.1517:
	global_load_dwordx2 v[14:15], v[16:17], off
	s_mov_b64 s[0:1], 0
	s_mov_b64 s[6:7], -1
	s_branch .LBB63_1519
.LBB63_1518:
	s_mov_b64 s[0:1], -1
                                        ; implicit-def: $vgpr14_vgpr15
.LBB63_1519:
	s_mov_b64 s[10:11], 0
.LBB63_1520:
	s_and_b64 vcc, exec, s[10:11]
	s_cbranch_vccz .LBB63_1538
; %bb.1521:
	s_cmp_lt_i32 s12, 27
	s_cbranch_scc1 .LBB63_1524
; %bb.1522:
	s_cmp_gt_i32 s12, 27
	s_cbranch_scc0 .LBB63_1525
; %bb.1523:
	global_load_dword v14, v[16:17], off
	s_waitcnt vmcnt(1)
	v_mov_b32_e32 v15, 0
	s_mov_b64 s[6:7], 0
	s_branch .LBB63_1526
.LBB63_1524:
	s_mov_b64 s[6:7], -1
                                        ; implicit-def: $vgpr14_vgpr15
	s_branch .LBB63_1529
.LBB63_1525:
	s_mov_b64 s[6:7], -1
                                        ; implicit-def: $vgpr14_vgpr15
.LBB63_1526:
	s_andn2_b64 vcc, exec, s[6:7]
	s_cbranch_vccnz .LBB63_1528
; %bb.1527:
	global_load_ushort v1, v[16:17], off
	s_mov_b32 s6, 0
	s_waitcnt vmcnt(1)
	v_mov_b32_e32 v15, s6
	s_waitcnt vmcnt(0)
	v_and_b32_e32 v14, 0xffff, v1
.LBB63_1528:
	s_mov_b64 s[6:7], 0
.LBB63_1529:
	s_andn2_b64 vcc, exec, s[6:7]
	s_cbranch_vccnz .LBB63_1537
; %bb.1530:
	global_load_ubyte v1, v[16:17], off
	s_movk_i32 s6, 0x7f
	s_mov_b64 s[10:11], 0
	s_waitcnt vmcnt(0)
	v_cmp_lt_i16_e32 vcc, s6, v1
	s_and_saveexec_b64 s[6:7], vcc
	s_xor_b64 s[6:7], exec, s[6:7]
; %bb.1531:
	s_movk_i32 s10, 0x80
	v_cmp_ne_u16_e32 vcc, s10, v1
	s_and_b64 s[10:11], vcc, exec
; %bb.1532:
	s_andn2_saveexec_b64 s[6:7], s[6:7]
; %bb.1533:
	v_cmp_ne_u16_e32 vcc, 0, v1
	s_andn2_b64 s[10:11], s[10:11], exec
	s_and_b64 s[16:17], vcc, exec
	s_or_b64 s[10:11], s[10:11], s[16:17]
; %bb.1534:
	s_or_b64 exec, exec, s[6:7]
	v_mov_b32_e32 v14, 0
	v_mov_b32_e32 v15, 0
	s_and_saveexec_b64 s[6:7], s[10:11]
	s_cbranch_execz .LBB63_1536
; %bb.1535:
	v_lshlrev_b32_e32 v3, 24, v1
	v_and_b32_e32 v1, 0xffff, v1
	v_and_b32_e32 v5, 7, v1
	v_ffbh_u32_e32 v14, v5
	v_min_u32_e32 v14, 32, v14
	v_subrev_u32_e32 v15, 28, v14
	v_bfe_u32 v11, v1, 3, 4
	v_lshlrev_b32_e32 v1, v15, v1
	v_sub_u32_e32 v14, 29, v14
	v_and_b32_e32 v1, 7, v1
	v_cmp_eq_u32_e32 vcc, 0, v11
	v_cndmask_b32_e32 v11, v11, v14, vcc
	v_cndmask_b32_e32 v1, v5, v1, vcc
	v_mov_b32_e32 v5, 0x3b800000
	v_lshlrev_b32_e32 v1, 20, v1
	v_and_b32_e32 v3, 0x80000000, v3
	v_lshl_add_u32 v5, v11, 23, v5
	v_or3_b32 v1, v3, v5, v1
	v_trunc_f32_e32 v1, v1
	s_mov_b32 s10, 0x2f800000
	v_mul_f32_e64 v3, |v1|, s10
	v_floor_f32_e32 v3, v3
	s_mov_b32 s10, 0xcf800000
	v_fma_f32 v5, v3, s10, |v1|
	v_cvt_u32_f32_e32 v5, v5
	v_cvt_u32_f32_e32 v3, v3
	v_ashrrev_i32_e32 v1, 31, v1
	v_xor_b32_e32 v5, v5, v1
	v_xor_b32_e32 v3, v3, v1
	v_sub_co_u32_e32 v14, vcc, v5, v1
	v_subb_co_u32_e32 v15, vcc, v3, v1, vcc
.LBB63_1536:
	s_or_b64 exec, exec, s[6:7]
.LBB63_1537:
	s_mov_b64 s[6:7], -1
.LBB63_1538:
	s_mov_b64 s[10:11], 0
.LBB63_1539:
	s_and_b64 vcc, exec, s[10:11]
	s_cbranch_vccz .LBB63_1568
; %bb.1540:
	s_cmp_gt_i32 s12, 22
	s_cbranch_scc0 .LBB63_1550
; %bb.1541:
	s_cmp_lt_i32 s12, 24
	s_cbranch_scc1 .LBB63_1551
; %bb.1542:
	s_cmp_gt_i32 s12, 24
	s_cbranch_scc0 .LBB63_1552
; %bb.1543:
	global_load_ubyte v1, v[16:17], off
	s_movk_i32 s4, 0x7f
	s_mov_b64 s[6:7], 0
	s_waitcnt vmcnt(0)
	v_cmp_lt_i16_e32 vcc, s4, v1
	s_and_saveexec_b64 s[4:5], vcc
	s_xor_b64 s[4:5], exec, s[4:5]
; %bb.1544:
	s_movk_i32 s6, 0x80
	v_cmp_ne_u16_e32 vcc, s6, v1
	s_and_b64 s[6:7], vcc, exec
; %bb.1545:
	s_andn2_saveexec_b64 s[4:5], s[4:5]
; %bb.1546:
	v_cmp_ne_u16_e32 vcc, 0, v1
	s_andn2_b64 s[6:7], s[6:7], exec
	s_and_b64 s[10:11], vcc, exec
	s_or_b64 s[6:7], s[6:7], s[10:11]
; %bb.1547:
	s_or_b64 exec, exec, s[4:5]
	v_mov_b32_e32 v14, 0
	v_mov_b32_e32 v15, 0
	s_and_saveexec_b64 s[4:5], s[6:7]
	s_cbranch_execz .LBB63_1549
; %bb.1548:
	v_lshlrev_b32_e32 v3, 24, v1
	v_and_b32_e32 v1, 0xffff, v1
	v_and_b32_e32 v5, 3, v1
	v_ffbh_u32_e32 v14, v5
	v_min_u32_e32 v14, 32, v14
	v_subrev_u32_e32 v15, 29, v14
	v_bfe_u32 v11, v1, 2, 5
	v_lshlrev_b32_e32 v1, v15, v1
	v_sub_u32_e32 v14, 30, v14
	v_and_b32_e32 v1, 3, v1
	v_cmp_eq_u32_e32 vcc, 0, v11
	v_cndmask_b32_e32 v11, v11, v14, vcc
	v_cndmask_b32_e32 v1, v5, v1, vcc
	v_mov_b32_e32 v5, 0x37800000
	v_lshlrev_b32_e32 v1, 21, v1
	v_and_b32_e32 v3, 0x80000000, v3
	v_lshl_add_u32 v5, v11, 23, v5
	v_or3_b32 v1, v3, v5, v1
	v_trunc_f32_e32 v1, v1
	s_mov_b32 s6, 0x2f800000
	v_mul_f32_e64 v3, |v1|, s6
	v_floor_f32_e32 v3, v3
	s_mov_b32 s6, 0xcf800000
	v_fma_f32 v5, v3, s6, |v1|
	v_cvt_u32_f32_e32 v5, v5
	v_cvt_u32_f32_e32 v3, v3
	v_ashrrev_i32_e32 v1, 31, v1
	v_xor_b32_e32 v5, v5, v1
	v_xor_b32_e32 v3, v3, v1
	v_sub_co_u32_e32 v14, vcc, v5, v1
	v_subb_co_u32_e32 v15, vcc, v3, v1, vcc
.LBB63_1549:
	s_or_b64 exec, exec, s[4:5]
	s_mov_b64 s[4:5], 0
	s_branch .LBB63_1553
.LBB63_1550:
	s_mov_b64 s[4:5], -1
                                        ; implicit-def: $vgpr14_vgpr15
	s_branch .LBB63_1559
.LBB63_1551:
	s_mov_b64 s[4:5], -1
                                        ; implicit-def: $vgpr14_vgpr15
	s_branch .LBB63_1556
.LBB63_1552:
	s_mov_b64 s[4:5], -1
                                        ; implicit-def: $vgpr14_vgpr15
.LBB63_1553:
	s_and_b64 vcc, exec, s[4:5]
	s_cbranch_vccz .LBB63_1555
; %bb.1554:
	global_load_ubyte v1, v[16:17], off
	s_mov_b32 s4, 0x7f800000
	s_brev_b32 s5, 1
	s_mov_b32 s6, 0x2f800000
	s_mov_b32 s7, 0xcf800000
	s_waitcnt vmcnt(0)
	v_lshlrev_b32_e32 v1, 24, v1
	v_and_b32_e32 v3, 0x7f000000, v1
	v_ffbh_u32_e32 v5, v3
	v_min_u32_e32 v5, 32, v5
	v_sub_u32_e64 v5, v5, 4 clamp
	v_lshlrev_b32_e32 v14, v5, v3
	v_lshlrev_b32_e32 v5, 23, v5
	v_lshrrev_b32_e32 v14, 4, v14
	v_add_u32_e32 v11, 0x1000000, v3
	v_sub_u32_e32 v5, v14, v5
	v_ashrrev_i32_e32 v11, 8, v11
	v_add_u32_e32 v5, 0x3c000000, v5
	v_and_or_b32 v5, v11, s4, v5
	v_cmp_ne_u32_e32 vcc, 0, v3
	v_cndmask_b32_e32 v3, 0, v5, vcc
	v_and_or_b32 v1, v1, s5, v3
	v_trunc_f32_e32 v1, v1
	v_mul_f32_e64 v3, |v1|, s6
	v_floor_f32_e32 v3, v3
	v_fma_f32 v5, v3, s7, |v1|
	v_cvt_u32_f32_e32 v5, v5
	v_cvt_u32_f32_e32 v3, v3
	v_ashrrev_i32_e32 v1, 31, v1
	v_xor_b32_e32 v5, v5, v1
	v_xor_b32_e32 v3, v3, v1
	v_sub_co_u32_e32 v14, vcc, v5, v1
	v_subb_co_u32_e32 v15, vcc, v3, v1, vcc
.LBB63_1555:
	s_mov_b64 s[4:5], 0
.LBB63_1556:
	s_andn2_b64 vcc, exec, s[4:5]
	s_cbranch_vccnz .LBB63_1558
; %bb.1557:
	global_load_ubyte v1, v[16:17], off
	s_movk_i32 s4, 0x7f00
	s_brev_b32 s5, 16
	s_brev_b32 s6, 1
	s_mov_b32 s7, 0x2f800000
	s_mov_b32 s10, 0xcf800000
	s_waitcnt vmcnt(0)
	v_lshlrev_b16_e32 v3, 8, v1
	v_lshlrev_b32_e32 v1, 25, v1
	v_lshrrev_b32_e32 v5, 4, v1
	v_and_or_b32 v11, v3, s4, 0.5
	v_or_b32_e32 v5, 0x70000000, v5
	v_add_f32_e32 v11, -0.5, v11
	v_mul_f32_e32 v5, 0x7800000, v5
	v_cmp_gt_u32_e32 vcc, s5, v1
	v_bfe_i32 v3, v3, 0, 16
	v_cndmask_b32_e32 v1, v5, v11, vcc
	v_and_or_b32 v1, v3, s6, v1
	v_trunc_f32_e32 v1, v1
	v_mul_f32_e64 v3, |v1|, s7
	v_floor_f32_e32 v3, v3
	v_fma_f32 v5, v3, s10, |v1|
	v_cvt_u32_f32_e32 v5, v5
	v_cvt_u32_f32_e32 v3, v3
	v_ashrrev_i32_e32 v1, 31, v1
	v_xor_b32_e32 v5, v5, v1
	v_xor_b32_e32 v3, v3, v1
	v_sub_co_u32_e32 v14, vcc, v5, v1
	v_subb_co_u32_e32 v15, vcc, v3, v1, vcc
.LBB63_1558:
	s_mov_b64 s[4:5], 0
	s_mov_b64 s[6:7], -1
.LBB63_1559:
	s_andn2_b64 vcc, exec, s[4:5]
	s_mov_b64 s[4:5], 0
	s_cbranch_vccnz .LBB63_1568
; %bb.1560:
	s_cmp_gt_i32 s12, 14
	s_cbranch_scc0 .LBB63_1563
; %bb.1561:
	s_cmp_eq_u32 s12, 15
	s_cbranch_scc0 .LBB63_1564
; %bb.1562:
	global_load_ushort v1, v[16:17], off
	s_mov_b32 s0, 0x2f800000
	s_mov_b32 s1, 0xcf800000
	s_mov_b64 s[6:7], -1
	s_waitcnt vmcnt(0)
	v_lshlrev_b32_e32 v1, 16, v1
	v_trunc_f32_e32 v1, v1
	v_mul_f32_e64 v3, |v1|, s0
	v_floor_f32_e32 v3, v3
	v_fma_f32 v5, v3, s1, |v1|
	v_cvt_u32_f32_e32 v5, v5
	v_cvt_u32_f32_e32 v3, v3
	v_ashrrev_i32_e32 v1, 31, v1
	s_mov_b64 s[0:1], 0
	v_xor_b32_e32 v5, v5, v1
	v_xor_b32_e32 v3, v3, v1
	v_sub_co_u32_e32 v14, vcc, v5, v1
	v_subb_co_u32_e32 v15, vcc, v3, v1, vcc
	s_branch .LBB63_1565
.LBB63_1563:
	s_mov_b64 s[10:11], -1
                                        ; implicit-def: $vgpr14_vgpr15
	s_branch .LBB63_1566
.LBB63_1564:
	s_mov_b64 s[0:1], -1
                                        ; implicit-def: $vgpr14_vgpr15
.LBB63_1565:
	s_mov_b64 s[10:11], 0
.LBB63_1566:
	s_and_b64 vcc, exec, s[10:11]
	s_cbranch_vccz .LBB63_1568
; %bb.1567:
	s_cmp_lg_u32 s12, 11
	s_mov_b64 s[4:5], -1
	s_cselect_b64 s[0:1], -1, 0
.LBB63_1568:
	s_and_b64 vcc, exec, s[0:1]
	s_cbranch_vccnz .LBB63_2101
; %bb.1569:
	s_andn2_b64 vcc, exec, s[4:5]
	s_cbranch_vccnz .LBB63_1571
.LBB63_1570:
	global_load_ubyte v1, v[16:17], off
	s_mov_b32 s0, 0
	s_waitcnt vmcnt(1)
	v_mov_b32_e32 v15, s0
	s_mov_b64 s[6:7], -1
	s_waitcnt vmcnt(0)
	v_cmp_ne_u16_e32 vcc, 0, v1
	v_cndmask_b32_e64 v14, 0, 1, vcc
.LBB63_1571:
	s_mov_b64 s[0:1], 0
.LBB63_1572:
	s_and_b64 vcc, exec, s[0:1]
	s_cbranch_vccz .LBB63_1621
; %bb.1573:
	s_and_b32 s4, 0xffff, s14
	s_cmp_lt_i32 s4, 5
	s_cbranch_scc1 .LBB63_1578
; %bb.1574:
	s_cmp_lt_i32 s4, 8
	s_cbranch_scc1 .LBB63_1579
; %bb.1575:
	;; [unrolled: 3-line block ×3, first 2 shown]
	s_cmp_gt_i32 s4, 9
	s_cbranch_scc0 .LBB63_1581
; %bb.1577:
	global_load_dwordx2 v[14:15], v[16:17], off
	s_movk_i32 s0, 0xffe0
	s_waitcnt vmcnt(0)
	v_trunc_f64_e32 v[14:15], v[14:15]
	v_ldexp_f64 v[18:19], v[14:15], s0
	s_mov_b32 s0, 0
	s_mov_b32 s1, 0xc1f00000
	v_floor_f64_e32 v[18:19], v[18:19]
	v_fma_f64 v[20:21], v[18:19], s[0:1], v[14:15]
	v_cvt_i32_f64_e32 v15, v[18:19]
	s_mov_b64 s[0:1], 0
	v_cvt_u32_f64_e32 v14, v[20:21]
	s_branch .LBB63_1582
.LBB63_1578:
	s_mov_b64 s[0:1], -1
                                        ; implicit-def: $vgpr14_vgpr15
	s_branch .LBB63_1600
.LBB63_1579:
	s_mov_b64 s[0:1], -1
                                        ; implicit-def: $vgpr14_vgpr15
	s_branch .LBB63_1588
.LBB63_1580:
	s_mov_b64 s[0:1], -1
                                        ; implicit-def: $vgpr14_vgpr15
	s_branch .LBB63_1585
.LBB63_1581:
	s_mov_b64 s[0:1], -1
                                        ; implicit-def: $vgpr14_vgpr15
.LBB63_1582:
	s_andn2_b64 vcc, exec, s[0:1]
	s_cbranch_vccnz .LBB63_1584
; %bb.1583:
	global_load_dword v1, v[16:17], off
	s_mov_b32 s0, 0x2f800000
	s_mov_b32 s1, 0xcf800000
	s_waitcnt vmcnt(0)
	v_trunc_f32_e32 v1, v1
	v_mul_f32_e64 v3, |v1|, s0
	v_floor_f32_e32 v3, v3
	v_cvt_u32_f32_e32 v5, v3
	v_fma_f32 v3, v3, s1, |v1|
	v_cvt_u32_f32_e32 v3, v3
	v_ashrrev_i32_e32 v1, 31, v1
	v_xor_b32_e32 v5, v5, v1
	v_xor_b32_e32 v3, v3, v1
	v_sub_co_u32_e32 v14, vcc, v3, v1
	v_subb_co_u32_e32 v15, vcc, v5, v1, vcc
.LBB63_1584:
	s_mov_b64 s[0:1], 0
.LBB63_1585:
	s_andn2_b64 vcc, exec, s[0:1]
	s_cbranch_vccnz .LBB63_1587
; %bb.1586:
	global_load_dword v1, v[16:17], off
	s_waitcnt vmcnt(0)
	v_cvt_f32_f16_e32 v1, v1
	v_cvt_i32_f32_e32 v14, v1
	v_ashrrev_i32_e32 v15, 31, v14
.LBB63_1587:
	s_mov_b64 s[0:1], 0
.LBB63_1588:
	s_andn2_b64 vcc, exec, s[0:1]
	s_cbranch_vccnz .LBB63_1599
; %bb.1589:
	s_cmp_lt_i32 s4, 6
	s_cbranch_scc1 .LBB63_1592
; %bb.1590:
	s_cmp_gt_i32 s4, 6
	s_cbranch_scc0 .LBB63_1593
; %bb.1591:
	global_load_dwordx2 v[14:15], v[16:17], off
	s_movk_i32 s0, 0xffe0
	s_waitcnt vmcnt(0)
	v_trunc_f64_e32 v[14:15], v[14:15]
	v_ldexp_f64 v[18:19], v[14:15], s0
	s_mov_b32 s0, 0
	s_mov_b32 s1, 0xc1f00000
	v_floor_f64_e32 v[18:19], v[18:19]
	v_fma_f64 v[20:21], v[18:19], s[0:1], v[14:15]
	v_cvt_i32_f64_e32 v15, v[18:19]
	s_mov_b64 s[0:1], 0
	v_cvt_u32_f64_e32 v14, v[20:21]
	s_branch .LBB63_1594
.LBB63_1592:
	s_mov_b64 s[0:1], -1
                                        ; implicit-def: $vgpr14_vgpr15
	s_branch .LBB63_1597
.LBB63_1593:
	s_mov_b64 s[0:1], -1
                                        ; implicit-def: $vgpr14_vgpr15
.LBB63_1594:
	s_andn2_b64 vcc, exec, s[0:1]
	s_cbranch_vccnz .LBB63_1596
; %bb.1595:
	global_load_dword v1, v[16:17], off
	s_mov_b32 s0, 0x2f800000
	s_mov_b32 s1, 0xcf800000
	s_waitcnt vmcnt(0)
	v_trunc_f32_e32 v1, v1
	v_mul_f32_e64 v3, |v1|, s0
	v_floor_f32_e32 v3, v3
	v_cvt_u32_f32_e32 v5, v3
	v_fma_f32 v3, v3, s1, |v1|
	v_cvt_u32_f32_e32 v3, v3
	v_ashrrev_i32_e32 v1, 31, v1
	v_xor_b32_e32 v5, v5, v1
	v_xor_b32_e32 v3, v3, v1
	v_sub_co_u32_e32 v14, vcc, v3, v1
	v_subb_co_u32_e32 v15, vcc, v5, v1, vcc
.LBB63_1596:
	s_mov_b64 s[0:1], 0
.LBB63_1597:
	s_andn2_b64 vcc, exec, s[0:1]
	s_cbranch_vccnz .LBB63_1599
; %bb.1598:
	global_load_ushort v1, v[16:17], off
	s_waitcnt vmcnt(0)
	v_cvt_f32_f16_e32 v1, v1
	v_cvt_i32_f32_e32 v14, v1
	v_ashrrev_i32_e32 v15, 31, v14
.LBB63_1599:
	s_mov_b64 s[0:1], 0
.LBB63_1600:
	s_andn2_b64 vcc, exec, s[0:1]
	s_cbranch_vccnz .LBB63_1620
; %bb.1601:
	s_cmp_lt_i32 s4, 2
	s_cbranch_scc1 .LBB63_1605
; %bb.1602:
	s_cmp_lt_i32 s4, 3
	s_cbranch_scc1 .LBB63_1606
; %bb.1603:
	s_cmp_gt_i32 s4, 3
	s_cbranch_scc0 .LBB63_1607
; %bb.1604:
	global_load_dwordx2 v[14:15], v[16:17], off
	s_mov_b64 s[0:1], 0
	s_branch .LBB63_1608
.LBB63_1605:
	s_mov_b64 s[0:1], -1
                                        ; implicit-def: $vgpr14_vgpr15
	s_branch .LBB63_1614
.LBB63_1606:
	s_mov_b64 s[0:1], -1
                                        ; implicit-def: $vgpr14_vgpr15
	s_branch .LBB63_1611
.LBB63_1607:
	s_mov_b64 s[0:1], -1
                                        ; implicit-def: $vgpr14_vgpr15
.LBB63_1608:
	s_andn2_b64 vcc, exec, s[0:1]
	s_cbranch_vccnz .LBB63_1610
; %bb.1609:
	global_load_dword v14, v[16:17], off
	s_waitcnt vmcnt(0)
	v_ashrrev_i32_e32 v15, 31, v14
.LBB63_1610:
	s_mov_b64 s[0:1], 0
.LBB63_1611:
	s_andn2_b64 vcc, exec, s[0:1]
	s_cbranch_vccnz .LBB63_1613
; %bb.1612:
	global_load_ushort v1, v[16:17], off
	s_waitcnt vmcnt(0)
	v_bfe_i32 v14, v1, 0, 16
	v_ashrrev_i32_e32 v15, 31, v14
.LBB63_1613:
	s_mov_b64 s[0:1], 0
.LBB63_1614:
	s_andn2_b64 vcc, exec, s[0:1]
	s_cbranch_vccnz .LBB63_1620
; %bb.1615:
	s_cmp_gt_i32 s4, 0
	s_cbranch_scc0 .LBB63_1617
; %bb.1616:
	global_load_sbyte v1, v[16:17], off
	s_mov_b64 s[0:1], 0
	s_waitcnt vmcnt(0)
	v_bfe_i32 v14, v1, 0, 16
	v_ashrrev_i32_e32 v15, 31, v14
	s_branch .LBB63_1618
.LBB63_1617:
	s_mov_b64 s[0:1], -1
                                        ; implicit-def: $vgpr14_vgpr15
.LBB63_1618:
	s_andn2_b64 vcc, exec, s[0:1]
	s_cbranch_vccnz .LBB63_1620
; %bb.1619:
	global_load_ubyte v1, v[16:17], off
	s_mov_b32 s0, 0
	s_waitcnt vmcnt(1)
	v_mov_b32_e32 v15, s0
	s_waitcnt vmcnt(0)
	v_and_b32_e32 v14, 0xffff, v1
.LBB63_1620:
	s_mov_b64 s[6:7], -1
.LBB63_1621:
	s_andn2_b64 vcc, exec, s[6:7]
	s_cbranch_vccnz .LBB63_2055
; %bb.1622:
	s_load_dword s0, s[34:35], 0x158
	s_load_dwordx2 s[4:5], s[34:35], 0x160
	s_load_dword s1, s[34:35], 0x168
	v_mov_b32_e32 v1, s9
	s_waitcnt lgkmcnt(0)
	s_cmp_eq_u32 s0, 0
	s_waitcnt vmcnt(0)
	v_cmp_ne_u64_e32 vcc, s[4:5], v[7:8]
	s_cselect_b64 s[6:7], -1, 0
	s_and_b32 s20, s1, 0xff
	s_xor_b64 s[10:11], s[6:7], vcc
	v_add_co_u32_e32 v5, vcc, s8, v6
	s_cmp_lt_i32 s20, 11
	v_addc_co_u32_e32 v6, vcc, 0, v1, vcc
	s_cbranch_scc1 .LBB63_1700
; %bb.1623:
	s_and_b32 s21, 0xffff, s20
	s_mov_b64 s[16:17], -1
	s_mov_b64 s[12:13], 0
	s_cmp_gt_i32 s21, 25
	s_mov_b64 s[14:15], 0
	s_mov_b64 s[0:1], 0
	s_cbranch_scc0 .LBB63_1656
; %bb.1624:
	s_cmp_gt_i32 s21, 28
	s_cbranch_scc0 .LBB63_1639
; %bb.1625:
	s_cmp_gt_i32 s21, 43
	;; [unrolled: 3-line block ×3, first 2 shown]
	s_cbranch_scc0 .LBB63_1629
; %bb.1627:
	s_mov_b64 s[0:1], -1
	s_mov_b64 s[16:17], 0
	s_cmp_eq_u32 s21, 46
	s_cbranch_scc0 .LBB63_1629
; %bb.1628:
	v_cndmask_b32_e64 v1, 0, 1.0, s[10:11]
	v_bfe_u32 v3, v1, 16, 1
	s_movk_i32 s0, 0x7fff
	v_add3_u32 v1, v1, v3, s0
	v_lshrrev_b32_e32 v1, 16, v1
	global_store_dword v[5:6], v1, off
	s_mov_b64 s[0:1], 0
	s_mov_b64 s[14:15], -1
.LBB63_1629:
	s_and_b64 vcc, exec, s[16:17]
	s_cbranch_vccz .LBB63_1634
; %bb.1630:
	s_cmp_eq_u32 s21, 44
	s_mov_b64 s[0:1], -1
	s_cbranch_scc0 .LBB63_1634
; %bb.1631:
	v_cndmask_b32_e64 v3, 0, 1.0, s[10:11]
	v_lshrrev_b32_e32 v1, 23, v3
	s_movk_i32 s0, 0xff
	v_cmp_ne_u32_e32 vcc, s0, v1
	v_mov_b32_e32 v7, 0xff
	s_and_saveexec_b64 s[14:15], vcc
; %bb.1632:
	s_mov_b32 s0, 0x3fffff
	v_and_b32_e32 v7, 0x400000, v3
	v_and_or_b32 v3, v3, s0, v1
	v_cmp_ne_u32_e32 vcc, 0, v7
	v_cmp_ne_u32_e64 s[0:1], 0, v3
	s_and_b64 s[0:1], vcc, s[0:1]
	v_cndmask_b32_e64 v3, 0, 1, s[0:1]
	v_add_u32_e32 v7, v1, v3
; %bb.1633:
	s_or_b64 exec, exec, s[14:15]
	s_mov_b64 s[0:1], 0
	s_mov_b64 s[14:15], -1
	global_store_byte v[5:6], v7, off
.LBB63_1634:
	s_mov_b64 s[16:17], 0
.LBB63_1635:
	s_and_b64 vcc, exec, s[16:17]
	s_cbranch_vccz .LBB63_1638
; %bb.1636:
	s_cmp_eq_u32 s21, 29
	s_mov_b64 s[0:1], -1
	s_cbranch_scc0 .LBB63_1638
; %bb.1637:
	s_mov_b32 s0, 0
	v_cndmask_b32_e64 v7, 0, 1, s[10:11]
	v_mov_b32_e32 v8, s0
	global_store_dwordx2 v[5:6], v[7:8], off
	s_mov_b64 s[0:1], 0
	s_mov_b64 s[14:15], -1
.LBB63_1638:
	s_mov_b64 s[16:17], 0
.LBB63_1639:
	s_and_b64 vcc, exec, s[16:17]
	s_cbranch_vccz .LBB63_1655
; %bb.1640:
	s_cmp_lt_i32 s21, 27
	s_mov_b64 s[14:15], -1
	s_cbranch_scc1 .LBB63_1646
; %bb.1641:
	s_cmp_gt_i32 s21, 27
	s_cbranch_scc0 .LBB63_1643
; %bb.1642:
	v_cndmask_b32_e64 v1, 0, 1, s[10:11]
	s_mov_b64 s[14:15], 0
	global_store_dword v[5:6], v1, off
.LBB63_1643:
	s_andn2_b64 vcc, exec, s[14:15]
	s_cbranch_vccnz .LBB63_1645
; %bb.1644:
	v_cndmask_b32_e64 v1, 0, 1, s[10:11]
	global_store_short v[5:6], v1, off
.LBB63_1645:
	s_mov_b64 s[14:15], 0
.LBB63_1646:
	s_andn2_b64 vcc, exec, s[14:15]
	s_cbranch_vccnz .LBB63_1654
; %bb.1647:
	v_cndmask_b32_e64 v3, 0, 1.0, s[10:11]
	s_mov_b32 s14, 0x43800000
	v_cmp_gt_u32_e32 vcc, s14, v3
	v_mov_b32_e32 v7, 0x80
	s_and_saveexec_b64 s[14:15], vcc
	s_cbranch_execz .LBB63_1653
; %bb.1648:
	s_mov_b32 s16, 0x3bffffff
	v_cmp_lt_u32_e32 vcc, s16, v3
	s_mov_b64 s[16:17], 0
                                        ; implicit-def: $vgpr1
	s_and_saveexec_b64 s[18:19], vcc
	s_xor_b64 s[18:19], exec, s[18:19]
	s_cbranch_execz .LBB63_2102
; %bb.1649:
	v_bfe_u32 v1, v3, 20, 1
	s_mov_b32 s22, 0x487ffff
	v_add3_u32 v1, v3, v1, s22
	s_mov_b64 s[16:17], exec
	v_lshrrev_b32_e32 v1, 20, v1
                                        ; implicit-def: $vgpr3
	s_andn2_saveexec_b64 s[18:19], s[18:19]
	s_cbranch_execnz .LBB63_2103
.LBB63_1650:
	s_or_b64 exec, exec, s[18:19]
	v_mov_b32_e32 v7, 0
	s_and_saveexec_b64 s[18:19], s[16:17]
.LBB63_1651:
	v_mov_b32_e32 v7, v1
.LBB63_1652:
	s_or_b64 exec, exec, s[18:19]
.LBB63_1653:
	s_or_b64 exec, exec, s[14:15]
	global_store_byte v[5:6], v7, off
.LBB63_1654:
	s_mov_b64 s[14:15], -1
.LBB63_1655:
	s_mov_b64 s[16:17], 0
.LBB63_1656:
	s_and_b64 vcc, exec, s[16:17]
	s_cbranch_vccz .LBB63_1696
; %bb.1657:
	s_cmp_gt_i32 s21, 22
	s_mov_b64 s[12:13], -1
	s_cbranch_scc0 .LBB63_1689
; %bb.1658:
	s_cmp_lt_i32 s21, 24
	s_cbranch_scc1 .LBB63_1678
; %bb.1659:
	s_cmp_gt_i32 s21, 24
	s_cbranch_scc0 .LBB63_1667
; %bb.1660:
	v_cndmask_b32_e64 v3, 0, 1.0, s[10:11]
	s_mov_b32 s12, 0x47800000
	v_cmp_gt_u32_e32 vcc, s12, v3
	v_mov_b32_e32 v7, 0x80
	s_and_saveexec_b64 s[12:13], vcc
	s_cbranch_execz .LBB63_1666
; %bb.1661:
	s_mov_b32 s14, 0x37ffffff
	v_cmp_lt_u32_e32 vcc, s14, v3
	s_mov_b64 s[14:15], 0
                                        ; implicit-def: $vgpr1
	s_and_saveexec_b64 s[16:17], vcc
	s_xor_b64 s[16:17], exec, s[16:17]
	s_cbranch_execz .LBB63_2105
; %bb.1662:
	v_bfe_u32 v1, v3, 21, 1
	s_mov_b32 s18, 0x88fffff
	v_add3_u32 v1, v3, v1, s18
	s_mov_b64 s[14:15], exec
	v_lshrrev_b32_e32 v1, 21, v1
                                        ; implicit-def: $vgpr3
	s_andn2_saveexec_b64 s[16:17], s[16:17]
	s_cbranch_execnz .LBB63_2106
.LBB63_1663:
	s_or_b64 exec, exec, s[16:17]
	v_mov_b32_e32 v7, 0
	s_and_saveexec_b64 s[16:17], s[14:15]
.LBB63_1664:
	v_mov_b32_e32 v7, v1
.LBB63_1665:
	s_or_b64 exec, exec, s[16:17]
.LBB63_1666:
	s_or_b64 exec, exec, s[12:13]
	s_mov_b64 s[12:13], 0
	global_store_byte v[5:6], v7, off
.LBB63_1667:
	s_and_b64 vcc, exec, s[12:13]
	s_cbranch_vccz .LBB63_1677
; %bb.1668:
	v_cndmask_b32_e64 v1, 0, 1.0, s[10:11]
	s_mov_b32 s12, 0x43f00000
	v_cmp_gt_u32_e32 vcc, s12, v1
                                        ; implicit-def: $vgpr3
	s_and_saveexec_b64 s[12:13], vcc
	s_xor_b64 s[12:13], exec, s[12:13]
	s_cbranch_execz .LBB63_1674
; %bb.1669:
	s_mov_b32 s14, 0x3c7fffff
	v_cmp_lt_u32_e32 vcc, s14, v1
                                        ; implicit-def: $vgpr3
	s_and_saveexec_b64 s[14:15], vcc
	s_xor_b64 s[14:15], exec, s[14:15]
; %bb.1670:
	v_bfe_u32 v3, v1, 20, 1
	s_mov_b32 s16, 0x407ffff
	v_add3_u32 v1, v1, v3, s16
	v_lshrrev_b32_e32 v3, 20, v1
	v_and_b32_e32 v1, 0xff00000, v1
	s_mov_b32 s16, 0x7f00000
	v_mov_b32_e32 v7, 0x7e
	v_cmp_ne_u32_e32 vcc, s16, v1
	v_cndmask_b32_e32 v3, v7, v3, vcc
                                        ; implicit-def: $vgpr1
; %bb.1671:
	s_andn2_saveexec_b64 s[14:15], s[14:15]
; %bb.1672:
	v_add_f32_e32 v3, 0x46800000, v1
; %bb.1673:
	s_or_b64 exec, exec, s[14:15]
                                        ; implicit-def: $vgpr1
.LBB63_1674:
	s_andn2_saveexec_b64 s[12:13], s[12:13]
; %bb.1675:
	s_mov_b32 s14, 0x7f800000
	v_mov_b32_e32 v3, 0x7e
	v_mov_b32_e32 v7, 0x7f
	v_cmp_lt_u32_e32 vcc, s14, v1
	v_cndmask_b32_e32 v3, v3, v7, vcc
; %bb.1676:
	s_or_b64 exec, exec, s[12:13]
	global_store_byte v[5:6], v3, off
.LBB63_1677:
	s_mov_b64 s[12:13], 0
.LBB63_1678:
	s_andn2_b64 vcc, exec, s[12:13]
	s_cbranch_vccnz .LBB63_1688
; %bb.1679:
	v_cndmask_b32_e64 v1, 0, 1.0, s[10:11]
	s_mov_b32 s12, 0x47800000
	v_cmp_gt_u32_e32 vcc, s12, v1
                                        ; implicit-def: $vgpr3
	s_and_saveexec_b64 s[12:13], vcc
	s_xor_b64 s[12:13], exec, s[12:13]
	s_cbranch_execz .LBB63_1685
; %bb.1680:
	s_mov_b32 s14, 0x387fffff
	v_cmp_lt_u32_e32 vcc, s14, v1
                                        ; implicit-def: $vgpr3
	s_and_saveexec_b64 s[14:15], vcc
	s_xor_b64 s[14:15], exec, s[14:15]
; %bb.1681:
	v_bfe_u32 v3, v1, 21, 1
	s_mov_b32 s16, 0x80fffff
	v_add3_u32 v1, v1, v3, s16
	v_lshrrev_b32_e32 v3, 21, v1
                                        ; implicit-def: $vgpr1
; %bb.1682:
	s_andn2_saveexec_b64 s[14:15], s[14:15]
; %bb.1683:
	v_add_f32_e32 v3, 0x43000000, v1
; %bb.1684:
	s_or_b64 exec, exec, s[14:15]
                                        ; implicit-def: $vgpr1
.LBB63_1685:
	s_andn2_saveexec_b64 s[12:13], s[12:13]
; %bb.1686:
	s_mov_b32 s14, 0x7f800000
	v_mov_b32_e32 v3, 0x7c
	v_mov_b32_e32 v7, 0x7f
	v_cmp_lt_u32_e32 vcc, s14, v1
	v_cndmask_b32_e32 v3, v3, v7, vcc
; %bb.1687:
	s_or_b64 exec, exec, s[12:13]
	global_store_byte v[5:6], v3, off
.LBB63_1688:
	s_mov_b64 s[12:13], 0
	s_mov_b64 s[14:15], -1
.LBB63_1689:
	s_andn2_b64 vcc, exec, s[12:13]
	s_mov_b64 s[12:13], 0
	s_cbranch_vccnz .LBB63_1696
; %bb.1690:
	s_cmp_gt_i32 s21, 14
	s_mov_b64 s[16:17], -1
	s_cbranch_scc0 .LBB63_1694
; %bb.1691:
	s_cmp_eq_u32 s21, 15
	s_mov_b64 s[0:1], -1
	s_cbranch_scc0 .LBB63_1693
; %bb.1692:
	v_cndmask_b32_e64 v1, 0, 1.0, s[10:11]
	v_bfe_u32 v3, v1, 16, 1
	s_movk_i32 s0, 0x7fff
	v_add3_u32 v1, v1, v3, s0
	global_store_short_d16_hi v[5:6], v1, off
	s_mov_b64 s[0:1], 0
	s_mov_b64 s[14:15], -1
.LBB63_1693:
	s_mov_b64 s[16:17], 0
.LBB63_1694:
	s_and_b64 vcc, exec, s[16:17]
	s_cbranch_vccz .LBB63_1696
; %bb.1695:
	s_cmp_lg_u32 s21, 11
	s_mov_b64 s[12:13], -1
	s_cselect_b64 s[0:1], -1, 0
.LBB63_1696:
	s_and_b64 vcc, exec, s[0:1]
	s_cbranch_vccnz .LBB63_2104
; %bb.1697:
	s_andn2_b64 vcc, exec, s[12:13]
	s_cbranch_vccnz .LBB63_1699
.LBB63_1698:
	v_cndmask_b32_e64 v1, 0, 1, s[10:11]
	s_mov_b64 s[14:15], -1
	global_store_byte v[5:6], v1, off
.LBB63_1699:
	s_mov_b64 s[0:1], 0
	s_branch .LBB63_1701
.LBB63_1700:
	s_mov_b64 s[0:1], -1
	s_mov_b64 s[14:15], 0
.LBB63_1701:
	s_and_b64 vcc, exec, s[0:1]
	s_cbranch_vccz .LBB63_1740
; %bb.1702:
	s_and_b32 s12, 0xffff, s20
	s_cmp_lt_i32 s12, 5
	s_mov_b64 s[0:1], -1
	s_cbranch_scc1 .LBB63_1723
; %bb.1703:
	s_cmp_lt_i32 s12, 8
	s_cbranch_scc1 .LBB63_1713
; %bb.1704:
	s_cmp_lt_i32 s12, 9
	s_cbranch_scc1 .LBB63_1710
; %bb.1705:
	s_cmp_gt_i32 s12, 9
	s_cbranch_scc0 .LBB63_1707
; %bb.1706:
	v_cndmask_b32_e64 v1, 0, 1, s[10:11]
	v_cvt_f64_u32_e32 v[16:17], v1
	v_mov_b32_e32 v18, 0
	v_mov_b32_e32 v19, v18
	s_mov_b64 s[0:1], 0
	global_store_dwordx4 v[5:6], v[16:19], off
.LBB63_1707:
	s_andn2_b64 vcc, exec, s[0:1]
	s_cbranch_vccnz .LBB63_1709
; %bb.1708:
	v_cndmask_b32_e64 v7, 0, 1.0, s[10:11]
	v_mov_b32_e32 v8, 0
	global_store_dwordx2 v[5:6], v[7:8], off
.LBB63_1709:
	s_mov_b64 s[0:1], 0
.LBB63_1710:
	s_andn2_b64 vcc, exec, s[0:1]
	s_cbranch_vccnz .LBB63_1712
; %bb.1711:
	v_cndmask_b32_e64 v1, 0, 1.0, s[10:11]
	v_cvt_f16_f32_e32 v1, v1
	global_store_dword v[5:6], v1, off
.LBB63_1712:
	s_mov_b64 s[0:1], 0
.LBB63_1713:
	s_andn2_b64 vcc, exec, s[0:1]
	s_cbranch_vccnz .LBB63_1722
; %bb.1714:
	s_cmp_lt_i32 s12, 6
	s_mov_b64 s[0:1], -1
	s_cbranch_scc1 .LBB63_1720
; %bb.1715:
	s_cmp_gt_i32 s12, 6
	s_cbranch_scc0 .LBB63_1717
; %bb.1716:
	v_cndmask_b32_e64 v1, 0, 1, s[10:11]
	v_cvt_f64_u32_e32 v[7:8], v1
	s_mov_b64 s[0:1], 0
	global_store_dwordx2 v[5:6], v[7:8], off
.LBB63_1717:
	s_andn2_b64 vcc, exec, s[0:1]
	s_cbranch_vccnz .LBB63_1719
; %bb.1718:
	v_cndmask_b32_e64 v1, 0, 1.0, s[10:11]
	global_store_dword v[5:6], v1, off
.LBB63_1719:
	s_mov_b64 s[0:1], 0
.LBB63_1720:
	s_andn2_b64 vcc, exec, s[0:1]
	s_cbranch_vccnz .LBB63_1722
; %bb.1721:
	v_cndmask_b32_e64 v1, 0, 1.0, s[10:11]
	v_cvt_f16_f32_e32 v1, v1
	global_store_short v[5:6], v1, off
.LBB63_1722:
	s_mov_b64 s[0:1], 0
.LBB63_1723:
	s_andn2_b64 vcc, exec, s[0:1]
	s_cbranch_vccnz .LBB63_1739
; %bb.1724:
	s_cmp_lt_i32 s12, 2
	s_mov_b64 s[0:1], -1
	s_cbranch_scc1 .LBB63_1734
; %bb.1725:
	s_cmp_lt_i32 s12, 3
	s_cbranch_scc1 .LBB63_1731
; %bb.1726:
	s_cmp_gt_i32 s12, 3
	s_cbranch_scc0 .LBB63_1728
; %bb.1727:
	s_mov_b32 s0, 0
	v_cndmask_b32_e64 v7, 0, 1, s[10:11]
	v_mov_b32_e32 v8, s0
	global_store_dwordx2 v[5:6], v[7:8], off
	s_mov_b64 s[0:1], 0
.LBB63_1728:
	s_andn2_b64 vcc, exec, s[0:1]
	s_cbranch_vccnz .LBB63_1730
; %bb.1729:
	v_cndmask_b32_e64 v1, 0, 1, s[10:11]
	global_store_dword v[5:6], v1, off
.LBB63_1730:
	s_mov_b64 s[0:1], 0
.LBB63_1731:
	s_andn2_b64 vcc, exec, s[0:1]
	s_cbranch_vccnz .LBB63_1733
; %bb.1732:
	v_cndmask_b32_e64 v1, 0, 1, s[10:11]
	global_store_short v[5:6], v1, off
.LBB63_1733:
	s_mov_b64 s[0:1], 0
.LBB63_1734:
	s_andn2_b64 vcc, exec, s[0:1]
	s_cbranch_vccnz .LBB63_1739
; %bb.1735:
	s_mov_b64 s[0:1], -1
	s_cmp_gt_i32 s12, 0
	v_cndmask_b32_e64 v1, 0, 1, s[10:11]
	s_cbranch_scc0 .LBB63_1737
; %bb.1736:
	global_store_byte v[5:6], v1, off
	s_mov_b64 s[0:1], 0
.LBB63_1737:
	s_andn2_b64 vcc, exec, s[0:1]
	s_cbranch_vccnz .LBB63_1739
; %bb.1738:
	global_store_byte v[5:6], v1, off
.LBB63_1739:
	s_mov_b64 s[14:15], -1
.LBB63_1740:
	s_andn2_b64 vcc, exec, s[14:15]
	s_cbranch_vccnz .LBB63_2055
; %bb.1741:
	v_cmp_ne_u64_e32 vcc, s[4:5], v[9:10]
	v_mov_b32_e32 v1, s9
	s_xor_b64 s[10:11], s[6:7], vcc
	s_and_b32 s21, 0xffff, s20
	v_add_co_u32_e32 v3, vcc, s8, v4
	s_cmp_lt_i32 s21, 11
	v_addc_co_u32_e32 v4, vcc, 0, v1, vcc
	s_cbranch_scc1 .LBB63_1819
; %bb.1742:
	s_mov_b64 s[16:17], -1
	s_mov_b64 s[12:13], 0
	s_cmp_gt_i32 s21, 25
	s_mov_b64 s[14:15], 0
	s_mov_b64 s[0:1], 0
	s_cbranch_scc0 .LBB63_1775
; %bb.1743:
	s_cmp_gt_i32 s21, 28
	s_cbranch_scc0 .LBB63_1758
; %bb.1744:
	s_cmp_gt_i32 s21, 43
	;; [unrolled: 3-line block ×3, first 2 shown]
	s_cbranch_scc0 .LBB63_1748
; %bb.1746:
	s_mov_b64 s[0:1], -1
	s_mov_b64 s[16:17], 0
	s_cmp_eq_u32 s21, 46
	s_cbranch_scc0 .LBB63_1748
; %bb.1747:
	v_cndmask_b32_e64 v1, 0, 1.0, s[10:11]
	v_bfe_u32 v5, v1, 16, 1
	s_movk_i32 s0, 0x7fff
	v_add3_u32 v1, v1, v5, s0
	v_lshrrev_b32_e32 v1, 16, v1
	global_store_dword v[3:4], v1, off
	s_mov_b64 s[0:1], 0
	s_mov_b64 s[14:15], -1
.LBB63_1748:
	s_and_b64 vcc, exec, s[16:17]
	s_cbranch_vccz .LBB63_1753
; %bb.1749:
	s_cmp_eq_u32 s21, 44
	s_mov_b64 s[0:1], -1
	s_cbranch_scc0 .LBB63_1753
; %bb.1750:
	v_cndmask_b32_e64 v5, 0, 1.0, s[10:11]
	v_lshrrev_b32_e32 v1, 23, v5
	s_movk_i32 s0, 0xff
	v_cmp_ne_u32_e32 vcc, s0, v1
	v_mov_b32_e32 v6, 0xff
	s_and_saveexec_b64 s[14:15], vcc
; %bb.1751:
	s_mov_b32 s0, 0x3fffff
	v_and_b32_e32 v6, 0x400000, v5
	v_and_or_b32 v5, v5, s0, v1
	v_cmp_ne_u32_e32 vcc, 0, v6
	v_cmp_ne_u32_e64 s[0:1], 0, v5
	s_and_b64 s[0:1], vcc, s[0:1]
	v_cndmask_b32_e64 v5, 0, 1, s[0:1]
	v_add_u32_e32 v6, v1, v5
; %bb.1752:
	s_or_b64 exec, exec, s[14:15]
	s_mov_b64 s[0:1], 0
	s_mov_b64 s[14:15], -1
	global_store_byte v[3:4], v6, off
.LBB63_1753:
	s_mov_b64 s[16:17], 0
.LBB63_1754:
	s_and_b64 vcc, exec, s[16:17]
	s_cbranch_vccz .LBB63_1757
; %bb.1755:
	s_cmp_eq_u32 s21, 29
	s_mov_b64 s[0:1], -1
	s_cbranch_scc0 .LBB63_1757
; %bb.1756:
	s_mov_b32 s0, 0
	v_cndmask_b32_e64 v5, 0, 1, s[10:11]
	v_mov_b32_e32 v6, s0
	global_store_dwordx2 v[3:4], v[5:6], off
	s_mov_b64 s[0:1], 0
	s_mov_b64 s[14:15], -1
.LBB63_1757:
	s_mov_b64 s[16:17], 0
.LBB63_1758:
	s_and_b64 vcc, exec, s[16:17]
	s_cbranch_vccz .LBB63_1774
; %bb.1759:
	s_cmp_lt_i32 s21, 27
	s_mov_b64 s[14:15], -1
	s_cbranch_scc1 .LBB63_1765
; %bb.1760:
	s_cmp_gt_i32 s21, 27
	s_cbranch_scc0 .LBB63_1762
; %bb.1761:
	v_cndmask_b32_e64 v1, 0, 1, s[10:11]
	s_mov_b64 s[14:15], 0
	global_store_dword v[3:4], v1, off
.LBB63_1762:
	s_andn2_b64 vcc, exec, s[14:15]
	s_cbranch_vccnz .LBB63_1764
; %bb.1763:
	v_cndmask_b32_e64 v1, 0, 1, s[10:11]
	global_store_short v[3:4], v1, off
.LBB63_1764:
	s_mov_b64 s[14:15], 0
.LBB63_1765:
	s_andn2_b64 vcc, exec, s[14:15]
	s_cbranch_vccnz .LBB63_1773
; %bb.1766:
	v_cndmask_b32_e64 v5, 0, 1.0, s[10:11]
	s_mov_b32 s14, 0x43800000
	v_cmp_gt_u32_e32 vcc, s14, v5
	v_mov_b32_e32 v6, 0x80
	s_and_saveexec_b64 s[14:15], vcc
	s_cbranch_execz .LBB63_1772
; %bb.1767:
	s_mov_b32 s16, 0x3bffffff
	v_cmp_lt_u32_e32 vcc, s16, v5
	s_mov_b64 s[16:17], 0
                                        ; implicit-def: $vgpr1
	s_and_saveexec_b64 s[18:19], vcc
	s_xor_b64 s[18:19], exec, s[18:19]
	s_cbranch_execz .LBB63_2107
; %bb.1768:
	v_bfe_u32 v1, v5, 20, 1
	s_mov_b32 s22, 0x487ffff
	v_add3_u32 v1, v5, v1, s22
	s_mov_b64 s[16:17], exec
	v_lshrrev_b32_e32 v1, 20, v1
                                        ; implicit-def: $vgpr5
	s_andn2_saveexec_b64 s[18:19], s[18:19]
	s_cbranch_execnz .LBB63_2108
.LBB63_1769:
	s_or_b64 exec, exec, s[18:19]
	v_mov_b32_e32 v6, 0
	s_and_saveexec_b64 s[18:19], s[16:17]
.LBB63_1770:
	v_mov_b32_e32 v6, v1
.LBB63_1771:
	s_or_b64 exec, exec, s[18:19]
.LBB63_1772:
	s_or_b64 exec, exec, s[14:15]
	global_store_byte v[3:4], v6, off
.LBB63_1773:
	s_mov_b64 s[14:15], -1
.LBB63_1774:
	s_mov_b64 s[16:17], 0
.LBB63_1775:
	s_and_b64 vcc, exec, s[16:17]
	s_cbranch_vccz .LBB63_1815
; %bb.1776:
	s_cmp_gt_i32 s21, 22
	s_mov_b64 s[12:13], -1
	s_cbranch_scc0 .LBB63_1808
; %bb.1777:
	s_cmp_lt_i32 s21, 24
	s_cbranch_scc1 .LBB63_1797
; %bb.1778:
	s_cmp_gt_i32 s21, 24
	s_cbranch_scc0 .LBB63_1786
; %bb.1779:
	v_cndmask_b32_e64 v5, 0, 1.0, s[10:11]
	s_mov_b32 s12, 0x47800000
	v_cmp_gt_u32_e32 vcc, s12, v5
	v_mov_b32_e32 v6, 0x80
	s_and_saveexec_b64 s[12:13], vcc
	s_cbranch_execz .LBB63_1785
; %bb.1780:
	s_mov_b32 s14, 0x37ffffff
	v_cmp_lt_u32_e32 vcc, s14, v5
	s_mov_b64 s[14:15], 0
                                        ; implicit-def: $vgpr1
	s_and_saveexec_b64 s[16:17], vcc
	s_xor_b64 s[16:17], exec, s[16:17]
	s_cbranch_execz .LBB63_2110
; %bb.1781:
	v_bfe_u32 v1, v5, 21, 1
	s_mov_b32 s18, 0x88fffff
	v_add3_u32 v1, v5, v1, s18
	s_mov_b64 s[14:15], exec
	v_lshrrev_b32_e32 v1, 21, v1
                                        ; implicit-def: $vgpr5
	s_andn2_saveexec_b64 s[16:17], s[16:17]
	s_cbranch_execnz .LBB63_2111
.LBB63_1782:
	s_or_b64 exec, exec, s[16:17]
	v_mov_b32_e32 v6, 0
	s_and_saveexec_b64 s[16:17], s[14:15]
.LBB63_1783:
	v_mov_b32_e32 v6, v1
.LBB63_1784:
	s_or_b64 exec, exec, s[16:17]
.LBB63_1785:
	s_or_b64 exec, exec, s[12:13]
	s_mov_b64 s[12:13], 0
	global_store_byte v[3:4], v6, off
.LBB63_1786:
	s_and_b64 vcc, exec, s[12:13]
	s_cbranch_vccz .LBB63_1796
; %bb.1787:
	v_cndmask_b32_e64 v1, 0, 1.0, s[10:11]
	s_mov_b32 s12, 0x43f00000
	v_cmp_gt_u32_e32 vcc, s12, v1
                                        ; implicit-def: $vgpr5
	s_and_saveexec_b64 s[12:13], vcc
	s_xor_b64 s[12:13], exec, s[12:13]
	s_cbranch_execz .LBB63_1793
; %bb.1788:
	s_mov_b32 s14, 0x3c7fffff
	v_cmp_lt_u32_e32 vcc, s14, v1
                                        ; implicit-def: $vgpr5
	s_and_saveexec_b64 s[14:15], vcc
	s_xor_b64 s[14:15], exec, s[14:15]
; %bb.1789:
	v_bfe_u32 v5, v1, 20, 1
	s_mov_b32 s16, 0x407ffff
	v_add3_u32 v1, v1, v5, s16
	v_lshrrev_b32_e32 v5, 20, v1
	v_and_b32_e32 v1, 0xff00000, v1
	s_mov_b32 s16, 0x7f00000
	v_mov_b32_e32 v6, 0x7e
	v_cmp_ne_u32_e32 vcc, s16, v1
	v_cndmask_b32_e32 v5, v6, v5, vcc
                                        ; implicit-def: $vgpr1
; %bb.1790:
	s_andn2_saveexec_b64 s[14:15], s[14:15]
; %bb.1791:
	v_add_f32_e32 v5, 0x46800000, v1
; %bb.1792:
	s_or_b64 exec, exec, s[14:15]
                                        ; implicit-def: $vgpr1
.LBB63_1793:
	s_andn2_saveexec_b64 s[12:13], s[12:13]
; %bb.1794:
	s_mov_b32 s14, 0x7f800000
	v_mov_b32_e32 v5, 0x7e
	v_mov_b32_e32 v6, 0x7f
	v_cmp_lt_u32_e32 vcc, s14, v1
	v_cndmask_b32_e32 v5, v5, v6, vcc
; %bb.1795:
	s_or_b64 exec, exec, s[12:13]
	global_store_byte v[3:4], v5, off
.LBB63_1796:
	s_mov_b64 s[12:13], 0
.LBB63_1797:
	s_andn2_b64 vcc, exec, s[12:13]
	s_cbranch_vccnz .LBB63_1807
; %bb.1798:
	v_cndmask_b32_e64 v1, 0, 1.0, s[10:11]
	s_mov_b32 s12, 0x47800000
	v_cmp_gt_u32_e32 vcc, s12, v1
                                        ; implicit-def: $vgpr5
	s_and_saveexec_b64 s[12:13], vcc
	s_xor_b64 s[12:13], exec, s[12:13]
	s_cbranch_execz .LBB63_1804
; %bb.1799:
	s_mov_b32 s14, 0x387fffff
	v_cmp_lt_u32_e32 vcc, s14, v1
                                        ; implicit-def: $vgpr5
	s_and_saveexec_b64 s[14:15], vcc
	s_xor_b64 s[14:15], exec, s[14:15]
; %bb.1800:
	v_bfe_u32 v5, v1, 21, 1
	s_mov_b32 s16, 0x80fffff
	v_add3_u32 v1, v1, v5, s16
	v_lshrrev_b32_e32 v5, 21, v1
                                        ; implicit-def: $vgpr1
; %bb.1801:
	s_andn2_saveexec_b64 s[14:15], s[14:15]
; %bb.1802:
	v_add_f32_e32 v5, 0x43000000, v1
; %bb.1803:
	s_or_b64 exec, exec, s[14:15]
                                        ; implicit-def: $vgpr1
.LBB63_1804:
	s_andn2_saveexec_b64 s[12:13], s[12:13]
; %bb.1805:
	s_mov_b32 s14, 0x7f800000
	v_mov_b32_e32 v5, 0x7c
	v_mov_b32_e32 v6, 0x7f
	v_cmp_lt_u32_e32 vcc, s14, v1
	v_cndmask_b32_e32 v5, v5, v6, vcc
; %bb.1806:
	s_or_b64 exec, exec, s[12:13]
	global_store_byte v[3:4], v5, off
.LBB63_1807:
	s_mov_b64 s[12:13], 0
	s_mov_b64 s[14:15], -1
.LBB63_1808:
	s_andn2_b64 vcc, exec, s[12:13]
	s_mov_b64 s[12:13], 0
	s_cbranch_vccnz .LBB63_1815
; %bb.1809:
	s_cmp_gt_i32 s21, 14
	s_mov_b64 s[16:17], -1
	s_cbranch_scc0 .LBB63_1813
; %bb.1810:
	s_cmp_eq_u32 s21, 15
	s_mov_b64 s[0:1], -1
	s_cbranch_scc0 .LBB63_1812
; %bb.1811:
	v_cndmask_b32_e64 v1, 0, 1.0, s[10:11]
	v_bfe_u32 v5, v1, 16, 1
	s_movk_i32 s0, 0x7fff
	v_add3_u32 v1, v1, v5, s0
	global_store_short_d16_hi v[3:4], v1, off
	s_mov_b64 s[0:1], 0
	s_mov_b64 s[14:15], -1
.LBB63_1812:
	s_mov_b64 s[16:17], 0
.LBB63_1813:
	s_and_b64 vcc, exec, s[16:17]
	s_cbranch_vccz .LBB63_1815
; %bb.1814:
	s_cmp_lg_u32 s21, 11
	s_mov_b64 s[12:13], -1
	s_cselect_b64 s[0:1], -1, 0
.LBB63_1815:
	s_and_b64 vcc, exec, s[0:1]
	s_cbranch_vccnz .LBB63_2109
; %bb.1816:
	s_andn2_b64 vcc, exec, s[12:13]
	s_cbranch_vccnz .LBB63_1818
.LBB63_1817:
	v_cndmask_b32_e64 v1, 0, 1, s[10:11]
	s_mov_b64 s[14:15], -1
	global_store_byte v[3:4], v1, off
.LBB63_1818:
	s_mov_b64 s[0:1], 0
	s_branch .LBB63_1820
.LBB63_1819:
	s_mov_b64 s[0:1], -1
	s_mov_b64 s[14:15], 0
.LBB63_1820:
	s_and_b64 vcc, exec, s[0:1]
	s_cbranch_vccz .LBB63_1859
; %bb.1821:
	s_cmp_lt_i32 s21, 5
	s_mov_b64 s[0:1], -1
	s_cbranch_scc1 .LBB63_1842
; %bb.1822:
	s_cmp_lt_i32 s21, 8
	s_cbranch_scc1 .LBB63_1832
; %bb.1823:
	s_cmp_lt_i32 s21, 9
	s_cbranch_scc1 .LBB63_1829
; %bb.1824:
	s_cmp_gt_i32 s21, 9
	s_cbranch_scc0 .LBB63_1826
; %bb.1825:
	v_cndmask_b32_e64 v1, 0, 1, s[10:11]
	v_cvt_f64_u32_e32 v[5:6], v1
	v_mov_b32_e32 v7, 0
	v_mov_b32_e32 v8, v7
	s_mov_b64 s[0:1], 0
	global_store_dwordx4 v[3:4], v[5:8], off
.LBB63_1826:
	s_andn2_b64 vcc, exec, s[0:1]
	s_cbranch_vccnz .LBB63_1828
; %bb.1827:
	v_cndmask_b32_e64 v5, 0, 1.0, s[10:11]
	v_mov_b32_e32 v6, 0
	global_store_dwordx2 v[3:4], v[5:6], off
.LBB63_1828:
	s_mov_b64 s[0:1], 0
.LBB63_1829:
	s_andn2_b64 vcc, exec, s[0:1]
	s_cbranch_vccnz .LBB63_1831
; %bb.1830:
	v_cndmask_b32_e64 v1, 0, 1.0, s[10:11]
	v_cvt_f16_f32_e32 v1, v1
	global_store_dword v[3:4], v1, off
.LBB63_1831:
	s_mov_b64 s[0:1], 0
.LBB63_1832:
	s_andn2_b64 vcc, exec, s[0:1]
	s_cbranch_vccnz .LBB63_1841
; %bb.1833:
	s_cmp_lt_i32 s21, 6
	s_mov_b64 s[0:1], -1
	s_cbranch_scc1 .LBB63_1839
; %bb.1834:
	s_cmp_gt_i32 s21, 6
	s_cbranch_scc0 .LBB63_1836
; %bb.1835:
	v_cndmask_b32_e64 v1, 0, 1, s[10:11]
	v_cvt_f64_u32_e32 v[5:6], v1
	s_mov_b64 s[0:1], 0
	global_store_dwordx2 v[3:4], v[5:6], off
.LBB63_1836:
	s_andn2_b64 vcc, exec, s[0:1]
	s_cbranch_vccnz .LBB63_1838
; %bb.1837:
	v_cndmask_b32_e64 v1, 0, 1.0, s[10:11]
	global_store_dword v[3:4], v1, off
.LBB63_1838:
	s_mov_b64 s[0:1], 0
.LBB63_1839:
	s_andn2_b64 vcc, exec, s[0:1]
	s_cbranch_vccnz .LBB63_1841
; %bb.1840:
	v_cndmask_b32_e64 v1, 0, 1.0, s[10:11]
	v_cvt_f16_f32_e32 v1, v1
	global_store_short v[3:4], v1, off
.LBB63_1841:
	s_mov_b64 s[0:1], 0
.LBB63_1842:
	s_andn2_b64 vcc, exec, s[0:1]
	s_cbranch_vccnz .LBB63_1858
; %bb.1843:
	s_cmp_lt_i32 s21, 2
	s_mov_b64 s[0:1], -1
	s_cbranch_scc1 .LBB63_1853
; %bb.1844:
	s_cmp_lt_i32 s21, 3
	s_cbranch_scc1 .LBB63_1850
; %bb.1845:
	s_cmp_gt_i32 s21, 3
	s_cbranch_scc0 .LBB63_1847
; %bb.1846:
	s_mov_b32 s0, 0
	v_cndmask_b32_e64 v5, 0, 1, s[10:11]
	v_mov_b32_e32 v6, s0
	global_store_dwordx2 v[3:4], v[5:6], off
	s_mov_b64 s[0:1], 0
.LBB63_1847:
	s_andn2_b64 vcc, exec, s[0:1]
	s_cbranch_vccnz .LBB63_1849
; %bb.1848:
	v_cndmask_b32_e64 v1, 0, 1, s[10:11]
	global_store_dword v[3:4], v1, off
.LBB63_1849:
	s_mov_b64 s[0:1], 0
.LBB63_1850:
	s_andn2_b64 vcc, exec, s[0:1]
	s_cbranch_vccnz .LBB63_1852
; %bb.1851:
	v_cndmask_b32_e64 v1, 0, 1, s[10:11]
	global_store_short v[3:4], v1, off
.LBB63_1852:
	s_mov_b64 s[0:1], 0
.LBB63_1853:
	s_andn2_b64 vcc, exec, s[0:1]
	s_cbranch_vccnz .LBB63_1858
; %bb.1854:
	s_mov_b64 s[0:1], -1
	s_cmp_gt_i32 s21, 0
	v_cndmask_b32_e64 v1, 0, 1, s[10:11]
	s_cbranch_scc0 .LBB63_1856
; %bb.1855:
	global_store_byte v[3:4], v1, off
	s_mov_b64 s[0:1], 0
.LBB63_1856:
	s_andn2_b64 vcc, exec, s[0:1]
	s_cbranch_vccnz .LBB63_1858
; %bb.1857:
	global_store_byte v[3:4], v1, off
.LBB63_1858:
	s_mov_b64 s[14:15], -1
.LBB63_1859:
	s_andn2_b64 vcc, exec, s[14:15]
	s_cbranch_vccnz .LBB63_2055
; %bb.1860:
	v_cmp_ne_u64_e32 vcc, s[4:5], v[12:13]
	v_mov_b32_e32 v3, s9
	s_xor_b64 s[10:11], s[6:7], vcc
	v_add_co_u32_e32 v1, vcc, s8, v2
	s_cmp_lt_i32 s21, 11
	v_addc_co_u32_e32 v2, vcc, 0, v3, vcc
	s_cbranch_scc1 .LBB63_1938
; %bb.1861:
	s_mov_b64 s[16:17], -1
	s_mov_b64 s[12:13], 0
	s_cmp_gt_i32 s21, 25
	s_mov_b64 s[14:15], 0
	s_mov_b64 s[0:1], 0
	s_cbranch_scc0 .LBB63_1894
; %bb.1862:
	s_cmp_gt_i32 s21, 28
	s_cbranch_scc0 .LBB63_1877
; %bb.1863:
	s_cmp_gt_i32 s21, 43
	;; [unrolled: 3-line block ×3, first 2 shown]
	s_cbranch_scc0 .LBB63_1867
; %bb.1865:
	s_mov_b64 s[0:1], -1
	s_mov_b64 s[16:17], 0
	s_cmp_eq_u32 s21, 46
	s_cbranch_scc0 .LBB63_1867
; %bb.1866:
	v_cndmask_b32_e64 v3, 0, 1.0, s[10:11]
	v_bfe_u32 v4, v3, 16, 1
	s_movk_i32 s0, 0x7fff
	v_add3_u32 v3, v3, v4, s0
	v_lshrrev_b32_e32 v3, 16, v3
	global_store_dword v[1:2], v3, off
	s_mov_b64 s[0:1], 0
	s_mov_b64 s[14:15], -1
.LBB63_1867:
	s_and_b64 vcc, exec, s[16:17]
	s_cbranch_vccz .LBB63_1872
; %bb.1868:
	s_cmp_eq_u32 s21, 44
	s_mov_b64 s[0:1], -1
	s_cbranch_scc0 .LBB63_1872
; %bb.1869:
	v_cndmask_b32_e64 v4, 0, 1.0, s[10:11]
	v_lshrrev_b32_e32 v3, 23, v4
	s_movk_i32 s0, 0xff
	v_cmp_ne_u32_e32 vcc, s0, v3
	v_mov_b32_e32 v5, 0xff
	s_and_saveexec_b64 s[14:15], vcc
; %bb.1870:
	s_mov_b32 s0, 0x3fffff
	v_and_b32_e32 v5, 0x400000, v4
	v_and_or_b32 v4, v4, s0, v3
	v_cmp_ne_u32_e32 vcc, 0, v5
	v_cmp_ne_u32_e64 s[0:1], 0, v4
	s_and_b64 s[0:1], vcc, s[0:1]
	v_cndmask_b32_e64 v4, 0, 1, s[0:1]
	v_add_u32_e32 v5, v3, v4
; %bb.1871:
	s_or_b64 exec, exec, s[14:15]
	s_mov_b64 s[0:1], 0
	s_mov_b64 s[14:15], -1
	global_store_byte v[1:2], v5, off
.LBB63_1872:
	s_mov_b64 s[16:17], 0
.LBB63_1873:
	s_and_b64 vcc, exec, s[16:17]
	s_cbranch_vccz .LBB63_1876
; %bb.1874:
	s_cmp_eq_u32 s21, 29
	s_mov_b64 s[0:1], -1
	s_cbranch_scc0 .LBB63_1876
; %bb.1875:
	s_mov_b32 s0, 0
	v_cndmask_b32_e64 v3, 0, 1, s[10:11]
	v_mov_b32_e32 v4, s0
	global_store_dwordx2 v[1:2], v[3:4], off
	s_mov_b64 s[0:1], 0
	s_mov_b64 s[14:15], -1
.LBB63_1876:
	s_mov_b64 s[16:17], 0
.LBB63_1877:
	s_and_b64 vcc, exec, s[16:17]
	s_cbranch_vccz .LBB63_1893
; %bb.1878:
	s_cmp_lt_i32 s21, 27
	s_mov_b64 s[14:15], -1
	s_cbranch_scc1 .LBB63_1884
; %bb.1879:
	s_cmp_gt_i32 s21, 27
	s_cbranch_scc0 .LBB63_1881
; %bb.1880:
	v_cndmask_b32_e64 v3, 0, 1, s[10:11]
	s_mov_b64 s[14:15], 0
	global_store_dword v[1:2], v3, off
.LBB63_1881:
	s_andn2_b64 vcc, exec, s[14:15]
	s_cbranch_vccnz .LBB63_1883
; %bb.1882:
	v_cndmask_b32_e64 v3, 0, 1, s[10:11]
	global_store_short v[1:2], v3, off
.LBB63_1883:
	s_mov_b64 s[14:15], 0
.LBB63_1884:
	s_andn2_b64 vcc, exec, s[14:15]
	s_cbranch_vccnz .LBB63_1892
; %bb.1885:
	v_cndmask_b32_e64 v4, 0, 1.0, s[10:11]
	s_mov_b32 s14, 0x43800000
	v_cmp_gt_u32_e32 vcc, s14, v4
	v_mov_b32_e32 v5, 0x80
	s_and_saveexec_b64 s[14:15], vcc
	s_cbranch_execz .LBB63_1891
; %bb.1886:
	s_mov_b32 s16, 0x3bffffff
	v_cmp_lt_u32_e32 vcc, s16, v4
	s_mov_b64 s[16:17], 0
                                        ; implicit-def: $vgpr3
	s_and_saveexec_b64 s[18:19], vcc
	s_xor_b64 s[18:19], exec, s[18:19]
	s_cbranch_execz .LBB63_2112
; %bb.1887:
	v_bfe_u32 v3, v4, 20, 1
	s_mov_b32 s22, 0x487ffff
	v_add3_u32 v3, v4, v3, s22
	s_mov_b64 s[16:17], exec
	v_lshrrev_b32_e32 v3, 20, v3
                                        ; implicit-def: $vgpr4
	s_andn2_saveexec_b64 s[18:19], s[18:19]
	s_cbranch_execnz .LBB63_2113
.LBB63_1888:
	s_or_b64 exec, exec, s[18:19]
	v_mov_b32_e32 v5, 0
	s_and_saveexec_b64 s[18:19], s[16:17]
.LBB63_1889:
	v_mov_b32_e32 v5, v3
.LBB63_1890:
	s_or_b64 exec, exec, s[18:19]
.LBB63_1891:
	s_or_b64 exec, exec, s[14:15]
	global_store_byte v[1:2], v5, off
.LBB63_1892:
	s_mov_b64 s[14:15], -1
.LBB63_1893:
	s_mov_b64 s[16:17], 0
.LBB63_1894:
	s_and_b64 vcc, exec, s[16:17]
	s_cbranch_vccz .LBB63_1934
; %bb.1895:
	s_cmp_gt_i32 s21, 22
	s_mov_b64 s[12:13], -1
	s_cbranch_scc0 .LBB63_1927
; %bb.1896:
	s_cmp_lt_i32 s21, 24
	s_cbranch_scc1 .LBB63_1916
; %bb.1897:
	s_cmp_gt_i32 s21, 24
	s_cbranch_scc0 .LBB63_1905
; %bb.1898:
	v_cndmask_b32_e64 v4, 0, 1.0, s[10:11]
	s_mov_b32 s12, 0x47800000
	v_cmp_gt_u32_e32 vcc, s12, v4
	v_mov_b32_e32 v5, 0x80
	s_and_saveexec_b64 s[12:13], vcc
	s_cbranch_execz .LBB63_1904
; %bb.1899:
	s_mov_b32 s14, 0x37ffffff
	v_cmp_lt_u32_e32 vcc, s14, v4
	s_mov_b64 s[14:15], 0
                                        ; implicit-def: $vgpr3
	s_and_saveexec_b64 s[16:17], vcc
	s_xor_b64 s[16:17], exec, s[16:17]
	s_cbranch_execz .LBB63_2115
; %bb.1900:
	v_bfe_u32 v3, v4, 21, 1
	s_mov_b32 s18, 0x88fffff
	v_add3_u32 v3, v4, v3, s18
	s_mov_b64 s[14:15], exec
	v_lshrrev_b32_e32 v3, 21, v3
                                        ; implicit-def: $vgpr4
	s_andn2_saveexec_b64 s[16:17], s[16:17]
	s_cbranch_execnz .LBB63_2116
.LBB63_1901:
	s_or_b64 exec, exec, s[16:17]
	v_mov_b32_e32 v5, 0
	s_and_saveexec_b64 s[16:17], s[14:15]
.LBB63_1902:
	v_mov_b32_e32 v5, v3
.LBB63_1903:
	s_or_b64 exec, exec, s[16:17]
.LBB63_1904:
	s_or_b64 exec, exec, s[12:13]
	s_mov_b64 s[12:13], 0
	global_store_byte v[1:2], v5, off
.LBB63_1905:
	s_and_b64 vcc, exec, s[12:13]
	s_cbranch_vccz .LBB63_1915
; %bb.1906:
	v_cndmask_b32_e64 v3, 0, 1.0, s[10:11]
	s_mov_b32 s12, 0x43f00000
	v_cmp_gt_u32_e32 vcc, s12, v3
                                        ; implicit-def: $vgpr4
	s_and_saveexec_b64 s[12:13], vcc
	s_xor_b64 s[12:13], exec, s[12:13]
	s_cbranch_execz .LBB63_1912
; %bb.1907:
	s_mov_b32 s14, 0x3c7fffff
	v_cmp_lt_u32_e32 vcc, s14, v3
                                        ; implicit-def: $vgpr4
	s_and_saveexec_b64 s[14:15], vcc
	s_xor_b64 s[14:15], exec, s[14:15]
; %bb.1908:
	v_bfe_u32 v4, v3, 20, 1
	s_mov_b32 s16, 0x407ffff
	v_add3_u32 v3, v3, v4, s16
	v_lshrrev_b32_e32 v4, 20, v3
	v_and_b32_e32 v3, 0xff00000, v3
	s_mov_b32 s16, 0x7f00000
	v_mov_b32_e32 v5, 0x7e
	v_cmp_ne_u32_e32 vcc, s16, v3
	v_cndmask_b32_e32 v4, v5, v4, vcc
                                        ; implicit-def: $vgpr3
; %bb.1909:
	s_andn2_saveexec_b64 s[14:15], s[14:15]
; %bb.1910:
	v_add_f32_e32 v4, 0x46800000, v3
; %bb.1911:
	s_or_b64 exec, exec, s[14:15]
                                        ; implicit-def: $vgpr3
.LBB63_1912:
	s_andn2_saveexec_b64 s[12:13], s[12:13]
; %bb.1913:
	s_mov_b32 s14, 0x7f800000
	v_mov_b32_e32 v4, 0x7e
	v_mov_b32_e32 v5, 0x7f
	v_cmp_lt_u32_e32 vcc, s14, v3
	v_cndmask_b32_e32 v4, v4, v5, vcc
; %bb.1914:
	s_or_b64 exec, exec, s[12:13]
	global_store_byte v[1:2], v4, off
.LBB63_1915:
	s_mov_b64 s[12:13], 0
.LBB63_1916:
	s_andn2_b64 vcc, exec, s[12:13]
	s_cbranch_vccnz .LBB63_1926
; %bb.1917:
	v_cndmask_b32_e64 v3, 0, 1.0, s[10:11]
	s_mov_b32 s12, 0x47800000
	v_cmp_gt_u32_e32 vcc, s12, v3
                                        ; implicit-def: $vgpr4
	s_and_saveexec_b64 s[12:13], vcc
	s_xor_b64 s[12:13], exec, s[12:13]
	s_cbranch_execz .LBB63_1923
; %bb.1918:
	s_mov_b32 s14, 0x387fffff
	v_cmp_lt_u32_e32 vcc, s14, v3
                                        ; implicit-def: $vgpr4
	s_and_saveexec_b64 s[14:15], vcc
	s_xor_b64 s[14:15], exec, s[14:15]
; %bb.1919:
	v_bfe_u32 v4, v3, 21, 1
	s_mov_b32 s16, 0x80fffff
	v_add3_u32 v3, v3, v4, s16
	v_lshrrev_b32_e32 v4, 21, v3
                                        ; implicit-def: $vgpr3
; %bb.1920:
	s_andn2_saveexec_b64 s[14:15], s[14:15]
; %bb.1921:
	v_add_f32_e32 v4, 0x43000000, v3
; %bb.1922:
	s_or_b64 exec, exec, s[14:15]
                                        ; implicit-def: $vgpr3
.LBB63_1923:
	s_andn2_saveexec_b64 s[12:13], s[12:13]
; %bb.1924:
	s_mov_b32 s14, 0x7f800000
	v_mov_b32_e32 v4, 0x7c
	v_mov_b32_e32 v5, 0x7f
	v_cmp_lt_u32_e32 vcc, s14, v3
	v_cndmask_b32_e32 v4, v4, v5, vcc
; %bb.1925:
	s_or_b64 exec, exec, s[12:13]
	global_store_byte v[1:2], v4, off
.LBB63_1926:
	s_mov_b64 s[12:13], 0
	s_mov_b64 s[14:15], -1
.LBB63_1927:
	s_andn2_b64 vcc, exec, s[12:13]
	s_mov_b64 s[12:13], 0
	s_cbranch_vccnz .LBB63_1934
; %bb.1928:
	s_cmp_gt_i32 s21, 14
	s_mov_b64 s[16:17], -1
	s_cbranch_scc0 .LBB63_1932
; %bb.1929:
	s_cmp_eq_u32 s21, 15
	s_mov_b64 s[0:1], -1
	s_cbranch_scc0 .LBB63_1931
; %bb.1930:
	v_cndmask_b32_e64 v3, 0, 1.0, s[10:11]
	v_bfe_u32 v4, v3, 16, 1
	s_movk_i32 s0, 0x7fff
	v_add3_u32 v3, v3, v4, s0
	global_store_short_d16_hi v[1:2], v3, off
	s_mov_b64 s[0:1], 0
	s_mov_b64 s[14:15], -1
.LBB63_1931:
	s_mov_b64 s[16:17], 0
.LBB63_1932:
	s_and_b64 vcc, exec, s[16:17]
	s_cbranch_vccz .LBB63_1934
; %bb.1933:
	s_cmp_lg_u32 s21, 11
	s_mov_b64 s[12:13], -1
	s_cselect_b64 s[0:1], -1, 0
.LBB63_1934:
	s_and_b64 vcc, exec, s[0:1]
	s_cbranch_vccnz .LBB63_2114
; %bb.1935:
	s_andn2_b64 vcc, exec, s[12:13]
	s_cbranch_vccnz .LBB63_1937
.LBB63_1936:
	v_cndmask_b32_e64 v3, 0, 1, s[10:11]
	s_mov_b64 s[14:15], -1
	global_store_byte v[1:2], v3, off
.LBB63_1937:
	s_mov_b64 s[0:1], 0
	s_branch .LBB63_1939
.LBB63_1938:
	s_mov_b64 s[0:1], -1
	s_mov_b64 s[14:15], 0
.LBB63_1939:
	s_and_b64 vcc, exec, s[0:1]
	s_cbranch_vccz .LBB63_1978
; %bb.1940:
	s_cmp_lt_i32 s21, 5
	s_mov_b64 s[0:1], -1
	s_cbranch_scc1 .LBB63_1961
; %bb.1941:
	s_cmp_lt_i32 s21, 8
	s_cbranch_scc1 .LBB63_1951
; %bb.1942:
	s_cmp_lt_i32 s21, 9
	s_cbranch_scc1 .LBB63_1948
; %bb.1943:
	s_cmp_gt_i32 s21, 9
	s_cbranch_scc0 .LBB63_1945
; %bb.1944:
	v_cndmask_b32_e64 v3, 0, 1, s[10:11]
	v_cvt_f64_u32_e32 v[3:4], v3
	v_mov_b32_e32 v5, 0
	v_mov_b32_e32 v6, v5
	s_mov_b64 s[0:1], 0
	global_store_dwordx4 v[1:2], v[3:6], off
.LBB63_1945:
	s_andn2_b64 vcc, exec, s[0:1]
	s_cbranch_vccnz .LBB63_1947
; %bb.1946:
	v_cndmask_b32_e64 v3, 0, 1.0, s[10:11]
	v_mov_b32_e32 v4, 0
	global_store_dwordx2 v[1:2], v[3:4], off
.LBB63_1947:
	s_mov_b64 s[0:1], 0
.LBB63_1948:
	s_andn2_b64 vcc, exec, s[0:1]
	s_cbranch_vccnz .LBB63_1950
; %bb.1949:
	v_cndmask_b32_e64 v3, 0, 1.0, s[10:11]
	v_cvt_f16_f32_e32 v3, v3
	global_store_dword v[1:2], v3, off
.LBB63_1950:
	s_mov_b64 s[0:1], 0
.LBB63_1951:
	s_andn2_b64 vcc, exec, s[0:1]
	s_cbranch_vccnz .LBB63_1960
; %bb.1952:
	s_cmp_lt_i32 s21, 6
	s_mov_b64 s[0:1], -1
	s_cbranch_scc1 .LBB63_1958
; %bb.1953:
	s_cmp_gt_i32 s21, 6
	s_cbranch_scc0 .LBB63_1955
; %bb.1954:
	v_cndmask_b32_e64 v3, 0, 1, s[10:11]
	v_cvt_f64_u32_e32 v[3:4], v3
	s_mov_b64 s[0:1], 0
	global_store_dwordx2 v[1:2], v[3:4], off
.LBB63_1955:
	s_andn2_b64 vcc, exec, s[0:1]
	s_cbranch_vccnz .LBB63_1957
; %bb.1956:
	v_cndmask_b32_e64 v3, 0, 1.0, s[10:11]
	global_store_dword v[1:2], v3, off
.LBB63_1957:
	s_mov_b64 s[0:1], 0
.LBB63_1958:
	s_andn2_b64 vcc, exec, s[0:1]
	s_cbranch_vccnz .LBB63_1960
; %bb.1959:
	v_cndmask_b32_e64 v3, 0, 1.0, s[10:11]
	v_cvt_f16_f32_e32 v3, v3
	global_store_short v[1:2], v3, off
.LBB63_1960:
	s_mov_b64 s[0:1], 0
.LBB63_1961:
	s_andn2_b64 vcc, exec, s[0:1]
	s_cbranch_vccnz .LBB63_1977
; %bb.1962:
	s_cmp_lt_i32 s21, 2
	s_mov_b64 s[0:1], -1
	s_cbranch_scc1 .LBB63_1972
; %bb.1963:
	s_cmp_lt_i32 s21, 3
	s_cbranch_scc1 .LBB63_1969
; %bb.1964:
	s_cmp_gt_i32 s21, 3
	s_cbranch_scc0 .LBB63_1966
; %bb.1965:
	s_mov_b32 s0, 0
	v_cndmask_b32_e64 v3, 0, 1, s[10:11]
	v_mov_b32_e32 v4, s0
	global_store_dwordx2 v[1:2], v[3:4], off
	s_mov_b64 s[0:1], 0
.LBB63_1966:
	s_andn2_b64 vcc, exec, s[0:1]
	s_cbranch_vccnz .LBB63_1968
; %bb.1967:
	v_cndmask_b32_e64 v3, 0, 1, s[10:11]
	global_store_dword v[1:2], v3, off
.LBB63_1968:
	s_mov_b64 s[0:1], 0
.LBB63_1969:
	s_andn2_b64 vcc, exec, s[0:1]
	s_cbranch_vccnz .LBB63_1971
; %bb.1970:
	v_cndmask_b32_e64 v3, 0, 1, s[10:11]
	global_store_short v[1:2], v3, off
.LBB63_1971:
	s_mov_b64 s[0:1], 0
.LBB63_1972:
	s_andn2_b64 vcc, exec, s[0:1]
	s_cbranch_vccnz .LBB63_1977
; %bb.1973:
	s_cmp_gt_i32 s21, 0
	s_mov_b64 s[0:1], -1
	s_cbranch_scc0 .LBB63_1975
; %bb.1974:
	v_cndmask_b32_e64 v3, 0, 1, s[10:11]
	global_store_byte v[1:2], v3, off
	s_mov_b64 s[0:1], 0
.LBB63_1975:
	s_andn2_b64 vcc, exec, s[0:1]
	s_cbranch_vccnz .LBB63_1977
; %bb.1976:
	v_cndmask_b32_e64 v3, 0, 1, s[10:11]
	global_store_byte v[1:2], v3, off
.LBB63_1977:
	s_mov_b64 s[14:15], -1
.LBB63_1978:
	s_andn2_b64 vcc, exec, s[14:15]
	s_cbranch_vccnz .LBB63_2055
; %bb.1979:
	v_cmp_ne_u64_e32 vcc, s[4:5], v[14:15]
	v_mov_b32_e32 v1, s9
	s_xor_b64 s[10:11], s[6:7], vcc
	v_add_co_u32_e32 v0, vcc, s8, v0
	s_cmp_lt_i32 s21, 11
	v_addc_co_u32_e32 v1, vcc, 0, v1, vcc
	s_cbranch_scc1 .LBB63_2100
; %bb.1980:
	s_mov_b64 s[6:7], -1
	s_mov_b64 s[4:5], 0
	s_cmp_gt_i32 s21, 25
	s_mov_b64 s[0:1], 0
	s_cbranch_scc0 .LBB63_2013
; %bb.1981:
	s_cmp_gt_i32 s21, 28
	s_cbranch_scc0 .LBB63_1997
; %bb.1982:
	s_cmp_gt_i32 s21, 43
	;; [unrolled: 3-line block ×3, first 2 shown]
	s_cbranch_scc0 .LBB63_1987
; %bb.1984:
	s_cmp_eq_u32 s21, 46
	s_mov_b64 s[0:1], -1
	s_cbranch_scc0 .LBB63_1986
; %bb.1985:
	v_cndmask_b32_e64 v2, 0, 1.0, s[10:11]
	v_bfe_u32 v3, v2, 16, 1
	s_movk_i32 s0, 0x7fff
	v_add3_u32 v2, v2, v3, s0
	v_lshrrev_b32_e32 v2, 16, v2
	global_store_dword v[0:1], v2, off
	s_mov_b64 s[0:1], 0
.LBB63_1986:
	s_mov_b64 s[6:7], 0
.LBB63_1987:
	s_and_b64 vcc, exec, s[6:7]
	s_cbranch_vccz .LBB63_1992
; %bb.1988:
	s_cmp_eq_u32 s21, 44
	s_mov_b64 s[0:1], -1
	s_cbranch_scc0 .LBB63_1992
; %bb.1989:
	v_cndmask_b32_e64 v3, 0, 1.0, s[10:11]
	v_lshrrev_b32_e32 v2, 23, v3
	s_movk_i32 s0, 0xff
	v_cmp_ne_u32_e32 vcc, s0, v2
	v_mov_b32_e32 v4, 0xff
	s_and_saveexec_b64 s[6:7], vcc
; %bb.1990:
	s_mov_b32 s0, 0x3fffff
	v_and_b32_e32 v4, 0x400000, v3
	v_and_or_b32 v3, v3, s0, v2
	v_cmp_ne_u32_e32 vcc, 0, v4
	v_cmp_ne_u32_e64 s[0:1], 0, v3
	s_and_b64 s[0:1], vcc, s[0:1]
	v_cndmask_b32_e64 v3, 0, 1, s[0:1]
	v_add_u32_e32 v4, v2, v3
; %bb.1991:
	s_or_b64 exec, exec, s[6:7]
	s_mov_b64 s[0:1], 0
	global_store_byte v[0:1], v4, off
.LBB63_1992:
	s_mov_b64 s[6:7], 0
.LBB63_1993:
	s_and_b64 vcc, exec, s[6:7]
	s_cbranch_vccz .LBB63_1996
; %bb.1994:
	s_cmp_eq_u32 s21, 29
	s_mov_b64 s[0:1], -1
	s_cbranch_scc0 .LBB63_1996
; %bb.1995:
	s_mov_b32 s0, 0
	v_cndmask_b32_e64 v2, 0, 1, s[10:11]
	v_mov_b32_e32 v3, s0
	global_store_dwordx2 v[0:1], v[2:3], off
	s_mov_b64 s[0:1], 0
.LBB63_1996:
	s_mov_b64 s[6:7], 0
.LBB63_1997:
	s_and_b64 vcc, exec, s[6:7]
	s_cbranch_vccz .LBB63_2012
; %bb.1998:
	s_cmp_lt_i32 s21, 27
	s_mov_b64 s[6:7], -1
	s_cbranch_scc1 .LBB63_2004
; %bb.1999:
	s_cmp_gt_i32 s21, 27
	s_cbranch_scc0 .LBB63_2001
; %bb.2000:
	v_cndmask_b32_e64 v2, 0, 1, s[10:11]
	global_store_dword v[0:1], v2, off
	s_mov_b64 s[6:7], 0
.LBB63_2001:
	s_andn2_b64 vcc, exec, s[6:7]
	s_cbranch_vccnz .LBB63_2003
; %bb.2002:
	v_cndmask_b32_e64 v2, 0, 1, s[10:11]
	global_store_short v[0:1], v2, off
.LBB63_2003:
	s_mov_b64 s[6:7], 0
.LBB63_2004:
	s_andn2_b64 vcc, exec, s[6:7]
	s_cbranch_vccnz .LBB63_2012
; %bb.2005:
	v_cndmask_b32_e64 v3, 0, 1.0, s[10:11]
	s_mov_b32 s6, 0x43800000
	v_cmp_gt_u32_e32 vcc, s6, v3
	v_mov_b32_e32 v4, 0x80
	s_and_saveexec_b64 s[6:7], vcc
	s_cbranch_execz .LBB63_2011
; %bb.2006:
	s_mov_b32 s8, 0x3bffffff
	v_cmp_lt_u32_e32 vcc, s8, v3
	s_mov_b64 s[8:9], 0
                                        ; implicit-def: $vgpr2
	s_and_saveexec_b64 s[12:13], vcc
	s_xor_b64 s[12:13], exec, s[12:13]
	s_cbranch_execz .LBB63_2117
; %bb.2007:
	v_bfe_u32 v2, v3, 20, 1
	s_mov_b32 s14, 0x487ffff
	v_add3_u32 v2, v3, v2, s14
	s_mov_b64 s[8:9], exec
	v_lshrrev_b32_e32 v2, 20, v2
                                        ; implicit-def: $vgpr3
	s_andn2_saveexec_b64 s[12:13], s[12:13]
	s_cbranch_execnz .LBB63_2118
.LBB63_2008:
	s_or_b64 exec, exec, s[12:13]
	v_mov_b32_e32 v4, 0
	s_and_saveexec_b64 s[12:13], s[8:9]
.LBB63_2009:
	v_mov_b32_e32 v4, v2
.LBB63_2010:
	s_or_b64 exec, exec, s[12:13]
.LBB63_2011:
	s_or_b64 exec, exec, s[6:7]
	global_store_byte v[0:1], v4, off
.LBB63_2012:
	s_mov_b64 s[6:7], 0
.LBB63_2013:
	s_and_b64 vcc, exec, s[6:7]
	s_cbranch_vccz .LBB63_2053
; %bb.2014:
	s_cmp_gt_i32 s21, 22
	s_mov_b64 s[4:5], -1
	s_cbranch_scc0 .LBB63_2046
; %bb.2015:
	s_cmp_lt_i32 s21, 24
	s_cbranch_scc1 .LBB63_2035
; %bb.2016:
	s_cmp_gt_i32 s21, 24
	s_cbranch_scc0 .LBB63_2024
; %bb.2017:
	v_cndmask_b32_e64 v3, 0, 1.0, s[10:11]
	s_mov_b32 s4, 0x47800000
	v_cmp_gt_u32_e32 vcc, s4, v3
	v_mov_b32_e32 v4, 0x80
	s_and_saveexec_b64 s[4:5], vcc
	s_cbranch_execz .LBB63_2023
; %bb.2018:
	s_mov_b32 s6, 0x37ffffff
	v_cmp_lt_u32_e32 vcc, s6, v3
	s_mov_b64 s[6:7], 0
                                        ; implicit-def: $vgpr2
	s_and_saveexec_b64 s[8:9], vcc
	s_xor_b64 s[8:9], exec, s[8:9]
	s_cbranch_execz .LBB63_2120
; %bb.2019:
	v_bfe_u32 v2, v3, 21, 1
	s_mov_b32 s12, 0x88fffff
	v_add3_u32 v2, v3, v2, s12
	s_mov_b64 s[6:7], exec
	v_lshrrev_b32_e32 v2, 21, v2
                                        ; implicit-def: $vgpr3
	s_andn2_saveexec_b64 s[8:9], s[8:9]
	s_cbranch_execnz .LBB63_2121
.LBB63_2020:
	s_or_b64 exec, exec, s[8:9]
	v_mov_b32_e32 v4, 0
	s_and_saveexec_b64 s[8:9], s[6:7]
.LBB63_2021:
	v_mov_b32_e32 v4, v2
.LBB63_2022:
	s_or_b64 exec, exec, s[8:9]
.LBB63_2023:
	s_or_b64 exec, exec, s[4:5]
	s_mov_b64 s[4:5], 0
	global_store_byte v[0:1], v4, off
.LBB63_2024:
	s_and_b64 vcc, exec, s[4:5]
	s_cbranch_vccz .LBB63_2034
; %bb.2025:
	v_cndmask_b32_e64 v2, 0, 1.0, s[10:11]
	s_mov_b32 s4, 0x43f00000
	v_cmp_gt_u32_e32 vcc, s4, v2
                                        ; implicit-def: $vgpr3
	s_and_saveexec_b64 s[4:5], vcc
	s_xor_b64 s[4:5], exec, s[4:5]
	s_cbranch_execz .LBB63_2031
; %bb.2026:
	s_mov_b32 s6, 0x3c7fffff
	v_cmp_lt_u32_e32 vcc, s6, v2
                                        ; implicit-def: $vgpr3
	s_and_saveexec_b64 s[6:7], vcc
	s_xor_b64 s[6:7], exec, s[6:7]
; %bb.2027:
	v_bfe_u32 v3, v2, 20, 1
	s_mov_b32 s8, 0x407ffff
	v_add3_u32 v2, v2, v3, s8
	v_lshrrev_b32_e32 v3, 20, v2
	v_and_b32_e32 v2, 0xff00000, v2
	s_mov_b32 s8, 0x7f00000
	v_mov_b32_e32 v4, 0x7e
	v_cmp_ne_u32_e32 vcc, s8, v2
	v_cndmask_b32_e32 v3, v4, v3, vcc
                                        ; implicit-def: $vgpr2
; %bb.2028:
	s_andn2_saveexec_b64 s[6:7], s[6:7]
; %bb.2029:
	v_add_f32_e32 v3, 0x46800000, v2
; %bb.2030:
	s_or_b64 exec, exec, s[6:7]
                                        ; implicit-def: $vgpr2
.LBB63_2031:
	s_andn2_saveexec_b64 s[4:5], s[4:5]
; %bb.2032:
	s_mov_b32 s6, 0x7f800000
	v_mov_b32_e32 v3, 0x7e
	v_mov_b32_e32 v4, 0x7f
	v_cmp_lt_u32_e32 vcc, s6, v2
	v_cndmask_b32_e32 v3, v3, v4, vcc
; %bb.2033:
	s_or_b64 exec, exec, s[4:5]
	global_store_byte v[0:1], v3, off
.LBB63_2034:
	s_mov_b64 s[4:5], 0
.LBB63_2035:
	s_andn2_b64 vcc, exec, s[4:5]
	s_cbranch_vccnz .LBB63_2045
; %bb.2036:
	v_cndmask_b32_e64 v2, 0, 1.0, s[10:11]
	s_mov_b32 s4, 0x47800000
	v_cmp_gt_u32_e32 vcc, s4, v2
                                        ; implicit-def: $vgpr3
	s_and_saveexec_b64 s[4:5], vcc
	s_xor_b64 s[4:5], exec, s[4:5]
	s_cbranch_execz .LBB63_2042
; %bb.2037:
	s_mov_b32 s6, 0x387fffff
	v_cmp_lt_u32_e32 vcc, s6, v2
                                        ; implicit-def: $vgpr3
	s_and_saveexec_b64 s[6:7], vcc
	s_xor_b64 s[6:7], exec, s[6:7]
; %bb.2038:
	v_bfe_u32 v3, v2, 21, 1
	s_mov_b32 s8, 0x80fffff
	v_add3_u32 v2, v2, v3, s8
	v_lshrrev_b32_e32 v3, 21, v2
                                        ; implicit-def: $vgpr2
; %bb.2039:
	s_andn2_saveexec_b64 s[6:7], s[6:7]
; %bb.2040:
	v_add_f32_e32 v3, 0x43000000, v2
; %bb.2041:
	s_or_b64 exec, exec, s[6:7]
                                        ; implicit-def: $vgpr2
.LBB63_2042:
	s_andn2_saveexec_b64 s[4:5], s[4:5]
; %bb.2043:
	s_mov_b32 s6, 0x7f800000
	v_mov_b32_e32 v3, 0x7c
	v_mov_b32_e32 v4, 0x7f
	v_cmp_lt_u32_e32 vcc, s6, v2
	v_cndmask_b32_e32 v3, v3, v4, vcc
; %bb.2044:
	s_or_b64 exec, exec, s[4:5]
	global_store_byte v[0:1], v3, off
.LBB63_2045:
	s_mov_b64 s[4:5], 0
.LBB63_2046:
	s_andn2_b64 vcc, exec, s[4:5]
	s_mov_b64 s[4:5], 0
	s_cbranch_vccnz .LBB63_2053
; %bb.2047:
	s_cmp_gt_i32 s21, 14
	s_mov_b64 s[6:7], -1
	s_cbranch_scc0 .LBB63_2051
; %bb.2048:
	s_cmp_eq_u32 s21, 15
	s_mov_b64 s[0:1], -1
	s_cbranch_scc0 .LBB63_2050
; %bb.2049:
	v_cndmask_b32_e64 v2, 0, 1.0, s[10:11]
	v_bfe_u32 v3, v2, 16, 1
	s_movk_i32 s0, 0x7fff
	v_add3_u32 v2, v2, v3, s0
	global_store_short_d16_hi v[0:1], v2, off
	s_mov_b64 s[0:1], 0
.LBB63_2050:
	s_mov_b64 s[6:7], 0
.LBB63_2051:
	s_and_b64 vcc, exec, s[6:7]
	s_cbranch_vccz .LBB63_2053
; %bb.2052:
	s_cmp_lg_u32 s21, 11
	s_mov_b64 s[4:5], -1
	s_cselect_b64 s[0:1], -1, 0
.LBB63_2053:
	s_and_b64 vcc, exec, s[0:1]
	s_cbranch_vccnz .LBB63_2119
.LBB63_2054:
	s_mov_b64 s[0:1], 0
	s_branch .LBB63_2056
.LBB63_2055:
	s_mov_b64 s[0:1], 0
	s_mov_b64 s[4:5], 0
                                        ; implicit-def: $sgpr10_sgpr11
                                        ; implicit-def: $vgpr0_vgpr1
                                        ; implicit-def: $sgpr20
.LBB63_2056:
	s_and_b64 s[6:7], s[4:5], exec
	s_andn2_b64 s[4:5], s[28:29], exec
	s_and_b64 s[2:3], s[2:3], exec
	s_and_b64 s[0:1], s[0:1], exec
	s_or_b64 s[28:29], s[4:5], s[2:3]
.LBB63_2057:
	s_or_b64 exec, exec, s[30:31]
	s_and_saveexec_b64 s[2:3], s[28:29]
	s_cbranch_execz .LBB63_2060
; %bb.2058:
	; divergent unreachable
	s_or_b64 exec, exec, s[2:3]
	s_and_saveexec_b64 s[2:3], s[6:7]
	s_xor_b64 s[2:3], exec, s[2:3]
	s_cbranch_execnz .LBB63_2061
.LBB63_2059:
	s_or_b64 exec, exec, s[2:3]
	s_and_saveexec_b64 s[2:3], s[0:1]
	s_cbranch_execnz .LBB63_2062
	s_branch .LBB63_2099
.LBB63_2060:
	s_or_b64 exec, exec, s[2:3]
	s_and_saveexec_b64 s[2:3], s[6:7]
	s_xor_b64 s[2:3], exec, s[2:3]
	s_cbranch_execz .LBB63_2059
.LBB63_2061:
	v_cndmask_b32_e64 v2, 0, 1, s[10:11]
	global_store_byte v[0:1], v2, off
	s_or_b64 exec, exec, s[2:3]
	s_and_saveexec_b64 s[2:3], s[0:1]
	s_cbranch_execz .LBB63_2099
.LBB63_2062:
	s_sext_i32_i16 s2, s20
	s_cmp_lt_i32 s2, 5
	s_mov_b64 s[0:1], -1
	s_cbranch_scc1 .LBB63_2083
; %bb.2063:
	s_cmp_lt_i32 s2, 8
	s_cbranch_scc1 .LBB63_2073
; %bb.2064:
	s_cmp_lt_i32 s2, 9
	s_cbranch_scc1 .LBB63_2070
; %bb.2065:
	s_cmp_gt_i32 s2, 9
	s_cbranch_scc0 .LBB63_2067
; %bb.2066:
	v_cndmask_b32_e64 v2, 0, 1, s[10:11]
	s_waitcnt vmcnt(0)
	v_cvt_f64_u32_e32 v[2:3], v2
	v_mov_b32_e32 v4, 0
	v_mov_b32_e32 v5, v4
	s_mov_b64 s[0:1], 0
	global_store_dwordx4 v[0:1], v[2:5], off
.LBB63_2067:
	s_andn2_b64 vcc, exec, s[0:1]
	s_cbranch_vccnz .LBB63_2069
; %bb.2068:
	v_cndmask_b32_e64 v2, 0, 1.0, s[10:11]
	s_waitcnt vmcnt(0)
	v_mov_b32_e32 v3, 0
	global_store_dwordx2 v[0:1], v[2:3], off
.LBB63_2069:
	s_mov_b64 s[0:1], 0
.LBB63_2070:
	s_andn2_b64 vcc, exec, s[0:1]
	s_cbranch_vccnz .LBB63_2072
; %bb.2071:
	v_cndmask_b32_e64 v2, 0, 1.0, s[10:11]
	v_cvt_f16_f32_e32 v2, v2
	global_store_dword v[0:1], v2, off
.LBB63_2072:
	s_mov_b64 s[0:1], 0
.LBB63_2073:
	s_andn2_b64 vcc, exec, s[0:1]
	s_cbranch_vccnz .LBB63_2082
; %bb.2074:
	s_sext_i32_i16 s2, s20
	s_cmp_lt_i32 s2, 6
	s_mov_b64 s[0:1], -1
	s_cbranch_scc1 .LBB63_2080
; %bb.2075:
	s_cmp_gt_i32 s2, 6
	s_cbranch_scc0 .LBB63_2077
; %bb.2076:
	v_cndmask_b32_e64 v2, 0, 1, s[10:11]
	s_waitcnt vmcnt(0)
	v_cvt_f64_u32_e32 v[2:3], v2
	s_mov_b64 s[0:1], 0
	global_store_dwordx2 v[0:1], v[2:3], off
.LBB63_2077:
	s_andn2_b64 vcc, exec, s[0:1]
	s_cbranch_vccnz .LBB63_2079
; %bb.2078:
	v_cndmask_b32_e64 v2, 0, 1.0, s[10:11]
	global_store_dword v[0:1], v2, off
.LBB63_2079:
	s_mov_b64 s[0:1], 0
.LBB63_2080:
	s_andn2_b64 vcc, exec, s[0:1]
	s_cbranch_vccnz .LBB63_2082
; %bb.2081:
	v_cndmask_b32_e64 v2, 0, 1.0, s[10:11]
	v_cvt_f16_f32_e32 v2, v2
	global_store_short v[0:1], v2, off
.LBB63_2082:
	s_mov_b64 s[0:1], 0
.LBB63_2083:
	s_andn2_b64 vcc, exec, s[0:1]
	s_cbranch_vccnz .LBB63_2099
; %bb.2084:
	s_sext_i32_i16 s2, s20
	s_cmp_lt_i32 s2, 2
	s_mov_b64 s[0:1], -1
	s_cbranch_scc1 .LBB63_2094
; %bb.2085:
	s_cmp_lt_i32 s2, 3
	s_cbranch_scc1 .LBB63_2091
; %bb.2086:
	s_cmp_gt_i32 s2, 3
	s_cbranch_scc0 .LBB63_2088
; %bb.2087:
	s_mov_b32 s0, 0
	v_cndmask_b32_e64 v2, 0, 1, s[10:11]
	s_waitcnt vmcnt(0)
	v_mov_b32_e32 v3, s0
	global_store_dwordx2 v[0:1], v[2:3], off
	s_mov_b64 s[0:1], 0
.LBB63_2088:
	s_andn2_b64 vcc, exec, s[0:1]
	s_cbranch_vccnz .LBB63_2090
; %bb.2089:
	v_cndmask_b32_e64 v2, 0, 1, s[10:11]
	global_store_dword v[0:1], v2, off
.LBB63_2090:
	s_mov_b64 s[0:1], 0
.LBB63_2091:
	s_andn2_b64 vcc, exec, s[0:1]
	s_cbranch_vccnz .LBB63_2093
; %bb.2092:
	v_cndmask_b32_e64 v2, 0, 1, s[10:11]
	global_store_short v[0:1], v2, off
.LBB63_2093:
	s_mov_b64 s[0:1], 0
.LBB63_2094:
	s_andn2_b64 vcc, exec, s[0:1]
	s_cbranch_vccnz .LBB63_2099
; %bb.2095:
	s_sext_i32_i16 s0, s20
	s_cmp_gt_i32 s0, 0
	s_mov_b64 s[0:1], -1
	s_cbranch_scc0 .LBB63_2097
; %bb.2096:
	v_cndmask_b32_e64 v2, 0, 1, s[10:11]
	global_store_byte v[0:1], v2, off
	s_mov_b64 s[0:1], 0
.LBB63_2097:
	s_andn2_b64 vcc, exec, s[0:1]
	s_cbranch_vccnz .LBB63_2099
; %bb.2098:
	v_cndmask_b32_e64 v2, 0, 1, s[10:11]
	global_store_byte v[0:1], v2, off
	s_endpgm
.LBB63_2099:
	s_endpgm
.LBB63_2100:
	s_mov_b64 s[4:5], 0
	s_mov_b64 s[0:1], -1
	s_branch .LBB63_2056
.LBB63_2101:
	s_trap 2
	s_or_b64 s[2:3], s[2:3], exec
	s_cbranch_execz .LBB63_1570
	s_branch .LBB63_1571
.LBB63_2102:
	s_andn2_saveexec_b64 s[18:19], s[18:19]
	s_cbranch_execz .LBB63_1650
.LBB63_2103:
	v_add_f32_e32 v1, 0x46000000, v3
	v_and_b32_e32 v1, 0xff, v1
	v_cmp_ne_u32_e32 vcc, 0, v1
	s_andn2_b64 s[16:17], s[16:17], exec
	s_and_b64 s[22:23], vcc, exec
	s_or_b64 s[16:17], s[16:17], s[22:23]
	s_or_b64 exec, exec, s[18:19]
	v_mov_b32_e32 v7, 0
	s_and_saveexec_b64 s[18:19], s[16:17]
	s_cbranch_execnz .LBB63_1651
	s_branch .LBB63_1652
.LBB63_2104:
	s_trap 2
	s_or_b64 s[2:3], s[2:3], exec
	s_cbranch_execz .LBB63_1698
	s_branch .LBB63_1699
.LBB63_2105:
	s_andn2_saveexec_b64 s[16:17], s[16:17]
	s_cbranch_execz .LBB63_1663
.LBB63_2106:
	v_add_f32_e32 v1, 0x42800000, v3
	v_and_b32_e32 v1, 0xff, v1
	v_cmp_ne_u32_e32 vcc, 0, v1
	s_andn2_b64 s[14:15], s[14:15], exec
	s_and_b64 s[18:19], vcc, exec
	s_or_b64 s[14:15], s[14:15], s[18:19]
	s_or_b64 exec, exec, s[16:17]
	v_mov_b32_e32 v7, 0
	s_and_saveexec_b64 s[16:17], s[14:15]
	s_cbranch_execnz .LBB63_1664
	s_branch .LBB63_1665
.LBB63_2107:
	s_andn2_saveexec_b64 s[18:19], s[18:19]
	s_cbranch_execz .LBB63_1769
.LBB63_2108:
	v_add_f32_e32 v1, 0x46000000, v5
	v_and_b32_e32 v1, 0xff, v1
	v_cmp_ne_u32_e32 vcc, 0, v1
	s_andn2_b64 s[16:17], s[16:17], exec
	s_and_b64 s[22:23], vcc, exec
	s_or_b64 s[16:17], s[16:17], s[22:23]
	s_or_b64 exec, exec, s[18:19]
	v_mov_b32_e32 v6, 0
	s_and_saveexec_b64 s[18:19], s[16:17]
	s_cbranch_execnz .LBB63_1770
	s_branch .LBB63_1771
.LBB63_2109:
	s_trap 2
	s_or_b64 s[2:3], s[2:3], exec
	s_cbranch_execz .LBB63_1817
	s_branch .LBB63_1818
.LBB63_2110:
	s_andn2_saveexec_b64 s[16:17], s[16:17]
	s_cbranch_execz .LBB63_1782
.LBB63_2111:
	v_add_f32_e32 v1, 0x42800000, v5
	v_and_b32_e32 v1, 0xff, v1
	v_cmp_ne_u32_e32 vcc, 0, v1
	s_andn2_b64 s[14:15], s[14:15], exec
	s_and_b64 s[18:19], vcc, exec
	s_or_b64 s[14:15], s[14:15], s[18:19]
	s_or_b64 exec, exec, s[16:17]
	v_mov_b32_e32 v6, 0
	s_and_saveexec_b64 s[16:17], s[14:15]
	s_cbranch_execnz .LBB63_1783
	s_branch .LBB63_1784
.LBB63_2112:
	s_andn2_saveexec_b64 s[18:19], s[18:19]
	s_cbranch_execz .LBB63_1888
.LBB63_2113:
	v_add_f32_e32 v3, 0x46000000, v4
	v_and_b32_e32 v3, 0xff, v3
	v_cmp_ne_u32_e32 vcc, 0, v3
	s_andn2_b64 s[16:17], s[16:17], exec
	s_and_b64 s[22:23], vcc, exec
	s_or_b64 s[16:17], s[16:17], s[22:23]
	s_or_b64 exec, exec, s[18:19]
	v_mov_b32_e32 v5, 0
	s_and_saveexec_b64 s[18:19], s[16:17]
	s_cbranch_execnz .LBB63_1889
	s_branch .LBB63_1890
.LBB63_2114:
	s_trap 2
	s_or_b64 s[2:3], s[2:3], exec
	s_cbranch_execz .LBB63_1936
	s_branch .LBB63_1937
.LBB63_2115:
	s_andn2_saveexec_b64 s[16:17], s[16:17]
	s_cbranch_execz .LBB63_1901
.LBB63_2116:
	v_add_f32_e32 v3, 0x42800000, v4
	v_and_b32_e32 v3, 0xff, v3
	v_cmp_ne_u32_e32 vcc, 0, v3
	s_andn2_b64 s[14:15], s[14:15], exec
	s_and_b64 s[18:19], vcc, exec
	s_or_b64 s[14:15], s[14:15], s[18:19]
	s_or_b64 exec, exec, s[16:17]
	v_mov_b32_e32 v5, 0
	s_and_saveexec_b64 s[16:17], s[14:15]
	s_cbranch_execnz .LBB63_1902
	s_branch .LBB63_1903
.LBB63_2117:
	s_andn2_saveexec_b64 s[12:13], s[12:13]
	s_cbranch_execz .LBB63_2008
.LBB63_2118:
	v_add_f32_e32 v2, 0x46000000, v3
	v_and_b32_e32 v2, 0xff, v2
	v_cmp_ne_u32_e32 vcc, 0, v2
	s_andn2_b64 s[8:9], s[8:9], exec
	s_and_b64 s[14:15], vcc, exec
	s_or_b64 s[8:9], s[8:9], s[14:15]
	s_or_b64 exec, exec, s[12:13]
	v_mov_b32_e32 v4, 0
	s_and_saveexec_b64 s[12:13], s[8:9]
	s_cbranch_execnz .LBB63_2009
	s_branch .LBB63_2010
.LBB63_2119:
	s_mov_b64 s[4:5], 0
	s_or_b64 s[2:3], s[2:3], exec
	s_trap 2
	s_branch .LBB63_2054
.LBB63_2120:
	s_andn2_saveexec_b64 s[8:9], s[8:9]
	s_cbranch_execz .LBB63_2020
.LBB63_2121:
	v_add_f32_e32 v2, 0x42800000, v3
	v_and_b32_e32 v2, 0xff, v2
	v_cmp_ne_u32_e32 vcc, 0, v2
	s_andn2_b64 s[6:7], s[6:7], exec
	s_and_b64 s[12:13], vcc, exec
	s_or_b64 s[6:7], s[6:7], s[12:13]
	s_or_b64 exec, exec, s[8:9]
	v_mov_b32_e32 v4, 0
	s_and_saveexec_b64 s[8:9], s[6:7]
	s_cbranch_execnz .LBB63_2021
	s_branch .LBB63_2022
	.section	.rodata,"a",@progbits
	.p2align	6, 0x0
	.amdhsa_kernel _ZN2at6native32elementwise_kernel_manual_unrollILi128ELi4EZNS0_15gpu_kernel_implINS0_13AUnaryFunctorIllbNS0_12_GLOBAL__N_116CompareEqFunctorIlEEEEEEvRNS_18TensorIteratorBaseERKT_EUlibE0_EEviT1_
		.amdhsa_group_segment_fixed_size 0
		.amdhsa_private_segment_fixed_size 0
		.amdhsa_kernarg_size 376
		.amdhsa_user_sgpr_count 6
		.amdhsa_user_sgpr_private_segment_buffer 1
		.amdhsa_user_sgpr_dispatch_ptr 0
		.amdhsa_user_sgpr_queue_ptr 0
		.amdhsa_user_sgpr_kernarg_segment_ptr 1
		.amdhsa_user_sgpr_dispatch_id 0
		.amdhsa_user_sgpr_flat_scratch_init 0
		.amdhsa_user_sgpr_private_segment_size 0
		.amdhsa_uses_dynamic_stack 0
		.amdhsa_system_sgpr_private_segment_wavefront_offset 0
		.amdhsa_system_sgpr_workgroup_id_x 1
		.amdhsa_system_sgpr_workgroup_id_y 0
		.amdhsa_system_sgpr_workgroup_id_z 0
		.amdhsa_system_sgpr_workgroup_info 0
		.amdhsa_system_vgpr_workitem_id 0
		.amdhsa_next_free_vgpr 22
		.amdhsa_next_free_sgpr 82
		.amdhsa_reserve_vcc 1
		.amdhsa_reserve_flat_scratch 0
		.amdhsa_float_round_mode_32 0
		.amdhsa_float_round_mode_16_64 0
		.amdhsa_float_denorm_mode_32 3
		.amdhsa_float_denorm_mode_16_64 3
		.amdhsa_dx10_clamp 1
		.amdhsa_ieee_mode 1
		.amdhsa_fp16_overflow 0
		.amdhsa_exception_fp_ieee_invalid_op 0
		.amdhsa_exception_fp_denorm_src 0
		.amdhsa_exception_fp_ieee_div_zero 0
		.amdhsa_exception_fp_ieee_overflow 0
		.amdhsa_exception_fp_ieee_underflow 0
		.amdhsa_exception_fp_ieee_inexact 0
		.amdhsa_exception_int_div_zero 0
	.end_amdhsa_kernel
	.section	.text._ZN2at6native32elementwise_kernel_manual_unrollILi128ELi4EZNS0_15gpu_kernel_implINS0_13AUnaryFunctorIllbNS0_12_GLOBAL__N_116CompareEqFunctorIlEEEEEEvRNS_18TensorIteratorBaseERKT_EUlibE0_EEviT1_,"axG",@progbits,_ZN2at6native32elementwise_kernel_manual_unrollILi128ELi4EZNS0_15gpu_kernel_implINS0_13AUnaryFunctorIllbNS0_12_GLOBAL__N_116CompareEqFunctorIlEEEEEEvRNS_18TensorIteratorBaseERKT_EUlibE0_EEviT1_,comdat
.Lfunc_end63:
	.size	_ZN2at6native32elementwise_kernel_manual_unrollILi128ELi4EZNS0_15gpu_kernel_implINS0_13AUnaryFunctorIllbNS0_12_GLOBAL__N_116CompareEqFunctorIlEEEEEEvRNS_18TensorIteratorBaseERKT_EUlibE0_EEviT1_, .Lfunc_end63-_ZN2at6native32elementwise_kernel_manual_unrollILi128ELi4EZNS0_15gpu_kernel_implINS0_13AUnaryFunctorIllbNS0_12_GLOBAL__N_116CompareEqFunctorIlEEEEEEvRNS_18TensorIteratorBaseERKT_EUlibE0_EEviT1_
                                        ; -- End function
	.set _ZN2at6native32elementwise_kernel_manual_unrollILi128ELi4EZNS0_15gpu_kernel_implINS0_13AUnaryFunctorIllbNS0_12_GLOBAL__N_116CompareEqFunctorIlEEEEEEvRNS_18TensorIteratorBaseERKT_EUlibE0_EEviT1_.num_vgpr, 22
	.set _ZN2at6native32elementwise_kernel_manual_unrollILi128ELi4EZNS0_15gpu_kernel_implINS0_13AUnaryFunctorIllbNS0_12_GLOBAL__N_116CompareEqFunctorIlEEEEEEvRNS_18TensorIteratorBaseERKT_EUlibE0_EEviT1_.num_agpr, 0
	.set _ZN2at6native32elementwise_kernel_manual_unrollILi128ELi4EZNS0_15gpu_kernel_implINS0_13AUnaryFunctorIllbNS0_12_GLOBAL__N_116CompareEqFunctorIlEEEEEEvRNS_18TensorIteratorBaseERKT_EUlibE0_EEviT1_.numbered_sgpr, 82
	.set _ZN2at6native32elementwise_kernel_manual_unrollILi128ELi4EZNS0_15gpu_kernel_implINS0_13AUnaryFunctorIllbNS0_12_GLOBAL__N_116CompareEqFunctorIlEEEEEEvRNS_18TensorIteratorBaseERKT_EUlibE0_EEviT1_.num_named_barrier, 0
	.set _ZN2at6native32elementwise_kernel_manual_unrollILi128ELi4EZNS0_15gpu_kernel_implINS0_13AUnaryFunctorIllbNS0_12_GLOBAL__N_116CompareEqFunctorIlEEEEEEvRNS_18TensorIteratorBaseERKT_EUlibE0_EEviT1_.private_seg_size, 0
	.set _ZN2at6native32elementwise_kernel_manual_unrollILi128ELi4EZNS0_15gpu_kernel_implINS0_13AUnaryFunctorIllbNS0_12_GLOBAL__N_116CompareEqFunctorIlEEEEEEvRNS_18TensorIteratorBaseERKT_EUlibE0_EEviT1_.uses_vcc, 1
	.set _ZN2at6native32elementwise_kernel_manual_unrollILi128ELi4EZNS0_15gpu_kernel_implINS0_13AUnaryFunctorIllbNS0_12_GLOBAL__N_116CompareEqFunctorIlEEEEEEvRNS_18TensorIteratorBaseERKT_EUlibE0_EEviT1_.uses_flat_scratch, 0
	.set _ZN2at6native32elementwise_kernel_manual_unrollILi128ELi4EZNS0_15gpu_kernel_implINS0_13AUnaryFunctorIllbNS0_12_GLOBAL__N_116CompareEqFunctorIlEEEEEEvRNS_18TensorIteratorBaseERKT_EUlibE0_EEviT1_.has_dyn_sized_stack, 0
	.set _ZN2at6native32elementwise_kernel_manual_unrollILi128ELi4EZNS0_15gpu_kernel_implINS0_13AUnaryFunctorIllbNS0_12_GLOBAL__N_116CompareEqFunctorIlEEEEEEvRNS_18TensorIteratorBaseERKT_EUlibE0_EEviT1_.has_recursion, 0
	.set _ZN2at6native32elementwise_kernel_manual_unrollILi128ELi4EZNS0_15gpu_kernel_implINS0_13AUnaryFunctorIllbNS0_12_GLOBAL__N_116CompareEqFunctorIlEEEEEEvRNS_18TensorIteratorBaseERKT_EUlibE0_EEviT1_.has_indirect_call, 0
	.section	.AMDGPU.csdata,"",@progbits
; Kernel info:
; codeLenInByte = 40308
; TotalNumSgprs: 86
; NumVgprs: 22
; ScratchSize: 0
; MemoryBound: 1
; FloatMode: 240
; IeeeMode: 1
; LDSByteSize: 0 bytes/workgroup (compile time only)
; SGPRBlocks: 10
; VGPRBlocks: 5
; NumSGPRsForWavesPerEU: 86
; NumVGPRsForWavesPerEU: 22
; Occupancy: 9
; WaveLimiterHint : 1
; COMPUTE_PGM_RSRC2:SCRATCH_EN: 0
; COMPUTE_PGM_RSRC2:USER_SGPR: 6
; COMPUTE_PGM_RSRC2:TRAP_HANDLER: 0
; COMPUTE_PGM_RSRC2:TGID_X_EN: 1
; COMPUTE_PGM_RSRC2:TGID_Y_EN: 0
; COMPUTE_PGM_RSRC2:TGID_Z_EN: 0
; COMPUTE_PGM_RSRC2:TIDIG_COMP_CNT: 0
	.section	.text._ZN2at6native29vectorized_elementwise_kernelILi16ENS0_13BinaryFunctorIssbNS0_12_GLOBAL__N_116CompareEqFunctorIsEEEESt5arrayIPcLm3EEEEviT0_T1_,"axG",@progbits,_ZN2at6native29vectorized_elementwise_kernelILi16ENS0_13BinaryFunctorIssbNS0_12_GLOBAL__N_116CompareEqFunctorIsEEEESt5arrayIPcLm3EEEEviT0_T1_,comdat
	.globl	_ZN2at6native29vectorized_elementwise_kernelILi16ENS0_13BinaryFunctorIssbNS0_12_GLOBAL__N_116CompareEqFunctorIsEEEESt5arrayIPcLm3EEEEviT0_T1_ ; -- Begin function _ZN2at6native29vectorized_elementwise_kernelILi16ENS0_13BinaryFunctorIssbNS0_12_GLOBAL__N_116CompareEqFunctorIsEEEESt5arrayIPcLm3EEEEviT0_T1_
	.p2align	8
	.type	_ZN2at6native29vectorized_elementwise_kernelILi16ENS0_13BinaryFunctorIssbNS0_12_GLOBAL__N_116CompareEqFunctorIsEEEESt5arrayIPcLm3EEEEviT0_T1_,@function
_ZN2at6native29vectorized_elementwise_kernelILi16ENS0_13BinaryFunctorIssbNS0_12_GLOBAL__N_116CompareEqFunctorIsEEEESt5arrayIPcLm3EEEEviT0_T1_: ; @_ZN2at6native29vectorized_elementwise_kernelILi16ENS0_13BinaryFunctorIssbNS0_12_GLOBAL__N_116CompareEqFunctorIsEEEESt5arrayIPcLm3EEEEviT0_T1_
; %bb.0:
	s_load_dwordx2 s[20:21], s[4:5], 0x0
	s_load_dwordx4 s[16:19], s[4:5], 0x8
	s_load_dwordx2 s[22:23], s[4:5], 0x18
	s_lshl_b32 s14, s6, 12
	s_mov_b64 s[0:1], -1
	s_waitcnt lgkmcnt(0)
	s_sub_i32 s20, s20, s14
	s_cmpk_gt_i32 s20, 0xfff
	s_cbranch_scc0 .LBB64_2
; %bb.1:
	s_ashr_i32 s15, s14, 31
	s_lshl_b64 s[0:1], s[14:15], 1
	s_add_u32 s2, s18, s0
	s_addc_u32 s3, s19, s1
	s_add_u32 s0, s22, s0
	v_lshlrev_b32_e32 v17, 5, v0
	s_addc_u32 s1, s23, s1
	global_load_dwordx4 v[1:4], v17, s[0:1]
	global_load_dwordx4 v[5:8], v17, s[2:3]
	global_load_dwordx4 v[9:12], v17, s[2:3] offset:16
	global_load_dwordx4 v[13:16], v17, s[0:1] offset:16
	s_cmp_eq_u32 s21, 0
	s_cselect_b64 s[24:25], -1, 0
	s_add_u32 s26, s16, s14
	s_addc_u32 s27, s17, s15
	v_lshlrev_b32_e32 v17, 4, v0
	s_waitcnt vmcnt(2)
	v_cmp_ne_u16_e64 s[0:1], v6, v2
	v_cmp_ne_u16_sdwa s[34:35], v7, v3 src0_sel:WORD_1 src1_sel:WORD_1
	s_xor_b64 s[0:1], s[24:25], s[0:1]
	v_cmp_ne_u16_e64 s[2:3], v7, v3
	v_cmp_ne_u16_sdwa s[36:37], v8, v4 src0_sel:WORD_1 src1_sel:WORD_1
	v_cmp_ne_u16_e64 s[4:5], v8, v4
	v_cndmask_b32_e64 v4, 0, 1, s[0:1]
	s_xor_b64 s[0:1], s[24:25], s[34:35]
	v_cmp_ne_u16_sdwa s[28:29], v5, v1 src0_sel:WORD_1 src1_sel:WORD_1
	v_cmp_ne_u16_e32 vcc, v5, v1
	v_cndmask_b32_e64 v5, 0, 1, s[0:1]
	s_xor_b64 s[0:1], s[24:25], s[2:3]
	v_cmp_ne_u16_sdwa s[30:31], v6, v2 src0_sel:WORD_1 src1_sel:WORD_1
	v_cndmask_b32_e64 v6, 0, 1, s[0:1]
	s_xor_b64 s[0:1], s[24:25], s[36:37]
	s_waitcnt vmcnt(0)
	v_cmp_ne_u16_sdwa s[38:39], v9, v13 src0_sel:WORD_1 src1_sel:WORD_1
	v_cndmask_b32_e64 v7, 0, 1, s[0:1]
	s_xor_b64 s[0:1], s[24:25], s[4:5]
	v_cmp_ne_u16_e64 s[6:7], v9, v13
	v_cndmask_b32_e64 v8, 0, 1, s[0:1]
	s_xor_b64 s[0:1], s[24:25], s[38:39]
	v_cmp_ne_u16_sdwa s[40:41], v10, v14 src0_sel:WORD_1 src1_sel:WORD_1
	v_cndmask_b32_e64 v9, 0, 1, s[0:1]
	s_xor_b64 s[0:1], s[24:25], s[6:7]
	v_cmp_ne_u16_e64 s[8:9], v10, v14
	v_cndmask_b32_e64 v10, 0, 1, s[0:1]
	s_xor_b64 s[0:1], s[24:25], s[40:41]
	v_cmp_ne_u16_sdwa s[42:43], v11, v15 src0_sel:WORD_1 src1_sel:WORD_1
	v_cmp_ne_u16_e64 s[10:11], v11, v15
	v_cndmask_b32_e64 v11, 0, 1, s[0:1]
	s_xor_b64 s[0:1], s[24:25], s[8:9]
	v_cmp_ne_u16_sdwa s[44:45], v12, v16 src0_sel:WORD_1 src1_sel:WORD_1
	v_cmp_ne_u16_e64 s[12:13], v12, v16
	s_xor_b64 s[28:29], s[24:25], s[28:29]
	v_cndmask_b32_e64 v12, 0, 1, s[0:1]
	s_xor_b64 s[0:1], s[24:25], s[42:43]
	v_cndmask_b32_e64 v1, 0, 1, s[28:29]
	s_xor_b64 s[28:29], s[24:25], vcc
	v_cndmask_b32_e64 v13, 0, 1, s[0:1]
	s_xor_b64 s[0:1], s[24:25], s[10:11]
	v_cndmask_b32_e64 v2, 0, 1, s[28:29]
	s_xor_b64 s[28:29], s[24:25], s[30:31]
	;; [unrolled: 2-line block ×3, first 2 shown]
	v_cndmask_b32_e64 v3, 0, 1, s[28:29]
	v_cndmask_b32_e64 v15, 0, 1, s[0:1]
	s_xor_b64 s[0:1], s[24:25], s[12:13]
	v_cndmask_b32_e64 v16, 0, 1, s[0:1]
	v_lshlrev_b16_e32 v1, 8, v1
	v_lshlrev_b16_e32 v3, 8, v3
	;; [unrolled: 1-line block ×8, first 2 shown]
	v_or_b32_e32 v1, v2, v1
	v_or_b32_sdwa v2, v4, v3 dst_sel:WORD_1 dst_unused:UNUSED_PAD src0_sel:DWORD src1_sel:DWORD
	v_or_b32_e32 v3, v6, v5
	v_or_b32_sdwa v4, v8, v7 dst_sel:WORD_1 dst_unused:UNUSED_PAD src0_sel:DWORD src1_sel:DWORD
	;; [unrolled: 2-line block ×4, first 2 shown]
	v_or_b32_sdwa v1, v1, v2 dst_sel:DWORD dst_unused:UNUSED_PAD src0_sel:WORD_0 src1_sel:DWORD
	v_or_b32_sdwa v2, v3, v4 dst_sel:DWORD dst_unused:UNUSED_PAD src0_sel:WORD_0 src1_sel:DWORD
	v_or_b32_sdwa v3, v5, v6 dst_sel:DWORD dst_unused:UNUSED_PAD src0_sel:WORD_0 src1_sel:DWORD
	v_or_b32_sdwa v4, v7, v8 dst_sel:DWORD dst_unused:UNUSED_PAD src0_sel:WORD_0 src1_sel:DWORD
	global_store_dwordx4 v17, v[1:4], s[26:27]
	s_mov_b64 s[0:1], 0
.LBB64_2:
	s_andn2_b64 vcc, exec, s[0:1]
	s_cbranch_vccnz .LBB64_52
; %bb.3:
	v_cmp_gt_i32_e32 vcc, s20, v0
	s_mov_b64 s[2:3], 0
	v_or_b32_e32 v1, s14, v0
	s_mov_b64 s[4:5], 0
	v_mov_b32_e32 v2, v0
	s_and_saveexec_b64 s[6:7], vcc
	s_cbranch_execz .LBB64_5
; %bb.4:
	v_mov_b32_e32 v2, 0
	v_lshlrev_b64 v[2:3], 1, v[1:2]
	v_mov_b32_e32 v5, s23
	v_add_co_u32_e64 v4, s[0:1], s22, v2
	v_addc_co_u32_e64 v5, s[0:1], v5, v3, s[0:1]
	v_mov_b32_e32 v6, s19
	v_add_co_u32_e64 v2, s[0:1], s18, v2
	v_addc_co_u32_e64 v3, s[0:1], v6, v3, s[0:1]
	global_load_ushort v6, v[2:3], off
	global_load_ushort v7, v[4:5], off
	v_or_b32_e32 v2, 0x100, v0
	s_waitcnt vmcnt(0)
	v_cmp_ne_u16_e64 s[0:1], v6, v7
	s_and_b64 s[4:5], s[0:1], exec
.LBB64_5:
	s_or_b64 exec, exec, s[6:7]
	v_cmp_gt_i32_e64 s[0:1], s20, v2
	s_and_saveexec_b64 s[6:7], s[0:1]
	s_cbranch_execz .LBB64_7
; %bb.6:
	v_add_u32_e32 v3, s14, v2
	v_mov_b32_e32 v4, 0
	v_lshlrev_b64 v[3:4], 1, v[3:4]
	v_mov_b32_e32 v6, s23
	v_add_co_u32_e64 v5, s[0:1], s22, v3
	v_addc_co_u32_e64 v6, s[0:1], v6, v4, s[0:1]
	v_mov_b32_e32 v7, s19
	v_add_co_u32_e64 v3, s[0:1], s18, v3
	v_addc_co_u32_e64 v4, s[0:1], v7, v4, s[0:1]
	global_load_ushort v7, v[3:4], off
	global_load_ushort v8, v[5:6], off
	v_add_u32_e32 v2, 0x100, v2
	s_waitcnt vmcnt(0)
	v_cmp_ne_u16_e64 s[0:1], v7, v8
	s_and_b64 s[2:3], s[0:1], exec
.LBB64_7:
	s_or_b64 exec, exec, s[6:7]
	v_cmp_gt_i32_e64 s[0:1], s20, v2
	s_mov_b64 s[6:7], 0
	s_mov_b64 s[8:9], 0
	s_and_saveexec_b64 s[10:11], s[0:1]
	s_cbranch_execz .LBB64_9
; %bb.8:
	v_add_u32_e32 v3, s14, v2
	v_mov_b32_e32 v4, 0
	v_lshlrev_b64 v[3:4], 1, v[3:4]
	v_mov_b32_e32 v6, s23
	v_add_co_u32_e64 v5, s[0:1], s22, v3
	v_addc_co_u32_e64 v6, s[0:1], v6, v4, s[0:1]
	v_mov_b32_e32 v7, s19
	v_add_co_u32_e64 v3, s[0:1], s18, v3
	v_addc_co_u32_e64 v4, s[0:1], v7, v4, s[0:1]
	global_load_ushort v7, v[3:4], off
	global_load_ushort v8, v[5:6], off
	v_add_u32_e32 v2, 0x100, v2
	s_waitcnt vmcnt(0)
	v_cmp_ne_u16_e64 s[0:1], v7, v8
	s_and_b64 s[8:9], s[0:1], exec
.LBB64_9:
	s_or_b64 exec, exec, s[10:11]
	v_cmp_gt_i32_e64 s[0:1], s20, v2
	s_and_saveexec_b64 s[10:11], s[0:1]
	s_cbranch_execz .LBB64_11
; %bb.10:
	v_add_u32_e32 v3, s14, v2
	v_mov_b32_e32 v4, 0
	v_lshlrev_b64 v[3:4], 1, v[3:4]
	v_mov_b32_e32 v6, s23
	v_add_co_u32_e64 v5, s[0:1], s22, v3
	v_addc_co_u32_e64 v6, s[0:1], v6, v4, s[0:1]
	v_mov_b32_e32 v7, s19
	v_add_co_u32_e64 v3, s[0:1], s18, v3
	v_addc_co_u32_e64 v4, s[0:1], v7, v4, s[0:1]
	global_load_ushort v7, v[3:4], off
	global_load_ushort v8, v[5:6], off
	v_add_u32_e32 v2, 0x100, v2
	s_waitcnt vmcnt(0)
	v_cmp_ne_u16_e64 s[0:1], v7, v8
	s_and_b64 s[6:7], s[0:1], exec
.LBB64_11:
	s_or_b64 exec, exec, s[10:11]
	v_cmp_gt_i32_e64 s[0:1], s20, v2
	s_mov_b64 s[10:11], 0
	s_mov_b64 s[12:13], 0
	s_and_saveexec_b64 s[24:25], s[0:1]
	s_cbranch_execz .LBB64_13
; %bb.12:
	v_add_u32_e32 v3, s14, v2
	v_mov_b32_e32 v4, 0
	v_lshlrev_b64 v[3:4], 1, v[3:4]
	v_mov_b32_e32 v6, s23
	v_add_co_u32_e64 v5, s[0:1], s22, v3
	v_addc_co_u32_e64 v6, s[0:1], v6, v4, s[0:1]
	v_mov_b32_e32 v7, s19
	v_add_co_u32_e64 v3, s[0:1], s18, v3
	v_addc_co_u32_e64 v4, s[0:1], v7, v4, s[0:1]
	global_load_ushort v7, v[3:4], off
	global_load_ushort v8, v[5:6], off
	v_add_u32_e32 v2, 0x100, v2
	s_waitcnt vmcnt(0)
	v_cmp_ne_u16_e64 s[0:1], v7, v8
	s_and_b64 s[12:13], s[0:1], exec
.LBB64_13:
	;; [unrolled: 44-line block ×7, first 2 shown]
	s_or_b64 exec, exec, s[46:47]
	v_cmp_gt_i32_e64 s[0:1], s20, v2
	s_and_saveexec_b64 s[46:47], s[0:1]
	s_cbranch_execz .LBB64_35
; %bb.34:
	v_add_u32_e32 v2, s14, v2
	v_mov_b32_e32 v3, 0
	v_lshlrev_b64 v[2:3], 1, v[2:3]
	v_mov_b32_e32 v5, s23
	v_add_co_u32_e64 v4, s[0:1], s22, v2
	v_addc_co_u32_e64 v5, s[0:1], v5, v3, s[0:1]
	v_mov_b32_e32 v6, s19
	v_add_co_u32_e64 v2, s[0:1], s18, v2
	v_addc_co_u32_e64 v3, s[0:1], v6, v3, s[0:1]
	global_load_ushort v6, v[2:3], off
	global_load_ushort v7, v[4:5], off
	s_waitcnt vmcnt(0)
	v_cmp_ne_u16_e64 s[0:1], v6, v7
	s_and_b64 s[42:43], s[0:1], exec
.LBB64_35:
	s_or_b64 exec, exec, s[46:47]
	s_cmp_eq_u32 s21, 0
	s_cselect_b64 s[0:1], -1, 0
	s_and_saveexec_b64 s[18:19], vcc
	s_cbranch_execnz .LBB64_53
; %bb.36:
	s_or_b64 exec, exec, s[18:19]
	v_cmp_gt_i32_e32 vcc, s20, v0
	s_and_saveexec_b64 s[4:5], vcc
	s_cbranch_execnz .LBB64_54
.LBB64_37:
	s_or_b64 exec, exec, s[4:5]
	v_cmp_gt_i32_e32 vcc, s20, v0
	s_and_saveexec_b64 s[2:3], vcc
	s_cbranch_execnz .LBB64_55
.LBB64_38:
	s_or_b64 exec, exec, s[2:3]
	v_cmp_gt_i32_e32 vcc, s20, v0
	s_and_saveexec_b64 s[2:3], vcc
	s_cbranch_execnz .LBB64_56
.LBB64_39:
	s_or_b64 exec, exec, s[2:3]
	v_cmp_gt_i32_e32 vcc, s20, v0
	s_and_saveexec_b64 s[2:3], vcc
	s_cbranch_execnz .LBB64_57
.LBB64_40:
	s_or_b64 exec, exec, s[2:3]
	v_cmp_gt_i32_e32 vcc, s20, v0
	s_and_saveexec_b64 s[2:3], vcc
	s_cbranch_execnz .LBB64_58
.LBB64_41:
	s_or_b64 exec, exec, s[2:3]
	v_cmp_gt_i32_e32 vcc, s20, v0
	s_and_saveexec_b64 s[2:3], vcc
	s_cbranch_execnz .LBB64_59
.LBB64_42:
	s_or_b64 exec, exec, s[2:3]
	v_cmp_gt_i32_e32 vcc, s20, v0
	s_and_saveexec_b64 s[2:3], vcc
	s_cbranch_execnz .LBB64_60
.LBB64_43:
	s_or_b64 exec, exec, s[2:3]
	v_cmp_gt_i32_e32 vcc, s20, v0
	s_and_saveexec_b64 s[2:3], vcc
	s_cbranch_execnz .LBB64_61
.LBB64_44:
	s_or_b64 exec, exec, s[2:3]
	v_cmp_gt_i32_e32 vcc, s20, v0
	s_and_saveexec_b64 s[2:3], vcc
	s_cbranch_execnz .LBB64_62
.LBB64_45:
	s_or_b64 exec, exec, s[2:3]
	v_cmp_gt_i32_e32 vcc, s20, v0
	s_and_saveexec_b64 s[2:3], vcc
	s_cbranch_execnz .LBB64_63
.LBB64_46:
	s_or_b64 exec, exec, s[2:3]
	v_cmp_gt_i32_e32 vcc, s20, v0
	s_and_saveexec_b64 s[2:3], vcc
	s_cbranch_execnz .LBB64_64
.LBB64_47:
	s_or_b64 exec, exec, s[2:3]
	v_cmp_gt_i32_e32 vcc, s20, v0
	s_and_saveexec_b64 s[2:3], vcc
	s_cbranch_execnz .LBB64_65
.LBB64_48:
	s_or_b64 exec, exec, s[2:3]
	v_cmp_gt_i32_e32 vcc, s20, v0
	s_and_saveexec_b64 s[2:3], vcc
	s_cbranch_execnz .LBB64_66
.LBB64_49:
	s_or_b64 exec, exec, s[2:3]
	v_cmp_gt_i32_e32 vcc, s20, v0
	s_and_saveexec_b64 s[2:3], vcc
	s_cbranch_execnz .LBB64_67
.LBB64_50:
	s_or_b64 exec, exec, s[2:3]
	v_cmp_gt_i32_e32 vcc, s20, v0
	s_and_saveexec_b64 s[2:3], vcc
	s_cbranch_execz .LBB64_52
.LBB64_51:
	s_xor_b64 s[0:1], s[0:1], s[42:43]
	v_cndmask_b32_e64 v1, 0, 1, s[0:1]
	v_add_u32_e32 v0, s14, v0
	global_store_byte v0, v1, s[16:17]
.LBB64_52:
	s_endpgm
.LBB64_53:
	s_xor_b64 s[4:5], s[0:1], s[4:5]
	v_or_b32_e32 v0, 0x100, v0
	v_cndmask_b32_e64 v2, 0, 1, s[4:5]
	global_store_byte v1, v2, s[16:17]
	s_or_b64 exec, exec, s[18:19]
	v_cmp_gt_i32_e32 vcc, s20, v0
	s_and_saveexec_b64 s[4:5], vcc
	s_cbranch_execz .LBB64_37
.LBB64_54:
	s_xor_b64 s[2:3], s[0:1], s[2:3]
	v_cndmask_b32_e64 v1, 0, 1, s[2:3]
	v_add_u32_e32 v2, s14, v0
	v_add_u32_e32 v0, 0x100, v0
	global_store_byte v2, v1, s[16:17]
	s_or_b64 exec, exec, s[4:5]
	v_cmp_gt_i32_e32 vcc, s20, v0
	s_and_saveexec_b64 s[2:3], vcc
	s_cbranch_execz .LBB64_38
.LBB64_55:
	s_xor_b64 s[4:5], s[0:1], s[8:9]
	v_cndmask_b32_e64 v1, 0, 1, s[4:5]
	v_add_u32_e32 v2, s14, v0
	v_add_u32_e32 v0, 0x100, v0
	global_store_byte v2, v1, s[16:17]
	s_or_b64 exec, exec, s[2:3]
	v_cmp_gt_i32_e32 vcc, s20, v0
	s_and_saveexec_b64 s[2:3], vcc
	s_cbranch_execz .LBB64_39
.LBB64_56:
	s_xor_b64 s[4:5], s[0:1], s[6:7]
	v_cndmask_b32_e64 v1, 0, 1, s[4:5]
	v_add_u32_e32 v2, s14, v0
	v_add_u32_e32 v0, 0x100, v0
	global_store_byte v2, v1, s[16:17]
	s_or_b64 exec, exec, s[2:3]
	v_cmp_gt_i32_e32 vcc, s20, v0
	s_and_saveexec_b64 s[2:3], vcc
	s_cbranch_execz .LBB64_40
.LBB64_57:
	s_xor_b64 s[4:5], s[0:1], s[12:13]
	v_cndmask_b32_e64 v1, 0, 1, s[4:5]
	v_add_u32_e32 v2, s14, v0
	v_add_u32_e32 v0, 0x100, v0
	global_store_byte v2, v1, s[16:17]
	s_or_b64 exec, exec, s[2:3]
	v_cmp_gt_i32_e32 vcc, s20, v0
	s_and_saveexec_b64 s[2:3], vcc
	s_cbranch_execz .LBB64_41
.LBB64_58:
	s_xor_b64 s[4:5], s[0:1], s[10:11]
	v_cndmask_b32_e64 v1, 0, 1, s[4:5]
	v_add_u32_e32 v2, s14, v0
	v_add_u32_e32 v0, 0x100, v0
	global_store_byte v2, v1, s[16:17]
	s_or_b64 exec, exec, s[2:3]
	v_cmp_gt_i32_e32 vcc, s20, v0
	s_and_saveexec_b64 s[2:3], vcc
	s_cbranch_execz .LBB64_42
.LBB64_59:
	s_xor_b64 s[4:5], s[0:1], s[26:27]
	v_cndmask_b32_e64 v1, 0, 1, s[4:5]
	v_add_u32_e32 v2, s14, v0
	v_add_u32_e32 v0, 0x100, v0
	global_store_byte v2, v1, s[16:17]
	s_or_b64 exec, exec, s[2:3]
	v_cmp_gt_i32_e32 vcc, s20, v0
	s_and_saveexec_b64 s[2:3], vcc
	s_cbranch_execz .LBB64_43
.LBB64_60:
	s_xor_b64 s[4:5], s[0:1], s[24:25]
	v_cndmask_b32_e64 v1, 0, 1, s[4:5]
	v_add_u32_e32 v2, s14, v0
	v_add_u32_e32 v0, 0x100, v0
	global_store_byte v2, v1, s[16:17]
	s_or_b64 exec, exec, s[2:3]
	v_cmp_gt_i32_e32 vcc, s20, v0
	s_and_saveexec_b64 s[2:3], vcc
	s_cbranch_execz .LBB64_44
.LBB64_61:
	s_xor_b64 s[4:5], s[0:1], s[30:31]
	v_cndmask_b32_e64 v1, 0, 1, s[4:5]
	v_add_u32_e32 v2, s14, v0
	v_add_u32_e32 v0, 0x100, v0
	global_store_byte v2, v1, s[16:17]
	s_or_b64 exec, exec, s[2:3]
	v_cmp_gt_i32_e32 vcc, s20, v0
	s_and_saveexec_b64 s[2:3], vcc
	s_cbranch_execz .LBB64_45
.LBB64_62:
	s_xor_b64 s[4:5], s[0:1], s[28:29]
	v_cndmask_b32_e64 v1, 0, 1, s[4:5]
	v_add_u32_e32 v2, s14, v0
	v_add_u32_e32 v0, 0x100, v0
	global_store_byte v2, v1, s[16:17]
	s_or_b64 exec, exec, s[2:3]
	v_cmp_gt_i32_e32 vcc, s20, v0
	s_and_saveexec_b64 s[2:3], vcc
	s_cbranch_execz .LBB64_46
.LBB64_63:
	s_xor_b64 s[4:5], s[0:1], s[36:37]
	v_cndmask_b32_e64 v1, 0, 1, s[4:5]
	v_add_u32_e32 v2, s14, v0
	v_add_u32_e32 v0, 0x100, v0
	global_store_byte v2, v1, s[16:17]
	s_or_b64 exec, exec, s[2:3]
	v_cmp_gt_i32_e32 vcc, s20, v0
	s_and_saveexec_b64 s[2:3], vcc
	s_cbranch_execz .LBB64_47
.LBB64_64:
	s_xor_b64 s[4:5], s[0:1], s[34:35]
	v_cndmask_b32_e64 v1, 0, 1, s[4:5]
	v_add_u32_e32 v2, s14, v0
	v_add_u32_e32 v0, 0x100, v0
	global_store_byte v2, v1, s[16:17]
	s_or_b64 exec, exec, s[2:3]
	v_cmp_gt_i32_e32 vcc, s20, v0
	s_and_saveexec_b64 s[2:3], vcc
	s_cbranch_execz .LBB64_48
.LBB64_65:
	s_xor_b64 s[4:5], s[0:1], s[40:41]
	v_cndmask_b32_e64 v1, 0, 1, s[4:5]
	v_add_u32_e32 v2, s14, v0
	v_add_u32_e32 v0, 0x100, v0
	global_store_byte v2, v1, s[16:17]
	s_or_b64 exec, exec, s[2:3]
	v_cmp_gt_i32_e32 vcc, s20, v0
	s_and_saveexec_b64 s[2:3], vcc
	s_cbranch_execz .LBB64_49
.LBB64_66:
	s_xor_b64 s[4:5], s[0:1], s[38:39]
	v_cndmask_b32_e64 v1, 0, 1, s[4:5]
	v_add_u32_e32 v2, s14, v0
	v_add_u32_e32 v0, 0x100, v0
	global_store_byte v2, v1, s[16:17]
	s_or_b64 exec, exec, s[2:3]
	v_cmp_gt_i32_e32 vcc, s20, v0
	s_and_saveexec_b64 s[2:3], vcc
	s_cbranch_execz .LBB64_50
.LBB64_67:
	s_xor_b64 s[4:5], s[0:1], s[44:45]
	v_cndmask_b32_e64 v1, 0, 1, s[4:5]
	v_add_u32_e32 v2, s14, v0
	v_add_u32_e32 v0, 0x100, v0
	global_store_byte v2, v1, s[16:17]
	s_or_b64 exec, exec, s[2:3]
	v_cmp_gt_i32_e32 vcc, s20, v0
	s_and_saveexec_b64 s[2:3], vcc
	s_cbranch_execnz .LBB64_51
	s_branch .LBB64_52
	.section	.rodata,"a",@progbits
	.p2align	6, 0x0
	.amdhsa_kernel _ZN2at6native29vectorized_elementwise_kernelILi16ENS0_13BinaryFunctorIssbNS0_12_GLOBAL__N_116CompareEqFunctorIsEEEESt5arrayIPcLm3EEEEviT0_T1_
		.amdhsa_group_segment_fixed_size 0
		.amdhsa_private_segment_fixed_size 0
		.amdhsa_kernarg_size 32
		.amdhsa_user_sgpr_count 6
		.amdhsa_user_sgpr_private_segment_buffer 1
		.amdhsa_user_sgpr_dispatch_ptr 0
		.amdhsa_user_sgpr_queue_ptr 0
		.amdhsa_user_sgpr_kernarg_segment_ptr 1
		.amdhsa_user_sgpr_dispatch_id 0
		.amdhsa_user_sgpr_flat_scratch_init 0
		.amdhsa_user_sgpr_private_segment_size 0
		.amdhsa_uses_dynamic_stack 0
		.amdhsa_system_sgpr_private_segment_wavefront_offset 0
		.amdhsa_system_sgpr_workgroup_id_x 1
		.amdhsa_system_sgpr_workgroup_id_y 0
		.amdhsa_system_sgpr_workgroup_id_z 0
		.amdhsa_system_sgpr_workgroup_info 0
		.amdhsa_system_vgpr_workitem_id 0
		.amdhsa_next_free_vgpr 18
		.amdhsa_next_free_sgpr 48
		.amdhsa_reserve_vcc 1
		.amdhsa_reserve_flat_scratch 0
		.amdhsa_float_round_mode_32 0
		.amdhsa_float_round_mode_16_64 0
		.amdhsa_float_denorm_mode_32 3
		.amdhsa_float_denorm_mode_16_64 3
		.amdhsa_dx10_clamp 1
		.amdhsa_ieee_mode 1
		.amdhsa_fp16_overflow 0
		.amdhsa_exception_fp_ieee_invalid_op 0
		.amdhsa_exception_fp_denorm_src 0
		.amdhsa_exception_fp_ieee_div_zero 0
		.amdhsa_exception_fp_ieee_overflow 0
		.amdhsa_exception_fp_ieee_underflow 0
		.amdhsa_exception_fp_ieee_inexact 0
		.amdhsa_exception_int_div_zero 0
	.end_amdhsa_kernel
	.section	.text._ZN2at6native29vectorized_elementwise_kernelILi16ENS0_13BinaryFunctorIssbNS0_12_GLOBAL__N_116CompareEqFunctorIsEEEESt5arrayIPcLm3EEEEviT0_T1_,"axG",@progbits,_ZN2at6native29vectorized_elementwise_kernelILi16ENS0_13BinaryFunctorIssbNS0_12_GLOBAL__N_116CompareEqFunctorIsEEEESt5arrayIPcLm3EEEEviT0_T1_,comdat
.Lfunc_end64:
	.size	_ZN2at6native29vectorized_elementwise_kernelILi16ENS0_13BinaryFunctorIssbNS0_12_GLOBAL__N_116CompareEqFunctorIsEEEESt5arrayIPcLm3EEEEviT0_T1_, .Lfunc_end64-_ZN2at6native29vectorized_elementwise_kernelILi16ENS0_13BinaryFunctorIssbNS0_12_GLOBAL__N_116CompareEqFunctorIsEEEESt5arrayIPcLm3EEEEviT0_T1_
                                        ; -- End function
	.set _ZN2at6native29vectorized_elementwise_kernelILi16ENS0_13BinaryFunctorIssbNS0_12_GLOBAL__N_116CompareEqFunctorIsEEEESt5arrayIPcLm3EEEEviT0_T1_.num_vgpr, 18
	.set _ZN2at6native29vectorized_elementwise_kernelILi16ENS0_13BinaryFunctorIssbNS0_12_GLOBAL__N_116CompareEqFunctorIsEEEESt5arrayIPcLm3EEEEviT0_T1_.num_agpr, 0
	.set _ZN2at6native29vectorized_elementwise_kernelILi16ENS0_13BinaryFunctorIssbNS0_12_GLOBAL__N_116CompareEqFunctorIsEEEESt5arrayIPcLm3EEEEviT0_T1_.numbered_sgpr, 48
	.set _ZN2at6native29vectorized_elementwise_kernelILi16ENS0_13BinaryFunctorIssbNS0_12_GLOBAL__N_116CompareEqFunctorIsEEEESt5arrayIPcLm3EEEEviT0_T1_.num_named_barrier, 0
	.set _ZN2at6native29vectorized_elementwise_kernelILi16ENS0_13BinaryFunctorIssbNS0_12_GLOBAL__N_116CompareEqFunctorIsEEEESt5arrayIPcLm3EEEEviT0_T1_.private_seg_size, 0
	.set _ZN2at6native29vectorized_elementwise_kernelILi16ENS0_13BinaryFunctorIssbNS0_12_GLOBAL__N_116CompareEqFunctorIsEEEESt5arrayIPcLm3EEEEviT0_T1_.uses_vcc, 1
	.set _ZN2at6native29vectorized_elementwise_kernelILi16ENS0_13BinaryFunctorIssbNS0_12_GLOBAL__N_116CompareEqFunctorIsEEEESt5arrayIPcLm3EEEEviT0_T1_.uses_flat_scratch, 0
	.set _ZN2at6native29vectorized_elementwise_kernelILi16ENS0_13BinaryFunctorIssbNS0_12_GLOBAL__N_116CompareEqFunctorIsEEEESt5arrayIPcLm3EEEEviT0_T1_.has_dyn_sized_stack, 0
	.set _ZN2at6native29vectorized_elementwise_kernelILi16ENS0_13BinaryFunctorIssbNS0_12_GLOBAL__N_116CompareEqFunctorIsEEEESt5arrayIPcLm3EEEEviT0_T1_.has_recursion, 0
	.set _ZN2at6native29vectorized_elementwise_kernelILi16ENS0_13BinaryFunctorIssbNS0_12_GLOBAL__N_116CompareEqFunctorIsEEEESt5arrayIPcLm3EEEEviT0_T1_.has_indirect_call, 0
	.section	.AMDGPU.csdata,"",@progbits
; Kernel info:
; codeLenInByte = 3500
; TotalNumSgprs: 52
; NumVgprs: 18
; ScratchSize: 0
; MemoryBound: 0
; FloatMode: 240
; IeeeMode: 1
; LDSByteSize: 0 bytes/workgroup (compile time only)
; SGPRBlocks: 6
; VGPRBlocks: 4
; NumSGPRsForWavesPerEU: 52
; NumVGPRsForWavesPerEU: 18
; Occupancy: 10
; WaveLimiterHint : 0
; COMPUTE_PGM_RSRC2:SCRATCH_EN: 0
; COMPUTE_PGM_RSRC2:USER_SGPR: 6
; COMPUTE_PGM_RSRC2:TRAP_HANDLER: 0
; COMPUTE_PGM_RSRC2:TGID_X_EN: 1
; COMPUTE_PGM_RSRC2:TGID_Y_EN: 0
; COMPUTE_PGM_RSRC2:TGID_Z_EN: 0
; COMPUTE_PGM_RSRC2:TIDIG_COMP_CNT: 0
	.section	.text._ZN2at6native29vectorized_elementwise_kernelILi8ENS0_13BinaryFunctorIssbNS0_12_GLOBAL__N_116CompareEqFunctorIsEEEESt5arrayIPcLm3EEEEviT0_T1_,"axG",@progbits,_ZN2at6native29vectorized_elementwise_kernelILi8ENS0_13BinaryFunctorIssbNS0_12_GLOBAL__N_116CompareEqFunctorIsEEEESt5arrayIPcLm3EEEEviT0_T1_,comdat
	.globl	_ZN2at6native29vectorized_elementwise_kernelILi8ENS0_13BinaryFunctorIssbNS0_12_GLOBAL__N_116CompareEqFunctorIsEEEESt5arrayIPcLm3EEEEviT0_T1_ ; -- Begin function _ZN2at6native29vectorized_elementwise_kernelILi8ENS0_13BinaryFunctorIssbNS0_12_GLOBAL__N_116CompareEqFunctorIsEEEESt5arrayIPcLm3EEEEviT0_T1_
	.p2align	8
	.type	_ZN2at6native29vectorized_elementwise_kernelILi8ENS0_13BinaryFunctorIssbNS0_12_GLOBAL__N_116CompareEqFunctorIsEEEESt5arrayIPcLm3EEEEviT0_T1_,@function
_ZN2at6native29vectorized_elementwise_kernelILi8ENS0_13BinaryFunctorIssbNS0_12_GLOBAL__N_116CompareEqFunctorIsEEEESt5arrayIPcLm3EEEEviT0_T1_: ; @_ZN2at6native29vectorized_elementwise_kernelILi8ENS0_13BinaryFunctorIssbNS0_12_GLOBAL__N_116CompareEqFunctorIsEEEESt5arrayIPcLm3EEEEviT0_T1_
; %bb.0:
	s_load_dwordx2 s[12:13], s[4:5], 0x0
	s_load_dwordx4 s[8:11], s[4:5], 0x8
	s_load_dwordx2 s[14:15], s[4:5], 0x18
	s_lshl_b32 s6, s6, 12
	s_mov_b64 s[0:1], -1
	s_waitcnt lgkmcnt(0)
	s_sub_i32 s12, s12, s6
	s_cmpk_gt_i32 s12, 0xfff
	s_cbranch_scc0 .LBB65_2
; %bb.1:
	s_ashr_i32 s7, s6, 31
	s_lshl_b64 s[0:1], s[6:7], 1
	s_add_u32 s2, s10, s0
	s_addc_u32 s3, s11, s1
	v_lshlrev_b32_e32 v13, 4, v0
	s_add_u32 s0, s14, s0
	v_mov_b32_e32 v9, s3
	v_add_co_u32_e32 v10, vcc, s2, v13
	s_addc_u32 s1, s15, s1
	global_load_dwordx4 v[1:4], v13, s[2:3]
	global_load_dwordx4 v[5:8], v13, s[0:1]
	s_movk_i32 s4, 0x1000
	v_addc_co_u32_e32 v11, vcc, 0, v9, vcc
	v_add_co_u32_e32 v9, vcc, s4, v10
	v_addc_co_u32_e32 v10, vcc, 0, v11, vcc
	v_mov_b32_e32 v14, s1
	v_add_co_u32_e32 v13, vcc, s0, v13
	v_addc_co_u32_e32 v14, vcc, 0, v14, vcc
	v_add_co_u32_e32 v13, vcc, s4, v13
	v_addc_co_u32_e32 v14, vcc, 0, v14, vcc
	global_load_dwordx4 v[9:12], v[9:10], off
	s_cmp_eq_u32 s13, 0
	global_load_dwordx4 v[13:16], v[13:14], off
	s_cselect_b64 s[24:25], -1, 0
	v_mov_b32_e32 v17, 0x100
	v_mov_b32_e32 v18, 0x10000
	;; [unrolled: 1-line block ×3, first 2 shown]
	s_waitcnt vmcnt(2)
	v_cmp_ne_u16_e32 vcc, v1, v5
	v_cmp_ne_u16_sdwa s[16:17], v1, v5 src0_sel:WORD_1 src1_sel:WORD_1
	v_cmp_ne_u16_e64 s[0:1], v2, v6
	s_xor_b64 s[26:27], s[24:25], vcc
	s_xor_b64 vcc, s[24:25], s[16:17]
	v_cmp_ne_u16_sdwa s[18:19], v2, v6 src0_sel:WORD_1 src1_sel:WORD_1
	v_cndmask_b32_e32 v2, 0, v17, vcc
	s_xor_b64 vcc, s[24:25], s[0:1]
	v_cmp_ne_u16_sdwa s[20:21], v3, v7 src0_sel:WORD_1 src1_sel:WORD_1
	v_cmp_ne_u16_e64 s[4:5], v4, v8
	v_cmp_ne_u16_sdwa s[22:23], v4, v8 src0_sel:WORD_1 src1_sel:WORD_1
	v_cndmask_b32_e32 v4, 0, v18, vcc
	s_xor_b64 vcc, s[24:25], s[18:19]
	v_cndmask_b32_e32 v5, 0, v19, vcc
	s_xor_b64 vcc, s[24:25], s[20:21]
	v_cmp_ne_u16_e64 s[2:3], v3, v7
	v_cndmask_b32_e32 v7, 0, v17, vcc
	s_xor_b64 vcc, s[24:25], s[4:5]
	v_cndmask_b32_e64 v1, 0, 1, s[26:27]
	v_cndmask_b32_e32 v8, 0, v18, vcc
	s_xor_b64 vcc, s[24:25], s[22:23]
	s_xor_b64 s[0:1], s[24:25], s[2:3]
	v_or_b32_e32 v1, v2, v1
	v_cndmask_b32_e32 v2, 0, v19, vcc
	s_waitcnt vmcnt(0)
	v_cmp_ne_u16_e32 vcc, v9, v13
	v_cmp_ne_u16_sdwa s[16:17], v9, v13 src0_sel:WORD_1 src1_sel:WORD_1
	v_or3_b32 v3, 0, 0, 0
	v_cndmask_b32_e64 v6, 0, 1, s[0:1]
	v_cmp_ne_u16_e64 s[0:1], v10, v14
	s_xor_b64 s[26:27], s[24:25], vcc
	s_xor_b64 vcc, s[24:25], s[16:17]
	v_or3_b32 v6, v3, v6, v7
	v_or3_b32 v1, v1, v4, v5
	v_cmp_ne_u16_sdwa s[18:19], v10, v14 src0_sel:WORD_1 src1_sel:WORD_1
	v_cndmask_b32_e32 v5, 0, v17, vcc
	s_xor_b64 vcc, s[24:25], s[0:1]
	v_or3_b32 v2, v6, v8, v2
	v_cmp_ne_u16_sdwa s[20:21], v11, v15 src0_sel:WORD_1 src1_sel:WORD_1
	v_cndmask_b32_e32 v6, 0, v18, vcc
	s_xor_b64 vcc, s[24:25], s[18:19]
	v_cmp_ne_u16_e64 s[2:3], v11, v15
	v_cmp_ne_u16_e64 s[4:5], v12, v16
	v_cndmask_b32_e64 v4, 0, 1, s[26:27]
	v_cndmask_b32_e32 v7, 0, v19, vcc
	s_xor_b64 vcc, s[24:25], s[20:21]
	v_cmp_ne_u16_sdwa s[22:23], v12, v16 src0_sel:WORD_1 src1_sel:WORD_1
	s_xor_b64 s[0:1], s[24:25], s[2:3]
	v_cndmask_b32_e32 v9, 0, v17, vcc
	s_xor_b64 vcc, s[24:25], s[4:5]
	v_or_b32_e32 v4, v5, v4
	v_cndmask_b32_e64 v8, 0, 1, s[0:1]
	v_cndmask_b32_e32 v10, 0, v18, vcc
	s_xor_b64 vcc, s[24:25], s[22:23]
	v_or3_b32 v4, v4, v6, v7
	v_or3_b32 v1, v1, 0, 0
	v_cndmask_b32_e32 v11, 0, v19, vcc
	v_or3_b32 v3, v3, v8, v9
	v_or3_b32 v5, v4, 0, 0
	s_add_u32 s0, s8, s6
	v_or3_b32 v1, v1, 0, 0
	v_or3_b32 v4, v3, v10, v11
	;; [unrolled: 1-line block ×3, first 2 shown]
	s_addc_u32 s1, s9, s7
	v_lshlrev_b32_e32 v5, 3, v0
	global_store_dwordx2 v5, v[1:2], s[0:1]
	global_store_dwordx2 v5, v[3:4], s[0:1] offset:2048
	s_mov_b64 s[0:1], 0
.LBB65_2:
	s_andn2_b64 vcc, exec, s[0:1]
	s_cbranch_vccnz .LBB65_52
; %bb.3:
	v_cmp_gt_i32_e32 vcc, s12, v0
	s_mov_b64 s[2:3], 0
	v_or_b32_e32 v1, s6, v0
	s_mov_b64 s[4:5], 0
	v_mov_b32_e32 v2, v0
	s_and_saveexec_b64 s[16:17], vcc
	s_cbranch_execz .LBB65_5
; %bb.4:
	v_mov_b32_e32 v2, 0
	v_lshlrev_b64 v[2:3], 1, v[1:2]
	v_mov_b32_e32 v5, s15
	v_add_co_u32_e64 v4, s[0:1], s14, v2
	v_addc_co_u32_e64 v5, s[0:1], v5, v3, s[0:1]
	v_mov_b32_e32 v6, s11
	v_add_co_u32_e64 v2, s[0:1], s10, v2
	v_addc_co_u32_e64 v3, s[0:1], v6, v3, s[0:1]
	global_load_ushort v6, v[2:3], off
	global_load_ushort v7, v[4:5], off
	v_or_b32_e32 v2, 0x100, v0
	s_waitcnt vmcnt(0)
	v_cmp_ne_u16_e64 s[0:1], v6, v7
	s_and_b64 s[4:5], s[0:1], exec
.LBB65_5:
	s_or_b64 exec, exec, s[16:17]
	v_cmp_gt_i32_e64 s[0:1], s12, v2
	s_and_saveexec_b64 s[16:17], s[0:1]
	s_cbranch_execz .LBB65_7
; %bb.6:
	v_add_u32_e32 v3, s6, v2
	v_mov_b32_e32 v4, 0
	v_lshlrev_b64 v[3:4], 1, v[3:4]
	v_mov_b32_e32 v6, s15
	v_add_co_u32_e64 v5, s[0:1], s14, v3
	v_addc_co_u32_e64 v6, s[0:1], v6, v4, s[0:1]
	v_mov_b32_e32 v7, s11
	v_add_co_u32_e64 v3, s[0:1], s10, v3
	v_addc_co_u32_e64 v4, s[0:1], v7, v4, s[0:1]
	global_load_ushort v7, v[3:4], off
	global_load_ushort v8, v[5:6], off
	v_add_u32_e32 v2, 0x100, v2
	s_waitcnt vmcnt(0)
	v_cmp_ne_u16_e64 s[0:1], v7, v8
	s_and_b64 s[2:3], s[0:1], exec
.LBB65_7:
	s_or_b64 exec, exec, s[16:17]
	v_cmp_gt_i32_e64 s[0:1], s12, v2
	s_mov_b64 s[16:17], 0
	s_mov_b64 s[18:19], 0
	s_and_saveexec_b64 s[20:21], s[0:1]
	s_cbranch_execz .LBB65_9
; %bb.8:
	v_add_u32_e32 v3, s6, v2
	v_mov_b32_e32 v4, 0
	v_lshlrev_b64 v[3:4], 1, v[3:4]
	v_mov_b32_e32 v6, s15
	v_add_co_u32_e64 v5, s[0:1], s14, v3
	v_addc_co_u32_e64 v6, s[0:1], v6, v4, s[0:1]
	v_mov_b32_e32 v7, s11
	v_add_co_u32_e64 v3, s[0:1], s10, v3
	v_addc_co_u32_e64 v4, s[0:1], v7, v4, s[0:1]
	global_load_ushort v7, v[3:4], off
	global_load_ushort v8, v[5:6], off
	v_add_u32_e32 v2, 0x100, v2
	s_waitcnt vmcnt(0)
	v_cmp_ne_u16_e64 s[0:1], v7, v8
	s_and_b64 s[18:19], s[0:1], exec
.LBB65_9:
	s_or_b64 exec, exec, s[20:21]
	v_cmp_gt_i32_e64 s[0:1], s12, v2
	s_and_saveexec_b64 s[20:21], s[0:1]
	s_cbranch_execz .LBB65_11
; %bb.10:
	v_add_u32_e32 v3, s6, v2
	v_mov_b32_e32 v4, 0
	v_lshlrev_b64 v[3:4], 1, v[3:4]
	v_mov_b32_e32 v6, s15
	v_add_co_u32_e64 v5, s[0:1], s14, v3
	v_addc_co_u32_e64 v6, s[0:1], v6, v4, s[0:1]
	v_mov_b32_e32 v7, s11
	v_add_co_u32_e64 v3, s[0:1], s10, v3
	v_addc_co_u32_e64 v4, s[0:1], v7, v4, s[0:1]
	global_load_ushort v7, v[3:4], off
	global_load_ushort v8, v[5:6], off
	v_add_u32_e32 v2, 0x100, v2
	s_waitcnt vmcnt(0)
	v_cmp_ne_u16_e64 s[0:1], v7, v8
	s_and_b64 s[16:17], s[0:1], exec
.LBB65_11:
	s_or_b64 exec, exec, s[20:21]
	v_cmp_gt_i32_e64 s[0:1], s12, v2
	s_mov_b64 s[20:21], 0
	s_mov_b64 s[22:23], 0
	s_and_saveexec_b64 s[24:25], s[0:1]
	s_cbranch_execz .LBB65_13
; %bb.12:
	v_add_u32_e32 v3, s6, v2
	v_mov_b32_e32 v4, 0
	v_lshlrev_b64 v[3:4], 1, v[3:4]
	v_mov_b32_e32 v6, s15
	v_add_co_u32_e64 v5, s[0:1], s14, v3
	v_addc_co_u32_e64 v6, s[0:1], v6, v4, s[0:1]
	v_mov_b32_e32 v7, s11
	v_add_co_u32_e64 v3, s[0:1], s10, v3
	v_addc_co_u32_e64 v4, s[0:1], v7, v4, s[0:1]
	global_load_ushort v7, v[3:4], off
	global_load_ushort v8, v[5:6], off
	v_add_u32_e32 v2, 0x100, v2
	s_waitcnt vmcnt(0)
	v_cmp_ne_u16_e64 s[0:1], v7, v8
	s_and_b64 s[22:23], s[0:1], exec
.LBB65_13:
	;; [unrolled: 44-line block ×7, first 2 shown]
	s_or_b64 exec, exec, s[46:47]
	v_cmp_gt_i32_e64 s[0:1], s12, v2
	s_and_saveexec_b64 s[46:47], s[0:1]
	s_cbranch_execz .LBB65_35
; %bb.34:
	v_add_u32_e32 v2, s6, v2
	v_mov_b32_e32 v3, 0
	v_lshlrev_b64 v[2:3], 1, v[2:3]
	v_mov_b32_e32 v5, s15
	v_add_co_u32_e64 v4, s[0:1], s14, v2
	v_addc_co_u32_e64 v5, s[0:1], v5, v3, s[0:1]
	v_mov_b32_e32 v6, s11
	v_add_co_u32_e64 v2, s[0:1], s10, v2
	v_addc_co_u32_e64 v3, s[0:1], v6, v3, s[0:1]
	global_load_ushort v6, v[2:3], off
	global_load_ushort v7, v[4:5], off
	s_waitcnt vmcnt(0)
	v_cmp_ne_u16_e64 s[0:1], v6, v7
	s_and_b64 s[42:43], s[0:1], exec
.LBB65_35:
	s_or_b64 exec, exec, s[46:47]
	s_cmp_eq_u32 s13, 0
	s_cselect_b64 s[0:1], -1, 0
	s_and_saveexec_b64 s[10:11], vcc
	s_cbranch_execnz .LBB65_53
; %bb.36:
	s_or_b64 exec, exec, s[10:11]
	v_cmp_gt_i32_e32 vcc, s12, v0
	s_and_saveexec_b64 s[4:5], vcc
	s_cbranch_execnz .LBB65_54
.LBB65_37:
	s_or_b64 exec, exec, s[4:5]
	v_cmp_gt_i32_e32 vcc, s12, v0
	s_and_saveexec_b64 s[2:3], vcc
	s_cbranch_execnz .LBB65_55
.LBB65_38:
	s_or_b64 exec, exec, s[2:3]
	v_cmp_gt_i32_e32 vcc, s12, v0
	s_and_saveexec_b64 s[2:3], vcc
	s_cbranch_execnz .LBB65_56
.LBB65_39:
	s_or_b64 exec, exec, s[2:3]
	v_cmp_gt_i32_e32 vcc, s12, v0
	s_and_saveexec_b64 s[2:3], vcc
	s_cbranch_execnz .LBB65_57
.LBB65_40:
	s_or_b64 exec, exec, s[2:3]
	v_cmp_gt_i32_e32 vcc, s12, v0
	s_and_saveexec_b64 s[2:3], vcc
	s_cbranch_execnz .LBB65_58
.LBB65_41:
	s_or_b64 exec, exec, s[2:3]
	v_cmp_gt_i32_e32 vcc, s12, v0
	s_and_saveexec_b64 s[2:3], vcc
	s_cbranch_execnz .LBB65_59
.LBB65_42:
	s_or_b64 exec, exec, s[2:3]
	v_cmp_gt_i32_e32 vcc, s12, v0
	s_and_saveexec_b64 s[2:3], vcc
	s_cbranch_execnz .LBB65_60
.LBB65_43:
	s_or_b64 exec, exec, s[2:3]
	v_cmp_gt_i32_e32 vcc, s12, v0
	s_and_saveexec_b64 s[2:3], vcc
	s_cbranch_execnz .LBB65_61
.LBB65_44:
	s_or_b64 exec, exec, s[2:3]
	v_cmp_gt_i32_e32 vcc, s12, v0
	s_and_saveexec_b64 s[2:3], vcc
	s_cbranch_execnz .LBB65_62
.LBB65_45:
	s_or_b64 exec, exec, s[2:3]
	v_cmp_gt_i32_e32 vcc, s12, v0
	s_and_saveexec_b64 s[2:3], vcc
	s_cbranch_execnz .LBB65_63
.LBB65_46:
	s_or_b64 exec, exec, s[2:3]
	v_cmp_gt_i32_e32 vcc, s12, v0
	s_and_saveexec_b64 s[2:3], vcc
	s_cbranch_execnz .LBB65_64
.LBB65_47:
	s_or_b64 exec, exec, s[2:3]
	v_cmp_gt_i32_e32 vcc, s12, v0
	s_and_saveexec_b64 s[2:3], vcc
	s_cbranch_execnz .LBB65_65
.LBB65_48:
	s_or_b64 exec, exec, s[2:3]
	v_cmp_gt_i32_e32 vcc, s12, v0
	s_and_saveexec_b64 s[2:3], vcc
	s_cbranch_execnz .LBB65_66
.LBB65_49:
	s_or_b64 exec, exec, s[2:3]
	v_cmp_gt_i32_e32 vcc, s12, v0
	s_and_saveexec_b64 s[2:3], vcc
	s_cbranch_execnz .LBB65_67
.LBB65_50:
	s_or_b64 exec, exec, s[2:3]
	v_cmp_gt_i32_e32 vcc, s12, v0
	s_and_saveexec_b64 s[2:3], vcc
	s_cbranch_execz .LBB65_52
.LBB65_51:
	s_xor_b64 s[0:1], s[0:1], s[42:43]
	v_cndmask_b32_e64 v1, 0, 1, s[0:1]
	v_add_u32_e32 v0, s6, v0
	global_store_byte v0, v1, s[8:9]
.LBB65_52:
	s_endpgm
.LBB65_53:
	s_xor_b64 s[4:5], s[0:1], s[4:5]
	v_or_b32_e32 v0, 0x100, v0
	v_cndmask_b32_e64 v2, 0, 1, s[4:5]
	global_store_byte v1, v2, s[8:9]
	s_or_b64 exec, exec, s[10:11]
	v_cmp_gt_i32_e32 vcc, s12, v0
	s_and_saveexec_b64 s[4:5], vcc
	s_cbranch_execz .LBB65_37
.LBB65_54:
	s_xor_b64 s[2:3], s[0:1], s[2:3]
	v_cndmask_b32_e64 v1, 0, 1, s[2:3]
	v_add_u32_e32 v2, s6, v0
	v_add_u32_e32 v0, 0x100, v0
	global_store_byte v2, v1, s[8:9]
	s_or_b64 exec, exec, s[4:5]
	v_cmp_gt_i32_e32 vcc, s12, v0
	s_and_saveexec_b64 s[2:3], vcc
	s_cbranch_execz .LBB65_38
.LBB65_55:
	s_xor_b64 s[4:5], s[0:1], s[18:19]
	v_cndmask_b32_e64 v1, 0, 1, s[4:5]
	v_add_u32_e32 v2, s6, v0
	v_add_u32_e32 v0, 0x100, v0
	global_store_byte v2, v1, s[8:9]
	s_or_b64 exec, exec, s[2:3]
	v_cmp_gt_i32_e32 vcc, s12, v0
	s_and_saveexec_b64 s[2:3], vcc
	s_cbranch_execz .LBB65_39
.LBB65_56:
	s_xor_b64 s[4:5], s[0:1], s[16:17]
	v_cndmask_b32_e64 v1, 0, 1, s[4:5]
	v_add_u32_e32 v2, s6, v0
	v_add_u32_e32 v0, 0x100, v0
	global_store_byte v2, v1, s[8:9]
	s_or_b64 exec, exec, s[2:3]
	v_cmp_gt_i32_e32 vcc, s12, v0
	s_and_saveexec_b64 s[2:3], vcc
	s_cbranch_execz .LBB65_40
.LBB65_57:
	s_xor_b64 s[4:5], s[0:1], s[22:23]
	v_cndmask_b32_e64 v1, 0, 1, s[4:5]
	v_add_u32_e32 v2, s6, v0
	v_add_u32_e32 v0, 0x100, v0
	global_store_byte v2, v1, s[8:9]
	s_or_b64 exec, exec, s[2:3]
	v_cmp_gt_i32_e32 vcc, s12, v0
	s_and_saveexec_b64 s[2:3], vcc
	s_cbranch_execz .LBB65_41
.LBB65_58:
	s_xor_b64 s[4:5], s[0:1], s[20:21]
	v_cndmask_b32_e64 v1, 0, 1, s[4:5]
	v_add_u32_e32 v2, s6, v0
	v_add_u32_e32 v0, 0x100, v0
	global_store_byte v2, v1, s[8:9]
	s_or_b64 exec, exec, s[2:3]
	v_cmp_gt_i32_e32 vcc, s12, v0
	s_and_saveexec_b64 s[2:3], vcc
	s_cbranch_execz .LBB65_42
.LBB65_59:
	s_xor_b64 s[4:5], s[0:1], s[26:27]
	v_cndmask_b32_e64 v1, 0, 1, s[4:5]
	v_add_u32_e32 v2, s6, v0
	v_add_u32_e32 v0, 0x100, v0
	global_store_byte v2, v1, s[8:9]
	s_or_b64 exec, exec, s[2:3]
	v_cmp_gt_i32_e32 vcc, s12, v0
	s_and_saveexec_b64 s[2:3], vcc
	s_cbranch_execz .LBB65_43
.LBB65_60:
	s_xor_b64 s[4:5], s[0:1], s[24:25]
	v_cndmask_b32_e64 v1, 0, 1, s[4:5]
	v_add_u32_e32 v2, s6, v0
	v_add_u32_e32 v0, 0x100, v0
	global_store_byte v2, v1, s[8:9]
	s_or_b64 exec, exec, s[2:3]
	v_cmp_gt_i32_e32 vcc, s12, v0
	s_and_saveexec_b64 s[2:3], vcc
	s_cbranch_execz .LBB65_44
.LBB65_61:
	s_xor_b64 s[4:5], s[0:1], s[30:31]
	v_cndmask_b32_e64 v1, 0, 1, s[4:5]
	v_add_u32_e32 v2, s6, v0
	v_add_u32_e32 v0, 0x100, v0
	global_store_byte v2, v1, s[8:9]
	s_or_b64 exec, exec, s[2:3]
	v_cmp_gt_i32_e32 vcc, s12, v0
	s_and_saveexec_b64 s[2:3], vcc
	s_cbranch_execz .LBB65_45
.LBB65_62:
	s_xor_b64 s[4:5], s[0:1], s[28:29]
	v_cndmask_b32_e64 v1, 0, 1, s[4:5]
	v_add_u32_e32 v2, s6, v0
	v_add_u32_e32 v0, 0x100, v0
	global_store_byte v2, v1, s[8:9]
	s_or_b64 exec, exec, s[2:3]
	v_cmp_gt_i32_e32 vcc, s12, v0
	s_and_saveexec_b64 s[2:3], vcc
	s_cbranch_execz .LBB65_46
.LBB65_63:
	s_xor_b64 s[4:5], s[0:1], s[36:37]
	v_cndmask_b32_e64 v1, 0, 1, s[4:5]
	v_add_u32_e32 v2, s6, v0
	v_add_u32_e32 v0, 0x100, v0
	global_store_byte v2, v1, s[8:9]
	s_or_b64 exec, exec, s[2:3]
	v_cmp_gt_i32_e32 vcc, s12, v0
	s_and_saveexec_b64 s[2:3], vcc
	s_cbranch_execz .LBB65_47
.LBB65_64:
	s_xor_b64 s[4:5], s[0:1], s[34:35]
	v_cndmask_b32_e64 v1, 0, 1, s[4:5]
	v_add_u32_e32 v2, s6, v0
	v_add_u32_e32 v0, 0x100, v0
	global_store_byte v2, v1, s[8:9]
	s_or_b64 exec, exec, s[2:3]
	v_cmp_gt_i32_e32 vcc, s12, v0
	s_and_saveexec_b64 s[2:3], vcc
	s_cbranch_execz .LBB65_48
.LBB65_65:
	s_xor_b64 s[4:5], s[0:1], s[40:41]
	v_cndmask_b32_e64 v1, 0, 1, s[4:5]
	v_add_u32_e32 v2, s6, v0
	v_add_u32_e32 v0, 0x100, v0
	global_store_byte v2, v1, s[8:9]
	s_or_b64 exec, exec, s[2:3]
	v_cmp_gt_i32_e32 vcc, s12, v0
	s_and_saveexec_b64 s[2:3], vcc
	s_cbranch_execz .LBB65_49
.LBB65_66:
	s_xor_b64 s[4:5], s[0:1], s[38:39]
	v_cndmask_b32_e64 v1, 0, 1, s[4:5]
	v_add_u32_e32 v2, s6, v0
	v_add_u32_e32 v0, 0x100, v0
	global_store_byte v2, v1, s[8:9]
	s_or_b64 exec, exec, s[2:3]
	v_cmp_gt_i32_e32 vcc, s12, v0
	s_and_saveexec_b64 s[2:3], vcc
	s_cbranch_execz .LBB65_50
.LBB65_67:
	s_xor_b64 s[4:5], s[0:1], s[44:45]
	v_cndmask_b32_e64 v1, 0, 1, s[4:5]
	v_add_u32_e32 v2, s6, v0
	v_add_u32_e32 v0, 0x100, v0
	global_store_byte v2, v1, s[8:9]
	s_or_b64 exec, exec, s[2:3]
	v_cmp_gt_i32_e32 vcc, s12, v0
	s_and_saveexec_b64 s[2:3], vcc
	s_cbranch_execnz .LBB65_51
	s_branch .LBB65_52
	.section	.rodata,"a",@progbits
	.p2align	6, 0x0
	.amdhsa_kernel _ZN2at6native29vectorized_elementwise_kernelILi8ENS0_13BinaryFunctorIssbNS0_12_GLOBAL__N_116CompareEqFunctorIsEEEESt5arrayIPcLm3EEEEviT0_T1_
		.amdhsa_group_segment_fixed_size 0
		.amdhsa_private_segment_fixed_size 0
		.amdhsa_kernarg_size 32
		.amdhsa_user_sgpr_count 6
		.amdhsa_user_sgpr_private_segment_buffer 1
		.amdhsa_user_sgpr_dispatch_ptr 0
		.amdhsa_user_sgpr_queue_ptr 0
		.amdhsa_user_sgpr_kernarg_segment_ptr 1
		.amdhsa_user_sgpr_dispatch_id 0
		.amdhsa_user_sgpr_flat_scratch_init 0
		.amdhsa_user_sgpr_private_segment_size 0
		.amdhsa_uses_dynamic_stack 0
		.amdhsa_system_sgpr_private_segment_wavefront_offset 0
		.amdhsa_system_sgpr_workgroup_id_x 1
		.amdhsa_system_sgpr_workgroup_id_y 0
		.amdhsa_system_sgpr_workgroup_id_z 0
		.amdhsa_system_sgpr_workgroup_info 0
		.amdhsa_system_vgpr_workitem_id 0
		.amdhsa_next_free_vgpr 20
		.amdhsa_next_free_sgpr 48
		.amdhsa_reserve_vcc 1
		.amdhsa_reserve_flat_scratch 0
		.amdhsa_float_round_mode_32 0
		.amdhsa_float_round_mode_16_64 0
		.amdhsa_float_denorm_mode_32 3
		.amdhsa_float_denorm_mode_16_64 3
		.amdhsa_dx10_clamp 1
		.amdhsa_ieee_mode 1
		.amdhsa_fp16_overflow 0
		.amdhsa_exception_fp_ieee_invalid_op 0
		.amdhsa_exception_fp_denorm_src 0
		.amdhsa_exception_fp_ieee_div_zero 0
		.amdhsa_exception_fp_ieee_overflow 0
		.amdhsa_exception_fp_ieee_underflow 0
		.amdhsa_exception_fp_ieee_inexact 0
		.amdhsa_exception_int_div_zero 0
	.end_amdhsa_kernel
	.section	.text._ZN2at6native29vectorized_elementwise_kernelILi8ENS0_13BinaryFunctorIssbNS0_12_GLOBAL__N_116CompareEqFunctorIsEEEESt5arrayIPcLm3EEEEviT0_T1_,"axG",@progbits,_ZN2at6native29vectorized_elementwise_kernelILi8ENS0_13BinaryFunctorIssbNS0_12_GLOBAL__N_116CompareEqFunctorIsEEEESt5arrayIPcLm3EEEEviT0_T1_,comdat
.Lfunc_end65:
	.size	_ZN2at6native29vectorized_elementwise_kernelILi8ENS0_13BinaryFunctorIssbNS0_12_GLOBAL__N_116CompareEqFunctorIsEEEESt5arrayIPcLm3EEEEviT0_T1_, .Lfunc_end65-_ZN2at6native29vectorized_elementwise_kernelILi8ENS0_13BinaryFunctorIssbNS0_12_GLOBAL__N_116CompareEqFunctorIsEEEESt5arrayIPcLm3EEEEviT0_T1_
                                        ; -- End function
	.set _ZN2at6native29vectorized_elementwise_kernelILi8ENS0_13BinaryFunctorIssbNS0_12_GLOBAL__N_116CompareEqFunctorIsEEEESt5arrayIPcLm3EEEEviT0_T1_.num_vgpr, 20
	.set _ZN2at6native29vectorized_elementwise_kernelILi8ENS0_13BinaryFunctorIssbNS0_12_GLOBAL__N_116CompareEqFunctorIsEEEESt5arrayIPcLm3EEEEviT0_T1_.num_agpr, 0
	.set _ZN2at6native29vectorized_elementwise_kernelILi8ENS0_13BinaryFunctorIssbNS0_12_GLOBAL__N_116CompareEqFunctorIsEEEESt5arrayIPcLm3EEEEviT0_T1_.numbered_sgpr, 48
	.set _ZN2at6native29vectorized_elementwise_kernelILi8ENS0_13BinaryFunctorIssbNS0_12_GLOBAL__N_116CompareEqFunctorIsEEEESt5arrayIPcLm3EEEEviT0_T1_.num_named_barrier, 0
	.set _ZN2at6native29vectorized_elementwise_kernelILi8ENS0_13BinaryFunctorIssbNS0_12_GLOBAL__N_116CompareEqFunctorIsEEEESt5arrayIPcLm3EEEEviT0_T1_.private_seg_size, 0
	.set _ZN2at6native29vectorized_elementwise_kernelILi8ENS0_13BinaryFunctorIssbNS0_12_GLOBAL__N_116CompareEqFunctorIsEEEESt5arrayIPcLm3EEEEviT0_T1_.uses_vcc, 1
	.set _ZN2at6native29vectorized_elementwise_kernelILi8ENS0_13BinaryFunctorIssbNS0_12_GLOBAL__N_116CompareEqFunctorIsEEEESt5arrayIPcLm3EEEEviT0_T1_.uses_flat_scratch, 0
	.set _ZN2at6native29vectorized_elementwise_kernelILi8ENS0_13BinaryFunctorIssbNS0_12_GLOBAL__N_116CompareEqFunctorIsEEEESt5arrayIPcLm3EEEEviT0_T1_.has_dyn_sized_stack, 0
	.set _ZN2at6native29vectorized_elementwise_kernelILi8ENS0_13BinaryFunctorIssbNS0_12_GLOBAL__N_116CompareEqFunctorIsEEEESt5arrayIPcLm3EEEEviT0_T1_.has_recursion, 0
	.set _ZN2at6native29vectorized_elementwise_kernelILi8ENS0_13BinaryFunctorIssbNS0_12_GLOBAL__N_116CompareEqFunctorIsEEEESt5arrayIPcLm3EEEEviT0_T1_.has_indirect_call, 0
	.section	.AMDGPU.csdata,"",@progbits
; Kernel info:
; codeLenInByte = 3508
; TotalNumSgprs: 52
; NumVgprs: 20
; ScratchSize: 0
; MemoryBound: 0
; FloatMode: 240
; IeeeMode: 1
; LDSByteSize: 0 bytes/workgroup (compile time only)
; SGPRBlocks: 6
; VGPRBlocks: 4
; NumSGPRsForWavesPerEU: 52
; NumVGPRsForWavesPerEU: 20
; Occupancy: 10
; WaveLimiterHint : 1
; COMPUTE_PGM_RSRC2:SCRATCH_EN: 0
; COMPUTE_PGM_RSRC2:USER_SGPR: 6
; COMPUTE_PGM_RSRC2:TRAP_HANDLER: 0
; COMPUTE_PGM_RSRC2:TGID_X_EN: 1
; COMPUTE_PGM_RSRC2:TGID_Y_EN: 0
; COMPUTE_PGM_RSRC2:TGID_Z_EN: 0
; COMPUTE_PGM_RSRC2:TIDIG_COMP_CNT: 0
	.section	.text._ZN2at6native29vectorized_elementwise_kernelILi4ENS0_13BinaryFunctorIssbNS0_12_GLOBAL__N_116CompareEqFunctorIsEEEESt5arrayIPcLm3EEEEviT0_T1_,"axG",@progbits,_ZN2at6native29vectorized_elementwise_kernelILi4ENS0_13BinaryFunctorIssbNS0_12_GLOBAL__N_116CompareEqFunctorIsEEEESt5arrayIPcLm3EEEEviT0_T1_,comdat
	.globl	_ZN2at6native29vectorized_elementwise_kernelILi4ENS0_13BinaryFunctorIssbNS0_12_GLOBAL__N_116CompareEqFunctorIsEEEESt5arrayIPcLm3EEEEviT0_T1_ ; -- Begin function _ZN2at6native29vectorized_elementwise_kernelILi4ENS0_13BinaryFunctorIssbNS0_12_GLOBAL__N_116CompareEqFunctorIsEEEESt5arrayIPcLm3EEEEviT0_T1_
	.p2align	8
	.type	_ZN2at6native29vectorized_elementwise_kernelILi4ENS0_13BinaryFunctorIssbNS0_12_GLOBAL__N_116CompareEqFunctorIsEEEESt5arrayIPcLm3EEEEviT0_T1_,@function
_ZN2at6native29vectorized_elementwise_kernelILi4ENS0_13BinaryFunctorIssbNS0_12_GLOBAL__N_116CompareEqFunctorIsEEEESt5arrayIPcLm3EEEEviT0_T1_: ; @_ZN2at6native29vectorized_elementwise_kernelILi4ENS0_13BinaryFunctorIssbNS0_12_GLOBAL__N_116CompareEqFunctorIsEEEESt5arrayIPcLm3EEEEviT0_T1_
; %bb.0:
	s_load_dwordx2 s[12:13], s[4:5], 0x0
	s_load_dwordx4 s[8:11], s[4:5], 0x8
	s_load_dwordx2 s[14:15], s[4:5], 0x18
	s_lshl_b32 s6, s6, 12
	s_mov_b64 s[0:1], -1
	s_waitcnt lgkmcnt(0)
	s_sub_i32 s12, s12, s6
	s_cmpk_gt_i32 s12, 0xfff
	s_cbranch_scc0 .LBB66_2
; %bb.1:
	s_ashr_i32 s7, s6, 31
	s_lshl_b64 s[0:1], s[6:7], 1
	s_add_u32 s2, s10, s0
	s_addc_u32 s3, s11, s1
	v_lshlrev_b32_e32 v11, 3, v0
	s_add_u32 s0, s14, s0
	v_mov_b32_e32 v9, s3
	v_add_co_u32_e32 v10, vcc, s2, v11
	s_addc_u32 s1, s15, s1
	global_load_dwordx2 v[1:2], v11, s[2:3]
	global_load_dwordx2 v[3:4], v11, s[0:1]
	global_load_dwordx2 v[5:6], v11, s[2:3] offset:2048
	global_load_dwordx2 v[7:8], v11, s[0:1] offset:2048
	v_addc_co_u32_e32 v12, vcc, 0, v9, vcc
	v_add_co_u32_e32 v9, vcc, 0x1000, v10
	v_addc_co_u32_e32 v10, vcc, 0, v12, vcc
	v_mov_b32_e32 v12, s1
	v_add_co_u32_e32 v11, vcc, s0, v11
	s_movk_i32 s4, 0x1000
	v_addc_co_u32_e32 v12, vcc, 0, v12, vcc
	v_add_co_u32_e32 v11, vcc, s4, v11
	v_addc_co_u32_e32 v12, vcc, 0, v12, vcc
	global_load_dwordx2 v[13:14], v[11:12], off
	global_load_dwordx2 v[15:16], v[9:10], off
	global_load_dwordx2 v[17:18], v[9:10], off offset:2048
	global_load_dwordx2 v[19:20], v[11:12], off offset:2048
	s_cmp_eq_u32 s13, 0
	s_mov_b32 s20, 0xffff
	s_cselect_b64 s[16:17], -1, 0
	v_mov_b32_e32 v10, 0x10000
	v_mov_b32_e32 v9, 0x100
	s_waitcnt vmcnt(6)
	v_cmp_ne_u16_e32 vcc, v1, v3
	v_xor_b32_e32 v1, v3, v1
	v_cmp_ne_u16_e64 s[0:1], v2, v4
	v_xor_b32_e32 v2, v4, v2
	s_waitcnt vmcnt(4)
	v_cmp_ne_u16_e64 s[2:3], v5, v7
	v_cmp_ne_u16_e64 s[4:5], v6, v8
	s_xor_b64 s[18:19], s[16:17], vcc
	v_cmp_lt_u32_e32 vcc, s20, v1
	s_xor_b64 s[0:1], s[16:17], s[0:1]
	v_xor_b32_e32 v4, v7, v5
	v_xor_b32_e32 v5, v8, v6
	v_cndmask_b32_e64 v1, 0, v10, s[0:1]
	v_cmp_lt_u32_e64 s[0:1], s20, v2
	s_xor_b64 s[2:3], s[16:17], s[2:3]
	s_xor_b64 s[4:5], s[16:17], s[4:5]
	s_xor_b64 vcc, s[16:17], vcc
	v_mov_b32_e32 v3, 0x1000000
	v_cndmask_b32_e64 v2, 0, 1, s[2:3]
	v_cmp_lt_u32_e64 s[2:3], s20, v4
	v_cndmask_b32_e64 v4, 0, v10, s[4:5]
	v_cmp_lt_u32_e64 s[4:5], s20, v5
	v_cndmask_b32_e32 v5, 0, v9, vcc
	s_xor_b64 vcc, s[16:17], s[0:1]
	v_cndmask_b32_e32 v7, 0, v3, vcc
	s_xor_b64 vcc, s[16:17], s[2:3]
	v_cndmask_b32_e64 v6, 0, 1, s[18:19]
	v_cndmask_b32_e32 v8, 0, v9, vcc
	s_xor_b64 vcc, s[16:17], s[4:5]
	v_cndmask_b32_e32 v11, 0, v3, vcc
	v_or_b32_e32 v5, v5, v6
	s_waitcnt vmcnt(2)
	v_cmp_ne_u16_e32 vcc, v15, v13
	v_xor_b32_e32 v6, v13, v15
	v_cmp_ne_u16_e64 s[0:1], v16, v14
	v_or_b32_e32 v2, v8, v2
	v_xor_b32_e32 v8, v14, v16
	s_xor_b64 s[4:5], s[16:17], vcc
	v_cmp_lt_u32_e32 vcc, s20, v6
	s_xor_b64 s[0:1], s[16:17], s[0:1]
	v_or3_b32 v1, v5, v1, v7
	v_cndmask_b32_e64 v5, 0, v10, s[0:1]
	v_cmp_lt_u32_e64 s[0:1], s20, v8
	s_xor_b64 vcc, s[16:17], vcc
	s_waitcnt vmcnt(0)
	v_xor_b32_e32 v12, v19, v17
	v_cndmask_b32_e32 v7, 0, v9, vcc
	s_xor_b64 vcc, s[16:17], s[0:1]
	v_or3_b32 v2, v2, v4, v11
	v_cndmask_b32_e64 v4, 0, 1, s[4:5]
	v_cndmask_b32_e32 v8, 0, v3, vcc
	v_cmp_lt_u32_e32 vcc, s20, v12
	v_cmp_ne_u16_e64 s[2:3], v17, v19
	v_or_b32_e32 v4, v7, v4
	s_xor_b64 vcc, s[16:17], vcc
	s_xor_b64 s[2:3], s[16:17], s[2:3]
	v_or3_b32 v4, v4, v5, v8
	v_cndmask_b32_e32 v5, 0, v9, vcc
	v_cmp_ne_u16_e32 vcc, v18, v20
	v_cndmask_b32_e64 v6, 0, 1, s[2:3]
	s_xor_b64 vcc, s[16:17], vcc
	v_xor_b32_e32 v7, v20, v18
	v_or_b32_e32 v5, v5, v6
	v_cndmask_b32_e32 v6, 0, v10, vcc
	v_cmp_lt_u32_e32 vcc, s20, v7
	s_xor_b64 vcc, s[16:17], vcc
	v_cndmask_b32_e32 v3, 0, v3, vcc
	s_add_u32 s0, s8, s6
	v_or3_b32 v3, v5, v6, v3
	s_addc_u32 s1, s9, s7
	v_lshlrev_b32_e32 v5, 2, v0
	global_store_dword v5, v1, s[0:1]
	global_store_dword v5, v2, s[0:1] offset:1024
	global_store_dword v5, v4, s[0:1] offset:2048
	global_store_dword v5, v3, s[0:1] offset:3072
	s_mov_b64 s[0:1], 0
.LBB66_2:
	s_andn2_b64 vcc, exec, s[0:1]
	s_cbranch_vccnz .LBB66_52
; %bb.3:
	v_cmp_gt_i32_e32 vcc, s12, v0
	s_mov_b64 s[2:3], 0
	v_or_b32_e32 v1, s6, v0
	s_mov_b64 s[4:5], 0
	v_mov_b32_e32 v2, v0
	s_and_saveexec_b64 s[16:17], vcc
	s_cbranch_execz .LBB66_5
; %bb.4:
	v_mov_b32_e32 v2, 0
	v_lshlrev_b64 v[2:3], 1, v[1:2]
	v_mov_b32_e32 v5, s15
	v_add_co_u32_e64 v4, s[0:1], s14, v2
	v_addc_co_u32_e64 v5, s[0:1], v5, v3, s[0:1]
	v_mov_b32_e32 v6, s11
	v_add_co_u32_e64 v2, s[0:1], s10, v2
	v_addc_co_u32_e64 v3, s[0:1], v6, v3, s[0:1]
	global_load_ushort v6, v[2:3], off
	global_load_ushort v7, v[4:5], off
	v_or_b32_e32 v2, 0x100, v0
	s_waitcnt vmcnt(0)
	v_cmp_ne_u16_e64 s[0:1], v6, v7
	s_and_b64 s[4:5], s[0:1], exec
.LBB66_5:
	s_or_b64 exec, exec, s[16:17]
	v_cmp_gt_i32_e64 s[0:1], s12, v2
	s_and_saveexec_b64 s[16:17], s[0:1]
	s_cbranch_execz .LBB66_7
; %bb.6:
	v_add_u32_e32 v3, s6, v2
	v_mov_b32_e32 v4, 0
	v_lshlrev_b64 v[3:4], 1, v[3:4]
	v_mov_b32_e32 v6, s15
	v_add_co_u32_e64 v5, s[0:1], s14, v3
	v_addc_co_u32_e64 v6, s[0:1], v6, v4, s[0:1]
	v_mov_b32_e32 v7, s11
	v_add_co_u32_e64 v3, s[0:1], s10, v3
	v_addc_co_u32_e64 v4, s[0:1], v7, v4, s[0:1]
	global_load_ushort v7, v[3:4], off
	global_load_ushort v8, v[5:6], off
	v_add_u32_e32 v2, 0x100, v2
	s_waitcnt vmcnt(0)
	v_cmp_ne_u16_e64 s[0:1], v7, v8
	s_and_b64 s[2:3], s[0:1], exec
.LBB66_7:
	s_or_b64 exec, exec, s[16:17]
	v_cmp_gt_i32_e64 s[0:1], s12, v2
	s_mov_b64 s[16:17], 0
	s_mov_b64 s[18:19], 0
	s_and_saveexec_b64 s[20:21], s[0:1]
	s_cbranch_execz .LBB66_9
; %bb.8:
	v_add_u32_e32 v3, s6, v2
	v_mov_b32_e32 v4, 0
	v_lshlrev_b64 v[3:4], 1, v[3:4]
	v_mov_b32_e32 v6, s15
	v_add_co_u32_e64 v5, s[0:1], s14, v3
	v_addc_co_u32_e64 v6, s[0:1], v6, v4, s[0:1]
	v_mov_b32_e32 v7, s11
	v_add_co_u32_e64 v3, s[0:1], s10, v3
	v_addc_co_u32_e64 v4, s[0:1], v7, v4, s[0:1]
	global_load_ushort v7, v[3:4], off
	global_load_ushort v8, v[5:6], off
	v_add_u32_e32 v2, 0x100, v2
	s_waitcnt vmcnt(0)
	v_cmp_ne_u16_e64 s[0:1], v7, v8
	s_and_b64 s[18:19], s[0:1], exec
.LBB66_9:
	s_or_b64 exec, exec, s[20:21]
	v_cmp_gt_i32_e64 s[0:1], s12, v2
	s_and_saveexec_b64 s[20:21], s[0:1]
	s_cbranch_execz .LBB66_11
; %bb.10:
	v_add_u32_e32 v3, s6, v2
	v_mov_b32_e32 v4, 0
	v_lshlrev_b64 v[3:4], 1, v[3:4]
	v_mov_b32_e32 v6, s15
	v_add_co_u32_e64 v5, s[0:1], s14, v3
	v_addc_co_u32_e64 v6, s[0:1], v6, v4, s[0:1]
	v_mov_b32_e32 v7, s11
	v_add_co_u32_e64 v3, s[0:1], s10, v3
	v_addc_co_u32_e64 v4, s[0:1], v7, v4, s[0:1]
	global_load_ushort v7, v[3:4], off
	global_load_ushort v8, v[5:6], off
	v_add_u32_e32 v2, 0x100, v2
	s_waitcnt vmcnt(0)
	v_cmp_ne_u16_e64 s[0:1], v7, v8
	s_and_b64 s[16:17], s[0:1], exec
.LBB66_11:
	s_or_b64 exec, exec, s[20:21]
	v_cmp_gt_i32_e64 s[0:1], s12, v2
	s_mov_b64 s[20:21], 0
	s_mov_b64 s[22:23], 0
	s_and_saveexec_b64 s[24:25], s[0:1]
	s_cbranch_execz .LBB66_13
; %bb.12:
	v_add_u32_e32 v3, s6, v2
	v_mov_b32_e32 v4, 0
	v_lshlrev_b64 v[3:4], 1, v[3:4]
	v_mov_b32_e32 v6, s15
	v_add_co_u32_e64 v5, s[0:1], s14, v3
	v_addc_co_u32_e64 v6, s[0:1], v6, v4, s[0:1]
	v_mov_b32_e32 v7, s11
	v_add_co_u32_e64 v3, s[0:1], s10, v3
	v_addc_co_u32_e64 v4, s[0:1], v7, v4, s[0:1]
	global_load_ushort v7, v[3:4], off
	global_load_ushort v8, v[5:6], off
	v_add_u32_e32 v2, 0x100, v2
	s_waitcnt vmcnt(0)
	v_cmp_ne_u16_e64 s[0:1], v7, v8
	s_and_b64 s[22:23], s[0:1], exec
.LBB66_13:
	;; [unrolled: 44-line block ×7, first 2 shown]
	s_or_b64 exec, exec, s[46:47]
	v_cmp_gt_i32_e64 s[0:1], s12, v2
	s_and_saveexec_b64 s[46:47], s[0:1]
	s_cbranch_execz .LBB66_35
; %bb.34:
	v_add_u32_e32 v2, s6, v2
	v_mov_b32_e32 v3, 0
	v_lshlrev_b64 v[2:3], 1, v[2:3]
	v_mov_b32_e32 v5, s15
	v_add_co_u32_e64 v4, s[0:1], s14, v2
	v_addc_co_u32_e64 v5, s[0:1], v5, v3, s[0:1]
	v_mov_b32_e32 v6, s11
	v_add_co_u32_e64 v2, s[0:1], s10, v2
	v_addc_co_u32_e64 v3, s[0:1], v6, v3, s[0:1]
	global_load_ushort v6, v[2:3], off
	global_load_ushort v7, v[4:5], off
	s_waitcnt vmcnt(0)
	v_cmp_ne_u16_e64 s[0:1], v6, v7
	s_and_b64 s[42:43], s[0:1], exec
.LBB66_35:
	s_or_b64 exec, exec, s[46:47]
	s_cmp_eq_u32 s13, 0
	s_cselect_b64 s[0:1], -1, 0
	s_and_saveexec_b64 s[10:11], vcc
	s_cbranch_execnz .LBB66_53
; %bb.36:
	s_or_b64 exec, exec, s[10:11]
	v_cmp_gt_i32_e32 vcc, s12, v0
	s_and_saveexec_b64 s[4:5], vcc
	s_cbranch_execnz .LBB66_54
.LBB66_37:
	s_or_b64 exec, exec, s[4:5]
	v_cmp_gt_i32_e32 vcc, s12, v0
	s_and_saveexec_b64 s[2:3], vcc
	s_cbranch_execnz .LBB66_55
.LBB66_38:
	s_or_b64 exec, exec, s[2:3]
	v_cmp_gt_i32_e32 vcc, s12, v0
	s_and_saveexec_b64 s[2:3], vcc
	s_cbranch_execnz .LBB66_56
.LBB66_39:
	s_or_b64 exec, exec, s[2:3]
	v_cmp_gt_i32_e32 vcc, s12, v0
	s_and_saveexec_b64 s[2:3], vcc
	s_cbranch_execnz .LBB66_57
.LBB66_40:
	s_or_b64 exec, exec, s[2:3]
	v_cmp_gt_i32_e32 vcc, s12, v0
	s_and_saveexec_b64 s[2:3], vcc
	s_cbranch_execnz .LBB66_58
.LBB66_41:
	s_or_b64 exec, exec, s[2:3]
	v_cmp_gt_i32_e32 vcc, s12, v0
	s_and_saveexec_b64 s[2:3], vcc
	s_cbranch_execnz .LBB66_59
.LBB66_42:
	s_or_b64 exec, exec, s[2:3]
	v_cmp_gt_i32_e32 vcc, s12, v0
	s_and_saveexec_b64 s[2:3], vcc
	s_cbranch_execnz .LBB66_60
.LBB66_43:
	s_or_b64 exec, exec, s[2:3]
	v_cmp_gt_i32_e32 vcc, s12, v0
	s_and_saveexec_b64 s[2:3], vcc
	s_cbranch_execnz .LBB66_61
.LBB66_44:
	s_or_b64 exec, exec, s[2:3]
	v_cmp_gt_i32_e32 vcc, s12, v0
	s_and_saveexec_b64 s[2:3], vcc
	s_cbranch_execnz .LBB66_62
.LBB66_45:
	s_or_b64 exec, exec, s[2:3]
	v_cmp_gt_i32_e32 vcc, s12, v0
	s_and_saveexec_b64 s[2:3], vcc
	s_cbranch_execnz .LBB66_63
.LBB66_46:
	s_or_b64 exec, exec, s[2:3]
	v_cmp_gt_i32_e32 vcc, s12, v0
	s_and_saveexec_b64 s[2:3], vcc
	s_cbranch_execnz .LBB66_64
.LBB66_47:
	s_or_b64 exec, exec, s[2:3]
	v_cmp_gt_i32_e32 vcc, s12, v0
	s_and_saveexec_b64 s[2:3], vcc
	s_cbranch_execnz .LBB66_65
.LBB66_48:
	s_or_b64 exec, exec, s[2:3]
	v_cmp_gt_i32_e32 vcc, s12, v0
	s_and_saveexec_b64 s[2:3], vcc
	s_cbranch_execnz .LBB66_66
.LBB66_49:
	s_or_b64 exec, exec, s[2:3]
	v_cmp_gt_i32_e32 vcc, s12, v0
	s_and_saveexec_b64 s[2:3], vcc
	s_cbranch_execnz .LBB66_67
.LBB66_50:
	s_or_b64 exec, exec, s[2:3]
	v_cmp_gt_i32_e32 vcc, s12, v0
	s_and_saveexec_b64 s[2:3], vcc
	s_cbranch_execz .LBB66_52
.LBB66_51:
	s_xor_b64 s[0:1], s[0:1], s[42:43]
	v_cndmask_b32_e64 v1, 0, 1, s[0:1]
	v_add_u32_e32 v0, s6, v0
	global_store_byte v0, v1, s[8:9]
.LBB66_52:
	s_endpgm
.LBB66_53:
	s_xor_b64 s[4:5], s[0:1], s[4:5]
	v_or_b32_e32 v0, 0x100, v0
	v_cndmask_b32_e64 v2, 0, 1, s[4:5]
	global_store_byte v1, v2, s[8:9]
	s_or_b64 exec, exec, s[10:11]
	v_cmp_gt_i32_e32 vcc, s12, v0
	s_and_saveexec_b64 s[4:5], vcc
	s_cbranch_execz .LBB66_37
.LBB66_54:
	s_xor_b64 s[2:3], s[0:1], s[2:3]
	v_cndmask_b32_e64 v1, 0, 1, s[2:3]
	v_add_u32_e32 v2, s6, v0
	v_add_u32_e32 v0, 0x100, v0
	global_store_byte v2, v1, s[8:9]
	s_or_b64 exec, exec, s[4:5]
	v_cmp_gt_i32_e32 vcc, s12, v0
	s_and_saveexec_b64 s[2:3], vcc
	s_cbranch_execz .LBB66_38
.LBB66_55:
	s_xor_b64 s[4:5], s[0:1], s[18:19]
	v_cndmask_b32_e64 v1, 0, 1, s[4:5]
	v_add_u32_e32 v2, s6, v0
	v_add_u32_e32 v0, 0x100, v0
	global_store_byte v2, v1, s[8:9]
	s_or_b64 exec, exec, s[2:3]
	v_cmp_gt_i32_e32 vcc, s12, v0
	s_and_saveexec_b64 s[2:3], vcc
	s_cbranch_execz .LBB66_39
.LBB66_56:
	s_xor_b64 s[4:5], s[0:1], s[16:17]
	v_cndmask_b32_e64 v1, 0, 1, s[4:5]
	v_add_u32_e32 v2, s6, v0
	v_add_u32_e32 v0, 0x100, v0
	global_store_byte v2, v1, s[8:9]
	s_or_b64 exec, exec, s[2:3]
	v_cmp_gt_i32_e32 vcc, s12, v0
	s_and_saveexec_b64 s[2:3], vcc
	s_cbranch_execz .LBB66_40
.LBB66_57:
	s_xor_b64 s[4:5], s[0:1], s[22:23]
	v_cndmask_b32_e64 v1, 0, 1, s[4:5]
	v_add_u32_e32 v2, s6, v0
	v_add_u32_e32 v0, 0x100, v0
	global_store_byte v2, v1, s[8:9]
	s_or_b64 exec, exec, s[2:3]
	v_cmp_gt_i32_e32 vcc, s12, v0
	s_and_saveexec_b64 s[2:3], vcc
	s_cbranch_execz .LBB66_41
.LBB66_58:
	s_xor_b64 s[4:5], s[0:1], s[20:21]
	v_cndmask_b32_e64 v1, 0, 1, s[4:5]
	v_add_u32_e32 v2, s6, v0
	v_add_u32_e32 v0, 0x100, v0
	global_store_byte v2, v1, s[8:9]
	s_or_b64 exec, exec, s[2:3]
	v_cmp_gt_i32_e32 vcc, s12, v0
	s_and_saveexec_b64 s[2:3], vcc
	s_cbranch_execz .LBB66_42
.LBB66_59:
	s_xor_b64 s[4:5], s[0:1], s[26:27]
	v_cndmask_b32_e64 v1, 0, 1, s[4:5]
	v_add_u32_e32 v2, s6, v0
	v_add_u32_e32 v0, 0x100, v0
	global_store_byte v2, v1, s[8:9]
	s_or_b64 exec, exec, s[2:3]
	v_cmp_gt_i32_e32 vcc, s12, v0
	s_and_saveexec_b64 s[2:3], vcc
	s_cbranch_execz .LBB66_43
.LBB66_60:
	s_xor_b64 s[4:5], s[0:1], s[24:25]
	v_cndmask_b32_e64 v1, 0, 1, s[4:5]
	v_add_u32_e32 v2, s6, v0
	v_add_u32_e32 v0, 0x100, v0
	global_store_byte v2, v1, s[8:9]
	s_or_b64 exec, exec, s[2:3]
	v_cmp_gt_i32_e32 vcc, s12, v0
	s_and_saveexec_b64 s[2:3], vcc
	s_cbranch_execz .LBB66_44
.LBB66_61:
	s_xor_b64 s[4:5], s[0:1], s[30:31]
	v_cndmask_b32_e64 v1, 0, 1, s[4:5]
	v_add_u32_e32 v2, s6, v0
	v_add_u32_e32 v0, 0x100, v0
	global_store_byte v2, v1, s[8:9]
	s_or_b64 exec, exec, s[2:3]
	v_cmp_gt_i32_e32 vcc, s12, v0
	s_and_saveexec_b64 s[2:3], vcc
	s_cbranch_execz .LBB66_45
.LBB66_62:
	s_xor_b64 s[4:5], s[0:1], s[28:29]
	v_cndmask_b32_e64 v1, 0, 1, s[4:5]
	v_add_u32_e32 v2, s6, v0
	v_add_u32_e32 v0, 0x100, v0
	global_store_byte v2, v1, s[8:9]
	s_or_b64 exec, exec, s[2:3]
	v_cmp_gt_i32_e32 vcc, s12, v0
	s_and_saveexec_b64 s[2:3], vcc
	s_cbranch_execz .LBB66_46
.LBB66_63:
	s_xor_b64 s[4:5], s[0:1], s[36:37]
	v_cndmask_b32_e64 v1, 0, 1, s[4:5]
	v_add_u32_e32 v2, s6, v0
	v_add_u32_e32 v0, 0x100, v0
	global_store_byte v2, v1, s[8:9]
	s_or_b64 exec, exec, s[2:3]
	v_cmp_gt_i32_e32 vcc, s12, v0
	s_and_saveexec_b64 s[2:3], vcc
	s_cbranch_execz .LBB66_47
.LBB66_64:
	s_xor_b64 s[4:5], s[0:1], s[34:35]
	v_cndmask_b32_e64 v1, 0, 1, s[4:5]
	v_add_u32_e32 v2, s6, v0
	v_add_u32_e32 v0, 0x100, v0
	global_store_byte v2, v1, s[8:9]
	s_or_b64 exec, exec, s[2:3]
	v_cmp_gt_i32_e32 vcc, s12, v0
	s_and_saveexec_b64 s[2:3], vcc
	s_cbranch_execz .LBB66_48
.LBB66_65:
	s_xor_b64 s[4:5], s[0:1], s[40:41]
	v_cndmask_b32_e64 v1, 0, 1, s[4:5]
	v_add_u32_e32 v2, s6, v0
	v_add_u32_e32 v0, 0x100, v0
	global_store_byte v2, v1, s[8:9]
	s_or_b64 exec, exec, s[2:3]
	v_cmp_gt_i32_e32 vcc, s12, v0
	s_and_saveexec_b64 s[2:3], vcc
	s_cbranch_execz .LBB66_49
.LBB66_66:
	s_xor_b64 s[4:5], s[0:1], s[38:39]
	v_cndmask_b32_e64 v1, 0, 1, s[4:5]
	v_add_u32_e32 v2, s6, v0
	v_add_u32_e32 v0, 0x100, v0
	global_store_byte v2, v1, s[8:9]
	s_or_b64 exec, exec, s[2:3]
	v_cmp_gt_i32_e32 vcc, s12, v0
	s_and_saveexec_b64 s[2:3], vcc
	s_cbranch_execz .LBB66_50
.LBB66_67:
	s_xor_b64 s[4:5], s[0:1], s[44:45]
	v_cndmask_b32_e64 v1, 0, 1, s[4:5]
	v_add_u32_e32 v2, s6, v0
	v_add_u32_e32 v0, 0x100, v0
	global_store_byte v2, v1, s[8:9]
	s_or_b64 exec, exec, s[2:3]
	v_cmp_gt_i32_e32 vcc, s12, v0
	s_and_saveexec_b64 s[2:3], vcc
	s_cbranch_execnz .LBB66_51
	s_branch .LBB66_52
	.section	.rodata,"a",@progbits
	.p2align	6, 0x0
	.amdhsa_kernel _ZN2at6native29vectorized_elementwise_kernelILi4ENS0_13BinaryFunctorIssbNS0_12_GLOBAL__N_116CompareEqFunctorIsEEEESt5arrayIPcLm3EEEEviT0_T1_
		.amdhsa_group_segment_fixed_size 0
		.amdhsa_private_segment_fixed_size 0
		.amdhsa_kernarg_size 32
		.amdhsa_user_sgpr_count 6
		.amdhsa_user_sgpr_private_segment_buffer 1
		.amdhsa_user_sgpr_dispatch_ptr 0
		.amdhsa_user_sgpr_queue_ptr 0
		.amdhsa_user_sgpr_kernarg_segment_ptr 1
		.amdhsa_user_sgpr_dispatch_id 0
		.amdhsa_user_sgpr_flat_scratch_init 0
		.amdhsa_user_sgpr_private_segment_size 0
		.amdhsa_uses_dynamic_stack 0
		.amdhsa_system_sgpr_private_segment_wavefront_offset 0
		.amdhsa_system_sgpr_workgroup_id_x 1
		.amdhsa_system_sgpr_workgroup_id_y 0
		.amdhsa_system_sgpr_workgroup_id_z 0
		.amdhsa_system_sgpr_workgroup_info 0
		.amdhsa_system_vgpr_workitem_id 0
		.amdhsa_next_free_vgpr 21
		.amdhsa_next_free_sgpr 48
		.amdhsa_reserve_vcc 1
		.amdhsa_reserve_flat_scratch 0
		.amdhsa_float_round_mode_32 0
		.amdhsa_float_round_mode_16_64 0
		.amdhsa_float_denorm_mode_32 3
		.amdhsa_float_denorm_mode_16_64 3
		.amdhsa_dx10_clamp 1
		.amdhsa_ieee_mode 1
		.amdhsa_fp16_overflow 0
		.amdhsa_exception_fp_ieee_invalid_op 0
		.amdhsa_exception_fp_denorm_src 0
		.amdhsa_exception_fp_ieee_div_zero 0
		.amdhsa_exception_fp_ieee_overflow 0
		.amdhsa_exception_fp_ieee_underflow 0
		.amdhsa_exception_fp_ieee_inexact 0
		.amdhsa_exception_int_div_zero 0
	.end_amdhsa_kernel
	.section	.text._ZN2at6native29vectorized_elementwise_kernelILi4ENS0_13BinaryFunctorIssbNS0_12_GLOBAL__N_116CompareEqFunctorIsEEEESt5arrayIPcLm3EEEEviT0_T1_,"axG",@progbits,_ZN2at6native29vectorized_elementwise_kernelILi4ENS0_13BinaryFunctorIssbNS0_12_GLOBAL__N_116CompareEqFunctorIsEEEESt5arrayIPcLm3EEEEviT0_T1_,comdat
.Lfunc_end66:
	.size	_ZN2at6native29vectorized_elementwise_kernelILi4ENS0_13BinaryFunctorIssbNS0_12_GLOBAL__N_116CompareEqFunctorIsEEEESt5arrayIPcLm3EEEEviT0_T1_, .Lfunc_end66-_ZN2at6native29vectorized_elementwise_kernelILi4ENS0_13BinaryFunctorIssbNS0_12_GLOBAL__N_116CompareEqFunctorIsEEEESt5arrayIPcLm3EEEEviT0_T1_
                                        ; -- End function
	.set _ZN2at6native29vectorized_elementwise_kernelILi4ENS0_13BinaryFunctorIssbNS0_12_GLOBAL__N_116CompareEqFunctorIsEEEESt5arrayIPcLm3EEEEviT0_T1_.num_vgpr, 21
	.set _ZN2at6native29vectorized_elementwise_kernelILi4ENS0_13BinaryFunctorIssbNS0_12_GLOBAL__N_116CompareEqFunctorIsEEEESt5arrayIPcLm3EEEEviT0_T1_.num_agpr, 0
	.set _ZN2at6native29vectorized_elementwise_kernelILi4ENS0_13BinaryFunctorIssbNS0_12_GLOBAL__N_116CompareEqFunctorIsEEEESt5arrayIPcLm3EEEEviT0_T1_.numbered_sgpr, 48
	.set _ZN2at6native29vectorized_elementwise_kernelILi4ENS0_13BinaryFunctorIssbNS0_12_GLOBAL__N_116CompareEqFunctorIsEEEESt5arrayIPcLm3EEEEviT0_T1_.num_named_barrier, 0
	.set _ZN2at6native29vectorized_elementwise_kernelILi4ENS0_13BinaryFunctorIssbNS0_12_GLOBAL__N_116CompareEqFunctorIsEEEESt5arrayIPcLm3EEEEviT0_T1_.private_seg_size, 0
	.set _ZN2at6native29vectorized_elementwise_kernelILi4ENS0_13BinaryFunctorIssbNS0_12_GLOBAL__N_116CompareEqFunctorIsEEEESt5arrayIPcLm3EEEEviT0_T1_.uses_vcc, 1
	.set _ZN2at6native29vectorized_elementwise_kernelILi4ENS0_13BinaryFunctorIssbNS0_12_GLOBAL__N_116CompareEqFunctorIsEEEESt5arrayIPcLm3EEEEviT0_T1_.uses_flat_scratch, 0
	.set _ZN2at6native29vectorized_elementwise_kernelILi4ENS0_13BinaryFunctorIssbNS0_12_GLOBAL__N_116CompareEqFunctorIsEEEESt5arrayIPcLm3EEEEviT0_T1_.has_dyn_sized_stack, 0
	.set _ZN2at6native29vectorized_elementwise_kernelILi4ENS0_13BinaryFunctorIssbNS0_12_GLOBAL__N_116CompareEqFunctorIsEEEESt5arrayIPcLm3EEEEviT0_T1_.has_recursion, 0
	.set _ZN2at6native29vectorized_elementwise_kernelILi4ENS0_13BinaryFunctorIssbNS0_12_GLOBAL__N_116CompareEqFunctorIsEEEESt5arrayIPcLm3EEEEviT0_T1_.has_indirect_call, 0
	.section	.AMDGPU.csdata,"",@progbits
; Kernel info:
; codeLenInByte = 3552
; TotalNumSgprs: 52
; NumVgprs: 21
; ScratchSize: 0
; MemoryBound: 0
; FloatMode: 240
; IeeeMode: 1
; LDSByteSize: 0 bytes/workgroup (compile time only)
; SGPRBlocks: 6
; VGPRBlocks: 5
; NumSGPRsForWavesPerEU: 52
; NumVGPRsForWavesPerEU: 21
; Occupancy: 10
; WaveLimiterHint : 1
; COMPUTE_PGM_RSRC2:SCRATCH_EN: 0
; COMPUTE_PGM_RSRC2:USER_SGPR: 6
; COMPUTE_PGM_RSRC2:TRAP_HANDLER: 0
; COMPUTE_PGM_RSRC2:TGID_X_EN: 1
; COMPUTE_PGM_RSRC2:TGID_Y_EN: 0
; COMPUTE_PGM_RSRC2:TGID_Z_EN: 0
; COMPUTE_PGM_RSRC2:TIDIG_COMP_CNT: 0
	.section	.text._ZN2at6native29vectorized_elementwise_kernelILi2ENS0_13BinaryFunctorIssbNS0_12_GLOBAL__N_116CompareEqFunctorIsEEEESt5arrayIPcLm3EEEEviT0_T1_,"axG",@progbits,_ZN2at6native29vectorized_elementwise_kernelILi2ENS0_13BinaryFunctorIssbNS0_12_GLOBAL__N_116CompareEqFunctorIsEEEESt5arrayIPcLm3EEEEviT0_T1_,comdat
	.globl	_ZN2at6native29vectorized_elementwise_kernelILi2ENS0_13BinaryFunctorIssbNS0_12_GLOBAL__N_116CompareEqFunctorIsEEEESt5arrayIPcLm3EEEEviT0_T1_ ; -- Begin function _ZN2at6native29vectorized_elementwise_kernelILi2ENS0_13BinaryFunctorIssbNS0_12_GLOBAL__N_116CompareEqFunctorIsEEEESt5arrayIPcLm3EEEEviT0_T1_
	.p2align	8
	.type	_ZN2at6native29vectorized_elementwise_kernelILi2ENS0_13BinaryFunctorIssbNS0_12_GLOBAL__N_116CompareEqFunctorIsEEEESt5arrayIPcLm3EEEEviT0_T1_,@function
_ZN2at6native29vectorized_elementwise_kernelILi2ENS0_13BinaryFunctorIssbNS0_12_GLOBAL__N_116CompareEqFunctorIsEEEESt5arrayIPcLm3EEEEviT0_T1_: ; @_ZN2at6native29vectorized_elementwise_kernelILi2ENS0_13BinaryFunctorIssbNS0_12_GLOBAL__N_116CompareEqFunctorIsEEEESt5arrayIPcLm3EEEEviT0_T1_
; %bb.0:
	s_load_dwordx2 s[12:13], s[4:5], 0x0
	s_load_dwordx4 s[8:11], s[4:5], 0x8
	s_load_dwordx2 s[14:15], s[4:5], 0x18
	s_lshl_b32 s6, s6, 12
	s_mov_b64 s[0:1], -1
	s_waitcnt lgkmcnt(0)
	s_sub_i32 s12, s12, s6
	s_cmpk_gt_i32 s12, 0xfff
	s_cbranch_scc0 .LBB67_2
; %bb.1:
	s_ashr_i32 s7, s6, 31
	s_lshl_b64 s[0:1], s[6:7], 1
	s_add_u32 s2, s10, s0
	s_addc_u32 s3, s11, s1
	v_lshlrev_b32_e32 v3, 2, v0
	s_add_u32 s0, s14, s0
	s_addc_u32 s1, s15, s1
	global_load_dword v5, v3, s[2:3]
	global_load_dword v6, v3, s[0:1]
	global_load_dword v7, v3, s[2:3] offset:1024
	global_load_dword v8, v3, s[0:1] offset:1024
	;; [unrolled: 1-line block ×6, first 2 shown]
	v_mov_b32_e32 v1, s3
	v_add_co_u32_e32 v2, vcc, s2, v3
	v_addc_co_u32_e32 v4, vcc, 0, v1, vcc
	v_add_co_u32_e32 v1, vcc, 0x1000, v2
	v_addc_co_u32_e32 v2, vcc, 0, v4, vcc
	v_mov_b32_e32 v4, s1
	v_add_co_u32_e32 v3, vcc, s0, v3
	s_movk_i32 s4, 0x1000
	v_addc_co_u32_e32 v4, vcc, 0, v4, vcc
	v_add_co_u32_e32 v3, vcc, s4, v3
	v_addc_co_u32_e32 v4, vcc, 0, v4, vcc
	global_load_dword v13, v[3:4], off
	global_load_dword v14, v[1:2], off
	global_load_dword v15, v[1:2], off offset:1024
	global_load_dword v16, v[3:4], off offset:1024
	;; [unrolled: 1-line block ×6, first 2 shown]
	s_cmp_eq_u32 s13, 0
	s_mov_b32 s20, 0xffff
	s_cselect_b64 s[16:17], -1, 0
	v_mov_b32_e32 v1, 0x100
	s_waitcnt vmcnt(14)
	v_cmp_ne_u16_e32 vcc, v5, v6
	v_xor_b32_e32 v2, v6, v5
	s_waitcnt vmcnt(12)
	v_cmp_ne_u16_e64 s[0:1], v7, v8
	v_xor_b32_e32 v3, v8, v7
	s_waitcnt vmcnt(10)
	v_cmp_ne_u16_e64 s[2:3], v9, v10
	s_xor_b64 s[18:19], s[16:17], vcc
	s_waitcnt vmcnt(8)
	v_cmp_ne_u16_e64 s[4:5], v11, v12
	v_cmp_lt_u32_e32 vcc, s20, v2
	s_xor_b64 s[0:1], s[16:17], s[0:1]
	v_xor_b32_e32 v4, v10, v9
	v_xor_b32_e32 v5, v12, v11
	v_cndmask_b32_e64 v2, 0, 1, s[0:1]
	v_cmp_lt_u32_e64 s[0:1], s20, v3
	s_xor_b64 s[2:3], s[16:17], s[2:3]
	s_xor_b64 s[4:5], s[16:17], s[4:5]
	s_xor_b64 vcc, s[16:17], vcc
	v_cndmask_b32_e64 v3, 0, 1, s[2:3]
	v_cmp_lt_u32_e64 s[2:3], s20, v4
	v_cndmask_b32_e64 v4, 0, 1, s[4:5]
	v_cmp_lt_u32_e64 s[4:5], s20, v5
	v_cndmask_b32_e32 v5, 0, v1, vcc
	s_xor_b64 vcc, s[16:17], s[0:1]
	v_cndmask_b32_e32 v7, 0, v1, vcc
	s_xor_b64 vcc, s[16:17], s[2:3]
	v_cndmask_b32_e64 v6, 0, 1, s[18:19]
	v_cndmask_b32_e32 v8, 0, v1, vcc
	s_xor_b64 vcc, s[16:17], s[4:5]
	v_cndmask_b32_e32 v9, 0, v1, vcc
	v_or_b32_e32 v5, v5, v6
	s_waitcnt vmcnt(6)
	v_cmp_ne_u16_e32 vcc, v14, v13
	v_xor_b32_e32 v6, v13, v14
	s_waitcnt vmcnt(4)
	v_cmp_ne_u16_e64 s[0:1], v15, v16
	v_or_b32_e32 v2, v7, v2
	v_xor_b32_e32 v7, v16, v15
	s_xor_b64 s[2:3], s[16:17], vcc
	v_cmp_lt_u32_e32 vcc, s20, v6
	s_xor_b64 s[0:1], s[16:17], s[0:1]
	v_cndmask_b32_e64 v6, 0, 1, s[0:1]
	v_cmp_lt_u32_e64 s[0:1], s20, v7
	s_xor_b64 vcc, s[16:17], vcc
	v_or_b32_e32 v3, v8, v3
	v_cndmask_b32_e64 v8, 0, 1, s[2:3]
	v_cndmask_b32_e32 v7, 0, v1, vcc
	s_xor_b64 vcc, s[16:17], s[0:1]
	v_or_b32_e32 v4, v9, v4
	v_or_b32_e32 v7, v7, v8
	v_cndmask_b32_e32 v8, 0, v1, vcc
	s_waitcnt vmcnt(2)
	v_cmp_ne_u16_e32 vcc, v18, v17
	v_xor_b32_e32 v9, v17, v18
	s_xor_b64 s[0:1], s[16:17], vcc
	v_cmp_lt_u32_e32 vcc, s20, v9
	s_xor_b64 vcc, s[16:17], vcc
	v_cndmask_b32_e32 v9, 0, v1, vcc
	s_waitcnt vmcnt(0)
	v_cmp_ne_u16_e32 vcc, v19, v20
	v_xor_b32_e32 v10, v20, v19
	v_or_b32_e32 v6, v8, v6
	v_cndmask_b32_e64 v8, 0, 1, s[0:1]
	s_xor_b64 s[0:1], s[16:17], vcc
	v_cmp_lt_u32_e32 vcc, s20, v10
	s_xor_b64 vcc, s[16:17], vcc
	v_or_b32_e32 v8, v9, v8
	v_cndmask_b32_e64 v9, 0, 1, s[0:1]
	v_cndmask_b32_e32 v1, 0, v1, vcc
	s_add_u32 s0, s8, s6
	v_or_b32_e32 v1, v1, v9
	s_addc_u32 s1, s9, s7
	v_lshlrev_b32_e32 v9, 1, v0
	global_store_short v9, v5, s[0:1]
	global_store_short v9, v2, s[0:1] offset:512
	global_store_short v9, v3, s[0:1] offset:1024
	global_store_short v9, v4, s[0:1] offset:1536
	global_store_short v9, v7, s[0:1] offset:2048
	global_store_short v9, v6, s[0:1] offset:2560
	global_store_short v9, v8, s[0:1] offset:3072
	global_store_short v9, v1, s[0:1] offset:3584
	s_mov_b64 s[0:1], 0
.LBB67_2:
	s_andn2_b64 vcc, exec, s[0:1]
	s_cbranch_vccnz .LBB67_52
; %bb.3:
	v_cmp_gt_i32_e32 vcc, s12, v0
	s_mov_b64 s[2:3], 0
	v_or_b32_e32 v1, s6, v0
	s_mov_b64 s[4:5], 0
	v_mov_b32_e32 v2, v0
	s_and_saveexec_b64 s[16:17], vcc
	s_cbranch_execz .LBB67_5
; %bb.4:
	v_mov_b32_e32 v2, 0
	v_lshlrev_b64 v[2:3], 1, v[1:2]
	v_mov_b32_e32 v5, s15
	v_add_co_u32_e64 v4, s[0:1], s14, v2
	v_addc_co_u32_e64 v5, s[0:1], v5, v3, s[0:1]
	v_mov_b32_e32 v6, s11
	v_add_co_u32_e64 v2, s[0:1], s10, v2
	v_addc_co_u32_e64 v3, s[0:1], v6, v3, s[0:1]
	global_load_ushort v6, v[2:3], off
	global_load_ushort v7, v[4:5], off
	v_or_b32_e32 v2, 0x100, v0
	s_waitcnt vmcnt(0)
	v_cmp_ne_u16_e64 s[0:1], v6, v7
	s_and_b64 s[4:5], s[0:1], exec
.LBB67_5:
	s_or_b64 exec, exec, s[16:17]
	v_cmp_gt_i32_e64 s[0:1], s12, v2
	s_and_saveexec_b64 s[16:17], s[0:1]
	s_cbranch_execz .LBB67_7
; %bb.6:
	v_add_u32_e32 v3, s6, v2
	v_mov_b32_e32 v4, 0
	v_lshlrev_b64 v[3:4], 1, v[3:4]
	v_mov_b32_e32 v6, s15
	v_add_co_u32_e64 v5, s[0:1], s14, v3
	v_addc_co_u32_e64 v6, s[0:1], v6, v4, s[0:1]
	v_mov_b32_e32 v7, s11
	v_add_co_u32_e64 v3, s[0:1], s10, v3
	v_addc_co_u32_e64 v4, s[0:1], v7, v4, s[0:1]
	global_load_ushort v7, v[3:4], off
	global_load_ushort v8, v[5:6], off
	v_add_u32_e32 v2, 0x100, v2
	s_waitcnt vmcnt(0)
	v_cmp_ne_u16_e64 s[0:1], v7, v8
	s_and_b64 s[2:3], s[0:1], exec
.LBB67_7:
	s_or_b64 exec, exec, s[16:17]
	v_cmp_gt_i32_e64 s[0:1], s12, v2
	s_mov_b64 s[16:17], 0
	s_mov_b64 s[18:19], 0
	s_and_saveexec_b64 s[20:21], s[0:1]
	s_cbranch_execz .LBB67_9
; %bb.8:
	v_add_u32_e32 v3, s6, v2
	v_mov_b32_e32 v4, 0
	v_lshlrev_b64 v[3:4], 1, v[3:4]
	v_mov_b32_e32 v6, s15
	v_add_co_u32_e64 v5, s[0:1], s14, v3
	v_addc_co_u32_e64 v6, s[0:1], v6, v4, s[0:1]
	v_mov_b32_e32 v7, s11
	v_add_co_u32_e64 v3, s[0:1], s10, v3
	v_addc_co_u32_e64 v4, s[0:1], v7, v4, s[0:1]
	global_load_ushort v7, v[3:4], off
	global_load_ushort v8, v[5:6], off
	v_add_u32_e32 v2, 0x100, v2
	s_waitcnt vmcnt(0)
	v_cmp_ne_u16_e64 s[0:1], v7, v8
	s_and_b64 s[18:19], s[0:1], exec
.LBB67_9:
	s_or_b64 exec, exec, s[20:21]
	v_cmp_gt_i32_e64 s[0:1], s12, v2
	s_and_saveexec_b64 s[20:21], s[0:1]
	s_cbranch_execz .LBB67_11
; %bb.10:
	v_add_u32_e32 v3, s6, v2
	v_mov_b32_e32 v4, 0
	v_lshlrev_b64 v[3:4], 1, v[3:4]
	v_mov_b32_e32 v6, s15
	v_add_co_u32_e64 v5, s[0:1], s14, v3
	v_addc_co_u32_e64 v6, s[0:1], v6, v4, s[0:1]
	v_mov_b32_e32 v7, s11
	v_add_co_u32_e64 v3, s[0:1], s10, v3
	v_addc_co_u32_e64 v4, s[0:1], v7, v4, s[0:1]
	global_load_ushort v7, v[3:4], off
	global_load_ushort v8, v[5:6], off
	v_add_u32_e32 v2, 0x100, v2
	s_waitcnt vmcnt(0)
	v_cmp_ne_u16_e64 s[0:1], v7, v8
	s_and_b64 s[16:17], s[0:1], exec
.LBB67_11:
	s_or_b64 exec, exec, s[20:21]
	v_cmp_gt_i32_e64 s[0:1], s12, v2
	s_mov_b64 s[20:21], 0
	s_mov_b64 s[22:23], 0
	s_and_saveexec_b64 s[24:25], s[0:1]
	s_cbranch_execz .LBB67_13
; %bb.12:
	v_add_u32_e32 v3, s6, v2
	v_mov_b32_e32 v4, 0
	v_lshlrev_b64 v[3:4], 1, v[3:4]
	v_mov_b32_e32 v6, s15
	v_add_co_u32_e64 v5, s[0:1], s14, v3
	v_addc_co_u32_e64 v6, s[0:1], v6, v4, s[0:1]
	v_mov_b32_e32 v7, s11
	v_add_co_u32_e64 v3, s[0:1], s10, v3
	v_addc_co_u32_e64 v4, s[0:1], v7, v4, s[0:1]
	global_load_ushort v7, v[3:4], off
	global_load_ushort v8, v[5:6], off
	v_add_u32_e32 v2, 0x100, v2
	s_waitcnt vmcnt(0)
	v_cmp_ne_u16_e64 s[0:1], v7, v8
	s_and_b64 s[22:23], s[0:1], exec
.LBB67_13:
	;; [unrolled: 44-line block ×7, first 2 shown]
	s_or_b64 exec, exec, s[46:47]
	v_cmp_gt_i32_e64 s[0:1], s12, v2
	s_and_saveexec_b64 s[46:47], s[0:1]
	s_cbranch_execz .LBB67_35
; %bb.34:
	v_add_u32_e32 v2, s6, v2
	v_mov_b32_e32 v3, 0
	v_lshlrev_b64 v[2:3], 1, v[2:3]
	v_mov_b32_e32 v5, s15
	v_add_co_u32_e64 v4, s[0:1], s14, v2
	v_addc_co_u32_e64 v5, s[0:1], v5, v3, s[0:1]
	v_mov_b32_e32 v6, s11
	v_add_co_u32_e64 v2, s[0:1], s10, v2
	v_addc_co_u32_e64 v3, s[0:1], v6, v3, s[0:1]
	global_load_ushort v6, v[2:3], off
	global_load_ushort v7, v[4:5], off
	s_waitcnt vmcnt(0)
	v_cmp_ne_u16_e64 s[0:1], v6, v7
	s_and_b64 s[42:43], s[0:1], exec
.LBB67_35:
	s_or_b64 exec, exec, s[46:47]
	s_cmp_eq_u32 s13, 0
	s_cselect_b64 s[0:1], -1, 0
	s_and_saveexec_b64 s[10:11], vcc
	s_cbranch_execnz .LBB67_53
; %bb.36:
	s_or_b64 exec, exec, s[10:11]
	v_cmp_gt_i32_e32 vcc, s12, v0
	s_and_saveexec_b64 s[4:5], vcc
	s_cbranch_execnz .LBB67_54
.LBB67_37:
	s_or_b64 exec, exec, s[4:5]
	v_cmp_gt_i32_e32 vcc, s12, v0
	s_and_saveexec_b64 s[2:3], vcc
	s_cbranch_execnz .LBB67_55
.LBB67_38:
	s_or_b64 exec, exec, s[2:3]
	v_cmp_gt_i32_e32 vcc, s12, v0
	s_and_saveexec_b64 s[2:3], vcc
	s_cbranch_execnz .LBB67_56
.LBB67_39:
	s_or_b64 exec, exec, s[2:3]
	v_cmp_gt_i32_e32 vcc, s12, v0
	s_and_saveexec_b64 s[2:3], vcc
	s_cbranch_execnz .LBB67_57
.LBB67_40:
	s_or_b64 exec, exec, s[2:3]
	v_cmp_gt_i32_e32 vcc, s12, v0
	s_and_saveexec_b64 s[2:3], vcc
	s_cbranch_execnz .LBB67_58
.LBB67_41:
	s_or_b64 exec, exec, s[2:3]
	v_cmp_gt_i32_e32 vcc, s12, v0
	s_and_saveexec_b64 s[2:3], vcc
	s_cbranch_execnz .LBB67_59
.LBB67_42:
	s_or_b64 exec, exec, s[2:3]
	v_cmp_gt_i32_e32 vcc, s12, v0
	s_and_saveexec_b64 s[2:3], vcc
	s_cbranch_execnz .LBB67_60
.LBB67_43:
	s_or_b64 exec, exec, s[2:3]
	v_cmp_gt_i32_e32 vcc, s12, v0
	s_and_saveexec_b64 s[2:3], vcc
	s_cbranch_execnz .LBB67_61
.LBB67_44:
	s_or_b64 exec, exec, s[2:3]
	v_cmp_gt_i32_e32 vcc, s12, v0
	s_and_saveexec_b64 s[2:3], vcc
	s_cbranch_execnz .LBB67_62
.LBB67_45:
	s_or_b64 exec, exec, s[2:3]
	v_cmp_gt_i32_e32 vcc, s12, v0
	s_and_saveexec_b64 s[2:3], vcc
	s_cbranch_execnz .LBB67_63
.LBB67_46:
	s_or_b64 exec, exec, s[2:3]
	v_cmp_gt_i32_e32 vcc, s12, v0
	s_and_saveexec_b64 s[2:3], vcc
	s_cbranch_execnz .LBB67_64
.LBB67_47:
	s_or_b64 exec, exec, s[2:3]
	v_cmp_gt_i32_e32 vcc, s12, v0
	s_and_saveexec_b64 s[2:3], vcc
	s_cbranch_execnz .LBB67_65
.LBB67_48:
	s_or_b64 exec, exec, s[2:3]
	v_cmp_gt_i32_e32 vcc, s12, v0
	s_and_saveexec_b64 s[2:3], vcc
	s_cbranch_execnz .LBB67_66
.LBB67_49:
	s_or_b64 exec, exec, s[2:3]
	v_cmp_gt_i32_e32 vcc, s12, v0
	s_and_saveexec_b64 s[2:3], vcc
	s_cbranch_execnz .LBB67_67
.LBB67_50:
	s_or_b64 exec, exec, s[2:3]
	v_cmp_gt_i32_e32 vcc, s12, v0
	s_and_saveexec_b64 s[2:3], vcc
	s_cbranch_execz .LBB67_52
.LBB67_51:
	s_xor_b64 s[0:1], s[0:1], s[42:43]
	v_cndmask_b32_e64 v1, 0, 1, s[0:1]
	v_add_u32_e32 v0, s6, v0
	global_store_byte v0, v1, s[8:9]
.LBB67_52:
	s_endpgm
.LBB67_53:
	s_xor_b64 s[4:5], s[0:1], s[4:5]
	v_or_b32_e32 v0, 0x100, v0
	v_cndmask_b32_e64 v2, 0, 1, s[4:5]
	global_store_byte v1, v2, s[8:9]
	s_or_b64 exec, exec, s[10:11]
	v_cmp_gt_i32_e32 vcc, s12, v0
	s_and_saveexec_b64 s[4:5], vcc
	s_cbranch_execz .LBB67_37
.LBB67_54:
	s_xor_b64 s[2:3], s[0:1], s[2:3]
	v_cndmask_b32_e64 v1, 0, 1, s[2:3]
	v_add_u32_e32 v2, s6, v0
	v_add_u32_e32 v0, 0x100, v0
	global_store_byte v2, v1, s[8:9]
	s_or_b64 exec, exec, s[4:5]
	v_cmp_gt_i32_e32 vcc, s12, v0
	s_and_saveexec_b64 s[2:3], vcc
	s_cbranch_execz .LBB67_38
.LBB67_55:
	s_xor_b64 s[4:5], s[0:1], s[18:19]
	v_cndmask_b32_e64 v1, 0, 1, s[4:5]
	v_add_u32_e32 v2, s6, v0
	v_add_u32_e32 v0, 0x100, v0
	global_store_byte v2, v1, s[8:9]
	s_or_b64 exec, exec, s[2:3]
	v_cmp_gt_i32_e32 vcc, s12, v0
	s_and_saveexec_b64 s[2:3], vcc
	s_cbranch_execz .LBB67_39
.LBB67_56:
	s_xor_b64 s[4:5], s[0:1], s[16:17]
	v_cndmask_b32_e64 v1, 0, 1, s[4:5]
	v_add_u32_e32 v2, s6, v0
	v_add_u32_e32 v0, 0x100, v0
	global_store_byte v2, v1, s[8:9]
	s_or_b64 exec, exec, s[2:3]
	v_cmp_gt_i32_e32 vcc, s12, v0
	s_and_saveexec_b64 s[2:3], vcc
	s_cbranch_execz .LBB67_40
.LBB67_57:
	s_xor_b64 s[4:5], s[0:1], s[22:23]
	v_cndmask_b32_e64 v1, 0, 1, s[4:5]
	v_add_u32_e32 v2, s6, v0
	v_add_u32_e32 v0, 0x100, v0
	global_store_byte v2, v1, s[8:9]
	s_or_b64 exec, exec, s[2:3]
	v_cmp_gt_i32_e32 vcc, s12, v0
	s_and_saveexec_b64 s[2:3], vcc
	s_cbranch_execz .LBB67_41
.LBB67_58:
	s_xor_b64 s[4:5], s[0:1], s[20:21]
	v_cndmask_b32_e64 v1, 0, 1, s[4:5]
	v_add_u32_e32 v2, s6, v0
	v_add_u32_e32 v0, 0x100, v0
	global_store_byte v2, v1, s[8:9]
	s_or_b64 exec, exec, s[2:3]
	v_cmp_gt_i32_e32 vcc, s12, v0
	s_and_saveexec_b64 s[2:3], vcc
	s_cbranch_execz .LBB67_42
.LBB67_59:
	s_xor_b64 s[4:5], s[0:1], s[26:27]
	v_cndmask_b32_e64 v1, 0, 1, s[4:5]
	v_add_u32_e32 v2, s6, v0
	v_add_u32_e32 v0, 0x100, v0
	global_store_byte v2, v1, s[8:9]
	s_or_b64 exec, exec, s[2:3]
	v_cmp_gt_i32_e32 vcc, s12, v0
	s_and_saveexec_b64 s[2:3], vcc
	s_cbranch_execz .LBB67_43
.LBB67_60:
	s_xor_b64 s[4:5], s[0:1], s[24:25]
	v_cndmask_b32_e64 v1, 0, 1, s[4:5]
	v_add_u32_e32 v2, s6, v0
	v_add_u32_e32 v0, 0x100, v0
	global_store_byte v2, v1, s[8:9]
	s_or_b64 exec, exec, s[2:3]
	v_cmp_gt_i32_e32 vcc, s12, v0
	s_and_saveexec_b64 s[2:3], vcc
	s_cbranch_execz .LBB67_44
.LBB67_61:
	s_xor_b64 s[4:5], s[0:1], s[30:31]
	v_cndmask_b32_e64 v1, 0, 1, s[4:5]
	v_add_u32_e32 v2, s6, v0
	v_add_u32_e32 v0, 0x100, v0
	global_store_byte v2, v1, s[8:9]
	s_or_b64 exec, exec, s[2:3]
	v_cmp_gt_i32_e32 vcc, s12, v0
	s_and_saveexec_b64 s[2:3], vcc
	s_cbranch_execz .LBB67_45
.LBB67_62:
	s_xor_b64 s[4:5], s[0:1], s[28:29]
	v_cndmask_b32_e64 v1, 0, 1, s[4:5]
	v_add_u32_e32 v2, s6, v0
	v_add_u32_e32 v0, 0x100, v0
	global_store_byte v2, v1, s[8:9]
	s_or_b64 exec, exec, s[2:3]
	v_cmp_gt_i32_e32 vcc, s12, v0
	s_and_saveexec_b64 s[2:3], vcc
	s_cbranch_execz .LBB67_46
.LBB67_63:
	s_xor_b64 s[4:5], s[0:1], s[36:37]
	v_cndmask_b32_e64 v1, 0, 1, s[4:5]
	v_add_u32_e32 v2, s6, v0
	v_add_u32_e32 v0, 0x100, v0
	global_store_byte v2, v1, s[8:9]
	s_or_b64 exec, exec, s[2:3]
	v_cmp_gt_i32_e32 vcc, s12, v0
	s_and_saveexec_b64 s[2:3], vcc
	s_cbranch_execz .LBB67_47
.LBB67_64:
	s_xor_b64 s[4:5], s[0:1], s[34:35]
	v_cndmask_b32_e64 v1, 0, 1, s[4:5]
	v_add_u32_e32 v2, s6, v0
	v_add_u32_e32 v0, 0x100, v0
	global_store_byte v2, v1, s[8:9]
	s_or_b64 exec, exec, s[2:3]
	v_cmp_gt_i32_e32 vcc, s12, v0
	s_and_saveexec_b64 s[2:3], vcc
	s_cbranch_execz .LBB67_48
.LBB67_65:
	s_xor_b64 s[4:5], s[0:1], s[40:41]
	v_cndmask_b32_e64 v1, 0, 1, s[4:5]
	v_add_u32_e32 v2, s6, v0
	v_add_u32_e32 v0, 0x100, v0
	global_store_byte v2, v1, s[8:9]
	s_or_b64 exec, exec, s[2:3]
	v_cmp_gt_i32_e32 vcc, s12, v0
	s_and_saveexec_b64 s[2:3], vcc
	s_cbranch_execz .LBB67_49
.LBB67_66:
	s_xor_b64 s[4:5], s[0:1], s[38:39]
	v_cndmask_b32_e64 v1, 0, 1, s[4:5]
	v_add_u32_e32 v2, s6, v0
	v_add_u32_e32 v0, 0x100, v0
	global_store_byte v2, v1, s[8:9]
	s_or_b64 exec, exec, s[2:3]
	v_cmp_gt_i32_e32 vcc, s12, v0
	s_and_saveexec_b64 s[2:3], vcc
	s_cbranch_execz .LBB67_50
.LBB67_67:
	s_xor_b64 s[4:5], s[0:1], s[44:45]
	v_cndmask_b32_e64 v1, 0, 1, s[4:5]
	v_add_u32_e32 v2, s6, v0
	v_add_u32_e32 v0, 0x100, v0
	global_store_byte v2, v1, s[8:9]
	s_or_b64 exec, exec, s[2:3]
	v_cmp_gt_i32_e32 vcc, s12, v0
	s_and_saveexec_b64 s[2:3], vcc
	s_cbranch_execnz .LBB67_51
	s_branch .LBB67_52
	.section	.rodata,"a",@progbits
	.p2align	6, 0x0
	.amdhsa_kernel _ZN2at6native29vectorized_elementwise_kernelILi2ENS0_13BinaryFunctorIssbNS0_12_GLOBAL__N_116CompareEqFunctorIsEEEESt5arrayIPcLm3EEEEviT0_T1_
		.amdhsa_group_segment_fixed_size 0
		.amdhsa_private_segment_fixed_size 0
		.amdhsa_kernarg_size 32
		.amdhsa_user_sgpr_count 6
		.amdhsa_user_sgpr_private_segment_buffer 1
		.amdhsa_user_sgpr_dispatch_ptr 0
		.amdhsa_user_sgpr_queue_ptr 0
		.amdhsa_user_sgpr_kernarg_segment_ptr 1
		.amdhsa_user_sgpr_dispatch_id 0
		.amdhsa_user_sgpr_flat_scratch_init 0
		.amdhsa_user_sgpr_private_segment_size 0
		.amdhsa_uses_dynamic_stack 0
		.amdhsa_system_sgpr_private_segment_wavefront_offset 0
		.amdhsa_system_sgpr_workgroup_id_x 1
		.amdhsa_system_sgpr_workgroup_id_y 0
		.amdhsa_system_sgpr_workgroup_id_z 0
		.amdhsa_system_sgpr_workgroup_info 0
		.amdhsa_system_vgpr_workitem_id 0
		.amdhsa_next_free_vgpr 21
		.amdhsa_next_free_sgpr 48
		.amdhsa_reserve_vcc 1
		.amdhsa_reserve_flat_scratch 0
		.amdhsa_float_round_mode_32 0
		.amdhsa_float_round_mode_16_64 0
		.amdhsa_float_denorm_mode_32 3
		.amdhsa_float_denorm_mode_16_64 3
		.amdhsa_dx10_clamp 1
		.amdhsa_ieee_mode 1
		.amdhsa_fp16_overflow 0
		.amdhsa_exception_fp_ieee_invalid_op 0
		.amdhsa_exception_fp_denorm_src 0
		.amdhsa_exception_fp_ieee_div_zero 0
		.amdhsa_exception_fp_ieee_overflow 0
		.amdhsa_exception_fp_ieee_underflow 0
		.amdhsa_exception_fp_ieee_inexact 0
		.amdhsa_exception_int_div_zero 0
	.end_amdhsa_kernel
	.section	.text._ZN2at6native29vectorized_elementwise_kernelILi2ENS0_13BinaryFunctorIssbNS0_12_GLOBAL__N_116CompareEqFunctorIsEEEESt5arrayIPcLm3EEEEviT0_T1_,"axG",@progbits,_ZN2at6native29vectorized_elementwise_kernelILi2ENS0_13BinaryFunctorIssbNS0_12_GLOBAL__N_116CompareEqFunctorIsEEEESt5arrayIPcLm3EEEEviT0_T1_,comdat
.Lfunc_end67:
	.size	_ZN2at6native29vectorized_elementwise_kernelILi2ENS0_13BinaryFunctorIssbNS0_12_GLOBAL__N_116CompareEqFunctorIsEEEESt5arrayIPcLm3EEEEviT0_T1_, .Lfunc_end67-_ZN2at6native29vectorized_elementwise_kernelILi2ENS0_13BinaryFunctorIssbNS0_12_GLOBAL__N_116CompareEqFunctorIsEEEESt5arrayIPcLm3EEEEviT0_T1_
                                        ; -- End function
	.set _ZN2at6native29vectorized_elementwise_kernelILi2ENS0_13BinaryFunctorIssbNS0_12_GLOBAL__N_116CompareEqFunctorIsEEEESt5arrayIPcLm3EEEEviT0_T1_.num_vgpr, 21
	.set _ZN2at6native29vectorized_elementwise_kernelILi2ENS0_13BinaryFunctorIssbNS0_12_GLOBAL__N_116CompareEqFunctorIsEEEESt5arrayIPcLm3EEEEviT0_T1_.num_agpr, 0
	.set _ZN2at6native29vectorized_elementwise_kernelILi2ENS0_13BinaryFunctorIssbNS0_12_GLOBAL__N_116CompareEqFunctorIsEEEESt5arrayIPcLm3EEEEviT0_T1_.numbered_sgpr, 48
	.set _ZN2at6native29vectorized_elementwise_kernelILi2ENS0_13BinaryFunctorIssbNS0_12_GLOBAL__N_116CompareEqFunctorIsEEEESt5arrayIPcLm3EEEEviT0_T1_.num_named_barrier, 0
	.set _ZN2at6native29vectorized_elementwise_kernelILi2ENS0_13BinaryFunctorIssbNS0_12_GLOBAL__N_116CompareEqFunctorIsEEEESt5arrayIPcLm3EEEEviT0_T1_.private_seg_size, 0
	.set _ZN2at6native29vectorized_elementwise_kernelILi2ENS0_13BinaryFunctorIssbNS0_12_GLOBAL__N_116CompareEqFunctorIsEEEESt5arrayIPcLm3EEEEviT0_T1_.uses_vcc, 1
	.set _ZN2at6native29vectorized_elementwise_kernelILi2ENS0_13BinaryFunctorIssbNS0_12_GLOBAL__N_116CompareEqFunctorIsEEEESt5arrayIPcLm3EEEEviT0_T1_.uses_flat_scratch, 0
	.set _ZN2at6native29vectorized_elementwise_kernelILi2ENS0_13BinaryFunctorIssbNS0_12_GLOBAL__N_116CompareEqFunctorIsEEEESt5arrayIPcLm3EEEEviT0_T1_.has_dyn_sized_stack, 0
	.set _ZN2at6native29vectorized_elementwise_kernelILi2ENS0_13BinaryFunctorIssbNS0_12_GLOBAL__N_116CompareEqFunctorIsEEEESt5arrayIPcLm3EEEEviT0_T1_.has_recursion, 0
	.set _ZN2at6native29vectorized_elementwise_kernelILi2ENS0_13BinaryFunctorIssbNS0_12_GLOBAL__N_116CompareEqFunctorIsEEEESt5arrayIPcLm3EEEEviT0_T1_.has_indirect_call, 0
	.section	.AMDGPU.csdata,"",@progbits
; Kernel info:
; codeLenInByte = 3632
; TotalNumSgprs: 52
; NumVgprs: 21
; ScratchSize: 0
; MemoryBound: 0
; FloatMode: 240
; IeeeMode: 1
; LDSByteSize: 0 bytes/workgroup (compile time only)
; SGPRBlocks: 6
; VGPRBlocks: 5
; NumSGPRsForWavesPerEU: 52
; NumVGPRsForWavesPerEU: 21
; Occupancy: 10
; WaveLimiterHint : 1
; COMPUTE_PGM_RSRC2:SCRATCH_EN: 0
; COMPUTE_PGM_RSRC2:USER_SGPR: 6
; COMPUTE_PGM_RSRC2:TRAP_HANDLER: 0
; COMPUTE_PGM_RSRC2:TGID_X_EN: 1
; COMPUTE_PGM_RSRC2:TGID_Y_EN: 0
; COMPUTE_PGM_RSRC2:TGID_Z_EN: 0
; COMPUTE_PGM_RSRC2:TIDIG_COMP_CNT: 0
	.section	.text._ZN2at6native27unrolled_elementwise_kernelINS0_13BinaryFunctorIssbNS0_12_GLOBAL__N_116CompareEqFunctorIsEEEESt5arrayIPcLm3EELi4E23TrivialOffsetCalculatorILi2EjESA_ILi1EjENS0_6memory15LoadWithoutCastENSD_16StoreWithoutCastEEEviT_T0_T2_T3_T4_T5_,"axG",@progbits,_ZN2at6native27unrolled_elementwise_kernelINS0_13BinaryFunctorIssbNS0_12_GLOBAL__N_116CompareEqFunctorIsEEEESt5arrayIPcLm3EELi4E23TrivialOffsetCalculatorILi2EjESA_ILi1EjENS0_6memory15LoadWithoutCastENSD_16StoreWithoutCastEEEviT_T0_T2_T3_T4_T5_,comdat
	.globl	_ZN2at6native27unrolled_elementwise_kernelINS0_13BinaryFunctorIssbNS0_12_GLOBAL__N_116CompareEqFunctorIsEEEESt5arrayIPcLm3EELi4E23TrivialOffsetCalculatorILi2EjESA_ILi1EjENS0_6memory15LoadWithoutCastENSD_16StoreWithoutCastEEEviT_T0_T2_T3_T4_T5_ ; -- Begin function _ZN2at6native27unrolled_elementwise_kernelINS0_13BinaryFunctorIssbNS0_12_GLOBAL__N_116CompareEqFunctorIsEEEESt5arrayIPcLm3EELi4E23TrivialOffsetCalculatorILi2EjESA_ILi1EjENS0_6memory15LoadWithoutCastENSD_16StoreWithoutCastEEEviT_T0_T2_T3_T4_T5_
	.p2align	8
	.type	_ZN2at6native27unrolled_elementwise_kernelINS0_13BinaryFunctorIssbNS0_12_GLOBAL__N_116CompareEqFunctorIsEEEESt5arrayIPcLm3EELi4E23TrivialOffsetCalculatorILi2EjESA_ILi1EjENS0_6memory15LoadWithoutCastENSD_16StoreWithoutCastEEEviT_T0_T2_T3_T4_T5_,@function
_ZN2at6native27unrolled_elementwise_kernelINS0_13BinaryFunctorIssbNS0_12_GLOBAL__N_116CompareEqFunctorIsEEEESt5arrayIPcLm3EELi4E23TrivialOffsetCalculatorILi2EjESA_ILi1EjENS0_6memory15LoadWithoutCastENSD_16StoreWithoutCastEEEviT_T0_T2_T3_T4_T5_: ; @_ZN2at6native27unrolled_elementwise_kernelINS0_13BinaryFunctorIssbNS0_12_GLOBAL__N_116CompareEqFunctorIsEEEESt5arrayIPcLm3EELi4E23TrivialOffsetCalculatorILi2EjESA_ILi1EjENS0_6memory15LoadWithoutCastENSD_16StoreWithoutCastEEEviT_T0_T2_T3_T4_T5_
; %bb.0:
	s_load_dwordx2 s[2:3], s[4:5], 0x0
	s_load_dwordx4 s[8:11], s[4:5], 0x8
	s_load_dwordx2 s[12:13], s[4:5], 0x18
	s_lshl_b32 s20, s6, 10
	s_mov_b64 s[4:5], 0
	s_waitcnt lgkmcnt(0)
	s_sub_i32 s2, s2, s20
	v_cmp_gt_i32_e32 vcc, s2, v0
	v_or_b32_e32 v1, s20, v0
	s_mov_b64 s[6:7], 0
	v_mov_b32_e32 v2, v0
	s_and_saveexec_b64 s[14:15], vcc
	s_cbranch_execz .LBB68_2
; %bb.1:
	v_mov_b32_e32 v2, 0
	v_lshlrev_b64 v[2:3], 1, v[1:2]
	v_mov_b32_e32 v5, s11
	v_add_co_u32_e64 v4, s[0:1], s10, v2
	v_addc_co_u32_e64 v5, s[0:1], v5, v3, s[0:1]
	v_mov_b32_e32 v6, s13
	v_add_co_u32_e64 v2, s[0:1], s12, v2
	v_addc_co_u32_e64 v3, s[0:1], v6, v3, s[0:1]
	global_load_ushort v6, v[4:5], off
	global_load_ushort v7, v[2:3], off
	v_or_b32_e32 v2, 0x100, v0
	s_waitcnt vmcnt(0)
	v_cmp_ne_u16_e64 s[0:1], v6, v7
	s_and_b64 s[6:7], s[0:1], exec
.LBB68_2:
	s_or_b64 exec, exec, s[14:15]
	v_cmp_gt_i32_e64 s[0:1], s2, v2
	s_and_saveexec_b64 s[14:15], s[0:1]
	s_cbranch_execz .LBB68_4
; %bb.3:
	v_add_u32_e32 v3, s20, v2
	v_mov_b32_e32 v4, 0
	v_lshlrev_b64 v[3:4], 1, v[3:4]
	v_mov_b32_e32 v6, s11
	v_add_co_u32_e64 v5, s[0:1], s10, v3
	v_addc_co_u32_e64 v6, s[0:1], v6, v4, s[0:1]
	v_mov_b32_e32 v7, s13
	v_add_co_u32_e64 v3, s[0:1], s12, v3
	v_addc_co_u32_e64 v4, s[0:1], v7, v4, s[0:1]
	global_load_ushort v7, v[5:6], off
	global_load_ushort v8, v[3:4], off
	v_add_u32_e32 v2, 0x100, v2
	s_waitcnt vmcnt(0)
	v_cmp_ne_u16_e64 s[0:1], v7, v8
	s_and_b64 s[4:5], s[0:1], exec
.LBB68_4:
	s_or_b64 exec, exec, s[14:15]
	v_cmp_gt_i32_e64 s[0:1], s2, v2
	s_mov_b64 s[14:15], 0
	s_mov_b64 s[16:17], 0
	s_and_saveexec_b64 s[18:19], s[0:1]
	s_cbranch_execz .LBB68_6
; %bb.5:
	v_add_u32_e32 v3, s20, v2
	v_mov_b32_e32 v4, 0
	v_lshlrev_b64 v[3:4], 1, v[3:4]
	v_mov_b32_e32 v6, s11
	v_add_co_u32_e64 v5, s[0:1], s10, v3
	v_addc_co_u32_e64 v6, s[0:1], v6, v4, s[0:1]
	v_mov_b32_e32 v7, s13
	v_add_co_u32_e64 v3, s[0:1], s12, v3
	v_addc_co_u32_e64 v4, s[0:1], v7, v4, s[0:1]
	global_load_ushort v7, v[5:6], off
	global_load_ushort v8, v[3:4], off
	v_add_u32_e32 v2, 0x100, v2
	s_waitcnt vmcnt(0)
	v_cmp_ne_u16_e64 s[0:1], v7, v8
	s_and_b64 s[16:17], s[0:1], exec
.LBB68_6:
	s_or_b64 exec, exec, s[18:19]
	v_cmp_gt_i32_e64 s[0:1], s2, v2
	s_and_saveexec_b64 s[18:19], s[0:1]
	s_cbranch_execz .LBB68_8
; %bb.7:
	v_add_u32_e32 v2, s20, v2
	v_mov_b32_e32 v3, 0
	v_lshlrev_b64 v[2:3], 1, v[2:3]
	v_mov_b32_e32 v5, s11
	v_add_co_u32_e64 v4, s[0:1], s10, v2
	v_addc_co_u32_e64 v5, s[0:1], v5, v3, s[0:1]
	v_mov_b32_e32 v6, s13
	v_add_co_u32_e64 v2, s[0:1], s12, v2
	v_addc_co_u32_e64 v3, s[0:1], v6, v3, s[0:1]
	global_load_ushort v6, v[4:5], off
	global_load_ushort v7, v[2:3], off
	s_waitcnt vmcnt(0)
	v_cmp_ne_u16_e64 s[0:1], v6, v7
	s_and_b64 s[14:15], s[0:1], exec
.LBB68_8:
	s_or_b64 exec, exec, s[18:19]
	s_cmp_eq_u32 s3, 0
	s_cselect_b64 s[10:11], -1, 0
	s_xor_b64 s[0:1], s[10:11], s[6:7]
	v_cndmask_b32_e64 v2, 0, 1, s[0:1]
	s_xor_b64 s[0:1], s[10:11], s[4:5]
	v_cndmask_b32_e64 v4, 0, 1, s[0:1]
	v_cndmask_b32_e32 v2, 0, v2, vcc
	v_lshlrev_b16_e32 v4, 8, v4
	v_or_b32_e32 v3, 0x100, v0
	v_or_b32_e32 v4, v2, v4
	v_and_b32_e32 v4, 0xffff, v4
	v_cmp_gt_i32_e64 s[0:1], s2, v3
	v_cndmask_b32_e64 v2, v2, v4, s[0:1]
	s_xor_b64 s[0:1], s[10:11], s[16:17]
	v_cndmask_b32_e64 v5, 0, 1, s[0:1]
	v_or_b32_e32 v4, 0x200, v0
	v_lshlrev_b32_e32 v5, 16, v5
	v_or_b32_e32 v5, v2, v5
	v_cmp_gt_i32_e64 s[0:1], s2, v4
	v_cndmask_b32_e64 v2, v2, v5, s[0:1]
	s_movk_i32 s0, 0xff
	v_and_b32_sdwa v4, v2, s0 dst_sel:DWORD dst_unused:UNUSED_PAD src0_sel:WORD_1 src1_sel:DWORD
	s_xor_b64 s[0:1], s[10:11], s[14:15]
	v_cndmask_b32_e64 v6, 0, 1, s[0:1]
	v_lshlrev_b16_e32 v6, 8, v6
	s_mov_b32 s3, 0xffff
	v_or_b32_e32 v5, 0x300, v0
	v_or_b32_sdwa v4, v4, v6 dst_sel:WORD_1 dst_unused:UNUSED_PAD src0_sel:DWORD src1_sel:DWORD
	v_and_or_b32 v4, v2, s3, v4
	v_cmp_gt_i32_e64 s[0:1], s2, v5
	v_cndmask_b32_e64 v2, v2, v4, s[0:1]
	s_and_saveexec_b64 s[0:1], vcc
	s_cbranch_execnz .LBB68_13
; %bb.9:
	s_or_b64 exec, exec, s[0:1]
	v_cmp_gt_i32_e32 vcc, s2, v0
	s_and_saveexec_b64 s[0:1], vcc
	s_cbranch_execnz .LBB68_14
.LBB68_10:
	s_or_b64 exec, exec, s[0:1]
	v_cmp_gt_i32_e32 vcc, s2, v0
	s_and_saveexec_b64 s[0:1], vcc
	s_cbranch_execnz .LBB68_15
.LBB68_11:
	s_or_b64 exec, exec, s[0:1]
	v_cmp_gt_i32_e32 vcc, s2, v0
	s_and_saveexec_b64 s[0:1], vcc
	s_cbranch_execnz .LBB68_16
.LBB68_12:
	s_endpgm
.LBB68_13:
	v_mov_b32_e32 v0, v3
	global_store_byte v1, v2, s[8:9]
	s_or_b64 exec, exec, s[0:1]
	v_cmp_gt_i32_e32 vcc, s2, v0
	s_and_saveexec_b64 s[0:1], vcc
	s_cbranch_execz .LBB68_10
.LBB68_14:
	v_add_u32_e32 v1, 0x100, v0
	v_add_u32_e32 v0, s20, v0
	v_lshrrev_b32_e32 v3, 8, v2
	global_store_byte v0, v3, s[8:9]
	v_mov_b32_e32 v0, v1
	s_or_b64 exec, exec, s[0:1]
	v_cmp_gt_i32_e32 vcc, s2, v0
	s_and_saveexec_b64 s[0:1], vcc
	s_cbranch_execz .LBB68_11
.LBB68_15:
	v_add_u32_e32 v1, 0x100, v0
	v_add_u32_e32 v0, s20, v0
	global_store_byte_d16_hi v0, v2, s[8:9]
	v_mov_b32_e32 v0, v1
	s_or_b64 exec, exec, s[0:1]
	v_cmp_gt_i32_e32 vcc, s2, v0
	s_and_saveexec_b64 s[0:1], vcc
	s_cbranch_execz .LBB68_12
.LBB68_16:
	v_add_u32_e32 v0, s20, v0
	v_lshrrev_b32_e32 v1, 24, v2
	global_store_byte v0, v1, s[8:9]
	s_endpgm
	.section	.rodata,"a",@progbits
	.p2align	6, 0x0
	.amdhsa_kernel _ZN2at6native27unrolled_elementwise_kernelINS0_13BinaryFunctorIssbNS0_12_GLOBAL__N_116CompareEqFunctorIsEEEESt5arrayIPcLm3EELi4E23TrivialOffsetCalculatorILi2EjESA_ILi1EjENS0_6memory15LoadWithoutCastENSD_16StoreWithoutCastEEEviT_T0_T2_T3_T4_T5_
		.amdhsa_group_segment_fixed_size 0
		.amdhsa_private_segment_fixed_size 0
		.amdhsa_kernarg_size 36
		.amdhsa_user_sgpr_count 6
		.amdhsa_user_sgpr_private_segment_buffer 1
		.amdhsa_user_sgpr_dispatch_ptr 0
		.amdhsa_user_sgpr_queue_ptr 0
		.amdhsa_user_sgpr_kernarg_segment_ptr 1
		.amdhsa_user_sgpr_dispatch_id 0
		.amdhsa_user_sgpr_flat_scratch_init 0
		.amdhsa_user_sgpr_private_segment_size 0
		.amdhsa_uses_dynamic_stack 0
		.amdhsa_system_sgpr_private_segment_wavefront_offset 0
		.amdhsa_system_sgpr_workgroup_id_x 1
		.amdhsa_system_sgpr_workgroup_id_y 0
		.amdhsa_system_sgpr_workgroup_id_z 0
		.amdhsa_system_sgpr_workgroup_info 0
		.amdhsa_system_vgpr_workitem_id 0
		.amdhsa_next_free_vgpr 9
		.amdhsa_next_free_sgpr 21
		.amdhsa_reserve_vcc 1
		.amdhsa_reserve_flat_scratch 0
		.amdhsa_float_round_mode_32 0
		.amdhsa_float_round_mode_16_64 0
		.amdhsa_float_denorm_mode_32 3
		.amdhsa_float_denorm_mode_16_64 3
		.amdhsa_dx10_clamp 1
		.amdhsa_ieee_mode 1
		.amdhsa_fp16_overflow 0
		.amdhsa_exception_fp_ieee_invalid_op 0
		.amdhsa_exception_fp_denorm_src 0
		.amdhsa_exception_fp_ieee_div_zero 0
		.amdhsa_exception_fp_ieee_overflow 0
		.amdhsa_exception_fp_ieee_underflow 0
		.amdhsa_exception_fp_ieee_inexact 0
		.amdhsa_exception_int_div_zero 0
	.end_amdhsa_kernel
	.section	.text._ZN2at6native27unrolled_elementwise_kernelINS0_13BinaryFunctorIssbNS0_12_GLOBAL__N_116CompareEqFunctorIsEEEESt5arrayIPcLm3EELi4E23TrivialOffsetCalculatorILi2EjESA_ILi1EjENS0_6memory15LoadWithoutCastENSD_16StoreWithoutCastEEEviT_T0_T2_T3_T4_T5_,"axG",@progbits,_ZN2at6native27unrolled_elementwise_kernelINS0_13BinaryFunctorIssbNS0_12_GLOBAL__N_116CompareEqFunctorIsEEEESt5arrayIPcLm3EELi4E23TrivialOffsetCalculatorILi2EjESA_ILi1EjENS0_6memory15LoadWithoutCastENSD_16StoreWithoutCastEEEviT_T0_T2_T3_T4_T5_,comdat
.Lfunc_end68:
	.size	_ZN2at6native27unrolled_elementwise_kernelINS0_13BinaryFunctorIssbNS0_12_GLOBAL__N_116CompareEqFunctorIsEEEESt5arrayIPcLm3EELi4E23TrivialOffsetCalculatorILi2EjESA_ILi1EjENS0_6memory15LoadWithoutCastENSD_16StoreWithoutCastEEEviT_T0_T2_T3_T4_T5_, .Lfunc_end68-_ZN2at6native27unrolled_elementwise_kernelINS0_13BinaryFunctorIssbNS0_12_GLOBAL__N_116CompareEqFunctorIsEEEESt5arrayIPcLm3EELi4E23TrivialOffsetCalculatorILi2EjESA_ILi1EjENS0_6memory15LoadWithoutCastENSD_16StoreWithoutCastEEEviT_T0_T2_T3_T4_T5_
                                        ; -- End function
	.set _ZN2at6native27unrolled_elementwise_kernelINS0_13BinaryFunctorIssbNS0_12_GLOBAL__N_116CompareEqFunctorIsEEEESt5arrayIPcLm3EELi4E23TrivialOffsetCalculatorILi2EjESA_ILi1EjENS0_6memory15LoadWithoutCastENSD_16StoreWithoutCastEEEviT_T0_T2_T3_T4_T5_.num_vgpr, 9
	.set _ZN2at6native27unrolled_elementwise_kernelINS0_13BinaryFunctorIssbNS0_12_GLOBAL__N_116CompareEqFunctorIsEEEESt5arrayIPcLm3EELi4E23TrivialOffsetCalculatorILi2EjESA_ILi1EjENS0_6memory15LoadWithoutCastENSD_16StoreWithoutCastEEEviT_T0_T2_T3_T4_T5_.num_agpr, 0
	.set _ZN2at6native27unrolled_elementwise_kernelINS0_13BinaryFunctorIssbNS0_12_GLOBAL__N_116CompareEqFunctorIsEEEESt5arrayIPcLm3EELi4E23TrivialOffsetCalculatorILi2EjESA_ILi1EjENS0_6memory15LoadWithoutCastENSD_16StoreWithoutCastEEEviT_T0_T2_T3_T4_T5_.numbered_sgpr, 21
	.set _ZN2at6native27unrolled_elementwise_kernelINS0_13BinaryFunctorIssbNS0_12_GLOBAL__N_116CompareEqFunctorIsEEEESt5arrayIPcLm3EELi4E23TrivialOffsetCalculatorILi2EjESA_ILi1EjENS0_6memory15LoadWithoutCastENSD_16StoreWithoutCastEEEviT_T0_T2_T3_T4_T5_.num_named_barrier, 0
	.set _ZN2at6native27unrolled_elementwise_kernelINS0_13BinaryFunctorIssbNS0_12_GLOBAL__N_116CompareEqFunctorIsEEEESt5arrayIPcLm3EELi4E23TrivialOffsetCalculatorILi2EjESA_ILi1EjENS0_6memory15LoadWithoutCastENSD_16StoreWithoutCastEEEviT_T0_T2_T3_T4_T5_.private_seg_size, 0
	.set _ZN2at6native27unrolled_elementwise_kernelINS0_13BinaryFunctorIssbNS0_12_GLOBAL__N_116CompareEqFunctorIsEEEESt5arrayIPcLm3EELi4E23TrivialOffsetCalculatorILi2EjESA_ILi1EjENS0_6memory15LoadWithoutCastENSD_16StoreWithoutCastEEEviT_T0_T2_T3_T4_T5_.uses_vcc, 1
	.set _ZN2at6native27unrolled_elementwise_kernelINS0_13BinaryFunctorIssbNS0_12_GLOBAL__N_116CompareEqFunctorIsEEEESt5arrayIPcLm3EELi4E23TrivialOffsetCalculatorILi2EjESA_ILi1EjENS0_6memory15LoadWithoutCastENSD_16StoreWithoutCastEEEviT_T0_T2_T3_T4_T5_.uses_flat_scratch, 0
	.set _ZN2at6native27unrolled_elementwise_kernelINS0_13BinaryFunctorIssbNS0_12_GLOBAL__N_116CompareEqFunctorIsEEEESt5arrayIPcLm3EELi4E23TrivialOffsetCalculatorILi2EjESA_ILi1EjENS0_6memory15LoadWithoutCastENSD_16StoreWithoutCastEEEviT_T0_T2_T3_T4_T5_.has_dyn_sized_stack, 0
	.set _ZN2at6native27unrolled_elementwise_kernelINS0_13BinaryFunctorIssbNS0_12_GLOBAL__N_116CompareEqFunctorIsEEEESt5arrayIPcLm3EELi4E23TrivialOffsetCalculatorILi2EjESA_ILi1EjENS0_6memory15LoadWithoutCastENSD_16StoreWithoutCastEEEviT_T0_T2_T3_T4_T5_.has_recursion, 0
	.set _ZN2at6native27unrolled_elementwise_kernelINS0_13BinaryFunctorIssbNS0_12_GLOBAL__N_116CompareEqFunctorIsEEEESt5arrayIPcLm3EELi4E23TrivialOffsetCalculatorILi2EjESA_ILi1EjENS0_6memory15LoadWithoutCastENSD_16StoreWithoutCastEEEviT_T0_T2_T3_T4_T5_.has_indirect_call, 0
	.section	.AMDGPU.csdata,"",@progbits
; Kernel info:
; codeLenInByte = 896
; TotalNumSgprs: 25
; NumVgprs: 9
; ScratchSize: 0
; MemoryBound: 0
; FloatMode: 240
; IeeeMode: 1
; LDSByteSize: 0 bytes/workgroup (compile time only)
; SGPRBlocks: 3
; VGPRBlocks: 2
; NumSGPRsForWavesPerEU: 25
; NumVGPRsForWavesPerEU: 9
; Occupancy: 10
; WaveLimiterHint : 0
; COMPUTE_PGM_RSRC2:SCRATCH_EN: 0
; COMPUTE_PGM_RSRC2:USER_SGPR: 6
; COMPUTE_PGM_RSRC2:TRAP_HANDLER: 0
; COMPUTE_PGM_RSRC2:TGID_X_EN: 1
; COMPUTE_PGM_RSRC2:TGID_Y_EN: 0
; COMPUTE_PGM_RSRC2:TGID_Z_EN: 0
; COMPUTE_PGM_RSRC2:TIDIG_COMP_CNT: 0
	.section	.text._ZN2at6native32elementwise_kernel_manual_unrollILi128ELi8EZNS0_22gpu_kernel_impl_nocastINS0_13BinaryFunctorIssbNS0_12_GLOBAL__N_116CompareEqFunctorIsEEEEEEvRNS_18TensorIteratorBaseERKT_EUlibE_EEviT1_,"axG",@progbits,_ZN2at6native32elementwise_kernel_manual_unrollILi128ELi8EZNS0_22gpu_kernel_impl_nocastINS0_13BinaryFunctorIssbNS0_12_GLOBAL__N_116CompareEqFunctorIsEEEEEEvRNS_18TensorIteratorBaseERKT_EUlibE_EEviT1_,comdat
	.globl	_ZN2at6native32elementwise_kernel_manual_unrollILi128ELi8EZNS0_22gpu_kernel_impl_nocastINS0_13BinaryFunctorIssbNS0_12_GLOBAL__N_116CompareEqFunctorIsEEEEEEvRNS_18TensorIteratorBaseERKT_EUlibE_EEviT1_ ; -- Begin function _ZN2at6native32elementwise_kernel_manual_unrollILi128ELi8EZNS0_22gpu_kernel_impl_nocastINS0_13BinaryFunctorIssbNS0_12_GLOBAL__N_116CompareEqFunctorIsEEEEEEvRNS_18TensorIteratorBaseERKT_EUlibE_EEviT1_
	.p2align	8
	.type	_ZN2at6native32elementwise_kernel_manual_unrollILi128ELi8EZNS0_22gpu_kernel_impl_nocastINS0_13BinaryFunctorIssbNS0_12_GLOBAL__N_116CompareEqFunctorIsEEEEEEvRNS_18TensorIteratorBaseERKT_EUlibE_EEviT1_,@function
_ZN2at6native32elementwise_kernel_manual_unrollILi128ELi8EZNS0_22gpu_kernel_impl_nocastINS0_13BinaryFunctorIssbNS0_12_GLOBAL__N_116CompareEqFunctorIsEEEEEEvRNS_18TensorIteratorBaseERKT_EUlibE_EEviT1_: ; @_ZN2at6native32elementwise_kernel_manual_unrollILi128ELi8EZNS0_22gpu_kernel_impl_nocastINS0_13BinaryFunctorIssbNS0_12_GLOBAL__N_116CompareEqFunctorIsEEEEEEvRNS_18TensorIteratorBaseERKT_EUlibE_EEviT1_
; %bb.0:
	s_load_dword s38, s[4:5], 0x0
	s_load_dword s33, s[4:5], 0x8
	s_add_u32 s12, s4, 8
	s_addc_u32 s13, s5, 0
	v_lshl_or_b32 v31, s6, 10, v0
	v_or_b32_e32 v41, 0x380, v31
	s_waitcnt lgkmcnt(0)
	s_add_i32 s36, s33, -1
	s_cmp_gt_u32 s36, 1
	v_cmp_le_i32_e32 vcc, s38, v41
	s_cselect_b64 s[14:15], -1, 0
	s_and_saveexec_b64 s[0:1], vcc
	s_xor_b64 s[16:17], exec, s[0:1]
	s_cbranch_execz .LBB69_106
; %bb.1:
	s_load_dwordx4 s[8:11], s[12:13], 0x4
	s_load_dwordx2 s[24:25], s[12:13], 0x14
	s_load_dwordx4 s[4:7], s[12:13], 0xc4
	s_load_dwordx2 s[22:23], s[12:13], 0xd4
	s_load_dword s20, s[12:13], 0x1a0
	s_cmp_lg_u32 s33, 0
	s_load_dwordx2 s[18:19], s[12:13], 0x198
	s_load_dwordx4 s[0:3], s[12:13], 0x188
	s_cselect_b64 s[28:29], -1, 0
	s_min_u32 s37, s36, 15
	s_cmp_gt_u32 s33, 1
	s_cselect_b64 s[26:27], -1, 0
	s_waitcnt lgkmcnt(0)
	s_cmp_eq_u32 s20, 0
	s_cselect_b64 s[20:21], -1, 0
	v_cmp_gt_i32_e32 vcc, s38, v31
	s_and_saveexec_b64 s[30:31], vcc
	s_cbranch_execnz .LBB69_9
; %bb.2:
	s_or_b64 exec, exec, s[30:31]
	v_cmp_gt_i32_e32 vcc, s38, v31
	s_and_saveexec_b64 s[30:31], vcc
	s_cbranch_execnz .LBB69_21
.LBB69_3:
	s_or_b64 exec, exec, s[30:31]
	v_cmp_gt_i32_e32 vcc, s38, v31
	s_and_saveexec_b64 s[30:31], vcc
	s_cbranch_execnz .LBB69_33
.LBB69_4:
	s_or_b64 exec, exec, s[30:31]
	v_cmp_gt_i32_e32 vcc, s38, v31
	s_and_saveexec_b64 s[30:31], vcc
	s_cbranch_execnz .LBB69_45
.LBB69_5:
	s_or_b64 exec, exec, s[30:31]
	v_cmp_gt_i32_e32 vcc, s38, v31
	s_and_saveexec_b64 s[30:31], vcc
	s_cbranch_execnz .LBB69_57
.LBB69_6:
	s_or_b64 exec, exec, s[30:31]
	v_cmp_gt_i32_e32 vcc, s38, v31
	s_and_saveexec_b64 s[30:31], vcc
	s_cbranch_execnz .LBB69_69
.LBB69_7:
	s_or_b64 exec, exec, s[30:31]
	v_cmp_gt_i32_e32 vcc, s38, v31
	s_and_saveexec_b64 s[30:31], vcc
	s_cbranch_execnz .LBB69_81
.LBB69_8:
	s_or_b64 exec, exec, s[30:31]
	v_cmp_gt_i32_e32 vcc, s38, v31
	s_and_saveexec_b64 s[30:31], vcc
	s_cbranch_execnz .LBB69_93
	s_branch .LBB69_105
.LBB69_9:
	s_andn2_b64 vcc, exec, s[14:15]
	s_cbranch_vccnz .LBB69_15
; %bb.10:
	s_andn2_b64 vcc, exec, s[28:29]
	s_cbranch_vccnz .LBB69_16
; %bb.11:
	s_add_i32 s34, s37, 1
	s_and_b32 s39, s34, 30
	s_add_u32 s34, s12, 0xffffffe8
	s_addc_u32 s35, s13, -1
	v_mov_b32_e32 v2, 0
	v_mov_b32_e32 v4, 0
	;; [unrolled: 1-line block ×4, first 2 shown]
.LBB69_12:                              ; =>This Inner Loop Header: Depth=1
	s_load_dwordx4 s[40:43], s[34:35], 0x1c
	s_load_dwordx2 s[48:49], s[34:35], 0x2c
	s_load_dwordx2 s[50:51], s[34:35], 0xec
	s_load_dwordx4 s[44:47], s[34:35], 0xdc
	s_add_u32 s34, s34, 24
	s_waitcnt lgkmcnt(0)
	v_mul_hi_u32 v3, s41, v1
	s_addc_u32 s35, s35, 0
	s_add_i32 s39, s39, -2
	s_cmp_lg_u32 s39, 0
	v_add_u32_e32 v3, v1, v3
	v_lshrrev_b32_e32 v3, s42, v3
	v_mul_lo_u32 v5, v3, s40
	v_mul_hi_u32 v6, s48, v3
	v_sub_u32_e32 v5, v1, v5
	v_add_u32_e32 v1, v3, v6
	v_lshrrev_b32_e32 v1, s49, v1
	v_mul_lo_u32 v8, v1, s43
	v_mul_lo_u32 v6, v5, s44
	;; [unrolled: 1-line block ×4, first 2 shown]
	v_sub_u32_e32 v3, v3, v8
	v_mul_lo_u32 v8, v3, s47
	v_mul_lo_u32 v9, v3, s50
	;; [unrolled: 1-line block ×3, first 2 shown]
	v_add3_u32 v0, v6, v0, v8
	v_add3_u32 v4, v7, v4, v9
	;; [unrolled: 1-line block ×3, first 2 shown]
	s_cbranch_scc1 .LBB69_12
; %bb.13:
	s_bitcmp1_b32 s37, 0
	s_cselect_b64 s[40:41], -1, 0
	s_and_b64 vcc, exec, s[40:41]
	s_cbranch_vccnz .LBB69_17
; %bb.14:
	s_load_dwordx2 s[40:41], s[34:35], 0x1c
	s_load_dword s39, s[34:35], 0x24
	s_load_dwordx2 s[42:43], s[34:35], 0xdc
	s_waitcnt lgkmcnt(0)
	v_mul_hi_u32 v3, s41, v1
	v_add_u32_e32 v3, v1, v3
	v_lshrrev_b32_e32 v3, s39, v3
	v_mul_lo_u32 v3, v3, s40
	s_load_dword s39, s[34:35], 0xe4
	v_sub_u32_e32 v3, v1, v3
	v_mad_u64_u32 v[0:1], s[34:35], v3, s42, v[0:1]
	v_mad_u64_u32 v[4:5], s[34:35], v3, s43, v[4:5]
	s_waitcnt lgkmcnt(0)
	v_mad_u64_u32 v[2:3], s[34:35], v3, s39, v[2:3]
	s_cbranch_execz .LBB69_18
	s_branch .LBB69_20
.LBB69_15:
                                        ; implicit-def: $vgpr0
                                        ; implicit-def: $vgpr4
                                        ; implicit-def: $vgpr2
	s_branch .LBB69_18
.LBB69_16:
	v_mov_b32_e32 v0, 0
	v_mov_b32_e32 v4, 0
	;; [unrolled: 1-line block ×3, first 2 shown]
.LBB69_17:
	s_cbranch_execnz .LBB69_20
.LBB69_18:
	v_mul_hi_u32 v0, s9, v31
	s_andn2_b64 vcc, exec, s[26:27]
	v_add_u32_e32 v0, v31, v0
	v_lshrrev_b32_e32 v1, s10, v0
	v_mul_lo_u32 v0, v1, s8
	v_sub_u32_e32 v2, v31, v0
	v_mul_lo_u32 v0, v2, s4
	v_mul_lo_u32 v4, v2, s5
	;; [unrolled: 1-line block ×3, first 2 shown]
	s_cbranch_vccnz .LBB69_20
; %bb.19:
	v_mul_hi_u32 v3, s24, v1
	v_add_u32_e32 v3, v1, v3
	v_lshrrev_b32_e32 v3, s25, v3
	v_mul_lo_u32 v3, v3, s11
	v_sub_u32_e32 v3, v1, v3
	v_mad_u64_u32 v[0:1], s[34:35], v3, s7, v[0:1]
	v_mad_u64_u32 v[4:5], s[34:35], v3, s22, v[4:5]
	;; [unrolled: 1-line block ×3, first 2 shown]
.LBB69_20:
	global_load_ushort v1, v4, s[2:3]
	global_load_ushort v3, v2, s[18:19]
	v_add_u32_e32 v31, 0x80, v31
	s_waitcnt vmcnt(0)
	v_cmp_ne_u16_e32 vcc, v1, v3
	s_xor_b64 s[34:35], s[20:21], vcc
	v_cndmask_b32_e64 v1, 0, 1, s[34:35]
	global_store_byte v0, v1, s[0:1]
	s_or_b64 exec, exec, s[30:31]
	v_cmp_gt_i32_e32 vcc, s38, v31
	s_and_saveexec_b64 s[30:31], vcc
	s_cbranch_execz .LBB69_3
.LBB69_21:
	s_andn2_b64 vcc, exec, s[14:15]
	s_cbranch_vccnz .LBB69_27
; %bb.22:
	s_andn2_b64 vcc, exec, s[28:29]
	s_cbranch_vccnz .LBB69_28
; %bb.23:
	s_add_i32 s34, s37, 1
	s_and_b32 s39, s34, 30
	s_add_u32 s34, s12, 0xffffffe8
	s_addc_u32 s35, s13, -1
	v_mov_b32_e32 v2, 0
	v_mov_b32_e32 v4, 0
	;; [unrolled: 1-line block ×4, first 2 shown]
.LBB69_24:                              ; =>This Inner Loop Header: Depth=1
	s_load_dwordx4 s[40:43], s[34:35], 0x1c
	s_load_dwordx2 s[48:49], s[34:35], 0x2c
	s_load_dwordx2 s[50:51], s[34:35], 0xec
	s_load_dwordx4 s[44:47], s[34:35], 0xdc
	s_add_u32 s34, s34, 24
	s_waitcnt lgkmcnt(0)
	v_mul_hi_u32 v3, s41, v1
	s_addc_u32 s35, s35, 0
	s_add_i32 s39, s39, -2
	s_cmp_eq_u32 s39, 0
	v_add_u32_e32 v3, v1, v3
	v_lshrrev_b32_e32 v3, s42, v3
	v_mul_lo_u32 v5, v3, s40
	v_mul_hi_u32 v6, s48, v3
	v_sub_u32_e32 v5, v1, v5
	v_add_u32_e32 v1, v3, v6
	v_lshrrev_b32_e32 v1, s49, v1
	v_mul_lo_u32 v8, v1, s43
	v_mul_lo_u32 v6, v5, s44
	;; [unrolled: 1-line block ×4, first 2 shown]
	v_sub_u32_e32 v3, v3, v8
	v_mul_lo_u32 v8, v3, s47
	v_mul_lo_u32 v9, v3, s50
	;; [unrolled: 1-line block ×3, first 2 shown]
	v_add3_u32 v0, v6, v0, v8
	v_add3_u32 v4, v7, v4, v9
	;; [unrolled: 1-line block ×3, first 2 shown]
	s_cbranch_scc0 .LBB69_24
; %bb.25:
	s_bitcmp1_b32 s37, 0
	s_cselect_b64 s[40:41], -1, 0
	s_and_b64 vcc, exec, s[40:41]
	s_cbranch_vccnz .LBB69_29
; %bb.26:
	s_load_dwordx2 s[40:41], s[34:35], 0x1c
	s_load_dword s39, s[34:35], 0x24
	s_load_dwordx2 s[42:43], s[34:35], 0xdc
	s_waitcnt lgkmcnt(0)
	v_mul_hi_u32 v3, s41, v1
	v_add_u32_e32 v3, v1, v3
	v_lshrrev_b32_e32 v3, s39, v3
	v_mul_lo_u32 v3, v3, s40
	s_load_dword s39, s[34:35], 0xe4
	v_sub_u32_e32 v3, v1, v3
	v_mad_u64_u32 v[0:1], s[34:35], v3, s42, v[0:1]
	v_mad_u64_u32 v[4:5], s[34:35], v3, s43, v[4:5]
	s_waitcnt lgkmcnt(0)
	v_mad_u64_u32 v[2:3], s[34:35], v3, s39, v[2:3]
	s_branch .LBB69_29
.LBB69_27:
                                        ; implicit-def: $vgpr0
                                        ; implicit-def: $vgpr4
                                        ; implicit-def: $vgpr2
	s_branch .LBB69_30
.LBB69_28:
	v_mov_b32_e32 v0, 0
	v_mov_b32_e32 v4, 0
	;; [unrolled: 1-line block ×3, first 2 shown]
.LBB69_29:
	s_cbranch_execnz .LBB69_32
.LBB69_30:
	v_mul_hi_u32 v0, s9, v31
	s_andn2_b64 vcc, exec, s[26:27]
	v_add_u32_e32 v0, v31, v0
	v_lshrrev_b32_e32 v1, s10, v0
	v_mul_lo_u32 v0, v1, s8
	v_sub_u32_e32 v2, v31, v0
	v_mul_lo_u32 v0, v2, s4
	v_mul_lo_u32 v4, v2, s5
	;; [unrolled: 1-line block ×3, first 2 shown]
	s_cbranch_vccnz .LBB69_32
; %bb.31:
	v_mul_hi_u32 v3, s24, v1
	v_add_u32_e32 v3, v1, v3
	v_lshrrev_b32_e32 v3, s25, v3
	v_mul_lo_u32 v3, v3, s11
	v_sub_u32_e32 v3, v1, v3
	v_mad_u64_u32 v[0:1], s[34:35], v3, s7, v[0:1]
	v_mad_u64_u32 v[4:5], s[34:35], v3, s22, v[4:5]
	;; [unrolled: 1-line block ×3, first 2 shown]
.LBB69_32:
	global_load_ushort v1, v4, s[2:3]
	global_load_ushort v3, v2, s[18:19]
	v_add_u32_e32 v31, 0x80, v31
	s_waitcnt vmcnt(0)
	v_cmp_ne_u16_e32 vcc, v1, v3
	s_xor_b64 s[34:35], s[20:21], vcc
	v_cndmask_b32_e64 v1, 0, 1, s[34:35]
	global_store_byte v0, v1, s[0:1]
	s_or_b64 exec, exec, s[30:31]
	v_cmp_gt_i32_e32 vcc, s38, v31
	s_and_saveexec_b64 s[30:31], vcc
	s_cbranch_execz .LBB69_4
.LBB69_33:
	s_andn2_b64 vcc, exec, s[14:15]
	s_cbranch_vccnz .LBB69_39
; %bb.34:
	s_andn2_b64 vcc, exec, s[28:29]
	s_cbranch_vccnz .LBB69_40
; %bb.35:
	s_add_i32 s34, s37, 1
	s_and_b32 s39, s34, 30
	s_add_u32 s34, s12, 0xffffffe8
	s_addc_u32 s35, s13, -1
	v_mov_b32_e32 v2, 0
	v_mov_b32_e32 v4, 0
	;; [unrolled: 1-line block ×4, first 2 shown]
.LBB69_36:                              ; =>This Inner Loop Header: Depth=1
	s_load_dwordx4 s[40:43], s[34:35], 0x1c
	s_load_dwordx2 s[48:49], s[34:35], 0x2c
	s_load_dwordx2 s[50:51], s[34:35], 0xec
	s_load_dwordx4 s[44:47], s[34:35], 0xdc
	s_add_u32 s34, s34, 24
	s_waitcnt lgkmcnt(0)
	v_mul_hi_u32 v3, s41, v1
	s_addc_u32 s35, s35, 0
	s_add_i32 s39, s39, -2
	s_cmp_eq_u32 s39, 0
	v_add_u32_e32 v3, v1, v3
	v_lshrrev_b32_e32 v3, s42, v3
	v_mul_lo_u32 v5, v3, s40
	v_mul_hi_u32 v6, s48, v3
	v_sub_u32_e32 v5, v1, v5
	v_add_u32_e32 v1, v3, v6
	v_lshrrev_b32_e32 v1, s49, v1
	v_mul_lo_u32 v8, v1, s43
	v_mul_lo_u32 v6, v5, s44
	;; [unrolled: 1-line block ×4, first 2 shown]
	v_sub_u32_e32 v3, v3, v8
	v_mul_lo_u32 v8, v3, s47
	v_mul_lo_u32 v9, v3, s50
	;; [unrolled: 1-line block ×3, first 2 shown]
	v_add3_u32 v0, v6, v0, v8
	v_add3_u32 v4, v7, v4, v9
	;; [unrolled: 1-line block ×3, first 2 shown]
	s_cbranch_scc0 .LBB69_36
; %bb.37:
	s_bitcmp1_b32 s37, 0
	s_cselect_b64 s[40:41], -1, 0
	s_and_b64 vcc, exec, s[40:41]
	s_cbranch_vccnz .LBB69_41
; %bb.38:
	s_load_dwordx2 s[40:41], s[34:35], 0x1c
	s_load_dword s39, s[34:35], 0x24
	s_load_dwordx2 s[42:43], s[34:35], 0xdc
	s_waitcnt lgkmcnt(0)
	v_mul_hi_u32 v3, s41, v1
	v_add_u32_e32 v3, v1, v3
	v_lshrrev_b32_e32 v3, s39, v3
	v_mul_lo_u32 v3, v3, s40
	s_load_dword s39, s[34:35], 0xe4
	v_sub_u32_e32 v3, v1, v3
	v_mad_u64_u32 v[0:1], s[34:35], v3, s42, v[0:1]
	v_mad_u64_u32 v[4:5], s[34:35], v3, s43, v[4:5]
	s_waitcnt lgkmcnt(0)
	v_mad_u64_u32 v[2:3], s[34:35], v3, s39, v[2:3]
	s_branch .LBB69_41
.LBB69_39:
                                        ; implicit-def: $vgpr0
                                        ; implicit-def: $vgpr4
                                        ; implicit-def: $vgpr2
	s_branch .LBB69_42
.LBB69_40:
	v_mov_b32_e32 v0, 0
	v_mov_b32_e32 v4, 0
	;; [unrolled: 1-line block ×3, first 2 shown]
.LBB69_41:
	s_cbranch_execnz .LBB69_44
.LBB69_42:
	v_mul_hi_u32 v0, s9, v31
	s_andn2_b64 vcc, exec, s[26:27]
	v_add_u32_e32 v0, v31, v0
	v_lshrrev_b32_e32 v1, s10, v0
	v_mul_lo_u32 v0, v1, s8
	v_sub_u32_e32 v2, v31, v0
	v_mul_lo_u32 v0, v2, s4
	v_mul_lo_u32 v4, v2, s5
	;; [unrolled: 1-line block ×3, first 2 shown]
	s_cbranch_vccnz .LBB69_44
; %bb.43:
	v_mul_hi_u32 v3, s24, v1
	v_add_u32_e32 v3, v1, v3
	v_lshrrev_b32_e32 v3, s25, v3
	v_mul_lo_u32 v3, v3, s11
	v_sub_u32_e32 v3, v1, v3
	v_mad_u64_u32 v[0:1], s[34:35], v3, s7, v[0:1]
	v_mad_u64_u32 v[4:5], s[34:35], v3, s22, v[4:5]
	;; [unrolled: 1-line block ×3, first 2 shown]
.LBB69_44:
	global_load_ushort v1, v4, s[2:3]
	global_load_ushort v3, v2, s[18:19]
	v_add_u32_e32 v31, 0x80, v31
	s_waitcnt vmcnt(0)
	v_cmp_ne_u16_e32 vcc, v1, v3
	s_xor_b64 s[34:35], s[20:21], vcc
	v_cndmask_b32_e64 v1, 0, 1, s[34:35]
	global_store_byte v0, v1, s[0:1]
	s_or_b64 exec, exec, s[30:31]
	v_cmp_gt_i32_e32 vcc, s38, v31
	s_and_saveexec_b64 s[30:31], vcc
	s_cbranch_execz .LBB69_5
.LBB69_45:
	s_andn2_b64 vcc, exec, s[14:15]
	s_cbranch_vccnz .LBB69_51
; %bb.46:
	s_andn2_b64 vcc, exec, s[28:29]
	s_cbranch_vccnz .LBB69_52
; %bb.47:
	s_add_i32 s34, s37, 1
	s_and_b32 s39, s34, 30
	s_add_u32 s34, s12, 0xffffffe8
	s_addc_u32 s35, s13, -1
	v_mov_b32_e32 v2, 0
	v_mov_b32_e32 v4, 0
	;; [unrolled: 1-line block ×4, first 2 shown]
.LBB69_48:                              ; =>This Inner Loop Header: Depth=1
	s_load_dwordx4 s[40:43], s[34:35], 0x1c
	s_load_dwordx2 s[48:49], s[34:35], 0x2c
	s_load_dwordx2 s[50:51], s[34:35], 0xec
	s_load_dwordx4 s[44:47], s[34:35], 0xdc
	s_add_u32 s34, s34, 24
	s_waitcnt lgkmcnt(0)
	v_mul_hi_u32 v3, s41, v1
	s_addc_u32 s35, s35, 0
	s_add_i32 s39, s39, -2
	s_cmp_eq_u32 s39, 0
	v_add_u32_e32 v3, v1, v3
	v_lshrrev_b32_e32 v3, s42, v3
	v_mul_lo_u32 v5, v3, s40
	v_mul_hi_u32 v6, s48, v3
	v_sub_u32_e32 v5, v1, v5
	v_add_u32_e32 v1, v3, v6
	v_lshrrev_b32_e32 v1, s49, v1
	v_mul_lo_u32 v8, v1, s43
	v_mul_lo_u32 v6, v5, s44
	;; [unrolled: 1-line block ×4, first 2 shown]
	v_sub_u32_e32 v3, v3, v8
	v_mul_lo_u32 v8, v3, s47
	v_mul_lo_u32 v9, v3, s50
	;; [unrolled: 1-line block ×3, first 2 shown]
	v_add3_u32 v0, v6, v0, v8
	v_add3_u32 v4, v7, v4, v9
	;; [unrolled: 1-line block ×3, first 2 shown]
	s_cbranch_scc0 .LBB69_48
; %bb.49:
	s_bitcmp1_b32 s37, 0
	s_cselect_b64 s[40:41], -1, 0
	s_and_b64 vcc, exec, s[40:41]
	s_cbranch_vccnz .LBB69_53
; %bb.50:
	s_load_dwordx2 s[40:41], s[34:35], 0x1c
	s_load_dword s39, s[34:35], 0x24
	s_load_dwordx2 s[42:43], s[34:35], 0xdc
	s_waitcnt lgkmcnt(0)
	v_mul_hi_u32 v3, s41, v1
	v_add_u32_e32 v3, v1, v3
	v_lshrrev_b32_e32 v3, s39, v3
	v_mul_lo_u32 v3, v3, s40
	s_load_dword s39, s[34:35], 0xe4
	v_sub_u32_e32 v3, v1, v3
	v_mad_u64_u32 v[0:1], s[34:35], v3, s42, v[0:1]
	v_mad_u64_u32 v[4:5], s[34:35], v3, s43, v[4:5]
	s_waitcnt lgkmcnt(0)
	v_mad_u64_u32 v[2:3], s[34:35], v3, s39, v[2:3]
	s_branch .LBB69_53
.LBB69_51:
                                        ; implicit-def: $vgpr0
                                        ; implicit-def: $vgpr4
                                        ; implicit-def: $vgpr2
	s_branch .LBB69_54
.LBB69_52:
	v_mov_b32_e32 v0, 0
	v_mov_b32_e32 v4, 0
	;; [unrolled: 1-line block ×3, first 2 shown]
.LBB69_53:
	s_cbranch_execnz .LBB69_56
.LBB69_54:
	v_mul_hi_u32 v0, s9, v31
	s_andn2_b64 vcc, exec, s[26:27]
	v_add_u32_e32 v0, v31, v0
	v_lshrrev_b32_e32 v1, s10, v0
	v_mul_lo_u32 v0, v1, s8
	v_sub_u32_e32 v2, v31, v0
	v_mul_lo_u32 v0, v2, s4
	v_mul_lo_u32 v4, v2, s5
	;; [unrolled: 1-line block ×3, first 2 shown]
	s_cbranch_vccnz .LBB69_56
; %bb.55:
	v_mul_hi_u32 v3, s24, v1
	v_add_u32_e32 v3, v1, v3
	v_lshrrev_b32_e32 v3, s25, v3
	v_mul_lo_u32 v3, v3, s11
	v_sub_u32_e32 v3, v1, v3
	v_mad_u64_u32 v[0:1], s[34:35], v3, s7, v[0:1]
	v_mad_u64_u32 v[4:5], s[34:35], v3, s22, v[4:5]
	v_mad_u64_u32 v[2:3], s[34:35], v3, s23, v[2:3]
.LBB69_56:
	global_load_ushort v1, v4, s[2:3]
	global_load_ushort v3, v2, s[18:19]
	v_add_u32_e32 v31, 0x80, v31
	s_waitcnt vmcnt(0)
	v_cmp_ne_u16_e32 vcc, v1, v3
	s_xor_b64 s[34:35], s[20:21], vcc
	v_cndmask_b32_e64 v1, 0, 1, s[34:35]
	global_store_byte v0, v1, s[0:1]
	s_or_b64 exec, exec, s[30:31]
	v_cmp_gt_i32_e32 vcc, s38, v31
	s_and_saveexec_b64 s[30:31], vcc
	s_cbranch_execz .LBB69_6
.LBB69_57:
	s_andn2_b64 vcc, exec, s[14:15]
	s_cbranch_vccnz .LBB69_63
; %bb.58:
	s_andn2_b64 vcc, exec, s[28:29]
	s_cbranch_vccnz .LBB69_64
; %bb.59:
	s_add_i32 s34, s37, 1
	s_and_b32 s39, s34, 30
	s_add_u32 s34, s12, 0xffffffe8
	s_addc_u32 s35, s13, -1
	v_mov_b32_e32 v2, 0
	v_mov_b32_e32 v4, 0
	;; [unrolled: 1-line block ×4, first 2 shown]
.LBB69_60:                              ; =>This Inner Loop Header: Depth=1
	s_load_dwordx4 s[40:43], s[34:35], 0x1c
	s_load_dwordx2 s[48:49], s[34:35], 0x2c
	s_load_dwordx2 s[50:51], s[34:35], 0xec
	s_load_dwordx4 s[44:47], s[34:35], 0xdc
	s_add_u32 s34, s34, 24
	s_waitcnt lgkmcnt(0)
	v_mul_hi_u32 v3, s41, v1
	s_addc_u32 s35, s35, 0
	s_add_i32 s39, s39, -2
	s_cmp_eq_u32 s39, 0
	v_add_u32_e32 v3, v1, v3
	v_lshrrev_b32_e32 v3, s42, v3
	v_mul_lo_u32 v5, v3, s40
	v_mul_hi_u32 v6, s48, v3
	v_sub_u32_e32 v5, v1, v5
	v_add_u32_e32 v1, v3, v6
	v_lshrrev_b32_e32 v1, s49, v1
	v_mul_lo_u32 v8, v1, s43
	v_mul_lo_u32 v6, v5, s44
	;; [unrolled: 1-line block ×4, first 2 shown]
	v_sub_u32_e32 v3, v3, v8
	v_mul_lo_u32 v8, v3, s47
	v_mul_lo_u32 v9, v3, s50
	;; [unrolled: 1-line block ×3, first 2 shown]
	v_add3_u32 v0, v6, v0, v8
	v_add3_u32 v4, v7, v4, v9
	;; [unrolled: 1-line block ×3, first 2 shown]
	s_cbranch_scc0 .LBB69_60
; %bb.61:
	s_bitcmp1_b32 s37, 0
	s_cselect_b64 s[40:41], -1, 0
	s_and_b64 vcc, exec, s[40:41]
	s_cbranch_vccnz .LBB69_65
; %bb.62:
	s_load_dwordx2 s[40:41], s[34:35], 0x1c
	s_load_dword s39, s[34:35], 0x24
	s_load_dwordx2 s[42:43], s[34:35], 0xdc
	s_waitcnt lgkmcnt(0)
	v_mul_hi_u32 v3, s41, v1
	v_add_u32_e32 v3, v1, v3
	v_lshrrev_b32_e32 v3, s39, v3
	v_mul_lo_u32 v3, v3, s40
	s_load_dword s39, s[34:35], 0xe4
	v_sub_u32_e32 v3, v1, v3
	v_mad_u64_u32 v[0:1], s[34:35], v3, s42, v[0:1]
	v_mad_u64_u32 v[4:5], s[34:35], v3, s43, v[4:5]
	s_waitcnt lgkmcnt(0)
	v_mad_u64_u32 v[2:3], s[34:35], v3, s39, v[2:3]
	s_branch .LBB69_65
.LBB69_63:
                                        ; implicit-def: $vgpr0
                                        ; implicit-def: $vgpr4
                                        ; implicit-def: $vgpr2
	s_branch .LBB69_66
.LBB69_64:
	v_mov_b32_e32 v0, 0
	v_mov_b32_e32 v4, 0
	;; [unrolled: 1-line block ×3, first 2 shown]
.LBB69_65:
	s_cbranch_execnz .LBB69_68
.LBB69_66:
	v_mul_hi_u32 v0, s9, v31
	s_andn2_b64 vcc, exec, s[26:27]
	v_add_u32_e32 v0, v31, v0
	v_lshrrev_b32_e32 v1, s10, v0
	v_mul_lo_u32 v0, v1, s8
	v_sub_u32_e32 v2, v31, v0
	v_mul_lo_u32 v0, v2, s4
	v_mul_lo_u32 v4, v2, s5
	;; [unrolled: 1-line block ×3, first 2 shown]
	s_cbranch_vccnz .LBB69_68
; %bb.67:
	v_mul_hi_u32 v3, s24, v1
	v_add_u32_e32 v3, v1, v3
	v_lshrrev_b32_e32 v3, s25, v3
	v_mul_lo_u32 v3, v3, s11
	v_sub_u32_e32 v3, v1, v3
	v_mad_u64_u32 v[0:1], s[34:35], v3, s7, v[0:1]
	v_mad_u64_u32 v[4:5], s[34:35], v3, s22, v[4:5]
	;; [unrolled: 1-line block ×3, first 2 shown]
.LBB69_68:
	global_load_ushort v1, v4, s[2:3]
	global_load_ushort v3, v2, s[18:19]
	v_add_u32_e32 v31, 0x80, v31
	s_waitcnt vmcnt(0)
	v_cmp_ne_u16_e32 vcc, v1, v3
	s_xor_b64 s[34:35], s[20:21], vcc
	v_cndmask_b32_e64 v1, 0, 1, s[34:35]
	global_store_byte v0, v1, s[0:1]
	s_or_b64 exec, exec, s[30:31]
	v_cmp_gt_i32_e32 vcc, s38, v31
	s_and_saveexec_b64 s[30:31], vcc
	s_cbranch_execz .LBB69_7
.LBB69_69:
	s_andn2_b64 vcc, exec, s[14:15]
	s_cbranch_vccnz .LBB69_75
; %bb.70:
	s_andn2_b64 vcc, exec, s[28:29]
	s_cbranch_vccnz .LBB69_76
; %bb.71:
	s_add_i32 s34, s37, 1
	s_and_b32 s39, s34, 30
	s_add_u32 s34, s12, 0xffffffe8
	s_addc_u32 s35, s13, -1
	v_mov_b32_e32 v2, 0
	v_mov_b32_e32 v4, 0
	;; [unrolled: 1-line block ×4, first 2 shown]
.LBB69_72:                              ; =>This Inner Loop Header: Depth=1
	s_load_dwordx4 s[40:43], s[34:35], 0x1c
	s_load_dwordx2 s[48:49], s[34:35], 0x2c
	s_load_dwordx2 s[50:51], s[34:35], 0xec
	s_load_dwordx4 s[44:47], s[34:35], 0xdc
	s_add_u32 s34, s34, 24
	s_waitcnt lgkmcnt(0)
	v_mul_hi_u32 v3, s41, v1
	s_addc_u32 s35, s35, 0
	s_add_i32 s39, s39, -2
	s_cmp_eq_u32 s39, 0
	v_add_u32_e32 v3, v1, v3
	v_lshrrev_b32_e32 v3, s42, v3
	v_mul_lo_u32 v5, v3, s40
	v_mul_hi_u32 v6, s48, v3
	v_sub_u32_e32 v5, v1, v5
	v_add_u32_e32 v1, v3, v6
	v_lshrrev_b32_e32 v1, s49, v1
	v_mul_lo_u32 v8, v1, s43
	v_mul_lo_u32 v6, v5, s44
	;; [unrolled: 1-line block ×4, first 2 shown]
	v_sub_u32_e32 v3, v3, v8
	v_mul_lo_u32 v8, v3, s47
	v_mul_lo_u32 v9, v3, s50
	;; [unrolled: 1-line block ×3, first 2 shown]
	v_add3_u32 v0, v6, v0, v8
	v_add3_u32 v4, v7, v4, v9
	;; [unrolled: 1-line block ×3, first 2 shown]
	s_cbranch_scc0 .LBB69_72
; %bb.73:
	s_bitcmp1_b32 s37, 0
	s_cselect_b64 s[40:41], -1, 0
	s_and_b64 vcc, exec, s[40:41]
	s_cbranch_vccnz .LBB69_77
; %bb.74:
	s_load_dwordx2 s[40:41], s[34:35], 0x1c
	s_load_dword s39, s[34:35], 0x24
	s_load_dwordx2 s[42:43], s[34:35], 0xdc
	s_waitcnt lgkmcnt(0)
	v_mul_hi_u32 v3, s41, v1
	v_add_u32_e32 v3, v1, v3
	v_lshrrev_b32_e32 v3, s39, v3
	v_mul_lo_u32 v3, v3, s40
	s_load_dword s39, s[34:35], 0xe4
	v_sub_u32_e32 v3, v1, v3
	v_mad_u64_u32 v[0:1], s[34:35], v3, s42, v[0:1]
	v_mad_u64_u32 v[4:5], s[34:35], v3, s43, v[4:5]
	s_waitcnt lgkmcnt(0)
	v_mad_u64_u32 v[2:3], s[34:35], v3, s39, v[2:3]
	s_branch .LBB69_77
.LBB69_75:
                                        ; implicit-def: $vgpr0
                                        ; implicit-def: $vgpr4
                                        ; implicit-def: $vgpr2
	s_branch .LBB69_78
.LBB69_76:
	v_mov_b32_e32 v0, 0
	v_mov_b32_e32 v4, 0
	;; [unrolled: 1-line block ×3, first 2 shown]
.LBB69_77:
	s_cbranch_execnz .LBB69_80
.LBB69_78:
	v_mul_hi_u32 v0, s9, v31
	s_andn2_b64 vcc, exec, s[26:27]
	v_add_u32_e32 v0, v31, v0
	v_lshrrev_b32_e32 v1, s10, v0
	v_mul_lo_u32 v0, v1, s8
	v_sub_u32_e32 v2, v31, v0
	v_mul_lo_u32 v0, v2, s4
	v_mul_lo_u32 v4, v2, s5
	;; [unrolled: 1-line block ×3, first 2 shown]
	s_cbranch_vccnz .LBB69_80
; %bb.79:
	v_mul_hi_u32 v3, s24, v1
	v_add_u32_e32 v3, v1, v3
	v_lshrrev_b32_e32 v3, s25, v3
	v_mul_lo_u32 v3, v3, s11
	v_sub_u32_e32 v3, v1, v3
	v_mad_u64_u32 v[0:1], s[34:35], v3, s7, v[0:1]
	v_mad_u64_u32 v[4:5], s[34:35], v3, s22, v[4:5]
	;; [unrolled: 1-line block ×3, first 2 shown]
.LBB69_80:
	global_load_ushort v1, v4, s[2:3]
	global_load_ushort v3, v2, s[18:19]
	v_add_u32_e32 v31, 0x80, v31
	s_waitcnt vmcnt(0)
	v_cmp_ne_u16_e32 vcc, v1, v3
	s_xor_b64 s[34:35], s[20:21], vcc
	v_cndmask_b32_e64 v1, 0, 1, s[34:35]
	global_store_byte v0, v1, s[0:1]
	s_or_b64 exec, exec, s[30:31]
	v_cmp_gt_i32_e32 vcc, s38, v31
	s_and_saveexec_b64 s[30:31], vcc
	s_cbranch_execz .LBB69_8
.LBB69_81:
	s_andn2_b64 vcc, exec, s[14:15]
	s_cbranch_vccnz .LBB69_87
; %bb.82:
	s_andn2_b64 vcc, exec, s[28:29]
	s_cbranch_vccnz .LBB69_88
; %bb.83:
	s_add_i32 s34, s37, 1
	s_and_b32 s39, s34, 30
	s_add_u32 s34, s12, 0xffffffe8
	s_addc_u32 s35, s13, -1
	v_mov_b32_e32 v2, 0
	v_mov_b32_e32 v4, 0
	;; [unrolled: 1-line block ×4, first 2 shown]
.LBB69_84:                              ; =>This Inner Loop Header: Depth=1
	s_load_dwordx4 s[40:43], s[34:35], 0x1c
	s_load_dwordx2 s[48:49], s[34:35], 0x2c
	s_load_dwordx2 s[50:51], s[34:35], 0xec
	s_load_dwordx4 s[44:47], s[34:35], 0xdc
	s_add_u32 s34, s34, 24
	s_waitcnt lgkmcnt(0)
	v_mul_hi_u32 v3, s41, v1
	s_addc_u32 s35, s35, 0
	s_add_i32 s39, s39, -2
	s_cmp_eq_u32 s39, 0
	v_add_u32_e32 v3, v1, v3
	v_lshrrev_b32_e32 v3, s42, v3
	v_mul_lo_u32 v5, v3, s40
	v_mul_hi_u32 v6, s48, v3
	v_sub_u32_e32 v5, v1, v5
	v_add_u32_e32 v1, v3, v6
	v_lshrrev_b32_e32 v1, s49, v1
	v_mul_lo_u32 v8, v1, s43
	v_mul_lo_u32 v6, v5, s44
	v_mul_lo_u32 v7, v5, s45
	v_mul_lo_u32 v5, v5, s46
	v_sub_u32_e32 v3, v3, v8
	v_mul_lo_u32 v8, v3, s47
	v_mul_lo_u32 v9, v3, s50
	;; [unrolled: 1-line block ×3, first 2 shown]
	v_add3_u32 v0, v6, v0, v8
	v_add3_u32 v4, v7, v4, v9
	;; [unrolled: 1-line block ×3, first 2 shown]
	s_cbranch_scc0 .LBB69_84
; %bb.85:
	s_bitcmp1_b32 s37, 0
	s_cselect_b64 s[40:41], -1, 0
	s_and_b64 vcc, exec, s[40:41]
	s_cbranch_vccnz .LBB69_89
; %bb.86:
	s_load_dwordx2 s[40:41], s[34:35], 0x1c
	s_load_dword s39, s[34:35], 0x24
	s_load_dwordx2 s[42:43], s[34:35], 0xdc
	s_waitcnt lgkmcnt(0)
	v_mul_hi_u32 v3, s41, v1
	v_add_u32_e32 v3, v1, v3
	v_lshrrev_b32_e32 v3, s39, v3
	v_mul_lo_u32 v3, v3, s40
	s_load_dword s39, s[34:35], 0xe4
	v_sub_u32_e32 v3, v1, v3
	v_mad_u64_u32 v[0:1], s[34:35], v3, s42, v[0:1]
	v_mad_u64_u32 v[4:5], s[34:35], v3, s43, v[4:5]
	s_waitcnt lgkmcnt(0)
	v_mad_u64_u32 v[2:3], s[34:35], v3, s39, v[2:3]
	s_branch .LBB69_89
.LBB69_87:
                                        ; implicit-def: $vgpr0
                                        ; implicit-def: $vgpr4
                                        ; implicit-def: $vgpr2
	s_branch .LBB69_90
.LBB69_88:
	v_mov_b32_e32 v0, 0
	v_mov_b32_e32 v4, 0
	;; [unrolled: 1-line block ×3, first 2 shown]
.LBB69_89:
	s_cbranch_execnz .LBB69_92
.LBB69_90:
	v_mul_hi_u32 v0, s9, v31
	s_andn2_b64 vcc, exec, s[26:27]
	v_add_u32_e32 v0, v31, v0
	v_lshrrev_b32_e32 v1, s10, v0
	v_mul_lo_u32 v0, v1, s8
	v_sub_u32_e32 v2, v31, v0
	v_mul_lo_u32 v0, v2, s4
	v_mul_lo_u32 v4, v2, s5
	;; [unrolled: 1-line block ×3, first 2 shown]
	s_cbranch_vccnz .LBB69_92
; %bb.91:
	v_mul_hi_u32 v3, s24, v1
	v_add_u32_e32 v3, v1, v3
	v_lshrrev_b32_e32 v3, s25, v3
	v_mul_lo_u32 v3, v3, s11
	v_sub_u32_e32 v3, v1, v3
	v_mad_u64_u32 v[0:1], s[34:35], v3, s7, v[0:1]
	v_mad_u64_u32 v[4:5], s[34:35], v3, s22, v[4:5]
	;; [unrolled: 1-line block ×3, first 2 shown]
.LBB69_92:
	global_load_ushort v1, v4, s[2:3]
	global_load_ushort v3, v2, s[18:19]
	v_add_u32_e32 v31, 0x80, v31
	s_waitcnt vmcnt(0)
	v_cmp_ne_u16_e32 vcc, v1, v3
	s_xor_b64 s[34:35], s[20:21], vcc
	v_cndmask_b32_e64 v1, 0, 1, s[34:35]
	global_store_byte v0, v1, s[0:1]
	s_or_b64 exec, exec, s[30:31]
	v_cmp_gt_i32_e32 vcc, s38, v31
	s_and_saveexec_b64 s[30:31], vcc
	s_cbranch_execz .LBB69_105
.LBB69_93:
	s_andn2_b64 vcc, exec, s[14:15]
	s_cbranch_vccnz .LBB69_99
; %bb.94:
	s_andn2_b64 vcc, exec, s[28:29]
	s_cbranch_vccnz .LBB69_100
; %bb.95:
	s_add_i32 s28, s37, 1
	s_and_b32 s34, s28, 30
	s_add_u32 s28, s12, 0xffffffe8
	s_addc_u32 s29, s13, -1
	v_mov_b32_e32 v4, 0
	v_mov_b32_e32 v2, 0
	;; [unrolled: 1-line block ×4, first 2 shown]
.LBB69_96:                              ; =>This Inner Loop Header: Depth=1
	s_load_dwordx4 s[40:43], s[28:29], 0x1c
	s_load_dwordx2 s[38:39], s[28:29], 0x2c
	s_load_dwordx2 s[48:49], s[28:29], 0xec
	s_load_dwordx4 s[44:47], s[28:29], 0xdc
	s_add_u32 s28, s28, 24
	s_waitcnt lgkmcnt(0)
	v_mul_hi_u32 v3, s41, v1
	s_addc_u32 s29, s29, 0
	s_add_i32 s34, s34, -2
	s_cmp_eq_u32 s34, 0
	v_add_u32_e32 v3, v1, v3
	v_lshrrev_b32_e32 v3, s42, v3
	v_mul_lo_u32 v5, v3, s40
	v_mul_hi_u32 v6, s38, v3
	v_sub_u32_e32 v5, v1, v5
	v_add_u32_e32 v1, v3, v6
	v_lshrrev_b32_e32 v1, s39, v1
	v_mul_lo_u32 v8, v1, s43
	v_mul_lo_u32 v6, v5, s44
	;; [unrolled: 1-line block ×4, first 2 shown]
	v_sub_u32_e32 v3, v3, v8
	v_mul_lo_u32 v8, v3, s47
	v_mul_lo_u32 v9, v3, s48
	;; [unrolled: 1-line block ×3, first 2 shown]
	v_add3_u32 v0, v6, v0, v8
	v_add3_u32 v2, v7, v2, v9
	v_add3_u32 v4, v5, v4, v3
	s_cbranch_scc0 .LBB69_96
; %bb.97:
	s_bitcmp1_b32 s37, 0
	s_cselect_b64 s[34:35], -1, 0
	s_and_b64 vcc, exec, s[34:35]
	s_cbranch_vccnz .LBB69_101
; %bb.98:
	s_load_dwordx2 s[34:35], s[28:29], 0x1c
	s_load_dword s37, s[28:29], 0x24
	s_load_dwordx2 s[38:39], s[28:29], 0xdc
	s_waitcnt lgkmcnt(0)
	v_mul_hi_u32 v3, s35, v1
	v_add_u32_e32 v3, v1, v3
	v_lshrrev_b32_e32 v3, s37, v3
	v_mul_lo_u32 v3, v3, s34
	s_load_dword s34, s[28:29], 0xe4
	v_sub_u32_e32 v5, v1, v3
	v_mad_u64_u32 v[0:1], s[28:29], v5, s38, v[0:1]
	v_mad_u64_u32 v[2:3], s[28:29], v5, s39, v[2:3]
	s_waitcnt lgkmcnt(0)
	v_mad_u64_u32 v[4:5], s[28:29], v5, s34, v[4:5]
	s_branch .LBB69_101
.LBB69_99:
                                        ; implicit-def: $vgpr0
                                        ; implicit-def: $vgpr2
                                        ; implicit-def: $vgpr4
	s_branch .LBB69_102
.LBB69_100:
	v_mov_b32_e32 v0, 0
	v_mov_b32_e32 v2, 0
	;; [unrolled: 1-line block ×3, first 2 shown]
.LBB69_101:
	s_cbranch_execnz .LBB69_104
.LBB69_102:
	v_mul_hi_u32 v0, s9, v31
	s_andn2_b64 vcc, exec, s[26:27]
	v_add_u32_e32 v0, v31, v0
	v_lshrrev_b32_e32 v1, s10, v0
	v_mul_lo_u32 v0, v1, s8
	v_sub_u32_e32 v3, v31, v0
	v_mul_lo_u32 v0, v3, s4
	v_mul_lo_u32 v2, v3, s5
	;; [unrolled: 1-line block ×3, first 2 shown]
	s_cbranch_vccnz .LBB69_104
; %bb.103:
	v_mul_hi_u32 v3, s24, v1
	v_add_u32_e32 v3, v1, v3
	v_lshrrev_b32_e32 v3, s25, v3
	v_mul_lo_u32 v3, v3, s11
	v_sub_u32_e32 v5, v1, v3
	v_mad_u64_u32 v[0:1], s[4:5], v5, s7, v[0:1]
	v_mad_u64_u32 v[2:3], s[4:5], v5, s22, v[2:3]
	;; [unrolled: 1-line block ×3, first 2 shown]
.LBB69_104:
	global_load_ushort v1, v2, s[2:3]
	global_load_ushort v3, v4, s[18:19]
	s_waitcnt vmcnt(0)
	v_cmp_ne_u16_e32 vcc, v1, v3
	s_xor_b64 s[2:3], s[20:21], vcc
	v_cndmask_b32_e64 v1, 0, 1, s[2:3]
	global_store_byte v0, v1, s[0:1]
.LBB69_105:
	s_or_b64 exec, exec, s[30:31]
                                        ; implicit-def: $vgpr41
                                        ; implicit-def: $vgpr31
.LBB69_106:
	s_andn2_saveexec_b64 s[0:1], s[16:17]
	s_cbranch_execz .LBB69_113
; %bb.107:
	v_cndmask_b32_e64 v0, 0, 1, s[14:15]
	v_cmp_ne_u32_e64 s[0:1], 1, v0
	s_andn2_b64 vcc, exec, s[14:15]
	s_cbranch_vccnz .LBB69_114
; %bb.108:
	s_cmp_lg_u32 s33, 0
	s_cbranch_scc0 .LBB69_115
; %bb.109:
	s_min_u32 s4, s36, 15
	s_add_i32 s2, s4, 1
	s_and_b32 s5, s2, 30
	s_add_u32 s2, s12, 0xffffffe8
	s_addc_u32 s3, s13, -1
	v_mov_b32_e32 v2, 0
	v_mov_b32_e32 v4, 0
	;; [unrolled: 1-line block ×4, first 2 shown]
.LBB69_110:                             ; =>This Inner Loop Header: Depth=1
	s_load_dwordx4 s[8:11], s[2:3], 0x1c
	s_load_dwordx2 s[6:7], s[2:3], 0x2c
	s_load_dwordx2 s[14:15], s[2:3], 0xec
	s_load_dwordx4 s[16:19], s[2:3], 0xdc
	s_add_u32 s2, s2, 24
	s_waitcnt lgkmcnt(0)
	v_mul_hi_u32 v3, s9, v1
	s_addc_u32 s3, s3, 0
	s_add_i32 s5, s5, -2
	s_cmp_lg_u32 s5, 0
	v_add_u32_e32 v3, v1, v3
	v_lshrrev_b32_e32 v3, s10, v3
	v_mul_lo_u32 v5, v3, s8
	v_mul_hi_u32 v6, s6, v3
	v_sub_u32_e32 v5, v1, v5
	v_add_u32_e32 v1, v3, v6
	v_lshrrev_b32_e32 v1, s7, v1
	v_mul_lo_u32 v8, v1, s11
	v_mul_lo_u32 v6, v5, s16
	;; [unrolled: 1-line block ×4, first 2 shown]
	v_sub_u32_e32 v3, v3, v8
	v_mul_lo_u32 v8, v3, s19
	v_mul_lo_u32 v9, v3, s14
	;; [unrolled: 1-line block ×3, first 2 shown]
	v_add3_u32 v0, v6, v0, v8
	v_add3_u32 v4, v7, v4, v9
	;; [unrolled: 1-line block ×3, first 2 shown]
	s_cbranch_scc1 .LBB69_110
; %bb.111:
	s_bitcmp1_b32 s4, 0
	s_cselect_b64 s[4:5], -1, 0
	s_and_b64 vcc, exec, s[4:5]
	s_cbranch_vccnz .LBB69_116
; %bb.112:
	s_load_dwordx2 s[4:5], s[2:3], 0x1c
	s_load_dword s8, s[2:3], 0x24
	s_load_dwordx2 s[6:7], s[2:3], 0xdc
	s_waitcnt lgkmcnt(0)
	v_mul_hi_u32 v3, s5, v1
	v_add_u32_e32 v3, v1, v3
	v_lshrrev_b32_e32 v3, s8, v3
	v_mul_lo_u32 v3, v3, s4
	s_load_dword s4, s[2:3], 0xe4
	v_sub_u32_e32 v3, v1, v3
	v_mad_u64_u32 v[0:1], s[2:3], v3, s6, v[0:1]
	v_mad_u64_u32 v[4:5], s[2:3], v3, s7, v[4:5]
	s_waitcnt lgkmcnt(0)
	v_mad_u64_u32 v[2:3], s[2:3], v3, s4, v[2:3]
	s_cbranch_execz .LBB69_117
	s_branch .LBB69_119
.LBB69_113:
	s_endpgm
.LBB69_114:
                                        ; implicit-def: $vgpr0
                                        ; implicit-def: $vgpr4
                                        ; implicit-def: $vgpr2
	s_branch .LBB69_117
.LBB69_115:
	v_mov_b32_e32 v0, 0
	v_mov_b32_e32 v4, 0
	;; [unrolled: 1-line block ×3, first 2 shown]
.LBB69_116:
	s_cbranch_execnz .LBB69_119
.LBB69_117:
	s_load_dwordx4 s[4:7], s[12:13], 0x4
	s_load_dwordx4 s[8:11], s[12:13], 0xc4
	s_cmp_lt_u32 s33, 2
	s_waitcnt lgkmcnt(0)
	v_mul_hi_u32 v0, s5, v31
	v_add_u32_e32 v0, v31, v0
	v_lshrrev_b32_e32 v1, s6, v0
	v_mul_lo_u32 v0, v1, s4
	v_sub_u32_e32 v2, v31, v0
	v_mul_lo_u32 v0, v2, s8
	v_mul_lo_u32 v4, v2, s9
	;; [unrolled: 1-line block ×3, first 2 shown]
	s_cbranch_scc1 .LBB69_119
; %bb.118:
	s_load_dwordx4 s[4:7], s[12:13], 0x10
	s_load_dwordx4 s[8:11], s[12:13], 0xd0
	s_waitcnt lgkmcnt(0)
	v_mul_hi_u32 v3, s5, v1
	v_add_u32_e32 v3, v1, v3
	v_lshrrev_b32_e32 v3, s6, v3
	v_mul_lo_u32 v3, v3, s4
	v_sub_u32_e32 v3, v1, v3
	v_mad_u64_u32 v[0:1], s[2:3], v3, s8, v[0:1]
	v_mad_u64_u32 v[4:5], s[2:3], v3, s9, v[4:5]
	;; [unrolled: 1-line block ×3, first 2 shown]
.LBB69_119:
	s_and_b64 vcc, exec, s[0:1]
	v_add_u32_e32 v1, 0x80, v31
	s_cbranch_vccnz .LBB69_125
; %bb.120:
	s_cmp_lg_u32 s33, 0
	s_cbranch_scc0 .LBB69_126
; %bb.121:
	s_min_u32 s4, s36, 15
	s_add_i32 s2, s4, 1
	s_and_b32 s5, s2, 30
	s_add_u32 s2, s12, 0xffffffe8
	s_addc_u32 s3, s13, -1
	v_mov_b32_e32 v7, 0
	v_mov_b32_e32 v9, 0
	;; [unrolled: 1-line block ×4, first 2 shown]
.LBB69_122:                             ; =>This Inner Loop Header: Depth=1
	s_load_dwordx4 s[8:11], s[2:3], 0x1c
	s_load_dwordx2 s[6:7], s[2:3], 0x2c
	s_load_dwordx2 s[14:15], s[2:3], 0xec
	s_load_dwordx4 s[16:19], s[2:3], 0xdc
	s_add_u32 s2, s2, 24
	s_waitcnt lgkmcnt(0)
	v_mul_hi_u32 v6, s9, v3
	s_addc_u32 s3, s3, 0
	s_add_i32 s5, s5, -2
	s_cmp_lg_u32 s5, 0
	v_add_u32_e32 v6, v3, v6
	v_lshrrev_b32_e32 v6, s10, v6
	v_mul_lo_u32 v8, v6, s8
	v_mul_hi_u32 v10, s6, v6
	v_sub_u32_e32 v8, v3, v8
	v_add_u32_e32 v3, v6, v10
	v_lshrrev_b32_e32 v3, s7, v3
	v_mul_lo_u32 v12, v3, s11
	v_mul_lo_u32 v10, v8, s16
	;; [unrolled: 1-line block ×4, first 2 shown]
	v_sub_u32_e32 v6, v6, v12
	v_mul_lo_u32 v12, v6, s19
	v_mul_lo_u32 v13, v6, s14
	;; [unrolled: 1-line block ×3, first 2 shown]
	v_add3_u32 v5, v10, v5, v12
	v_add3_u32 v9, v11, v9, v13
	;; [unrolled: 1-line block ×3, first 2 shown]
	s_cbranch_scc1 .LBB69_122
; %bb.123:
	s_bitcmp1_b32 s4, 0
	s_cselect_b64 s[4:5], -1, 0
	s_and_b64 vcc, exec, s[4:5]
	s_cbranch_vccnz .LBB69_127
; %bb.124:
	s_load_dwordx2 s[4:5], s[2:3], 0x1c
	s_load_dword s8, s[2:3], 0x24
	s_load_dwordx2 s[6:7], s[2:3], 0xdc
	s_waitcnt lgkmcnt(0)
	v_mul_hi_u32 v6, s5, v3
	v_add_u32_e32 v6, v3, v6
	v_lshrrev_b32_e32 v6, s8, v6
	v_mul_lo_u32 v6, v6, s4
	s_load_dword s4, s[2:3], 0xe4
	v_sub_u32_e32 v3, v3, v6
	v_mad_u64_u32 v[5:6], s[2:3], v3, s6, v[5:6]
	v_mad_u64_u32 v[9:10], s[2:3], v3, s7, v[9:10]
	s_waitcnt lgkmcnt(0)
	v_mad_u64_u32 v[7:8], s[2:3], v3, s4, v[7:8]
	s_cbranch_execz .LBB69_128
	s_branch .LBB69_130
.LBB69_125:
                                        ; implicit-def: $vgpr5
                                        ; implicit-def: $vgpr9
                                        ; implicit-def: $vgpr7
	s_branch .LBB69_128
.LBB69_126:
	v_mov_b32_e32 v5, 0
	v_mov_b32_e32 v9, 0
	;; [unrolled: 1-line block ×3, first 2 shown]
.LBB69_127:
	s_cbranch_execnz .LBB69_130
.LBB69_128:
	s_load_dwordx4 s[4:7], s[12:13], 0x4
	s_load_dwordx4 s[8:11], s[12:13], 0xc4
	s_cmp_lt_u32 s33, 2
	s_waitcnt lgkmcnt(0)
	v_mul_hi_u32 v3, s5, v1
	v_add_u32_e32 v3, v1, v3
	v_lshrrev_b32_e32 v3, s6, v3
	v_mul_lo_u32 v5, v3, s4
	v_sub_u32_e32 v1, v1, v5
	v_mul_lo_u32 v5, v1, s8
	v_mul_lo_u32 v9, v1, s9
	;; [unrolled: 1-line block ×3, first 2 shown]
	s_cbranch_scc1 .LBB69_130
; %bb.129:
	s_load_dwordx4 s[4:7], s[12:13], 0x10
	s_load_dwordx4 s[8:11], s[12:13], 0xd0
	s_waitcnt lgkmcnt(0)
	v_mul_hi_u32 v1, s5, v3
	v_add_u32_e32 v1, v3, v1
	v_lshrrev_b32_e32 v1, s6, v1
	v_mul_lo_u32 v1, v1, s4
	v_sub_u32_e32 v1, v3, v1
	v_mad_u64_u32 v[5:6], s[2:3], v1, s8, v[5:6]
	v_mad_u64_u32 v[9:10], s[2:3], v1, s9, v[9:10]
	v_mad_u64_u32 v[7:8], s[2:3], v1, s10, v[7:8]
.LBB69_130:
	s_and_b64 vcc, exec, s[0:1]
	v_add_u32_e32 v1, 0x100, v31
	s_cbranch_vccnz .LBB69_136
; %bb.131:
	s_cmp_lg_u32 s33, 0
	s_cbranch_scc0 .LBB69_137
; %bb.132:
	s_min_u32 s4, s36, 15
	s_add_i32 s2, s4, 1
	s_and_b32 s5, s2, 30
	s_add_u32 s2, s12, 0xffffffe8
	s_addc_u32 s3, s13, -1
	v_mov_b32_e32 v12, 0
	v_mov_b32_e32 v14, 0
	;; [unrolled: 1-line block ×4, first 2 shown]
.LBB69_133:                             ; =>This Inner Loop Header: Depth=1
	s_load_dwordx4 s[8:11], s[2:3], 0x1c
	s_load_dwordx2 s[6:7], s[2:3], 0x2c
	s_load_dwordx2 s[14:15], s[2:3], 0xec
	s_load_dwordx4 s[16:19], s[2:3], 0xdc
	s_add_u32 s2, s2, 24
	s_waitcnt lgkmcnt(0)
	v_mul_hi_u32 v6, s9, v3
	s_addc_u32 s3, s3, 0
	s_add_i32 s5, s5, -2
	s_cmp_lg_u32 s5, 0
	v_add_u32_e32 v6, v3, v6
	v_lshrrev_b32_e32 v6, s10, v6
	v_mul_lo_u32 v8, v6, s8
	v_mul_hi_u32 v11, s6, v6
	v_sub_u32_e32 v8, v3, v8
	v_add_u32_e32 v3, v6, v11
	v_lshrrev_b32_e32 v3, s7, v3
	v_mul_lo_u32 v15, v3, s11
	v_mul_lo_u32 v11, v8, s16
	;; [unrolled: 1-line block ×4, first 2 shown]
	v_sub_u32_e32 v6, v6, v15
	v_mul_lo_u32 v15, v6, s19
	v_mul_lo_u32 v16, v6, s14
	;; [unrolled: 1-line block ×3, first 2 shown]
	v_add3_u32 v10, v11, v10, v15
	v_add3_u32 v14, v13, v14, v16
	;; [unrolled: 1-line block ×3, first 2 shown]
	s_cbranch_scc1 .LBB69_133
; %bb.134:
	s_bitcmp1_b32 s4, 0
	s_cselect_b64 s[4:5], -1, 0
	s_and_b64 vcc, exec, s[4:5]
	s_cbranch_vccnz .LBB69_138
; %bb.135:
	s_load_dwordx2 s[4:5], s[2:3], 0x1c
	s_load_dword s8, s[2:3], 0x24
	s_load_dwordx2 s[6:7], s[2:3], 0xdc
	s_waitcnt lgkmcnt(0)
	v_mul_hi_u32 v6, s5, v3
	v_add_u32_e32 v6, v3, v6
	v_lshrrev_b32_e32 v6, s8, v6
	v_mul_lo_u32 v6, v6, s4
	s_load_dword s4, s[2:3], 0xe4
	v_sub_u32_e32 v3, v3, v6
	v_mad_u64_u32 v[10:11], s[2:3], v3, s6, v[10:11]
	v_mad_u64_u32 v[14:15], s[2:3], v3, s7, v[14:15]
	s_waitcnt lgkmcnt(0)
	v_mad_u64_u32 v[12:13], s[2:3], v3, s4, v[12:13]
	s_cbranch_execz .LBB69_139
	s_branch .LBB69_141
.LBB69_136:
                                        ; implicit-def: $vgpr10
                                        ; implicit-def: $vgpr14
                                        ; implicit-def: $vgpr12
	s_branch .LBB69_139
.LBB69_137:
	v_mov_b32_e32 v10, 0
	v_mov_b32_e32 v14, 0
	;; [unrolled: 1-line block ×3, first 2 shown]
.LBB69_138:
	s_cbranch_execnz .LBB69_141
.LBB69_139:
	s_load_dwordx4 s[4:7], s[12:13], 0x4
	s_load_dwordx4 s[8:11], s[12:13], 0xc4
	s_cmp_lt_u32 s33, 2
	s_waitcnt lgkmcnt(0)
	v_mul_hi_u32 v3, s5, v1
	v_add_u32_e32 v3, v1, v3
	v_lshrrev_b32_e32 v3, s6, v3
	v_mul_lo_u32 v6, v3, s4
	v_sub_u32_e32 v1, v1, v6
	v_mul_lo_u32 v10, v1, s8
	v_mul_lo_u32 v14, v1, s9
	;; [unrolled: 1-line block ×3, first 2 shown]
	s_cbranch_scc1 .LBB69_141
; %bb.140:
	s_load_dwordx4 s[4:7], s[12:13], 0x10
	s_load_dwordx4 s[8:11], s[12:13], 0xd0
	s_waitcnt lgkmcnt(0)
	v_mul_hi_u32 v1, s5, v3
	v_add_u32_e32 v1, v3, v1
	v_lshrrev_b32_e32 v1, s6, v1
	v_mul_lo_u32 v1, v1, s4
	v_sub_u32_e32 v1, v3, v1
	v_mad_u64_u32 v[10:11], s[2:3], v1, s8, v[10:11]
	v_mad_u64_u32 v[14:15], s[2:3], v1, s9, v[14:15]
	;; [unrolled: 1-line block ×3, first 2 shown]
.LBB69_141:
	s_and_b64 vcc, exec, s[0:1]
	v_add_u32_e32 v1, 0x180, v31
	s_cbranch_vccnz .LBB69_147
; %bb.142:
	s_cmp_lg_u32 s33, 0
	s_cbranch_scc0 .LBB69_148
; %bb.143:
	s_min_u32 s4, s36, 15
	s_add_i32 s2, s4, 1
	s_and_b32 s5, s2, 30
	s_add_u32 s2, s12, 0xffffffe8
	s_addc_u32 s3, s13, -1
	v_mov_b32_e32 v17, 0
	v_mov_b32_e32 v19, 0
	;; [unrolled: 1-line block ×4, first 2 shown]
.LBB69_144:                             ; =>This Inner Loop Header: Depth=1
	s_load_dwordx4 s[8:11], s[2:3], 0x1c
	s_load_dwordx2 s[6:7], s[2:3], 0x2c
	s_load_dwordx2 s[14:15], s[2:3], 0xec
	s_load_dwordx4 s[16:19], s[2:3], 0xdc
	s_add_u32 s2, s2, 24
	s_waitcnt lgkmcnt(0)
	v_mul_hi_u32 v6, s9, v3
	s_addc_u32 s3, s3, 0
	s_add_i32 s5, s5, -2
	s_cmp_lg_u32 s5, 0
	v_add_u32_e32 v6, v3, v6
	v_lshrrev_b32_e32 v6, s10, v6
	v_mul_lo_u32 v8, v6, s8
	v_mul_hi_u32 v11, s6, v6
	v_sub_u32_e32 v8, v3, v8
	v_add_u32_e32 v3, v6, v11
	v_lshrrev_b32_e32 v3, s7, v3
	v_mul_lo_u32 v16, v3, s11
	v_mul_lo_u32 v11, v8, s16
	v_mul_lo_u32 v13, v8, s17
	v_mul_lo_u32 v8, v8, s18
	v_sub_u32_e32 v6, v6, v16
	v_mul_lo_u32 v16, v6, s19
	v_mul_lo_u32 v18, v6, s14
	;; [unrolled: 1-line block ×3, first 2 shown]
	v_add3_u32 v15, v11, v15, v16
	v_add3_u32 v19, v13, v19, v18
	;; [unrolled: 1-line block ×3, first 2 shown]
	s_cbranch_scc1 .LBB69_144
; %bb.145:
	s_bitcmp1_b32 s4, 0
	s_cselect_b64 s[4:5], -1, 0
	s_and_b64 vcc, exec, s[4:5]
	s_cbranch_vccnz .LBB69_149
; %bb.146:
	s_load_dwordx2 s[4:5], s[2:3], 0x1c
	s_load_dword s8, s[2:3], 0x24
	s_load_dwordx2 s[6:7], s[2:3], 0xdc
	s_waitcnt lgkmcnt(0)
	v_mul_hi_u32 v6, s5, v3
	v_add_u32_e32 v6, v3, v6
	v_lshrrev_b32_e32 v6, s8, v6
	v_mul_lo_u32 v6, v6, s4
	s_load_dword s4, s[2:3], 0xe4
	v_sub_u32_e32 v3, v3, v6
	v_mad_u64_u32 v[15:16], s[2:3], v3, s6, v[15:16]
	v_mad_u64_u32 v[19:20], s[2:3], v3, s7, v[19:20]
	s_waitcnt lgkmcnt(0)
	v_mad_u64_u32 v[17:18], s[2:3], v3, s4, v[17:18]
	s_cbranch_execz .LBB69_150
	s_branch .LBB69_152
.LBB69_147:
                                        ; implicit-def: $vgpr15
                                        ; implicit-def: $vgpr19
                                        ; implicit-def: $vgpr17
	s_branch .LBB69_150
.LBB69_148:
	v_mov_b32_e32 v15, 0
	v_mov_b32_e32 v19, 0
	;; [unrolled: 1-line block ×3, first 2 shown]
.LBB69_149:
	s_cbranch_execnz .LBB69_152
.LBB69_150:
	s_load_dwordx4 s[4:7], s[12:13], 0x4
	s_load_dwordx4 s[8:11], s[12:13], 0xc4
	s_cmp_lt_u32 s33, 2
	s_waitcnt lgkmcnt(0)
	v_mul_hi_u32 v3, s5, v1
	v_add_u32_e32 v3, v1, v3
	v_lshrrev_b32_e32 v3, s6, v3
	v_mul_lo_u32 v6, v3, s4
	v_sub_u32_e32 v1, v1, v6
	v_mul_lo_u32 v15, v1, s8
	v_mul_lo_u32 v19, v1, s9
	;; [unrolled: 1-line block ×3, first 2 shown]
	s_cbranch_scc1 .LBB69_152
; %bb.151:
	s_load_dwordx4 s[4:7], s[12:13], 0x10
	s_load_dwordx4 s[8:11], s[12:13], 0xd0
	s_waitcnt lgkmcnt(0)
	v_mul_hi_u32 v1, s5, v3
	v_add_u32_e32 v1, v3, v1
	v_lshrrev_b32_e32 v1, s6, v1
	v_mul_lo_u32 v1, v1, s4
	v_sub_u32_e32 v1, v3, v1
	v_mad_u64_u32 v[15:16], s[2:3], v1, s8, v[15:16]
	v_mad_u64_u32 v[19:20], s[2:3], v1, s9, v[19:20]
	;; [unrolled: 1-line block ×3, first 2 shown]
.LBB69_152:
	s_and_b64 vcc, exec, s[0:1]
	v_add_u32_e32 v1, 0x200, v31
	s_cbranch_vccnz .LBB69_158
; %bb.153:
	s_cmp_lg_u32 s33, 0
	s_cbranch_scc0 .LBB69_159
; %bb.154:
	s_min_u32 s4, s36, 15
	s_add_i32 s2, s4, 1
	s_and_b32 s5, s2, 30
	s_add_u32 s2, s12, 0xffffffe8
	s_addc_u32 s3, s13, -1
	v_mov_b32_e32 v22, 0
	v_mov_b32_e32 v24, 0
	;; [unrolled: 1-line block ×4, first 2 shown]
.LBB69_155:                             ; =>This Inner Loop Header: Depth=1
	s_load_dwordx4 s[8:11], s[2:3], 0x1c
	s_load_dwordx2 s[6:7], s[2:3], 0x2c
	s_load_dwordx2 s[14:15], s[2:3], 0xec
	s_load_dwordx4 s[16:19], s[2:3], 0xdc
	s_add_u32 s2, s2, 24
	s_waitcnt lgkmcnt(0)
	v_mul_hi_u32 v6, s9, v3
	s_addc_u32 s3, s3, 0
	s_add_i32 s5, s5, -2
	s_cmp_lg_u32 s5, 0
	v_add_u32_e32 v6, v3, v6
	v_lshrrev_b32_e32 v6, s10, v6
	v_mul_lo_u32 v8, v6, s8
	v_mul_hi_u32 v11, s6, v6
	v_sub_u32_e32 v8, v3, v8
	v_add_u32_e32 v3, v6, v11
	v_lshrrev_b32_e32 v3, s7, v3
	v_mul_lo_u32 v16, v3, s11
	v_mul_lo_u32 v11, v8, s16
	;; [unrolled: 1-line block ×4, first 2 shown]
	v_sub_u32_e32 v6, v6, v16
	v_mul_lo_u32 v16, v6, s19
	v_mul_lo_u32 v18, v6, s14
	;; [unrolled: 1-line block ×3, first 2 shown]
	v_add3_u32 v20, v11, v20, v16
	v_add3_u32 v24, v13, v24, v18
	;; [unrolled: 1-line block ×3, first 2 shown]
	s_cbranch_scc1 .LBB69_155
; %bb.156:
	s_bitcmp1_b32 s4, 0
	s_cselect_b64 s[4:5], -1, 0
	s_and_b64 vcc, exec, s[4:5]
	s_cbranch_vccnz .LBB69_160
; %bb.157:
	s_load_dwordx2 s[4:5], s[2:3], 0x1c
	s_load_dword s8, s[2:3], 0x24
	s_load_dwordx2 s[6:7], s[2:3], 0xdc
	s_waitcnt lgkmcnt(0)
	v_mul_hi_u32 v6, s5, v3
	v_add_u32_e32 v6, v3, v6
	v_lshrrev_b32_e32 v6, s8, v6
	v_mul_lo_u32 v6, v6, s4
	s_load_dword s4, s[2:3], 0xe4
	v_sub_u32_e32 v3, v3, v6
	v_mad_u64_u32 v[20:21], s[2:3], v3, s6, v[20:21]
	v_mad_u64_u32 v[24:25], s[2:3], v3, s7, v[24:25]
	s_waitcnt lgkmcnt(0)
	v_mad_u64_u32 v[22:23], s[2:3], v3, s4, v[22:23]
	s_cbranch_execz .LBB69_161
	s_branch .LBB69_163
.LBB69_158:
                                        ; implicit-def: $vgpr20
                                        ; implicit-def: $vgpr24
                                        ; implicit-def: $vgpr22
	s_branch .LBB69_161
.LBB69_159:
	v_mov_b32_e32 v20, 0
	v_mov_b32_e32 v24, 0
	;; [unrolled: 1-line block ×3, first 2 shown]
.LBB69_160:
	s_cbranch_execnz .LBB69_163
.LBB69_161:
	s_load_dwordx4 s[4:7], s[12:13], 0x4
	s_load_dwordx4 s[8:11], s[12:13], 0xc4
	s_cmp_lt_u32 s33, 2
	s_waitcnt lgkmcnt(0)
	v_mul_hi_u32 v3, s5, v1
	v_add_u32_e32 v3, v1, v3
	v_lshrrev_b32_e32 v3, s6, v3
	v_mul_lo_u32 v6, v3, s4
	v_sub_u32_e32 v1, v1, v6
	v_mul_lo_u32 v20, v1, s8
	v_mul_lo_u32 v24, v1, s9
	;; [unrolled: 1-line block ×3, first 2 shown]
	s_cbranch_scc1 .LBB69_163
; %bb.162:
	s_load_dwordx4 s[4:7], s[12:13], 0x10
	s_load_dwordx4 s[8:11], s[12:13], 0xd0
	s_waitcnt lgkmcnt(0)
	v_mul_hi_u32 v1, s5, v3
	v_add_u32_e32 v1, v3, v1
	v_lshrrev_b32_e32 v1, s6, v1
	v_mul_lo_u32 v1, v1, s4
	v_sub_u32_e32 v1, v3, v1
	v_mad_u64_u32 v[20:21], s[2:3], v1, s8, v[20:21]
	v_mad_u64_u32 v[24:25], s[2:3], v1, s9, v[24:25]
	;; [unrolled: 1-line block ×3, first 2 shown]
.LBB69_163:
	s_and_b64 vcc, exec, s[0:1]
	v_add_u32_e32 v1, 0x280, v31
	s_cbranch_vccnz .LBB69_169
; %bb.164:
	s_cmp_lg_u32 s33, 0
	s_cbranch_scc0 .LBB69_170
; %bb.165:
	s_min_u32 s4, s36, 15
	s_add_i32 s2, s4, 1
	s_and_b32 s5, s2, 30
	s_add_u32 s2, s12, 0xffffffe8
	s_addc_u32 s3, s13, -1
	v_mov_b32_e32 v27, 0
	v_mov_b32_e32 v29, 0
	v_mov_b32_e32 v25, 0
	v_mov_b32_e32 v3, v1
.LBB69_166:                             ; =>This Inner Loop Header: Depth=1
	s_load_dwordx4 s[8:11], s[2:3], 0x1c
	s_load_dwordx2 s[6:7], s[2:3], 0x2c
	s_load_dwordx2 s[14:15], s[2:3], 0xec
	s_load_dwordx4 s[16:19], s[2:3], 0xdc
	s_add_u32 s2, s2, 24
	s_waitcnt lgkmcnt(0)
	v_mul_hi_u32 v6, s9, v3
	s_addc_u32 s3, s3, 0
	s_add_i32 s5, s5, -2
	s_cmp_lg_u32 s5, 0
	v_add_u32_e32 v6, v3, v6
	v_lshrrev_b32_e32 v6, s10, v6
	v_mul_lo_u32 v8, v6, s8
	v_mul_hi_u32 v11, s6, v6
	v_sub_u32_e32 v8, v3, v8
	v_add_u32_e32 v3, v6, v11
	v_lshrrev_b32_e32 v3, s7, v3
	v_mul_lo_u32 v16, v3, s11
	v_mul_lo_u32 v11, v8, s16
	;; [unrolled: 1-line block ×4, first 2 shown]
	v_sub_u32_e32 v6, v6, v16
	v_mul_lo_u32 v16, v6, s19
	v_mul_lo_u32 v18, v6, s14
	;; [unrolled: 1-line block ×3, first 2 shown]
	v_add3_u32 v25, v11, v25, v16
	v_add3_u32 v29, v13, v29, v18
	;; [unrolled: 1-line block ×3, first 2 shown]
	s_cbranch_scc1 .LBB69_166
; %bb.167:
	s_bitcmp1_b32 s4, 0
	s_cselect_b64 s[4:5], -1, 0
	s_and_b64 vcc, exec, s[4:5]
	s_cbranch_vccnz .LBB69_171
; %bb.168:
	s_load_dwordx2 s[4:5], s[2:3], 0x1c
	s_load_dword s8, s[2:3], 0x24
	s_load_dwordx2 s[6:7], s[2:3], 0xdc
	s_waitcnt lgkmcnt(0)
	v_mul_hi_u32 v6, s5, v3
	v_add_u32_e32 v6, v3, v6
	v_lshrrev_b32_e32 v6, s8, v6
	v_mul_lo_u32 v6, v6, s4
	s_load_dword s4, s[2:3], 0xe4
	v_sub_u32_e32 v3, v3, v6
	v_mad_u64_u32 v[25:26], s[2:3], v3, s6, v[25:26]
	v_mad_u64_u32 v[29:30], s[2:3], v3, s7, v[29:30]
	s_waitcnt lgkmcnt(0)
	v_mad_u64_u32 v[27:28], s[2:3], v3, s4, v[27:28]
	s_cbranch_execz .LBB69_172
	s_branch .LBB69_174
.LBB69_169:
                                        ; implicit-def: $vgpr25
                                        ; implicit-def: $vgpr29
                                        ; implicit-def: $vgpr27
	s_branch .LBB69_172
.LBB69_170:
	v_mov_b32_e32 v25, 0
	v_mov_b32_e32 v29, 0
	;; [unrolled: 1-line block ×3, first 2 shown]
.LBB69_171:
	s_cbranch_execnz .LBB69_174
.LBB69_172:
	s_load_dwordx4 s[4:7], s[12:13], 0x4
	s_load_dwordx4 s[8:11], s[12:13], 0xc4
	s_cmp_lt_u32 s33, 2
	s_waitcnt lgkmcnt(0)
	v_mul_hi_u32 v3, s5, v1
	v_add_u32_e32 v3, v1, v3
	v_lshrrev_b32_e32 v3, s6, v3
	v_mul_lo_u32 v6, v3, s4
	v_sub_u32_e32 v1, v1, v6
	v_mul_lo_u32 v25, v1, s8
	v_mul_lo_u32 v29, v1, s9
	v_mul_lo_u32 v27, v1, s10
	s_cbranch_scc1 .LBB69_174
; %bb.173:
	s_load_dwordx4 s[4:7], s[12:13], 0x10
	s_load_dwordx4 s[8:11], s[12:13], 0xd0
	s_waitcnt lgkmcnt(0)
	v_mul_hi_u32 v1, s5, v3
	v_add_u32_e32 v1, v3, v1
	v_lshrrev_b32_e32 v1, s6, v1
	v_mul_lo_u32 v1, v1, s4
	v_sub_u32_e32 v1, v3, v1
	v_mad_u64_u32 v[25:26], s[2:3], v1, s8, v[25:26]
	v_mad_u64_u32 v[29:30], s[2:3], v1, s9, v[29:30]
	v_mad_u64_u32 v[27:28], s[2:3], v1, s10, v[27:28]
.LBB69_174:
	s_and_b64 vcc, exec, s[0:1]
	v_add_u32_e32 v1, 0x300, v31
	s_cbranch_vccnz .LBB69_180
; %bb.175:
	s_cmp_lg_u32 s33, 0
	s_cbranch_scc0 .LBB69_181
; %bb.176:
	s_min_u32 s4, s36, 15
	s_add_i32 s2, s4, 1
	s_and_b32 s5, s2, 30
	s_add_u32 s2, s12, 0xffffffe8
	s_addc_u32 s3, s13, -1
	v_mov_b32_e32 v34, 0
	v_mov_b32_e32 v32, 0
	;; [unrolled: 1-line block ×4, first 2 shown]
.LBB69_177:                             ; =>This Inner Loop Header: Depth=1
	s_load_dwordx4 s[8:11], s[2:3], 0x1c
	s_load_dwordx2 s[6:7], s[2:3], 0x2c
	s_load_dwordx2 s[14:15], s[2:3], 0xec
	s_load_dwordx4 s[16:19], s[2:3], 0xdc
	s_add_u32 s2, s2, 24
	s_waitcnt lgkmcnt(0)
	v_mul_hi_u32 v6, s9, v3
	s_addc_u32 s3, s3, 0
	s_add_i32 s5, s5, -2
	s_cmp_lg_u32 s5, 0
	v_add_u32_e32 v6, v3, v6
	v_lshrrev_b32_e32 v6, s10, v6
	v_mul_lo_u32 v8, v6, s8
	v_mul_hi_u32 v11, s6, v6
	v_sub_u32_e32 v8, v3, v8
	v_add_u32_e32 v3, v6, v11
	v_lshrrev_b32_e32 v3, s7, v3
	v_mul_lo_u32 v16, v3, s11
	v_mul_lo_u32 v11, v8, s16
	v_mul_lo_u32 v13, v8, s17
	v_mul_lo_u32 v8, v8, s18
	v_sub_u32_e32 v6, v6, v16
	v_mul_lo_u32 v16, v6, s19
	v_mul_lo_u32 v18, v6, s14
	;; [unrolled: 1-line block ×3, first 2 shown]
	v_add3_u32 v30, v11, v30, v16
	v_add3_u32 v32, v13, v32, v18
	;; [unrolled: 1-line block ×3, first 2 shown]
	s_cbranch_scc1 .LBB69_177
; %bb.178:
	s_bitcmp1_b32 s4, 0
	s_cselect_b64 s[4:5], -1, 0
	s_and_b64 vcc, exec, s[4:5]
	s_cbranch_vccnz .LBB69_182
; %bb.179:
	s_load_dwordx2 s[4:5], s[2:3], 0x1c
	s_load_dword s8, s[2:3], 0x24
	s_load_dwordx2 s[6:7], s[2:3], 0xdc
	s_waitcnt lgkmcnt(0)
	v_mul_hi_u32 v6, s5, v3
	v_add_u32_e32 v6, v3, v6
	v_lshrrev_b32_e32 v6, s8, v6
	v_mul_lo_u32 v6, v6, s4
	s_load_dword s4, s[2:3], 0xe4
	v_sub_u32_e32 v3, v3, v6
	v_mad_u64_u32 v[30:31], s[2:3], v3, s6, v[30:31]
	v_mad_u64_u32 v[32:33], s[2:3], v3, s7, v[32:33]
	s_waitcnt lgkmcnt(0)
	v_mad_u64_u32 v[34:35], s[2:3], v3, s4, v[34:35]
	s_cbranch_execz .LBB69_183
	s_branch .LBB69_185
.LBB69_180:
                                        ; implicit-def: $vgpr30
                                        ; implicit-def: $vgpr32
                                        ; implicit-def: $vgpr34
	s_branch .LBB69_183
.LBB69_181:
	v_mov_b32_e32 v30, 0
	v_mov_b32_e32 v32, 0
	;; [unrolled: 1-line block ×3, first 2 shown]
.LBB69_182:
	s_cbranch_execnz .LBB69_185
.LBB69_183:
	s_load_dwordx4 s[4:7], s[12:13], 0x4
	s_load_dwordx4 s[8:11], s[12:13], 0xc4
	s_cmp_lt_u32 s33, 2
	s_waitcnt lgkmcnt(0)
	v_mul_hi_u32 v3, s5, v1
	v_add_u32_e32 v3, v1, v3
	v_lshrrev_b32_e32 v3, s6, v3
	v_mul_lo_u32 v6, v3, s4
	v_sub_u32_e32 v1, v1, v6
	v_mul_lo_u32 v30, v1, s8
	v_mul_lo_u32 v32, v1, s9
	;; [unrolled: 1-line block ×3, first 2 shown]
	s_cbranch_scc1 .LBB69_185
; %bb.184:
	s_load_dwordx4 s[4:7], s[12:13], 0x10
	s_load_dwordx4 s[8:11], s[12:13], 0xd0
	s_waitcnt lgkmcnt(0)
	v_mul_hi_u32 v1, s5, v3
	v_add_u32_e32 v1, v3, v1
	v_lshrrev_b32_e32 v1, s6, v1
	v_mul_lo_u32 v1, v1, s4
	v_sub_u32_e32 v1, v3, v1
	v_mad_u64_u32 v[30:31], s[2:3], v1, s8, v[30:31]
	v_mad_u64_u32 v[32:33], s[2:3], v1, s9, v[32:33]
	;; [unrolled: 1-line block ×3, first 2 shown]
.LBB69_185:
	s_and_b64 vcc, exec, s[0:1]
	s_cbranch_vccnz .LBB69_191
; %bb.186:
	s_cmp_lg_u32 s33, 0
	s_cbranch_scc0 .LBB69_192
; %bb.187:
	s_min_u32 s2, s36, 15
	s_add_i32 s0, s2, 1
	s_and_b32 s3, s0, 30
	s_add_u32 s0, s12, 0xffffffe8
	s_addc_u32 s1, s13, -1
	v_mov_b32_e32 v39, 0
	v_mov_b32_e32 v37, 0
	;; [unrolled: 1-line block ×4, first 2 shown]
.LBB69_188:                             ; =>This Inner Loop Header: Depth=1
	s_load_dwordx4 s[4:7], s[0:1], 0x1c
	s_load_dwordx2 s[14:15], s[0:1], 0x2c
	s_load_dwordx2 s[16:17], s[0:1], 0xec
	s_load_dwordx4 s[8:11], s[0:1], 0xdc
	s_add_u32 s0, s0, 24
	s_waitcnt lgkmcnt(0)
	v_mul_hi_u32 v3, s5, v1
	s_addc_u32 s1, s1, 0
	s_add_i32 s3, s3, -2
	s_cmp_lg_u32 s3, 0
	v_add_u32_e32 v3, v1, v3
	v_lshrrev_b32_e32 v3, s6, v3
	v_mul_lo_u32 v6, v3, s4
	v_mul_hi_u32 v8, s14, v3
	v_sub_u32_e32 v6, v1, v6
	v_add_u32_e32 v1, v3, v8
	v_lshrrev_b32_e32 v1, s15, v1
	v_mul_lo_u32 v13, v1, s7
	v_mul_lo_u32 v8, v6, s8
	;; [unrolled: 1-line block ×4, first 2 shown]
	v_sub_u32_e32 v3, v3, v13
	v_mul_lo_u32 v13, v3, s11
	v_mul_lo_u32 v16, v3, s16
	v_mul_lo_u32 v3, v3, s17
	v_add3_u32 v35, v8, v35, v13
	v_add3_u32 v37, v11, v37, v16
	;; [unrolled: 1-line block ×3, first 2 shown]
	s_cbranch_scc1 .LBB69_188
; %bb.189:
	s_bitcmp1_b32 s2, 0
	s_cselect_b64 s[2:3], -1, 0
	s_and_b64 vcc, exec, s[2:3]
	s_cbranch_vccnz .LBB69_193
; %bb.190:
	s_load_dwordx2 s[2:3], s[0:1], 0x1c
	s_load_dword s6, s[0:1], 0x24
	s_load_dwordx2 s[4:5], s[0:1], 0xdc
	s_waitcnt lgkmcnt(0)
	v_mul_hi_u32 v3, s3, v1
	v_add_u32_e32 v3, v1, v3
	v_lshrrev_b32_e32 v3, s6, v3
	v_mul_lo_u32 v3, v3, s2
	s_load_dword s2, s[0:1], 0xe4
	v_sub_u32_e32 v1, v1, v3
	v_mad_u64_u32 v[35:36], s[0:1], v1, s4, v[35:36]
	v_mad_u64_u32 v[37:38], s[0:1], v1, s5, v[37:38]
	s_waitcnt lgkmcnt(0)
	v_mad_u64_u32 v[39:40], s[0:1], v1, s2, v[39:40]
	s_cbranch_execz .LBB69_194
	s_branch .LBB69_196
.LBB69_191:
                                        ; implicit-def: $vgpr35
                                        ; implicit-def: $vgpr37
                                        ; implicit-def: $vgpr39
	s_branch .LBB69_194
.LBB69_192:
	v_mov_b32_e32 v35, 0
	v_mov_b32_e32 v37, 0
	;; [unrolled: 1-line block ×3, first 2 shown]
.LBB69_193:
	s_cbranch_execnz .LBB69_196
.LBB69_194:
	s_load_dwordx4 s[0:3], s[12:13], 0x4
	s_load_dwordx4 s[4:7], s[12:13], 0xc4
	s_cmp_lt_u32 s33, 2
	s_waitcnt lgkmcnt(0)
	v_mul_hi_u32 v1, s1, v41
	v_add_u32_e32 v1, v41, v1
	v_lshrrev_b32_e32 v1, s2, v1
	v_mul_lo_u32 v3, v1, s0
	v_sub_u32_e32 v3, v41, v3
	v_mul_lo_u32 v35, v3, s4
	v_mul_lo_u32 v37, v3, s5
	;; [unrolled: 1-line block ×3, first 2 shown]
	s_cbranch_scc1 .LBB69_196
; %bb.195:
	s_load_dwordx4 s[0:3], s[12:13], 0x10
	s_load_dwordx4 s[4:7], s[12:13], 0xd0
	s_waitcnt lgkmcnt(0)
	v_mul_hi_u32 v3, s1, v1
	v_add_u32_e32 v3, v1, v3
	v_lshrrev_b32_e32 v3, s2, v3
	v_mul_lo_u32 v3, v3, s0
	v_sub_u32_e32 v1, v1, v3
	v_mad_u64_u32 v[35:36], s[0:1], v1, s4, v[35:36]
	v_mad_u64_u32 v[37:38], s[0:1], v1, s5, v[37:38]
	;; [unrolled: 1-line block ×3, first 2 shown]
.LBB69_196:
	s_load_dwordx4 s[16:19], s[12:13], 0x188
	s_load_dwordx2 s[0:1], s[12:13], 0x198
	s_waitcnt lgkmcnt(0)
	global_load_ushort v1, v4, s[18:19]
	s_nop 0
	global_load_ushort v3, v2, s[0:1]
	global_load_ushort v6, v9, s[18:19]
	;; [unrolled: 1-line block ×7, first 2 shown]
                                        ; kill: killed $vgpr4
                                        ; kill: killed $vgpr9
                                        ; kill: killed $vgpr2
                                        ; kill: killed $vgpr14
                                        ; kill: killed $vgpr7
                                        ; kill: killed $vgpr19
                                        ; kill: killed $vgpr12
                                        ; kill: killed $vgpr17
	global_load_ushort v2, v24, s[18:19]
	global_load_ushort v4, v22, s[0:1]
	;; [unrolled: 1-line block ×8, first 2 shown]
	s_load_dword s0, s[12:13], 0x1a0
	s_waitcnt lgkmcnt(0)
	s_cmp_eq_u32 s0, 0
	s_cselect_b64 s[14:15], -1, 0
	s_waitcnt vmcnt(14)
	v_cmp_ne_u16_e32 vcc, v1, v3
	s_xor_b64 s[18:19], s[14:15], vcc
	s_waitcnt vmcnt(12)
	v_cmp_ne_u16_e64 s[0:1], v6, v8
	s_xor_b64 s[0:1], s[14:15], s[0:1]
	s_waitcnt vmcnt(10)
	v_cmp_ne_u16_e64 s[2:3], v11, v13
	v_cndmask_b32_e64 v1, 0, 1, s[18:19]
	s_waitcnt vmcnt(8)
	v_cmp_ne_u16_e64 s[4:5], v16, v18
	s_waitcnt vmcnt(6)
	v_cmp_ne_u16_e64 s[6:7], v2, v4
	v_cndmask_b32_e64 v2, 0, 1, s[0:1]
	s_xor_b64 s[0:1], s[14:15], s[2:3]
	v_cndmask_b32_e64 v3, 0, 1, s[0:1]
	s_xor_b64 s[0:1], s[14:15], s[4:5]
	s_waitcnt vmcnt(4)
	v_cmp_ne_u16_e64 s[8:9], v7, v9
	v_cndmask_b32_e64 v4, 0, 1, s[0:1]
	s_xor_b64 s[0:1], s[14:15], s[6:7]
	s_waitcnt vmcnt(2)
	v_cmp_ne_u16_e64 s[10:11], v12, v14
	;; [unrolled: 4-line block ×3, first 2 shown]
	v_cndmask_b32_e64 v7, 0, 1, s[0:1]
	s_xor_b64 s[0:1], s[14:15], s[10:11]
	v_cndmask_b32_e64 v8, 0, 1, s[0:1]
	s_xor_b64 s[0:1], s[14:15], s[12:13]
	v_cndmask_b32_e64 v9, 0, 1, s[0:1]
	global_store_byte v0, v1, s[16:17]
	global_store_byte v5, v2, s[16:17]
	;; [unrolled: 1-line block ×8, first 2 shown]
	s_endpgm
	.section	.rodata,"a",@progbits
	.p2align	6, 0x0
	.amdhsa_kernel _ZN2at6native32elementwise_kernel_manual_unrollILi128ELi8EZNS0_22gpu_kernel_impl_nocastINS0_13BinaryFunctorIssbNS0_12_GLOBAL__N_116CompareEqFunctorIsEEEEEEvRNS_18TensorIteratorBaseERKT_EUlibE_EEviT1_
		.amdhsa_group_segment_fixed_size 0
		.amdhsa_private_segment_fixed_size 0
		.amdhsa_kernarg_size 432
		.amdhsa_user_sgpr_count 6
		.amdhsa_user_sgpr_private_segment_buffer 1
		.amdhsa_user_sgpr_dispatch_ptr 0
		.amdhsa_user_sgpr_queue_ptr 0
		.amdhsa_user_sgpr_kernarg_segment_ptr 1
		.amdhsa_user_sgpr_dispatch_id 0
		.amdhsa_user_sgpr_flat_scratch_init 0
		.amdhsa_user_sgpr_private_segment_size 0
		.amdhsa_uses_dynamic_stack 0
		.amdhsa_system_sgpr_private_segment_wavefront_offset 0
		.amdhsa_system_sgpr_workgroup_id_x 1
		.amdhsa_system_sgpr_workgroup_id_y 0
		.amdhsa_system_sgpr_workgroup_id_z 0
		.amdhsa_system_sgpr_workgroup_info 0
		.amdhsa_system_vgpr_workitem_id 0
		.amdhsa_next_free_vgpr 42
		.amdhsa_next_free_sgpr 52
		.amdhsa_reserve_vcc 1
		.amdhsa_reserve_flat_scratch 0
		.amdhsa_float_round_mode_32 0
		.amdhsa_float_round_mode_16_64 0
		.amdhsa_float_denorm_mode_32 3
		.amdhsa_float_denorm_mode_16_64 3
		.amdhsa_dx10_clamp 1
		.amdhsa_ieee_mode 1
		.amdhsa_fp16_overflow 0
		.amdhsa_exception_fp_ieee_invalid_op 0
		.amdhsa_exception_fp_denorm_src 0
		.amdhsa_exception_fp_ieee_div_zero 0
		.amdhsa_exception_fp_ieee_overflow 0
		.amdhsa_exception_fp_ieee_underflow 0
		.amdhsa_exception_fp_ieee_inexact 0
		.amdhsa_exception_int_div_zero 0
	.end_amdhsa_kernel
	.section	.text._ZN2at6native32elementwise_kernel_manual_unrollILi128ELi8EZNS0_22gpu_kernel_impl_nocastINS0_13BinaryFunctorIssbNS0_12_GLOBAL__N_116CompareEqFunctorIsEEEEEEvRNS_18TensorIteratorBaseERKT_EUlibE_EEviT1_,"axG",@progbits,_ZN2at6native32elementwise_kernel_manual_unrollILi128ELi8EZNS0_22gpu_kernel_impl_nocastINS0_13BinaryFunctorIssbNS0_12_GLOBAL__N_116CompareEqFunctorIsEEEEEEvRNS_18TensorIteratorBaseERKT_EUlibE_EEviT1_,comdat
.Lfunc_end69:
	.size	_ZN2at6native32elementwise_kernel_manual_unrollILi128ELi8EZNS0_22gpu_kernel_impl_nocastINS0_13BinaryFunctorIssbNS0_12_GLOBAL__N_116CompareEqFunctorIsEEEEEEvRNS_18TensorIteratorBaseERKT_EUlibE_EEviT1_, .Lfunc_end69-_ZN2at6native32elementwise_kernel_manual_unrollILi128ELi8EZNS0_22gpu_kernel_impl_nocastINS0_13BinaryFunctorIssbNS0_12_GLOBAL__N_116CompareEqFunctorIsEEEEEEvRNS_18TensorIteratorBaseERKT_EUlibE_EEviT1_
                                        ; -- End function
	.set _ZN2at6native32elementwise_kernel_manual_unrollILi128ELi8EZNS0_22gpu_kernel_impl_nocastINS0_13BinaryFunctorIssbNS0_12_GLOBAL__N_116CompareEqFunctorIsEEEEEEvRNS_18TensorIteratorBaseERKT_EUlibE_EEviT1_.num_vgpr, 42
	.set _ZN2at6native32elementwise_kernel_manual_unrollILi128ELi8EZNS0_22gpu_kernel_impl_nocastINS0_13BinaryFunctorIssbNS0_12_GLOBAL__N_116CompareEqFunctorIsEEEEEEvRNS_18TensorIteratorBaseERKT_EUlibE_EEviT1_.num_agpr, 0
	.set _ZN2at6native32elementwise_kernel_manual_unrollILi128ELi8EZNS0_22gpu_kernel_impl_nocastINS0_13BinaryFunctorIssbNS0_12_GLOBAL__N_116CompareEqFunctorIsEEEEEEvRNS_18TensorIteratorBaseERKT_EUlibE_EEviT1_.numbered_sgpr, 52
	.set _ZN2at6native32elementwise_kernel_manual_unrollILi128ELi8EZNS0_22gpu_kernel_impl_nocastINS0_13BinaryFunctorIssbNS0_12_GLOBAL__N_116CompareEqFunctorIsEEEEEEvRNS_18TensorIteratorBaseERKT_EUlibE_EEviT1_.num_named_barrier, 0
	.set _ZN2at6native32elementwise_kernel_manual_unrollILi128ELi8EZNS0_22gpu_kernel_impl_nocastINS0_13BinaryFunctorIssbNS0_12_GLOBAL__N_116CompareEqFunctorIsEEEEEEvRNS_18TensorIteratorBaseERKT_EUlibE_EEviT1_.private_seg_size, 0
	.set _ZN2at6native32elementwise_kernel_manual_unrollILi128ELi8EZNS0_22gpu_kernel_impl_nocastINS0_13BinaryFunctorIssbNS0_12_GLOBAL__N_116CompareEqFunctorIsEEEEEEvRNS_18TensorIteratorBaseERKT_EUlibE_EEviT1_.uses_vcc, 1
	.set _ZN2at6native32elementwise_kernel_manual_unrollILi128ELi8EZNS0_22gpu_kernel_impl_nocastINS0_13BinaryFunctorIssbNS0_12_GLOBAL__N_116CompareEqFunctorIsEEEEEEvRNS_18TensorIteratorBaseERKT_EUlibE_EEviT1_.uses_flat_scratch, 0
	.set _ZN2at6native32elementwise_kernel_manual_unrollILi128ELi8EZNS0_22gpu_kernel_impl_nocastINS0_13BinaryFunctorIssbNS0_12_GLOBAL__N_116CompareEqFunctorIsEEEEEEvRNS_18TensorIteratorBaseERKT_EUlibE_EEviT1_.has_dyn_sized_stack, 0
	.set _ZN2at6native32elementwise_kernel_manual_unrollILi128ELi8EZNS0_22gpu_kernel_impl_nocastINS0_13BinaryFunctorIssbNS0_12_GLOBAL__N_116CompareEqFunctorIsEEEEEEvRNS_18TensorIteratorBaseERKT_EUlibE_EEviT1_.has_recursion, 0
	.set _ZN2at6native32elementwise_kernel_manual_unrollILi128ELi8EZNS0_22gpu_kernel_impl_nocastINS0_13BinaryFunctorIssbNS0_12_GLOBAL__N_116CompareEqFunctorIsEEEEEEvRNS_18TensorIteratorBaseERKT_EUlibE_EEviT1_.has_indirect_call, 0
	.section	.AMDGPU.csdata,"",@progbits
; Kernel info:
; codeLenInByte = 9384
; TotalNumSgprs: 56
; NumVgprs: 42
; ScratchSize: 0
; MemoryBound: 0
; FloatMode: 240
; IeeeMode: 1
; LDSByteSize: 0 bytes/workgroup (compile time only)
; SGPRBlocks: 6
; VGPRBlocks: 10
; NumSGPRsForWavesPerEU: 56
; NumVGPRsForWavesPerEU: 42
; Occupancy: 5
; WaveLimiterHint : 1
; COMPUTE_PGM_RSRC2:SCRATCH_EN: 0
; COMPUTE_PGM_RSRC2:USER_SGPR: 6
; COMPUTE_PGM_RSRC2:TRAP_HANDLER: 0
; COMPUTE_PGM_RSRC2:TGID_X_EN: 1
; COMPUTE_PGM_RSRC2:TGID_Y_EN: 0
; COMPUTE_PGM_RSRC2:TGID_Z_EN: 0
; COMPUTE_PGM_RSRC2:TIDIG_COMP_CNT: 0
	.section	.text._ZN2at6native32elementwise_kernel_manual_unrollILi128ELi4EZNS0_15gpu_kernel_implINS0_13BinaryFunctorIssbNS0_12_GLOBAL__N_116CompareEqFunctorIsEEEEEEvRNS_18TensorIteratorBaseERKT_EUlibE_EEviT1_,"axG",@progbits,_ZN2at6native32elementwise_kernel_manual_unrollILi128ELi4EZNS0_15gpu_kernel_implINS0_13BinaryFunctorIssbNS0_12_GLOBAL__N_116CompareEqFunctorIsEEEEEEvRNS_18TensorIteratorBaseERKT_EUlibE_EEviT1_,comdat
	.globl	_ZN2at6native32elementwise_kernel_manual_unrollILi128ELi4EZNS0_15gpu_kernel_implINS0_13BinaryFunctorIssbNS0_12_GLOBAL__N_116CompareEqFunctorIsEEEEEEvRNS_18TensorIteratorBaseERKT_EUlibE_EEviT1_ ; -- Begin function _ZN2at6native32elementwise_kernel_manual_unrollILi128ELi4EZNS0_15gpu_kernel_implINS0_13BinaryFunctorIssbNS0_12_GLOBAL__N_116CompareEqFunctorIsEEEEEEvRNS_18TensorIteratorBaseERKT_EUlibE_EEviT1_
	.p2align	8
	.type	_ZN2at6native32elementwise_kernel_manual_unrollILi128ELi4EZNS0_15gpu_kernel_implINS0_13BinaryFunctorIssbNS0_12_GLOBAL__N_116CompareEqFunctorIsEEEEEEvRNS_18TensorIteratorBaseERKT_EUlibE_EEviT1_,@function
_ZN2at6native32elementwise_kernel_manual_unrollILi128ELi4EZNS0_15gpu_kernel_implINS0_13BinaryFunctorIssbNS0_12_GLOBAL__N_116CompareEqFunctorIsEEEEEEvRNS_18TensorIteratorBaseERKT_EUlibE_EEviT1_: ; @_ZN2at6native32elementwise_kernel_manual_unrollILi128ELi4EZNS0_15gpu_kernel_implINS0_13BinaryFunctorIssbNS0_12_GLOBAL__N_116CompareEqFunctorIsEEEEEEvRNS_18TensorIteratorBaseERKT_EUlibE_EEviT1_
; %bb.0:
	s_load_dword s33, s[4:5], 0x30
	s_load_dword s50, s[4:5], 0x0
	s_load_dwordx4 s[8:11], s[4:5], 0x8
	s_load_dwordx2 s[2:3], s[4:5], 0x18
	s_load_dwordx4 s[12:15], s[4:5], 0x20
	v_lshl_or_b32 v14, s6, 9, v0
	v_or_b32_e32 v0, 0x180, v14
	s_waitcnt lgkmcnt(0)
	s_lshr_b32 s57, s33, 8
	s_lshr_b32 s56, s33, 16
	v_cmp_le_i32_e32 vcc, s50, v0
	s_mov_b64 s[4:5], 0
	s_mov_b64 s[16:17], 0
	s_and_saveexec_b64 s[0:1], vcc
	s_xor_b64 s[6:7], exec, s[0:1]
	s_cbranch_execz .LBB70_1512
; %bb.1:
	s_cmp_eq_u32 s15, 0
	s_cselect_b64 s[16:17], -1, 0
	v_cmp_gt_i32_e32 vcc, s50, v14
	s_mov_b64 s[0:1], -1
	s_mov_b64 s[28:29], 0
	s_mov_b64 s[22:23], 0
	;; [unrolled: 1-line block ×4, first 2 shown]
	s_and_saveexec_b64 s[24:25], vcc
	s_cbranch_execz .LBB70_375
; %bb.2:
	v_mul_lo_u32 v0, v14, s13
	v_mov_b32_e32 v1, s11
	s_and_b32 s20, s57, 0xff
	s_cmp_lt_i32 s20, 11
	v_ashrrev_i32_e32 v3, 31, v0
	v_add_co_u32_e32 v2, vcc, s10, v0
	v_addc_co_u32_e32 v3, vcc, v1, v3, vcc
	s_cbranch_scc1 .LBB70_9
; %bb.3:
	s_and_b32 s21, 0xffff, s20
	s_cmp_gt_i32 s21, 25
	s_cbranch_scc0 .LBB70_18
; %bb.4:
	s_cmp_gt_i32 s21, 28
	s_cbranch_scc0 .LBB70_28
; %bb.5:
	;; [unrolled: 3-line block ×4, first 2 shown]
	s_cmp_eq_u32 s21, 46
	s_cbranch_scc0 .LBB70_37
; %bb.8:
	global_load_dword v0, v[2:3], off
	s_waitcnt vmcnt(0)
	v_lshlrev_b32_e32 v0, 16, v0
	v_cvt_i32_f32_e32 v0, v0
	s_branch .LBB70_39
.LBB70_9:
                                        ; implicit-def: $vgpr0
	s_mov_b64 s[0:1], 0
	s_cbranch_execnz .LBB70_101
.LBB70_10:
	s_andn2_b64 vcc, exec, s[0:1]
	s_cbranch_vccnz .LBB70_148
.LBB70_11:
	s_waitcnt vmcnt(0)
	v_mul_lo_u32 v1, v14, s14
	v_mov_b32_e32 v2, s3
	s_and_b32 s26, s56, 0xff
	s_cmp_lt_i32 s26, 11
	v_ashrrev_i32_e32 v3, 31, v1
	v_add_co_u32_e32 v1, vcc, s2, v1
	v_addc_co_u32_e32 v2, vcc, v2, v3, vcc
	s_cbranch_scc1 .LBB70_19
; %bb.12:
	s_and_b32 s27, 0xffff, s26
	s_cmp_gt_i32 s27, 25
	s_cbranch_scc0 .LBB70_29
; %bb.13:
	s_cmp_gt_i32 s27, 28
	s_cbranch_scc0 .LBB70_32
; %bb.14:
	;; [unrolled: 3-line block ×4, first 2 shown]
	s_cmp_eq_u32 s27, 46
	s_mov_b64 s[18:19], 0
	s_cbranch_scc0 .LBB70_149
; %bb.17:
	global_load_dword v3, v[1:2], off
	s_mov_b64 s[0:1], -1
	s_mov_b64 s[20:21], 0
	s_waitcnt vmcnt(0)
	v_lshlrev_b32_e32 v3, 16, v3
	v_cvt_i32_f32_e32 v3, v3
	s_branch .LBB70_151
.LBB70_18:
	s_mov_b64 s[0:1], 0
                                        ; implicit-def: $vgpr0
	s_cbranch_execnz .LBB70_68
	s_branch .LBB70_100
.LBB70_19:
	s_mov_b64 s[20:21], 0
                                        ; implicit-def: $vgpr3
	s_mov_b64 s[0:1], 0
	s_cbranch_execnz .LBB70_324
.LBB70_20:
	s_andn2_b64 vcc, exec, s[0:1]
	s_cbranch_vccnz .LBB70_372
.LBB70_21:
	v_mul_lo_u32 v1, v14, s12
	s_waitcnt vmcnt(0)
	v_cmp_ne_u16_e32 vcc, v0, v3
	v_mov_b32_e32 v2, s9
	s_xor_b64 s[18:19], s[16:17], vcc
	v_ashrrev_i32_e32 v3, 31, v1
	s_and_b32 s36, s33, 0xff
	v_add_co_u32_e32 v0, vcc, s8, v1
	s_cmp_lt_i32 s36, 11
	v_addc_co_u32_e32 v1, vcc, v2, v3, vcc
	s_cbranch_scc1 .LBB70_30
; %bb.22:
	s_and_b32 s37, 0xffff, s36
	s_cmp_gt_i32 s37, 25
	s_cbranch_scc0 .LBB70_33
; %bb.23:
	s_cmp_gt_i32 s37, 28
	s_cbranch_scc0 .LBB70_36
; %bb.24:
	;; [unrolled: 3-line block ×4, first 2 shown]
	s_mov_b64 s[30:31], 0
	s_mov_b64 s[0:1], -1
	s_cmp_eq_u32 s37, 46
	s_mov_b64 s[26:27], 0
	s_cbranch_scc0 .LBB70_155
; %bb.27:
	v_cndmask_b32_e64 v2, 0, 1.0, s[18:19]
	v_bfe_u32 v3, v2, 16, 1
	s_movk_i32 s0, 0x7fff
	v_add3_u32 v2, v2, v3, s0
	v_lshrrev_b32_e32 v2, 16, v2
	global_store_dword v[0:1], v2, off
	s_mov_b64 s[26:27], -1
	s_mov_b64 s[0:1], 0
	s_branch .LBB70_155
.LBB70_28:
	s_mov_b64 s[18:19], -1
	s_mov_b64 s[0:1], 0
                                        ; implicit-def: $vgpr0
	s_branch .LBB70_51
.LBB70_29:
	s_mov_b64 s[18:19], -1
	s_mov_b64 s[20:21], 0
	s_mov_b64 s[0:1], 0
                                        ; implicit-def: $vgpr3
	s_branch .LBB70_290
.LBB70_30:
	s_mov_b64 s[30:31], -1
	s_mov_b64 s[0:1], 0
	s_mov_b64 s[26:27], 0
	s_branch .LBB70_224
.LBB70_31:
	s_mov_b64 s[18:19], -1
	s_mov_b64 s[0:1], 0
                                        ; implicit-def: $vgpr0
	s_branch .LBB70_46
.LBB70_32:
	s_mov_b64 s[18:19], -1
	s_mov_b64 s[20:21], 0
	s_mov_b64 s[0:1], 0
                                        ; implicit-def: $vgpr3
	s_branch .LBB70_273
.LBB70_33:
	s_mov_b64 s[30:31], -1
	s_mov_b64 s[0:1], 0
	s_mov_b64 s[26:27], 0
	s_branch .LBB70_182
.LBB70_34:
	s_mov_b64 s[18:19], -1
	s_branch .LBB70_38
.LBB70_35:
	s_mov_b64 s[18:19], -1
	s_mov_b64 s[20:21], 0
	s_mov_b64 s[0:1], 0
                                        ; implicit-def: $vgpr3
	s_branch .LBB70_268
.LBB70_36:
	s_mov_b64 s[30:31], -1
	s_mov_b64 s[0:1], 0
	s_mov_b64 s[26:27], 0
	s_branch .LBB70_165
.LBB70_37:
	s_mov_b64 s[22:23], -1
.LBB70_38:
	s_mov_b64 s[0:1], 0
                                        ; implicit-def: $vgpr0
.LBB70_39:
	s_and_b64 vcc, exec, s[18:19]
	s_cbranch_vccz .LBB70_45
; %bb.40:
	s_cmp_eq_u32 s21, 44
	s_cbranch_scc0 .LBB70_44
; %bb.41:
	global_load_ubyte v0, v[2:3], off
	s_mov_b64 s[0:1], -1
	s_mov_b64 s[22:23], 0
	s_waitcnt vmcnt(0)
	v_lshlrev_b32_e32 v1, 23, v0
	v_cvt_i32_f32_e32 v1, v1
	v_cmp_ne_u32_e32 vcc, 0, v0
	v_cndmask_b32_e32 v0, 0, v1, vcc
	s_branch .LBB70_45
.LBB70_42:
	s_mov_b64 s[18:19], -1
	s_mov_b64 s[20:21], 0
	s_branch .LBB70_150
.LBB70_43:
	s_mov_b64 s[30:31], -1
	s_mov_b64 s[0:1], 0
	s_mov_b64 s[26:27], 0
	s_branch .LBB70_161
.LBB70_44:
	s_mov_b64 s[22:23], -1
                                        ; implicit-def: $vgpr0
.LBB70_45:
	s_mov_b64 s[18:19], 0
.LBB70_46:
	s_and_b64 vcc, exec, s[18:19]
	s_cbranch_vccz .LBB70_50
; %bb.47:
	s_cmp_eq_u32 s21, 29
	s_cbranch_scc0 .LBB70_49
; %bb.48:
	global_load_dwordx2 v[0:1], v[2:3], off
	s_mov_b64 s[0:1], -1
	s_mov_b64 s[22:23], 0
	s_branch .LBB70_50
.LBB70_49:
	s_mov_b64 s[22:23], -1
                                        ; implicit-def: $vgpr0
.LBB70_50:
	s_mov_b64 s[18:19], 0
.LBB70_51:
	s_and_b64 vcc, exec, s[18:19]
	s_cbranch_vccz .LBB70_67
; %bb.52:
	s_cmp_lt_i32 s21, 27
	s_cbranch_scc1 .LBB70_55
; %bb.53:
	s_cmp_gt_i32 s21, 27
	s_cbranch_scc0 .LBB70_56
; %bb.54:
	global_load_dword v0, v[2:3], off
	s_mov_b64 s[0:1], 0
	s_branch .LBB70_57
.LBB70_55:
	s_mov_b64 s[0:1], -1
                                        ; implicit-def: $vgpr0
	s_branch .LBB70_60
.LBB70_56:
	s_mov_b64 s[0:1], -1
                                        ; implicit-def: $vgpr0
.LBB70_57:
	s_andn2_b64 vcc, exec, s[0:1]
	s_cbranch_vccnz .LBB70_59
; %bb.58:
	global_load_ushort v0, v[2:3], off
.LBB70_59:
	s_mov_b64 s[0:1], 0
.LBB70_60:
	s_andn2_b64 vcc, exec, s[0:1]
	s_cbranch_vccnz .LBB70_66
; %bb.61:
	global_load_ubyte v1, v[2:3], off
	s_movk_i32 s0, 0x7f
	s_mov_b64 s[18:19], 0
	s_waitcnt vmcnt(0)
	v_cmp_lt_i16_e32 vcc, s0, v1
	s_and_saveexec_b64 s[0:1], vcc
	s_xor_b64 s[0:1], exec, s[0:1]
	s_cbranch_execz .LBB70_77
; %bb.62:
	s_movk_i32 s18, 0x80
	v_cmp_ne_u16_e32 vcc, s18, v1
	s_and_b64 s[18:19], vcc, exec
	s_andn2_saveexec_b64 s[0:1], s[0:1]
	s_cbranch_execnz .LBB70_78
.LBB70_63:
	s_or_b64 exec, exec, s[0:1]
	v_mov_b32_e32 v0, 0
	s_and_saveexec_b64 s[0:1], s[18:19]
	s_cbranch_execz .LBB70_65
.LBB70_64:
	v_lshlrev_b32_e32 v0, 24, v1
	v_and_b32_e32 v1, 0xffff, v1
	v_and_b32_e32 v4, 7, v1
	v_ffbh_u32_e32 v6, v4
	v_min_u32_e32 v6, 32, v6
	v_subrev_u32_e32 v7, 28, v6
	v_bfe_u32 v5, v1, 3, 4
	v_lshlrev_b32_e32 v1, v7, v1
	v_sub_u32_e32 v6, 29, v6
	v_and_b32_e32 v1, 7, v1
	v_cmp_eq_u32_e32 vcc, 0, v5
	v_cndmask_b32_e32 v5, v5, v6, vcc
	v_cndmask_b32_e32 v1, v4, v1, vcc
	v_mov_b32_e32 v4, 0x3b800000
	v_lshlrev_b32_e32 v1, 20, v1
	v_and_b32_e32 v0, 0x80000000, v0
	v_lshl_add_u32 v4, v5, 23, v4
	v_or3_b32 v0, v0, v4, v1
	v_cvt_i32_f32_e32 v0, v0
.LBB70_65:
	s_or_b64 exec, exec, s[0:1]
.LBB70_66:
	s_mov_b64 s[0:1], -1
.LBB70_67:
	s_branch .LBB70_100
.LBB70_68:
	s_cmp_gt_i32 s21, 22
	s_cbranch_scc0 .LBB70_76
; %bb.69:
	s_cmp_lt_i32 s21, 24
	s_cbranch_scc1 .LBB70_79
; %bb.70:
	s_cmp_gt_i32 s21, 24
	s_cbranch_scc0 .LBB70_80
; %bb.71:
	global_load_ubyte v1, v[2:3], off
	s_movk_i32 s0, 0x7f
	s_mov_b64 s[18:19], 0
	s_waitcnt vmcnt(0)
	v_cmp_lt_i16_e32 vcc, s0, v1
	s_and_saveexec_b64 s[0:1], vcc
	s_xor_b64 s[0:1], exec, s[0:1]
	s_cbranch_execz .LBB70_92
; %bb.72:
	s_movk_i32 s18, 0x80
	v_cmp_ne_u16_e32 vcc, s18, v1
	s_and_b64 s[18:19], vcc, exec
	s_andn2_saveexec_b64 s[0:1], s[0:1]
	s_cbranch_execnz .LBB70_93
.LBB70_73:
	s_or_b64 exec, exec, s[0:1]
	v_mov_b32_e32 v0, 0
	s_and_saveexec_b64 s[0:1], s[18:19]
	s_cbranch_execz .LBB70_75
.LBB70_74:
	v_lshlrev_b32_e32 v0, 24, v1
	v_and_b32_e32 v1, 0xffff, v1
	v_and_b32_e32 v4, 3, v1
	v_ffbh_u32_e32 v6, v4
	v_min_u32_e32 v6, 32, v6
	v_subrev_u32_e32 v7, 29, v6
	v_bfe_u32 v5, v1, 2, 5
	v_lshlrev_b32_e32 v1, v7, v1
	v_sub_u32_e32 v6, 30, v6
	v_and_b32_e32 v1, 3, v1
	v_cmp_eq_u32_e32 vcc, 0, v5
	v_cndmask_b32_e32 v5, v5, v6, vcc
	v_cndmask_b32_e32 v1, v4, v1, vcc
	v_mov_b32_e32 v4, 0x37800000
	v_lshlrev_b32_e32 v1, 21, v1
	v_and_b32_e32 v0, 0x80000000, v0
	v_lshl_add_u32 v4, v5, 23, v4
	v_or3_b32 v0, v0, v4, v1
	v_cvt_i32_f32_e32 v0, v0
.LBB70_75:
	s_or_b64 exec, exec, s[0:1]
	s_mov_b64 s[0:1], 0
	s_branch .LBB70_81
.LBB70_76:
	s_mov_b64 s[18:19], -1
                                        ; implicit-def: $vgpr0
	s_branch .LBB70_87
.LBB70_77:
	s_andn2_saveexec_b64 s[0:1], s[0:1]
	s_cbranch_execz .LBB70_63
.LBB70_78:
	v_cmp_ne_u16_e32 vcc, 0, v1
	s_andn2_b64 s[18:19], s[18:19], exec
	s_and_b64 s[26:27], vcc, exec
	s_or_b64 s[18:19], s[18:19], s[26:27]
	s_or_b64 exec, exec, s[0:1]
	v_mov_b32_e32 v0, 0
	s_and_saveexec_b64 s[0:1], s[18:19]
	s_cbranch_execnz .LBB70_64
	s_branch .LBB70_65
.LBB70_79:
	s_mov_b64 s[0:1], -1
                                        ; implicit-def: $vgpr0
	s_branch .LBB70_84
.LBB70_80:
	s_mov_b64 s[0:1], -1
                                        ; implicit-def: $vgpr0
.LBB70_81:
	s_and_b64 vcc, exec, s[0:1]
	s_cbranch_vccz .LBB70_83
; %bb.82:
	global_load_ubyte v0, v[2:3], off
	s_mov_b32 s0, 0x7f800000
	s_waitcnt vmcnt(0)
	v_lshlrev_b32_e32 v0, 24, v0
	v_and_b32_e32 v1, 0x7f000000, v0
	v_ffbh_u32_e32 v4, v1
	v_min_u32_e32 v4, 32, v4
	v_sub_u32_e64 v4, v4, 4 clamp
	v_lshlrev_b32_e32 v6, v4, v1
	v_lshlrev_b32_e32 v4, 23, v4
	v_lshrrev_b32_e32 v6, 4, v6
	v_add_u32_e32 v5, 0x1000000, v1
	v_sub_u32_e32 v4, v6, v4
	v_ashrrev_i32_e32 v5, 8, v5
	v_add_u32_e32 v4, 0x3c000000, v4
	v_and_or_b32 v4, v5, s0, v4
	v_cmp_ne_u32_e32 vcc, 0, v1
	v_cndmask_b32_e32 v1, 0, v4, vcc
	s_brev_b32 s0, 1
	v_and_or_b32 v0, v0, s0, v1
	v_cvt_i32_f32_e32 v0, v0
.LBB70_83:
	s_mov_b64 s[0:1], 0
.LBB70_84:
	s_andn2_b64 vcc, exec, s[0:1]
	s_cbranch_vccnz .LBB70_86
; %bb.85:
	global_load_ubyte v0, v[2:3], off
	s_movk_i32 s0, 0x7f00
	s_brev_b32 s1, 16
	s_waitcnt vmcnt(0)
	v_lshlrev_b16_e32 v1, 8, v0
	v_lshlrev_b32_e32 v0, 25, v0
	v_lshrrev_b32_e32 v4, 4, v0
	v_and_or_b32 v5, v1, s0, 0.5
	v_or_b32_e32 v4, 0x70000000, v4
	v_add_f32_e32 v5, -0.5, v5
	v_mul_f32_e32 v4, 0x7800000, v4
	v_cmp_gt_u32_e32 vcc, s1, v0
	v_bfe_i32 v1, v1, 0, 16
	v_cndmask_b32_e32 v0, v4, v5, vcc
	s_brev_b32 s0, 1
	v_and_or_b32 v0, v1, s0, v0
	v_cvt_i32_f32_e32 v0, v0
.LBB70_86:
	s_mov_b64 s[18:19], 0
	s_mov_b64 s[0:1], -1
.LBB70_87:
	s_andn2_b64 vcc, exec, s[18:19]
	s_cbranch_vccnz .LBB70_100
; %bb.88:
	s_cmp_gt_i32 s21, 14
	s_cbranch_scc0 .LBB70_91
; %bb.89:
	s_cmp_eq_u32 s21, 15
	s_cbranch_scc0 .LBB70_94
; %bb.90:
	global_load_ushort v0, v[2:3], off
	s_mov_b64 s[0:1], -1
	s_mov_b64 s[22:23], 0
	s_waitcnt vmcnt(0)
	v_lshlrev_b32_e32 v0, 16, v0
	v_cvt_i32_f32_e32 v0, v0
	s_branch .LBB70_95
.LBB70_91:
	s_mov_b64 s[18:19], -1
                                        ; implicit-def: $vgpr0
	s_branch .LBB70_96
.LBB70_92:
	s_andn2_saveexec_b64 s[0:1], s[0:1]
	s_cbranch_execz .LBB70_73
.LBB70_93:
	v_cmp_ne_u16_e32 vcc, 0, v1
	s_andn2_b64 s[18:19], s[18:19], exec
	s_and_b64 s[26:27], vcc, exec
	s_or_b64 s[18:19], s[18:19], s[26:27]
	s_or_b64 exec, exec, s[0:1]
	v_mov_b32_e32 v0, 0
	s_and_saveexec_b64 s[0:1], s[18:19]
	s_cbranch_execnz .LBB70_74
	s_branch .LBB70_75
.LBB70_94:
	s_mov_b64 s[22:23], -1
                                        ; implicit-def: $vgpr0
.LBB70_95:
	s_mov_b64 s[18:19], 0
.LBB70_96:
	s_and_b64 vcc, exec, s[18:19]
	s_cbranch_vccz .LBB70_100
; %bb.97:
	s_cmp_eq_u32 s21, 11
	s_cbranch_scc0 .LBB70_99
; %bb.98:
	global_load_ubyte v0, v[2:3], off
	s_mov_b64 s[0:1], -1
	s_mov_b64 s[22:23], 0
	s_waitcnt vmcnt(0)
	v_cmp_ne_u16_e32 vcc, 0, v0
	v_cndmask_b32_e64 v0, 0, 1, vcc
	s_branch .LBB70_100
.LBB70_99:
	s_mov_b64 s[22:23], -1
                                        ; implicit-def: $vgpr0
.LBB70_100:
	s_branch .LBB70_10
.LBB70_101:
	s_and_b32 s18, 0xffff, s20
	s_cmp_lt_i32 s18, 5
	s_cbranch_scc1 .LBB70_106
; %bb.102:
	s_cmp_lt_i32 s18, 8
	s_cbranch_scc1 .LBB70_107
; %bb.103:
	;; [unrolled: 3-line block ×3, first 2 shown]
	s_cmp_gt_i32 s18, 9
	s_cbranch_scc0 .LBB70_109
; %bb.105:
	global_load_dwordx2 v[0:1], v[2:3], off
	s_mov_b64 s[0:1], 0
	s_waitcnt vmcnt(0)
	v_cvt_i32_f64_e32 v0, v[0:1]
	s_branch .LBB70_110
.LBB70_106:
                                        ; implicit-def: $vgpr0
	s_branch .LBB70_128
.LBB70_107:
	s_mov_b64 s[0:1], -1
                                        ; implicit-def: $vgpr0
	s_branch .LBB70_116
.LBB70_108:
	s_mov_b64 s[0:1], -1
                                        ; implicit-def: $vgpr0
	s_branch .LBB70_113
.LBB70_109:
	s_mov_b64 s[0:1], -1
                                        ; implicit-def: $vgpr0
.LBB70_110:
	s_andn2_b64 vcc, exec, s[0:1]
	s_cbranch_vccnz .LBB70_112
; %bb.111:
	global_load_dword v0, v[2:3], off
	s_waitcnt vmcnt(0)
	v_cvt_i32_f32_e32 v0, v0
.LBB70_112:
	s_mov_b64 s[0:1], 0
.LBB70_113:
	s_andn2_b64 vcc, exec, s[0:1]
	s_cbranch_vccnz .LBB70_115
; %bb.114:
	global_load_dword v0, v[2:3], off
	s_waitcnt vmcnt(0)
	v_cvt_i16_f16_e32 v0, v0
.LBB70_115:
	s_mov_b64 s[0:1], 0
.LBB70_116:
	s_andn2_b64 vcc, exec, s[0:1]
	s_cbranch_vccnz .LBB70_127
; %bb.117:
	s_cmp_lt_i32 s18, 6
	s_cbranch_scc1 .LBB70_120
; %bb.118:
	s_cmp_gt_i32 s18, 6
	s_cbranch_scc0 .LBB70_121
; %bb.119:
	global_load_dwordx2 v[0:1], v[2:3], off
	s_mov_b64 s[0:1], 0
	s_waitcnt vmcnt(0)
	v_cvt_i32_f64_e32 v0, v[0:1]
	s_branch .LBB70_122
.LBB70_120:
	s_mov_b64 s[0:1], -1
                                        ; implicit-def: $vgpr0
	s_branch .LBB70_125
.LBB70_121:
	s_mov_b64 s[0:1], -1
                                        ; implicit-def: $vgpr0
.LBB70_122:
	s_andn2_b64 vcc, exec, s[0:1]
	s_cbranch_vccnz .LBB70_124
; %bb.123:
	global_load_dword v0, v[2:3], off
	s_waitcnt vmcnt(0)
	v_cvt_i32_f32_e32 v0, v0
.LBB70_124:
	s_mov_b64 s[0:1], 0
.LBB70_125:
	s_andn2_b64 vcc, exec, s[0:1]
	s_cbranch_vccnz .LBB70_127
; %bb.126:
	global_load_ushort v0, v[2:3], off
	s_waitcnt vmcnt(0)
	v_cvt_i16_f16_e32 v0, v0
.LBB70_127:
	s_cbranch_execnz .LBB70_147
.LBB70_128:
	s_cmp_lt_i32 s18, 2
	s_cbranch_scc1 .LBB70_132
; %bb.129:
	s_cmp_lt_i32 s18, 3
	s_cbranch_scc1 .LBB70_133
; %bb.130:
	s_cmp_gt_i32 s18, 3
	s_cbranch_scc0 .LBB70_134
; %bb.131:
	global_load_dwordx2 v[0:1], v[2:3], off
	s_mov_b64 s[0:1], 0
	s_branch .LBB70_135
.LBB70_132:
	s_mov_b64 s[0:1], -1
                                        ; implicit-def: $vgpr0
	s_branch .LBB70_141
.LBB70_133:
	s_mov_b64 s[0:1], -1
                                        ; implicit-def: $vgpr0
	s_branch .LBB70_138
.LBB70_134:
	s_mov_b64 s[0:1], -1
                                        ; implicit-def: $vgpr0
.LBB70_135:
	s_andn2_b64 vcc, exec, s[0:1]
	s_cbranch_vccnz .LBB70_137
; %bb.136:
	global_load_dword v0, v[2:3], off
.LBB70_137:
	s_mov_b64 s[0:1], 0
.LBB70_138:
	s_andn2_b64 vcc, exec, s[0:1]
	s_cbranch_vccnz .LBB70_140
; %bb.139:
	global_load_ushort v0, v[2:3], off
.LBB70_140:
	s_mov_b64 s[0:1], 0
.LBB70_141:
	s_andn2_b64 vcc, exec, s[0:1]
	s_cbranch_vccnz .LBB70_147
; %bb.142:
	s_cmp_gt_i32 s18, 0
	s_cbranch_scc0 .LBB70_144
; %bb.143:
	global_load_sbyte v0, v[2:3], off
	s_mov_b64 s[0:1], 0
	s_branch .LBB70_145
.LBB70_144:
	s_mov_b64 s[0:1], -1
                                        ; implicit-def: $vgpr0
.LBB70_145:
	s_andn2_b64 vcc, exec, s[0:1]
	s_cbranch_vccnz .LBB70_147
; %bb.146:
	global_load_ubyte v0, v[2:3], off
.LBB70_147:
	s_branch .LBB70_11
.LBB70_148:
	s_mov_b64 s[0:1], 0
	s_mov_b64 s[20:21], 0
	s_branch .LBB70_373
.LBB70_149:
	s_mov_b64 s[20:21], -1
.LBB70_150:
	s_mov_b64 s[0:1], 0
                                        ; implicit-def: $vgpr3
.LBB70_151:
	s_and_b64 vcc, exec, s[18:19]
	s_cbranch_vccz .LBB70_267
; %bb.152:
	s_cmp_eq_u32 s27, 44
	s_cbranch_scc0 .LBB70_266
; %bb.153:
	global_load_ubyte v3, v[1:2], off
	s_mov_b64 s[0:1], -1
	s_mov_b64 s[20:21], 0
	s_waitcnt vmcnt(0)
	v_lshlrev_b32_e32 v4, 23, v3
	v_cvt_i32_f32_e32 v4, v4
	v_cmp_ne_u32_e32 vcc, 0, v3
	v_cndmask_b32_e32 v3, 0, v4, vcc
	s_branch .LBB70_267
.LBB70_154:
	s_mov_b64 s[30:31], -1
	s_mov_b64 s[0:1], 0
	s_mov_b64 s[26:27], 0
.LBB70_155:
	s_and_b64 vcc, exec, s[30:31]
	s_cbranch_vccz .LBB70_160
; %bb.156:
	s_cmp_eq_u32 s37, 44
	s_mov_b64 s[0:1], -1
	s_cbranch_scc0 .LBB70_160
; %bb.157:
	v_cndmask_b32_e64 v3, 0, 1.0, s[18:19]
	v_lshrrev_b32_e32 v2, 23, v3
	s_movk_i32 s0, 0xff
	v_cmp_ne_u32_e32 vcc, s0, v2
	v_mov_b32_e32 v4, 0xff
	s_and_saveexec_b64 s[26:27], vcc
; %bb.158:
	s_mov_b32 s0, 0x3fffff
	v_and_b32_e32 v4, 0x400000, v3
	v_and_or_b32 v3, v3, s0, v2
	v_cmp_ne_u32_e32 vcc, 0, v4
	v_cmp_ne_u32_e64 s[0:1], 0, v3
	s_and_b64 s[0:1], vcc, s[0:1]
	v_cndmask_b32_e64 v3, 0, 1, s[0:1]
	v_add_u32_e32 v4, v2, v3
; %bb.159:
	s_or_b64 exec, exec, s[26:27]
	s_mov_b64 s[26:27], -1
	s_mov_b64 s[0:1], 0
	global_store_byte v[0:1], v4, off
.LBB70_160:
	s_mov_b64 s[30:31], 0
.LBB70_161:
	s_and_b64 vcc, exec, s[30:31]
	s_cbranch_vccz .LBB70_164
; %bb.162:
	s_cmp_eq_u32 s37, 29
	s_mov_b64 s[0:1], -1
	s_cbranch_scc0 .LBB70_164
; %bb.163:
	s_mov_b32 s0, 0
	v_cndmask_b32_e64 v2, 0, 1, s[18:19]
	v_mov_b32_e32 v3, s0
	global_store_dwordx2 v[0:1], v[2:3], off
	s_mov_b64 s[26:27], -1
	s_mov_b64 s[0:1], 0
.LBB70_164:
	s_mov_b64 s[30:31], 0
.LBB70_165:
	s_and_b64 vcc, exec, s[30:31]
	s_cbranch_vccz .LBB70_181
; %bb.166:
	s_cmp_lt_i32 s37, 27
	s_mov_b64 s[26:27], -1
	s_cbranch_scc1 .LBB70_172
; %bb.167:
	s_cmp_gt_i32 s37, 27
	s_cbranch_scc0 .LBB70_169
; %bb.168:
	v_cndmask_b32_e64 v2, 0, 1, s[18:19]
	s_mov_b64 s[26:27], 0
	global_store_dword v[0:1], v2, off
.LBB70_169:
	s_andn2_b64 vcc, exec, s[26:27]
	s_cbranch_vccnz .LBB70_171
; %bb.170:
	v_cndmask_b32_e64 v2, 0, 1, s[18:19]
	global_store_short v[0:1], v2, off
.LBB70_171:
	s_mov_b64 s[26:27], 0
.LBB70_172:
	s_andn2_b64 vcc, exec, s[26:27]
	s_cbranch_vccnz .LBB70_180
; %bb.173:
	v_cndmask_b32_e64 v3, 0, 1.0, s[18:19]
	s_mov_b32 s26, 0x43800000
	v_cmp_gt_u32_e32 vcc, s26, v3
	v_mov_b32_e32 v4, 0x80
	s_and_saveexec_b64 s[26:27], vcc
	s_cbranch_execz .LBB70_179
; %bb.174:
	s_mov_b32 s30, 0x3bffffff
	v_cmp_lt_u32_e32 vcc, s30, v3
	s_mov_b64 s[30:31], 0
                                        ; implicit-def: $vgpr2
	s_and_saveexec_b64 s[34:35], vcc
	s_xor_b64 s[34:35], exec, s[34:35]
	s_cbranch_execz .LBB70_404
; %bb.175:
	v_bfe_u32 v2, v3, 20, 1
	s_mov_b32 s38, 0x487ffff
	v_add3_u32 v2, v3, v2, s38
	s_mov_b64 s[30:31], exec
	v_lshrrev_b32_e32 v2, 20, v2
                                        ; implicit-def: $vgpr3
	s_andn2_saveexec_b64 s[34:35], s[34:35]
	s_cbranch_execnz .LBB70_405
.LBB70_176:
	s_or_b64 exec, exec, s[34:35]
	v_mov_b32_e32 v4, 0
	s_and_saveexec_b64 s[34:35], s[30:31]
.LBB70_177:
	v_mov_b32_e32 v4, v2
.LBB70_178:
	s_or_b64 exec, exec, s[34:35]
.LBB70_179:
	s_or_b64 exec, exec, s[26:27]
	global_store_byte v[0:1], v4, off
.LBB70_180:
	s_mov_b64 s[26:27], -1
.LBB70_181:
	s_mov_b64 s[30:31], 0
.LBB70_182:
	s_and_b64 vcc, exec, s[30:31]
	s_cbranch_vccz .LBB70_223
; %bb.183:
	s_cmp_gt_i32 s37, 22
	s_mov_b64 s[30:31], -1
	s_cbranch_scc0 .LBB70_215
; %bb.184:
	s_cmp_lt_i32 s37, 24
	s_mov_b64 s[26:27], -1
	s_cbranch_scc1 .LBB70_204
; %bb.185:
	s_cmp_gt_i32 s37, 24
	s_cbranch_scc0 .LBB70_193
; %bb.186:
	v_cndmask_b32_e64 v3, 0, 1.0, s[18:19]
	s_mov_b32 s26, 0x47800000
	v_cmp_gt_u32_e32 vcc, s26, v3
	v_mov_b32_e32 v4, 0x80
	s_and_saveexec_b64 s[26:27], vcc
	s_cbranch_execz .LBB70_192
; %bb.187:
	s_mov_b32 s30, 0x37ffffff
	v_cmp_lt_u32_e32 vcc, s30, v3
	s_mov_b64 s[30:31], 0
                                        ; implicit-def: $vgpr2
	s_and_saveexec_b64 s[34:35], vcc
	s_xor_b64 s[34:35], exec, s[34:35]
	s_cbranch_execz .LBB70_519
; %bb.188:
	v_bfe_u32 v2, v3, 21, 1
	s_mov_b32 s38, 0x88fffff
	v_add3_u32 v2, v3, v2, s38
	s_mov_b64 s[30:31], exec
	v_lshrrev_b32_e32 v2, 21, v2
                                        ; implicit-def: $vgpr3
	s_andn2_saveexec_b64 s[34:35], s[34:35]
	s_cbranch_execnz .LBB70_520
.LBB70_189:
	s_or_b64 exec, exec, s[34:35]
	v_mov_b32_e32 v4, 0
	s_and_saveexec_b64 s[34:35], s[30:31]
.LBB70_190:
	v_mov_b32_e32 v4, v2
.LBB70_191:
	s_or_b64 exec, exec, s[34:35]
.LBB70_192:
	s_or_b64 exec, exec, s[26:27]
	s_mov_b64 s[26:27], 0
	global_store_byte v[0:1], v4, off
.LBB70_193:
	s_and_b64 vcc, exec, s[26:27]
	s_cbranch_vccz .LBB70_203
; %bb.194:
	v_cndmask_b32_e64 v2, 0, 1.0, s[18:19]
	s_mov_b32 s26, 0x43f00000
	v_cmp_gt_u32_e32 vcc, s26, v2
                                        ; implicit-def: $vgpr3
	s_and_saveexec_b64 s[26:27], vcc
	s_xor_b64 s[26:27], exec, s[26:27]
	s_cbranch_execz .LBB70_200
; %bb.195:
	s_mov_b32 s30, 0x3c7fffff
	v_cmp_lt_u32_e32 vcc, s30, v2
                                        ; implicit-def: $vgpr3
	s_and_saveexec_b64 s[30:31], vcc
	s_xor_b64 s[30:31], exec, s[30:31]
; %bb.196:
	v_bfe_u32 v3, v2, 20, 1
	s_mov_b32 s34, 0x407ffff
	v_add3_u32 v2, v2, v3, s34
	v_lshrrev_b32_e32 v3, 20, v2
	v_and_b32_e32 v2, 0xff00000, v2
	s_mov_b32 s34, 0x7f00000
	v_mov_b32_e32 v4, 0x7e
	v_cmp_ne_u32_e32 vcc, s34, v2
	v_cndmask_b32_e32 v3, v4, v3, vcc
                                        ; implicit-def: $vgpr2
; %bb.197:
	s_andn2_saveexec_b64 s[30:31], s[30:31]
; %bb.198:
	v_add_f32_e32 v3, 0x46800000, v2
; %bb.199:
	s_or_b64 exec, exec, s[30:31]
                                        ; implicit-def: $vgpr2
.LBB70_200:
	s_andn2_saveexec_b64 s[26:27], s[26:27]
; %bb.201:
	s_mov_b32 s30, 0x7f800000
	v_mov_b32_e32 v3, 0x7e
	v_mov_b32_e32 v4, 0x7f
	v_cmp_lt_u32_e32 vcc, s30, v2
	v_cndmask_b32_e32 v3, v3, v4, vcc
; %bb.202:
	s_or_b64 exec, exec, s[26:27]
	global_store_byte v[0:1], v3, off
.LBB70_203:
	s_mov_b64 s[26:27], 0
.LBB70_204:
	s_andn2_b64 vcc, exec, s[26:27]
	s_cbranch_vccnz .LBB70_214
; %bb.205:
	v_cndmask_b32_e64 v2, 0, 1.0, s[18:19]
	s_mov_b32 s26, 0x47800000
	v_cmp_gt_u32_e32 vcc, s26, v2
                                        ; implicit-def: $vgpr3
	s_and_saveexec_b64 s[26:27], vcc
	s_xor_b64 s[26:27], exec, s[26:27]
	s_cbranch_execz .LBB70_211
; %bb.206:
	s_mov_b32 s30, 0x387fffff
	v_cmp_lt_u32_e32 vcc, s30, v2
                                        ; implicit-def: $vgpr3
	s_and_saveexec_b64 s[30:31], vcc
	s_xor_b64 s[30:31], exec, s[30:31]
; %bb.207:
	v_bfe_u32 v3, v2, 21, 1
	s_mov_b32 s34, 0x80fffff
	v_add3_u32 v2, v2, v3, s34
	v_lshrrev_b32_e32 v3, 21, v2
                                        ; implicit-def: $vgpr2
; %bb.208:
	s_andn2_saveexec_b64 s[30:31], s[30:31]
; %bb.209:
	v_add_f32_e32 v3, 0x43000000, v2
; %bb.210:
	s_or_b64 exec, exec, s[30:31]
                                        ; implicit-def: $vgpr2
.LBB70_211:
	s_andn2_saveexec_b64 s[26:27], s[26:27]
; %bb.212:
	s_mov_b32 s30, 0x7f800000
	v_mov_b32_e32 v3, 0x7c
	v_mov_b32_e32 v4, 0x7f
	v_cmp_lt_u32_e32 vcc, s30, v2
	v_cndmask_b32_e32 v3, v3, v4, vcc
; %bb.213:
	s_or_b64 exec, exec, s[26:27]
	global_store_byte v[0:1], v3, off
.LBB70_214:
	s_mov_b64 s[30:31], 0
	s_mov_b64 s[26:27], -1
.LBB70_215:
	s_andn2_b64 vcc, exec, s[30:31]
	s_cbranch_vccnz .LBB70_223
; %bb.216:
	s_cmp_gt_i32 s37, 14
	s_mov_b64 s[30:31], -1
	s_cbranch_scc0 .LBB70_220
; %bb.217:
	s_cmp_eq_u32 s37, 15
	s_mov_b64 s[0:1], -1
	s_cbranch_scc0 .LBB70_219
; %bb.218:
	v_cndmask_b32_e64 v2, 0, 1.0, s[18:19]
	v_bfe_u32 v3, v2, 16, 1
	s_movk_i32 s0, 0x7fff
	v_add3_u32 v2, v2, v3, s0
	global_store_short_d16_hi v[0:1], v2, off
	s_mov_b64 s[26:27], -1
	s_mov_b64 s[0:1], 0
.LBB70_219:
	s_mov_b64 s[30:31], 0
.LBB70_220:
	s_and_b64 vcc, exec, s[30:31]
	s_cbranch_vccz .LBB70_223
; %bb.221:
	s_cmp_eq_u32 s37, 11
	s_mov_b64 s[0:1], -1
	s_cbranch_scc0 .LBB70_223
; %bb.222:
	v_cndmask_b32_e64 v2, 0, 1, s[18:19]
	s_mov_b64 s[26:27], -1
	s_mov_b64 s[0:1], 0
	global_store_byte v[0:1], v2, off
.LBB70_223:
	s_mov_b64 s[30:31], 0
.LBB70_224:
	s_and_b64 vcc, exec, s[30:31]
	s_cbranch_vccz .LBB70_263
; %bb.225:
	s_and_b32 s30, 0xffff, s36
	s_cmp_lt_i32 s30, 5
	s_mov_b64 s[26:27], -1
	s_cbranch_scc1 .LBB70_246
; %bb.226:
	s_cmp_lt_i32 s30, 8
	s_cbranch_scc1 .LBB70_236
; %bb.227:
	s_cmp_lt_i32 s30, 9
	s_cbranch_scc1 .LBB70_233
; %bb.228:
	s_cmp_gt_i32 s30, 9
	s_cbranch_scc0 .LBB70_230
; %bb.229:
	v_cndmask_b32_e64 v2, 0, 1, s[18:19]
	v_cvt_f64_u32_e32 v[2:3], v2
	v_mov_b32_e32 v4, 0
	v_mov_b32_e32 v5, v4
	s_mov_b64 s[26:27], 0
	global_store_dwordx4 v[0:1], v[2:5], off
.LBB70_230:
	s_andn2_b64 vcc, exec, s[26:27]
	s_cbranch_vccnz .LBB70_232
; %bb.231:
	v_cndmask_b32_e64 v2, 0, 1.0, s[18:19]
	v_mov_b32_e32 v3, 0
	global_store_dwordx2 v[0:1], v[2:3], off
.LBB70_232:
	s_mov_b64 s[26:27], 0
.LBB70_233:
	s_andn2_b64 vcc, exec, s[26:27]
	s_cbranch_vccnz .LBB70_235
; %bb.234:
	v_cndmask_b32_e64 v2, 0, 1.0, s[18:19]
	v_cvt_f16_f32_e32 v2, v2
	global_store_dword v[0:1], v2, off
.LBB70_235:
	s_mov_b64 s[26:27], 0
.LBB70_236:
	s_andn2_b64 vcc, exec, s[26:27]
	s_cbranch_vccnz .LBB70_245
; %bb.237:
	s_cmp_lt_i32 s30, 6
	s_mov_b64 s[26:27], -1
	s_cbranch_scc1 .LBB70_243
; %bb.238:
	s_cmp_gt_i32 s30, 6
	s_cbranch_scc0 .LBB70_240
; %bb.239:
	v_cndmask_b32_e64 v2, 0, 1, s[18:19]
	v_cvt_f64_u32_e32 v[2:3], v2
	s_mov_b64 s[26:27], 0
	global_store_dwordx2 v[0:1], v[2:3], off
.LBB70_240:
	s_andn2_b64 vcc, exec, s[26:27]
	s_cbranch_vccnz .LBB70_242
; %bb.241:
	v_cndmask_b32_e64 v2, 0, 1.0, s[18:19]
	global_store_dword v[0:1], v2, off
.LBB70_242:
	s_mov_b64 s[26:27], 0
.LBB70_243:
	s_andn2_b64 vcc, exec, s[26:27]
	s_cbranch_vccnz .LBB70_245
; %bb.244:
	v_cndmask_b32_e64 v2, 0, 1.0, s[18:19]
	v_cvt_f16_f32_e32 v2, v2
	global_store_short v[0:1], v2, off
.LBB70_245:
	s_mov_b64 s[26:27], 0
.LBB70_246:
	s_andn2_b64 vcc, exec, s[26:27]
	s_cbranch_vccnz .LBB70_262
; %bb.247:
	s_cmp_lt_i32 s30, 2
	s_mov_b64 s[26:27], -1
	s_cbranch_scc1 .LBB70_257
; %bb.248:
	s_cmp_lt_i32 s30, 3
	s_cbranch_scc1 .LBB70_254
; %bb.249:
	s_cmp_gt_i32 s30, 3
	s_cbranch_scc0 .LBB70_251
; %bb.250:
	s_mov_b32 s26, 0
	v_cndmask_b32_e64 v2, 0, 1, s[18:19]
	v_mov_b32_e32 v3, s26
	global_store_dwordx2 v[0:1], v[2:3], off
	s_mov_b64 s[26:27], 0
.LBB70_251:
	s_andn2_b64 vcc, exec, s[26:27]
	s_cbranch_vccnz .LBB70_253
; %bb.252:
	v_cndmask_b32_e64 v2, 0, 1, s[18:19]
	global_store_dword v[0:1], v2, off
.LBB70_253:
	s_mov_b64 s[26:27], 0
.LBB70_254:
	s_andn2_b64 vcc, exec, s[26:27]
	s_cbranch_vccnz .LBB70_256
; %bb.255:
	v_cndmask_b32_e64 v2, 0, 1, s[18:19]
	global_store_short v[0:1], v2, off
.LBB70_256:
	s_mov_b64 s[26:27], 0
.LBB70_257:
	s_andn2_b64 vcc, exec, s[26:27]
	s_cbranch_vccnz .LBB70_262
; %bb.258:
	s_mov_b64 s[26:27], -1
	s_cmp_gt_i32 s30, 0
	v_cndmask_b32_e64 v2, 0, 1, s[18:19]
	s_cbranch_scc0 .LBB70_260
; %bb.259:
	global_store_byte v[0:1], v2, off
	s_mov_b64 s[26:27], 0
.LBB70_260:
	s_andn2_b64 vcc, exec, s[26:27]
	s_cbranch_vccnz .LBB70_262
; %bb.261:
	global_store_byte v[0:1], v2, off
.LBB70_262:
	s_mov_b64 s[26:27], -1
.LBB70_263:
	s_andn2_b64 vcc, exec, s[26:27]
	s_cbranch_vccnz .LBB70_265
; %bb.264:
	v_add_u32_e32 v14, 0x80, v14
	s_mov_b64 s[26:27], -1
	s_branch .LBB70_374
.LBB70_265:
	s_mov_b64 s[26:27], 0
                                        ; implicit-def: $vgpr14
	s_branch .LBB70_374
.LBB70_266:
	s_mov_b64 s[20:21], -1
                                        ; implicit-def: $vgpr3
.LBB70_267:
	s_mov_b64 s[18:19], 0
.LBB70_268:
	s_and_b64 vcc, exec, s[18:19]
	s_cbranch_vccz .LBB70_272
; %bb.269:
	s_cmp_eq_u32 s27, 29
	s_cbranch_scc0 .LBB70_271
; %bb.270:
	global_load_dwordx2 v[3:4], v[1:2], off
	s_mov_b64 s[0:1], -1
	s_mov_b64 s[20:21], 0
	s_branch .LBB70_272
.LBB70_271:
	s_mov_b64 s[20:21], -1
                                        ; implicit-def: $vgpr3
.LBB70_272:
	s_mov_b64 s[18:19], 0
.LBB70_273:
	s_and_b64 vcc, exec, s[18:19]
	s_cbranch_vccz .LBB70_289
; %bb.274:
	s_cmp_lt_i32 s27, 27
	s_cbranch_scc1 .LBB70_277
; %bb.275:
	s_cmp_gt_i32 s27, 27
	s_cbranch_scc0 .LBB70_278
; %bb.276:
	global_load_dword v3, v[1:2], off
	s_mov_b64 s[0:1], 0
	s_branch .LBB70_279
.LBB70_277:
	s_mov_b64 s[0:1], -1
                                        ; implicit-def: $vgpr3
	s_branch .LBB70_282
.LBB70_278:
	s_mov_b64 s[0:1], -1
                                        ; implicit-def: $vgpr3
.LBB70_279:
	s_andn2_b64 vcc, exec, s[0:1]
	s_cbranch_vccnz .LBB70_281
; %bb.280:
	global_load_ushort v3, v[1:2], off
.LBB70_281:
	s_mov_b64 s[0:1], 0
.LBB70_282:
	s_andn2_b64 vcc, exec, s[0:1]
	s_cbranch_vccnz .LBB70_288
; %bb.283:
	global_load_ubyte v4, v[1:2], off
	s_movk_i32 s0, 0x7f
	s_mov_b64 s[18:19], 0
	s_waitcnt vmcnt(0)
	v_cmp_lt_i16_e32 vcc, s0, v4
	s_and_saveexec_b64 s[0:1], vcc
	s_xor_b64 s[0:1], exec, s[0:1]
	s_cbranch_execz .LBB70_300
; %bb.284:
	s_movk_i32 s18, 0x80
	v_cmp_ne_u16_e32 vcc, s18, v4
	s_and_b64 s[18:19], vcc, exec
	s_andn2_saveexec_b64 s[0:1], s[0:1]
	s_cbranch_execnz .LBB70_301
.LBB70_285:
	s_or_b64 exec, exec, s[0:1]
	v_mov_b32_e32 v3, 0
	s_and_saveexec_b64 s[0:1], s[18:19]
	s_cbranch_execz .LBB70_287
.LBB70_286:
	v_lshlrev_b32_e32 v3, 24, v4
	v_and_b32_e32 v4, 0xffff, v4
	v_and_b32_e32 v5, 7, v4
	v_ffbh_u32_e32 v7, v5
	v_min_u32_e32 v7, 32, v7
	v_subrev_u32_e32 v8, 28, v7
	v_bfe_u32 v6, v4, 3, 4
	v_lshlrev_b32_e32 v4, v8, v4
	v_sub_u32_e32 v7, 29, v7
	v_and_b32_e32 v4, 7, v4
	v_cmp_eq_u32_e32 vcc, 0, v6
	v_cndmask_b32_e32 v6, v6, v7, vcc
	v_cndmask_b32_e32 v4, v5, v4, vcc
	v_mov_b32_e32 v5, 0x3b800000
	v_lshlrev_b32_e32 v4, 20, v4
	v_and_b32_e32 v3, 0x80000000, v3
	v_lshl_add_u32 v5, v6, 23, v5
	v_or3_b32 v3, v3, v5, v4
	v_cvt_i32_f32_e32 v3, v3
.LBB70_287:
	s_or_b64 exec, exec, s[0:1]
.LBB70_288:
	s_mov_b64 s[0:1], -1
.LBB70_289:
	s_mov_b64 s[18:19], 0
.LBB70_290:
	s_and_b64 vcc, exec, s[18:19]
	s_cbranch_vccz .LBB70_323
; %bb.291:
	s_cmp_gt_i32 s27, 22
	s_cbranch_scc0 .LBB70_299
; %bb.292:
	s_cmp_lt_i32 s27, 24
	s_cbranch_scc1 .LBB70_302
; %bb.293:
	s_cmp_gt_i32 s27, 24
	s_cbranch_scc0 .LBB70_303
; %bb.294:
	global_load_ubyte v4, v[1:2], off
	s_movk_i32 s0, 0x7f
	s_mov_b64 s[18:19], 0
	s_waitcnt vmcnt(0)
	v_cmp_lt_i16_e32 vcc, s0, v4
	s_and_saveexec_b64 s[0:1], vcc
	s_xor_b64 s[0:1], exec, s[0:1]
	s_cbranch_execz .LBB70_315
; %bb.295:
	s_movk_i32 s18, 0x80
	v_cmp_ne_u16_e32 vcc, s18, v4
	s_and_b64 s[18:19], vcc, exec
	s_andn2_saveexec_b64 s[0:1], s[0:1]
	s_cbranch_execnz .LBB70_316
.LBB70_296:
	s_or_b64 exec, exec, s[0:1]
	v_mov_b32_e32 v3, 0
	s_and_saveexec_b64 s[0:1], s[18:19]
	s_cbranch_execz .LBB70_298
.LBB70_297:
	v_lshlrev_b32_e32 v3, 24, v4
	v_and_b32_e32 v4, 0xffff, v4
	v_and_b32_e32 v5, 3, v4
	v_ffbh_u32_e32 v7, v5
	v_min_u32_e32 v7, 32, v7
	v_subrev_u32_e32 v8, 29, v7
	v_bfe_u32 v6, v4, 2, 5
	v_lshlrev_b32_e32 v4, v8, v4
	v_sub_u32_e32 v7, 30, v7
	v_and_b32_e32 v4, 3, v4
	v_cmp_eq_u32_e32 vcc, 0, v6
	v_cndmask_b32_e32 v6, v6, v7, vcc
	v_cndmask_b32_e32 v4, v5, v4, vcc
	v_mov_b32_e32 v5, 0x37800000
	v_lshlrev_b32_e32 v4, 21, v4
	v_and_b32_e32 v3, 0x80000000, v3
	v_lshl_add_u32 v5, v6, 23, v5
	v_or3_b32 v3, v3, v5, v4
	v_cvt_i32_f32_e32 v3, v3
.LBB70_298:
	s_or_b64 exec, exec, s[0:1]
	s_mov_b64 s[0:1], 0
	s_branch .LBB70_304
.LBB70_299:
	s_mov_b64 s[18:19], -1
                                        ; implicit-def: $vgpr3
	s_branch .LBB70_310
.LBB70_300:
	s_andn2_saveexec_b64 s[0:1], s[0:1]
	s_cbranch_execz .LBB70_285
.LBB70_301:
	v_cmp_ne_u16_e32 vcc, 0, v4
	s_andn2_b64 s[18:19], s[18:19], exec
	s_and_b64 s[30:31], vcc, exec
	s_or_b64 s[18:19], s[18:19], s[30:31]
	s_or_b64 exec, exec, s[0:1]
	v_mov_b32_e32 v3, 0
	s_and_saveexec_b64 s[0:1], s[18:19]
	s_cbranch_execnz .LBB70_286
	s_branch .LBB70_287
.LBB70_302:
	s_mov_b64 s[0:1], -1
                                        ; implicit-def: $vgpr3
	s_branch .LBB70_307
.LBB70_303:
	s_mov_b64 s[0:1], -1
                                        ; implicit-def: $vgpr3
.LBB70_304:
	s_and_b64 vcc, exec, s[0:1]
	s_cbranch_vccz .LBB70_306
; %bb.305:
	global_load_ubyte v3, v[1:2], off
	s_mov_b32 s0, 0x7f800000
	s_waitcnt vmcnt(0)
	v_lshlrev_b32_e32 v3, 24, v3
	v_and_b32_e32 v4, 0x7f000000, v3
	v_ffbh_u32_e32 v5, v4
	v_min_u32_e32 v5, 32, v5
	v_sub_u32_e64 v5, v5, 4 clamp
	v_lshlrev_b32_e32 v7, v5, v4
	v_lshlrev_b32_e32 v5, 23, v5
	v_lshrrev_b32_e32 v7, 4, v7
	v_add_u32_e32 v6, 0x1000000, v4
	v_sub_u32_e32 v5, v7, v5
	v_ashrrev_i32_e32 v6, 8, v6
	v_add_u32_e32 v5, 0x3c000000, v5
	v_and_or_b32 v5, v6, s0, v5
	v_cmp_ne_u32_e32 vcc, 0, v4
	v_cndmask_b32_e32 v4, 0, v5, vcc
	s_brev_b32 s0, 1
	v_and_or_b32 v3, v3, s0, v4
	v_cvt_i32_f32_e32 v3, v3
.LBB70_306:
	s_mov_b64 s[0:1], 0
.LBB70_307:
	s_andn2_b64 vcc, exec, s[0:1]
	s_cbranch_vccnz .LBB70_309
; %bb.308:
	global_load_ubyte v3, v[1:2], off
	s_movk_i32 s0, 0x7f00
	s_brev_b32 s1, 16
	s_waitcnt vmcnt(0)
	v_lshlrev_b16_e32 v4, 8, v3
	v_lshlrev_b32_e32 v3, 25, v3
	v_lshrrev_b32_e32 v5, 4, v3
	v_and_or_b32 v6, v4, s0, 0.5
	v_or_b32_e32 v5, 0x70000000, v5
	v_add_f32_e32 v6, -0.5, v6
	v_mul_f32_e32 v5, 0x7800000, v5
	v_cmp_gt_u32_e32 vcc, s1, v3
	v_bfe_i32 v4, v4, 0, 16
	v_cndmask_b32_e32 v3, v5, v6, vcc
	s_brev_b32 s0, 1
	v_and_or_b32 v3, v4, s0, v3
	v_cvt_i32_f32_e32 v3, v3
.LBB70_309:
	s_mov_b64 s[18:19], 0
	s_mov_b64 s[0:1], -1
.LBB70_310:
	s_andn2_b64 vcc, exec, s[18:19]
	s_cbranch_vccnz .LBB70_323
; %bb.311:
	s_cmp_gt_i32 s27, 14
	s_cbranch_scc0 .LBB70_314
; %bb.312:
	s_cmp_eq_u32 s27, 15
	s_cbranch_scc0 .LBB70_317
; %bb.313:
	global_load_ushort v3, v[1:2], off
	s_mov_b64 s[0:1], -1
	s_mov_b64 s[20:21], 0
	s_waitcnt vmcnt(0)
	v_lshlrev_b32_e32 v3, 16, v3
	v_cvt_i32_f32_e32 v3, v3
	s_branch .LBB70_318
.LBB70_314:
	s_mov_b64 s[18:19], -1
                                        ; implicit-def: $vgpr3
	s_branch .LBB70_319
.LBB70_315:
	s_andn2_saveexec_b64 s[0:1], s[0:1]
	s_cbranch_execz .LBB70_296
.LBB70_316:
	v_cmp_ne_u16_e32 vcc, 0, v4
	s_andn2_b64 s[18:19], s[18:19], exec
	s_and_b64 s[30:31], vcc, exec
	s_or_b64 s[18:19], s[18:19], s[30:31]
	s_or_b64 exec, exec, s[0:1]
	v_mov_b32_e32 v3, 0
	s_and_saveexec_b64 s[0:1], s[18:19]
	s_cbranch_execnz .LBB70_297
	s_branch .LBB70_298
.LBB70_317:
	s_mov_b64 s[20:21], -1
                                        ; implicit-def: $vgpr3
.LBB70_318:
	s_mov_b64 s[18:19], 0
.LBB70_319:
	s_and_b64 vcc, exec, s[18:19]
	s_cbranch_vccz .LBB70_323
; %bb.320:
	s_cmp_eq_u32 s27, 11
	s_cbranch_scc0 .LBB70_322
; %bb.321:
	global_load_ubyte v3, v[1:2], off
	s_mov_b64 s[0:1], -1
	s_mov_b64 s[20:21], 0
	s_waitcnt vmcnt(0)
	v_cmp_ne_u16_e32 vcc, 0, v3
	v_cndmask_b32_e64 v3, 0, 1, vcc
	s_branch .LBB70_323
.LBB70_322:
	s_mov_b64 s[20:21], -1
                                        ; implicit-def: $vgpr3
.LBB70_323:
	s_branch .LBB70_20
.LBB70_324:
	s_and_b32 s18, 0xffff, s26
	s_cmp_lt_i32 s18, 5
	s_cbranch_scc1 .LBB70_329
; %bb.325:
	s_cmp_lt_i32 s18, 8
	s_cbranch_scc1 .LBB70_330
; %bb.326:
	;; [unrolled: 3-line block ×3, first 2 shown]
	s_cmp_gt_i32 s18, 9
	s_cbranch_scc0 .LBB70_332
; %bb.328:
	global_load_dwordx2 v[3:4], v[1:2], off
	s_mov_b64 s[0:1], 0
	s_waitcnt vmcnt(0)
	v_cvt_i32_f64_e32 v3, v[3:4]
	s_branch .LBB70_333
.LBB70_329:
	s_mov_b64 s[0:1], -1
                                        ; implicit-def: $vgpr3
	s_branch .LBB70_351
.LBB70_330:
	s_mov_b64 s[0:1], -1
                                        ; implicit-def: $vgpr3
	s_branch .LBB70_339
.LBB70_331:
	s_mov_b64 s[0:1], -1
                                        ; implicit-def: $vgpr3
	s_branch .LBB70_336
.LBB70_332:
	s_mov_b64 s[0:1], -1
                                        ; implicit-def: $vgpr3
.LBB70_333:
	s_andn2_b64 vcc, exec, s[0:1]
	s_cbranch_vccnz .LBB70_335
; %bb.334:
	global_load_dword v3, v[1:2], off
	s_waitcnt vmcnt(0)
	v_cvt_i32_f32_e32 v3, v3
.LBB70_335:
	s_mov_b64 s[0:1], 0
.LBB70_336:
	s_andn2_b64 vcc, exec, s[0:1]
	s_cbranch_vccnz .LBB70_338
; %bb.337:
	global_load_dword v3, v[1:2], off
	s_waitcnt vmcnt(0)
	v_cvt_i16_f16_e32 v3, v3
.LBB70_338:
	s_mov_b64 s[0:1], 0
.LBB70_339:
	s_andn2_b64 vcc, exec, s[0:1]
	s_cbranch_vccnz .LBB70_350
; %bb.340:
	s_cmp_lt_i32 s18, 6
	s_cbranch_scc1 .LBB70_343
; %bb.341:
	s_cmp_gt_i32 s18, 6
	s_cbranch_scc0 .LBB70_344
; %bb.342:
	global_load_dwordx2 v[3:4], v[1:2], off
	s_mov_b64 s[0:1], 0
	s_waitcnt vmcnt(0)
	v_cvt_i32_f64_e32 v3, v[3:4]
	s_branch .LBB70_345
.LBB70_343:
	s_mov_b64 s[0:1], -1
                                        ; implicit-def: $vgpr3
	s_branch .LBB70_348
.LBB70_344:
	s_mov_b64 s[0:1], -1
                                        ; implicit-def: $vgpr3
.LBB70_345:
	s_andn2_b64 vcc, exec, s[0:1]
	s_cbranch_vccnz .LBB70_347
; %bb.346:
	global_load_dword v3, v[1:2], off
	s_waitcnt vmcnt(0)
	v_cvt_i32_f32_e32 v3, v3
.LBB70_347:
	s_mov_b64 s[0:1], 0
.LBB70_348:
	s_andn2_b64 vcc, exec, s[0:1]
	s_cbranch_vccnz .LBB70_350
; %bb.349:
	global_load_ushort v3, v[1:2], off
	s_waitcnt vmcnt(0)
	v_cvt_i16_f16_e32 v3, v3
.LBB70_350:
	s_mov_b64 s[0:1], 0
.LBB70_351:
	s_andn2_b64 vcc, exec, s[0:1]
	s_cbranch_vccnz .LBB70_371
; %bb.352:
	s_cmp_lt_i32 s18, 2
	s_cbranch_scc1 .LBB70_356
; %bb.353:
	s_cmp_lt_i32 s18, 3
	s_cbranch_scc1 .LBB70_357
; %bb.354:
	s_cmp_gt_i32 s18, 3
	s_cbranch_scc0 .LBB70_358
; %bb.355:
	global_load_dwordx2 v[3:4], v[1:2], off
	s_mov_b64 s[0:1], 0
	s_branch .LBB70_359
.LBB70_356:
	s_mov_b64 s[0:1], -1
                                        ; implicit-def: $vgpr3
	s_branch .LBB70_365
.LBB70_357:
	s_mov_b64 s[0:1], -1
                                        ; implicit-def: $vgpr3
	s_branch .LBB70_362
.LBB70_358:
	s_mov_b64 s[0:1], -1
                                        ; implicit-def: $vgpr3
.LBB70_359:
	s_andn2_b64 vcc, exec, s[0:1]
	s_cbranch_vccnz .LBB70_361
; %bb.360:
	global_load_dword v3, v[1:2], off
.LBB70_361:
	s_mov_b64 s[0:1], 0
.LBB70_362:
	s_andn2_b64 vcc, exec, s[0:1]
	s_cbranch_vccnz .LBB70_364
; %bb.363:
	global_load_ushort v3, v[1:2], off
.LBB70_364:
	s_mov_b64 s[0:1], 0
.LBB70_365:
	s_andn2_b64 vcc, exec, s[0:1]
	s_cbranch_vccnz .LBB70_371
; %bb.366:
	s_cmp_gt_i32 s18, 0
	s_cbranch_scc0 .LBB70_368
; %bb.367:
	global_load_sbyte v3, v[1:2], off
	s_mov_b64 s[0:1], 0
	s_branch .LBB70_369
.LBB70_368:
	s_mov_b64 s[0:1], -1
                                        ; implicit-def: $vgpr3
.LBB70_369:
	s_andn2_b64 vcc, exec, s[0:1]
	s_cbranch_vccnz .LBB70_371
; %bb.370:
	global_load_ubyte v3, v[1:2], off
.LBB70_371:
	s_branch .LBB70_21
.LBB70_372:
	s_mov_b64 s[0:1], 0
.LBB70_373:
                                        ; implicit-def: $vgpr14
	s_mov_b64 s[26:27], 0
.LBB70_374:
	s_and_b64 s[18:19], s[0:1], exec
	s_and_b64 s[20:21], s[20:21], exec
	;; [unrolled: 1-line block ×3, first 2 shown]
	s_orn2_b64 s[0:1], s[26:27], exec
.LBB70_375:
	s_or_b64 exec, exec, s[24:25]
	s_mov_b64 s[34:35], 0
	s_mov_b64 s[30:31], 0
                                        ; implicit-def: $sgpr58
                                        ; implicit-def: $vgpr2_vgpr3
                                        ; implicit-def: $vgpr0
	s_and_saveexec_b64 s[24:25], s[0:1]
	s_cbranch_execz .LBB70_384
; %bb.376:
	v_cmp_gt_i32_e32 vcc, s50, v14
	s_mov_b64 s[0:1], -1
	s_mov_b64 s[26:27], s[22:23]
	s_mov_b64 s[28:29], s[20:21]
	;; [unrolled: 1-line block ×3, first 2 shown]
	s_and_saveexec_b64 s[34:35], vcc
	s_cbranch_execz .LBB70_757
; %bb.377:
	s_waitcnt vmcnt(0)
	v_mul_lo_u32 v0, v14, s13
	v_mov_b32_e32 v1, s11
	s_and_b32 s30, s57, 0xff
	s_cmp_lt_i32 s30, 11
	v_ashrrev_i32_e32 v3, 31, v0
	v_add_co_u32_e32 v2, vcc, s10, v0
	v_addc_co_u32_e32 v3, vcc, v1, v3, vcc
	s_cbranch_scc1 .LBB70_387
; %bb.378:
	s_and_b32 s31, 0xffff, s30
	s_cmp_gt_i32 s31, 25
	s_cbranch_scc0 .LBB70_396
; %bb.379:
	s_cmp_gt_i32 s31, 28
	s_cbranch_scc0 .LBB70_398
; %bb.380:
	;; [unrolled: 3-line block ×4, first 2 shown]
	s_cmp_eq_u32 s31, 46
	s_mov_b64 s[28:29], 0
	s_cbranch_scc0 .LBB70_406
; %bb.383:
	global_load_dword v0, v[2:3], off
	s_mov_b64 s[26:27], 0
	s_waitcnt vmcnt(0)
	v_lshlrev_b32_e32 v0, 16, v0
	v_cvt_i32_f32_e32 v0, v0
	s_branch .LBB70_407
.LBB70_384:
	s_or_b64 exec, exec, s[24:25]
	s_mov_b64 s[24:25], 0
	s_and_saveexec_b64 s[0:1], s[22:23]
	s_cbranch_execnz .LBB70_1220
.LBB70_385:
	s_or_b64 exec, exec, s[0:1]
	s_and_saveexec_b64 s[0:1], s[28:29]
	s_xor_b64 s[0:1], exec, s[0:1]
	s_cbranch_execz .LBB70_1221
.LBB70_386:
	s_waitcnt vmcnt(0)
	global_load_ubyte v0, v[2:3], off
	s_or_b64 s[30:31], s[30:31], exec
	s_waitcnt vmcnt(0)
	v_cmp_ne_u16_e32 vcc, 0, v0
	v_cndmask_b32_e64 v0, 0, 1, vcc
	s_or_b64 exec, exec, s[0:1]
	s_and_saveexec_b64 s[0:1], s[34:35]
	s_cbranch_execz .LBB70_1267
	s_branch .LBB70_1222
.LBB70_387:
	s_mov_b64 s[0:1], 0
                                        ; implicit-def: $vgpr0
	s_mov_b64 s[26:27], s[22:23]
	s_cbranch_execnz .LBB70_469
.LBB70_388:
	s_andn2_b64 vcc, exec, s[0:1]
	s_cbranch_vccnz .LBB70_517
.LBB70_389:
	s_waitcnt vmcnt(0)
	v_mul_lo_u32 v1, v14, s14
	v_mov_b32_e32 v2, s3
	s_and_b32 s36, s56, 0xff
	s_cmp_lt_i32 s36, 11
	v_ashrrev_i32_e32 v3, 31, v1
	v_add_co_u32_e32 v1, vcc, s2, v1
	v_addc_co_u32_e32 v2, vcc, v2, v3, vcc
	s_cbranch_scc1 .LBB70_397
; %bb.390:
	s_and_b32 s37, 0xffff, s36
	s_cmp_gt_i32 s37, 25
	s_cbranch_scc0 .LBB70_399
; %bb.391:
	s_cmp_gt_i32 s37, 28
	s_cbranch_scc0 .LBB70_401
; %bb.392:
	;; [unrolled: 3-line block ×4, first 2 shown]
	s_cmp_eq_u32 s37, 46
	s_mov_b64 s[30:31], 0
	s_cbranch_scc0 .LBB70_521
; %bb.395:
	global_load_dword v3, v[1:2], off
	s_mov_b64 s[0:1], -1
	s_mov_b64 s[28:29], 0
	s_waitcnt vmcnt(0)
	v_lshlrev_b32_e32 v3, 16, v3
	v_cvt_i32_f32_e32 v3, v3
	s_branch .LBB70_522
.LBB70_396:
	s_mov_b64 s[28:29], -1
	s_mov_b64 s[0:1], 0
	s_mov_b64 s[26:27], s[22:23]
                                        ; implicit-def: $vgpr0
	s_branch .LBB70_435
.LBB70_397:
	s_mov_b64 s[30:31], -1
	s_mov_b64 s[0:1], 0
                                        ; implicit-def: $vgpr3
	s_mov_b64 s[28:29], s[20:21]
	s_branch .LBB70_583
.LBB70_398:
	s_mov_b64 s[28:29], -1
	s_mov_b64 s[0:1], 0
	s_mov_b64 s[26:27], s[22:23]
                                        ; implicit-def: $vgpr0
	s_branch .LBB70_418
.LBB70_399:
	s_mov_b64 s[30:31], -1
	s_mov_b64 s[0:1], 0
	s_mov_b64 s[28:29], s[20:21]
                                        ; implicit-def: $vgpr3
	s_branch .LBB70_549
.LBB70_400:
	s_mov_b64 s[28:29], -1
	s_mov_b64 s[0:1], 0
	s_mov_b64 s[26:27], s[22:23]
                                        ; implicit-def: $vgpr0
	s_branch .LBB70_413
.LBB70_401:
	s_mov_b64 s[30:31], -1
	s_mov_b64 s[0:1], 0
	s_mov_b64 s[28:29], s[20:21]
                                        ; implicit-def: $vgpr3
	s_branch .LBB70_532
.LBB70_402:
	s_mov_b64 s[28:29], -1
	s_mov_b64 s[0:1], 0
	s_mov_b64 s[26:27], s[22:23]
                                        ; implicit-def: $vgpr0
	s_branch .LBB70_407
.LBB70_403:
	s_mov_b64 s[30:31], -1
	s_mov_b64 s[0:1], 0
	s_mov_b64 s[28:29], s[20:21]
                                        ; implicit-def: $vgpr3
	s_branch .LBB70_527
.LBB70_404:
	s_andn2_saveexec_b64 s[34:35], s[34:35]
	s_cbranch_execz .LBB70_176
.LBB70_405:
	v_add_f32_e32 v2, 0x46000000, v3
	v_and_b32_e32 v2, 0xff, v2
	v_cmp_ne_u32_e32 vcc, 0, v2
	s_andn2_b64 s[30:31], s[30:31], exec
	s_and_b64 s[38:39], vcc, exec
	s_or_b64 s[30:31], s[30:31], s[38:39]
	s_or_b64 exec, exec, s[34:35]
	v_mov_b32_e32 v4, 0
	s_and_saveexec_b64 s[34:35], s[30:31]
	s_cbranch_execnz .LBB70_177
	s_branch .LBB70_178
.LBB70_406:
	s_mov_b64 s[26:27], -1
                                        ; implicit-def: $vgpr0
	s_mov_b64 s[0:1], 0
.LBB70_407:
	s_and_b64 vcc, exec, s[28:29]
	s_cbranch_vccz .LBB70_412
; %bb.408:
	s_cmp_eq_u32 s31, 44
	s_cbranch_scc0 .LBB70_411
; %bb.409:
	global_load_ubyte v0, v[2:3], off
	s_mov_b64 s[0:1], -1
	s_mov_b64 s[26:27], 0
	s_waitcnt vmcnt(0)
	v_lshlrev_b32_e32 v1, 23, v0
	v_cvt_i32_f32_e32 v1, v1
	v_cmp_ne_u32_e32 vcc, 0, v0
	v_cndmask_b32_e32 v0, 0, v1, vcc
	s_branch .LBB70_412
.LBB70_410:
	s_mov_b64 s[30:31], -1
	s_mov_b64 s[0:1], 0
	s_mov_b64 s[28:29], s[20:21]
                                        ; implicit-def: $vgpr3
	s_branch .LBB70_522
.LBB70_411:
	s_mov_b64 s[26:27], -1
                                        ; implicit-def: $vgpr0
.LBB70_412:
	s_mov_b64 s[28:29], 0
.LBB70_413:
	s_and_b64 vcc, exec, s[28:29]
	s_cbranch_vccz .LBB70_417
; %bb.414:
	s_cmp_eq_u32 s31, 29
	s_cbranch_scc0 .LBB70_416
; %bb.415:
	global_load_dwordx2 v[0:1], v[2:3], off
	s_mov_b64 s[0:1], -1
	s_mov_b64 s[26:27], 0
	s_branch .LBB70_417
.LBB70_416:
	s_mov_b64 s[26:27], -1
                                        ; implicit-def: $vgpr0
.LBB70_417:
	s_mov_b64 s[28:29], 0
.LBB70_418:
	s_and_b64 vcc, exec, s[28:29]
	s_cbranch_vccz .LBB70_434
; %bb.419:
	s_cmp_lt_i32 s31, 27
	s_cbranch_scc1 .LBB70_422
; %bb.420:
	s_cmp_gt_i32 s31, 27
	s_cbranch_scc0 .LBB70_423
; %bb.421:
	global_load_dword v0, v[2:3], off
	s_mov_b64 s[0:1], 0
	s_branch .LBB70_424
.LBB70_422:
	s_mov_b64 s[0:1], -1
                                        ; implicit-def: $vgpr0
	s_branch .LBB70_427
.LBB70_423:
	s_mov_b64 s[0:1], -1
                                        ; implicit-def: $vgpr0
.LBB70_424:
	s_andn2_b64 vcc, exec, s[0:1]
	s_cbranch_vccnz .LBB70_426
; %bb.425:
	global_load_ushort v0, v[2:3], off
.LBB70_426:
	s_mov_b64 s[0:1], 0
.LBB70_427:
	s_andn2_b64 vcc, exec, s[0:1]
	s_cbranch_vccnz .LBB70_433
; %bb.428:
	global_load_ubyte v1, v[2:3], off
	s_movk_i32 s0, 0x7f
	s_mov_b64 s[28:29], 0
	s_waitcnt vmcnt(0)
	v_cmp_lt_i16_e32 vcc, s0, v1
	s_and_saveexec_b64 s[0:1], vcc
	s_xor_b64 s[0:1], exec, s[0:1]
	s_cbranch_execz .LBB70_445
; %bb.429:
	s_movk_i32 s28, 0x80
	v_cmp_ne_u16_e32 vcc, s28, v1
	s_and_b64 s[28:29], vcc, exec
	s_andn2_saveexec_b64 s[0:1], s[0:1]
	s_cbranch_execnz .LBB70_446
.LBB70_430:
	s_or_b64 exec, exec, s[0:1]
	v_mov_b32_e32 v0, 0
	s_and_saveexec_b64 s[0:1], s[28:29]
	s_cbranch_execz .LBB70_432
.LBB70_431:
	v_lshlrev_b32_e32 v0, 24, v1
	v_and_b32_e32 v1, 0xffff, v1
	v_and_b32_e32 v4, 7, v1
	v_ffbh_u32_e32 v6, v4
	v_min_u32_e32 v6, 32, v6
	v_subrev_u32_e32 v7, 28, v6
	v_bfe_u32 v5, v1, 3, 4
	v_lshlrev_b32_e32 v1, v7, v1
	v_sub_u32_e32 v6, 29, v6
	v_and_b32_e32 v1, 7, v1
	v_cmp_eq_u32_e32 vcc, 0, v5
	v_cndmask_b32_e32 v5, v5, v6, vcc
	v_cndmask_b32_e32 v1, v4, v1, vcc
	v_mov_b32_e32 v4, 0x3b800000
	v_lshlrev_b32_e32 v1, 20, v1
	v_and_b32_e32 v0, 0x80000000, v0
	v_lshl_add_u32 v4, v5, 23, v4
	v_or3_b32 v0, v0, v4, v1
	v_cvt_i32_f32_e32 v0, v0
.LBB70_432:
	s_or_b64 exec, exec, s[0:1]
.LBB70_433:
	s_mov_b64 s[0:1], -1
.LBB70_434:
	s_mov_b64 s[28:29], 0
.LBB70_435:
	s_and_b64 vcc, exec, s[28:29]
	s_cbranch_vccz .LBB70_468
; %bb.436:
	s_cmp_gt_i32 s31, 22
	s_cbranch_scc0 .LBB70_444
; %bb.437:
	s_cmp_lt_i32 s31, 24
	s_cbranch_scc1 .LBB70_447
; %bb.438:
	s_cmp_gt_i32 s31, 24
	s_cbranch_scc0 .LBB70_448
; %bb.439:
	global_load_ubyte v1, v[2:3], off
	s_movk_i32 s0, 0x7f
	s_mov_b64 s[28:29], 0
	s_waitcnt vmcnt(0)
	v_cmp_lt_i16_e32 vcc, s0, v1
	s_and_saveexec_b64 s[0:1], vcc
	s_xor_b64 s[0:1], exec, s[0:1]
	s_cbranch_execz .LBB70_460
; %bb.440:
	s_movk_i32 s28, 0x80
	v_cmp_ne_u16_e32 vcc, s28, v1
	s_and_b64 s[28:29], vcc, exec
	s_andn2_saveexec_b64 s[0:1], s[0:1]
	s_cbranch_execnz .LBB70_461
.LBB70_441:
	s_or_b64 exec, exec, s[0:1]
	v_mov_b32_e32 v0, 0
	s_and_saveexec_b64 s[0:1], s[28:29]
	s_cbranch_execz .LBB70_443
.LBB70_442:
	v_lshlrev_b32_e32 v0, 24, v1
	v_and_b32_e32 v1, 0xffff, v1
	v_and_b32_e32 v4, 3, v1
	v_ffbh_u32_e32 v6, v4
	v_min_u32_e32 v6, 32, v6
	v_subrev_u32_e32 v7, 29, v6
	v_bfe_u32 v5, v1, 2, 5
	v_lshlrev_b32_e32 v1, v7, v1
	v_sub_u32_e32 v6, 30, v6
	v_and_b32_e32 v1, 3, v1
	v_cmp_eq_u32_e32 vcc, 0, v5
	v_cndmask_b32_e32 v5, v5, v6, vcc
	v_cndmask_b32_e32 v1, v4, v1, vcc
	v_mov_b32_e32 v4, 0x37800000
	v_lshlrev_b32_e32 v1, 21, v1
	v_and_b32_e32 v0, 0x80000000, v0
	v_lshl_add_u32 v4, v5, 23, v4
	v_or3_b32 v0, v0, v4, v1
	v_cvt_i32_f32_e32 v0, v0
.LBB70_443:
	s_or_b64 exec, exec, s[0:1]
	s_mov_b64 s[0:1], 0
	s_branch .LBB70_449
.LBB70_444:
	s_mov_b64 s[28:29], -1
                                        ; implicit-def: $vgpr0
	s_branch .LBB70_455
.LBB70_445:
	s_andn2_saveexec_b64 s[0:1], s[0:1]
	s_cbranch_execz .LBB70_430
.LBB70_446:
	v_cmp_ne_u16_e32 vcc, 0, v1
	s_andn2_b64 s[28:29], s[28:29], exec
	s_and_b64 s[36:37], vcc, exec
	s_or_b64 s[28:29], s[28:29], s[36:37]
	s_or_b64 exec, exec, s[0:1]
	v_mov_b32_e32 v0, 0
	s_and_saveexec_b64 s[0:1], s[28:29]
	s_cbranch_execnz .LBB70_431
	s_branch .LBB70_432
.LBB70_447:
	s_mov_b64 s[0:1], -1
                                        ; implicit-def: $vgpr0
	s_branch .LBB70_452
.LBB70_448:
	s_mov_b64 s[0:1], -1
                                        ; implicit-def: $vgpr0
.LBB70_449:
	s_and_b64 vcc, exec, s[0:1]
	s_cbranch_vccz .LBB70_451
; %bb.450:
	global_load_ubyte v0, v[2:3], off
	s_mov_b32 s0, 0x7f800000
	s_waitcnt vmcnt(0)
	v_lshlrev_b32_e32 v0, 24, v0
	v_and_b32_e32 v1, 0x7f000000, v0
	v_ffbh_u32_e32 v4, v1
	v_min_u32_e32 v4, 32, v4
	v_sub_u32_e64 v4, v4, 4 clamp
	v_lshlrev_b32_e32 v6, v4, v1
	v_lshlrev_b32_e32 v4, 23, v4
	v_lshrrev_b32_e32 v6, 4, v6
	v_add_u32_e32 v5, 0x1000000, v1
	v_sub_u32_e32 v4, v6, v4
	v_ashrrev_i32_e32 v5, 8, v5
	v_add_u32_e32 v4, 0x3c000000, v4
	v_and_or_b32 v4, v5, s0, v4
	v_cmp_ne_u32_e32 vcc, 0, v1
	v_cndmask_b32_e32 v1, 0, v4, vcc
	s_brev_b32 s0, 1
	v_and_or_b32 v0, v0, s0, v1
	v_cvt_i32_f32_e32 v0, v0
.LBB70_451:
	s_mov_b64 s[0:1], 0
.LBB70_452:
	s_andn2_b64 vcc, exec, s[0:1]
	s_cbranch_vccnz .LBB70_454
; %bb.453:
	global_load_ubyte v0, v[2:3], off
	s_movk_i32 s0, 0x7f00
	s_brev_b32 s1, 16
	s_waitcnt vmcnt(0)
	v_lshlrev_b16_e32 v1, 8, v0
	v_lshlrev_b32_e32 v0, 25, v0
	v_lshrrev_b32_e32 v4, 4, v0
	v_and_or_b32 v5, v1, s0, 0.5
	v_or_b32_e32 v4, 0x70000000, v4
	v_add_f32_e32 v5, -0.5, v5
	v_mul_f32_e32 v4, 0x7800000, v4
	v_cmp_gt_u32_e32 vcc, s1, v0
	v_bfe_i32 v1, v1, 0, 16
	v_cndmask_b32_e32 v0, v4, v5, vcc
	s_brev_b32 s0, 1
	v_and_or_b32 v0, v1, s0, v0
	v_cvt_i32_f32_e32 v0, v0
.LBB70_454:
	s_mov_b64 s[28:29], 0
	s_mov_b64 s[0:1], -1
.LBB70_455:
	s_andn2_b64 vcc, exec, s[28:29]
	s_cbranch_vccnz .LBB70_468
; %bb.456:
	s_cmp_gt_i32 s31, 14
	s_cbranch_scc0 .LBB70_459
; %bb.457:
	s_cmp_eq_u32 s31, 15
	s_cbranch_scc0 .LBB70_462
; %bb.458:
	global_load_ushort v0, v[2:3], off
	s_mov_b64 s[0:1], -1
	s_mov_b64 s[26:27], 0
	s_waitcnt vmcnt(0)
	v_lshlrev_b32_e32 v0, 16, v0
	v_cvt_i32_f32_e32 v0, v0
	s_branch .LBB70_463
.LBB70_459:
	s_mov_b64 s[28:29], -1
                                        ; implicit-def: $vgpr0
	s_branch .LBB70_464
.LBB70_460:
	s_andn2_saveexec_b64 s[0:1], s[0:1]
	s_cbranch_execz .LBB70_441
.LBB70_461:
	v_cmp_ne_u16_e32 vcc, 0, v1
	s_andn2_b64 s[28:29], s[28:29], exec
	s_and_b64 s[36:37], vcc, exec
	s_or_b64 s[28:29], s[28:29], s[36:37]
	s_or_b64 exec, exec, s[0:1]
	v_mov_b32_e32 v0, 0
	s_and_saveexec_b64 s[0:1], s[28:29]
	s_cbranch_execnz .LBB70_442
	s_branch .LBB70_443
.LBB70_462:
	s_mov_b64 s[26:27], -1
                                        ; implicit-def: $vgpr0
.LBB70_463:
	s_mov_b64 s[28:29], 0
.LBB70_464:
	s_and_b64 vcc, exec, s[28:29]
	s_cbranch_vccz .LBB70_468
; %bb.465:
	s_cmp_eq_u32 s31, 11
	s_cbranch_scc0 .LBB70_467
; %bb.466:
	global_load_ubyte v0, v[2:3], off
	s_mov_b64 s[0:1], -1
	s_mov_b64 s[26:27], 0
	s_waitcnt vmcnt(0)
	v_cmp_ne_u16_e32 vcc, 0, v0
	v_cndmask_b32_e64 v0, 0, 1, vcc
	s_branch .LBB70_468
.LBB70_467:
	s_mov_b64 s[26:27], -1
                                        ; implicit-def: $vgpr0
.LBB70_468:
	s_branch .LBB70_388
.LBB70_469:
	s_and_b32 s28, 0xffff, s30
	s_cmp_lt_i32 s28, 5
	s_cbranch_scc1 .LBB70_474
; %bb.470:
	s_cmp_lt_i32 s28, 8
	s_cbranch_scc1 .LBB70_475
; %bb.471:
	;; [unrolled: 3-line block ×3, first 2 shown]
	s_cmp_gt_i32 s28, 9
	s_cbranch_scc0 .LBB70_477
; %bb.473:
	global_load_dwordx2 v[0:1], v[2:3], off
	s_mov_b64 s[0:1], 0
	s_waitcnt vmcnt(0)
	v_cvt_i32_f64_e32 v0, v[0:1]
	s_branch .LBB70_478
.LBB70_474:
	s_mov_b64 s[0:1], -1
                                        ; implicit-def: $vgpr0
	s_branch .LBB70_496
.LBB70_475:
	s_mov_b64 s[0:1], -1
                                        ; implicit-def: $vgpr0
	s_branch .LBB70_484
.LBB70_476:
	s_mov_b64 s[0:1], -1
                                        ; implicit-def: $vgpr0
	s_branch .LBB70_481
.LBB70_477:
	s_mov_b64 s[0:1], -1
                                        ; implicit-def: $vgpr0
.LBB70_478:
	s_andn2_b64 vcc, exec, s[0:1]
	s_cbranch_vccnz .LBB70_480
; %bb.479:
	global_load_dword v0, v[2:3], off
	s_waitcnt vmcnt(0)
	v_cvt_i32_f32_e32 v0, v0
.LBB70_480:
	s_mov_b64 s[0:1], 0
.LBB70_481:
	s_andn2_b64 vcc, exec, s[0:1]
	s_cbranch_vccnz .LBB70_483
; %bb.482:
	global_load_dword v0, v[2:3], off
	s_waitcnt vmcnt(0)
	v_cvt_i16_f16_e32 v0, v0
.LBB70_483:
	s_mov_b64 s[0:1], 0
.LBB70_484:
	s_andn2_b64 vcc, exec, s[0:1]
	s_cbranch_vccnz .LBB70_495
; %bb.485:
	s_cmp_lt_i32 s28, 6
	s_cbranch_scc1 .LBB70_488
; %bb.486:
	s_cmp_gt_i32 s28, 6
	s_cbranch_scc0 .LBB70_489
; %bb.487:
	global_load_dwordx2 v[0:1], v[2:3], off
	s_mov_b64 s[0:1], 0
	s_waitcnt vmcnt(0)
	v_cvt_i32_f64_e32 v0, v[0:1]
	s_branch .LBB70_490
.LBB70_488:
	s_mov_b64 s[0:1], -1
                                        ; implicit-def: $vgpr0
	s_branch .LBB70_493
.LBB70_489:
	s_mov_b64 s[0:1], -1
                                        ; implicit-def: $vgpr0
.LBB70_490:
	s_andn2_b64 vcc, exec, s[0:1]
	s_cbranch_vccnz .LBB70_492
; %bb.491:
	global_load_dword v0, v[2:3], off
	s_waitcnt vmcnt(0)
	v_cvt_i32_f32_e32 v0, v0
.LBB70_492:
	s_mov_b64 s[0:1], 0
.LBB70_493:
	s_andn2_b64 vcc, exec, s[0:1]
	s_cbranch_vccnz .LBB70_495
; %bb.494:
	global_load_ushort v0, v[2:3], off
	s_waitcnt vmcnt(0)
	v_cvt_i16_f16_e32 v0, v0
.LBB70_495:
	s_mov_b64 s[0:1], 0
.LBB70_496:
	s_andn2_b64 vcc, exec, s[0:1]
	s_cbranch_vccnz .LBB70_516
; %bb.497:
	s_cmp_lt_i32 s28, 2
	s_cbranch_scc1 .LBB70_501
; %bb.498:
	s_cmp_lt_i32 s28, 3
	s_cbranch_scc1 .LBB70_502
; %bb.499:
	s_cmp_gt_i32 s28, 3
	s_cbranch_scc0 .LBB70_503
; %bb.500:
	global_load_dwordx2 v[0:1], v[2:3], off
	s_mov_b64 s[0:1], 0
	s_branch .LBB70_504
.LBB70_501:
	s_mov_b64 s[0:1], -1
                                        ; implicit-def: $vgpr0
	s_branch .LBB70_510
.LBB70_502:
	s_mov_b64 s[0:1], -1
                                        ; implicit-def: $vgpr0
	s_branch .LBB70_507
.LBB70_503:
	s_mov_b64 s[0:1], -1
                                        ; implicit-def: $vgpr0
.LBB70_504:
	s_andn2_b64 vcc, exec, s[0:1]
	s_cbranch_vccnz .LBB70_506
; %bb.505:
	global_load_dword v0, v[2:3], off
.LBB70_506:
	s_mov_b64 s[0:1], 0
.LBB70_507:
	s_andn2_b64 vcc, exec, s[0:1]
	s_cbranch_vccnz .LBB70_509
; %bb.508:
	global_load_ushort v0, v[2:3], off
.LBB70_509:
	s_mov_b64 s[0:1], 0
.LBB70_510:
	s_andn2_b64 vcc, exec, s[0:1]
	s_cbranch_vccnz .LBB70_516
; %bb.511:
	s_cmp_gt_i32 s28, 0
	s_cbranch_scc0 .LBB70_513
; %bb.512:
	global_load_sbyte v0, v[2:3], off
	s_mov_b64 s[0:1], 0
	s_branch .LBB70_514
.LBB70_513:
	s_mov_b64 s[0:1], -1
                                        ; implicit-def: $vgpr0
.LBB70_514:
	s_andn2_b64 vcc, exec, s[0:1]
	s_cbranch_vccnz .LBB70_516
; %bb.515:
	global_load_ubyte v0, v[2:3], off
.LBB70_516:
	s_branch .LBB70_389
.LBB70_517:
	s_mov_b64 s[36:37], 0
	s_mov_b64 s[0:1], s[18:19]
	;; [unrolled: 1-line block ×3, first 2 shown]
.LBB70_518:
                                        ; implicit-def: $vgpr14
	s_branch .LBB70_756
.LBB70_519:
	s_andn2_saveexec_b64 s[34:35], s[34:35]
	s_cbranch_execz .LBB70_189
.LBB70_520:
	v_add_f32_e32 v2, 0x42800000, v3
	v_and_b32_e32 v2, 0xff, v2
	v_cmp_ne_u32_e32 vcc, 0, v2
	s_andn2_b64 s[30:31], s[30:31], exec
	s_and_b64 s[38:39], vcc, exec
	s_or_b64 s[30:31], s[30:31], s[38:39]
	s_or_b64 exec, exec, s[34:35]
	v_mov_b32_e32 v4, 0
	s_and_saveexec_b64 s[34:35], s[30:31]
	s_cbranch_execnz .LBB70_190
	s_branch .LBB70_191
.LBB70_521:
	s_mov_b64 s[28:29], -1
                                        ; implicit-def: $vgpr3
	s_mov_b64 s[0:1], 0
.LBB70_522:
	s_and_b64 vcc, exec, s[30:31]
	s_cbranch_vccz .LBB70_526
; %bb.523:
	s_cmp_eq_u32 s37, 44
	s_cbranch_scc0 .LBB70_525
; %bb.524:
	global_load_ubyte v3, v[1:2], off
	s_mov_b64 s[0:1], -1
	s_mov_b64 s[28:29], 0
	s_waitcnt vmcnt(0)
	v_lshlrev_b32_e32 v4, 23, v3
	v_cvt_i32_f32_e32 v4, v4
	v_cmp_ne_u32_e32 vcc, 0, v3
	v_cndmask_b32_e32 v3, 0, v4, vcc
	s_branch .LBB70_526
.LBB70_525:
	s_mov_b64 s[28:29], -1
                                        ; implicit-def: $vgpr3
.LBB70_526:
	s_mov_b64 s[30:31], 0
.LBB70_527:
	s_and_b64 vcc, exec, s[30:31]
	s_cbranch_vccz .LBB70_531
; %bb.528:
	s_cmp_eq_u32 s37, 29
	s_cbranch_scc0 .LBB70_530
; %bb.529:
	global_load_dwordx2 v[3:4], v[1:2], off
	s_mov_b64 s[0:1], -1
	s_mov_b64 s[28:29], 0
	s_branch .LBB70_531
.LBB70_530:
	s_mov_b64 s[28:29], -1
                                        ; implicit-def: $vgpr3
.LBB70_531:
	s_mov_b64 s[30:31], 0
.LBB70_532:
	s_and_b64 vcc, exec, s[30:31]
	s_cbranch_vccz .LBB70_548
; %bb.533:
	s_cmp_lt_i32 s37, 27
	s_cbranch_scc1 .LBB70_536
; %bb.534:
	s_cmp_gt_i32 s37, 27
	s_cbranch_scc0 .LBB70_537
; %bb.535:
	global_load_dword v3, v[1:2], off
	s_mov_b64 s[0:1], 0
	s_branch .LBB70_538
.LBB70_536:
	s_mov_b64 s[0:1], -1
                                        ; implicit-def: $vgpr3
	s_branch .LBB70_541
.LBB70_537:
	s_mov_b64 s[0:1], -1
                                        ; implicit-def: $vgpr3
.LBB70_538:
	s_andn2_b64 vcc, exec, s[0:1]
	s_cbranch_vccnz .LBB70_540
; %bb.539:
	global_load_ushort v3, v[1:2], off
.LBB70_540:
	s_mov_b64 s[0:1], 0
.LBB70_541:
	s_andn2_b64 vcc, exec, s[0:1]
	s_cbranch_vccnz .LBB70_547
; %bb.542:
	global_load_ubyte v4, v[1:2], off
	s_movk_i32 s0, 0x7f
	s_mov_b64 s[30:31], 0
	s_waitcnt vmcnt(0)
	v_cmp_lt_i16_e32 vcc, s0, v4
	s_and_saveexec_b64 s[0:1], vcc
	s_xor_b64 s[0:1], exec, s[0:1]
	s_cbranch_execz .LBB70_559
; %bb.543:
	s_movk_i32 s30, 0x80
	v_cmp_ne_u16_e32 vcc, s30, v4
	s_and_b64 s[30:31], vcc, exec
	s_andn2_saveexec_b64 s[0:1], s[0:1]
	s_cbranch_execnz .LBB70_560
.LBB70_544:
	s_or_b64 exec, exec, s[0:1]
	v_mov_b32_e32 v3, 0
	s_and_saveexec_b64 s[0:1], s[30:31]
	s_cbranch_execz .LBB70_546
.LBB70_545:
	v_lshlrev_b32_e32 v3, 24, v4
	v_and_b32_e32 v4, 0xffff, v4
	v_and_b32_e32 v5, 7, v4
	v_ffbh_u32_e32 v7, v5
	v_min_u32_e32 v7, 32, v7
	v_subrev_u32_e32 v8, 28, v7
	v_bfe_u32 v6, v4, 3, 4
	v_lshlrev_b32_e32 v4, v8, v4
	v_sub_u32_e32 v7, 29, v7
	v_and_b32_e32 v4, 7, v4
	v_cmp_eq_u32_e32 vcc, 0, v6
	v_cndmask_b32_e32 v6, v6, v7, vcc
	v_cndmask_b32_e32 v4, v5, v4, vcc
	v_mov_b32_e32 v5, 0x3b800000
	v_lshlrev_b32_e32 v4, 20, v4
	v_and_b32_e32 v3, 0x80000000, v3
	v_lshl_add_u32 v5, v6, 23, v5
	v_or3_b32 v3, v3, v5, v4
	v_cvt_i32_f32_e32 v3, v3
.LBB70_546:
	s_or_b64 exec, exec, s[0:1]
.LBB70_547:
	s_mov_b64 s[0:1], -1
.LBB70_548:
	s_mov_b64 s[30:31], 0
.LBB70_549:
	s_and_b64 vcc, exec, s[30:31]
	s_cbranch_vccz .LBB70_582
; %bb.550:
	s_cmp_gt_i32 s37, 22
	s_cbranch_scc0 .LBB70_558
; %bb.551:
	s_cmp_lt_i32 s37, 24
	s_cbranch_scc1 .LBB70_561
; %bb.552:
	s_cmp_gt_i32 s37, 24
	s_cbranch_scc0 .LBB70_562
; %bb.553:
	global_load_ubyte v4, v[1:2], off
	s_movk_i32 s0, 0x7f
	s_mov_b64 s[30:31], 0
	s_waitcnt vmcnt(0)
	v_cmp_lt_i16_e32 vcc, s0, v4
	s_and_saveexec_b64 s[0:1], vcc
	s_xor_b64 s[0:1], exec, s[0:1]
	s_cbranch_execz .LBB70_574
; %bb.554:
	s_movk_i32 s30, 0x80
	v_cmp_ne_u16_e32 vcc, s30, v4
	s_and_b64 s[30:31], vcc, exec
	s_andn2_saveexec_b64 s[0:1], s[0:1]
	s_cbranch_execnz .LBB70_575
.LBB70_555:
	s_or_b64 exec, exec, s[0:1]
	v_mov_b32_e32 v3, 0
	s_and_saveexec_b64 s[0:1], s[30:31]
	s_cbranch_execz .LBB70_557
.LBB70_556:
	v_lshlrev_b32_e32 v3, 24, v4
	v_and_b32_e32 v4, 0xffff, v4
	v_and_b32_e32 v5, 3, v4
	v_ffbh_u32_e32 v7, v5
	v_min_u32_e32 v7, 32, v7
	v_subrev_u32_e32 v8, 29, v7
	v_bfe_u32 v6, v4, 2, 5
	v_lshlrev_b32_e32 v4, v8, v4
	v_sub_u32_e32 v7, 30, v7
	v_and_b32_e32 v4, 3, v4
	v_cmp_eq_u32_e32 vcc, 0, v6
	v_cndmask_b32_e32 v6, v6, v7, vcc
	v_cndmask_b32_e32 v4, v5, v4, vcc
	v_mov_b32_e32 v5, 0x37800000
	v_lshlrev_b32_e32 v4, 21, v4
	v_and_b32_e32 v3, 0x80000000, v3
	v_lshl_add_u32 v5, v6, 23, v5
	v_or3_b32 v3, v3, v5, v4
	v_cvt_i32_f32_e32 v3, v3
.LBB70_557:
	s_or_b64 exec, exec, s[0:1]
	s_mov_b64 s[0:1], 0
	s_branch .LBB70_563
.LBB70_558:
	s_mov_b64 s[30:31], -1
                                        ; implicit-def: $vgpr3
	s_branch .LBB70_569
.LBB70_559:
	s_andn2_saveexec_b64 s[0:1], s[0:1]
	s_cbranch_execz .LBB70_544
.LBB70_560:
	v_cmp_ne_u16_e32 vcc, 0, v4
	s_andn2_b64 s[30:31], s[30:31], exec
	s_and_b64 s[38:39], vcc, exec
	s_or_b64 s[30:31], s[30:31], s[38:39]
	s_or_b64 exec, exec, s[0:1]
	v_mov_b32_e32 v3, 0
	s_and_saveexec_b64 s[0:1], s[30:31]
	s_cbranch_execnz .LBB70_545
	s_branch .LBB70_546
.LBB70_561:
	s_mov_b64 s[0:1], -1
                                        ; implicit-def: $vgpr3
	s_branch .LBB70_566
.LBB70_562:
	s_mov_b64 s[0:1], -1
                                        ; implicit-def: $vgpr3
.LBB70_563:
	s_and_b64 vcc, exec, s[0:1]
	s_cbranch_vccz .LBB70_565
; %bb.564:
	global_load_ubyte v3, v[1:2], off
	s_mov_b32 s0, 0x7f800000
	s_waitcnt vmcnt(0)
	v_lshlrev_b32_e32 v3, 24, v3
	v_and_b32_e32 v4, 0x7f000000, v3
	v_ffbh_u32_e32 v5, v4
	v_min_u32_e32 v5, 32, v5
	v_sub_u32_e64 v5, v5, 4 clamp
	v_lshlrev_b32_e32 v7, v5, v4
	v_lshlrev_b32_e32 v5, 23, v5
	v_lshrrev_b32_e32 v7, 4, v7
	v_add_u32_e32 v6, 0x1000000, v4
	v_sub_u32_e32 v5, v7, v5
	v_ashrrev_i32_e32 v6, 8, v6
	v_add_u32_e32 v5, 0x3c000000, v5
	v_and_or_b32 v5, v6, s0, v5
	v_cmp_ne_u32_e32 vcc, 0, v4
	v_cndmask_b32_e32 v4, 0, v5, vcc
	s_brev_b32 s0, 1
	v_and_or_b32 v3, v3, s0, v4
	v_cvt_i32_f32_e32 v3, v3
.LBB70_565:
	s_mov_b64 s[0:1], 0
.LBB70_566:
	s_andn2_b64 vcc, exec, s[0:1]
	s_cbranch_vccnz .LBB70_568
; %bb.567:
	global_load_ubyte v3, v[1:2], off
	s_movk_i32 s0, 0x7f00
	s_brev_b32 s1, 16
	s_waitcnt vmcnt(0)
	v_lshlrev_b16_e32 v4, 8, v3
	v_lshlrev_b32_e32 v3, 25, v3
	v_lshrrev_b32_e32 v5, 4, v3
	v_and_or_b32 v6, v4, s0, 0.5
	v_or_b32_e32 v5, 0x70000000, v5
	v_add_f32_e32 v6, -0.5, v6
	v_mul_f32_e32 v5, 0x7800000, v5
	v_cmp_gt_u32_e32 vcc, s1, v3
	v_bfe_i32 v4, v4, 0, 16
	v_cndmask_b32_e32 v3, v5, v6, vcc
	s_brev_b32 s0, 1
	v_and_or_b32 v3, v4, s0, v3
	v_cvt_i32_f32_e32 v3, v3
.LBB70_568:
	s_mov_b64 s[30:31], 0
	s_mov_b64 s[0:1], -1
.LBB70_569:
	s_andn2_b64 vcc, exec, s[30:31]
	s_cbranch_vccnz .LBB70_582
; %bb.570:
	s_cmp_gt_i32 s37, 14
	s_cbranch_scc0 .LBB70_573
; %bb.571:
	s_cmp_eq_u32 s37, 15
	s_cbranch_scc0 .LBB70_576
; %bb.572:
	global_load_ushort v3, v[1:2], off
	s_mov_b64 s[0:1], -1
	s_mov_b64 s[28:29], 0
	s_waitcnt vmcnt(0)
	v_lshlrev_b32_e32 v3, 16, v3
	v_cvt_i32_f32_e32 v3, v3
	s_branch .LBB70_577
.LBB70_573:
	s_mov_b64 s[30:31], -1
                                        ; implicit-def: $vgpr3
	s_branch .LBB70_578
.LBB70_574:
	s_andn2_saveexec_b64 s[0:1], s[0:1]
	s_cbranch_execz .LBB70_555
.LBB70_575:
	v_cmp_ne_u16_e32 vcc, 0, v4
	s_andn2_b64 s[30:31], s[30:31], exec
	s_and_b64 s[38:39], vcc, exec
	s_or_b64 s[30:31], s[30:31], s[38:39]
	s_or_b64 exec, exec, s[0:1]
	v_mov_b32_e32 v3, 0
	s_and_saveexec_b64 s[0:1], s[30:31]
	s_cbranch_execnz .LBB70_556
	s_branch .LBB70_557
.LBB70_576:
	s_mov_b64 s[28:29], -1
                                        ; implicit-def: $vgpr3
.LBB70_577:
	s_mov_b64 s[30:31], 0
.LBB70_578:
	s_and_b64 vcc, exec, s[30:31]
	s_cbranch_vccz .LBB70_582
; %bb.579:
	s_cmp_eq_u32 s37, 11
	s_cbranch_scc0 .LBB70_581
; %bb.580:
	global_load_ubyte v3, v[1:2], off
	s_mov_b64 s[0:1], -1
	s_mov_b64 s[28:29], 0
	s_waitcnt vmcnt(0)
	v_cmp_ne_u16_e32 vcc, 0, v3
	v_cndmask_b32_e64 v3, 0, 1, vcc
	s_branch .LBB70_582
.LBB70_581:
	s_mov_b64 s[28:29], -1
                                        ; implicit-def: $vgpr3
.LBB70_582:
	s_mov_b64 s[30:31], 0
.LBB70_583:
	s_and_b64 vcc, exec, s[30:31]
	s_cbranch_vccz .LBB70_632
; %bb.584:
	s_and_b32 s30, 0xffff, s36
	s_cmp_lt_i32 s30, 5
	s_cbranch_scc1 .LBB70_589
; %bb.585:
	s_cmp_lt_i32 s30, 8
	s_cbranch_scc1 .LBB70_590
; %bb.586:
	;; [unrolled: 3-line block ×3, first 2 shown]
	s_cmp_gt_i32 s30, 9
	s_cbranch_scc0 .LBB70_592
; %bb.588:
	global_load_dwordx2 v[3:4], v[1:2], off
	s_mov_b64 s[0:1], 0
	s_waitcnt vmcnt(0)
	v_cvt_i32_f64_e32 v3, v[3:4]
	s_branch .LBB70_593
.LBB70_589:
	s_mov_b64 s[0:1], -1
                                        ; implicit-def: $vgpr3
	s_branch .LBB70_611
.LBB70_590:
	s_mov_b64 s[0:1], -1
                                        ; implicit-def: $vgpr3
	s_branch .LBB70_599
.LBB70_591:
	s_mov_b64 s[0:1], -1
                                        ; implicit-def: $vgpr3
	s_branch .LBB70_596
.LBB70_592:
	s_mov_b64 s[0:1], -1
                                        ; implicit-def: $vgpr3
.LBB70_593:
	s_andn2_b64 vcc, exec, s[0:1]
	s_cbranch_vccnz .LBB70_595
; %bb.594:
	global_load_dword v3, v[1:2], off
	s_waitcnt vmcnt(0)
	v_cvt_i32_f32_e32 v3, v3
.LBB70_595:
	s_mov_b64 s[0:1], 0
.LBB70_596:
	s_andn2_b64 vcc, exec, s[0:1]
	s_cbranch_vccnz .LBB70_598
; %bb.597:
	global_load_dword v3, v[1:2], off
	s_waitcnt vmcnt(0)
	v_cvt_i16_f16_e32 v3, v3
.LBB70_598:
	s_mov_b64 s[0:1], 0
.LBB70_599:
	s_andn2_b64 vcc, exec, s[0:1]
	s_cbranch_vccnz .LBB70_610
; %bb.600:
	s_cmp_lt_i32 s30, 6
	s_cbranch_scc1 .LBB70_603
; %bb.601:
	s_cmp_gt_i32 s30, 6
	s_cbranch_scc0 .LBB70_604
; %bb.602:
	global_load_dwordx2 v[3:4], v[1:2], off
	s_mov_b64 s[0:1], 0
	s_waitcnt vmcnt(0)
	v_cvt_i32_f64_e32 v3, v[3:4]
	s_branch .LBB70_605
.LBB70_603:
	s_mov_b64 s[0:1], -1
                                        ; implicit-def: $vgpr3
	s_branch .LBB70_608
.LBB70_604:
	s_mov_b64 s[0:1], -1
                                        ; implicit-def: $vgpr3
.LBB70_605:
	s_andn2_b64 vcc, exec, s[0:1]
	s_cbranch_vccnz .LBB70_607
; %bb.606:
	global_load_dword v3, v[1:2], off
	s_waitcnt vmcnt(0)
	v_cvt_i32_f32_e32 v3, v3
.LBB70_607:
	s_mov_b64 s[0:1], 0
.LBB70_608:
	s_andn2_b64 vcc, exec, s[0:1]
	s_cbranch_vccnz .LBB70_610
; %bb.609:
	global_load_ushort v3, v[1:2], off
	s_waitcnt vmcnt(0)
	v_cvt_i16_f16_e32 v3, v3
.LBB70_610:
	s_mov_b64 s[0:1], 0
.LBB70_611:
	s_andn2_b64 vcc, exec, s[0:1]
	s_cbranch_vccnz .LBB70_631
; %bb.612:
	s_cmp_lt_i32 s30, 2
	s_cbranch_scc1 .LBB70_616
; %bb.613:
	s_cmp_lt_i32 s30, 3
	s_cbranch_scc1 .LBB70_617
; %bb.614:
	s_cmp_gt_i32 s30, 3
	s_cbranch_scc0 .LBB70_618
; %bb.615:
	global_load_dwordx2 v[3:4], v[1:2], off
	s_mov_b64 s[0:1], 0
	s_branch .LBB70_619
.LBB70_616:
	s_mov_b64 s[0:1], -1
                                        ; implicit-def: $vgpr3
	s_branch .LBB70_625
.LBB70_617:
	s_mov_b64 s[0:1], -1
                                        ; implicit-def: $vgpr3
	s_branch .LBB70_622
.LBB70_618:
	s_mov_b64 s[0:1], -1
                                        ; implicit-def: $vgpr3
.LBB70_619:
	s_andn2_b64 vcc, exec, s[0:1]
	s_cbranch_vccnz .LBB70_621
; %bb.620:
	global_load_dword v3, v[1:2], off
.LBB70_621:
	s_mov_b64 s[0:1], 0
.LBB70_622:
	s_andn2_b64 vcc, exec, s[0:1]
	s_cbranch_vccnz .LBB70_624
; %bb.623:
	global_load_ushort v3, v[1:2], off
.LBB70_624:
	s_mov_b64 s[0:1], 0
.LBB70_625:
	s_andn2_b64 vcc, exec, s[0:1]
	s_cbranch_vccnz .LBB70_631
; %bb.626:
	s_cmp_gt_i32 s30, 0
	s_cbranch_scc0 .LBB70_628
; %bb.627:
	global_load_sbyte v3, v[1:2], off
	s_mov_b64 s[0:1], 0
	s_branch .LBB70_629
.LBB70_628:
	s_mov_b64 s[0:1], -1
                                        ; implicit-def: $vgpr3
.LBB70_629:
	s_andn2_b64 vcc, exec, s[0:1]
	s_cbranch_vccnz .LBB70_631
; %bb.630:
	global_load_ubyte v3, v[1:2], off
.LBB70_631:
	s_mov_b64 s[0:1], -1
.LBB70_632:
	s_andn2_b64 vcc, exec, s[0:1]
	s_cbranch_vccnz .LBB70_640
; %bb.633:
	v_mul_lo_u32 v1, v14, s12
	s_waitcnt vmcnt(0)
	v_cmp_ne_u16_e32 vcc, v0, v3
	v_mov_b32_e32 v2, s9
	s_xor_b64 s[30:31], s[16:17], vcc
	v_ashrrev_i32_e32 v3, 31, v1
	s_and_b32 s42, s33, 0xff
	v_add_co_u32_e32 v0, vcc, s8, v1
	s_cmp_lt_i32 s42, 11
	v_addc_co_u32_e32 v1, vcc, v2, v3, vcc
	s_cbranch_scc1 .LBB70_641
; %bb.634:
	s_and_b32 s43, 0xffff, s42
	s_cmp_gt_i32 s43, 25
	s_cbranch_scc0 .LBB70_642
; %bb.635:
	s_cmp_gt_i32 s43, 28
	s_cbranch_scc0 .LBB70_643
; %bb.636:
	;; [unrolled: 3-line block ×4, first 2 shown]
	s_mov_b64 s[38:39], 0
	s_mov_b64 s[0:1], -1
	s_cmp_eq_u32 s43, 46
	s_mov_b64 s[36:37], 0
	s_cbranch_scc0 .LBB70_646
; %bb.639:
	v_cndmask_b32_e64 v2, 0, 1.0, s[30:31]
	v_bfe_u32 v3, v2, 16, 1
	s_movk_i32 s0, 0x7fff
	v_add3_u32 v2, v2, v3, s0
	v_lshrrev_b32_e32 v2, 16, v2
	global_store_dword v[0:1], v2, off
	s_mov_b64 s[36:37], -1
	s_mov_b64 s[0:1], 0
	s_branch .LBB70_646
.LBB70_640:
	s_mov_b64 s[36:37], 0
                                        ; implicit-def: $vgpr14
	s_mov_b64 s[0:1], s[18:19]
	s_branch .LBB70_756
.LBB70_641:
	s_mov_b64 s[38:39], -1
	s_mov_b64 s[36:37], 0
	s_mov_b64 s[0:1], s[18:19]
	s_branch .LBB70_715
.LBB70_642:
	s_mov_b64 s[38:39], -1
	s_mov_b64 s[36:37], 0
	s_mov_b64 s[0:1], s[18:19]
	s_branch .LBB70_673
.LBB70_643:
	s_mov_b64 s[38:39], -1
	s_mov_b64 s[36:37], 0
	s_mov_b64 s[0:1], s[18:19]
	s_branch .LBB70_656
.LBB70_644:
	s_mov_b64 s[38:39], -1
	s_mov_b64 s[36:37], 0
	s_mov_b64 s[0:1], s[18:19]
	s_branch .LBB70_652
.LBB70_645:
	s_mov_b64 s[38:39], -1
	s_mov_b64 s[36:37], 0
	s_mov_b64 s[0:1], s[18:19]
.LBB70_646:
	s_and_b64 vcc, exec, s[38:39]
	s_cbranch_vccz .LBB70_651
; %bb.647:
	s_cmp_eq_u32 s43, 44
	s_mov_b64 s[0:1], -1
	s_cbranch_scc0 .LBB70_651
; %bb.648:
	v_cndmask_b32_e64 v3, 0, 1.0, s[30:31]
	v_lshrrev_b32_e32 v2, 23, v3
	s_movk_i32 s0, 0xff
	v_cmp_ne_u32_e32 vcc, s0, v2
	v_mov_b32_e32 v4, 0xff
	s_and_saveexec_b64 s[36:37], vcc
; %bb.649:
	s_mov_b32 s0, 0x3fffff
	v_and_b32_e32 v4, 0x400000, v3
	v_and_or_b32 v3, v3, s0, v2
	v_cmp_ne_u32_e32 vcc, 0, v4
	v_cmp_ne_u32_e64 s[0:1], 0, v3
	s_and_b64 s[0:1], vcc, s[0:1]
	v_cndmask_b32_e64 v3, 0, 1, s[0:1]
	v_add_u32_e32 v4, v2, v3
; %bb.650:
	s_or_b64 exec, exec, s[36:37]
	s_mov_b64 s[36:37], -1
	s_mov_b64 s[0:1], 0
	global_store_byte v[0:1], v4, off
.LBB70_651:
	s_mov_b64 s[38:39], 0
.LBB70_652:
	s_and_b64 vcc, exec, s[38:39]
	s_cbranch_vccz .LBB70_655
; %bb.653:
	s_cmp_eq_u32 s43, 29
	s_mov_b64 s[0:1], -1
	s_cbranch_scc0 .LBB70_655
; %bb.654:
	s_mov_b32 s0, 0
	v_cndmask_b32_e64 v2, 0, 1, s[30:31]
	v_mov_b32_e32 v3, s0
	global_store_dwordx2 v[0:1], v[2:3], off
	s_mov_b64 s[36:37], -1
	s_mov_b64 s[0:1], 0
.LBB70_655:
	s_mov_b64 s[38:39], 0
.LBB70_656:
	s_and_b64 vcc, exec, s[38:39]
	s_cbranch_vccz .LBB70_672
; %bb.657:
	s_cmp_lt_i32 s43, 27
	s_mov_b64 s[36:37], -1
	s_cbranch_scc1 .LBB70_663
; %bb.658:
	s_cmp_gt_i32 s43, 27
	s_cbranch_scc0 .LBB70_660
; %bb.659:
	v_cndmask_b32_e64 v2, 0, 1, s[30:31]
	s_mov_b64 s[36:37], 0
	global_store_dword v[0:1], v2, off
.LBB70_660:
	s_andn2_b64 vcc, exec, s[36:37]
	s_cbranch_vccnz .LBB70_662
; %bb.661:
	v_cndmask_b32_e64 v2, 0, 1, s[30:31]
	global_store_short v[0:1], v2, off
.LBB70_662:
	s_mov_b64 s[36:37], 0
.LBB70_663:
	s_andn2_b64 vcc, exec, s[36:37]
	s_cbranch_vccnz .LBB70_671
; %bb.664:
	v_cndmask_b32_e64 v3, 0, 1.0, s[30:31]
	s_mov_b32 s36, 0x43800000
	v_cmp_gt_u32_e32 vcc, s36, v3
	v_mov_b32_e32 v4, 0x80
	s_and_saveexec_b64 s[36:37], vcc
	s_cbranch_execz .LBB70_670
; %bb.665:
	s_mov_b32 s38, 0x3bffffff
	v_cmp_lt_u32_e32 vcc, s38, v3
	s_mov_b64 s[38:39], 0
                                        ; implicit-def: $vgpr2
	s_and_saveexec_b64 s[40:41], vcc
	s_xor_b64 s[40:41], exec, s[40:41]
	s_cbranch_execz .LBB70_772
; %bb.666:
	v_bfe_u32 v2, v3, 20, 1
	s_mov_b32 s44, 0x487ffff
	v_add3_u32 v2, v3, v2, s44
	s_mov_b64 s[38:39], exec
	v_lshrrev_b32_e32 v2, 20, v2
                                        ; implicit-def: $vgpr3
	s_andn2_saveexec_b64 s[40:41], s[40:41]
	s_cbranch_execnz .LBB70_773
.LBB70_667:
	s_or_b64 exec, exec, s[40:41]
	v_mov_b32_e32 v4, 0
	s_and_saveexec_b64 s[40:41], s[38:39]
.LBB70_668:
	v_mov_b32_e32 v4, v2
.LBB70_669:
	s_or_b64 exec, exec, s[40:41]
.LBB70_670:
	s_or_b64 exec, exec, s[36:37]
	global_store_byte v[0:1], v4, off
.LBB70_671:
	s_mov_b64 s[36:37], -1
.LBB70_672:
	s_mov_b64 s[38:39], 0
.LBB70_673:
	s_and_b64 vcc, exec, s[38:39]
	s_cbranch_vccz .LBB70_714
; %bb.674:
	s_cmp_gt_i32 s43, 22
	s_mov_b64 s[38:39], -1
	s_cbranch_scc0 .LBB70_706
; %bb.675:
	s_cmp_lt_i32 s43, 24
	s_mov_b64 s[36:37], -1
	s_cbranch_scc1 .LBB70_695
; %bb.676:
	s_cmp_gt_i32 s43, 24
	s_cbranch_scc0 .LBB70_684
; %bb.677:
	v_cndmask_b32_e64 v3, 0, 1.0, s[30:31]
	s_mov_b32 s36, 0x47800000
	v_cmp_gt_u32_e32 vcc, s36, v3
	v_mov_b32_e32 v4, 0x80
	s_and_saveexec_b64 s[36:37], vcc
	s_cbranch_execz .LBB70_683
; %bb.678:
	s_mov_b32 s38, 0x37ffffff
	v_cmp_lt_u32_e32 vcc, s38, v3
	s_mov_b64 s[38:39], 0
                                        ; implicit-def: $vgpr2
	s_and_saveexec_b64 s[40:41], vcc
	s_xor_b64 s[40:41], exec, s[40:41]
	s_cbranch_execz .LBB70_900
; %bb.679:
	v_bfe_u32 v2, v3, 21, 1
	s_mov_b32 s44, 0x88fffff
	v_add3_u32 v2, v3, v2, s44
	s_mov_b64 s[38:39], exec
	v_lshrrev_b32_e32 v2, 21, v2
                                        ; implicit-def: $vgpr3
	s_andn2_saveexec_b64 s[40:41], s[40:41]
	s_cbranch_execnz .LBB70_901
.LBB70_680:
	s_or_b64 exec, exec, s[40:41]
	v_mov_b32_e32 v4, 0
	s_and_saveexec_b64 s[40:41], s[38:39]
.LBB70_681:
	v_mov_b32_e32 v4, v2
.LBB70_682:
	s_or_b64 exec, exec, s[40:41]
.LBB70_683:
	s_or_b64 exec, exec, s[36:37]
	s_mov_b64 s[36:37], 0
	global_store_byte v[0:1], v4, off
.LBB70_684:
	s_and_b64 vcc, exec, s[36:37]
	s_cbranch_vccz .LBB70_694
; %bb.685:
	v_cndmask_b32_e64 v2, 0, 1.0, s[30:31]
	s_mov_b32 s36, 0x43f00000
	v_cmp_gt_u32_e32 vcc, s36, v2
                                        ; implicit-def: $vgpr3
	s_and_saveexec_b64 s[36:37], vcc
	s_xor_b64 s[36:37], exec, s[36:37]
	s_cbranch_execz .LBB70_691
; %bb.686:
	s_mov_b32 s38, 0x3c7fffff
	v_cmp_lt_u32_e32 vcc, s38, v2
                                        ; implicit-def: $vgpr3
	s_and_saveexec_b64 s[38:39], vcc
	s_xor_b64 s[38:39], exec, s[38:39]
; %bb.687:
	v_bfe_u32 v3, v2, 20, 1
	s_mov_b32 s40, 0x407ffff
	v_add3_u32 v2, v2, v3, s40
	v_lshrrev_b32_e32 v3, 20, v2
	v_and_b32_e32 v2, 0xff00000, v2
	s_mov_b32 s40, 0x7f00000
	v_mov_b32_e32 v4, 0x7e
	v_cmp_ne_u32_e32 vcc, s40, v2
	v_cndmask_b32_e32 v3, v4, v3, vcc
                                        ; implicit-def: $vgpr2
; %bb.688:
	s_andn2_saveexec_b64 s[38:39], s[38:39]
; %bb.689:
	v_add_f32_e32 v3, 0x46800000, v2
; %bb.690:
	s_or_b64 exec, exec, s[38:39]
                                        ; implicit-def: $vgpr2
.LBB70_691:
	s_andn2_saveexec_b64 s[36:37], s[36:37]
; %bb.692:
	s_mov_b32 s38, 0x7f800000
	v_mov_b32_e32 v3, 0x7e
	v_mov_b32_e32 v4, 0x7f
	v_cmp_lt_u32_e32 vcc, s38, v2
	v_cndmask_b32_e32 v3, v3, v4, vcc
; %bb.693:
	s_or_b64 exec, exec, s[36:37]
	global_store_byte v[0:1], v3, off
.LBB70_694:
	s_mov_b64 s[36:37], 0
.LBB70_695:
	s_andn2_b64 vcc, exec, s[36:37]
	s_cbranch_vccnz .LBB70_705
; %bb.696:
	v_cndmask_b32_e64 v2, 0, 1.0, s[30:31]
	s_mov_b32 s36, 0x47800000
	v_cmp_gt_u32_e32 vcc, s36, v2
                                        ; implicit-def: $vgpr3
	s_and_saveexec_b64 s[36:37], vcc
	s_xor_b64 s[36:37], exec, s[36:37]
	s_cbranch_execz .LBB70_702
; %bb.697:
	s_mov_b32 s38, 0x387fffff
	v_cmp_lt_u32_e32 vcc, s38, v2
                                        ; implicit-def: $vgpr3
	s_and_saveexec_b64 s[38:39], vcc
	s_xor_b64 s[38:39], exec, s[38:39]
; %bb.698:
	v_bfe_u32 v3, v2, 21, 1
	s_mov_b32 s40, 0x80fffff
	v_add3_u32 v2, v2, v3, s40
	v_lshrrev_b32_e32 v3, 21, v2
                                        ; implicit-def: $vgpr2
; %bb.699:
	s_andn2_saveexec_b64 s[38:39], s[38:39]
; %bb.700:
	v_add_f32_e32 v3, 0x43000000, v2
; %bb.701:
	s_or_b64 exec, exec, s[38:39]
                                        ; implicit-def: $vgpr2
.LBB70_702:
	s_andn2_saveexec_b64 s[36:37], s[36:37]
; %bb.703:
	s_mov_b32 s38, 0x7f800000
	v_mov_b32_e32 v3, 0x7c
	v_mov_b32_e32 v4, 0x7f
	v_cmp_lt_u32_e32 vcc, s38, v2
	v_cndmask_b32_e32 v3, v3, v4, vcc
; %bb.704:
	s_or_b64 exec, exec, s[36:37]
	global_store_byte v[0:1], v3, off
.LBB70_705:
	s_mov_b64 s[38:39], 0
	s_mov_b64 s[36:37], -1
.LBB70_706:
	s_andn2_b64 vcc, exec, s[38:39]
	s_cbranch_vccnz .LBB70_714
; %bb.707:
	s_cmp_gt_i32 s43, 14
	s_mov_b64 s[38:39], -1
	s_cbranch_scc0 .LBB70_711
; %bb.708:
	s_cmp_eq_u32 s43, 15
	s_mov_b64 s[0:1], -1
	s_cbranch_scc0 .LBB70_710
; %bb.709:
	v_cndmask_b32_e64 v2, 0, 1.0, s[30:31]
	v_bfe_u32 v3, v2, 16, 1
	s_movk_i32 s0, 0x7fff
	v_add3_u32 v2, v2, v3, s0
	global_store_short_d16_hi v[0:1], v2, off
	s_mov_b64 s[36:37], -1
	s_mov_b64 s[0:1], 0
.LBB70_710:
	s_mov_b64 s[38:39], 0
.LBB70_711:
	s_and_b64 vcc, exec, s[38:39]
	s_cbranch_vccz .LBB70_714
; %bb.712:
	s_cmp_eq_u32 s43, 11
	s_mov_b64 s[0:1], -1
	s_cbranch_scc0 .LBB70_714
; %bb.713:
	v_cndmask_b32_e64 v2, 0, 1, s[30:31]
	s_mov_b64 s[36:37], -1
	s_mov_b64 s[0:1], 0
	global_store_byte v[0:1], v2, off
.LBB70_714:
	s_mov_b64 s[38:39], 0
.LBB70_715:
	s_and_b64 vcc, exec, s[38:39]
	s_cbranch_vccz .LBB70_754
; %bb.716:
	s_and_b32 s38, 0xffff, s42
	s_cmp_lt_i32 s38, 5
	s_mov_b64 s[36:37], -1
	s_cbranch_scc1 .LBB70_737
; %bb.717:
	s_cmp_lt_i32 s38, 8
	s_cbranch_scc1 .LBB70_727
; %bb.718:
	s_cmp_lt_i32 s38, 9
	s_cbranch_scc1 .LBB70_724
; %bb.719:
	s_cmp_gt_i32 s38, 9
	s_cbranch_scc0 .LBB70_721
; %bb.720:
	v_cndmask_b32_e64 v2, 0, 1, s[30:31]
	v_cvt_f64_u32_e32 v[2:3], v2
	v_mov_b32_e32 v4, 0
	v_mov_b32_e32 v5, v4
	s_mov_b64 s[36:37], 0
	global_store_dwordx4 v[0:1], v[2:5], off
.LBB70_721:
	s_andn2_b64 vcc, exec, s[36:37]
	s_cbranch_vccnz .LBB70_723
; %bb.722:
	v_cndmask_b32_e64 v2, 0, 1.0, s[30:31]
	v_mov_b32_e32 v3, 0
	global_store_dwordx2 v[0:1], v[2:3], off
.LBB70_723:
	s_mov_b64 s[36:37], 0
.LBB70_724:
	s_andn2_b64 vcc, exec, s[36:37]
	s_cbranch_vccnz .LBB70_726
; %bb.725:
	v_cndmask_b32_e64 v2, 0, 1.0, s[30:31]
	v_cvt_f16_f32_e32 v2, v2
	global_store_dword v[0:1], v2, off
.LBB70_726:
	s_mov_b64 s[36:37], 0
.LBB70_727:
	s_andn2_b64 vcc, exec, s[36:37]
	s_cbranch_vccnz .LBB70_736
; %bb.728:
	s_cmp_lt_i32 s38, 6
	s_mov_b64 s[36:37], -1
	s_cbranch_scc1 .LBB70_734
; %bb.729:
	s_cmp_gt_i32 s38, 6
	s_cbranch_scc0 .LBB70_731
; %bb.730:
	v_cndmask_b32_e64 v2, 0, 1, s[30:31]
	v_cvt_f64_u32_e32 v[2:3], v2
	s_mov_b64 s[36:37], 0
	global_store_dwordx2 v[0:1], v[2:3], off
.LBB70_731:
	s_andn2_b64 vcc, exec, s[36:37]
	s_cbranch_vccnz .LBB70_733
; %bb.732:
	v_cndmask_b32_e64 v2, 0, 1.0, s[30:31]
	global_store_dword v[0:1], v2, off
.LBB70_733:
	s_mov_b64 s[36:37], 0
.LBB70_734:
	s_andn2_b64 vcc, exec, s[36:37]
	s_cbranch_vccnz .LBB70_736
; %bb.735:
	v_cndmask_b32_e64 v2, 0, 1.0, s[30:31]
	v_cvt_f16_f32_e32 v2, v2
	global_store_short v[0:1], v2, off
.LBB70_736:
	s_mov_b64 s[36:37], 0
.LBB70_737:
	s_andn2_b64 vcc, exec, s[36:37]
	s_cbranch_vccnz .LBB70_753
; %bb.738:
	s_cmp_lt_i32 s38, 2
	s_mov_b64 s[36:37], -1
	s_cbranch_scc1 .LBB70_748
; %bb.739:
	s_cmp_lt_i32 s38, 3
	s_cbranch_scc1 .LBB70_745
; %bb.740:
	s_cmp_gt_i32 s38, 3
	s_cbranch_scc0 .LBB70_742
; %bb.741:
	s_mov_b32 s36, 0
	v_cndmask_b32_e64 v2, 0, 1, s[30:31]
	v_mov_b32_e32 v3, s36
	s_mov_b64 s[36:37], 0
	global_store_dwordx2 v[0:1], v[2:3], off
.LBB70_742:
	s_andn2_b64 vcc, exec, s[36:37]
	s_cbranch_vccnz .LBB70_744
; %bb.743:
	v_cndmask_b32_e64 v2, 0, 1, s[30:31]
	global_store_dword v[0:1], v2, off
.LBB70_744:
	s_mov_b64 s[36:37], 0
.LBB70_745:
	s_andn2_b64 vcc, exec, s[36:37]
	s_cbranch_vccnz .LBB70_747
; %bb.746:
	v_cndmask_b32_e64 v2, 0, 1, s[30:31]
	global_store_short v[0:1], v2, off
.LBB70_747:
	s_mov_b64 s[36:37], 0
.LBB70_748:
	s_andn2_b64 vcc, exec, s[36:37]
	s_cbranch_vccnz .LBB70_753
; %bb.749:
	s_mov_b64 s[36:37], -1
	s_cmp_gt_i32 s38, 0
	v_cndmask_b32_e64 v2, 0, 1, s[30:31]
	s_cbranch_scc0 .LBB70_751
; %bb.750:
	s_mov_b64 s[36:37], 0
	global_store_byte v[0:1], v2, off
.LBB70_751:
	s_andn2_b64 vcc, exec, s[36:37]
	s_cbranch_vccnz .LBB70_753
; %bb.752:
	global_store_byte v[0:1], v2, off
.LBB70_753:
	s_mov_b64 s[36:37], -1
.LBB70_754:
	s_andn2_b64 vcc, exec, s[36:37]
	s_cbranch_vccnz .LBB70_767
; %bb.755:
	v_add_u32_e32 v14, 0x80, v14
	s_mov_b64 s[36:37], -1
.LBB70_756:
	s_andn2_b64 s[30:31], s[18:19], exec
	s_and_b64 s[0:1], s[0:1], exec
	s_or_b64 s[30:31], s[30:31], s[0:1]
	s_andn2_b64 s[0:1], s[20:21], exec
	s_and_b64 s[28:29], s[28:29], exec
	s_or_b64 s[28:29], s[0:1], s[28:29]
	;; [unrolled: 3-line block ×3, first 2 shown]
	s_orn2_b64 s[0:1], s[36:37], exec
.LBB70_757:
	s_or_b64 exec, exec, s[34:35]
	s_mov_b64 s[36:37], 0
	s_mov_b64 s[38:39], 0
	;; [unrolled: 1-line block ×3, first 2 shown]
                                        ; implicit-def: $sgpr58
                                        ; implicit-def: $vgpr2_vgpr3
                                        ; implicit-def: $vgpr0
	s_and_saveexec_b64 s[34:35], s[0:1]
	s_cbranch_execz .LBB70_1219
; %bb.758:
	v_cmp_gt_i32_e32 vcc, s50, v14
	s_mov_b64 s[48:49], -1
	s_mov_b64 s[0:1], s[26:27]
	s_mov_b64 s[40:41], s[28:29]
	;; [unrolled: 1-line block ×3, first 2 shown]
	s_and_saveexec_b64 s[36:37], vcc
	s_cbranch_execz .LBB70_1138
; %bb.759:
	s_waitcnt vmcnt(0)
	v_mul_lo_u32 v0, v14, s13
	v_mov_b32_e32 v1, s11
	s_and_b32 s42, s57, 0xff
	s_cmp_lt_i32 s42, 11
	v_ashrrev_i32_e32 v3, 31, v0
	v_add_co_u32_e32 v2, vcc, s10, v0
	v_addc_co_u32_e32 v3, vcc, v1, v3, vcc
	s_cbranch_scc1 .LBB70_766
; %bb.760:
	s_and_b32 s43, 0xffff, s42
	s_cmp_gt_i32 s43, 25
	s_cbranch_scc0 .LBB70_768
; %bb.761:
	s_cmp_gt_i32 s43, 28
	s_cbranch_scc0 .LBB70_769
; %bb.762:
	;; [unrolled: 3-line block ×4, first 2 shown]
	s_cmp_eq_u32 s43, 46
	s_mov_b64 s[40:41], 0
	s_cbranch_scc0 .LBB70_774
; %bb.765:
	global_load_dword v0, v[2:3], off
	s_mov_b64 s[0:1], -1
	s_waitcnt vmcnt(0)
	v_lshlrev_b32_e32 v0, 16, v0
	v_cvt_i32_f32_e32 v0, v0
	s_branch .LBB70_775
.LBB70_766:
	s_mov_b64 s[40:41], -1
	s_mov_b64 s[0:1], 0
                                        ; implicit-def: $vgpr0
	s_mov_b64 s[38:39], s[26:27]
	s_branch .LBB70_836
.LBB70_767:
	s_mov_b64 s[36:37], 0
	s_branch .LBB70_518
.LBB70_768:
	s_mov_b64 s[40:41], -1
	s_mov_b64 s[0:1], 0
	s_mov_b64 s[38:39], s[26:27]
                                        ; implicit-def: $vgpr0
	s_branch .LBB70_802
.LBB70_769:
	s_mov_b64 s[40:41], -1
	s_mov_b64 s[0:1], 0
	s_mov_b64 s[38:39], s[26:27]
                                        ; implicit-def: $vgpr0
	s_branch .LBB70_785
.LBB70_770:
	s_mov_b64 s[40:41], -1
	s_mov_b64 s[0:1], 0
	s_mov_b64 s[38:39], s[26:27]
                                        ; implicit-def: $vgpr0
	s_branch .LBB70_780
.LBB70_771:
	s_mov_b64 s[40:41], -1
	s_mov_b64 s[0:1], 0
	s_mov_b64 s[38:39], s[26:27]
                                        ; implicit-def: $vgpr0
	s_branch .LBB70_775
.LBB70_772:
	s_andn2_saveexec_b64 s[40:41], s[40:41]
	s_cbranch_execz .LBB70_667
.LBB70_773:
	v_add_f32_e32 v2, 0x46000000, v3
	v_and_b32_e32 v2, 0xff, v2
	v_cmp_ne_u32_e32 vcc, 0, v2
	s_andn2_b64 s[38:39], s[38:39], exec
	s_and_b64 s[44:45], vcc, exec
	s_or_b64 s[38:39], s[38:39], s[44:45]
	s_or_b64 exec, exec, s[40:41]
	v_mov_b32_e32 v4, 0
	s_and_saveexec_b64 s[40:41], s[38:39]
	s_cbranch_execnz .LBB70_668
	s_branch .LBB70_669
.LBB70_774:
	s_mov_b64 s[38:39], -1
                                        ; implicit-def: $vgpr0
	s_mov_b64 s[0:1], 0
.LBB70_775:
	s_and_b64 vcc, exec, s[40:41]
	s_cbranch_vccz .LBB70_779
; %bb.776:
	s_cmp_eq_u32 s43, 44
	s_cbranch_scc0 .LBB70_778
; %bb.777:
	global_load_ubyte v0, v[2:3], off
	s_mov_b64 s[0:1], -1
	s_mov_b64 s[38:39], 0
	s_waitcnt vmcnt(0)
	v_lshlrev_b32_e32 v1, 23, v0
	v_cvt_i32_f32_e32 v1, v1
	v_cmp_ne_u32_e32 vcc, 0, v0
	v_cndmask_b32_e32 v0, 0, v1, vcc
	s_branch .LBB70_779
.LBB70_778:
	s_mov_b64 s[38:39], -1
                                        ; implicit-def: $vgpr0
.LBB70_779:
	s_mov_b64 s[40:41], 0
.LBB70_780:
	s_and_b64 vcc, exec, s[40:41]
	s_cbranch_vccz .LBB70_784
; %bb.781:
	s_cmp_eq_u32 s43, 29
	s_cbranch_scc0 .LBB70_783
; %bb.782:
	global_load_dwordx2 v[0:1], v[2:3], off
	s_mov_b64 s[0:1], -1
	s_mov_b64 s[38:39], 0
	s_branch .LBB70_784
.LBB70_783:
	s_mov_b64 s[38:39], -1
                                        ; implicit-def: $vgpr0
.LBB70_784:
	s_mov_b64 s[40:41], 0
.LBB70_785:
	s_and_b64 vcc, exec, s[40:41]
	s_cbranch_vccz .LBB70_801
; %bb.786:
	s_cmp_lt_i32 s43, 27
	s_cbranch_scc1 .LBB70_789
; %bb.787:
	s_cmp_gt_i32 s43, 27
	s_cbranch_scc0 .LBB70_790
; %bb.788:
	global_load_dword v0, v[2:3], off
	s_mov_b64 s[0:1], 0
	s_branch .LBB70_791
.LBB70_789:
	s_mov_b64 s[0:1], -1
                                        ; implicit-def: $vgpr0
	s_branch .LBB70_794
.LBB70_790:
	s_mov_b64 s[0:1], -1
                                        ; implicit-def: $vgpr0
.LBB70_791:
	s_andn2_b64 vcc, exec, s[0:1]
	s_cbranch_vccnz .LBB70_793
; %bb.792:
	global_load_ushort v0, v[2:3], off
.LBB70_793:
	s_mov_b64 s[0:1], 0
.LBB70_794:
	s_andn2_b64 vcc, exec, s[0:1]
	s_cbranch_vccnz .LBB70_800
; %bb.795:
	global_load_ubyte v1, v[2:3], off
	s_movk_i32 s0, 0x7f
	s_mov_b64 s[40:41], 0
	s_waitcnt vmcnt(0)
	v_cmp_lt_i16_e32 vcc, s0, v1
	s_and_saveexec_b64 s[0:1], vcc
	s_xor_b64 s[0:1], exec, s[0:1]
	s_cbranch_execz .LBB70_812
; %bb.796:
	s_movk_i32 s40, 0x80
	v_cmp_ne_u16_e32 vcc, s40, v1
	s_and_b64 s[40:41], vcc, exec
	s_andn2_saveexec_b64 s[0:1], s[0:1]
	s_cbranch_execnz .LBB70_813
.LBB70_797:
	s_or_b64 exec, exec, s[0:1]
	v_mov_b32_e32 v0, 0
	s_and_saveexec_b64 s[0:1], s[40:41]
	s_cbranch_execz .LBB70_799
.LBB70_798:
	v_lshlrev_b32_e32 v0, 24, v1
	v_and_b32_e32 v1, 0xffff, v1
	v_and_b32_e32 v4, 7, v1
	v_ffbh_u32_e32 v6, v4
	v_min_u32_e32 v6, 32, v6
	v_subrev_u32_e32 v7, 28, v6
	v_bfe_u32 v5, v1, 3, 4
	v_lshlrev_b32_e32 v1, v7, v1
	v_sub_u32_e32 v6, 29, v6
	v_and_b32_e32 v1, 7, v1
	v_cmp_eq_u32_e32 vcc, 0, v5
	v_cndmask_b32_e32 v5, v5, v6, vcc
	v_cndmask_b32_e32 v1, v4, v1, vcc
	v_mov_b32_e32 v4, 0x3b800000
	v_lshlrev_b32_e32 v1, 20, v1
	v_and_b32_e32 v0, 0x80000000, v0
	v_lshl_add_u32 v4, v5, 23, v4
	v_or3_b32 v0, v0, v4, v1
	v_cvt_i32_f32_e32 v0, v0
.LBB70_799:
	s_or_b64 exec, exec, s[0:1]
.LBB70_800:
	s_mov_b64 s[0:1], -1
.LBB70_801:
	s_mov_b64 s[40:41], 0
.LBB70_802:
	s_and_b64 vcc, exec, s[40:41]
	s_cbranch_vccz .LBB70_835
; %bb.803:
	s_cmp_gt_i32 s43, 22
	s_cbranch_scc0 .LBB70_811
; %bb.804:
	s_cmp_lt_i32 s43, 24
	s_cbranch_scc1 .LBB70_814
; %bb.805:
	s_cmp_gt_i32 s43, 24
	s_cbranch_scc0 .LBB70_815
; %bb.806:
	global_load_ubyte v1, v[2:3], off
	s_movk_i32 s0, 0x7f
	s_mov_b64 s[40:41], 0
	s_waitcnt vmcnt(0)
	v_cmp_lt_i16_e32 vcc, s0, v1
	s_and_saveexec_b64 s[0:1], vcc
	s_xor_b64 s[0:1], exec, s[0:1]
	s_cbranch_execz .LBB70_827
; %bb.807:
	s_movk_i32 s40, 0x80
	v_cmp_ne_u16_e32 vcc, s40, v1
	s_and_b64 s[40:41], vcc, exec
	s_andn2_saveexec_b64 s[0:1], s[0:1]
	s_cbranch_execnz .LBB70_828
.LBB70_808:
	s_or_b64 exec, exec, s[0:1]
	v_mov_b32_e32 v0, 0
	s_and_saveexec_b64 s[0:1], s[40:41]
	s_cbranch_execz .LBB70_810
.LBB70_809:
	v_lshlrev_b32_e32 v0, 24, v1
	v_and_b32_e32 v1, 0xffff, v1
	v_and_b32_e32 v4, 3, v1
	v_ffbh_u32_e32 v6, v4
	v_min_u32_e32 v6, 32, v6
	v_subrev_u32_e32 v7, 29, v6
	v_bfe_u32 v5, v1, 2, 5
	v_lshlrev_b32_e32 v1, v7, v1
	v_sub_u32_e32 v6, 30, v6
	v_and_b32_e32 v1, 3, v1
	v_cmp_eq_u32_e32 vcc, 0, v5
	v_cndmask_b32_e32 v5, v5, v6, vcc
	v_cndmask_b32_e32 v1, v4, v1, vcc
	v_mov_b32_e32 v4, 0x37800000
	v_lshlrev_b32_e32 v1, 21, v1
	v_and_b32_e32 v0, 0x80000000, v0
	v_lshl_add_u32 v4, v5, 23, v4
	v_or3_b32 v0, v0, v4, v1
	v_cvt_i32_f32_e32 v0, v0
.LBB70_810:
	s_or_b64 exec, exec, s[0:1]
	s_mov_b64 s[0:1], 0
	s_branch .LBB70_816
.LBB70_811:
	s_mov_b64 s[40:41], -1
                                        ; implicit-def: $vgpr0
	s_branch .LBB70_822
.LBB70_812:
	s_andn2_saveexec_b64 s[0:1], s[0:1]
	s_cbranch_execz .LBB70_797
.LBB70_813:
	v_cmp_ne_u16_e32 vcc, 0, v1
	s_andn2_b64 s[40:41], s[40:41], exec
	s_and_b64 s[44:45], vcc, exec
	s_or_b64 s[40:41], s[40:41], s[44:45]
	s_or_b64 exec, exec, s[0:1]
	v_mov_b32_e32 v0, 0
	s_and_saveexec_b64 s[0:1], s[40:41]
	s_cbranch_execnz .LBB70_798
	s_branch .LBB70_799
.LBB70_814:
	s_mov_b64 s[0:1], -1
                                        ; implicit-def: $vgpr0
	s_branch .LBB70_819
.LBB70_815:
	s_mov_b64 s[0:1], -1
                                        ; implicit-def: $vgpr0
.LBB70_816:
	s_and_b64 vcc, exec, s[0:1]
	s_cbranch_vccz .LBB70_818
; %bb.817:
	global_load_ubyte v0, v[2:3], off
	s_mov_b32 s0, 0x7f800000
	s_waitcnt vmcnt(0)
	v_lshlrev_b32_e32 v0, 24, v0
	v_and_b32_e32 v1, 0x7f000000, v0
	v_ffbh_u32_e32 v4, v1
	v_min_u32_e32 v4, 32, v4
	v_sub_u32_e64 v4, v4, 4 clamp
	v_lshlrev_b32_e32 v6, v4, v1
	v_lshlrev_b32_e32 v4, 23, v4
	v_lshrrev_b32_e32 v6, 4, v6
	v_add_u32_e32 v5, 0x1000000, v1
	v_sub_u32_e32 v4, v6, v4
	v_ashrrev_i32_e32 v5, 8, v5
	v_add_u32_e32 v4, 0x3c000000, v4
	v_and_or_b32 v4, v5, s0, v4
	v_cmp_ne_u32_e32 vcc, 0, v1
	v_cndmask_b32_e32 v1, 0, v4, vcc
	s_brev_b32 s0, 1
	v_and_or_b32 v0, v0, s0, v1
	v_cvt_i32_f32_e32 v0, v0
.LBB70_818:
	s_mov_b64 s[0:1], 0
.LBB70_819:
	s_andn2_b64 vcc, exec, s[0:1]
	s_cbranch_vccnz .LBB70_821
; %bb.820:
	global_load_ubyte v0, v[2:3], off
	s_movk_i32 s0, 0x7f00
	s_brev_b32 s1, 16
	s_waitcnt vmcnt(0)
	v_lshlrev_b16_e32 v1, 8, v0
	v_lshlrev_b32_e32 v0, 25, v0
	v_lshrrev_b32_e32 v4, 4, v0
	v_and_or_b32 v5, v1, s0, 0.5
	v_or_b32_e32 v4, 0x70000000, v4
	v_add_f32_e32 v5, -0.5, v5
	v_mul_f32_e32 v4, 0x7800000, v4
	v_cmp_gt_u32_e32 vcc, s1, v0
	v_bfe_i32 v1, v1, 0, 16
	v_cndmask_b32_e32 v0, v4, v5, vcc
	s_brev_b32 s0, 1
	v_and_or_b32 v0, v1, s0, v0
	v_cvt_i32_f32_e32 v0, v0
.LBB70_821:
	s_mov_b64 s[40:41], 0
	s_mov_b64 s[0:1], -1
.LBB70_822:
	s_andn2_b64 vcc, exec, s[40:41]
	s_cbranch_vccnz .LBB70_835
; %bb.823:
	s_cmp_gt_i32 s43, 14
	s_cbranch_scc0 .LBB70_826
; %bb.824:
	s_cmp_eq_u32 s43, 15
	s_cbranch_scc0 .LBB70_829
; %bb.825:
	global_load_ushort v0, v[2:3], off
	s_mov_b64 s[0:1], -1
	s_mov_b64 s[38:39], 0
	s_waitcnt vmcnt(0)
	v_lshlrev_b32_e32 v0, 16, v0
	v_cvt_i32_f32_e32 v0, v0
	s_branch .LBB70_830
.LBB70_826:
	s_mov_b64 s[40:41], -1
                                        ; implicit-def: $vgpr0
	s_branch .LBB70_831
.LBB70_827:
	s_andn2_saveexec_b64 s[0:1], s[0:1]
	s_cbranch_execz .LBB70_808
.LBB70_828:
	v_cmp_ne_u16_e32 vcc, 0, v1
	s_andn2_b64 s[40:41], s[40:41], exec
	s_and_b64 s[44:45], vcc, exec
	s_or_b64 s[40:41], s[40:41], s[44:45]
	s_or_b64 exec, exec, s[0:1]
	v_mov_b32_e32 v0, 0
	s_and_saveexec_b64 s[0:1], s[40:41]
	s_cbranch_execnz .LBB70_809
	s_branch .LBB70_810
.LBB70_829:
	s_mov_b64 s[38:39], -1
                                        ; implicit-def: $vgpr0
.LBB70_830:
	s_mov_b64 s[40:41], 0
.LBB70_831:
	s_and_b64 vcc, exec, s[40:41]
	s_cbranch_vccz .LBB70_835
; %bb.832:
	s_cmp_eq_u32 s43, 11
	s_cbranch_scc0 .LBB70_834
; %bb.833:
	global_load_ubyte v0, v[2:3], off
	s_mov_b64 s[0:1], -1
	s_mov_b64 s[38:39], 0
	s_waitcnt vmcnt(0)
	v_cmp_ne_u16_e32 vcc, 0, v0
	v_cndmask_b32_e64 v0, 0, 1, vcc
	s_branch .LBB70_835
.LBB70_834:
	s_mov_b64 s[38:39], -1
                                        ; implicit-def: $vgpr0
.LBB70_835:
	s_mov_b64 s[40:41], 0
.LBB70_836:
	s_and_b64 vcc, exec, s[40:41]
	s_cbranch_vccz .LBB70_885
; %bb.837:
	s_and_b32 s40, 0xffff, s42
	s_cmp_lt_i32 s40, 5
	s_cbranch_scc1 .LBB70_842
; %bb.838:
	s_cmp_lt_i32 s40, 8
	s_cbranch_scc1 .LBB70_843
; %bb.839:
	s_cmp_lt_i32 s40, 9
	s_cbranch_scc1 .LBB70_844
; %bb.840:
	s_cmp_gt_i32 s40, 9
	s_cbranch_scc0 .LBB70_845
; %bb.841:
	global_load_dwordx2 v[0:1], v[2:3], off
	s_mov_b64 s[0:1], 0
	s_waitcnt vmcnt(0)
	v_cvt_i32_f64_e32 v0, v[0:1]
	s_branch .LBB70_846
.LBB70_842:
	s_mov_b64 s[0:1], -1
                                        ; implicit-def: $vgpr0
	s_branch .LBB70_864
.LBB70_843:
	s_mov_b64 s[0:1], -1
                                        ; implicit-def: $vgpr0
	s_branch .LBB70_852
.LBB70_844:
	s_mov_b64 s[0:1], -1
                                        ; implicit-def: $vgpr0
	s_branch .LBB70_849
.LBB70_845:
	s_mov_b64 s[0:1], -1
                                        ; implicit-def: $vgpr0
.LBB70_846:
	s_andn2_b64 vcc, exec, s[0:1]
	s_cbranch_vccnz .LBB70_848
; %bb.847:
	global_load_dword v0, v[2:3], off
	s_waitcnt vmcnt(0)
	v_cvt_i32_f32_e32 v0, v0
.LBB70_848:
	s_mov_b64 s[0:1], 0
.LBB70_849:
	s_andn2_b64 vcc, exec, s[0:1]
	s_cbranch_vccnz .LBB70_851
; %bb.850:
	global_load_dword v0, v[2:3], off
	s_waitcnt vmcnt(0)
	v_cvt_i16_f16_e32 v0, v0
.LBB70_851:
	s_mov_b64 s[0:1], 0
.LBB70_852:
	s_andn2_b64 vcc, exec, s[0:1]
	s_cbranch_vccnz .LBB70_863
; %bb.853:
	s_cmp_lt_i32 s40, 6
	s_cbranch_scc1 .LBB70_856
; %bb.854:
	s_cmp_gt_i32 s40, 6
	s_cbranch_scc0 .LBB70_857
; %bb.855:
	global_load_dwordx2 v[0:1], v[2:3], off
	s_mov_b64 s[0:1], 0
	s_waitcnt vmcnt(0)
	v_cvt_i32_f64_e32 v0, v[0:1]
	s_branch .LBB70_858
.LBB70_856:
	s_mov_b64 s[0:1], -1
                                        ; implicit-def: $vgpr0
	s_branch .LBB70_861
.LBB70_857:
	s_mov_b64 s[0:1], -1
                                        ; implicit-def: $vgpr0
.LBB70_858:
	s_andn2_b64 vcc, exec, s[0:1]
	s_cbranch_vccnz .LBB70_860
; %bb.859:
	global_load_dword v0, v[2:3], off
	s_waitcnt vmcnt(0)
	v_cvt_i32_f32_e32 v0, v0
.LBB70_860:
	s_mov_b64 s[0:1], 0
.LBB70_861:
	s_andn2_b64 vcc, exec, s[0:1]
	s_cbranch_vccnz .LBB70_863
; %bb.862:
	global_load_ushort v0, v[2:3], off
	s_waitcnt vmcnt(0)
	v_cvt_i16_f16_e32 v0, v0
.LBB70_863:
	s_mov_b64 s[0:1], 0
.LBB70_864:
	s_andn2_b64 vcc, exec, s[0:1]
	s_cbranch_vccnz .LBB70_884
; %bb.865:
	s_cmp_lt_i32 s40, 2
	s_cbranch_scc1 .LBB70_869
; %bb.866:
	s_cmp_lt_i32 s40, 3
	s_cbranch_scc1 .LBB70_870
; %bb.867:
	s_cmp_gt_i32 s40, 3
	s_cbranch_scc0 .LBB70_871
; %bb.868:
	global_load_dwordx2 v[0:1], v[2:3], off
	s_mov_b64 s[0:1], 0
	s_branch .LBB70_872
.LBB70_869:
	s_mov_b64 s[0:1], -1
                                        ; implicit-def: $vgpr0
	s_branch .LBB70_878
.LBB70_870:
	s_mov_b64 s[0:1], -1
                                        ; implicit-def: $vgpr0
	s_branch .LBB70_875
.LBB70_871:
	s_mov_b64 s[0:1], -1
                                        ; implicit-def: $vgpr0
.LBB70_872:
	s_andn2_b64 vcc, exec, s[0:1]
	s_cbranch_vccnz .LBB70_874
; %bb.873:
	global_load_dword v0, v[2:3], off
.LBB70_874:
	s_mov_b64 s[0:1], 0
.LBB70_875:
	s_andn2_b64 vcc, exec, s[0:1]
	s_cbranch_vccnz .LBB70_877
; %bb.876:
	global_load_ushort v0, v[2:3], off
.LBB70_877:
	s_mov_b64 s[0:1], 0
.LBB70_878:
	s_andn2_b64 vcc, exec, s[0:1]
	s_cbranch_vccnz .LBB70_884
; %bb.879:
	s_cmp_gt_i32 s40, 0
	s_cbranch_scc0 .LBB70_881
; %bb.880:
	global_load_sbyte v0, v[2:3], off
	s_mov_b64 s[0:1], 0
	s_branch .LBB70_882
.LBB70_881:
	s_mov_b64 s[0:1], -1
                                        ; implicit-def: $vgpr0
.LBB70_882:
	s_andn2_b64 vcc, exec, s[0:1]
	s_cbranch_vccnz .LBB70_884
; %bb.883:
	global_load_ubyte v0, v[2:3], off
.LBB70_884:
	s_mov_b64 s[0:1], -1
.LBB70_885:
	s_andn2_b64 vcc, exec, s[0:1]
	s_cbranch_vccnz .LBB70_893
; %bb.886:
	s_waitcnt vmcnt(0)
	v_mul_lo_u32 v1, v14, s14
	v_mov_b32_e32 v2, s3
	s_and_b32 s44, s56, 0xff
	s_cmp_lt_i32 s44, 11
	v_ashrrev_i32_e32 v3, 31, v1
	v_add_co_u32_e32 v1, vcc, s2, v1
	v_addc_co_u32_e32 v2, vcc, v2, v3, vcc
	s_cbranch_scc1 .LBB70_895
; %bb.887:
	s_and_b32 s45, 0xffff, s44
	s_cmp_gt_i32 s45, 25
	s_cbranch_scc0 .LBB70_896
; %bb.888:
	s_cmp_gt_i32 s45, 28
	s_cbranch_scc0 .LBB70_897
; %bb.889:
	;; [unrolled: 3-line block ×4, first 2 shown]
	s_cmp_eq_u32 s45, 46
	s_mov_b64 s[42:43], 0
	s_cbranch_scc0 .LBB70_902
; %bb.892:
	global_load_dword v3, v[1:2], off
	s_mov_b64 s[0:1], -1
	s_mov_b64 s[40:41], 0
	s_waitcnt vmcnt(0)
	v_lshlrev_b32_e32 v3, 16, v3
	v_cvt_i32_f32_e32 v3, v3
	s_branch .LBB70_903
.LBB70_893:
	s_mov_b64 s[44:45], 0
	s_mov_b64 s[0:1], s[30:31]
	;; [unrolled: 1-line block ×3, first 2 shown]
.LBB70_894:
                                        ; implicit-def: $vgpr14
	s_branch .LBB70_1137
.LBB70_895:
	s_mov_b64 s[42:43], -1
	s_mov_b64 s[0:1], 0
                                        ; implicit-def: $vgpr3
	s_mov_b64 s[40:41], s[28:29]
	s_branch .LBB70_964
.LBB70_896:
	s_mov_b64 s[42:43], -1
	s_mov_b64 s[0:1], 0
	s_mov_b64 s[40:41], s[28:29]
                                        ; implicit-def: $vgpr3
	s_branch .LBB70_930
.LBB70_897:
	s_mov_b64 s[42:43], -1
	s_mov_b64 s[0:1], 0
	s_mov_b64 s[40:41], s[28:29]
                                        ; implicit-def: $vgpr3
	s_branch .LBB70_913
.LBB70_898:
	s_mov_b64 s[42:43], -1
	s_mov_b64 s[0:1], 0
	s_mov_b64 s[40:41], s[28:29]
                                        ; implicit-def: $vgpr3
	s_branch .LBB70_908
.LBB70_899:
	s_mov_b64 s[42:43], -1
	s_mov_b64 s[0:1], 0
	s_mov_b64 s[40:41], s[28:29]
                                        ; implicit-def: $vgpr3
	s_branch .LBB70_903
.LBB70_900:
	s_andn2_saveexec_b64 s[40:41], s[40:41]
	s_cbranch_execz .LBB70_680
.LBB70_901:
	v_add_f32_e32 v2, 0x42800000, v3
	v_and_b32_e32 v2, 0xff, v2
	v_cmp_ne_u32_e32 vcc, 0, v2
	s_andn2_b64 s[38:39], s[38:39], exec
	s_and_b64 s[44:45], vcc, exec
	s_or_b64 s[38:39], s[38:39], s[44:45]
	s_or_b64 exec, exec, s[40:41]
	v_mov_b32_e32 v4, 0
	s_and_saveexec_b64 s[40:41], s[38:39]
	s_cbranch_execnz .LBB70_681
	s_branch .LBB70_682
.LBB70_902:
	s_mov_b64 s[40:41], -1
                                        ; implicit-def: $vgpr3
	s_mov_b64 s[0:1], 0
.LBB70_903:
	s_and_b64 vcc, exec, s[42:43]
	s_cbranch_vccz .LBB70_907
; %bb.904:
	s_cmp_eq_u32 s45, 44
	s_cbranch_scc0 .LBB70_906
; %bb.905:
	global_load_ubyte v3, v[1:2], off
	s_mov_b64 s[0:1], -1
	s_mov_b64 s[40:41], 0
	s_waitcnt vmcnt(0)
	v_lshlrev_b32_e32 v4, 23, v3
	v_cvt_i32_f32_e32 v4, v4
	v_cmp_ne_u32_e32 vcc, 0, v3
	v_cndmask_b32_e32 v3, 0, v4, vcc
	s_branch .LBB70_907
.LBB70_906:
	s_mov_b64 s[40:41], -1
                                        ; implicit-def: $vgpr3
.LBB70_907:
	s_mov_b64 s[42:43], 0
.LBB70_908:
	s_and_b64 vcc, exec, s[42:43]
	s_cbranch_vccz .LBB70_912
; %bb.909:
	s_cmp_eq_u32 s45, 29
	s_cbranch_scc0 .LBB70_911
; %bb.910:
	global_load_dwordx2 v[3:4], v[1:2], off
	s_mov_b64 s[0:1], -1
	s_mov_b64 s[40:41], 0
	s_branch .LBB70_912
.LBB70_911:
	s_mov_b64 s[40:41], -1
                                        ; implicit-def: $vgpr3
.LBB70_912:
	s_mov_b64 s[42:43], 0
.LBB70_913:
	s_and_b64 vcc, exec, s[42:43]
	s_cbranch_vccz .LBB70_929
; %bb.914:
	s_cmp_lt_i32 s45, 27
	s_cbranch_scc1 .LBB70_917
; %bb.915:
	s_cmp_gt_i32 s45, 27
	s_cbranch_scc0 .LBB70_918
; %bb.916:
	global_load_dword v3, v[1:2], off
	s_mov_b64 s[0:1], 0
	s_branch .LBB70_919
.LBB70_917:
	s_mov_b64 s[0:1], -1
                                        ; implicit-def: $vgpr3
	s_branch .LBB70_922
.LBB70_918:
	s_mov_b64 s[0:1], -1
                                        ; implicit-def: $vgpr3
.LBB70_919:
	s_andn2_b64 vcc, exec, s[0:1]
	s_cbranch_vccnz .LBB70_921
; %bb.920:
	global_load_ushort v3, v[1:2], off
.LBB70_921:
	s_mov_b64 s[0:1], 0
.LBB70_922:
	s_andn2_b64 vcc, exec, s[0:1]
	s_cbranch_vccnz .LBB70_928
; %bb.923:
	global_load_ubyte v4, v[1:2], off
	s_movk_i32 s0, 0x7f
	s_mov_b64 s[42:43], 0
	s_waitcnt vmcnt(0)
	v_cmp_lt_i16_e32 vcc, s0, v4
	s_and_saveexec_b64 s[0:1], vcc
	s_xor_b64 s[0:1], exec, s[0:1]
	s_cbranch_execz .LBB70_940
; %bb.924:
	s_movk_i32 s42, 0x80
	v_cmp_ne_u16_e32 vcc, s42, v4
	s_and_b64 s[42:43], vcc, exec
	s_andn2_saveexec_b64 s[0:1], s[0:1]
	s_cbranch_execnz .LBB70_941
.LBB70_925:
	s_or_b64 exec, exec, s[0:1]
	v_mov_b32_e32 v3, 0
	s_and_saveexec_b64 s[0:1], s[42:43]
	s_cbranch_execz .LBB70_927
.LBB70_926:
	v_lshlrev_b32_e32 v3, 24, v4
	v_and_b32_e32 v4, 0xffff, v4
	v_and_b32_e32 v5, 7, v4
	v_ffbh_u32_e32 v7, v5
	v_min_u32_e32 v7, 32, v7
	v_subrev_u32_e32 v8, 28, v7
	v_bfe_u32 v6, v4, 3, 4
	v_lshlrev_b32_e32 v4, v8, v4
	v_sub_u32_e32 v7, 29, v7
	v_and_b32_e32 v4, 7, v4
	v_cmp_eq_u32_e32 vcc, 0, v6
	v_cndmask_b32_e32 v6, v6, v7, vcc
	v_cndmask_b32_e32 v4, v5, v4, vcc
	v_mov_b32_e32 v5, 0x3b800000
	v_lshlrev_b32_e32 v4, 20, v4
	v_and_b32_e32 v3, 0x80000000, v3
	v_lshl_add_u32 v5, v6, 23, v5
	v_or3_b32 v3, v3, v5, v4
	v_cvt_i32_f32_e32 v3, v3
.LBB70_927:
	s_or_b64 exec, exec, s[0:1]
.LBB70_928:
	s_mov_b64 s[0:1], -1
.LBB70_929:
	s_mov_b64 s[42:43], 0
.LBB70_930:
	s_and_b64 vcc, exec, s[42:43]
	s_cbranch_vccz .LBB70_963
; %bb.931:
	s_cmp_gt_i32 s45, 22
	s_cbranch_scc0 .LBB70_939
; %bb.932:
	s_cmp_lt_i32 s45, 24
	s_cbranch_scc1 .LBB70_942
; %bb.933:
	s_cmp_gt_i32 s45, 24
	s_cbranch_scc0 .LBB70_943
; %bb.934:
	global_load_ubyte v4, v[1:2], off
	s_movk_i32 s0, 0x7f
	s_mov_b64 s[42:43], 0
	s_waitcnt vmcnt(0)
	v_cmp_lt_i16_e32 vcc, s0, v4
	s_and_saveexec_b64 s[0:1], vcc
	s_xor_b64 s[0:1], exec, s[0:1]
	s_cbranch_execz .LBB70_955
; %bb.935:
	s_movk_i32 s42, 0x80
	v_cmp_ne_u16_e32 vcc, s42, v4
	s_and_b64 s[42:43], vcc, exec
	s_andn2_saveexec_b64 s[0:1], s[0:1]
	s_cbranch_execnz .LBB70_956
.LBB70_936:
	s_or_b64 exec, exec, s[0:1]
	v_mov_b32_e32 v3, 0
	s_and_saveexec_b64 s[0:1], s[42:43]
	s_cbranch_execz .LBB70_938
.LBB70_937:
	v_lshlrev_b32_e32 v3, 24, v4
	v_and_b32_e32 v4, 0xffff, v4
	v_and_b32_e32 v5, 3, v4
	v_ffbh_u32_e32 v7, v5
	v_min_u32_e32 v7, 32, v7
	v_subrev_u32_e32 v8, 29, v7
	v_bfe_u32 v6, v4, 2, 5
	v_lshlrev_b32_e32 v4, v8, v4
	v_sub_u32_e32 v7, 30, v7
	v_and_b32_e32 v4, 3, v4
	v_cmp_eq_u32_e32 vcc, 0, v6
	v_cndmask_b32_e32 v6, v6, v7, vcc
	v_cndmask_b32_e32 v4, v5, v4, vcc
	v_mov_b32_e32 v5, 0x37800000
	v_lshlrev_b32_e32 v4, 21, v4
	v_and_b32_e32 v3, 0x80000000, v3
	v_lshl_add_u32 v5, v6, 23, v5
	v_or3_b32 v3, v3, v5, v4
	v_cvt_i32_f32_e32 v3, v3
.LBB70_938:
	s_or_b64 exec, exec, s[0:1]
	s_mov_b64 s[0:1], 0
	s_branch .LBB70_944
.LBB70_939:
	s_mov_b64 s[42:43], -1
                                        ; implicit-def: $vgpr3
	s_branch .LBB70_950
.LBB70_940:
	s_andn2_saveexec_b64 s[0:1], s[0:1]
	s_cbranch_execz .LBB70_925
.LBB70_941:
	v_cmp_ne_u16_e32 vcc, 0, v4
	s_andn2_b64 s[42:43], s[42:43], exec
	s_and_b64 s[46:47], vcc, exec
	s_or_b64 s[42:43], s[42:43], s[46:47]
	s_or_b64 exec, exec, s[0:1]
	v_mov_b32_e32 v3, 0
	s_and_saveexec_b64 s[0:1], s[42:43]
	s_cbranch_execnz .LBB70_926
	s_branch .LBB70_927
.LBB70_942:
	s_mov_b64 s[0:1], -1
                                        ; implicit-def: $vgpr3
	s_branch .LBB70_947
.LBB70_943:
	s_mov_b64 s[0:1], -1
                                        ; implicit-def: $vgpr3
.LBB70_944:
	s_and_b64 vcc, exec, s[0:1]
	s_cbranch_vccz .LBB70_946
; %bb.945:
	global_load_ubyte v3, v[1:2], off
	s_mov_b32 s0, 0x7f800000
	s_waitcnt vmcnt(0)
	v_lshlrev_b32_e32 v3, 24, v3
	v_and_b32_e32 v4, 0x7f000000, v3
	v_ffbh_u32_e32 v5, v4
	v_min_u32_e32 v5, 32, v5
	v_sub_u32_e64 v5, v5, 4 clamp
	v_lshlrev_b32_e32 v7, v5, v4
	v_lshlrev_b32_e32 v5, 23, v5
	v_lshrrev_b32_e32 v7, 4, v7
	v_add_u32_e32 v6, 0x1000000, v4
	v_sub_u32_e32 v5, v7, v5
	v_ashrrev_i32_e32 v6, 8, v6
	v_add_u32_e32 v5, 0x3c000000, v5
	v_and_or_b32 v5, v6, s0, v5
	v_cmp_ne_u32_e32 vcc, 0, v4
	v_cndmask_b32_e32 v4, 0, v5, vcc
	s_brev_b32 s0, 1
	v_and_or_b32 v3, v3, s0, v4
	v_cvt_i32_f32_e32 v3, v3
.LBB70_946:
	s_mov_b64 s[0:1], 0
.LBB70_947:
	s_andn2_b64 vcc, exec, s[0:1]
	s_cbranch_vccnz .LBB70_949
; %bb.948:
	global_load_ubyte v3, v[1:2], off
	s_movk_i32 s0, 0x7f00
	s_brev_b32 s1, 16
	s_waitcnt vmcnt(0)
	v_lshlrev_b16_e32 v4, 8, v3
	v_lshlrev_b32_e32 v3, 25, v3
	v_lshrrev_b32_e32 v5, 4, v3
	v_and_or_b32 v6, v4, s0, 0.5
	v_or_b32_e32 v5, 0x70000000, v5
	v_add_f32_e32 v6, -0.5, v6
	v_mul_f32_e32 v5, 0x7800000, v5
	v_cmp_gt_u32_e32 vcc, s1, v3
	v_bfe_i32 v4, v4, 0, 16
	v_cndmask_b32_e32 v3, v5, v6, vcc
	s_brev_b32 s0, 1
	v_and_or_b32 v3, v4, s0, v3
	v_cvt_i32_f32_e32 v3, v3
.LBB70_949:
	s_mov_b64 s[42:43], 0
	s_mov_b64 s[0:1], -1
.LBB70_950:
	s_andn2_b64 vcc, exec, s[42:43]
	s_cbranch_vccnz .LBB70_963
; %bb.951:
	s_cmp_gt_i32 s45, 14
	s_cbranch_scc0 .LBB70_954
; %bb.952:
	s_cmp_eq_u32 s45, 15
	s_cbranch_scc0 .LBB70_957
; %bb.953:
	global_load_ushort v3, v[1:2], off
	s_mov_b64 s[0:1], -1
	s_mov_b64 s[40:41], 0
	s_waitcnt vmcnt(0)
	v_lshlrev_b32_e32 v3, 16, v3
	v_cvt_i32_f32_e32 v3, v3
	s_branch .LBB70_958
.LBB70_954:
	s_mov_b64 s[42:43], -1
                                        ; implicit-def: $vgpr3
	s_branch .LBB70_959
.LBB70_955:
	s_andn2_saveexec_b64 s[0:1], s[0:1]
	s_cbranch_execz .LBB70_936
.LBB70_956:
	v_cmp_ne_u16_e32 vcc, 0, v4
	s_andn2_b64 s[42:43], s[42:43], exec
	s_and_b64 s[46:47], vcc, exec
	s_or_b64 s[42:43], s[42:43], s[46:47]
	s_or_b64 exec, exec, s[0:1]
	v_mov_b32_e32 v3, 0
	s_and_saveexec_b64 s[0:1], s[42:43]
	s_cbranch_execnz .LBB70_937
	s_branch .LBB70_938
.LBB70_957:
	s_mov_b64 s[40:41], -1
                                        ; implicit-def: $vgpr3
.LBB70_958:
	s_mov_b64 s[42:43], 0
.LBB70_959:
	s_and_b64 vcc, exec, s[42:43]
	s_cbranch_vccz .LBB70_963
; %bb.960:
	s_cmp_eq_u32 s45, 11
	s_cbranch_scc0 .LBB70_962
; %bb.961:
	global_load_ubyte v3, v[1:2], off
	s_mov_b64 s[0:1], -1
	s_mov_b64 s[40:41], 0
	s_waitcnt vmcnt(0)
	v_cmp_ne_u16_e32 vcc, 0, v3
	v_cndmask_b32_e64 v3, 0, 1, vcc
	s_branch .LBB70_963
.LBB70_962:
	s_mov_b64 s[40:41], -1
                                        ; implicit-def: $vgpr3
.LBB70_963:
	s_mov_b64 s[42:43], 0
.LBB70_964:
	s_and_b64 vcc, exec, s[42:43]
	s_cbranch_vccz .LBB70_1013
; %bb.965:
	s_and_b32 s42, 0xffff, s44
	s_cmp_lt_i32 s42, 5
	s_cbranch_scc1 .LBB70_970
; %bb.966:
	s_cmp_lt_i32 s42, 8
	s_cbranch_scc1 .LBB70_971
; %bb.967:
	;; [unrolled: 3-line block ×3, first 2 shown]
	s_cmp_gt_i32 s42, 9
	s_cbranch_scc0 .LBB70_973
; %bb.969:
	global_load_dwordx2 v[3:4], v[1:2], off
	s_mov_b64 s[0:1], 0
	s_waitcnt vmcnt(0)
	v_cvt_i32_f64_e32 v3, v[3:4]
	s_branch .LBB70_974
.LBB70_970:
	s_mov_b64 s[0:1], -1
                                        ; implicit-def: $vgpr3
	s_branch .LBB70_992
.LBB70_971:
	s_mov_b64 s[0:1], -1
                                        ; implicit-def: $vgpr3
	s_branch .LBB70_980
.LBB70_972:
	s_mov_b64 s[0:1], -1
                                        ; implicit-def: $vgpr3
	s_branch .LBB70_977
.LBB70_973:
	s_mov_b64 s[0:1], -1
                                        ; implicit-def: $vgpr3
.LBB70_974:
	s_andn2_b64 vcc, exec, s[0:1]
	s_cbranch_vccnz .LBB70_976
; %bb.975:
	global_load_dword v3, v[1:2], off
	s_waitcnt vmcnt(0)
	v_cvt_i32_f32_e32 v3, v3
.LBB70_976:
	s_mov_b64 s[0:1], 0
.LBB70_977:
	s_andn2_b64 vcc, exec, s[0:1]
	s_cbranch_vccnz .LBB70_979
; %bb.978:
	global_load_dword v3, v[1:2], off
	s_waitcnt vmcnt(0)
	v_cvt_i16_f16_e32 v3, v3
.LBB70_979:
	s_mov_b64 s[0:1], 0
.LBB70_980:
	s_andn2_b64 vcc, exec, s[0:1]
	s_cbranch_vccnz .LBB70_991
; %bb.981:
	s_cmp_lt_i32 s42, 6
	s_cbranch_scc1 .LBB70_984
; %bb.982:
	s_cmp_gt_i32 s42, 6
	s_cbranch_scc0 .LBB70_985
; %bb.983:
	global_load_dwordx2 v[3:4], v[1:2], off
	s_mov_b64 s[0:1], 0
	s_waitcnt vmcnt(0)
	v_cvt_i32_f64_e32 v3, v[3:4]
	s_branch .LBB70_986
.LBB70_984:
	s_mov_b64 s[0:1], -1
                                        ; implicit-def: $vgpr3
	s_branch .LBB70_989
.LBB70_985:
	s_mov_b64 s[0:1], -1
                                        ; implicit-def: $vgpr3
.LBB70_986:
	s_andn2_b64 vcc, exec, s[0:1]
	s_cbranch_vccnz .LBB70_988
; %bb.987:
	global_load_dword v3, v[1:2], off
	s_waitcnt vmcnt(0)
	v_cvt_i32_f32_e32 v3, v3
.LBB70_988:
	s_mov_b64 s[0:1], 0
.LBB70_989:
	s_andn2_b64 vcc, exec, s[0:1]
	s_cbranch_vccnz .LBB70_991
; %bb.990:
	global_load_ushort v3, v[1:2], off
	s_waitcnt vmcnt(0)
	v_cvt_i16_f16_e32 v3, v3
.LBB70_991:
	s_mov_b64 s[0:1], 0
.LBB70_992:
	s_andn2_b64 vcc, exec, s[0:1]
	s_cbranch_vccnz .LBB70_1012
; %bb.993:
	s_cmp_lt_i32 s42, 2
	s_cbranch_scc1 .LBB70_997
; %bb.994:
	s_cmp_lt_i32 s42, 3
	s_cbranch_scc1 .LBB70_998
; %bb.995:
	s_cmp_gt_i32 s42, 3
	s_cbranch_scc0 .LBB70_999
; %bb.996:
	global_load_dwordx2 v[3:4], v[1:2], off
	s_mov_b64 s[0:1], 0
	s_branch .LBB70_1000
.LBB70_997:
	s_mov_b64 s[0:1], -1
                                        ; implicit-def: $vgpr3
	s_branch .LBB70_1006
.LBB70_998:
	s_mov_b64 s[0:1], -1
                                        ; implicit-def: $vgpr3
	s_branch .LBB70_1003
.LBB70_999:
	s_mov_b64 s[0:1], -1
                                        ; implicit-def: $vgpr3
.LBB70_1000:
	s_andn2_b64 vcc, exec, s[0:1]
	s_cbranch_vccnz .LBB70_1002
; %bb.1001:
	global_load_dword v3, v[1:2], off
.LBB70_1002:
	s_mov_b64 s[0:1], 0
.LBB70_1003:
	s_andn2_b64 vcc, exec, s[0:1]
	s_cbranch_vccnz .LBB70_1005
; %bb.1004:
	global_load_ushort v3, v[1:2], off
.LBB70_1005:
	s_mov_b64 s[0:1], 0
.LBB70_1006:
	s_andn2_b64 vcc, exec, s[0:1]
	s_cbranch_vccnz .LBB70_1012
; %bb.1007:
	s_cmp_gt_i32 s42, 0
	s_cbranch_scc0 .LBB70_1009
; %bb.1008:
	global_load_sbyte v3, v[1:2], off
	s_mov_b64 s[0:1], 0
	s_branch .LBB70_1010
.LBB70_1009:
	s_mov_b64 s[0:1], -1
                                        ; implicit-def: $vgpr3
.LBB70_1010:
	s_andn2_b64 vcc, exec, s[0:1]
	s_cbranch_vccnz .LBB70_1012
; %bb.1011:
	global_load_ubyte v3, v[1:2], off
.LBB70_1012:
	s_mov_b64 s[0:1], -1
.LBB70_1013:
	s_andn2_b64 vcc, exec, s[0:1]
	s_cbranch_vccnz .LBB70_1021
; %bb.1014:
	v_mul_lo_u32 v1, v14, s12
	s_waitcnt vmcnt(0)
	v_cmp_ne_u16_e32 vcc, v0, v3
	v_mov_b32_e32 v2, s9
	s_xor_b64 s[42:43], s[16:17], vcc
	v_ashrrev_i32_e32 v3, 31, v1
	s_and_b32 s51, s33, 0xff
	v_add_co_u32_e32 v0, vcc, s8, v1
	s_cmp_lt_i32 s51, 11
	v_addc_co_u32_e32 v1, vcc, v2, v3, vcc
	s_cbranch_scc1 .LBB70_1022
; %bb.1015:
	s_and_b32 s52, 0xffff, s51
	s_cmp_gt_i32 s52, 25
	s_cbranch_scc0 .LBB70_1023
; %bb.1016:
	s_cmp_gt_i32 s52, 28
	s_cbranch_scc0 .LBB70_1024
; %bb.1017:
	;; [unrolled: 3-line block ×4, first 2 shown]
	s_mov_b64 s[46:47], 0
	s_mov_b64 s[0:1], -1
	s_cmp_eq_u32 s52, 46
	s_mov_b64 s[44:45], 0
	s_cbranch_scc0 .LBB70_1027
; %bb.1020:
	v_cndmask_b32_e64 v2, 0, 1.0, s[42:43]
	v_bfe_u32 v3, v2, 16, 1
	s_movk_i32 s0, 0x7fff
	v_add3_u32 v2, v2, v3, s0
	v_lshrrev_b32_e32 v2, 16, v2
	global_store_dword v[0:1], v2, off
	s_mov_b64 s[44:45], -1
	s_mov_b64 s[0:1], 0
	s_branch .LBB70_1027
.LBB70_1021:
	s_mov_b64 s[44:45], 0
                                        ; implicit-def: $vgpr14
	s_mov_b64 s[0:1], s[30:31]
	s_branch .LBB70_1137
.LBB70_1022:
	s_mov_b64 s[46:47], -1
	s_mov_b64 s[44:45], 0
	s_mov_b64 s[0:1], s[30:31]
	s_branch .LBB70_1096
.LBB70_1023:
	s_mov_b64 s[46:47], -1
	s_mov_b64 s[44:45], 0
	s_mov_b64 s[0:1], s[30:31]
	s_branch .LBB70_1054
.LBB70_1024:
	s_mov_b64 s[46:47], -1
	s_mov_b64 s[44:45], 0
	s_mov_b64 s[0:1], s[30:31]
	s_branch .LBB70_1037
.LBB70_1025:
	s_mov_b64 s[46:47], -1
	s_mov_b64 s[44:45], 0
	s_mov_b64 s[0:1], s[30:31]
	s_branch .LBB70_1033
.LBB70_1026:
	s_mov_b64 s[46:47], -1
	s_mov_b64 s[44:45], 0
	s_mov_b64 s[0:1], s[30:31]
.LBB70_1027:
	s_and_b64 vcc, exec, s[46:47]
	s_cbranch_vccz .LBB70_1032
; %bb.1028:
	s_cmp_eq_u32 s52, 44
	s_mov_b64 s[0:1], -1
	s_cbranch_scc0 .LBB70_1032
; %bb.1029:
	v_cndmask_b32_e64 v3, 0, 1.0, s[42:43]
	v_lshrrev_b32_e32 v2, 23, v3
	s_movk_i32 s0, 0xff
	v_cmp_ne_u32_e32 vcc, s0, v2
	v_mov_b32_e32 v4, 0xff
	s_and_saveexec_b64 s[44:45], vcc
; %bb.1030:
	s_mov_b32 s0, 0x3fffff
	v_and_b32_e32 v4, 0x400000, v3
	v_and_or_b32 v3, v3, s0, v2
	v_cmp_ne_u32_e32 vcc, 0, v4
	v_cmp_ne_u32_e64 s[0:1], 0, v3
	s_and_b64 s[0:1], vcc, s[0:1]
	v_cndmask_b32_e64 v3, 0, 1, s[0:1]
	v_add_u32_e32 v4, v2, v3
; %bb.1031:
	s_or_b64 exec, exec, s[44:45]
	s_mov_b64 s[44:45], -1
	s_mov_b64 s[0:1], 0
	global_store_byte v[0:1], v4, off
.LBB70_1032:
	s_mov_b64 s[46:47], 0
.LBB70_1033:
	s_and_b64 vcc, exec, s[46:47]
	s_cbranch_vccz .LBB70_1036
; %bb.1034:
	s_cmp_eq_u32 s52, 29
	s_mov_b64 s[0:1], -1
	s_cbranch_scc0 .LBB70_1036
; %bb.1035:
	s_mov_b32 s0, 0
	v_cndmask_b32_e64 v2, 0, 1, s[42:43]
	v_mov_b32_e32 v3, s0
	global_store_dwordx2 v[0:1], v[2:3], off
	s_mov_b64 s[44:45], -1
	s_mov_b64 s[0:1], 0
.LBB70_1036:
	s_mov_b64 s[46:47], 0
.LBB70_1037:
	s_and_b64 vcc, exec, s[46:47]
	s_cbranch_vccz .LBB70_1053
; %bb.1038:
	s_cmp_lt_i32 s52, 27
	s_mov_b64 s[44:45], -1
	s_cbranch_scc1 .LBB70_1044
; %bb.1039:
	s_cmp_gt_i32 s52, 27
	s_cbranch_scc0 .LBB70_1041
; %bb.1040:
	v_cndmask_b32_e64 v2, 0, 1, s[42:43]
	s_mov_b64 s[44:45], 0
	global_store_dword v[0:1], v2, off
.LBB70_1041:
	s_andn2_b64 vcc, exec, s[44:45]
	s_cbranch_vccnz .LBB70_1043
; %bb.1042:
	v_cndmask_b32_e64 v2, 0, 1, s[42:43]
	global_store_short v[0:1], v2, off
.LBB70_1043:
	s_mov_b64 s[44:45], 0
.LBB70_1044:
	s_andn2_b64 vcc, exec, s[44:45]
	s_cbranch_vccnz .LBB70_1052
; %bb.1045:
	v_cndmask_b32_e64 v3, 0, 1.0, s[42:43]
	s_mov_b32 s44, 0x43800000
	v_cmp_gt_u32_e32 vcc, s44, v3
	v_mov_b32_e32 v4, 0x80
	s_and_saveexec_b64 s[44:45], vcc
	s_cbranch_execz .LBB70_1051
; %bb.1046:
	s_mov_b32 s46, 0x3bffffff
	v_cmp_lt_u32_e32 vcc, s46, v3
	s_mov_b64 s[46:47], 0
                                        ; implicit-def: $vgpr2
	s_and_saveexec_b64 s[48:49], vcc
	s_xor_b64 s[48:49], exec, s[48:49]
	s_cbranch_execz .LBB70_1153
; %bb.1047:
	v_bfe_u32 v2, v3, 20, 1
	s_mov_b32 s53, 0x487ffff
	v_add3_u32 v2, v3, v2, s53
	s_mov_b64 s[46:47], exec
	v_lshrrev_b32_e32 v2, 20, v2
                                        ; implicit-def: $vgpr3
	s_andn2_saveexec_b64 s[48:49], s[48:49]
	s_cbranch_execnz .LBB70_1154
.LBB70_1048:
	s_or_b64 exec, exec, s[48:49]
	v_mov_b32_e32 v4, 0
	s_and_saveexec_b64 s[48:49], s[46:47]
.LBB70_1049:
	v_mov_b32_e32 v4, v2
.LBB70_1050:
	s_or_b64 exec, exec, s[48:49]
.LBB70_1051:
	s_or_b64 exec, exec, s[44:45]
	global_store_byte v[0:1], v4, off
.LBB70_1052:
	s_mov_b64 s[44:45], -1
.LBB70_1053:
	s_mov_b64 s[46:47], 0
.LBB70_1054:
	s_and_b64 vcc, exec, s[46:47]
	s_cbranch_vccz .LBB70_1095
; %bb.1055:
	s_cmp_gt_i32 s52, 22
	s_mov_b64 s[46:47], -1
	s_cbranch_scc0 .LBB70_1087
; %bb.1056:
	s_cmp_lt_i32 s52, 24
	s_mov_b64 s[44:45], -1
	s_cbranch_scc1 .LBB70_1076
; %bb.1057:
	s_cmp_gt_i32 s52, 24
	s_cbranch_scc0 .LBB70_1065
; %bb.1058:
	v_cndmask_b32_e64 v3, 0, 1.0, s[42:43]
	s_mov_b32 s44, 0x47800000
	v_cmp_gt_u32_e32 vcc, s44, v3
	v_mov_b32_e32 v4, 0x80
	s_and_saveexec_b64 s[44:45], vcc
	s_cbranch_execz .LBB70_1064
; %bb.1059:
	s_mov_b32 s46, 0x37ffffff
	v_cmp_lt_u32_e32 vcc, s46, v3
	s_mov_b64 s[46:47], 0
                                        ; implicit-def: $vgpr2
	s_and_saveexec_b64 s[48:49], vcc
	s_xor_b64 s[48:49], exec, s[48:49]
	s_cbranch_execz .LBB70_2147
; %bb.1060:
	v_bfe_u32 v2, v3, 21, 1
	s_mov_b32 s53, 0x88fffff
	v_add3_u32 v2, v3, v2, s53
	s_mov_b64 s[46:47], exec
	v_lshrrev_b32_e32 v2, 21, v2
                                        ; implicit-def: $vgpr3
	s_andn2_saveexec_b64 s[48:49], s[48:49]
	s_cbranch_execnz .LBB70_2148
.LBB70_1061:
	s_or_b64 exec, exec, s[48:49]
	v_mov_b32_e32 v4, 0
	s_and_saveexec_b64 s[48:49], s[46:47]
.LBB70_1062:
	v_mov_b32_e32 v4, v2
.LBB70_1063:
	s_or_b64 exec, exec, s[48:49]
.LBB70_1064:
	s_or_b64 exec, exec, s[44:45]
	s_mov_b64 s[44:45], 0
	global_store_byte v[0:1], v4, off
.LBB70_1065:
	s_and_b64 vcc, exec, s[44:45]
	s_cbranch_vccz .LBB70_1075
; %bb.1066:
	v_cndmask_b32_e64 v2, 0, 1.0, s[42:43]
	s_mov_b32 s44, 0x43f00000
	v_cmp_gt_u32_e32 vcc, s44, v2
                                        ; implicit-def: $vgpr3
	s_and_saveexec_b64 s[44:45], vcc
	s_xor_b64 s[44:45], exec, s[44:45]
	s_cbranch_execz .LBB70_1072
; %bb.1067:
	s_mov_b32 s46, 0x3c7fffff
	v_cmp_lt_u32_e32 vcc, s46, v2
                                        ; implicit-def: $vgpr3
	s_and_saveexec_b64 s[46:47], vcc
	s_xor_b64 s[46:47], exec, s[46:47]
; %bb.1068:
	v_bfe_u32 v3, v2, 20, 1
	s_mov_b32 s48, 0x407ffff
	v_add3_u32 v2, v2, v3, s48
	v_lshrrev_b32_e32 v3, 20, v2
	v_and_b32_e32 v2, 0xff00000, v2
	s_mov_b32 s48, 0x7f00000
	v_mov_b32_e32 v4, 0x7e
	v_cmp_ne_u32_e32 vcc, s48, v2
	v_cndmask_b32_e32 v3, v4, v3, vcc
                                        ; implicit-def: $vgpr2
; %bb.1069:
	s_andn2_saveexec_b64 s[46:47], s[46:47]
; %bb.1070:
	v_add_f32_e32 v3, 0x46800000, v2
; %bb.1071:
	s_or_b64 exec, exec, s[46:47]
                                        ; implicit-def: $vgpr2
.LBB70_1072:
	s_andn2_saveexec_b64 s[44:45], s[44:45]
; %bb.1073:
	s_mov_b32 s46, 0x7f800000
	v_mov_b32_e32 v3, 0x7e
	v_mov_b32_e32 v4, 0x7f
	v_cmp_lt_u32_e32 vcc, s46, v2
	v_cndmask_b32_e32 v3, v3, v4, vcc
; %bb.1074:
	s_or_b64 exec, exec, s[44:45]
	global_store_byte v[0:1], v3, off
.LBB70_1075:
	s_mov_b64 s[44:45], 0
.LBB70_1076:
	s_andn2_b64 vcc, exec, s[44:45]
	s_cbranch_vccnz .LBB70_1086
; %bb.1077:
	v_cndmask_b32_e64 v2, 0, 1.0, s[42:43]
	s_mov_b32 s44, 0x47800000
	v_cmp_gt_u32_e32 vcc, s44, v2
                                        ; implicit-def: $vgpr3
	s_and_saveexec_b64 s[44:45], vcc
	s_xor_b64 s[44:45], exec, s[44:45]
	s_cbranch_execz .LBB70_1083
; %bb.1078:
	s_mov_b32 s46, 0x387fffff
	v_cmp_lt_u32_e32 vcc, s46, v2
                                        ; implicit-def: $vgpr3
	s_and_saveexec_b64 s[46:47], vcc
	s_xor_b64 s[46:47], exec, s[46:47]
; %bb.1079:
	v_bfe_u32 v3, v2, 21, 1
	s_mov_b32 s48, 0x80fffff
	v_add3_u32 v2, v2, v3, s48
	v_lshrrev_b32_e32 v3, 21, v2
                                        ; implicit-def: $vgpr2
; %bb.1080:
	s_andn2_saveexec_b64 s[46:47], s[46:47]
; %bb.1081:
	v_add_f32_e32 v3, 0x43000000, v2
; %bb.1082:
	s_or_b64 exec, exec, s[46:47]
                                        ; implicit-def: $vgpr2
.LBB70_1083:
	s_andn2_saveexec_b64 s[44:45], s[44:45]
; %bb.1084:
	s_mov_b32 s46, 0x7f800000
	v_mov_b32_e32 v3, 0x7c
	v_mov_b32_e32 v4, 0x7f
	v_cmp_lt_u32_e32 vcc, s46, v2
	v_cndmask_b32_e32 v3, v3, v4, vcc
; %bb.1085:
	s_or_b64 exec, exec, s[44:45]
	global_store_byte v[0:1], v3, off
.LBB70_1086:
	s_mov_b64 s[46:47], 0
	s_mov_b64 s[44:45], -1
.LBB70_1087:
	s_andn2_b64 vcc, exec, s[46:47]
	s_cbranch_vccnz .LBB70_1095
; %bb.1088:
	s_cmp_gt_i32 s52, 14
	s_mov_b64 s[46:47], -1
	s_cbranch_scc0 .LBB70_1092
; %bb.1089:
	s_cmp_eq_u32 s52, 15
	s_mov_b64 s[0:1], -1
	s_cbranch_scc0 .LBB70_1091
; %bb.1090:
	v_cndmask_b32_e64 v2, 0, 1.0, s[42:43]
	v_bfe_u32 v3, v2, 16, 1
	s_movk_i32 s0, 0x7fff
	v_add3_u32 v2, v2, v3, s0
	global_store_short_d16_hi v[0:1], v2, off
	s_mov_b64 s[44:45], -1
	s_mov_b64 s[0:1], 0
.LBB70_1091:
	s_mov_b64 s[46:47], 0
.LBB70_1092:
	s_and_b64 vcc, exec, s[46:47]
	s_cbranch_vccz .LBB70_1095
; %bb.1093:
	s_cmp_eq_u32 s52, 11
	s_mov_b64 s[0:1], -1
	s_cbranch_scc0 .LBB70_1095
; %bb.1094:
	v_cndmask_b32_e64 v2, 0, 1, s[42:43]
	s_mov_b64 s[44:45], -1
	s_mov_b64 s[0:1], 0
	global_store_byte v[0:1], v2, off
.LBB70_1095:
	s_mov_b64 s[46:47], 0
.LBB70_1096:
	s_and_b64 vcc, exec, s[46:47]
	s_cbranch_vccz .LBB70_1135
; %bb.1097:
	s_and_b32 s46, 0xffff, s51
	s_cmp_lt_i32 s46, 5
	s_mov_b64 s[44:45], -1
	s_cbranch_scc1 .LBB70_1118
; %bb.1098:
	s_cmp_lt_i32 s46, 8
	s_cbranch_scc1 .LBB70_1108
; %bb.1099:
	s_cmp_lt_i32 s46, 9
	s_cbranch_scc1 .LBB70_1105
; %bb.1100:
	s_cmp_gt_i32 s46, 9
	s_cbranch_scc0 .LBB70_1102
; %bb.1101:
	v_cndmask_b32_e64 v2, 0, 1, s[42:43]
	v_cvt_f64_u32_e32 v[2:3], v2
	v_mov_b32_e32 v4, 0
	v_mov_b32_e32 v5, v4
	s_mov_b64 s[44:45], 0
	global_store_dwordx4 v[0:1], v[2:5], off
.LBB70_1102:
	s_andn2_b64 vcc, exec, s[44:45]
	s_cbranch_vccnz .LBB70_1104
; %bb.1103:
	v_cndmask_b32_e64 v2, 0, 1.0, s[42:43]
	v_mov_b32_e32 v3, 0
	global_store_dwordx2 v[0:1], v[2:3], off
.LBB70_1104:
	s_mov_b64 s[44:45], 0
.LBB70_1105:
	s_andn2_b64 vcc, exec, s[44:45]
	s_cbranch_vccnz .LBB70_1107
; %bb.1106:
	v_cndmask_b32_e64 v2, 0, 1.0, s[42:43]
	v_cvt_f16_f32_e32 v2, v2
	global_store_dword v[0:1], v2, off
.LBB70_1107:
	s_mov_b64 s[44:45], 0
.LBB70_1108:
	s_andn2_b64 vcc, exec, s[44:45]
	s_cbranch_vccnz .LBB70_1117
; %bb.1109:
	s_cmp_lt_i32 s46, 6
	s_mov_b64 s[44:45], -1
	s_cbranch_scc1 .LBB70_1115
; %bb.1110:
	s_cmp_gt_i32 s46, 6
	s_cbranch_scc0 .LBB70_1112
; %bb.1111:
	v_cndmask_b32_e64 v2, 0, 1, s[42:43]
	v_cvt_f64_u32_e32 v[2:3], v2
	s_mov_b64 s[44:45], 0
	global_store_dwordx2 v[0:1], v[2:3], off
.LBB70_1112:
	s_andn2_b64 vcc, exec, s[44:45]
	s_cbranch_vccnz .LBB70_1114
; %bb.1113:
	v_cndmask_b32_e64 v2, 0, 1.0, s[42:43]
	global_store_dword v[0:1], v2, off
.LBB70_1114:
	s_mov_b64 s[44:45], 0
.LBB70_1115:
	s_andn2_b64 vcc, exec, s[44:45]
	s_cbranch_vccnz .LBB70_1117
; %bb.1116:
	v_cndmask_b32_e64 v2, 0, 1.0, s[42:43]
	v_cvt_f16_f32_e32 v2, v2
	global_store_short v[0:1], v2, off
.LBB70_1117:
	s_mov_b64 s[44:45], 0
.LBB70_1118:
	s_andn2_b64 vcc, exec, s[44:45]
	s_cbranch_vccnz .LBB70_1134
; %bb.1119:
	s_cmp_lt_i32 s46, 2
	s_mov_b64 s[44:45], -1
	s_cbranch_scc1 .LBB70_1129
; %bb.1120:
	s_cmp_lt_i32 s46, 3
	s_cbranch_scc1 .LBB70_1126
; %bb.1121:
	s_cmp_gt_i32 s46, 3
	s_cbranch_scc0 .LBB70_1123
; %bb.1122:
	s_mov_b32 s44, 0
	v_cndmask_b32_e64 v2, 0, 1, s[42:43]
	v_mov_b32_e32 v3, s44
	s_mov_b64 s[44:45], 0
	global_store_dwordx2 v[0:1], v[2:3], off
.LBB70_1123:
	s_andn2_b64 vcc, exec, s[44:45]
	s_cbranch_vccnz .LBB70_1125
; %bb.1124:
	v_cndmask_b32_e64 v2, 0, 1, s[42:43]
	global_store_dword v[0:1], v2, off
.LBB70_1125:
	s_mov_b64 s[44:45], 0
.LBB70_1126:
	s_andn2_b64 vcc, exec, s[44:45]
	s_cbranch_vccnz .LBB70_1128
; %bb.1127:
	v_cndmask_b32_e64 v2, 0, 1, s[42:43]
	global_store_short v[0:1], v2, off
.LBB70_1128:
	s_mov_b64 s[44:45], 0
.LBB70_1129:
	s_andn2_b64 vcc, exec, s[44:45]
	s_cbranch_vccnz .LBB70_1134
; %bb.1130:
	s_mov_b64 s[44:45], -1
	s_cmp_gt_i32 s46, 0
	v_cndmask_b32_e64 v2, 0, 1, s[42:43]
	s_cbranch_scc0 .LBB70_1132
; %bb.1131:
	s_mov_b64 s[44:45], 0
	global_store_byte v[0:1], v2, off
.LBB70_1132:
	s_andn2_b64 vcc, exec, s[44:45]
	s_cbranch_vccnz .LBB70_1134
; %bb.1133:
	global_store_byte v[0:1], v2, off
.LBB70_1134:
	s_mov_b64 s[44:45], -1
.LBB70_1135:
	s_andn2_b64 vcc, exec, s[44:45]
	s_cbranch_vccnz .LBB70_1148
; %bb.1136:
	v_add_u32_e32 v14, 0x80, v14
	s_mov_b64 s[44:45], -1
.LBB70_1137:
	s_andn2_b64 s[42:43], s[30:31], exec
	s_and_b64 s[0:1], s[0:1], exec
	s_or_b64 s[42:43], s[42:43], s[0:1]
	s_andn2_b64 s[0:1], s[28:29], exec
	s_and_b64 s[40:41], s[40:41], exec
	s_or_b64 s[40:41], s[0:1], s[40:41]
	;; [unrolled: 3-line block ×3, first 2 shown]
	s_orn2_b64 s[48:49], s[44:45], exec
.LBB70_1138:
	s_or_b64 exec, exec, s[36:37]
	s_mov_b64 s[44:45], 0
	s_mov_b64 s[38:39], 0
	;; [unrolled: 1-line block ×3, first 2 shown]
                                        ; implicit-def: $sgpr58
                                        ; implicit-def: $vgpr2_vgpr3
                                        ; implicit-def: $vgpr0
	s_and_saveexec_b64 s[36:37], s[48:49]
	s_cbranch_execz .LBB70_1218
; %bb.1139:
	v_cmp_gt_i32_e32 vcc, s50, v14
	s_mov_b64 s[48:49], 0
	s_mov_b64 s[50:51], s[0:1]
	;; [unrolled: 1-line block ×4, first 2 shown]
                                        ; implicit-def: $sgpr58
                                        ; implicit-def: $vgpr2_vgpr3
                                        ; implicit-def: $vgpr0
	s_and_saveexec_b64 s[38:39], vcc
	s_cbranch_execz .LBB70_1217
; %bb.1140:
	s_waitcnt vmcnt(0)
	v_mul_lo_u32 v0, v14, s13
	v_mov_b32_e32 v1, s11
	s_and_b32 s58, s57, 0xff
	s_cmp_lt_i32 s58, 11
	v_ashrrev_i32_e32 v3, 31, v0
	v_add_co_u32_e32 v2, vcc, s10, v0
	v_addc_co_u32_e32 v3, vcc, v1, v3, vcc
	s_cbranch_scc1 .LBB70_1147
; %bb.1141:
	s_and_b32 s52, 0xffff, s58
	s_cmp_gt_i32 s52, 25
	s_cbranch_scc0 .LBB70_1149
; %bb.1142:
	s_cmp_gt_i32 s52, 28
	s_cbranch_scc0 .LBB70_1150
; %bb.1143:
	;; [unrolled: 3-line block ×4, first 2 shown]
	s_cmp_eq_u32 s52, 46
	s_mov_b64 s[50:51], 0
	s_cbranch_scc0 .LBB70_1155
; %bb.1146:
	global_load_dword v0, v[2:3], off
	s_mov_b64 s[48:49], -1
	s_waitcnt vmcnt(0)
	v_lshlrev_b32_e32 v0, 16, v0
	v_cvt_i32_f32_e32 v0, v0
	s_branch .LBB70_1157
.LBB70_1147:
	s_mov_b64 s[50:51], -1
                                        ; implicit-def: $vgpr0
	s_mov_b64 s[44:45], s[0:1]
	s_branch .LBB70_1216
.LBB70_1148:
	s_mov_b64 s[44:45], 0
	s_branch .LBB70_894
.LBB70_1149:
	s_mov_b64 s[50:51], -1
	s_mov_b64 s[44:45], s[0:1]
                                        ; implicit-def: $vgpr0
	s_branch .LBB70_1184
.LBB70_1150:
	s_mov_b64 s[50:51], -1
	s_mov_b64 s[44:45], s[0:1]
                                        ; implicit-def: $vgpr0
	s_branch .LBB70_1167
.LBB70_1151:
	s_mov_b64 s[50:51], -1
	s_mov_b64 s[44:45], s[0:1]
                                        ; implicit-def: $vgpr0
	s_branch .LBB70_1162
.LBB70_1152:
	s_mov_b64 s[50:51], -1
	s_mov_b64 s[44:45], s[0:1]
	s_branch .LBB70_1156
.LBB70_1153:
	s_andn2_saveexec_b64 s[48:49], s[48:49]
	s_cbranch_execz .LBB70_1048
.LBB70_1154:
	v_add_f32_e32 v2, 0x46000000, v3
	v_and_b32_e32 v2, 0xff, v2
	v_cmp_ne_u32_e32 vcc, 0, v2
	s_andn2_b64 s[46:47], s[46:47], exec
	s_and_b64 s[54:55], vcc, exec
	s_or_b64 s[46:47], s[46:47], s[54:55]
	s_or_b64 exec, exec, s[48:49]
	v_mov_b32_e32 v4, 0
	s_and_saveexec_b64 s[48:49], s[46:47]
	s_cbranch_execnz .LBB70_1049
	s_branch .LBB70_1050
.LBB70_1155:
	s_mov_b64 s[44:45], -1
.LBB70_1156:
                                        ; implicit-def: $vgpr0
.LBB70_1157:
	s_and_b64 vcc, exec, s[50:51]
	s_cbranch_vccz .LBB70_1161
; %bb.1158:
	s_cmp_eq_u32 s52, 44
	s_cbranch_scc0 .LBB70_1160
; %bb.1159:
	global_load_ubyte v0, v[2:3], off
	s_mov_b64 s[44:45], 0
	s_mov_b64 s[48:49], -1
	s_waitcnt vmcnt(0)
	v_lshlrev_b32_e32 v1, 23, v0
	v_cvt_i32_f32_e32 v1, v1
	v_cmp_ne_u32_e32 vcc, 0, v0
	v_cndmask_b32_e32 v0, 0, v1, vcc
	s_branch .LBB70_1161
.LBB70_1160:
	s_mov_b64 s[44:45], -1
                                        ; implicit-def: $vgpr0
.LBB70_1161:
	s_mov_b64 s[50:51], 0
.LBB70_1162:
	s_and_b64 vcc, exec, s[50:51]
	s_cbranch_vccz .LBB70_1166
; %bb.1163:
	s_cmp_eq_u32 s52, 29
	s_cbranch_scc0 .LBB70_1165
; %bb.1164:
	global_load_dwordx2 v[0:1], v[2:3], off
	s_mov_b64 s[44:45], 0
	s_mov_b64 s[48:49], -1
	s_branch .LBB70_1166
.LBB70_1165:
	s_mov_b64 s[44:45], -1
                                        ; implicit-def: $vgpr0
.LBB70_1166:
	s_mov_b64 s[50:51], 0
.LBB70_1167:
	s_and_b64 vcc, exec, s[50:51]
	s_cbranch_vccz .LBB70_1183
; %bb.1168:
	s_cmp_lt_i32 s52, 27
	s_cbranch_scc1 .LBB70_1171
; %bb.1169:
	s_cmp_gt_i32 s52, 27
	s_cbranch_scc0 .LBB70_1172
; %bb.1170:
	global_load_dword v0, v[2:3], off
	s_mov_b64 s[48:49], 0
	s_branch .LBB70_1173
.LBB70_1171:
	s_mov_b64 s[48:49], -1
                                        ; implicit-def: $vgpr0
	s_branch .LBB70_1176
.LBB70_1172:
	s_mov_b64 s[48:49], -1
                                        ; implicit-def: $vgpr0
.LBB70_1173:
	s_andn2_b64 vcc, exec, s[48:49]
	s_cbranch_vccnz .LBB70_1175
; %bb.1174:
	global_load_ushort v0, v[2:3], off
.LBB70_1175:
	s_mov_b64 s[48:49], 0
.LBB70_1176:
	s_andn2_b64 vcc, exec, s[48:49]
	s_cbranch_vccnz .LBB70_1182
; %bb.1177:
	global_load_ubyte v1, v[2:3], off
	s_movk_i32 s48, 0x7f
	s_mov_b64 s[50:51], 0
	s_waitcnt vmcnt(0)
	v_cmp_lt_i16_e32 vcc, s48, v1
	s_and_saveexec_b64 s[48:49], vcc
	s_xor_b64 s[48:49], exec, s[48:49]
	s_cbranch_execz .LBB70_1194
; %bb.1178:
	s_movk_i32 s50, 0x80
	v_cmp_ne_u16_e32 vcc, s50, v1
	s_and_b64 s[50:51], vcc, exec
	s_andn2_saveexec_b64 s[48:49], s[48:49]
	s_cbranch_execnz .LBB70_1195
.LBB70_1179:
	s_or_b64 exec, exec, s[48:49]
	v_mov_b32_e32 v0, 0
	s_and_saveexec_b64 s[48:49], s[50:51]
	s_cbranch_execz .LBB70_1181
.LBB70_1180:
	v_lshlrev_b32_e32 v0, 24, v1
	v_and_b32_e32 v1, 0xffff, v1
	v_and_b32_e32 v4, 7, v1
	v_ffbh_u32_e32 v6, v4
	v_min_u32_e32 v6, 32, v6
	v_subrev_u32_e32 v7, 28, v6
	v_bfe_u32 v5, v1, 3, 4
	v_lshlrev_b32_e32 v1, v7, v1
	v_sub_u32_e32 v6, 29, v6
	v_and_b32_e32 v1, 7, v1
	v_cmp_eq_u32_e32 vcc, 0, v5
	v_cndmask_b32_e32 v5, v5, v6, vcc
	v_cndmask_b32_e32 v1, v4, v1, vcc
	v_mov_b32_e32 v4, 0x3b800000
	v_lshlrev_b32_e32 v1, 20, v1
	v_and_b32_e32 v0, 0x80000000, v0
	v_lshl_add_u32 v4, v5, 23, v4
	v_or3_b32 v0, v0, v4, v1
	v_cvt_i32_f32_e32 v0, v0
.LBB70_1181:
	s_or_b64 exec, exec, s[48:49]
.LBB70_1182:
	s_mov_b64 s[48:49], -1
.LBB70_1183:
	s_mov_b64 s[50:51], 0
.LBB70_1184:
	s_and_b64 vcc, exec, s[50:51]
	s_cbranch_vccz .LBB70_1215
; %bb.1185:
	s_cmp_gt_i32 s52, 22
	s_cbranch_scc0 .LBB70_1193
; %bb.1186:
	s_cmp_lt_i32 s52, 24
	s_cbranch_scc1 .LBB70_1196
; %bb.1187:
	s_cmp_gt_i32 s52, 24
	s_cbranch_scc0 .LBB70_1197
; %bb.1188:
	global_load_ubyte v1, v[2:3], off
	s_movk_i32 s46, 0x7f
	s_mov_b64 s[48:49], 0
	s_waitcnt vmcnt(0)
	v_cmp_lt_i16_e32 vcc, s46, v1
	s_and_saveexec_b64 s[46:47], vcc
	s_xor_b64 s[46:47], exec, s[46:47]
	s_cbranch_execz .LBB70_1209
; %bb.1189:
	s_movk_i32 s48, 0x80
	v_cmp_ne_u16_e32 vcc, s48, v1
	s_and_b64 s[48:49], vcc, exec
	s_andn2_saveexec_b64 s[46:47], s[46:47]
	s_cbranch_execnz .LBB70_1210
.LBB70_1190:
	s_or_b64 exec, exec, s[46:47]
	v_mov_b32_e32 v0, 0
	s_and_saveexec_b64 s[46:47], s[48:49]
	s_cbranch_execz .LBB70_1192
.LBB70_1191:
	v_lshlrev_b32_e32 v0, 24, v1
	v_and_b32_e32 v1, 0xffff, v1
	v_and_b32_e32 v4, 3, v1
	v_ffbh_u32_e32 v6, v4
	v_min_u32_e32 v6, 32, v6
	v_subrev_u32_e32 v7, 29, v6
	v_bfe_u32 v5, v1, 2, 5
	v_lshlrev_b32_e32 v1, v7, v1
	v_sub_u32_e32 v6, 30, v6
	v_and_b32_e32 v1, 3, v1
	v_cmp_eq_u32_e32 vcc, 0, v5
	v_cndmask_b32_e32 v5, v5, v6, vcc
	v_cndmask_b32_e32 v1, v4, v1, vcc
	v_mov_b32_e32 v4, 0x37800000
	v_lshlrev_b32_e32 v1, 21, v1
	v_and_b32_e32 v0, 0x80000000, v0
	v_lshl_add_u32 v4, v5, 23, v4
	v_or3_b32 v0, v0, v4, v1
	v_cvt_i32_f32_e32 v0, v0
.LBB70_1192:
	s_or_b64 exec, exec, s[46:47]
	s_mov_b64 s[46:47], 0
	s_branch .LBB70_1198
.LBB70_1193:
	s_mov_b64 s[46:47], -1
                                        ; implicit-def: $vgpr0
	s_branch .LBB70_1204
.LBB70_1194:
	s_andn2_saveexec_b64 s[48:49], s[48:49]
	s_cbranch_execz .LBB70_1179
.LBB70_1195:
	v_cmp_ne_u16_e32 vcc, 0, v1
	s_andn2_b64 s[50:51], s[50:51], exec
	s_and_b64 s[54:55], vcc, exec
	s_or_b64 s[50:51], s[50:51], s[54:55]
	s_or_b64 exec, exec, s[48:49]
	v_mov_b32_e32 v0, 0
	s_and_saveexec_b64 s[48:49], s[50:51]
	s_cbranch_execnz .LBB70_1180
	s_branch .LBB70_1181
.LBB70_1196:
	s_mov_b64 s[46:47], -1
                                        ; implicit-def: $vgpr0
	s_branch .LBB70_1201
.LBB70_1197:
	s_mov_b64 s[46:47], -1
                                        ; implicit-def: $vgpr0
.LBB70_1198:
	s_and_b64 vcc, exec, s[46:47]
	s_cbranch_vccz .LBB70_1200
; %bb.1199:
	global_load_ubyte v0, v[2:3], off
	s_mov_b32 s46, 0x7f800000
	s_waitcnt vmcnt(0)
	v_lshlrev_b32_e32 v0, 24, v0
	v_and_b32_e32 v1, 0x7f000000, v0
	v_ffbh_u32_e32 v4, v1
	v_min_u32_e32 v4, 32, v4
	v_sub_u32_e64 v4, v4, 4 clamp
	v_lshlrev_b32_e32 v6, v4, v1
	v_lshlrev_b32_e32 v4, 23, v4
	v_lshrrev_b32_e32 v6, 4, v6
	v_add_u32_e32 v5, 0x1000000, v1
	v_sub_u32_e32 v4, v6, v4
	v_ashrrev_i32_e32 v5, 8, v5
	v_add_u32_e32 v4, 0x3c000000, v4
	v_and_or_b32 v4, v5, s46, v4
	v_cmp_ne_u32_e32 vcc, 0, v1
	v_cndmask_b32_e32 v1, 0, v4, vcc
	s_brev_b32 s46, 1
	v_and_or_b32 v0, v0, s46, v1
	v_cvt_i32_f32_e32 v0, v0
.LBB70_1200:
	s_mov_b64 s[46:47], 0
.LBB70_1201:
	s_andn2_b64 vcc, exec, s[46:47]
	s_cbranch_vccnz .LBB70_1203
; %bb.1202:
	global_load_ubyte v0, v[2:3], off
	s_movk_i32 s46, 0x7f00
	s_brev_b32 s47, 16
	s_waitcnt vmcnt(0)
	v_lshlrev_b16_e32 v1, 8, v0
	v_lshlrev_b32_e32 v0, 25, v0
	v_lshrrev_b32_e32 v4, 4, v0
	v_and_or_b32 v5, v1, s46, 0.5
	v_or_b32_e32 v4, 0x70000000, v4
	v_add_f32_e32 v5, -0.5, v5
	v_mul_f32_e32 v4, 0x7800000, v4
	v_cmp_gt_u32_e32 vcc, s47, v0
	v_bfe_i32 v1, v1, 0, 16
	v_cndmask_b32_e32 v0, v4, v5, vcc
	s_brev_b32 s46, 1
	v_and_or_b32 v0, v1, s46, v0
	v_cvt_i32_f32_e32 v0, v0
.LBB70_1203:
	s_mov_b64 s[46:47], 0
	s_mov_b64 s[48:49], -1
.LBB70_1204:
	s_andn2_b64 vcc, exec, s[46:47]
	s_mov_b64 s[46:47], 0
	s_cbranch_vccnz .LBB70_1215
; %bb.1205:
	s_cmp_gt_i32 s52, 14
	s_cbranch_scc0 .LBB70_1208
; %bb.1206:
	s_cmp_eq_u32 s52, 15
	s_cbranch_scc0 .LBB70_1211
; %bb.1207:
	global_load_ushort v0, v[2:3], off
	s_mov_b64 s[44:45], 0
	s_mov_b64 s[48:49], -1
	s_waitcnt vmcnt(0)
	v_lshlrev_b32_e32 v0, 16, v0
	v_cvt_i32_f32_e32 v0, v0
	s_branch .LBB70_1212
.LBB70_1208:
	s_mov_b64 s[50:51], -1
                                        ; implicit-def: $vgpr0
	s_branch .LBB70_1213
.LBB70_1209:
	s_andn2_saveexec_b64 s[46:47], s[46:47]
	s_cbranch_execz .LBB70_1190
.LBB70_1210:
	v_cmp_ne_u16_e32 vcc, 0, v1
	s_andn2_b64 s[48:49], s[48:49], exec
	s_and_b64 s[50:51], vcc, exec
	s_or_b64 s[48:49], s[48:49], s[50:51]
	s_or_b64 exec, exec, s[46:47]
	v_mov_b32_e32 v0, 0
	s_and_saveexec_b64 s[46:47], s[48:49]
	s_cbranch_execnz .LBB70_1191
	s_branch .LBB70_1192
.LBB70_1211:
	s_mov_b64 s[44:45], -1
                                        ; implicit-def: $vgpr0
.LBB70_1212:
	s_mov_b64 s[50:51], 0
.LBB70_1213:
	s_and_b64 vcc, exec, s[50:51]
	s_cbranch_vccz .LBB70_1215
; %bb.1214:
	s_cmp_lg_u32 s52, 11
	s_cselect_b64 s[50:51], -1, 0
	s_andn2_b64 s[44:45], s[44:45], exec
	s_and_b64 s[50:51], s[50:51], exec
	s_mov_b64 s[46:47], -1
	s_or_b64 s[44:45], s[44:45], s[50:51]
.LBB70_1215:
	s_mov_b64 s[50:51], 0
.LBB70_1216:
	s_and_b64 s[54:55], s[48:49], exec
	s_and_b64 s[48:49], s[46:47], exec
	s_andn2_b64 s[46:47], s[0:1], exec
	s_and_b64 s[44:45], s[44:45], exec
	s_and_b64 s[52:53], s[50:51], exec
	s_or_b64 s[50:51], s[46:47], s[44:45]
.LBB70_1217:
	s_or_b64 exec, exec, s[38:39]
	s_and_b64 s[44:45], s[48:49], exec
	s_andn2_b64 s[0:1], s[0:1], exec
	s_and_b64 s[48:49], s[50:51], exec
	s_and_b64 s[46:47], s[54:55], exec
	;; [unrolled: 1-line block ×3, first 2 shown]
	s_or_b64 s[0:1], s[0:1], s[48:49]
.LBB70_1218:
	s_or_b64 exec, exec, s[36:37]
	s_andn2_b64 s[30:31], s[30:31], exec
	s_and_b64 s[36:37], s[42:43], exec
	s_or_b64 s[30:31], s[30:31], s[36:37]
	s_andn2_b64 s[28:29], s[28:29], exec
	s_and_b64 s[36:37], s[40:41], exec
	s_andn2_b64 s[26:27], s[26:27], exec
	s_and_b64 s[0:1], s[0:1], exec
	s_or_b64 s[28:29], s[28:29], s[36:37]
	s_and_b64 s[40:41], s[46:47], exec
	s_and_b64 s[38:39], s[38:39], exec
	;; [unrolled: 1-line block ×3, first 2 shown]
	s_or_b64 s[26:27], s[26:27], s[0:1]
.LBB70_1219:
	s_or_b64 exec, exec, s[34:35]
	s_andn2_b64 s[0:1], s[18:19], exec
	s_and_b64 s[18:19], s[30:31], exec
	s_or_b64 s[18:19], s[0:1], s[18:19]
	s_andn2_b64 s[0:1], s[20:21], exec
	s_and_b64 s[20:21], s[28:29], exec
	s_or_b64 s[20:21], s[0:1], s[20:21]
	s_andn2_b64 s[0:1], s[22:23], exec
	s_and_b64 s[22:23], s[26:27], exec
	s_and_b64 s[30:31], s[40:41], exec
	;; [unrolled: 1-line block ×4, first 2 shown]
	s_or_b64 s[22:23], s[0:1], s[22:23]
	s_or_b64 exec, exec, s[24:25]
	s_mov_b64 s[24:25], 0
	s_and_saveexec_b64 s[0:1], s[22:23]
	s_cbranch_execz .LBB70_385
.LBB70_1220:
	s_mov_b64 s[24:25], exec
	s_andn2_b64 s[28:29], s[28:29], exec
	s_trap 2
	s_or_b64 exec, exec, s[0:1]
	s_and_saveexec_b64 s[0:1], s[28:29]
	s_xor_b64 s[0:1], exec, s[0:1]
	s_cbranch_execnz .LBB70_386
.LBB70_1221:
	s_or_b64 exec, exec, s[0:1]
	s_and_saveexec_b64 s[0:1], s[34:35]
	s_cbranch_execz .LBB70_1267
.LBB70_1222:
	s_sext_i32_i16 s22, s58
	s_cmp_lt_i32 s22, 5
	s_cbranch_scc1 .LBB70_1227
; %bb.1223:
	s_cmp_lt_i32 s22, 8
	s_cbranch_scc1 .LBB70_1228
; %bb.1224:
	;; [unrolled: 3-line block ×3, first 2 shown]
	s_cmp_gt_i32 s22, 9
	s_cbranch_scc0 .LBB70_1230
; %bb.1226:
	s_waitcnt vmcnt(0)
	global_load_dwordx2 v[0:1], v[2:3], off
	s_mov_b64 s[22:23], 0
	s_waitcnt vmcnt(0)
	v_cvt_i32_f64_e32 v0, v[0:1]
	s_branch .LBB70_1231
.LBB70_1227:
                                        ; implicit-def: $vgpr0
	s_branch .LBB70_1248
.LBB70_1228:
                                        ; implicit-def: $vgpr0
	s_branch .LBB70_1237
.LBB70_1229:
	s_mov_b64 s[22:23], -1
                                        ; implicit-def: $vgpr0
	s_branch .LBB70_1234
.LBB70_1230:
	s_mov_b64 s[22:23], -1
                                        ; implicit-def: $vgpr0
.LBB70_1231:
	s_andn2_b64 vcc, exec, s[22:23]
	s_cbranch_vccnz .LBB70_1233
; %bb.1232:
	s_waitcnt vmcnt(0)
	global_load_dword v0, v[2:3], off
	s_waitcnt vmcnt(0)
	v_cvt_i32_f32_e32 v0, v0
.LBB70_1233:
	s_mov_b64 s[22:23], 0
.LBB70_1234:
	s_andn2_b64 vcc, exec, s[22:23]
	s_cbranch_vccnz .LBB70_1236
; %bb.1235:
	s_waitcnt vmcnt(0)
	global_load_dword v0, v[2:3], off
	s_waitcnt vmcnt(0)
	v_cvt_i16_f16_e32 v0, v0
.LBB70_1236:
	s_cbranch_execnz .LBB70_1247
.LBB70_1237:
	s_sext_i32_i16 s22, s58
	s_cmp_lt_i32 s22, 6
	s_cbranch_scc1 .LBB70_1240
; %bb.1238:
	s_cmp_gt_i32 s22, 6
	s_cbranch_scc0 .LBB70_1241
; %bb.1239:
	s_waitcnt vmcnt(0)
	global_load_dwordx2 v[0:1], v[2:3], off
	s_mov_b64 s[22:23], 0
	s_waitcnt vmcnt(0)
	v_cvt_i32_f64_e32 v0, v[0:1]
	s_branch .LBB70_1242
.LBB70_1240:
	s_mov_b64 s[22:23], -1
                                        ; implicit-def: $vgpr0
	s_branch .LBB70_1245
.LBB70_1241:
	s_mov_b64 s[22:23], -1
                                        ; implicit-def: $vgpr0
.LBB70_1242:
	s_andn2_b64 vcc, exec, s[22:23]
	s_cbranch_vccnz .LBB70_1244
; %bb.1243:
	s_waitcnt vmcnt(0)
	global_load_dword v0, v[2:3], off
	s_waitcnt vmcnt(0)
	v_cvt_i32_f32_e32 v0, v0
.LBB70_1244:
	s_mov_b64 s[22:23], 0
.LBB70_1245:
	s_andn2_b64 vcc, exec, s[22:23]
	s_cbranch_vccnz .LBB70_1247
; %bb.1246:
	s_waitcnt vmcnt(0)
	global_load_ushort v0, v[2:3], off
	s_waitcnt vmcnt(0)
	v_cvt_i16_f16_e32 v0, v0
.LBB70_1247:
	s_cbranch_execnz .LBB70_1266
.LBB70_1248:
	s_sext_i32_i16 s22, s58
	s_cmp_lt_i32 s22, 2
	s_cbranch_scc1 .LBB70_1252
; %bb.1249:
	s_cmp_lt_i32 s22, 3
	s_cbranch_scc1 .LBB70_1253
; %bb.1250:
	s_cmp_gt_i32 s22, 3
	s_cbranch_scc0 .LBB70_1254
; %bb.1251:
	s_waitcnt vmcnt(0)
	global_load_dwordx2 v[0:1], v[2:3], off
	s_mov_b64 s[22:23], 0
	s_branch .LBB70_1255
.LBB70_1252:
                                        ; implicit-def: $vgpr0
	s_branch .LBB70_1261
.LBB70_1253:
	s_mov_b64 s[22:23], -1
                                        ; implicit-def: $vgpr0
	s_branch .LBB70_1258
.LBB70_1254:
	s_mov_b64 s[22:23], -1
                                        ; implicit-def: $vgpr0
.LBB70_1255:
	s_andn2_b64 vcc, exec, s[22:23]
	s_cbranch_vccnz .LBB70_1257
; %bb.1256:
	s_waitcnt vmcnt(0)
	global_load_dword v0, v[2:3], off
.LBB70_1257:
	s_mov_b64 s[22:23], 0
.LBB70_1258:
	s_andn2_b64 vcc, exec, s[22:23]
	s_cbranch_vccnz .LBB70_1260
; %bb.1259:
	s_waitcnt vmcnt(0)
	global_load_ushort v0, v[2:3], off
.LBB70_1260:
	s_cbranch_execnz .LBB70_1266
.LBB70_1261:
	s_sext_i32_i16 s22, s58
	s_cmp_gt_i32 s22, 0
	s_cbranch_scc0 .LBB70_1263
; %bb.1262:
	s_waitcnt vmcnt(0)
	global_load_sbyte v0, v[2:3], off
	s_mov_b64 s[22:23], 0
	s_branch .LBB70_1264
.LBB70_1263:
	s_mov_b64 s[22:23], -1
                                        ; implicit-def: $vgpr0
.LBB70_1264:
	s_andn2_b64 vcc, exec, s[22:23]
	s_cbranch_vccnz .LBB70_1266
; %bb.1265:
	s_waitcnt vmcnt(0)
	global_load_ubyte v0, v[2:3], off
.LBB70_1266:
	s_or_b64 s[30:31], s[30:31], exec
.LBB70_1267:
	s_or_b64 exec, exec, s[0:1]
	s_mov_b64 s[28:29], 0
	s_mov_b64 s[34:35], 0
	;; [unrolled: 1-line block ×3, first 2 shown]
                                        ; implicit-def: $sgpr36
                                        ; implicit-def: $vgpr1_vgpr2
                                        ; implicit-def: $vgpr3
	s_and_saveexec_b64 s[0:1], s[30:31]
	s_cbranch_execz .LBB70_1275
; %bb.1268:
	s_waitcnt vmcnt(0)
	v_mul_lo_u32 v1, v14, s14
	v_mov_b32_e32 v2, s3
	s_and_b32 s36, s56, 0xff
	s_cmp_lt_i32 s36, 11
	v_ashrrev_i32_e32 v3, 31, v1
	v_add_co_u32_e32 v1, vcc, s2, v1
	v_addc_co_u32_e32 v2, vcc, v2, v3, vcc
	s_cbranch_scc1 .LBB70_1278
; %bb.1269:
	s_and_b32 s34, 0xffff, s36
	s_cmp_gt_i32 s34, 25
	s_cbranch_scc0 .LBB70_1279
; %bb.1270:
	s_cmp_gt_i32 s34, 28
	s_cbranch_scc0 .LBB70_1280
; %bb.1271:
	;; [unrolled: 3-line block ×4, first 2 shown]
	s_cmp_eq_u32 s34, 46
	s_mov_b64 s[30:31], 0
	s_cbranch_scc0 .LBB70_1283
; %bb.1274:
	global_load_dword v3, v[1:2], off
	s_mov_b64 s[22:23], 0
	s_mov_b64 s[26:27], -1
	s_waitcnt vmcnt(0)
	v_lshlrev_b32_e32 v3, 16, v3
	v_cvt_i32_f32_e32 v3, v3
	s_branch .LBB70_1285
.LBB70_1275:
	s_or_b64 exec, exec, s[0:1]
	s_and_saveexec_b64 s[0:1], s[20:21]
	s_cbranch_execnz .LBB70_1344
.LBB70_1276:
	s_or_b64 exec, exec, s[0:1]
	s_and_saveexec_b64 s[0:1], s[28:29]
	s_xor_b64 s[0:1], exec, s[0:1]
	s_cbranch_execz .LBB70_1345
.LBB70_1277:
	s_waitcnt vmcnt(0)
	global_load_ubyte v3, v[1:2], off
	s_or_b64 s[26:27], s[26:27], exec
	s_waitcnt vmcnt(0)
	v_cmp_ne_u16_e32 vcc, 0, v3
	v_cndmask_b32_e64 v3, 0, 1, vcc
	s_or_b64 exec, exec, s[0:1]
	s_and_saveexec_b64 s[0:1], s[34:35]
	s_cbranch_execz .LBB70_1391
	s_branch .LBB70_1346
.LBB70_1278:
	s_mov_b64 s[30:31], -1
                                        ; implicit-def: $vgpr3
	s_mov_b64 s[22:23], s[20:21]
	s_branch .LBB70_1343
.LBB70_1279:
	s_mov_b64 s[22:23], s[20:21]
                                        ; implicit-def: $vgpr3
	s_cbranch_execnz .LBB70_1312
	s_branch .LBB70_1342
.LBB70_1280:
	s_mov_b64 s[30:31], -1
	s_mov_b64 s[22:23], s[20:21]
                                        ; implicit-def: $vgpr3
	s_branch .LBB70_1295
.LBB70_1281:
	s_mov_b64 s[30:31], -1
	s_mov_b64 s[22:23], s[20:21]
                                        ; implicit-def: $vgpr3
	s_branch .LBB70_1290
.LBB70_1282:
	s_mov_b64 s[30:31], -1
	s_mov_b64 s[22:23], s[20:21]
	s_branch .LBB70_1284
.LBB70_1283:
	s_mov_b64 s[22:23], -1
.LBB70_1284:
                                        ; implicit-def: $vgpr3
.LBB70_1285:
	s_and_b64 vcc, exec, s[30:31]
	s_cbranch_vccz .LBB70_1289
; %bb.1286:
	s_cmp_eq_u32 s34, 44
	s_cbranch_scc0 .LBB70_1288
; %bb.1287:
	global_load_ubyte v3, v[1:2], off
	s_mov_b64 s[22:23], 0
	s_mov_b64 s[26:27], -1
	s_waitcnt vmcnt(0)
	v_lshlrev_b32_e32 v4, 23, v3
	v_cvt_i32_f32_e32 v4, v4
	v_cmp_ne_u32_e32 vcc, 0, v3
	v_cndmask_b32_e32 v3, 0, v4, vcc
	s_branch .LBB70_1289
.LBB70_1288:
	s_mov_b64 s[22:23], -1
                                        ; implicit-def: $vgpr3
.LBB70_1289:
	s_mov_b64 s[30:31], 0
.LBB70_1290:
	s_and_b64 vcc, exec, s[30:31]
	s_cbranch_vccz .LBB70_1294
; %bb.1291:
	s_cmp_eq_u32 s34, 29
	s_cbranch_scc0 .LBB70_1293
; %bb.1292:
	global_load_dwordx2 v[3:4], v[1:2], off
	s_mov_b64 s[22:23], 0
	s_mov_b64 s[26:27], -1
	s_branch .LBB70_1294
.LBB70_1293:
	s_mov_b64 s[22:23], -1
                                        ; implicit-def: $vgpr3
.LBB70_1294:
	s_mov_b64 s[30:31], 0
.LBB70_1295:
	s_and_b64 vcc, exec, s[30:31]
	s_cbranch_vccz .LBB70_1311
; %bb.1296:
	s_cmp_lt_i32 s34, 27
	s_cbranch_scc1 .LBB70_1299
; %bb.1297:
	s_cmp_gt_i32 s34, 27
	s_cbranch_scc0 .LBB70_1300
; %bb.1298:
	global_load_dword v3, v[1:2], off
	s_mov_b64 s[26:27], 0
	s_branch .LBB70_1301
.LBB70_1299:
	s_mov_b64 s[26:27], -1
                                        ; implicit-def: $vgpr3
	s_branch .LBB70_1304
.LBB70_1300:
	s_mov_b64 s[26:27], -1
                                        ; implicit-def: $vgpr3
.LBB70_1301:
	s_andn2_b64 vcc, exec, s[26:27]
	s_cbranch_vccnz .LBB70_1303
; %bb.1302:
	global_load_ushort v3, v[1:2], off
.LBB70_1303:
	s_mov_b64 s[26:27], 0
.LBB70_1304:
	s_andn2_b64 vcc, exec, s[26:27]
	s_cbranch_vccnz .LBB70_1310
; %bb.1305:
	global_load_ubyte v4, v[1:2], off
	s_movk_i32 s26, 0x7f
	s_mov_b64 s[30:31], 0
	s_waitcnt vmcnt(0)
	v_cmp_lt_i16_e32 vcc, s26, v4
	s_and_saveexec_b64 s[26:27], vcc
	s_xor_b64 s[26:27], exec, s[26:27]
	s_cbranch_execz .LBB70_1321
; %bb.1306:
	s_movk_i32 s30, 0x80
	v_cmp_ne_u16_e32 vcc, s30, v4
	s_and_b64 s[30:31], vcc, exec
	s_andn2_saveexec_b64 s[26:27], s[26:27]
	s_cbranch_execnz .LBB70_1322
.LBB70_1307:
	s_or_b64 exec, exec, s[26:27]
	v_mov_b32_e32 v3, 0
	s_and_saveexec_b64 s[26:27], s[30:31]
	s_cbranch_execz .LBB70_1309
.LBB70_1308:
	v_lshlrev_b32_e32 v3, 24, v4
	v_and_b32_e32 v4, 0xffff, v4
	v_and_b32_e32 v5, 7, v4
	v_ffbh_u32_e32 v7, v5
	v_min_u32_e32 v7, 32, v7
	v_subrev_u32_e32 v8, 28, v7
	v_bfe_u32 v6, v4, 3, 4
	v_lshlrev_b32_e32 v4, v8, v4
	v_sub_u32_e32 v7, 29, v7
	v_and_b32_e32 v4, 7, v4
	v_cmp_eq_u32_e32 vcc, 0, v6
	v_cndmask_b32_e32 v6, v6, v7, vcc
	v_cndmask_b32_e32 v4, v5, v4, vcc
	v_mov_b32_e32 v5, 0x3b800000
	v_lshlrev_b32_e32 v4, 20, v4
	v_and_b32_e32 v3, 0x80000000, v3
	v_lshl_add_u32 v5, v6, 23, v5
	v_or3_b32 v3, v3, v5, v4
	v_cvt_i32_f32_e32 v3, v3
.LBB70_1309:
	s_or_b64 exec, exec, s[26:27]
.LBB70_1310:
	s_mov_b64 s[26:27], -1
.LBB70_1311:
	s_branch .LBB70_1342
.LBB70_1312:
	s_cmp_gt_i32 s34, 22
	s_cbranch_scc0 .LBB70_1320
; %bb.1313:
	s_cmp_lt_i32 s34, 24
	s_cbranch_scc1 .LBB70_1323
; %bb.1314:
	s_cmp_gt_i32 s34, 24
	s_cbranch_scc0 .LBB70_1324
; %bb.1315:
	global_load_ubyte v4, v[1:2], off
	s_movk_i32 s26, 0x7f
	s_waitcnt vmcnt(0)
	v_cmp_lt_i16_e32 vcc, s26, v4
	s_and_saveexec_b64 s[26:27], vcc
	s_xor_b64 s[26:27], exec, s[26:27]
	s_cbranch_execz .LBB70_1336
; %bb.1316:
	s_movk_i32 s28, 0x80
	v_cmp_ne_u16_e32 vcc, s28, v4
	s_and_b64 s[28:29], vcc, exec
	s_andn2_saveexec_b64 s[26:27], s[26:27]
	s_cbranch_execnz .LBB70_1337
.LBB70_1317:
	s_or_b64 exec, exec, s[26:27]
	v_mov_b32_e32 v3, 0
	s_and_saveexec_b64 s[26:27], s[28:29]
	s_cbranch_execz .LBB70_1319
.LBB70_1318:
	v_lshlrev_b32_e32 v3, 24, v4
	v_and_b32_e32 v4, 0xffff, v4
	v_and_b32_e32 v5, 3, v4
	v_ffbh_u32_e32 v7, v5
	v_min_u32_e32 v7, 32, v7
	v_subrev_u32_e32 v8, 29, v7
	v_bfe_u32 v6, v4, 2, 5
	v_lshlrev_b32_e32 v4, v8, v4
	v_sub_u32_e32 v7, 30, v7
	v_and_b32_e32 v4, 3, v4
	v_cmp_eq_u32_e32 vcc, 0, v6
	v_cndmask_b32_e32 v6, v6, v7, vcc
	v_cndmask_b32_e32 v4, v5, v4, vcc
	v_mov_b32_e32 v5, 0x37800000
	v_lshlrev_b32_e32 v4, 21, v4
	v_and_b32_e32 v3, 0x80000000, v3
	v_lshl_add_u32 v5, v6, 23, v5
	v_or3_b32 v3, v3, v5, v4
	v_cvt_i32_f32_e32 v3, v3
.LBB70_1319:
	s_or_b64 exec, exec, s[26:27]
	s_mov_b64 s[26:27], 0
	s_branch .LBB70_1325
.LBB70_1320:
	s_mov_b64 s[28:29], -1
                                        ; implicit-def: $vgpr3
	s_branch .LBB70_1331
.LBB70_1321:
	s_andn2_saveexec_b64 s[26:27], s[26:27]
	s_cbranch_execz .LBB70_1307
.LBB70_1322:
	v_cmp_ne_u16_e32 vcc, 0, v4
	s_andn2_b64 s[30:31], s[30:31], exec
	s_and_b64 s[38:39], vcc, exec
	s_or_b64 s[30:31], s[30:31], s[38:39]
	s_or_b64 exec, exec, s[26:27]
	v_mov_b32_e32 v3, 0
	s_and_saveexec_b64 s[26:27], s[30:31]
	s_cbranch_execnz .LBB70_1308
	s_branch .LBB70_1309
.LBB70_1323:
	s_mov_b64 s[26:27], -1
                                        ; implicit-def: $vgpr3
	s_branch .LBB70_1328
.LBB70_1324:
	s_mov_b64 s[26:27], -1
                                        ; implicit-def: $vgpr3
.LBB70_1325:
	s_and_b64 vcc, exec, s[26:27]
	s_cbranch_vccz .LBB70_1327
; %bb.1326:
	global_load_ubyte v3, v[1:2], off
	s_mov_b32 s26, 0x7f800000
	s_waitcnt vmcnt(0)
	v_lshlrev_b32_e32 v3, 24, v3
	v_and_b32_e32 v4, 0x7f000000, v3
	v_ffbh_u32_e32 v5, v4
	v_min_u32_e32 v5, 32, v5
	v_sub_u32_e64 v5, v5, 4 clamp
	v_lshlrev_b32_e32 v7, v5, v4
	v_lshlrev_b32_e32 v5, 23, v5
	v_lshrrev_b32_e32 v7, 4, v7
	v_add_u32_e32 v6, 0x1000000, v4
	v_sub_u32_e32 v5, v7, v5
	v_ashrrev_i32_e32 v6, 8, v6
	v_add_u32_e32 v5, 0x3c000000, v5
	v_and_or_b32 v5, v6, s26, v5
	v_cmp_ne_u32_e32 vcc, 0, v4
	v_cndmask_b32_e32 v4, 0, v5, vcc
	s_brev_b32 s26, 1
	v_and_or_b32 v3, v3, s26, v4
	v_cvt_i32_f32_e32 v3, v3
.LBB70_1327:
	s_mov_b64 s[26:27], 0
.LBB70_1328:
	s_andn2_b64 vcc, exec, s[26:27]
	s_cbranch_vccnz .LBB70_1330
; %bb.1329:
	global_load_ubyte v3, v[1:2], off
	s_movk_i32 s26, 0x7f00
	s_brev_b32 s27, 16
	s_waitcnt vmcnt(0)
	v_lshlrev_b16_e32 v4, 8, v3
	v_lshlrev_b32_e32 v3, 25, v3
	v_lshrrev_b32_e32 v5, 4, v3
	v_and_or_b32 v6, v4, s26, 0.5
	v_or_b32_e32 v5, 0x70000000, v5
	v_add_f32_e32 v6, -0.5, v6
	v_mul_f32_e32 v5, 0x7800000, v5
	v_cmp_gt_u32_e32 vcc, s27, v3
	v_bfe_i32 v4, v4, 0, 16
	v_cndmask_b32_e32 v3, v5, v6, vcc
	s_brev_b32 s26, 1
	v_and_or_b32 v3, v4, s26, v3
	v_cvt_i32_f32_e32 v3, v3
.LBB70_1330:
	s_mov_b64 s[28:29], 0
	s_mov_b64 s[26:27], -1
.LBB70_1331:
	s_andn2_b64 vcc, exec, s[28:29]
	s_mov_b64 s[28:29], 0
	s_cbranch_vccnz .LBB70_1342
; %bb.1332:
	s_cmp_gt_i32 s34, 14
	s_cbranch_scc0 .LBB70_1335
; %bb.1333:
	s_cmp_eq_u32 s34, 15
	s_cbranch_scc0 .LBB70_1338
; %bb.1334:
	global_load_ushort v3, v[1:2], off
	s_mov_b64 s[22:23], 0
	s_mov_b64 s[26:27], -1
	s_waitcnt vmcnt(0)
	v_lshlrev_b32_e32 v3, 16, v3
	v_cvt_i32_f32_e32 v3, v3
	s_branch .LBB70_1339
.LBB70_1335:
	s_mov_b64 s[30:31], -1
                                        ; implicit-def: $vgpr3
	s_branch .LBB70_1340
.LBB70_1336:
	s_andn2_saveexec_b64 s[26:27], s[26:27]
	s_cbranch_execz .LBB70_1317
.LBB70_1337:
	v_cmp_ne_u16_e32 vcc, 0, v4
	s_andn2_b64 s[28:29], s[28:29], exec
	s_and_b64 s[30:31], vcc, exec
	s_or_b64 s[28:29], s[28:29], s[30:31]
	s_or_b64 exec, exec, s[26:27]
	v_mov_b32_e32 v3, 0
	s_and_saveexec_b64 s[26:27], s[28:29]
	s_cbranch_execnz .LBB70_1318
	s_branch .LBB70_1319
.LBB70_1338:
	s_mov_b64 s[22:23], -1
                                        ; implicit-def: $vgpr3
.LBB70_1339:
	s_mov_b64 s[30:31], 0
.LBB70_1340:
	s_and_b64 vcc, exec, s[30:31]
	s_cbranch_vccz .LBB70_1342
; %bb.1341:
	s_cmp_lg_u32 s34, 11
	s_cselect_b64 s[30:31], -1, 0
	s_andn2_b64 s[22:23], s[22:23], exec
	s_and_b64 s[30:31], s[30:31], exec
	s_mov_b64 s[28:29], -1
	s_or_b64 s[22:23], s[22:23], s[30:31]
.LBB70_1342:
	s_mov_b64 s[30:31], 0
.LBB70_1343:
	s_andn2_b64 s[20:21], s[20:21], exec
	s_and_b64 s[22:23], s[22:23], exec
	s_and_b64 s[26:27], s[26:27], exec
	;; [unrolled: 1-line block ×4, first 2 shown]
	s_or_b64 s[20:21], s[20:21], s[22:23]
	s_or_b64 exec, exec, s[0:1]
	s_and_saveexec_b64 s[0:1], s[20:21]
	s_cbranch_execz .LBB70_1276
.LBB70_1344:
	s_or_b64 s[24:25], s[24:25], exec
	s_andn2_b64 s[28:29], s[28:29], exec
	s_trap 2
	s_or_b64 exec, exec, s[0:1]
	s_and_saveexec_b64 s[0:1], s[28:29]
	s_xor_b64 s[0:1], exec, s[0:1]
	s_cbranch_execnz .LBB70_1277
.LBB70_1345:
	s_or_b64 exec, exec, s[0:1]
	s_and_saveexec_b64 s[0:1], s[34:35]
	s_cbranch_execz .LBB70_1391
.LBB70_1346:
	s_sext_i32_i16 s20, s36
	s_cmp_lt_i32 s20, 5
	s_cbranch_scc1 .LBB70_1351
; %bb.1347:
	s_cmp_lt_i32 s20, 8
	s_cbranch_scc1 .LBB70_1352
; %bb.1348:
	;; [unrolled: 3-line block ×3, first 2 shown]
	s_cmp_gt_i32 s20, 9
	s_cbranch_scc0 .LBB70_1354
; %bb.1350:
	s_waitcnt vmcnt(0)
	global_load_dwordx2 v[3:4], v[1:2], off
	s_mov_b64 s[20:21], 0
	s_waitcnt vmcnt(0)
	v_cvt_i32_f64_e32 v3, v[3:4]
	s_branch .LBB70_1355
.LBB70_1351:
                                        ; implicit-def: $vgpr3
	s_branch .LBB70_1372
.LBB70_1352:
                                        ; implicit-def: $vgpr3
	s_branch .LBB70_1361
.LBB70_1353:
	s_mov_b64 s[20:21], -1
                                        ; implicit-def: $vgpr3
	s_branch .LBB70_1358
.LBB70_1354:
	s_mov_b64 s[20:21], -1
                                        ; implicit-def: $vgpr3
.LBB70_1355:
	s_andn2_b64 vcc, exec, s[20:21]
	s_cbranch_vccnz .LBB70_1357
; %bb.1356:
	s_waitcnt vmcnt(0)
	global_load_dword v3, v[1:2], off
	s_waitcnt vmcnt(0)
	v_cvt_i32_f32_e32 v3, v3
.LBB70_1357:
	s_mov_b64 s[20:21], 0
.LBB70_1358:
	s_andn2_b64 vcc, exec, s[20:21]
	s_cbranch_vccnz .LBB70_1360
; %bb.1359:
	s_waitcnt vmcnt(0)
	global_load_dword v3, v[1:2], off
	s_waitcnt vmcnt(0)
	v_cvt_i16_f16_e32 v3, v3
.LBB70_1360:
	s_cbranch_execnz .LBB70_1371
.LBB70_1361:
	s_sext_i32_i16 s20, s36
	s_cmp_lt_i32 s20, 6
	s_cbranch_scc1 .LBB70_1364
; %bb.1362:
	s_cmp_gt_i32 s20, 6
	s_cbranch_scc0 .LBB70_1365
; %bb.1363:
	s_waitcnt vmcnt(0)
	global_load_dwordx2 v[3:4], v[1:2], off
	s_mov_b64 s[20:21], 0
	s_waitcnt vmcnt(0)
	v_cvt_i32_f64_e32 v3, v[3:4]
	s_branch .LBB70_1366
.LBB70_1364:
	s_mov_b64 s[20:21], -1
                                        ; implicit-def: $vgpr3
	s_branch .LBB70_1369
.LBB70_1365:
	s_mov_b64 s[20:21], -1
                                        ; implicit-def: $vgpr3
.LBB70_1366:
	s_andn2_b64 vcc, exec, s[20:21]
	s_cbranch_vccnz .LBB70_1368
; %bb.1367:
	s_waitcnt vmcnt(0)
	global_load_dword v3, v[1:2], off
	s_waitcnt vmcnt(0)
	v_cvt_i32_f32_e32 v3, v3
.LBB70_1368:
	s_mov_b64 s[20:21], 0
.LBB70_1369:
	s_andn2_b64 vcc, exec, s[20:21]
	s_cbranch_vccnz .LBB70_1371
; %bb.1370:
	s_waitcnt vmcnt(0)
	global_load_ushort v3, v[1:2], off
	s_waitcnt vmcnt(0)
	v_cvt_i16_f16_e32 v3, v3
.LBB70_1371:
	s_cbranch_execnz .LBB70_1390
.LBB70_1372:
	s_sext_i32_i16 s20, s36
	s_cmp_lt_i32 s20, 2
	s_cbranch_scc1 .LBB70_1376
; %bb.1373:
	s_cmp_lt_i32 s20, 3
	s_cbranch_scc1 .LBB70_1377
; %bb.1374:
	s_cmp_gt_i32 s20, 3
	s_cbranch_scc0 .LBB70_1378
; %bb.1375:
	s_waitcnt vmcnt(0)
	global_load_dwordx2 v[3:4], v[1:2], off
	s_mov_b64 s[20:21], 0
	s_branch .LBB70_1379
.LBB70_1376:
                                        ; implicit-def: $vgpr3
	s_branch .LBB70_1385
.LBB70_1377:
	s_mov_b64 s[20:21], -1
                                        ; implicit-def: $vgpr3
	s_branch .LBB70_1382
.LBB70_1378:
	s_mov_b64 s[20:21], -1
                                        ; implicit-def: $vgpr3
.LBB70_1379:
	s_andn2_b64 vcc, exec, s[20:21]
	s_cbranch_vccnz .LBB70_1381
; %bb.1380:
	s_waitcnt vmcnt(0)
	global_load_dword v3, v[1:2], off
.LBB70_1381:
	s_mov_b64 s[20:21], 0
.LBB70_1382:
	s_andn2_b64 vcc, exec, s[20:21]
	s_cbranch_vccnz .LBB70_1384
; %bb.1383:
	s_waitcnt vmcnt(0)
	global_load_ushort v3, v[1:2], off
.LBB70_1384:
	s_cbranch_execnz .LBB70_1390
.LBB70_1385:
	s_sext_i32_i16 s20, s36
	s_cmp_gt_i32 s20, 0
	s_cbranch_scc0 .LBB70_1387
; %bb.1386:
	s_waitcnt vmcnt(0)
	global_load_sbyte v3, v[1:2], off
	s_mov_b64 s[20:21], 0
	s_branch .LBB70_1388
.LBB70_1387:
	s_mov_b64 s[20:21], -1
                                        ; implicit-def: $vgpr3
.LBB70_1388:
	s_andn2_b64 vcc, exec, s[20:21]
	s_cbranch_vccnz .LBB70_1390
; %bb.1389:
	s_waitcnt vmcnt(0)
	global_load_ubyte v3, v[1:2], off
.LBB70_1390:
	s_or_b64 s[26:27], s[26:27], exec
.LBB70_1391:
	s_or_b64 exec, exec, s[0:1]
	s_mov_b64 s[30:31], 0
	s_mov_b64 s[28:29], 0
                                        ; implicit-def: $sgpr20_sgpr21
                                        ; implicit-def: $sgpr34
                                        ; implicit-def: $vgpr1_vgpr2
	s_and_saveexec_b64 s[22:23], s[26:27]
	s_cbranch_execz .LBB70_1466
; %bb.1392:
	s_waitcnt vmcnt(0)
	v_mul_lo_u32 v1, v14, s12
	v_cmp_ne_u16_e32 vcc, v0, v3
	v_mov_b32_e32 v0, s9
	s_xor_b64 s[20:21], s[16:17], vcc
	v_ashrrev_i32_e32 v2, 31, v1
	s_and_b32 s34, s33, 0xff
	v_add_co_u32_e32 v1, vcc, s8, v1
	s_cmp_lt_i32 s34, 11
	v_addc_co_u32_e32 v2, vcc, v0, v2, vcc
	s_cbranch_scc1 .LBB70_1469
; %bb.1393:
	s_and_b32 s35, 0xffff, s34
	s_mov_b64 s[26:27], -1
	s_cmp_gt_i32 s35, 25
	s_mov_b64 s[0:1], s[18:19]
	s_cbranch_scc0 .LBB70_1426
; %bb.1394:
	s_mov_b64 s[16:17], -1
	s_cmp_gt_i32 s35, 28
	s_mov_b64 s[0:1], s[18:19]
	s_cbranch_scc0 .LBB70_1410
; %bb.1395:
	s_cmp_gt_i32 s35, 43
	s_mov_b64 s[0:1], s[18:19]
	s_cbranch_scc0 .LBB70_1406
; %bb.1396:
	;; [unrolled: 4-line block ×3, first 2 shown]
	s_cmp_eq_u32 s35, 46
	s_mov_b64 s[0:1], -1
	s_cbranch_scc0 .LBB70_1399
; %bb.1398:
	v_cndmask_b32_e64 v0, 0, 1.0, s[20:21]
	v_bfe_u32 v3, v0, 16, 1
	s_movk_i32 s0, 0x7fff
	v_add3_u32 v0, v0, v3, s0
	v_lshrrev_b32_e32 v0, 16, v0
	global_store_dword v[1:2], v0, off
	s_mov_b64 s[0:1], 0
.LBB70_1399:
	s_mov_b64 s[16:17], 0
.LBB70_1400:
	s_and_b64 vcc, exec, s[16:17]
	s_cbranch_vccz .LBB70_1405
; %bb.1401:
	s_cmp_eq_u32 s35, 44
	s_mov_b64 s[0:1], -1
	s_cbranch_scc0 .LBB70_1405
; %bb.1402:
	v_cndmask_b32_e64 v3, 0, 1.0, s[20:21]
	v_lshrrev_b32_e32 v0, 23, v3
	s_movk_i32 s0, 0xff
	v_cmp_ne_u32_e32 vcc, s0, v0
	v_mov_b32_e32 v4, 0xff
	s_and_saveexec_b64 s[16:17], vcc
; %bb.1403:
	s_mov_b32 s0, 0x3fffff
	v_and_b32_e32 v4, 0x400000, v3
	v_and_or_b32 v3, v3, s0, v0
	v_cmp_ne_u32_e32 vcc, 0, v4
	v_cmp_ne_u32_e64 s[0:1], 0, v3
	s_and_b64 s[0:1], vcc, s[0:1]
	v_cndmask_b32_e64 v3, 0, 1, s[0:1]
	v_add_u32_e32 v4, v0, v3
; %bb.1404:
	s_or_b64 exec, exec, s[16:17]
	s_mov_b64 s[0:1], 0
	global_store_byte v[1:2], v4, off
.LBB70_1405:
	s_mov_b64 s[16:17], 0
.LBB70_1406:
	s_and_b64 vcc, exec, s[16:17]
	s_cbranch_vccz .LBB70_1409
; %bb.1407:
	s_cmp_eq_u32 s35, 29
	s_mov_b64 s[0:1], -1
	s_cbranch_scc0 .LBB70_1409
; %bb.1408:
	s_mov_b32 s0, 0
	v_cndmask_b32_e64 v3, 0, 1, s[20:21]
	v_mov_b32_e32 v4, s0
	global_store_dwordx2 v[1:2], v[3:4], off
	s_mov_b64 s[0:1], 0
.LBB70_1409:
	s_mov_b64 s[16:17], 0
.LBB70_1410:
	s_and_b64 vcc, exec, s[16:17]
	s_cbranch_vccz .LBB70_1425
; %bb.1411:
	s_cmp_lt_i32 s35, 27
	s_mov_b64 s[16:17], -1
	s_cbranch_scc1 .LBB70_1417
; %bb.1412:
	s_cmp_gt_i32 s35, 27
	v_cndmask_b32_e64 v0, 0, 1, s[20:21]
	s_cbranch_scc0 .LBB70_1414
; %bb.1413:
	s_mov_b64 s[16:17], 0
	global_store_dword v[1:2], v0, off
.LBB70_1414:
	s_andn2_b64 vcc, exec, s[16:17]
	s_cbranch_vccnz .LBB70_1416
; %bb.1415:
	global_store_short v[1:2], v0, off
.LBB70_1416:
	s_mov_b64 s[16:17], 0
.LBB70_1417:
	s_andn2_b64 vcc, exec, s[16:17]
	s_cbranch_vccnz .LBB70_1425
; %bb.1418:
	v_cndmask_b32_e64 v3, 0, 1.0, s[20:21]
	s_mov_b32 s16, 0x43800000
	v_cmp_gt_u32_e32 vcc, s16, v3
	v_mov_b32_e32 v4, 0x80
	s_and_saveexec_b64 s[16:17], vcc
	s_cbranch_execz .LBB70_1424
; %bb.1419:
	s_mov_b32 s26, 0x3bffffff
	v_cmp_lt_u32_e32 vcc, s26, v3
	s_mov_b64 s[26:27], 0
                                        ; implicit-def: $vgpr0
	s_and_saveexec_b64 s[28:29], vcc
	s_xor_b64 s[28:29], exec, s[28:29]
	s_cbranch_execz .LBB70_1526
; %bb.1420:
	v_bfe_u32 v0, v3, 20, 1
	s_mov_b32 s30, 0x487ffff
	v_add3_u32 v0, v3, v0, s30
	s_mov_b64 s[26:27], exec
	v_lshrrev_b32_e32 v0, 20, v0
                                        ; implicit-def: $vgpr3
	s_andn2_saveexec_b64 s[28:29], s[28:29]
	s_cbranch_execnz .LBB70_1527
.LBB70_1421:
	s_or_b64 exec, exec, s[28:29]
	v_mov_b32_e32 v4, 0
	s_and_saveexec_b64 s[28:29], s[26:27]
.LBB70_1422:
	v_mov_b32_e32 v4, v0
.LBB70_1423:
	s_or_b64 exec, exec, s[28:29]
.LBB70_1424:
	s_or_b64 exec, exec, s[16:17]
	global_store_byte v[1:2], v4, off
.LBB70_1425:
	s_mov_b64 s[26:27], 0
.LBB70_1426:
	s_mov_b64 s[16:17], 0
	s_and_b64 vcc, exec, s[26:27]
	s_cbranch_vccz .LBB70_1470
; %bb.1427:
	s_cmp_gt_i32 s35, 22
	s_mov_b64 s[26:27], -1
	s_cbranch_scc0 .LBB70_1459
; %bb.1428:
	s_cmp_lt_i32 s35, 24
	s_cbranch_scc1 .LBB70_1448
; %bb.1429:
	s_cmp_gt_i32 s35, 24
	s_cbranch_scc0 .LBB70_1437
; %bb.1430:
	v_cndmask_b32_e64 v3, 0, 1.0, s[20:21]
	s_mov_b32 s26, 0x47800000
	v_cmp_gt_u32_e32 vcc, s26, v3
	v_mov_b32_e32 v4, 0x80
	s_and_saveexec_b64 s[26:27], vcc
	s_cbranch_execz .LBB70_1436
; %bb.1431:
	s_mov_b32 s28, 0x37ffffff
	v_cmp_lt_u32_e32 vcc, s28, v3
	s_mov_b64 s[28:29], 0
                                        ; implicit-def: $vgpr0
	s_and_saveexec_b64 s[30:31], vcc
	s_xor_b64 s[30:31], exec, s[30:31]
	s_cbranch_execz .LBB70_1646
; %bb.1432:
	v_bfe_u32 v0, v3, 21, 1
	s_mov_b32 s36, 0x88fffff
	v_add3_u32 v0, v3, v0, s36
	s_mov_b64 s[28:29], exec
	v_lshrrev_b32_e32 v0, 21, v0
                                        ; implicit-def: $vgpr3
	s_andn2_saveexec_b64 s[30:31], s[30:31]
	s_cbranch_execnz .LBB70_1647
.LBB70_1433:
	s_or_b64 exec, exec, s[30:31]
	v_mov_b32_e32 v4, 0
	s_and_saveexec_b64 s[30:31], s[28:29]
.LBB70_1434:
	v_mov_b32_e32 v4, v0
.LBB70_1435:
	s_or_b64 exec, exec, s[30:31]
.LBB70_1436:
	s_or_b64 exec, exec, s[26:27]
	s_mov_b64 s[26:27], 0
	global_store_byte v[1:2], v4, off
.LBB70_1437:
	s_and_b64 vcc, exec, s[26:27]
	s_cbranch_vccz .LBB70_1447
; %bb.1438:
	v_cndmask_b32_e64 v0, 0, 1.0, s[20:21]
	s_mov_b32 s26, 0x43f00000
	v_cmp_gt_u32_e32 vcc, s26, v0
                                        ; implicit-def: $vgpr3
	s_and_saveexec_b64 s[26:27], vcc
	s_xor_b64 s[26:27], exec, s[26:27]
	s_cbranch_execz .LBB70_1444
; %bb.1439:
	s_mov_b32 s28, 0x3c7fffff
	v_cmp_lt_u32_e32 vcc, s28, v0
                                        ; implicit-def: $vgpr3
	s_and_saveexec_b64 s[28:29], vcc
	s_xor_b64 s[28:29], exec, s[28:29]
; %bb.1440:
	v_bfe_u32 v3, v0, 20, 1
	s_mov_b32 s30, 0x407ffff
	v_add3_u32 v0, v0, v3, s30
	v_lshrrev_b32_e32 v3, 20, v0
	v_and_b32_e32 v0, 0xff00000, v0
	s_mov_b32 s30, 0x7f00000
	v_mov_b32_e32 v4, 0x7e
	v_cmp_ne_u32_e32 vcc, s30, v0
	v_cndmask_b32_e32 v3, v4, v3, vcc
                                        ; implicit-def: $vgpr0
; %bb.1441:
	s_andn2_saveexec_b64 s[28:29], s[28:29]
; %bb.1442:
	v_add_f32_e32 v3, 0x46800000, v0
; %bb.1443:
	s_or_b64 exec, exec, s[28:29]
                                        ; implicit-def: $vgpr0
.LBB70_1444:
	s_andn2_saveexec_b64 s[26:27], s[26:27]
; %bb.1445:
	s_mov_b32 s28, 0x7f800000
	v_mov_b32_e32 v3, 0x7e
	v_mov_b32_e32 v4, 0x7f
	v_cmp_lt_u32_e32 vcc, s28, v0
	v_cndmask_b32_e32 v3, v3, v4, vcc
; %bb.1446:
	s_or_b64 exec, exec, s[26:27]
	global_store_byte v[1:2], v3, off
.LBB70_1447:
	s_mov_b64 s[26:27], 0
.LBB70_1448:
	s_andn2_b64 vcc, exec, s[26:27]
	s_cbranch_vccnz .LBB70_1458
; %bb.1449:
	v_cndmask_b32_e64 v0, 0, 1.0, s[20:21]
	s_mov_b32 s26, 0x47800000
	v_cmp_gt_u32_e32 vcc, s26, v0
                                        ; implicit-def: $vgpr3
	s_and_saveexec_b64 s[26:27], vcc
	s_xor_b64 s[26:27], exec, s[26:27]
	s_cbranch_execz .LBB70_1455
; %bb.1450:
	s_mov_b32 s28, 0x387fffff
	v_cmp_lt_u32_e32 vcc, s28, v0
                                        ; implicit-def: $vgpr3
	s_and_saveexec_b64 s[28:29], vcc
	s_xor_b64 s[28:29], exec, s[28:29]
; %bb.1451:
	v_bfe_u32 v3, v0, 21, 1
	s_mov_b32 s30, 0x80fffff
	v_add3_u32 v0, v0, v3, s30
	v_lshrrev_b32_e32 v3, 21, v0
                                        ; implicit-def: $vgpr0
; %bb.1452:
	s_andn2_saveexec_b64 s[28:29], s[28:29]
; %bb.1453:
	v_add_f32_e32 v3, 0x43000000, v0
; %bb.1454:
	s_or_b64 exec, exec, s[28:29]
                                        ; implicit-def: $vgpr0
.LBB70_1455:
	s_andn2_saveexec_b64 s[26:27], s[26:27]
; %bb.1456:
	s_mov_b32 s28, 0x7f800000
	v_mov_b32_e32 v3, 0x7c
	v_mov_b32_e32 v4, 0x7f
	v_cmp_lt_u32_e32 vcc, s28, v0
	v_cndmask_b32_e32 v3, v3, v4, vcc
; %bb.1457:
	s_or_b64 exec, exec, s[26:27]
	global_store_byte v[1:2], v3, off
.LBB70_1458:
	s_mov_b64 s[26:27], 0
.LBB70_1459:
	s_andn2_b64 vcc, exec, s[26:27]
	s_mov_b64 s[26:27], 0
	s_cbranch_vccnz .LBB70_1471
; %bb.1460:
	s_cmp_gt_i32 s35, 14
	s_mov_b64 s[28:29], -1
	s_cbranch_scc0 .LBB70_1464
; %bb.1461:
	s_cmp_eq_u32 s35, 15
	s_mov_b64 s[0:1], -1
	s_cbranch_scc0 .LBB70_1463
; %bb.1462:
	v_cndmask_b32_e64 v0, 0, 1.0, s[20:21]
	v_bfe_u32 v3, v0, 16, 1
	s_movk_i32 s0, 0x7fff
	v_add3_u32 v0, v0, v3, s0
	global_store_short_d16_hi v[1:2], v0, off
	s_mov_b64 s[0:1], 0
.LBB70_1463:
	s_mov_b64 s[28:29], 0
.LBB70_1464:
	s_and_b64 vcc, exec, s[28:29]
	s_cbranch_vccz .LBB70_1471
; %bb.1465:
	s_cmp_lg_u32 s35, 11
	s_cselect_b64 s[28:29], -1, 0
	s_andn2_b64 s[0:1], s[0:1], exec
	s_and_b64 s[28:29], s[28:29], exec
	s_mov_b64 s[26:27], -1
	s_or_b64 s[0:1], s[0:1], s[28:29]
	s_branch .LBB70_1471
.LBB70_1466:
	s_or_b64 exec, exec, s[22:23]
	s_and_saveexec_b64 s[0:1], s[18:19]
	s_cbranch_execnz .LBB70_1472
.LBB70_1467:
	s_or_b64 exec, exec, s[0:1]
	s_and_saveexec_b64 s[0:1], s[30:31]
	s_xor_b64 s[0:1], exec, s[0:1]
	s_cbranch_execz .LBB70_1473
.LBB70_1468:
	s_waitcnt vmcnt(0)
	v_cndmask_b32_e64 v0, 0, 1, s[20:21]
	global_store_byte v[1:2], v0, off
	s_or_b64 exec, exec, s[0:1]
	s_and_saveexec_b64 s[0:1], s[28:29]
	s_xor_b64 s[0:1], exec, s[0:1]
	s_cbranch_execz .LBB70_1511
	s_branch .LBB70_1474
.LBB70_1469:
	s_mov_b64 s[26:27], 0
	s_mov_b64 s[16:17], -1
	s_mov_b64 s[0:1], s[18:19]
	s_branch .LBB70_1471
.LBB70_1470:
	s_mov_b64 s[26:27], 0
.LBB70_1471:
	s_and_b64 s[28:29], s[16:17], exec
	s_andn2_b64 s[16:17], s[18:19], exec
	s_and_b64 s[0:1], s[0:1], exec
	s_and_b64 s[30:31], s[26:27], exec
	s_or_b64 s[18:19], s[16:17], s[0:1]
	s_or_b64 exec, exec, s[22:23]
	s_and_saveexec_b64 s[0:1], s[18:19]
	s_cbranch_execz .LBB70_1467
.LBB70_1472:
	s_or_b64 s[24:25], s[24:25], exec
	s_andn2_b64 s[30:31], s[30:31], exec
	s_trap 2
	s_or_b64 exec, exec, s[0:1]
	s_and_saveexec_b64 s[0:1], s[30:31]
	s_xor_b64 s[0:1], exec, s[0:1]
	s_cbranch_execnz .LBB70_1468
.LBB70_1473:
	s_or_b64 exec, exec, s[0:1]
	s_and_saveexec_b64 s[0:1], s[28:29]
	s_xor_b64 s[0:1], exec, s[0:1]
	s_cbranch_execz .LBB70_1511
.LBB70_1474:
	s_sext_i32_i16 s18, s34
	s_cmp_lt_i32 s18, 5
	s_mov_b64 s[16:17], -1
	s_cbranch_scc1 .LBB70_1495
; %bb.1475:
	s_cmp_lt_i32 s18, 8
	s_cbranch_scc1 .LBB70_1485
; %bb.1476:
	s_cmp_lt_i32 s18, 9
	s_cbranch_scc1 .LBB70_1482
; %bb.1477:
	s_cmp_gt_i32 s18, 9
	s_cbranch_scc0 .LBB70_1479
; %bb.1478:
	s_waitcnt vmcnt(0)
	v_cndmask_b32_e64 v0, 0, 1, s[20:21]
	v_cvt_f64_u32_e32 v[3:4], v0
	v_mov_b32_e32 v5, 0
	v_mov_b32_e32 v6, v5
	s_mov_b64 s[16:17], 0
	global_store_dwordx4 v[1:2], v[3:6], off
.LBB70_1479:
	s_andn2_b64 vcc, exec, s[16:17]
	s_cbranch_vccnz .LBB70_1481
; %bb.1480:
	s_waitcnt vmcnt(0)
	v_cndmask_b32_e64 v3, 0, 1.0, s[20:21]
	v_mov_b32_e32 v4, 0
	global_store_dwordx2 v[1:2], v[3:4], off
.LBB70_1481:
	s_mov_b64 s[16:17], 0
.LBB70_1482:
	s_andn2_b64 vcc, exec, s[16:17]
	s_cbranch_vccnz .LBB70_1484
; %bb.1483:
	s_waitcnt vmcnt(0)
	v_cndmask_b32_e64 v0, 0, 1.0, s[20:21]
	v_cvt_f16_f32_e32 v0, v0
	global_store_dword v[1:2], v0, off
.LBB70_1484:
	s_mov_b64 s[16:17], 0
.LBB70_1485:
	s_andn2_b64 vcc, exec, s[16:17]
	s_cbranch_vccnz .LBB70_1494
; %bb.1486:
	s_sext_i32_i16 s18, s34
	s_cmp_lt_i32 s18, 6
	s_mov_b64 s[16:17], -1
	s_cbranch_scc1 .LBB70_1492
; %bb.1487:
	s_cmp_gt_i32 s18, 6
	s_cbranch_scc0 .LBB70_1489
; %bb.1488:
	s_waitcnt vmcnt(0)
	v_cndmask_b32_e64 v0, 0, 1, s[20:21]
	v_cvt_f64_u32_e32 v[3:4], v0
	s_mov_b64 s[16:17], 0
	global_store_dwordx2 v[1:2], v[3:4], off
.LBB70_1489:
	s_andn2_b64 vcc, exec, s[16:17]
	s_cbranch_vccnz .LBB70_1491
; %bb.1490:
	s_waitcnt vmcnt(0)
	v_cndmask_b32_e64 v0, 0, 1.0, s[20:21]
	global_store_dword v[1:2], v0, off
.LBB70_1491:
	s_mov_b64 s[16:17], 0
.LBB70_1492:
	s_andn2_b64 vcc, exec, s[16:17]
	s_cbranch_vccnz .LBB70_1494
; %bb.1493:
	s_waitcnt vmcnt(0)
	v_cndmask_b32_e64 v0, 0, 1.0, s[20:21]
	v_cvt_f16_f32_e32 v0, v0
	global_store_short v[1:2], v0, off
.LBB70_1494:
	s_mov_b64 s[16:17], 0
.LBB70_1495:
	s_andn2_b64 vcc, exec, s[16:17]
	s_cbranch_vccnz .LBB70_1511
; %bb.1496:
	s_sext_i32_i16 s18, s34
	s_cmp_lt_i32 s18, 2
	s_mov_b64 s[16:17], -1
	s_cbranch_scc1 .LBB70_1506
; %bb.1497:
	s_cmp_lt_i32 s18, 3
	s_cbranch_scc1 .LBB70_1503
; %bb.1498:
	s_cmp_gt_i32 s18, 3
	s_cbranch_scc0 .LBB70_1500
; %bb.1499:
	s_mov_b32 s16, 0
	s_waitcnt vmcnt(0)
	v_cndmask_b32_e64 v3, 0, 1, s[20:21]
	v_mov_b32_e32 v4, s16
	s_mov_b64 s[16:17], 0
	global_store_dwordx2 v[1:2], v[3:4], off
.LBB70_1500:
	s_andn2_b64 vcc, exec, s[16:17]
	s_cbranch_vccnz .LBB70_1502
; %bb.1501:
	s_waitcnt vmcnt(0)
	v_cndmask_b32_e64 v0, 0, 1, s[20:21]
	global_store_dword v[1:2], v0, off
.LBB70_1502:
	s_mov_b64 s[16:17], 0
.LBB70_1503:
	s_andn2_b64 vcc, exec, s[16:17]
	s_cbranch_vccnz .LBB70_1505
; %bb.1504:
	s_waitcnt vmcnt(0)
	v_cndmask_b32_e64 v0, 0, 1, s[20:21]
	global_store_short v[1:2], v0, off
.LBB70_1505:
	s_mov_b64 s[16:17], 0
.LBB70_1506:
	s_andn2_b64 vcc, exec, s[16:17]
	s_cbranch_vccnz .LBB70_1511
; %bb.1507:
	s_sext_i32_i16 s18, s34
	s_mov_b64 s[16:17], -1
	s_cmp_gt_i32 s18, 0
	s_waitcnt vmcnt(0)
	v_cndmask_b32_e64 v0, 0, 1, s[20:21]
	s_cbranch_scc0 .LBB70_1509
; %bb.1508:
	s_mov_b64 s[16:17], 0
	global_store_byte v[1:2], v0, off
.LBB70_1509:
	s_andn2_b64 vcc, exec, s[16:17]
	s_cbranch_vccnz .LBB70_1511
; %bb.1510:
	global_store_byte v[1:2], v0, off
.LBB70_1511:
	s_or_b64 exec, exec, s[0:1]
	s_and_b64 s[16:17], s[24:25], exec
                                        ; implicit-def: $vgpr14
.LBB70_1512:
	s_or_saveexec_b64 s[6:7], s[6:7]
	s_mov_b64 s[0:1], 0
                                        ; implicit-def: $sgpr20_sgpr21
                                        ; implicit-def: $sgpr24
                                        ; implicit-def: $vgpr0_vgpr1
	s_xor_b64 exec, exec, s[6:7]
	s_cbranch_execz .LBB70_2949
; %bb.1513:
	v_mul_lo_u32 v5, s13, v14
	s_waitcnt vmcnt(0)
	v_mov_b32_e32 v0, s11
	s_and_b32 s24, s57, 0xff
	s_cmp_lt_i32 s24, 11
	v_ashrrev_i32_e32 v1, 31, v5
	v_add_co_u32_e32 v2, vcc, s10, v5
	v_addc_co_u32_e32 v3, vcc, v0, v1, vcc
	s_cbranch_scc1 .LBB70_1520
; %bb.1514:
	s_and_b32 s22, 0xffff, s24
	s_cmp_gt_i32 s22, 25
	s_cbranch_scc0 .LBB70_1522
; %bb.1515:
	s_cmp_gt_i32 s22, 28
	s_cbranch_scc0 .LBB70_1523
; %bb.1516:
	;; [unrolled: 3-line block ×4, first 2 shown]
	s_cmp_eq_u32 s22, 46
	s_mov_b64 s[18:19], 0
	s_cbranch_scc0 .LBB70_1528
; %bb.1519:
	global_load_dword v0, v[2:3], off
	s_mov_b64 s[20:21], -1
	s_waitcnt vmcnt(0)
	v_lshlrev_b32_e32 v0, 16, v0
	v_cvt_i32_f32_e32 v0, v0
	s_branch .LBB70_1529
.LBB70_1520:
	s_mov_b64 s[20:21], 0
                                        ; implicit-def: $vgpr0
	s_mov_b64 s[18:19], s[16:17]
	s_cbranch_execnz .LBB70_1587
.LBB70_1521:
	s_andn2_b64 vcc, exec, s[20:21]
	s_cbranch_vccz .LBB70_1632
	s_branch .LBB70_2947
.LBB70_1522:
	s_mov_b64 s[20:21], 0
                                        ; implicit-def: $vgpr0
	s_cbranch_execnz .LBB70_1554
	s_branch .LBB70_1583
.LBB70_1523:
	s_mov_b64 s[20:21], 0
                                        ; implicit-def: $vgpr0
	s_cbranch_execz .LBB70_1553
	s_branch .LBB70_1538
.LBB70_1524:
	s_mov_b64 s[20:21], 0
                                        ; implicit-def: $vgpr0
	s_cbranch_execnz .LBB70_1534
	s_branch .LBB70_1537
.LBB70_1525:
	s_mov_b64 s[18:19], -1
	s_mov_b64 s[20:21], 0
                                        ; implicit-def: $vgpr0
	s_branch .LBB70_1529
.LBB70_1526:
	s_andn2_saveexec_b64 s[28:29], s[28:29]
	s_cbranch_execz .LBB70_1421
.LBB70_1527:
	v_add_f32_e32 v0, 0x46000000, v3
	v_and_b32_e32 v0, 0xff, v0
	v_cmp_ne_u32_e32 vcc, 0, v0
	s_andn2_b64 s[26:27], s[26:27], exec
	s_and_b64 s[30:31], vcc, exec
	s_or_b64 s[26:27], s[26:27], s[30:31]
	s_or_b64 exec, exec, s[28:29]
	v_mov_b32_e32 v4, 0
	s_and_saveexec_b64 s[28:29], s[26:27]
	s_cbranch_execnz .LBB70_1422
	s_branch .LBB70_1423
.LBB70_1528:
	s_mov_b64 s[0:1], -1
                                        ; implicit-def: $vgpr0
	s_mov_b64 s[20:21], 0
.LBB70_1529:
	s_and_b64 vcc, exec, s[18:19]
	s_cbranch_vccz .LBB70_1532
; %bb.1530:
	s_cmp_eq_u32 s22, 44
	s_cbranch_scc0 .LBB70_1533
; %bb.1531:
	global_load_ubyte v0, v[2:3], off
	s_mov_b64 s[0:1], 0
	s_mov_b64 s[20:21], -1
	s_waitcnt vmcnt(0)
	v_lshlrev_b32_e32 v1, 23, v0
	v_cvt_i32_f32_e32 v1, v1
	v_cmp_ne_u32_e32 vcc, 0, v0
	v_cndmask_b32_e32 v0, 0, v1, vcc
.LBB70_1532:
	s_branch .LBB70_1537
.LBB70_1533:
	s_mov_b64 s[0:1], -1
                                        ; implicit-def: $vgpr0
	s_branch .LBB70_1537
.LBB70_1534:
	s_cmp_eq_u32 s22, 29
	s_cbranch_scc0 .LBB70_1536
; %bb.1535:
	global_load_dwordx2 v[0:1], v[2:3], off
	s_mov_b64 s[0:1], 0
	s_mov_b64 s[20:21], -1
	s_branch .LBB70_1537
.LBB70_1536:
	s_mov_b64 s[0:1], -1
                                        ; implicit-def: $vgpr0
.LBB70_1537:
	s_branch .LBB70_1553
.LBB70_1538:
	s_cmp_lt_i32 s22, 27
	s_cbranch_scc1 .LBB70_1541
; %bb.1539:
	s_cmp_gt_i32 s22, 27
	s_cbranch_scc0 .LBB70_1542
; %bb.1540:
	global_load_dword v0, v[2:3], off
	s_mov_b64 s[18:19], 0
	s_branch .LBB70_1543
.LBB70_1541:
	s_mov_b64 s[18:19], -1
                                        ; implicit-def: $vgpr0
	s_branch .LBB70_1546
.LBB70_1542:
	s_mov_b64 s[18:19], -1
                                        ; implicit-def: $vgpr0
.LBB70_1543:
	s_andn2_b64 vcc, exec, s[18:19]
	s_cbranch_vccnz .LBB70_1545
; %bb.1544:
	global_load_ushort v0, v[2:3], off
.LBB70_1545:
	s_mov_b64 s[18:19], 0
.LBB70_1546:
	s_andn2_b64 vcc, exec, s[18:19]
	s_cbranch_vccnz .LBB70_1552
; %bb.1547:
	global_load_ubyte v1, v[2:3], off
	s_movk_i32 s18, 0x7f
	s_mov_b64 s[20:21], 0
	s_waitcnt vmcnt(0)
	v_cmp_lt_i16_e32 vcc, s18, v1
	s_and_saveexec_b64 s[18:19], vcc
	s_xor_b64 s[18:19], exec, s[18:19]
	s_cbranch_execz .LBB70_1563
; %bb.1548:
	s_movk_i32 s20, 0x80
	v_cmp_ne_u16_e32 vcc, s20, v1
	s_and_b64 s[20:21], vcc, exec
	s_andn2_saveexec_b64 s[18:19], s[18:19]
	s_cbranch_execnz .LBB70_1564
.LBB70_1549:
	s_or_b64 exec, exec, s[18:19]
	v_mov_b32_e32 v0, 0
	s_and_saveexec_b64 s[18:19], s[20:21]
	s_cbranch_execz .LBB70_1551
.LBB70_1550:
	v_lshlrev_b32_e32 v0, 24, v1
	v_and_b32_e32 v1, 0xffff, v1
	v_and_b32_e32 v4, 7, v1
	v_ffbh_u32_e32 v7, v4
	v_min_u32_e32 v7, 32, v7
	v_subrev_u32_e32 v8, 28, v7
	v_bfe_u32 v6, v1, 3, 4
	v_lshlrev_b32_e32 v1, v8, v1
	v_sub_u32_e32 v7, 29, v7
	v_and_b32_e32 v1, 7, v1
	v_cmp_eq_u32_e32 vcc, 0, v6
	v_cndmask_b32_e32 v6, v6, v7, vcc
	v_cndmask_b32_e32 v1, v4, v1, vcc
	v_mov_b32_e32 v4, 0x3b800000
	v_lshlrev_b32_e32 v1, 20, v1
	v_and_b32_e32 v0, 0x80000000, v0
	v_lshl_add_u32 v4, v6, 23, v4
	v_or3_b32 v0, v0, v4, v1
	v_cvt_i32_f32_e32 v0, v0
.LBB70_1551:
	s_or_b64 exec, exec, s[18:19]
.LBB70_1552:
	s_mov_b64 s[20:21], -1
.LBB70_1553:
	s_branch .LBB70_1583
.LBB70_1554:
	s_cmp_gt_i32 s22, 22
	s_cbranch_scc0 .LBB70_1562
; %bb.1555:
	s_cmp_lt_i32 s22, 24
	s_cbranch_scc1 .LBB70_1565
; %bb.1556:
	s_cmp_gt_i32 s22, 24
	s_cbranch_scc0 .LBB70_1566
; %bb.1557:
	global_load_ubyte v1, v[2:3], off
	s_movk_i32 s4, 0x7f
	s_mov_b64 s[18:19], 0
	s_waitcnt vmcnt(0)
	v_cmp_lt_i16_e32 vcc, s4, v1
	s_and_saveexec_b64 s[4:5], vcc
	s_xor_b64 s[4:5], exec, s[4:5]
	s_cbranch_execz .LBB70_1577
; %bb.1558:
	s_movk_i32 s18, 0x80
	v_cmp_ne_u16_e32 vcc, s18, v1
	s_and_b64 s[18:19], vcc, exec
	s_andn2_saveexec_b64 s[4:5], s[4:5]
	s_cbranch_execnz .LBB70_1578
.LBB70_1559:
	s_or_b64 exec, exec, s[4:5]
	v_mov_b32_e32 v0, 0
	s_and_saveexec_b64 s[4:5], s[18:19]
	s_cbranch_execz .LBB70_1561
.LBB70_1560:
	v_lshlrev_b32_e32 v0, 24, v1
	v_and_b32_e32 v1, 0xffff, v1
	v_and_b32_e32 v4, 3, v1
	v_ffbh_u32_e32 v7, v4
	v_min_u32_e32 v7, 32, v7
	v_subrev_u32_e32 v8, 29, v7
	v_bfe_u32 v6, v1, 2, 5
	v_lshlrev_b32_e32 v1, v8, v1
	v_sub_u32_e32 v7, 30, v7
	v_and_b32_e32 v1, 3, v1
	v_cmp_eq_u32_e32 vcc, 0, v6
	v_cndmask_b32_e32 v6, v6, v7, vcc
	v_cndmask_b32_e32 v1, v4, v1, vcc
	v_mov_b32_e32 v4, 0x37800000
	v_lshlrev_b32_e32 v1, 21, v1
	v_and_b32_e32 v0, 0x80000000, v0
	v_lshl_add_u32 v4, v6, 23, v4
	v_or3_b32 v0, v0, v4, v1
	v_cvt_i32_f32_e32 v0, v0
.LBB70_1561:
	s_or_b64 exec, exec, s[4:5]
	s_mov_b64 s[4:5], 0
	s_branch .LBB70_1567
.LBB70_1562:
                                        ; implicit-def: $vgpr0
	s_mov_b64 s[4:5], 0
	s_branch .LBB70_1573
.LBB70_1563:
	s_andn2_saveexec_b64 s[18:19], s[18:19]
	s_cbranch_execz .LBB70_1549
.LBB70_1564:
	v_cmp_ne_u16_e32 vcc, 0, v1
	s_andn2_b64 s[20:21], s[20:21], exec
	s_and_b64 s[26:27], vcc, exec
	s_or_b64 s[20:21], s[20:21], s[26:27]
	s_or_b64 exec, exec, s[18:19]
	v_mov_b32_e32 v0, 0
	s_and_saveexec_b64 s[18:19], s[20:21]
	s_cbranch_execnz .LBB70_1550
	s_branch .LBB70_1551
.LBB70_1565:
	s_mov_b64 s[4:5], -1
                                        ; implicit-def: $vgpr0
	s_branch .LBB70_1570
.LBB70_1566:
	s_mov_b64 s[4:5], -1
                                        ; implicit-def: $vgpr0
.LBB70_1567:
	s_and_b64 vcc, exec, s[4:5]
	s_cbranch_vccz .LBB70_1569
; %bb.1568:
	global_load_ubyte v0, v[2:3], off
	s_mov_b32 s4, 0x7f800000
	s_waitcnt vmcnt(0)
	v_lshlrev_b32_e32 v0, 24, v0
	v_and_b32_e32 v1, 0x7f000000, v0
	v_ffbh_u32_e32 v4, v1
	v_min_u32_e32 v4, 32, v4
	v_sub_u32_e64 v4, v4, 4 clamp
	v_lshlrev_b32_e32 v7, v4, v1
	v_lshlrev_b32_e32 v4, 23, v4
	v_lshrrev_b32_e32 v7, 4, v7
	v_add_u32_e32 v6, 0x1000000, v1
	v_sub_u32_e32 v4, v7, v4
	v_ashrrev_i32_e32 v6, 8, v6
	v_add_u32_e32 v4, 0x3c000000, v4
	v_and_or_b32 v4, v6, s4, v4
	v_cmp_ne_u32_e32 vcc, 0, v1
	v_cndmask_b32_e32 v1, 0, v4, vcc
	s_brev_b32 s4, 1
	v_and_or_b32 v0, v0, s4, v1
	v_cvt_i32_f32_e32 v0, v0
.LBB70_1569:
	s_mov_b64 s[4:5], 0
.LBB70_1570:
	s_andn2_b64 vcc, exec, s[4:5]
	s_cbranch_vccnz .LBB70_1572
; %bb.1571:
	global_load_ubyte v0, v[2:3], off
	s_movk_i32 s4, 0x7f00
	s_brev_b32 s5, 16
	s_waitcnt vmcnt(0)
	v_lshlrev_b16_e32 v1, 8, v0
	v_lshlrev_b32_e32 v0, 25, v0
	v_lshrrev_b32_e32 v4, 4, v0
	v_and_or_b32 v6, v1, s4, 0.5
	v_or_b32_e32 v4, 0x70000000, v4
	v_add_f32_e32 v6, -0.5, v6
	v_mul_f32_e32 v4, 0x7800000, v4
	v_cmp_gt_u32_e32 vcc, s5, v0
	v_bfe_i32 v1, v1, 0, 16
	v_cndmask_b32_e32 v0, v4, v6, vcc
	s_brev_b32 s4, 1
	v_and_or_b32 v0, v1, s4, v0
	v_cvt_i32_f32_e32 v0, v0
.LBB70_1572:
	s_mov_b64 s[20:21], -1
	s_mov_b64 s[4:5], 0
	s_cbranch_execnz .LBB70_1583
.LBB70_1573:
	s_cmp_gt_i32 s22, 14
	s_cbranch_scc0 .LBB70_1576
; %bb.1574:
	s_cmp_eq_u32 s22, 15
	s_cbranch_scc0 .LBB70_1579
; %bb.1575:
	global_load_ushort v0, v[2:3], off
	s_mov_b64 s[0:1], 0
	s_mov_b64 s[20:21], -1
	s_waitcnt vmcnt(0)
	v_lshlrev_b32_e32 v0, 16, v0
	v_cvt_i32_f32_e32 v0, v0
	s_branch .LBB70_1580
.LBB70_1576:
	s_mov_b64 s[18:19], -1
                                        ; implicit-def: $vgpr0
	s_branch .LBB70_1581
.LBB70_1577:
	s_andn2_saveexec_b64 s[4:5], s[4:5]
	s_cbranch_execz .LBB70_1559
.LBB70_1578:
	v_cmp_ne_u16_e32 vcc, 0, v1
	s_andn2_b64 s[18:19], s[18:19], exec
	s_and_b64 s[20:21], vcc, exec
	s_or_b64 s[18:19], s[18:19], s[20:21]
	s_or_b64 exec, exec, s[4:5]
	v_mov_b32_e32 v0, 0
	s_and_saveexec_b64 s[4:5], s[18:19]
	s_cbranch_execnz .LBB70_1560
	s_branch .LBB70_1561
.LBB70_1579:
	s_mov_b64 s[0:1], -1
                                        ; implicit-def: $vgpr0
.LBB70_1580:
	s_mov_b64 s[18:19], 0
.LBB70_1581:
	s_and_b64 vcc, exec, s[18:19]
	s_cbranch_vccz .LBB70_1583
; %bb.1582:
	s_cmp_lg_u32 s22, 11
	s_mov_b64 s[4:5], -1
	s_cselect_b64 s[0:1], -1, 0
.LBB70_1583:
	s_and_b64 vcc, exec, s[0:1]
	s_mov_b64 s[18:19], s[16:17]
	s_cbranch_vccnz .LBB70_1644
; %bb.1584:
	s_andn2_b64 vcc, exec, s[4:5]
	s_cbranch_vccnz .LBB70_1586
.LBB70_1585:
	global_load_ubyte v0, v[2:3], off
	s_mov_b64 s[20:21], -1
	s_waitcnt vmcnt(0)
	v_cmp_ne_u16_e32 vcc, 0, v0
	v_cndmask_b32_e64 v0, 0, 1, vcc
.LBB70_1586:
	s_branch .LBB70_1521
.LBB70_1587:
	s_and_b32 s4, 0xffff, s24
	s_cmp_lt_i32 s4, 5
	s_cbranch_scc1 .LBB70_1592
; %bb.1588:
	s_cmp_lt_i32 s4, 8
	s_cbranch_scc1 .LBB70_1593
; %bb.1589:
	;; [unrolled: 3-line block ×3, first 2 shown]
	s_cmp_gt_i32 s4, 9
	s_cbranch_scc0 .LBB70_1595
; %bb.1591:
	global_load_dwordx2 v[0:1], v[2:3], off
	s_mov_b64 s[0:1], 0
	s_waitcnt vmcnt(0)
	v_cvt_i32_f64_e32 v0, v[0:1]
	s_branch .LBB70_1596
.LBB70_1592:
                                        ; implicit-def: $vgpr0
	s_branch .LBB70_1613
.LBB70_1593:
                                        ; implicit-def: $vgpr0
	s_branch .LBB70_1602
.LBB70_1594:
	s_mov_b64 s[0:1], -1
                                        ; implicit-def: $vgpr0
	s_branch .LBB70_1599
.LBB70_1595:
	s_mov_b64 s[0:1], -1
                                        ; implicit-def: $vgpr0
.LBB70_1596:
	s_andn2_b64 vcc, exec, s[0:1]
	s_cbranch_vccnz .LBB70_1598
; %bb.1597:
	global_load_dword v0, v[2:3], off
	s_waitcnt vmcnt(0)
	v_cvt_i32_f32_e32 v0, v0
.LBB70_1598:
	s_mov_b64 s[0:1], 0
.LBB70_1599:
	s_andn2_b64 vcc, exec, s[0:1]
	s_cbranch_vccnz .LBB70_1601
; %bb.1600:
	global_load_dword v0, v[2:3], off
	s_waitcnt vmcnt(0)
	v_cvt_i16_f16_e32 v0, v0
.LBB70_1601:
	s_cbranch_execnz .LBB70_1612
.LBB70_1602:
	s_cmp_lt_i32 s4, 6
	s_cbranch_scc1 .LBB70_1605
; %bb.1603:
	s_cmp_gt_i32 s4, 6
	s_cbranch_scc0 .LBB70_1606
; %bb.1604:
	global_load_dwordx2 v[0:1], v[2:3], off
	s_mov_b64 s[0:1], 0
	s_waitcnt vmcnt(0)
	v_cvt_i32_f64_e32 v0, v[0:1]
	s_branch .LBB70_1607
.LBB70_1605:
	s_mov_b64 s[0:1], -1
                                        ; implicit-def: $vgpr0
	s_branch .LBB70_1610
.LBB70_1606:
	s_mov_b64 s[0:1], -1
                                        ; implicit-def: $vgpr0
.LBB70_1607:
	s_andn2_b64 vcc, exec, s[0:1]
	s_cbranch_vccnz .LBB70_1609
; %bb.1608:
	global_load_dword v0, v[2:3], off
	s_waitcnt vmcnt(0)
	v_cvt_i32_f32_e32 v0, v0
.LBB70_1609:
	s_mov_b64 s[0:1], 0
.LBB70_1610:
	s_andn2_b64 vcc, exec, s[0:1]
	s_cbranch_vccnz .LBB70_1612
; %bb.1611:
	global_load_ushort v0, v[2:3], off
	s_waitcnt vmcnt(0)
	v_cvt_i16_f16_e32 v0, v0
.LBB70_1612:
	s_cbranch_execnz .LBB70_1631
.LBB70_1613:
	s_cmp_lt_i32 s4, 2
	s_cbranch_scc1 .LBB70_1617
; %bb.1614:
	s_cmp_lt_i32 s4, 3
	s_cbranch_scc1 .LBB70_1618
; %bb.1615:
	s_cmp_gt_i32 s4, 3
	s_cbranch_scc0 .LBB70_1619
; %bb.1616:
	global_load_dwordx2 v[0:1], v[2:3], off
	s_mov_b64 s[0:1], 0
	s_branch .LBB70_1620
.LBB70_1617:
                                        ; implicit-def: $vgpr0
	s_branch .LBB70_1626
.LBB70_1618:
	s_mov_b64 s[0:1], -1
                                        ; implicit-def: $vgpr0
	s_branch .LBB70_1623
.LBB70_1619:
	s_mov_b64 s[0:1], -1
                                        ; implicit-def: $vgpr0
.LBB70_1620:
	s_andn2_b64 vcc, exec, s[0:1]
	s_cbranch_vccnz .LBB70_1622
; %bb.1621:
	global_load_dword v0, v[2:3], off
.LBB70_1622:
	s_mov_b64 s[0:1], 0
.LBB70_1623:
	s_andn2_b64 vcc, exec, s[0:1]
	s_cbranch_vccnz .LBB70_1625
; %bb.1624:
	global_load_ushort v0, v[2:3], off
.LBB70_1625:
	s_cbranch_execnz .LBB70_1631
.LBB70_1626:
	s_cmp_gt_i32 s4, 0
	s_cbranch_scc0 .LBB70_1628
; %bb.1627:
	global_load_sbyte v0, v[2:3], off
	s_mov_b64 s[0:1], 0
	s_branch .LBB70_1629
.LBB70_1628:
	s_mov_b64 s[0:1], -1
                                        ; implicit-def: $vgpr0
.LBB70_1629:
	s_andn2_b64 vcc, exec, s[0:1]
	s_cbranch_vccnz .LBB70_1631
; %bb.1630:
	global_load_ubyte v0, v[2:3], off
.LBB70_1631:
.LBB70_1632:
	v_mul_lo_u32 v6, s14, v14
	v_mov_b32_e32 v2, s3
	s_and_b32 s25, s56, 0xff
	s_cmp_lt_i32 s25, 11
	v_ashrrev_i32_e32 v3, 31, v6
	s_waitcnt vmcnt(0)
	v_add_co_u32_e32 v1, vcc, s2, v6
	v_addc_co_u32_e32 v2, vcc, v2, v3, vcc
	s_cbranch_scc1 .LBB70_1639
; %bb.1633:
	s_and_b32 s26, 0xffff, s25
	s_cmp_gt_i32 s26, 25
	s_mov_b64 s[4:5], 0
	s_cbranch_scc0 .LBB70_1641
; %bb.1634:
	s_cmp_gt_i32 s26, 28
	s_cbranch_scc0 .LBB70_1642
; %bb.1635:
	s_cmp_gt_i32 s26, 43
	;; [unrolled: 3-line block ×3, first 2 shown]
	s_cbranch_scc0 .LBB70_1645
; %bb.1637:
	s_cmp_eq_u32 s26, 46
	s_mov_b64 s[22:23], 0
	s_cbranch_scc0 .LBB70_1648
; %bb.1638:
	global_load_dword v3, v[1:2], off
	s_mov_b64 s[0:1], 0
	s_mov_b64 s[20:21], -1
	s_waitcnt vmcnt(0)
	v_lshlrev_b32_e32 v3, 16, v3
	v_cvt_i32_f32_e32 v3, v3
	s_branch .LBB70_1649
.LBB70_1639:
	s_mov_b64 s[20:21], 0
                                        ; implicit-def: $vgpr3
	s_cbranch_execnz .LBB70_1710
.LBB70_1640:
	s_andn2_b64 vcc, exec, s[20:21]
	s_cbranch_vccnz .LBB70_2947
	s_branch .LBB70_1757
.LBB70_1641:
	s_mov_b64 s[20:21], 0
	s_mov_b64 s[0:1], 0
                                        ; implicit-def: $vgpr3
	s_cbranch_execnz .LBB70_1676
	s_branch .LBB70_1706
.LBB70_1642:
	s_mov_b64 s[22:23], -1
	s_mov_b64 s[20:21], 0
	s_mov_b64 s[0:1], 0
                                        ; implicit-def: $vgpr3
	s_branch .LBB70_1659
.LBB70_1643:
	s_mov_b64 s[22:23], -1
	s_mov_b64 s[20:21], 0
	s_mov_b64 s[0:1], 0
                                        ; implicit-def: $vgpr3
	s_branch .LBB70_1654
.LBB70_1644:
	s_or_b64 s[18:19], s[16:17], exec
	s_trap 2
	s_cbranch_execz .LBB70_1585
	s_branch .LBB70_1586
.LBB70_1645:
	s_mov_b64 s[22:23], -1
	s_mov_b64 s[20:21], 0
	s_mov_b64 s[0:1], 0
                                        ; implicit-def: $vgpr3
	s_branch .LBB70_1649
.LBB70_1646:
	s_andn2_saveexec_b64 s[30:31], s[30:31]
	s_cbranch_execz .LBB70_1433
.LBB70_1647:
	v_add_f32_e32 v0, 0x42800000, v3
	v_and_b32_e32 v0, 0xff, v0
	v_cmp_ne_u32_e32 vcc, 0, v0
	s_andn2_b64 s[28:29], s[28:29], exec
	s_and_b64 s[36:37], vcc, exec
	s_or_b64 s[28:29], s[28:29], s[36:37]
	s_or_b64 exec, exec, s[30:31]
	v_mov_b32_e32 v4, 0
	s_and_saveexec_b64 s[30:31], s[28:29]
	s_cbranch_execnz .LBB70_1434
	s_branch .LBB70_1435
.LBB70_1648:
	s_mov_b64 s[0:1], -1
                                        ; implicit-def: $vgpr3
	s_mov_b64 s[20:21], 0
.LBB70_1649:
	s_and_b64 vcc, exec, s[22:23]
	s_cbranch_vccz .LBB70_1653
; %bb.1650:
	s_cmp_eq_u32 s26, 44
	s_cbranch_scc0 .LBB70_1652
; %bb.1651:
	global_load_ubyte v3, v[1:2], off
	s_mov_b64 s[0:1], 0
	s_mov_b64 s[20:21], -1
	s_waitcnt vmcnt(0)
	v_lshlrev_b32_e32 v4, 23, v3
	v_cvt_i32_f32_e32 v4, v4
	v_cmp_ne_u32_e32 vcc, 0, v3
	v_cndmask_b32_e32 v3, 0, v4, vcc
	s_branch .LBB70_1653
.LBB70_1652:
	s_mov_b64 s[0:1], -1
                                        ; implicit-def: $vgpr3
.LBB70_1653:
	s_mov_b64 s[22:23], 0
.LBB70_1654:
	s_and_b64 vcc, exec, s[22:23]
	s_cbranch_vccz .LBB70_1658
; %bb.1655:
	s_cmp_eq_u32 s26, 29
	s_cbranch_scc0 .LBB70_1657
; %bb.1656:
	global_load_dwordx2 v[3:4], v[1:2], off
	s_mov_b64 s[0:1], 0
	s_mov_b64 s[20:21], -1
	s_branch .LBB70_1658
.LBB70_1657:
	s_mov_b64 s[0:1], -1
                                        ; implicit-def: $vgpr3
.LBB70_1658:
	s_mov_b64 s[22:23], 0
.LBB70_1659:
	s_and_b64 vcc, exec, s[22:23]
	s_cbranch_vccz .LBB70_1675
; %bb.1660:
	s_cmp_lt_i32 s26, 27
	s_cbranch_scc1 .LBB70_1663
; %bb.1661:
	s_cmp_gt_i32 s26, 27
	s_cbranch_scc0 .LBB70_1664
; %bb.1662:
	global_load_dword v3, v[1:2], off
	s_mov_b64 s[20:21], 0
	s_branch .LBB70_1665
.LBB70_1663:
	s_mov_b64 s[20:21], -1
                                        ; implicit-def: $vgpr3
	s_branch .LBB70_1668
.LBB70_1664:
	s_mov_b64 s[20:21], -1
                                        ; implicit-def: $vgpr3
.LBB70_1665:
	s_andn2_b64 vcc, exec, s[20:21]
	s_cbranch_vccnz .LBB70_1667
; %bb.1666:
	global_load_ushort v3, v[1:2], off
.LBB70_1667:
	s_mov_b64 s[20:21], 0
.LBB70_1668:
	s_andn2_b64 vcc, exec, s[20:21]
	s_cbranch_vccnz .LBB70_1674
; %bb.1669:
	global_load_ubyte v4, v[1:2], off
	s_movk_i32 s20, 0x7f
	s_mov_b64 s[22:23], 0
	s_waitcnt vmcnt(0)
	v_cmp_lt_i16_e32 vcc, s20, v4
	s_and_saveexec_b64 s[20:21], vcc
	s_xor_b64 s[20:21], exec, s[20:21]
	s_cbranch_execz .LBB70_1685
; %bb.1670:
	s_movk_i32 s22, 0x80
	v_cmp_ne_u16_e32 vcc, s22, v4
	s_and_b64 s[22:23], vcc, exec
	s_andn2_saveexec_b64 s[20:21], s[20:21]
	s_cbranch_execnz .LBB70_1686
.LBB70_1671:
	s_or_b64 exec, exec, s[20:21]
	v_mov_b32_e32 v3, 0
	s_and_saveexec_b64 s[20:21], s[22:23]
	s_cbranch_execz .LBB70_1673
.LBB70_1672:
	v_lshlrev_b32_e32 v3, 24, v4
	v_and_b32_e32 v4, 0xffff, v4
	v_and_b32_e32 v7, 7, v4
	v_ffbh_u32_e32 v9, v7
	v_min_u32_e32 v9, 32, v9
	v_subrev_u32_e32 v10, 28, v9
	v_bfe_u32 v8, v4, 3, 4
	v_lshlrev_b32_e32 v4, v10, v4
	v_sub_u32_e32 v9, 29, v9
	v_and_b32_e32 v4, 7, v4
	v_cmp_eq_u32_e32 vcc, 0, v8
	v_cndmask_b32_e32 v8, v8, v9, vcc
	v_cndmask_b32_e32 v4, v7, v4, vcc
	v_mov_b32_e32 v7, 0x3b800000
	v_lshlrev_b32_e32 v4, 20, v4
	v_and_b32_e32 v3, 0x80000000, v3
	v_lshl_add_u32 v7, v8, 23, v7
	v_or3_b32 v3, v3, v7, v4
	v_cvt_i32_f32_e32 v3, v3
.LBB70_1673:
	s_or_b64 exec, exec, s[20:21]
.LBB70_1674:
	s_mov_b64 s[20:21], -1
.LBB70_1675:
	s_branch .LBB70_1706
.LBB70_1676:
	s_cmp_gt_i32 s26, 22
	s_cbranch_scc0 .LBB70_1684
; %bb.1677:
	s_cmp_lt_i32 s26, 24
	s_cbranch_scc1 .LBB70_1687
; %bb.1678:
	s_cmp_gt_i32 s26, 24
	s_cbranch_scc0 .LBB70_1688
; %bb.1679:
	global_load_ubyte v4, v[1:2], off
	s_movk_i32 s4, 0x7f
	s_mov_b64 s[20:21], 0
	s_waitcnt vmcnt(0)
	v_cmp_lt_i16_e32 vcc, s4, v4
	s_and_saveexec_b64 s[4:5], vcc
	s_xor_b64 s[4:5], exec, s[4:5]
	s_cbranch_execz .LBB70_1700
; %bb.1680:
	s_movk_i32 s20, 0x80
	v_cmp_ne_u16_e32 vcc, s20, v4
	s_and_b64 s[20:21], vcc, exec
	s_andn2_saveexec_b64 s[4:5], s[4:5]
	s_cbranch_execnz .LBB70_1701
.LBB70_1681:
	s_or_b64 exec, exec, s[4:5]
	v_mov_b32_e32 v3, 0
	s_and_saveexec_b64 s[4:5], s[20:21]
	s_cbranch_execz .LBB70_1683
.LBB70_1682:
	v_lshlrev_b32_e32 v3, 24, v4
	v_and_b32_e32 v4, 0xffff, v4
	v_and_b32_e32 v7, 3, v4
	v_ffbh_u32_e32 v9, v7
	v_min_u32_e32 v9, 32, v9
	v_subrev_u32_e32 v10, 29, v9
	v_bfe_u32 v8, v4, 2, 5
	v_lshlrev_b32_e32 v4, v10, v4
	v_sub_u32_e32 v9, 30, v9
	v_and_b32_e32 v4, 3, v4
	v_cmp_eq_u32_e32 vcc, 0, v8
	v_cndmask_b32_e32 v8, v8, v9, vcc
	v_cndmask_b32_e32 v4, v7, v4, vcc
	v_mov_b32_e32 v7, 0x37800000
	v_lshlrev_b32_e32 v4, 21, v4
	v_and_b32_e32 v3, 0x80000000, v3
	v_lshl_add_u32 v7, v8, 23, v7
	v_or3_b32 v3, v3, v7, v4
	v_cvt_i32_f32_e32 v3, v3
.LBB70_1683:
	s_or_b64 exec, exec, s[4:5]
	s_mov_b64 s[4:5], 0
	s_branch .LBB70_1689
.LBB70_1684:
	s_mov_b64 s[4:5], -1
                                        ; implicit-def: $vgpr3
	s_branch .LBB70_1695
.LBB70_1685:
	s_andn2_saveexec_b64 s[20:21], s[20:21]
	s_cbranch_execz .LBB70_1671
.LBB70_1686:
	v_cmp_ne_u16_e32 vcc, 0, v4
	s_andn2_b64 s[22:23], s[22:23], exec
	s_and_b64 s[28:29], vcc, exec
	s_or_b64 s[22:23], s[22:23], s[28:29]
	s_or_b64 exec, exec, s[20:21]
	v_mov_b32_e32 v3, 0
	s_and_saveexec_b64 s[20:21], s[22:23]
	s_cbranch_execnz .LBB70_1672
	s_branch .LBB70_1673
.LBB70_1687:
	s_mov_b64 s[4:5], -1
                                        ; implicit-def: $vgpr3
	s_branch .LBB70_1692
.LBB70_1688:
	s_mov_b64 s[4:5], -1
                                        ; implicit-def: $vgpr3
.LBB70_1689:
	s_and_b64 vcc, exec, s[4:5]
	s_cbranch_vccz .LBB70_1691
; %bb.1690:
	global_load_ubyte v3, v[1:2], off
	s_mov_b32 s4, 0x7f800000
	s_waitcnt vmcnt(0)
	v_lshlrev_b32_e32 v3, 24, v3
	v_and_b32_e32 v4, 0x7f000000, v3
	v_ffbh_u32_e32 v7, v4
	v_min_u32_e32 v7, 32, v7
	v_sub_u32_e64 v7, v7, 4 clamp
	v_lshlrev_b32_e32 v9, v7, v4
	v_lshlrev_b32_e32 v7, 23, v7
	v_lshrrev_b32_e32 v9, 4, v9
	v_add_u32_e32 v8, 0x1000000, v4
	v_sub_u32_e32 v7, v9, v7
	v_ashrrev_i32_e32 v8, 8, v8
	v_add_u32_e32 v7, 0x3c000000, v7
	v_and_or_b32 v7, v8, s4, v7
	v_cmp_ne_u32_e32 vcc, 0, v4
	v_cndmask_b32_e32 v4, 0, v7, vcc
	s_brev_b32 s4, 1
	v_and_or_b32 v3, v3, s4, v4
	v_cvt_i32_f32_e32 v3, v3
.LBB70_1691:
	s_mov_b64 s[4:5], 0
.LBB70_1692:
	s_andn2_b64 vcc, exec, s[4:5]
	s_cbranch_vccnz .LBB70_1694
; %bb.1693:
	global_load_ubyte v3, v[1:2], off
	s_movk_i32 s4, 0x7f00
	s_brev_b32 s5, 16
	s_waitcnt vmcnt(0)
	v_lshlrev_b16_e32 v4, 8, v3
	v_lshlrev_b32_e32 v3, 25, v3
	v_lshrrev_b32_e32 v7, 4, v3
	v_and_or_b32 v8, v4, s4, 0.5
	v_or_b32_e32 v7, 0x70000000, v7
	v_add_f32_e32 v8, -0.5, v8
	v_mul_f32_e32 v7, 0x7800000, v7
	v_cmp_gt_u32_e32 vcc, s5, v3
	v_bfe_i32 v4, v4, 0, 16
	v_cndmask_b32_e32 v3, v7, v8, vcc
	s_brev_b32 s4, 1
	v_and_or_b32 v3, v4, s4, v3
	v_cvt_i32_f32_e32 v3, v3
.LBB70_1694:
	s_mov_b64 s[4:5], 0
	s_mov_b64 s[20:21], -1
.LBB70_1695:
	s_andn2_b64 vcc, exec, s[4:5]
	s_mov_b64 s[4:5], 0
	s_cbranch_vccnz .LBB70_1706
; %bb.1696:
	s_cmp_gt_i32 s26, 14
	s_cbranch_scc0 .LBB70_1699
; %bb.1697:
	s_cmp_eq_u32 s26, 15
	s_cbranch_scc0 .LBB70_1702
; %bb.1698:
	global_load_ushort v3, v[1:2], off
	s_mov_b64 s[0:1], 0
	s_mov_b64 s[20:21], -1
	s_waitcnt vmcnt(0)
	v_lshlrev_b32_e32 v3, 16, v3
	v_cvt_i32_f32_e32 v3, v3
	s_branch .LBB70_1703
.LBB70_1699:
	s_mov_b64 s[22:23], -1
                                        ; implicit-def: $vgpr3
	s_branch .LBB70_1704
.LBB70_1700:
	s_andn2_saveexec_b64 s[4:5], s[4:5]
	s_cbranch_execz .LBB70_1681
.LBB70_1701:
	v_cmp_ne_u16_e32 vcc, 0, v4
	s_andn2_b64 s[20:21], s[20:21], exec
	s_and_b64 s[22:23], vcc, exec
	s_or_b64 s[20:21], s[20:21], s[22:23]
	s_or_b64 exec, exec, s[4:5]
	v_mov_b32_e32 v3, 0
	s_and_saveexec_b64 s[4:5], s[20:21]
	s_cbranch_execnz .LBB70_1682
	s_branch .LBB70_1683
.LBB70_1702:
	s_mov_b64 s[0:1], -1
                                        ; implicit-def: $vgpr3
.LBB70_1703:
	s_mov_b64 s[22:23], 0
.LBB70_1704:
	s_and_b64 vcc, exec, s[22:23]
	s_cbranch_vccz .LBB70_1706
; %bb.1705:
	s_cmp_lg_u32 s26, 11
	s_mov_b64 s[4:5], -1
	s_cselect_b64 s[0:1], -1, 0
.LBB70_1706:
	s_and_b64 vcc, exec, s[0:1]
	s_cbranch_vccnz .LBB70_1769
; %bb.1707:
	s_andn2_b64 vcc, exec, s[4:5]
	s_cbranch_vccnz .LBB70_1709
.LBB70_1708:
	global_load_ubyte v3, v[1:2], off
	s_mov_b64 s[20:21], -1
	s_waitcnt vmcnt(0)
	v_cmp_ne_u16_e32 vcc, 0, v3
	v_cndmask_b32_e64 v3, 0, 1, vcc
.LBB70_1709:
	s_branch .LBB70_1640
.LBB70_1710:
	s_and_b32 s4, 0xffff, s25
	s_cmp_lt_i32 s4, 5
	s_cbranch_scc1 .LBB70_1715
; %bb.1711:
	s_cmp_lt_i32 s4, 8
	s_cbranch_scc1 .LBB70_1716
; %bb.1712:
	;; [unrolled: 3-line block ×3, first 2 shown]
	s_cmp_gt_i32 s4, 9
	s_cbranch_scc0 .LBB70_1718
; %bb.1714:
	global_load_dwordx2 v[3:4], v[1:2], off
	s_mov_b64 s[0:1], 0
	s_waitcnt vmcnt(0)
	v_cvt_i32_f64_e32 v3, v[3:4]
	s_branch .LBB70_1719
.LBB70_1715:
                                        ; implicit-def: $vgpr3
	s_branch .LBB70_1737
.LBB70_1716:
	s_mov_b64 s[0:1], -1
                                        ; implicit-def: $vgpr3
	s_branch .LBB70_1725
.LBB70_1717:
	s_mov_b64 s[0:1], -1
                                        ; implicit-def: $vgpr3
	s_branch .LBB70_1722
.LBB70_1718:
	s_mov_b64 s[0:1], -1
                                        ; implicit-def: $vgpr3
.LBB70_1719:
	s_andn2_b64 vcc, exec, s[0:1]
	s_cbranch_vccnz .LBB70_1721
; %bb.1720:
	global_load_dword v3, v[1:2], off
	s_waitcnt vmcnt(0)
	v_cvt_i32_f32_e32 v3, v3
.LBB70_1721:
	s_mov_b64 s[0:1], 0
.LBB70_1722:
	s_andn2_b64 vcc, exec, s[0:1]
	s_cbranch_vccnz .LBB70_1724
; %bb.1723:
	global_load_dword v3, v[1:2], off
	s_waitcnt vmcnt(0)
	v_cvt_i16_f16_e32 v3, v3
.LBB70_1724:
	s_mov_b64 s[0:1], 0
.LBB70_1725:
	s_andn2_b64 vcc, exec, s[0:1]
	s_cbranch_vccnz .LBB70_1736
; %bb.1726:
	s_cmp_lt_i32 s4, 6
	s_cbranch_scc1 .LBB70_1729
; %bb.1727:
	s_cmp_gt_i32 s4, 6
	s_cbranch_scc0 .LBB70_1730
; %bb.1728:
	global_load_dwordx2 v[3:4], v[1:2], off
	s_mov_b64 s[0:1], 0
	s_waitcnt vmcnt(0)
	v_cvt_i32_f64_e32 v3, v[3:4]
	s_branch .LBB70_1731
.LBB70_1729:
	s_mov_b64 s[0:1], -1
                                        ; implicit-def: $vgpr3
	s_branch .LBB70_1734
.LBB70_1730:
	s_mov_b64 s[0:1], -1
                                        ; implicit-def: $vgpr3
.LBB70_1731:
	s_andn2_b64 vcc, exec, s[0:1]
	s_cbranch_vccnz .LBB70_1733
; %bb.1732:
	global_load_dword v3, v[1:2], off
	s_waitcnt vmcnt(0)
	v_cvt_i32_f32_e32 v3, v3
.LBB70_1733:
	s_mov_b64 s[0:1], 0
.LBB70_1734:
	s_andn2_b64 vcc, exec, s[0:1]
	s_cbranch_vccnz .LBB70_1736
; %bb.1735:
	global_load_ushort v3, v[1:2], off
	s_waitcnt vmcnt(0)
	v_cvt_i16_f16_e32 v3, v3
.LBB70_1736:
	s_cbranch_execnz .LBB70_1756
.LBB70_1737:
	s_cmp_lt_i32 s4, 2
	s_cbranch_scc1 .LBB70_1741
; %bb.1738:
	s_cmp_lt_i32 s4, 3
	s_cbranch_scc1 .LBB70_1742
; %bb.1739:
	s_cmp_gt_i32 s4, 3
	s_cbranch_scc0 .LBB70_1743
; %bb.1740:
	global_load_dwordx2 v[3:4], v[1:2], off
	s_mov_b64 s[0:1], 0
	s_branch .LBB70_1744
.LBB70_1741:
	s_mov_b64 s[0:1], -1
                                        ; implicit-def: $vgpr3
	s_branch .LBB70_1750
.LBB70_1742:
	s_mov_b64 s[0:1], -1
                                        ; implicit-def: $vgpr3
	s_branch .LBB70_1747
.LBB70_1743:
	s_mov_b64 s[0:1], -1
                                        ; implicit-def: $vgpr3
.LBB70_1744:
	s_andn2_b64 vcc, exec, s[0:1]
	s_cbranch_vccnz .LBB70_1746
; %bb.1745:
	global_load_dword v3, v[1:2], off
.LBB70_1746:
	s_mov_b64 s[0:1], 0
.LBB70_1747:
	s_andn2_b64 vcc, exec, s[0:1]
	s_cbranch_vccnz .LBB70_1749
; %bb.1748:
	global_load_ushort v3, v[1:2], off
.LBB70_1749:
	s_mov_b64 s[0:1], 0
.LBB70_1750:
	s_andn2_b64 vcc, exec, s[0:1]
	s_cbranch_vccnz .LBB70_1756
; %bb.1751:
	s_cmp_gt_i32 s4, 0
	s_cbranch_scc0 .LBB70_1753
; %bb.1752:
	global_load_sbyte v3, v[1:2], off
	s_mov_b64 s[0:1], 0
	s_branch .LBB70_1754
.LBB70_1753:
	s_mov_b64 s[0:1], -1
                                        ; implicit-def: $vgpr3
.LBB70_1754:
	s_andn2_b64 vcc, exec, s[0:1]
	s_cbranch_vccnz .LBB70_1756
; %bb.1755:
	global_load_ubyte v3, v[1:2], off
.LBB70_1756:
.LBB70_1757:
	s_lshl_b32 s13, s13, 7
	v_add_u32_e32 v8, s13, v5
	v_ashrrev_i32_e32 v1, 31, v8
	v_mov_b32_e32 v2, s11
	s_waitcnt vmcnt(0)
	v_add_co_u32_e32 v4, vcc, s10, v8
	s_cmp_lt_i32 s24, 11
	v_addc_co_u32_e32 v5, vcc, v2, v1, vcc
	s_cbranch_scc1 .LBB70_1764
; %bb.1758:
	s_and_b32 s26, 0xffff, s24
	s_cmp_gt_i32 s26, 25
	s_mov_b64 s[4:5], 0
	s_cbranch_scc0 .LBB70_1766
; %bb.1759:
	s_cmp_gt_i32 s26, 28
	s_cbranch_scc0 .LBB70_1767
; %bb.1760:
	s_cmp_gt_i32 s26, 43
	;; [unrolled: 3-line block ×3, first 2 shown]
	s_cbranch_scc0 .LBB70_1770
; %bb.1762:
	s_cmp_eq_u32 s26, 46
	s_mov_b64 s[22:23], 0
	s_cbranch_scc0 .LBB70_1771
; %bb.1763:
	global_load_dword v1, v[4:5], off
	s_mov_b64 s[0:1], 0
	s_mov_b64 s[20:21], -1
	s_waitcnt vmcnt(0)
	v_lshlrev_b32_e32 v1, 16, v1
	v_cvt_i32_f32_e32 v1, v1
	s_branch .LBB70_1772
.LBB70_1764:
	s_mov_b64 s[20:21], 0
                                        ; implicit-def: $vgpr1
	s_cbranch_execnz .LBB70_1834
.LBB70_1765:
	s_andn2_b64 vcc, exec, s[20:21]
	s_cbranch_vccnz .LBB70_2947
	s_branch .LBB70_1882
.LBB70_1766:
	s_mov_b64 s[22:23], -1
	s_mov_b64 s[20:21], 0
	s_mov_b64 s[0:1], 0
                                        ; implicit-def: $vgpr1
	s_branch .LBB70_1799
.LBB70_1767:
	s_mov_b64 s[22:23], -1
	s_mov_b64 s[20:21], 0
	s_mov_b64 s[0:1], 0
                                        ; implicit-def: $vgpr1
	s_branch .LBB70_1782
.LBB70_1768:
	s_mov_b64 s[22:23], -1
	s_mov_b64 s[20:21], 0
	s_mov_b64 s[0:1], 0
                                        ; implicit-def: $vgpr1
	s_branch .LBB70_1777
.LBB70_1769:
	s_trap 2
	s_or_b64 s[18:19], s[18:19], exec
	s_cbranch_execz .LBB70_1708
	s_branch .LBB70_1709
.LBB70_1770:
	s_mov_b64 s[22:23], -1
	s_mov_b64 s[20:21], 0
	s_mov_b64 s[0:1], 0
                                        ; implicit-def: $vgpr1
	s_branch .LBB70_1772
.LBB70_1771:
	s_mov_b64 s[0:1], -1
                                        ; implicit-def: $vgpr1
	s_mov_b64 s[20:21], 0
.LBB70_1772:
	s_and_b64 vcc, exec, s[22:23]
	s_cbranch_vccz .LBB70_1776
; %bb.1773:
	s_cmp_eq_u32 s26, 44
	s_cbranch_scc0 .LBB70_1775
; %bb.1774:
	global_load_ubyte v1, v[4:5], off
	s_mov_b64 s[0:1], 0
	s_mov_b64 s[20:21], -1
	s_waitcnt vmcnt(0)
	v_lshlrev_b32_e32 v2, 23, v1
	v_cvt_i32_f32_e32 v2, v2
	v_cmp_ne_u32_e32 vcc, 0, v1
	v_cndmask_b32_e32 v1, 0, v2, vcc
	s_branch .LBB70_1776
.LBB70_1775:
	s_mov_b64 s[0:1], -1
                                        ; implicit-def: $vgpr1
.LBB70_1776:
	s_mov_b64 s[22:23], 0
.LBB70_1777:
	s_and_b64 vcc, exec, s[22:23]
	s_cbranch_vccz .LBB70_1781
; %bb.1778:
	s_cmp_eq_u32 s26, 29
	s_cbranch_scc0 .LBB70_1780
; %bb.1779:
	global_load_dwordx2 v[1:2], v[4:5], off
	s_mov_b64 s[0:1], 0
	s_mov_b64 s[20:21], -1
	s_branch .LBB70_1781
.LBB70_1780:
	s_mov_b64 s[0:1], -1
                                        ; implicit-def: $vgpr1
.LBB70_1781:
	s_mov_b64 s[22:23], 0
.LBB70_1782:
	s_and_b64 vcc, exec, s[22:23]
	s_cbranch_vccz .LBB70_1798
; %bb.1783:
	s_cmp_lt_i32 s26, 27
	s_cbranch_scc1 .LBB70_1786
; %bb.1784:
	s_cmp_gt_i32 s26, 27
	s_cbranch_scc0 .LBB70_1787
; %bb.1785:
	global_load_dword v1, v[4:5], off
	s_mov_b64 s[20:21], 0
	s_branch .LBB70_1788
.LBB70_1786:
	s_mov_b64 s[20:21], -1
                                        ; implicit-def: $vgpr1
	s_branch .LBB70_1791
.LBB70_1787:
	s_mov_b64 s[20:21], -1
                                        ; implicit-def: $vgpr1
.LBB70_1788:
	s_andn2_b64 vcc, exec, s[20:21]
	s_cbranch_vccnz .LBB70_1790
; %bb.1789:
	global_load_ushort v1, v[4:5], off
.LBB70_1790:
	s_mov_b64 s[20:21], 0
.LBB70_1791:
	s_andn2_b64 vcc, exec, s[20:21]
	s_cbranch_vccnz .LBB70_1797
; %bb.1792:
	global_load_ubyte v2, v[4:5], off
	s_movk_i32 s20, 0x7f
	s_mov_b64 s[22:23], 0
	s_waitcnt vmcnt(0)
	v_cmp_lt_i16_e32 vcc, s20, v2
	s_and_saveexec_b64 s[20:21], vcc
	s_xor_b64 s[20:21], exec, s[20:21]
	s_cbranch_execz .LBB70_1809
; %bb.1793:
	s_movk_i32 s22, 0x80
	v_cmp_ne_u16_e32 vcc, s22, v2
	s_and_b64 s[22:23], vcc, exec
	s_andn2_saveexec_b64 s[20:21], s[20:21]
	s_cbranch_execnz .LBB70_1810
.LBB70_1794:
	s_or_b64 exec, exec, s[20:21]
	v_mov_b32_e32 v1, 0
	s_and_saveexec_b64 s[20:21], s[22:23]
	s_cbranch_execz .LBB70_1796
.LBB70_1795:
	v_lshlrev_b32_e32 v1, 24, v2
	v_and_b32_e32 v2, 0xffff, v2
	v_and_b32_e32 v7, 7, v2
	v_ffbh_u32_e32 v10, v7
	v_min_u32_e32 v10, 32, v10
	v_subrev_u32_e32 v11, 28, v10
	v_bfe_u32 v9, v2, 3, 4
	v_lshlrev_b32_e32 v2, v11, v2
	v_sub_u32_e32 v10, 29, v10
	v_and_b32_e32 v2, 7, v2
	v_cmp_eq_u32_e32 vcc, 0, v9
	v_cndmask_b32_e32 v9, v9, v10, vcc
	v_cndmask_b32_e32 v2, v7, v2, vcc
	v_mov_b32_e32 v7, 0x3b800000
	v_lshlrev_b32_e32 v2, 20, v2
	v_and_b32_e32 v1, 0x80000000, v1
	v_lshl_add_u32 v7, v9, 23, v7
	v_or3_b32 v1, v1, v7, v2
	v_cvt_i32_f32_e32 v1, v1
.LBB70_1796:
	s_or_b64 exec, exec, s[20:21]
.LBB70_1797:
	s_mov_b64 s[20:21], -1
.LBB70_1798:
	s_mov_b64 s[22:23], 0
.LBB70_1799:
	s_and_b64 vcc, exec, s[22:23]
	s_cbranch_vccz .LBB70_1830
; %bb.1800:
	s_cmp_gt_i32 s26, 22
	s_cbranch_scc0 .LBB70_1808
; %bb.1801:
	s_cmp_lt_i32 s26, 24
	s_cbranch_scc1 .LBB70_1811
; %bb.1802:
	s_cmp_gt_i32 s26, 24
	s_cbranch_scc0 .LBB70_1812
; %bb.1803:
	global_load_ubyte v2, v[4:5], off
	s_movk_i32 s4, 0x7f
	s_mov_b64 s[20:21], 0
	s_waitcnt vmcnt(0)
	v_cmp_lt_i16_e32 vcc, s4, v2
	s_and_saveexec_b64 s[4:5], vcc
	s_xor_b64 s[4:5], exec, s[4:5]
	s_cbranch_execz .LBB70_1824
; %bb.1804:
	s_movk_i32 s20, 0x80
	v_cmp_ne_u16_e32 vcc, s20, v2
	s_and_b64 s[20:21], vcc, exec
	s_andn2_saveexec_b64 s[4:5], s[4:5]
	s_cbranch_execnz .LBB70_1825
.LBB70_1805:
	s_or_b64 exec, exec, s[4:5]
	v_mov_b32_e32 v1, 0
	s_and_saveexec_b64 s[4:5], s[20:21]
	s_cbranch_execz .LBB70_1807
.LBB70_1806:
	v_lshlrev_b32_e32 v1, 24, v2
	v_and_b32_e32 v2, 0xffff, v2
	v_and_b32_e32 v7, 3, v2
	v_ffbh_u32_e32 v10, v7
	v_min_u32_e32 v10, 32, v10
	v_subrev_u32_e32 v11, 29, v10
	v_bfe_u32 v9, v2, 2, 5
	v_lshlrev_b32_e32 v2, v11, v2
	v_sub_u32_e32 v10, 30, v10
	v_and_b32_e32 v2, 3, v2
	v_cmp_eq_u32_e32 vcc, 0, v9
	v_cndmask_b32_e32 v9, v9, v10, vcc
	v_cndmask_b32_e32 v2, v7, v2, vcc
	v_mov_b32_e32 v7, 0x37800000
	v_lshlrev_b32_e32 v2, 21, v2
	v_and_b32_e32 v1, 0x80000000, v1
	v_lshl_add_u32 v7, v9, 23, v7
	v_or3_b32 v1, v1, v7, v2
	v_cvt_i32_f32_e32 v1, v1
.LBB70_1807:
	s_or_b64 exec, exec, s[4:5]
	s_mov_b64 s[4:5], 0
	s_branch .LBB70_1813
.LBB70_1808:
	s_mov_b64 s[4:5], -1
                                        ; implicit-def: $vgpr1
	s_branch .LBB70_1819
.LBB70_1809:
	s_andn2_saveexec_b64 s[20:21], s[20:21]
	s_cbranch_execz .LBB70_1794
.LBB70_1810:
	v_cmp_ne_u16_e32 vcc, 0, v2
	s_andn2_b64 s[22:23], s[22:23], exec
	s_and_b64 s[28:29], vcc, exec
	s_or_b64 s[22:23], s[22:23], s[28:29]
	s_or_b64 exec, exec, s[20:21]
	v_mov_b32_e32 v1, 0
	s_and_saveexec_b64 s[20:21], s[22:23]
	s_cbranch_execnz .LBB70_1795
	s_branch .LBB70_1796
.LBB70_1811:
	s_mov_b64 s[4:5], -1
                                        ; implicit-def: $vgpr1
	s_branch .LBB70_1816
.LBB70_1812:
	s_mov_b64 s[4:5], -1
                                        ; implicit-def: $vgpr1
.LBB70_1813:
	s_and_b64 vcc, exec, s[4:5]
	s_cbranch_vccz .LBB70_1815
; %bb.1814:
	global_load_ubyte v1, v[4:5], off
	s_mov_b32 s4, 0x7f800000
	s_waitcnt vmcnt(0)
	v_lshlrev_b32_e32 v1, 24, v1
	v_and_b32_e32 v2, 0x7f000000, v1
	v_ffbh_u32_e32 v7, v2
	v_min_u32_e32 v7, 32, v7
	v_sub_u32_e64 v7, v7, 4 clamp
	v_lshlrev_b32_e32 v10, v7, v2
	v_lshlrev_b32_e32 v7, 23, v7
	v_lshrrev_b32_e32 v10, 4, v10
	v_add_u32_e32 v9, 0x1000000, v2
	v_sub_u32_e32 v7, v10, v7
	v_ashrrev_i32_e32 v9, 8, v9
	v_add_u32_e32 v7, 0x3c000000, v7
	v_and_or_b32 v7, v9, s4, v7
	v_cmp_ne_u32_e32 vcc, 0, v2
	v_cndmask_b32_e32 v2, 0, v7, vcc
	s_brev_b32 s4, 1
	v_and_or_b32 v1, v1, s4, v2
	v_cvt_i32_f32_e32 v1, v1
.LBB70_1815:
	s_mov_b64 s[4:5], 0
.LBB70_1816:
	s_andn2_b64 vcc, exec, s[4:5]
	s_cbranch_vccnz .LBB70_1818
; %bb.1817:
	global_load_ubyte v1, v[4:5], off
	s_movk_i32 s4, 0x7f00
	s_brev_b32 s5, 16
	s_waitcnt vmcnt(0)
	v_lshlrev_b16_e32 v2, 8, v1
	v_lshlrev_b32_e32 v1, 25, v1
	v_lshrrev_b32_e32 v7, 4, v1
	v_and_or_b32 v9, v2, s4, 0.5
	v_or_b32_e32 v7, 0x70000000, v7
	v_add_f32_e32 v9, -0.5, v9
	v_mul_f32_e32 v7, 0x7800000, v7
	v_cmp_gt_u32_e32 vcc, s5, v1
	v_bfe_i32 v2, v2, 0, 16
	v_cndmask_b32_e32 v1, v7, v9, vcc
	s_brev_b32 s4, 1
	v_and_or_b32 v1, v2, s4, v1
	v_cvt_i32_f32_e32 v1, v1
.LBB70_1818:
	s_mov_b64 s[4:5], 0
	s_mov_b64 s[20:21], -1
.LBB70_1819:
	s_andn2_b64 vcc, exec, s[4:5]
	s_mov_b64 s[4:5], 0
	s_cbranch_vccnz .LBB70_1830
; %bb.1820:
	s_cmp_gt_i32 s26, 14
	s_cbranch_scc0 .LBB70_1823
; %bb.1821:
	s_cmp_eq_u32 s26, 15
	s_cbranch_scc0 .LBB70_1826
; %bb.1822:
	global_load_ushort v1, v[4:5], off
	s_mov_b64 s[0:1], 0
	s_mov_b64 s[20:21], -1
	s_waitcnt vmcnt(0)
	v_lshlrev_b32_e32 v1, 16, v1
	v_cvt_i32_f32_e32 v1, v1
	s_branch .LBB70_1827
.LBB70_1823:
	s_mov_b64 s[22:23], -1
                                        ; implicit-def: $vgpr1
	s_branch .LBB70_1828
.LBB70_1824:
	s_andn2_saveexec_b64 s[4:5], s[4:5]
	s_cbranch_execz .LBB70_1805
.LBB70_1825:
	v_cmp_ne_u16_e32 vcc, 0, v2
	s_andn2_b64 s[20:21], s[20:21], exec
	s_and_b64 s[22:23], vcc, exec
	s_or_b64 s[20:21], s[20:21], s[22:23]
	s_or_b64 exec, exec, s[4:5]
	v_mov_b32_e32 v1, 0
	s_and_saveexec_b64 s[4:5], s[20:21]
	s_cbranch_execnz .LBB70_1806
	s_branch .LBB70_1807
.LBB70_1826:
	s_mov_b64 s[0:1], -1
                                        ; implicit-def: $vgpr1
.LBB70_1827:
	s_mov_b64 s[22:23], 0
.LBB70_1828:
	s_and_b64 vcc, exec, s[22:23]
	s_cbranch_vccz .LBB70_1830
; %bb.1829:
	s_cmp_lg_u32 s26, 11
	s_mov_b64 s[4:5], -1
	s_cselect_b64 s[0:1], -1, 0
.LBB70_1830:
	s_and_b64 vcc, exec, s[0:1]
	s_cbranch_vccnz .LBB70_1893
; %bb.1831:
	s_andn2_b64 vcc, exec, s[4:5]
	s_cbranch_vccnz .LBB70_1833
.LBB70_1832:
	global_load_ubyte v1, v[4:5], off
	s_mov_b64 s[20:21], -1
	s_waitcnt vmcnt(0)
	v_cmp_ne_u16_e32 vcc, 0, v1
	v_cndmask_b32_e64 v1, 0, 1, vcc
.LBB70_1833:
	s_branch .LBB70_1765
.LBB70_1834:
	s_and_b32 s4, 0xffff, s24
	s_cmp_lt_i32 s4, 5
	s_cbranch_scc1 .LBB70_1839
; %bb.1835:
	s_cmp_lt_i32 s4, 8
	s_cbranch_scc1 .LBB70_1840
; %bb.1836:
	;; [unrolled: 3-line block ×3, first 2 shown]
	s_cmp_gt_i32 s4, 9
	s_cbranch_scc0 .LBB70_1842
; %bb.1838:
	global_load_dwordx2 v[1:2], v[4:5], off
	s_mov_b64 s[0:1], 0
	s_waitcnt vmcnt(0)
	v_cvt_i32_f64_e32 v1, v[1:2]
	s_branch .LBB70_1843
.LBB70_1839:
	s_mov_b64 s[0:1], -1
                                        ; implicit-def: $vgpr1
	s_branch .LBB70_1861
.LBB70_1840:
	s_mov_b64 s[0:1], -1
                                        ; implicit-def: $vgpr1
	s_branch .LBB70_1849
.LBB70_1841:
	s_mov_b64 s[0:1], -1
                                        ; implicit-def: $vgpr1
	s_branch .LBB70_1846
.LBB70_1842:
	s_mov_b64 s[0:1], -1
                                        ; implicit-def: $vgpr1
.LBB70_1843:
	s_andn2_b64 vcc, exec, s[0:1]
	s_cbranch_vccnz .LBB70_1845
; %bb.1844:
	global_load_dword v1, v[4:5], off
	s_waitcnt vmcnt(0)
	v_cvt_i32_f32_e32 v1, v1
.LBB70_1845:
	s_mov_b64 s[0:1], 0
.LBB70_1846:
	s_andn2_b64 vcc, exec, s[0:1]
	s_cbranch_vccnz .LBB70_1848
; %bb.1847:
	global_load_dword v1, v[4:5], off
	s_waitcnt vmcnt(0)
	v_cvt_i16_f16_e32 v1, v1
.LBB70_1848:
	s_mov_b64 s[0:1], 0
.LBB70_1849:
	s_andn2_b64 vcc, exec, s[0:1]
	s_cbranch_vccnz .LBB70_1860
; %bb.1850:
	s_cmp_lt_i32 s4, 6
	s_cbranch_scc1 .LBB70_1853
; %bb.1851:
	s_cmp_gt_i32 s4, 6
	s_cbranch_scc0 .LBB70_1854
; %bb.1852:
	global_load_dwordx2 v[1:2], v[4:5], off
	s_mov_b64 s[0:1], 0
	s_waitcnt vmcnt(0)
	v_cvt_i32_f64_e32 v1, v[1:2]
	s_branch .LBB70_1855
.LBB70_1853:
	s_mov_b64 s[0:1], -1
                                        ; implicit-def: $vgpr1
	s_branch .LBB70_1858
.LBB70_1854:
	s_mov_b64 s[0:1], -1
                                        ; implicit-def: $vgpr1
.LBB70_1855:
	s_andn2_b64 vcc, exec, s[0:1]
	s_cbranch_vccnz .LBB70_1857
; %bb.1856:
	global_load_dword v1, v[4:5], off
	s_waitcnt vmcnt(0)
	v_cvt_i32_f32_e32 v1, v1
.LBB70_1857:
	s_mov_b64 s[0:1], 0
.LBB70_1858:
	s_andn2_b64 vcc, exec, s[0:1]
	s_cbranch_vccnz .LBB70_1860
; %bb.1859:
	global_load_ushort v1, v[4:5], off
	s_waitcnt vmcnt(0)
	v_cvt_i16_f16_e32 v1, v1
.LBB70_1860:
	s_mov_b64 s[0:1], 0
.LBB70_1861:
	s_andn2_b64 vcc, exec, s[0:1]
	s_cbranch_vccnz .LBB70_1881
; %bb.1862:
	s_cmp_lt_i32 s4, 2
	s_cbranch_scc1 .LBB70_1866
; %bb.1863:
	s_cmp_lt_i32 s4, 3
	s_cbranch_scc1 .LBB70_1867
; %bb.1864:
	s_cmp_gt_i32 s4, 3
	s_cbranch_scc0 .LBB70_1868
; %bb.1865:
	global_load_dwordx2 v[1:2], v[4:5], off
	s_mov_b64 s[0:1], 0
	s_branch .LBB70_1869
.LBB70_1866:
	s_mov_b64 s[0:1], -1
                                        ; implicit-def: $vgpr1
	s_branch .LBB70_1875
.LBB70_1867:
	s_mov_b64 s[0:1], -1
                                        ; implicit-def: $vgpr1
	s_branch .LBB70_1872
.LBB70_1868:
	s_mov_b64 s[0:1], -1
                                        ; implicit-def: $vgpr1
.LBB70_1869:
	s_andn2_b64 vcc, exec, s[0:1]
	s_cbranch_vccnz .LBB70_1871
; %bb.1870:
	global_load_dword v1, v[4:5], off
.LBB70_1871:
	s_mov_b64 s[0:1], 0
.LBB70_1872:
	s_andn2_b64 vcc, exec, s[0:1]
	s_cbranch_vccnz .LBB70_1874
; %bb.1873:
	global_load_ushort v1, v[4:5], off
.LBB70_1874:
	s_mov_b64 s[0:1], 0
.LBB70_1875:
	s_andn2_b64 vcc, exec, s[0:1]
	s_cbranch_vccnz .LBB70_1881
; %bb.1876:
	s_cmp_gt_i32 s4, 0
	s_cbranch_scc0 .LBB70_1878
; %bb.1877:
	global_load_sbyte v1, v[4:5], off
	s_mov_b64 s[0:1], 0
	s_branch .LBB70_1879
.LBB70_1878:
	s_mov_b64 s[0:1], -1
                                        ; implicit-def: $vgpr1
.LBB70_1879:
	s_andn2_b64 vcc, exec, s[0:1]
	s_cbranch_vccnz .LBB70_1881
; %bb.1880:
	global_load_ubyte v1, v[4:5], off
.LBB70_1881:
.LBB70_1882:
	s_lshl_b32 s14, s14, 7
	s_waitcnt vmcnt(0)
	v_add_u32_e32 v2, s14, v6
	v_ashrrev_i32_e32 v5, 31, v2
	v_mov_b32_e32 v6, s3
	v_add_co_u32_e32 v4, vcc, s2, v2
	s_cmp_lt_i32 s25, 11
	v_addc_co_u32_e32 v5, vcc, v6, v5, vcc
	s_cbranch_scc1 .LBB70_1889
; %bb.1883:
	s_and_b32 s26, 0xffff, s25
	s_cmp_gt_i32 s26, 25
	s_mov_b64 s[4:5], 0
	s_cbranch_scc0 .LBB70_1890
; %bb.1884:
	s_cmp_gt_i32 s26, 28
	s_cbranch_scc0 .LBB70_1891
; %bb.1885:
	s_cmp_gt_i32 s26, 43
	;; [unrolled: 3-line block ×3, first 2 shown]
	s_cbranch_scc0 .LBB70_1894
; %bb.1887:
	s_cmp_eq_u32 s26, 46
	s_mov_b64 s[22:23], 0
	s_cbranch_scc0 .LBB70_1895
; %bb.1888:
	global_load_dword v6, v[4:5], off
	s_mov_b64 s[0:1], 0
	s_mov_b64 s[20:21], -1
	s_waitcnt vmcnt(0)
	v_lshlrev_b32_e32 v6, 16, v6
	v_cvt_i32_f32_e32 v6, v6
	s_branch .LBB70_1896
.LBB70_1889:
	s_mov_b64 s[0:1], -1
	s_mov_b64 s[20:21], 0
                                        ; implicit-def: $vgpr6
	s_branch .LBB70_1958
.LBB70_1890:
	s_mov_b64 s[22:23], -1
	s_mov_b64 s[20:21], 0
	s_mov_b64 s[0:1], 0
                                        ; implicit-def: $vgpr6
	s_branch .LBB70_1923
.LBB70_1891:
	s_mov_b64 s[22:23], -1
	s_mov_b64 s[20:21], 0
	s_mov_b64 s[0:1], 0
                                        ; implicit-def: $vgpr6
	s_branch .LBB70_1906
.LBB70_1892:
	s_mov_b64 s[22:23], -1
	s_mov_b64 s[20:21], 0
	s_mov_b64 s[0:1], 0
                                        ; implicit-def: $vgpr6
	s_branch .LBB70_1901
.LBB70_1893:
	s_trap 2
	s_or_b64 s[18:19], s[18:19], exec
	s_cbranch_execz .LBB70_1832
	s_branch .LBB70_1833
.LBB70_1894:
	s_mov_b64 s[22:23], -1
	s_mov_b64 s[20:21], 0
	s_mov_b64 s[0:1], 0
                                        ; implicit-def: $vgpr6
	s_branch .LBB70_1896
.LBB70_1895:
	s_mov_b64 s[0:1], -1
                                        ; implicit-def: $vgpr6
	s_mov_b64 s[20:21], 0
.LBB70_1896:
	s_and_b64 vcc, exec, s[22:23]
	s_cbranch_vccz .LBB70_1900
; %bb.1897:
	s_cmp_eq_u32 s26, 44
	s_cbranch_scc0 .LBB70_1899
; %bb.1898:
	global_load_ubyte v6, v[4:5], off
	s_mov_b64 s[0:1], 0
	s_mov_b64 s[20:21], -1
	s_waitcnt vmcnt(0)
	v_lshlrev_b32_e32 v7, 23, v6
	v_cvt_i32_f32_e32 v7, v7
	v_cmp_ne_u32_e32 vcc, 0, v6
	v_cndmask_b32_e32 v6, 0, v7, vcc
	s_branch .LBB70_1900
.LBB70_1899:
	s_mov_b64 s[0:1], -1
                                        ; implicit-def: $vgpr6
.LBB70_1900:
	s_mov_b64 s[22:23], 0
.LBB70_1901:
	s_and_b64 vcc, exec, s[22:23]
	s_cbranch_vccz .LBB70_1905
; %bb.1902:
	s_cmp_eq_u32 s26, 29
	s_cbranch_scc0 .LBB70_1904
; %bb.1903:
	global_load_dwordx2 v[6:7], v[4:5], off
	s_mov_b64 s[0:1], 0
	s_mov_b64 s[20:21], -1
	s_branch .LBB70_1905
.LBB70_1904:
	s_mov_b64 s[0:1], -1
                                        ; implicit-def: $vgpr6
.LBB70_1905:
	s_mov_b64 s[22:23], 0
.LBB70_1906:
	s_and_b64 vcc, exec, s[22:23]
	s_cbranch_vccz .LBB70_1922
; %bb.1907:
	s_cmp_lt_i32 s26, 27
	s_cbranch_scc1 .LBB70_1910
; %bb.1908:
	s_cmp_gt_i32 s26, 27
	s_cbranch_scc0 .LBB70_1911
; %bb.1909:
	global_load_dword v6, v[4:5], off
	s_mov_b64 s[20:21], 0
	s_branch .LBB70_1912
.LBB70_1910:
	s_mov_b64 s[20:21], -1
                                        ; implicit-def: $vgpr6
	s_branch .LBB70_1915
.LBB70_1911:
	s_mov_b64 s[20:21], -1
                                        ; implicit-def: $vgpr6
.LBB70_1912:
	s_andn2_b64 vcc, exec, s[20:21]
	s_cbranch_vccnz .LBB70_1914
; %bb.1913:
	global_load_ushort v6, v[4:5], off
.LBB70_1914:
	s_mov_b64 s[20:21], 0
.LBB70_1915:
	s_andn2_b64 vcc, exec, s[20:21]
	s_cbranch_vccnz .LBB70_1921
; %bb.1916:
	global_load_ubyte v7, v[4:5], off
	s_movk_i32 s20, 0x7f
	s_mov_b64 s[22:23], 0
	s_waitcnt vmcnt(0)
	v_cmp_lt_i16_e32 vcc, s20, v7
	s_and_saveexec_b64 s[20:21], vcc
	s_xor_b64 s[20:21], exec, s[20:21]
	s_cbranch_execz .LBB70_1933
; %bb.1917:
	s_movk_i32 s22, 0x80
	v_cmp_ne_u16_e32 vcc, s22, v7
	s_and_b64 s[22:23], vcc, exec
	s_andn2_saveexec_b64 s[20:21], s[20:21]
	s_cbranch_execnz .LBB70_1934
.LBB70_1918:
	s_or_b64 exec, exec, s[20:21]
	v_mov_b32_e32 v6, 0
	s_and_saveexec_b64 s[20:21], s[22:23]
	s_cbranch_execz .LBB70_1920
.LBB70_1919:
	v_lshlrev_b32_e32 v6, 24, v7
	v_and_b32_e32 v7, 0xffff, v7
	v_and_b32_e32 v9, 7, v7
	v_ffbh_u32_e32 v11, v9
	v_min_u32_e32 v11, 32, v11
	v_subrev_u32_e32 v12, 28, v11
	v_bfe_u32 v10, v7, 3, 4
	v_lshlrev_b32_e32 v7, v12, v7
	v_sub_u32_e32 v11, 29, v11
	v_and_b32_e32 v7, 7, v7
	v_cmp_eq_u32_e32 vcc, 0, v10
	v_cndmask_b32_e32 v10, v10, v11, vcc
	v_cndmask_b32_e32 v7, v9, v7, vcc
	v_mov_b32_e32 v9, 0x3b800000
	v_lshlrev_b32_e32 v7, 20, v7
	v_and_b32_e32 v6, 0x80000000, v6
	v_lshl_add_u32 v9, v10, 23, v9
	v_or3_b32 v6, v6, v9, v7
	v_cvt_i32_f32_e32 v6, v6
.LBB70_1920:
	s_or_b64 exec, exec, s[20:21]
.LBB70_1921:
	s_mov_b64 s[20:21], -1
.LBB70_1922:
	s_mov_b64 s[22:23], 0
.LBB70_1923:
	s_and_b64 vcc, exec, s[22:23]
	s_cbranch_vccz .LBB70_1954
; %bb.1924:
	s_cmp_gt_i32 s26, 22
	s_cbranch_scc0 .LBB70_1932
; %bb.1925:
	s_cmp_lt_i32 s26, 24
	s_cbranch_scc1 .LBB70_1935
; %bb.1926:
	s_cmp_gt_i32 s26, 24
	s_cbranch_scc0 .LBB70_1936
; %bb.1927:
	global_load_ubyte v7, v[4:5], off
	s_movk_i32 s4, 0x7f
	s_mov_b64 s[20:21], 0
	s_waitcnt vmcnt(0)
	v_cmp_lt_i16_e32 vcc, s4, v7
	s_and_saveexec_b64 s[4:5], vcc
	s_xor_b64 s[4:5], exec, s[4:5]
	s_cbranch_execz .LBB70_1948
; %bb.1928:
	s_movk_i32 s20, 0x80
	v_cmp_ne_u16_e32 vcc, s20, v7
	s_and_b64 s[20:21], vcc, exec
	s_andn2_saveexec_b64 s[4:5], s[4:5]
	s_cbranch_execnz .LBB70_1949
.LBB70_1929:
	s_or_b64 exec, exec, s[4:5]
	v_mov_b32_e32 v6, 0
	s_and_saveexec_b64 s[4:5], s[20:21]
	s_cbranch_execz .LBB70_1931
.LBB70_1930:
	v_lshlrev_b32_e32 v6, 24, v7
	v_and_b32_e32 v7, 0xffff, v7
	v_and_b32_e32 v9, 3, v7
	v_ffbh_u32_e32 v11, v9
	v_min_u32_e32 v11, 32, v11
	v_subrev_u32_e32 v12, 29, v11
	v_bfe_u32 v10, v7, 2, 5
	v_lshlrev_b32_e32 v7, v12, v7
	v_sub_u32_e32 v11, 30, v11
	v_and_b32_e32 v7, 3, v7
	v_cmp_eq_u32_e32 vcc, 0, v10
	v_cndmask_b32_e32 v10, v10, v11, vcc
	v_cndmask_b32_e32 v7, v9, v7, vcc
	v_mov_b32_e32 v9, 0x37800000
	v_lshlrev_b32_e32 v7, 21, v7
	v_and_b32_e32 v6, 0x80000000, v6
	v_lshl_add_u32 v9, v10, 23, v9
	v_or3_b32 v6, v6, v9, v7
	v_cvt_i32_f32_e32 v6, v6
.LBB70_1931:
	s_or_b64 exec, exec, s[4:5]
	s_mov_b64 s[4:5], 0
	s_branch .LBB70_1937
.LBB70_1932:
	s_mov_b64 s[4:5], -1
                                        ; implicit-def: $vgpr6
	s_branch .LBB70_1943
.LBB70_1933:
	s_andn2_saveexec_b64 s[20:21], s[20:21]
	s_cbranch_execz .LBB70_1918
.LBB70_1934:
	v_cmp_ne_u16_e32 vcc, 0, v7
	s_andn2_b64 s[22:23], s[22:23], exec
	s_and_b64 s[28:29], vcc, exec
	s_or_b64 s[22:23], s[22:23], s[28:29]
	s_or_b64 exec, exec, s[20:21]
	v_mov_b32_e32 v6, 0
	s_and_saveexec_b64 s[20:21], s[22:23]
	s_cbranch_execnz .LBB70_1919
	s_branch .LBB70_1920
.LBB70_1935:
	s_mov_b64 s[4:5], -1
                                        ; implicit-def: $vgpr6
	s_branch .LBB70_1940
.LBB70_1936:
	s_mov_b64 s[4:5], -1
                                        ; implicit-def: $vgpr6
.LBB70_1937:
	s_and_b64 vcc, exec, s[4:5]
	s_cbranch_vccz .LBB70_1939
; %bb.1938:
	global_load_ubyte v6, v[4:5], off
	s_mov_b32 s4, 0x7f800000
	s_waitcnt vmcnt(0)
	v_lshlrev_b32_e32 v6, 24, v6
	v_and_b32_e32 v7, 0x7f000000, v6
	v_ffbh_u32_e32 v9, v7
	v_min_u32_e32 v9, 32, v9
	v_sub_u32_e64 v9, v9, 4 clamp
	v_lshlrev_b32_e32 v11, v9, v7
	v_lshlrev_b32_e32 v9, 23, v9
	v_lshrrev_b32_e32 v11, 4, v11
	v_add_u32_e32 v10, 0x1000000, v7
	v_sub_u32_e32 v9, v11, v9
	v_ashrrev_i32_e32 v10, 8, v10
	v_add_u32_e32 v9, 0x3c000000, v9
	v_and_or_b32 v9, v10, s4, v9
	v_cmp_ne_u32_e32 vcc, 0, v7
	v_cndmask_b32_e32 v7, 0, v9, vcc
	s_brev_b32 s4, 1
	v_and_or_b32 v6, v6, s4, v7
	v_cvt_i32_f32_e32 v6, v6
.LBB70_1939:
	s_mov_b64 s[4:5], 0
.LBB70_1940:
	s_andn2_b64 vcc, exec, s[4:5]
	s_cbranch_vccnz .LBB70_1942
; %bb.1941:
	global_load_ubyte v6, v[4:5], off
	s_movk_i32 s4, 0x7f00
	s_brev_b32 s5, 16
	s_waitcnt vmcnt(0)
	v_lshlrev_b16_e32 v7, 8, v6
	v_lshlrev_b32_e32 v6, 25, v6
	v_lshrrev_b32_e32 v9, 4, v6
	v_and_or_b32 v10, v7, s4, 0.5
	v_or_b32_e32 v9, 0x70000000, v9
	v_add_f32_e32 v10, -0.5, v10
	v_mul_f32_e32 v9, 0x7800000, v9
	v_cmp_gt_u32_e32 vcc, s5, v6
	v_bfe_i32 v7, v7, 0, 16
	v_cndmask_b32_e32 v6, v9, v10, vcc
	s_brev_b32 s4, 1
	v_and_or_b32 v6, v7, s4, v6
	v_cvt_i32_f32_e32 v6, v6
.LBB70_1942:
	s_mov_b64 s[4:5], 0
	s_mov_b64 s[20:21], -1
.LBB70_1943:
	s_andn2_b64 vcc, exec, s[4:5]
	s_mov_b64 s[4:5], 0
	s_cbranch_vccnz .LBB70_1954
; %bb.1944:
	s_cmp_gt_i32 s26, 14
	s_cbranch_scc0 .LBB70_1947
; %bb.1945:
	s_cmp_eq_u32 s26, 15
	s_cbranch_scc0 .LBB70_1950
; %bb.1946:
	global_load_ushort v6, v[4:5], off
	s_mov_b64 s[0:1], 0
	s_mov_b64 s[20:21], -1
	s_waitcnt vmcnt(0)
	v_lshlrev_b32_e32 v6, 16, v6
	v_cvt_i32_f32_e32 v6, v6
	s_branch .LBB70_1951
.LBB70_1947:
	s_mov_b64 s[22:23], -1
                                        ; implicit-def: $vgpr6
	s_branch .LBB70_1952
.LBB70_1948:
	s_andn2_saveexec_b64 s[4:5], s[4:5]
	s_cbranch_execz .LBB70_1929
.LBB70_1949:
	v_cmp_ne_u16_e32 vcc, 0, v7
	s_andn2_b64 s[20:21], s[20:21], exec
	s_and_b64 s[22:23], vcc, exec
	s_or_b64 s[20:21], s[20:21], s[22:23]
	s_or_b64 exec, exec, s[4:5]
	v_mov_b32_e32 v6, 0
	s_and_saveexec_b64 s[4:5], s[20:21]
	s_cbranch_execnz .LBB70_1930
	s_branch .LBB70_1931
.LBB70_1950:
	s_mov_b64 s[0:1], -1
                                        ; implicit-def: $vgpr6
.LBB70_1951:
	s_mov_b64 s[22:23], 0
.LBB70_1952:
	s_and_b64 vcc, exec, s[22:23]
	s_cbranch_vccz .LBB70_1954
; %bb.1953:
	s_cmp_lg_u32 s26, 11
	s_mov_b64 s[4:5], -1
	s_cselect_b64 s[0:1], -1, 0
.LBB70_1954:
	s_and_b64 vcc, exec, s[0:1]
	s_cbranch_vccnz .LBB70_2019
; %bb.1955:
	s_andn2_b64 vcc, exec, s[4:5]
	s_cbranch_vccnz .LBB70_1957
.LBB70_1956:
	global_load_ubyte v6, v[4:5], off
	s_mov_b64 s[20:21], -1
	s_waitcnt vmcnt(0)
	v_cmp_ne_u16_e32 vcc, 0, v6
	v_cndmask_b32_e64 v6, 0, 1, vcc
.LBB70_1957:
	s_mov_b64 s[0:1], 0
.LBB70_1958:
	s_and_b64 vcc, exec, s[0:1]
	s_cbranch_vccz .LBB70_2007
; %bb.1959:
	s_and_b32 s4, 0xffff, s25
	s_cmp_lt_i32 s4, 5
	s_cbranch_scc1 .LBB70_1964
; %bb.1960:
	s_cmp_lt_i32 s4, 8
	s_cbranch_scc1 .LBB70_1965
; %bb.1961:
	s_cmp_lt_i32 s4, 9
	s_cbranch_scc1 .LBB70_1966
; %bb.1962:
	s_cmp_gt_i32 s4, 9
	s_cbranch_scc0 .LBB70_1967
; %bb.1963:
	global_load_dwordx2 v[6:7], v[4:5], off
	s_mov_b64 s[0:1], 0
	s_waitcnt vmcnt(0)
	v_cvt_i32_f64_e32 v6, v[6:7]
	s_branch .LBB70_1968
.LBB70_1964:
	s_mov_b64 s[0:1], -1
                                        ; implicit-def: $vgpr6
	s_branch .LBB70_1986
.LBB70_1965:
	s_mov_b64 s[0:1], -1
                                        ; implicit-def: $vgpr6
	s_branch .LBB70_1974
.LBB70_1966:
	s_mov_b64 s[0:1], -1
                                        ; implicit-def: $vgpr6
	s_branch .LBB70_1971
.LBB70_1967:
	s_mov_b64 s[0:1], -1
                                        ; implicit-def: $vgpr6
.LBB70_1968:
	s_andn2_b64 vcc, exec, s[0:1]
	s_cbranch_vccnz .LBB70_1970
; %bb.1969:
	global_load_dword v6, v[4:5], off
	s_waitcnt vmcnt(0)
	v_cvt_i32_f32_e32 v6, v6
.LBB70_1970:
	s_mov_b64 s[0:1], 0
.LBB70_1971:
	s_andn2_b64 vcc, exec, s[0:1]
	s_cbranch_vccnz .LBB70_1973
; %bb.1972:
	global_load_dword v6, v[4:5], off
	s_waitcnt vmcnt(0)
	v_cvt_i16_f16_e32 v6, v6
.LBB70_1973:
	s_mov_b64 s[0:1], 0
.LBB70_1974:
	s_andn2_b64 vcc, exec, s[0:1]
	s_cbranch_vccnz .LBB70_1985
; %bb.1975:
	s_cmp_lt_i32 s4, 6
	s_cbranch_scc1 .LBB70_1978
; %bb.1976:
	s_cmp_gt_i32 s4, 6
	s_cbranch_scc0 .LBB70_1979
; %bb.1977:
	global_load_dwordx2 v[6:7], v[4:5], off
	s_mov_b64 s[0:1], 0
	s_waitcnt vmcnt(0)
	v_cvt_i32_f64_e32 v6, v[6:7]
	s_branch .LBB70_1980
.LBB70_1978:
	s_mov_b64 s[0:1], -1
                                        ; implicit-def: $vgpr6
	s_branch .LBB70_1983
.LBB70_1979:
	s_mov_b64 s[0:1], -1
                                        ; implicit-def: $vgpr6
.LBB70_1980:
	s_andn2_b64 vcc, exec, s[0:1]
	s_cbranch_vccnz .LBB70_1982
; %bb.1981:
	global_load_dword v6, v[4:5], off
	s_waitcnt vmcnt(0)
	v_cvt_i32_f32_e32 v6, v6
.LBB70_1982:
	s_mov_b64 s[0:1], 0
.LBB70_1983:
	s_andn2_b64 vcc, exec, s[0:1]
	s_cbranch_vccnz .LBB70_1985
; %bb.1984:
	global_load_ushort v6, v[4:5], off
	s_waitcnt vmcnt(0)
	v_cvt_i16_f16_e32 v6, v6
.LBB70_1985:
	s_mov_b64 s[0:1], 0
.LBB70_1986:
	s_andn2_b64 vcc, exec, s[0:1]
	s_cbranch_vccnz .LBB70_2006
; %bb.1987:
	s_cmp_lt_i32 s4, 2
	s_cbranch_scc1 .LBB70_1991
; %bb.1988:
	s_cmp_lt_i32 s4, 3
	s_cbranch_scc1 .LBB70_1992
; %bb.1989:
	s_cmp_gt_i32 s4, 3
	s_cbranch_scc0 .LBB70_1993
; %bb.1990:
	global_load_dwordx2 v[6:7], v[4:5], off
	s_mov_b64 s[0:1], 0
	s_branch .LBB70_1994
.LBB70_1991:
	s_mov_b64 s[0:1], -1
                                        ; implicit-def: $vgpr6
	s_branch .LBB70_2000
.LBB70_1992:
	s_mov_b64 s[0:1], -1
                                        ; implicit-def: $vgpr6
	s_branch .LBB70_1997
.LBB70_1993:
	s_mov_b64 s[0:1], -1
                                        ; implicit-def: $vgpr6
.LBB70_1994:
	s_andn2_b64 vcc, exec, s[0:1]
	s_cbranch_vccnz .LBB70_1996
; %bb.1995:
	global_load_dword v6, v[4:5], off
.LBB70_1996:
	s_mov_b64 s[0:1], 0
.LBB70_1997:
	s_andn2_b64 vcc, exec, s[0:1]
	s_cbranch_vccnz .LBB70_1999
; %bb.1998:
	global_load_ushort v6, v[4:5], off
.LBB70_1999:
	s_mov_b64 s[0:1], 0
.LBB70_2000:
	s_andn2_b64 vcc, exec, s[0:1]
	s_cbranch_vccnz .LBB70_2006
; %bb.2001:
	s_cmp_gt_i32 s4, 0
	s_cbranch_scc0 .LBB70_2003
; %bb.2002:
	global_load_sbyte v6, v[4:5], off
	s_mov_b64 s[0:1], 0
	s_branch .LBB70_2004
.LBB70_2003:
	s_mov_b64 s[0:1], -1
                                        ; implicit-def: $vgpr6
.LBB70_2004:
	s_andn2_b64 vcc, exec, s[0:1]
	s_cbranch_vccnz .LBB70_2006
; %bb.2005:
	global_load_ubyte v6, v[4:5], off
.LBB70_2006:
	s_mov_b64 s[20:21], -1
.LBB70_2007:
	s_andn2_b64 vcc, exec, s[20:21]
	s_cbranch_vccnz .LBB70_2947
; %bb.2008:
	v_add_u32_e32 v11, s13, v8
	v_ashrrev_i32_e32 v4, 31, v11
	v_mov_b32_e32 v5, s11
	s_waitcnt vmcnt(0)
	v_add_co_u32_e32 v7, vcc, s10, v11
	s_cmp_lt_i32 s24, 11
	v_addc_co_u32_e32 v8, vcc, v5, v4, vcc
	s_cbranch_scc1 .LBB70_2015
; %bb.2009:
	s_and_b32 s26, 0xffff, s24
	s_cmp_gt_i32 s26, 25
	s_mov_b64 s[4:5], 0
	s_cbranch_scc0 .LBB70_2016
; %bb.2010:
	s_cmp_gt_i32 s26, 28
	s_cbranch_scc0 .LBB70_2017
; %bb.2011:
	s_cmp_gt_i32 s26, 43
	;; [unrolled: 3-line block ×3, first 2 shown]
	s_cbranch_scc0 .LBB70_2020
; %bb.2013:
	s_cmp_eq_u32 s26, 46
	s_mov_b64 s[22:23], 0
	s_cbranch_scc0 .LBB70_2021
; %bb.2014:
	global_load_dword v4, v[7:8], off
	s_mov_b64 s[0:1], 0
	s_mov_b64 s[20:21], -1
	s_waitcnt vmcnt(0)
	v_lshlrev_b32_e32 v4, 16, v4
	v_cvt_i32_f32_e32 v4, v4
	s_branch .LBB70_2022
.LBB70_2015:
	s_mov_b64 s[0:1], -1
	s_mov_b64 s[20:21], 0
                                        ; implicit-def: $vgpr4
	s_branch .LBB70_2084
.LBB70_2016:
	s_mov_b64 s[22:23], -1
	s_mov_b64 s[20:21], 0
	s_mov_b64 s[0:1], 0
                                        ; implicit-def: $vgpr4
	s_branch .LBB70_2049
.LBB70_2017:
	s_mov_b64 s[22:23], -1
	s_mov_b64 s[20:21], 0
	s_mov_b64 s[0:1], 0
                                        ; implicit-def: $vgpr4
	s_branch .LBB70_2032
.LBB70_2018:
	s_mov_b64 s[22:23], -1
	s_mov_b64 s[20:21], 0
	s_mov_b64 s[0:1], 0
                                        ; implicit-def: $vgpr4
	s_branch .LBB70_2027
.LBB70_2019:
	s_trap 2
	s_or_b64 s[18:19], s[18:19], exec
	s_cbranch_execz .LBB70_1956
	s_branch .LBB70_1957
.LBB70_2020:
	s_mov_b64 s[22:23], -1
	s_mov_b64 s[20:21], 0
	s_mov_b64 s[0:1], 0
                                        ; implicit-def: $vgpr4
	s_branch .LBB70_2022
.LBB70_2021:
	s_mov_b64 s[0:1], -1
                                        ; implicit-def: $vgpr4
	s_mov_b64 s[20:21], 0
.LBB70_2022:
	s_and_b64 vcc, exec, s[22:23]
	s_cbranch_vccz .LBB70_2026
; %bb.2023:
	s_cmp_eq_u32 s26, 44
	s_cbranch_scc0 .LBB70_2025
; %bb.2024:
	global_load_ubyte v4, v[7:8], off
	s_mov_b64 s[0:1], 0
	s_mov_b64 s[20:21], -1
	s_waitcnt vmcnt(0)
	v_lshlrev_b32_e32 v5, 23, v4
	v_cvt_i32_f32_e32 v5, v5
	v_cmp_ne_u32_e32 vcc, 0, v4
	v_cndmask_b32_e32 v4, 0, v5, vcc
	s_branch .LBB70_2026
.LBB70_2025:
	s_mov_b64 s[0:1], -1
                                        ; implicit-def: $vgpr4
.LBB70_2026:
	s_mov_b64 s[22:23], 0
.LBB70_2027:
	s_and_b64 vcc, exec, s[22:23]
	s_cbranch_vccz .LBB70_2031
; %bb.2028:
	s_cmp_eq_u32 s26, 29
	s_cbranch_scc0 .LBB70_2030
; %bb.2029:
	global_load_dwordx2 v[4:5], v[7:8], off
	s_mov_b64 s[0:1], 0
	s_mov_b64 s[20:21], -1
	s_branch .LBB70_2031
.LBB70_2030:
	s_mov_b64 s[0:1], -1
                                        ; implicit-def: $vgpr4
.LBB70_2031:
	s_mov_b64 s[22:23], 0
.LBB70_2032:
	s_and_b64 vcc, exec, s[22:23]
	s_cbranch_vccz .LBB70_2048
; %bb.2033:
	s_cmp_lt_i32 s26, 27
	s_cbranch_scc1 .LBB70_2036
; %bb.2034:
	s_cmp_gt_i32 s26, 27
	s_cbranch_scc0 .LBB70_2037
; %bb.2035:
	global_load_dword v4, v[7:8], off
	s_mov_b64 s[20:21], 0
	s_branch .LBB70_2038
.LBB70_2036:
	s_mov_b64 s[20:21], -1
                                        ; implicit-def: $vgpr4
	s_branch .LBB70_2041
.LBB70_2037:
	s_mov_b64 s[20:21], -1
                                        ; implicit-def: $vgpr4
.LBB70_2038:
	s_andn2_b64 vcc, exec, s[20:21]
	s_cbranch_vccnz .LBB70_2040
; %bb.2039:
	global_load_ushort v4, v[7:8], off
.LBB70_2040:
	s_mov_b64 s[20:21], 0
.LBB70_2041:
	s_andn2_b64 vcc, exec, s[20:21]
	s_cbranch_vccnz .LBB70_2047
; %bb.2042:
	global_load_ubyte v5, v[7:8], off
	s_movk_i32 s20, 0x7f
	s_mov_b64 s[22:23], 0
	s_waitcnt vmcnt(0)
	v_cmp_lt_i16_e32 vcc, s20, v5
	s_and_saveexec_b64 s[20:21], vcc
	s_xor_b64 s[20:21], exec, s[20:21]
	s_cbranch_execz .LBB70_2059
; %bb.2043:
	s_movk_i32 s22, 0x80
	v_cmp_ne_u16_e32 vcc, s22, v5
	s_and_b64 s[22:23], vcc, exec
	s_andn2_saveexec_b64 s[20:21], s[20:21]
	s_cbranch_execnz .LBB70_2060
.LBB70_2044:
	s_or_b64 exec, exec, s[20:21]
	v_mov_b32_e32 v4, 0
	s_and_saveexec_b64 s[20:21], s[22:23]
	s_cbranch_execz .LBB70_2046
.LBB70_2045:
	v_lshlrev_b32_e32 v4, 24, v5
	v_and_b32_e32 v5, 0xffff, v5
	v_and_b32_e32 v9, 7, v5
	v_ffbh_u32_e32 v12, v9
	v_min_u32_e32 v12, 32, v12
	v_subrev_u32_e32 v13, 28, v12
	v_bfe_u32 v10, v5, 3, 4
	v_lshlrev_b32_e32 v5, v13, v5
	v_sub_u32_e32 v12, 29, v12
	v_and_b32_e32 v5, 7, v5
	v_cmp_eq_u32_e32 vcc, 0, v10
	v_cndmask_b32_e32 v10, v10, v12, vcc
	v_cndmask_b32_e32 v5, v9, v5, vcc
	v_mov_b32_e32 v9, 0x3b800000
	v_lshlrev_b32_e32 v5, 20, v5
	v_and_b32_e32 v4, 0x80000000, v4
	v_lshl_add_u32 v9, v10, 23, v9
	v_or3_b32 v4, v4, v9, v5
	v_cvt_i32_f32_e32 v4, v4
.LBB70_2046:
	s_or_b64 exec, exec, s[20:21]
.LBB70_2047:
	s_mov_b64 s[20:21], -1
.LBB70_2048:
	s_mov_b64 s[22:23], 0
.LBB70_2049:
	s_and_b64 vcc, exec, s[22:23]
	s_cbranch_vccz .LBB70_2080
; %bb.2050:
	s_cmp_gt_i32 s26, 22
	s_cbranch_scc0 .LBB70_2058
; %bb.2051:
	s_cmp_lt_i32 s26, 24
	s_cbranch_scc1 .LBB70_2061
; %bb.2052:
	s_cmp_gt_i32 s26, 24
	s_cbranch_scc0 .LBB70_2062
; %bb.2053:
	global_load_ubyte v5, v[7:8], off
	s_movk_i32 s4, 0x7f
	s_mov_b64 s[20:21], 0
	s_waitcnt vmcnt(0)
	v_cmp_lt_i16_e32 vcc, s4, v5
	s_and_saveexec_b64 s[4:5], vcc
	s_xor_b64 s[4:5], exec, s[4:5]
	s_cbranch_execz .LBB70_2074
; %bb.2054:
	s_movk_i32 s20, 0x80
	v_cmp_ne_u16_e32 vcc, s20, v5
	s_and_b64 s[20:21], vcc, exec
	s_andn2_saveexec_b64 s[4:5], s[4:5]
	s_cbranch_execnz .LBB70_2075
.LBB70_2055:
	s_or_b64 exec, exec, s[4:5]
	v_mov_b32_e32 v4, 0
	s_and_saveexec_b64 s[4:5], s[20:21]
	s_cbranch_execz .LBB70_2057
.LBB70_2056:
	v_lshlrev_b32_e32 v4, 24, v5
	v_and_b32_e32 v5, 0xffff, v5
	v_and_b32_e32 v9, 3, v5
	v_ffbh_u32_e32 v12, v9
	v_min_u32_e32 v12, 32, v12
	v_subrev_u32_e32 v13, 29, v12
	v_bfe_u32 v10, v5, 2, 5
	v_lshlrev_b32_e32 v5, v13, v5
	v_sub_u32_e32 v12, 30, v12
	v_and_b32_e32 v5, 3, v5
	v_cmp_eq_u32_e32 vcc, 0, v10
	v_cndmask_b32_e32 v10, v10, v12, vcc
	v_cndmask_b32_e32 v5, v9, v5, vcc
	v_mov_b32_e32 v9, 0x37800000
	v_lshlrev_b32_e32 v5, 21, v5
	v_and_b32_e32 v4, 0x80000000, v4
	v_lshl_add_u32 v9, v10, 23, v9
	v_or3_b32 v4, v4, v9, v5
	v_cvt_i32_f32_e32 v4, v4
.LBB70_2057:
	s_or_b64 exec, exec, s[4:5]
	s_mov_b64 s[4:5], 0
	s_branch .LBB70_2063
.LBB70_2058:
	s_mov_b64 s[4:5], -1
                                        ; implicit-def: $vgpr4
	s_branch .LBB70_2069
.LBB70_2059:
	s_andn2_saveexec_b64 s[20:21], s[20:21]
	s_cbranch_execz .LBB70_2044
.LBB70_2060:
	v_cmp_ne_u16_e32 vcc, 0, v5
	s_andn2_b64 s[22:23], s[22:23], exec
	s_and_b64 s[28:29], vcc, exec
	s_or_b64 s[22:23], s[22:23], s[28:29]
	s_or_b64 exec, exec, s[20:21]
	v_mov_b32_e32 v4, 0
	s_and_saveexec_b64 s[20:21], s[22:23]
	s_cbranch_execnz .LBB70_2045
	s_branch .LBB70_2046
.LBB70_2061:
	s_mov_b64 s[4:5], -1
                                        ; implicit-def: $vgpr4
	s_branch .LBB70_2066
.LBB70_2062:
	s_mov_b64 s[4:5], -1
                                        ; implicit-def: $vgpr4
.LBB70_2063:
	s_and_b64 vcc, exec, s[4:5]
	s_cbranch_vccz .LBB70_2065
; %bb.2064:
	global_load_ubyte v4, v[7:8], off
	s_mov_b32 s4, 0x7f800000
	s_waitcnt vmcnt(0)
	v_lshlrev_b32_e32 v4, 24, v4
	v_and_b32_e32 v5, 0x7f000000, v4
	v_ffbh_u32_e32 v9, v5
	v_min_u32_e32 v9, 32, v9
	v_sub_u32_e64 v9, v9, 4 clamp
	v_lshlrev_b32_e32 v12, v9, v5
	v_lshlrev_b32_e32 v9, 23, v9
	v_lshrrev_b32_e32 v12, 4, v12
	v_add_u32_e32 v10, 0x1000000, v5
	v_sub_u32_e32 v9, v12, v9
	v_ashrrev_i32_e32 v10, 8, v10
	v_add_u32_e32 v9, 0x3c000000, v9
	v_and_or_b32 v9, v10, s4, v9
	v_cmp_ne_u32_e32 vcc, 0, v5
	v_cndmask_b32_e32 v5, 0, v9, vcc
	s_brev_b32 s4, 1
	v_and_or_b32 v4, v4, s4, v5
	v_cvt_i32_f32_e32 v4, v4
.LBB70_2065:
	s_mov_b64 s[4:5], 0
.LBB70_2066:
	s_andn2_b64 vcc, exec, s[4:5]
	s_cbranch_vccnz .LBB70_2068
; %bb.2067:
	global_load_ubyte v4, v[7:8], off
	s_movk_i32 s4, 0x7f00
	s_brev_b32 s5, 16
	s_waitcnt vmcnt(0)
	v_lshlrev_b16_e32 v5, 8, v4
	v_lshlrev_b32_e32 v4, 25, v4
	v_lshrrev_b32_e32 v9, 4, v4
	v_and_or_b32 v10, v5, s4, 0.5
	v_or_b32_e32 v9, 0x70000000, v9
	v_add_f32_e32 v10, -0.5, v10
	v_mul_f32_e32 v9, 0x7800000, v9
	v_cmp_gt_u32_e32 vcc, s5, v4
	v_bfe_i32 v5, v5, 0, 16
	v_cndmask_b32_e32 v4, v9, v10, vcc
	s_brev_b32 s4, 1
	v_and_or_b32 v4, v5, s4, v4
	v_cvt_i32_f32_e32 v4, v4
.LBB70_2068:
	s_mov_b64 s[4:5], 0
	s_mov_b64 s[20:21], -1
.LBB70_2069:
	s_andn2_b64 vcc, exec, s[4:5]
	s_mov_b64 s[4:5], 0
	s_cbranch_vccnz .LBB70_2080
; %bb.2070:
	s_cmp_gt_i32 s26, 14
	s_cbranch_scc0 .LBB70_2073
; %bb.2071:
	s_cmp_eq_u32 s26, 15
	s_cbranch_scc0 .LBB70_2076
; %bb.2072:
	global_load_ushort v4, v[7:8], off
	s_mov_b64 s[0:1], 0
	s_mov_b64 s[20:21], -1
	s_waitcnt vmcnt(0)
	v_lshlrev_b32_e32 v4, 16, v4
	v_cvt_i32_f32_e32 v4, v4
	s_branch .LBB70_2077
.LBB70_2073:
	s_mov_b64 s[22:23], -1
                                        ; implicit-def: $vgpr4
	s_branch .LBB70_2078
.LBB70_2074:
	s_andn2_saveexec_b64 s[4:5], s[4:5]
	s_cbranch_execz .LBB70_2055
.LBB70_2075:
	v_cmp_ne_u16_e32 vcc, 0, v5
	s_andn2_b64 s[20:21], s[20:21], exec
	s_and_b64 s[22:23], vcc, exec
	s_or_b64 s[20:21], s[20:21], s[22:23]
	s_or_b64 exec, exec, s[4:5]
	v_mov_b32_e32 v4, 0
	s_and_saveexec_b64 s[4:5], s[20:21]
	s_cbranch_execnz .LBB70_2056
	s_branch .LBB70_2057
.LBB70_2076:
	s_mov_b64 s[0:1], -1
                                        ; implicit-def: $vgpr4
.LBB70_2077:
	s_mov_b64 s[22:23], 0
.LBB70_2078:
	s_and_b64 vcc, exec, s[22:23]
	s_cbranch_vccz .LBB70_2080
; %bb.2079:
	s_cmp_lg_u32 s26, 11
	s_mov_b64 s[4:5], -1
	s_cselect_b64 s[0:1], -1, 0
.LBB70_2080:
	s_and_b64 vcc, exec, s[0:1]
	s_cbranch_vccnz .LBB70_2145
; %bb.2081:
	s_andn2_b64 vcc, exec, s[4:5]
	s_cbranch_vccnz .LBB70_2083
.LBB70_2082:
	global_load_ubyte v4, v[7:8], off
	s_mov_b64 s[20:21], -1
	s_waitcnt vmcnt(0)
	v_cmp_ne_u16_e32 vcc, 0, v4
	v_cndmask_b32_e64 v4, 0, 1, vcc
.LBB70_2083:
	s_mov_b64 s[0:1], 0
.LBB70_2084:
	s_and_b64 vcc, exec, s[0:1]
	s_cbranch_vccz .LBB70_2133
; %bb.2085:
	s_and_b32 s4, 0xffff, s24
	s_cmp_lt_i32 s4, 5
	s_cbranch_scc1 .LBB70_2090
; %bb.2086:
	s_cmp_lt_i32 s4, 8
	s_cbranch_scc1 .LBB70_2091
; %bb.2087:
	;; [unrolled: 3-line block ×3, first 2 shown]
	s_cmp_gt_i32 s4, 9
	s_cbranch_scc0 .LBB70_2093
; %bb.2089:
	global_load_dwordx2 v[4:5], v[7:8], off
	s_mov_b64 s[0:1], 0
	s_waitcnt vmcnt(0)
	v_cvt_i32_f64_e32 v4, v[4:5]
	s_branch .LBB70_2094
.LBB70_2090:
	s_mov_b64 s[0:1], -1
                                        ; implicit-def: $vgpr4
	s_branch .LBB70_2112
.LBB70_2091:
	s_mov_b64 s[0:1], -1
                                        ; implicit-def: $vgpr4
	s_branch .LBB70_2100
.LBB70_2092:
	s_mov_b64 s[0:1], -1
                                        ; implicit-def: $vgpr4
	s_branch .LBB70_2097
.LBB70_2093:
	s_mov_b64 s[0:1], -1
                                        ; implicit-def: $vgpr4
.LBB70_2094:
	s_andn2_b64 vcc, exec, s[0:1]
	s_cbranch_vccnz .LBB70_2096
; %bb.2095:
	global_load_dword v4, v[7:8], off
	s_waitcnt vmcnt(0)
	v_cvt_i32_f32_e32 v4, v4
.LBB70_2096:
	s_mov_b64 s[0:1], 0
.LBB70_2097:
	s_andn2_b64 vcc, exec, s[0:1]
	s_cbranch_vccnz .LBB70_2099
; %bb.2098:
	global_load_dword v4, v[7:8], off
	s_waitcnt vmcnt(0)
	v_cvt_i16_f16_e32 v4, v4
.LBB70_2099:
	s_mov_b64 s[0:1], 0
.LBB70_2100:
	s_andn2_b64 vcc, exec, s[0:1]
	s_cbranch_vccnz .LBB70_2111
; %bb.2101:
	s_cmp_lt_i32 s4, 6
	s_cbranch_scc1 .LBB70_2104
; %bb.2102:
	s_cmp_gt_i32 s4, 6
	s_cbranch_scc0 .LBB70_2105
; %bb.2103:
	global_load_dwordx2 v[4:5], v[7:8], off
	s_mov_b64 s[0:1], 0
	s_waitcnt vmcnt(0)
	v_cvt_i32_f64_e32 v4, v[4:5]
	s_branch .LBB70_2106
.LBB70_2104:
	s_mov_b64 s[0:1], -1
                                        ; implicit-def: $vgpr4
	s_branch .LBB70_2109
.LBB70_2105:
	s_mov_b64 s[0:1], -1
                                        ; implicit-def: $vgpr4
.LBB70_2106:
	s_andn2_b64 vcc, exec, s[0:1]
	s_cbranch_vccnz .LBB70_2108
; %bb.2107:
	global_load_dword v4, v[7:8], off
	s_waitcnt vmcnt(0)
	v_cvt_i32_f32_e32 v4, v4
.LBB70_2108:
	s_mov_b64 s[0:1], 0
.LBB70_2109:
	s_andn2_b64 vcc, exec, s[0:1]
	s_cbranch_vccnz .LBB70_2111
; %bb.2110:
	global_load_ushort v4, v[7:8], off
	s_waitcnt vmcnt(0)
	v_cvt_i16_f16_e32 v4, v4
.LBB70_2111:
	s_mov_b64 s[0:1], 0
.LBB70_2112:
	s_andn2_b64 vcc, exec, s[0:1]
	s_cbranch_vccnz .LBB70_2132
; %bb.2113:
	s_cmp_lt_i32 s4, 2
	s_cbranch_scc1 .LBB70_2117
; %bb.2114:
	s_cmp_lt_i32 s4, 3
	s_cbranch_scc1 .LBB70_2118
; %bb.2115:
	s_cmp_gt_i32 s4, 3
	s_cbranch_scc0 .LBB70_2119
; %bb.2116:
	global_load_dwordx2 v[4:5], v[7:8], off
	s_mov_b64 s[0:1], 0
	s_branch .LBB70_2120
.LBB70_2117:
	s_mov_b64 s[0:1], -1
                                        ; implicit-def: $vgpr4
	s_branch .LBB70_2126
.LBB70_2118:
	s_mov_b64 s[0:1], -1
                                        ; implicit-def: $vgpr4
	s_branch .LBB70_2123
.LBB70_2119:
	s_mov_b64 s[0:1], -1
                                        ; implicit-def: $vgpr4
.LBB70_2120:
	s_andn2_b64 vcc, exec, s[0:1]
	s_cbranch_vccnz .LBB70_2122
; %bb.2121:
	global_load_dword v4, v[7:8], off
.LBB70_2122:
	s_mov_b64 s[0:1], 0
.LBB70_2123:
	s_andn2_b64 vcc, exec, s[0:1]
	s_cbranch_vccnz .LBB70_2125
; %bb.2124:
	global_load_ushort v4, v[7:8], off
.LBB70_2125:
	s_mov_b64 s[0:1], 0
.LBB70_2126:
	s_andn2_b64 vcc, exec, s[0:1]
	s_cbranch_vccnz .LBB70_2132
; %bb.2127:
	s_cmp_gt_i32 s4, 0
	s_cbranch_scc0 .LBB70_2129
; %bb.2128:
	global_load_sbyte v4, v[7:8], off
	s_mov_b64 s[0:1], 0
	s_branch .LBB70_2130
.LBB70_2129:
	s_mov_b64 s[0:1], -1
                                        ; implicit-def: $vgpr4
.LBB70_2130:
	s_andn2_b64 vcc, exec, s[0:1]
	s_cbranch_vccnz .LBB70_2132
; %bb.2131:
	global_load_ubyte v4, v[7:8], off
.LBB70_2132:
	s_mov_b64 s[20:21], -1
.LBB70_2133:
	s_andn2_b64 vcc, exec, s[20:21]
	s_cbranch_vccnz .LBB70_2947
; %bb.2134:
	v_add_u32_e32 v2, s14, v2
	s_waitcnt vmcnt(0)
	v_ashrrev_i32_e32 v5, 31, v2
	v_mov_b32_e32 v8, s3
	v_add_co_u32_e32 v7, vcc, s2, v2
	s_cmp_lt_i32 s25, 11
	v_addc_co_u32_e32 v8, vcc, v8, v5, vcc
	s_cbranch_scc1 .LBB70_2141
; %bb.2135:
	s_and_b32 s26, 0xffff, s25
	s_cmp_gt_i32 s26, 25
	s_mov_b64 s[4:5], 0
	s_cbranch_scc0 .LBB70_2142
; %bb.2136:
	s_cmp_gt_i32 s26, 28
	s_cbranch_scc0 .LBB70_2143
; %bb.2137:
	s_cmp_gt_i32 s26, 43
	;; [unrolled: 3-line block ×3, first 2 shown]
	s_cbranch_scc0 .LBB70_2146
; %bb.2139:
	s_cmp_eq_u32 s26, 46
	s_mov_b64 s[22:23], 0
	s_cbranch_scc0 .LBB70_2149
; %bb.2140:
	global_load_dword v5, v[7:8], off
	s_mov_b64 s[0:1], 0
	s_mov_b64 s[20:21], -1
	s_waitcnt vmcnt(0)
	v_lshlrev_b32_e32 v5, 16, v5
	v_cvt_i32_f32_e32 v9, v5
	s_branch .LBB70_2150
.LBB70_2141:
	s_mov_b64 s[0:1], -1
	s_mov_b64 s[20:21], 0
                                        ; implicit-def: $vgpr9
	s_branch .LBB70_2212
.LBB70_2142:
	s_mov_b64 s[22:23], -1
	s_mov_b64 s[20:21], 0
	s_mov_b64 s[0:1], 0
                                        ; implicit-def: $vgpr9
	s_branch .LBB70_2177
.LBB70_2143:
	s_mov_b64 s[22:23], -1
	s_mov_b64 s[20:21], 0
	s_mov_b64 s[0:1], 0
                                        ; implicit-def: $vgpr9
	s_branch .LBB70_2160
.LBB70_2144:
	s_mov_b64 s[22:23], -1
	s_mov_b64 s[20:21], 0
	s_mov_b64 s[0:1], 0
                                        ; implicit-def: $vgpr9
	s_branch .LBB70_2155
.LBB70_2145:
	s_trap 2
	s_or_b64 s[18:19], s[18:19], exec
	s_cbranch_execz .LBB70_2082
	s_branch .LBB70_2083
.LBB70_2146:
	s_mov_b64 s[22:23], -1
	s_mov_b64 s[20:21], 0
	s_mov_b64 s[0:1], 0
                                        ; implicit-def: $vgpr9
	s_branch .LBB70_2150
.LBB70_2147:
	s_andn2_saveexec_b64 s[48:49], s[48:49]
	s_cbranch_execz .LBB70_1061
.LBB70_2148:
	v_add_f32_e32 v2, 0x42800000, v3
	v_and_b32_e32 v2, 0xff, v2
	v_cmp_ne_u32_e32 vcc, 0, v2
	s_andn2_b64 s[46:47], s[46:47], exec
	s_and_b64 s[54:55], vcc, exec
	s_or_b64 s[46:47], s[46:47], s[54:55]
	s_or_b64 exec, exec, s[48:49]
	v_mov_b32_e32 v4, 0
	s_and_saveexec_b64 s[48:49], s[46:47]
	s_cbranch_execnz .LBB70_1062
	s_branch .LBB70_1063
.LBB70_2149:
	s_mov_b64 s[0:1], -1
                                        ; implicit-def: $vgpr9
	s_mov_b64 s[20:21], 0
.LBB70_2150:
	s_and_b64 vcc, exec, s[22:23]
	s_cbranch_vccz .LBB70_2154
; %bb.2151:
	s_cmp_eq_u32 s26, 44
	s_cbranch_scc0 .LBB70_2153
; %bb.2152:
	global_load_ubyte v5, v[7:8], off
	s_mov_b64 s[0:1], 0
	s_mov_b64 s[20:21], -1
	s_waitcnt vmcnt(0)
	v_lshlrev_b32_e32 v9, 23, v5
	v_cvt_i32_f32_e32 v9, v9
	v_cmp_ne_u32_e32 vcc, 0, v5
	v_cndmask_b32_e32 v9, 0, v9, vcc
	s_branch .LBB70_2154
.LBB70_2153:
	s_mov_b64 s[0:1], -1
                                        ; implicit-def: $vgpr9
.LBB70_2154:
	s_mov_b64 s[22:23], 0
.LBB70_2155:
	s_and_b64 vcc, exec, s[22:23]
	s_cbranch_vccz .LBB70_2159
; %bb.2156:
	s_cmp_eq_u32 s26, 29
	s_cbranch_scc0 .LBB70_2158
; %bb.2157:
	global_load_dwordx2 v[9:10], v[7:8], off
	s_mov_b64 s[0:1], 0
	s_mov_b64 s[20:21], -1
	s_branch .LBB70_2159
.LBB70_2158:
	s_mov_b64 s[0:1], -1
                                        ; implicit-def: $vgpr9
.LBB70_2159:
	s_mov_b64 s[22:23], 0
.LBB70_2160:
	s_and_b64 vcc, exec, s[22:23]
	s_cbranch_vccz .LBB70_2176
; %bb.2161:
	s_cmp_lt_i32 s26, 27
	s_cbranch_scc1 .LBB70_2164
; %bb.2162:
	s_cmp_gt_i32 s26, 27
	s_cbranch_scc0 .LBB70_2165
; %bb.2163:
	global_load_dword v9, v[7:8], off
	s_mov_b64 s[20:21], 0
	s_branch .LBB70_2166
.LBB70_2164:
	s_mov_b64 s[20:21], -1
                                        ; implicit-def: $vgpr9
	s_branch .LBB70_2169
.LBB70_2165:
	s_mov_b64 s[20:21], -1
                                        ; implicit-def: $vgpr9
.LBB70_2166:
	s_andn2_b64 vcc, exec, s[20:21]
	s_cbranch_vccnz .LBB70_2168
; %bb.2167:
	global_load_ushort v9, v[7:8], off
.LBB70_2168:
	s_mov_b64 s[20:21], 0
.LBB70_2169:
	s_andn2_b64 vcc, exec, s[20:21]
	s_cbranch_vccnz .LBB70_2175
; %bb.2170:
	global_load_ubyte v5, v[7:8], off
	s_movk_i32 s20, 0x7f
	s_mov_b64 s[22:23], 0
	s_waitcnt vmcnt(0)
	v_cmp_lt_i16_e32 vcc, s20, v5
	s_and_saveexec_b64 s[20:21], vcc
	s_xor_b64 s[20:21], exec, s[20:21]
	s_cbranch_execz .LBB70_2187
; %bb.2171:
	s_movk_i32 s22, 0x80
	v_cmp_ne_u16_e32 vcc, s22, v5
	s_and_b64 s[22:23], vcc, exec
	s_andn2_saveexec_b64 s[20:21], s[20:21]
	s_cbranch_execnz .LBB70_2188
.LBB70_2172:
	s_or_b64 exec, exec, s[20:21]
	v_mov_b32_e32 v9, 0
	s_and_saveexec_b64 s[20:21], s[22:23]
	s_cbranch_execz .LBB70_2174
.LBB70_2173:
	v_lshlrev_b32_e32 v9, 24, v5
	v_and_b32_e32 v5, 0xffff, v5
	v_and_b32_e32 v10, 7, v5
	v_ffbh_u32_e32 v13, v10
	v_min_u32_e32 v13, 32, v13
	v_subrev_u32_e32 v15, 28, v13
	v_bfe_u32 v12, v5, 3, 4
	v_lshlrev_b32_e32 v5, v15, v5
	v_sub_u32_e32 v13, 29, v13
	v_and_b32_e32 v5, 7, v5
	v_cmp_eq_u32_e32 vcc, 0, v12
	v_cndmask_b32_e32 v12, v12, v13, vcc
	v_cndmask_b32_e32 v5, v10, v5, vcc
	v_mov_b32_e32 v10, 0x3b800000
	v_lshlrev_b32_e32 v5, 20, v5
	v_and_b32_e32 v9, 0x80000000, v9
	v_lshl_add_u32 v10, v12, 23, v10
	v_or3_b32 v5, v9, v10, v5
	v_cvt_i32_f32_e32 v9, v5
.LBB70_2174:
	s_or_b64 exec, exec, s[20:21]
.LBB70_2175:
	s_mov_b64 s[20:21], -1
.LBB70_2176:
	s_mov_b64 s[22:23], 0
.LBB70_2177:
	s_and_b64 vcc, exec, s[22:23]
	s_cbranch_vccz .LBB70_2208
; %bb.2178:
	s_cmp_gt_i32 s26, 22
	s_cbranch_scc0 .LBB70_2186
; %bb.2179:
	s_cmp_lt_i32 s26, 24
	s_cbranch_scc1 .LBB70_2189
; %bb.2180:
	s_cmp_gt_i32 s26, 24
	s_cbranch_scc0 .LBB70_2190
; %bb.2181:
	global_load_ubyte v5, v[7:8], off
	s_movk_i32 s4, 0x7f
	s_mov_b64 s[20:21], 0
	s_waitcnt vmcnt(0)
	v_cmp_lt_i16_e32 vcc, s4, v5
	s_and_saveexec_b64 s[4:5], vcc
	s_xor_b64 s[4:5], exec, s[4:5]
	s_cbranch_execz .LBB70_2202
; %bb.2182:
	s_movk_i32 s20, 0x80
	v_cmp_ne_u16_e32 vcc, s20, v5
	s_and_b64 s[20:21], vcc, exec
	s_andn2_saveexec_b64 s[4:5], s[4:5]
	s_cbranch_execnz .LBB70_2203
.LBB70_2183:
	s_or_b64 exec, exec, s[4:5]
	v_mov_b32_e32 v9, 0
	s_and_saveexec_b64 s[4:5], s[20:21]
	s_cbranch_execz .LBB70_2185
.LBB70_2184:
	v_lshlrev_b32_e32 v9, 24, v5
	v_and_b32_e32 v5, 0xffff, v5
	v_and_b32_e32 v10, 3, v5
	v_ffbh_u32_e32 v13, v10
	v_min_u32_e32 v13, 32, v13
	v_subrev_u32_e32 v15, 29, v13
	v_bfe_u32 v12, v5, 2, 5
	v_lshlrev_b32_e32 v5, v15, v5
	v_sub_u32_e32 v13, 30, v13
	v_and_b32_e32 v5, 3, v5
	v_cmp_eq_u32_e32 vcc, 0, v12
	v_cndmask_b32_e32 v12, v12, v13, vcc
	v_cndmask_b32_e32 v5, v10, v5, vcc
	v_mov_b32_e32 v10, 0x37800000
	v_lshlrev_b32_e32 v5, 21, v5
	v_and_b32_e32 v9, 0x80000000, v9
	v_lshl_add_u32 v10, v12, 23, v10
	v_or3_b32 v5, v9, v10, v5
	v_cvt_i32_f32_e32 v9, v5
.LBB70_2185:
	s_or_b64 exec, exec, s[4:5]
	s_mov_b64 s[4:5], 0
	s_branch .LBB70_2191
.LBB70_2186:
	s_mov_b64 s[4:5], -1
                                        ; implicit-def: $vgpr9
	s_branch .LBB70_2197
.LBB70_2187:
	s_andn2_saveexec_b64 s[20:21], s[20:21]
	s_cbranch_execz .LBB70_2172
.LBB70_2188:
	v_cmp_ne_u16_e32 vcc, 0, v5
	s_andn2_b64 s[22:23], s[22:23], exec
	s_and_b64 s[28:29], vcc, exec
	s_or_b64 s[22:23], s[22:23], s[28:29]
	s_or_b64 exec, exec, s[20:21]
	v_mov_b32_e32 v9, 0
	s_and_saveexec_b64 s[20:21], s[22:23]
	s_cbranch_execnz .LBB70_2173
	s_branch .LBB70_2174
.LBB70_2189:
	s_mov_b64 s[4:5], -1
                                        ; implicit-def: $vgpr9
	s_branch .LBB70_2194
.LBB70_2190:
	s_mov_b64 s[4:5], -1
                                        ; implicit-def: $vgpr9
.LBB70_2191:
	s_and_b64 vcc, exec, s[4:5]
	s_cbranch_vccz .LBB70_2193
; %bb.2192:
	global_load_ubyte v5, v[7:8], off
	s_mov_b32 s4, 0x7f800000
	s_waitcnt vmcnt(0)
	v_lshlrev_b32_e32 v5, 24, v5
	v_and_b32_e32 v9, 0x7f000000, v5
	v_ffbh_u32_e32 v10, v9
	v_min_u32_e32 v10, 32, v10
	v_sub_u32_e64 v10, v10, 4 clamp
	v_lshlrev_b32_e32 v13, v10, v9
	v_lshlrev_b32_e32 v10, 23, v10
	v_lshrrev_b32_e32 v13, 4, v13
	v_add_u32_e32 v12, 0x1000000, v9
	v_sub_u32_e32 v10, v13, v10
	v_ashrrev_i32_e32 v12, 8, v12
	v_add_u32_e32 v10, 0x3c000000, v10
	v_and_or_b32 v10, v12, s4, v10
	v_cmp_ne_u32_e32 vcc, 0, v9
	v_cndmask_b32_e32 v9, 0, v10, vcc
	s_brev_b32 s4, 1
	v_and_or_b32 v5, v5, s4, v9
	v_cvt_i32_f32_e32 v9, v5
.LBB70_2193:
	s_mov_b64 s[4:5], 0
.LBB70_2194:
	s_andn2_b64 vcc, exec, s[4:5]
	s_cbranch_vccnz .LBB70_2196
; %bb.2195:
	global_load_ubyte v5, v[7:8], off
	s_movk_i32 s4, 0x7f00
	s_brev_b32 s5, 16
	s_waitcnt vmcnt(0)
	v_lshlrev_b16_e32 v9, 8, v5
	v_lshlrev_b32_e32 v5, 25, v5
	v_lshrrev_b32_e32 v10, 4, v5
	v_and_or_b32 v12, v9, s4, 0.5
	v_or_b32_e32 v10, 0x70000000, v10
	v_add_f32_e32 v12, -0.5, v12
	v_mul_f32_e32 v10, 0x7800000, v10
	v_cmp_gt_u32_e32 vcc, s5, v5
	v_bfe_i32 v9, v9, 0, 16
	v_cndmask_b32_e32 v5, v10, v12, vcc
	s_brev_b32 s4, 1
	v_and_or_b32 v5, v9, s4, v5
	v_cvt_i32_f32_e32 v9, v5
.LBB70_2196:
	s_mov_b64 s[4:5], 0
	s_mov_b64 s[20:21], -1
.LBB70_2197:
	s_andn2_b64 vcc, exec, s[4:5]
	s_mov_b64 s[4:5], 0
	s_cbranch_vccnz .LBB70_2208
; %bb.2198:
	s_cmp_gt_i32 s26, 14
	s_cbranch_scc0 .LBB70_2201
; %bb.2199:
	s_cmp_eq_u32 s26, 15
	s_cbranch_scc0 .LBB70_2204
; %bb.2200:
	global_load_ushort v5, v[7:8], off
	s_mov_b64 s[0:1], 0
	s_mov_b64 s[20:21], -1
	s_waitcnt vmcnt(0)
	v_lshlrev_b32_e32 v5, 16, v5
	v_cvt_i32_f32_e32 v9, v5
	s_branch .LBB70_2205
.LBB70_2201:
	s_mov_b64 s[22:23], -1
                                        ; implicit-def: $vgpr9
	s_branch .LBB70_2206
.LBB70_2202:
	s_andn2_saveexec_b64 s[4:5], s[4:5]
	s_cbranch_execz .LBB70_2183
.LBB70_2203:
	v_cmp_ne_u16_e32 vcc, 0, v5
	s_andn2_b64 s[20:21], s[20:21], exec
	s_and_b64 s[22:23], vcc, exec
	s_or_b64 s[20:21], s[20:21], s[22:23]
	s_or_b64 exec, exec, s[4:5]
	v_mov_b32_e32 v9, 0
	s_and_saveexec_b64 s[4:5], s[20:21]
	s_cbranch_execnz .LBB70_2184
	s_branch .LBB70_2185
.LBB70_2204:
	s_mov_b64 s[0:1], -1
                                        ; implicit-def: $vgpr9
.LBB70_2205:
	s_mov_b64 s[22:23], 0
.LBB70_2206:
	s_and_b64 vcc, exec, s[22:23]
	s_cbranch_vccz .LBB70_2208
; %bb.2207:
	s_cmp_lg_u32 s26, 11
	s_mov_b64 s[4:5], -1
	s_cselect_b64 s[0:1], -1, 0
.LBB70_2208:
	s_and_b64 vcc, exec, s[0:1]
	s_cbranch_vccnz .LBB70_2273
; %bb.2209:
	s_andn2_b64 vcc, exec, s[4:5]
	s_cbranch_vccnz .LBB70_2211
.LBB70_2210:
	global_load_ubyte v5, v[7:8], off
	s_mov_b64 s[20:21], -1
	s_waitcnt vmcnt(0)
	v_cmp_ne_u16_e32 vcc, 0, v5
	v_cndmask_b32_e64 v9, 0, 1, vcc
.LBB70_2211:
	s_mov_b64 s[0:1], 0
.LBB70_2212:
	s_and_b64 vcc, exec, s[0:1]
	s_cbranch_vccz .LBB70_2261
; %bb.2213:
	s_and_b32 s4, 0xffff, s25
	s_cmp_lt_i32 s4, 5
	s_cbranch_scc1 .LBB70_2218
; %bb.2214:
	s_cmp_lt_i32 s4, 8
	s_cbranch_scc1 .LBB70_2219
; %bb.2215:
	;; [unrolled: 3-line block ×3, first 2 shown]
	s_cmp_gt_i32 s4, 9
	s_cbranch_scc0 .LBB70_2221
; %bb.2217:
	global_load_dwordx2 v[9:10], v[7:8], off
	s_mov_b64 s[0:1], 0
	s_waitcnt vmcnt(0)
	v_cvt_i32_f64_e32 v9, v[9:10]
	s_branch .LBB70_2222
.LBB70_2218:
	s_mov_b64 s[0:1], -1
                                        ; implicit-def: $vgpr9
	s_branch .LBB70_2240
.LBB70_2219:
	s_mov_b64 s[0:1], -1
                                        ; implicit-def: $vgpr9
	s_branch .LBB70_2228
.LBB70_2220:
	s_mov_b64 s[0:1], -1
                                        ; implicit-def: $vgpr9
	s_branch .LBB70_2225
.LBB70_2221:
	s_mov_b64 s[0:1], -1
                                        ; implicit-def: $vgpr9
.LBB70_2222:
	s_andn2_b64 vcc, exec, s[0:1]
	s_cbranch_vccnz .LBB70_2224
; %bb.2223:
	global_load_dword v5, v[7:8], off
	s_waitcnt vmcnt(0)
	v_cvt_i32_f32_e32 v9, v5
.LBB70_2224:
	s_mov_b64 s[0:1], 0
.LBB70_2225:
	s_andn2_b64 vcc, exec, s[0:1]
	s_cbranch_vccnz .LBB70_2227
; %bb.2226:
	global_load_dword v5, v[7:8], off
	s_waitcnt vmcnt(0)
	v_cvt_i16_f16_e32 v9, v5
.LBB70_2227:
	s_mov_b64 s[0:1], 0
.LBB70_2228:
	s_andn2_b64 vcc, exec, s[0:1]
	s_cbranch_vccnz .LBB70_2239
; %bb.2229:
	s_cmp_lt_i32 s4, 6
	s_cbranch_scc1 .LBB70_2232
; %bb.2230:
	s_cmp_gt_i32 s4, 6
	s_cbranch_scc0 .LBB70_2233
; %bb.2231:
	global_load_dwordx2 v[9:10], v[7:8], off
	s_mov_b64 s[0:1], 0
	s_waitcnt vmcnt(0)
	v_cvt_i32_f64_e32 v9, v[9:10]
	s_branch .LBB70_2234
.LBB70_2232:
	s_mov_b64 s[0:1], -1
                                        ; implicit-def: $vgpr9
	s_branch .LBB70_2237
.LBB70_2233:
	s_mov_b64 s[0:1], -1
                                        ; implicit-def: $vgpr9
.LBB70_2234:
	s_andn2_b64 vcc, exec, s[0:1]
	s_cbranch_vccnz .LBB70_2236
; %bb.2235:
	global_load_dword v5, v[7:8], off
	s_waitcnt vmcnt(0)
	v_cvt_i32_f32_e32 v9, v5
.LBB70_2236:
	s_mov_b64 s[0:1], 0
.LBB70_2237:
	s_andn2_b64 vcc, exec, s[0:1]
	s_cbranch_vccnz .LBB70_2239
; %bb.2238:
	global_load_ushort v5, v[7:8], off
	s_waitcnt vmcnt(0)
	v_cvt_i16_f16_e32 v9, v5
.LBB70_2239:
	s_mov_b64 s[0:1], 0
.LBB70_2240:
	s_andn2_b64 vcc, exec, s[0:1]
	s_cbranch_vccnz .LBB70_2260
; %bb.2241:
	s_cmp_lt_i32 s4, 2
	s_cbranch_scc1 .LBB70_2245
; %bb.2242:
	s_cmp_lt_i32 s4, 3
	s_cbranch_scc1 .LBB70_2246
; %bb.2243:
	s_cmp_gt_i32 s4, 3
	s_cbranch_scc0 .LBB70_2247
; %bb.2244:
	global_load_dwordx2 v[9:10], v[7:8], off
	s_mov_b64 s[0:1], 0
	s_branch .LBB70_2248
.LBB70_2245:
	s_mov_b64 s[0:1], -1
                                        ; implicit-def: $vgpr9
	s_branch .LBB70_2254
.LBB70_2246:
	s_mov_b64 s[0:1], -1
                                        ; implicit-def: $vgpr9
	s_branch .LBB70_2251
.LBB70_2247:
	s_mov_b64 s[0:1], -1
                                        ; implicit-def: $vgpr9
.LBB70_2248:
	s_andn2_b64 vcc, exec, s[0:1]
	s_cbranch_vccnz .LBB70_2250
; %bb.2249:
	global_load_dword v9, v[7:8], off
.LBB70_2250:
	s_mov_b64 s[0:1], 0
.LBB70_2251:
	s_andn2_b64 vcc, exec, s[0:1]
	s_cbranch_vccnz .LBB70_2253
; %bb.2252:
	global_load_ushort v9, v[7:8], off
.LBB70_2253:
	s_mov_b64 s[0:1], 0
.LBB70_2254:
	s_andn2_b64 vcc, exec, s[0:1]
	s_cbranch_vccnz .LBB70_2260
; %bb.2255:
	s_cmp_gt_i32 s4, 0
	s_cbranch_scc0 .LBB70_2257
; %bb.2256:
	global_load_sbyte v9, v[7:8], off
	s_mov_b64 s[0:1], 0
	s_branch .LBB70_2258
.LBB70_2257:
	s_mov_b64 s[0:1], -1
                                        ; implicit-def: $vgpr9
.LBB70_2258:
	s_andn2_b64 vcc, exec, s[0:1]
	s_cbranch_vccnz .LBB70_2260
; %bb.2259:
	global_load_ubyte v9, v[7:8], off
.LBB70_2260:
	s_mov_b64 s[20:21], -1
.LBB70_2261:
	s_andn2_b64 vcc, exec, s[20:21]
	s_cbranch_vccnz .LBB70_2947
; %bb.2262:
	v_add_u32_e32 v5, s13, v11
	v_ashrrev_i32_e32 v7, 31, v5
	v_mov_b32_e32 v8, s11
	s_waitcnt vmcnt(0)
	v_add_co_u32_e32 v10, vcc, s10, v5
	s_cmp_lt_i32 s24, 11
	v_addc_co_u32_e32 v11, vcc, v8, v7, vcc
	s_cbranch_scc1 .LBB70_2269
; %bb.2263:
	s_and_b32 s13, 0xffff, s24
	s_cmp_gt_i32 s13, 25
	s_mov_b64 s[4:5], 0
	s_cbranch_scc0 .LBB70_2270
; %bb.2264:
	s_cmp_gt_i32 s13, 28
	s_cbranch_scc0 .LBB70_2271
; %bb.2265:
	s_cmp_gt_i32 s13, 43
	;; [unrolled: 3-line block ×3, first 2 shown]
	s_cbranch_scc0 .LBB70_2274
; %bb.2267:
	s_cmp_eq_u32 s13, 46
	s_mov_b64 s[20:21], 0
	s_cbranch_scc0 .LBB70_2275
; %bb.2268:
	global_load_dword v5, v[10:11], off
	s_mov_b64 s[0:1], 0
	s_mov_b64 s[10:11], -1
	s_waitcnt vmcnt(0)
	v_lshlrev_b32_e32 v5, 16, v5
	v_cvt_i32_f32_e32 v7, v5
	s_branch .LBB70_2276
.LBB70_2269:
	s_mov_b64 s[0:1], -1
	s_mov_b64 s[10:11], 0
                                        ; implicit-def: $vgpr7
	s_branch .LBB70_2338
.LBB70_2270:
	s_mov_b64 s[20:21], -1
	s_mov_b64 s[10:11], 0
	s_mov_b64 s[0:1], 0
                                        ; implicit-def: $vgpr7
	s_branch .LBB70_2303
.LBB70_2271:
	s_mov_b64 s[20:21], -1
	s_mov_b64 s[10:11], 0
	s_mov_b64 s[0:1], 0
                                        ; implicit-def: $vgpr7
	s_branch .LBB70_2286
.LBB70_2272:
	s_mov_b64 s[20:21], -1
	s_mov_b64 s[10:11], 0
	s_mov_b64 s[0:1], 0
                                        ; implicit-def: $vgpr7
	s_branch .LBB70_2281
.LBB70_2273:
	s_trap 2
	s_or_b64 s[18:19], s[18:19], exec
	s_cbranch_execz .LBB70_2210
	s_branch .LBB70_2211
.LBB70_2274:
	s_mov_b64 s[20:21], -1
	s_mov_b64 s[10:11], 0
	s_mov_b64 s[0:1], 0
                                        ; implicit-def: $vgpr7
	s_branch .LBB70_2276
.LBB70_2275:
	s_mov_b64 s[0:1], -1
                                        ; implicit-def: $vgpr7
	s_mov_b64 s[10:11], 0
.LBB70_2276:
	s_and_b64 vcc, exec, s[20:21]
	s_cbranch_vccz .LBB70_2280
; %bb.2277:
	s_cmp_eq_u32 s13, 44
	s_cbranch_scc0 .LBB70_2279
; %bb.2278:
	global_load_ubyte v5, v[10:11], off
	s_mov_b64 s[0:1], 0
	s_mov_b64 s[10:11], -1
	s_waitcnt vmcnt(0)
	v_lshlrev_b32_e32 v7, 23, v5
	v_cvt_i32_f32_e32 v7, v7
	v_cmp_ne_u32_e32 vcc, 0, v5
	v_cndmask_b32_e32 v7, 0, v7, vcc
	s_branch .LBB70_2280
.LBB70_2279:
	s_mov_b64 s[0:1], -1
                                        ; implicit-def: $vgpr7
.LBB70_2280:
	s_mov_b64 s[20:21], 0
.LBB70_2281:
	s_and_b64 vcc, exec, s[20:21]
	s_cbranch_vccz .LBB70_2285
; %bb.2282:
	s_cmp_eq_u32 s13, 29
	s_cbranch_scc0 .LBB70_2284
; %bb.2283:
	global_load_dwordx2 v[7:8], v[10:11], off
	s_mov_b64 s[0:1], 0
	s_mov_b64 s[10:11], -1
	s_branch .LBB70_2285
.LBB70_2284:
	s_mov_b64 s[0:1], -1
                                        ; implicit-def: $vgpr7
.LBB70_2285:
	s_mov_b64 s[20:21], 0
.LBB70_2286:
	s_and_b64 vcc, exec, s[20:21]
	s_cbranch_vccz .LBB70_2302
; %bb.2287:
	s_cmp_lt_i32 s13, 27
	s_cbranch_scc1 .LBB70_2290
; %bb.2288:
	s_cmp_gt_i32 s13, 27
	s_cbranch_scc0 .LBB70_2291
; %bb.2289:
	global_load_dword v7, v[10:11], off
	s_mov_b64 s[10:11], 0
	s_branch .LBB70_2292
.LBB70_2290:
	s_mov_b64 s[10:11], -1
                                        ; implicit-def: $vgpr7
	s_branch .LBB70_2295
.LBB70_2291:
	s_mov_b64 s[10:11], -1
                                        ; implicit-def: $vgpr7
.LBB70_2292:
	s_andn2_b64 vcc, exec, s[10:11]
	s_cbranch_vccnz .LBB70_2294
; %bb.2293:
	global_load_ushort v7, v[10:11], off
.LBB70_2294:
	s_mov_b64 s[10:11], 0
.LBB70_2295:
	s_andn2_b64 vcc, exec, s[10:11]
	s_cbranch_vccnz .LBB70_2301
; %bb.2296:
	global_load_ubyte v5, v[10:11], off
	s_movk_i32 s10, 0x7f
	s_mov_b64 s[20:21], 0
	s_waitcnt vmcnt(0)
	v_cmp_lt_i16_e32 vcc, s10, v5
	s_and_saveexec_b64 s[10:11], vcc
	s_xor_b64 s[10:11], exec, s[10:11]
	s_cbranch_execz .LBB70_2313
; %bb.2297:
	s_movk_i32 s20, 0x80
	v_cmp_ne_u16_e32 vcc, s20, v5
	s_and_b64 s[20:21], vcc, exec
	s_andn2_saveexec_b64 s[10:11], s[10:11]
	s_cbranch_execnz .LBB70_2314
.LBB70_2298:
	s_or_b64 exec, exec, s[10:11]
	v_mov_b32_e32 v7, 0
	s_and_saveexec_b64 s[10:11], s[20:21]
	s_cbranch_execz .LBB70_2300
.LBB70_2299:
	v_lshlrev_b32_e32 v7, 24, v5
	v_and_b32_e32 v5, 0xffff, v5
	v_and_b32_e32 v8, 7, v5
	v_ffbh_u32_e32 v13, v8
	v_min_u32_e32 v13, 32, v13
	v_subrev_u32_e32 v15, 28, v13
	v_bfe_u32 v12, v5, 3, 4
	v_lshlrev_b32_e32 v5, v15, v5
	v_sub_u32_e32 v13, 29, v13
	v_and_b32_e32 v5, 7, v5
	v_cmp_eq_u32_e32 vcc, 0, v12
	v_cndmask_b32_e32 v12, v12, v13, vcc
	v_cndmask_b32_e32 v5, v8, v5, vcc
	v_mov_b32_e32 v8, 0x3b800000
	v_lshlrev_b32_e32 v5, 20, v5
	v_and_b32_e32 v7, 0x80000000, v7
	v_lshl_add_u32 v8, v12, 23, v8
	v_or3_b32 v5, v7, v8, v5
	v_cvt_i32_f32_e32 v7, v5
.LBB70_2300:
	s_or_b64 exec, exec, s[10:11]
.LBB70_2301:
	s_mov_b64 s[10:11], -1
.LBB70_2302:
	s_mov_b64 s[20:21], 0
.LBB70_2303:
	s_and_b64 vcc, exec, s[20:21]
	s_cbranch_vccz .LBB70_2334
; %bb.2304:
	s_cmp_gt_i32 s13, 22
	s_cbranch_scc0 .LBB70_2312
; %bb.2305:
	s_cmp_lt_i32 s13, 24
	s_cbranch_scc1 .LBB70_2315
; %bb.2306:
	s_cmp_gt_i32 s13, 24
	s_cbranch_scc0 .LBB70_2316
; %bb.2307:
	global_load_ubyte v5, v[10:11], off
	s_movk_i32 s4, 0x7f
	s_mov_b64 s[10:11], 0
	s_waitcnt vmcnt(0)
	v_cmp_lt_i16_e32 vcc, s4, v5
	s_and_saveexec_b64 s[4:5], vcc
	s_xor_b64 s[4:5], exec, s[4:5]
	s_cbranch_execz .LBB70_2328
; %bb.2308:
	s_movk_i32 s10, 0x80
	v_cmp_ne_u16_e32 vcc, s10, v5
	s_and_b64 s[10:11], vcc, exec
	s_andn2_saveexec_b64 s[4:5], s[4:5]
	s_cbranch_execnz .LBB70_2329
.LBB70_2309:
	s_or_b64 exec, exec, s[4:5]
	v_mov_b32_e32 v7, 0
	s_and_saveexec_b64 s[4:5], s[10:11]
	s_cbranch_execz .LBB70_2311
.LBB70_2310:
	v_lshlrev_b32_e32 v7, 24, v5
	v_and_b32_e32 v5, 0xffff, v5
	v_and_b32_e32 v8, 3, v5
	v_ffbh_u32_e32 v13, v8
	v_min_u32_e32 v13, 32, v13
	v_subrev_u32_e32 v15, 29, v13
	v_bfe_u32 v12, v5, 2, 5
	v_lshlrev_b32_e32 v5, v15, v5
	v_sub_u32_e32 v13, 30, v13
	v_and_b32_e32 v5, 3, v5
	v_cmp_eq_u32_e32 vcc, 0, v12
	v_cndmask_b32_e32 v12, v12, v13, vcc
	v_cndmask_b32_e32 v5, v8, v5, vcc
	v_mov_b32_e32 v8, 0x37800000
	v_lshlrev_b32_e32 v5, 21, v5
	v_and_b32_e32 v7, 0x80000000, v7
	v_lshl_add_u32 v8, v12, 23, v8
	v_or3_b32 v5, v7, v8, v5
	v_cvt_i32_f32_e32 v7, v5
.LBB70_2311:
	s_or_b64 exec, exec, s[4:5]
	s_mov_b64 s[4:5], 0
	s_branch .LBB70_2317
.LBB70_2312:
	s_mov_b64 s[4:5], -1
                                        ; implicit-def: $vgpr7
	s_branch .LBB70_2323
.LBB70_2313:
	s_andn2_saveexec_b64 s[10:11], s[10:11]
	s_cbranch_execz .LBB70_2298
.LBB70_2314:
	v_cmp_ne_u16_e32 vcc, 0, v5
	s_andn2_b64 s[20:21], s[20:21], exec
	s_and_b64 s[22:23], vcc, exec
	s_or_b64 s[20:21], s[20:21], s[22:23]
	s_or_b64 exec, exec, s[10:11]
	v_mov_b32_e32 v7, 0
	s_and_saveexec_b64 s[10:11], s[20:21]
	s_cbranch_execnz .LBB70_2299
	s_branch .LBB70_2300
.LBB70_2315:
	s_mov_b64 s[4:5], -1
                                        ; implicit-def: $vgpr7
	s_branch .LBB70_2320
.LBB70_2316:
	s_mov_b64 s[4:5], -1
                                        ; implicit-def: $vgpr7
.LBB70_2317:
	s_and_b64 vcc, exec, s[4:5]
	s_cbranch_vccz .LBB70_2319
; %bb.2318:
	global_load_ubyte v5, v[10:11], off
	s_mov_b32 s4, 0x7f800000
	s_waitcnt vmcnt(0)
	v_lshlrev_b32_e32 v5, 24, v5
	v_and_b32_e32 v7, 0x7f000000, v5
	v_ffbh_u32_e32 v8, v7
	v_min_u32_e32 v8, 32, v8
	v_sub_u32_e64 v8, v8, 4 clamp
	v_lshlrev_b32_e32 v13, v8, v7
	v_lshlrev_b32_e32 v8, 23, v8
	v_lshrrev_b32_e32 v13, 4, v13
	v_add_u32_e32 v12, 0x1000000, v7
	v_sub_u32_e32 v8, v13, v8
	v_ashrrev_i32_e32 v12, 8, v12
	v_add_u32_e32 v8, 0x3c000000, v8
	v_and_or_b32 v8, v12, s4, v8
	v_cmp_ne_u32_e32 vcc, 0, v7
	v_cndmask_b32_e32 v7, 0, v8, vcc
	s_brev_b32 s4, 1
	v_and_or_b32 v5, v5, s4, v7
	v_cvt_i32_f32_e32 v7, v5
.LBB70_2319:
	s_mov_b64 s[4:5], 0
.LBB70_2320:
	s_andn2_b64 vcc, exec, s[4:5]
	s_cbranch_vccnz .LBB70_2322
; %bb.2321:
	global_load_ubyte v5, v[10:11], off
	s_movk_i32 s4, 0x7f00
	s_brev_b32 s5, 16
	s_waitcnt vmcnt(0)
	v_lshlrev_b16_e32 v7, 8, v5
	v_lshlrev_b32_e32 v5, 25, v5
	v_lshrrev_b32_e32 v8, 4, v5
	v_and_or_b32 v12, v7, s4, 0.5
	v_or_b32_e32 v8, 0x70000000, v8
	v_add_f32_e32 v12, -0.5, v12
	v_mul_f32_e32 v8, 0x7800000, v8
	v_cmp_gt_u32_e32 vcc, s5, v5
	v_bfe_i32 v7, v7, 0, 16
	v_cndmask_b32_e32 v5, v8, v12, vcc
	s_brev_b32 s4, 1
	v_and_or_b32 v5, v7, s4, v5
	v_cvt_i32_f32_e32 v7, v5
.LBB70_2322:
	s_mov_b64 s[4:5], 0
	s_mov_b64 s[10:11], -1
.LBB70_2323:
	s_andn2_b64 vcc, exec, s[4:5]
	s_mov_b64 s[4:5], 0
	s_cbranch_vccnz .LBB70_2334
; %bb.2324:
	s_cmp_gt_i32 s13, 14
	s_cbranch_scc0 .LBB70_2327
; %bb.2325:
	s_cmp_eq_u32 s13, 15
	s_cbranch_scc0 .LBB70_2330
; %bb.2326:
	global_load_ushort v5, v[10:11], off
	s_mov_b64 s[0:1], 0
	s_mov_b64 s[10:11], -1
	s_waitcnt vmcnt(0)
	v_lshlrev_b32_e32 v5, 16, v5
	v_cvt_i32_f32_e32 v7, v5
	s_branch .LBB70_2331
.LBB70_2327:
	s_mov_b64 s[20:21], -1
                                        ; implicit-def: $vgpr7
	s_branch .LBB70_2332
.LBB70_2328:
	s_andn2_saveexec_b64 s[4:5], s[4:5]
	s_cbranch_execz .LBB70_2309
.LBB70_2329:
	v_cmp_ne_u16_e32 vcc, 0, v5
	s_andn2_b64 s[10:11], s[10:11], exec
	s_and_b64 s[20:21], vcc, exec
	s_or_b64 s[10:11], s[10:11], s[20:21]
	s_or_b64 exec, exec, s[4:5]
	v_mov_b32_e32 v7, 0
	s_and_saveexec_b64 s[4:5], s[10:11]
	s_cbranch_execnz .LBB70_2310
	s_branch .LBB70_2311
.LBB70_2330:
	s_mov_b64 s[0:1], -1
                                        ; implicit-def: $vgpr7
.LBB70_2331:
	s_mov_b64 s[20:21], 0
.LBB70_2332:
	s_and_b64 vcc, exec, s[20:21]
	s_cbranch_vccz .LBB70_2334
; %bb.2333:
	s_cmp_lg_u32 s13, 11
	s_mov_b64 s[4:5], -1
	s_cselect_b64 s[0:1], -1, 0
.LBB70_2334:
	s_and_b64 vcc, exec, s[0:1]
	s_cbranch_vccnz .LBB70_2399
; %bb.2335:
	s_andn2_b64 vcc, exec, s[4:5]
	s_cbranch_vccnz .LBB70_2337
.LBB70_2336:
	global_load_ubyte v5, v[10:11], off
	s_mov_b64 s[10:11], -1
	s_waitcnt vmcnt(0)
	v_cmp_ne_u16_e32 vcc, 0, v5
	v_cndmask_b32_e64 v7, 0, 1, vcc
.LBB70_2337:
	s_mov_b64 s[0:1], 0
.LBB70_2338:
	s_and_b64 vcc, exec, s[0:1]
	s_cbranch_vccz .LBB70_2387
; %bb.2339:
	s_and_b32 s4, 0xffff, s24
	s_cmp_lt_i32 s4, 5
	s_cbranch_scc1 .LBB70_2344
; %bb.2340:
	s_cmp_lt_i32 s4, 8
	s_cbranch_scc1 .LBB70_2345
; %bb.2341:
	;; [unrolled: 3-line block ×3, first 2 shown]
	s_cmp_gt_i32 s4, 9
	s_cbranch_scc0 .LBB70_2347
; %bb.2343:
	global_load_dwordx2 v[7:8], v[10:11], off
	s_mov_b64 s[0:1], 0
	s_waitcnt vmcnt(0)
	v_cvt_i32_f64_e32 v7, v[7:8]
	s_branch .LBB70_2348
.LBB70_2344:
	s_mov_b64 s[0:1], -1
                                        ; implicit-def: $vgpr7
	s_branch .LBB70_2366
.LBB70_2345:
	s_mov_b64 s[0:1], -1
                                        ; implicit-def: $vgpr7
	s_branch .LBB70_2354
.LBB70_2346:
	s_mov_b64 s[0:1], -1
                                        ; implicit-def: $vgpr7
	s_branch .LBB70_2351
.LBB70_2347:
	s_mov_b64 s[0:1], -1
                                        ; implicit-def: $vgpr7
.LBB70_2348:
	s_andn2_b64 vcc, exec, s[0:1]
	s_cbranch_vccnz .LBB70_2350
; %bb.2349:
	global_load_dword v5, v[10:11], off
	s_waitcnt vmcnt(0)
	v_cvt_i32_f32_e32 v7, v5
.LBB70_2350:
	s_mov_b64 s[0:1], 0
.LBB70_2351:
	s_andn2_b64 vcc, exec, s[0:1]
	s_cbranch_vccnz .LBB70_2353
; %bb.2352:
	global_load_dword v5, v[10:11], off
	s_waitcnt vmcnt(0)
	v_cvt_i16_f16_e32 v7, v5
.LBB70_2353:
	s_mov_b64 s[0:1], 0
.LBB70_2354:
	s_andn2_b64 vcc, exec, s[0:1]
	s_cbranch_vccnz .LBB70_2365
; %bb.2355:
	s_cmp_lt_i32 s4, 6
	s_cbranch_scc1 .LBB70_2358
; %bb.2356:
	s_cmp_gt_i32 s4, 6
	s_cbranch_scc0 .LBB70_2359
; %bb.2357:
	global_load_dwordx2 v[7:8], v[10:11], off
	s_mov_b64 s[0:1], 0
	s_waitcnt vmcnt(0)
	v_cvt_i32_f64_e32 v7, v[7:8]
	s_branch .LBB70_2360
.LBB70_2358:
	s_mov_b64 s[0:1], -1
                                        ; implicit-def: $vgpr7
	s_branch .LBB70_2363
.LBB70_2359:
	s_mov_b64 s[0:1], -1
                                        ; implicit-def: $vgpr7
.LBB70_2360:
	s_andn2_b64 vcc, exec, s[0:1]
	s_cbranch_vccnz .LBB70_2362
; %bb.2361:
	global_load_dword v5, v[10:11], off
	s_waitcnt vmcnt(0)
	v_cvt_i32_f32_e32 v7, v5
.LBB70_2362:
	s_mov_b64 s[0:1], 0
.LBB70_2363:
	s_andn2_b64 vcc, exec, s[0:1]
	s_cbranch_vccnz .LBB70_2365
; %bb.2364:
	global_load_ushort v5, v[10:11], off
	s_waitcnt vmcnt(0)
	v_cvt_i16_f16_e32 v7, v5
.LBB70_2365:
	s_mov_b64 s[0:1], 0
.LBB70_2366:
	s_andn2_b64 vcc, exec, s[0:1]
	s_cbranch_vccnz .LBB70_2386
; %bb.2367:
	s_cmp_lt_i32 s4, 2
	s_cbranch_scc1 .LBB70_2371
; %bb.2368:
	s_cmp_lt_i32 s4, 3
	s_cbranch_scc1 .LBB70_2372
; %bb.2369:
	s_cmp_gt_i32 s4, 3
	s_cbranch_scc0 .LBB70_2373
; %bb.2370:
	global_load_dwordx2 v[7:8], v[10:11], off
	s_mov_b64 s[0:1], 0
	s_branch .LBB70_2374
.LBB70_2371:
	s_mov_b64 s[0:1], -1
                                        ; implicit-def: $vgpr7
	s_branch .LBB70_2380
.LBB70_2372:
	s_mov_b64 s[0:1], -1
                                        ; implicit-def: $vgpr7
	s_branch .LBB70_2377
.LBB70_2373:
	s_mov_b64 s[0:1], -1
                                        ; implicit-def: $vgpr7
.LBB70_2374:
	s_andn2_b64 vcc, exec, s[0:1]
	s_cbranch_vccnz .LBB70_2376
; %bb.2375:
	global_load_dword v7, v[10:11], off
.LBB70_2376:
	s_mov_b64 s[0:1], 0
.LBB70_2377:
	s_andn2_b64 vcc, exec, s[0:1]
	s_cbranch_vccnz .LBB70_2379
; %bb.2378:
	global_load_ushort v7, v[10:11], off
.LBB70_2379:
	s_mov_b64 s[0:1], 0
.LBB70_2380:
	s_andn2_b64 vcc, exec, s[0:1]
	s_cbranch_vccnz .LBB70_2386
; %bb.2381:
	s_cmp_gt_i32 s4, 0
	s_cbranch_scc0 .LBB70_2383
; %bb.2382:
	global_load_sbyte v7, v[10:11], off
	s_mov_b64 s[0:1], 0
	s_branch .LBB70_2384
.LBB70_2383:
	s_mov_b64 s[0:1], -1
                                        ; implicit-def: $vgpr7
.LBB70_2384:
	s_andn2_b64 vcc, exec, s[0:1]
	s_cbranch_vccnz .LBB70_2386
; %bb.2385:
	global_load_ubyte v7, v[10:11], off
.LBB70_2386:
	s_mov_b64 s[10:11], -1
.LBB70_2387:
	s_andn2_b64 vcc, exec, s[10:11]
	s_cbranch_vccnz .LBB70_2947
; %bb.2388:
	v_add_u32_e32 v2, s14, v2
	v_ashrrev_i32_e32 v5, 31, v2
	s_waitcnt vmcnt(0)
	v_mov_b32_e32 v8, s3
	v_add_co_u32_e32 v12, vcc, s2, v2
	s_cmp_lt_i32 s25, 11
	v_addc_co_u32_e32 v13, vcc, v8, v5, vcc
	s_cbranch_scc1 .LBB70_2395
; %bb.2389:
	s_and_b32 s13, 0xffff, s25
	s_cmp_gt_i32 s13, 25
	s_mov_b64 s[2:3], 0
	s_cbranch_scc0 .LBB70_2396
; %bb.2390:
	s_cmp_gt_i32 s13, 28
	s_cbranch_scc0 .LBB70_2397
; %bb.2391:
	s_cmp_gt_i32 s13, 43
	;; [unrolled: 3-line block ×3, first 2 shown]
	s_cbranch_scc0 .LBB70_2400
; %bb.2393:
	s_cmp_eq_u32 s13, 46
	s_mov_b64 s[10:11], 0
	s_cbranch_scc0 .LBB70_2401
; %bb.2394:
	global_load_dword v2, v[12:13], off
	s_mov_b64 s[0:1], 0
	s_mov_b64 s[4:5], -1
	s_waitcnt vmcnt(0)
	v_lshlrev_b32_e32 v2, 16, v2
	v_cvt_i32_f32_e32 v10, v2
	s_branch .LBB70_2402
.LBB70_2395:
	s_mov_b64 s[0:1], -1
	s_mov_b64 s[4:5], 0
                                        ; implicit-def: $vgpr10
	s_branch .LBB70_2464
.LBB70_2396:
	s_mov_b64 s[10:11], -1
	s_mov_b64 s[4:5], 0
	s_mov_b64 s[0:1], 0
                                        ; implicit-def: $vgpr10
	s_branch .LBB70_2429
.LBB70_2397:
	s_mov_b64 s[10:11], -1
	s_mov_b64 s[4:5], 0
	s_mov_b64 s[0:1], 0
                                        ; implicit-def: $vgpr10
	s_branch .LBB70_2412
.LBB70_2398:
	s_mov_b64 s[10:11], -1
	s_mov_b64 s[4:5], 0
	s_mov_b64 s[0:1], 0
                                        ; implicit-def: $vgpr10
	s_branch .LBB70_2407
.LBB70_2399:
	s_trap 2
	s_or_b64 s[18:19], s[18:19], exec
	s_cbranch_execz .LBB70_2336
	s_branch .LBB70_2337
.LBB70_2400:
	s_mov_b64 s[10:11], -1
	s_mov_b64 s[4:5], 0
	s_mov_b64 s[0:1], 0
                                        ; implicit-def: $vgpr10
	s_branch .LBB70_2402
.LBB70_2401:
	s_mov_b64 s[0:1], -1
                                        ; implicit-def: $vgpr10
	s_mov_b64 s[4:5], 0
.LBB70_2402:
	s_and_b64 vcc, exec, s[10:11]
	s_cbranch_vccz .LBB70_2406
; %bb.2403:
	s_cmp_eq_u32 s13, 44
	s_cbranch_scc0 .LBB70_2405
; %bb.2404:
	global_load_ubyte v2, v[12:13], off
	s_mov_b64 s[0:1], 0
	s_mov_b64 s[4:5], -1
	s_waitcnt vmcnt(0)
	v_lshlrev_b32_e32 v5, 23, v2
	v_cvt_i32_f32_e32 v5, v5
	v_cmp_ne_u32_e32 vcc, 0, v2
	v_cndmask_b32_e32 v10, 0, v5, vcc
	s_branch .LBB70_2406
.LBB70_2405:
	s_mov_b64 s[0:1], -1
                                        ; implicit-def: $vgpr10
.LBB70_2406:
	s_mov_b64 s[10:11], 0
.LBB70_2407:
	s_and_b64 vcc, exec, s[10:11]
	s_cbranch_vccz .LBB70_2411
; %bb.2408:
	s_cmp_eq_u32 s13, 29
	s_cbranch_scc0 .LBB70_2410
; %bb.2409:
	global_load_dwordx2 v[10:11], v[12:13], off
	s_mov_b64 s[0:1], 0
	s_mov_b64 s[4:5], -1
	s_branch .LBB70_2411
.LBB70_2410:
	s_mov_b64 s[0:1], -1
                                        ; implicit-def: $vgpr10
.LBB70_2411:
	s_mov_b64 s[10:11], 0
.LBB70_2412:
	s_and_b64 vcc, exec, s[10:11]
	s_cbranch_vccz .LBB70_2428
; %bb.2413:
	s_cmp_lt_i32 s13, 27
	s_cbranch_scc1 .LBB70_2416
; %bb.2414:
	s_cmp_gt_i32 s13, 27
	s_cbranch_scc0 .LBB70_2417
; %bb.2415:
	global_load_dword v10, v[12:13], off
	s_mov_b64 s[4:5], 0
	s_branch .LBB70_2418
.LBB70_2416:
	s_mov_b64 s[4:5], -1
                                        ; implicit-def: $vgpr10
	s_branch .LBB70_2421
.LBB70_2417:
	s_mov_b64 s[4:5], -1
                                        ; implicit-def: $vgpr10
.LBB70_2418:
	s_andn2_b64 vcc, exec, s[4:5]
	s_cbranch_vccnz .LBB70_2420
; %bb.2419:
	global_load_ushort v10, v[12:13], off
.LBB70_2420:
	s_mov_b64 s[4:5], 0
.LBB70_2421:
	s_andn2_b64 vcc, exec, s[4:5]
	s_cbranch_vccnz .LBB70_2427
; %bb.2422:
	global_load_ubyte v2, v[12:13], off
	s_movk_i32 s4, 0x7f
	s_mov_b64 s[10:11], 0
	s_waitcnt vmcnt(0)
	v_cmp_lt_i16_e32 vcc, s4, v2
	s_and_saveexec_b64 s[4:5], vcc
	s_xor_b64 s[4:5], exec, s[4:5]
	s_cbranch_execz .LBB70_2439
; %bb.2423:
	s_movk_i32 s10, 0x80
	v_cmp_ne_u16_e32 vcc, s10, v2
	s_and_b64 s[10:11], vcc, exec
	s_andn2_saveexec_b64 s[4:5], s[4:5]
	s_cbranch_execnz .LBB70_2440
.LBB70_2424:
	s_or_b64 exec, exec, s[4:5]
	v_mov_b32_e32 v10, 0
	s_and_saveexec_b64 s[4:5], s[10:11]
	s_cbranch_execz .LBB70_2426
.LBB70_2425:
	v_lshlrev_b32_e32 v5, 24, v2
	v_and_b32_e32 v2, 0xffff, v2
	v_and_b32_e32 v8, 7, v2
	v_ffbh_u32_e32 v11, v8
	v_min_u32_e32 v11, 32, v11
	v_subrev_u32_e32 v15, 28, v11
	v_bfe_u32 v10, v2, 3, 4
	v_lshlrev_b32_e32 v2, v15, v2
	v_sub_u32_e32 v11, 29, v11
	v_and_b32_e32 v2, 7, v2
	v_cmp_eq_u32_e32 vcc, 0, v10
	v_cndmask_b32_e32 v10, v10, v11, vcc
	v_cndmask_b32_e32 v2, v8, v2, vcc
	v_mov_b32_e32 v8, 0x3b800000
	v_lshlrev_b32_e32 v2, 20, v2
	v_and_b32_e32 v5, 0x80000000, v5
	v_lshl_add_u32 v8, v10, 23, v8
	v_or3_b32 v2, v5, v8, v2
	v_cvt_i32_f32_e32 v10, v2
.LBB70_2426:
	s_or_b64 exec, exec, s[4:5]
.LBB70_2427:
	s_mov_b64 s[4:5], -1
.LBB70_2428:
	s_mov_b64 s[10:11], 0
.LBB70_2429:
	s_and_b64 vcc, exec, s[10:11]
	s_cbranch_vccz .LBB70_2460
; %bb.2430:
	s_cmp_gt_i32 s13, 22
	s_cbranch_scc0 .LBB70_2438
; %bb.2431:
	s_cmp_lt_i32 s13, 24
	s_cbranch_scc1 .LBB70_2441
; %bb.2432:
	s_cmp_gt_i32 s13, 24
	s_cbranch_scc0 .LBB70_2442
; %bb.2433:
	global_load_ubyte v2, v[12:13], off
	s_movk_i32 s2, 0x7f
	s_mov_b64 s[4:5], 0
	s_waitcnt vmcnt(0)
	v_cmp_lt_i16_e32 vcc, s2, v2
	s_and_saveexec_b64 s[2:3], vcc
	s_xor_b64 s[2:3], exec, s[2:3]
	s_cbranch_execz .LBB70_2454
; %bb.2434:
	s_movk_i32 s4, 0x80
	v_cmp_ne_u16_e32 vcc, s4, v2
	s_and_b64 s[4:5], vcc, exec
	s_andn2_saveexec_b64 s[2:3], s[2:3]
	s_cbranch_execnz .LBB70_2455
.LBB70_2435:
	s_or_b64 exec, exec, s[2:3]
	v_mov_b32_e32 v10, 0
	s_and_saveexec_b64 s[2:3], s[4:5]
	s_cbranch_execz .LBB70_2437
.LBB70_2436:
	v_lshlrev_b32_e32 v5, 24, v2
	v_and_b32_e32 v2, 0xffff, v2
	v_and_b32_e32 v8, 3, v2
	v_ffbh_u32_e32 v11, v8
	v_min_u32_e32 v11, 32, v11
	v_subrev_u32_e32 v15, 29, v11
	v_bfe_u32 v10, v2, 2, 5
	v_lshlrev_b32_e32 v2, v15, v2
	v_sub_u32_e32 v11, 30, v11
	v_and_b32_e32 v2, 3, v2
	v_cmp_eq_u32_e32 vcc, 0, v10
	v_cndmask_b32_e32 v10, v10, v11, vcc
	v_cndmask_b32_e32 v2, v8, v2, vcc
	v_mov_b32_e32 v8, 0x37800000
	v_lshlrev_b32_e32 v2, 21, v2
	v_and_b32_e32 v5, 0x80000000, v5
	v_lshl_add_u32 v8, v10, 23, v8
	v_or3_b32 v2, v5, v8, v2
	v_cvt_i32_f32_e32 v10, v2
.LBB70_2437:
	s_or_b64 exec, exec, s[2:3]
	s_mov_b64 s[2:3], 0
	s_branch .LBB70_2443
.LBB70_2438:
	s_mov_b64 s[2:3], -1
                                        ; implicit-def: $vgpr10
	s_branch .LBB70_2449
.LBB70_2439:
	s_andn2_saveexec_b64 s[4:5], s[4:5]
	s_cbranch_execz .LBB70_2424
.LBB70_2440:
	v_cmp_ne_u16_e32 vcc, 0, v2
	s_andn2_b64 s[10:11], s[10:11], exec
	s_and_b64 s[20:21], vcc, exec
	s_or_b64 s[10:11], s[10:11], s[20:21]
	s_or_b64 exec, exec, s[4:5]
	v_mov_b32_e32 v10, 0
	s_and_saveexec_b64 s[4:5], s[10:11]
	s_cbranch_execnz .LBB70_2425
	s_branch .LBB70_2426
.LBB70_2441:
	s_mov_b64 s[2:3], -1
                                        ; implicit-def: $vgpr10
	s_branch .LBB70_2446
.LBB70_2442:
	s_mov_b64 s[2:3], -1
                                        ; implicit-def: $vgpr10
.LBB70_2443:
	s_and_b64 vcc, exec, s[2:3]
	s_cbranch_vccz .LBB70_2445
; %bb.2444:
	global_load_ubyte v2, v[12:13], off
	s_mov_b32 s2, 0x7f800000
	s_waitcnt vmcnt(0)
	v_lshlrev_b32_e32 v2, 24, v2
	v_and_b32_e32 v5, 0x7f000000, v2
	v_ffbh_u32_e32 v8, v5
	v_min_u32_e32 v8, 32, v8
	v_sub_u32_e64 v8, v8, 4 clamp
	v_lshlrev_b32_e32 v11, v8, v5
	v_lshlrev_b32_e32 v8, 23, v8
	v_lshrrev_b32_e32 v11, 4, v11
	v_add_u32_e32 v10, 0x1000000, v5
	v_sub_u32_e32 v8, v11, v8
	v_ashrrev_i32_e32 v10, 8, v10
	v_add_u32_e32 v8, 0x3c000000, v8
	v_and_or_b32 v8, v10, s2, v8
	v_cmp_ne_u32_e32 vcc, 0, v5
	v_cndmask_b32_e32 v5, 0, v8, vcc
	s_brev_b32 s2, 1
	v_and_or_b32 v2, v2, s2, v5
	v_cvt_i32_f32_e32 v10, v2
.LBB70_2445:
	s_mov_b64 s[2:3], 0
.LBB70_2446:
	s_andn2_b64 vcc, exec, s[2:3]
	s_cbranch_vccnz .LBB70_2448
; %bb.2447:
	global_load_ubyte v2, v[12:13], off
	s_movk_i32 s2, 0x7f00
	s_brev_b32 s3, 16
	s_waitcnt vmcnt(0)
	v_lshlrev_b16_e32 v5, 8, v2
	v_lshlrev_b32_e32 v2, 25, v2
	v_lshrrev_b32_e32 v8, 4, v2
	v_and_or_b32 v10, v5, s2, 0.5
	v_or_b32_e32 v8, 0x70000000, v8
	v_add_f32_e32 v10, -0.5, v10
	v_mul_f32_e32 v8, 0x7800000, v8
	v_cmp_gt_u32_e32 vcc, s3, v2
	v_bfe_i32 v5, v5, 0, 16
	v_cndmask_b32_e32 v2, v8, v10, vcc
	s_brev_b32 s2, 1
	v_and_or_b32 v2, v5, s2, v2
	v_cvt_i32_f32_e32 v10, v2
.LBB70_2448:
	s_mov_b64 s[2:3], 0
	s_mov_b64 s[4:5], -1
.LBB70_2449:
	s_andn2_b64 vcc, exec, s[2:3]
	s_mov_b64 s[2:3], 0
	s_cbranch_vccnz .LBB70_2460
; %bb.2450:
	s_cmp_gt_i32 s13, 14
	s_cbranch_scc0 .LBB70_2453
; %bb.2451:
	s_cmp_eq_u32 s13, 15
	s_cbranch_scc0 .LBB70_2456
; %bb.2452:
	global_load_ushort v2, v[12:13], off
	s_mov_b64 s[0:1], 0
	s_mov_b64 s[4:5], -1
	s_waitcnt vmcnt(0)
	v_lshlrev_b32_e32 v2, 16, v2
	v_cvt_i32_f32_e32 v10, v2
	s_branch .LBB70_2457
.LBB70_2453:
	s_mov_b64 s[10:11], -1
                                        ; implicit-def: $vgpr10
	s_branch .LBB70_2458
.LBB70_2454:
	s_andn2_saveexec_b64 s[2:3], s[2:3]
	s_cbranch_execz .LBB70_2435
.LBB70_2455:
	v_cmp_ne_u16_e32 vcc, 0, v2
	s_andn2_b64 s[4:5], s[4:5], exec
	s_and_b64 s[10:11], vcc, exec
	s_or_b64 s[4:5], s[4:5], s[10:11]
	s_or_b64 exec, exec, s[2:3]
	v_mov_b32_e32 v10, 0
	s_and_saveexec_b64 s[2:3], s[4:5]
	s_cbranch_execnz .LBB70_2436
	s_branch .LBB70_2437
.LBB70_2456:
	s_mov_b64 s[0:1], -1
                                        ; implicit-def: $vgpr10
.LBB70_2457:
	s_mov_b64 s[10:11], 0
.LBB70_2458:
	s_and_b64 vcc, exec, s[10:11]
	s_cbranch_vccz .LBB70_2460
; %bb.2459:
	s_cmp_lg_u32 s13, 11
	s_mov_b64 s[2:3], -1
	s_cselect_b64 s[0:1], -1, 0
.LBB70_2460:
	s_and_b64 vcc, exec, s[0:1]
	s_cbranch_vccnz .LBB70_2993
; %bb.2461:
	s_andn2_b64 vcc, exec, s[2:3]
	s_cbranch_vccnz .LBB70_2463
.LBB70_2462:
	global_load_ubyte v2, v[12:13], off
	s_mov_b64 s[4:5], -1
	s_waitcnt vmcnt(0)
	v_cmp_ne_u16_e32 vcc, 0, v2
	v_cndmask_b32_e64 v10, 0, 1, vcc
.LBB70_2463:
	s_mov_b64 s[0:1], 0
.LBB70_2464:
	s_and_b64 vcc, exec, s[0:1]
	s_cbranch_vccz .LBB70_2513
; %bb.2465:
	s_and_b32 s2, 0xffff, s25
	s_cmp_lt_i32 s2, 5
	s_cbranch_scc1 .LBB70_2470
; %bb.2466:
	s_cmp_lt_i32 s2, 8
	s_cbranch_scc1 .LBB70_2471
; %bb.2467:
	;; [unrolled: 3-line block ×3, first 2 shown]
	s_cmp_gt_i32 s2, 9
	s_cbranch_scc0 .LBB70_2473
; %bb.2469:
	global_load_dwordx2 v[10:11], v[12:13], off
	s_mov_b64 s[0:1], 0
	s_waitcnt vmcnt(0)
	v_cvt_i32_f64_e32 v10, v[10:11]
	s_branch .LBB70_2474
.LBB70_2470:
	s_mov_b64 s[0:1], -1
                                        ; implicit-def: $vgpr10
	s_branch .LBB70_2492
.LBB70_2471:
	s_mov_b64 s[0:1], -1
                                        ; implicit-def: $vgpr10
	s_branch .LBB70_2480
.LBB70_2472:
	s_mov_b64 s[0:1], -1
                                        ; implicit-def: $vgpr10
	s_branch .LBB70_2477
.LBB70_2473:
	s_mov_b64 s[0:1], -1
                                        ; implicit-def: $vgpr10
.LBB70_2474:
	s_andn2_b64 vcc, exec, s[0:1]
	s_cbranch_vccnz .LBB70_2476
; %bb.2475:
	global_load_dword v2, v[12:13], off
	s_waitcnt vmcnt(0)
	v_cvt_i32_f32_e32 v10, v2
.LBB70_2476:
	s_mov_b64 s[0:1], 0
.LBB70_2477:
	s_andn2_b64 vcc, exec, s[0:1]
	s_cbranch_vccnz .LBB70_2479
; %bb.2478:
	global_load_dword v2, v[12:13], off
	s_waitcnt vmcnt(0)
	v_cvt_i16_f16_e32 v10, v2
.LBB70_2479:
	s_mov_b64 s[0:1], 0
.LBB70_2480:
	s_andn2_b64 vcc, exec, s[0:1]
	s_cbranch_vccnz .LBB70_2491
; %bb.2481:
	s_cmp_lt_i32 s2, 6
	s_cbranch_scc1 .LBB70_2484
; %bb.2482:
	s_cmp_gt_i32 s2, 6
	s_cbranch_scc0 .LBB70_2485
; %bb.2483:
	global_load_dwordx2 v[10:11], v[12:13], off
	s_mov_b64 s[0:1], 0
	s_waitcnt vmcnt(0)
	v_cvt_i32_f64_e32 v10, v[10:11]
	s_branch .LBB70_2486
.LBB70_2484:
	s_mov_b64 s[0:1], -1
                                        ; implicit-def: $vgpr10
	s_branch .LBB70_2489
.LBB70_2485:
	s_mov_b64 s[0:1], -1
                                        ; implicit-def: $vgpr10
.LBB70_2486:
	s_andn2_b64 vcc, exec, s[0:1]
	s_cbranch_vccnz .LBB70_2488
; %bb.2487:
	global_load_dword v2, v[12:13], off
	s_waitcnt vmcnt(0)
	v_cvt_i32_f32_e32 v10, v2
.LBB70_2488:
	s_mov_b64 s[0:1], 0
.LBB70_2489:
	s_andn2_b64 vcc, exec, s[0:1]
	s_cbranch_vccnz .LBB70_2491
; %bb.2490:
	global_load_ushort v2, v[12:13], off
	s_waitcnt vmcnt(0)
	v_cvt_i16_f16_e32 v10, v2
.LBB70_2491:
	s_mov_b64 s[0:1], 0
.LBB70_2492:
	s_andn2_b64 vcc, exec, s[0:1]
	s_cbranch_vccnz .LBB70_2512
; %bb.2493:
	s_cmp_lt_i32 s2, 2
	s_cbranch_scc1 .LBB70_2497
; %bb.2494:
	s_cmp_lt_i32 s2, 3
	s_cbranch_scc1 .LBB70_2498
; %bb.2495:
	s_cmp_gt_i32 s2, 3
	s_cbranch_scc0 .LBB70_2499
; %bb.2496:
	global_load_dwordx2 v[10:11], v[12:13], off
	s_mov_b64 s[0:1], 0
	s_branch .LBB70_2500
.LBB70_2497:
	s_mov_b64 s[0:1], -1
                                        ; implicit-def: $vgpr10
	s_branch .LBB70_2506
.LBB70_2498:
	s_mov_b64 s[0:1], -1
                                        ; implicit-def: $vgpr10
	s_branch .LBB70_2503
.LBB70_2499:
	s_mov_b64 s[0:1], -1
                                        ; implicit-def: $vgpr10
.LBB70_2500:
	s_andn2_b64 vcc, exec, s[0:1]
	s_cbranch_vccnz .LBB70_2502
; %bb.2501:
	global_load_dword v10, v[12:13], off
.LBB70_2502:
	s_mov_b64 s[0:1], 0
.LBB70_2503:
	s_andn2_b64 vcc, exec, s[0:1]
	s_cbranch_vccnz .LBB70_2505
; %bb.2504:
	global_load_ushort v10, v[12:13], off
.LBB70_2505:
	s_mov_b64 s[0:1], 0
.LBB70_2506:
	s_andn2_b64 vcc, exec, s[0:1]
	s_cbranch_vccnz .LBB70_2512
; %bb.2507:
	s_cmp_gt_i32 s2, 0
	s_cbranch_scc0 .LBB70_2509
; %bb.2508:
	global_load_sbyte v10, v[12:13], off
	s_mov_b64 s[0:1], 0
	s_branch .LBB70_2510
.LBB70_2509:
	s_mov_b64 s[0:1], -1
                                        ; implicit-def: $vgpr10
.LBB70_2510:
	s_andn2_b64 vcc, exec, s[0:1]
	s_cbranch_vccnz .LBB70_2512
; %bb.2511:
	global_load_ubyte v10, v[12:13], off
.LBB70_2512:
	s_mov_b64 s[4:5], -1
.LBB70_2513:
	s_andn2_b64 vcc, exec, s[4:5]
	s_cbranch_vccnz .LBB70_2947
; %bb.2514:
	v_mul_lo_u32 v5, s12, v14
	s_cmp_eq_u32 s15, 0
	s_cselect_b64 s[2:3], -1, 0
	v_cmp_ne_u16_e32 vcc, v0, v3
	s_xor_b64 s[4:5], s[2:3], vcc
	v_ashrrev_i32_e32 v0, 31, v5
	v_mov_b32_e32 v3, s9
	s_and_b32 s24, s33, 0xff
	v_add_co_u32_e32 v2, vcc, s8, v5
	s_cmp_lt_i32 s24, 11
	v_addc_co_u32_e32 v3, vcc, v3, v0, vcc
	s_cbranch_scc1 .LBB70_2592
; %bb.2515:
	s_and_b32 s13, 0xffff, s24
	s_mov_b64 s[20:21], -1
	s_mov_b64 s[10:11], 0
	s_cmp_gt_i32 s13, 25
	s_mov_b64 s[14:15], 0
	s_mov_b64 s[0:1], 0
	s_cbranch_scc0 .LBB70_2548
; %bb.2516:
	s_cmp_gt_i32 s13, 28
	s_cbranch_scc0 .LBB70_2531
; %bb.2517:
	s_cmp_gt_i32 s13, 43
	;; [unrolled: 3-line block ×3, first 2 shown]
	s_cbranch_scc0 .LBB70_2521
; %bb.2519:
	s_mov_b64 s[0:1], -1
	s_mov_b64 s[20:21], 0
	s_cmp_eq_u32 s13, 46
	s_cbranch_scc0 .LBB70_2521
; %bb.2520:
	v_cndmask_b32_e64 v0, 0, 1.0, s[4:5]
	v_bfe_u32 v8, v0, 16, 1
	s_movk_i32 s0, 0x7fff
	v_add3_u32 v0, v0, v8, s0
	v_lshrrev_b32_e32 v0, 16, v0
	global_store_dword v[2:3], v0, off
	s_mov_b64 s[0:1], 0
	s_mov_b64 s[14:15], -1
.LBB70_2521:
	s_and_b64 vcc, exec, s[20:21]
	s_cbranch_vccz .LBB70_2526
; %bb.2522:
	s_cmp_eq_u32 s13, 44
	s_mov_b64 s[0:1], -1
	s_cbranch_scc0 .LBB70_2526
; %bb.2523:
	v_cndmask_b32_e64 v8, 0, 1.0, s[4:5]
	v_lshrrev_b32_e32 v0, 23, v8
	s_movk_i32 s0, 0xff
	v_cmp_ne_u32_e32 vcc, s0, v0
	s_waitcnt vmcnt(0)
	v_mov_b32_e32 v11, 0xff
	s_and_saveexec_b64 s[14:15], vcc
; %bb.2524:
	s_mov_b32 s0, 0x3fffff
	v_and_b32_e32 v11, 0x400000, v8
	v_and_or_b32 v8, v8, s0, v0
	v_cmp_ne_u32_e32 vcc, 0, v11
	v_cmp_ne_u32_e64 s[0:1], 0, v8
	s_and_b64 s[0:1], vcc, s[0:1]
	v_cndmask_b32_e64 v8, 0, 1, s[0:1]
	v_add_u32_e32 v11, v0, v8
; %bb.2525:
	s_or_b64 exec, exec, s[14:15]
	s_mov_b64 s[0:1], 0
	s_mov_b64 s[14:15], -1
	global_store_byte v[2:3], v11, off
.LBB70_2526:
	s_mov_b64 s[20:21], 0
.LBB70_2527:
	s_and_b64 vcc, exec, s[20:21]
	s_cbranch_vccz .LBB70_2530
; %bb.2528:
	s_cmp_eq_u32 s13, 29
	s_mov_b64 s[0:1], -1
	s_cbranch_scc0 .LBB70_2530
; %bb.2529:
	s_mov_b32 s0, 0
	s_waitcnt vmcnt(0)
	v_cndmask_b32_e64 v11, 0, 1, s[4:5]
	v_mov_b32_e32 v12, s0
	global_store_dwordx2 v[2:3], v[11:12], off
	s_mov_b64 s[0:1], 0
	s_mov_b64 s[14:15], -1
.LBB70_2530:
	s_mov_b64 s[20:21], 0
.LBB70_2531:
	s_and_b64 vcc, exec, s[20:21]
	s_cbranch_vccz .LBB70_2547
; %bb.2532:
	s_cmp_lt_i32 s13, 27
	s_mov_b64 s[14:15], -1
	s_cbranch_scc1 .LBB70_2538
; %bb.2533:
	s_cmp_gt_i32 s13, 27
	s_cbranch_scc0 .LBB70_2535
; %bb.2534:
	v_cndmask_b32_e64 v0, 0, 1, s[4:5]
	s_mov_b64 s[14:15], 0
	global_store_dword v[2:3], v0, off
.LBB70_2535:
	s_andn2_b64 vcc, exec, s[14:15]
	s_cbranch_vccnz .LBB70_2537
; %bb.2536:
	v_cndmask_b32_e64 v0, 0, 1, s[4:5]
	global_store_short v[2:3], v0, off
.LBB70_2537:
	s_mov_b64 s[14:15], 0
.LBB70_2538:
	s_andn2_b64 vcc, exec, s[14:15]
	s_cbranch_vccnz .LBB70_2546
; %bb.2539:
	v_cndmask_b32_e64 v8, 0, 1.0, s[4:5]
	s_mov_b32 s14, 0x43800000
	v_cmp_gt_u32_e32 vcc, s14, v8
	s_waitcnt vmcnt(0)
	v_mov_b32_e32 v11, 0x80
	s_and_saveexec_b64 s[14:15], vcc
	s_cbranch_execz .LBB70_2545
; %bb.2540:
	s_mov_b32 s20, 0x3bffffff
	v_cmp_lt_u32_e32 vcc, s20, v8
	s_mov_b64 s[20:21], 0
                                        ; implicit-def: $vgpr0
	s_and_saveexec_b64 s[22:23], vcc
	s_xor_b64 s[22:23], exec, s[22:23]
	s_cbranch_execz .LBB70_2994
; %bb.2541:
	v_bfe_u32 v0, v8, 20, 1
	s_mov_b32 s25, 0x487ffff
	v_add3_u32 v0, v8, v0, s25
	s_mov_b64 s[20:21], exec
	v_lshrrev_b32_e32 v0, 20, v0
                                        ; implicit-def: $vgpr8
	s_andn2_saveexec_b64 s[22:23], s[22:23]
	s_cbranch_execnz .LBB70_2995
.LBB70_2542:
	s_or_b64 exec, exec, s[22:23]
	v_mov_b32_e32 v11, 0
	s_and_saveexec_b64 s[22:23], s[20:21]
.LBB70_2543:
	v_mov_b32_e32 v11, v0
.LBB70_2544:
	s_or_b64 exec, exec, s[22:23]
.LBB70_2545:
	s_or_b64 exec, exec, s[14:15]
	global_store_byte v[2:3], v11, off
.LBB70_2546:
	s_mov_b64 s[14:15], -1
.LBB70_2547:
	s_mov_b64 s[20:21], 0
.LBB70_2548:
	s_and_b64 vcc, exec, s[20:21]
	s_cbranch_vccz .LBB70_2588
; %bb.2549:
	s_cmp_gt_i32 s13, 22
	s_mov_b64 s[10:11], -1
	s_cbranch_scc0 .LBB70_2581
; %bb.2550:
	s_cmp_lt_i32 s13, 24
	s_cbranch_scc1 .LBB70_2570
; %bb.2551:
	s_cmp_gt_i32 s13, 24
	s_cbranch_scc0 .LBB70_2559
; %bb.2552:
	v_cndmask_b32_e64 v8, 0, 1.0, s[4:5]
	s_mov_b32 s10, 0x47800000
	v_cmp_gt_u32_e32 vcc, s10, v8
	s_waitcnt vmcnt(0)
	v_mov_b32_e32 v11, 0x80
	s_and_saveexec_b64 s[10:11], vcc
	s_cbranch_execz .LBB70_2558
; %bb.2553:
	s_mov_b32 s14, 0x37ffffff
	v_cmp_lt_u32_e32 vcc, s14, v8
	s_mov_b64 s[14:15], 0
                                        ; implicit-def: $vgpr0
	s_and_saveexec_b64 s[20:21], vcc
	s_xor_b64 s[20:21], exec, s[20:21]
	s_cbranch_execz .LBB70_2997
; %bb.2554:
	v_bfe_u32 v0, v8, 21, 1
	s_mov_b32 s22, 0x88fffff
	v_add3_u32 v0, v8, v0, s22
	s_mov_b64 s[14:15], exec
	v_lshrrev_b32_e32 v0, 21, v0
                                        ; implicit-def: $vgpr8
	s_andn2_saveexec_b64 s[20:21], s[20:21]
	s_cbranch_execnz .LBB70_2998
.LBB70_2555:
	s_or_b64 exec, exec, s[20:21]
	v_mov_b32_e32 v11, 0
	s_and_saveexec_b64 s[20:21], s[14:15]
.LBB70_2556:
	v_mov_b32_e32 v11, v0
.LBB70_2557:
	s_or_b64 exec, exec, s[20:21]
.LBB70_2558:
	s_or_b64 exec, exec, s[10:11]
	s_mov_b64 s[10:11], 0
	global_store_byte v[2:3], v11, off
.LBB70_2559:
	s_and_b64 vcc, exec, s[10:11]
	s_cbranch_vccz .LBB70_2569
; %bb.2560:
	v_cndmask_b32_e64 v0, 0, 1.0, s[4:5]
	s_mov_b32 s10, 0x43f00000
	v_cmp_gt_u32_e32 vcc, s10, v0
                                        ; implicit-def: $vgpr8
	s_and_saveexec_b64 s[10:11], vcc
	s_xor_b64 s[10:11], exec, s[10:11]
	s_cbranch_execz .LBB70_2566
; %bb.2561:
	s_mov_b32 s14, 0x3c7fffff
	v_cmp_lt_u32_e32 vcc, s14, v0
                                        ; implicit-def: $vgpr8
	s_and_saveexec_b64 s[14:15], vcc
	s_xor_b64 s[14:15], exec, s[14:15]
	s_cbranch_execz .LBB70_2563
; %bb.2562:
	v_bfe_u32 v8, v0, 20, 1
	s_mov_b32 s20, 0x407ffff
	v_add3_u32 v0, v0, v8, s20
	v_lshrrev_b32_e32 v8, 20, v0
	v_and_b32_e32 v0, 0xff00000, v0
	s_mov_b32 s20, 0x7f00000
	s_waitcnt vmcnt(0)
	v_mov_b32_e32 v11, 0x7e
	v_cmp_ne_u32_e32 vcc, s20, v0
	v_cndmask_b32_e32 v8, v11, v8, vcc
                                        ; implicit-def: $vgpr0
.LBB70_2563:
	s_andn2_saveexec_b64 s[14:15], s[14:15]
; %bb.2564:
	v_add_f32_e32 v8, 0x46800000, v0
; %bb.2565:
	s_or_b64 exec, exec, s[14:15]
                                        ; implicit-def: $vgpr0
.LBB70_2566:
	s_andn2_saveexec_b64 s[10:11], s[10:11]
	s_cbranch_execz .LBB70_2568
; %bb.2567:
	s_mov_b32 s14, 0x7f800000
	v_mov_b32_e32 v8, 0x7e
	s_waitcnt vmcnt(0)
	v_mov_b32_e32 v11, 0x7f
	v_cmp_lt_u32_e32 vcc, s14, v0
	v_cndmask_b32_e32 v8, v8, v11, vcc
.LBB70_2568:
	s_or_b64 exec, exec, s[10:11]
	global_store_byte v[2:3], v8, off
.LBB70_2569:
	s_mov_b64 s[10:11], 0
.LBB70_2570:
	s_andn2_b64 vcc, exec, s[10:11]
	s_cbranch_vccnz .LBB70_2580
; %bb.2571:
	v_cndmask_b32_e64 v0, 0, 1.0, s[4:5]
	s_mov_b32 s10, 0x47800000
	v_cmp_gt_u32_e32 vcc, s10, v0
                                        ; implicit-def: $vgpr8
	s_and_saveexec_b64 s[10:11], vcc
	s_xor_b64 s[10:11], exec, s[10:11]
	s_cbranch_execz .LBB70_2577
; %bb.2572:
	s_mov_b32 s14, 0x387fffff
	v_cmp_lt_u32_e32 vcc, s14, v0
                                        ; implicit-def: $vgpr8
	s_and_saveexec_b64 s[14:15], vcc
	s_xor_b64 s[14:15], exec, s[14:15]
; %bb.2573:
	v_bfe_u32 v8, v0, 21, 1
	s_mov_b32 s20, 0x80fffff
	v_add3_u32 v0, v0, v8, s20
	v_lshrrev_b32_e32 v8, 21, v0
                                        ; implicit-def: $vgpr0
; %bb.2574:
	s_andn2_saveexec_b64 s[14:15], s[14:15]
; %bb.2575:
	v_add_f32_e32 v8, 0x43000000, v0
; %bb.2576:
	s_or_b64 exec, exec, s[14:15]
                                        ; implicit-def: $vgpr0
.LBB70_2577:
	s_andn2_saveexec_b64 s[10:11], s[10:11]
	s_cbranch_execz .LBB70_2579
; %bb.2578:
	s_mov_b32 s14, 0x7f800000
	v_mov_b32_e32 v8, 0x7c
	s_waitcnt vmcnt(0)
	v_mov_b32_e32 v11, 0x7f
	v_cmp_lt_u32_e32 vcc, s14, v0
	v_cndmask_b32_e32 v8, v8, v11, vcc
.LBB70_2579:
	s_or_b64 exec, exec, s[10:11]
	global_store_byte v[2:3], v8, off
.LBB70_2580:
	s_mov_b64 s[10:11], 0
	s_mov_b64 s[14:15], -1
.LBB70_2581:
	s_andn2_b64 vcc, exec, s[10:11]
	s_mov_b64 s[10:11], 0
	s_cbranch_vccnz .LBB70_2588
; %bb.2582:
	s_cmp_gt_i32 s13, 14
	s_mov_b64 s[20:21], -1
	s_cbranch_scc0 .LBB70_2586
; %bb.2583:
	s_cmp_eq_u32 s13, 15
	s_mov_b64 s[0:1], -1
	s_cbranch_scc0 .LBB70_2585
; %bb.2584:
	v_cndmask_b32_e64 v0, 0, 1.0, s[4:5]
	v_bfe_u32 v8, v0, 16, 1
	s_movk_i32 s0, 0x7fff
	v_add3_u32 v0, v0, v8, s0
	global_store_short_d16_hi v[2:3], v0, off
	s_mov_b64 s[0:1], 0
	s_mov_b64 s[14:15], -1
.LBB70_2585:
	s_mov_b64 s[20:21], 0
.LBB70_2586:
	s_and_b64 vcc, exec, s[20:21]
	s_cbranch_vccz .LBB70_2588
; %bb.2587:
	s_cmp_lg_u32 s13, 11
	s_mov_b64 s[10:11], -1
	s_cselect_b64 s[0:1], -1, 0
.LBB70_2588:
	s_and_b64 vcc, exec, s[0:1]
	s_cbranch_vccnz .LBB70_2996
; %bb.2589:
	s_andn2_b64 vcc, exec, s[10:11]
	s_cbranch_vccnz .LBB70_2591
.LBB70_2590:
	v_cndmask_b32_e64 v0, 0, 1, s[4:5]
	s_mov_b64 s[14:15], -1
	global_store_byte v[2:3], v0, off
.LBB70_2591:
	s_mov_b64 s[0:1], 0
	s_branch .LBB70_2593
.LBB70_2592:
	s_mov_b64 s[0:1], -1
	s_mov_b64 s[14:15], 0
.LBB70_2593:
	s_and_b64 vcc, exec, s[0:1]
	s_cbranch_vccz .LBB70_2632
; %bb.2594:
	s_and_b32 s10, 0xffff, s24
	s_cmp_lt_i32 s10, 5
	s_mov_b64 s[0:1], -1
	s_cbranch_scc1 .LBB70_2615
; %bb.2595:
	s_cmp_lt_i32 s10, 8
	s_cbranch_scc1 .LBB70_2605
; %bb.2596:
	s_cmp_lt_i32 s10, 9
	s_cbranch_scc1 .LBB70_2602
; %bb.2597:
	s_cmp_gt_i32 s10, 9
	s_cbranch_scc0 .LBB70_2599
; %bb.2598:
	v_cndmask_b32_e64 v0, 0, 1, s[4:5]
	s_waitcnt vmcnt(0)
	v_cvt_f64_u32_e32 v[11:12], v0
	v_mov_b32_e32 v13, 0
	v_mov_b32_e32 v14, v13
	s_mov_b64 s[0:1], 0
	global_store_dwordx4 v[2:3], v[11:14], off
.LBB70_2599:
	s_andn2_b64 vcc, exec, s[0:1]
	s_cbranch_vccnz .LBB70_2601
; %bb.2600:
	s_waitcnt vmcnt(0)
	v_cndmask_b32_e64 v11, 0, 1.0, s[4:5]
	v_mov_b32_e32 v12, 0
	global_store_dwordx2 v[2:3], v[11:12], off
.LBB70_2601:
	s_mov_b64 s[0:1], 0
.LBB70_2602:
	s_andn2_b64 vcc, exec, s[0:1]
	s_cbranch_vccnz .LBB70_2604
; %bb.2603:
	v_cndmask_b32_e64 v0, 0, 1.0, s[4:5]
	v_cvt_f16_f32_e32 v0, v0
	global_store_dword v[2:3], v0, off
.LBB70_2604:
	s_mov_b64 s[0:1], 0
.LBB70_2605:
	s_andn2_b64 vcc, exec, s[0:1]
	s_cbranch_vccnz .LBB70_2614
; %bb.2606:
	s_cmp_lt_i32 s10, 6
	s_mov_b64 s[0:1], -1
	s_cbranch_scc1 .LBB70_2612
; %bb.2607:
	s_cmp_gt_i32 s10, 6
	s_cbranch_scc0 .LBB70_2609
; %bb.2608:
	v_cndmask_b32_e64 v0, 0, 1, s[4:5]
	s_waitcnt vmcnt(0)
	v_cvt_f64_u32_e32 v[11:12], v0
	s_mov_b64 s[0:1], 0
	global_store_dwordx2 v[2:3], v[11:12], off
.LBB70_2609:
	s_andn2_b64 vcc, exec, s[0:1]
	s_cbranch_vccnz .LBB70_2611
; %bb.2610:
	v_cndmask_b32_e64 v0, 0, 1.0, s[4:5]
	global_store_dword v[2:3], v0, off
.LBB70_2611:
	s_mov_b64 s[0:1], 0
.LBB70_2612:
	s_andn2_b64 vcc, exec, s[0:1]
	s_cbranch_vccnz .LBB70_2614
; %bb.2613:
	v_cndmask_b32_e64 v0, 0, 1.0, s[4:5]
	v_cvt_f16_f32_e32 v0, v0
	global_store_short v[2:3], v0, off
.LBB70_2614:
	s_mov_b64 s[0:1], 0
.LBB70_2615:
	s_andn2_b64 vcc, exec, s[0:1]
	s_cbranch_vccnz .LBB70_2631
; %bb.2616:
	s_cmp_lt_i32 s10, 2
	s_mov_b64 s[0:1], -1
	s_cbranch_scc1 .LBB70_2626
; %bb.2617:
	s_cmp_lt_i32 s10, 3
	s_cbranch_scc1 .LBB70_2623
; %bb.2618:
	s_cmp_gt_i32 s10, 3
	s_cbranch_scc0 .LBB70_2620
; %bb.2619:
	s_mov_b32 s0, 0
	s_waitcnt vmcnt(0)
	v_cndmask_b32_e64 v11, 0, 1, s[4:5]
	v_mov_b32_e32 v12, s0
	global_store_dwordx2 v[2:3], v[11:12], off
	s_mov_b64 s[0:1], 0
.LBB70_2620:
	s_andn2_b64 vcc, exec, s[0:1]
	s_cbranch_vccnz .LBB70_2622
; %bb.2621:
	v_cndmask_b32_e64 v0, 0, 1, s[4:5]
	global_store_dword v[2:3], v0, off
.LBB70_2622:
	s_mov_b64 s[0:1], 0
.LBB70_2623:
	s_andn2_b64 vcc, exec, s[0:1]
	s_cbranch_vccnz .LBB70_2625
; %bb.2624:
	v_cndmask_b32_e64 v0, 0, 1, s[4:5]
	global_store_short v[2:3], v0, off
.LBB70_2625:
	s_mov_b64 s[0:1], 0
.LBB70_2626:
	s_andn2_b64 vcc, exec, s[0:1]
	s_cbranch_vccnz .LBB70_2631
; %bb.2627:
	s_mov_b64 s[0:1], -1
	s_cmp_gt_i32 s10, 0
	v_cndmask_b32_e64 v0, 0, 1, s[4:5]
	s_cbranch_scc0 .LBB70_2629
; %bb.2628:
	global_store_byte v[2:3], v0, off
	s_mov_b64 s[0:1], 0
.LBB70_2629:
	s_andn2_b64 vcc, exec, s[0:1]
	s_cbranch_vccnz .LBB70_2631
; %bb.2630:
	global_store_byte v[2:3], v0, off
.LBB70_2631:
	s_mov_b64 s[14:15], -1
.LBB70_2632:
	s_andn2_b64 vcc, exec, s[14:15]
	s_cbranch_vccnz .LBB70_2947
; %bb.2633:
	s_lshl_b32 s22, s12, 7
	v_cmp_ne_u16_e32 vcc, v1, v6
	v_add_u32_e32 v2, s22, v5
	s_xor_b64 s[4:5], s[2:3], vcc
	v_ashrrev_i32_e32 v1, 31, v2
	v_mov_b32_e32 v3, s9
	v_add_co_u32_e32 v0, vcc, s8, v2
	s_cmp_lt_i32 s24, 11
	v_addc_co_u32_e32 v1, vcc, v3, v1, vcc
	s_cbranch_scc1 .LBB70_2711
; %bb.2634:
	s_and_b32 s23, 0xffff, s24
	s_mov_b64 s[14:15], -1
	s_mov_b64 s[10:11], 0
	s_cmp_gt_i32 s23, 25
	s_mov_b64 s[12:13], 0
	s_mov_b64 s[0:1], 0
	s_cbranch_scc0 .LBB70_2667
; %bb.2635:
	s_cmp_gt_i32 s23, 28
	s_cbranch_scc0 .LBB70_2650
; %bb.2636:
	s_cmp_gt_i32 s23, 43
	;; [unrolled: 3-line block ×3, first 2 shown]
	s_cbranch_scc0 .LBB70_2640
; %bb.2638:
	s_mov_b64 s[0:1], -1
	s_mov_b64 s[14:15], 0
	s_cmp_eq_u32 s23, 46
	s_cbranch_scc0 .LBB70_2640
; %bb.2639:
	v_cndmask_b32_e64 v3, 0, 1.0, s[4:5]
	v_bfe_u32 v5, v3, 16, 1
	s_movk_i32 s0, 0x7fff
	v_add3_u32 v3, v3, v5, s0
	v_lshrrev_b32_e32 v3, 16, v3
	global_store_dword v[0:1], v3, off
	s_mov_b64 s[0:1], 0
	s_mov_b64 s[12:13], -1
.LBB70_2640:
	s_and_b64 vcc, exec, s[14:15]
	s_cbranch_vccz .LBB70_2645
; %bb.2641:
	s_cmp_eq_u32 s23, 44
	s_mov_b64 s[0:1], -1
	s_cbranch_scc0 .LBB70_2645
; %bb.2642:
	v_cndmask_b32_e64 v5, 0, 1.0, s[4:5]
	v_lshrrev_b32_e32 v3, 23, v5
	s_movk_i32 s0, 0xff
	v_cmp_ne_u32_e32 vcc, s0, v3
	v_mov_b32_e32 v6, 0xff
	s_and_saveexec_b64 s[12:13], vcc
; %bb.2643:
	s_mov_b32 s0, 0x3fffff
	v_and_b32_e32 v6, 0x400000, v5
	v_and_or_b32 v5, v5, s0, v3
	v_cmp_ne_u32_e32 vcc, 0, v6
	v_cmp_ne_u32_e64 s[0:1], 0, v5
	s_and_b64 s[0:1], vcc, s[0:1]
	v_cndmask_b32_e64 v5, 0, 1, s[0:1]
	v_add_u32_e32 v6, v3, v5
; %bb.2644:
	s_or_b64 exec, exec, s[12:13]
	s_mov_b64 s[0:1], 0
	s_mov_b64 s[12:13], -1
	global_store_byte v[0:1], v6, off
.LBB70_2645:
	s_mov_b64 s[14:15], 0
.LBB70_2646:
	s_and_b64 vcc, exec, s[14:15]
	s_cbranch_vccz .LBB70_2649
; %bb.2647:
	s_cmp_eq_u32 s23, 29
	s_mov_b64 s[0:1], -1
	s_cbranch_scc0 .LBB70_2649
; %bb.2648:
	s_mov_b32 s0, 0
	v_cndmask_b32_e64 v5, 0, 1, s[4:5]
	v_mov_b32_e32 v6, s0
	global_store_dwordx2 v[0:1], v[5:6], off
	s_mov_b64 s[0:1], 0
	s_mov_b64 s[12:13], -1
.LBB70_2649:
	s_mov_b64 s[14:15], 0
.LBB70_2650:
	s_and_b64 vcc, exec, s[14:15]
	s_cbranch_vccz .LBB70_2666
; %bb.2651:
	s_cmp_lt_i32 s23, 27
	s_mov_b64 s[12:13], -1
	s_cbranch_scc1 .LBB70_2657
; %bb.2652:
	s_cmp_gt_i32 s23, 27
	s_cbranch_scc0 .LBB70_2654
; %bb.2653:
	v_cndmask_b32_e64 v3, 0, 1, s[4:5]
	s_mov_b64 s[12:13], 0
	global_store_dword v[0:1], v3, off
.LBB70_2654:
	s_andn2_b64 vcc, exec, s[12:13]
	s_cbranch_vccnz .LBB70_2656
; %bb.2655:
	v_cndmask_b32_e64 v3, 0, 1, s[4:5]
	global_store_short v[0:1], v3, off
.LBB70_2656:
	s_mov_b64 s[12:13], 0
.LBB70_2657:
	s_andn2_b64 vcc, exec, s[12:13]
	s_cbranch_vccnz .LBB70_2665
; %bb.2658:
	v_cndmask_b32_e64 v5, 0, 1.0, s[4:5]
	s_mov_b32 s12, 0x43800000
	v_cmp_gt_u32_e32 vcc, s12, v5
	v_mov_b32_e32 v6, 0x80
	s_and_saveexec_b64 s[12:13], vcc
	s_cbranch_execz .LBB70_2664
; %bb.2659:
	s_mov_b32 s14, 0x3bffffff
	v_cmp_lt_u32_e32 vcc, s14, v5
	s_mov_b64 s[14:15], 0
                                        ; implicit-def: $vgpr3
	s_and_saveexec_b64 s[20:21], vcc
	s_xor_b64 s[20:21], exec, s[20:21]
	s_cbranch_execz .LBB70_2999
; %bb.2660:
	v_bfe_u32 v3, v5, 20, 1
	s_mov_b32 s25, 0x487ffff
	v_add3_u32 v3, v5, v3, s25
	s_mov_b64 s[14:15], exec
	v_lshrrev_b32_e32 v3, 20, v3
                                        ; implicit-def: $vgpr5
	s_andn2_saveexec_b64 s[20:21], s[20:21]
	s_cbranch_execnz .LBB70_3000
.LBB70_2661:
	s_or_b64 exec, exec, s[20:21]
	v_mov_b32_e32 v6, 0
	s_and_saveexec_b64 s[20:21], s[14:15]
.LBB70_2662:
	v_mov_b32_e32 v6, v3
.LBB70_2663:
	s_or_b64 exec, exec, s[20:21]
.LBB70_2664:
	s_or_b64 exec, exec, s[12:13]
	global_store_byte v[0:1], v6, off
.LBB70_2665:
	s_mov_b64 s[12:13], -1
.LBB70_2666:
	s_mov_b64 s[14:15], 0
.LBB70_2667:
	s_and_b64 vcc, exec, s[14:15]
	s_cbranch_vccz .LBB70_2707
; %bb.2668:
	s_cmp_gt_i32 s23, 22
	s_mov_b64 s[10:11], -1
	s_cbranch_scc0 .LBB70_2700
; %bb.2669:
	s_cmp_lt_i32 s23, 24
	s_cbranch_scc1 .LBB70_2689
; %bb.2670:
	s_cmp_gt_i32 s23, 24
	s_cbranch_scc0 .LBB70_2678
; %bb.2671:
	v_cndmask_b32_e64 v5, 0, 1.0, s[4:5]
	s_mov_b32 s10, 0x47800000
	v_cmp_gt_u32_e32 vcc, s10, v5
	v_mov_b32_e32 v6, 0x80
	s_and_saveexec_b64 s[10:11], vcc
	s_cbranch_execz .LBB70_2677
; %bb.2672:
	s_mov_b32 s12, 0x37ffffff
	v_cmp_lt_u32_e32 vcc, s12, v5
	s_mov_b64 s[12:13], 0
                                        ; implicit-def: $vgpr3
	s_and_saveexec_b64 s[14:15], vcc
	s_xor_b64 s[14:15], exec, s[14:15]
	s_cbranch_execz .LBB70_3002
; %bb.2673:
	v_bfe_u32 v3, v5, 21, 1
	s_mov_b32 s20, 0x88fffff
	v_add3_u32 v3, v5, v3, s20
	s_mov_b64 s[12:13], exec
	v_lshrrev_b32_e32 v3, 21, v3
                                        ; implicit-def: $vgpr5
	s_andn2_saveexec_b64 s[14:15], s[14:15]
	s_cbranch_execnz .LBB70_3003
.LBB70_2674:
	s_or_b64 exec, exec, s[14:15]
	v_mov_b32_e32 v6, 0
	s_and_saveexec_b64 s[14:15], s[12:13]
.LBB70_2675:
	v_mov_b32_e32 v6, v3
.LBB70_2676:
	s_or_b64 exec, exec, s[14:15]
.LBB70_2677:
	s_or_b64 exec, exec, s[10:11]
	s_mov_b64 s[10:11], 0
	global_store_byte v[0:1], v6, off
.LBB70_2678:
	s_and_b64 vcc, exec, s[10:11]
	s_cbranch_vccz .LBB70_2688
; %bb.2679:
	v_cndmask_b32_e64 v3, 0, 1.0, s[4:5]
	s_mov_b32 s10, 0x43f00000
	v_cmp_gt_u32_e32 vcc, s10, v3
                                        ; implicit-def: $vgpr5
	s_and_saveexec_b64 s[10:11], vcc
	s_xor_b64 s[10:11], exec, s[10:11]
	s_cbranch_execz .LBB70_2685
; %bb.2680:
	s_mov_b32 s12, 0x3c7fffff
	v_cmp_lt_u32_e32 vcc, s12, v3
                                        ; implicit-def: $vgpr5
	s_and_saveexec_b64 s[12:13], vcc
	s_xor_b64 s[12:13], exec, s[12:13]
; %bb.2681:
	v_bfe_u32 v5, v3, 20, 1
	s_mov_b32 s14, 0x407ffff
	v_add3_u32 v3, v3, v5, s14
	v_lshrrev_b32_e32 v5, 20, v3
	v_and_b32_e32 v3, 0xff00000, v3
	s_mov_b32 s14, 0x7f00000
	v_mov_b32_e32 v6, 0x7e
	v_cmp_ne_u32_e32 vcc, s14, v3
	v_cndmask_b32_e32 v5, v6, v5, vcc
                                        ; implicit-def: $vgpr3
; %bb.2682:
	s_andn2_saveexec_b64 s[12:13], s[12:13]
; %bb.2683:
	v_add_f32_e32 v5, 0x46800000, v3
; %bb.2684:
	s_or_b64 exec, exec, s[12:13]
                                        ; implicit-def: $vgpr3
.LBB70_2685:
	s_andn2_saveexec_b64 s[10:11], s[10:11]
; %bb.2686:
	s_mov_b32 s12, 0x7f800000
	v_mov_b32_e32 v5, 0x7e
	v_mov_b32_e32 v6, 0x7f
	v_cmp_lt_u32_e32 vcc, s12, v3
	v_cndmask_b32_e32 v5, v5, v6, vcc
; %bb.2687:
	s_or_b64 exec, exec, s[10:11]
	global_store_byte v[0:1], v5, off
.LBB70_2688:
	s_mov_b64 s[10:11], 0
.LBB70_2689:
	s_andn2_b64 vcc, exec, s[10:11]
	s_cbranch_vccnz .LBB70_2699
; %bb.2690:
	v_cndmask_b32_e64 v3, 0, 1.0, s[4:5]
	s_mov_b32 s10, 0x47800000
	v_cmp_gt_u32_e32 vcc, s10, v3
                                        ; implicit-def: $vgpr5
	s_and_saveexec_b64 s[10:11], vcc
	s_xor_b64 s[10:11], exec, s[10:11]
	s_cbranch_execz .LBB70_2696
; %bb.2691:
	s_mov_b32 s12, 0x387fffff
	v_cmp_lt_u32_e32 vcc, s12, v3
                                        ; implicit-def: $vgpr5
	s_and_saveexec_b64 s[12:13], vcc
	s_xor_b64 s[12:13], exec, s[12:13]
; %bb.2692:
	v_bfe_u32 v5, v3, 21, 1
	s_mov_b32 s14, 0x80fffff
	v_add3_u32 v3, v3, v5, s14
	v_lshrrev_b32_e32 v5, 21, v3
                                        ; implicit-def: $vgpr3
; %bb.2693:
	s_andn2_saveexec_b64 s[12:13], s[12:13]
; %bb.2694:
	v_add_f32_e32 v5, 0x43000000, v3
; %bb.2695:
	s_or_b64 exec, exec, s[12:13]
                                        ; implicit-def: $vgpr3
.LBB70_2696:
	s_andn2_saveexec_b64 s[10:11], s[10:11]
; %bb.2697:
	s_mov_b32 s12, 0x7f800000
	v_mov_b32_e32 v5, 0x7c
	v_mov_b32_e32 v6, 0x7f
	v_cmp_lt_u32_e32 vcc, s12, v3
	v_cndmask_b32_e32 v5, v5, v6, vcc
; %bb.2698:
	s_or_b64 exec, exec, s[10:11]
	global_store_byte v[0:1], v5, off
.LBB70_2699:
	s_mov_b64 s[10:11], 0
	s_mov_b64 s[12:13], -1
.LBB70_2700:
	s_andn2_b64 vcc, exec, s[10:11]
	s_mov_b64 s[10:11], 0
	s_cbranch_vccnz .LBB70_2707
; %bb.2701:
	s_cmp_gt_i32 s23, 14
	s_mov_b64 s[14:15], -1
	s_cbranch_scc0 .LBB70_2705
; %bb.2702:
	s_cmp_eq_u32 s23, 15
	s_mov_b64 s[0:1], -1
	s_cbranch_scc0 .LBB70_2704
; %bb.2703:
	v_cndmask_b32_e64 v3, 0, 1.0, s[4:5]
	v_bfe_u32 v5, v3, 16, 1
	s_movk_i32 s0, 0x7fff
	v_add3_u32 v3, v3, v5, s0
	global_store_short_d16_hi v[0:1], v3, off
	s_mov_b64 s[0:1], 0
	s_mov_b64 s[12:13], -1
.LBB70_2704:
	s_mov_b64 s[14:15], 0
.LBB70_2705:
	s_and_b64 vcc, exec, s[14:15]
	s_cbranch_vccz .LBB70_2707
; %bb.2706:
	s_cmp_lg_u32 s23, 11
	s_mov_b64 s[10:11], -1
	s_cselect_b64 s[0:1], -1, 0
.LBB70_2707:
	s_and_b64 vcc, exec, s[0:1]
	s_cbranch_vccnz .LBB70_3001
; %bb.2708:
	s_andn2_b64 vcc, exec, s[10:11]
	s_cbranch_vccnz .LBB70_2710
.LBB70_2709:
	v_cndmask_b32_e64 v3, 0, 1, s[4:5]
	s_mov_b64 s[12:13], -1
	global_store_byte v[0:1], v3, off
.LBB70_2710:
	s_mov_b64 s[0:1], 0
	s_branch .LBB70_2712
.LBB70_2711:
	s_mov_b64 s[0:1], -1
	s_mov_b64 s[12:13], 0
.LBB70_2712:
	s_and_b64 vcc, exec, s[0:1]
	s_cbranch_vccz .LBB70_2751
; %bb.2713:
	s_and_b32 s10, 0xffff, s24
	s_cmp_lt_i32 s10, 5
	s_mov_b64 s[0:1], -1
	s_cbranch_scc1 .LBB70_2734
; %bb.2714:
	s_cmp_lt_i32 s10, 8
	s_cbranch_scc1 .LBB70_2724
; %bb.2715:
	s_cmp_lt_i32 s10, 9
	s_cbranch_scc1 .LBB70_2721
; %bb.2716:
	s_cmp_gt_i32 s10, 9
	s_cbranch_scc0 .LBB70_2718
; %bb.2717:
	v_cndmask_b32_e64 v3, 0, 1, s[4:5]
	s_waitcnt vmcnt(0)
	v_cvt_f64_u32_e32 v[11:12], v3
	v_mov_b32_e32 v13, 0
	v_mov_b32_e32 v14, v13
	s_mov_b64 s[0:1], 0
	global_store_dwordx4 v[0:1], v[11:14], off
.LBB70_2718:
	s_andn2_b64 vcc, exec, s[0:1]
	s_cbranch_vccnz .LBB70_2720
; %bb.2719:
	v_cndmask_b32_e64 v5, 0, 1.0, s[4:5]
	v_mov_b32_e32 v6, 0
	global_store_dwordx2 v[0:1], v[5:6], off
.LBB70_2720:
	s_mov_b64 s[0:1], 0
.LBB70_2721:
	s_andn2_b64 vcc, exec, s[0:1]
	s_cbranch_vccnz .LBB70_2723
; %bb.2722:
	v_cndmask_b32_e64 v3, 0, 1.0, s[4:5]
	v_cvt_f16_f32_e32 v3, v3
	global_store_dword v[0:1], v3, off
.LBB70_2723:
	s_mov_b64 s[0:1], 0
.LBB70_2724:
	s_andn2_b64 vcc, exec, s[0:1]
	s_cbranch_vccnz .LBB70_2733
; %bb.2725:
	s_cmp_lt_i32 s10, 6
	s_mov_b64 s[0:1], -1
	s_cbranch_scc1 .LBB70_2731
; %bb.2726:
	s_cmp_gt_i32 s10, 6
	s_cbranch_scc0 .LBB70_2728
; %bb.2727:
	v_cndmask_b32_e64 v3, 0, 1, s[4:5]
	v_cvt_f64_u32_e32 v[5:6], v3
	s_mov_b64 s[0:1], 0
	global_store_dwordx2 v[0:1], v[5:6], off
.LBB70_2728:
	s_andn2_b64 vcc, exec, s[0:1]
	s_cbranch_vccnz .LBB70_2730
; %bb.2729:
	v_cndmask_b32_e64 v3, 0, 1.0, s[4:5]
	global_store_dword v[0:1], v3, off
.LBB70_2730:
	s_mov_b64 s[0:1], 0
.LBB70_2731:
	s_andn2_b64 vcc, exec, s[0:1]
	s_cbranch_vccnz .LBB70_2733
; %bb.2732:
	v_cndmask_b32_e64 v3, 0, 1.0, s[4:5]
	v_cvt_f16_f32_e32 v3, v3
	global_store_short v[0:1], v3, off
.LBB70_2733:
	s_mov_b64 s[0:1], 0
.LBB70_2734:
	s_andn2_b64 vcc, exec, s[0:1]
	s_cbranch_vccnz .LBB70_2750
; %bb.2735:
	s_cmp_lt_i32 s10, 2
	s_mov_b64 s[0:1], -1
	s_cbranch_scc1 .LBB70_2745
; %bb.2736:
	s_cmp_lt_i32 s10, 3
	s_cbranch_scc1 .LBB70_2742
; %bb.2737:
	s_cmp_gt_i32 s10, 3
	s_cbranch_scc0 .LBB70_2739
; %bb.2738:
	s_mov_b32 s0, 0
	v_cndmask_b32_e64 v5, 0, 1, s[4:5]
	v_mov_b32_e32 v6, s0
	global_store_dwordx2 v[0:1], v[5:6], off
	s_mov_b64 s[0:1], 0
.LBB70_2739:
	s_andn2_b64 vcc, exec, s[0:1]
	s_cbranch_vccnz .LBB70_2741
; %bb.2740:
	v_cndmask_b32_e64 v3, 0, 1, s[4:5]
	global_store_dword v[0:1], v3, off
.LBB70_2741:
	s_mov_b64 s[0:1], 0
.LBB70_2742:
	s_andn2_b64 vcc, exec, s[0:1]
	s_cbranch_vccnz .LBB70_2744
; %bb.2743:
	v_cndmask_b32_e64 v3, 0, 1, s[4:5]
	global_store_short v[0:1], v3, off
.LBB70_2744:
	s_mov_b64 s[0:1], 0
.LBB70_2745:
	s_andn2_b64 vcc, exec, s[0:1]
	s_cbranch_vccnz .LBB70_2750
; %bb.2746:
	s_mov_b64 s[0:1], -1
	s_cmp_gt_i32 s10, 0
	v_cndmask_b32_e64 v3, 0, 1, s[4:5]
	s_cbranch_scc0 .LBB70_2748
; %bb.2747:
	global_store_byte v[0:1], v3, off
	s_mov_b64 s[0:1], 0
.LBB70_2748:
	s_andn2_b64 vcc, exec, s[0:1]
	s_cbranch_vccnz .LBB70_2750
; %bb.2749:
	global_store_byte v[0:1], v3, off
.LBB70_2750:
	s_mov_b64 s[12:13], -1
.LBB70_2751:
	s_andn2_b64 vcc, exec, s[12:13]
	s_cbranch_vccnz .LBB70_2947
; %bb.2752:
	v_cmp_ne_u16_e32 vcc, v4, v9
	v_add_u32_e32 v2, s22, v2
	s_xor_b64 s[4:5], s[2:3], vcc
	v_ashrrev_i32_e32 v1, 31, v2
	v_mov_b32_e32 v3, s9
	v_add_co_u32_e32 v0, vcc, s8, v2
	s_cmp_lt_i32 s24, 11
	v_addc_co_u32_e32 v1, vcc, v3, v1, vcc
	s_cbranch_scc1 .LBB70_2830
; %bb.2753:
	s_and_b32 s23, 0xffff, s24
	s_mov_b64 s[14:15], -1
	s_mov_b64 s[10:11], 0
	s_cmp_gt_i32 s23, 25
	s_mov_b64 s[12:13], 0
	s_mov_b64 s[0:1], 0
	s_cbranch_scc0 .LBB70_2786
; %bb.2754:
	s_cmp_gt_i32 s23, 28
	s_cbranch_scc0 .LBB70_2769
; %bb.2755:
	s_cmp_gt_i32 s23, 43
	;; [unrolled: 3-line block ×3, first 2 shown]
	s_cbranch_scc0 .LBB70_2759
; %bb.2757:
	s_mov_b64 s[0:1], -1
	s_mov_b64 s[14:15], 0
	s_cmp_eq_u32 s23, 46
	s_cbranch_scc0 .LBB70_2759
; %bb.2758:
	v_cndmask_b32_e64 v3, 0, 1.0, s[4:5]
	v_bfe_u32 v4, v3, 16, 1
	s_movk_i32 s0, 0x7fff
	v_add3_u32 v3, v3, v4, s0
	v_lshrrev_b32_e32 v3, 16, v3
	global_store_dword v[0:1], v3, off
	s_mov_b64 s[0:1], 0
	s_mov_b64 s[12:13], -1
.LBB70_2759:
	s_and_b64 vcc, exec, s[14:15]
	s_cbranch_vccz .LBB70_2764
; %bb.2760:
	s_cmp_eq_u32 s23, 44
	s_mov_b64 s[0:1], -1
	s_cbranch_scc0 .LBB70_2764
; %bb.2761:
	v_cndmask_b32_e64 v4, 0, 1.0, s[4:5]
	v_lshrrev_b32_e32 v3, 23, v4
	s_movk_i32 s0, 0xff
	v_cmp_ne_u32_e32 vcc, s0, v3
	v_mov_b32_e32 v5, 0xff
	s_and_saveexec_b64 s[12:13], vcc
; %bb.2762:
	s_mov_b32 s0, 0x3fffff
	v_and_b32_e32 v5, 0x400000, v4
	v_and_or_b32 v4, v4, s0, v3
	v_cmp_ne_u32_e32 vcc, 0, v5
	v_cmp_ne_u32_e64 s[0:1], 0, v4
	s_and_b64 s[0:1], vcc, s[0:1]
	v_cndmask_b32_e64 v4, 0, 1, s[0:1]
	v_add_u32_e32 v5, v3, v4
; %bb.2763:
	s_or_b64 exec, exec, s[12:13]
	s_mov_b64 s[0:1], 0
	s_mov_b64 s[12:13], -1
	global_store_byte v[0:1], v5, off
.LBB70_2764:
	s_mov_b64 s[14:15], 0
.LBB70_2765:
	s_and_b64 vcc, exec, s[14:15]
	s_cbranch_vccz .LBB70_2768
; %bb.2766:
	s_cmp_eq_u32 s23, 29
	s_mov_b64 s[0:1], -1
	s_cbranch_scc0 .LBB70_2768
; %bb.2767:
	s_mov_b32 s0, 0
	v_cndmask_b32_e64 v3, 0, 1, s[4:5]
	v_mov_b32_e32 v4, s0
	global_store_dwordx2 v[0:1], v[3:4], off
	s_mov_b64 s[0:1], 0
	s_mov_b64 s[12:13], -1
.LBB70_2768:
	s_mov_b64 s[14:15], 0
.LBB70_2769:
	s_and_b64 vcc, exec, s[14:15]
	s_cbranch_vccz .LBB70_2785
; %bb.2770:
	s_cmp_lt_i32 s23, 27
	s_mov_b64 s[12:13], -1
	s_cbranch_scc1 .LBB70_2776
; %bb.2771:
	s_cmp_gt_i32 s23, 27
	s_cbranch_scc0 .LBB70_2773
; %bb.2772:
	v_cndmask_b32_e64 v3, 0, 1, s[4:5]
	s_mov_b64 s[12:13], 0
	global_store_dword v[0:1], v3, off
.LBB70_2773:
	s_andn2_b64 vcc, exec, s[12:13]
	s_cbranch_vccnz .LBB70_2775
; %bb.2774:
	v_cndmask_b32_e64 v3, 0, 1, s[4:5]
	global_store_short v[0:1], v3, off
.LBB70_2775:
	s_mov_b64 s[12:13], 0
.LBB70_2776:
	s_andn2_b64 vcc, exec, s[12:13]
	s_cbranch_vccnz .LBB70_2784
; %bb.2777:
	v_cndmask_b32_e64 v4, 0, 1.0, s[4:5]
	s_mov_b32 s12, 0x43800000
	v_cmp_gt_u32_e32 vcc, s12, v4
	v_mov_b32_e32 v5, 0x80
	s_and_saveexec_b64 s[12:13], vcc
	s_cbranch_execz .LBB70_2783
; %bb.2778:
	s_mov_b32 s14, 0x3bffffff
	v_cmp_lt_u32_e32 vcc, s14, v4
	s_mov_b64 s[14:15], 0
                                        ; implicit-def: $vgpr3
	s_and_saveexec_b64 s[20:21], vcc
	s_xor_b64 s[20:21], exec, s[20:21]
	s_cbranch_execz .LBB70_3004
; %bb.2779:
	v_bfe_u32 v3, v4, 20, 1
	s_mov_b32 s25, 0x487ffff
	v_add3_u32 v3, v4, v3, s25
	s_mov_b64 s[14:15], exec
	v_lshrrev_b32_e32 v3, 20, v3
                                        ; implicit-def: $vgpr4
	s_andn2_saveexec_b64 s[20:21], s[20:21]
	s_cbranch_execnz .LBB70_3005
.LBB70_2780:
	s_or_b64 exec, exec, s[20:21]
	v_mov_b32_e32 v5, 0
	s_and_saveexec_b64 s[20:21], s[14:15]
.LBB70_2781:
	v_mov_b32_e32 v5, v3
.LBB70_2782:
	s_or_b64 exec, exec, s[20:21]
.LBB70_2783:
	s_or_b64 exec, exec, s[12:13]
	global_store_byte v[0:1], v5, off
.LBB70_2784:
	s_mov_b64 s[12:13], -1
.LBB70_2785:
	s_mov_b64 s[14:15], 0
.LBB70_2786:
	s_and_b64 vcc, exec, s[14:15]
	s_cbranch_vccz .LBB70_2826
; %bb.2787:
	s_cmp_gt_i32 s23, 22
	s_mov_b64 s[10:11], -1
	s_cbranch_scc0 .LBB70_2819
; %bb.2788:
	s_cmp_lt_i32 s23, 24
	s_cbranch_scc1 .LBB70_2808
; %bb.2789:
	s_cmp_gt_i32 s23, 24
	s_cbranch_scc0 .LBB70_2797
; %bb.2790:
	v_cndmask_b32_e64 v4, 0, 1.0, s[4:5]
	s_mov_b32 s10, 0x47800000
	v_cmp_gt_u32_e32 vcc, s10, v4
	v_mov_b32_e32 v5, 0x80
	s_and_saveexec_b64 s[10:11], vcc
	s_cbranch_execz .LBB70_2796
; %bb.2791:
	s_mov_b32 s12, 0x37ffffff
	v_cmp_lt_u32_e32 vcc, s12, v4
	s_mov_b64 s[12:13], 0
                                        ; implicit-def: $vgpr3
	s_and_saveexec_b64 s[14:15], vcc
	s_xor_b64 s[14:15], exec, s[14:15]
	s_cbranch_execz .LBB70_3007
; %bb.2792:
	v_bfe_u32 v3, v4, 21, 1
	s_mov_b32 s20, 0x88fffff
	v_add3_u32 v3, v4, v3, s20
	s_mov_b64 s[12:13], exec
	v_lshrrev_b32_e32 v3, 21, v3
                                        ; implicit-def: $vgpr4
	s_andn2_saveexec_b64 s[14:15], s[14:15]
	s_cbranch_execnz .LBB70_3008
.LBB70_2793:
	s_or_b64 exec, exec, s[14:15]
	v_mov_b32_e32 v5, 0
	s_and_saveexec_b64 s[14:15], s[12:13]
.LBB70_2794:
	v_mov_b32_e32 v5, v3
.LBB70_2795:
	s_or_b64 exec, exec, s[14:15]
.LBB70_2796:
	s_or_b64 exec, exec, s[10:11]
	s_mov_b64 s[10:11], 0
	global_store_byte v[0:1], v5, off
.LBB70_2797:
	s_and_b64 vcc, exec, s[10:11]
	s_cbranch_vccz .LBB70_2807
; %bb.2798:
	v_cndmask_b32_e64 v3, 0, 1.0, s[4:5]
	s_mov_b32 s10, 0x43f00000
	v_cmp_gt_u32_e32 vcc, s10, v3
                                        ; implicit-def: $vgpr4
	s_and_saveexec_b64 s[10:11], vcc
	s_xor_b64 s[10:11], exec, s[10:11]
	s_cbranch_execz .LBB70_2804
; %bb.2799:
	s_mov_b32 s12, 0x3c7fffff
	v_cmp_lt_u32_e32 vcc, s12, v3
                                        ; implicit-def: $vgpr4
	s_and_saveexec_b64 s[12:13], vcc
	s_xor_b64 s[12:13], exec, s[12:13]
; %bb.2800:
	v_bfe_u32 v4, v3, 20, 1
	s_mov_b32 s14, 0x407ffff
	v_add3_u32 v3, v3, v4, s14
	v_lshrrev_b32_e32 v4, 20, v3
	v_and_b32_e32 v3, 0xff00000, v3
	s_mov_b32 s14, 0x7f00000
	v_mov_b32_e32 v5, 0x7e
	v_cmp_ne_u32_e32 vcc, s14, v3
	v_cndmask_b32_e32 v4, v5, v4, vcc
                                        ; implicit-def: $vgpr3
; %bb.2801:
	s_andn2_saveexec_b64 s[12:13], s[12:13]
; %bb.2802:
	v_add_f32_e32 v4, 0x46800000, v3
; %bb.2803:
	s_or_b64 exec, exec, s[12:13]
                                        ; implicit-def: $vgpr3
.LBB70_2804:
	s_andn2_saveexec_b64 s[10:11], s[10:11]
; %bb.2805:
	s_mov_b32 s12, 0x7f800000
	v_mov_b32_e32 v4, 0x7e
	v_mov_b32_e32 v5, 0x7f
	v_cmp_lt_u32_e32 vcc, s12, v3
	v_cndmask_b32_e32 v4, v4, v5, vcc
; %bb.2806:
	s_or_b64 exec, exec, s[10:11]
	global_store_byte v[0:1], v4, off
.LBB70_2807:
	s_mov_b64 s[10:11], 0
.LBB70_2808:
	s_andn2_b64 vcc, exec, s[10:11]
	s_cbranch_vccnz .LBB70_2818
; %bb.2809:
	v_cndmask_b32_e64 v3, 0, 1.0, s[4:5]
	s_mov_b32 s10, 0x47800000
	v_cmp_gt_u32_e32 vcc, s10, v3
                                        ; implicit-def: $vgpr4
	s_and_saveexec_b64 s[10:11], vcc
	s_xor_b64 s[10:11], exec, s[10:11]
	s_cbranch_execz .LBB70_2815
; %bb.2810:
	s_mov_b32 s12, 0x387fffff
	v_cmp_lt_u32_e32 vcc, s12, v3
                                        ; implicit-def: $vgpr4
	s_and_saveexec_b64 s[12:13], vcc
	s_xor_b64 s[12:13], exec, s[12:13]
; %bb.2811:
	v_bfe_u32 v4, v3, 21, 1
	s_mov_b32 s14, 0x80fffff
	v_add3_u32 v3, v3, v4, s14
	v_lshrrev_b32_e32 v4, 21, v3
                                        ; implicit-def: $vgpr3
; %bb.2812:
	s_andn2_saveexec_b64 s[12:13], s[12:13]
; %bb.2813:
	v_add_f32_e32 v4, 0x43000000, v3
; %bb.2814:
	s_or_b64 exec, exec, s[12:13]
                                        ; implicit-def: $vgpr3
.LBB70_2815:
	s_andn2_saveexec_b64 s[10:11], s[10:11]
; %bb.2816:
	s_mov_b32 s12, 0x7f800000
	v_mov_b32_e32 v4, 0x7c
	v_mov_b32_e32 v5, 0x7f
	v_cmp_lt_u32_e32 vcc, s12, v3
	v_cndmask_b32_e32 v4, v4, v5, vcc
; %bb.2817:
	s_or_b64 exec, exec, s[10:11]
	global_store_byte v[0:1], v4, off
.LBB70_2818:
	s_mov_b64 s[10:11], 0
	s_mov_b64 s[12:13], -1
.LBB70_2819:
	s_andn2_b64 vcc, exec, s[10:11]
	s_mov_b64 s[10:11], 0
	s_cbranch_vccnz .LBB70_2826
; %bb.2820:
	s_cmp_gt_i32 s23, 14
	s_mov_b64 s[14:15], -1
	s_cbranch_scc0 .LBB70_2824
; %bb.2821:
	s_cmp_eq_u32 s23, 15
	s_mov_b64 s[0:1], -1
	s_cbranch_scc0 .LBB70_2823
; %bb.2822:
	v_cndmask_b32_e64 v3, 0, 1.0, s[4:5]
	v_bfe_u32 v4, v3, 16, 1
	s_movk_i32 s0, 0x7fff
	v_add3_u32 v3, v3, v4, s0
	global_store_short_d16_hi v[0:1], v3, off
	s_mov_b64 s[0:1], 0
	s_mov_b64 s[12:13], -1
.LBB70_2823:
	s_mov_b64 s[14:15], 0
.LBB70_2824:
	s_and_b64 vcc, exec, s[14:15]
	s_cbranch_vccz .LBB70_2826
; %bb.2825:
	s_cmp_lg_u32 s23, 11
	s_mov_b64 s[10:11], -1
	s_cselect_b64 s[0:1], -1, 0
.LBB70_2826:
	s_and_b64 vcc, exec, s[0:1]
	s_cbranch_vccnz .LBB70_3006
; %bb.2827:
	s_andn2_b64 vcc, exec, s[10:11]
	s_cbranch_vccnz .LBB70_2829
.LBB70_2828:
	v_cndmask_b32_e64 v3, 0, 1, s[4:5]
	s_mov_b64 s[12:13], -1
	global_store_byte v[0:1], v3, off
.LBB70_2829:
	s_mov_b64 s[0:1], 0
	s_branch .LBB70_2831
.LBB70_2830:
	s_mov_b64 s[0:1], -1
	s_mov_b64 s[12:13], 0
.LBB70_2831:
	s_and_b64 vcc, exec, s[0:1]
	s_cbranch_vccz .LBB70_2870
; %bb.2832:
	s_and_b32 s10, 0xffff, s24
	s_cmp_lt_i32 s10, 5
	s_mov_b64 s[0:1], -1
	s_cbranch_scc1 .LBB70_2853
; %bb.2833:
	s_cmp_lt_i32 s10, 8
	s_cbranch_scc1 .LBB70_2843
; %bb.2834:
	s_cmp_lt_i32 s10, 9
	s_cbranch_scc1 .LBB70_2840
; %bb.2835:
	s_cmp_gt_i32 s10, 9
	s_cbranch_scc0 .LBB70_2837
; %bb.2836:
	v_cndmask_b32_e64 v3, 0, 1, s[4:5]
	v_cvt_f64_u32_e32 v[3:4], v3
	v_mov_b32_e32 v5, 0
	v_mov_b32_e32 v6, v5
	s_mov_b64 s[0:1], 0
	global_store_dwordx4 v[0:1], v[3:6], off
.LBB70_2837:
	s_andn2_b64 vcc, exec, s[0:1]
	s_cbranch_vccnz .LBB70_2839
; %bb.2838:
	v_cndmask_b32_e64 v3, 0, 1.0, s[4:5]
	v_mov_b32_e32 v4, 0
	global_store_dwordx2 v[0:1], v[3:4], off
.LBB70_2839:
	s_mov_b64 s[0:1], 0
.LBB70_2840:
	s_andn2_b64 vcc, exec, s[0:1]
	s_cbranch_vccnz .LBB70_2842
; %bb.2841:
	v_cndmask_b32_e64 v3, 0, 1.0, s[4:5]
	v_cvt_f16_f32_e32 v3, v3
	global_store_dword v[0:1], v3, off
.LBB70_2842:
	s_mov_b64 s[0:1], 0
.LBB70_2843:
	s_andn2_b64 vcc, exec, s[0:1]
	s_cbranch_vccnz .LBB70_2852
; %bb.2844:
	s_cmp_lt_i32 s10, 6
	s_mov_b64 s[0:1], -1
	s_cbranch_scc1 .LBB70_2850
; %bb.2845:
	s_cmp_gt_i32 s10, 6
	s_cbranch_scc0 .LBB70_2847
; %bb.2846:
	v_cndmask_b32_e64 v3, 0, 1, s[4:5]
	v_cvt_f64_u32_e32 v[3:4], v3
	s_mov_b64 s[0:1], 0
	global_store_dwordx2 v[0:1], v[3:4], off
.LBB70_2847:
	s_andn2_b64 vcc, exec, s[0:1]
	s_cbranch_vccnz .LBB70_2849
; %bb.2848:
	v_cndmask_b32_e64 v3, 0, 1.0, s[4:5]
	global_store_dword v[0:1], v3, off
.LBB70_2849:
	s_mov_b64 s[0:1], 0
.LBB70_2850:
	s_andn2_b64 vcc, exec, s[0:1]
	s_cbranch_vccnz .LBB70_2852
; %bb.2851:
	v_cndmask_b32_e64 v3, 0, 1.0, s[4:5]
	v_cvt_f16_f32_e32 v3, v3
	global_store_short v[0:1], v3, off
.LBB70_2852:
	s_mov_b64 s[0:1], 0
.LBB70_2853:
	s_andn2_b64 vcc, exec, s[0:1]
	s_cbranch_vccnz .LBB70_2869
; %bb.2854:
	s_cmp_lt_i32 s10, 2
	s_mov_b64 s[0:1], -1
	s_cbranch_scc1 .LBB70_2864
; %bb.2855:
	s_cmp_lt_i32 s10, 3
	s_cbranch_scc1 .LBB70_2861
; %bb.2856:
	s_cmp_gt_i32 s10, 3
	s_cbranch_scc0 .LBB70_2858
; %bb.2857:
	s_mov_b32 s0, 0
	v_cndmask_b32_e64 v3, 0, 1, s[4:5]
	v_mov_b32_e32 v4, s0
	global_store_dwordx2 v[0:1], v[3:4], off
	s_mov_b64 s[0:1], 0
.LBB70_2858:
	s_andn2_b64 vcc, exec, s[0:1]
	s_cbranch_vccnz .LBB70_2860
; %bb.2859:
	v_cndmask_b32_e64 v3, 0, 1, s[4:5]
	global_store_dword v[0:1], v3, off
.LBB70_2860:
	s_mov_b64 s[0:1], 0
.LBB70_2861:
	s_andn2_b64 vcc, exec, s[0:1]
	s_cbranch_vccnz .LBB70_2863
; %bb.2862:
	v_cndmask_b32_e64 v3, 0, 1, s[4:5]
	global_store_short v[0:1], v3, off
.LBB70_2863:
	s_mov_b64 s[0:1], 0
.LBB70_2864:
	s_andn2_b64 vcc, exec, s[0:1]
	s_cbranch_vccnz .LBB70_2869
; %bb.2865:
	s_mov_b64 s[0:1], -1
	s_cmp_gt_i32 s10, 0
	v_cndmask_b32_e64 v3, 0, 1, s[4:5]
	s_cbranch_scc0 .LBB70_2867
; %bb.2866:
	global_store_byte v[0:1], v3, off
	s_mov_b64 s[0:1], 0
.LBB70_2867:
	s_andn2_b64 vcc, exec, s[0:1]
	s_cbranch_vccnz .LBB70_2869
; %bb.2868:
	global_store_byte v[0:1], v3, off
.LBB70_2869:
	s_mov_b64 s[12:13], -1
.LBB70_2870:
	s_andn2_b64 vcc, exec, s[12:13]
	s_cbranch_vccnz .LBB70_2947
; %bb.2871:
	s_waitcnt vmcnt(0)
	v_cmp_ne_u16_e32 vcc, v7, v10
	v_add_u32_e32 v0, s22, v2
	s_xor_b64 s[20:21], s[2:3], vcc
	v_ashrrev_i32_e32 v1, 31, v0
	v_mov_b32_e32 v2, s9
	v_add_co_u32_e32 v0, vcc, s8, v0
	s_cmp_lt_i32 s24, 11
	v_addc_co_u32_e32 v1, vcc, v2, v1, vcc
	s_cbranch_scc1 .LBB70_2992
; %bb.2872:
	s_and_b32 s12, 0xffff, s24
	s_mov_b64 s[4:5], -1
	s_mov_b64 s[2:3], 0
	s_cmp_gt_i32 s12, 25
	s_mov_b64 s[0:1], 0
	s_cbranch_scc0 .LBB70_2905
; %bb.2873:
	s_cmp_gt_i32 s12, 28
	s_cbranch_scc0 .LBB70_2889
; %bb.2874:
	s_cmp_gt_i32 s12, 43
	;; [unrolled: 3-line block ×3, first 2 shown]
	s_cbranch_scc0 .LBB70_2879
; %bb.2876:
	s_cmp_eq_u32 s12, 46
	s_mov_b64 s[0:1], -1
	s_cbranch_scc0 .LBB70_2878
; %bb.2877:
	v_cndmask_b32_e64 v2, 0, 1.0, s[20:21]
	v_bfe_u32 v3, v2, 16, 1
	s_movk_i32 s0, 0x7fff
	v_add3_u32 v2, v2, v3, s0
	v_lshrrev_b32_e32 v2, 16, v2
	global_store_dword v[0:1], v2, off
	s_mov_b64 s[0:1], 0
.LBB70_2878:
	s_mov_b64 s[4:5], 0
.LBB70_2879:
	s_and_b64 vcc, exec, s[4:5]
	s_cbranch_vccz .LBB70_2884
; %bb.2880:
	s_cmp_eq_u32 s12, 44
	s_mov_b64 s[0:1], -1
	s_cbranch_scc0 .LBB70_2884
; %bb.2881:
	v_cndmask_b32_e64 v3, 0, 1.0, s[20:21]
	v_lshrrev_b32_e32 v2, 23, v3
	s_movk_i32 s0, 0xff
	v_cmp_ne_u32_e32 vcc, s0, v2
	v_mov_b32_e32 v4, 0xff
	s_and_saveexec_b64 s[4:5], vcc
; %bb.2882:
	s_mov_b32 s0, 0x3fffff
	v_and_b32_e32 v4, 0x400000, v3
	v_and_or_b32 v3, v3, s0, v2
	v_cmp_ne_u32_e32 vcc, 0, v4
	v_cmp_ne_u32_e64 s[0:1], 0, v3
	s_and_b64 s[0:1], vcc, s[0:1]
	v_cndmask_b32_e64 v3, 0, 1, s[0:1]
	v_add_u32_e32 v4, v2, v3
; %bb.2883:
	s_or_b64 exec, exec, s[4:5]
	s_mov_b64 s[0:1], 0
	global_store_byte v[0:1], v4, off
.LBB70_2884:
	s_mov_b64 s[4:5], 0
.LBB70_2885:
	s_and_b64 vcc, exec, s[4:5]
	s_cbranch_vccz .LBB70_2888
; %bb.2886:
	s_cmp_eq_u32 s12, 29
	s_mov_b64 s[0:1], -1
	s_cbranch_scc0 .LBB70_2888
; %bb.2887:
	s_mov_b32 s0, 0
	v_cndmask_b32_e64 v2, 0, 1, s[20:21]
	v_mov_b32_e32 v3, s0
	global_store_dwordx2 v[0:1], v[2:3], off
	s_mov_b64 s[0:1], 0
.LBB70_2888:
	s_mov_b64 s[4:5], 0
.LBB70_2889:
	s_and_b64 vcc, exec, s[4:5]
	s_cbranch_vccz .LBB70_2904
; %bb.2890:
	s_cmp_lt_i32 s12, 27
	s_mov_b64 s[4:5], -1
	s_cbranch_scc1 .LBB70_2896
; %bb.2891:
	s_cmp_gt_i32 s12, 27
	v_cndmask_b32_e64 v2, 0, 1, s[20:21]
	s_cbranch_scc0 .LBB70_2893
; %bb.2892:
	global_store_dword v[0:1], v2, off
	s_mov_b64 s[4:5], 0
.LBB70_2893:
	s_andn2_b64 vcc, exec, s[4:5]
	s_cbranch_vccnz .LBB70_2895
; %bb.2894:
	global_store_short v[0:1], v2, off
.LBB70_2895:
	s_mov_b64 s[4:5], 0
.LBB70_2896:
	s_andn2_b64 vcc, exec, s[4:5]
	s_cbranch_vccnz .LBB70_2904
; %bb.2897:
	v_cndmask_b32_e64 v3, 0, 1.0, s[20:21]
	s_mov_b32 s4, 0x43800000
	v_cmp_gt_u32_e32 vcc, s4, v3
	v_mov_b32_e32 v4, 0x80
	s_and_saveexec_b64 s[4:5], vcc
	s_cbranch_execz .LBB70_2903
; %bb.2898:
	s_mov_b32 s8, 0x3bffffff
	v_cmp_lt_u32_e32 vcc, s8, v3
	s_mov_b64 s[8:9], 0
                                        ; implicit-def: $vgpr2
	s_and_saveexec_b64 s[10:11], vcc
	s_xor_b64 s[10:11], exec, s[10:11]
	s_cbranch_execz .LBB70_3009
; %bb.2899:
	v_bfe_u32 v2, v3, 20, 1
	s_mov_b32 s13, 0x487ffff
	v_add3_u32 v2, v3, v2, s13
	s_mov_b64 s[8:9], exec
	v_lshrrev_b32_e32 v2, 20, v2
                                        ; implicit-def: $vgpr3
	s_andn2_saveexec_b64 s[10:11], s[10:11]
	s_cbranch_execnz .LBB70_3010
.LBB70_2900:
	s_or_b64 exec, exec, s[10:11]
	v_mov_b32_e32 v4, 0
	s_and_saveexec_b64 s[10:11], s[8:9]
.LBB70_2901:
	v_mov_b32_e32 v4, v2
.LBB70_2902:
	s_or_b64 exec, exec, s[10:11]
.LBB70_2903:
	s_or_b64 exec, exec, s[4:5]
	global_store_byte v[0:1], v4, off
.LBB70_2904:
	s_mov_b64 s[4:5], 0
.LBB70_2905:
	s_and_b64 vcc, exec, s[4:5]
	s_cbranch_vccz .LBB70_2945
; %bb.2906:
	s_cmp_gt_i32 s12, 22
	s_mov_b64 s[2:3], -1
	s_cbranch_scc0 .LBB70_2938
; %bb.2907:
	s_cmp_lt_i32 s12, 24
	s_cbranch_scc1 .LBB70_2927
; %bb.2908:
	s_cmp_gt_i32 s12, 24
	s_cbranch_scc0 .LBB70_2916
; %bb.2909:
	v_cndmask_b32_e64 v3, 0, 1.0, s[20:21]
	s_mov_b32 s2, 0x47800000
	v_cmp_gt_u32_e32 vcc, s2, v3
	v_mov_b32_e32 v4, 0x80
	s_and_saveexec_b64 s[2:3], vcc
	s_cbranch_execz .LBB70_2915
; %bb.2910:
	s_mov_b32 s4, 0x37ffffff
	v_cmp_lt_u32_e32 vcc, s4, v3
	s_mov_b64 s[4:5], 0
                                        ; implicit-def: $vgpr2
	s_and_saveexec_b64 s[8:9], vcc
	s_xor_b64 s[8:9], exec, s[8:9]
	s_cbranch_execz .LBB70_3012
; %bb.2911:
	v_bfe_u32 v2, v3, 21, 1
	s_mov_b32 s10, 0x88fffff
	v_add3_u32 v2, v3, v2, s10
	s_mov_b64 s[4:5], exec
	v_lshrrev_b32_e32 v2, 21, v2
                                        ; implicit-def: $vgpr3
	s_andn2_saveexec_b64 s[8:9], s[8:9]
	s_cbranch_execnz .LBB70_3013
.LBB70_2912:
	s_or_b64 exec, exec, s[8:9]
	v_mov_b32_e32 v4, 0
	s_and_saveexec_b64 s[8:9], s[4:5]
.LBB70_2913:
	v_mov_b32_e32 v4, v2
.LBB70_2914:
	s_or_b64 exec, exec, s[8:9]
.LBB70_2915:
	s_or_b64 exec, exec, s[2:3]
	s_mov_b64 s[2:3], 0
	global_store_byte v[0:1], v4, off
.LBB70_2916:
	s_and_b64 vcc, exec, s[2:3]
	s_cbranch_vccz .LBB70_2926
; %bb.2917:
	v_cndmask_b32_e64 v2, 0, 1.0, s[20:21]
	s_mov_b32 s2, 0x43f00000
	v_cmp_gt_u32_e32 vcc, s2, v2
                                        ; implicit-def: $vgpr3
	s_and_saveexec_b64 s[2:3], vcc
	s_xor_b64 s[2:3], exec, s[2:3]
	s_cbranch_execz .LBB70_2923
; %bb.2918:
	s_mov_b32 s4, 0x3c7fffff
	v_cmp_lt_u32_e32 vcc, s4, v2
                                        ; implicit-def: $vgpr3
	s_and_saveexec_b64 s[4:5], vcc
	s_xor_b64 s[4:5], exec, s[4:5]
; %bb.2919:
	v_bfe_u32 v3, v2, 20, 1
	s_mov_b32 s8, 0x407ffff
	v_add3_u32 v2, v2, v3, s8
	v_lshrrev_b32_e32 v3, 20, v2
	v_and_b32_e32 v2, 0xff00000, v2
	s_mov_b32 s8, 0x7f00000
	v_mov_b32_e32 v4, 0x7e
	v_cmp_ne_u32_e32 vcc, s8, v2
	v_cndmask_b32_e32 v3, v4, v3, vcc
                                        ; implicit-def: $vgpr2
; %bb.2920:
	s_andn2_saveexec_b64 s[4:5], s[4:5]
; %bb.2921:
	v_add_f32_e32 v3, 0x46800000, v2
; %bb.2922:
	s_or_b64 exec, exec, s[4:5]
                                        ; implicit-def: $vgpr2
.LBB70_2923:
	s_andn2_saveexec_b64 s[2:3], s[2:3]
; %bb.2924:
	s_mov_b32 s4, 0x7f800000
	v_mov_b32_e32 v3, 0x7e
	v_mov_b32_e32 v4, 0x7f
	v_cmp_lt_u32_e32 vcc, s4, v2
	v_cndmask_b32_e32 v3, v3, v4, vcc
; %bb.2925:
	s_or_b64 exec, exec, s[2:3]
	global_store_byte v[0:1], v3, off
.LBB70_2926:
	s_mov_b64 s[2:3], 0
.LBB70_2927:
	s_andn2_b64 vcc, exec, s[2:3]
	s_cbranch_vccnz .LBB70_2937
; %bb.2928:
	v_cndmask_b32_e64 v2, 0, 1.0, s[20:21]
	s_mov_b32 s2, 0x47800000
	v_cmp_gt_u32_e32 vcc, s2, v2
                                        ; implicit-def: $vgpr3
	s_and_saveexec_b64 s[2:3], vcc
	s_xor_b64 s[2:3], exec, s[2:3]
	s_cbranch_execz .LBB70_2934
; %bb.2929:
	s_mov_b32 s4, 0x387fffff
	v_cmp_lt_u32_e32 vcc, s4, v2
                                        ; implicit-def: $vgpr3
	s_and_saveexec_b64 s[4:5], vcc
	s_xor_b64 s[4:5], exec, s[4:5]
; %bb.2930:
	v_bfe_u32 v3, v2, 21, 1
	s_mov_b32 s8, 0x80fffff
	v_add3_u32 v2, v2, v3, s8
	v_lshrrev_b32_e32 v3, 21, v2
                                        ; implicit-def: $vgpr2
; %bb.2931:
	s_andn2_saveexec_b64 s[4:5], s[4:5]
; %bb.2932:
	v_add_f32_e32 v3, 0x43000000, v2
; %bb.2933:
	s_or_b64 exec, exec, s[4:5]
                                        ; implicit-def: $vgpr2
.LBB70_2934:
	s_andn2_saveexec_b64 s[2:3], s[2:3]
; %bb.2935:
	s_mov_b32 s4, 0x7f800000
	v_mov_b32_e32 v3, 0x7c
	v_mov_b32_e32 v4, 0x7f
	v_cmp_lt_u32_e32 vcc, s4, v2
	v_cndmask_b32_e32 v3, v3, v4, vcc
; %bb.2936:
	s_or_b64 exec, exec, s[2:3]
	global_store_byte v[0:1], v3, off
.LBB70_2937:
	s_mov_b64 s[2:3], 0
.LBB70_2938:
	s_andn2_b64 vcc, exec, s[2:3]
	s_mov_b64 s[2:3], 0
	s_cbranch_vccnz .LBB70_2945
; %bb.2939:
	s_cmp_gt_i32 s12, 14
	s_mov_b64 s[4:5], -1
	s_cbranch_scc0 .LBB70_2943
; %bb.2940:
	s_cmp_eq_u32 s12, 15
	s_mov_b64 s[0:1], -1
	s_cbranch_scc0 .LBB70_2942
; %bb.2941:
	v_cndmask_b32_e64 v2, 0, 1.0, s[20:21]
	v_bfe_u32 v3, v2, 16, 1
	s_movk_i32 s0, 0x7fff
	v_add3_u32 v2, v2, v3, s0
	global_store_short_d16_hi v[0:1], v2, off
	s_mov_b64 s[0:1], 0
.LBB70_2942:
	s_mov_b64 s[4:5], 0
.LBB70_2943:
	s_and_b64 vcc, exec, s[4:5]
	s_cbranch_vccz .LBB70_2945
; %bb.2944:
	s_cmp_lg_u32 s12, 11
	s_mov_b64 s[2:3], -1
	s_cselect_b64 s[0:1], -1, 0
.LBB70_2945:
	s_and_b64 vcc, exec, s[0:1]
	s_cbranch_vccnz .LBB70_3011
.LBB70_2946:
	s_mov_b64 s[0:1], 0
	s_branch .LBB70_2948
.LBB70_2947:
	s_mov_b64 s[0:1], 0
	s_mov_b64 s[2:3], 0
                                        ; implicit-def: $sgpr20_sgpr21
                                        ; implicit-def: $sgpr24
                                        ; implicit-def: $vgpr0_vgpr1
.LBB70_2948:
	s_and_b64 s[4:5], s[2:3], exec
	s_andn2_b64 s[2:3], s[16:17], exec
	s_and_b64 s[8:9], s[18:19], exec
	s_and_b64 s[0:1], s[0:1], exec
	s_or_b64 s[16:17], s[2:3], s[8:9]
.LBB70_2949:
	s_or_b64 exec, exec, s[6:7]
	s_and_saveexec_b64 s[2:3], s[16:17]
	s_cbranch_execz .LBB70_2952
; %bb.2950:
	; divergent unreachable
	s_or_b64 exec, exec, s[2:3]
	s_and_saveexec_b64 s[2:3], s[4:5]
	s_xor_b64 s[2:3], exec, s[2:3]
	s_cbranch_execnz .LBB70_2953
.LBB70_2951:
	s_or_b64 exec, exec, s[2:3]
	s_and_saveexec_b64 s[2:3], s[0:1]
	s_cbranch_execnz .LBB70_2954
	s_branch .LBB70_2991
.LBB70_2952:
	s_or_b64 exec, exec, s[2:3]
	s_and_saveexec_b64 s[2:3], s[4:5]
	s_xor_b64 s[2:3], exec, s[2:3]
	s_cbranch_execz .LBB70_2951
.LBB70_2953:
	s_waitcnt vmcnt(0)
	v_cndmask_b32_e64 v2, 0, 1, s[20:21]
	global_store_byte v[0:1], v2, off
	s_or_b64 exec, exec, s[2:3]
	s_and_saveexec_b64 s[2:3], s[0:1]
	s_cbranch_execz .LBB70_2991
.LBB70_2954:
	s_sext_i32_i16 s2, s24
	s_cmp_lt_i32 s2, 5
	s_mov_b64 s[0:1], -1
	s_cbranch_scc1 .LBB70_2975
; %bb.2955:
	s_cmp_lt_i32 s2, 8
	s_cbranch_scc1 .LBB70_2965
; %bb.2956:
	s_cmp_lt_i32 s2, 9
	s_cbranch_scc1 .LBB70_2962
; %bb.2957:
	s_cmp_gt_i32 s2, 9
	s_cbranch_scc0 .LBB70_2959
; %bb.2958:
	s_waitcnt vmcnt(0)
	v_cndmask_b32_e64 v2, 0, 1, s[20:21]
	v_cvt_f64_u32_e32 v[2:3], v2
	v_mov_b32_e32 v4, 0
	v_mov_b32_e32 v5, v4
	s_mov_b64 s[0:1], 0
	global_store_dwordx4 v[0:1], v[2:5], off
.LBB70_2959:
	s_andn2_b64 vcc, exec, s[0:1]
	s_cbranch_vccnz .LBB70_2961
; %bb.2960:
	s_waitcnt vmcnt(0)
	v_cndmask_b32_e64 v2, 0, 1.0, s[20:21]
	v_mov_b32_e32 v3, 0
	global_store_dwordx2 v[0:1], v[2:3], off
.LBB70_2961:
	s_mov_b64 s[0:1], 0
.LBB70_2962:
	s_andn2_b64 vcc, exec, s[0:1]
	s_cbranch_vccnz .LBB70_2964
; %bb.2963:
	s_waitcnt vmcnt(0)
	v_cndmask_b32_e64 v2, 0, 1.0, s[20:21]
	v_cvt_f16_f32_e32 v2, v2
	global_store_dword v[0:1], v2, off
.LBB70_2964:
	s_mov_b64 s[0:1], 0
.LBB70_2965:
	s_andn2_b64 vcc, exec, s[0:1]
	s_cbranch_vccnz .LBB70_2974
; %bb.2966:
	s_sext_i32_i16 s2, s24
	s_cmp_lt_i32 s2, 6
	s_mov_b64 s[0:1], -1
	s_cbranch_scc1 .LBB70_2972
; %bb.2967:
	s_cmp_gt_i32 s2, 6
	s_cbranch_scc0 .LBB70_2969
; %bb.2968:
	s_waitcnt vmcnt(0)
	v_cndmask_b32_e64 v2, 0, 1, s[20:21]
	v_cvt_f64_u32_e32 v[2:3], v2
	s_mov_b64 s[0:1], 0
	global_store_dwordx2 v[0:1], v[2:3], off
.LBB70_2969:
	s_andn2_b64 vcc, exec, s[0:1]
	s_cbranch_vccnz .LBB70_2971
; %bb.2970:
	s_waitcnt vmcnt(0)
	v_cndmask_b32_e64 v2, 0, 1.0, s[20:21]
	global_store_dword v[0:1], v2, off
.LBB70_2971:
	s_mov_b64 s[0:1], 0
.LBB70_2972:
	s_andn2_b64 vcc, exec, s[0:1]
	s_cbranch_vccnz .LBB70_2974
; %bb.2973:
	s_waitcnt vmcnt(0)
	v_cndmask_b32_e64 v2, 0, 1.0, s[20:21]
	v_cvt_f16_f32_e32 v2, v2
	global_store_short v[0:1], v2, off
.LBB70_2974:
	s_mov_b64 s[0:1], 0
.LBB70_2975:
	s_andn2_b64 vcc, exec, s[0:1]
	s_cbranch_vccnz .LBB70_2991
; %bb.2976:
	s_sext_i32_i16 s2, s24
	s_cmp_lt_i32 s2, 2
	s_mov_b64 s[0:1], -1
	s_cbranch_scc1 .LBB70_2986
; %bb.2977:
	s_cmp_lt_i32 s2, 3
	s_cbranch_scc1 .LBB70_2983
; %bb.2978:
	s_cmp_gt_i32 s2, 3
	s_cbranch_scc0 .LBB70_2980
; %bb.2979:
	s_mov_b32 s0, 0
	s_waitcnt vmcnt(0)
	v_cndmask_b32_e64 v2, 0, 1, s[20:21]
	v_mov_b32_e32 v3, s0
	global_store_dwordx2 v[0:1], v[2:3], off
	s_mov_b64 s[0:1], 0
.LBB70_2980:
	s_andn2_b64 vcc, exec, s[0:1]
	s_cbranch_vccnz .LBB70_2982
; %bb.2981:
	s_waitcnt vmcnt(0)
	v_cndmask_b32_e64 v2, 0, 1, s[20:21]
	global_store_dword v[0:1], v2, off
.LBB70_2982:
	s_mov_b64 s[0:1], 0
.LBB70_2983:
	s_andn2_b64 vcc, exec, s[0:1]
	s_cbranch_vccnz .LBB70_2985
; %bb.2984:
	s_waitcnt vmcnt(0)
	v_cndmask_b32_e64 v2, 0, 1, s[20:21]
	global_store_short v[0:1], v2, off
.LBB70_2985:
	s_mov_b64 s[0:1], 0
.LBB70_2986:
	s_andn2_b64 vcc, exec, s[0:1]
	s_cbranch_vccnz .LBB70_2991
; %bb.2987:
	s_sext_i32_i16 s2, s24
	s_mov_b64 s[0:1], -1
	s_cmp_gt_i32 s2, 0
	s_waitcnt vmcnt(0)
	v_cndmask_b32_e64 v2, 0, 1, s[20:21]
	s_cbranch_scc0 .LBB70_2989
; %bb.2988:
	global_store_byte v[0:1], v2, off
	s_mov_b64 s[0:1], 0
.LBB70_2989:
	s_andn2_b64 vcc, exec, s[0:1]
	s_cbranch_vccnz .LBB70_2991
; %bb.2990:
	global_store_byte v[0:1], v2, off
	s_endpgm
.LBB70_2991:
	s_endpgm
.LBB70_2992:
	s_mov_b64 s[2:3], 0
	s_mov_b64 s[0:1], -1
	s_branch .LBB70_2948
.LBB70_2993:
	s_trap 2
	s_or_b64 s[18:19], s[18:19], exec
	s_cbranch_execz .LBB70_2462
	s_branch .LBB70_2463
.LBB70_2994:
	s_andn2_saveexec_b64 s[22:23], s[22:23]
	s_cbranch_execz .LBB70_2542
.LBB70_2995:
	v_add_f32_e32 v0, 0x46000000, v8
	v_and_b32_e32 v0, 0xff, v0
	v_cmp_ne_u32_e32 vcc, 0, v0
	s_andn2_b64 s[20:21], s[20:21], exec
	s_and_b64 s[26:27], vcc, exec
	s_or_b64 s[20:21], s[20:21], s[26:27]
	s_or_b64 exec, exec, s[22:23]
	v_mov_b32_e32 v11, 0
	s_and_saveexec_b64 s[22:23], s[20:21]
	s_cbranch_execnz .LBB70_2543
	s_branch .LBB70_2544
.LBB70_2996:
	s_trap 2
	s_or_b64 s[18:19], s[18:19], exec
	s_cbranch_execz .LBB70_2590
	s_branch .LBB70_2591
.LBB70_2997:
	s_andn2_saveexec_b64 s[20:21], s[20:21]
	s_cbranch_execz .LBB70_2555
.LBB70_2998:
	v_add_f32_e32 v0, 0x42800000, v8
	v_and_b32_e32 v0, 0xff, v0
	v_cmp_ne_u32_e32 vcc, 0, v0
	s_andn2_b64 s[14:15], s[14:15], exec
	s_and_b64 s[22:23], vcc, exec
	s_or_b64 s[14:15], s[14:15], s[22:23]
	s_or_b64 exec, exec, s[20:21]
	v_mov_b32_e32 v11, 0
	s_and_saveexec_b64 s[20:21], s[14:15]
	s_cbranch_execnz .LBB70_2556
	s_branch .LBB70_2557
.LBB70_2999:
	s_andn2_saveexec_b64 s[20:21], s[20:21]
	s_cbranch_execz .LBB70_2661
.LBB70_3000:
	v_add_f32_e32 v3, 0x46000000, v5
	v_and_b32_e32 v3, 0xff, v3
	v_cmp_ne_u32_e32 vcc, 0, v3
	s_andn2_b64 s[14:15], s[14:15], exec
	s_and_b64 s[26:27], vcc, exec
	s_or_b64 s[14:15], s[14:15], s[26:27]
	s_or_b64 exec, exec, s[20:21]
	v_mov_b32_e32 v6, 0
	s_and_saveexec_b64 s[20:21], s[14:15]
	s_cbranch_execnz .LBB70_2662
	s_branch .LBB70_2663
.LBB70_3001:
	s_trap 2
	s_or_b64 s[18:19], s[18:19], exec
	s_cbranch_execz .LBB70_2709
	s_branch .LBB70_2710
.LBB70_3002:
	s_andn2_saveexec_b64 s[14:15], s[14:15]
	s_cbranch_execz .LBB70_2674
.LBB70_3003:
	v_add_f32_e32 v3, 0x42800000, v5
	v_and_b32_e32 v3, 0xff, v3
	v_cmp_ne_u32_e32 vcc, 0, v3
	s_andn2_b64 s[12:13], s[12:13], exec
	s_and_b64 s[20:21], vcc, exec
	s_or_b64 s[12:13], s[12:13], s[20:21]
	s_or_b64 exec, exec, s[14:15]
	v_mov_b32_e32 v6, 0
	s_and_saveexec_b64 s[14:15], s[12:13]
	s_cbranch_execnz .LBB70_2675
	s_branch .LBB70_2676
.LBB70_3004:
	s_andn2_saveexec_b64 s[20:21], s[20:21]
	s_cbranch_execz .LBB70_2780
.LBB70_3005:
	v_add_f32_e32 v3, 0x46000000, v4
	v_and_b32_e32 v3, 0xff, v3
	v_cmp_ne_u32_e32 vcc, 0, v3
	s_andn2_b64 s[14:15], s[14:15], exec
	s_and_b64 s[26:27], vcc, exec
	s_or_b64 s[14:15], s[14:15], s[26:27]
	s_or_b64 exec, exec, s[20:21]
	v_mov_b32_e32 v5, 0
	s_and_saveexec_b64 s[20:21], s[14:15]
	s_cbranch_execnz .LBB70_2781
	s_branch .LBB70_2782
.LBB70_3006:
	s_trap 2
	s_or_b64 s[18:19], s[18:19], exec
	s_cbranch_execz .LBB70_2828
	s_branch .LBB70_2829
.LBB70_3007:
	s_andn2_saveexec_b64 s[14:15], s[14:15]
	s_cbranch_execz .LBB70_2793
.LBB70_3008:
	v_add_f32_e32 v3, 0x42800000, v4
	v_and_b32_e32 v3, 0xff, v3
	v_cmp_ne_u32_e32 vcc, 0, v3
	s_andn2_b64 s[12:13], s[12:13], exec
	s_and_b64 s[20:21], vcc, exec
	s_or_b64 s[12:13], s[12:13], s[20:21]
	s_or_b64 exec, exec, s[14:15]
	v_mov_b32_e32 v5, 0
	s_and_saveexec_b64 s[14:15], s[12:13]
	s_cbranch_execnz .LBB70_2794
	s_branch .LBB70_2795
.LBB70_3009:
	s_andn2_saveexec_b64 s[10:11], s[10:11]
	s_cbranch_execz .LBB70_2900
.LBB70_3010:
	v_add_f32_e32 v2, 0x46000000, v3
	v_and_b32_e32 v2, 0xff, v2
	v_cmp_ne_u32_e32 vcc, 0, v2
	s_andn2_b64 s[8:9], s[8:9], exec
	s_and_b64 s[14:15], vcc, exec
	s_or_b64 s[8:9], s[8:9], s[14:15]
	s_or_b64 exec, exec, s[10:11]
	v_mov_b32_e32 v4, 0
	s_and_saveexec_b64 s[10:11], s[8:9]
	s_cbranch_execnz .LBB70_2901
	s_branch .LBB70_2902
.LBB70_3011:
	s_mov_b64 s[2:3], 0
	s_or_b64 s[18:19], s[18:19], exec
	s_trap 2
	s_branch .LBB70_2946
.LBB70_3012:
	s_andn2_saveexec_b64 s[8:9], s[8:9]
	s_cbranch_execz .LBB70_2912
.LBB70_3013:
	v_add_f32_e32 v2, 0x42800000, v3
	v_and_b32_e32 v2, 0xff, v2
	v_cmp_ne_u32_e32 vcc, 0, v2
	s_andn2_b64 s[4:5], s[4:5], exec
	s_and_b64 s[10:11], vcc, exec
	s_or_b64 s[4:5], s[4:5], s[10:11]
	s_or_b64 exec, exec, s[8:9]
	v_mov_b32_e32 v4, 0
	s_and_saveexec_b64 s[8:9], s[4:5]
	s_cbranch_execnz .LBB70_2913
	s_branch .LBB70_2914
	.section	.rodata,"a",@progbits
	.p2align	6, 0x0
	.amdhsa_kernel _ZN2at6native32elementwise_kernel_manual_unrollILi128ELi4EZNS0_15gpu_kernel_implINS0_13BinaryFunctorIssbNS0_12_GLOBAL__N_116CompareEqFunctorIsEEEEEEvRNS_18TensorIteratorBaseERKT_EUlibE_EEviT1_
		.amdhsa_group_segment_fixed_size 0
		.amdhsa_private_segment_fixed_size 0
		.amdhsa_kernarg_size 56
		.amdhsa_user_sgpr_count 6
		.amdhsa_user_sgpr_private_segment_buffer 1
		.amdhsa_user_sgpr_dispatch_ptr 0
		.amdhsa_user_sgpr_queue_ptr 0
		.amdhsa_user_sgpr_kernarg_segment_ptr 1
		.amdhsa_user_sgpr_dispatch_id 0
		.amdhsa_user_sgpr_flat_scratch_init 0
		.amdhsa_user_sgpr_private_segment_size 0
		.amdhsa_uses_dynamic_stack 0
		.amdhsa_system_sgpr_private_segment_wavefront_offset 0
		.amdhsa_system_sgpr_workgroup_id_x 1
		.amdhsa_system_sgpr_workgroup_id_y 0
		.amdhsa_system_sgpr_workgroup_id_z 0
		.amdhsa_system_sgpr_workgroup_info 0
		.amdhsa_system_vgpr_workitem_id 0
		.amdhsa_next_free_vgpr 16
		.amdhsa_next_free_sgpr 59
		.amdhsa_reserve_vcc 1
		.amdhsa_reserve_flat_scratch 0
		.amdhsa_float_round_mode_32 0
		.amdhsa_float_round_mode_16_64 0
		.amdhsa_float_denorm_mode_32 3
		.amdhsa_float_denorm_mode_16_64 3
		.amdhsa_dx10_clamp 1
		.amdhsa_ieee_mode 1
		.amdhsa_fp16_overflow 0
		.amdhsa_exception_fp_ieee_invalid_op 0
		.amdhsa_exception_fp_denorm_src 0
		.amdhsa_exception_fp_ieee_div_zero 0
		.amdhsa_exception_fp_ieee_overflow 0
		.amdhsa_exception_fp_ieee_underflow 0
		.amdhsa_exception_fp_ieee_inexact 0
		.amdhsa_exception_int_div_zero 0
	.end_amdhsa_kernel
	.section	.text._ZN2at6native32elementwise_kernel_manual_unrollILi128ELi4EZNS0_15gpu_kernel_implINS0_13BinaryFunctorIssbNS0_12_GLOBAL__N_116CompareEqFunctorIsEEEEEEvRNS_18TensorIteratorBaseERKT_EUlibE_EEviT1_,"axG",@progbits,_ZN2at6native32elementwise_kernel_manual_unrollILi128ELi4EZNS0_15gpu_kernel_implINS0_13BinaryFunctorIssbNS0_12_GLOBAL__N_116CompareEqFunctorIsEEEEEEvRNS_18TensorIteratorBaseERKT_EUlibE_EEviT1_,comdat
.Lfunc_end70:
	.size	_ZN2at6native32elementwise_kernel_manual_unrollILi128ELi4EZNS0_15gpu_kernel_implINS0_13BinaryFunctorIssbNS0_12_GLOBAL__N_116CompareEqFunctorIsEEEEEEvRNS_18TensorIteratorBaseERKT_EUlibE_EEviT1_, .Lfunc_end70-_ZN2at6native32elementwise_kernel_manual_unrollILi128ELi4EZNS0_15gpu_kernel_implINS0_13BinaryFunctorIssbNS0_12_GLOBAL__N_116CompareEqFunctorIsEEEEEEvRNS_18TensorIteratorBaseERKT_EUlibE_EEviT1_
                                        ; -- End function
	.set _ZN2at6native32elementwise_kernel_manual_unrollILi128ELi4EZNS0_15gpu_kernel_implINS0_13BinaryFunctorIssbNS0_12_GLOBAL__N_116CompareEqFunctorIsEEEEEEvRNS_18TensorIteratorBaseERKT_EUlibE_EEviT1_.num_vgpr, 16
	.set _ZN2at6native32elementwise_kernel_manual_unrollILi128ELi4EZNS0_15gpu_kernel_implINS0_13BinaryFunctorIssbNS0_12_GLOBAL__N_116CompareEqFunctorIsEEEEEEvRNS_18TensorIteratorBaseERKT_EUlibE_EEviT1_.num_agpr, 0
	.set _ZN2at6native32elementwise_kernel_manual_unrollILi128ELi4EZNS0_15gpu_kernel_implINS0_13BinaryFunctorIssbNS0_12_GLOBAL__N_116CompareEqFunctorIsEEEEEEvRNS_18TensorIteratorBaseERKT_EUlibE_EEviT1_.numbered_sgpr, 59
	.set _ZN2at6native32elementwise_kernel_manual_unrollILi128ELi4EZNS0_15gpu_kernel_implINS0_13BinaryFunctorIssbNS0_12_GLOBAL__N_116CompareEqFunctorIsEEEEEEvRNS_18TensorIteratorBaseERKT_EUlibE_EEviT1_.num_named_barrier, 0
	.set _ZN2at6native32elementwise_kernel_manual_unrollILi128ELi4EZNS0_15gpu_kernel_implINS0_13BinaryFunctorIssbNS0_12_GLOBAL__N_116CompareEqFunctorIsEEEEEEvRNS_18TensorIteratorBaseERKT_EUlibE_EEviT1_.private_seg_size, 0
	.set _ZN2at6native32elementwise_kernel_manual_unrollILi128ELi4EZNS0_15gpu_kernel_implINS0_13BinaryFunctorIssbNS0_12_GLOBAL__N_116CompareEqFunctorIsEEEEEEvRNS_18TensorIteratorBaseERKT_EUlibE_EEviT1_.uses_vcc, 1
	.set _ZN2at6native32elementwise_kernel_manual_unrollILi128ELi4EZNS0_15gpu_kernel_implINS0_13BinaryFunctorIssbNS0_12_GLOBAL__N_116CompareEqFunctorIsEEEEEEvRNS_18TensorIteratorBaseERKT_EUlibE_EEviT1_.uses_flat_scratch, 0
	.set _ZN2at6native32elementwise_kernel_manual_unrollILi128ELi4EZNS0_15gpu_kernel_implINS0_13BinaryFunctorIssbNS0_12_GLOBAL__N_116CompareEqFunctorIsEEEEEEvRNS_18TensorIteratorBaseERKT_EUlibE_EEviT1_.has_dyn_sized_stack, 0
	.set _ZN2at6native32elementwise_kernel_manual_unrollILi128ELi4EZNS0_15gpu_kernel_implINS0_13BinaryFunctorIssbNS0_12_GLOBAL__N_116CompareEqFunctorIsEEEEEEvRNS_18TensorIteratorBaseERKT_EUlibE_EEviT1_.has_recursion, 0
	.set _ZN2at6native32elementwise_kernel_manual_unrollILi128ELi4EZNS0_15gpu_kernel_implINS0_13BinaryFunctorIssbNS0_12_GLOBAL__N_116CompareEqFunctorIsEEEEEEvRNS_18TensorIteratorBaseERKT_EUlibE_EEviT1_.has_indirect_call, 0
	.section	.AMDGPU.csdata,"",@progbits
; Kernel info:
; codeLenInByte = 43532
; TotalNumSgprs: 63
; NumVgprs: 16
; ScratchSize: 0
; MemoryBound: 1
; FloatMode: 240
; IeeeMode: 1
; LDSByteSize: 0 bytes/workgroup (compile time only)
; SGPRBlocks: 7
; VGPRBlocks: 3
; NumSGPRsForWavesPerEU: 63
; NumVGPRsForWavesPerEU: 16
; Occupancy: 10
; WaveLimiterHint : 0
; COMPUTE_PGM_RSRC2:SCRATCH_EN: 0
; COMPUTE_PGM_RSRC2:USER_SGPR: 6
; COMPUTE_PGM_RSRC2:TRAP_HANDLER: 0
; COMPUTE_PGM_RSRC2:TGID_X_EN: 1
; COMPUTE_PGM_RSRC2:TGID_Y_EN: 0
; COMPUTE_PGM_RSRC2:TGID_Z_EN: 0
; COMPUTE_PGM_RSRC2:TIDIG_COMP_CNT: 0
	.section	.text._ZN2at6native32elementwise_kernel_manual_unrollILi128ELi4EZNS0_15gpu_kernel_implINS0_13BinaryFunctorIssbNS0_12_GLOBAL__N_116CompareEqFunctorIsEEEEEEvRNS_18TensorIteratorBaseERKT_EUlibE0_EEviT1_,"axG",@progbits,_ZN2at6native32elementwise_kernel_manual_unrollILi128ELi4EZNS0_15gpu_kernel_implINS0_13BinaryFunctorIssbNS0_12_GLOBAL__N_116CompareEqFunctorIsEEEEEEvRNS_18TensorIteratorBaseERKT_EUlibE0_EEviT1_,comdat
	.globl	_ZN2at6native32elementwise_kernel_manual_unrollILi128ELi4EZNS0_15gpu_kernel_implINS0_13BinaryFunctorIssbNS0_12_GLOBAL__N_116CompareEqFunctorIsEEEEEEvRNS_18TensorIteratorBaseERKT_EUlibE0_EEviT1_ ; -- Begin function _ZN2at6native32elementwise_kernel_manual_unrollILi128ELi4EZNS0_15gpu_kernel_implINS0_13BinaryFunctorIssbNS0_12_GLOBAL__N_116CompareEqFunctorIsEEEEEEvRNS_18TensorIteratorBaseERKT_EUlibE0_EEviT1_
	.p2align	8
	.type	_ZN2at6native32elementwise_kernel_manual_unrollILi128ELi4EZNS0_15gpu_kernel_implINS0_13BinaryFunctorIssbNS0_12_GLOBAL__N_116CompareEqFunctorIsEEEEEEvRNS_18TensorIteratorBaseERKT_EUlibE0_EEviT1_,@function
_ZN2at6native32elementwise_kernel_manual_unrollILi128ELi4EZNS0_15gpu_kernel_implINS0_13BinaryFunctorIssbNS0_12_GLOBAL__N_116CompareEqFunctorIsEEEEEEvRNS_18TensorIteratorBaseERKT_EUlibE0_EEviT1_: ; @_ZN2at6native32elementwise_kernel_manual_unrollILi128ELi4EZNS0_15gpu_kernel_implINS0_13BinaryFunctorIssbNS0_12_GLOBAL__N_116CompareEqFunctorIsEEEEEEvRNS_18TensorIteratorBaseERKT_EUlibE0_EEviT1_
; %bb.0:
	s_load_dword s70, s[4:5], 0x0
	s_load_dword s33, s[4:5], 0x8
	s_add_u32 s2, s4, 8
	s_addc_u32 s3, s5, 0
	v_lshl_or_b32 v10, s6, 9, v0
	v_or_b32_e32 v21, 0x180, v10
	s_waitcnt lgkmcnt(0)
	s_add_i32 s72, s33, -1
	s_cmp_gt_u32 s72, 1
	v_cmp_le_i32_e32 vcc, s70, v21
	s_cselect_b64 s[24:25], -1, 0
	s_mov_b64 s[6:7], 0
	s_mov_b64 s[12:13], 0
	s_and_saveexec_b64 s[0:1], vcc
	s_xor_b64 s[26:27], exec, s[0:1]
	s_cbranch_execz .LBB71_1557
; %bb.1:
	s_cmp_lg_u32 s33, 0
	s_load_dwordx4 s[16:19], s[2:3], 0x4
	s_load_dwordx2 s[34:35], s[2:3], 0x14
	s_load_dwordx8 s[8:15], s[2:3], 0x188
	s_load_dwordx4 s[20:23], s[2:3], 0xc4
	s_load_dwordx2 s[30:31], s[2:3], 0xd4
	s_cselect_b64 s[38:39], -1, 0
	s_min_u32 s75, s72, 15
	s_cmp_gt_u32 s33, 1
	s_cselect_b64 s[36:37], -1, 0
	s_waitcnt lgkmcnt(0)
	s_lshr_b32 s74, s15, 8
	s_lshr_b32 s73, s15, 16
	s_cmp_eq_u32 s14, 0
	s_cselect_b64 s[28:29], -1, 0
	v_cmp_gt_i32_e32 vcc, s70, v10
	s_mov_b64 s[0:1], -1
	s_mov_b64 s[50:51], 0
	s_mov_b64 s[44:45], 0
	;; [unrolled: 1-line block ×4, first 2 shown]
	s_and_saveexec_b64 s[46:47], vcc
	s_cbranch_execz .LBB71_386
; %bb.2:
	s_andn2_b64 vcc, exec, s[24:25]
	s_cbranch_vccnz .LBB71_8
; %bb.3:
	s_andn2_b64 vcc, exec, s[38:39]
	s_cbranch_vccnz .LBB71_9
; %bb.4:
	s_add_i32 s0, s75, 1
	s_and_b32 s14, s0, 30
	s_add_u32 s0, s2, 0xffffffe8
	s_addc_u32 s1, s3, -1
	v_mov_b32_e32 v3, 0
	v_mov_b32_e32 v5, 0
	;; [unrolled: 1-line block ×4, first 2 shown]
.LBB71_5:                               ; =>This Inner Loop Header: Depth=1
	s_load_dwordx4 s[40:43], s[0:1], 0x1c
	s_load_dwordx2 s[44:45], s[0:1], 0x2c
	s_load_dwordx2 s[48:49], s[0:1], 0xec
	s_load_dwordx4 s[52:55], s[0:1], 0xdc
	s_add_u32 s0, s0, 24
	s_waitcnt lgkmcnt(0)
	v_mul_hi_u32 v2, s41, v1
	s_addc_u32 s1, s1, 0
	s_add_i32 s14, s14, -2
	s_cmp_lg_u32 s14, 0
	v_add_u32_e32 v2, v1, v2
	v_lshrrev_b32_e32 v2, s42, v2
	v_mul_lo_u32 v4, v2, s40
	v_mul_hi_u32 v6, s44, v2
	v_sub_u32_e32 v4, v1, v4
	v_add_u32_e32 v1, v2, v6
	v_lshrrev_b32_e32 v1, s45, v1
	v_mul_lo_u32 v8, v1, s43
	v_mul_lo_u32 v6, v4, s52
	;; [unrolled: 1-line block ×4, first 2 shown]
	v_sub_u32_e32 v2, v2, v8
	v_mul_lo_u32 v8, v2, s55
	v_mul_lo_u32 v9, v2, s48
	v_mul_lo_u32 v2, v2, s49
	v_add3_u32 v0, v6, v0, v8
	v_add3_u32 v5, v7, v5, v9
	v_add3_u32 v3, v4, v3, v2
	s_cbranch_scc1 .LBB71_5
; %bb.6:
	s_bitcmp1_b32 s75, 0
	s_cselect_b64 s[40:41], -1, 0
	s_and_b64 vcc, exec, s[40:41]
	s_cbranch_vccnz .LBB71_10
; %bb.7:
	s_load_dwordx2 s[40:41], s[0:1], 0x1c
	s_load_dword s14, s[0:1], 0x24
	s_load_dwordx2 s[42:43], s[0:1], 0xdc
	s_waitcnt lgkmcnt(0)
	v_mul_hi_u32 v2, s41, v1
	v_add_u32_e32 v2, v1, v2
	v_lshrrev_b32_e32 v2, s14, v2
	v_mul_lo_u32 v2, v2, s40
	s_load_dword s14, s[0:1], 0xe4
	v_sub_u32_e32 v2, v1, v2
	v_mad_u64_u32 v[0:1], s[0:1], v2, s42, v[0:1]
	v_mad_u64_u32 v[5:6], s[0:1], v2, s43, v[5:6]
	s_waitcnt lgkmcnt(0)
	v_mad_u64_u32 v[3:4], s[0:1], v2, s14, v[3:4]
	s_cbranch_execz .LBB71_11
	s_branch .LBB71_13
.LBB71_8:
                                        ; implicit-def: $vgpr0
                                        ; implicit-def: $vgpr5
                                        ; implicit-def: $vgpr3
	s_andn2_b64 vcc, exec, s[0:1]
	s_cbranch_vccz .LBB71_11
	s_branch .LBB71_13
.LBB71_9:
	v_mov_b32_e32 v0, 0
	v_mov_b32_e32 v5, 0
	;; [unrolled: 1-line block ×3, first 2 shown]
.LBB71_10:
	s_cbranch_execnz .LBB71_13
.LBB71_11:
	v_mul_hi_u32 v0, s17, v10
	s_andn2_b64 vcc, exec, s[36:37]
	v_add_u32_e32 v0, v10, v0
	v_lshrrev_b32_e32 v1, s18, v0
	v_mul_lo_u32 v0, v1, s16
	v_sub_u32_e32 v2, v10, v0
	v_mul_lo_u32 v0, v2, s20
	v_mul_lo_u32 v5, v2, s21
	;; [unrolled: 1-line block ×3, first 2 shown]
	s_cbranch_vccnz .LBB71_13
; %bb.12:
	v_mul_hi_u32 v2, s34, v1
	v_add_u32_e32 v2, v1, v2
	v_lshrrev_b32_e32 v2, s35, v2
	v_mul_lo_u32 v2, v2, s19
	v_sub_u32_e32 v2, v1, v2
	v_mad_u64_u32 v[0:1], s[0:1], v2, s23, v[0:1]
	v_mad_u64_u32 v[5:6], s[0:1], v2, s30, v[5:6]
	;; [unrolled: 1-line block ×3, first 2 shown]
.LBB71_13:
	v_mov_b32_e32 v1, s11
	s_and_b32 s14, s74, 0xff
	v_add_co_u32_e32 v4, vcc, s10, v5
	s_cmp_lt_i32 s14, 11
	v_addc_co_u32_e32 v5, vcc, 0, v1, vcc
	s_cbranch_scc1 .LBB71_20
; %bb.14:
	s_and_b32 s42, 0xffff, s14
	s_cmp_gt_i32 s42, 25
	s_cbranch_scc0 .LBB71_29
; %bb.15:
	s_cmp_gt_i32 s42, 28
	s_cbranch_scc0 .LBB71_39
; %bb.16:
	;; [unrolled: 3-line block ×4, first 2 shown]
	s_cmp_eq_u32 s42, 46
	s_mov_b64 s[40:41], 0
	s_cbranch_scc0 .LBB71_48
; %bb.19:
	global_load_dword v1, v[4:5], off
	s_mov_b64 s[0:1], -1
	s_mov_b64 s[44:45], 0
	s_waitcnt vmcnt(0)
	v_lshlrev_b32_e32 v1, 16, v1
	v_cvt_i32_f32_e32 v1, v1
	s_branch .LBB71_50
.LBB71_20:
	s_mov_b64 s[44:45], 0
                                        ; implicit-def: $vgpr1
	s_mov_b64 s[0:1], 0
	s_cbranch_execnz .LBB71_112
.LBB71_21:
	s_andn2_b64 vcc, exec, s[0:1]
	s_cbranch_vccnz .LBB71_159
.LBB71_22:
	v_mov_b32_e32 v4, s13
	s_and_b32 s14, s73, 0xff
	s_waitcnt vmcnt(0)
	v_add_co_u32_e32 v2, vcc, s12, v3
	s_cmp_lt_i32 s14, 11
	v_addc_co_u32_e32 v3, vcc, 0, v4, vcc
	s_cbranch_scc1 .LBB71_30
; %bb.23:
	s_and_b32 s48, 0xffff, s14
	s_cmp_gt_i32 s48, 25
	s_cbranch_scc0 .LBB71_40
; %bb.24:
	s_cmp_gt_i32 s48, 28
	s_cbranch_scc0 .LBB71_43
; %bb.25:
	;; [unrolled: 3-line block ×4, first 2 shown]
	s_cmp_eq_u32 s48, 46
	s_mov_b64 s[40:41], 0
	s_cbranch_scc0 .LBB71_160
; %bb.28:
	global_load_dword v4, v[2:3], off
	s_mov_b64 s[0:1], -1
	s_mov_b64 s[42:43], 0
	s_waitcnt vmcnt(0)
	v_lshlrev_b32_e32 v4, 16, v4
	v_cvt_i32_f32_e32 v4, v4
	s_branch .LBB71_162
.LBB71_29:
	s_mov_b64 s[44:45], 0
	s_mov_b64 s[0:1], 0
                                        ; implicit-def: $vgpr1
	s_cbranch_execnz .LBB71_79
	s_branch .LBB71_111
.LBB71_30:
	s_mov_b64 s[42:43], 0
                                        ; implicit-def: $vgpr4
	s_mov_b64 s[0:1], 0
	s_cbranch_execnz .LBB71_335
.LBB71_31:
	s_andn2_b64 vcc, exec, s[0:1]
	s_cbranch_vccnz .LBB71_383
.LBB71_32:
	s_waitcnt vmcnt(0)
	v_cmp_ne_u16_e32 vcc, v1, v4
	s_xor_b64 s[40:41], s[28:29], vcc
	v_mov_b32_e32 v1, s9
	s_and_b32 s14, s15, 0xff
	v_add_co_u32_e32 v0, vcc, s8, v0
	s_cmp_lt_i32 s14, 11
	v_addc_co_u32_e32 v1, vcc, 0, v1, vcc
	s_cbranch_scc1 .LBB71_41
; %bb.33:
	s_and_b32 s56, 0xffff, s14
	s_cmp_gt_i32 s56, 25
	s_cbranch_scc0 .LBB71_44
; %bb.34:
	s_cmp_gt_i32 s56, 28
	s_cbranch_scc0 .LBB71_47
; %bb.35:
	;; [unrolled: 3-line block ×4, first 2 shown]
	s_mov_b64 s[52:53], 0
	s_mov_b64 s[0:1], -1
	s_cmp_eq_u32 s56, 46
	s_mov_b64 s[48:49], 0
	s_cbranch_scc0 .LBB71_166
; %bb.38:
	v_cndmask_b32_e64 v2, 0, 1.0, s[40:41]
	v_bfe_u32 v3, v2, 16, 1
	s_movk_i32 s0, 0x7fff
	v_add3_u32 v2, v2, v3, s0
	v_lshrrev_b32_e32 v2, 16, v2
	global_store_dword v[0:1], v2, off
	s_mov_b64 s[48:49], -1
	s_mov_b64 s[0:1], 0
	s_branch .LBB71_166
.LBB71_39:
	s_mov_b64 s[40:41], -1
	s_mov_b64 s[44:45], 0
	s_mov_b64 s[0:1], 0
                                        ; implicit-def: $vgpr1
	s_branch .LBB71_62
.LBB71_40:
	s_mov_b64 s[40:41], -1
	s_mov_b64 s[42:43], 0
	s_mov_b64 s[0:1], 0
                                        ; implicit-def: $vgpr4
	s_branch .LBB71_301
.LBB71_41:
	s_mov_b64 s[52:53], -1
	s_mov_b64 s[0:1], 0
	s_mov_b64 s[48:49], 0
	s_branch .LBB71_235
.LBB71_42:
	s_mov_b64 s[40:41], -1
	s_mov_b64 s[44:45], 0
	s_mov_b64 s[0:1], 0
                                        ; implicit-def: $vgpr1
	s_branch .LBB71_57
.LBB71_43:
	s_mov_b64 s[40:41], -1
	s_mov_b64 s[42:43], 0
	s_mov_b64 s[0:1], 0
                                        ; implicit-def: $vgpr4
	s_branch .LBB71_284
.LBB71_44:
	s_mov_b64 s[52:53], -1
	s_mov_b64 s[0:1], 0
	s_mov_b64 s[48:49], 0
	s_branch .LBB71_193
.LBB71_45:
	s_mov_b64 s[40:41], -1
	s_mov_b64 s[44:45], 0
	s_branch .LBB71_49
.LBB71_46:
	s_mov_b64 s[40:41], -1
	s_mov_b64 s[42:43], 0
	s_mov_b64 s[0:1], 0
                                        ; implicit-def: $vgpr4
	s_branch .LBB71_279
.LBB71_47:
	s_mov_b64 s[52:53], -1
	s_mov_b64 s[0:1], 0
	s_mov_b64 s[48:49], 0
	s_branch .LBB71_176
.LBB71_48:
	s_mov_b64 s[44:45], -1
.LBB71_49:
	s_mov_b64 s[0:1], 0
                                        ; implicit-def: $vgpr1
.LBB71_50:
	s_and_b64 vcc, exec, s[40:41]
	s_cbranch_vccz .LBB71_56
; %bb.51:
	s_cmp_eq_u32 s42, 44
	s_cbranch_scc0 .LBB71_55
; %bb.52:
	global_load_ubyte v1, v[4:5], off
	s_mov_b64 s[0:1], -1
	s_mov_b64 s[44:45], 0
	s_waitcnt vmcnt(0)
	v_lshlrev_b32_e32 v2, 23, v1
	v_cvt_i32_f32_e32 v2, v2
	v_cmp_ne_u32_e32 vcc, 0, v1
	v_cndmask_b32_e32 v1, 0, v2, vcc
	s_branch .LBB71_56
.LBB71_53:
	s_mov_b64 s[40:41], -1
	s_mov_b64 s[42:43], 0
	s_branch .LBB71_161
.LBB71_54:
	s_mov_b64 s[52:53], -1
	s_mov_b64 s[0:1], 0
	s_mov_b64 s[48:49], 0
	s_branch .LBB71_172
.LBB71_55:
	s_mov_b64 s[44:45], -1
                                        ; implicit-def: $vgpr1
.LBB71_56:
	s_mov_b64 s[40:41], 0
.LBB71_57:
	s_and_b64 vcc, exec, s[40:41]
	s_cbranch_vccz .LBB71_61
; %bb.58:
	s_cmp_eq_u32 s42, 29
	s_cbranch_scc0 .LBB71_60
; %bb.59:
	global_load_dwordx2 v[1:2], v[4:5], off
	s_mov_b64 s[0:1], -1
	s_mov_b64 s[44:45], 0
	s_branch .LBB71_61
.LBB71_60:
	s_mov_b64 s[44:45], -1
                                        ; implicit-def: $vgpr1
.LBB71_61:
	s_mov_b64 s[40:41], 0
.LBB71_62:
	s_and_b64 vcc, exec, s[40:41]
	s_cbranch_vccz .LBB71_78
; %bb.63:
	s_cmp_lt_i32 s42, 27
	s_cbranch_scc1 .LBB71_66
; %bb.64:
	s_cmp_gt_i32 s42, 27
	s_cbranch_scc0 .LBB71_67
; %bb.65:
	global_load_dword v1, v[4:5], off
	s_mov_b64 s[0:1], 0
	s_branch .LBB71_68
.LBB71_66:
	s_mov_b64 s[0:1], -1
                                        ; implicit-def: $vgpr1
	s_branch .LBB71_71
.LBB71_67:
	s_mov_b64 s[0:1], -1
                                        ; implicit-def: $vgpr1
.LBB71_68:
	s_andn2_b64 vcc, exec, s[0:1]
	s_cbranch_vccnz .LBB71_70
; %bb.69:
	global_load_ushort v1, v[4:5], off
.LBB71_70:
	s_mov_b64 s[0:1], 0
.LBB71_71:
	s_andn2_b64 vcc, exec, s[0:1]
	s_cbranch_vccnz .LBB71_77
; %bb.72:
	global_load_ubyte v2, v[4:5], off
	s_movk_i32 s0, 0x7f
	s_mov_b64 s[40:41], 0
	s_waitcnt vmcnt(0)
	v_cmp_lt_i16_e32 vcc, s0, v2
	s_and_saveexec_b64 s[0:1], vcc
	s_xor_b64 s[0:1], exec, s[0:1]
	s_cbranch_execz .LBB71_88
; %bb.73:
	s_movk_i32 s40, 0x80
	v_cmp_ne_u16_e32 vcc, s40, v2
	s_and_b64 s[40:41], vcc, exec
	s_andn2_saveexec_b64 s[0:1], s[0:1]
	s_cbranch_execnz .LBB71_89
.LBB71_74:
	s_or_b64 exec, exec, s[0:1]
	v_mov_b32_e32 v1, 0
	s_and_saveexec_b64 s[0:1], s[40:41]
	s_cbranch_execz .LBB71_76
.LBB71_75:
	v_lshlrev_b32_e32 v1, 24, v2
	v_and_b32_e32 v2, 0xffff, v2
	v_and_b32_e32 v6, 7, v2
	v_ffbh_u32_e32 v8, v6
	v_min_u32_e32 v8, 32, v8
	v_subrev_u32_e32 v9, 28, v8
	v_bfe_u32 v7, v2, 3, 4
	v_lshlrev_b32_e32 v2, v9, v2
	v_sub_u32_e32 v8, 29, v8
	v_and_b32_e32 v2, 7, v2
	v_cmp_eq_u32_e32 vcc, 0, v7
	v_cndmask_b32_e32 v7, v7, v8, vcc
	v_cndmask_b32_e32 v2, v6, v2, vcc
	v_mov_b32_e32 v6, 0x3b800000
	v_lshlrev_b32_e32 v2, 20, v2
	v_and_b32_e32 v1, 0x80000000, v1
	v_lshl_add_u32 v6, v7, 23, v6
	v_or3_b32 v1, v1, v6, v2
	v_cvt_i32_f32_e32 v1, v1
.LBB71_76:
	s_or_b64 exec, exec, s[0:1]
.LBB71_77:
	s_mov_b64 s[0:1], -1
.LBB71_78:
	s_branch .LBB71_111
.LBB71_79:
	s_cmp_gt_i32 s42, 22
	s_cbranch_scc0 .LBB71_87
; %bb.80:
	s_cmp_lt_i32 s42, 24
	s_cbranch_scc1 .LBB71_90
; %bb.81:
	s_cmp_gt_i32 s42, 24
	s_cbranch_scc0 .LBB71_91
; %bb.82:
	global_load_ubyte v2, v[4:5], off
	s_movk_i32 s0, 0x7f
	s_mov_b64 s[40:41], 0
	s_waitcnt vmcnt(0)
	v_cmp_lt_i16_e32 vcc, s0, v2
	s_and_saveexec_b64 s[0:1], vcc
	s_xor_b64 s[0:1], exec, s[0:1]
	s_cbranch_execz .LBB71_103
; %bb.83:
	s_movk_i32 s40, 0x80
	v_cmp_ne_u16_e32 vcc, s40, v2
	s_and_b64 s[40:41], vcc, exec
	s_andn2_saveexec_b64 s[0:1], s[0:1]
	s_cbranch_execnz .LBB71_104
.LBB71_84:
	s_or_b64 exec, exec, s[0:1]
	v_mov_b32_e32 v1, 0
	s_and_saveexec_b64 s[0:1], s[40:41]
	s_cbranch_execz .LBB71_86
.LBB71_85:
	v_lshlrev_b32_e32 v1, 24, v2
	v_and_b32_e32 v2, 0xffff, v2
	v_and_b32_e32 v6, 3, v2
	v_ffbh_u32_e32 v8, v6
	v_min_u32_e32 v8, 32, v8
	v_subrev_u32_e32 v9, 29, v8
	v_bfe_u32 v7, v2, 2, 5
	v_lshlrev_b32_e32 v2, v9, v2
	v_sub_u32_e32 v8, 30, v8
	v_and_b32_e32 v2, 3, v2
	v_cmp_eq_u32_e32 vcc, 0, v7
	v_cndmask_b32_e32 v7, v7, v8, vcc
	v_cndmask_b32_e32 v2, v6, v2, vcc
	v_mov_b32_e32 v6, 0x37800000
	v_lshlrev_b32_e32 v2, 21, v2
	v_and_b32_e32 v1, 0x80000000, v1
	v_lshl_add_u32 v6, v7, 23, v6
	v_or3_b32 v1, v1, v6, v2
	v_cvt_i32_f32_e32 v1, v1
.LBB71_86:
	s_or_b64 exec, exec, s[0:1]
	s_mov_b64 s[0:1], 0
	s_branch .LBB71_92
.LBB71_87:
	s_mov_b64 s[40:41], -1
                                        ; implicit-def: $vgpr1
	s_branch .LBB71_98
.LBB71_88:
	s_andn2_saveexec_b64 s[0:1], s[0:1]
	s_cbranch_execz .LBB71_74
.LBB71_89:
	v_cmp_ne_u16_e32 vcc, 0, v2
	s_andn2_b64 s[40:41], s[40:41], exec
	s_and_b64 s[48:49], vcc, exec
	s_or_b64 s[40:41], s[40:41], s[48:49]
	s_or_b64 exec, exec, s[0:1]
	v_mov_b32_e32 v1, 0
	s_and_saveexec_b64 s[0:1], s[40:41]
	s_cbranch_execnz .LBB71_75
	s_branch .LBB71_76
.LBB71_90:
	s_mov_b64 s[0:1], -1
                                        ; implicit-def: $vgpr1
	s_branch .LBB71_95
.LBB71_91:
	s_mov_b64 s[0:1], -1
                                        ; implicit-def: $vgpr1
.LBB71_92:
	s_and_b64 vcc, exec, s[0:1]
	s_cbranch_vccz .LBB71_94
; %bb.93:
	global_load_ubyte v1, v[4:5], off
	s_mov_b32 s0, 0x7f800000
	s_waitcnt vmcnt(0)
	v_lshlrev_b32_e32 v1, 24, v1
	v_and_b32_e32 v2, 0x7f000000, v1
	v_ffbh_u32_e32 v6, v2
	v_min_u32_e32 v6, 32, v6
	v_sub_u32_e64 v6, v6, 4 clamp
	v_lshlrev_b32_e32 v8, v6, v2
	v_lshlrev_b32_e32 v6, 23, v6
	v_lshrrev_b32_e32 v8, 4, v8
	v_add_u32_e32 v7, 0x1000000, v2
	v_sub_u32_e32 v6, v8, v6
	v_ashrrev_i32_e32 v7, 8, v7
	v_add_u32_e32 v6, 0x3c000000, v6
	v_and_or_b32 v6, v7, s0, v6
	v_cmp_ne_u32_e32 vcc, 0, v2
	v_cndmask_b32_e32 v2, 0, v6, vcc
	s_brev_b32 s0, 1
	v_and_or_b32 v1, v1, s0, v2
	v_cvt_i32_f32_e32 v1, v1
.LBB71_94:
	s_mov_b64 s[0:1], 0
.LBB71_95:
	s_andn2_b64 vcc, exec, s[0:1]
	s_cbranch_vccnz .LBB71_97
; %bb.96:
	global_load_ubyte v1, v[4:5], off
	s_movk_i32 s0, 0x7f00
	s_brev_b32 s1, 16
	s_waitcnt vmcnt(0)
	v_lshlrev_b16_e32 v2, 8, v1
	v_lshlrev_b32_e32 v1, 25, v1
	v_lshrrev_b32_e32 v6, 4, v1
	v_and_or_b32 v7, v2, s0, 0.5
	v_or_b32_e32 v6, 0x70000000, v6
	v_add_f32_e32 v7, -0.5, v7
	v_mul_f32_e32 v6, 0x7800000, v6
	v_cmp_gt_u32_e32 vcc, s1, v1
	v_bfe_i32 v2, v2, 0, 16
	v_cndmask_b32_e32 v1, v6, v7, vcc
	s_brev_b32 s0, 1
	v_and_or_b32 v1, v2, s0, v1
	v_cvt_i32_f32_e32 v1, v1
.LBB71_97:
	s_mov_b64 s[40:41], 0
	s_mov_b64 s[0:1], -1
.LBB71_98:
	s_andn2_b64 vcc, exec, s[40:41]
	s_cbranch_vccnz .LBB71_111
; %bb.99:
	s_cmp_gt_i32 s42, 14
	s_cbranch_scc0 .LBB71_102
; %bb.100:
	s_cmp_eq_u32 s42, 15
	s_cbranch_scc0 .LBB71_105
; %bb.101:
	global_load_ushort v1, v[4:5], off
	s_mov_b64 s[0:1], -1
	s_mov_b64 s[44:45], 0
	s_waitcnt vmcnt(0)
	v_lshlrev_b32_e32 v1, 16, v1
	v_cvt_i32_f32_e32 v1, v1
	s_branch .LBB71_106
.LBB71_102:
	s_mov_b64 s[40:41], -1
                                        ; implicit-def: $vgpr1
	s_branch .LBB71_107
.LBB71_103:
	s_andn2_saveexec_b64 s[0:1], s[0:1]
	s_cbranch_execz .LBB71_84
.LBB71_104:
	v_cmp_ne_u16_e32 vcc, 0, v2
	s_andn2_b64 s[40:41], s[40:41], exec
	s_and_b64 s[48:49], vcc, exec
	s_or_b64 s[40:41], s[40:41], s[48:49]
	s_or_b64 exec, exec, s[0:1]
	v_mov_b32_e32 v1, 0
	s_and_saveexec_b64 s[0:1], s[40:41]
	s_cbranch_execnz .LBB71_85
	s_branch .LBB71_86
.LBB71_105:
	s_mov_b64 s[44:45], -1
                                        ; implicit-def: $vgpr1
.LBB71_106:
	s_mov_b64 s[40:41], 0
.LBB71_107:
	s_and_b64 vcc, exec, s[40:41]
	s_cbranch_vccz .LBB71_111
; %bb.108:
	s_cmp_eq_u32 s42, 11
	s_cbranch_scc0 .LBB71_110
; %bb.109:
	global_load_ubyte v1, v[4:5], off
	s_mov_b64 s[0:1], -1
	s_mov_b64 s[44:45], 0
	s_waitcnt vmcnt(0)
	v_cmp_ne_u16_e32 vcc, 0, v1
	v_cndmask_b32_e64 v1, 0, 1, vcc
	s_branch .LBB71_111
.LBB71_110:
	s_mov_b64 s[44:45], -1
                                        ; implicit-def: $vgpr1
.LBB71_111:
	s_branch .LBB71_21
.LBB71_112:
	s_and_b32 s14, 0xffff, s14
	s_cmp_lt_i32 s14, 5
	s_cbranch_scc1 .LBB71_117
; %bb.113:
	s_cmp_lt_i32 s14, 8
	s_cbranch_scc1 .LBB71_118
; %bb.114:
	;; [unrolled: 3-line block ×3, first 2 shown]
	s_cmp_gt_i32 s14, 9
	s_cbranch_scc0 .LBB71_120
; %bb.116:
	global_load_dwordx2 v[1:2], v[4:5], off
	s_mov_b64 s[0:1], 0
	s_waitcnt vmcnt(0)
	v_cvt_i32_f64_e32 v1, v[1:2]
	s_branch .LBB71_121
.LBB71_117:
                                        ; implicit-def: $vgpr1
	s_branch .LBB71_139
.LBB71_118:
	s_mov_b64 s[0:1], -1
                                        ; implicit-def: $vgpr1
	s_branch .LBB71_127
.LBB71_119:
	s_mov_b64 s[0:1], -1
                                        ; implicit-def: $vgpr1
	s_branch .LBB71_124
.LBB71_120:
	s_mov_b64 s[0:1], -1
                                        ; implicit-def: $vgpr1
.LBB71_121:
	s_andn2_b64 vcc, exec, s[0:1]
	s_cbranch_vccnz .LBB71_123
; %bb.122:
	global_load_dword v1, v[4:5], off
	s_waitcnt vmcnt(0)
	v_cvt_i32_f32_e32 v1, v1
.LBB71_123:
	s_mov_b64 s[0:1], 0
.LBB71_124:
	s_andn2_b64 vcc, exec, s[0:1]
	s_cbranch_vccnz .LBB71_126
; %bb.125:
	global_load_dword v1, v[4:5], off
	s_waitcnt vmcnt(0)
	v_cvt_i16_f16_e32 v1, v1
.LBB71_126:
	s_mov_b64 s[0:1], 0
.LBB71_127:
	s_andn2_b64 vcc, exec, s[0:1]
	s_cbranch_vccnz .LBB71_138
; %bb.128:
	s_cmp_lt_i32 s14, 6
	s_cbranch_scc1 .LBB71_131
; %bb.129:
	s_cmp_gt_i32 s14, 6
	s_cbranch_scc0 .LBB71_132
; %bb.130:
	global_load_dwordx2 v[1:2], v[4:5], off
	s_mov_b64 s[0:1], 0
	s_waitcnt vmcnt(0)
	v_cvt_i32_f64_e32 v1, v[1:2]
	s_branch .LBB71_133
.LBB71_131:
	s_mov_b64 s[0:1], -1
                                        ; implicit-def: $vgpr1
	s_branch .LBB71_136
.LBB71_132:
	s_mov_b64 s[0:1], -1
                                        ; implicit-def: $vgpr1
.LBB71_133:
	s_andn2_b64 vcc, exec, s[0:1]
	s_cbranch_vccnz .LBB71_135
; %bb.134:
	global_load_dword v1, v[4:5], off
	s_waitcnt vmcnt(0)
	v_cvt_i32_f32_e32 v1, v1
.LBB71_135:
	s_mov_b64 s[0:1], 0
.LBB71_136:
	s_andn2_b64 vcc, exec, s[0:1]
	s_cbranch_vccnz .LBB71_138
; %bb.137:
	global_load_ushort v1, v[4:5], off
	s_waitcnt vmcnt(0)
	v_cvt_i16_f16_e32 v1, v1
.LBB71_138:
	s_cbranch_execnz .LBB71_158
.LBB71_139:
	s_cmp_lt_i32 s14, 2
	s_cbranch_scc1 .LBB71_143
; %bb.140:
	s_cmp_lt_i32 s14, 3
	s_cbranch_scc1 .LBB71_144
; %bb.141:
	s_cmp_gt_i32 s14, 3
	s_cbranch_scc0 .LBB71_145
; %bb.142:
	global_load_dwordx2 v[1:2], v[4:5], off
	s_mov_b64 s[0:1], 0
	s_branch .LBB71_146
.LBB71_143:
	s_mov_b64 s[0:1], -1
                                        ; implicit-def: $vgpr1
	s_branch .LBB71_152
.LBB71_144:
	s_mov_b64 s[0:1], -1
                                        ; implicit-def: $vgpr1
	s_branch .LBB71_149
.LBB71_145:
	s_mov_b64 s[0:1], -1
                                        ; implicit-def: $vgpr1
.LBB71_146:
	s_andn2_b64 vcc, exec, s[0:1]
	s_cbranch_vccnz .LBB71_148
; %bb.147:
	global_load_dword v1, v[4:5], off
.LBB71_148:
	s_mov_b64 s[0:1], 0
.LBB71_149:
	s_andn2_b64 vcc, exec, s[0:1]
	s_cbranch_vccnz .LBB71_151
; %bb.150:
	global_load_ushort v1, v[4:5], off
.LBB71_151:
	s_mov_b64 s[0:1], 0
.LBB71_152:
	s_andn2_b64 vcc, exec, s[0:1]
	s_cbranch_vccnz .LBB71_158
; %bb.153:
	s_cmp_gt_i32 s14, 0
	s_cbranch_scc0 .LBB71_155
; %bb.154:
	global_load_sbyte v1, v[4:5], off
	s_mov_b64 s[0:1], 0
	s_branch .LBB71_156
.LBB71_155:
	s_mov_b64 s[0:1], -1
                                        ; implicit-def: $vgpr1
.LBB71_156:
	s_andn2_b64 vcc, exec, s[0:1]
	s_cbranch_vccnz .LBB71_158
; %bb.157:
	global_load_ubyte v1, v[4:5], off
.LBB71_158:
	s_branch .LBB71_22
.LBB71_159:
	s_mov_b64 s[0:1], 0
	s_mov_b64 s[42:43], 0
	s_branch .LBB71_384
.LBB71_160:
	s_mov_b64 s[42:43], -1
.LBB71_161:
	s_mov_b64 s[0:1], 0
                                        ; implicit-def: $vgpr4
.LBB71_162:
	s_and_b64 vcc, exec, s[40:41]
	s_cbranch_vccz .LBB71_278
; %bb.163:
	s_cmp_eq_u32 s48, 44
	s_cbranch_scc0 .LBB71_277
; %bb.164:
	global_load_ubyte v4, v[2:3], off
	s_mov_b64 s[0:1], -1
	s_mov_b64 s[42:43], 0
	s_waitcnt vmcnt(0)
	v_lshlrev_b32_e32 v5, 23, v4
	v_cvt_i32_f32_e32 v5, v5
	v_cmp_ne_u32_e32 vcc, 0, v4
	v_cndmask_b32_e32 v4, 0, v5, vcc
	s_branch .LBB71_278
.LBB71_165:
	s_mov_b64 s[52:53], -1
	s_mov_b64 s[0:1], 0
	s_mov_b64 s[48:49], 0
.LBB71_166:
	s_and_b64 vcc, exec, s[52:53]
	s_cbranch_vccz .LBB71_171
; %bb.167:
	s_cmp_eq_u32 s56, 44
	s_mov_b64 s[0:1], -1
	s_cbranch_scc0 .LBB71_171
; %bb.168:
	v_cndmask_b32_e64 v3, 0, 1.0, s[40:41]
	v_lshrrev_b32_e32 v2, 23, v3
	s_movk_i32 s0, 0xff
	v_cmp_ne_u32_e32 vcc, s0, v2
	v_mov_b32_e32 v4, 0xff
	s_and_saveexec_b64 s[48:49], vcc
; %bb.169:
	s_mov_b32 s0, 0x3fffff
	v_and_b32_e32 v4, 0x400000, v3
	v_and_or_b32 v3, v3, s0, v2
	v_cmp_ne_u32_e32 vcc, 0, v4
	v_cmp_ne_u32_e64 s[0:1], 0, v3
	s_and_b64 s[0:1], vcc, s[0:1]
	v_cndmask_b32_e64 v3, 0, 1, s[0:1]
	v_add_u32_e32 v4, v2, v3
; %bb.170:
	s_or_b64 exec, exec, s[48:49]
	s_mov_b64 s[48:49], -1
	s_mov_b64 s[0:1], 0
	global_store_byte v[0:1], v4, off
.LBB71_171:
	s_mov_b64 s[52:53], 0
.LBB71_172:
	s_and_b64 vcc, exec, s[52:53]
	s_cbranch_vccz .LBB71_175
; %bb.173:
	s_cmp_eq_u32 s56, 29
	s_mov_b64 s[0:1], -1
	s_cbranch_scc0 .LBB71_175
; %bb.174:
	s_mov_b32 s0, 0
	v_cndmask_b32_e64 v2, 0, 1, s[40:41]
	v_mov_b32_e32 v3, s0
	global_store_dwordx2 v[0:1], v[2:3], off
	s_mov_b64 s[48:49], -1
	s_mov_b64 s[0:1], 0
.LBB71_175:
	s_mov_b64 s[52:53], 0
.LBB71_176:
	s_and_b64 vcc, exec, s[52:53]
	s_cbranch_vccz .LBB71_192
; %bb.177:
	s_cmp_lt_i32 s56, 27
	s_mov_b64 s[48:49], -1
	s_cbranch_scc1 .LBB71_183
; %bb.178:
	s_cmp_gt_i32 s56, 27
	s_cbranch_scc0 .LBB71_180
; %bb.179:
	v_cndmask_b32_e64 v2, 0, 1, s[40:41]
	s_mov_b64 s[48:49], 0
	global_store_dword v[0:1], v2, off
.LBB71_180:
	s_andn2_b64 vcc, exec, s[48:49]
	s_cbranch_vccnz .LBB71_182
; %bb.181:
	v_cndmask_b32_e64 v2, 0, 1, s[40:41]
	global_store_short v[0:1], v2, off
.LBB71_182:
	s_mov_b64 s[48:49], 0
.LBB71_183:
	s_andn2_b64 vcc, exec, s[48:49]
	s_cbranch_vccnz .LBB71_191
; %bb.184:
	v_cndmask_b32_e64 v3, 0, 1.0, s[40:41]
	s_mov_b32 s48, 0x43800000
	v_cmp_gt_u32_e32 vcc, s48, v3
	v_mov_b32_e32 v4, 0x80
	s_and_saveexec_b64 s[48:49], vcc
	s_cbranch_execz .LBB71_190
; %bb.185:
	s_mov_b32 s52, 0x3bffffff
	v_cmp_lt_u32_e32 vcc, s52, v3
	s_mov_b64 s[52:53], 0
                                        ; implicit-def: $vgpr2
	s_and_saveexec_b64 s[54:55], vcc
	s_xor_b64 s[54:55], exec, s[54:55]
	s_cbranch_execz .LBB71_426
; %bb.186:
	v_bfe_u32 v2, v3, 20, 1
	s_mov_b32 s57, 0x487ffff
	v_add3_u32 v2, v3, v2, s57
	s_mov_b64 s[52:53], exec
	v_lshrrev_b32_e32 v2, 20, v2
                                        ; implicit-def: $vgpr3
	s_andn2_saveexec_b64 s[54:55], s[54:55]
	s_cbranch_execnz .LBB71_427
.LBB71_187:
	s_or_b64 exec, exec, s[54:55]
	v_mov_b32_e32 v4, 0
	s_and_saveexec_b64 s[54:55], s[52:53]
.LBB71_188:
	v_mov_b32_e32 v4, v2
.LBB71_189:
	s_or_b64 exec, exec, s[54:55]
.LBB71_190:
	s_or_b64 exec, exec, s[48:49]
	global_store_byte v[0:1], v4, off
.LBB71_191:
	s_mov_b64 s[48:49], -1
.LBB71_192:
	s_mov_b64 s[52:53], 0
.LBB71_193:
	s_and_b64 vcc, exec, s[52:53]
	s_cbranch_vccz .LBB71_234
; %bb.194:
	s_cmp_gt_i32 s56, 22
	s_mov_b64 s[52:53], -1
	s_cbranch_scc0 .LBB71_226
; %bb.195:
	s_cmp_lt_i32 s56, 24
	s_mov_b64 s[48:49], -1
	s_cbranch_scc1 .LBB71_215
; %bb.196:
	s_cmp_gt_i32 s56, 24
	s_cbranch_scc0 .LBB71_204
; %bb.197:
	v_cndmask_b32_e64 v3, 0, 1.0, s[40:41]
	s_mov_b32 s48, 0x47800000
	v_cmp_gt_u32_e32 vcc, s48, v3
	v_mov_b32_e32 v4, 0x80
	s_and_saveexec_b64 s[48:49], vcc
	s_cbranch_execz .LBB71_203
; %bb.198:
	s_mov_b32 s52, 0x37ffffff
	v_cmp_lt_u32_e32 vcc, s52, v3
	s_mov_b64 s[52:53], 0
                                        ; implicit-def: $vgpr2
	s_and_saveexec_b64 s[54:55], vcc
	s_xor_b64 s[54:55], exec, s[54:55]
	s_cbranch_execz .LBB71_541
; %bb.199:
	v_bfe_u32 v2, v3, 21, 1
	s_mov_b32 s57, 0x88fffff
	v_add3_u32 v2, v3, v2, s57
	s_mov_b64 s[52:53], exec
	v_lshrrev_b32_e32 v2, 21, v2
                                        ; implicit-def: $vgpr3
	s_andn2_saveexec_b64 s[54:55], s[54:55]
	s_cbranch_execnz .LBB71_542
.LBB71_200:
	s_or_b64 exec, exec, s[54:55]
	v_mov_b32_e32 v4, 0
	s_and_saveexec_b64 s[54:55], s[52:53]
.LBB71_201:
	v_mov_b32_e32 v4, v2
.LBB71_202:
	s_or_b64 exec, exec, s[54:55]
.LBB71_203:
	s_or_b64 exec, exec, s[48:49]
	s_mov_b64 s[48:49], 0
	global_store_byte v[0:1], v4, off
.LBB71_204:
	s_and_b64 vcc, exec, s[48:49]
	s_cbranch_vccz .LBB71_214
; %bb.205:
	v_cndmask_b32_e64 v2, 0, 1.0, s[40:41]
	s_mov_b32 s48, 0x43f00000
	v_cmp_gt_u32_e32 vcc, s48, v2
                                        ; implicit-def: $vgpr3
	s_and_saveexec_b64 s[48:49], vcc
	s_xor_b64 s[48:49], exec, s[48:49]
	s_cbranch_execz .LBB71_211
; %bb.206:
	s_mov_b32 s52, 0x3c7fffff
	v_cmp_lt_u32_e32 vcc, s52, v2
                                        ; implicit-def: $vgpr3
	s_and_saveexec_b64 s[52:53], vcc
	s_xor_b64 s[52:53], exec, s[52:53]
; %bb.207:
	v_bfe_u32 v3, v2, 20, 1
	s_mov_b32 s54, 0x407ffff
	v_add3_u32 v2, v2, v3, s54
	v_lshrrev_b32_e32 v3, 20, v2
	v_and_b32_e32 v2, 0xff00000, v2
	s_mov_b32 s54, 0x7f00000
	v_mov_b32_e32 v4, 0x7e
	v_cmp_ne_u32_e32 vcc, s54, v2
	v_cndmask_b32_e32 v3, v4, v3, vcc
                                        ; implicit-def: $vgpr2
; %bb.208:
	s_andn2_saveexec_b64 s[52:53], s[52:53]
; %bb.209:
	v_add_f32_e32 v3, 0x46800000, v2
; %bb.210:
	s_or_b64 exec, exec, s[52:53]
                                        ; implicit-def: $vgpr2
.LBB71_211:
	s_andn2_saveexec_b64 s[48:49], s[48:49]
; %bb.212:
	s_mov_b32 s52, 0x7f800000
	v_mov_b32_e32 v3, 0x7e
	v_mov_b32_e32 v4, 0x7f
	v_cmp_lt_u32_e32 vcc, s52, v2
	v_cndmask_b32_e32 v3, v3, v4, vcc
; %bb.213:
	s_or_b64 exec, exec, s[48:49]
	global_store_byte v[0:1], v3, off
.LBB71_214:
	s_mov_b64 s[48:49], 0
.LBB71_215:
	s_andn2_b64 vcc, exec, s[48:49]
	s_cbranch_vccnz .LBB71_225
; %bb.216:
	v_cndmask_b32_e64 v2, 0, 1.0, s[40:41]
	s_mov_b32 s48, 0x47800000
	v_cmp_gt_u32_e32 vcc, s48, v2
                                        ; implicit-def: $vgpr3
	s_and_saveexec_b64 s[48:49], vcc
	s_xor_b64 s[48:49], exec, s[48:49]
	s_cbranch_execz .LBB71_222
; %bb.217:
	s_mov_b32 s52, 0x387fffff
	v_cmp_lt_u32_e32 vcc, s52, v2
                                        ; implicit-def: $vgpr3
	s_and_saveexec_b64 s[52:53], vcc
	s_xor_b64 s[52:53], exec, s[52:53]
; %bb.218:
	v_bfe_u32 v3, v2, 21, 1
	s_mov_b32 s54, 0x80fffff
	v_add3_u32 v2, v2, v3, s54
	v_lshrrev_b32_e32 v3, 21, v2
                                        ; implicit-def: $vgpr2
; %bb.219:
	s_andn2_saveexec_b64 s[52:53], s[52:53]
; %bb.220:
	v_add_f32_e32 v3, 0x43000000, v2
; %bb.221:
	s_or_b64 exec, exec, s[52:53]
                                        ; implicit-def: $vgpr2
.LBB71_222:
	s_andn2_saveexec_b64 s[48:49], s[48:49]
; %bb.223:
	s_mov_b32 s52, 0x7f800000
	v_mov_b32_e32 v3, 0x7c
	v_mov_b32_e32 v4, 0x7f
	v_cmp_lt_u32_e32 vcc, s52, v2
	v_cndmask_b32_e32 v3, v3, v4, vcc
; %bb.224:
	s_or_b64 exec, exec, s[48:49]
	global_store_byte v[0:1], v3, off
.LBB71_225:
	s_mov_b64 s[52:53], 0
	s_mov_b64 s[48:49], -1
.LBB71_226:
	s_andn2_b64 vcc, exec, s[52:53]
	s_cbranch_vccnz .LBB71_234
; %bb.227:
	s_cmp_gt_i32 s56, 14
	s_mov_b64 s[52:53], -1
	s_cbranch_scc0 .LBB71_231
; %bb.228:
	s_cmp_eq_u32 s56, 15
	s_mov_b64 s[0:1], -1
	s_cbranch_scc0 .LBB71_230
; %bb.229:
	v_cndmask_b32_e64 v2, 0, 1.0, s[40:41]
	v_bfe_u32 v3, v2, 16, 1
	s_movk_i32 s0, 0x7fff
	v_add3_u32 v2, v2, v3, s0
	global_store_short_d16_hi v[0:1], v2, off
	s_mov_b64 s[48:49], -1
	s_mov_b64 s[0:1], 0
.LBB71_230:
	s_mov_b64 s[52:53], 0
.LBB71_231:
	s_and_b64 vcc, exec, s[52:53]
	s_cbranch_vccz .LBB71_234
; %bb.232:
	s_cmp_eq_u32 s56, 11
	s_mov_b64 s[0:1], -1
	s_cbranch_scc0 .LBB71_234
; %bb.233:
	v_cndmask_b32_e64 v2, 0, 1, s[40:41]
	s_mov_b64 s[48:49], -1
	s_mov_b64 s[0:1], 0
	global_store_byte v[0:1], v2, off
.LBB71_234:
	s_mov_b64 s[52:53], 0
.LBB71_235:
	s_and_b64 vcc, exec, s[52:53]
	s_cbranch_vccz .LBB71_274
; %bb.236:
	s_and_b32 s14, 0xffff, s14
	s_cmp_lt_i32 s14, 5
	s_mov_b64 s[48:49], -1
	s_cbranch_scc1 .LBB71_257
; %bb.237:
	s_cmp_lt_i32 s14, 8
	s_cbranch_scc1 .LBB71_247
; %bb.238:
	s_cmp_lt_i32 s14, 9
	s_cbranch_scc1 .LBB71_244
; %bb.239:
	s_cmp_gt_i32 s14, 9
	s_cbranch_scc0 .LBB71_241
; %bb.240:
	v_cndmask_b32_e64 v2, 0, 1, s[40:41]
	v_cvt_f64_u32_e32 v[2:3], v2
	v_mov_b32_e32 v4, 0
	v_mov_b32_e32 v5, v4
	s_mov_b64 s[48:49], 0
	global_store_dwordx4 v[0:1], v[2:5], off
.LBB71_241:
	s_andn2_b64 vcc, exec, s[48:49]
	s_cbranch_vccnz .LBB71_243
; %bb.242:
	v_cndmask_b32_e64 v2, 0, 1.0, s[40:41]
	v_mov_b32_e32 v3, 0
	global_store_dwordx2 v[0:1], v[2:3], off
.LBB71_243:
	s_mov_b64 s[48:49], 0
.LBB71_244:
	s_andn2_b64 vcc, exec, s[48:49]
	s_cbranch_vccnz .LBB71_246
; %bb.245:
	v_cndmask_b32_e64 v2, 0, 1.0, s[40:41]
	v_cvt_f16_f32_e32 v2, v2
	global_store_dword v[0:1], v2, off
.LBB71_246:
	s_mov_b64 s[48:49], 0
.LBB71_247:
	s_andn2_b64 vcc, exec, s[48:49]
	s_cbranch_vccnz .LBB71_256
; %bb.248:
	s_cmp_lt_i32 s14, 6
	s_mov_b64 s[48:49], -1
	s_cbranch_scc1 .LBB71_254
; %bb.249:
	s_cmp_gt_i32 s14, 6
	s_cbranch_scc0 .LBB71_251
; %bb.250:
	v_cndmask_b32_e64 v2, 0, 1, s[40:41]
	v_cvt_f64_u32_e32 v[2:3], v2
	s_mov_b64 s[48:49], 0
	global_store_dwordx2 v[0:1], v[2:3], off
.LBB71_251:
	s_andn2_b64 vcc, exec, s[48:49]
	s_cbranch_vccnz .LBB71_253
; %bb.252:
	v_cndmask_b32_e64 v2, 0, 1.0, s[40:41]
	global_store_dword v[0:1], v2, off
.LBB71_253:
	s_mov_b64 s[48:49], 0
.LBB71_254:
	s_andn2_b64 vcc, exec, s[48:49]
	s_cbranch_vccnz .LBB71_256
; %bb.255:
	v_cndmask_b32_e64 v2, 0, 1.0, s[40:41]
	v_cvt_f16_f32_e32 v2, v2
	global_store_short v[0:1], v2, off
.LBB71_256:
	s_mov_b64 s[48:49], 0
.LBB71_257:
	s_andn2_b64 vcc, exec, s[48:49]
	s_cbranch_vccnz .LBB71_273
; %bb.258:
	s_cmp_lt_i32 s14, 2
	s_mov_b64 s[48:49], -1
	s_cbranch_scc1 .LBB71_268
; %bb.259:
	s_cmp_lt_i32 s14, 3
	s_cbranch_scc1 .LBB71_265
; %bb.260:
	s_cmp_gt_i32 s14, 3
	s_cbranch_scc0 .LBB71_262
; %bb.261:
	s_mov_b32 s48, 0
	v_cndmask_b32_e64 v2, 0, 1, s[40:41]
	v_mov_b32_e32 v3, s48
	global_store_dwordx2 v[0:1], v[2:3], off
	s_mov_b64 s[48:49], 0
.LBB71_262:
	s_andn2_b64 vcc, exec, s[48:49]
	s_cbranch_vccnz .LBB71_264
; %bb.263:
	v_cndmask_b32_e64 v2, 0, 1, s[40:41]
	global_store_dword v[0:1], v2, off
.LBB71_264:
	s_mov_b64 s[48:49], 0
.LBB71_265:
	s_andn2_b64 vcc, exec, s[48:49]
	s_cbranch_vccnz .LBB71_267
; %bb.266:
	v_cndmask_b32_e64 v2, 0, 1, s[40:41]
	global_store_short v[0:1], v2, off
.LBB71_267:
	s_mov_b64 s[48:49], 0
.LBB71_268:
	s_andn2_b64 vcc, exec, s[48:49]
	s_cbranch_vccnz .LBB71_273
; %bb.269:
	s_cmp_gt_i32 s14, 0
	s_mov_b64 s[48:49], -1
	s_cbranch_scc0 .LBB71_271
; %bb.270:
	v_cndmask_b32_e64 v2, 0, 1, s[40:41]
	global_store_byte v[0:1], v2, off
	s_mov_b64 s[48:49], 0
.LBB71_271:
	s_andn2_b64 vcc, exec, s[48:49]
	s_cbranch_vccnz .LBB71_273
; %bb.272:
	v_cndmask_b32_e64 v2, 0, 1, s[40:41]
	global_store_byte v[0:1], v2, off
.LBB71_273:
	s_mov_b64 s[48:49], -1
.LBB71_274:
	s_andn2_b64 vcc, exec, s[48:49]
	s_cbranch_vccnz .LBB71_276
; %bb.275:
	v_add_u32_e32 v10, 0x80, v10
	s_mov_b64 s[48:49], -1
	s_branch .LBB71_385
.LBB71_276:
	s_mov_b64 s[48:49], 0
                                        ; implicit-def: $vgpr10
	s_branch .LBB71_385
.LBB71_277:
	s_mov_b64 s[42:43], -1
                                        ; implicit-def: $vgpr4
.LBB71_278:
	s_mov_b64 s[40:41], 0
.LBB71_279:
	s_and_b64 vcc, exec, s[40:41]
	s_cbranch_vccz .LBB71_283
; %bb.280:
	s_cmp_eq_u32 s48, 29
	s_cbranch_scc0 .LBB71_282
; %bb.281:
	global_load_dwordx2 v[4:5], v[2:3], off
	s_mov_b64 s[0:1], -1
	s_mov_b64 s[42:43], 0
	s_branch .LBB71_283
.LBB71_282:
	s_mov_b64 s[42:43], -1
                                        ; implicit-def: $vgpr4
.LBB71_283:
	s_mov_b64 s[40:41], 0
.LBB71_284:
	s_and_b64 vcc, exec, s[40:41]
	s_cbranch_vccz .LBB71_300
; %bb.285:
	s_cmp_lt_i32 s48, 27
	s_cbranch_scc1 .LBB71_288
; %bb.286:
	s_cmp_gt_i32 s48, 27
	s_cbranch_scc0 .LBB71_289
; %bb.287:
	global_load_dword v4, v[2:3], off
	s_mov_b64 s[0:1], 0
	s_branch .LBB71_290
.LBB71_288:
	s_mov_b64 s[0:1], -1
                                        ; implicit-def: $vgpr4
	s_branch .LBB71_293
.LBB71_289:
	s_mov_b64 s[0:1], -1
                                        ; implicit-def: $vgpr4
.LBB71_290:
	s_andn2_b64 vcc, exec, s[0:1]
	s_cbranch_vccnz .LBB71_292
; %bb.291:
	global_load_ushort v4, v[2:3], off
.LBB71_292:
	s_mov_b64 s[0:1], 0
.LBB71_293:
	s_andn2_b64 vcc, exec, s[0:1]
	s_cbranch_vccnz .LBB71_299
; %bb.294:
	global_load_ubyte v5, v[2:3], off
	s_movk_i32 s0, 0x7f
	s_mov_b64 s[40:41], 0
	s_waitcnt vmcnt(0)
	v_cmp_lt_i16_e32 vcc, s0, v5
	s_and_saveexec_b64 s[0:1], vcc
	s_xor_b64 s[0:1], exec, s[0:1]
	s_cbranch_execz .LBB71_311
; %bb.295:
	s_movk_i32 s40, 0x80
	v_cmp_ne_u16_e32 vcc, s40, v5
	s_and_b64 s[40:41], vcc, exec
	s_andn2_saveexec_b64 s[0:1], s[0:1]
	s_cbranch_execnz .LBB71_312
.LBB71_296:
	s_or_b64 exec, exec, s[0:1]
	v_mov_b32_e32 v4, 0
	s_and_saveexec_b64 s[0:1], s[40:41]
	s_cbranch_execz .LBB71_298
.LBB71_297:
	v_lshlrev_b32_e32 v4, 24, v5
	v_and_b32_e32 v5, 0xffff, v5
	v_and_b32_e32 v6, 7, v5
	v_ffbh_u32_e32 v8, v6
	v_min_u32_e32 v8, 32, v8
	v_subrev_u32_e32 v9, 28, v8
	v_bfe_u32 v7, v5, 3, 4
	v_lshlrev_b32_e32 v5, v9, v5
	v_sub_u32_e32 v8, 29, v8
	v_and_b32_e32 v5, 7, v5
	v_cmp_eq_u32_e32 vcc, 0, v7
	v_cndmask_b32_e32 v7, v7, v8, vcc
	v_cndmask_b32_e32 v5, v6, v5, vcc
	v_mov_b32_e32 v6, 0x3b800000
	v_lshlrev_b32_e32 v5, 20, v5
	v_and_b32_e32 v4, 0x80000000, v4
	v_lshl_add_u32 v6, v7, 23, v6
	v_or3_b32 v4, v4, v6, v5
	v_cvt_i32_f32_e32 v4, v4
.LBB71_298:
	s_or_b64 exec, exec, s[0:1]
.LBB71_299:
	s_mov_b64 s[0:1], -1
.LBB71_300:
	s_mov_b64 s[40:41], 0
.LBB71_301:
	s_and_b64 vcc, exec, s[40:41]
	s_cbranch_vccz .LBB71_334
; %bb.302:
	s_cmp_gt_i32 s48, 22
	s_cbranch_scc0 .LBB71_310
; %bb.303:
	s_cmp_lt_i32 s48, 24
	s_cbranch_scc1 .LBB71_313
; %bb.304:
	s_cmp_gt_i32 s48, 24
	s_cbranch_scc0 .LBB71_314
; %bb.305:
	global_load_ubyte v5, v[2:3], off
	s_movk_i32 s0, 0x7f
	s_mov_b64 s[40:41], 0
	s_waitcnt vmcnt(0)
	v_cmp_lt_i16_e32 vcc, s0, v5
	s_and_saveexec_b64 s[0:1], vcc
	s_xor_b64 s[0:1], exec, s[0:1]
	s_cbranch_execz .LBB71_326
; %bb.306:
	s_movk_i32 s40, 0x80
	v_cmp_ne_u16_e32 vcc, s40, v5
	s_and_b64 s[40:41], vcc, exec
	s_andn2_saveexec_b64 s[0:1], s[0:1]
	s_cbranch_execnz .LBB71_327
.LBB71_307:
	s_or_b64 exec, exec, s[0:1]
	v_mov_b32_e32 v4, 0
	s_and_saveexec_b64 s[0:1], s[40:41]
	s_cbranch_execz .LBB71_309
.LBB71_308:
	v_lshlrev_b32_e32 v4, 24, v5
	v_and_b32_e32 v5, 0xffff, v5
	v_and_b32_e32 v6, 3, v5
	v_ffbh_u32_e32 v8, v6
	v_min_u32_e32 v8, 32, v8
	v_subrev_u32_e32 v9, 29, v8
	v_bfe_u32 v7, v5, 2, 5
	v_lshlrev_b32_e32 v5, v9, v5
	v_sub_u32_e32 v8, 30, v8
	v_and_b32_e32 v5, 3, v5
	v_cmp_eq_u32_e32 vcc, 0, v7
	v_cndmask_b32_e32 v7, v7, v8, vcc
	v_cndmask_b32_e32 v5, v6, v5, vcc
	v_mov_b32_e32 v6, 0x37800000
	v_lshlrev_b32_e32 v5, 21, v5
	v_and_b32_e32 v4, 0x80000000, v4
	v_lshl_add_u32 v6, v7, 23, v6
	v_or3_b32 v4, v4, v6, v5
	v_cvt_i32_f32_e32 v4, v4
.LBB71_309:
	s_or_b64 exec, exec, s[0:1]
	s_mov_b64 s[0:1], 0
	s_branch .LBB71_315
.LBB71_310:
	s_mov_b64 s[40:41], -1
                                        ; implicit-def: $vgpr4
	s_branch .LBB71_321
.LBB71_311:
	s_andn2_saveexec_b64 s[0:1], s[0:1]
	s_cbranch_execz .LBB71_296
.LBB71_312:
	v_cmp_ne_u16_e32 vcc, 0, v5
	s_andn2_b64 s[40:41], s[40:41], exec
	s_and_b64 s[52:53], vcc, exec
	s_or_b64 s[40:41], s[40:41], s[52:53]
	s_or_b64 exec, exec, s[0:1]
	v_mov_b32_e32 v4, 0
	s_and_saveexec_b64 s[0:1], s[40:41]
	s_cbranch_execnz .LBB71_297
	s_branch .LBB71_298
.LBB71_313:
	s_mov_b64 s[0:1], -1
                                        ; implicit-def: $vgpr4
	s_branch .LBB71_318
.LBB71_314:
	s_mov_b64 s[0:1], -1
                                        ; implicit-def: $vgpr4
.LBB71_315:
	s_and_b64 vcc, exec, s[0:1]
	s_cbranch_vccz .LBB71_317
; %bb.316:
	global_load_ubyte v4, v[2:3], off
	s_mov_b32 s0, 0x7f800000
	s_waitcnt vmcnt(0)
	v_lshlrev_b32_e32 v4, 24, v4
	v_and_b32_e32 v5, 0x7f000000, v4
	v_ffbh_u32_e32 v6, v5
	v_min_u32_e32 v6, 32, v6
	v_sub_u32_e64 v6, v6, 4 clamp
	v_lshlrev_b32_e32 v8, v6, v5
	v_lshlrev_b32_e32 v6, 23, v6
	v_lshrrev_b32_e32 v8, 4, v8
	v_add_u32_e32 v7, 0x1000000, v5
	v_sub_u32_e32 v6, v8, v6
	v_ashrrev_i32_e32 v7, 8, v7
	v_add_u32_e32 v6, 0x3c000000, v6
	v_and_or_b32 v6, v7, s0, v6
	v_cmp_ne_u32_e32 vcc, 0, v5
	v_cndmask_b32_e32 v5, 0, v6, vcc
	s_brev_b32 s0, 1
	v_and_or_b32 v4, v4, s0, v5
	v_cvt_i32_f32_e32 v4, v4
.LBB71_317:
	s_mov_b64 s[0:1], 0
.LBB71_318:
	s_andn2_b64 vcc, exec, s[0:1]
	s_cbranch_vccnz .LBB71_320
; %bb.319:
	global_load_ubyte v4, v[2:3], off
	s_movk_i32 s0, 0x7f00
	s_brev_b32 s1, 16
	s_waitcnt vmcnt(0)
	v_lshlrev_b16_e32 v5, 8, v4
	v_lshlrev_b32_e32 v4, 25, v4
	v_lshrrev_b32_e32 v6, 4, v4
	v_and_or_b32 v7, v5, s0, 0.5
	v_or_b32_e32 v6, 0x70000000, v6
	v_add_f32_e32 v7, -0.5, v7
	v_mul_f32_e32 v6, 0x7800000, v6
	v_cmp_gt_u32_e32 vcc, s1, v4
	v_bfe_i32 v5, v5, 0, 16
	v_cndmask_b32_e32 v4, v6, v7, vcc
	s_brev_b32 s0, 1
	v_and_or_b32 v4, v5, s0, v4
	v_cvt_i32_f32_e32 v4, v4
.LBB71_320:
	s_mov_b64 s[40:41], 0
	s_mov_b64 s[0:1], -1
.LBB71_321:
	s_andn2_b64 vcc, exec, s[40:41]
	s_cbranch_vccnz .LBB71_334
; %bb.322:
	s_cmp_gt_i32 s48, 14
	s_cbranch_scc0 .LBB71_325
; %bb.323:
	s_cmp_eq_u32 s48, 15
	s_cbranch_scc0 .LBB71_328
; %bb.324:
	global_load_ushort v4, v[2:3], off
	s_mov_b64 s[0:1], -1
	s_mov_b64 s[42:43], 0
	s_waitcnt vmcnt(0)
	v_lshlrev_b32_e32 v4, 16, v4
	v_cvt_i32_f32_e32 v4, v4
	s_branch .LBB71_329
.LBB71_325:
	s_mov_b64 s[40:41], -1
                                        ; implicit-def: $vgpr4
	s_branch .LBB71_330
.LBB71_326:
	s_andn2_saveexec_b64 s[0:1], s[0:1]
	s_cbranch_execz .LBB71_307
.LBB71_327:
	v_cmp_ne_u16_e32 vcc, 0, v5
	s_andn2_b64 s[40:41], s[40:41], exec
	s_and_b64 s[52:53], vcc, exec
	s_or_b64 s[40:41], s[40:41], s[52:53]
	s_or_b64 exec, exec, s[0:1]
	v_mov_b32_e32 v4, 0
	s_and_saveexec_b64 s[0:1], s[40:41]
	s_cbranch_execnz .LBB71_308
	s_branch .LBB71_309
.LBB71_328:
	s_mov_b64 s[42:43], -1
                                        ; implicit-def: $vgpr4
.LBB71_329:
	s_mov_b64 s[40:41], 0
.LBB71_330:
	s_and_b64 vcc, exec, s[40:41]
	s_cbranch_vccz .LBB71_334
; %bb.331:
	s_cmp_eq_u32 s48, 11
	s_cbranch_scc0 .LBB71_333
; %bb.332:
	global_load_ubyte v4, v[2:3], off
	s_mov_b64 s[0:1], -1
	s_mov_b64 s[42:43], 0
	s_waitcnt vmcnt(0)
	v_cmp_ne_u16_e32 vcc, 0, v4
	v_cndmask_b32_e64 v4, 0, 1, vcc
	s_branch .LBB71_334
.LBB71_333:
	s_mov_b64 s[42:43], -1
                                        ; implicit-def: $vgpr4
.LBB71_334:
	s_branch .LBB71_31
.LBB71_335:
	s_and_b32 s14, 0xffff, s14
	s_cmp_lt_i32 s14, 5
	s_cbranch_scc1 .LBB71_340
; %bb.336:
	s_cmp_lt_i32 s14, 8
	s_cbranch_scc1 .LBB71_341
; %bb.337:
	;; [unrolled: 3-line block ×3, first 2 shown]
	s_cmp_gt_i32 s14, 9
	s_cbranch_scc0 .LBB71_343
; %bb.339:
	global_load_dwordx2 v[4:5], v[2:3], off
	s_mov_b64 s[0:1], 0
	s_waitcnt vmcnt(0)
	v_cvt_i32_f64_e32 v4, v[4:5]
	s_branch .LBB71_344
.LBB71_340:
	s_mov_b64 s[0:1], -1
                                        ; implicit-def: $vgpr4
	s_branch .LBB71_362
.LBB71_341:
	s_mov_b64 s[0:1], -1
                                        ; implicit-def: $vgpr4
	s_branch .LBB71_350
.LBB71_342:
	s_mov_b64 s[0:1], -1
                                        ; implicit-def: $vgpr4
	s_branch .LBB71_347
.LBB71_343:
	s_mov_b64 s[0:1], -1
                                        ; implicit-def: $vgpr4
.LBB71_344:
	s_andn2_b64 vcc, exec, s[0:1]
	s_cbranch_vccnz .LBB71_346
; %bb.345:
	global_load_dword v4, v[2:3], off
	s_waitcnt vmcnt(0)
	v_cvt_i32_f32_e32 v4, v4
.LBB71_346:
	s_mov_b64 s[0:1], 0
.LBB71_347:
	s_andn2_b64 vcc, exec, s[0:1]
	s_cbranch_vccnz .LBB71_349
; %bb.348:
	global_load_dword v4, v[2:3], off
	s_waitcnt vmcnt(0)
	v_cvt_i16_f16_e32 v4, v4
.LBB71_349:
	s_mov_b64 s[0:1], 0
.LBB71_350:
	s_andn2_b64 vcc, exec, s[0:1]
	s_cbranch_vccnz .LBB71_361
; %bb.351:
	s_cmp_lt_i32 s14, 6
	s_cbranch_scc1 .LBB71_354
; %bb.352:
	s_cmp_gt_i32 s14, 6
	s_cbranch_scc0 .LBB71_355
; %bb.353:
	global_load_dwordx2 v[4:5], v[2:3], off
	s_mov_b64 s[0:1], 0
	s_waitcnt vmcnt(0)
	v_cvt_i32_f64_e32 v4, v[4:5]
	s_branch .LBB71_356
.LBB71_354:
	s_mov_b64 s[0:1], -1
                                        ; implicit-def: $vgpr4
	s_branch .LBB71_359
.LBB71_355:
	s_mov_b64 s[0:1], -1
                                        ; implicit-def: $vgpr4
.LBB71_356:
	s_andn2_b64 vcc, exec, s[0:1]
	s_cbranch_vccnz .LBB71_358
; %bb.357:
	global_load_dword v4, v[2:3], off
	s_waitcnt vmcnt(0)
	v_cvt_i32_f32_e32 v4, v4
.LBB71_358:
	s_mov_b64 s[0:1], 0
.LBB71_359:
	s_andn2_b64 vcc, exec, s[0:1]
	s_cbranch_vccnz .LBB71_361
; %bb.360:
	global_load_ushort v4, v[2:3], off
	s_waitcnt vmcnt(0)
	v_cvt_i16_f16_e32 v4, v4
.LBB71_361:
	s_mov_b64 s[0:1], 0
.LBB71_362:
	s_andn2_b64 vcc, exec, s[0:1]
	s_cbranch_vccnz .LBB71_382
; %bb.363:
	s_cmp_lt_i32 s14, 2
	s_cbranch_scc1 .LBB71_367
; %bb.364:
	s_cmp_lt_i32 s14, 3
	s_cbranch_scc1 .LBB71_368
; %bb.365:
	s_cmp_gt_i32 s14, 3
	s_cbranch_scc0 .LBB71_369
; %bb.366:
	global_load_dwordx2 v[4:5], v[2:3], off
	s_mov_b64 s[0:1], 0
	s_branch .LBB71_370
.LBB71_367:
	s_mov_b64 s[0:1], -1
                                        ; implicit-def: $vgpr4
	s_branch .LBB71_376
.LBB71_368:
	s_mov_b64 s[0:1], -1
                                        ; implicit-def: $vgpr4
	s_branch .LBB71_373
.LBB71_369:
	s_mov_b64 s[0:1], -1
                                        ; implicit-def: $vgpr4
.LBB71_370:
	s_andn2_b64 vcc, exec, s[0:1]
	s_cbranch_vccnz .LBB71_372
; %bb.371:
	global_load_dword v4, v[2:3], off
.LBB71_372:
	s_mov_b64 s[0:1], 0
.LBB71_373:
	s_andn2_b64 vcc, exec, s[0:1]
	s_cbranch_vccnz .LBB71_375
; %bb.374:
	global_load_ushort v4, v[2:3], off
.LBB71_375:
	s_mov_b64 s[0:1], 0
.LBB71_376:
	s_andn2_b64 vcc, exec, s[0:1]
	s_cbranch_vccnz .LBB71_382
; %bb.377:
	s_cmp_gt_i32 s14, 0
	s_cbranch_scc0 .LBB71_379
; %bb.378:
	global_load_sbyte v4, v[2:3], off
	s_mov_b64 s[0:1], 0
	s_branch .LBB71_380
.LBB71_379:
	s_mov_b64 s[0:1], -1
                                        ; implicit-def: $vgpr4
.LBB71_380:
	s_andn2_b64 vcc, exec, s[0:1]
	s_cbranch_vccnz .LBB71_382
; %bb.381:
	global_load_ubyte v4, v[2:3], off
.LBB71_382:
	s_branch .LBB71_32
.LBB71_383:
	s_mov_b64 s[0:1], 0
.LBB71_384:
                                        ; implicit-def: $vgpr10
	s_mov_b64 s[48:49], 0
.LBB71_385:
	s_and_b64 s[40:41], s[0:1], exec
	s_and_b64 s[42:43], s[42:43], exec
	;; [unrolled: 1-line block ×3, first 2 shown]
	s_orn2_b64 s[0:1], s[48:49], exec
.LBB71_386:
	s_or_b64 exec, exec, s[46:47]
	s_mov_b64 s[54:55], 0
	s_mov_b64 s[52:53], 0
                                        ; implicit-def: $sgpr14
                                        ; implicit-def: $vgpr4_vgpr5
                                        ; implicit-def: $vgpr0
                                        ; implicit-def: $vgpr3
                                        ; implicit-def: $vgpr1
	s_and_saveexec_b64 s[46:47], s[0:1]
	s_cbranch_execz .LBB71_394
; %bb.387:
	v_cmp_gt_i32_e32 vcc, s70, v10
	s_mov_b64 s[0:1], -1
	s_mov_b64 s[48:49], s[44:45]
	s_mov_b64 s[50:51], s[42:43]
	;; [unrolled: 1-line block ×3, first 2 shown]
	s_and_saveexec_b64 s[54:55], vcc
	s_cbranch_execz .LBB71_779
; %bb.388:
	s_andn2_b64 vcc, exec, s[24:25]
	s_cbranch_vccnz .LBB71_397
; %bb.389:
	s_andn2_b64 vcc, exec, s[38:39]
	s_cbranch_vccnz .LBB71_398
; %bb.390:
	s_add_i32 s0, s75, 1
	s_and_b32 s14, s0, 30
	s_add_u32 s0, s2, 0xffffffe8
	s_addc_u32 s1, s3, -1
	v_mov_b32_e32 v3, 0
	s_waitcnt vmcnt(0)
	v_mov_b32_e32 v5, 0
	v_mov_b32_e32 v0, 0
	;; [unrolled: 1-line block ×3, first 2 shown]
.LBB71_391:                             ; =>This Inner Loop Header: Depth=1
	s_load_dwordx4 s[48:51], s[0:1], 0x1c
	s_load_dwordx2 s[52:53], s[0:1], 0x2c
	s_load_dwordx2 s[60:61], s[0:1], 0xec
	s_load_dwordx4 s[56:59], s[0:1], 0xdc
	s_add_u32 s0, s0, 24
	s_waitcnt lgkmcnt(0)
	v_mul_hi_u32 v2, s49, v1
	s_addc_u32 s1, s1, 0
	s_add_i32 s14, s14, -2
	s_cmp_eq_u32 s14, 0
	v_add_u32_e32 v2, v1, v2
	v_lshrrev_b32_e32 v2, s50, v2
	v_mul_lo_u32 v4, v2, s48
	v_mul_hi_u32 v6, s52, v2
	v_sub_u32_e32 v4, v1, v4
	v_add_u32_e32 v1, v2, v6
	v_lshrrev_b32_e32 v1, s53, v1
	v_mul_lo_u32 v8, v1, s51
	v_mul_lo_u32 v6, v4, s56
	;; [unrolled: 1-line block ×4, first 2 shown]
	v_sub_u32_e32 v2, v2, v8
	v_mul_lo_u32 v8, v2, s59
	v_mul_lo_u32 v9, v2, s60
	;; [unrolled: 1-line block ×3, first 2 shown]
	v_add3_u32 v0, v6, v0, v8
	v_add3_u32 v5, v7, v5, v9
	v_add3_u32 v3, v4, v3, v2
	s_cbranch_scc0 .LBB71_391
; %bb.392:
	s_bitcmp1_b32 s75, 0
	s_cselect_b64 s[48:49], -1, 0
	s_and_b64 vcc, exec, s[48:49]
	s_cbranch_vccnz .LBB71_399
; %bb.393:
	s_load_dwordx2 s[48:49], s[0:1], 0x1c
	s_load_dword s14, s[0:1], 0x24
	s_load_dwordx2 s[50:51], s[0:1], 0xdc
	s_waitcnt lgkmcnt(0)
	v_mul_hi_u32 v2, s49, v1
	v_add_u32_e32 v2, v1, v2
	v_lshrrev_b32_e32 v2, s14, v2
	v_mul_lo_u32 v2, v2, s48
	s_load_dword s14, s[0:1], 0xe4
	v_sub_u32_e32 v2, v1, v2
	v_mad_u64_u32 v[0:1], s[0:1], v2, s50, v[0:1]
	v_mad_u64_u32 v[5:6], s[0:1], v2, s51, v[5:6]
	s_waitcnt lgkmcnt(0)
	v_mad_u64_u32 v[3:4], s[0:1], v2, s14, v[3:4]
	s_branch .LBB71_399
.LBB71_394:
	s_or_b64 exec, exec, s[46:47]
	s_mov_b64 s[10:11], 0
	s_and_saveexec_b64 s[0:1], s[44:45]
	s_cbranch_execnz .LBB71_1265
.LBB71_395:
	s_or_b64 exec, exec, s[0:1]
	s_and_saveexec_b64 s[0:1], s[50:51]
	s_xor_b64 s[0:1], exec, s[0:1]
	s_cbranch_execz .LBB71_1266
.LBB71_396:
	s_waitcnt vmcnt(0)
	global_load_ubyte v1, v[4:5], off
	s_or_b64 s[52:53], s[52:53], exec
	s_waitcnt vmcnt(0)
	v_cmp_ne_u16_e32 vcc, 0, v1
	v_cndmask_b32_e64 v1, 0, 1, vcc
	s_or_b64 exec, exec, s[0:1]
	s_and_saveexec_b64 s[0:1], s[54:55]
	s_cbranch_execz .LBB71_1312
	s_branch .LBB71_1267
.LBB71_397:
                                        ; implicit-def: $vgpr0
                                        ; implicit-def: $vgpr5
                                        ; implicit-def: $vgpr3
	s_andn2_b64 vcc, exec, s[0:1]
	s_cbranch_vccz .LBB71_400
	s_branch .LBB71_402
.LBB71_398:
	v_mov_b32_e32 v0, 0
	s_waitcnt vmcnt(0)
	v_mov_b32_e32 v5, 0
	v_mov_b32_e32 v3, 0
.LBB71_399:
	s_cbranch_execnz .LBB71_402
.LBB71_400:
	v_mul_hi_u32 v0, s17, v10
	s_andn2_b64 vcc, exec, s[36:37]
	v_add_u32_e32 v0, v10, v0
	s_waitcnt vmcnt(0)
	v_lshrrev_b32_e32 v1, s18, v0
	v_mul_lo_u32 v0, v1, s16
	v_sub_u32_e32 v2, v10, v0
	v_mul_lo_u32 v0, v2, s20
	v_mul_lo_u32 v5, v2, s21
	;; [unrolled: 1-line block ×3, first 2 shown]
	s_cbranch_vccnz .LBB71_402
; %bb.401:
	v_mul_hi_u32 v2, s34, v1
	v_add_u32_e32 v2, v1, v2
	v_lshrrev_b32_e32 v2, s35, v2
	v_mul_lo_u32 v2, v2, s19
	v_sub_u32_e32 v2, v1, v2
	v_mad_u64_u32 v[0:1], s[0:1], v2, s23, v[0:1]
	v_mad_u64_u32 v[5:6], s[0:1], v2, s30, v[5:6]
	;; [unrolled: 1-line block ×3, first 2 shown]
.LBB71_402:
	s_waitcnt vmcnt(0)
	v_mov_b32_e32 v1, s11
	s_and_b32 s14, s74, 0xff
	v_add_co_u32_e32 v4, vcc, s10, v5
	s_cmp_lt_i32 s14, 11
	v_addc_co_u32_e32 v5, vcc, 0, v1, vcc
	s_cbranch_scc1 .LBB71_409
; %bb.403:
	s_and_b32 s52, 0xffff, s14
	s_cmp_gt_i32 s52, 25
	s_cbranch_scc0 .LBB71_418
; %bb.404:
	s_cmp_gt_i32 s52, 28
	s_cbranch_scc0 .LBB71_420
; %bb.405:
	;; [unrolled: 3-line block ×4, first 2 shown]
	s_cmp_eq_u32 s52, 46
	s_mov_b64 s[50:51], 0
	s_cbranch_scc0 .LBB71_428
; %bb.408:
	global_load_dword v1, v[4:5], off
	s_mov_b64 s[0:1], -1
	s_mov_b64 s[48:49], 0
	s_waitcnt vmcnt(0)
	v_lshlrev_b32_e32 v1, 16, v1
	v_cvt_i32_f32_e32 v1, v1
	s_branch .LBB71_429
.LBB71_409:
	s_mov_b64 s[0:1], 0
                                        ; implicit-def: $vgpr1
	s_mov_b64 s[48:49], s[44:45]
	s_cbranch_execnz .LBB71_491
.LBB71_410:
	s_andn2_b64 vcc, exec, s[0:1]
	s_cbranch_vccnz .LBB71_539
.LBB71_411:
	v_mov_b32_e32 v4, s13
	s_and_b32 s14, s73, 0xff
	s_waitcnt vmcnt(0)
	v_add_co_u32_e32 v2, vcc, s12, v3
	s_cmp_lt_i32 s14, 11
	v_addc_co_u32_e32 v3, vcc, 0, v4, vcc
	s_cbranch_scc1 .LBB71_419
; %bb.412:
	s_and_b32 s56, 0xffff, s14
	s_cmp_gt_i32 s56, 25
	s_cbranch_scc0 .LBB71_421
; %bb.413:
	s_cmp_gt_i32 s56, 28
	s_cbranch_scc0 .LBB71_423
; %bb.414:
	;; [unrolled: 3-line block ×4, first 2 shown]
	s_cmp_eq_u32 s56, 46
	s_mov_b64 s[52:53], 0
	s_cbranch_scc0 .LBB71_543
; %bb.417:
	global_load_dword v4, v[2:3], off
	s_mov_b64 s[0:1], -1
	s_mov_b64 s[50:51], 0
	s_waitcnt vmcnt(0)
	v_lshlrev_b32_e32 v4, 16, v4
	v_cvt_i32_f32_e32 v4, v4
	s_branch .LBB71_544
.LBB71_418:
	s_mov_b64 s[50:51], -1
	s_mov_b64 s[0:1], 0
	s_mov_b64 s[48:49], s[44:45]
                                        ; implicit-def: $vgpr1
	s_branch .LBB71_457
.LBB71_419:
	s_mov_b64 s[52:53], -1
	s_mov_b64 s[0:1], 0
                                        ; implicit-def: $vgpr4
	s_mov_b64 s[50:51], s[42:43]
	s_branch .LBB71_605
.LBB71_420:
	s_mov_b64 s[50:51], -1
	s_mov_b64 s[0:1], 0
	s_mov_b64 s[48:49], s[44:45]
                                        ; implicit-def: $vgpr1
	s_branch .LBB71_440
.LBB71_421:
	s_mov_b64 s[52:53], -1
	s_mov_b64 s[0:1], 0
	s_mov_b64 s[50:51], s[42:43]
                                        ; implicit-def: $vgpr4
	s_branch .LBB71_571
.LBB71_422:
	s_mov_b64 s[50:51], -1
	s_mov_b64 s[0:1], 0
	s_mov_b64 s[48:49], s[44:45]
                                        ; implicit-def: $vgpr1
	s_branch .LBB71_435
.LBB71_423:
	s_mov_b64 s[52:53], -1
	s_mov_b64 s[0:1], 0
	s_mov_b64 s[50:51], s[42:43]
                                        ; implicit-def: $vgpr4
	s_branch .LBB71_554
.LBB71_424:
	s_mov_b64 s[50:51], -1
	s_mov_b64 s[0:1], 0
	s_mov_b64 s[48:49], s[44:45]
                                        ; implicit-def: $vgpr1
	s_branch .LBB71_429
.LBB71_425:
	s_mov_b64 s[52:53], -1
	s_mov_b64 s[0:1], 0
	s_mov_b64 s[50:51], s[42:43]
                                        ; implicit-def: $vgpr4
	s_branch .LBB71_549
.LBB71_426:
	s_andn2_saveexec_b64 s[54:55], s[54:55]
	s_cbranch_execz .LBB71_187
.LBB71_427:
	v_add_f32_e32 v2, 0x46000000, v3
	v_and_b32_e32 v2, 0xff, v2
	v_cmp_ne_u32_e32 vcc, 0, v2
	s_andn2_b64 s[52:53], s[52:53], exec
	s_and_b64 s[58:59], vcc, exec
	s_or_b64 s[52:53], s[52:53], s[58:59]
	s_or_b64 exec, exec, s[54:55]
	v_mov_b32_e32 v4, 0
	s_and_saveexec_b64 s[54:55], s[52:53]
	s_cbranch_execnz .LBB71_188
	s_branch .LBB71_189
.LBB71_428:
	s_mov_b64 s[48:49], -1
                                        ; implicit-def: $vgpr1
	s_mov_b64 s[0:1], 0
.LBB71_429:
	s_and_b64 vcc, exec, s[50:51]
	s_cbranch_vccz .LBB71_434
; %bb.430:
	s_cmp_eq_u32 s52, 44
	s_cbranch_scc0 .LBB71_433
; %bb.431:
	global_load_ubyte v1, v[4:5], off
	s_mov_b64 s[0:1], -1
	s_mov_b64 s[48:49], 0
	s_waitcnt vmcnt(0)
	v_lshlrev_b32_e32 v2, 23, v1
	v_cvt_i32_f32_e32 v2, v2
	v_cmp_ne_u32_e32 vcc, 0, v1
	v_cndmask_b32_e32 v1, 0, v2, vcc
	s_branch .LBB71_434
.LBB71_432:
	s_mov_b64 s[52:53], -1
	s_mov_b64 s[0:1], 0
	s_mov_b64 s[50:51], s[42:43]
                                        ; implicit-def: $vgpr4
	s_branch .LBB71_544
.LBB71_433:
	s_mov_b64 s[48:49], -1
                                        ; implicit-def: $vgpr1
.LBB71_434:
	s_mov_b64 s[50:51], 0
.LBB71_435:
	s_and_b64 vcc, exec, s[50:51]
	s_cbranch_vccz .LBB71_439
; %bb.436:
	s_cmp_eq_u32 s52, 29
	s_cbranch_scc0 .LBB71_438
; %bb.437:
	global_load_dwordx2 v[1:2], v[4:5], off
	s_mov_b64 s[0:1], -1
	s_mov_b64 s[48:49], 0
	s_branch .LBB71_439
.LBB71_438:
	s_mov_b64 s[48:49], -1
                                        ; implicit-def: $vgpr1
.LBB71_439:
	s_mov_b64 s[50:51], 0
.LBB71_440:
	s_and_b64 vcc, exec, s[50:51]
	s_cbranch_vccz .LBB71_456
; %bb.441:
	s_cmp_lt_i32 s52, 27
	s_cbranch_scc1 .LBB71_444
; %bb.442:
	s_cmp_gt_i32 s52, 27
	s_cbranch_scc0 .LBB71_445
; %bb.443:
	global_load_dword v1, v[4:5], off
	s_mov_b64 s[0:1], 0
	s_branch .LBB71_446
.LBB71_444:
	s_mov_b64 s[0:1], -1
                                        ; implicit-def: $vgpr1
	s_branch .LBB71_449
.LBB71_445:
	s_mov_b64 s[0:1], -1
                                        ; implicit-def: $vgpr1
.LBB71_446:
	s_andn2_b64 vcc, exec, s[0:1]
	s_cbranch_vccnz .LBB71_448
; %bb.447:
	global_load_ushort v1, v[4:5], off
.LBB71_448:
	s_mov_b64 s[0:1], 0
.LBB71_449:
	s_andn2_b64 vcc, exec, s[0:1]
	s_cbranch_vccnz .LBB71_455
; %bb.450:
	global_load_ubyte v2, v[4:5], off
	s_movk_i32 s0, 0x7f
	s_mov_b64 s[50:51], 0
	s_waitcnt vmcnt(0)
	v_cmp_lt_i16_e32 vcc, s0, v2
	s_and_saveexec_b64 s[0:1], vcc
	s_xor_b64 s[0:1], exec, s[0:1]
	s_cbranch_execz .LBB71_467
; %bb.451:
	s_movk_i32 s50, 0x80
	v_cmp_ne_u16_e32 vcc, s50, v2
	s_and_b64 s[50:51], vcc, exec
	s_andn2_saveexec_b64 s[0:1], s[0:1]
	s_cbranch_execnz .LBB71_468
.LBB71_452:
	s_or_b64 exec, exec, s[0:1]
	v_mov_b32_e32 v1, 0
	s_and_saveexec_b64 s[0:1], s[50:51]
	s_cbranch_execz .LBB71_454
.LBB71_453:
	v_lshlrev_b32_e32 v1, 24, v2
	v_and_b32_e32 v2, 0xffff, v2
	v_and_b32_e32 v6, 7, v2
	v_ffbh_u32_e32 v8, v6
	v_min_u32_e32 v8, 32, v8
	v_subrev_u32_e32 v9, 28, v8
	v_bfe_u32 v7, v2, 3, 4
	v_lshlrev_b32_e32 v2, v9, v2
	v_sub_u32_e32 v8, 29, v8
	v_and_b32_e32 v2, 7, v2
	v_cmp_eq_u32_e32 vcc, 0, v7
	v_cndmask_b32_e32 v7, v7, v8, vcc
	v_cndmask_b32_e32 v2, v6, v2, vcc
	v_mov_b32_e32 v6, 0x3b800000
	v_lshlrev_b32_e32 v2, 20, v2
	v_and_b32_e32 v1, 0x80000000, v1
	v_lshl_add_u32 v6, v7, 23, v6
	v_or3_b32 v1, v1, v6, v2
	v_cvt_i32_f32_e32 v1, v1
.LBB71_454:
	s_or_b64 exec, exec, s[0:1]
.LBB71_455:
	s_mov_b64 s[0:1], -1
.LBB71_456:
	s_mov_b64 s[50:51], 0
.LBB71_457:
	s_and_b64 vcc, exec, s[50:51]
	s_cbranch_vccz .LBB71_490
; %bb.458:
	s_cmp_gt_i32 s52, 22
	s_cbranch_scc0 .LBB71_466
; %bb.459:
	s_cmp_lt_i32 s52, 24
	s_cbranch_scc1 .LBB71_469
; %bb.460:
	s_cmp_gt_i32 s52, 24
	s_cbranch_scc0 .LBB71_470
; %bb.461:
	global_load_ubyte v2, v[4:5], off
	s_movk_i32 s0, 0x7f
	s_mov_b64 s[50:51], 0
	s_waitcnt vmcnt(0)
	v_cmp_lt_i16_e32 vcc, s0, v2
	s_and_saveexec_b64 s[0:1], vcc
	s_xor_b64 s[0:1], exec, s[0:1]
	s_cbranch_execz .LBB71_482
; %bb.462:
	s_movk_i32 s50, 0x80
	v_cmp_ne_u16_e32 vcc, s50, v2
	s_and_b64 s[50:51], vcc, exec
	s_andn2_saveexec_b64 s[0:1], s[0:1]
	s_cbranch_execnz .LBB71_483
.LBB71_463:
	s_or_b64 exec, exec, s[0:1]
	v_mov_b32_e32 v1, 0
	s_and_saveexec_b64 s[0:1], s[50:51]
	s_cbranch_execz .LBB71_465
.LBB71_464:
	v_lshlrev_b32_e32 v1, 24, v2
	v_and_b32_e32 v2, 0xffff, v2
	v_and_b32_e32 v6, 3, v2
	v_ffbh_u32_e32 v8, v6
	v_min_u32_e32 v8, 32, v8
	v_subrev_u32_e32 v9, 29, v8
	v_bfe_u32 v7, v2, 2, 5
	v_lshlrev_b32_e32 v2, v9, v2
	v_sub_u32_e32 v8, 30, v8
	v_and_b32_e32 v2, 3, v2
	v_cmp_eq_u32_e32 vcc, 0, v7
	v_cndmask_b32_e32 v7, v7, v8, vcc
	v_cndmask_b32_e32 v2, v6, v2, vcc
	v_mov_b32_e32 v6, 0x37800000
	v_lshlrev_b32_e32 v2, 21, v2
	v_and_b32_e32 v1, 0x80000000, v1
	v_lshl_add_u32 v6, v7, 23, v6
	v_or3_b32 v1, v1, v6, v2
	v_cvt_i32_f32_e32 v1, v1
.LBB71_465:
	s_or_b64 exec, exec, s[0:1]
	s_mov_b64 s[0:1], 0
	s_branch .LBB71_471
.LBB71_466:
	s_mov_b64 s[50:51], -1
                                        ; implicit-def: $vgpr1
	s_branch .LBB71_477
.LBB71_467:
	s_andn2_saveexec_b64 s[0:1], s[0:1]
	s_cbranch_execz .LBB71_452
.LBB71_468:
	v_cmp_ne_u16_e32 vcc, 0, v2
	s_andn2_b64 s[50:51], s[50:51], exec
	s_and_b64 s[56:57], vcc, exec
	s_or_b64 s[50:51], s[50:51], s[56:57]
	s_or_b64 exec, exec, s[0:1]
	v_mov_b32_e32 v1, 0
	s_and_saveexec_b64 s[0:1], s[50:51]
	s_cbranch_execnz .LBB71_453
	s_branch .LBB71_454
.LBB71_469:
	s_mov_b64 s[0:1], -1
                                        ; implicit-def: $vgpr1
	s_branch .LBB71_474
.LBB71_470:
	s_mov_b64 s[0:1], -1
                                        ; implicit-def: $vgpr1
.LBB71_471:
	s_and_b64 vcc, exec, s[0:1]
	s_cbranch_vccz .LBB71_473
; %bb.472:
	global_load_ubyte v1, v[4:5], off
	s_mov_b32 s0, 0x7f800000
	s_waitcnt vmcnt(0)
	v_lshlrev_b32_e32 v1, 24, v1
	v_and_b32_e32 v2, 0x7f000000, v1
	v_ffbh_u32_e32 v6, v2
	v_min_u32_e32 v6, 32, v6
	v_sub_u32_e64 v6, v6, 4 clamp
	v_lshlrev_b32_e32 v8, v6, v2
	v_lshlrev_b32_e32 v6, 23, v6
	v_lshrrev_b32_e32 v8, 4, v8
	v_add_u32_e32 v7, 0x1000000, v2
	v_sub_u32_e32 v6, v8, v6
	v_ashrrev_i32_e32 v7, 8, v7
	v_add_u32_e32 v6, 0x3c000000, v6
	v_and_or_b32 v6, v7, s0, v6
	v_cmp_ne_u32_e32 vcc, 0, v2
	v_cndmask_b32_e32 v2, 0, v6, vcc
	s_brev_b32 s0, 1
	v_and_or_b32 v1, v1, s0, v2
	v_cvt_i32_f32_e32 v1, v1
.LBB71_473:
	s_mov_b64 s[0:1], 0
.LBB71_474:
	s_andn2_b64 vcc, exec, s[0:1]
	s_cbranch_vccnz .LBB71_476
; %bb.475:
	global_load_ubyte v1, v[4:5], off
	s_movk_i32 s0, 0x7f00
	s_brev_b32 s1, 16
	s_waitcnt vmcnt(0)
	v_lshlrev_b16_e32 v2, 8, v1
	v_lshlrev_b32_e32 v1, 25, v1
	v_lshrrev_b32_e32 v6, 4, v1
	v_and_or_b32 v7, v2, s0, 0.5
	v_or_b32_e32 v6, 0x70000000, v6
	v_add_f32_e32 v7, -0.5, v7
	v_mul_f32_e32 v6, 0x7800000, v6
	v_cmp_gt_u32_e32 vcc, s1, v1
	v_bfe_i32 v2, v2, 0, 16
	v_cndmask_b32_e32 v1, v6, v7, vcc
	s_brev_b32 s0, 1
	v_and_or_b32 v1, v2, s0, v1
	v_cvt_i32_f32_e32 v1, v1
.LBB71_476:
	s_mov_b64 s[50:51], 0
	s_mov_b64 s[0:1], -1
.LBB71_477:
	s_andn2_b64 vcc, exec, s[50:51]
	s_cbranch_vccnz .LBB71_490
; %bb.478:
	s_cmp_gt_i32 s52, 14
	s_cbranch_scc0 .LBB71_481
; %bb.479:
	s_cmp_eq_u32 s52, 15
	s_cbranch_scc0 .LBB71_484
; %bb.480:
	global_load_ushort v1, v[4:5], off
	s_mov_b64 s[0:1], -1
	s_mov_b64 s[48:49], 0
	s_waitcnt vmcnt(0)
	v_lshlrev_b32_e32 v1, 16, v1
	v_cvt_i32_f32_e32 v1, v1
	s_branch .LBB71_485
.LBB71_481:
	s_mov_b64 s[50:51], -1
                                        ; implicit-def: $vgpr1
	s_branch .LBB71_486
.LBB71_482:
	s_andn2_saveexec_b64 s[0:1], s[0:1]
	s_cbranch_execz .LBB71_463
.LBB71_483:
	v_cmp_ne_u16_e32 vcc, 0, v2
	s_andn2_b64 s[50:51], s[50:51], exec
	s_and_b64 s[56:57], vcc, exec
	s_or_b64 s[50:51], s[50:51], s[56:57]
	s_or_b64 exec, exec, s[0:1]
	v_mov_b32_e32 v1, 0
	s_and_saveexec_b64 s[0:1], s[50:51]
	s_cbranch_execnz .LBB71_464
	s_branch .LBB71_465
.LBB71_484:
	s_mov_b64 s[48:49], -1
                                        ; implicit-def: $vgpr1
.LBB71_485:
	s_mov_b64 s[50:51], 0
.LBB71_486:
	s_and_b64 vcc, exec, s[50:51]
	s_cbranch_vccz .LBB71_490
; %bb.487:
	s_cmp_eq_u32 s52, 11
	s_cbranch_scc0 .LBB71_489
; %bb.488:
	global_load_ubyte v1, v[4:5], off
	s_mov_b64 s[0:1], -1
	s_mov_b64 s[48:49], 0
	s_waitcnt vmcnt(0)
	v_cmp_ne_u16_e32 vcc, 0, v1
	v_cndmask_b32_e64 v1, 0, 1, vcc
	s_branch .LBB71_490
.LBB71_489:
	s_mov_b64 s[48:49], -1
                                        ; implicit-def: $vgpr1
.LBB71_490:
	s_branch .LBB71_410
.LBB71_491:
	s_and_b32 s14, 0xffff, s14
	s_cmp_lt_i32 s14, 5
	s_cbranch_scc1 .LBB71_496
; %bb.492:
	s_cmp_lt_i32 s14, 8
	s_cbranch_scc1 .LBB71_497
; %bb.493:
	;; [unrolled: 3-line block ×3, first 2 shown]
	s_cmp_gt_i32 s14, 9
	s_cbranch_scc0 .LBB71_499
; %bb.495:
	global_load_dwordx2 v[1:2], v[4:5], off
	s_mov_b64 s[0:1], 0
	s_waitcnt vmcnt(0)
	v_cvt_i32_f64_e32 v1, v[1:2]
	s_branch .LBB71_500
.LBB71_496:
	s_mov_b64 s[0:1], -1
                                        ; implicit-def: $vgpr1
	s_branch .LBB71_518
.LBB71_497:
	s_mov_b64 s[0:1], -1
                                        ; implicit-def: $vgpr1
	s_branch .LBB71_506
.LBB71_498:
	s_mov_b64 s[0:1], -1
                                        ; implicit-def: $vgpr1
	s_branch .LBB71_503
.LBB71_499:
	s_mov_b64 s[0:1], -1
                                        ; implicit-def: $vgpr1
.LBB71_500:
	s_andn2_b64 vcc, exec, s[0:1]
	s_cbranch_vccnz .LBB71_502
; %bb.501:
	global_load_dword v1, v[4:5], off
	s_waitcnt vmcnt(0)
	v_cvt_i32_f32_e32 v1, v1
.LBB71_502:
	s_mov_b64 s[0:1], 0
.LBB71_503:
	s_andn2_b64 vcc, exec, s[0:1]
	s_cbranch_vccnz .LBB71_505
; %bb.504:
	global_load_dword v1, v[4:5], off
	s_waitcnt vmcnt(0)
	v_cvt_i16_f16_e32 v1, v1
.LBB71_505:
	s_mov_b64 s[0:1], 0
.LBB71_506:
	s_andn2_b64 vcc, exec, s[0:1]
	s_cbranch_vccnz .LBB71_517
; %bb.507:
	s_cmp_lt_i32 s14, 6
	s_cbranch_scc1 .LBB71_510
; %bb.508:
	s_cmp_gt_i32 s14, 6
	s_cbranch_scc0 .LBB71_511
; %bb.509:
	global_load_dwordx2 v[1:2], v[4:5], off
	s_mov_b64 s[0:1], 0
	s_waitcnt vmcnt(0)
	v_cvt_i32_f64_e32 v1, v[1:2]
	s_branch .LBB71_512
.LBB71_510:
	s_mov_b64 s[0:1], -1
                                        ; implicit-def: $vgpr1
	s_branch .LBB71_515
.LBB71_511:
	s_mov_b64 s[0:1], -1
                                        ; implicit-def: $vgpr1
.LBB71_512:
	s_andn2_b64 vcc, exec, s[0:1]
	s_cbranch_vccnz .LBB71_514
; %bb.513:
	global_load_dword v1, v[4:5], off
	s_waitcnt vmcnt(0)
	v_cvt_i32_f32_e32 v1, v1
.LBB71_514:
	s_mov_b64 s[0:1], 0
.LBB71_515:
	s_andn2_b64 vcc, exec, s[0:1]
	s_cbranch_vccnz .LBB71_517
; %bb.516:
	global_load_ushort v1, v[4:5], off
	s_waitcnt vmcnt(0)
	v_cvt_i16_f16_e32 v1, v1
.LBB71_517:
	s_mov_b64 s[0:1], 0
.LBB71_518:
	s_andn2_b64 vcc, exec, s[0:1]
	s_cbranch_vccnz .LBB71_538
; %bb.519:
	s_cmp_lt_i32 s14, 2
	s_cbranch_scc1 .LBB71_523
; %bb.520:
	s_cmp_lt_i32 s14, 3
	s_cbranch_scc1 .LBB71_524
; %bb.521:
	s_cmp_gt_i32 s14, 3
	s_cbranch_scc0 .LBB71_525
; %bb.522:
	global_load_dwordx2 v[1:2], v[4:5], off
	s_mov_b64 s[0:1], 0
	s_branch .LBB71_526
.LBB71_523:
	s_mov_b64 s[0:1], -1
                                        ; implicit-def: $vgpr1
	s_branch .LBB71_532
.LBB71_524:
	s_mov_b64 s[0:1], -1
                                        ; implicit-def: $vgpr1
	s_branch .LBB71_529
.LBB71_525:
	s_mov_b64 s[0:1], -1
                                        ; implicit-def: $vgpr1
.LBB71_526:
	s_andn2_b64 vcc, exec, s[0:1]
	s_cbranch_vccnz .LBB71_528
; %bb.527:
	global_load_dword v1, v[4:5], off
.LBB71_528:
	s_mov_b64 s[0:1], 0
.LBB71_529:
	s_andn2_b64 vcc, exec, s[0:1]
	s_cbranch_vccnz .LBB71_531
; %bb.530:
	global_load_ushort v1, v[4:5], off
.LBB71_531:
	s_mov_b64 s[0:1], 0
.LBB71_532:
	s_andn2_b64 vcc, exec, s[0:1]
	s_cbranch_vccnz .LBB71_538
; %bb.533:
	s_cmp_gt_i32 s14, 0
	s_cbranch_scc0 .LBB71_535
; %bb.534:
	global_load_sbyte v1, v[4:5], off
	s_mov_b64 s[0:1], 0
	s_branch .LBB71_536
.LBB71_535:
	s_mov_b64 s[0:1], -1
                                        ; implicit-def: $vgpr1
.LBB71_536:
	s_andn2_b64 vcc, exec, s[0:1]
	s_cbranch_vccnz .LBB71_538
; %bb.537:
	global_load_ubyte v1, v[4:5], off
.LBB71_538:
	s_branch .LBB71_411
.LBB71_539:
	s_mov_b64 s[56:57], 0
	s_mov_b64 s[0:1], s[40:41]
	s_mov_b64 s[50:51], s[42:43]
.LBB71_540:
                                        ; implicit-def: $vgpr10
	s_branch .LBB71_778
.LBB71_541:
	s_andn2_saveexec_b64 s[54:55], s[54:55]
	s_cbranch_execz .LBB71_200
.LBB71_542:
	v_add_f32_e32 v2, 0x42800000, v3
	v_and_b32_e32 v2, 0xff, v2
	v_cmp_ne_u32_e32 vcc, 0, v2
	s_andn2_b64 s[52:53], s[52:53], exec
	s_and_b64 s[58:59], vcc, exec
	s_or_b64 s[52:53], s[52:53], s[58:59]
	s_or_b64 exec, exec, s[54:55]
	v_mov_b32_e32 v4, 0
	s_and_saveexec_b64 s[54:55], s[52:53]
	s_cbranch_execnz .LBB71_201
	s_branch .LBB71_202
.LBB71_543:
	s_mov_b64 s[50:51], -1
                                        ; implicit-def: $vgpr4
	s_mov_b64 s[0:1], 0
.LBB71_544:
	s_and_b64 vcc, exec, s[52:53]
	s_cbranch_vccz .LBB71_548
; %bb.545:
	s_cmp_eq_u32 s56, 44
	s_cbranch_scc0 .LBB71_547
; %bb.546:
	global_load_ubyte v4, v[2:3], off
	s_mov_b64 s[0:1], -1
	s_mov_b64 s[50:51], 0
	s_waitcnt vmcnt(0)
	v_lshlrev_b32_e32 v5, 23, v4
	v_cvt_i32_f32_e32 v5, v5
	v_cmp_ne_u32_e32 vcc, 0, v4
	v_cndmask_b32_e32 v4, 0, v5, vcc
	s_branch .LBB71_548
.LBB71_547:
	s_mov_b64 s[50:51], -1
                                        ; implicit-def: $vgpr4
.LBB71_548:
	s_mov_b64 s[52:53], 0
.LBB71_549:
	s_and_b64 vcc, exec, s[52:53]
	s_cbranch_vccz .LBB71_553
; %bb.550:
	s_cmp_eq_u32 s56, 29
	s_cbranch_scc0 .LBB71_552
; %bb.551:
	global_load_dwordx2 v[4:5], v[2:3], off
	s_mov_b64 s[0:1], -1
	s_mov_b64 s[50:51], 0
	s_branch .LBB71_553
.LBB71_552:
	s_mov_b64 s[50:51], -1
                                        ; implicit-def: $vgpr4
.LBB71_553:
	s_mov_b64 s[52:53], 0
.LBB71_554:
	s_and_b64 vcc, exec, s[52:53]
	s_cbranch_vccz .LBB71_570
; %bb.555:
	s_cmp_lt_i32 s56, 27
	s_cbranch_scc1 .LBB71_558
; %bb.556:
	s_cmp_gt_i32 s56, 27
	s_cbranch_scc0 .LBB71_559
; %bb.557:
	global_load_dword v4, v[2:3], off
	s_mov_b64 s[0:1], 0
	s_branch .LBB71_560
.LBB71_558:
	s_mov_b64 s[0:1], -1
                                        ; implicit-def: $vgpr4
	s_branch .LBB71_563
.LBB71_559:
	s_mov_b64 s[0:1], -1
                                        ; implicit-def: $vgpr4
.LBB71_560:
	s_andn2_b64 vcc, exec, s[0:1]
	s_cbranch_vccnz .LBB71_562
; %bb.561:
	global_load_ushort v4, v[2:3], off
.LBB71_562:
	s_mov_b64 s[0:1], 0
.LBB71_563:
	s_andn2_b64 vcc, exec, s[0:1]
	s_cbranch_vccnz .LBB71_569
; %bb.564:
	global_load_ubyte v5, v[2:3], off
	s_movk_i32 s0, 0x7f
	s_mov_b64 s[52:53], 0
	s_waitcnt vmcnt(0)
	v_cmp_lt_i16_e32 vcc, s0, v5
	s_and_saveexec_b64 s[0:1], vcc
	s_xor_b64 s[0:1], exec, s[0:1]
	s_cbranch_execz .LBB71_581
; %bb.565:
	s_movk_i32 s52, 0x80
	v_cmp_ne_u16_e32 vcc, s52, v5
	s_and_b64 s[52:53], vcc, exec
	s_andn2_saveexec_b64 s[0:1], s[0:1]
	s_cbranch_execnz .LBB71_582
.LBB71_566:
	s_or_b64 exec, exec, s[0:1]
	v_mov_b32_e32 v4, 0
	s_and_saveexec_b64 s[0:1], s[52:53]
	s_cbranch_execz .LBB71_568
.LBB71_567:
	v_lshlrev_b32_e32 v4, 24, v5
	v_and_b32_e32 v5, 0xffff, v5
	v_and_b32_e32 v6, 7, v5
	v_ffbh_u32_e32 v8, v6
	v_min_u32_e32 v8, 32, v8
	v_subrev_u32_e32 v9, 28, v8
	v_bfe_u32 v7, v5, 3, 4
	v_lshlrev_b32_e32 v5, v9, v5
	v_sub_u32_e32 v8, 29, v8
	v_and_b32_e32 v5, 7, v5
	v_cmp_eq_u32_e32 vcc, 0, v7
	v_cndmask_b32_e32 v7, v7, v8, vcc
	v_cndmask_b32_e32 v5, v6, v5, vcc
	v_mov_b32_e32 v6, 0x3b800000
	v_lshlrev_b32_e32 v5, 20, v5
	v_and_b32_e32 v4, 0x80000000, v4
	v_lshl_add_u32 v6, v7, 23, v6
	v_or3_b32 v4, v4, v6, v5
	v_cvt_i32_f32_e32 v4, v4
.LBB71_568:
	s_or_b64 exec, exec, s[0:1]
.LBB71_569:
	s_mov_b64 s[0:1], -1
.LBB71_570:
	s_mov_b64 s[52:53], 0
.LBB71_571:
	s_and_b64 vcc, exec, s[52:53]
	s_cbranch_vccz .LBB71_604
; %bb.572:
	s_cmp_gt_i32 s56, 22
	s_cbranch_scc0 .LBB71_580
; %bb.573:
	s_cmp_lt_i32 s56, 24
	s_cbranch_scc1 .LBB71_583
; %bb.574:
	s_cmp_gt_i32 s56, 24
	s_cbranch_scc0 .LBB71_584
; %bb.575:
	global_load_ubyte v5, v[2:3], off
	s_movk_i32 s0, 0x7f
	s_mov_b64 s[52:53], 0
	s_waitcnt vmcnt(0)
	v_cmp_lt_i16_e32 vcc, s0, v5
	s_and_saveexec_b64 s[0:1], vcc
	s_xor_b64 s[0:1], exec, s[0:1]
	s_cbranch_execz .LBB71_596
; %bb.576:
	s_movk_i32 s52, 0x80
	v_cmp_ne_u16_e32 vcc, s52, v5
	s_and_b64 s[52:53], vcc, exec
	s_andn2_saveexec_b64 s[0:1], s[0:1]
	s_cbranch_execnz .LBB71_597
.LBB71_577:
	s_or_b64 exec, exec, s[0:1]
	v_mov_b32_e32 v4, 0
	s_and_saveexec_b64 s[0:1], s[52:53]
	s_cbranch_execz .LBB71_579
.LBB71_578:
	v_lshlrev_b32_e32 v4, 24, v5
	v_and_b32_e32 v5, 0xffff, v5
	v_and_b32_e32 v6, 3, v5
	v_ffbh_u32_e32 v8, v6
	v_min_u32_e32 v8, 32, v8
	v_subrev_u32_e32 v9, 29, v8
	v_bfe_u32 v7, v5, 2, 5
	v_lshlrev_b32_e32 v5, v9, v5
	v_sub_u32_e32 v8, 30, v8
	v_and_b32_e32 v5, 3, v5
	v_cmp_eq_u32_e32 vcc, 0, v7
	v_cndmask_b32_e32 v7, v7, v8, vcc
	v_cndmask_b32_e32 v5, v6, v5, vcc
	v_mov_b32_e32 v6, 0x37800000
	v_lshlrev_b32_e32 v5, 21, v5
	v_and_b32_e32 v4, 0x80000000, v4
	v_lshl_add_u32 v6, v7, 23, v6
	v_or3_b32 v4, v4, v6, v5
	v_cvt_i32_f32_e32 v4, v4
.LBB71_579:
	s_or_b64 exec, exec, s[0:1]
	s_mov_b64 s[0:1], 0
	s_branch .LBB71_585
.LBB71_580:
	s_mov_b64 s[52:53], -1
                                        ; implicit-def: $vgpr4
	s_branch .LBB71_591
.LBB71_581:
	s_andn2_saveexec_b64 s[0:1], s[0:1]
	s_cbranch_execz .LBB71_566
.LBB71_582:
	v_cmp_ne_u16_e32 vcc, 0, v5
	s_andn2_b64 s[52:53], s[52:53], exec
	s_and_b64 s[58:59], vcc, exec
	s_or_b64 s[52:53], s[52:53], s[58:59]
	s_or_b64 exec, exec, s[0:1]
	v_mov_b32_e32 v4, 0
	s_and_saveexec_b64 s[0:1], s[52:53]
	s_cbranch_execnz .LBB71_567
	s_branch .LBB71_568
.LBB71_583:
	s_mov_b64 s[0:1], -1
                                        ; implicit-def: $vgpr4
	s_branch .LBB71_588
.LBB71_584:
	s_mov_b64 s[0:1], -1
                                        ; implicit-def: $vgpr4
.LBB71_585:
	s_and_b64 vcc, exec, s[0:1]
	s_cbranch_vccz .LBB71_587
; %bb.586:
	global_load_ubyte v4, v[2:3], off
	s_mov_b32 s0, 0x7f800000
	s_waitcnt vmcnt(0)
	v_lshlrev_b32_e32 v4, 24, v4
	v_and_b32_e32 v5, 0x7f000000, v4
	v_ffbh_u32_e32 v6, v5
	v_min_u32_e32 v6, 32, v6
	v_sub_u32_e64 v6, v6, 4 clamp
	v_lshlrev_b32_e32 v8, v6, v5
	v_lshlrev_b32_e32 v6, 23, v6
	v_lshrrev_b32_e32 v8, 4, v8
	v_add_u32_e32 v7, 0x1000000, v5
	v_sub_u32_e32 v6, v8, v6
	v_ashrrev_i32_e32 v7, 8, v7
	v_add_u32_e32 v6, 0x3c000000, v6
	v_and_or_b32 v6, v7, s0, v6
	v_cmp_ne_u32_e32 vcc, 0, v5
	v_cndmask_b32_e32 v5, 0, v6, vcc
	s_brev_b32 s0, 1
	v_and_or_b32 v4, v4, s0, v5
	v_cvt_i32_f32_e32 v4, v4
.LBB71_587:
	s_mov_b64 s[0:1], 0
.LBB71_588:
	s_andn2_b64 vcc, exec, s[0:1]
	s_cbranch_vccnz .LBB71_590
; %bb.589:
	global_load_ubyte v4, v[2:3], off
	s_movk_i32 s0, 0x7f00
	s_brev_b32 s1, 16
	s_waitcnt vmcnt(0)
	v_lshlrev_b16_e32 v5, 8, v4
	v_lshlrev_b32_e32 v4, 25, v4
	v_lshrrev_b32_e32 v6, 4, v4
	v_and_or_b32 v7, v5, s0, 0.5
	v_or_b32_e32 v6, 0x70000000, v6
	v_add_f32_e32 v7, -0.5, v7
	v_mul_f32_e32 v6, 0x7800000, v6
	v_cmp_gt_u32_e32 vcc, s1, v4
	v_bfe_i32 v5, v5, 0, 16
	v_cndmask_b32_e32 v4, v6, v7, vcc
	s_brev_b32 s0, 1
	v_and_or_b32 v4, v5, s0, v4
	v_cvt_i32_f32_e32 v4, v4
.LBB71_590:
	s_mov_b64 s[52:53], 0
	s_mov_b64 s[0:1], -1
.LBB71_591:
	s_andn2_b64 vcc, exec, s[52:53]
	s_cbranch_vccnz .LBB71_604
; %bb.592:
	s_cmp_gt_i32 s56, 14
	s_cbranch_scc0 .LBB71_595
; %bb.593:
	s_cmp_eq_u32 s56, 15
	s_cbranch_scc0 .LBB71_598
; %bb.594:
	global_load_ushort v4, v[2:3], off
	s_mov_b64 s[0:1], -1
	s_mov_b64 s[50:51], 0
	s_waitcnt vmcnt(0)
	v_lshlrev_b32_e32 v4, 16, v4
	v_cvt_i32_f32_e32 v4, v4
	s_branch .LBB71_599
.LBB71_595:
	s_mov_b64 s[52:53], -1
                                        ; implicit-def: $vgpr4
	s_branch .LBB71_600
.LBB71_596:
	s_andn2_saveexec_b64 s[0:1], s[0:1]
	s_cbranch_execz .LBB71_577
.LBB71_597:
	v_cmp_ne_u16_e32 vcc, 0, v5
	s_andn2_b64 s[52:53], s[52:53], exec
	s_and_b64 s[58:59], vcc, exec
	s_or_b64 s[52:53], s[52:53], s[58:59]
	s_or_b64 exec, exec, s[0:1]
	v_mov_b32_e32 v4, 0
	s_and_saveexec_b64 s[0:1], s[52:53]
	s_cbranch_execnz .LBB71_578
	s_branch .LBB71_579
.LBB71_598:
	s_mov_b64 s[50:51], -1
                                        ; implicit-def: $vgpr4
.LBB71_599:
	s_mov_b64 s[52:53], 0
.LBB71_600:
	s_and_b64 vcc, exec, s[52:53]
	s_cbranch_vccz .LBB71_604
; %bb.601:
	s_cmp_eq_u32 s56, 11
	s_cbranch_scc0 .LBB71_603
; %bb.602:
	global_load_ubyte v4, v[2:3], off
	s_mov_b64 s[0:1], -1
	s_mov_b64 s[50:51], 0
	s_waitcnt vmcnt(0)
	v_cmp_ne_u16_e32 vcc, 0, v4
	v_cndmask_b32_e64 v4, 0, 1, vcc
	s_branch .LBB71_604
.LBB71_603:
	s_mov_b64 s[50:51], -1
                                        ; implicit-def: $vgpr4
.LBB71_604:
	s_mov_b64 s[52:53], 0
.LBB71_605:
	s_and_b64 vcc, exec, s[52:53]
	s_cbranch_vccz .LBB71_654
; %bb.606:
	s_and_b32 s14, 0xffff, s14
	s_cmp_lt_i32 s14, 5
	s_cbranch_scc1 .LBB71_611
; %bb.607:
	s_cmp_lt_i32 s14, 8
	s_cbranch_scc1 .LBB71_612
; %bb.608:
	s_cmp_lt_i32 s14, 9
	s_cbranch_scc1 .LBB71_613
; %bb.609:
	s_cmp_gt_i32 s14, 9
	s_cbranch_scc0 .LBB71_614
; %bb.610:
	global_load_dwordx2 v[4:5], v[2:3], off
	s_mov_b64 s[0:1], 0
	s_waitcnt vmcnt(0)
	v_cvt_i32_f64_e32 v4, v[4:5]
	s_branch .LBB71_615
.LBB71_611:
	s_mov_b64 s[0:1], -1
                                        ; implicit-def: $vgpr4
	s_branch .LBB71_633
.LBB71_612:
	s_mov_b64 s[0:1], -1
                                        ; implicit-def: $vgpr4
	s_branch .LBB71_621
.LBB71_613:
	s_mov_b64 s[0:1], -1
                                        ; implicit-def: $vgpr4
	s_branch .LBB71_618
.LBB71_614:
	s_mov_b64 s[0:1], -1
                                        ; implicit-def: $vgpr4
.LBB71_615:
	s_andn2_b64 vcc, exec, s[0:1]
	s_cbranch_vccnz .LBB71_617
; %bb.616:
	global_load_dword v4, v[2:3], off
	s_waitcnt vmcnt(0)
	v_cvt_i32_f32_e32 v4, v4
.LBB71_617:
	s_mov_b64 s[0:1], 0
.LBB71_618:
	s_andn2_b64 vcc, exec, s[0:1]
	s_cbranch_vccnz .LBB71_620
; %bb.619:
	global_load_dword v4, v[2:3], off
	s_waitcnt vmcnt(0)
	v_cvt_i16_f16_e32 v4, v4
.LBB71_620:
	s_mov_b64 s[0:1], 0
.LBB71_621:
	s_andn2_b64 vcc, exec, s[0:1]
	s_cbranch_vccnz .LBB71_632
; %bb.622:
	s_cmp_lt_i32 s14, 6
	s_cbranch_scc1 .LBB71_625
; %bb.623:
	s_cmp_gt_i32 s14, 6
	s_cbranch_scc0 .LBB71_626
; %bb.624:
	global_load_dwordx2 v[4:5], v[2:3], off
	s_mov_b64 s[0:1], 0
	s_waitcnt vmcnt(0)
	v_cvt_i32_f64_e32 v4, v[4:5]
	s_branch .LBB71_627
.LBB71_625:
	s_mov_b64 s[0:1], -1
                                        ; implicit-def: $vgpr4
	s_branch .LBB71_630
.LBB71_626:
	s_mov_b64 s[0:1], -1
                                        ; implicit-def: $vgpr4
.LBB71_627:
	s_andn2_b64 vcc, exec, s[0:1]
	s_cbranch_vccnz .LBB71_629
; %bb.628:
	global_load_dword v4, v[2:3], off
	s_waitcnt vmcnt(0)
	v_cvt_i32_f32_e32 v4, v4
.LBB71_629:
	s_mov_b64 s[0:1], 0
.LBB71_630:
	s_andn2_b64 vcc, exec, s[0:1]
	s_cbranch_vccnz .LBB71_632
; %bb.631:
	global_load_ushort v4, v[2:3], off
	s_waitcnt vmcnt(0)
	v_cvt_i16_f16_e32 v4, v4
.LBB71_632:
	s_mov_b64 s[0:1], 0
.LBB71_633:
	s_andn2_b64 vcc, exec, s[0:1]
	s_cbranch_vccnz .LBB71_653
; %bb.634:
	s_cmp_lt_i32 s14, 2
	s_cbranch_scc1 .LBB71_638
; %bb.635:
	s_cmp_lt_i32 s14, 3
	s_cbranch_scc1 .LBB71_639
; %bb.636:
	s_cmp_gt_i32 s14, 3
	s_cbranch_scc0 .LBB71_640
; %bb.637:
	global_load_dwordx2 v[4:5], v[2:3], off
	s_mov_b64 s[0:1], 0
	s_branch .LBB71_641
.LBB71_638:
	s_mov_b64 s[0:1], -1
                                        ; implicit-def: $vgpr4
	s_branch .LBB71_647
.LBB71_639:
	s_mov_b64 s[0:1], -1
                                        ; implicit-def: $vgpr4
	s_branch .LBB71_644
.LBB71_640:
	s_mov_b64 s[0:1], -1
                                        ; implicit-def: $vgpr4
.LBB71_641:
	s_andn2_b64 vcc, exec, s[0:1]
	s_cbranch_vccnz .LBB71_643
; %bb.642:
	global_load_dword v4, v[2:3], off
.LBB71_643:
	s_mov_b64 s[0:1], 0
.LBB71_644:
	s_andn2_b64 vcc, exec, s[0:1]
	s_cbranch_vccnz .LBB71_646
; %bb.645:
	global_load_ushort v4, v[2:3], off
.LBB71_646:
	s_mov_b64 s[0:1], 0
.LBB71_647:
	s_andn2_b64 vcc, exec, s[0:1]
	s_cbranch_vccnz .LBB71_653
; %bb.648:
	s_cmp_gt_i32 s14, 0
	s_cbranch_scc0 .LBB71_650
; %bb.649:
	global_load_sbyte v4, v[2:3], off
	s_mov_b64 s[0:1], 0
	s_branch .LBB71_651
.LBB71_650:
	s_mov_b64 s[0:1], -1
                                        ; implicit-def: $vgpr4
.LBB71_651:
	s_andn2_b64 vcc, exec, s[0:1]
	s_cbranch_vccnz .LBB71_653
; %bb.652:
	global_load_ubyte v4, v[2:3], off
.LBB71_653:
	s_mov_b64 s[0:1], -1
.LBB71_654:
	s_andn2_b64 vcc, exec, s[0:1]
	s_cbranch_vccnz .LBB71_662
; %bb.655:
	s_waitcnt vmcnt(0)
	v_cmp_ne_u16_e32 vcc, v1, v4
	s_xor_b64 s[52:53], s[28:29], vcc
	v_mov_b32_e32 v1, s9
	s_and_b32 s14, s15, 0xff
	v_add_co_u32_e32 v0, vcc, s8, v0
	s_cmp_lt_i32 s14, 11
	v_addc_co_u32_e32 v1, vcc, 0, v1, vcc
	s_cbranch_scc1 .LBB71_663
; %bb.656:
	s_and_b32 s62, 0xffff, s14
	s_cmp_gt_i32 s62, 25
	s_cbranch_scc0 .LBB71_664
; %bb.657:
	s_cmp_gt_i32 s62, 28
	s_cbranch_scc0 .LBB71_665
; %bb.658:
	;; [unrolled: 3-line block ×4, first 2 shown]
	s_mov_b64 s[58:59], 0
	s_mov_b64 s[0:1], -1
	s_cmp_eq_u32 s62, 46
	s_mov_b64 s[56:57], 0
	s_cbranch_scc0 .LBB71_668
; %bb.661:
	v_cndmask_b32_e64 v2, 0, 1.0, s[52:53]
	v_bfe_u32 v3, v2, 16, 1
	s_movk_i32 s0, 0x7fff
	v_add3_u32 v2, v2, v3, s0
	v_lshrrev_b32_e32 v2, 16, v2
	global_store_dword v[0:1], v2, off
	s_mov_b64 s[56:57], -1
	s_mov_b64 s[0:1], 0
	s_branch .LBB71_668
.LBB71_662:
	s_mov_b64 s[56:57], 0
                                        ; implicit-def: $vgpr10
	s_mov_b64 s[0:1], s[40:41]
	s_branch .LBB71_778
.LBB71_663:
	s_mov_b64 s[58:59], -1
	s_mov_b64 s[56:57], 0
	s_mov_b64 s[0:1], s[40:41]
	s_branch .LBB71_737
.LBB71_664:
	s_mov_b64 s[58:59], -1
	s_mov_b64 s[56:57], 0
	s_mov_b64 s[0:1], s[40:41]
	s_branch .LBB71_695
.LBB71_665:
	s_mov_b64 s[58:59], -1
	s_mov_b64 s[56:57], 0
	s_mov_b64 s[0:1], s[40:41]
	s_branch .LBB71_678
.LBB71_666:
	s_mov_b64 s[58:59], -1
	s_mov_b64 s[56:57], 0
	s_mov_b64 s[0:1], s[40:41]
	s_branch .LBB71_674
.LBB71_667:
	s_mov_b64 s[58:59], -1
	s_mov_b64 s[56:57], 0
	s_mov_b64 s[0:1], s[40:41]
.LBB71_668:
	s_and_b64 vcc, exec, s[58:59]
	s_cbranch_vccz .LBB71_673
; %bb.669:
	s_cmp_eq_u32 s62, 44
	s_mov_b64 s[0:1], -1
	s_cbranch_scc0 .LBB71_673
; %bb.670:
	v_cndmask_b32_e64 v3, 0, 1.0, s[52:53]
	v_lshrrev_b32_e32 v2, 23, v3
	s_movk_i32 s0, 0xff
	v_cmp_ne_u32_e32 vcc, s0, v2
	v_mov_b32_e32 v4, 0xff
	s_and_saveexec_b64 s[56:57], vcc
; %bb.671:
	s_mov_b32 s0, 0x3fffff
	v_and_b32_e32 v4, 0x400000, v3
	v_and_or_b32 v3, v3, s0, v2
	v_cmp_ne_u32_e32 vcc, 0, v4
	v_cmp_ne_u32_e64 s[0:1], 0, v3
	s_and_b64 s[0:1], vcc, s[0:1]
	v_cndmask_b32_e64 v3, 0, 1, s[0:1]
	v_add_u32_e32 v4, v2, v3
; %bb.672:
	s_or_b64 exec, exec, s[56:57]
	s_mov_b64 s[56:57], -1
	s_mov_b64 s[0:1], 0
	global_store_byte v[0:1], v4, off
.LBB71_673:
	s_mov_b64 s[58:59], 0
.LBB71_674:
	s_and_b64 vcc, exec, s[58:59]
	s_cbranch_vccz .LBB71_677
; %bb.675:
	s_cmp_eq_u32 s62, 29
	s_mov_b64 s[0:1], -1
	s_cbranch_scc0 .LBB71_677
; %bb.676:
	s_mov_b32 s0, 0
	v_cndmask_b32_e64 v2, 0, 1, s[52:53]
	v_mov_b32_e32 v3, s0
	global_store_dwordx2 v[0:1], v[2:3], off
	s_mov_b64 s[56:57], -1
	s_mov_b64 s[0:1], 0
.LBB71_677:
	s_mov_b64 s[58:59], 0
.LBB71_678:
	s_and_b64 vcc, exec, s[58:59]
	s_cbranch_vccz .LBB71_694
; %bb.679:
	s_cmp_lt_i32 s62, 27
	s_mov_b64 s[56:57], -1
	s_cbranch_scc1 .LBB71_685
; %bb.680:
	s_cmp_gt_i32 s62, 27
	s_cbranch_scc0 .LBB71_682
; %bb.681:
	v_cndmask_b32_e64 v2, 0, 1, s[52:53]
	s_mov_b64 s[56:57], 0
	global_store_dword v[0:1], v2, off
.LBB71_682:
	s_andn2_b64 vcc, exec, s[56:57]
	s_cbranch_vccnz .LBB71_684
; %bb.683:
	v_cndmask_b32_e64 v2, 0, 1, s[52:53]
	global_store_short v[0:1], v2, off
.LBB71_684:
	s_mov_b64 s[56:57], 0
.LBB71_685:
	s_andn2_b64 vcc, exec, s[56:57]
	s_cbranch_vccnz .LBB71_693
; %bb.686:
	v_cndmask_b32_e64 v3, 0, 1.0, s[52:53]
	s_mov_b32 s56, 0x43800000
	v_cmp_gt_u32_e32 vcc, s56, v3
	v_mov_b32_e32 v4, 0x80
	s_and_saveexec_b64 s[56:57], vcc
	s_cbranch_execz .LBB71_692
; %bb.687:
	s_mov_b32 s58, 0x3bffffff
	v_cmp_lt_u32_e32 vcc, s58, v3
	s_mov_b64 s[58:59], 0
                                        ; implicit-def: $vgpr2
	s_and_saveexec_b64 s[60:61], vcc
	s_xor_b64 s[60:61], exec, s[60:61]
	s_cbranch_execz .LBB71_806
; %bb.688:
	v_bfe_u32 v2, v3, 20, 1
	s_mov_b32 s63, 0x487ffff
	v_add3_u32 v2, v3, v2, s63
	s_mov_b64 s[58:59], exec
	v_lshrrev_b32_e32 v2, 20, v2
                                        ; implicit-def: $vgpr3
	s_andn2_saveexec_b64 s[60:61], s[60:61]
	s_cbranch_execnz .LBB71_807
.LBB71_689:
	s_or_b64 exec, exec, s[60:61]
	v_mov_b32_e32 v4, 0
	s_and_saveexec_b64 s[60:61], s[58:59]
.LBB71_690:
	v_mov_b32_e32 v4, v2
.LBB71_691:
	s_or_b64 exec, exec, s[60:61]
.LBB71_692:
	s_or_b64 exec, exec, s[56:57]
	global_store_byte v[0:1], v4, off
.LBB71_693:
	s_mov_b64 s[56:57], -1
.LBB71_694:
	s_mov_b64 s[58:59], 0
.LBB71_695:
	s_and_b64 vcc, exec, s[58:59]
	s_cbranch_vccz .LBB71_736
; %bb.696:
	s_cmp_gt_i32 s62, 22
	s_mov_b64 s[58:59], -1
	s_cbranch_scc0 .LBB71_728
; %bb.697:
	s_cmp_lt_i32 s62, 24
	s_mov_b64 s[56:57], -1
	s_cbranch_scc1 .LBB71_717
; %bb.698:
	s_cmp_gt_i32 s62, 24
	s_cbranch_scc0 .LBB71_706
; %bb.699:
	v_cndmask_b32_e64 v3, 0, 1.0, s[52:53]
	s_mov_b32 s56, 0x47800000
	v_cmp_gt_u32_e32 vcc, s56, v3
	v_mov_b32_e32 v4, 0x80
	s_and_saveexec_b64 s[56:57], vcc
	s_cbranch_execz .LBB71_705
; %bb.700:
	s_mov_b32 s58, 0x37ffffff
	v_cmp_lt_u32_e32 vcc, s58, v3
	s_mov_b64 s[58:59], 0
                                        ; implicit-def: $vgpr2
	s_and_saveexec_b64 s[60:61], vcc
	s_xor_b64 s[60:61], exec, s[60:61]
	s_cbranch_execz .LBB71_934
; %bb.701:
	v_bfe_u32 v2, v3, 21, 1
	s_mov_b32 s63, 0x88fffff
	v_add3_u32 v2, v3, v2, s63
	s_mov_b64 s[58:59], exec
	v_lshrrev_b32_e32 v2, 21, v2
                                        ; implicit-def: $vgpr3
	s_andn2_saveexec_b64 s[60:61], s[60:61]
	s_cbranch_execnz .LBB71_935
.LBB71_702:
	s_or_b64 exec, exec, s[60:61]
	v_mov_b32_e32 v4, 0
	s_and_saveexec_b64 s[60:61], s[58:59]
.LBB71_703:
	v_mov_b32_e32 v4, v2
.LBB71_704:
	s_or_b64 exec, exec, s[60:61]
.LBB71_705:
	s_or_b64 exec, exec, s[56:57]
	s_mov_b64 s[56:57], 0
	global_store_byte v[0:1], v4, off
.LBB71_706:
	s_and_b64 vcc, exec, s[56:57]
	s_cbranch_vccz .LBB71_716
; %bb.707:
	v_cndmask_b32_e64 v2, 0, 1.0, s[52:53]
	s_mov_b32 s56, 0x43f00000
	v_cmp_gt_u32_e32 vcc, s56, v2
                                        ; implicit-def: $vgpr3
	s_and_saveexec_b64 s[56:57], vcc
	s_xor_b64 s[56:57], exec, s[56:57]
	s_cbranch_execz .LBB71_713
; %bb.708:
	s_mov_b32 s58, 0x3c7fffff
	v_cmp_lt_u32_e32 vcc, s58, v2
                                        ; implicit-def: $vgpr3
	s_and_saveexec_b64 s[58:59], vcc
	s_xor_b64 s[58:59], exec, s[58:59]
; %bb.709:
	v_bfe_u32 v3, v2, 20, 1
	s_mov_b32 s60, 0x407ffff
	v_add3_u32 v2, v2, v3, s60
	v_lshrrev_b32_e32 v3, 20, v2
	v_and_b32_e32 v2, 0xff00000, v2
	s_mov_b32 s60, 0x7f00000
	v_mov_b32_e32 v4, 0x7e
	v_cmp_ne_u32_e32 vcc, s60, v2
	v_cndmask_b32_e32 v3, v4, v3, vcc
                                        ; implicit-def: $vgpr2
; %bb.710:
	s_andn2_saveexec_b64 s[58:59], s[58:59]
; %bb.711:
	v_add_f32_e32 v3, 0x46800000, v2
; %bb.712:
	s_or_b64 exec, exec, s[58:59]
                                        ; implicit-def: $vgpr2
.LBB71_713:
	s_andn2_saveexec_b64 s[56:57], s[56:57]
; %bb.714:
	s_mov_b32 s58, 0x7f800000
	v_mov_b32_e32 v3, 0x7e
	v_mov_b32_e32 v4, 0x7f
	v_cmp_lt_u32_e32 vcc, s58, v2
	v_cndmask_b32_e32 v3, v3, v4, vcc
; %bb.715:
	s_or_b64 exec, exec, s[56:57]
	global_store_byte v[0:1], v3, off
.LBB71_716:
	s_mov_b64 s[56:57], 0
.LBB71_717:
	s_andn2_b64 vcc, exec, s[56:57]
	s_cbranch_vccnz .LBB71_727
; %bb.718:
	v_cndmask_b32_e64 v2, 0, 1.0, s[52:53]
	s_mov_b32 s56, 0x47800000
	v_cmp_gt_u32_e32 vcc, s56, v2
                                        ; implicit-def: $vgpr3
	s_and_saveexec_b64 s[56:57], vcc
	s_xor_b64 s[56:57], exec, s[56:57]
	s_cbranch_execz .LBB71_724
; %bb.719:
	s_mov_b32 s58, 0x387fffff
	v_cmp_lt_u32_e32 vcc, s58, v2
                                        ; implicit-def: $vgpr3
	s_and_saveexec_b64 s[58:59], vcc
	s_xor_b64 s[58:59], exec, s[58:59]
; %bb.720:
	v_bfe_u32 v3, v2, 21, 1
	s_mov_b32 s60, 0x80fffff
	v_add3_u32 v2, v2, v3, s60
	v_lshrrev_b32_e32 v3, 21, v2
                                        ; implicit-def: $vgpr2
; %bb.721:
	s_andn2_saveexec_b64 s[58:59], s[58:59]
; %bb.722:
	v_add_f32_e32 v3, 0x43000000, v2
; %bb.723:
	s_or_b64 exec, exec, s[58:59]
                                        ; implicit-def: $vgpr2
.LBB71_724:
	s_andn2_saveexec_b64 s[56:57], s[56:57]
; %bb.725:
	s_mov_b32 s58, 0x7f800000
	v_mov_b32_e32 v3, 0x7c
	v_mov_b32_e32 v4, 0x7f
	v_cmp_lt_u32_e32 vcc, s58, v2
	v_cndmask_b32_e32 v3, v3, v4, vcc
; %bb.726:
	s_or_b64 exec, exec, s[56:57]
	global_store_byte v[0:1], v3, off
.LBB71_727:
	s_mov_b64 s[58:59], 0
	s_mov_b64 s[56:57], -1
.LBB71_728:
	s_andn2_b64 vcc, exec, s[58:59]
	s_cbranch_vccnz .LBB71_736
; %bb.729:
	s_cmp_gt_i32 s62, 14
	s_mov_b64 s[58:59], -1
	s_cbranch_scc0 .LBB71_733
; %bb.730:
	s_cmp_eq_u32 s62, 15
	s_mov_b64 s[0:1], -1
	s_cbranch_scc0 .LBB71_732
; %bb.731:
	v_cndmask_b32_e64 v2, 0, 1.0, s[52:53]
	v_bfe_u32 v3, v2, 16, 1
	s_movk_i32 s0, 0x7fff
	v_add3_u32 v2, v2, v3, s0
	global_store_short_d16_hi v[0:1], v2, off
	s_mov_b64 s[56:57], -1
	s_mov_b64 s[0:1], 0
.LBB71_732:
	s_mov_b64 s[58:59], 0
.LBB71_733:
	s_and_b64 vcc, exec, s[58:59]
	s_cbranch_vccz .LBB71_736
; %bb.734:
	s_cmp_eq_u32 s62, 11
	s_mov_b64 s[0:1], -1
	s_cbranch_scc0 .LBB71_736
; %bb.735:
	v_cndmask_b32_e64 v2, 0, 1, s[52:53]
	s_mov_b64 s[56:57], -1
	s_mov_b64 s[0:1], 0
	global_store_byte v[0:1], v2, off
.LBB71_736:
	s_mov_b64 s[58:59], 0
.LBB71_737:
	s_and_b64 vcc, exec, s[58:59]
	s_cbranch_vccz .LBB71_776
; %bb.738:
	s_and_b32 s14, 0xffff, s14
	s_cmp_lt_i32 s14, 5
	s_mov_b64 s[56:57], -1
	s_cbranch_scc1 .LBB71_759
; %bb.739:
	s_cmp_lt_i32 s14, 8
	s_cbranch_scc1 .LBB71_749
; %bb.740:
	s_cmp_lt_i32 s14, 9
	s_cbranch_scc1 .LBB71_746
; %bb.741:
	s_cmp_gt_i32 s14, 9
	s_cbranch_scc0 .LBB71_743
; %bb.742:
	v_cndmask_b32_e64 v2, 0, 1, s[52:53]
	v_cvt_f64_u32_e32 v[2:3], v2
	v_mov_b32_e32 v4, 0
	v_mov_b32_e32 v5, v4
	s_mov_b64 s[56:57], 0
	global_store_dwordx4 v[0:1], v[2:5], off
.LBB71_743:
	s_andn2_b64 vcc, exec, s[56:57]
	s_cbranch_vccnz .LBB71_745
; %bb.744:
	v_cndmask_b32_e64 v2, 0, 1.0, s[52:53]
	v_mov_b32_e32 v3, 0
	global_store_dwordx2 v[0:1], v[2:3], off
.LBB71_745:
	s_mov_b64 s[56:57], 0
.LBB71_746:
	s_andn2_b64 vcc, exec, s[56:57]
	s_cbranch_vccnz .LBB71_748
; %bb.747:
	v_cndmask_b32_e64 v2, 0, 1.0, s[52:53]
	v_cvt_f16_f32_e32 v2, v2
	global_store_dword v[0:1], v2, off
.LBB71_748:
	s_mov_b64 s[56:57], 0
.LBB71_749:
	s_andn2_b64 vcc, exec, s[56:57]
	s_cbranch_vccnz .LBB71_758
; %bb.750:
	s_cmp_lt_i32 s14, 6
	s_mov_b64 s[56:57], -1
	s_cbranch_scc1 .LBB71_756
; %bb.751:
	s_cmp_gt_i32 s14, 6
	s_cbranch_scc0 .LBB71_753
; %bb.752:
	v_cndmask_b32_e64 v2, 0, 1, s[52:53]
	v_cvt_f64_u32_e32 v[2:3], v2
	s_mov_b64 s[56:57], 0
	global_store_dwordx2 v[0:1], v[2:3], off
.LBB71_753:
	s_andn2_b64 vcc, exec, s[56:57]
	s_cbranch_vccnz .LBB71_755
; %bb.754:
	v_cndmask_b32_e64 v2, 0, 1.0, s[52:53]
	global_store_dword v[0:1], v2, off
.LBB71_755:
	s_mov_b64 s[56:57], 0
.LBB71_756:
	s_andn2_b64 vcc, exec, s[56:57]
	s_cbranch_vccnz .LBB71_758
; %bb.757:
	v_cndmask_b32_e64 v2, 0, 1.0, s[52:53]
	v_cvt_f16_f32_e32 v2, v2
	global_store_short v[0:1], v2, off
.LBB71_758:
	s_mov_b64 s[56:57], 0
.LBB71_759:
	s_andn2_b64 vcc, exec, s[56:57]
	s_cbranch_vccnz .LBB71_775
; %bb.760:
	s_cmp_lt_i32 s14, 2
	s_mov_b64 s[56:57], -1
	s_cbranch_scc1 .LBB71_770
; %bb.761:
	s_cmp_lt_i32 s14, 3
	s_cbranch_scc1 .LBB71_767
; %bb.762:
	s_cmp_gt_i32 s14, 3
	s_cbranch_scc0 .LBB71_764
; %bb.763:
	s_mov_b32 s56, 0
	v_cndmask_b32_e64 v2, 0, 1, s[52:53]
	v_mov_b32_e32 v3, s56
	s_mov_b64 s[56:57], 0
	global_store_dwordx2 v[0:1], v[2:3], off
.LBB71_764:
	s_andn2_b64 vcc, exec, s[56:57]
	s_cbranch_vccnz .LBB71_766
; %bb.765:
	v_cndmask_b32_e64 v2, 0, 1, s[52:53]
	global_store_dword v[0:1], v2, off
.LBB71_766:
	s_mov_b64 s[56:57], 0
.LBB71_767:
	s_andn2_b64 vcc, exec, s[56:57]
	s_cbranch_vccnz .LBB71_769
; %bb.768:
	v_cndmask_b32_e64 v2, 0, 1, s[52:53]
	global_store_short v[0:1], v2, off
.LBB71_769:
	s_mov_b64 s[56:57], 0
.LBB71_770:
	s_andn2_b64 vcc, exec, s[56:57]
	s_cbranch_vccnz .LBB71_775
; %bb.771:
	s_mov_b64 s[56:57], -1
	s_cmp_gt_i32 s14, 0
	v_cndmask_b32_e64 v2, 0, 1, s[52:53]
	s_cbranch_scc0 .LBB71_773
; %bb.772:
	s_mov_b64 s[56:57], 0
	global_store_byte v[0:1], v2, off
.LBB71_773:
	s_andn2_b64 vcc, exec, s[56:57]
	s_cbranch_vccnz .LBB71_775
; %bb.774:
	global_store_byte v[0:1], v2, off
.LBB71_775:
	s_mov_b64 s[56:57], -1
.LBB71_776:
	s_andn2_b64 vcc, exec, s[56:57]
	s_cbranch_vccnz .LBB71_788
; %bb.777:
	v_add_u32_e32 v10, 0x80, v10
	s_mov_b64 s[56:57], -1
.LBB71_778:
	s_andn2_b64 s[52:53], s[40:41], exec
	s_and_b64 s[0:1], s[0:1], exec
	s_or_b64 s[52:53], s[52:53], s[0:1]
	s_andn2_b64 s[0:1], s[42:43], exec
	s_and_b64 s[50:51], s[50:51], exec
	s_or_b64 s[50:51], s[0:1], s[50:51]
	s_andn2_b64 s[0:1], s[44:45], exec
	s_and_b64 s[48:49], s[48:49], exec
	s_or_b64 s[48:49], s[0:1], s[48:49]
	s_orn2_b64 s[0:1], s[56:57], exec
.LBB71_779:
	s_or_b64 exec, exec, s[54:55]
	s_mov_b64 s[56:57], 0
	s_mov_b64 s[58:59], 0
	;; [unrolled: 1-line block ×3, first 2 shown]
                                        ; implicit-def: $sgpr14
                                        ; implicit-def: $vgpr4_vgpr5
                                        ; implicit-def: $vgpr0
                                        ; implicit-def: $vgpr3
                                        ; implicit-def: $vgpr1
	s_and_saveexec_b64 s[54:55], s[0:1]
	s_cbranch_execz .LBB71_1264
; %bb.780:
	v_cmp_gt_i32_e32 vcc, s70, v10
	s_mov_b64 s[68:69], -1
	s_mov_b64 s[0:1], s[48:49]
	s_mov_b64 s[60:61], s[50:51]
	;; [unrolled: 1-line block ×3, first 2 shown]
	s_and_saveexec_b64 s[56:57], vcc
	s_cbranch_execz .LBB71_1172
; %bb.781:
	s_andn2_b64 vcc, exec, s[24:25]
	s_cbranch_vccnz .LBB71_787
; %bb.782:
	s_andn2_b64 vcc, exec, s[38:39]
	s_cbranch_vccnz .LBB71_789
; %bb.783:
	s_add_i32 s0, s75, 1
	s_and_b32 s14, s0, 30
	s_add_u32 s0, s2, 0xffffffe8
	s_addc_u32 s1, s3, -1
	v_mov_b32_e32 v3, 0
	s_waitcnt vmcnt(0)
	v_mov_b32_e32 v5, 0
	v_mov_b32_e32 v0, 0
	;; [unrolled: 1-line block ×3, first 2 shown]
.LBB71_784:                             ; =>This Inner Loop Header: Depth=1
	s_load_dwordx4 s[60:63], s[0:1], 0x1c
	s_load_dwordx2 s[58:59], s[0:1], 0x2c
	s_load_dwordx2 s[68:69], s[0:1], 0xec
	s_load_dwordx4 s[64:67], s[0:1], 0xdc
	s_add_u32 s0, s0, 24
	s_waitcnt lgkmcnt(0)
	v_mul_hi_u32 v2, s61, v1
	s_addc_u32 s1, s1, 0
	s_add_i32 s14, s14, -2
	s_cmp_eq_u32 s14, 0
	v_add_u32_e32 v2, v1, v2
	v_lshrrev_b32_e32 v2, s62, v2
	v_mul_lo_u32 v4, v2, s60
	v_mul_hi_u32 v6, s58, v2
	v_sub_u32_e32 v4, v1, v4
	v_add_u32_e32 v1, v2, v6
	v_lshrrev_b32_e32 v1, s59, v1
	v_mul_lo_u32 v8, v1, s63
	v_mul_lo_u32 v6, v4, s64
	;; [unrolled: 1-line block ×4, first 2 shown]
	v_sub_u32_e32 v2, v2, v8
	v_mul_lo_u32 v8, v2, s67
	v_mul_lo_u32 v9, v2, s68
	;; [unrolled: 1-line block ×3, first 2 shown]
	v_add3_u32 v0, v6, v0, v8
	v_add3_u32 v5, v7, v5, v9
	;; [unrolled: 1-line block ×3, first 2 shown]
	s_cbranch_scc0 .LBB71_784
; %bb.785:
	s_bitcmp1_b32 s75, 0
	s_cselect_b64 s[58:59], -1, 0
	s_and_b64 vcc, exec, s[58:59]
	s_cbranch_vccnz .LBB71_790
; %bb.786:
	s_load_dwordx2 s[58:59], s[0:1], 0x1c
	s_load_dword s14, s[0:1], 0x24
	s_load_dwordx2 s[60:61], s[0:1], 0xdc
	s_waitcnt lgkmcnt(0)
	v_mul_hi_u32 v2, s59, v1
	v_add_u32_e32 v2, v1, v2
	v_lshrrev_b32_e32 v2, s14, v2
	v_mul_lo_u32 v2, v2, s58
	s_load_dword s14, s[0:1], 0xe4
	v_sub_u32_e32 v2, v1, v2
	v_mad_u64_u32 v[0:1], s[0:1], v2, s60, v[0:1]
	v_mad_u64_u32 v[5:6], s[0:1], v2, s61, v[5:6]
	s_waitcnt lgkmcnt(0)
	v_mad_u64_u32 v[3:4], s[0:1], v2, s14, v[3:4]
	s_branch .LBB71_790
.LBB71_787:
	s_mov_b64 s[0:1], -1
                                        ; implicit-def: $vgpr0
                                        ; implicit-def: $vgpr5
                                        ; implicit-def: $vgpr3
	s_branch .LBB71_791
.LBB71_788:
	s_mov_b64 s[56:57], 0
	s_branch .LBB71_540
.LBB71_789:
	v_mov_b32_e32 v0, 0
	s_waitcnt vmcnt(0)
	v_mov_b32_e32 v5, 0
	v_mov_b32_e32 v3, 0
.LBB71_790:
	s_mov_b64 s[0:1], 0
.LBB71_791:
	s_andn2_b64 vcc, exec, s[0:1]
	s_cbranch_vccnz .LBB71_794
; %bb.792:
	v_mul_hi_u32 v0, s17, v10
	s_andn2_b64 vcc, exec, s[36:37]
	v_add_u32_e32 v0, v10, v0
	s_waitcnt vmcnt(0)
	v_lshrrev_b32_e32 v1, s18, v0
	v_mul_lo_u32 v0, v1, s16
	v_sub_u32_e32 v2, v10, v0
	v_mul_lo_u32 v0, v2, s20
	v_mul_lo_u32 v5, v2, s21
	;; [unrolled: 1-line block ×3, first 2 shown]
	s_cbranch_vccnz .LBB71_794
; %bb.793:
	v_mul_hi_u32 v2, s34, v1
	v_add_u32_e32 v2, v1, v2
	v_lshrrev_b32_e32 v2, s35, v2
	v_mul_lo_u32 v2, v2, s19
	v_sub_u32_e32 v2, v1, v2
	v_mad_u64_u32 v[0:1], s[0:1], v2, s23, v[0:1]
	v_mad_u64_u32 v[5:6], s[0:1], v2, s30, v[5:6]
	;; [unrolled: 1-line block ×3, first 2 shown]
.LBB71_794:
	s_waitcnt vmcnt(0)
	v_mov_b32_e32 v1, s11
	s_and_b32 s14, s74, 0xff
	v_add_co_u32_e32 v4, vcc, s10, v5
	s_cmp_lt_i32 s14, 11
	v_addc_co_u32_e32 v5, vcc, 0, v1, vcc
	s_cbranch_scc1 .LBB71_801
; %bb.795:
	s_and_b32 s62, 0xffff, s14
	s_cmp_gt_i32 s62, 25
	s_cbranch_scc0 .LBB71_802
; %bb.796:
	s_cmp_gt_i32 s62, 28
	s_cbranch_scc0 .LBB71_803
; %bb.797:
	;; [unrolled: 3-line block ×4, first 2 shown]
	s_cmp_eq_u32 s62, 46
	s_mov_b64 s[60:61], 0
	s_cbranch_scc0 .LBB71_808
; %bb.800:
	global_load_dword v1, v[4:5], off
	s_mov_b64 s[0:1], -1
	s_mov_b64 s[58:59], 0
	s_waitcnt vmcnt(0)
	v_lshlrev_b32_e32 v1, 16, v1
	v_cvt_i32_f32_e32 v1, v1
	s_branch .LBB71_809
.LBB71_801:
	s_mov_b64 s[60:61], -1
	s_mov_b64 s[0:1], 0
                                        ; implicit-def: $vgpr1
	s_mov_b64 s[58:59], s[48:49]
	s_branch .LBB71_870
.LBB71_802:
	s_mov_b64 s[60:61], -1
	s_mov_b64 s[0:1], 0
	s_mov_b64 s[58:59], s[48:49]
                                        ; implicit-def: $vgpr1
	s_branch .LBB71_836
.LBB71_803:
	s_mov_b64 s[60:61], -1
	s_mov_b64 s[0:1], 0
	s_mov_b64 s[58:59], s[48:49]
                                        ; implicit-def: $vgpr1
	s_branch .LBB71_819
.LBB71_804:
	s_mov_b64 s[60:61], -1
	s_mov_b64 s[0:1], 0
	s_mov_b64 s[58:59], s[48:49]
                                        ; implicit-def: $vgpr1
	s_branch .LBB71_814
.LBB71_805:
	s_mov_b64 s[60:61], -1
	s_mov_b64 s[0:1], 0
	s_mov_b64 s[58:59], s[48:49]
                                        ; implicit-def: $vgpr1
	s_branch .LBB71_809
.LBB71_806:
	s_andn2_saveexec_b64 s[60:61], s[60:61]
	s_cbranch_execz .LBB71_689
.LBB71_807:
	v_add_f32_e32 v2, 0x46000000, v3
	v_and_b32_e32 v2, 0xff, v2
	v_cmp_ne_u32_e32 vcc, 0, v2
	s_andn2_b64 s[58:59], s[58:59], exec
	s_and_b64 s[64:65], vcc, exec
	s_or_b64 s[58:59], s[58:59], s[64:65]
	s_or_b64 exec, exec, s[60:61]
	v_mov_b32_e32 v4, 0
	s_and_saveexec_b64 s[60:61], s[58:59]
	s_cbranch_execnz .LBB71_690
	s_branch .LBB71_691
.LBB71_808:
	s_mov_b64 s[58:59], -1
                                        ; implicit-def: $vgpr1
	s_mov_b64 s[0:1], 0
.LBB71_809:
	s_and_b64 vcc, exec, s[60:61]
	s_cbranch_vccz .LBB71_813
; %bb.810:
	s_cmp_eq_u32 s62, 44
	s_cbranch_scc0 .LBB71_812
; %bb.811:
	global_load_ubyte v1, v[4:5], off
	s_mov_b64 s[0:1], -1
	s_mov_b64 s[58:59], 0
	s_waitcnt vmcnt(0)
	v_lshlrev_b32_e32 v2, 23, v1
	v_cvt_i32_f32_e32 v2, v2
	v_cmp_ne_u32_e32 vcc, 0, v1
	v_cndmask_b32_e32 v1, 0, v2, vcc
	s_branch .LBB71_813
.LBB71_812:
	s_mov_b64 s[58:59], -1
                                        ; implicit-def: $vgpr1
.LBB71_813:
	s_mov_b64 s[60:61], 0
.LBB71_814:
	s_and_b64 vcc, exec, s[60:61]
	s_cbranch_vccz .LBB71_818
; %bb.815:
	s_cmp_eq_u32 s62, 29
	s_cbranch_scc0 .LBB71_817
; %bb.816:
	global_load_dwordx2 v[1:2], v[4:5], off
	s_mov_b64 s[0:1], -1
	s_mov_b64 s[58:59], 0
	s_branch .LBB71_818
.LBB71_817:
	s_mov_b64 s[58:59], -1
                                        ; implicit-def: $vgpr1
.LBB71_818:
	s_mov_b64 s[60:61], 0
.LBB71_819:
	s_and_b64 vcc, exec, s[60:61]
	s_cbranch_vccz .LBB71_835
; %bb.820:
	s_cmp_lt_i32 s62, 27
	s_cbranch_scc1 .LBB71_823
; %bb.821:
	s_cmp_gt_i32 s62, 27
	s_cbranch_scc0 .LBB71_824
; %bb.822:
	global_load_dword v1, v[4:5], off
	s_mov_b64 s[0:1], 0
	s_branch .LBB71_825
.LBB71_823:
	s_mov_b64 s[0:1], -1
                                        ; implicit-def: $vgpr1
	s_branch .LBB71_828
.LBB71_824:
	s_mov_b64 s[0:1], -1
                                        ; implicit-def: $vgpr1
.LBB71_825:
	s_andn2_b64 vcc, exec, s[0:1]
	s_cbranch_vccnz .LBB71_827
; %bb.826:
	global_load_ushort v1, v[4:5], off
.LBB71_827:
	s_mov_b64 s[0:1], 0
.LBB71_828:
	s_andn2_b64 vcc, exec, s[0:1]
	s_cbranch_vccnz .LBB71_834
; %bb.829:
	global_load_ubyte v2, v[4:5], off
	s_movk_i32 s0, 0x7f
	s_mov_b64 s[60:61], 0
	s_waitcnt vmcnt(0)
	v_cmp_lt_i16_e32 vcc, s0, v2
	s_and_saveexec_b64 s[0:1], vcc
	s_xor_b64 s[0:1], exec, s[0:1]
	s_cbranch_execz .LBB71_846
; %bb.830:
	s_movk_i32 s60, 0x80
	v_cmp_ne_u16_e32 vcc, s60, v2
	s_and_b64 s[60:61], vcc, exec
	s_andn2_saveexec_b64 s[0:1], s[0:1]
	s_cbranch_execnz .LBB71_847
.LBB71_831:
	s_or_b64 exec, exec, s[0:1]
	v_mov_b32_e32 v1, 0
	s_and_saveexec_b64 s[0:1], s[60:61]
	s_cbranch_execz .LBB71_833
.LBB71_832:
	v_lshlrev_b32_e32 v1, 24, v2
	v_and_b32_e32 v2, 0xffff, v2
	v_and_b32_e32 v6, 7, v2
	v_ffbh_u32_e32 v8, v6
	v_min_u32_e32 v8, 32, v8
	v_subrev_u32_e32 v9, 28, v8
	v_bfe_u32 v7, v2, 3, 4
	v_lshlrev_b32_e32 v2, v9, v2
	v_sub_u32_e32 v8, 29, v8
	v_and_b32_e32 v2, 7, v2
	v_cmp_eq_u32_e32 vcc, 0, v7
	v_cndmask_b32_e32 v7, v7, v8, vcc
	v_cndmask_b32_e32 v2, v6, v2, vcc
	v_mov_b32_e32 v6, 0x3b800000
	v_lshlrev_b32_e32 v2, 20, v2
	v_and_b32_e32 v1, 0x80000000, v1
	v_lshl_add_u32 v6, v7, 23, v6
	v_or3_b32 v1, v1, v6, v2
	v_cvt_i32_f32_e32 v1, v1
.LBB71_833:
	s_or_b64 exec, exec, s[0:1]
.LBB71_834:
	s_mov_b64 s[0:1], -1
.LBB71_835:
	s_mov_b64 s[60:61], 0
.LBB71_836:
	s_and_b64 vcc, exec, s[60:61]
	s_cbranch_vccz .LBB71_869
; %bb.837:
	s_cmp_gt_i32 s62, 22
	s_cbranch_scc0 .LBB71_845
; %bb.838:
	s_cmp_lt_i32 s62, 24
	s_cbranch_scc1 .LBB71_848
; %bb.839:
	s_cmp_gt_i32 s62, 24
	s_cbranch_scc0 .LBB71_849
; %bb.840:
	global_load_ubyte v2, v[4:5], off
	s_movk_i32 s0, 0x7f
	s_mov_b64 s[60:61], 0
	s_waitcnt vmcnt(0)
	v_cmp_lt_i16_e32 vcc, s0, v2
	s_and_saveexec_b64 s[0:1], vcc
	s_xor_b64 s[0:1], exec, s[0:1]
	s_cbranch_execz .LBB71_861
; %bb.841:
	s_movk_i32 s60, 0x80
	v_cmp_ne_u16_e32 vcc, s60, v2
	s_and_b64 s[60:61], vcc, exec
	s_andn2_saveexec_b64 s[0:1], s[0:1]
	s_cbranch_execnz .LBB71_862
.LBB71_842:
	s_or_b64 exec, exec, s[0:1]
	v_mov_b32_e32 v1, 0
	s_and_saveexec_b64 s[0:1], s[60:61]
	s_cbranch_execz .LBB71_844
.LBB71_843:
	v_lshlrev_b32_e32 v1, 24, v2
	v_and_b32_e32 v2, 0xffff, v2
	v_and_b32_e32 v6, 3, v2
	v_ffbh_u32_e32 v8, v6
	v_min_u32_e32 v8, 32, v8
	v_subrev_u32_e32 v9, 29, v8
	v_bfe_u32 v7, v2, 2, 5
	v_lshlrev_b32_e32 v2, v9, v2
	v_sub_u32_e32 v8, 30, v8
	v_and_b32_e32 v2, 3, v2
	v_cmp_eq_u32_e32 vcc, 0, v7
	v_cndmask_b32_e32 v7, v7, v8, vcc
	v_cndmask_b32_e32 v2, v6, v2, vcc
	v_mov_b32_e32 v6, 0x37800000
	v_lshlrev_b32_e32 v2, 21, v2
	v_and_b32_e32 v1, 0x80000000, v1
	v_lshl_add_u32 v6, v7, 23, v6
	v_or3_b32 v1, v1, v6, v2
	v_cvt_i32_f32_e32 v1, v1
.LBB71_844:
	s_or_b64 exec, exec, s[0:1]
	s_mov_b64 s[0:1], 0
	s_branch .LBB71_850
.LBB71_845:
	s_mov_b64 s[60:61], -1
                                        ; implicit-def: $vgpr1
	s_branch .LBB71_856
.LBB71_846:
	s_andn2_saveexec_b64 s[0:1], s[0:1]
	s_cbranch_execz .LBB71_831
.LBB71_847:
	v_cmp_ne_u16_e32 vcc, 0, v2
	s_andn2_b64 s[60:61], s[60:61], exec
	s_and_b64 s[64:65], vcc, exec
	s_or_b64 s[60:61], s[60:61], s[64:65]
	s_or_b64 exec, exec, s[0:1]
	v_mov_b32_e32 v1, 0
	s_and_saveexec_b64 s[0:1], s[60:61]
	s_cbranch_execnz .LBB71_832
	s_branch .LBB71_833
.LBB71_848:
	s_mov_b64 s[0:1], -1
                                        ; implicit-def: $vgpr1
	s_branch .LBB71_853
.LBB71_849:
	s_mov_b64 s[0:1], -1
                                        ; implicit-def: $vgpr1
.LBB71_850:
	s_and_b64 vcc, exec, s[0:1]
	s_cbranch_vccz .LBB71_852
; %bb.851:
	global_load_ubyte v1, v[4:5], off
	s_mov_b32 s0, 0x7f800000
	s_waitcnt vmcnt(0)
	v_lshlrev_b32_e32 v1, 24, v1
	v_and_b32_e32 v2, 0x7f000000, v1
	v_ffbh_u32_e32 v6, v2
	v_min_u32_e32 v6, 32, v6
	v_sub_u32_e64 v6, v6, 4 clamp
	v_lshlrev_b32_e32 v8, v6, v2
	v_lshlrev_b32_e32 v6, 23, v6
	v_lshrrev_b32_e32 v8, 4, v8
	v_add_u32_e32 v7, 0x1000000, v2
	v_sub_u32_e32 v6, v8, v6
	v_ashrrev_i32_e32 v7, 8, v7
	v_add_u32_e32 v6, 0x3c000000, v6
	v_and_or_b32 v6, v7, s0, v6
	v_cmp_ne_u32_e32 vcc, 0, v2
	v_cndmask_b32_e32 v2, 0, v6, vcc
	s_brev_b32 s0, 1
	v_and_or_b32 v1, v1, s0, v2
	v_cvt_i32_f32_e32 v1, v1
.LBB71_852:
	s_mov_b64 s[0:1], 0
.LBB71_853:
	s_andn2_b64 vcc, exec, s[0:1]
	s_cbranch_vccnz .LBB71_855
; %bb.854:
	global_load_ubyte v1, v[4:5], off
	s_movk_i32 s0, 0x7f00
	s_brev_b32 s1, 16
	s_waitcnt vmcnt(0)
	v_lshlrev_b16_e32 v2, 8, v1
	v_lshlrev_b32_e32 v1, 25, v1
	v_lshrrev_b32_e32 v6, 4, v1
	v_and_or_b32 v7, v2, s0, 0.5
	v_or_b32_e32 v6, 0x70000000, v6
	v_add_f32_e32 v7, -0.5, v7
	v_mul_f32_e32 v6, 0x7800000, v6
	v_cmp_gt_u32_e32 vcc, s1, v1
	v_bfe_i32 v2, v2, 0, 16
	v_cndmask_b32_e32 v1, v6, v7, vcc
	s_brev_b32 s0, 1
	v_and_or_b32 v1, v2, s0, v1
	v_cvt_i32_f32_e32 v1, v1
.LBB71_855:
	s_mov_b64 s[60:61], 0
	s_mov_b64 s[0:1], -1
.LBB71_856:
	s_andn2_b64 vcc, exec, s[60:61]
	s_cbranch_vccnz .LBB71_869
; %bb.857:
	s_cmp_gt_i32 s62, 14
	s_cbranch_scc0 .LBB71_860
; %bb.858:
	s_cmp_eq_u32 s62, 15
	s_cbranch_scc0 .LBB71_863
; %bb.859:
	global_load_ushort v1, v[4:5], off
	s_mov_b64 s[0:1], -1
	s_mov_b64 s[58:59], 0
	s_waitcnt vmcnt(0)
	v_lshlrev_b32_e32 v1, 16, v1
	v_cvt_i32_f32_e32 v1, v1
	s_branch .LBB71_864
.LBB71_860:
	s_mov_b64 s[60:61], -1
                                        ; implicit-def: $vgpr1
	s_branch .LBB71_865
.LBB71_861:
	s_andn2_saveexec_b64 s[0:1], s[0:1]
	s_cbranch_execz .LBB71_842
.LBB71_862:
	v_cmp_ne_u16_e32 vcc, 0, v2
	s_andn2_b64 s[60:61], s[60:61], exec
	s_and_b64 s[64:65], vcc, exec
	s_or_b64 s[60:61], s[60:61], s[64:65]
	s_or_b64 exec, exec, s[0:1]
	v_mov_b32_e32 v1, 0
	s_and_saveexec_b64 s[0:1], s[60:61]
	s_cbranch_execnz .LBB71_843
	s_branch .LBB71_844
.LBB71_863:
	s_mov_b64 s[58:59], -1
                                        ; implicit-def: $vgpr1
.LBB71_864:
	s_mov_b64 s[60:61], 0
.LBB71_865:
	s_and_b64 vcc, exec, s[60:61]
	s_cbranch_vccz .LBB71_869
; %bb.866:
	s_cmp_eq_u32 s62, 11
	s_cbranch_scc0 .LBB71_868
; %bb.867:
	global_load_ubyte v1, v[4:5], off
	s_mov_b64 s[0:1], -1
	s_mov_b64 s[58:59], 0
	s_waitcnt vmcnt(0)
	v_cmp_ne_u16_e32 vcc, 0, v1
	v_cndmask_b32_e64 v1, 0, 1, vcc
	s_branch .LBB71_869
.LBB71_868:
	s_mov_b64 s[58:59], -1
                                        ; implicit-def: $vgpr1
.LBB71_869:
	s_mov_b64 s[60:61], 0
.LBB71_870:
	s_and_b64 vcc, exec, s[60:61]
	s_cbranch_vccz .LBB71_919
; %bb.871:
	s_and_b32 s14, 0xffff, s14
	s_cmp_lt_i32 s14, 5
	s_cbranch_scc1 .LBB71_876
; %bb.872:
	s_cmp_lt_i32 s14, 8
	s_cbranch_scc1 .LBB71_877
; %bb.873:
	;; [unrolled: 3-line block ×3, first 2 shown]
	s_cmp_gt_i32 s14, 9
	s_cbranch_scc0 .LBB71_879
; %bb.875:
	global_load_dwordx2 v[1:2], v[4:5], off
	s_mov_b64 s[0:1], 0
	s_waitcnt vmcnt(0)
	v_cvt_i32_f64_e32 v1, v[1:2]
	s_branch .LBB71_880
.LBB71_876:
	s_mov_b64 s[0:1], -1
                                        ; implicit-def: $vgpr1
	s_branch .LBB71_898
.LBB71_877:
	s_mov_b64 s[0:1], -1
                                        ; implicit-def: $vgpr1
	s_branch .LBB71_886
.LBB71_878:
	s_mov_b64 s[0:1], -1
                                        ; implicit-def: $vgpr1
	s_branch .LBB71_883
.LBB71_879:
	s_mov_b64 s[0:1], -1
                                        ; implicit-def: $vgpr1
.LBB71_880:
	s_andn2_b64 vcc, exec, s[0:1]
	s_cbranch_vccnz .LBB71_882
; %bb.881:
	global_load_dword v1, v[4:5], off
	s_waitcnt vmcnt(0)
	v_cvt_i32_f32_e32 v1, v1
.LBB71_882:
	s_mov_b64 s[0:1], 0
.LBB71_883:
	s_andn2_b64 vcc, exec, s[0:1]
	s_cbranch_vccnz .LBB71_885
; %bb.884:
	global_load_dword v1, v[4:5], off
	s_waitcnt vmcnt(0)
	v_cvt_i16_f16_e32 v1, v1
.LBB71_885:
	s_mov_b64 s[0:1], 0
.LBB71_886:
	s_andn2_b64 vcc, exec, s[0:1]
	s_cbranch_vccnz .LBB71_897
; %bb.887:
	s_cmp_lt_i32 s14, 6
	s_cbranch_scc1 .LBB71_890
; %bb.888:
	s_cmp_gt_i32 s14, 6
	s_cbranch_scc0 .LBB71_891
; %bb.889:
	global_load_dwordx2 v[1:2], v[4:5], off
	s_mov_b64 s[0:1], 0
	s_waitcnt vmcnt(0)
	v_cvt_i32_f64_e32 v1, v[1:2]
	s_branch .LBB71_892
.LBB71_890:
	s_mov_b64 s[0:1], -1
                                        ; implicit-def: $vgpr1
	s_branch .LBB71_895
.LBB71_891:
	s_mov_b64 s[0:1], -1
                                        ; implicit-def: $vgpr1
.LBB71_892:
	s_andn2_b64 vcc, exec, s[0:1]
	s_cbranch_vccnz .LBB71_894
; %bb.893:
	global_load_dword v1, v[4:5], off
	s_waitcnt vmcnt(0)
	v_cvt_i32_f32_e32 v1, v1
.LBB71_894:
	s_mov_b64 s[0:1], 0
.LBB71_895:
	s_andn2_b64 vcc, exec, s[0:1]
	s_cbranch_vccnz .LBB71_897
; %bb.896:
	global_load_ushort v1, v[4:5], off
	s_waitcnt vmcnt(0)
	v_cvt_i16_f16_e32 v1, v1
.LBB71_897:
	s_mov_b64 s[0:1], 0
.LBB71_898:
	s_andn2_b64 vcc, exec, s[0:1]
	s_cbranch_vccnz .LBB71_918
; %bb.899:
	s_cmp_lt_i32 s14, 2
	s_cbranch_scc1 .LBB71_903
; %bb.900:
	s_cmp_lt_i32 s14, 3
	s_cbranch_scc1 .LBB71_904
; %bb.901:
	s_cmp_gt_i32 s14, 3
	s_cbranch_scc0 .LBB71_905
; %bb.902:
	global_load_dwordx2 v[1:2], v[4:5], off
	s_mov_b64 s[0:1], 0
	s_branch .LBB71_906
.LBB71_903:
	s_mov_b64 s[0:1], -1
                                        ; implicit-def: $vgpr1
	s_branch .LBB71_912
.LBB71_904:
	s_mov_b64 s[0:1], -1
                                        ; implicit-def: $vgpr1
	s_branch .LBB71_909
.LBB71_905:
	s_mov_b64 s[0:1], -1
                                        ; implicit-def: $vgpr1
.LBB71_906:
	s_andn2_b64 vcc, exec, s[0:1]
	s_cbranch_vccnz .LBB71_908
; %bb.907:
	global_load_dword v1, v[4:5], off
.LBB71_908:
	s_mov_b64 s[0:1], 0
.LBB71_909:
	s_andn2_b64 vcc, exec, s[0:1]
	s_cbranch_vccnz .LBB71_911
; %bb.910:
	global_load_ushort v1, v[4:5], off
.LBB71_911:
	s_mov_b64 s[0:1], 0
.LBB71_912:
	s_andn2_b64 vcc, exec, s[0:1]
	s_cbranch_vccnz .LBB71_918
; %bb.913:
	s_cmp_gt_i32 s14, 0
	s_cbranch_scc0 .LBB71_915
; %bb.914:
	global_load_sbyte v1, v[4:5], off
	s_mov_b64 s[0:1], 0
	s_branch .LBB71_916
.LBB71_915:
	s_mov_b64 s[0:1], -1
                                        ; implicit-def: $vgpr1
.LBB71_916:
	s_andn2_b64 vcc, exec, s[0:1]
	s_cbranch_vccnz .LBB71_918
; %bb.917:
	global_load_ubyte v1, v[4:5], off
.LBB71_918:
	s_mov_b64 s[0:1], -1
.LBB71_919:
	s_andn2_b64 vcc, exec, s[0:1]
	s_cbranch_vccnz .LBB71_927
; %bb.920:
	v_mov_b32_e32 v4, s13
	s_and_b32 s14, s73, 0xff
	s_waitcnt vmcnt(0)
	v_add_co_u32_e32 v2, vcc, s12, v3
	s_cmp_lt_i32 s14, 11
	v_addc_co_u32_e32 v3, vcc, 0, v4, vcc
	s_cbranch_scc1 .LBB71_929
; %bb.921:
	s_and_b32 s64, 0xffff, s14
	s_cmp_gt_i32 s64, 25
	s_cbranch_scc0 .LBB71_930
; %bb.922:
	s_cmp_gt_i32 s64, 28
	s_cbranch_scc0 .LBB71_931
; %bb.923:
	;; [unrolled: 3-line block ×4, first 2 shown]
	s_cmp_eq_u32 s64, 46
	s_mov_b64 s[62:63], 0
	s_cbranch_scc0 .LBB71_936
; %bb.926:
	global_load_dword v4, v[2:3], off
	s_mov_b64 s[0:1], -1
	s_mov_b64 s[60:61], 0
	s_waitcnt vmcnt(0)
	v_lshlrev_b32_e32 v4, 16, v4
	v_cvt_i32_f32_e32 v4, v4
	s_branch .LBB71_937
.LBB71_927:
	s_mov_b64 s[64:65], 0
	s_mov_b64 s[0:1], s[52:53]
	;; [unrolled: 1-line block ×3, first 2 shown]
.LBB71_928:
                                        ; implicit-def: $vgpr10
	s_branch .LBB71_1171
.LBB71_929:
	s_mov_b64 s[62:63], -1
	s_mov_b64 s[0:1], 0
                                        ; implicit-def: $vgpr4
	s_mov_b64 s[60:61], s[50:51]
	s_branch .LBB71_998
.LBB71_930:
	s_mov_b64 s[62:63], -1
	s_mov_b64 s[0:1], 0
	s_mov_b64 s[60:61], s[50:51]
                                        ; implicit-def: $vgpr4
	s_branch .LBB71_964
.LBB71_931:
	s_mov_b64 s[62:63], -1
	s_mov_b64 s[0:1], 0
	s_mov_b64 s[60:61], s[50:51]
                                        ; implicit-def: $vgpr4
	s_branch .LBB71_947
.LBB71_932:
	s_mov_b64 s[62:63], -1
	s_mov_b64 s[0:1], 0
	s_mov_b64 s[60:61], s[50:51]
                                        ; implicit-def: $vgpr4
	s_branch .LBB71_942
.LBB71_933:
	s_mov_b64 s[62:63], -1
	s_mov_b64 s[0:1], 0
	s_mov_b64 s[60:61], s[50:51]
                                        ; implicit-def: $vgpr4
	s_branch .LBB71_937
.LBB71_934:
	s_andn2_saveexec_b64 s[60:61], s[60:61]
	s_cbranch_execz .LBB71_702
.LBB71_935:
	v_add_f32_e32 v2, 0x42800000, v3
	v_and_b32_e32 v2, 0xff, v2
	v_cmp_ne_u32_e32 vcc, 0, v2
	s_andn2_b64 s[58:59], s[58:59], exec
	s_and_b64 s[64:65], vcc, exec
	s_or_b64 s[58:59], s[58:59], s[64:65]
	s_or_b64 exec, exec, s[60:61]
	v_mov_b32_e32 v4, 0
	s_and_saveexec_b64 s[60:61], s[58:59]
	s_cbranch_execnz .LBB71_703
	s_branch .LBB71_704
.LBB71_936:
	s_mov_b64 s[60:61], -1
                                        ; implicit-def: $vgpr4
	s_mov_b64 s[0:1], 0
.LBB71_937:
	s_and_b64 vcc, exec, s[62:63]
	s_cbranch_vccz .LBB71_941
; %bb.938:
	s_cmp_eq_u32 s64, 44
	s_cbranch_scc0 .LBB71_940
; %bb.939:
	global_load_ubyte v4, v[2:3], off
	s_mov_b64 s[0:1], -1
	s_mov_b64 s[60:61], 0
	s_waitcnt vmcnt(0)
	v_lshlrev_b32_e32 v5, 23, v4
	v_cvt_i32_f32_e32 v5, v5
	v_cmp_ne_u32_e32 vcc, 0, v4
	v_cndmask_b32_e32 v4, 0, v5, vcc
	s_branch .LBB71_941
.LBB71_940:
	s_mov_b64 s[60:61], -1
                                        ; implicit-def: $vgpr4
.LBB71_941:
	s_mov_b64 s[62:63], 0
.LBB71_942:
	s_and_b64 vcc, exec, s[62:63]
	s_cbranch_vccz .LBB71_946
; %bb.943:
	s_cmp_eq_u32 s64, 29
	s_cbranch_scc0 .LBB71_945
; %bb.944:
	global_load_dwordx2 v[4:5], v[2:3], off
	s_mov_b64 s[0:1], -1
	s_mov_b64 s[60:61], 0
	s_branch .LBB71_946
.LBB71_945:
	s_mov_b64 s[60:61], -1
                                        ; implicit-def: $vgpr4
.LBB71_946:
	s_mov_b64 s[62:63], 0
.LBB71_947:
	s_and_b64 vcc, exec, s[62:63]
	s_cbranch_vccz .LBB71_963
; %bb.948:
	s_cmp_lt_i32 s64, 27
	s_cbranch_scc1 .LBB71_951
; %bb.949:
	s_cmp_gt_i32 s64, 27
	s_cbranch_scc0 .LBB71_952
; %bb.950:
	global_load_dword v4, v[2:3], off
	s_mov_b64 s[0:1], 0
	s_branch .LBB71_953
.LBB71_951:
	s_mov_b64 s[0:1], -1
                                        ; implicit-def: $vgpr4
	s_branch .LBB71_956
.LBB71_952:
	s_mov_b64 s[0:1], -1
                                        ; implicit-def: $vgpr4
.LBB71_953:
	s_andn2_b64 vcc, exec, s[0:1]
	s_cbranch_vccnz .LBB71_955
; %bb.954:
	global_load_ushort v4, v[2:3], off
.LBB71_955:
	s_mov_b64 s[0:1], 0
.LBB71_956:
	s_andn2_b64 vcc, exec, s[0:1]
	s_cbranch_vccnz .LBB71_962
; %bb.957:
	global_load_ubyte v5, v[2:3], off
	s_movk_i32 s0, 0x7f
	s_mov_b64 s[62:63], 0
	s_waitcnt vmcnt(0)
	v_cmp_lt_i16_e32 vcc, s0, v5
	s_and_saveexec_b64 s[0:1], vcc
	s_xor_b64 s[0:1], exec, s[0:1]
	s_cbranch_execz .LBB71_974
; %bb.958:
	s_movk_i32 s62, 0x80
	v_cmp_ne_u16_e32 vcc, s62, v5
	s_and_b64 s[62:63], vcc, exec
	s_andn2_saveexec_b64 s[0:1], s[0:1]
	s_cbranch_execnz .LBB71_975
.LBB71_959:
	s_or_b64 exec, exec, s[0:1]
	v_mov_b32_e32 v4, 0
	s_and_saveexec_b64 s[0:1], s[62:63]
	s_cbranch_execz .LBB71_961
.LBB71_960:
	v_lshlrev_b32_e32 v4, 24, v5
	v_and_b32_e32 v5, 0xffff, v5
	v_and_b32_e32 v6, 7, v5
	v_ffbh_u32_e32 v8, v6
	v_min_u32_e32 v8, 32, v8
	v_subrev_u32_e32 v9, 28, v8
	v_bfe_u32 v7, v5, 3, 4
	v_lshlrev_b32_e32 v5, v9, v5
	v_sub_u32_e32 v8, 29, v8
	v_and_b32_e32 v5, 7, v5
	v_cmp_eq_u32_e32 vcc, 0, v7
	v_cndmask_b32_e32 v7, v7, v8, vcc
	v_cndmask_b32_e32 v5, v6, v5, vcc
	v_mov_b32_e32 v6, 0x3b800000
	v_lshlrev_b32_e32 v5, 20, v5
	v_and_b32_e32 v4, 0x80000000, v4
	v_lshl_add_u32 v6, v7, 23, v6
	v_or3_b32 v4, v4, v6, v5
	v_cvt_i32_f32_e32 v4, v4
.LBB71_961:
	s_or_b64 exec, exec, s[0:1]
.LBB71_962:
	s_mov_b64 s[0:1], -1
.LBB71_963:
	s_mov_b64 s[62:63], 0
.LBB71_964:
	s_and_b64 vcc, exec, s[62:63]
	s_cbranch_vccz .LBB71_997
; %bb.965:
	s_cmp_gt_i32 s64, 22
	s_cbranch_scc0 .LBB71_973
; %bb.966:
	s_cmp_lt_i32 s64, 24
	s_cbranch_scc1 .LBB71_976
; %bb.967:
	s_cmp_gt_i32 s64, 24
	s_cbranch_scc0 .LBB71_977
; %bb.968:
	global_load_ubyte v5, v[2:3], off
	s_movk_i32 s0, 0x7f
	s_mov_b64 s[62:63], 0
	s_waitcnt vmcnt(0)
	v_cmp_lt_i16_e32 vcc, s0, v5
	s_and_saveexec_b64 s[0:1], vcc
	s_xor_b64 s[0:1], exec, s[0:1]
	s_cbranch_execz .LBB71_989
; %bb.969:
	s_movk_i32 s62, 0x80
	v_cmp_ne_u16_e32 vcc, s62, v5
	s_and_b64 s[62:63], vcc, exec
	s_andn2_saveexec_b64 s[0:1], s[0:1]
	s_cbranch_execnz .LBB71_990
.LBB71_970:
	s_or_b64 exec, exec, s[0:1]
	v_mov_b32_e32 v4, 0
	s_and_saveexec_b64 s[0:1], s[62:63]
	s_cbranch_execz .LBB71_972
.LBB71_971:
	v_lshlrev_b32_e32 v4, 24, v5
	v_and_b32_e32 v5, 0xffff, v5
	v_and_b32_e32 v6, 3, v5
	v_ffbh_u32_e32 v8, v6
	v_min_u32_e32 v8, 32, v8
	v_subrev_u32_e32 v9, 29, v8
	v_bfe_u32 v7, v5, 2, 5
	v_lshlrev_b32_e32 v5, v9, v5
	v_sub_u32_e32 v8, 30, v8
	v_and_b32_e32 v5, 3, v5
	v_cmp_eq_u32_e32 vcc, 0, v7
	v_cndmask_b32_e32 v7, v7, v8, vcc
	v_cndmask_b32_e32 v5, v6, v5, vcc
	v_mov_b32_e32 v6, 0x37800000
	v_lshlrev_b32_e32 v5, 21, v5
	v_and_b32_e32 v4, 0x80000000, v4
	v_lshl_add_u32 v6, v7, 23, v6
	v_or3_b32 v4, v4, v6, v5
	v_cvt_i32_f32_e32 v4, v4
.LBB71_972:
	s_or_b64 exec, exec, s[0:1]
	s_mov_b64 s[0:1], 0
	s_branch .LBB71_978
.LBB71_973:
	s_mov_b64 s[62:63], -1
                                        ; implicit-def: $vgpr4
	s_branch .LBB71_984
.LBB71_974:
	s_andn2_saveexec_b64 s[0:1], s[0:1]
	s_cbranch_execz .LBB71_959
.LBB71_975:
	v_cmp_ne_u16_e32 vcc, 0, v5
	s_andn2_b64 s[62:63], s[62:63], exec
	s_and_b64 s[66:67], vcc, exec
	s_or_b64 s[62:63], s[62:63], s[66:67]
	s_or_b64 exec, exec, s[0:1]
	v_mov_b32_e32 v4, 0
	s_and_saveexec_b64 s[0:1], s[62:63]
	s_cbranch_execnz .LBB71_960
	s_branch .LBB71_961
.LBB71_976:
	s_mov_b64 s[0:1], -1
                                        ; implicit-def: $vgpr4
	s_branch .LBB71_981
.LBB71_977:
	s_mov_b64 s[0:1], -1
                                        ; implicit-def: $vgpr4
.LBB71_978:
	s_and_b64 vcc, exec, s[0:1]
	s_cbranch_vccz .LBB71_980
; %bb.979:
	global_load_ubyte v4, v[2:3], off
	s_mov_b32 s0, 0x7f800000
	s_waitcnt vmcnt(0)
	v_lshlrev_b32_e32 v4, 24, v4
	v_and_b32_e32 v5, 0x7f000000, v4
	v_ffbh_u32_e32 v6, v5
	v_min_u32_e32 v6, 32, v6
	v_sub_u32_e64 v6, v6, 4 clamp
	v_lshlrev_b32_e32 v8, v6, v5
	v_lshlrev_b32_e32 v6, 23, v6
	v_lshrrev_b32_e32 v8, 4, v8
	v_add_u32_e32 v7, 0x1000000, v5
	v_sub_u32_e32 v6, v8, v6
	v_ashrrev_i32_e32 v7, 8, v7
	v_add_u32_e32 v6, 0x3c000000, v6
	v_and_or_b32 v6, v7, s0, v6
	v_cmp_ne_u32_e32 vcc, 0, v5
	v_cndmask_b32_e32 v5, 0, v6, vcc
	s_brev_b32 s0, 1
	v_and_or_b32 v4, v4, s0, v5
	v_cvt_i32_f32_e32 v4, v4
.LBB71_980:
	s_mov_b64 s[0:1], 0
.LBB71_981:
	s_andn2_b64 vcc, exec, s[0:1]
	s_cbranch_vccnz .LBB71_983
; %bb.982:
	global_load_ubyte v4, v[2:3], off
	s_movk_i32 s0, 0x7f00
	s_brev_b32 s1, 16
	s_waitcnt vmcnt(0)
	v_lshlrev_b16_e32 v5, 8, v4
	v_lshlrev_b32_e32 v4, 25, v4
	v_lshrrev_b32_e32 v6, 4, v4
	v_and_or_b32 v7, v5, s0, 0.5
	v_or_b32_e32 v6, 0x70000000, v6
	v_add_f32_e32 v7, -0.5, v7
	v_mul_f32_e32 v6, 0x7800000, v6
	v_cmp_gt_u32_e32 vcc, s1, v4
	v_bfe_i32 v5, v5, 0, 16
	v_cndmask_b32_e32 v4, v6, v7, vcc
	s_brev_b32 s0, 1
	v_and_or_b32 v4, v5, s0, v4
	v_cvt_i32_f32_e32 v4, v4
.LBB71_983:
	s_mov_b64 s[62:63], 0
	s_mov_b64 s[0:1], -1
.LBB71_984:
	s_andn2_b64 vcc, exec, s[62:63]
	s_cbranch_vccnz .LBB71_997
; %bb.985:
	s_cmp_gt_i32 s64, 14
	s_cbranch_scc0 .LBB71_988
; %bb.986:
	s_cmp_eq_u32 s64, 15
	s_cbranch_scc0 .LBB71_991
; %bb.987:
	global_load_ushort v4, v[2:3], off
	s_mov_b64 s[0:1], -1
	s_mov_b64 s[60:61], 0
	s_waitcnt vmcnt(0)
	v_lshlrev_b32_e32 v4, 16, v4
	v_cvt_i32_f32_e32 v4, v4
	s_branch .LBB71_992
.LBB71_988:
	s_mov_b64 s[62:63], -1
                                        ; implicit-def: $vgpr4
	s_branch .LBB71_993
.LBB71_989:
	s_andn2_saveexec_b64 s[0:1], s[0:1]
	s_cbranch_execz .LBB71_970
.LBB71_990:
	v_cmp_ne_u16_e32 vcc, 0, v5
	s_andn2_b64 s[62:63], s[62:63], exec
	s_and_b64 s[66:67], vcc, exec
	s_or_b64 s[62:63], s[62:63], s[66:67]
	s_or_b64 exec, exec, s[0:1]
	v_mov_b32_e32 v4, 0
	s_and_saveexec_b64 s[0:1], s[62:63]
	s_cbranch_execnz .LBB71_971
	s_branch .LBB71_972
.LBB71_991:
	s_mov_b64 s[60:61], -1
                                        ; implicit-def: $vgpr4
.LBB71_992:
	s_mov_b64 s[62:63], 0
.LBB71_993:
	s_and_b64 vcc, exec, s[62:63]
	s_cbranch_vccz .LBB71_997
; %bb.994:
	s_cmp_eq_u32 s64, 11
	s_cbranch_scc0 .LBB71_996
; %bb.995:
	global_load_ubyte v4, v[2:3], off
	s_mov_b64 s[0:1], -1
	s_mov_b64 s[60:61], 0
	s_waitcnt vmcnt(0)
	v_cmp_ne_u16_e32 vcc, 0, v4
	v_cndmask_b32_e64 v4, 0, 1, vcc
	s_branch .LBB71_997
.LBB71_996:
	s_mov_b64 s[60:61], -1
                                        ; implicit-def: $vgpr4
.LBB71_997:
	s_mov_b64 s[62:63], 0
.LBB71_998:
	s_and_b64 vcc, exec, s[62:63]
	s_cbranch_vccz .LBB71_1047
; %bb.999:
	s_and_b32 s14, 0xffff, s14
	s_cmp_lt_i32 s14, 5
	s_cbranch_scc1 .LBB71_1004
; %bb.1000:
	s_cmp_lt_i32 s14, 8
	s_cbranch_scc1 .LBB71_1005
; %bb.1001:
	;; [unrolled: 3-line block ×3, first 2 shown]
	s_cmp_gt_i32 s14, 9
	s_cbranch_scc0 .LBB71_1007
; %bb.1003:
	global_load_dwordx2 v[4:5], v[2:3], off
	s_mov_b64 s[0:1], 0
	s_waitcnt vmcnt(0)
	v_cvt_i32_f64_e32 v4, v[4:5]
	s_branch .LBB71_1008
.LBB71_1004:
	s_mov_b64 s[0:1], -1
                                        ; implicit-def: $vgpr4
	s_branch .LBB71_1026
.LBB71_1005:
	s_mov_b64 s[0:1], -1
                                        ; implicit-def: $vgpr4
	s_branch .LBB71_1014
.LBB71_1006:
	s_mov_b64 s[0:1], -1
                                        ; implicit-def: $vgpr4
	s_branch .LBB71_1011
.LBB71_1007:
	s_mov_b64 s[0:1], -1
                                        ; implicit-def: $vgpr4
.LBB71_1008:
	s_andn2_b64 vcc, exec, s[0:1]
	s_cbranch_vccnz .LBB71_1010
; %bb.1009:
	global_load_dword v4, v[2:3], off
	s_waitcnt vmcnt(0)
	v_cvt_i32_f32_e32 v4, v4
.LBB71_1010:
	s_mov_b64 s[0:1], 0
.LBB71_1011:
	s_andn2_b64 vcc, exec, s[0:1]
	s_cbranch_vccnz .LBB71_1013
; %bb.1012:
	global_load_dword v4, v[2:3], off
	s_waitcnt vmcnt(0)
	v_cvt_i16_f16_e32 v4, v4
.LBB71_1013:
	s_mov_b64 s[0:1], 0
.LBB71_1014:
	s_andn2_b64 vcc, exec, s[0:1]
	s_cbranch_vccnz .LBB71_1025
; %bb.1015:
	s_cmp_lt_i32 s14, 6
	s_cbranch_scc1 .LBB71_1018
; %bb.1016:
	s_cmp_gt_i32 s14, 6
	s_cbranch_scc0 .LBB71_1019
; %bb.1017:
	global_load_dwordx2 v[4:5], v[2:3], off
	s_mov_b64 s[0:1], 0
	s_waitcnt vmcnt(0)
	v_cvt_i32_f64_e32 v4, v[4:5]
	s_branch .LBB71_1020
.LBB71_1018:
	s_mov_b64 s[0:1], -1
                                        ; implicit-def: $vgpr4
	s_branch .LBB71_1023
.LBB71_1019:
	s_mov_b64 s[0:1], -1
                                        ; implicit-def: $vgpr4
.LBB71_1020:
	s_andn2_b64 vcc, exec, s[0:1]
	s_cbranch_vccnz .LBB71_1022
; %bb.1021:
	global_load_dword v4, v[2:3], off
	s_waitcnt vmcnt(0)
	v_cvt_i32_f32_e32 v4, v4
.LBB71_1022:
	s_mov_b64 s[0:1], 0
.LBB71_1023:
	s_andn2_b64 vcc, exec, s[0:1]
	s_cbranch_vccnz .LBB71_1025
; %bb.1024:
	global_load_ushort v4, v[2:3], off
	s_waitcnt vmcnt(0)
	v_cvt_i16_f16_e32 v4, v4
.LBB71_1025:
	s_mov_b64 s[0:1], 0
.LBB71_1026:
	s_andn2_b64 vcc, exec, s[0:1]
	s_cbranch_vccnz .LBB71_1046
; %bb.1027:
	s_cmp_lt_i32 s14, 2
	s_cbranch_scc1 .LBB71_1031
; %bb.1028:
	s_cmp_lt_i32 s14, 3
	s_cbranch_scc1 .LBB71_1032
; %bb.1029:
	s_cmp_gt_i32 s14, 3
	s_cbranch_scc0 .LBB71_1033
; %bb.1030:
	global_load_dwordx2 v[4:5], v[2:3], off
	s_mov_b64 s[0:1], 0
	s_branch .LBB71_1034
.LBB71_1031:
	s_mov_b64 s[0:1], -1
                                        ; implicit-def: $vgpr4
	s_branch .LBB71_1040
.LBB71_1032:
	s_mov_b64 s[0:1], -1
                                        ; implicit-def: $vgpr4
	s_branch .LBB71_1037
.LBB71_1033:
	s_mov_b64 s[0:1], -1
                                        ; implicit-def: $vgpr4
.LBB71_1034:
	s_andn2_b64 vcc, exec, s[0:1]
	s_cbranch_vccnz .LBB71_1036
; %bb.1035:
	global_load_dword v4, v[2:3], off
.LBB71_1036:
	s_mov_b64 s[0:1], 0
.LBB71_1037:
	s_andn2_b64 vcc, exec, s[0:1]
	s_cbranch_vccnz .LBB71_1039
; %bb.1038:
	global_load_ushort v4, v[2:3], off
.LBB71_1039:
	s_mov_b64 s[0:1], 0
.LBB71_1040:
	s_andn2_b64 vcc, exec, s[0:1]
	s_cbranch_vccnz .LBB71_1046
; %bb.1041:
	s_cmp_gt_i32 s14, 0
	s_cbranch_scc0 .LBB71_1043
; %bb.1042:
	global_load_sbyte v4, v[2:3], off
	s_mov_b64 s[0:1], 0
	s_branch .LBB71_1044
.LBB71_1043:
	s_mov_b64 s[0:1], -1
                                        ; implicit-def: $vgpr4
.LBB71_1044:
	s_andn2_b64 vcc, exec, s[0:1]
	s_cbranch_vccnz .LBB71_1046
; %bb.1045:
	global_load_ubyte v4, v[2:3], off
.LBB71_1046:
	s_mov_b64 s[0:1], -1
.LBB71_1047:
	s_andn2_b64 vcc, exec, s[0:1]
	s_cbranch_vccnz .LBB71_1055
; %bb.1048:
	s_waitcnt vmcnt(0)
	v_cmp_ne_u16_e32 vcc, v1, v4
	s_xor_b64 s[62:63], s[28:29], vcc
	v_mov_b32_e32 v1, s9
	s_and_b32 s14, s15, 0xff
	v_add_co_u32_e32 v0, vcc, s8, v0
	s_cmp_lt_i32 s14, 11
	v_addc_co_u32_e32 v1, vcc, 0, v1, vcc
	s_cbranch_scc1 .LBB71_1056
; %bb.1049:
	s_and_b32 s71, 0xffff, s14
	s_cmp_gt_i32 s71, 25
	s_cbranch_scc0 .LBB71_1057
; %bb.1050:
	s_cmp_gt_i32 s71, 28
	s_cbranch_scc0 .LBB71_1058
; %bb.1051:
	;; [unrolled: 3-line block ×4, first 2 shown]
	s_mov_b64 s[66:67], 0
	s_mov_b64 s[0:1], -1
	s_cmp_eq_u32 s71, 46
	s_mov_b64 s[64:65], 0
	s_cbranch_scc0 .LBB71_1061
; %bb.1054:
	v_cndmask_b32_e64 v2, 0, 1.0, s[62:63]
	v_bfe_u32 v3, v2, 16, 1
	s_movk_i32 s0, 0x7fff
	v_add3_u32 v2, v2, v3, s0
	v_lshrrev_b32_e32 v2, 16, v2
	global_store_dword v[0:1], v2, off
	s_mov_b64 s[64:65], -1
	s_mov_b64 s[0:1], 0
	s_branch .LBB71_1061
.LBB71_1055:
	s_mov_b64 s[64:65], 0
                                        ; implicit-def: $vgpr10
	s_mov_b64 s[0:1], s[52:53]
	s_branch .LBB71_1171
.LBB71_1056:
	s_mov_b64 s[66:67], -1
	s_mov_b64 s[64:65], 0
	s_mov_b64 s[0:1], s[52:53]
	s_branch .LBB71_1130
.LBB71_1057:
	s_mov_b64 s[66:67], -1
	s_mov_b64 s[64:65], 0
	s_mov_b64 s[0:1], s[52:53]
	s_branch .LBB71_1088
.LBB71_1058:
	s_mov_b64 s[66:67], -1
	s_mov_b64 s[64:65], 0
	s_mov_b64 s[0:1], s[52:53]
	s_branch .LBB71_1071
.LBB71_1059:
	s_mov_b64 s[66:67], -1
	s_mov_b64 s[64:65], 0
	s_mov_b64 s[0:1], s[52:53]
	s_branch .LBB71_1067
.LBB71_1060:
	s_mov_b64 s[66:67], -1
	s_mov_b64 s[64:65], 0
	s_mov_b64 s[0:1], s[52:53]
.LBB71_1061:
	s_and_b64 vcc, exec, s[66:67]
	s_cbranch_vccz .LBB71_1066
; %bb.1062:
	s_cmp_eq_u32 s71, 44
	s_mov_b64 s[0:1], -1
	s_cbranch_scc0 .LBB71_1066
; %bb.1063:
	v_cndmask_b32_e64 v3, 0, 1.0, s[62:63]
	v_lshrrev_b32_e32 v2, 23, v3
	s_movk_i32 s0, 0xff
	v_cmp_ne_u32_e32 vcc, s0, v2
	v_mov_b32_e32 v4, 0xff
	s_and_saveexec_b64 s[64:65], vcc
; %bb.1064:
	s_mov_b32 s0, 0x3fffff
	v_and_b32_e32 v4, 0x400000, v3
	v_and_or_b32 v3, v3, s0, v2
	v_cmp_ne_u32_e32 vcc, 0, v4
	v_cmp_ne_u32_e64 s[0:1], 0, v3
	s_and_b64 s[0:1], vcc, s[0:1]
	v_cndmask_b32_e64 v3, 0, 1, s[0:1]
	v_add_u32_e32 v4, v2, v3
; %bb.1065:
	s_or_b64 exec, exec, s[64:65]
	s_mov_b64 s[64:65], -1
	s_mov_b64 s[0:1], 0
	global_store_byte v[0:1], v4, off
.LBB71_1066:
	s_mov_b64 s[66:67], 0
.LBB71_1067:
	s_and_b64 vcc, exec, s[66:67]
	s_cbranch_vccz .LBB71_1070
; %bb.1068:
	s_cmp_eq_u32 s71, 29
	s_mov_b64 s[0:1], -1
	s_cbranch_scc0 .LBB71_1070
; %bb.1069:
	s_mov_b32 s0, 0
	v_cndmask_b32_e64 v2, 0, 1, s[62:63]
	v_mov_b32_e32 v3, s0
	global_store_dwordx2 v[0:1], v[2:3], off
	s_mov_b64 s[64:65], -1
	s_mov_b64 s[0:1], 0
.LBB71_1070:
	s_mov_b64 s[66:67], 0
.LBB71_1071:
	s_and_b64 vcc, exec, s[66:67]
	s_cbranch_vccz .LBB71_1087
; %bb.1072:
	s_cmp_lt_i32 s71, 27
	s_mov_b64 s[64:65], -1
	s_cbranch_scc1 .LBB71_1078
; %bb.1073:
	s_cmp_gt_i32 s71, 27
	s_cbranch_scc0 .LBB71_1075
; %bb.1074:
	v_cndmask_b32_e64 v2, 0, 1, s[62:63]
	s_mov_b64 s[64:65], 0
	global_store_dword v[0:1], v2, off
.LBB71_1075:
	s_andn2_b64 vcc, exec, s[64:65]
	s_cbranch_vccnz .LBB71_1077
; %bb.1076:
	v_cndmask_b32_e64 v2, 0, 1, s[62:63]
	global_store_short v[0:1], v2, off
.LBB71_1077:
	s_mov_b64 s[64:65], 0
.LBB71_1078:
	s_andn2_b64 vcc, exec, s[64:65]
	s_cbranch_vccnz .LBB71_1086
; %bb.1079:
	v_cndmask_b32_e64 v3, 0, 1.0, s[62:63]
	s_mov_b32 s64, 0x43800000
	v_cmp_gt_u32_e32 vcc, s64, v3
	v_mov_b32_e32 v4, 0x80
	s_and_saveexec_b64 s[64:65], vcc
	s_cbranch_execz .LBB71_1085
; %bb.1080:
	s_mov_b32 s66, 0x3bffffff
	v_cmp_lt_u32_e32 vcc, s66, v3
	s_mov_b64 s[66:67], 0
                                        ; implicit-def: $vgpr2
	s_and_saveexec_b64 s[68:69], vcc
	s_xor_b64 s[68:69], exec, s[68:69]
	s_cbranch_execz .LBB71_1199
; %bb.1081:
	v_bfe_u32 v2, v3, 20, 1
	s_mov_b32 s76, 0x487ffff
	v_add3_u32 v2, v3, v2, s76
	s_mov_b64 s[66:67], exec
	v_lshrrev_b32_e32 v2, 20, v2
                                        ; implicit-def: $vgpr3
	s_andn2_saveexec_b64 s[68:69], s[68:69]
	s_cbranch_execnz .LBB71_1200
.LBB71_1082:
	s_or_b64 exec, exec, s[68:69]
	v_mov_b32_e32 v4, 0
	s_and_saveexec_b64 s[68:69], s[66:67]
.LBB71_1083:
	v_mov_b32_e32 v4, v2
.LBB71_1084:
	s_or_b64 exec, exec, s[68:69]
.LBB71_1085:
	s_or_b64 exec, exec, s[64:65]
	global_store_byte v[0:1], v4, off
.LBB71_1086:
	s_mov_b64 s[64:65], -1
.LBB71_1087:
	s_mov_b64 s[66:67], 0
.LBB71_1088:
	s_and_b64 vcc, exec, s[66:67]
	s_cbranch_vccz .LBB71_1129
; %bb.1089:
	s_cmp_gt_i32 s71, 22
	s_mov_b64 s[66:67], -1
	s_cbranch_scc0 .LBB71_1121
; %bb.1090:
	s_cmp_lt_i32 s71, 24
	s_mov_b64 s[64:65], -1
	s_cbranch_scc1 .LBB71_1110
; %bb.1091:
	s_cmp_gt_i32 s71, 24
	s_cbranch_scc0 .LBB71_1099
; %bb.1092:
	v_cndmask_b32_e64 v3, 0, 1.0, s[62:63]
	s_mov_b32 s64, 0x47800000
	v_cmp_gt_u32_e32 vcc, s64, v3
	v_mov_b32_e32 v4, 0x80
	s_and_saveexec_b64 s[64:65], vcc
	s_cbranch_execz .LBB71_1098
; %bb.1093:
	s_mov_b32 s66, 0x37ffffff
	v_cmp_lt_u32_e32 vcc, s66, v3
	s_mov_b64 s[66:67], 0
                                        ; implicit-def: $vgpr2
	s_and_saveexec_b64 s[68:69], vcc
	s_xor_b64 s[68:69], exec, s[68:69]
	s_cbranch_execz .LBB71_2236
; %bb.1094:
	v_bfe_u32 v2, v3, 21, 1
	s_mov_b32 s76, 0x88fffff
	v_add3_u32 v2, v3, v2, s76
	s_mov_b64 s[66:67], exec
	v_lshrrev_b32_e32 v2, 21, v2
                                        ; implicit-def: $vgpr3
	s_andn2_saveexec_b64 s[68:69], s[68:69]
	s_cbranch_execnz .LBB71_2237
.LBB71_1095:
	s_or_b64 exec, exec, s[68:69]
	v_mov_b32_e32 v4, 0
	s_and_saveexec_b64 s[68:69], s[66:67]
.LBB71_1096:
	v_mov_b32_e32 v4, v2
.LBB71_1097:
	s_or_b64 exec, exec, s[68:69]
.LBB71_1098:
	s_or_b64 exec, exec, s[64:65]
	s_mov_b64 s[64:65], 0
	global_store_byte v[0:1], v4, off
.LBB71_1099:
	s_and_b64 vcc, exec, s[64:65]
	s_cbranch_vccz .LBB71_1109
; %bb.1100:
	v_cndmask_b32_e64 v2, 0, 1.0, s[62:63]
	s_mov_b32 s64, 0x43f00000
	v_cmp_gt_u32_e32 vcc, s64, v2
                                        ; implicit-def: $vgpr3
	s_and_saveexec_b64 s[64:65], vcc
	s_xor_b64 s[64:65], exec, s[64:65]
	s_cbranch_execz .LBB71_1106
; %bb.1101:
	s_mov_b32 s66, 0x3c7fffff
	v_cmp_lt_u32_e32 vcc, s66, v2
                                        ; implicit-def: $vgpr3
	s_and_saveexec_b64 s[66:67], vcc
	s_xor_b64 s[66:67], exec, s[66:67]
; %bb.1102:
	v_bfe_u32 v3, v2, 20, 1
	s_mov_b32 s68, 0x407ffff
	v_add3_u32 v2, v2, v3, s68
	v_lshrrev_b32_e32 v3, 20, v2
	v_and_b32_e32 v2, 0xff00000, v2
	s_mov_b32 s68, 0x7f00000
	v_mov_b32_e32 v4, 0x7e
	v_cmp_ne_u32_e32 vcc, s68, v2
	v_cndmask_b32_e32 v3, v4, v3, vcc
                                        ; implicit-def: $vgpr2
; %bb.1103:
	s_andn2_saveexec_b64 s[66:67], s[66:67]
; %bb.1104:
	v_add_f32_e32 v3, 0x46800000, v2
; %bb.1105:
	s_or_b64 exec, exec, s[66:67]
                                        ; implicit-def: $vgpr2
.LBB71_1106:
	s_andn2_saveexec_b64 s[64:65], s[64:65]
; %bb.1107:
	s_mov_b32 s66, 0x7f800000
	v_mov_b32_e32 v3, 0x7e
	v_mov_b32_e32 v4, 0x7f
	v_cmp_lt_u32_e32 vcc, s66, v2
	v_cndmask_b32_e32 v3, v3, v4, vcc
; %bb.1108:
	s_or_b64 exec, exec, s[64:65]
	global_store_byte v[0:1], v3, off
.LBB71_1109:
	s_mov_b64 s[64:65], 0
.LBB71_1110:
	s_andn2_b64 vcc, exec, s[64:65]
	s_cbranch_vccnz .LBB71_1120
; %bb.1111:
	v_cndmask_b32_e64 v2, 0, 1.0, s[62:63]
	s_mov_b32 s64, 0x47800000
	v_cmp_gt_u32_e32 vcc, s64, v2
                                        ; implicit-def: $vgpr3
	s_and_saveexec_b64 s[64:65], vcc
	s_xor_b64 s[64:65], exec, s[64:65]
	s_cbranch_execz .LBB71_1117
; %bb.1112:
	s_mov_b32 s66, 0x387fffff
	v_cmp_lt_u32_e32 vcc, s66, v2
                                        ; implicit-def: $vgpr3
	s_and_saveexec_b64 s[66:67], vcc
	s_xor_b64 s[66:67], exec, s[66:67]
; %bb.1113:
	v_bfe_u32 v3, v2, 21, 1
	s_mov_b32 s68, 0x80fffff
	v_add3_u32 v2, v2, v3, s68
	v_lshrrev_b32_e32 v3, 21, v2
                                        ; implicit-def: $vgpr2
; %bb.1114:
	s_andn2_saveexec_b64 s[66:67], s[66:67]
; %bb.1115:
	v_add_f32_e32 v3, 0x43000000, v2
; %bb.1116:
	s_or_b64 exec, exec, s[66:67]
                                        ; implicit-def: $vgpr2
.LBB71_1117:
	s_andn2_saveexec_b64 s[64:65], s[64:65]
; %bb.1118:
	s_mov_b32 s66, 0x7f800000
	v_mov_b32_e32 v3, 0x7c
	v_mov_b32_e32 v4, 0x7f
	v_cmp_lt_u32_e32 vcc, s66, v2
	v_cndmask_b32_e32 v3, v3, v4, vcc
; %bb.1119:
	s_or_b64 exec, exec, s[64:65]
	global_store_byte v[0:1], v3, off
.LBB71_1120:
	s_mov_b64 s[66:67], 0
	s_mov_b64 s[64:65], -1
.LBB71_1121:
	s_andn2_b64 vcc, exec, s[66:67]
	s_cbranch_vccnz .LBB71_1129
; %bb.1122:
	s_cmp_gt_i32 s71, 14
	s_mov_b64 s[66:67], -1
	s_cbranch_scc0 .LBB71_1126
; %bb.1123:
	s_cmp_eq_u32 s71, 15
	s_mov_b64 s[0:1], -1
	s_cbranch_scc0 .LBB71_1125
; %bb.1124:
	v_cndmask_b32_e64 v2, 0, 1.0, s[62:63]
	v_bfe_u32 v3, v2, 16, 1
	s_movk_i32 s0, 0x7fff
	v_add3_u32 v2, v2, v3, s0
	global_store_short_d16_hi v[0:1], v2, off
	s_mov_b64 s[64:65], -1
	s_mov_b64 s[0:1], 0
.LBB71_1125:
	s_mov_b64 s[66:67], 0
.LBB71_1126:
	s_and_b64 vcc, exec, s[66:67]
	s_cbranch_vccz .LBB71_1129
; %bb.1127:
	s_cmp_eq_u32 s71, 11
	s_mov_b64 s[0:1], -1
	s_cbranch_scc0 .LBB71_1129
; %bb.1128:
	v_cndmask_b32_e64 v2, 0, 1, s[62:63]
	s_mov_b64 s[64:65], -1
	s_mov_b64 s[0:1], 0
	global_store_byte v[0:1], v2, off
.LBB71_1129:
	s_mov_b64 s[66:67], 0
.LBB71_1130:
	s_and_b64 vcc, exec, s[66:67]
	s_cbranch_vccz .LBB71_1169
; %bb.1131:
	s_and_b32 s14, 0xffff, s14
	s_cmp_lt_i32 s14, 5
	s_mov_b64 s[64:65], -1
	s_cbranch_scc1 .LBB71_1152
; %bb.1132:
	s_cmp_lt_i32 s14, 8
	s_cbranch_scc1 .LBB71_1142
; %bb.1133:
	s_cmp_lt_i32 s14, 9
	s_cbranch_scc1 .LBB71_1139
; %bb.1134:
	s_cmp_gt_i32 s14, 9
	s_cbranch_scc0 .LBB71_1136
; %bb.1135:
	v_cndmask_b32_e64 v2, 0, 1, s[62:63]
	v_cvt_f64_u32_e32 v[2:3], v2
	v_mov_b32_e32 v4, 0
	v_mov_b32_e32 v5, v4
	s_mov_b64 s[64:65], 0
	global_store_dwordx4 v[0:1], v[2:5], off
.LBB71_1136:
	s_andn2_b64 vcc, exec, s[64:65]
	s_cbranch_vccnz .LBB71_1138
; %bb.1137:
	v_cndmask_b32_e64 v2, 0, 1.0, s[62:63]
	v_mov_b32_e32 v3, 0
	global_store_dwordx2 v[0:1], v[2:3], off
.LBB71_1138:
	s_mov_b64 s[64:65], 0
.LBB71_1139:
	s_andn2_b64 vcc, exec, s[64:65]
	s_cbranch_vccnz .LBB71_1141
; %bb.1140:
	v_cndmask_b32_e64 v2, 0, 1.0, s[62:63]
	v_cvt_f16_f32_e32 v2, v2
	global_store_dword v[0:1], v2, off
.LBB71_1141:
	s_mov_b64 s[64:65], 0
.LBB71_1142:
	s_andn2_b64 vcc, exec, s[64:65]
	s_cbranch_vccnz .LBB71_1151
; %bb.1143:
	s_cmp_lt_i32 s14, 6
	s_mov_b64 s[64:65], -1
	s_cbranch_scc1 .LBB71_1149
; %bb.1144:
	s_cmp_gt_i32 s14, 6
	s_cbranch_scc0 .LBB71_1146
; %bb.1145:
	v_cndmask_b32_e64 v2, 0, 1, s[62:63]
	v_cvt_f64_u32_e32 v[2:3], v2
	s_mov_b64 s[64:65], 0
	global_store_dwordx2 v[0:1], v[2:3], off
.LBB71_1146:
	s_andn2_b64 vcc, exec, s[64:65]
	s_cbranch_vccnz .LBB71_1148
; %bb.1147:
	v_cndmask_b32_e64 v2, 0, 1.0, s[62:63]
	global_store_dword v[0:1], v2, off
.LBB71_1148:
	s_mov_b64 s[64:65], 0
.LBB71_1149:
	s_andn2_b64 vcc, exec, s[64:65]
	s_cbranch_vccnz .LBB71_1151
; %bb.1150:
	v_cndmask_b32_e64 v2, 0, 1.0, s[62:63]
	v_cvt_f16_f32_e32 v2, v2
	global_store_short v[0:1], v2, off
.LBB71_1151:
	s_mov_b64 s[64:65], 0
.LBB71_1152:
	s_andn2_b64 vcc, exec, s[64:65]
	s_cbranch_vccnz .LBB71_1168
; %bb.1153:
	s_cmp_lt_i32 s14, 2
	s_mov_b64 s[64:65], -1
	s_cbranch_scc1 .LBB71_1163
; %bb.1154:
	s_cmp_lt_i32 s14, 3
	s_cbranch_scc1 .LBB71_1160
; %bb.1155:
	s_cmp_gt_i32 s14, 3
	s_cbranch_scc0 .LBB71_1157
; %bb.1156:
	s_mov_b32 s64, 0
	v_cndmask_b32_e64 v2, 0, 1, s[62:63]
	v_mov_b32_e32 v3, s64
	s_mov_b64 s[64:65], 0
	global_store_dwordx2 v[0:1], v[2:3], off
.LBB71_1157:
	s_andn2_b64 vcc, exec, s[64:65]
	s_cbranch_vccnz .LBB71_1159
; %bb.1158:
	v_cndmask_b32_e64 v2, 0, 1, s[62:63]
	global_store_dword v[0:1], v2, off
.LBB71_1159:
	s_mov_b64 s[64:65], 0
.LBB71_1160:
	s_andn2_b64 vcc, exec, s[64:65]
	s_cbranch_vccnz .LBB71_1162
; %bb.1161:
	v_cndmask_b32_e64 v2, 0, 1, s[62:63]
	global_store_short v[0:1], v2, off
.LBB71_1162:
	s_mov_b64 s[64:65], 0
.LBB71_1163:
	s_andn2_b64 vcc, exec, s[64:65]
	s_cbranch_vccnz .LBB71_1168
; %bb.1164:
	s_mov_b64 s[64:65], -1
	s_cmp_gt_i32 s14, 0
	v_cndmask_b32_e64 v2, 0, 1, s[62:63]
	s_cbranch_scc0 .LBB71_1166
; %bb.1165:
	s_mov_b64 s[64:65], 0
	global_store_byte v[0:1], v2, off
.LBB71_1166:
	s_andn2_b64 vcc, exec, s[64:65]
	s_cbranch_vccnz .LBB71_1168
; %bb.1167:
	global_store_byte v[0:1], v2, off
.LBB71_1168:
	s_mov_b64 s[64:65], -1
.LBB71_1169:
	s_andn2_b64 vcc, exec, s[64:65]
	s_cbranch_vccnz .LBB71_1181
; %bb.1170:
	v_add_u32_e32 v10, 0x80, v10
	s_mov_b64 s[64:65], -1
.LBB71_1171:
	s_andn2_b64 s[62:63], s[52:53], exec
	s_and_b64 s[0:1], s[0:1], exec
	s_or_b64 s[62:63], s[62:63], s[0:1]
	s_andn2_b64 s[0:1], s[50:51], exec
	s_and_b64 s[60:61], s[60:61], exec
	s_or_b64 s[60:61], s[0:1], s[60:61]
	;; [unrolled: 3-line block ×3, first 2 shown]
	s_orn2_b64 s[68:69], s[64:65], exec
.LBB71_1172:
	s_or_b64 exec, exec, s[56:57]
	s_mov_b64 s[64:65], 0
	s_mov_b64 s[58:59], 0
	;; [unrolled: 1-line block ×3, first 2 shown]
                                        ; implicit-def: $sgpr14
                                        ; implicit-def: $vgpr4_vgpr5
                                        ; implicit-def: $vgpr0
                                        ; implicit-def: $vgpr3
                                        ; implicit-def: $vgpr1
	s_and_saveexec_b64 s[56:57], s[68:69]
	s_cbranch_execz .LBB71_1263
; %bb.1173:
	v_cmp_gt_i32_e32 vcc, s70, v10
	s_mov_b64 s[68:69], s[0:1]
	s_mov_b64 s[70:71], 0
                                        ; implicit-def: $sgpr14
                                        ; implicit-def: $vgpr4_vgpr5
                                        ; implicit-def: $vgpr0
                                        ; implicit-def: $vgpr3
                                        ; implicit-def: $vgpr1
	s_and_saveexec_b64 s[58:59], vcc
	s_cbranch_execz .LBB71_1262
; %bb.1174:
	s_andn2_b64 vcc, exec, s[24:25]
	s_cbranch_vccnz .LBB71_1180
; %bb.1175:
	s_andn2_b64 vcc, exec, s[38:39]
	s_cbranch_vccnz .LBB71_1182
; %bb.1176:
	s_add_i32 s14, s75, 1
	s_and_b32 s14, s14, 30
	s_add_u32 s38, s2, 0xffffffe8
	s_addc_u32 s39, s3, -1
	v_mov_b32_e32 v3, 0
	s_waitcnt vmcnt(0)
	v_mov_b32_e32 v5, 0
	v_mov_b32_e32 v0, 0
	;; [unrolled: 1-line block ×3, first 2 shown]
.LBB71_1177:                            ; =>This Inner Loop Header: Depth=1
	s_load_dwordx4 s[64:67], s[38:39], 0x1c
	s_load_dwordx2 s[76:77], s[38:39], 0x2c
	s_load_dwordx2 s[78:79], s[38:39], 0xec
	s_load_dwordx4 s[68:71], s[38:39], 0xdc
	s_add_u32 s38, s38, 24
	s_waitcnt lgkmcnt(0)
	v_mul_hi_u32 v2, s65, v1
	s_addc_u32 s39, s39, 0
	s_add_i32 s14, s14, -2
	s_cmp_eq_u32 s14, 0
	v_add_u32_e32 v2, v1, v2
	v_lshrrev_b32_e32 v2, s66, v2
	v_mul_lo_u32 v4, v2, s64
	v_mul_hi_u32 v6, s76, v2
	v_sub_u32_e32 v4, v1, v4
	v_add_u32_e32 v1, v2, v6
	v_lshrrev_b32_e32 v1, s77, v1
	v_mul_lo_u32 v8, v1, s67
	v_mul_lo_u32 v6, v4, s68
	;; [unrolled: 1-line block ×4, first 2 shown]
	v_sub_u32_e32 v2, v2, v8
	v_mul_lo_u32 v8, v2, s71
	v_mul_lo_u32 v9, v2, s78
	;; [unrolled: 1-line block ×3, first 2 shown]
	v_add3_u32 v0, v6, v0, v8
	v_add3_u32 v5, v7, v5, v9
	;; [unrolled: 1-line block ×3, first 2 shown]
	s_cbranch_scc0 .LBB71_1177
; %bb.1178:
	s_bitcmp1_b32 s75, 0
	s_cselect_b64 s[64:65], -1, 0
	s_and_b64 vcc, exec, s[64:65]
	s_cbranch_vccnz .LBB71_1183
; %bb.1179:
	s_load_dwordx2 s[64:65], s[38:39], 0x1c
	s_load_dword s14, s[38:39], 0x24
	s_load_dwordx2 s[66:67], s[38:39], 0xdc
	s_waitcnt lgkmcnt(0)
	v_mul_hi_u32 v2, s65, v1
	v_add_u32_e32 v2, v1, v2
	v_lshrrev_b32_e32 v2, s14, v2
	v_mul_lo_u32 v2, v2, s64
	s_load_dword s14, s[38:39], 0xe4
	v_sub_u32_e32 v2, v1, v2
	v_mad_u64_u32 v[0:1], s[38:39], v2, s66, v[0:1]
	v_mad_u64_u32 v[5:6], s[38:39], v2, s67, v[5:6]
	s_waitcnt lgkmcnt(0)
	v_mad_u64_u32 v[3:4], s[38:39], v2, s14, v[3:4]
	s_branch .LBB71_1183
.LBB71_1180:
	s_mov_b64 s[38:39], -1
                                        ; implicit-def: $vgpr0
                                        ; implicit-def: $vgpr5
                                        ; implicit-def: $vgpr3
	s_branch .LBB71_1184
.LBB71_1181:
	s_mov_b64 s[64:65], 0
	s_branch .LBB71_928
.LBB71_1182:
	v_mov_b32_e32 v0, 0
	s_waitcnt vmcnt(0)
	v_mov_b32_e32 v5, 0
	v_mov_b32_e32 v3, 0
.LBB71_1183:
	s_mov_b64 s[38:39], 0
.LBB71_1184:
	s_andn2_b64 vcc, exec, s[38:39]
	s_cbranch_vccnz .LBB71_1187
; %bb.1185:
	v_mul_hi_u32 v0, s17, v10
	s_andn2_b64 vcc, exec, s[36:37]
	v_add_u32_e32 v0, v10, v0
	s_waitcnt vmcnt(0)
	v_lshrrev_b32_e32 v1, s18, v0
	v_mul_lo_u32 v0, v1, s16
	v_sub_u32_e32 v2, v10, v0
	v_mul_lo_u32 v0, v2, s20
	v_mul_lo_u32 v5, v2, s21
	;; [unrolled: 1-line block ×3, first 2 shown]
	s_cbranch_vccnz .LBB71_1187
; %bb.1186:
	v_mul_hi_u32 v2, s34, v1
	v_add_u32_e32 v2, v1, v2
	v_lshrrev_b32_e32 v2, s35, v2
	v_mul_lo_u32 v2, v2, s19
	v_sub_u32_e32 v2, v1, v2
	v_mad_u64_u32 v[0:1], s[16:17], v2, s23, v[0:1]
	v_mad_u64_u32 v[5:6], s[16:17], v2, s30, v[5:6]
	v_mad_u64_u32 v[3:4], s[16:17], v2, s31, v[3:4]
.LBB71_1187:
	s_waitcnt vmcnt(0)
	v_mov_b32_e32 v1, s11
	s_and_b32 s14, s74, 0xff
	v_add_co_u32_e32 v4, vcc, s10, v5
	s_cmp_lt_i32 s14, 11
	v_addc_co_u32_e32 v5, vcc, 0, v1, vcc
	s_cbranch_scc1 .LBB71_1194
; %bb.1188:
	s_and_b32 s22, 0xffff, s14
	s_cmp_gt_i32 s22, 25
	s_mov_b64 s[16:17], 0
	s_cbranch_scc0 .LBB71_1195
; %bb.1189:
	s_cmp_gt_i32 s22, 28
	s_cbranch_scc0 .LBB71_1196
; %bb.1190:
	s_cmp_gt_i32 s22, 43
	;; [unrolled: 3-line block ×3, first 2 shown]
	s_cbranch_scc0 .LBB71_1198
; %bb.1192:
	s_cmp_eq_u32 s22, 46
	s_mov_b64 s[20:21], 0
	s_cbranch_scc0 .LBB71_1201
; %bb.1193:
	global_load_dword v1, v[4:5], off
	s_mov_b64 s[10:11], 0
	s_mov_b64 s[18:19], -1
	s_waitcnt vmcnt(0)
	v_lshlrev_b32_e32 v1, 16, v1
	v_cvt_i32_f32_e32 v1, v1
	s_branch .LBB71_1202
.LBB71_1194:
	s_mov_b64 s[20:21], -1
	s_mov_b64 s[18:19], 0
	s_mov_b64 s[16:17], 0
	;; [unrolled: 1-line block ×3, first 2 shown]
                                        ; implicit-def: $vgpr1
	s_branch .LBB71_1261
.LBB71_1195:
	s_mov_b64 s[20:21], -1
	s_mov_b64 s[18:19], 0
	s_mov_b64 s[10:11], s[0:1]
                                        ; implicit-def: $vgpr1
	s_branch .LBB71_1229
.LBB71_1196:
	s_mov_b64 s[20:21], -1
	s_mov_b64 s[18:19], 0
	s_mov_b64 s[10:11], s[0:1]
                                        ; implicit-def: $vgpr1
	s_branch .LBB71_1212
.LBB71_1197:
	s_mov_b64 s[20:21], -1
	s_mov_b64 s[18:19], 0
	s_mov_b64 s[10:11], s[0:1]
                                        ; implicit-def: $vgpr1
	s_branch .LBB71_1207
.LBB71_1198:
	s_mov_b64 s[20:21], -1
	s_mov_b64 s[18:19], 0
	s_mov_b64 s[10:11], s[0:1]
                                        ; implicit-def: $vgpr1
	s_branch .LBB71_1202
.LBB71_1199:
	s_andn2_saveexec_b64 s[68:69], s[68:69]
	s_cbranch_execz .LBB71_1082
.LBB71_1200:
	v_add_f32_e32 v2, 0x46000000, v3
	v_and_b32_e32 v2, 0xff, v2
	v_cmp_ne_u32_e32 vcc, 0, v2
	s_andn2_b64 s[66:67], s[66:67], exec
	s_and_b64 s[76:77], vcc, exec
	s_or_b64 s[66:67], s[66:67], s[76:77]
	s_or_b64 exec, exec, s[68:69]
	v_mov_b32_e32 v4, 0
	s_and_saveexec_b64 s[68:69], s[66:67]
	s_cbranch_execnz .LBB71_1083
	s_branch .LBB71_1084
.LBB71_1201:
	s_mov_b64 s[10:11], -1
                                        ; implicit-def: $vgpr1
	s_mov_b64 s[18:19], 0
.LBB71_1202:
	s_and_b64 vcc, exec, s[20:21]
	s_cbranch_vccz .LBB71_1206
; %bb.1203:
	s_cmp_eq_u32 s22, 44
	s_cbranch_scc0 .LBB71_1205
; %bb.1204:
	global_load_ubyte v1, v[4:5], off
	s_mov_b64 s[10:11], 0
	s_mov_b64 s[18:19], -1
	s_waitcnt vmcnt(0)
	v_lshlrev_b32_e32 v2, 23, v1
	v_cvt_i32_f32_e32 v2, v2
	v_cmp_ne_u32_e32 vcc, 0, v1
	v_cndmask_b32_e32 v1, 0, v2, vcc
	s_branch .LBB71_1206
.LBB71_1205:
	s_mov_b64 s[10:11], -1
                                        ; implicit-def: $vgpr1
.LBB71_1206:
	s_mov_b64 s[20:21], 0
.LBB71_1207:
	s_and_b64 vcc, exec, s[20:21]
	s_cbranch_vccz .LBB71_1211
; %bb.1208:
	s_cmp_eq_u32 s22, 29
	s_cbranch_scc0 .LBB71_1210
; %bb.1209:
	global_load_dwordx2 v[1:2], v[4:5], off
	s_mov_b64 s[10:11], 0
	s_mov_b64 s[18:19], -1
	s_branch .LBB71_1211
.LBB71_1210:
	s_mov_b64 s[10:11], -1
                                        ; implicit-def: $vgpr1
.LBB71_1211:
	s_mov_b64 s[20:21], 0
.LBB71_1212:
	s_and_b64 vcc, exec, s[20:21]
	s_cbranch_vccz .LBB71_1228
; %bb.1213:
	s_cmp_lt_i32 s22, 27
	s_cbranch_scc1 .LBB71_1216
; %bb.1214:
	s_cmp_gt_i32 s22, 27
	s_cbranch_scc0 .LBB71_1217
; %bb.1215:
	global_load_dword v1, v[4:5], off
	s_mov_b64 s[18:19], 0
	s_branch .LBB71_1218
.LBB71_1216:
	s_mov_b64 s[18:19], -1
                                        ; implicit-def: $vgpr1
	s_branch .LBB71_1221
.LBB71_1217:
	s_mov_b64 s[18:19], -1
                                        ; implicit-def: $vgpr1
.LBB71_1218:
	s_andn2_b64 vcc, exec, s[18:19]
	s_cbranch_vccnz .LBB71_1220
; %bb.1219:
	global_load_ushort v1, v[4:5], off
.LBB71_1220:
	s_mov_b64 s[18:19], 0
.LBB71_1221:
	s_andn2_b64 vcc, exec, s[18:19]
	s_cbranch_vccnz .LBB71_1227
; %bb.1222:
	global_load_ubyte v2, v[4:5], off
	s_movk_i32 s18, 0x7f
	s_mov_b64 s[20:21], 0
	s_waitcnt vmcnt(0)
	v_cmp_lt_i16_e32 vcc, s18, v2
	s_and_saveexec_b64 s[18:19], vcc
	s_xor_b64 s[18:19], exec, s[18:19]
	s_cbranch_execz .LBB71_1239
; %bb.1223:
	s_movk_i32 s20, 0x80
	v_cmp_ne_u16_e32 vcc, s20, v2
	s_and_b64 s[20:21], vcc, exec
	s_andn2_saveexec_b64 s[18:19], s[18:19]
	s_cbranch_execnz .LBB71_1240
.LBB71_1224:
	s_or_b64 exec, exec, s[18:19]
	v_mov_b32_e32 v1, 0
	s_and_saveexec_b64 s[18:19], s[20:21]
	s_cbranch_execz .LBB71_1226
.LBB71_1225:
	v_lshlrev_b32_e32 v1, 24, v2
	v_and_b32_e32 v2, 0xffff, v2
	v_and_b32_e32 v6, 7, v2
	v_ffbh_u32_e32 v8, v6
	v_min_u32_e32 v8, 32, v8
	v_subrev_u32_e32 v9, 28, v8
	v_bfe_u32 v7, v2, 3, 4
	v_lshlrev_b32_e32 v2, v9, v2
	v_sub_u32_e32 v8, 29, v8
	v_and_b32_e32 v2, 7, v2
	v_cmp_eq_u32_e32 vcc, 0, v7
	v_cndmask_b32_e32 v7, v7, v8, vcc
	v_cndmask_b32_e32 v2, v6, v2, vcc
	v_mov_b32_e32 v6, 0x3b800000
	v_lshlrev_b32_e32 v2, 20, v2
	v_and_b32_e32 v1, 0x80000000, v1
	v_lshl_add_u32 v6, v7, 23, v6
	v_or3_b32 v1, v1, v6, v2
	v_cvt_i32_f32_e32 v1, v1
.LBB71_1226:
	s_or_b64 exec, exec, s[18:19]
.LBB71_1227:
	s_mov_b64 s[18:19], -1
.LBB71_1228:
	s_mov_b64 s[20:21], 0
.LBB71_1229:
	s_and_b64 vcc, exec, s[20:21]
	s_cbranch_vccz .LBB71_1260
; %bb.1230:
	s_cmp_gt_i32 s22, 22
	s_cbranch_scc0 .LBB71_1238
; %bb.1231:
	s_cmp_lt_i32 s22, 24
	s_cbranch_scc1 .LBB71_1241
; %bb.1232:
	s_cmp_gt_i32 s22, 24
	s_cbranch_scc0 .LBB71_1242
; %bb.1233:
	global_load_ubyte v2, v[4:5], off
	s_movk_i32 s16, 0x7f
	s_mov_b64 s[18:19], 0
	s_waitcnt vmcnt(0)
	v_cmp_lt_i16_e32 vcc, s16, v2
	s_and_saveexec_b64 s[16:17], vcc
	s_xor_b64 s[16:17], exec, s[16:17]
	s_cbranch_execz .LBB71_1254
; %bb.1234:
	s_movk_i32 s18, 0x80
	v_cmp_ne_u16_e32 vcc, s18, v2
	s_and_b64 s[18:19], vcc, exec
	s_andn2_saveexec_b64 s[16:17], s[16:17]
	s_cbranch_execnz .LBB71_1255
.LBB71_1235:
	s_or_b64 exec, exec, s[16:17]
	v_mov_b32_e32 v1, 0
	s_and_saveexec_b64 s[16:17], s[18:19]
	s_cbranch_execz .LBB71_1237
.LBB71_1236:
	v_lshlrev_b32_e32 v1, 24, v2
	v_and_b32_e32 v2, 0xffff, v2
	v_and_b32_e32 v6, 3, v2
	v_ffbh_u32_e32 v8, v6
	v_min_u32_e32 v8, 32, v8
	v_subrev_u32_e32 v9, 29, v8
	v_bfe_u32 v7, v2, 2, 5
	v_lshlrev_b32_e32 v2, v9, v2
	v_sub_u32_e32 v8, 30, v8
	v_and_b32_e32 v2, 3, v2
	v_cmp_eq_u32_e32 vcc, 0, v7
	v_cndmask_b32_e32 v7, v7, v8, vcc
	v_cndmask_b32_e32 v2, v6, v2, vcc
	v_mov_b32_e32 v6, 0x37800000
	v_lshlrev_b32_e32 v2, 21, v2
	v_and_b32_e32 v1, 0x80000000, v1
	v_lshl_add_u32 v6, v7, 23, v6
	v_or3_b32 v1, v1, v6, v2
	v_cvt_i32_f32_e32 v1, v1
.LBB71_1237:
	s_or_b64 exec, exec, s[16:17]
	s_mov_b64 s[16:17], 0
	s_branch .LBB71_1243
.LBB71_1238:
	s_mov_b64 s[16:17], -1
                                        ; implicit-def: $vgpr1
	s_branch .LBB71_1249
.LBB71_1239:
	s_andn2_saveexec_b64 s[18:19], s[18:19]
	s_cbranch_execz .LBB71_1224
.LBB71_1240:
	v_cmp_ne_u16_e32 vcc, 0, v2
	s_andn2_b64 s[20:21], s[20:21], exec
	s_and_b64 s[30:31], vcc, exec
	s_or_b64 s[20:21], s[20:21], s[30:31]
	s_or_b64 exec, exec, s[18:19]
	v_mov_b32_e32 v1, 0
	s_and_saveexec_b64 s[18:19], s[20:21]
	s_cbranch_execnz .LBB71_1225
	s_branch .LBB71_1226
.LBB71_1241:
	s_mov_b64 s[16:17], -1
                                        ; implicit-def: $vgpr1
	s_branch .LBB71_1246
.LBB71_1242:
	s_mov_b64 s[16:17], -1
                                        ; implicit-def: $vgpr1
.LBB71_1243:
	s_and_b64 vcc, exec, s[16:17]
	s_cbranch_vccz .LBB71_1245
; %bb.1244:
	global_load_ubyte v1, v[4:5], off
	s_mov_b32 s16, 0x7f800000
	s_waitcnt vmcnt(0)
	v_lshlrev_b32_e32 v1, 24, v1
	v_and_b32_e32 v2, 0x7f000000, v1
	v_ffbh_u32_e32 v6, v2
	v_min_u32_e32 v6, 32, v6
	v_sub_u32_e64 v6, v6, 4 clamp
	v_lshlrev_b32_e32 v8, v6, v2
	v_lshlrev_b32_e32 v6, 23, v6
	v_lshrrev_b32_e32 v8, 4, v8
	v_add_u32_e32 v7, 0x1000000, v2
	v_sub_u32_e32 v6, v8, v6
	v_ashrrev_i32_e32 v7, 8, v7
	v_add_u32_e32 v6, 0x3c000000, v6
	v_and_or_b32 v6, v7, s16, v6
	v_cmp_ne_u32_e32 vcc, 0, v2
	v_cndmask_b32_e32 v2, 0, v6, vcc
	s_brev_b32 s16, 1
	v_and_or_b32 v1, v1, s16, v2
	v_cvt_i32_f32_e32 v1, v1
.LBB71_1245:
	s_mov_b64 s[16:17], 0
.LBB71_1246:
	s_andn2_b64 vcc, exec, s[16:17]
	s_cbranch_vccnz .LBB71_1248
; %bb.1247:
	global_load_ubyte v1, v[4:5], off
	s_movk_i32 s16, 0x7f00
	s_brev_b32 s17, 16
	s_waitcnt vmcnt(0)
	v_lshlrev_b16_e32 v2, 8, v1
	v_lshlrev_b32_e32 v1, 25, v1
	v_lshrrev_b32_e32 v6, 4, v1
	v_and_or_b32 v7, v2, s16, 0.5
	v_or_b32_e32 v6, 0x70000000, v6
	v_add_f32_e32 v7, -0.5, v7
	v_mul_f32_e32 v6, 0x7800000, v6
	v_cmp_gt_u32_e32 vcc, s17, v1
	v_bfe_i32 v2, v2, 0, 16
	v_cndmask_b32_e32 v1, v6, v7, vcc
	s_brev_b32 s16, 1
	v_and_or_b32 v1, v2, s16, v1
	v_cvt_i32_f32_e32 v1, v1
.LBB71_1248:
	s_mov_b64 s[16:17], 0
	s_mov_b64 s[18:19], -1
.LBB71_1249:
	s_andn2_b64 vcc, exec, s[16:17]
	s_mov_b64 s[16:17], 0
	s_cbranch_vccnz .LBB71_1260
; %bb.1250:
	s_cmp_gt_i32 s22, 14
	s_cbranch_scc0 .LBB71_1253
; %bb.1251:
	s_cmp_eq_u32 s22, 15
	s_cbranch_scc0 .LBB71_1256
; %bb.1252:
	global_load_ushort v1, v[4:5], off
	s_mov_b64 s[10:11], 0
	s_mov_b64 s[18:19], -1
	s_waitcnt vmcnt(0)
	v_lshlrev_b32_e32 v1, 16, v1
	v_cvt_i32_f32_e32 v1, v1
	s_branch .LBB71_1257
.LBB71_1253:
	s_mov_b64 s[20:21], -1
                                        ; implicit-def: $vgpr1
	s_branch .LBB71_1258
.LBB71_1254:
	s_andn2_saveexec_b64 s[16:17], s[16:17]
	s_cbranch_execz .LBB71_1235
.LBB71_1255:
	v_cmp_ne_u16_e32 vcc, 0, v2
	s_andn2_b64 s[18:19], s[18:19], exec
	s_and_b64 s[20:21], vcc, exec
	s_or_b64 s[18:19], s[18:19], s[20:21]
	s_or_b64 exec, exec, s[16:17]
	v_mov_b32_e32 v1, 0
	s_and_saveexec_b64 s[16:17], s[18:19]
	s_cbranch_execnz .LBB71_1236
	s_branch .LBB71_1237
.LBB71_1256:
	s_mov_b64 s[10:11], -1
                                        ; implicit-def: $vgpr1
.LBB71_1257:
	s_mov_b64 s[20:21], 0
.LBB71_1258:
	s_and_b64 vcc, exec, s[20:21]
	s_cbranch_vccz .LBB71_1260
; %bb.1259:
	s_cmp_lg_u32 s22, 11
	s_cselect_b64 s[20:21], -1, 0
	s_andn2_b64 s[10:11], s[10:11], exec
	s_and_b64 s[20:21], s[20:21], exec
	s_mov_b64 s[16:17], -1
	s_or_b64 s[10:11], s[10:11], s[20:21]
.LBB71_1260:
	s_mov_b64 s[20:21], 0
.LBB71_1261:
	s_and_b64 s[64:65], s[16:17], exec
	s_andn2_b64 s[16:17], s[0:1], exec
	s_and_b64 s[10:11], s[10:11], exec
	s_and_b64 s[66:67], s[18:19], exec
	;; [unrolled: 1-line block ×3, first 2 shown]
	s_or_b64 s[68:69], s[16:17], s[10:11]
.LBB71_1262:
	s_or_b64 exec, exec, s[58:59]
	s_andn2_b64 s[0:1], s[0:1], exec
	s_and_b64 s[10:11], s[68:69], exec
	s_and_b64 s[66:67], s[66:67], exec
	;; [unrolled: 1-line block ×4, first 2 shown]
	s_or_b64 s[0:1], s[0:1], s[10:11]
.LBB71_1263:
	s_or_b64 exec, exec, s[56:57]
	s_andn2_b64 s[10:11], s[52:53], exec
	s_and_b64 s[16:17], s[62:63], exec
	s_or_b64 s[52:53], s[10:11], s[16:17]
	s_andn2_b64 s[10:11], s[50:51], exec
	s_and_b64 s[16:17], s[60:61], exec
	s_or_b64 s[50:51], s[10:11], s[16:17]
	s_andn2_b64 s[10:11], s[48:49], exec
	s_and_b64 s[0:1], s[0:1], exec
	s_and_b64 s[60:61], s[66:67], exec
	;; [unrolled: 1-line block ×4, first 2 shown]
	s_or_b64 s[48:49], s[10:11], s[0:1]
.LBB71_1264:
	s_or_b64 exec, exec, s[54:55]
	s_andn2_b64 s[0:1], s[40:41], exec
	s_and_b64 s[10:11], s[52:53], exec
	s_or_b64 s[40:41], s[0:1], s[10:11]
	s_andn2_b64 s[0:1], s[42:43], exec
	s_and_b64 s[10:11], s[50:51], exec
	s_or_b64 s[42:43], s[0:1], s[10:11]
	s_andn2_b64 s[0:1], s[44:45], exec
	s_and_b64 s[10:11], s[48:49], exec
	s_and_b64 s[52:53], s[60:61], exec
	;; [unrolled: 1-line block ×4, first 2 shown]
	s_or_b64 s[44:45], s[0:1], s[10:11]
	s_or_b64 exec, exec, s[46:47]
	s_mov_b64 s[10:11], 0
	s_and_saveexec_b64 s[0:1], s[44:45]
	s_cbranch_execz .LBB71_395
.LBB71_1265:
	s_mov_b64 s[10:11], exec
	s_andn2_b64 s[50:51], s[50:51], exec
	s_trap 2
	s_or_b64 exec, exec, s[0:1]
	s_and_saveexec_b64 s[0:1], s[50:51]
	s_xor_b64 s[0:1], exec, s[0:1]
	s_cbranch_execnz .LBB71_396
.LBB71_1266:
	s_or_b64 exec, exec, s[0:1]
	s_and_saveexec_b64 s[0:1], s[54:55]
	s_cbranch_execz .LBB71_1312
.LBB71_1267:
	s_sext_i32_i16 s16, s14
	s_cmp_lt_i32 s16, 5
	s_cbranch_scc1 .LBB71_1272
; %bb.1268:
	s_cmp_lt_i32 s16, 8
	s_cbranch_scc1 .LBB71_1273
; %bb.1269:
	;; [unrolled: 3-line block ×3, first 2 shown]
	s_cmp_gt_i32 s16, 9
	s_cbranch_scc0 .LBB71_1275
; %bb.1271:
	s_waitcnt vmcnt(0)
	global_load_dwordx2 v[1:2], v[4:5], off
	s_mov_b64 s[16:17], 0
	s_waitcnt vmcnt(0)
	v_cvt_i32_f64_e32 v1, v[1:2]
	s_branch .LBB71_1276
.LBB71_1272:
                                        ; implicit-def: $vgpr1
	s_branch .LBB71_1293
.LBB71_1273:
                                        ; implicit-def: $vgpr1
	s_branch .LBB71_1282
.LBB71_1274:
	s_mov_b64 s[16:17], -1
                                        ; implicit-def: $vgpr1
	s_branch .LBB71_1279
.LBB71_1275:
	s_mov_b64 s[16:17], -1
                                        ; implicit-def: $vgpr1
.LBB71_1276:
	s_andn2_b64 vcc, exec, s[16:17]
	s_cbranch_vccnz .LBB71_1278
; %bb.1277:
	s_waitcnt vmcnt(0)
	global_load_dword v1, v[4:5], off
	s_waitcnt vmcnt(0)
	v_cvt_i32_f32_e32 v1, v1
.LBB71_1278:
	s_mov_b64 s[16:17], 0
.LBB71_1279:
	s_andn2_b64 vcc, exec, s[16:17]
	s_cbranch_vccnz .LBB71_1281
; %bb.1280:
	s_waitcnt vmcnt(0)
	global_load_dword v1, v[4:5], off
	s_waitcnt vmcnt(0)
	v_cvt_i16_f16_e32 v1, v1
.LBB71_1281:
	s_cbranch_execnz .LBB71_1292
.LBB71_1282:
	s_sext_i32_i16 s16, s14
	s_cmp_lt_i32 s16, 6
	s_cbranch_scc1 .LBB71_1285
; %bb.1283:
	s_cmp_gt_i32 s16, 6
	s_cbranch_scc0 .LBB71_1286
; %bb.1284:
	s_waitcnt vmcnt(0)
	global_load_dwordx2 v[1:2], v[4:5], off
	s_mov_b64 s[16:17], 0
	s_waitcnt vmcnt(0)
	v_cvt_i32_f64_e32 v1, v[1:2]
	s_branch .LBB71_1287
.LBB71_1285:
	s_mov_b64 s[16:17], -1
                                        ; implicit-def: $vgpr1
	s_branch .LBB71_1290
.LBB71_1286:
	s_mov_b64 s[16:17], -1
                                        ; implicit-def: $vgpr1
.LBB71_1287:
	s_andn2_b64 vcc, exec, s[16:17]
	s_cbranch_vccnz .LBB71_1289
; %bb.1288:
	s_waitcnt vmcnt(0)
	global_load_dword v1, v[4:5], off
	s_waitcnt vmcnt(0)
	v_cvt_i32_f32_e32 v1, v1
.LBB71_1289:
	s_mov_b64 s[16:17], 0
.LBB71_1290:
	s_andn2_b64 vcc, exec, s[16:17]
	s_cbranch_vccnz .LBB71_1292
; %bb.1291:
	s_waitcnt vmcnt(0)
	global_load_ushort v1, v[4:5], off
	s_waitcnt vmcnt(0)
	v_cvt_i16_f16_e32 v1, v1
.LBB71_1292:
	s_cbranch_execnz .LBB71_1311
.LBB71_1293:
	s_sext_i32_i16 s16, s14
	s_cmp_lt_i32 s16, 2
	s_cbranch_scc1 .LBB71_1297
; %bb.1294:
	s_cmp_lt_i32 s16, 3
	s_cbranch_scc1 .LBB71_1298
; %bb.1295:
	s_cmp_gt_i32 s16, 3
	s_cbranch_scc0 .LBB71_1299
; %bb.1296:
	s_waitcnt vmcnt(0)
	global_load_dwordx2 v[1:2], v[4:5], off
	s_mov_b64 s[16:17], 0
	s_branch .LBB71_1300
.LBB71_1297:
                                        ; implicit-def: $vgpr1
	s_branch .LBB71_1306
.LBB71_1298:
	s_mov_b64 s[16:17], -1
                                        ; implicit-def: $vgpr1
	s_branch .LBB71_1303
.LBB71_1299:
	s_mov_b64 s[16:17], -1
                                        ; implicit-def: $vgpr1
.LBB71_1300:
	s_andn2_b64 vcc, exec, s[16:17]
	s_cbranch_vccnz .LBB71_1302
; %bb.1301:
	s_waitcnt vmcnt(0)
	global_load_dword v1, v[4:5], off
.LBB71_1302:
	s_mov_b64 s[16:17], 0
.LBB71_1303:
	s_andn2_b64 vcc, exec, s[16:17]
	s_cbranch_vccnz .LBB71_1305
; %bb.1304:
	s_waitcnt vmcnt(0)
	global_load_ushort v1, v[4:5], off
.LBB71_1305:
	s_cbranch_execnz .LBB71_1311
.LBB71_1306:
	s_sext_i32_i16 s14, s14
	s_cmp_gt_i32 s14, 0
	s_cbranch_scc0 .LBB71_1308
; %bb.1307:
	s_waitcnt vmcnt(0)
	global_load_sbyte v1, v[4:5], off
	s_mov_b64 s[16:17], 0
	s_branch .LBB71_1309
.LBB71_1308:
	s_mov_b64 s[16:17], -1
                                        ; implicit-def: $vgpr1
.LBB71_1309:
	s_andn2_b64 vcc, exec, s[16:17]
	s_cbranch_vccnz .LBB71_1311
; %bb.1310:
	s_waitcnt vmcnt(0)
	global_load_ubyte v1, v[4:5], off
.LBB71_1311:
	s_or_b64 s[52:53], s[52:53], exec
.LBB71_1312:
	s_or_b64 exec, exec, s[0:1]
	s_mov_b64 s[16:17], 0
	s_mov_b64 s[20:21], 0
	;; [unrolled: 1-line block ×3, first 2 shown]
                                        ; implicit-def: $sgpr14
                                        ; implicit-def: $vgpr4_vgpr5
                                        ; implicit-def: $vgpr6
	s_and_saveexec_b64 s[0:1], s[52:53]
	s_cbranch_execz .LBB71_1320
; %bb.1313:
	s_waitcnt vmcnt(0)
	v_mov_b32_e32 v2, s13
	s_and_b32 s14, s73, 0xff
	v_add_co_u32_e32 v4, vcc, s12, v3
	s_cmp_lt_i32 s14, 11
	v_addc_co_u32_e32 v5, vcc, 0, v2, vcc
	s_cbranch_scc1 .LBB71_1323
; %bb.1314:
	s_and_b32 s22, 0xffff, s14
	s_cmp_gt_i32 s22, 25
	s_cbranch_scc0 .LBB71_1324
; %bb.1315:
	s_cmp_gt_i32 s22, 28
	s_cbranch_scc0 .LBB71_1325
; %bb.1316:
	;; [unrolled: 3-line block ×4, first 2 shown]
	s_cmp_eq_u32 s22, 46
	s_cbranch_scc0 .LBB71_1328
; %bb.1319:
	global_load_dword v2, v[4:5], off
	s_mov_b64 s[12:13], 0
	s_mov_b64 s[18:19], -1
	s_waitcnt vmcnt(0)
	v_lshlrev_b32_e32 v2, 16, v2
	v_cvt_i32_f32_e32 v6, v2
	s_branch .LBB71_1330
.LBB71_1320:
	s_or_b64 exec, exec, s[0:1]
	s_and_saveexec_b64 s[0:1], s[42:43]
	s_cbranch_execnz .LBB71_1389
.LBB71_1321:
	s_or_b64 exec, exec, s[0:1]
	s_and_saveexec_b64 s[0:1], s[16:17]
	s_xor_b64 s[0:1], exec, s[0:1]
	s_cbranch_execz .LBB71_1390
.LBB71_1322:
	s_waitcnt vmcnt(0)
	global_load_ubyte v2, v[4:5], off
	s_or_b64 s[18:19], s[18:19], exec
	s_waitcnt vmcnt(0)
	v_cmp_ne_u16_e32 vcc, 0, v2
	v_cndmask_b32_e64 v6, 0, 1, vcc
	s_or_b64 exec, exec, s[0:1]
	s_and_saveexec_b64 s[0:1], s[20:21]
	s_cbranch_execz .LBB71_1436
	s_branch .LBB71_1391
.LBB71_1323:
	s_mov_b64 s[20:21], -1
                                        ; implicit-def: $vgpr6
	s_mov_b64 s[12:13], s[42:43]
	s_branch .LBB71_1388
.LBB71_1324:
	s_mov_b64 s[12:13], s[42:43]
                                        ; implicit-def: $vgpr6
	s_cbranch_execnz .LBB71_1357
	s_branch .LBB71_1387
.LBB71_1325:
	s_mov_b64 s[20:21], -1
	s_mov_b64 s[12:13], s[42:43]
                                        ; implicit-def: $vgpr6
	s_branch .LBB71_1340
.LBB71_1326:
	s_mov_b64 s[20:21], -1
	s_mov_b64 s[12:13], s[42:43]
                                        ; implicit-def: $vgpr6
	s_branch .LBB71_1335
.LBB71_1327:
	s_mov_b64 s[20:21], -1
	s_mov_b64 s[12:13], s[42:43]
	s_branch .LBB71_1329
.LBB71_1328:
	s_mov_b64 s[12:13], -1
.LBB71_1329:
                                        ; implicit-def: $vgpr6
.LBB71_1330:
	s_and_b64 vcc, exec, s[20:21]
	s_cbranch_vccz .LBB71_1334
; %bb.1331:
	s_cmp_eq_u32 s22, 44
	s_cbranch_scc0 .LBB71_1333
; %bb.1332:
	global_load_ubyte v2, v[4:5], off
	s_mov_b64 s[12:13], 0
	s_mov_b64 s[18:19], -1
	s_waitcnt vmcnt(0)
	v_lshlrev_b32_e32 v3, 23, v2
	v_cvt_i32_f32_e32 v3, v3
	v_cmp_ne_u32_e32 vcc, 0, v2
	v_cndmask_b32_e32 v6, 0, v3, vcc
	s_branch .LBB71_1334
.LBB71_1333:
	s_mov_b64 s[12:13], -1
                                        ; implicit-def: $vgpr6
.LBB71_1334:
	s_mov_b64 s[20:21], 0
.LBB71_1335:
	s_and_b64 vcc, exec, s[20:21]
	s_cbranch_vccz .LBB71_1339
; %bb.1336:
	s_cmp_eq_u32 s22, 29
	s_cbranch_scc0 .LBB71_1338
; %bb.1337:
	global_load_dwordx2 v[6:7], v[4:5], off
	s_mov_b64 s[12:13], 0
	s_mov_b64 s[18:19], -1
	s_branch .LBB71_1339
.LBB71_1338:
	s_mov_b64 s[12:13], -1
                                        ; implicit-def: $vgpr6
.LBB71_1339:
	s_mov_b64 s[20:21], 0
.LBB71_1340:
	s_and_b64 vcc, exec, s[20:21]
	s_cbranch_vccz .LBB71_1356
; %bb.1341:
	s_cmp_lt_i32 s22, 27
	s_cbranch_scc1 .LBB71_1344
; %bb.1342:
	s_cmp_gt_i32 s22, 27
	s_cbranch_scc0 .LBB71_1345
; %bb.1343:
	global_load_dword v6, v[4:5], off
	s_mov_b64 s[18:19], 0
	s_branch .LBB71_1346
.LBB71_1344:
	s_mov_b64 s[18:19], -1
                                        ; implicit-def: $vgpr6
	s_branch .LBB71_1349
.LBB71_1345:
	s_mov_b64 s[18:19], -1
                                        ; implicit-def: $vgpr6
.LBB71_1346:
	s_andn2_b64 vcc, exec, s[18:19]
	s_cbranch_vccnz .LBB71_1348
; %bb.1347:
	global_load_ushort v6, v[4:5], off
.LBB71_1348:
	s_mov_b64 s[18:19], 0
.LBB71_1349:
	s_andn2_b64 vcc, exec, s[18:19]
	s_cbranch_vccnz .LBB71_1355
; %bb.1350:
	global_load_ubyte v2, v[4:5], off
	s_movk_i32 s18, 0x7f
	s_mov_b64 s[20:21], 0
	s_waitcnt vmcnt(0)
	v_cmp_lt_i16_e32 vcc, s18, v2
	s_and_saveexec_b64 s[18:19], vcc
	s_xor_b64 s[18:19], exec, s[18:19]
	s_cbranch_execz .LBB71_1366
; %bb.1351:
	s_movk_i32 s20, 0x80
	v_cmp_ne_u16_e32 vcc, s20, v2
	s_and_b64 s[20:21], vcc, exec
	s_andn2_saveexec_b64 s[18:19], s[18:19]
	s_cbranch_execnz .LBB71_1367
.LBB71_1352:
	s_or_b64 exec, exec, s[18:19]
	v_mov_b32_e32 v6, 0
	s_and_saveexec_b64 s[18:19], s[20:21]
	s_cbranch_execz .LBB71_1354
.LBB71_1353:
	v_lshlrev_b32_e32 v3, 24, v2
	v_and_b32_e32 v2, 0xffff, v2
	v_and_b32_e32 v6, 7, v2
	v_ffbh_u32_e32 v8, v6
	v_min_u32_e32 v8, 32, v8
	v_subrev_u32_e32 v9, 28, v8
	v_bfe_u32 v7, v2, 3, 4
	v_lshlrev_b32_e32 v2, v9, v2
	v_sub_u32_e32 v8, 29, v8
	v_and_b32_e32 v2, 7, v2
	v_cmp_eq_u32_e32 vcc, 0, v7
	v_cndmask_b32_e32 v7, v7, v8, vcc
	v_cndmask_b32_e32 v2, v6, v2, vcc
	v_mov_b32_e32 v6, 0x3b800000
	v_lshlrev_b32_e32 v2, 20, v2
	v_and_b32_e32 v3, 0x80000000, v3
	v_lshl_add_u32 v6, v7, 23, v6
	v_or3_b32 v2, v3, v6, v2
	v_cvt_i32_f32_e32 v6, v2
.LBB71_1354:
	s_or_b64 exec, exec, s[18:19]
.LBB71_1355:
	s_mov_b64 s[18:19], -1
.LBB71_1356:
	s_branch .LBB71_1387
.LBB71_1357:
	s_cmp_gt_i32 s22, 22
	s_cbranch_scc0 .LBB71_1365
; %bb.1358:
	s_cmp_lt_i32 s22, 24
	s_cbranch_scc1 .LBB71_1368
; %bb.1359:
	s_cmp_gt_i32 s22, 24
	s_cbranch_scc0 .LBB71_1369
; %bb.1360:
	global_load_ubyte v2, v[4:5], off
	s_movk_i32 s16, 0x7f
	s_mov_b64 s[18:19], 0
	s_waitcnt vmcnt(0)
	v_cmp_lt_i16_e32 vcc, s16, v2
	s_and_saveexec_b64 s[16:17], vcc
	s_xor_b64 s[16:17], exec, s[16:17]
	s_cbranch_execz .LBB71_1381
; %bb.1361:
	s_movk_i32 s18, 0x80
	v_cmp_ne_u16_e32 vcc, s18, v2
	s_and_b64 s[18:19], vcc, exec
	s_andn2_saveexec_b64 s[16:17], s[16:17]
	s_cbranch_execnz .LBB71_1382
.LBB71_1362:
	s_or_b64 exec, exec, s[16:17]
	v_mov_b32_e32 v6, 0
	s_and_saveexec_b64 s[16:17], s[18:19]
	s_cbranch_execz .LBB71_1364
.LBB71_1363:
	v_lshlrev_b32_e32 v3, 24, v2
	v_and_b32_e32 v2, 0xffff, v2
	v_and_b32_e32 v6, 3, v2
	v_ffbh_u32_e32 v8, v6
	v_min_u32_e32 v8, 32, v8
	v_subrev_u32_e32 v9, 29, v8
	v_bfe_u32 v7, v2, 2, 5
	v_lshlrev_b32_e32 v2, v9, v2
	v_sub_u32_e32 v8, 30, v8
	v_and_b32_e32 v2, 3, v2
	v_cmp_eq_u32_e32 vcc, 0, v7
	v_cndmask_b32_e32 v7, v7, v8, vcc
	v_cndmask_b32_e32 v2, v6, v2, vcc
	v_mov_b32_e32 v6, 0x37800000
	v_lshlrev_b32_e32 v2, 21, v2
	v_and_b32_e32 v3, 0x80000000, v3
	v_lshl_add_u32 v6, v7, 23, v6
	v_or3_b32 v2, v3, v6, v2
	v_cvt_i32_f32_e32 v6, v2
.LBB71_1364:
	s_or_b64 exec, exec, s[16:17]
	s_mov_b64 s[16:17], 0
	s_branch .LBB71_1370
.LBB71_1365:
	s_mov_b64 s[16:17], -1
                                        ; implicit-def: $vgpr6
	s_branch .LBB71_1376
.LBB71_1366:
	s_andn2_saveexec_b64 s[18:19], s[18:19]
	s_cbranch_execz .LBB71_1352
.LBB71_1367:
	v_cmp_ne_u16_e32 vcc, 0, v2
	s_andn2_b64 s[20:21], s[20:21], exec
	s_and_b64 s[30:31], vcc, exec
	s_or_b64 s[20:21], s[20:21], s[30:31]
	s_or_b64 exec, exec, s[18:19]
	v_mov_b32_e32 v6, 0
	s_and_saveexec_b64 s[18:19], s[20:21]
	s_cbranch_execnz .LBB71_1353
	s_branch .LBB71_1354
.LBB71_1368:
	s_mov_b64 s[16:17], -1
                                        ; implicit-def: $vgpr6
	s_branch .LBB71_1373
.LBB71_1369:
	s_mov_b64 s[16:17], -1
                                        ; implicit-def: $vgpr6
.LBB71_1370:
	s_and_b64 vcc, exec, s[16:17]
	s_cbranch_vccz .LBB71_1372
; %bb.1371:
	global_load_ubyte v2, v[4:5], off
	s_mov_b32 s16, 0x7f800000
	s_waitcnt vmcnt(0)
	v_lshlrev_b32_e32 v2, 24, v2
	v_and_b32_e32 v3, 0x7f000000, v2
	v_ffbh_u32_e32 v6, v3
	v_min_u32_e32 v6, 32, v6
	v_sub_u32_e64 v6, v6, 4 clamp
	v_lshlrev_b32_e32 v8, v6, v3
	v_lshlrev_b32_e32 v6, 23, v6
	v_lshrrev_b32_e32 v8, 4, v8
	v_add_u32_e32 v7, 0x1000000, v3
	v_sub_u32_e32 v6, v8, v6
	v_ashrrev_i32_e32 v7, 8, v7
	v_add_u32_e32 v6, 0x3c000000, v6
	v_and_or_b32 v6, v7, s16, v6
	v_cmp_ne_u32_e32 vcc, 0, v3
	v_cndmask_b32_e32 v3, 0, v6, vcc
	s_brev_b32 s16, 1
	v_and_or_b32 v2, v2, s16, v3
	v_cvt_i32_f32_e32 v6, v2
.LBB71_1372:
	s_mov_b64 s[16:17], 0
.LBB71_1373:
	s_andn2_b64 vcc, exec, s[16:17]
	s_cbranch_vccnz .LBB71_1375
; %bb.1374:
	global_load_ubyte v2, v[4:5], off
	s_movk_i32 s16, 0x7f00
	s_brev_b32 s17, 16
	s_waitcnt vmcnt(0)
	v_lshlrev_b16_e32 v3, 8, v2
	v_lshlrev_b32_e32 v2, 25, v2
	v_lshrrev_b32_e32 v6, 4, v2
	v_and_or_b32 v7, v3, s16, 0.5
	v_or_b32_e32 v6, 0x70000000, v6
	v_add_f32_e32 v7, -0.5, v7
	v_mul_f32_e32 v6, 0x7800000, v6
	v_cmp_gt_u32_e32 vcc, s17, v2
	v_bfe_i32 v3, v3, 0, 16
	v_cndmask_b32_e32 v2, v6, v7, vcc
	s_brev_b32 s16, 1
	v_and_or_b32 v2, v3, s16, v2
	v_cvt_i32_f32_e32 v6, v2
.LBB71_1375:
	s_mov_b64 s[16:17], 0
	s_mov_b64 s[18:19], -1
.LBB71_1376:
	s_andn2_b64 vcc, exec, s[16:17]
	s_mov_b64 s[16:17], 0
	s_cbranch_vccnz .LBB71_1387
; %bb.1377:
	s_cmp_gt_i32 s22, 14
	s_cbranch_scc0 .LBB71_1380
; %bb.1378:
	s_cmp_eq_u32 s22, 15
	s_cbranch_scc0 .LBB71_1383
; %bb.1379:
	global_load_ushort v2, v[4:5], off
	s_mov_b64 s[12:13], 0
	s_mov_b64 s[18:19], -1
	s_waitcnt vmcnt(0)
	v_lshlrev_b32_e32 v2, 16, v2
	v_cvt_i32_f32_e32 v6, v2
	s_branch .LBB71_1384
.LBB71_1380:
	s_mov_b64 s[20:21], -1
                                        ; implicit-def: $vgpr6
	s_branch .LBB71_1385
.LBB71_1381:
	s_andn2_saveexec_b64 s[16:17], s[16:17]
	s_cbranch_execz .LBB71_1362
.LBB71_1382:
	v_cmp_ne_u16_e32 vcc, 0, v2
	s_andn2_b64 s[18:19], s[18:19], exec
	s_and_b64 s[20:21], vcc, exec
	s_or_b64 s[18:19], s[18:19], s[20:21]
	s_or_b64 exec, exec, s[16:17]
	v_mov_b32_e32 v6, 0
	s_and_saveexec_b64 s[16:17], s[18:19]
	s_cbranch_execnz .LBB71_1363
	s_branch .LBB71_1364
.LBB71_1383:
	s_mov_b64 s[12:13], -1
                                        ; implicit-def: $vgpr6
.LBB71_1384:
	s_mov_b64 s[20:21], 0
.LBB71_1385:
	s_and_b64 vcc, exec, s[20:21]
	s_cbranch_vccz .LBB71_1387
; %bb.1386:
	s_cmp_lg_u32 s22, 11
	s_cselect_b64 s[20:21], -1, 0
	s_andn2_b64 s[12:13], s[12:13], exec
	s_and_b64 s[20:21], s[20:21], exec
	s_mov_b64 s[16:17], -1
	s_or_b64 s[12:13], s[12:13], s[20:21]
.LBB71_1387:
	s_mov_b64 s[20:21], 0
.LBB71_1388:
	s_andn2_b64 s[22:23], s[42:43], exec
	s_and_b64 s[12:13], s[12:13], exec
	s_and_b64 s[18:19], s[18:19], exec
	;; [unrolled: 1-line block ×4, first 2 shown]
	s_or_b64 s[42:43], s[22:23], s[12:13]
	s_or_b64 exec, exec, s[0:1]
	s_and_saveexec_b64 s[0:1], s[42:43]
	s_cbranch_execz .LBB71_1321
.LBB71_1389:
	s_or_b64 s[10:11], s[10:11], exec
	s_andn2_b64 s[16:17], s[16:17], exec
	s_trap 2
	s_or_b64 exec, exec, s[0:1]
	s_and_saveexec_b64 s[0:1], s[16:17]
	s_xor_b64 s[0:1], exec, s[0:1]
	s_cbranch_execnz .LBB71_1322
.LBB71_1390:
	s_or_b64 exec, exec, s[0:1]
	s_and_saveexec_b64 s[0:1], s[20:21]
	s_cbranch_execz .LBB71_1436
.LBB71_1391:
	s_sext_i32_i16 s12, s14
	s_cmp_lt_i32 s12, 5
	s_cbranch_scc1 .LBB71_1396
; %bb.1392:
	s_cmp_lt_i32 s12, 8
	s_cbranch_scc1 .LBB71_1397
; %bb.1393:
	;; [unrolled: 3-line block ×3, first 2 shown]
	s_cmp_gt_i32 s12, 9
	s_cbranch_scc0 .LBB71_1399
; %bb.1395:
	s_waitcnt vmcnt(0)
	global_load_dwordx2 v[2:3], v[4:5], off
	s_mov_b64 s[12:13], 0
	s_waitcnt vmcnt(0)
	v_cvt_i32_f64_e32 v6, v[2:3]
	s_branch .LBB71_1400
.LBB71_1396:
                                        ; implicit-def: $vgpr6
	s_branch .LBB71_1417
.LBB71_1397:
                                        ; implicit-def: $vgpr6
	s_branch .LBB71_1406
.LBB71_1398:
	s_mov_b64 s[12:13], -1
                                        ; implicit-def: $vgpr6
	s_branch .LBB71_1403
.LBB71_1399:
	s_mov_b64 s[12:13], -1
                                        ; implicit-def: $vgpr6
.LBB71_1400:
	s_andn2_b64 vcc, exec, s[12:13]
	s_cbranch_vccnz .LBB71_1402
; %bb.1401:
	s_waitcnt vmcnt(0)
	global_load_dword v2, v[4:5], off
	s_waitcnt vmcnt(0)
	v_cvt_i32_f32_e32 v6, v2
.LBB71_1402:
	s_mov_b64 s[12:13], 0
.LBB71_1403:
	s_andn2_b64 vcc, exec, s[12:13]
	s_cbranch_vccnz .LBB71_1405
; %bb.1404:
	s_waitcnt vmcnt(0)
	global_load_dword v2, v[4:5], off
	s_waitcnt vmcnt(0)
	v_cvt_i16_f16_e32 v6, v2
.LBB71_1405:
	s_cbranch_execnz .LBB71_1416
.LBB71_1406:
	s_sext_i32_i16 s12, s14
	s_cmp_lt_i32 s12, 6
	s_cbranch_scc1 .LBB71_1409
; %bb.1407:
	s_cmp_gt_i32 s12, 6
	s_cbranch_scc0 .LBB71_1410
; %bb.1408:
	s_waitcnt vmcnt(0)
	global_load_dwordx2 v[2:3], v[4:5], off
	s_mov_b64 s[12:13], 0
	s_waitcnt vmcnt(0)
	v_cvt_i32_f64_e32 v6, v[2:3]
	s_branch .LBB71_1411
.LBB71_1409:
	s_mov_b64 s[12:13], -1
                                        ; implicit-def: $vgpr6
	s_branch .LBB71_1414
.LBB71_1410:
	s_mov_b64 s[12:13], -1
                                        ; implicit-def: $vgpr6
.LBB71_1411:
	s_andn2_b64 vcc, exec, s[12:13]
	s_cbranch_vccnz .LBB71_1413
; %bb.1412:
	s_waitcnt vmcnt(0)
	global_load_dword v2, v[4:5], off
	s_waitcnt vmcnt(0)
	v_cvt_i32_f32_e32 v6, v2
.LBB71_1413:
	s_mov_b64 s[12:13], 0
.LBB71_1414:
	s_andn2_b64 vcc, exec, s[12:13]
	s_cbranch_vccnz .LBB71_1416
; %bb.1415:
	s_waitcnt vmcnt(0)
	global_load_ushort v2, v[4:5], off
	s_waitcnt vmcnt(0)
	v_cvt_i16_f16_e32 v6, v2
.LBB71_1416:
	s_cbranch_execnz .LBB71_1435
.LBB71_1417:
	s_sext_i32_i16 s12, s14
	s_cmp_lt_i32 s12, 2
	s_cbranch_scc1 .LBB71_1421
; %bb.1418:
	s_cmp_lt_i32 s12, 3
	s_cbranch_scc1 .LBB71_1422
; %bb.1419:
	s_cmp_gt_i32 s12, 3
	s_cbranch_scc0 .LBB71_1423
; %bb.1420:
	s_waitcnt vmcnt(0)
	global_load_dwordx2 v[6:7], v[4:5], off
	s_mov_b64 s[12:13], 0
	s_branch .LBB71_1424
.LBB71_1421:
                                        ; implicit-def: $vgpr6
	s_branch .LBB71_1430
.LBB71_1422:
	s_mov_b64 s[12:13], -1
                                        ; implicit-def: $vgpr6
	s_branch .LBB71_1427
.LBB71_1423:
	s_mov_b64 s[12:13], -1
                                        ; implicit-def: $vgpr6
.LBB71_1424:
	s_andn2_b64 vcc, exec, s[12:13]
	s_cbranch_vccnz .LBB71_1426
; %bb.1425:
	s_waitcnt vmcnt(0)
	global_load_dword v6, v[4:5], off
.LBB71_1426:
	s_mov_b64 s[12:13], 0
.LBB71_1427:
	s_andn2_b64 vcc, exec, s[12:13]
	s_cbranch_vccnz .LBB71_1429
; %bb.1428:
	s_waitcnt vmcnt(0)
	global_load_ushort v6, v[4:5], off
.LBB71_1429:
	s_cbranch_execnz .LBB71_1435
.LBB71_1430:
	s_sext_i32_i16 s12, s14
	s_cmp_gt_i32 s12, 0
	s_cbranch_scc0 .LBB71_1432
; %bb.1431:
	s_waitcnt vmcnt(0)
	global_load_sbyte v6, v[4:5], off
	s_mov_b64 s[12:13], 0
	s_branch .LBB71_1433
.LBB71_1432:
	s_mov_b64 s[12:13], -1
                                        ; implicit-def: $vgpr6
.LBB71_1433:
	s_andn2_b64 vcc, exec, s[12:13]
	s_cbranch_vccnz .LBB71_1435
; %bb.1434:
	s_waitcnt vmcnt(0)
	global_load_ubyte v6, v[4:5], off
.LBB71_1435:
	s_or_b64 s[18:19], s[18:19], exec
.LBB71_1436:
	s_or_b64 exec, exec, s[0:1]
	s_mov_b64 s[22:23], 0
	s_mov_b64 s[20:21], 0
                                        ; implicit-def: $sgpr12_sgpr13
                                        ; implicit-def: $sgpr30
                                        ; implicit-def: $vgpr2_vgpr3
	s_and_saveexec_b64 s[16:17], s[18:19]
	s_cbranch_execz .LBB71_1511
; %bb.1437:
	s_waitcnt vmcnt(0)
	v_cmp_ne_u16_e32 vcc, v1, v6
	s_xor_b64 s[12:13], s[28:29], vcc
	v_mov_b32_e32 v1, s9
	s_and_b32 s30, s15, 0xff
	v_add_co_u32_e32 v2, vcc, s8, v0
	s_cmp_lt_i32 s30, 11
	v_addc_co_u32_e32 v3, vcc, 0, v1, vcc
	s_cbranch_scc1 .LBB71_1514
; %bb.1438:
	s_and_b32 s22, 0xffff, s30
	s_mov_b64 s[14:15], -1
	s_cmp_gt_i32 s22, 25
	s_mov_b64 s[0:1], s[40:41]
	s_cbranch_scc0 .LBB71_1471
; %bb.1439:
	s_mov_b64 s[8:9], -1
	s_cmp_gt_i32 s22, 28
	s_mov_b64 s[0:1], s[40:41]
	s_cbranch_scc0 .LBB71_1455
; %bb.1440:
	s_cmp_gt_i32 s22, 43
	s_mov_b64 s[0:1], s[40:41]
	s_cbranch_scc0 .LBB71_1451
; %bb.1441:
	;; [unrolled: 4-line block ×3, first 2 shown]
	s_cmp_eq_u32 s22, 46
	s_mov_b64 s[0:1], -1
	s_cbranch_scc0 .LBB71_1444
; %bb.1443:
	v_cndmask_b32_e64 v0, 0, 1.0, s[12:13]
	v_bfe_u32 v1, v0, 16, 1
	s_movk_i32 s0, 0x7fff
	v_add3_u32 v0, v0, v1, s0
	v_lshrrev_b32_e32 v0, 16, v0
	global_store_dword v[2:3], v0, off
	s_mov_b64 s[0:1], 0
.LBB71_1444:
	s_mov_b64 s[8:9], 0
.LBB71_1445:
	s_and_b64 vcc, exec, s[8:9]
	s_cbranch_vccz .LBB71_1450
; %bb.1446:
	s_cmp_eq_u32 s22, 44
	s_mov_b64 s[0:1], -1
	s_cbranch_scc0 .LBB71_1450
; %bb.1447:
	v_cndmask_b32_e64 v1, 0, 1.0, s[12:13]
	v_lshrrev_b32_e32 v0, 23, v1
	s_movk_i32 s0, 0xff
	v_cmp_ne_u32_e32 vcc, s0, v0
	v_mov_b32_e32 v4, 0xff
	s_and_saveexec_b64 s[8:9], vcc
; %bb.1448:
	s_mov_b32 s0, 0x3fffff
	v_and_b32_e32 v4, 0x400000, v1
	v_and_or_b32 v1, v1, s0, v0
	v_cmp_ne_u32_e32 vcc, 0, v4
	v_cmp_ne_u32_e64 s[0:1], 0, v1
	s_and_b64 s[0:1], vcc, s[0:1]
	v_cndmask_b32_e64 v1, 0, 1, s[0:1]
	v_add_u32_e32 v4, v0, v1
; %bb.1449:
	s_or_b64 exec, exec, s[8:9]
	s_mov_b64 s[0:1], 0
	global_store_byte v[2:3], v4, off
.LBB71_1450:
	s_mov_b64 s[8:9], 0
.LBB71_1451:
	s_and_b64 vcc, exec, s[8:9]
	s_cbranch_vccz .LBB71_1454
; %bb.1452:
	s_cmp_eq_u32 s22, 29
	s_mov_b64 s[0:1], -1
	s_cbranch_scc0 .LBB71_1454
; %bb.1453:
	s_mov_b32 s0, 0
	v_cndmask_b32_e64 v0, 0, 1, s[12:13]
	v_mov_b32_e32 v1, s0
	global_store_dwordx2 v[2:3], v[0:1], off
	s_mov_b64 s[0:1], 0
.LBB71_1454:
	s_mov_b64 s[8:9], 0
.LBB71_1455:
	s_and_b64 vcc, exec, s[8:9]
	s_cbranch_vccz .LBB71_1470
; %bb.1456:
	s_cmp_lt_i32 s22, 27
	s_mov_b64 s[8:9], -1
	s_cbranch_scc1 .LBB71_1462
; %bb.1457:
	s_cmp_gt_i32 s22, 27
	s_cbranch_scc0 .LBB71_1459
; %bb.1458:
	v_cndmask_b32_e64 v0, 0, 1, s[12:13]
	s_mov_b64 s[8:9], 0
	global_store_dword v[2:3], v0, off
.LBB71_1459:
	s_andn2_b64 vcc, exec, s[8:9]
	s_cbranch_vccnz .LBB71_1461
; %bb.1460:
	v_cndmask_b32_e64 v0, 0, 1, s[12:13]
	global_store_short v[2:3], v0, off
.LBB71_1461:
	s_mov_b64 s[8:9], 0
.LBB71_1462:
	s_andn2_b64 vcc, exec, s[8:9]
	s_cbranch_vccnz .LBB71_1470
; %bb.1463:
	v_cndmask_b32_e64 v1, 0, 1.0, s[12:13]
	s_mov_b32 s8, 0x43800000
	v_cmp_gt_u32_e32 vcc, s8, v1
	v_mov_b32_e32 v4, 0x80
	s_and_saveexec_b64 s[8:9], vcc
	s_cbranch_execz .LBB71_1469
; %bb.1464:
	s_mov_b32 s14, 0x3bffffff
	v_cmp_lt_u32_e32 vcc, s14, v1
	s_mov_b64 s[14:15], 0
                                        ; implicit-def: $vgpr0
	s_and_saveexec_b64 s[18:19], vcc
	s_xor_b64 s[18:19], exec, s[18:19]
	s_cbranch_execz .LBB71_1615
; %bb.1465:
	v_bfe_u32 v0, v1, 20, 1
	s_mov_b32 s20, 0x487ffff
	v_add3_u32 v0, v1, v0, s20
	s_mov_b64 s[14:15], exec
	v_lshrrev_b32_e32 v0, 20, v0
                                        ; implicit-def: $vgpr1
	s_andn2_saveexec_b64 s[18:19], s[18:19]
	s_cbranch_execnz .LBB71_1616
.LBB71_1466:
	s_or_b64 exec, exec, s[18:19]
	v_mov_b32_e32 v4, 0
	s_and_saveexec_b64 s[18:19], s[14:15]
.LBB71_1467:
	v_mov_b32_e32 v4, v0
.LBB71_1468:
	s_or_b64 exec, exec, s[18:19]
.LBB71_1469:
	s_or_b64 exec, exec, s[8:9]
	global_store_byte v[2:3], v4, off
.LBB71_1470:
	s_mov_b64 s[14:15], 0
.LBB71_1471:
	s_mov_b64 s[8:9], 0
	s_and_b64 vcc, exec, s[14:15]
	s_cbranch_vccz .LBB71_1515
; %bb.1472:
	s_cmp_gt_i32 s22, 22
	s_mov_b64 s[14:15], -1
	s_cbranch_scc0 .LBB71_1504
; %bb.1473:
	s_cmp_lt_i32 s22, 24
	s_cbranch_scc1 .LBB71_1493
; %bb.1474:
	s_cmp_gt_i32 s22, 24
	s_cbranch_scc0 .LBB71_1482
; %bb.1475:
	v_cndmask_b32_e64 v1, 0, 1.0, s[12:13]
	s_mov_b32 s14, 0x47800000
	v_cmp_gt_u32_e32 vcc, s14, v1
	v_mov_b32_e32 v4, 0x80
	s_and_saveexec_b64 s[14:15], vcc
	s_cbranch_execz .LBB71_1481
; %bb.1476:
	s_mov_b32 s18, 0x37ffffff
	v_cmp_lt_u32_e32 vcc, s18, v1
	s_mov_b64 s[18:19], 0
                                        ; implicit-def: $vgpr0
	s_and_saveexec_b64 s[20:21], vcc
	s_xor_b64 s[20:21], exec, s[20:21]
	s_cbranch_execz .LBB71_1735
; %bb.1477:
	v_bfe_u32 v0, v1, 21, 1
	s_mov_b32 s23, 0x88fffff
	v_add3_u32 v0, v1, v0, s23
	s_mov_b64 s[18:19], exec
	v_lshrrev_b32_e32 v0, 21, v0
                                        ; implicit-def: $vgpr1
	s_andn2_saveexec_b64 s[20:21], s[20:21]
	s_cbranch_execnz .LBB71_1736
.LBB71_1478:
	s_or_b64 exec, exec, s[20:21]
	v_mov_b32_e32 v4, 0
	s_and_saveexec_b64 s[20:21], s[18:19]
.LBB71_1479:
	v_mov_b32_e32 v4, v0
.LBB71_1480:
	s_or_b64 exec, exec, s[20:21]
.LBB71_1481:
	s_or_b64 exec, exec, s[14:15]
	s_mov_b64 s[14:15], 0
	global_store_byte v[2:3], v4, off
.LBB71_1482:
	s_and_b64 vcc, exec, s[14:15]
	s_cbranch_vccz .LBB71_1492
; %bb.1483:
	v_cndmask_b32_e64 v0, 0, 1.0, s[12:13]
	s_mov_b32 s14, 0x43f00000
	v_cmp_gt_u32_e32 vcc, s14, v0
                                        ; implicit-def: $vgpr1
	s_and_saveexec_b64 s[14:15], vcc
	s_xor_b64 s[14:15], exec, s[14:15]
	s_cbranch_execz .LBB71_1489
; %bb.1484:
	s_mov_b32 s18, 0x3c7fffff
	v_cmp_lt_u32_e32 vcc, s18, v0
                                        ; implicit-def: $vgpr1
	s_and_saveexec_b64 s[18:19], vcc
	s_xor_b64 s[18:19], exec, s[18:19]
; %bb.1485:
	v_bfe_u32 v1, v0, 20, 1
	s_mov_b32 s20, 0x407ffff
	v_add3_u32 v0, v0, v1, s20
	v_lshrrev_b32_e32 v1, 20, v0
	v_and_b32_e32 v0, 0xff00000, v0
	s_mov_b32 s20, 0x7f00000
	v_mov_b32_e32 v4, 0x7e
	v_cmp_ne_u32_e32 vcc, s20, v0
	v_cndmask_b32_e32 v1, v4, v1, vcc
                                        ; implicit-def: $vgpr0
; %bb.1486:
	s_andn2_saveexec_b64 s[18:19], s[18:19]
; %bb.1487:
	v_add_f32_e32 v1, 0x46800000, v0
; %bb.1488:
	s_or_b64 exec, exec, s[18:19]
                                        ; implicit-def: $vgpr0
.LBB71_1489:
	s_andn2_saveexec_b64 s[14:15], s[14:15]
; %bb.1490:
	s_mov_b32 s18, 0x7f800000
	v_mov_b32_e32 v1, 0x7e
	v_mov_b32_e32 v4, 0x7f
	v_cmp_lt_u32_e32 vcc, s18, v0
	v_cndmask_b32_e32 v1, v1, v4, vcc
; %bb.1491:
	s_or_b64 exec, exec, s[14:15]
	global_store_byte v[2:3], v1, off
.LBB71_1492:
	s_mov_b64 s[14:15], 0
.LBB71_1493:
	s_andn2_b64 vcc, exec, s[14:15]
	s_cbranch_vccnz .LBB71_1503
; %bb.1494:
	v_cndmask_b32_e64 v0, 0, 1.0, s[12:13]
	s_mov_b32 s14, 0x47800000
	v_cmp_gt_u32_e32 vcc, s14, v0
                                        ; implicit-def: $vgpr1
	s_and_saveexec_b64 s[14:15], vcc
	s_xor_b64 s[14:15], exec, s[14:15]
	s_cbranch_execz .LBB71_1500
; %bb.1495:
	s_mov_b32 s18, 0x387fffff
	v_cmp_lt_u32_e32 vcc, s18, v0
                                        ; implicit-def: $vgpr1
	s_and_saveexec_b64 s[18:19], vcc
	s_xor_b64 s[18:19], exec, s[18:19]
; %bb.1496:
	v_bfe_u32 v1, v0, 21, 1
	s_mov_b32 s20, 0x80fffff
	v_add3_u32 v0, v0, v1, s20
	v_lshrrev_b32_e32 v1, 21, v0
                                        ; implicit-def: $vgpr0
; %bb.1497:
	s_andn2_saveexec_b64 s[18:19], s[18:19]
; %bb.1498:
	v_add_f32_e32 v1, 0x43000000, v0
; %bb.1499:
	s_or_b64 exec, exec, s[18:19]
                                        ; implicit-def: $vgpr0
.LBB71_1500:
	s_andn2_saveexec_b64 s[14:15], s[14:15]
; %bb.1501:
	s_mov_b32 s18, 0x7f800000
	v_mov_b32_e32 v1, 0x7c
	v_mov_b32_e32 v4, 0x7f
	v_cmp_lt_u32_e32 vcc, s18, v0
	v_cndmask_b32_e32 v1, v1, v4, vcc
; %bb.1502:
	s_or_b64 exec, exec, s[14:15]
	global_store_byte v[2:3], v1, off
.LBB71_1503:
	s_mov_b64 s[14:15], 0
.LBB71_1504:
	s_andn2_b64 vcc, exec, s[14:15]
	s_mov_b64 s[14:15], 0
	s_cbranch_vccnz .LBB71_1516
; %bb.1505:
	s_cmp_gt_i32 s22, 14
	s_mov_b64 s[18:19], -1
	s_cbranch_scc0 .LBB71_1509
; %bb.1506:
	s_cmp_eq_u32 s22, 15
	s_mov_b64 s[0:1], -1
	s_cbranch_scc0 .LBB71_1508
; %bb.1507:
	v_cndmask_b32_e64 v0, 0, 1.0, s[12:13]
	v_bfe_u32 v1, v0, 16, 1
	s_movk_i32 s0, 0x7fff
	v_add3_u32 v0, v0, v1, s0
	global_store_short_d16_hi v[2:3], v0, off
	s_mov_b64 s[0:1], 0
.LBB71_1508:
	s_mov_b64 s[18:19], 0
.LBB71_1509:
	s_and_b64 vcc, exec, s[18:19]
	s_cbranch_vccz .LBB71_1516
; %bb.1510:
	s_cmp_lg_u32 s22, 11
	s_cselect_b64 s[18:19], -1, 0
	s_andn2_b64 s[0:1], s[0:1], exec
	s_and_b64 s[18:19], s[18:19], exec
	s_mov_b64 s[14:15], -1
	s_or_b64 s[0:1], s[0:1], s[18:19]
	s_branch .LBB71_1516
.LBB71_1511:
	s_or_b64 exec, exec, s[16:17]
	s_and_saveexec_b64 s[0:1], s[40:41]
	s_cbranch_execnz .LBB71_1517
.LBB71_1512:
	s_or_b64 exec, exec, s[0:1]
	s_and_saveexec_b64 s[0:1], s[22:23]
	s_xor_b64 s[0:1], exec, s[0:1]
	s_cbranch_execz .LBB71_1518
.LBB71_1513:
	v_cndmask_b32_e64 v0, 0, 1, s[12:13]
	s_waitcnt vmcnt(0)
	global_store_byte v[2:3], v0, off
	s_or_b64 exec, exec, s[0:1]
	s_and_saveexec_b64 s[0:1], s[20:21]
	s_xor_b64 s[0:1], exec, s[0:1]
	s_cbranch_execz .LBB71_1556
	s_branch .LBB71_1519
.LBB71_1514:
	s_mov_b64 s[14:15], 0
	s_mov_b64 s[8:9], -1
	s_mov_b64 s[0:1], s[40:41]
	s_branch .LBB71_1516
.LBB71_1515:
	s_mov_b64 s[14:15], 0
.LBB71_1516:
	s_and_b64 s[20:21], s[8:9], exec
	s_andn2_b64 s[8:9], s[40:41], exec
	s_and_b64 s[0:1], s[0:1], exec
	s_and_b64 s[22:23], s[14:15], exec
	s_or_b64 s[40:41], s[8:9], s[0:1]
	s_or_b64 exec, exec, s[16:17]
	s_and_saveexec_b64 s[0:1], s[40:41]
	s_cbranch_execz .LBB71_1512
.LBB71_1517:
	s_or_b64 s[10:11], s[10:11], exec
	s_andn2_b64 s[22:23], s[22:23], exec
	s_trap 2
	s_or_b64 exec, exec, s[0:1]
	s_and_saveexec_b64 s[0:1], s[22:23]
	s_xor_b64 s[0:1], exec, s[0:1]
	s_cbranch_execnz .LBB71_1513
.LBB71_1518:
	s_or_b64 exec, exec, s[0:1]
	s_and_saveexec_b64 s[0:1], s[20:21]
	s_xor_b64 s[0:1], exec, s[0:1]
	s_cbranch_execz .LBB71_1556
.LBB71_1519:
	s_sext_i32_i16 s14, s30
	s_cmp_lt_i32 s14, 5
	s_mov_b64 s[8:9], -1
	s_cbranch_scc1 .LBB71_1540
; %bb.1520:
	s_cmp_lt_i32 s14, 8
	s_cbranch_scc1 .LBB71_1530
; %bb.1521:
	s_cmp_lt_i32 s14, 9
	s_cbranch_scc1 .LBB71_1527
; %bb.1522:
	s_cmp_gt_i32 s14, 9
	s_cbranch_scc0 .LBB71_1524
; %bb.1523:
	v_cndmask_b32_e64 v0, 0, 1, s[12:13]
	s_waitcnt vmcnt(0)
	v_cvt_f64_u32_e32 v[4:5], v0
	v_mov_b32_e32 v6, 0
	v_mov_b32_e32 v7, v6
	s_mov_b64 s[8:9], 0
	global_store_dwordx4 v[2:3], v[4:7], off
.LBB71_1524:
	s_andn2_b64 vcc, exec, s[8:9]
	s_cbranch_vccnz .LBB71_1526
; %bb.1525:
	v_cndmask_b32_e64 v0, 0, 1.0, s[12:13]
	s_waitcnt vmcnt(0)
	v_mov_b32_e32 v1, 0
	global_store_dwordx2 v[2:3], v[0:1], off
.LBB71_1526:
	s_mov_b64 s[8:9], 0
.LBB71_1527:
	s_andn2_b64 vcc, exec, s[8:9]
	s_cbranch_vccnz .LBB71_1529
; %bb.1528:
	v_cndmask_b32_e64 v0, 0, 1.0, s[12:13]
	v_cvt_f16_f32_e32 v0, v0
	s_waitcnt vmcnt(0)
	global_store_dword v[2:3], v0, off
.LBB71_1529:
	s_mov_b64 s[8:9], 0
.LBB71_1530:
	s_andn2_b64 vcc, exec, s[8:9]
	s_cbranch_vccnz .LBB71_1539
; %bb.1531:
	s_sext_i32_i16 s14, s30
	s_cmp_lt_i32 s14, 6
	s_mov_b64 s[8:9], -1
	s_cbranch_scc1 .LBB71_1537
; %bb.1532:
	s_cmp_gt_i32 s14, 6
	s_cbranch_scc0 .LBB71_1534
; %bb.1533:
	v_cndmask_b32_e64 v0, 0, 1, s[12:13]
	s_waitcnt vmcnt(0)
	v_cvt_f64_u32_e32 v[0:1], v0
	s_mov_b64 s[8:9], 0
	global_store_dwordx2 v[2:3], v[0:1], off
.LBB71_1534:
	s_andn2_b64 vcc, exec, s[8:9]
	s_cbranch_vccnz .LBB71_1536
; %bb.1535:
	v_cndmask_b32_e64 v0, 0, 1.0, s[12:13]
	s_waitcnt vmcnt(0)
	global_store_dword v[2:3], v0, off
.LBB71_1536:
	s_mov_b64 s[8:9], 0
.LBB71_1537:
	s_andn2_b64 vcc, exec, s[8:9]
	s_cbranch_vccnz .LBB71_1539
; %bb.1538:
	v_cndmask_b32_e64 v0, 0, 1.0, s[12:13]
	v_cvt_f16_f32_e32 v0, v0
	s_waitcnt vmcnt(0)
	global_store_short v[2:3], v0, off
.LBB71_1539:
	s_mov_b64 s[8:9], 0
.LBB71_1540:
	s_andn2_b64 vcc, exec, s[8:9]
	s_cbranch_vccnz .LBB71_1556
; %bb.1541:
	s_sext_i32_i16 s14, s30
	s_cmp_lt_i32 s14, 2
	s_mov_b64 s[8:9], -1
	s_cbranch_scc1 .LBB71_1551
; %bb.1542:
	s_cmp_lt_i32 s14, 3
	s_cbranch_scc1 .LBB71_1548
; %bb.1543:
	s_cmp_gt_i32 s14, 3
	s_cbranch_scc0 .LBB71_1545
; %bb.1544:
	s_mov_b32 s8, 0
	v_cndmask_b32_e64 v0, 0, 1, s[12:13]
	s_waitcnt vmcnt(0)
	v_mov_b32_e32 v1, s8
	s_mov_b64 s[8:9], 0
	global_store_dwordx2 v[2:3], v[0:1], off
.LBB71_1545:
	s_andn2_b64 vcc, exec, s[8:9]
	s_cbranch_vccnz .LBB71_1547
; %bb.1546:
	v_cndmask_b32_e64 v0, 0, 1, s[12:13]
	s_waitcnt vmcnt(0)
	global_store_dword v[2:3], v0, off
.LBB71_1547:
	s_mov_b64 s[8:9], 0
.LBB71_1548:
	s_andn2_b64 vcc, exec, s[8:9]
	s_cbranch_vccnz .LBB71_1550
; %bb.1549:
	v_cndmask_b32_e64 v0, 0, 1, s[12:13]
	s_waitcnt vmcnt(0)
	global_store_short v[2:3], v0, off
.LBB71_1550:
	s_mov_b64 s[8:9], 0
.LBB71_1551:
	s_andn2_b64 vcc, exec, s[8:9]
	s_cbranch_vccnz .LBB71_1556
; %bb.1552:
	s_sext_i32_i16 s14, s30
	s_mov_b64 s[8:9], -1
	s_cmp_gt_i32 s14, 0
	v_cndmask_b32_e64 v0, 0, 1, s[12:13]
	s_cbranch_scc0 .LBB71_1554
; %bb.1553:
	s_mov_b64 s[8:9], 0
	s_waitcnt vmcnt(0)
	global_store_byte v[2:3], v0, off
.LBB71_1554:
	s_andn2_b64 vcc, exec, s[8:9]
	s_cbranch_vccnz .LBB71_1556
; %bb.1555:
	s_waitcnt vmcnt(0)
	global_store_byte v[2:3], v0, off
.LBB71_1556:
	s_or_b64 exec, exec, s[0:1]
	s_and_b64 s[12:13], s[10:11], exec
                                        ; implicit-def: $vgpr21
                                        ; implicit-def: $vgpr10
.LBB71_1557:
	s_or_saveexec_b64 s[14:15], s[26:27]
	s_mov_b64 s[0:1], 0
                                        ; implicit-def: $sgpr10_sgpr11
                                        ; implicit-def: $vgpr0_vgpr1
                                        ; implicit-def: $sgpr22
	s_xor_b64 exec, exec, s[14:15]
	s_cbranch_execz .LBB71_3038
; %bb.1558:
	v_cndmask_b32_e64 v0, 0, 1, s[24:25]
	v_cmp_ne_u32_e64 s[0:1], 1, v0
	s_andn2_b64 vcc, exec, s[24:25]
	s_cbranch_vccnz .LBB71_1564
; %bb.1559:
	s_cmp_lg_u32 s33, 0
	s_cbranch_scc0 .LBB71_1565
; %bb.1560:
	s_min_u32 s8, s72, 15
	s_add_i32 s6, s8, 1
	s_and_b32 s9, s6, 30
	s_add_u32 s6, s2, 0xffffffe8
	s_addc_u32 s7, s3, -1
	v_mov_b32_e32 v13, 0
	v_mov_b32_e32 v8, 0
	s_waitcnt vmcnt(0)
	v_mov_b32_e32 v6, 0
	v_mov_b32_e32 v0, v10
.LBB71_1561:                            ; =>This Inner Loop Header: Depth=1
	s_load_dwordx4 s[16:19], s[6:7], 0x1c
	s_load_dwordx2 s[10:11], s[6:7], 0x2c
	s_load_dwordx2 s[24:25], s[6:7], 0xec
	s_load_dwordx4 s[20:23], s[6:7], 0xdc
	s_add_u32 s6, s6, 24
	s_waitcnt lgkmcnt(0)
	v_mul_hi_u32 v1, s17, v0
	s_addc_u32 s7, s7, 0
	s_add_i32 s9, s9, -2
	s_cmp_lg_u32 s9, 0
	v_add_u32_e32 v1, v0, v1
	v_lshrrev_b32_e32 v1, s18, v1
	v_mul_lo_u32 v2, v1, s16
	v_mul_hi_u32 v3, s10, v1
	v_sub_u32_e32 v2, v0, v2
	v_add_u32_e32 v0, v1, v3
	v_lshrrev_b32_e32 v0, s11, v0
	v_mul_lo_u32 v5, v0, s19
	v_mul_lo_u32 v3, v2, s20
	v_mul_lo_u32 v4, v2, s21
	v_mul_lo_u32 v2, v2, s22
	v_sub_u32_e32 v1, v1, v5
	v_mul_lo_u32 v5, v1, s23
	v_mul_lo_u32 v7, v1, s24
	;; [unrolled: 1-line block ×3, first 2 shown]
	v_add3_u32 v6, v3, v6, v5
	v_add3_u32 v8, v4, v8, v7
	;; [unrolled: 1-line block ×3, first 2 shown]
	s_cbranch_scc1 .LBB71_1561
; %bb.1562:
	s_bitcmp1_b32 s8, 0
	s_cselect_b64 s[8:9], -1, 0
	s_and_b64 vcc, exec, s[8:9]
	s_cbranch_vccnz .LBB71_1566
; %bb.1563:
	s_load_dwordx2 s[8:9], s[6:7], 0x1c
	s_load_dword s16, s[6:7], 0x24
	s_load_dwordx2 s[10:11], s[6:7], 0xdc
	s_waitcnt lgkmcnt(0)
	v_mul_hi_u32 v1, s9, v0
	v_add_u32_e32 v1, v0, v1
	v_lshrrev_b32_e32 v1, s16, v1
	v_mul_lo_u32 v1, v1, s8
	s_load_dword s8, s[6:7], 0xe4
	v_sub_u32_e32 v0, v0, v1
	v_mad_u64_u32 v[6:7], s[6:7], v0, s10, v[6:7]
	v_mad_u64_u32 v[8:9], s[6:7], v0, s11, v[8:9]
	s_waitcnt lgkmcnt(0)
	v_mad_u64_u32 v[13:14], s[6:7], v0, s8, v[13:14]
	s_cbranch_execz .LBB71_1567
	s_branch .LBB71_1569
.LBB71_1564:
                                        ; implicit-def: $vgpr6
                                        ; implicit-def: $vgpr8
                                        ; implicit-def: $vgpr13
	s_branch .LBB71_1567
.LBB71_1565:
	s_waitcnt vmcnt(0)
	v_mov_b32_e32 v6, 0
	v_mov_b32_e32 v8, 0
	;; [unrolled: 1-line block ×3, first 2 shown]
.LBB71_1566:
	s_cbranch_execnz .LBB71_1569
.LBB71_1567:
	s_load_dwordx4 s[8:11], s[2:3], 0x4
	s_load_dwordx4 s[16:19], s[2:3], 0xc4
	s_cmp_lt_u32 s33, 2
	s_waitcnt lgkmcnt(0)
	v_mul_hi_u32 v0, s9, v10
	v_add_u32_e32 v0, v10, v0
	v_lshrrev_b32_e32 v0, s10, v0
	s_waitcnt vmcnt(0)
	v_mul_lo_u32 v1, v0, s8
	v_sub_u32_e32 v1, v10, v1
	v_mul_lo_u32 v6, v1, s16
	v_mul_lo_u32 v8, v1, s17
	;; [unrolled: 1-line block ×3, first 2 shown]
	s_cbranch_scc1 .LBB71_1569
; %bb.1568:
	s_load_dwordx4 s[8:11], s[2:3], 0x10
	s_load_dwordx4 s[16:19], s[2:3], 0xd0
	s_waitcnt lgkmcnt(0)
	v_mul_hi_u32 v1, s9, v0
	v_add_u32_e32 v1, v0, v1
	v_lshrrev_b32_e32 v1, s10, v1
	v_mul_lo_u32 v1, v1, s8
	v_sub_u32_e32 v0, v0, v1
	v_mad_u64_u32 v[6:7], s[6:7], v0, s16, v[6:7]
	v_mad_u64_u32 v[8:9], s[6:7], v0, s17, v[8:9]
	;; [unrolled: 1-line block ×3, first 2 shown]
.LBB71_1569:
	s_and_b64 vcc, exec, s[0:1]
	v_add_u32_e32 v0, 0x80, v10
	s_cbranch_vccnz .LBB71_1575
; %bb.1570:
	s_cmp_lg_u32 s33, 0
	s_cbranch_scc0 .LBB71_1576
; %bb.1571:
	s_min_u32 s8, s72, 15
	s_add_i32 s6, s8, 1
	s_and_b32 s9, s6, 30
	s_add_u32 s6, s2, 0xffffffe8
	s_addc_u32 s7, s3, -1
	v_mov_b32_e32 v18, 0
	v_mov_b32_e32 v11, 0
	s_waitcnt vmcnt(0)
	v_mov_b32_e32 v4, 0
	v_mov_b32_e32 v1, v0
.LBB71_1572:                            ; =>This Inner Loop Header: Depth=1
	s_load_dwordx4 s[16:19], s[6:7], 0x1c
	s_load_dwordx2 s[10:11], s[6:7], 0x2c
	s_load_dwordx2 s[24:25], s[6:7], 0xec
	s_load_dwordx4 s[20:23], s[6:7], 0xdc
	s_add_u32 s6, s6, 24
	s_waitcnt lgkmcnt(0)
	v_mul_hi_u32 v2, s17, v1
	s_addc_u32 s7, s7, 0
	s_add_i32 s9, s9, -2
	s_cmp_lg_u32 s9, 0
	v_add_u32_e32 v2, v1, v2
	v_lshrrev_b32_e32 v2, s18, v2
	v_mul_lo_u32 v3, v2, s16
	v_mul_hi_u32 v5, s10, v2
	v_sub_u32_e32 v3, v1, v3
	v_add_u32_e32 v1, v2, v5
	v_lshrrev_b32_e32 v1, s11, v1
	v_mul_lo_u32 v9, v1, s19
	v_mul_lo_u32 v5, v3, s20
	;; [unrolled: 1-line block ×4, first 2 shown]
	v_sub_u32_e32 v2, v2, v9
	v_mul_lo_u32 v9, v2, s23
	v_mul_lo_u32 v12, v2, s24
	;; [unrolled: 1-line block ×3, first 2 shown]
	v_add3_u32 v4, v5, v4, v9
	v_add3_u32 v11, v7, v11, v12
	;; [unrolled: 1-line block ×3, first 2 shown]
	s_cbranch_scc1 .LBB71_1572
; %bb.1573:
	s_bitcmp1_b32 s8, 0
	s_cselect_b64 s[8:9], -1, 0
	s_and_b64 vcc, exec, s[8:9]
	s_cbranch_vccnz .LBB71_1577
; %bb.1574:
	s_load_dwordx2 s[8:9], s[6:7], 0x1c
	s_load_dword s16, s[6:7], 0x24
	s_load_dwordx2 s[10:11], s[6:7], 0xdc
	s_waitcnt lgkmcnt(0)
	v_mul_hi_u32 v2, s9, v1
	v_add_u32_e32 v2, v1, v2
	v_lshrrev_b32_e32 v2, s16, v2
	v_mul_lo_u32 v2, v2, s8
	s_load_dword s8, s[6:7], 0xe4
	v_sub_u32_e32 v1, v1, v2
	v_mad_u64_u32 v[4:5], s[6:7], v1, s10, v[4:5]
	v_mad_u64_u32 v[11:12], s[6:7], v1, s11, v[11:12]
	s_waitcnt lgkmcnt(0)
	v_mad_u64_u32 v[18:19], s[6:7], v1, s8, v[18:19]
	s_cbranch_execz .LBB71_1578
	s_branch .LBB71_1580
.LBB71_1575:
                                        ; implicit-def: $vgpr4
                                        ; implicit-def: $vgpr11
                                        ; implicit-def: $vgpr18
	s_branch .LBB71_1578
.LBB71_1576:
	s_waitcnt vmcnt(0)
	v_mov_b32_e32 v4, 0
	v_mov_b32_e32 v11, 0
	;; [unrolled: 1-line block ×3, first 2 shown]
.LBB71_1577:
	s_cbranch_execnz .LBB71_1580
.LBB71_1578:
	s_load_dwordx4 s[8:11], s[2:3], 0x4
	s_load_dwordx4 s[16:19], s[2:3], 0xc4
	s_cmp_lt_u32 s33, 2
	s_waitcnt vmcnt(0) lgkmcnt(0)
	v_mul_hi_u32 v1, s9, v0
	v_add_u32_e32 v1, v0, v1
	v_lshrrev_b32_e32 v1, s10, v1
	v_mul_lo_u32 v2, v1, s8
	v_sub_u32_e32 v0, v0, v2
	v_mul_lo_u32 v4, v0, s16
	v_mul_lo_u32 v11, v0, s17
	;; [unrolled: 1-line block ×3, first 2 shown]
	s_cbranch_scc1 .LBB71_1580
; %bb.1579:
	s_load_dwordx4 s[8:11], s[2:3], 0x10
	s_load_dwordx4 s[16:19], s[2:3], 0xd0
	s_waitcnt lgkmcnt(0)
	v_mul_hi_u32 v0, s9, v1
	v_add_u32_e32 v0, v1, v0
	v_lshrrev_b32_e32 v0, s10, v0
	v_mul_lo_u32 v0, v0, s8
	v_sub_u32_e32 v0, v1, v0
	v_mad_u64_u32 v[4:5], s[6:7], v0, s16, v[4:5]
	v_mad_u64_u32 v[11:12], s[6:7], v0, s17, v[11:12]
	;; [unrolled: 1-line block ×3, first 2 shown]
.LBB71_1580:
	s_and_b64 vcc, exec, s[0:1]
	v_add_u32_e32 v0, 0x100, v10
	s_cbranch_vccnz .LBB71_1586
; %bb.1581:
	s_cmp_lg_u32 s33, 0
	s_cbranch_scc0 .LBB71_1587
; %bb.1582:
	s_min_u32 s8, s72, 15
	s_add_i32 s6, s8, 1
	s_and_b32 s9, s6, 30
	s_add_u32 s6, s2, 0xffffffe8
	s_addc_u32 s7, s3, -1
	v_mov_b32_e32 v19, 0
	v_mov_b32_e32 v16, 0
	s_waitcnt vmcnt(0)
	v_mov_b32_e32 v2, 0
	v_mov_b32_e32 v1, v0
.LBB71_1583:                            ; =>This Inner Loop Header: Depth=1
	s_load_dwordx4 s[16:19], s[6:7], 0x1c
	s_load_dwordx2 s[10:11], s[6:7], 0x2c
	s_load_dwordx2 s[24:25], s[6:7], 0xec
	s_load_dwordx4 s[20:23], s[6:7], 0xdc
	s_add_u32 s6, s6, 24
	s_waitcnt lgkmcnt(0)
	v_mul_hi_u32 v3, s17, v1
	s_addc_u32 s7, s7, 0
	s_add_i32 s9, s9, -2
	s_cmp_lg_u32 s9, 0
	v_add_u32_e32 v3, v1, v3
	v_lshrrev_b32_e32 v3, s18, v3
	v_mul_lo_u32 v5, v3, s16
	v_mul_hi_u32 v7, s10, v3
	v_sub_u32_e32 v5, v1, v5
	v_add_u32_e32 v1, v3, v7
	v_lshrrev_b32_e32 v1, s11, v1
	v_mul_lo_u32 v10, v1, s19
	v_mul_lo_u32 v7, v5, s20
	;; [unrolled: 1-line block ×4, first 2 shown]
	v_sub_u32_e32 v3, v3, v10
	v_mul_lo_u32 v10, v3, s23
	v_mul_lo_u32 v12, v3, s24
	;; [unrolled: 1-line block ×3, first 2 shown]
	v_add3_u32 v2, v7, v2, v10
	v_add3_u32 v16, v9, v16, v12
	;; [unrolled: 1-line block ×3, first 2 shown]
	s_cbranch_scc1 .LBB71_1583
; %bb.1584:
	s_bitcmp1_b32 s8, 0
	s_cselect_b64 s[8:9], -1, 0
	s_and_b64 vcc, exec, s[8:9]
	s_cbranch_vccnz .LBB71_1588
; %bb.1585:
	s_load_dwordx2 s[8:9], s[6:7], 0x1c
	s_load_dword s16, s[6:7], 0x24
	s_load_dwordx2 s[10:11], s[6:7], 0xdc
	s_waitcnt lgkmcnt(0)
	v_mul_hi_u32 v3, s9, v1
	v_add_u32_e32 v3, v1, v3
	v_lshrrev_b32_e32 v3, s16, v3
	v_mul_lo_u32 v3, v3, s8
	s_load_dword s8, s[6:7], 0xe4
	v_sub_u32_e32 v1, v1, v3
	v_mad_u64_u32 v[2:3], s[6:7], v1, s10, v[2:3]
	v_mad_u64_u32 v[16:17], s[6:7], v1, s11, v[16:17]
	s_waitcnt lgkmcnt(0)
	v_mad_u64_u32 v[19:20], s[6:7], v1, s8, v[19:20]
	s_cbranch_execz .LBB71_1589
	s_branch .LBB71_1591
.LBB71_1586:
                                        ; implicit-def: $vgpr2
                                        ; implicit-def: $vgpr16
                                        ; implicit-def: $vgpr19
	s_branch .LBB71_1589
.LBB71_1587:
	s_waitcnt vmcnt(0)
	v_mov_b32_e32 v2, 0
	v_mov_b32_e32 v16, 0
	;; [unrolled: 1-line block ×3, first 2 shown]
.LBB71_1588:
	s_cbranch_execnz .LBB71_1591
.LBB71_1589:
	s_load_dwordx4 s[8:11], s[2:3], 0x4
	s_load_dwordx4 s[16:19], s[2:3], 0xc4
	s_cmp_lt_u32 s33, 2
	s_waitcnt vmcnt(0) lgkmcnt(0)
	v_mul_hi_u32 v1, s9, v0
	v_add_u32_e32 v1, v0, v1
	v_lshrrev_b32_e32 v1, s10, v1
	v_mul_lo_u32 v2, v1, s8
	v_sub_u32_e32 v0, v0, v2
	v_mul_lo_u32 v2, v0, s16
	v_mul_lo_u32 v16, v0, s17
	;; [unrolled: 1-line block ×3, first 2 shown]
	s_cbranch_scc1 .LBB71_1591
; %bb.1590:
	s_load_dwordx4 s[8:11], s[2:3], 0x10
	s_load_dwordx4 s[16:19], s[2:3], 0xd0
	s_waitcnt lgkmcnt(0)
	v_mul_hi_u32 v0, s9, v1
	v_add_u32_e32 v0, v1, v0
	v_lshrrev_b32_e32 v0, s10, v0
	v_mul_lo_u32 v0, v0, s8
	v_sub_u32_e32 v0, v1, v0
	v_mad_u64_u32 v[2:3], s[6:7], v0, s16, v[2:3]
	v_mad_u64_u32 v[16:17], s[6:7], v0, s17, v[16:17]
	;; [unrolled: 1-line block ×3, first 2 shown]
.LBB71_1591:
	s_and_b64 vcc, exec, s[0:1]
	s_cbranch_vccnz .LBB71_1597
; %bb.1592:
	s_cmp_lg_u32 s33, 0
	s_cbranch_scc0 .LBB71_1598
; %bb.1593:
	s_min_u32 s6, s72, 15
	s_add_i32 s0, s6, 1
	s_and_b32 s7, s0, 30
	s_add_u32 s0, s2, 0xffffffe8
	s_addc_u32 s1, s3, -1
	v_mov_b32_e32 v9, 0
	v_mov_b32_e32 v14, 0
	;; [unrolled: 1-line block ×3, first 2 shown]
	s_waitcnt vmcnt(0)
	v_mov_b32_e32 v1, v21
.LBB71_1594:                            ; =>This Inner Loop Header: Depth=1
	s_load_dwordx4 s[8:11], s[0:1], 0x1c
	s_load_dwordx2 s[20:21], s[0:1], 0x2c
	s_load_dwordx2 s[22:23], s[0:1], 0xec
	s_load_dwordx4 s[16:19], s[0:1], 0xdc
	s_add_u32 s0, s0, 24
	s_waitcnt lgkmcnt(0)
	v_mul_hi_u32 v3, s9, v1
	s_addc_u32 s1, s1, 0
	s_add_i32 s7, s7, -2
	s_cmp_lg_u32 s7, 0
	v_add_u32_e32 v3, v1, v3
	v_lshrrev_b32_e32 v3, s10, v3
	v_mul_lo_u32 v5, v3, s8
	v_mul_hi_u32 v7, s20, v3
	v_sub_u32_e32 v5, v1, v5
	v_add_u32_e32 v1, v3, v7
	v_lshrrev_b32_e32 v1, s21, v1
	v_mul_lo_u32 v12, v1, s11
	v_mul_lo_u32 v7, v5, s16
	;; [unrolled: 1-line block ×4, first 2 shown]
	v_sub_u32_e32 v3, v3, v12
	v_mul_lo_u32 v12, v3, s19
	v_mul_lo_u32 v15, v3, s22
	;; [unrolled: 1-line block ×3, first 2 shown]
	v_add3_u32 v0, v7, v0, v12
	v_add3_u32 v14, v10, v14, v15
	;; [unrolled: 1-line block ×3, first 2 shown]
	s_cbranch_scc1 .LBB71_1594
; %bb.1595:
	s_bitcmp1_b32 s6, 0
	s_cselect_b64 s[6:7], -1, 0
	s_and_b64 vcc, exec, s[6:7]
	s_cbranch_vccnz .LBB71_1599
; %bb.1596:
	s_load_dwordx2 s[6:7], s[0:1], 0x1c
	s_load_dword s10, s[0:1], 0x24
	s_load_dwordx2 s[8:9], s[0:1], 0xdc
	s_waitcnt lgkmcnt(0)
	v_mul_hi_u32 v3, s7, v1
	v_add_u32_e32 v3, v1, v3
	v_lshrrev_b32_e32 v3, s10, v3
	v_mul_lo_u32 v3, v3, s6
	s_load_dword s6, s[0:1], 0xe4
	v_sub_u32_e32 v3, v1, v3
	v_mad_u64_u32 v[0:1], s[0:1], v3, s8, v[0:1]
	v_mad_u64_u32 v[14:15], s[0:1], v3, s9, v[14:15]
	s_waitcnt lgkmcnt(0)
	v_mad_u64_u32 v[9:10], s[0:1], v3, s6, v[9:10]
	s_cbranch_execz .LBB71_1600
	s_branch .LBB71_1602
.LBB71_1597:
                                        ; implicit-def: $vgpr0
                                        ; implicit-def: $vgpr14
                                        ; implicit-def: $vgpr9
	s_branch .LBB71_1600
.LBB71_1598:
	v_mov_b32_e32 v0, 0
	v_mov_b32_e32 v14, 0
	;; [unrolled: 1-line block ×3, first 2 shown]
.LBB71_1599:
	s_cbranch_execnz .LBB71_1602
.LBB71_1600:
	s_load_dwordx4 s[8:11], s[2:3], 0x4
	s_load_dwordx4 s[16:19], s[2:3], 0xc4
	s_cmp_lt_u32 s33, 2
	s_waitcnt lgkmcnt(0)
	v_mul_hi_u32 v0, s9, v21
	v_add_u32_e32 v0, v21, v0
	s_waitcnt vmcnt(0)
	v_lshrrev_b32_e32 v1, s10, v0
	v_mul_lo_u32 v0, v1, s8
	v_sub_u32_e32 v3, v21, v0
	v_mul_lo_u32 v0, v3, s16
	v_mul_lo_u32 v14, v3, s17
	v_mul_lo_u32 v9, v3, s18
	s_cbranch_scc1 .LBB71_1602
; %bb.1601:
	s_load_dwordx4 s[8:11], s[2:3], 0x10
	s_load_dwordx4 s[16:19], s[2:3], 0xd0
	s_waitcnt lgkmcnt(0)
	v_mul_hi_u32 v3, s9, v1
	v_add_u32_e32 v3, v1, v3
	v_lshrrev_b32_e32 v3, s10, v3
	v_mul_lo_u32 v3, v3, s8
	v_sub_u32_e32 v3, v1, v3
	v_mad_u64_u32 v[0:1], s[0:1], v3, s16, v[0:1]
	v_mad_u64_u32 v[14:15], s[0:1], v3, s17, v[14:15]
	;; [unrolled: 1-line block ×3, first 2 shown]
.LBB71_1602:
	s_load_dwordx4 s[8:11], s[2:3], 0x188
	s_load_dword s23, s[4:5], 0x1ac
	s_waitcnt vmcnt(0) lgkmcnt(0)
	v_mov_b32_e32 v1, s11
	s_bfe_u32 s18, s23, 0x80008
	v_add_co_u32_e32 v20, vcc, s10, v8
	s_cmp_lt_i32 s18, 11
	v_addc_co_u32_e32 v21, vcc, 0, v1, vcc
	s_cbranch_scc1 .LBB71_1609
; %bb.1603:
	s_and_b32 s19, 0xffff, s18
	s_cmp_gt_i32 s19, 25
	s_mov_b64 s[6:7], 0
	s_cbranch_scc0 .LBB71_1611
; %bb.1604:
	s_cmp_gt_i32 s19, 28
	s_cbranch_scc0 .LBB71_1612
; %bb.1605:
	s_cmp_gt_i32 s19, 43
	;; [unrolled: 3-line block ×3, first 2 shown]
	s_cbranch_scc0 .LBB71_1614
; %bb.1607:
	s_cmp_eq_u32 s19, 46
	s_mov_b64 s[4:5], 0
	s_cbranch_scc0 .LBB71_1617
; %bb.1608:
	global_load_dword v1, v[20:21], off
	s_mov_b64 s[0:1], 0
	s_mov_b64 s[16:17], -1
	s_waitcnt vmcnt(0)
	v_lshlrev_b32_e32 v1, 16, v1
	v_cvt_i32_f32_e32 v7, v1
	s_branch .LBB71_1618
.LBB71_1609:
	s_mov_b64 s[16:17], 0
                                        ; implicit-def: $vgpr7
	s_mov_b64 s[4:5], s[12:13]
	s_cbranch_execnz .LBB71_1676
.LBB71_1610:
	s_andn2_b64 vcc, exec, s[16:17]
	s_cbranch_vccz .LBB71_1721
	s_branch .LBB71_3036
.LBB71_1611:
	s_mov_b64 s[16:17], 0
	s_mov_b64 s[0:1], 0
                                        ; implicit-def: $vgpr7
	s_cbranch_execnz .LBB71_1643
	s_branch .LBB71_1672
.LBB71_1612:
	s_mov_b64 s[16:17], 0
	s_mov_b64 s[0:1], 0
                                        ; implicit-def: $vgpr7
	s_cbranch_execz .LBB71_1642
	s_branch .LBB71_1627
.LBB71_1613:
	s_mov_b64 s[16:17], 0
	s_mov_b64 s[0:1], 0
                                        ; implicit-def: $vgpr7
	s_cbranch_execnz .LBB71_1623
	s_branch .LBB71_1626
.LBB71_1614:
	s_mov_b64 s[4:5], -1
	s_mov_b64 s[16:17], 0
	s_mov_b64 s[0:1], 0
                                        ; implicit-def: $vgpr7
	s_branch .LBB71_1618
.LBB71_1615:
	s_andn2_saveexec_b64 s[18:19], s[18:19]
	s_cbranch_execz .LBB71_1466
.LBB71_1616:
	v_add_f32_e32 v0, 0x46000000, v1
	v_and_b32_e32 v0, 0xff, v0
	v_cmp_ne_u32_e32 vcc, 0, v0
	s_andn2_b64 s[14:15], s[14:15], exec
	s_and_b64 s[20:21], vcc, exec
	s_or_b64 s[14:15], s[14:15], s[20:21]
	s_or_b64 exec, exec, s[18:19]
	v_mov_b32_e32 v4, 0
	s_and_saveexec_b64 s[18:19], s[14:15]
	s_cbranch_execnz .LBB71_1467
	s_branch .LBB71_1468
.LBB71_1617:
	s_mov_b64 s[0:1], -1
                                        ; implicit-def: $vgpr7
	s_mov_b64 s[16:17], 0
.LBB71_1618:
	s_and_b64 vcc, exec, s[4:5]
	s_cbranch_vccz .LBB71_1621
; %bb.1619:
	s_cmp_eq_u32 s19, 44
	s_cbranch_scc0 .LBB71_1622
; %bb.1620:
	global_load_ubyte v1, v[20:21], off
	s_mov_b64 s[0:1], 0
	s_mov_b64 s[16:17], -1
	s_waitcnt vmcnt(0)
	v_lshlrev_b32_e32 v3, 23, v1
	v_cvt_i32_f32_e32 v3, v3
	v_cmp_ne_u32_e32 vcc, 0, v1
	v_cndmask_b32_e32 v7, 0, v3, vcc
.LBB71_1621:
	s_branch .LBB71_1626
.LBB71_1622:
	s_mov_b64 s[0:1], -1
                                        ; implicit-def: $vgpr7
	s_branch .LBB71_1626
.LBB71_1623:
	s_cmp_eq_u32 s19, 29
	s_cbranch_scc0 .LBB71_1625
; %bb.1624:
	global_load_dwordx2 v[7:8], v[20:21], off
	s_mov_b64 s[0:1], 0
	s_mov_b64 s[16:17], -1
	s_branch .LBB71_1626
.LBB71_1625:
	s_mov_b64 s[0:1], -1
                                        ; implicit-def: $vgpr7
.LBB71_1626:
	s_branch .LBB71_1642
.LBB71_1627:
	s_cmp_lt_i32 s19, 27
	s_cbranch_scc1 .LBB71_1630
; %bb.1628:
	s_cmp_gt_i32 s19, 27
	s_cbranch_scc0 .LBB71_1631
; %bb.1629:
	global_load_dword v7, v[20:21], off
	s_mov_b64 s[4:5], 0
	s_branch .LBB71_1632
.LBB71_1630:
	s_mov_b64 s[4:5], -1
                                        ; implicit-def: $vgpr7
	s_branch .LBB71_1635
.LBB71_1631:
	s_mov_b64 s[4:5], -1
                                        ; implicit-def: $vgpr7
.LBB71_1632:
	s_andn2_b64 vcc, exec, s[4:5]
	s_cbranch_vccnz .LBB71_1634
; %bb.1633:
	global_load_ushort v7, v[20:21], off
.LBB71_1634:
	s_mov_b64 s[4:5], 0
.LBB71_1635:
	s_andn2_b64 vcc, exec, s[4:5]
	s_cbranch_vccnz .LBB71_1641
; %bb.1636:
	global_load_ubyte v1, v[20:21], off
	s_movk_i32 s4, 0x7f
	s_mov_b64 s[16:17], 0
	s_waitcnt vmcnt(0)
	v_cmp_lt_i16_e32 vcc, s4, v1
	s_and_saveexec_b64 s[4:5], vcc
	s_xor_b64 s[4:5], exec, s[4:5]
	s_cbranch_execz .LBB71_1652
; %bb.1637:
	s_movk_i32 s16, 0x80
	v_cmp_ne_u16_e32 vcc, s16, v1
	s_and_b64 s[16:17], vcc, exec
	s_andn2_saveexec_b64 s[4:5], s[4:5]
	s_cbranch_execnz .LBB71_1653
.LBB71_1638:
	s_or_b64 exec, exec, s[4:5]
	v_mov_b32_e32 v7, 0
	s_and_saveexec_b64 s[4:5], s[16:17]
	s_cbranch_execz .LBB71_1640
.LBB71_1639:
	v_lshlrev_b32_e32 v3, 24, v1
	v_and_b32_e32 v1, 0xffff, v1
	v_and_b32_e32 v5, 7, v1
	v_ffbh_u32_e32 v8, v5
	v_min_u32_e32 v8, 32, v8
	v_subrev_u32_e32 v10, 28, v8
	v_bfe_u32 v7, v1, 3, 4
	v_lshlrev_b32_e32 v1, v10, v1
	v_sub_u32_e32 v8, 29, v8
	v_and_b32_e32 v1, 7, v1
	v_cmp_eq_u32_e32 vcc, 0, v7
	v_cndmask_b32_e32 v7, v7, v8, vcc
	v_cndmask_b32_e32 v1, v5, v1, vcc
	v_mov_b32_e32 v5, 0x3b800000
	v_lshlrev_b32_e32 v1, 20, v1
	v_and_b32_e32 v3, 0x80000000, v3
	v_lshl_add_u32 v5, v7, 23, v5
	v_or3_b32 v1, v3, v5, v1
	v_cvt_i32_f32_e32 v7, v1
.LBB71_1640:
	s_or_b64 exec, exec, s[4:5]
.LBB71_1641:
	s_mov_b64 s[16:17], -1
.LBB71_1642:
	s_branch .LBB71_1672
.LBB71_1643:
	s_cmp_gt_i32 s19, 22
	s_cbranch_scc0 .LBB71_1651
; %bb.1644:
	s_cmp_lt_i32 s19, 24
	s_cbranch_scc1 .LBB71_1654
; %bb.1645:
	s_cmp_gt_i32 s19, 24
	s_cbranch_scc0 .LBB71_1655
; %bb.1646:
	global_load_ubyte v1, v[20:21], off
	s_movk_i32 s4, 0x7f
	s_waitcnt vmcnt(0)
	v_cmp_lt_i16_e32 vcc, s4, v1
	s_and_saveexec_b64 s[4:5], vcc
	s_xor_b64 s[4:5], exec, s[4:5]
	s_cbranch_execz .LBB71_1666
; %bb.1647:
	s_movk_i32 s6, 0x80
	v_cmp_ne_u16_e32 vcc, s6, v1
	s_and_b64 s[6:7], vcc, exec
	s_andn2_saveexec_b64 s[4:5], s[4:5]
	s_cbranch_execnz .LBB71_1667
.LBB71_1648:
	s_or_b64 exec, exec, s[4:5]
	v_mov_b32_e32 v7, 0
	s_and_saveexec_b64 s[4:5], s[6:7]
	s_cbranch_execz .LBB71_1650
.LBB71_1649:
	v_lshlrev_b32_e32 v3, 24, v1
	v_and_b32_e32 v1, 0xffff, v1
	v_and_b32_e32 v5, 3, v1
	v_ffbh_u32_e32 v8, v5
	v_min_u32_e32 v8, 32, v8
	v_subrev_u32_e32 v10, 29, v8
	v_bfe_u32 v7, v1, 2, 5
	v_lshlrev_b32_e32 v1, v10, v1
	v_sub_u32_e32 v8, 30, v8
	v_and_b32_e32 v1, 3, v1
	v_cmp_eq_u32_e32 vcc, 0, v7
	v_cndmask_b32_e32 v7, v7, v8, vcc
	v_cndmask_b32_e32 v1, v5, v1, vcc
	v_mov_b32_e32 v5, 0x37800000
	v_lshlrev_b32_e32 v1, 21, v1
	v_and_b32_e32 v3, 0x80000000, v3
	v_lshl_add_u32 v5, v7, 23, v5
	v_or3_b32 v1, v3, v5, v1
	v_cvt_i32_f32_e32 v7, v1
.LBB71_1650:
	s_or_b64 exec, exec, s[4:5]
	s_mov_b64 s[4:5], 0
	s_branch .LBB71_1656
.LBB71_1651:
                                        ; implicit-def: $vgpr7
	s_mov_b64 s[6:7], 0
	s_branch .LBB71_1662
.LBB71_1652:
	s_andn2_saveexec_b64 s[4:5], s[4:5]
	s_cbranch_execz .LBB71_1638
.LBB71_1653:
	v_cmp_ne_u16_e32 vcc, 0, v1
	s_andn2_b64 s[16:17], s[16:17], exec
	s_and_b64 s[20:21], vcc, exec
	s_or_b64 s[16:17], s[16:17], s[20:21]
	s_or_b64 exec, exec, s[4:5]
	v_mov_b32_e32 v7, 0
	s_and_saveexec_b64 s[4:5], s[16:17]
	s_cbranch_execnz .LBB71_1639
	s_branch .LBB71_1640
.LBB71_1654:
	s_mov_b64 s[4:5], -1
                                        ; implicit-def: $vgpr7
	s_branch .LBB71_1659
.LBB71_1655:
	s_mov_b64 s[4:5], -1
                                        ; implicit-def: $vgpr7
.LBB71_1656:
	s_and_b64 vcc, exec, s[4:5]
	s_cbranch_vccz .LBB71_1658
; %bb.1657:
	global_load_ubyte v1, v[20:21], off
	s_mov_b32 s4, 0x7f800000
	s_waitcnt vmcnt(0)
	v_lshlrev_b32_e32 v1, 24, v1
	v_and_b32_e32 v3, 0x7f000000, v1
	v_ffbh_u32_e32 v5, v3
	v_min_u32_e32 v5, 32, v5
	v_sub_u32_e64 v5, v5, 4 clamp
	v_lshlrev_b32_e32 v8, v5, v3
	v_lshlrev_b32_e32 v5, 23, v5
	v_lshrrev_b32_e32 v8, 4, v8
	v_add_u32_e32 v7, 0x1000000, v3
	v_sub_u32_e32 v5, v8, v5
	v_ashrrev_i32_e32 v7, 8, v7
	v_add_u32_e32 v5, 0x3c000000, v5
	v_and_or_b32 v5, v7, s4, v5
	v_cmp_ne_u32_e32 vcc, 0, v3
	v_cndmask_b32_e32 v3, 0, v5, vcc
	s_brev_b32 s4, 1
	v_and_or_b32 v1, v1, s4, v3
	v_cvt_i32_f32_e32 v7, v1
.LBB71_1658:
	s_mov_b64 s[4:5], 0
.LBB71_1659:
	s_andn2_b64 vcc, exec, s[4:5]
	s_cbranch_vccnz .LBB71_1661
; %bb.1660:
	global_load_ubyte v1, v[20:21], off
	s_movk_i32 s4, 0x7f00
	s_brev_b32 s5, 16
	s_waitcnt vmcnt(0)
	v_lshlrev_b16_e32 v3, 8, v1
	v_lshlrev_b32_e32 v1, 25, v1
	v_lshrrev_b32_e32 v5, 4, v1
	v_and_or_b32 v7, v3, s4, 0.5
	v_or_b32_e32 v5, 0x70000000, v5
	v_add_f32_e32 v7, -0.5, v7
	v_mul_f32_e32 v5, 0x7800000, v5
	v_cmp_gt_u32_e32 vcc, s5, v1
	v_bfe_i32 v3, v3, 0, 16
	v_cndmask_b32_e32 v1, v5, v7, vcc
	s_brev_b32 s4, 1
	v_and_or_b32 v1, v3, s4, v1
	v_cvt_i32_f32_e32 v7, v1
.LBB71_1661:
	s_mov_b64 s[16:17], -1
	s_mov_b64 s[6:7], 0
	s_cbranch_execnz .LBB71_1672
.LBB71_1662:
	s_cmp_gt_i32 s19, 14
	s_cbranch_scc0 .LBB71_1665
; %bb.1663:
	s_cmp_eq_u32 s19, 15
	s_cbranch_scc0 .LBB71_1668
; %bb.1664:
	global_load_ushort v1, v[20:21], off
	s_mov_b64 s[0:1], 0
	s_mov_b64 s[16:17], -1
	s_waitcnt vmcnt(0)
	v_lshlrev_b32_e32 v1, 16, v1
	v_cvt_i32_f32_e32 v7, v1
	s_branch .LBB71_1669
.LBB71_1665:
	s_mov_b64 s[4:5], -1
                                        ; implicit-def: $vgpr7
	s_branch .LBB71_1670
.LBB71_1666:
	s_andn2_saveexec_b64 s[4:5], s[4:5]
	s_cbranch_execz .LBB71_1648
.LBB71_1667:
	v_cmp_ne_u16_e32 vcc, 0, v1
	s_andn2_b64 s[6:7], s[6:7], exec
	s_and_b64 s[16:17], vcc, exec
	s_or_b64 s[6:7], s[6:7], s[16:17]
	s_or_b64 exec, exec, s[4:5]
	v_mov_b32_e32 v7, 0
	s_and_saveexec_b64 s[4:5], s[6:7]
	s_cbranch_execnz .LBB71_1649
	s_branch .LBB71_1650
.LBB71_1668:
	s_mov_b64 s[0:1], -1
                                        ; implicit-def: $vgpr7
.LBB71_1669:
	s_mov_b64 s[4:5], 0
.LBB71_1670:
	s_and_b64 vcc, exec, s[4:5]
	s_cbranch_vccz .LBB71_1672
; %bb.1671:
	s_cmp_lg_u32 s19, 11
	s_mov_b64 s[6:7], -1
	s_cselect_b64 s[0:1], -1, 0
.LBB71_1672:
	s_and_b64 vcc, exec, s[0:1]
	s_mov_b64 s[4:5], s[12:13]
	s_cbranch_vccnz .LBB71_1733
; %bb.1673:
	s_andn2_b64 vcc, exec, s[6:7]
	s_cbranch_vccnz .LBB71_1675
.LBB71_1674:
	global_load_ubyte v1, v[20:21], off
	s_mov_b64 s[16:17], -1
	s_waitcnt vmcnt(0)
	v_cmp_ne_u16_e32 vcc, 0, v1
	v_cndmask_b32_e64 v7, 0, 1, vcc
.LBB71_1675:
	s_branch .LBB71_1610
.LBB71_1676:
	s_and_b32 s6, 0xffff, s18
	s_cmp_lt_i32 s6, 5
	s_cbranch_scc1 .LBB71_1681
; %bb.1677:
	s_cmp_lt_i32 s6, 8
	s_cbranch_scc1 .LBB71_1682
; %bb.1678:
	;; [unrolled: 3-line block ×3, first 2 shown]
	s_cmp_gt_i32 s6, 9
	s_cbranch_scc0 .LBB71_1684
; %bb.1680:
	global_load_dwordx2 v[7:8], v[20:21], off
	s_mov_b64 s[0:1], 0
	s_waitcnt vmcnt(0)
	v_cvt_i32_f64_e32 v7, v[7:8]
	s_branch .LBB71_1685
.LBB71_1681:
                                        ; implicit-def: $vgpr7
	s_branch .LBB71_1702
.LBB71_1682:
                                        ; implicit-def: $vgpr7
	s_branch .LBB71_1691
.LBB71_1683:
	s_mov_b64 s[0:1], -1
                                        ; implicit-def: $vgpr7
	s_branch .LBB71_1688
.LBB71_1684:
	s_mov_b64 s[0:1], -1
                                        ; implicit-def: $vgpr7
.LBB71_1685:
	s_andn2_b64 vcc, exec, s[0:1]
	s_cbranch_vccnz .LBB71_1687
; %bb.1686:
	global_load_dword v1, v[20:21], off
	s_waitcnt vmcnt(0)
	v_cvt_i32_f32_e32 v7, v1
.LBB71_1687:
	s_mov_b64 s[0:1], 0
.LBB71_1688:
	s_andn2_b64 vcc, exec, s[0:1]
	s_cbranch_vccnz .LBB71_1690
; %bb.1689:
	global_load_dword v1, v[20:21], off
	s_waitcnt vmcnt(0)
	v_cvt_i16_f16_e32 v7, v1
.LBB71_1690:
	s_cbranch_execnz .LBB71_1701
.LBB71_1691:
	s_cmp_lt_i32 s6, 6
	s_cbranch_scc1 .LBB71_1694
; %bb.1692:
	s_cmp_gt_i32 s6, 6
	s_cbranch_scc0 .LBB71_1695
; %bb.1693:
	global_load_dwordx2 v[7:8], v[20:21], off
	s_mov_b64 s[0:1], 0
	s_waitcnt vmcnt(0)
	v_cvt_i32_f64_e32 v7, v[7:8]
	s_branch .LBB71_1696
.LBB71_1694:
	s_mov_b64 s[0:1], -1
                                        ; implicit-def: $vgpr7
	s_branch .LBB71_1699
.LBB71_1695:
	s_mov_b64 s[0:1], -1
                                        ; implicit-def: $vgpr7
.LBB71_1696:
	s_andn2_b64 vcc, exec, s[0:1]
	s_cbranch_vccnz .LBB71_1698
; %bb.1697:
	global_load_dword v1, v[20:21], off
	s_waitcnt vmcnt(0)
	v_cvt_i32_f32_e32 v7, v1
.LBB71_1698:
	s_mov_b64 s[0:1], 0
.LBB71_1699:
	s_andn2_b64 vcc, exec, s[0:1]
	s_cbranch_vccnz .LBB71_1701
; %bb.1700:
	global_load_ushort v1, v[20:21], off
	s_waitcnt vmcnt(0)
	v_cvt_i16_f16_e32 v7, v1
.LBB71_1701:
	s_cbranch_execnz .LBB71_1720
.LBB71_1702:
	s_cmp_lt_i32 s6, 2
	s_cbranch_scc1 .LBB71_1706
; %bb.1703:
	s_cmp_lt_i32 s6, 3
	s_cbranch_scc1 .LBB71_1707
; %bb.1704:
	s_cmp_gt_i32 s6, 3
	s_cbranch_scc0 .LBB71_1708
; %bb.1705:
	global_load_dwordx2 v[7:8], v[20:21], off
	s_mov_b64 s[0:1], 0
	s_branch .LBB71_1709
.LBB71_1706:
                                        ; implicit-def: $vgpr7
	s_branch .LBB71_1715
.LBB71_1707:
	s_mov_b64 s[0:1], -1
                                        ; implicit-def: $vgpr7
	s_branch .LBB71_1712
.LBB71_1708:
	s_mov_b64 s[0:1], -1
                                        ; implicit-def: $vgpr7
.LBB71_1709:
	s_andn2_b64 vcc, exec, s[0:1]
	s_cbranch_vccnz .LBB71_1711
; %bb.1710:
	global_load_dword v7, v[20:21], off
.LBB71_1711:
	s_mov_b64 s[0:1], 0
.LBB71_1712:
	s_andn2_b64 vcc, exec, s[0:1]
	s_cbranch_vccnz .LBB71_1714
; %bb.1713:
	global_load_ushort v7, v[20:21], off
.LBB71_1714:
	s_cbranch_execnz .LBB71_1720
.LBB71_1715:
	s_cmp_gt_i32 s6, 0
	s_cbranch_scc0 .LBB71_1717
; %bb.1716:
	global_load_sbyte v7, v[20:21], off
	s_mov_b64 s[0:1], 0
	s_branch .LBB71_1718
.LBB71_1717:
	s_mov_b64 s[0:1], -1
                                        ; implicit-def: $vgpr7
.LBB71_1718:
	s_andn2_b64 vcc, exec, s[0:1]
	s_cbranch_vccnz .LBB71_1720
; %bb.1719:
	global_load_ubyte v7, v[20:21], off
.LBB71_1720:
.LBB71_1721:
	s_load_dwordx2 s[0:1], s[2:3], 0x198
	s_bfe_u32 s22, s23, 0x80010
	s_cmp_lt_i32 s22, 11
	s_waitcnt lgkmcnt(0)
	v_mov_b32_e32 v1, s1
	v_add_co_u32_e32 v20, vcc, s0, v13
	v_addc_co_u32_e32 v21, vcc, 0, v1, vcc
	s_cbranch_scc1 .LBB71_1728
; %bb.1722:
	s_and_b32 s24, 0xffff, s22
	s_cmp_gt_i32 s24, 25
	s_mov_b64 s[16:17], 0
	s_cbranch_scc0 .LBB71_1730
; %bb.1723:
	s_cmp_gt_i32 s24, 28
	s_cbranch_scc0 .LBB71_1731
; %bb.1724:
	s_cmp_gt_i32 s24, 43
	;; [unrolled: 3-line block ×3, first 2 shown]
	s_cbranch_scc0 .LBB71_1734
; %bb.1726:
	s_cmp_eq_u32 s24, 46
	s_mov_b64 s[20:21], 0
	s_cbranch_scc0 .LBB71_1737
; %bb.1727:
	global_load_dword v1, v[20:21], off
	s_mov_b64 s[6:7], 0
	s_mov_b64 s[18:19], -1
	s_waitcnt vmcnt(0)
	v_lshlrev_b32_e32 v1, 16, v1
	v_cvt_i32_f32_e32 v12, v1
	s_branch .LBB71_1738
.LBB71_1728:
	s_mov_b64 s[18:19], 0
                                        ; implicit-def: $vgpr12
	s_cbranch_execnz .LBB71_1799
.LBB71_1729:
	s_andn2_b64 vcc, exec, s[18:19]
	s_cbranch_vccnz .LBB71_3036
	s_branch .LBB71_1846
.LBB71_1730:
	s_mov_b64 s[18:19], 0
	s_mov_b64 s[6:7], 0
                                        ; implicit-def: $vgpr12
	s_cbranch_execnz .LBB71_1765
	s_branch .LBB71_1795
.LBB71_1731:
	s_mov_b64 s[20:21], -1
	s_mov_b64 s[18:19], 0
	s_mov_b64 s[6:7], 0
                                        ; implicit-def: $vgpr12
	s_branch .LBB71_1748
.LBB71_1732:
	s_mov_b64 s[20:21], -1
	s_mov_b64 s[18:19], 0
	s_mov_b64 s[6:7], 0
                                        ; implicit-def: $vgpr12
	s_branch .LBB71_1743
.LBB71_1733:
	s_or_b64 s[4:5], s[12:13], exec
	s_trap 2
	s_cbranch_execz .LBB71_1674
	s_branch .LBB71_1675
.LBB71_1734:
	s_mov_b64 s[20:21], -1
	s_mov_b64 s[18:19], 0
	s_mov_b64 s[6:7], 0
                                        ; implicit-def: $vgpr12
	s_branch .LBB71_1738
.LBB71_1735:
	s_andn2_saveexec_b64 s[20:21], s[20:21]
	s_cbranch_execz .LBB71_1478
.LBB71_1736:
	v_add_f32_e32 v0, 0x42800000, v1
	v_and_b32_e32 v0, 0xff, v0
	v_cmp_ne_u32_e32 vcc, 0, v0
	s_andn2_b64 s[18:19], s[18:19], exec
	s_and_b64 s[28:29], vcc, exec
	s_or_b64 s[18:19], s[18:19], s[28:29]
	s_or_b64 exec, exec, s[20:21]
	v_mov_b32_e32 v4, 0
	s_and_saveexec_b64 s[20:21], s[18:19]
	s_cbranch_execnz .LBB71_1479
	s_branch .LBB71_1480
.LBB71_1737:
	s_mov_b64 s[6:7], -1
                                        ; implicit-def: $vgpr12
	s_mov_b64 s[18:19], 0
.LBB71_1738:
	s_and_b64 vcc, exec, s[20:21]
	s_cbranch_vccz .LBB71_1742
; %bb.1739:
	s_cmp_eq_u32 s24, 44
	s_cbranch_scc0 .LBB71_1741
; %bb.1740:
	global_load_ubyte v1, v[20:21], off
	s_mov_b64 s[6:7], 0
	s_mov_b64 s[18:19], -1
	s_waitcnt vmcnt(0)
	v_lshlrev_b32_e32 v3, 23, v1
	v_cvt_i32_f32_e32 v3, v3
	v_cmp_ne_u32_e32 vcc, 0, v1
	v_cndmask_b32_e32 v12, 0, v3, vcc
	s_branch .LBB71_1742
.LBB71_1741:
	s_mov_b64 s[6:7], -1
                                        ; implicit-def: $vgpr12
.LBB71_1742:
	s_mov_b64 s[20:21], 0
.LBB71_1743:
	s_and_b64 vcc, exec, s[20:21]
	s_cbranch_vccz .LBB71_1747
; %bb.1744:
	s_cmp_eq_u32 s24, 29
	s_cbranch_scc0 .LBB71_1746
; %bb.1745:
	global_load_dwordx2 v[12:13], v[20:21], off
	s_mov_b64 s[6:7], 0
	s_mov_b64 s[18:19], -1
	s_branch .LBB71_1747
.LBB71_1746:
	s_mov_b64 s[6:7], -1
                                        ; implicit-def: $vgpr12
.LBB71_1747:
	s_mov_b64 s[20:21], 0
.LBB71_1748:
	s_and_b64 vcc, exec, s[20:21]
	s_cbranch_vccz .LBB71_1764
; %bb.1749:
	s_cmp_lt_i32 s24, 27
	s_cbranch_scc1 .LBB71_1752
; %bb.1750:
	s_cmp_gt_i32 s24, 27
	s_cbranch_scc0 .LBB71_1753
; %bb.1751:
	global_load_dword v12, v[20:21], off
	s_mov_b64 s[18:19], 0
	s_branch .LBB71_1754
.LBB71_1752:
	s_mov_b64 s[18:19], -1
                                        ; implicit-def: $vgpr12
	s_branch .LBB71_1757
.LBB71_1753:
	s_mov_b64 s[18:19], -1
                                        ; implicit-def: $vgpr12
.LBB71_1754:
	s_andn2_b64 vcc, exec, s[18:19]
	s_cbranch_vccnz .LBB71_1756
; %bb.1755:
	global_load_ushort v12, v[20:21], off
.LBB71_1756:
	s_mov_b64 s[18:19], 0
.LBB71_1757:
	s_andn2_b64 vcc, exec, s[18:19]
	s_cbranch_vccnz .LBB71_1763
; %bb.1758:
	global_load_ubyte v1, v[20:21], off
	s_movk_i32 s18, 0x7f
	s_mov_b64 s[20:21], 0
	s_waitcnt vmcnt(0)
	v_cmp_lt_i16_e32 vcc, s18, v1
	s_and_saveexec_b64 s[18:19], vcc
	s_xor_b64 s[18:19], exec, s[18:19]
	s_cbranch_execz .LBB71_1774
; %bb.1759:
	s_movk_i32 s20, 0x80
	v_cmp_ne_u16_e32 vcc, s20, v1
	s_and_b64 s[20:21], vcc, exec
	s_andn2_saveexec_b64 s[18:19], s[18:19]
	s_cbranch_execnz .LBB71_1775
.LBB71_1760:
	s_or_b64 exec, exec, s[18:19]
	v_mov_b32_e32 v12, 0
	s_and_saveexec_b64 s[18:19], s[20:21]
	s_cbranch_execz .LBB71_1762
.LBB71_1761:
	v_lshlrev_b32_e32 v3, 24, v1
	v_and_b32_e32 v1, 0xffff, v1
	v_and_b32_e32 v5, 7, v1
	v_ffbh_u32_e32 v10, v5
	v_min_u32_e32 v10, 32, v10
	v_subrev_u32_e32 v12, 28, v10
	v_bfe_u32 v8, v1, 3, 4
	v_lshlrev_b32_e32 v1, v12, v1
	v_sub_u32_e32 v10, 29, v10
	v_and_b32_e32 v1, 7, v1
	v_cmp_eq_u32_e32 vcc, 0, v8
	v_cndmask_b32_e32 v8, v8, v10, vcc
	v_cndmask_b32_e32 v1, v5, v1, vcc
	v_mov_b32_e32 v5, 0x3b800000
	v_lshlrev_b32_e32 v1, 20, v1
	v_and_b32_e32 v3, 0x80000000, v3
	v_lshl_add_u32 v5, v8, 23, v5
	v_or3_b32 v1, v3, v5, v1
	v_cvt_i32_f32_e32 v12, v1
.LBB71_1762:
	s_or_b64 exec, exec, s[18:19]
.LBB71_1763:
	s_mov_b64 s[18:19], -1
.LBB71_1764:
	s_branch .LBB71_1795
.LBB71_1765:
	s_cmp_gt_i32 s24, 22
	s_cbranch_scc0 .LBB71_1773
; %bb.1766:
	s_cmp_lt_i32 s24, 24
	s_cbranch_scc1 .LBB71_1776
; %bb.1767:
	s_cmp_gt_i32 s24, 24
	s_cbranch_scc0 .LBB71_1777
; %bb.1768:
	global_load_ubyte v1, v[20:21], off
	s_movk_i32 s16, 0x7f
	s_mov_b64 s[18:19], 0
	s_waitcnt vmcnt(0)
	v_cmp_lt_i16_e32 vcc, s16, v1
	s_and_saveexec_b64 s[16:17], vcc
	s_xor_b64 s[16:17], exec, s[16:17]
	s_cbranch_execz .LBB71_1789
; %bb.1769:
	s_movk_i32 s18, 0x80
	v_cmp_ne_u16_e32 vcc, s18, v1
	s_and_b64 s[18:19], vcc, exec
	s_andn2_saveexec_b64 s[16:17], s[16:17]
	s_cbranch_execnz .LBB71_1790
.LBB71_1770:
	s_or_b64 exec, exec, s[16:17]
	v_mov_b32_e32 v12, 0
	s_and_saveexec_b64 s[16:17], s[18:19]
	s_cbranch_execz .LBB71_1772
.LBB71_1771:
	v_lshlrev_b32_e32 v3, 24, v1
	v_and_b32_e32 v1, 0xffff, v1
	v_and_b32_e32 v5, 3, v1
	v_ffbh_u32_e32 v10, v5
	v_min_u32_e32 v10, 32, v10
	v_subrev_u32_e32 v12, 29, v10
	v_bfe_u32 v8, v1, 2, 5
	v_lshlrev_b32_e32 v1, v12, v1
	v_sub_u32_e32 v10, 30, v10
	v_and_b32_e32 v1, 3, v1
	v_cmp_eq_u32_e32 vcc, 0, v8
	v_cndmask_b32_e32 v8, v8, v10, vcc
	v_cndmask_b32_e32 v1, v5, v1, vcc
	v_mov_b32_e32 v5, 0x37800000
	v_lshlrev_b32_e32 v1, 21, v1
	v_and_b32_e32 v3, 0x80000000, v3
	v_lshl_add_u32 v5, v8, 23, v5
	v_or3_b32 v1, v3, v5, v1
	v_cvt_i32_f32_e32 v12, v1
.LBB71_1772:
	s_or_b64 exec, exec, s[16:17]
	s_mov_b64 s[16:17], 0
	s_branch .LBB71_1778
.LBB71_1773:
	s_mov_b64 s[16:17], -1
                                        ; implicit-def: $vgpr12
	s_branch .LBB71_1784
.LBB71_1774:
	s_andn2_saveexec_b64 s[18:19], s[18:19]
	s_cbranch_execz .LBB71_1760
.LBB71_1775:
	v_cmp_ne_u16_e32 vcc, 0, v1
	s_andn2_b64 s[20:21], s[20:21], exec
	s_and_b64 s[26:27], vcc, exec
	s_or_b64 s[20:21], s[20:21], s[26:27]
	s_or_b64 exec, exec, s[18:19]
	v_mov_b32_e32 v12, 0
	s_and_saveexec_b64 s[18:19], s[20:21]
	s_cbranch_execnz .LBB71_1761
	s_branch .LBB71_1762
.LBB71_1776:
	s_mov_b64 s[16:17], -1
                                        ; implicit-def: $vgpr12
	s_branch .LBB71_1781
.LBB71_1777:
	s_mov_b64 s[16:17], -1
                                        ; implicit-def: $vgpr12
.LBB71_1778:
	s_and_b64 vcc, exec, s[16:17]
	s_cbranch_vccz .LBB71_1780
; %bb.1779:
	global_load_ubyte v1, v[20:21], off
	s_mov_b32 s16, 0x7f800000
	s_waitcnt vmcnt(0)
	v_lshlrev_b32_e32 v1, 24, v1
	v_and_b32_e32 v3, 0x7f000000, v1
	v_ffbh_u32_e32 v5, v3
	v_min_u32_e32 v5, 32, v5
	v_sub_u32_e64 v5, v5, 4 clamp
	v_lshlrev_b32_e32 v10, v5, v3
	v_lshlrev_b32_e32 v5, 23, v5
	v_lshrrev_b32_e32 v10, 4, v10
	v_add_u32_e32 v8, 0x1000000, v3
	v_sub_u32_e32 v5, v10, v5
	v_ashrrev_i32_e32 v8, 8, v8
	v_add_u32_e32 v5, 0x3c000000, v5
	v_and_or_b32 v5, v8, s16, v5
	v_cmp_ne_u32_e32 vcc, 0, v3
	v_cndmask_b32_e32 v3, 0, v5, vcc
	s_brev_b32 s16, 1
	v_and_or_b32 v1, v1, s16, v3
	v_cvt_i32_f32_e32 v12, v1
.LBB71_1780:
	s_mov_b64 s[16:17], 0
.LBB71_1781:
	s_andn2_b64 vcc, exec, s[16:17]
	s_cbranch_vccnz .LBB71_1783
; %bb.1782:
	global_load_ubyte v1, v[20:21], off
	s_movk_i32 s16, 0x7f00
	s_brev_b32 s17, 16
	s_waitcnt vmcnt(0)
	v_lshlrev_b16_e32 v3, 8, v1
	v_lshlrev_b32_e32 v1, 25, v1
	v_lshrrev_b32_e32 v5, 4, v1
	v_and_or_b32 v8, v3, s16, 0.5
	v_or_b32_e32 v5, 0x70000000, v5
	v_add_f32_e32 v8, -0.5, v8
	v_mul_f32_e32 v5, 0x7800000, v5
	v_cmp_gt_u32_e32 vcc, s17, v1
	v_bfe_i32 v3, v3, 0, 16
	v_cndmask_b32_e32 v1, v5, v8, vcc
	s_brev_b32 s16, 1
	v_and_or_b32 v1, v3, s16, v1
	v_cvt_i32_f32_e32 v12, v1
.LBB71_1783:
	s_mov_b64 s[16:17], 0
	s_mov_b64 s[18:19], -1
.LBB71_1784:
	s_andn2_b64 vcc, exec, s[16:17]
	s_mov_b64 s[16:17], 0
	s_cbranch_vccnz .LBB71_1795
; %bb.1785:
	s_cmp_gt_i32 s24, 14
	s_cbranch_scc0 .LBB71_1788
; %bb.1786:
	s_cmp_eq_u32 s24, 15
	s_cbranch_scc0 .LBB71_1791
; %bb.1787:
	global_load_ushort v1, v[20:21], off
	s_mov_b64 s[6:7], 0
	s_mov_b64 s[18:19], -1
	s_waitcnt vmcnt(0)
	v_lshlrev_b32_e32 v1, 16, v1
	v_cvt_i32_f32_e32 v12, v1
	s_branch .LBB71_1792
.LBB71_1788:
	s_mov_b64 s[20:21], -1
                                        ; implicit-def: $vgpr12
	s_branch .LBB71_1793
.LBB71_1789:
	s_andn2_saveexec_b64 s[16:17], s[16:17]
	s_cbranch_execz .LBB71_1770
.LBB71_1790:
	v_cmp_ne_u16_e32 vcc, 0, v1
	s_andn2_b64 s[18:19], s[18:19], exec
	s_and_b64 s[20:21], vcc, exec
	s_or_b64 s[18:19], s[18:19], s[20:21]
	s_or_b64 exec, exec, s[16:17]
	v_mov_b32_e32 v12, 0
	s_and_saveexec_b64 s[16:17], s[18:19]
	s_cbranch_execnz .LBB71_1771
	s_branch .LBB71_1772
.LBB71_1791:
	s_mov_b64 s[6:7], -1
                                        ; implicit-def: $vgpr12
.LBB71_1792:
	s_mov_b64 s[20:21], 0
.LBB71_1793:
	s_and_b64 vcc, exec, s[20:21]
	s_cbranch_vccz .LBB71_1795
; %bb.1794:
	s_cmp_lg_u32 s24, 11
	s_mov_b64 s[16:17], -1
	s_cselect_b64 s[6:7], -1, 0
.LBB71_1795:
	s_and_b64 vcc, exec, s[6:7]
	s_cbranch_vccnz .LBB71_1858
; %bb.1796:
	s_andn2_b64 vcc, exec, s[16:17]
	s_cbranch_vccnz .LBB71_1798
.LBB71_1797:
	global_load_ubyte v1, v[20:21], off
	s_mov_b64 s[18:19], -1
	s_waitcnt vmcnt(0)
	v_cmp_ne_u16_e32 vcc, 0, v1
	v_cndmask_b32_e64 v12, 0, 1, vcc
.LBB71_1798:
	s_branch .LBB71_1729
.LBB71_1799:
	s_and_b32 s16, 0xffff, s22
	s_cmp_lt_i32 s16, 5
	s_cbranch_scc1 .LBB71_1804
; %bb.1800:
	s_cmp_lt_i32 s16, 8
	s_cbranch_scc1 .LBB71_1805
; %bb.1801:
	;; [unrolled: 3-line block ×3, first 2 shown]
	s_cmp_gt_i32 s16, 9
	s_cbranch_scc0 .LBB71_1807
; %bb.1803:
	global_load_dwordx2 v[12:13], v[20:21], off
	s_mov_b64 s[6:7], 0
	s_waitcnt vmcnt(0)
	v_cvt_i32_f64_e32 v12, v[12:13]
	s_branch .LBB71_1808
.LBB71_1804:
                                        ; implicit-def: $vgpr12
	s_branch .LBB71_1826
.LBB71_1805:
	s_mov_b64 s[6:7], -1
                                        ; implicit-def: $vgpr12
	s_branch .LBB71_1814
.LBB71_1806:
	s_mov_b64 s[6:7], -1
                                        ; implicit-def: $vgpr12
	s_branch .LBB71_1811
.LBB71_1807:
	s_mov_b64 s[6:7], -1
                                        ; implicit-def: $vgpr12
.LBB71_1808:
	s_andn2_b64 vcc, exec, s[6:7]
	s_cbranch_vccnz .LBB71_1810
; %bb.1809:
	global_load_dword v1, v[20:21], off
	s_waitcnt vmcnt(0)
	v_cvt_i32_f32_e32 v12, v1
.LBB71_1810:
	s_mov_b64 s[6:7], 0
.LBB71_1811:
	s_andn2_b64 vcc, exec, s[6:7]
	s_cbranch_vccnz .LBB71_1813
; %bb.1812:
	global_load_dword v1, v[20:21], off
	s_waitcnt vmcnt(0)
	v_cvt_i16_f16_e32 v12, v1
.LBB71_1813:
	s_mov_b64 s[6:7], 0
.LBB71_1814:
	s_andn2_b64 vcc, exec, s[6:7]
	s_cbranch_vccnz .LBB71_1825
; %bb.1815:
	s_cmp_lt_i32 s16, 6
	s_cbranch_scc1 .LBB71_1818
; %bb.1816:
	s_cmp_gt_i32 s16, 6
	s_cbranch_scc0 .LBB71_1819
; %bb.1817:
	global_load_dwordx2 v[12:13], v[20:21], off
	s_mov_b64 s[6:7], 0
	s_waitcnt vmcnt(0)
	v_cvt_i32_f64_e32 v12, v[12:13]
	s_branch .LBB71_1820
.LBB71_1818:
	s_mov_b64 s[6:7], -1
                                        ; implicit-def: $vgpr12
	s_branch .LBB71_1823
.LBB71_1819:
	s_mov_b64 s[6:7], -1
                                        ; implicit-def: $vgpr12
.LBB71_1820:
	s_andn2_b64 vcc, exec, s[6:7]
	s_cbranch_vccnz .LBB71_1822
; %bb.1821:
	global_load_dword v1, v[20:21], off
	s_waitcnt vmcnt(0)
	v_cvt_i32_f32_e32 v12, v1
.LBB71_1822:
	s_mov_b64 s[6:7], 0
.LBB71_1823:
	s_andn2_b64 vcc, exec, s[6:7]
	s_cbranch_vccnz .LBB71_1825
; %bb.1824:
	global_load_ushort v1, v[20:21], off
	s_waitcnt vmcnt(0)
	v_cvt_i16_f16_e32 v12, v1
.LBB71_1825:
	s_cbranch_execnz .LBB71_1845
.LBB71_1826:
	s_cmp_lt_i32 s16, 2
	s_cbranch_scc1 .LBB71_1830
; %bb.1827:
	s_cmp_lt_i32 s16, 3
	s_cbranch_scc1 .LBB71_1831
; %bb.1828:
	s_cmp_gt_i32 s16, 3
	s_cbranch_scc0 .LBB71_1832
; %bb.1829:
	global_load_dwordx2 v[12:13], v[20:21], off
	s_mov_b64 s[6:7], 0
	s_branch .LBB71_1833
.LBB71_1830:
	s_mov_b64 s[6:7], -1
                                        ; implicit-def: $vgpr12
	s_branch .LBB71_1839
.LBB71_1831:
	s_mov_b64 s[6:7], -1
                                        ; implicit-def: $vgpr12
	s_branch .LBB71_1836
.LBB71_1832:
	s_mov_b64 s[6:7], -1
                                        ; implicit-def: $vgpr12
.LBB71_1833:
	s_andn2_b64 vcc, exec, s[6:7]
	s_cbranch_vccnz .LBB71_1835
; %bb.1834:
	global_load_dword v12, v[20:21], off
.LBB71_1835:
	s_mov_b64 s[6:7], 0
.LBB71_1836:
	s_andn2_b64 vcc, exec, s[6:7]
	s_cbranch_vccnz .LBB71_1838
; %bb.1837:
	global_load_ushort v12, v[20:21], off
.LBB71_1838:
	s_mov_b64 s[6:7], 0
.LBB71_1839:
	s_andn2_b64 vcc, exec, s[6:7]
	s_cbranch_vccnz .LBB71_1845
; %bb.1840:
	s_cmp_gt_i32 s16, 0
	s_cbranch_scc0 .LBB71_1842
; %bb.1841:
	global_load_sbyte v12, v[20:21], off
	s_mov_b64 s[6:7], 0
	s_branch .LBB71_1843
.LBB71_1842:
	s_mov_b64 s[6:7], -1
                                        ; implicit-def: $vgpr12
.LBB71_1843:
	s_andn2_b64 vcc, exec, s[6:7]
	s_cbranch_vccnz .LBB71_1845
; %bb.1844:
	global_load_ubyte v12, v[20:21], off
.LBB71_1845:
.LBB71_1846:
	s_lshr_b32 s6, s23, 8
	v_mov_b32_e32 v1, s11
	s_and_b32 s22, s6, 0xff
	v_add_co_u32_e32 v20, vcc, s10, v11
	s_cmp_lt_i32 s22, 11
	v_addc_co_u32_e32 v21, vcc, 0, v1, vcc
	s_cbranch_scc1 .LBB71_1853
; %bb.1847:
	s_and_b32 s24, 0xffff, s22
	s_cmp_gt_i32 s24, 25
	s_mov_b64 s[16:17], 0
	s_cbranch_scc0 .LBB71_1855
; %bb.1848:
	s_cmp_gt_i32 s24, 28
	s_cbranch_scc0 .LBB71_1856
; %bb.1849:
	s_cmp_gt_i32 s24, 43
	;; [unrolled: 3-line block ×3, first 2 shown]
	s_cbranch_scc0 .LBB71_1859
; %bb.1851:
	s_cmp_eq_u32 s24, 46
	s_mov_b64 s[20:21], 0
	s_cbranch_scc0 .LBB71_1860
; %bb.1852:
	global_load_dword v1, v[20:21], off
	s_mov_b64 s[6:7], 0
	s_mov_b64 s[18:19], -1
	s_waitcnt vmcnt(0)
	v_lshlrev_b32_e32 v1, 16, v1
	v_cvt_i32_f32_e32 v10, v1
	s_branch .LBB71_1861
.LBB71_1853:
	s_mov_b64 s[18:19], 0
                                        ; implicit-def: $vgpr10
	s_cbranch_execnz .LBB71_1923
.LBB71_1854:
	s_andn2_b64 vcc, exec, s[18:19]
	s_cbranch_vccnz .LBB71_3036
	s_branch .LBB71_1971
.LBB71_1855:
	s_mov_b64 s[20:21], -1
	s_mov_b64 s[18:19], 0
	s_mov_b64 s[6:7], 0
                                        ; implicit-def: $vgpr10
	s_branch .LBB71_1888
.LBB71_1856:
	s_mov_b64 s[20:21], -1
	s_mov_b64 s[18:19], 0
	s_mov_b64 s[6:7], 0
                                        ; implicit-def: $vgpr10
	s_branch .LBB71_1871
.LBB71_1857:
	s_mov_b64 s[20:21], -1
	s_mov_b64 s[18:19], 0
	s_mov_b64 s[6:7], 0
                                        ; implicit-def: $vgpr10
	s_branch .LBB71_1866
.LBB71_1858:
	s_trap 2
	s_or_b64 s[4:5], s[4:5], exec
	s_cbranch_execz .LBB71_1797
	s_branch .LBB71_1798
.LBB71_1859:
	s_mov_b64 s[20:21], -1
	s_mov_b64 s[18:19], 0
	s_mov_b64 s[6:7], 0
                                        ; implicit-def: $vgpr10
	s_branch .LBB71_1861
.LBB71_1860:
	s_mov_b64 s[6:7], -1
                                        ; implicit-def: $vgpr10
	s_mov_b64 s[18:19], 0
.LBB71_1861:
	s_and_b64 vcc, exec, s[20:21]
	s_cbranch_vccz .LBB71_1865
; %bb.1862:
	s_cmp_eq_u32 s24, 44
	s_cbranch_scc0 .LBB71_1864
; %bb.1863:
	global_load_ubyte v1, v[20:21], off
	s_mov_b64 s[6:7], 0
	s_mov_b64 s[18:19], -1
	s_waitcnt vmcnt(0)
	v_lshlrev_b32_e32 v3, 23, v1
	v_cvt_i32_f32_e32 v3, v3
	v_cmp_ne_u32_e32 vcc, 0, v1
	v_cndmask_b32_e32 v10, 0, v3, vcc
	s_branch .LBB71_1865
.LBB71_1864:
	s_mov_b64 s[6:7], -1
                                        ; implicit-def: $vgpr10
.LBB71_1865:
	s_mov_b64 s[20:21], 0
.LBB71_1866:
	s_and_b64 vcc, exec, s[20:21]
	s_cbranch_vccz .LBB71_1870
; %bb.1867:
	s_cmp_eq_u32 s24, 29
	s_cbranch_scc0 .LBB71_1869
; %bb.1868:
	global_load_dwordx2 v[10:11], v[20:21], off
	s_mov_b64 s[6:7], 0
	s_mov_b64 s[18:19], -1
	s_branch .LBB71_1870
.LBB71_1869:
	s_mov_b64 s[6:7], -1
                                        ; implicit-def: $vgpr10
.LBB71_1870:
	s_mov_b64 s[20:21], 0
.LBB71_1871:
	s_and_b64 vcc, exec, s[20:21]
	s_cbranch_vccz .LBB71_1887
; %bb.1872:
	s_cmp_lt_i32 s24, 27
	s_cbranch_scc1 .LBB71_1875
; %bb.1873:
	s_cmp_gt_i32 s24, 27
	s_cbranch_scc0 .LBB71_1876
; %bb.1874:
	global_load_dword v10, v[20:21], off
	s_mov_b64 s[18:19], 0
	s_branch .LBB71_1877
.LBB71_1875:
	s_mov_b64 s[18:19], -1
                                        ; implicit-def: $vgpr10
	s_branch .LBB71_1880
.LBB71_1876:
	s_mov_b64 s[18:19], -1
                                        ; implicit-def: $vgpr10
.LBB71_1877:
	s_andn2_b64 vcc, exec, s[18:19]
	s_cbranch_vccnz .LBB71_1879
; %bb.1878:
	global_load_ushort v10, v[20:21], off
.LBB71_1879:
	s_mov_b64 s[18:19], 0
.LBB71_1880:
	s_andn2_b64 vcc, exec, s[18:19]
	s_cbranch_vccnz .LBB71_1886
; %bb.1881:
	global_load_ubyte v1, v[20:21], off
	s_movk_i32 s18, 0x7f
	s_mov_b64 s[20:21], 0
	s_waitcnt vmcnt(0)
	v_cmp_lt_i16_e32 vcc, s18, v1
	s_and_saveexec_b64 s[18:19], vcc
	s_xor_b64 s[18:19], exec, s[18:19]
	s_cbranch_execz .LBB71_1898
; %bb.1882:
	s_movk_i32 s20, 0x80
	v_cmp_ne_u16_e32 vcc, s20, v1
	s_and_b64 s[20:21], vcc, exec
	s_andn2_saveexec_b64 s[18:19], s[18:19]
	s_cbranch_execnz .LBB71_1899
.LBB71_1883:
	s_or_b64 exec, exec, s[18:19]
	v_mov_b32_e32 v10, 0
	s_and_saveexec_b64 s[18:19], s[20:21]
	s_cbranch_execz .LBB71_1885
.LBB71_1884:
	v_lshlrev_b32_e32 v3, 24, v1
	v_and_b32_e32 v1, 0xffff, v1
	v_and_b32_e32 v5, 7, v1
	v_ffbh_u32_e32 v10, v5
	v_min_u32_e32 v10, 32, v10
	v_subrev_u32_e32 v11, 28, v10
	v_bfe_u32 v8, v1, 3, 4
	v_lshlrev_b32_e32 v1, v11, v1
	v_sub_u32_e32 v10, 29, v10
	v_and_b32_e32 v1, 7, v1
	v_cmp_eq_u32_e32 vcc, 0, v8
	v_cndmask_b32_e32 v8, v8, v10, vcc
	v_cndmask_b32_e32 v1, v5, v1, vcc
	v_mov_b32_e32 v5, 0x3b800000
	v_lshlrev_b32_e32 v1, 20, v1
	v_and_b32_e32 v3, 0x80000000, v3
	v_lshl_add_u32 v5, v8, 23, v5
	v_or3_b32 v1, v3, v5, v1
	v_cvt_i32_f32_e32 v10, v1
.LBB71_1885:
	s_or_b64 exec, exec, s[18:19]
.LBB71_1886:
	s_mov_b64 s[18:19], -1
.LBB71_1887:
	s_mov_b64 s[20:21], 0
.LBB71_1888:
	s_and_b64 vcc, exec, s[20:21]
	s_cbranch_vccz .LBB71_1919
; %bb.1889:
	s_cmp_gt_i32 s24, 22
	s_cbranch_scc0 .LBB71_1897
; %bb.1890:
	s_cmp_lt_i32 s24, 24
	s_cbranch_scc1 .LBB71_1900
; %bb.1891:
	s_cmp_gt_i32 s24, 24
	s_cbranch_scc0 .LBB71_1901
; %bb.1892:
	global_load_ubyte v1, v[20:21], off
	s_movk_i32 s16, 0x7f
	s_mov_b64 s[18:19], 0
	s_waitcnt vmcnt(0)
	v_cmp_lt_i16_e32 vcc, s16, v1
	s_and_saveexec_b64 s[16:17], vcc
	s_xor_b64 s[16:17], exec, s[16:17]
	s_cbranch_execz .LBB71_1913
; %bb.1893:
	s_movk_i32 s18, 0x80
	v_cmp_ne_u16_e32 vcc, s18, v1
	s_and_b64 s[18:19], vcc, exec
	s_andn2_saveexec_b64 s[16:17], s[16:17]
	s_cbranch_execnz .LBB71_1914
.LBB71_1894:
	s_or_b64 exec, exec, s[16:17]
	v_mov_b32_e32 v10, 0
	s_and_saveexec_b64 s[16:17], s[18:19]
	s_cbranch_execz .LBB71_1896
.LBB71_1895:
	v_lshlrev_b32_e32 v3, 24, v1
	v_and_b32_e32 v1, 0xffff, v1
	v_and_b32_e32 v5, 3, v1
	v_ffbh_u32_e32 v10, v5
	v_min_u32_e32 v10, 32, v10
	v_subrev_u32_e32 v11, 29, v10
	v_bfe_u32 v8, v1, 2, 5
	v_lshlrev_b32_e32 v1, v11, v1
	v_sub_u32_e32 v10, 30, v10
	v_and_b32_e32 v1, 3, v1
	v_cmp_eq_u32_e32 vcc, 0, v8
	v_cndmask_b32_e32 v8, v8, v10, vcc
	v_cndmask_b32_e32 v1, v5, v1, vcc
	v_mov_b32_e32 v5, 0x37800000
	v_lshlrev_b32_e32 v1, 21, v1
	v_and_b32_e32 v3, 0x80000000, v3
	v_lshl_add_u32 v5, v8, 23, v5
	v_or3_b32 v1, v3, v5, v1
	v_cvt_i32_f32_e32 v10, v1
.LBB71_1896:
	s_or_b64 exec, exec, s[16:17]
	s_mov_b64 s[16:17], 0
	s_branch .LBB71_1902
.LBB71_1897:
	s_mov_b64 s[16:17], -1
                                        ; implicit-def: $vgpr10
	s_branch .LBB71_1908
.LBB71_1898:
	s_andn2_saveexec_b64 s[18:19], s[18:19]
	s_cbranch_execz .LBB71_1883
.LBB71_1899:
	v_cmp_ne_u16_e32 vcc, 0, v1
	s_andn2_b64 s[20:21], s[20:21], exec
	s_and_b64 s[26:27], vcc, exec
	s_or_b64 s[20:21], s[20:21], s[26:27]
	s_or_b64 exec, exec, s[18:19]
	v_mov_b32_e32 v10, 0
	s_and_saveexec_b64 s[18:19], s[20:21]
	s_cbranch_execnz .LBB71_1884
	s_branch .LBB71_1885
.LBB71_1900:
	s_mov_b64 s[16:17], -1
                                        ; implicit-def: $vgpr10
	s_branch .LBB71_1905
.LBB71_1901:
	s_mov_b64 s[16:17], -1
                                        ; implicit-def: $vgpr10
.LBB71_1902:
	s_and_b64 vcc, exec, s[16:17]
	s_cbranch_vccz .LBB71_1904
; %bb.1903:
	global_load_ubyte v1, v[20:21], off
	s_mov_b32 s16, 0x7f800000
	s_waitcnt vmcnt(0)
	v_lshlrev_b32_e32 v1, 24, v1
	v_and_b32_e32 v3, 0x7f000000, v1
	v_ffbh_u32_e32 v5, v3
	v_min_u32_e32 v5, 32, v5
	v_sub_u32_e64 v5, v5, 4 clamp
	v_lshlrev_b32_e32 v10, v5, v3
	v_lshlrev_b32_e32 v5, 23, v5
	v_lshrrev_b32_e32 v10, 4, v10
	v_add_u32_e32 v8, 0x1000000, v3
	v_sub_u32_e32 v5, v10, v5
	v_ashrrev_i32_e32 v8, 8, v8
	v_add_u32_e32 v5, 0x3c000000, v5
	v_and_or_b32 v5, v8, s16, v5
	v_cmp_ne_u32_e32 vcc, 0, v3
	v_cndmask_b32_e32 v3, 0, v5, vcc
	s_brev_b32 s16, 1
	v_and_or_b32 v1, v1, s16, v3
	v_cvt_i32_f32_e32 v10, v1
.LBB71_1904:
	s_mov_b64 s[16:17], 0
.LBB71_1905:
	s_andn2_b64 vcc, exec, s[16:17]
	s_cbranch_vccnz .LBB71_1907
; %bb.1906:
	global_load_ubyte v1, v[20:21], off
	s_movk_i32 s16, 0x7f00
	s_brev_b32 s17, 16
	s_waitcnt vmcnt(0)
	v_lshlrev_b16_e32 v3, 8, v1
	v_lshlrev_b32_e32 v1, 25, v1
	v_lshrrev_b32_e32 v5, 4, v1
	v_and_or_b32 v8, v3, s16, 0.5
	v_or_b32_e32 v5, 0x70000000, v5
	v_add_f32_e32 v8, -0.5, v8
	v_mul_f32_e32 v5, 0x7800000, v5
	v_cmp_gt_u32_e32 vcc, s17, v1
	v_bfe_i32 v3, v3, 0, 16
	v_cndmask_b32_e32 v1, v5, v8, vcc
	s_brev_b32 s16, 1
	v_and_or_b32 v1, v3, s16, v1
	v_cvt_i32_f32_e32 v10, v1
.LBB71_1907:
	s_mov_b64 s[16:17], 0
	s_mov_b64 s[18:19], -1
.LBB71_1908:
	s_andn2_b64 vcc, exec, s[16:17]
	s_mov_b64 s[16:17], 0
	s_cbranch_vccnz .LBB71_1919
; %bb.1909:
	s_cmp_gt_i32 s24, 14
	s_cbranch_scc0 .LBB71_1912
; %bb.1910:
	s_cmp_eq_u32 s24, 15
	s_cbranch_scc0 .LBB71_1915
; %bb.1911:
	global_load_ushort v1, v[20:21], off
	s_mov_b64 s[6:7], 0
	s_mov_b64 s[18:19], -1
	s_waitcnt vmcnt(0)
	v_lshlrev_b32_e32 v1, 16, v1
	v_cvt_i32_f32_e32 v10, v1
	s_branch .LBB71_1916
.LBB71_1912:
	s_mov_b64 s[20:21], -1
                                        ; implicit-def: $vgpr10
	s_branch .LBB71_1917
.LBB71_1913:
	s_andn2_saveexec_b64 s[16:17], s[16:17]
	s_cbranch_execz .LBB71_1894
.LBB71_1914:
	v_cmp_ne_u16_e32 vcc, 0, v1
	s_andn2_b64 s[18:19], s[18:19], exec
	s_and_b64 s[20:21], vcc, exec
	s_or_b64 s[18:19], s[18:19], s[20:21]
	s_or_b64 exec, exec, s[16:17]
	v_mov_b32_e32 v10, 0
	s_and_saveexec_b64 s[16:17], s[18:19]
	s_cbranch_execnz .LBB71_1895
	s_branch .LBB71_1896
.LBB71_1915:
	s_mov_b64 s[6:7], -1
                                        ; implicit-def: $vgpr10
.LBB71_1916:
	s_mov_b64 s[20:21], 0
.LBB71_1917:
	s_and_b64 vcc, exec, s[20:21]
	s_cbranch_vccz .LBB71_1919
; %bb.1918:
	s_cmp_lg_u32 s24, 11
	s_mov_b64 s[16:17], -1
	s_cselect_b64 s[6:7], -1, 0
.LBB71_1919:
	s_and_b64 vcc, exec, s[6:7]
	s_cbranch_vccnz .LBB71_1982
; %bb.1920:
	s_andn2_b64 vcc, exec, s[16:17]
	s_cbranch_vccnz .LBB71_1922
.LBB71_1921:
	global_load_ubyte v1, v[20:21], off
	s_mov_b64 s[18:19], -1
	s_waitcnt vmcnt(0)
	v_cmp_ne_u16_e32 vcc, 0, v1
	v_cndmask_b32_e64 v10, 0, 1, vcc
.LBB71_1922:
	s_branch .LBB71_1854
.LBB71_1923:
	s_and_b32 s16, 0xffff, s22
	s_cmp_lt_i32 s16, 5
	s_cbranch_scc1 .LBB71_1928
; %bb.1924:
	s_cmp_lt_i32 s16, 8
	s_cbranch_scc1 .LBB71_1929
; %bb.1925:
	;; [unrolled: 3-line block ×3, first 2 shown]
	s_cmp_gt_i32 s16, 9
	s_cbranch_scc0 .LBB71_1931
; %bb.1927:
	global_load_dwordx2 v[10:11], v[20:21], off
	s_mov_b64 s[6:7], 0
	s_waitcnt vmcnt(0)
	v_cvt_i32_f64_e32 v10, v[10:11]
	s_branch .LBB71_1932
.LBB71_1928:
	s_mov_b64 s[6:7], -1
                                        ; implicit-def: $vgpr10
	s_branch .LBB71_1950
.LBB71_1929:
	s_mov_b64 s[6:7], -1
                                        ; implicit-def: $vgpr10
	s_branch .LBB71_1938
.LBB71_1930:
	s_mov_b64 s[6:7], -1
                                        ; implicit-def: $vgpr10
	s_branch .LBB71_1935
.LBB71_1931:
	s_mov_b64 s[6:7], -1
                                        ; implicit-def: $vgpr10
.LBB71_1932:
	s_andn2_b64 vcc, exec, s[6:7]
	s_cbranch_vccnz .LBB71_1934
; %bb.1933:
	global_load_dword v1, v[20:21], off
	s_waitcnt vmcnt(0)
	v_cvt_i32_f32_e32 v10, v1
.LBB71_1934:
	s_mov_b64 s[6:7], 0
.LBB71_1935:
	s_andn2_b64 vcc, exec, s[6:7]
	s_cbranch_vccnz .LBB71_1937
; %bb.1936:
	global_load_dword v1, v[20:21], off
	s_waitcnt vmcnt(0)
	v_cvt_i16_f16_e32 v10, v1
.LBB71_1937:
	s_mov_b64 s[6:7], 0
.LBB71_1938:
	s_andn2_b64 vcc, exec, s[6:7]
	s_cbranch_vccnz .LBB71_1949
; %bb.1939:
	s_cmp_lt_i32 s16, 6
	s_cbranch_scc1 .LBB71_1942
; %bb.1940:
	s_cmp_gt_i32 s16, 6
	s_cbranch_scc0 .LBB71_1943
; %bb.1941:
	global_load_dwordx2 v[10:11], v[20:21], off
	s_mov_b64 s[6:7], 0
	s_waitcnt vmcnt(0)
	v_cvt_i32_f64_e32 v10, v[10:11]
	s_branch .LBB71_1944
.LBB71_1942:
	s_mov_b64 s[6:7], -1
                                        ; implicit-def: $vgpr10
	s_branch .LBB71_1947
.LBB71_1943:
	s_mov_b64 s[6:7], -1
                                        ; implicit-def: $vgpr10
.LBB71_1944:
	s_andn2_b64 vcc, exec, s[6:7]
	s_cbranch_vccnz .LBB71_1946
; %bb.1945:
	global_load_dword v1, v[20:21], off
	s_waitcnt vmcnt(0)
	v_cvt_i32_f32_e32 v10, v1
.LBB71_1946:
	s_mov_b64 s[6:7], 0
.LBB71_1947:
	s_andn2_b64 vcc, exec, s[6:7]
	s_cbranch_vccnz .LBB71_1949
; %bb.1948:
	global_load_ushort v1, v[20:21], off
	s_waitcnt vmcnt(0)
	v_cvt_i16_f16_e32 v10, v1
.LBB71_1949:
	s_mov_b64 s[6:7], 0
.LBB71_1950:
	s_andn2_b64 vcc, exec, s[6:7]
	s_cbranch_vccnz .LBB71_1970
; %bb.1951:
	s_cmp_lt_i32 s16, 2
	s_cbranch_scc1 .LBB71_1955
; %bb.1952:
	s_cmp_lt_i32 s16, 3
	s_cbranch_scc1 .LBB71_1956
; %bb.1953:
	s_cmp_gt_i32 s16, 3
	s_cbranch_scc0 .LBB71_1957
; %bb.1954:
	global_load_dwordx2 v[10:11], v[20:21], off
	s_mov_b64 s[6:7], 0
	s_branch .LBB71_1958
.LBB71_1955:
	s_mov_b64 s[6:7], -1
                                        ; implicit-def: $vgpr10
	s_branch .LBB71_1964
.LBB71_1956:
	s_mov_b64 s[6:7], -1
                                        ; implicit-def: $vgpr10
	s_branch .LBB71_1961
.LBB71_1957:
	s_mov_b64 s[6:7], -1
                                        ; implicit-def: $vgpr10
.LBB71_1958:
	s_andn2_b64 vcc, exec, s[6:7]
	s_cbranch_vccnz .LBB71_1960
; %bb.1959:
	global_load_dword v10, v[20:21], off
.LBB71_1960:
	s_mov_b64 s[6:7], 0
.LBB71_1961:
	s_andn2_b64 vcc, exec, s[6:7]
	s_cbranch_vccnz .LBB71_1963
; %bb.1962:
	global_load_ushort v10, v[20:21], off
.LBB71_1963:
	s_mov_b64 s[6:7], 0
.LBB71_1964:
	s_andn2_b64 vcc, exec, s[6:7]
	s_cbranch_vccnz .LBB71_1970
; %bb.1965:
	s_cmp_gt_i32 s16, 0
	s_cbranch_scc0 .LBB71_1967
; %bb.1966:
	global_load_sbyte v10, v[20:21], off
	s_mov_b64 s[6:7], 0
	s_branch .LBB71_1968
.LBB71_1967:
	s_mov_b64 s[6:7], -1
                                        ; implicit-def: $vgpr10
.LBB71_1968:
	s_andn2_b64 vcc, exec, s[6:7]
	s_cbranch_vccnz .LBB71_1970
; %bb.1969:
	global_load_ubyte v10, v[20:21], off
.LBB71_1970:
.LBB71_1971:
	s_lshr_b32 s6, s23, 16
	v_mov_b32_e32 v1, s1
	s_and_b32 s23, s6, 0xff
	v_add_co_u32_e32 v20, vcc, s0, v18
	s_cmp_lt_i32 s23, 11
	v_addc_co_u32_e32 v21, vcc, 0, v1, vcc
	s_cbranch_scc1 .LBB71_1978
; %bb.1972:
	s_and_b32 s24, 0xffff, s23
	s_cmp_gt_i32 s24, 25
	s_mov_b64 s[16:17], 0
	s_cbranch_scc0 .LBB71_1979
; %bb.1973:
	s_cmp_gt_i32 s24, 28
	s_cbranch_scc0 .LBB71_1980
; %bb.1974:
	s_cmp_gt_i32 s24, 43
	;; [unrolled: 3-line block ×3, first 2 shown]
	s_cbranch_scc0 .LBB71_1983
; %bb.1976:
	s_cmp_eq_u32 s24, 46
	s_mov_b64 s[20:21], 0
	s_cbranch_scc0 .LBB71_1984
; %bb.1977:
	global_load_dword v1, v[20:21], off
	s_mov_b64 s[6:7], 0
	s_mov_b64 s[18:19], -1
	s_waitcnt vmcnt(0)
	v_lshlrev_b32_e32 v1, 16, v1
	v_cvt_i32_f32_e32 v17, v1
	s_branch .LBB71_1985
.LBB71_1978:
	s_mov_b64 s[6:7], -1
	s_mov_b64 s[18:19], 0
                                        ; implicit-def: $vgpr17
	s_branch .LBB71_2047
.LBB71_1979:
	s_mov_b64 s[20:21], -1
	s_mov_b64 s[18:19], 0
	s_mov_b64 s[6:7], 0
                                        ; implicit-def: $vgpr17
	s_branch .LBB71_2012
.LBB71_1980:
	s_mov_b64 s[20:21], -1
	s_mov_b64 s[18:19], 0
	s_mov_b64 s[6:7], 0
                                        ; implicit-def: $vgpr17
	s_branch .LBB71_1995
.LBB71_1981:
	s_mov_b64 s[20:21], -1
	s_mov_b64 s[18:19], 0
	s_mov_b64 s[6:7], 0
                                        ; implicit-def: $vgpr17
	s_branch .LBB71_1990
.LBB71_1982:
	s_trap 2
	s_or_b64 s[4:5], s[4:5], exec
	s_cbranch_execz .LBB71_1921
	s_branch .LBB71_1922
.LBB71_1983:
	s_mov_b64 s[20:21], -1
	s_mov_b64 s[18:19], 0
	s_mov_b64 s[6:7], 0
                                        ; implicit-def: $vgpr17
	s_branch .LBB71_1985
.LBB71_1984:
	s_mov_b64 s[6:7], -1
                                        ; implicit-def: $vgpr17
	s_mov_b64 s[18:19], 0
.LBB71_1985:
	s_and_b64 vcc, exec, s[20:21]
	s_cbranch_vccz .LBB71_1989
; %bb.1986:
	s_cmp_eq_u32 s24, 44
	s_cbranch_scc0 .LBB71_1988
; %bb.1987:
	global_load_ubyte v1, v[20:21], off
	s_mov_b64 s[6:7], 0
	s_mov_b64 s[18:19], -1
	s_waitcnt vmcnt(0)
	v_lshlrev_b32_e32 v3, 23, v1
	v_cvt_i32_f32_e32 v3, v3
	v_cmp_ne_u32_e32 vcc, 0, v1
	v_cndmask_b32_e32 v17, 0, v3, vcc
	s_branch .LBB71_1989
.LBB71_1988:
	s_mov_b64 s[6:7], -1
                                        ; implicit-def: $vgpr17
.LBB71_1989:
	s_mov_b64 s[20:21], 0
.LBB71_1990:
	s_and_b64 vcc, exec, s[20:21]
	s_cbranch_vccz .LBB71_1994
; %bb.1991:
	s_cmp_eq_u32 s24, 29
	s_cbranch_scc0 .LBB71_1993
; %bb.1992:
	global_load_dwordx2 v[17:18], v[20:21], off
	s_mov_b64 s[6:7], 0
	s_mov_b64 s[18:19], -1
	s_branch .LBB71_1994
.LBB71_1993:
	s_mov_b64 s[6:7], -1
                                        ; implicit-def: $vgpr17
.LBB71_1994:
	s_mov_b64 s[20:21], 0
.LBB71_1995:
	s_and_b64 vcc, exec, s[20:21]
	s_cbranch_vccz .LBB71_2011
; %bb.1996:
	s_cmp_lt_i32 s24, 27
	s_cbranch_scc1 .LBB71_1999
; %bb.1997:
	s_cmp_gt_i32 s24, 27
	s_cbranch_scc0 .LBB71_2000
; %bb.1998:
	global_load_dword v17, v[20:21], off
	s_mov_b64 s[18:19], 0
	s_branch .LBB71_2001
.LBB71_1999:
	s_mov_b64 s[18:19], -1
                                        ; implicit-def: $vgpr17
	s_branch .LBB71_2004
.LBB71_2000:
	s_mov_b64 s[18:19], -1
                                        ; implicit-def: $vgpr17
.LBB71_2001:
	s_andn2_b64 vcc, exec, s[18:19]
	s_cbranch_vccnz .LBB71_2003
; %bb.2002:
	global_load_ushort v17, v[20:21], off
.LBB71_2003:
	s_mov_b64 s[18:19], 0
.LBB71_2004:
	s_andn2_b64 vcc, exec, s[18:19]
	s_cbranch_vccnz .LBB71_2010
; %bb.2005:
	global_load_ubyte v1, v[20:21], off
	s_movk_i32 s18, 0x7f
	s_mov_b64 s[20:21], 0
	s_waitcnt vmcnt(0)
	v_cmp_lt_i16_e32 vcc, s18, v1
	s_and_saveexec_b64 s[18:19], vcc
	s_xor_b64 s[18:19], exec, s[18:19]
	s_cbranch_execz .LBB71_2022
; %bb.2006:
	s_movk_i32 s20, 0x80
	v_cmp_ne_u16_e32 vcc, s20, v1
	s_and_b64 s[20:21], vcc, exec
	s_andn2_saveexec_b64 s[18:19], s[18:19]
	s_cbranch_execnz .LBB71_2023
.LBB71_2007:
	s_or_b64 exec, exec, s[18:19]
	v_mov_b32_e32 v17, 0
	s_and_saveexec_b64 s[18:19], s[20:21]
	s_cbranch_execz .LBB71_2009
.LBB71_2008:
	v_lshlrev_b32_e32 v3, 24, v1
	v_and_b32_e32 v1, 0xffff, v1
	v_and_b32_e32 v5, 7, v1
	v_ffbh_u32_e32 v11, v5
	v_min_u32_e32 v11, 32, v11
	v_subrev_u32_e32 v13, 28, v11
	v_bfe_u32 v8, v1, 3, 4
	v_lshlrev_b32_e32 v1, v13, v1
	v_sub_u32_e32 v11, 29, v11
	v_and_b32_e32 v1, 7, v1
	v_cmp_eq_u32_e32 vcc, 0, v8
	v_cndmask_b32_e32 v8, v8, v11, vcc
	v_cndmask_b32_e32 v1, v5, v1, vcc
	v_mov_b32_e32 v5, 0x3b800000
	v_lshlrev_b32_e32 v1, 20, v1
	v_and_b32_e32 v3, 0x80000000, v3
	v_lshl_add_u32 v5, v8, 23, v5
	v_or3_b32 v1, v3, v5, v1
	v_cvt_i32_f32_e32 v17, v1
.LBB71_2009:
	s_or_b64 exec, exec, s[18:19]
.LBB71_2010:
	s_mov_b64 s[18:19], -1
.LBB71_2011:
	s_mov_b64 s[20:21], 0
.LBB71_2012:
	s_and_b64 vcc, exec, s[20:21]
	s_cbranch_vccz .LBB71_2043
; %bb.2013:
	s_cmp_gt_i32 s24, 22
	s_cbranch_scc0 .LBB71_2021
; %bb.2014:
	s_cmp_lt_i32 s24, 24
	s_cbranch_scc1 .LBB71_2024
; %bb.2015:
	s_cmp_gt_i32 s24, 24
	s_cbranch_scc0 .LBB71_2025
; %bb.2016:
	global_load_ubyte v1, v[20:21], off
	s_movk_i32 s16, 0x7f
	s_mov_b64 s[18:19], 0
	s_waitcnt vmcnt(0)
	v_cmp_lt_i16_e32 vcc, s16, v1
	s_and_saveexec_b64 s[16:17], vcc
	s_xor_b64 s[16:17], exec, s[16:17]
	s_cbranch_execz .LBB71_2037
; %bb.2017:
	s_movk_i32 s18, 0x80
	v_cmp_ne_u16_e32 vcc, s18, v1
	s_and_b64 s[18:19], vcc, exec
	s_andn2_saveexec_b64 s[16:17], s[16:17]
	s_cbranch_execnz .LBB71_2038
.LBB71_2018:
	s_or_b64 exec, exec, s[16:17]
	v_mov_b32_e32 v17, 0
	s_and_saveexec_b64 s[16:17], s[18:19]
	s_cbranch_execz .LBB71_2020
.LBB71_2019:
	v_lshlrev_b32_e32 v3, 24, v1
	v_and_b32_e32 v1, 0xffff, v1
	v_and_b32_e32 v5, 3, v1
	v_ffbh_u32_e32 v11, v5
	v_min_u32_e32 v11, 32, v11
	v_subrev_u32_e32 v13, 29, v11
	v_bfe_u32 v8, v1, 2, 5
	v_lshlrev_b32_e32 v1, v13, v1
	v_sub_u32_e32 v11, 30, v11
	v_and_b32_e32 v1, 3, v1
	v_cmp_eq_u32_e32 vcc, 0, v8
	v_cndmask_b32_e32 v8, v8, v11, vcc
	v_cndmask_b32_e32 v1, v5, v1, vcc
	v_mov_b32_e32 v5, 0x37800000
	v_lshlrev_b32_e32 v1, 21, v1
	v_and_b32_e32 v3, 0x80000000, v3
	v_lshl_add_u32 v5, v8, 23, v5
	v_or3_b32 v1, v3, v5, v1
	v_cvt_i32_f32_e32 v17, v1
.LBB71_2020:
	s_or_b64 exec, exec, s[16:17]
	s_mov_b64 s[16:17], 0
	s_branch .LBB71_2026
.LBB71_2021:
	s_mov_b64 s[16:17], -1
                                        ; implicit-def: $vgpr17
	s_branch .LBB71_2032
.LBB71_2022:
	s_andn2_saveexec_b64 s[18:19], s[18:19]
	s_cbranch_execz .LBB71_2007
.LBB71_2023:
	v_cmp_ne_u16_e32 vcc, 0, v1
	s_andn2_b64 s[20:21], s[20:21], exec
	s_and_b64 s[26:27], vcc, exec
	s_or_b64 s[20:21], s[20:21], s[26:27]
	s_or_b64 exec, exec, s[18:19]
	v_mov_b32_e32 v17, 0
	s_and_saveexec_b64 s[18:19], s[20:21]
	s_cbranch_execnz .LBB71_2008
	s_branch .LBB71_2009
.LBB71_2024:
	s_mov_b64 s[16:17], -1
                                        ; implicit-def: $vgpr17
	s_branch .LBB71_2029
.LBB71_2025:
	s_mov_b64 s[16:17], -1
                                        ; implicit-def: $vgpr17
.LBB71_2026:
	s_and_b64 vcc, exec, s[16:17]
	s_cbranch_vccz .LBB71_2028
; %bb.2027:
	global_load_ubyte v1, v[20:21], off
	s_mov_b32 s16, 0x7f800000
	s_waitcnt vmcnt(0)
	v_lshlrev_b32_e32 v1, 24, v1
	v_and_b32_e32 v3, 0x7f000000, v1
	v_ffbh_u32_e32 v5, v3
	v_min_u32_e32 v5, 32, v5
	v_sub_u32_e64 v5, v5, 4 clamp
	v_lshlrev_b32_e32 v11, v5, v3
	v_lshlrev_b32_e32 v5, 23, v5
	v_lshrrev_b32_e32 v11, 4, v11
	v_add_u32_e32 v8, 0x1000000, v3
	v_sub_u32_e32 v5, v11, v5
	v_ashrrev_i32_e32 v8, 8, v8
	v_add_u32_e32 v5, 0x3c000000, v5
	v_and_or_b32 v5, v8, s16, v5
	v_cmp_ne_u32_e32 vcc, 0, v3
	v_cndmask_b32_e32 v3, 0, v5, vcc
	s_brev_b32 s16, 1
	v_and_or_b32 v1, v1, s16, v3
	v_cvt_i32_f32_e32 v17, v1
.LBB71_2028:
	s_mov_b64 s[16:17], 0
.LBB71_2029:
	s_andn2_b64 vcc, exec, s[16:17]
	s_cbranch_vccnz .LBB71_2031
; %bb.2030:
	global_load_ubyte v1, v[20:21], off
	s_movk_i32 s16, 0x7f00
	s_brev_b32 s17, 16
	s_waitcnt vmcnt(0)
	v_lshlrev_b16_e32 v3, 8, v1
	v_lshlrev_b32_e32 v1, 25, v1
	v_lshrrev_b32_e32 v5, 4, v1
	v_and_or_b32 v8, v3, s16, 0.5
	v_or_b32_e32 v5, 0x70000000, v5
	v_add_f32_e32 v8, -0.5, v8
	v_mul_f32_e32 v5, 0x7800000, v5
	v_cmp_gt_u32_e32 vcc, s17, v1
	v_bfe_i32 v3, v3, 0, 16
	v_cndmask_b32_e32 v1, v5, v8, vcc
	s_brev_b32 s16, 1
	v_and_or_b32 v1, v3, s16, v1
	v_cvt_i32_f32_e32 v17, v1
.LBB71_2031:
	s_mov_b64 s[16:17], 0
	s_mov_b64 s[18:19], -1
.LBB71_2032:
	s_andn2_b64 vcc, exec, s[16:17]
	s_mov_b64 s[16:17], 0
	s_cbranch_vccnz .LBB71_2043
; %bb.2033:
	s_cmp_gt_i32 s24, 14
	s_cbranch_scc0 .LBB71_2036
; %bb.2034:
	s_cmp_eq_u32 s24, 15
	s_cbranch_scc0 .LBB71_2039
; %bb.2035:
	global_load_ushort v1, v[20:21], off
	s_mov_b64 s[6:7], 0
	s_mov_b64 s[18:19], -1
	s_waitcnt vmcnt(0)
	v_lshlrev_b32_e32 v1, 16, v1
	v_cvt_i32_f32_e32 v17, v1
	s_branch .LBB71_2040
.LBB71_2036:
	s_mov_b64 s[20:21], -1
                                        ; implicit-def: $vgpr17
	s_branch .LBB71_2041
.LBB71_2037:
	s_andn2_saveexec_b64 s[16:17], s[16:17]
	s_cbranch_execz .LBB71_2018
.LBB71_2038:
	v_cmp_ne_u16_e32 vcc, 0, v1
	s_andn2_b64 s[18:19], s[18:19], exec
	s_and_b64 s[20:21], vcc, exec
	s_or_b64 s[18:19], s[18:19], s[20:21]
	s_or_b64 exec, exec, s[16:17]
	v_mov_b32_e32 v17, 0
	s_and_saveexec_b64 s[16:17], s[18:19]
	s_cbranch_execnz .LBB71_2019
	s_branch .LBB71_2020
.LBB71_2039:
	s_mov_b64 s[6:7], -1
                                        ; implicit-def: $vgpr17
.LBB71_2040:
	s_mov_b64 s[20:21], 0
.LBB71_2041:
	s_and_b64 vcc, exec, s[20:21]
	s_cbranch_vccz .LBB71_2043
; %bb.2042:
	s_cmp_lg_u32 s24, 11
	s_mov_b64 s[16:17], -1
	s_cselect_b64 s[6:7], -1, 0
.LBB71_2043:
	s_and_b64 vcc, exec, s[6:7]
	s_cbranch_vccnz .LBB71_2108
; %bb.2044:
	s_andn2_b64 vcc, exec, s[16:17]
	s_cbranch_vccnz .LBB71_2046
.LBB71_2045:
	global_load_ubyte v1, v[20:21], off
	s_mov_b64 s[18:19], -1
	s_waitcnt vmcnt(0)
	v_cmp_ne_u16_e32 vcc, 0, v1
	v_cndmask_b32_e64 v17, 0, 1, vcc
.LBB71_2046:
	s_mov_b64 s[6:7], 0
.LBB71_2047:
	s_and_b64 vcc, exec, s[6:7]
	s_cbranch_vccz .LBB71_2096
; %bb.2048:
	s_and_b32 s16, 0xffff, s23
	s_cmp_lt_i32 s16, 5
	s_cbranch_scc1 .LBB71_2053
; %bb.2049:
	s_cmp_lt_i32 s16, 8
	s_cbranch_scc1 .LBB71_2054
; %bb.2050:
	;; [unrolled: 3-line block ×3, first 2 shown]
	s_cmp_gt_i32 s16, 9
	s_cbranch_scc0 .LBB71_2056
; %bb.2052:
	global_load_dwordx2 v[17:18], v[20:21], off
	s_mov_b64 s[6:7], 0
	s_waitcnt vmcnt(0)
	v_cvt_i32_f64_e32 v17, v[17:18]
	s_branch .LBB71_2057
.LBB71_2053:
	s_mov_b64 s[6:7], -1
                                        ; implicit-def: $vgpr17
	s_branch .LBB71_2075
.LBB71_2054:
	s_mov_b64 s[6:7], -1
                                        ; implicit-def: $vgpr17
	s_branch .LBB71_2063
.LBB71_2055:
	s_mov_b64 s[6:7], -1
                                        ; implicit-def: $vgpr17
	s_branch .LBB71_2060
.LBB71_2056:
	s_mov_b64 s[6:7], -1
                                        ; implicit-def: $vgpr17
.LBB71_2057:
	s_andn2_b64 vcc, exec, s[6:7]
	s_cbranch_vccnz .LBB71_2059
; %bb.2058:
	global_load_dword v1, v[20:21], off
	s_waitcnt vmcnt(0)
	v_cvt_i32_f32_e32 v17, v1
.LBB71_2059:
	s_mov_b64 s[6:7], 0
.LBB71_2060:
	s_andn2_b64 vcc, exec, s[6:7]
	s_cbranch_vccnz .LBB71_2062
; %bb.2061:
	global_load_dword v1, v[20:21], off
	s_waitcnt vmcnt(0)
	v_cvt_i16_f16_e32 v17, v1
.LBB71_2062:
	s_mov_b64 s[6:7], 0
.LBB71_2063:
	s_andn2_b64 vcc, exec, s[6:7]
	s_cbranch_vccnz .LBB71_2074
; %bb.2064:
	s_cmp_lt_i32 s16, 6
	s_cbranch_scc1 .LBB71_2067
; %bb.2065:
	s_cmp_gt_i32 s16, 6
	s_cbranch_scc0 .LBB71_2068
; %bb.2066:
	global_load_dwordx2 v[17:18], v[20:21], off
	s_mov_b64 s[6:7], 0
	s_waitcnt vmcnt(0)
	v_cvt_i32_f64_e32 v17, v[17:18]
	s_branch .LBB71_2069
.LBB71_2067:
	s_mov_b64 s[6:7], -1
                                        ; implicit-def: $vgpr17
	s_branch .LBB71_2072
.LBB71_2068:
	s_mov_b64 s[6:7], -1
                                        ; implicit-def: $vgpr17
.LBB71_2069:
	s_andn2_b64 vcc, exec, s[6:7]
	s_cbranch_vccnz .LBB71_2071
; %bb.2070:
	global_load_dword v1, v[20:21], off
	s_waitcnt vmcnt(0)
	v_cvt_i32_f32_e32 v17, v1
.LBB71_2071:
	s_mov_b64 s[6:7], 0
.LBB71_2072:
	s_andn2_b64 vcc, exec, s[6:7]
	s_cbranch_vccnz .LBB71_2074
; %bb.2073:
	global_load_ushort v1, v[20:21], off
	s_waitcnt vmcnt(0)
	v_cvt_i16_f16_e32 v17, v1
.LBB71_2074:
	s_mov_b64 s[6:7], 0
.LBB71_2075:
	s_andn2_b64 vcc, exec, s[6:7]
	s_cbranch_vccnz .LBB71_2095
; %bb.2076:
	s_cmp_lt_i32 s16, 2
	s_cbranch_scc1 .LBB71_2080
; %bb.2077:
	s_cmp_lt_i32 s16, 3
	s_cbranch_scc1 .LBB71_2081
; %bb.2078:
	s_cmp_gt_i32 s16, 3
	s_cbranch_scc0 .LBB71_2082
; %bb.2079:
	global_load_dwordx2 v[17:18], v[20:21], off
	s_mov_b64 s[6:7], 0
	s_branch .LBB71_2083
.LBB71_2080:
	s_mov_b64 s[6:7], -1
                                        ; implicit-def: $vgpr17
	s_branch .LBB71_2089
.LBB71_2081:
	s_mov_b64 s[6:7], -1
                                        ; implicit-def: $vgpr17
	s_branch .LBB71_2086
.LBB71_2082:
	s_mov_b64 s[6:7], -1
                                        ; implicit-def: $vgpr17
.LBB71_2083:
	s_andn2_b64 vcc, exec, s[6:7]
	s_cbranch_vccnz .LBB71_2085
; %bb.2084:
	global_load_dword v17, v[20:21], off
.LBB71_2085:
	s_mov_b64 s[6:7], 0
.LBB71_2086:
	s_andn2_b64 vcc, exec, s[6:7]
	s_cbranch_vccnz .LBB71_2088
; %bb.2087:
	global_load_ushort v17, v[20:21], off
.LBB71_2088:
	s_mov_b64 s[6:7], 0
.LBB71_2089:
	s_andn2_b64 vcc, exec, s[6:7]
	s_cbranch_vccnz .LBB71_2095
; %bb.2090:
	s_cmp_gt_i32 s16, 0
	s_cbranch_scc0 .LBB71_2092
; %bb.2091:
	global_load_sbyte v17, v[20:21], off
	s_mov_b64 s[6:7], 0
	s_branch .LBB71_2093
.LBB71_2092:
	s_mov_b64 s[6:7], -1
                                        ; implicit-def: $vgpr17
.LBB71_2093:
	s_andn2_b64 vcc, exec, s[6:7]
	s_cbranch_vccnz .LBB71_2095
; %bb.2094:
	global_load_ubyte v17, v[20:21], off
.LBB71_2095:
	s_mov_b64 s[18:19], -1
.LBB71_2096:
	s_andn2_b64 vcc, exec, s[18:19]
	s_cbranch_vccnz .LBB71_3036
; %bb.2097:
	v_mov_b32_e32 v1, s11
	v_add_co_u32_e32 v20, vcc, s10, v16
	s_cmp_lt_i32 s22, 11
	v_addc_co_u32_e32 v21, vcc, 0, v1, vcc
	s_cbranch_scc1 .LBB71_2104
; %bb.2098:
	s_and_b32 s24, 0xffff, s22
	s_cmp_gt_i32 s24, 25
	s_mov_b64 s[16:17], 0
	s_cbranch_scc0 .LBB71_2105
; %bb.2099:
	s_cmp_gt_i32 s24, 28
	s_cbranch_scc0 .LBB71_2106
; %bb.2100:
	s_cmp_gt_i32 s24, 43
	;; [unrolled: 3-line block ×3, first 2 shown]
	s_cbranch_scc0 .LBB71_2109
; %bb.2102:
	s_cmp_eq_u32 s24, 46
	s_mov_b64 s[20:21], 0
	s_cbranch_scc0 .LBB71_2110
; %bb.2103:
	global_load_dword v1, v[20:21], off
	s_mov_b64 s[6:7], 0
	s_mov_b64 s[18:19], -1
	s_waitcnt vmcnt(0)
	v_lshlrev_b32_e32 v1, 16, v1
	v_cvt_i32_f32_e32 v15, v1
	s_branch .LBB71_2111
.LBB71_2104:
	s_mov_b64 s[6:7], -1
	s_mov_b64 s[18:19], 0
                                        ; implicit-def: $vgpr15
	s_branch .LBB71_2173
.LBB71_2105:
	s_mov_b64 s[20:21], -1
	s_mov_b64 s[18:19], 0
	s_mov_b64 s[6:7], 0
                                        ; implicit-def: $vgpr15
	s_branch .LBB71_2138
.LBB71_2106:
	s_mov_b64 s[20:21], -1
	s_mov_b64 s[18:19], 0
	s_mov_b64 s[6:7], 0
                                        ; implicit-def: $vgpr15
	s_branch .LBB71_2121
.LBB71_2107:
	s_mov_b64 s[20:21], -1
	s_mov_b64 s[18:19], 0
	s_mov_b64 s[6:7], 0
                                        ; implicit-def: $vgpr15
	s_branch .LBB71_2116
.LBB71_2108:
	s_trap 2
	s_or_b64 s[4:5], s[4:5], exec
	s_cbranch_execz .LBB71_2045
	s_branch .LBB71_2046
.LBB71_2109:
	s_mov_b64 s[20:21], -1
	s_mov_b64 s[18:19], 0
	s_mov_b64 s[6:7], 0
                                        ; implicit-def: $vgpr15
	s_branch .LBB71_2111
.LBB71_2110:
	s_mov_b64 s[6:7], -1
                                        ; implicit-def: $vgpr15
	s_mov_b64 s[18:19], 0
.LBB71_2111:
	s_and_b64 vcc, exec, s[20:21]
	s_cbranch_vccz .LBB71_2115
; %bb.2112:
	s_cmp_eq_u32 s24, 44
	s_cbranch_scc0 .LBB71_2114
; %bb.2113:
	global_load_ubyte v1, v[20:21], off
	s_mov_b64 s[6:7], 0
	s_mov_b64 s[18:19], -1
	s_waitcnt vmcnt(0)
	v_lshlrev_b32_e32 v3, 23, v1
	v_cvt_i32_f32_e32 v3, v3
	v_cmp_ne_u32_e32 vcc, 0, v1
	v_cndmask_b32_e32 v15, 0, v3, vcc
	s_branch .LBB71_2115
.LBB71_2114:
	s_mov_b64 s[6:7], -1
                                        ; implicit-def: $vgpr15
.LBB71_2115:
	s_mov_b64 s[20:21], 0
.LBB71_2116:
	s_and_b64 vcc, exec, s[20:21]
	s_cbranch_vccz .LBB71_2120
; %bb.2117:
	s_cmp_eq_u32 s24, 29
	s_cbranch_scc0 .LBB71_2119
; %bb.2118:
	global_load_dwordx2 v[15:16], v[20:21], off
	s_mov_b64 s[6:7], 0
	s_mov_b64 s[18:19], -1
	s_branch .LBB71_2120
.LBB71_2119:
	s_mov_b64 s[6:7], -1
                                        ; implicit-def: $vgpr15
.LBB71_2120:
	s_mov_b64 s[20:21], 0
.LBB71_2121:
	s_and_b64 vcc, exec, s[20:21]
	s_cbranch_vccz .LBB71_2137
; %bb.2122:
	s_cmp_lt_i32 s24, 27
	s_cbranch_scc1 .LBB71_2125
; %bb.2123:
	s_cmp_gt_i32 s24, 27
	s_cbranch_scc0 .LBB71_2126
; %bb.2124:
	global_load_dword v15, v[20:21], off
	s_mov_b64 s[18:19], 0
	s_branch .LBB71_2127
.LBB71_2125:
	s_mov_b64 s[18:19], -1
                                        ; implicit-def: $vgpr15
	s_branch .LBB71_2130
.LBB71_2126:
	s_mov_b64 s[18:19], -1
                                        ; implicit-def: $vgpr15
.LBB71_2127:
	s_andn2_b64 vcc, exec, s[18:19]
	s_cbranch_vccnz .LBB71_2129
; %bb.2128:
	global_load_ushort v15, v[20:21], off
.LBB71_2129:
	s_mov_b64 s[18:19], 0
.LBB71_2130:
	s_andn2_b64 vcc, exec, s[18:19]
	s_cbranch_vccnz .LBB71_2136
; %bb.2131:
	global_load_ubyte v1, v[20:21], off
	s_movk_i32 s18, 0x7f
	s_mov_b64 s[20:21], 0
	s_waitcnt vmcnt(0)
	v_cmp_lt_i16_e32 vcc, s18, v1
	s_and_saveexec_b64 s[18:19], vcc
	s_xor_b64 s[18:19], exec, s[18:19]
	s_cbranch_execz .LBB71_2148
; %bb.2132:
	s_movk_i32 s20, 0x80
	v_cmp_ne_u16_e32 vcc, s20, v1
	s_and_b64 s[20:21], vcc, exec
	s_andn2_saveexec_b64 s[18:19], s[18:19]
	s_cbranch_execnz .LBB71_2149
.LBB71_2133:
	s_or_b64 exec, exec, s[18:19]
	v_mov_b32_e32 v15, 0
	s_and_saveexec_b64 s[18:19], s[20:21]
	s_cbranch_execz .LBB71_2135
.LBB71_2134:
	v_lshlrev_b32_e32 v3, 24, v1
	v_and_b32_e32 v1, 0xffff, v1
	v_and_b32_e32 v5, 7, v1
	v_ffbh_u32_e32 v11, v5
	v_min_u32_e32 v11, 32, v11
	v_subrev_u32_e32 v13, 28, v11
	v_bfe_u32 v8, v1, 3, 4
	v_lshlrev_b32_e32 v1, v13, v1
	v_sub_u32_e32 v11, 29, v11
	v_and_b32_e32 v1, 7, v1
	v_cmp_eq_u32_e32 vcc, 0, v8
	v_cndmask_b32_e32 v8, v8, v11, vcc
	v_cndmask_b32_e32 v1, v5, v1, vcc
	v_mov_b32_e32 v5, 0x3b800000
	v_lshlrev_b32_e32 v1, 20, v1
	v_and_b32_e32 v3, 0x80000000, v3
	v_lshl_add_u32 v5, v8, 23, v5
	v_or3_b32 v1, v3, v5, v1
	v_cvt_i32_f32_e32 v15, v1
.LBB71_2135:
	s_or_b64 exec, exec, s[18:19]
.LBB71_2136:
	s_mov_b64 s[18:19], -1
.LBB71_2137:
	s_mov_b64 s[20:21], 0
.LBB71_2138:
	s_and_b64 vcc, exec, s[20:21]
	s_cbranch_vccz .LBB71_2169
; %bb.2139:
	s_cmp_gt_i32 s24, 22
	s_cbranch_scc0 .LBB71_2147
; %bb.2140:
	s_cmp_lt_i32 s24, 24
	s_cbranch_scc1 .LBB71_2150
; %bb.2141:
	s_cmp_gt_i32 s24, 24
	s_cbranch_scc0 .LBB71_2151
; %bb.2142:
	global_load_ubyte v1, v[20:21], off
	s_movk_i32 s16, 0x7f
	s_mov_b64 s[18:19], 0
	s_waitcnt vmcnt(0)
	v_cmp_lt_i16_e32 vcc, s16, v1
	s_and_saveexec_b64 s[16:17], vcc
	s_xor_b64 s[16:17], exec, s[16:17]
	s_cbranch_execz .LBB71_2163
; %bb.2143:
	s_movk_i32 s18, 0x80
	v_cmp_ne_u16_e32 vcc, s18, v1
	s_and_b64 s[18:19], vcc, exec
	s_andn2_saveexec_b64 s[16:17], s[16:17]
	s_cbranch_execnz .LBB71_2164
.LBB71_2144:
	s_or_b64 exec, exec, s[16:17]
	v_mov_b32_e32 v15, 0
	s_and_saveexec_b64 s[16:17], s[18:19]
	s_cbranch_execz .LBB71_2146
.LBB71_2145:
	v_lshlrev_b32_e32 v3, 24, v1
	v_and_b32_e32 v1, 0xffff, v1
	v_and_b32_e32 v5, 3, v1
	v_ffbh_u32_e32 v11, v5
	v_min_u32_e32 v11, 32, v11
	v_subrev_u32_e32 v13, 29, v11
	v_bfe_u32 v8, v1, 2, 5
	v_lshlrev_b32_e32 v1, v13, v1
	v_sub_u32_e32 v11, 30, v11
	v_and_b32_e32 v1, 3, v1
	v_cmp_eq_u32_e32 vcc, 0, v8
	v_cndmask_b32_e32 v8, v8, v11, vcc
	v_cndmask_b32_e32 v1, v5, v1, vcc
	v_mov_b32_e32 v5, 0x37800000
	v_lshlrev_b32_e32 v1, 21, v1
	v_and_b32_e32 v3, 0x80000000, v3
	v_lshl_add_u32 v5, v8, 23, v5
	v_or3_b32 v1, v3, v5, v1
	v_cvt_i32_f32_e32 v15, v1
.LBB71_2146:
	s_or_b64 exec, exec, s[16:17]
	s_mov_b64 s[16:17], 0
	s_branch .LBB71_2152
.LBB71_2147:
	s_mov_b64 s[16:17], -1
                                        ; implicit-def: $vgpr15
	s_branch .LBB71_2158
.LBB71_2148:
	s_andn2_saveexec_b64 s[18:19], s[18:19]
	s_cbranch_execz .LBB71_2133
.LBB71_2149:
	v_cmp_ne_u16_e32 vcc, 0, v1
	s_andn2_b64 s[20:21], s[20:21], exec
	s_and_b64 s[26:27], vcc, exec
	s_or_b64 s[20:21], s[20:21], s[26:27]
	s_or_b64 exec, exec, s[18:19]
	v_mov_b32_e32 v15, 0
	s_and_saveexec_b64 s[18:19], s[20:21]
	s_cbranch_execnz .LBB71_2134
	s_branch .LBB71_2135
.LBB71_2150:
	s_mov_b64 s[16:17], -1
                                        ; implicit-def: $vgpr15
	s_branch .LBB71_2155
.LBB71_2151:
	s_mov_b64 s[16:17], -1
                                        ; implicit-def: $vgpr15
.LBB71_2152:
	s_and_b64 vcc, exec, s[16:17]
	s_cbranch_vccz .LBB71_2154
; %bb.2153:
	global_load_ubyte v1, v[20:21], off
	s_mov_b32 s16, 0x7f800000
	s_waitcnt vmcnt(0)
	v_lshlrev_b32_e32 v1, 24, v1
	v_and_b32_e32 v3, 0x7f000000, v1
	v_ffbh_u32_e32 v5, v3
	v_min_u32_e32 v5, 32, v5
	v_sub_u32_e64 v5, v5, 4 clamp
	v_lshlrev_b32_e32 v11, v5, v3
	v_lshlrev_b32_e32 v5, 23, v5
	v_lshrrev_b32_e32 v11, 4, v11
	v_add_u32_e32 v8, 0x1000000, v3
	v_sub_u32_e32 v5, v11, v5
	v_ashrrev_i32_e32 v8, 8, v8
	v_add_u32_e32 v5, 0x3c000000, v5
	v_and_or_b32 v5, v8, s16, v5
	v_cmp_ne_u32_e32 vcc, 0, v3
	v_cndmask_b32_e32 v3, 0, v5, vcc
	s_brev_b32 s16, 1
	v_and_or_b32 v1, v1, s16, v3
	v_cvt_i32_f32_e32 v15, v1
.LBB71_2154:
	s_mov_b64 s[16:17], 0
.LBB71_2155:
	s_andn2_b64 vcc, exec, s[16:17]
	s_cbranch_vccnz .LBB71_2157
; %bb.2156:
	global_load_ubyte v1, v[20:21], off
	s_movk_i32 s16, 0x7f00
	s_brev_b32 s17, 16
	s_waitcnt vmcnt(0)
	v_lshlrev_b16_e32 v3, 8, v1
	v_lshlrev_b32_e32 v1, 25, v1
	v_lshrrev_b32_e32 v5, 4, v1
	v_and_or_b32 v8, v3, s16, 0.5
	v_or_b32_e32 v5, 0x70000000, v5
	v_add_f32_e32 v8, -0.5, v8
	v_mul_f32_e32 v5, 0x7800000, v5
	v_cmp_gt_u32_e32 vcc, s17, v1
	v_bfe_i32 v3, v3, 0, 16
	v_cndmask_b32_e32 v1, v5, v8, vcc
	s_brev_b32 s16, 1
	v_and_or_b32 v1, v3, s16, v1
	v_cvt_i32_f32_e32 v15, v1
.LBB71_2157:
	s_mov_b64 s[16:17], 0
	s_mov_b64 s[18:19], -1
.LBB71_2158:
	s_andn2_b64 vcc, exec, s[16:17]
	s_mov_b64 s[16:17], 0
	s_cbranch_vccnz .LBB71_2169
; %bb.2159:
	s_cmp_gt_i32 s24, 14
	s_cbranch_scc0 .LBB71_2162
; %bb.2160:
	s_cmp_eq_u32 s24, 15
	s_cbranch_scc0 .LBB71_2165
; %bb.2161:
	global_load_ushort v1, v[20:21], off
	s_mov_b64 s[6:7], 0
	s_mov_b64 s[18:19], -1
	s_waitcnt vmcnt(0)
	v_lshlrev_b32_e32 v1, 16, v1
	v_cvt_i32_f32_e32 v15, v1
	s_branch .LBB71_2166
.LBB71_2162:
	s_mov_b64 s[20:21], -1
                                        ; implicit-def: $vgpr15
	s_branch .LBB71_2167
.LBB71_2163:
	s_andn2_saveexec_b64 s[16:17], s[16:17]
	s_cbranch_execz .LBB71_2144
.LBB71_2164:
	v_cmp_ne_u16_e32 vcc, 0, v1
	s_andn2_b64 s[18:19], s[18:19], exec
	s_and_b64 s[20:21], vcc, exec
	s_or_b64 s[18:19], s[18:19], s[20:21]
	s_or_b64 exec, exec, s[16:17]
	v_mov_b32_e32 v15, 0
	s_and_saveexec_b64 s[16:17], s[18:19]
	s_cbranch_execnz .LBB71_2145
	s_branch .LBB71_2146
.LBB71_2165:
	s_mov_b64 s[6:7], -1
                                        ; implicit-def: $vgpr15
.LBB71_2166:
	s_mov_b64 s[20:21], 0
.LBB71_2167:
	s_and_b64 vcc, exec, s[20:21]
	s_cbranch_vccz .LBB71_2169
; %bb.2168:
	s_cmp_lg_u32 s24, 11
	s_mov_b64 s[16:17], -1
	s_cselect_b64 s[6:7], -1, 0
.LBB71_2169:
	s_and_b64 vcc, exec, s[6:7]
	s_cbranch_vccnz .LBB71_2234
; %bb.2170:
	s_andn2_b64 vcc, exec, s[16:17]
	s_cbranch_vccnz .LBB71_2172
.LBB71_2171:
	global_load_ubyte v1, v[20:21], off
	s_mov_b64 s[18:19], -1
	s_waitcnt vmcnt(0)
	v_cmp_ne_u16_e32 vcc, 0, v1
	v_cndmask_b32_e64 v15, 0, 1, vcc
.LBB71_2172:
	s_mov_b64 s[6:7], 0
.LBB71_2173:
	s_and_b64 vcc, exec, s[6:7]
	s_cbranch_vccz .LBB71_2222
; %bb.2174:
	s_and_b32 s16, 0xffff, s22
	s_cmp_lt_i32 s16, 5
	s_cbranch_scc1 .LBB71_2179
; %bb.2175:
	s_cmp_lt_i32 s16, 8
	s_cbranch_scc1 .LBB71_2180
; %bb.2176:
	;; [unrolled: 3-line block ×3, first 2 shown]
	s_cmp_gt_i32 s16, 9
	s_cbranch_scc0 .LBB71_2182
; %bb.2178:
	global_load_dwordx2 v[15:16], v[20:21], off
	s_mov_b64 s[6:7], 0
	s_waitcnt vmcnt(0)
	v_cvt_i32_f64_e32 v15, v[15:16]
	s_branch .LBB71_2183
.LBB71_2179:
	s_mov_b64 s[6:7], -1
                                        ; implicit-def: $vgpr15
	s_branch .LBB71_2201
.LBB71_2180:
	s_mov_b64 s[6:7], -1
                                        ; implicit-def: $vgpr15
	s_branch .LBB71_2189
.LBB71_2181:
	s_mov_b64 s[6:7], -1
                                        ; implicit-def: $vgpr15
	s_branch .LBB71_2186
.LBB71_2182:
	s_mov_b64 s[6:7], -1
                                        ; implicit-def: $vgpr15
.LBB71_2183:
	s_andn2_b64 vcc, exec, s[6:7]
	s_cbranch_vccnz .LBB71_2185
; %bb.2184:
	global_load_dword v1, v[20:21], off
	s_waitcnt vmcnt(0)
	v_cvt_i32_f32_e32 v15, v1
.LBB71_2185:
	s_mov_b64 s[6:7], 0
.LBB71_2186:
	s_andn2_b64 vcc, exec, s[6:7]
	s_cbranch_vccnz .LBB71_2188
; %bb.2187:
	global_load_dword v1, v[20:21], off
	s_waitcnt vmcnt(0)
	v_cvt_i16_f16_e32 v15, v1
.LBB71_2188:
	s_mov_b64 s[6:7], 0
.LBB71_2189:
	s_andn2_b64 vcc, exec, s[6:7]
	s_cbranch_vccnz .LBB71_2200
; %bb.2190:
	s_cmp_lt_i32 s16, 6
	s_cbranch_scc1 .LBB71_2193
; %bb.2191:
	s_cmp_gt_i32 s16, 6
	s_cbranch_scc0 .LBB71_2194
; %bb.2192:
	global_load_dwordx2 v[15:16], v[20:21], off
	s_mov_b64 s[6:7], 0
	s_waitcnt vmcnt(0)
	v_cvt_i32_f64_e32 v15, v[15:16]
	s_branch .LBB71_2195
.LBB71_2193:
	s_mov_b64 s[6:7], -1
                                        ; implicit-def: $vgpr15
	s_branch .LBB71_2198
.LBB71_2194:
	s_mov_b64 s[6:7], -1
                                        ; implicit-def: $vgpr15
.LBB71_2195:
	s_andn2_b64 vcc, exec, s[6:7]
	s_cbranch_vccnz .LBB71_2197
; %bb.2196:
	global_load_dword v1, v[20:21], off
	s_waitcnt vmcnt(0)
	v_cvt_i32_f32_e32 v15, v1
.LBB71_2197:
	s_mov_b64 s[6:7], 0
.LBB71_2198:
	s_andn2_b64 vcc, exec, s[6:7]
	s_cbranch_vccnz .LBB71_2200
; %bb.2199:
	global_load_ushort v1, v[20:21], off
	s_waitcnt vmcnt(0)
	v_cvt_i16_f16_e32 v15, v1
.LBB71_2200:
	s_mov_b64 s[6:7], 0
.LBB71_2201:
	s_andn2_b64 vcc, exec, s[6:7]
	s_cbranch_vccnz .LBB71_2221
; %bb.2202:
	s_cmp_lt_i32 s16, 2
	s_cbranch_scc1 .LBB71_2206
; %bb.2203:
	s_cmp_lt_i32 s16, 3
	s_cbranch_scc1 .LBB71_2207
; %bb.2204:
	s_cmp_gt_i32 s16, 3
	s_cbranch_scc0 .LBB71_2208
; %bb.2205:
	global_load_dwordx2 v[15:16], v[20:21], off
	s_mov_b64 s[6:7], 0
	s_branch .LBB71_2209
.LBB71_2206:
	s_mov_b64 s[6:7], -1
                                        ; implicit-def: $vgpr15
	s_branch .LBB71_2215
.LBB71_2207:
	s_mov_b64 s[6:7], -1
                                        ; implicit-def: $vgpr15
	s_branch .LBB71_2212
.LBB71_2208:
	s_mov_b64 s[6:7], -1
                                        ; implicit-def: $vgpr15
.LBB71_2209:
	s_andn2_b64 vcc, exec, s[6:7]
	s_cbranch_vccnz .LBB71_2211
; %bb.2210:
	global_load_dword v15, v[20:21], off
.LBB71_2211:
	s_mov_b64 s[6:7], 0
.LBB71_2212:
	s_andn2_b64 vcc, exec, s[6:7]
	s_cbranch_vccnz .LBB71_2214
; %bb.2213:
	global_load_ushort v15, v[20:21], off
.LBB71_2214:
	s_mov_b64 s[6:7], 0
.LBB71_2215:
	s_andn2_b64 vcc, exec, s[6:7]
	s_cbranch_vccnz .LBB71_2221
; %bb.2216:
	s_cmp_gt_i32 s16, 0
	s_cbranch_scc0 .LBB71_2218
; %bb.2217:
	global_load_sbyte v15, v[20:21], off
	s_mov_b64 s[6:7], 0
	s_branch .LBB71_2219
.LBB71_2218:
	s_mov_b64 s[6:7], -1
                                        ; implicit-def: $vgpr15
.LBB71_2219:
	s_andn2_b64 vcc, exec, s[6:7]
	s_cbranch_vccnz .LBB71_2221
; %bb.2220:
	global_load_ubyte v15, v[20:21], off
.LBB71_2221:
	s_mov_b64 s[18:19], -1
.LBB71_2222:
	s_andn2_b64 vcc, exec, s[18:19]
	s_cbranch_vccnz .LBB71_3036
; %bb.2223:
	v_mov_b32_e32 v1, s1
	v_add_co_u32_e32 v20, vcc, s0, v19
	s_cmp_lt_i32 s23, 11
	v_addc_co_u32_e32 v21, vcc, 0, v1, vcc
	s_cbranch_scc1 .LBB71_2230
; %bb.2224:
	s_and_b32 s24, 0xffff, s23
	s_cmp_gt_i32 s24, 25
	s_mov_b64 s[16:17], 0
	s_cbranch_scc0 .LBB71_2231
; %bb.2225:
	s_cmp_gt_i32 s24, 28
	s_cbranch_scc0 .LBB71_2232
; %bb.2226:
	s_cmp_gt_i32 s24, 43
	s_cbranch_scc0 .LBB71_2233
; %bb.2227:
	s_cmp_gt_i32 s24, 45
	s_cbranch_scc0 .LBB71_2235
; %bb.2228:
	s_cmp_eq_u32 s24, 46
	s_mov_b64 s[20:21], 0
	s_cbranch_scc0 .LBB71_2238
; %bb.2229:
	global_load_dword v1, v[20:21], off
	s_mov_b64 s[6:7], 0
	s_mov_b64 s[18:19], -1
	s_waitcnt vmcnt(0)
	v_lshlrev_b32_e32 v1, 16, v1
	v_cvt_i32_f32_e32 v18, v1
	s_branch .LBB71_2239
.LBB71_2230:
	s_mov_b64 s[6:7], -1
	s_mov_b64 s[18:19], 0
                                        ; implicit-def: $vgpr18
	s_branch .LBB71_2301
.LBB71_2231:
	s_mov_b64 s[20:21], -1
	s_mov_b64 s[18:19], 0
	s_mov_b64 s[6:7], 0
                                        ; implicit-def: $vgpr18
	s_branch .LBB71_2266
.LBB71_2232:
	s_mov_b64 s[20:21], -1
	s_mov_b64 s[18:19], 0
	s_mov_b64 s[6:7], 0
                                        ; implicit-def: $vgpr18
	s_branch .LBB71_2249
.LBB71_2233:
	s_mov_b64 s[20:21], -1
	s_mov_b64 s[18:19], 0
	s_mov_b64 s[6:7], 0
                                        ; implicit-def: $vgpr18
	s_branch .LBB71_2244
.LBB71_2234:
	s_trap 2
	s_or_b64 s[4:5], s[4:5], exec
	s_cbranch_execz .LBB71_2171
	s_branch .LBB71_2172
.LBB71_2235:
	s_mov_b64 s[20:21], -1
	s_mov_b64 s[18:19], 0
	s_mov_b64 s[6:7], 0
                                        ; implicit-def: $vgpr18
	s_branch .LBB71_2239
.LBB71_2236:
	s_andn2_saveexec_b64 s[68:69], s[68:69]
	s_cbranch_execz .LBB71_1095
.LBB71_2237:
	v_add_f32_e32 v2, 0x42800000, v3
	v_and_b32_e32 v2, 0xff, v2
	v_cmp_ne_u32_e32 vcc, 0, v2
	s_andn2_b64 s[66:67], s[66:67], exec
	s_and_b64 s[76:77], vcc, exec
	s_or_b64 s[66:67], s[66:67], s[76:77]
	s_or_b64 exec, exec, s[68:69]
	v_mov_b32_e32 v4, 0
	s_and_saveexec_b64 s[68:69], s[66:67]
	s_cbranch_execnz .LBB71_1096
	s_branch .LBB71_1097
.LBB71_2238:
	s_mov_b64 s[6:7], -1
                                        ; implicit-def: $vgpr18
	s_mov_b64 s[18:19], 0
.LBB71_2239:
	s_and_b64 vcc, exec, s[20:21]
	s_cbranch_vccz .LBB71_2243
; %bb.2240:
	s_cmp_eq_u32 s24, 44
	s_cbranch_scc0 .LBB71_2242
; %bb.2241:
	global_load_ubyte v1, v[20:21], off
	s_mov_b64 s[6:7], 0
	s_mov_b64 s[18:19], -1
	s_waitcnt vmcnt(0)
	v_lshlrev_b32_e32 v3, 23, v1
	v_cvt_i32_f32_e32 v3, v3
	v_cmp_ne_u32_e32 vcc, 0, v1
	v_cndmask_b32_e32 v18, 0, v3, vcc
	s_branch .LBB71_2243
.LBB71_2242:
	s_mov_b64 s[6:7], -1
                                        ; implicit-def: $vgpr18
.LBB71_2243:
	s_mov_b64 s[20:21], 0
.LBB71_2244:
	s_and_b64 vcc, exec, s[20:21]
	s_cbranch_vccz .LBB71_2248
; %bb.2245:
	s_cmp_eq_u32 s24, 29
	s_cbranch_scc0 .LBB71_2247
; %bb.2246:
	global_load_dwordx2 v[18:19], v[20:21], off
	s_mov_b64 s[6:7], 0
	s_mov_b64 s[18:19], -1
	s_branch .LBB71_2248
.LBB71_2247:
	s_mov_b64 s[6:7], -1
                                        ; implicit-def: $vgpr18
.LBB71_2248:
	s_mov_b64 s[20:21], 0
.LBB71_2249:
	s_and_b64 vcc, exec, s[20:21]
	s_cbranch_vccz .LBB71_2265
; %bb.2250:
	s_cmp_lt_i32 s24, 27
	s_cbranch_scc1 .LBB71_2253
; %bb.2251:
	s_cmp_gt_i32 s24, 27
	s_cbranch_scc0 .LBB71_2254
; %bb.2252:
	global_load_dword v18, v[20:21], off
	s_mov_b64 s[18:19], 0
	s_branch .LBB71_2255
.LBB71_2253:
	s_mov_b64 s[18:19], -1
                                        ; implicit-def: $vgpr18
	s_branch .LBB71_2258
.LBB71_2254:
	s_mov_b64 s[18:19], -1
                                        ; implicit-def: $vgpr18
.LBB71_2255:
	s_andn2_b64 vcc, exec, s[18:19]
	s_cbranch_vccnz .LBB71_2257
; %bb.2256:
	global_load_ushort v18, v[20:21], off
.LBB71_2257:
	s_mov_b64 s[18:19], 0
.LBB71_2258:
	s_andn2_b64 vcc, exec, s[18:19]
	s_cbranch_vccnz .LBB71_2264
; %bb.2259:
	global_load_ubyte v1, v[20:21], off
	s_movk_i32 s18, 0x7f
	s_mov_b64 s[20:21], 0
	s_waitcnt vmcnt(0)
	v_cmp_lt_i16_e32 vcc, s18, v1
	s_and_saveexec_b64 s[18:19], vcc
	s_xor_b64 s[18:19], exec, s[18:19]
	s_cbranch_execz .LBB71_2276
; %bb.2260:
	s_movk_i32 s20, 0x80
	v_cmp_ne_u16_e32 vcc, s20, v1
	s_and_b64 s[20:21], vcc, exec
	s_andn2_saveexec_b64 s[18:19], s[18:19]
	s_cbranch_execnz .LBB71_2277
.LBB71_2261:
	s_or_b64 exec, exec, s[18:19]
	v_mov_b32_e32 v18, 0
	s_and_saveexec_b64 s[18:19], s[20:21]
	s_cbranch_execz .LBB71_2263
.LBB71_2262:
	v_lshlrev_b32_e32 v3, 24, v1
	v_and_b32_e32 v1, 0xffff, v1
	v_and_b32_e32 v5, 7, v1
	v_ffbh_u32_e32 v11, v5
	v_min_u32_e32 v11, 32, v11
	v_subrev_u32_e32 v13, 28, v11
	v_bfe_u32 v8, v1, 3, 4
	v_lshlrev_b32_e32 v1, v13, v1
	v_sub_u32_e32 v11, 29, v11
	v_and_b32_e32 v1, 7, v1
	v_cmp_eq_u32_e32 vcc, 0, v8
	v_cndmask_b32_e32 v8, v8, v11, vcc
	v_cndmask_b32_e32 v1, v5, v1, vcc
	v_mov_b32_e32 v5, 0x3b800000
	v_lshlrev_b32_e32 v1, 20, v1
	v_and_b32_e32 v3, 0x80000000, v3
	v_lshl_add_u32 v5, v8, 23, v5
	v_or3_b32 v1, v3, v5, v1
	v_cvt_i32_f32_e32 v18, v1
.LBB71_2263:
	s_or_b64 exec, exec, s[18:19]
.LBB71_2264:
	s_mov_b64 s[18:19], -1
.LBB71_2265:
	s_mov_b64 s[20:21], 0
.LBB71_2266:
	s_and_b64 vcc, exec, s[20:21]
	s_cbranch_vccz .LBB71_2297
; %bb.2267:
	s_cmp_gt_i32 s24, 22
	s_cbranch_scc0 .LBB71_2275
; %bb.2268:
	s_cmp_lt_i32 s24, 24
	s_cbranch_scc1 .LBB71_2278
; %bb.2269:
	s_cmp_gt_i32 s24, 24
	s_cbranch_scc0 .LBB71_2279
; %bb.2270:
	global_load_ubyte v1, v[20:21], off
	s_movk_i32 s16, 0x7f
	s_mov_b64 s[18:19], 0
	s_waitcnt vmcnt(0)
	v_cmp_lt_i16_e32 vcc, s16, v1
	s_and_saveexec_b64 s[16:17], vcc
	s_xor_b64 s[16:17], exec, s[16:17]
	s_cbranch_execz .LBB71_2291
; %bb.2271:
	s_movk_i32 s18, 0x80
	v_cmp_ne_u16_e32 vcc, s18, v1
	s_and_b64 s[18:19], vcc, exec
	s_andn2_saveexec_b64 s[16:17], s[16:17]
	s_cbranch_execnz .LBB71_2292
.LBB71_2272:
	s_or_b64 exec, exec, s[16:17]
	v_mov_b32_e32 v18, 0
	s_and_saveexec_b64 s[16:17], s[18:19]
	s_cbranch_execz .LBB71_2274
.LBB71_2273:
	v_lshlrev_b32_e32 v3, 24, v1
	v_and_b32_e32 v1, 0xffff, v1
	v_and_b32_e32 v5, 3, v1
	v_ffbh_u32_e32 v11, v5
	v_min_u32_e32 v11, 32, v11
	v_subrev_u32_e32 v13, 29, v11
	v_bfe_u32 v8, v1, 2, 5
	v_lshlrev_b32_e32 v1, v13, v1
	v_sub_u32_e32 v11, 30, v11
	v_and_b32_e32 v1, 3, v1
	v_cmp_eq_u32_e32 vcc, 0, v8
	v_cndmask_b32_e32 v8, v8, v11, vcc
	v_cndmask_b32_e32 v1, v5, v1, vcc
	v_mov_b32_e32 v5, 0x37800000
	v_lshlrev_b32_e32 v1, 21, v1
	v_and_b32_e32 v3, 0x80000000, v3
	v_lshl_add_u32 v5, v8, 23, v5
	v_or3_b32 v1, v3, v5, v1
	v_cvt_i32_f32_e32 v18, v1
.LBB71_2274:
	s_or_b64 exec, exec, s[16:17]
	s_mov_b64 s[16:17], 0
	s_branch .LBB71_2280
.LBB71_2275:
	s_mov_b64 s[16:17], -1
                                        ; implicit-def: $vgpr18
	s_branch .LBB71_2286
.LBB71_2276:
	s_andn2_saveexec_b64 s[18:19], s[18:19]
	s_cbranch_execz .LBB71_2261
.LBB71_2277:
	v_cmp_ne_u16_e32 vcc, 0, v1
	s_andn2_b64 s[20:21], s[20:21], exec
	s_and_b64 s[26:27], vcc, exec
	s_or_b64 s[20:21], s[20:21], s[26:27]
	s_or_b64 exec, exec, s[18:19]
	v_mov_b32_e32 v18, 0
	s_and_saveexec_b64 s[18:19], s[20:21]
	s_cbranch_execnz .LBB71_2262
	s_branch .LBB71_2263
.LBB71_2278:
	s_mov_b64 s[16:17], -1
                                        ; implicit-def: $vgpr18
	s_branch .LBB71_2283
.LBB71_2279:
	s_mov_b64 s[16:17], -1
                                        ; implicit-def: $vgpr18
.LBB71_2280:
	s_and_b64 vcc, exec, s[16:17]
	s_cbranch_vccz .LBB71_2282
; %bb.2281:
	global_load_ubyte v1, v[20:21], off
	s_mov_b32 s16, 0x7f800000
	s_waitcnt vmcnt(0)
	v_lshlrev_b32_e32 v1, 24, v1
	v_and_b32_e32 v3, 0x7f000000, v1
	v_ffbh_u32_e32 v5, v3
	v_min_u32_e32 v5, 32, v5
	v_sub_u32_e64 v5, v5, 4 clamp
	v_lshlrev_b32_e32 v11, v5, v3
	v_lshlrev_b32_e32 v5, 23, v5
	v_lshrrev_b32_e32 v11, 4, v11
	v_add_u32_e32 v8, 0x1000000, v3
	v_sub_u32_e32 v5, v11, v5
	v_ashrrev_i32_e32 v8, 8, v8
	v_add_u32_e32 v5, 0x3c000000, v5
	v_and_or_b32 v5, v8, s16, v5
	v_cmp_ne_u32_e32 vcc, 0, v3
	v_cndmask_b32_e32 v3, 0, v5, vcc
	s_brev_b32 s16, 1
	v_and_or_b32 v1, v1, s16, v3
	v_cvt_i32_f32_e32 v18, v1
.LBB71_2282:
	s_mov_b64 s[16:17], 0
.LBB71_2283:
	s_andn2_b64 vcc, exec, s[16:17]
	s_cbranch_vccnz .LBB71_2285
; %bb.2284:
	global_load_ubyte v1, v[20:21], off
	s_movk_i32 s16, 0x7f00
	s_brev_b32 s17, 16
	s_waitcnt vmcnt(0)
	v_lshlrev_b16_e32 v3, 8, v1
	v_lshlrev_b32_e32 v1, 25, v1
	v_lshrrev_b32_e32 v5, 4, v1
	v_and_or_b32 v8, v3, s16, 0.5
	v_or_b32_e32 v5, 0x70000000, v5
	v_add_f32_e32 v8, -0.5, v8
	v_mul_f32_e32 v5, 0x7800000, v5
	v_cmp_gt_u32_e32 vcc, s17, v1
	v_bfe_i32 v3, v3, 0, 16
	v_cndmask_b32_e32 v1, v5, v8, vcc
	s_brev_b32 s16, 1
	v_and_or_b32 v1, v3, s16, v1
	v_cvt_i32_f32_e32 v18, v1
.LBB71_2285:
	s_mov_b64 s[16:17], 0
	s_mov_b64 s[18:19], -1
.LBB71_2286:
	s_andn2_b64 vcc, exec, s[16:17]
	s_mov_b64 s[16:17], 0
	s_cbranch_vccnz .LBB71_2297
; %bb.2287:
	s_cmp_gt_i32 s24, 14
	s_cbranch_scc0 .LBB71_2290
; %bb.2288:
	s_cmp_eq_u32 s24, 15
	s_cbranch_scc0 .LBB71_2293
; %bb.2289:
	global_load_ushort v1, v[20:21], off
	s_mov_b64 s[6:7], 0
	s_mov_b64 s[18:19], -1
	s_waitcnt vmcnt(0)
	v_lshlrev_b32_e32 v1, 16, v1
	v_cvt_i32_f32_e32 v18, v1
	s_branch .LBB71_2294
.LBB71_2290:
	s_mov_b64 s[20:21], -1
                                        ; implicit-def: $vgpr18
	s_branch .LBB71_2295
.LBB71_2291:
	s_andn2_saveexec_b64 s[16:17], s[16:17]
	s_cbranch_execz .LBB71_2272
.LBB71_2292:
	v_cmp_ne_u16_e32 vcc, 0, v1
	s_andn2_b64 s[18:19], s[18:19], exec
	s_and_b64 s[20:21], vcc, exec
	s_or_b64 s[18:19], s[18:19], s[20:21]
	s_or_b64 exec, exec, s[16:17]
	v_mov_b32_e32 v18, 0
	s_and_saveexec_b64 s[16:17], s[18:19]
	s_cbranch_execnz .LBB71_2273
	s_branch .LBB71_2274
.LBB71_2293:
	s_mov_b64 s[6:7], -1
                                        ; implicit-def: $vgpr18
.LBB71_2294:
	s_mov_b64 s[20:21], 0
.LBB71_2295:
	s_and_b64 vcc, exec, s[20:21]
	s_cbranch_vccz .LBB71_2297
; %bb.2296:
	s_cmp_lg_u32 s24, 11
	s_mov_b64 s[16:17], -1
	s_cselect_b64 s[6:7], -1, 0
.LBB71_2297:
	s_and_b64 vcc, exec, s[6:7]
	s_cbranch_vccnz .LBB71_2362
; %bb.2298:
	s_andn2_b64 vcc, exec, s[16:17]
	s_cbranch_vccnz .LBB71_2300
.LBB71_2299:
	global_load_ubyte v1, v[20:21], off
	s_mov_b64 s[18:19], -1
	s_waitcnt vmcnt(0)
	v_cmp_ne_u16_e32 vcc, 0, v1
	v_cndmask_b32_e64 v18, 0, 1, vcc
.LBB71_2300:
	s_mov_b64 s[6:7], 0
.LBB71_2301:
	s_and_b64 vcc, exec, s[6:7]
	s_cbranch_vccz .LBB71_2350
; %bb.2302:
	s_and_b32 s16, 0xffff, s23
	s_cmp_lt_i32 s16, 5
	s_cbranch_scc1 .LBB71_2307
; %bb.2303:
	s_cmp_lt_i32 s16, 8
	s_cbranch_scc1 .LBB71_2308
; %bb.2304:
	;; [unrolled: 3-line block ×3, first 2 shown]
	s_cmp_gt_i32 s16, 9
	s_cbranch_scc0 .LBB71_2310
; %bb.2306:
	global_load_dwordx2 v[18:19], v[20:21], off
	s_mov_b64 s[6:7], 0
	s_waitcnt vmcnt(0)
	v_cvt_i32_f64_e32 v18, v[18:19]
	s_branch .LBB71_2311
.LBB71_2307:
	s_mov_b64 s[6:7], -1
                                        ; implicit-def: $vgpr18
	s_branch .LBB71_2329
.LBB71_2308:
	s_mov_b64 s[6:7], -1
                                        ; implicit-def: $vgpr18
	s_branch .LBB71_2317
.LBB71_2309:
	s_mov_b64 s[6:7], -1
                                        ; implicit-def: $vgpr18
	s_branch .LBB71_2314
.LBB71_2310:
	s_mov_b64 s[6:7], -1
                                        ; implicit-def: $vgpr18
.LBB71_2311:
	s_andn2_b64 vcc, exec, s[6:7]
	s_cbranch_vccnz .LBB71_2313
; %bb.2312:
	global_load_dword v1, v[20:21], off
	s_waitcnt vmcnt(0)
	v_cvt_i32_f32_e32 v18, v1
.LBB71_2313:
	s_mov_b64 s[6:7], 0
.LBB71_2314:
	s_andn2_b64 vcc, exec, s[6:7]
	s_cbranch_vccnz .LBB71_2316
; %bb.2315:
	global_load_dword v1, v[20:21], off
	s_waitcnt vmcnt(0)
	v_cvt_i16_f16_e32 v18, v1
.LBB71_2316:
	s_mov_b64 s[6:7], 0
.LBB71_2317:
	s_andn2_b64 vcc, exec, s[6:7]
	s_cbranch_vccnz .LBB71_2328
; %bb.2318:
	s_cmp_lt_i32 s16, 6
	s_cbranch_scc1 .LBB71_2321
; %bb.2319:
	s_cmp_gt_i32 s16, 6
	s_cbranch_scc0 .LBB71_2322
; %bb.2320:
	global_load_dwordx2 v[18:19], v[20:21], off
	s_mov_b64 s[6:7], 0
	s_waitcnt vmcnt(0)
	v_cvt_i32_f64_e32 v18, v[18:19]
	s_branch .LBB71_2323
.LBB71_2321:
	s_mov_b64 s[6:7], -1
                                        ; implicit-def: $vgpr18
	s_branch .LBB71_2326
.LBB71_2322:
	s_mov_b64 s[6:7], -1
                                        ; implicit-def: $vgpr18
.LBB71_2323:
	s_andn2_b64 vcc, exec, s[6:7]
	s_cbranch_vccnz .LBB71_2325
; %bb.2324:
	global_load_dword v1, v[20:21], off
	s_waitcnt vmcnt(0)
	v_cvt_i32_f32_e32 v18, v1
.LBB71_2325:
	s_mov_b64 s[6:7], 0
.LBB71_2326:
	s_andn2_b64 vcc, exec, s[6:7]
	s_cbranch_vccnz .LBB71_2328
; %bb.2327:
	global_load_ushort v1, v[20:21], off
	s_waitcnt vmcnt(0)
	v_cvt_i16_f16_e32 v18, v1
.LBB71_2328:
	s_mov_b64 s[6:7], 0
.LBB71_2329:
	s_andn2_b64 vcc, exec, s[6:7]
	s_cbranch_vccnz .LBB71_2349
; %bb.2330:
	s_cmp_lt_i32 s16, 2
	s_cbranch_scc1 .LBB71_2334
; %bb.2331:
	s_cmp_lt_i32 s16, 3
	s_cbranch_scc1 .LBB71_2335
; %bb.2332:
	s_cmp_gt_i32 s16, 3
	s_cbranch_scc0 .LBB71_2336
; %bb.2333:
	global_load_dwordx2 v[18:19], v[20:21], off
	s_mov_b64 s[6:7], 0
	s_branch .LBB71_2337
.LBB71_2334:
	s_mov_b64 s[6:7], -1
                                        ; implicit-def: $vgpr18
	s_branch .LBB71_2343
.LBB71_2335:
	s_mov_b64 s[6:7], -1
                                        ; implicit-def: $vgpr18
	s_branch .LBB71_2340
.LBB71_2336:
	s_mov_b64 s[6:7], -1
                                        ; implicit-def: $vgpr18
.LBB71_2337:
	s_andn2_b64 vcc, exec, s[6:7]
	s_cbranch_vccnz .LBB71_2339
; %bb.2338:
	global_load_dword v18, v[20:21], off
.LBB71_2339:
	s_mov_b64 s[6:7], 0
.LBB71_2340:
	s_andn2_b64 vcc, exec, s[6:7]
	s_cbranch_vccnz .LBB71_2342
; %bb.2341:
	global_load_ushort v18, v[20:21], off
.LBB71_2342:
	s_mov_b64 s[6:7], 0
.LBB71_2343:
	s_andn2_b64 vcc, exec, s[6:7]
	s_cbranch_vccnz .LBB71_2349
; %bb.2344:
	s_cmp_gt_i32 s16, 0
	s_cbranch_scc0 .LBB71_2346
; %bb.2345:
	global_load_sbyte v18, v[20:21], off
	s_mov_b64 s[6:7], 0
	s_branch .LBB71_2347
.LBB71_2346:
	s_mov_b64 s[6:7], -1
                                        ; implicit-def: $vgpr18
.LBB71_2347:
	s_andn2_b64 vcc, exec, s[6:7]
	s_cbranch_vccnz .LBB71_2349
; %bb.2348:
	global_load_ubyte v18, v[20:21], off
.LBB71_2349:
	s_mov_b64 s[18:19], -1
.LBB71_2350:
	s_andn2_b64 vcc, exec, s[18:19]
	s_cbranch_vccnz .LBB71_3036
; %bb.2351:
	v_mov_b32_e32 v1, s11
	s_waitcnt vmcnt(0)
	v_add_co_u32_e32 v19, vcc, s10, v14
	s_cmp_lt_i32 s22, 11
	v_addc_co_u32_e32 v20, vcc, 0, v1, vcc
	s_cbranch_scc1 .LBB71_2358
; %bb.2352:
	s_and_b32 s20, 0xffff, s22
	s_cmp_gt_i32 s20, 25
	s_mov_b64 s[10:11], 0
	s_cbranch_scc0 .LBB71_2359
; %bb.2353:
	s_cmp_gt_i32 s20, 28
	s_cbranch_scc0 .LBB71_2360
; %bb.2354:
	s_cmp_gt_i32 s20, 43
	s_cbranch_scc0 .LBB71_2361
; %bb.2355:
	s_cmp_gt_i32 s20, 45
	s_cbranch_scc0 .LBB71_2363
; %bb.2356:
	s_cmp_eq_u32 s20, 46
	s_mov_b64 s[18:19], 0
	s_cbranch_scc0 .LBB71_2364
; %bb.2357:
	global_load_dword v1, v[19:20], off
	s_mov_b64 s[6:7], 0
	s_mov_b64 s[16:17], -1
	s_waitcnt vmcnt(0)
	v_lshlrev_b32_e32 v1, 16, v1
	v_cvt_i32_f32_e32 v13, v1
	s_branch .LBB71_2365
.LBB71_2358:
	s_mov_b64 s[6:7], -1
	s_mov_b64 s[16:17], 0
                                        ; implicit-def: $vgpr13
	s_branch .LBB71_2427
.LBB71_2359:
	s_mov_b64 s[18:19], -1
	s_mov_b64 s[16:17], 0
	s_mov_b64 s[6:7], 0
                                        ; implicit-def: $vgpr13
	s_branch .LBB71_2392
.LBB71_2360:
	s_mov_b64 s[18:19], -1
	s_mov_b64 s[16:17], 0
	s_mov_b64 s[6:7], 0
                                        ; implicit-def: $vgpr13
	s_branch .LBB71_2375
.LBB71_2361:
	s_mov_b64 s[18:19], -1
	s_mov_b64 s[16:17], 0
	s_mov_b64 s[6:7], 0
                                        ; implicit-def: $vgpr13
	s_branch .LBB71_2370
.LBB71_2362:
	s_trap 2
	s_or_b64 s[4:5], s[4:5], exec
	s_cbranch_execz .LBB71_2299
	s_branch .LBB71_2300
.LBB71_2363:
	s_mov_b64 s[18:19], -1
	s_mov_b64 s[16:17], 0
	s_mov_b64 s[6:7], 0
                                        ; implicit-def: $vgpr13
	s_branch .LBB71_2365
.LBB71_2364:
	s_mov_b64 s[6:7], -1
                                        ; implicit-def: $vgpr13
	s_mov_b64 s[16:17], 0
.LBB71_2365:
	s_and_b64 vcc, exec, s[18:19]
	s_cbranch_vccz .LBB71_2369
; %bb.2366:
	s_cmp_eq_u32 s20, 44
	s_cbranch_scc0 .LBB71_2368
; %bb.2367:
	global_load_ubyte v1, v[19:20], off
	s_mov_b64 s[6:7], 0
	s_mov_b64 s[16:17], -1
	s_waitcnt vmcnt(0)
	v_lshlrev_b32_e32 v3, 23, v1
	v_cvt_i32_f32_e32 v3, v3
	v_cmp_ne_u32_e32 vcc, 0, v1
	v_cndmask_b32_e32 v13, 0, v3, vcc
	s_branch .LBB71_2369
.LBB71_2368:
	s_mov_b64 s[6:7], -1
                                        ; implicit-def: $vgpr13
.LBB71_2369:
	s_mov_b64 s[18:19], 0
.LBB71_2370:
	s_and_b64 vcc, exec, s[18:19]
	s_cbranch_vccz .LBB71_2374
; %bb.2371:
	s_cmp_eq_u32 s20, 29
	s_cbranch_scc0 .LBB71_2373
; %bb.2372:
	global_load_dwordx2 v[13:14], v[19:20], off
	s_mov_b64 s[6:7], 0
	s_mov_b64 s[16:17], -1
	s_branch .LBB71_2374
.LBB71_2373:
	s_mov_b64 s[6:7], -1
                                        ; implicit-def: $vgpr13
.LBB71_2374:
	s_mov_b64 s[18:19], 0
.LBB71_2375:
	s_and_b64 vcc, exec, s[18:19]
	s_cbranch_vccz .LBB71_2391
; %bb.2376:
	s_cmp_lt_i32 s20, 27
	s_cbranch_scc1 .LBB71_2379
; %bb.2377:
	s_cmp_gt_i32 s20, 27
	s_cbranch_scc0 .LBB71_2380
; %bb.2378:
	global_load_dword v13, v[19:20], off
	s_mov_b64 s[16:17], 0
	s_branch .LBB71_2381
.LBB71_2379:
	s_mov_b64 s[16:17], -1
                                        ; implicit-def: $vgpr13
	s_branch .LBB71_2384
.LBB71_2380:
	s_mov_b64 s[16:17], -1
                                        ; implicit-def: $vgpr13
.LBB71_2381:
	s_andn2_b64 vcc, exec, s[16:17]
	s_cbranch_vccnz .LBB71_2383
; %bb.2382:
	global_load_ushort v13, v[19:20], off
.LBB71_2383:
	s_mov_b64 s[16:17], 0
.LBB71_2384:
	s_andn2_b64 vcc, exec, s[16:17]
	s_cbranch_vccnz .LBB71_2390
; %bb.2385:
	global_load_ubyte v1, v[19:20], off
	s_movk_i32 s16, 0x7f
	s_mov_b64 s[18:19], 0
	s_waitcnt vmcnt(0)
	v_cmp_lt_i16_e32 vcc, s16, v1
	s_and_saveexec_b64 s[16:17], vcc
	s_xor_b64 s[16:17], exec, s[16:17]
	s_cbranch_execz .LBB71_2402
; %bb.2386:
	s_movk_i32 s18, 0x80
	v_cmp_ne_u16_e32 vcc, s18, v1
	s_and_b64 s[18:19], vcc, exec
	s_andn2_saveexec_b64 s[16:17], s[16:17]
	s_cbranch_execnz .LBB71_2403
.LBB71_2387:
	s_or_b64 exec, exec, s[16:17]
	v_mov_b32_e32 v13, 0
	s_and_saveexec_b64 s[16:17], s[18:19]
	s_cbranch_execz .LBB71_2389
.LBB71_2388:
	v_lshlrev_b32_e32 v3, 24, v1
	v_and_b32_e32 v1, 0xffff, v1
	v_and_b32_e32 v5, 7, v1
	v_ffbh_u32_e32 v11, v5
	v_min_u32_e32 v11, 32, v11
	v_subrev_u32_e32 v13, 28, v11
	v_bfe_u32 v8, v1, 3, 4
	v_lshlrev_b32_e32 v1, v13, v1
	v_sub_u32_e32 v11, 29, v11
	v_and_b32_e32 v1, 7, v1
	v_cmp_eq_u32_e32 vcc, 0, v8
	v_cndmask_b32_e32 v8, v8, v11, vcc
	v_cndmask_b32_e32 v1, v5, v1, vcc
	v_mov_b32_e32 v5, 0x3b800000
	v_lshlrev_b32_e32 v1, 20, v1
	v_and_b32_e32 v3, 0x80000000, v3
	v_lshl_add_u32 v5, v8, 23, v5
	v_or3_b32 v1, v3, v5, v1
	v_cvt_i32_f32_e32 v13, v1
.LBB71_2389:
	s_or_b64 exec, exec, s[16:17]
.LBB71_2390:
	s_mov_b64 s[16:17], -1
.LBB71_2391:
	s_mov_b64 s[18:19], 0
.LBB71_2392:
	s_and_b64 vcc, exec, s[18:19]
	s_cbranch_vccz .LBB71_2423
; %bb.2393:
	s_cmp_gt_i32 s20, 22
	s_cbranch_scc0 .LBB71_2401
; %bb.2394:
	s_cmp_lt_i32 s20, 24
	s_cbranch_scc1 .LBB71_2404
; %bb.2395:
	s_cmp_gt_i32 s20, 24
	s_cbranch_scc0 .LBB71_2405
; %bb.2396:
	global_load_ubyte v1, v[19:20], off
	s_movk_i32 s10, 0x7f
	s_mov_b64 s[16:17], 0
	s_waitcnt vmcnt(0)
	v_cmp_lt_i16_e32 vcc, s10, v1
	s_and_saveexec_b64 s[10:11], vcc
	s_xor_b64 s[10:11], exec, s[10:11]
	s_cbranch_execz .LBB71_2417
; %bb.2397:
	s_movk_i32 s16, 0x80
	v_cmp_ne_u16_e32 vcc, s16, v1
	s_and_b64 s[16:17], vcc, exec
	s_andn2_saveexec_b64 s[10:11], s[10:11]
	s_cbranch_execnz .LBB71_2418
.LBB71_2398:
	s_or_b64 exec, exec, s[10:11]
	v_mov_b32_e32 v13, 0
	s_and_saveexec_b64 s[10:11], s[16:17]
	s_cbranch_execz .LBB71_2400
.LBB71_2399:
	v_lshlrev_b32_e32 v3, 24, v1
	v_and_b32_e32 v1, 0xffff, v1
	v_and_b32_e32 v5, 3, v1
	v_ffbh_u32_e32 v11, v5
	v_min_u32_e32 v11, 32, v11
	v_subrev_u32_e32 v13, 29, v11
	v_bfe_u32 v8, v1, 2, 5
	v_lshlrev_b32_e32 v1, v13, v1
	v_sub_u32_e32 v11, 30, v11
	v_and_b32_e32 v1, 3, v1
	v_cmp_eq_u32_e32 vcc, 0, v8
	v_cndmask_b32_e32 v8, v8, v11, vcc
	v_cndmask_b32_e32 v1, v5, v1, vcc
	v_mov_b32_e32 v5, 0x37800000
	v_lshlrev_b32_e32 v1, 21, v1
	v_and_b32_e32 v3, 0x80000000, v3
	v_lshl_add_u32 v5, v8, 23, v5
	v_or3_b32 v1, v3, v5, v1
	v_cvt_i32_f32_e32 v13, v1
.LBB71_2400:
	s_or_b64 exec, exec, s[10:11]
	s_mov_b64 s[10:11], 0
	s_branch .LBB71_2406
.LBB71_2401:
	s_mov_b64 s[10:11], -1
                                        ; implicit-def: $vgpr13
	s_branch .LBB71_2412
.LBB71_2402:
	s_andn2_saveexec_b64 s[16:17], s[16:17]
	s_cbranch_execz .LBB71_2387
.LBB71_2403:
	v_cmp_ne_u16_e32 vcc, 0, v1
	s_andn2_b64 s[18:19], s[18:19], exec
	s_and_b64 s[24:25], vcc, exec
	s_or_b64 s[18:19], s[18:19], s[24:25]
	s_or_b64 exec, exec, s[16:17]
	v_mov_b32_e32 v13, 0
	s_and_saveexec_b64 s[16:17], s[18:19]
	s_cbranch_execnz .LBB71_2388
	s_branch .LBB71_2389
.LBB71_2404:
	s_mov_b64 s[10:11], -1
                                        ; implicit-def: $vgpr13
	s_branch .LBB71_2409
.LBB71_2405:
	s_mov_b64 s[10:11], -1
                                        ; implicit-def: $vgpr13
.LBB71_2406:
	s_and_b64 vcc, exec, s[10:11]
	s_cbranch_vccz .LBB71_2408
; %bb.2407:
	global_load_ubyte v1, v[19:20], off
	s_mov_b32 s10, 0x7f800000
	s_waitcnt vmcnt(0)
	v_lshlrev_b32_e32 v1, 24, v1
	v_and_b32_e32 v3, 0x7f000000, v1
	v_ffbh_u32_e32 v5, v3
	v_min_u32_e32 v5, 32, v5
	v_sub_u32_e64 v5, v5, 4 clamp
	v_lshlrev_b32_e32 v11, v5, v3
	v_lshlrev_b32_e32 v5, 23, v5
	v_lshrrev_b32_e32 v11, 4, v11
	v_add_u32_e32 v8, 0x1000000, v3
	v_sub_u32_e32 v5, v11, v5
	v_ashrrev_i32_e32 v8, 8, v8
	v_add_u32_e32 v5, 0x3c000000, v5
	v_and_or_b32 v5, v8, s10, v5
	v_cmp_ne_u32_e32 vcc, 0, v3
	v_cndmask_b32_e32 v3, 0, v5, vcc
	s_brev_b32 s10, 1
	v_and_or_b32 v1, v1, s10, v3
	v_cvt_i32_f32_e32 v13, v1
.LBB71_2408:
	s_mov_b64 s[10:11], 0
.LBB71_2409:
	s_andn2_b64 vcc, exec, s[10:11]
	s_cbranch_vccnz .LBB71_2411
; %bb.2410:
	global_load_ubyte v1, v[19:20], off
	s_movk_i32 s10, 0x7f00
	s_brev_b32 s11, 16
	s_waitcnt vmcnt(0)
	v_lshlrev_b16_e32 v3, 8, v1
	v_lshlrev_b32_e32 v1, 25, v1
	v_lshrrev_b32_e32 v5, 4, v1
	v_and_or_b32 v8, v3, s10, 0.5
	v_or_b32_e32 v5, 0x70000000, v5
	v_add_f32_e32 v8, -0.5, v8
	v_mul_f32_e32 v5, 0x7800000, v5
	v_cmp_gt_u32_e32 vcc, s11, v1
	v_bfe_i32 v3, v3, 0, 16
	v_cndmask_b32_e32 v1, v5, v8, vcc
	s_brev_b32 s10, 1
	v_and_or_b32 v1, v3, s10, v1
	v_cvt_i32_f32_e32 v13, v1
.LBB71_2411:
	s_mov_b64 s[10:11], 0
	s_mov_b64 s[16:17], -1
.LBB71_2412:
	s_andn2_b64 vcc, exec, s[10:11]
	s_mov_b64 s[10:11], 0
	s_cbranch_vccnz .LBB71_2423
; %bb.2413:
	s_cmp_gt_i32 s20, 14
	s_cbranch_scc0 .LBB71_2416
; %bb.2414:
	s_cmp_eq_u32 s20, 15
	s_cbranch_scc0 .LBB71_2419
; %bb.2415:
	global_load_ushort v1, v[19:20], off
	s_mov_b64 s[6:7], 0
	s_mov_b64 s[16:17], -1
	s_waitcnt vmcnt(0)
	v_lshlrev_b32_e32 v1, 16, v1
	v_cvt_i32_f32_e32 v13, v1
	s_branch .LBB71_2420
.LBB71_2416:
	s_mov_b64 s[18:19], -1
                                        ; implicit-def: $vgpr13
	s_branch .LBB71_2421
.LBB71_2417:
	s_andn2_saveexec_b64 s[10:11], s[10:11]
	s_cbranch_execz .LBB71_2398
.LBB71_2418:
	v_cmp_ne_u16_e32 vcc, 0, v1
	s_andn2_b64 s[16:17], s[16:17], exec
	s_and_b64 s[18:19], vcc, exec
	s_or_b64 s[16:17], s[16:17], s[18:19]
	s_or_b64 exec, exec, s[10:11]
	v_mov_b32_e32 v13, 0
	s_and_saveexec_b64 s[10:11], s[16:17]
	s_cbranch_execnz .LBB71_2399
	s_branch .LBB71_2400
.LBB71_2419:
	s_mov_b64 s[6:7], -1
                                        ; implicit-def: $vgpr13
.LBB71_2420:
	s_mov_b64 s[18:19], 0
.LBB71_2421:
	s_and_b64 vcc, exec, s[18:19]
	s_cbranch_vccz .LBB71_2423
; %bb.2422:
	s_cmp_lg_u32 s20, 11
	s_mov_b64 s[10:11], -1
	s_cselect_b64 s[6:7], -1, 0
.LBB71_2423:
	s_and_b64 vcc, exec, s[6:7]
	s_cbranch_vccnz .LBB71_2488
; %bb.2424:
	s_andn2_b64 vcc, exec, s[10:11]
	s_cbranch_vccnz .LBB71_2426
.LBB71_2425:
	global_load_ubyte v1, v[19:20], off
	s_mov_b64 s[16:17], -1
	s_waitcnt vmcnt(0)
	v_cmp_ne_u16_e32 vcc, 0, v1
	v_cndmask_b32_e64 v13, 0, 1, vcc
.LBB71_2426:
	s_mov_b64 s[6:7], 0
.LBB71_2427:
	s_and_b64 vcc, exec, s[6:7]
	s_cbranch_vccz .LBB71_2476
; %bb.2428:
	s_and_b32 s10, 0xffff, s22
	s_cmp_lt_i32 s10, 5
	s_cbranch_scc1 .LBB71_2433
; %bb.2429:
	s_cmp_lt_i32 s10, 8
	s_cbranch_scc1 .LBB71_2434
; %bb.2430:
	s_cmp_lt_i32 s10, 9
	s_cbranch_scc1 .LBB71_2435
; %bb.2431:
	s_cmp_gt_i32 s10, 9
	s_cbranch_scc0 .LBB71_2436
; %bb.2432:
	global_load_dwordx2 v[13:14], v[19:20], off
	s_mov_b64 s[6:7], 0
	s_waitcnt vmcnt(0)
	v_cvt_i32_f64_e32 v13, v[13:14]
	s_branch .LBB71_2437
.LBB71_2433:
	s_mov_b64 s[6:7], -1
                                        ; implicit-def: $vgpr13
	s_branch .LBB71_2455
.LBB71_2434:
	s_mov_b64 s[6:7], -1
                                        ; implicit-def: $vgpr13
	s_branch .LBB71_2443
.LBB71_2435:
	s_mov_b64 s[6:7], -1
                                        ; implicit-def: $vgpr13
	s_branch .LBB71_2440
.LBB71_2436:
	s_mov_b64 s[6:7], -1
                                        ; implicit-def: $vgpr13
.LBB71_2437:
	s_andn2_b64 vcc, exec, s[6:7]
	s_cbranch_vccnz .LBB71_2439
; %bb.2438:
	global_load_dword v1, v[19:20], off
	s_waitcnt vmcnt(0)
	v_cvt_i32_f32_e32 v13, v1
.LBB71_2439:
	s_mov_b64 s[6:7], 0
.LBB71_2440:
	s_andn2_b64 vcc, exec, s[6:7]
	s_cbranch_vccnz .LBB71_2442
; %bb.2441:
	global_load_dword v1, v[19:20], off
	s_waitcnt vmcnt(0)
	v_cvt_i16_f16_e32 v13, v1
.LBB71_2442:
	s_mov_b64 s[6:7], 0
.LBB71_2443:
	s_andn2_b64 vcc, exec, s[6:7]
	s_cbranch_vccnz .LBB71_2454
; %bb.2444:
	s_cmp_lt_i32 s10, 6
	s_cbranch_scc1 .LBB71_2447
; %bb.2445:
	s_cmp_gt_i32 s10, 6
	s_cbranch_scc0 .LBB71_2448
; %bb.2446:
	global_load_dwordx2 v[13:14], v[19:20], off
	s_mov_b64 s[6:7], 0
	s_waitcnt vmcnt(0)
	v_cvt_i32_f64_e32 v13, v[13:14]
	s_branch .LBB71_2449
.LBB71_2447:
	s_mov_b64 s[6:7], -1
                                        ; implicit-def: $vgpr13
	s_branch .LBB71_2452
.LBB71_2448:
	s_mov_b64 s[6:7], -1
                                        ; implicit-def: $vgpr13
.LBB71_2449:
	s_andn2_b64 vcc, exec, s[6:7]
	s_cbranch_vccnz .LBB71_2451
; %bb.2450:
	global_load_dword v1, v[19:20], off
	s_waitcnt vmcnt(0)
	v_cvt_i32_f32_e32 v13, v1
.LBB71_2451:
	s_mov_b64 s[6:7], 0
.LBB71_2452:
	s_andn2_b64 vcc, exec, s[6:7]
	s_cbranch_vccnz .LBB71_2454
; %bb.2453:
	global_load_ushort v1, v[19:20], off
	s_waitcnt vmcnt(0)
	v_cvt_i16_f16_e32 v13, v1
.LBB71_2454:
	s_mov_b64 s[6:7], 0
.LBB71_2455:
	s_andn2_b64 vcc, exec, s[6:7]
	s_cbranch_vccnz .LBB71_2475
; %bb.2456:
	s_cmp_lt_i32 s10, 2
	s_cbranch_scc1 .LBB71_2460
; %bb.2457:
	s_cmp_lt_i32 s10, 3
	s_cbranch_scc1 .LBB71_2461
; %bb.2458:
	s_cmp_gt_i32 s10, 3
	s_cbranch_scc0 .LBB71_2462
; %bb.2459:
	global_load_dwordx2 v[13:14], v[19:20], off
	s_mov_b64 s[6:7], 0
	s_branch .LBB71_2463
.LBB71_2460:
	s_mov_b64 s[6:7], -1
                                        ; implicit-def: $vgpr13
	s_branch .LBB71_2469
.LBB71_2461:
	s_mov_b64 s[6:7], -1
                                        ; implicit-def: $vgpr13
	s_branch .LBB71_2466
.LBB71_2462:
	s_mov_b64 s[6:7], -1
                                        ; implicit-def: $vgpr13
.LBB71_2463:
	s_andn2_b64 vcc, exec, s[6:7]
	s_cbranch_vccnz .LBB71_2465
; %bb.2464:
	global_load_dword v13, v[19:20], off
.LBB71_2465:
	s_mov_b64 s[6:7], 0
.LBB71_2466:
	s_andn2_b64 vcc, exec, s[6:7]
	s_cbranch_vccnz .LBB71_2468
; %bb.2467:
	global_load_ushort v13, v[19:20], off
.LBB71_2468:
	s_mov_b64 s[6:7], 0
.LBB71_2469:
	s_andn2_b64 vcc, exec, s[6:7]
	s_cbranch_vccnz .LBB71_2475
; %bb.2470:
	s_cmp_gt_i32 s10, 0
	s_cbranch_scc0 .LBB71_2472
; %bb.2471:
	global_load_sbyte v13, v[19:20], off
	s_mov_b64 s[6:7], 0
	s_branch .LBB71_2473
.LBB71_2472:
	s_mov_b64 s[6:7], -1
                                        ; implicit-def: $vgpr13
.LBB71_2473:
	s_andn2_b64 vcc, exec, s[6:7]
	s_cbranch_vccnz .LBB71_2475
; %bb.2474:
	global_load_ubyte v13, v[19:20], off
.LBB71_2475:
	s_mov_b64 s[16:17], -1
.LBB71_2476:
	s_andn2_b64 vcc, exec, s[16:17]
	s_cbranch_vccnz .LBB71_3036
; %bb.2477:
	v_mov_b32_e32 v1, s1
	v_add_co_u32_e32 v19, vcc, s0, v9
	s_cmp_lt_i32 s23, 11
	v_addc_co_u32_e32 v20, vcc, 0, v1, vcc
	s_cbranch_scc1 .LBB71_2484
; %bb.2478:
	s_and_b32 s18, 0xffff, s23
	s_cmp_gt_i32 s18, 25
	s_mov_b64 s[6:7], 0
	s_cbranch_scc0 .LBB71_2485
; %bb.2479:
	s_cmp_gt_i32 s18, 28
	s_cbranch_scc0 .LBB71_2486
; %bb.2480:
	s_cmp_gt_i32 s18, 43
	;; [unrolled: 3-line block ×3, first 2 shown]
	s_cbranch_scc0 .LBB71_2489
; %bb.2482:
	s_cmp_eq_u32 s18, 46
	s_mov_b64 s[16:17], 0
	s_cbranch_scc0 .LBB71_2490
; %bb.2483:
	global_load_dword v1, v[19:20], off
	s_mov_b64 s[0:1], 0
	s_mov_b64 s[10:11], -1
	s_waitcnt vmcnt(0)
	v_lshlrev_b32_e32 v1, 16, v1
	v_cvt_i32_f32_e32 v8, v1
	s_branch .LBB71_2491
.LBB71_2484:
	s_mov_b64 s[0:1], -1
	s_mov_b64 s[10:11], 0
                                        ; implicit-def: $vgpr8
	s_branch .LBB71_2553
.LBB71_2485:
	s_mov_b64 s[16:17], -1
	s_mov_b64 s[10:11], 0
	s_mov_b64 s[0:1], 0
                                        ; implicit-def: $vgpr8
	s_branch .LBB71_2518
.LBB71_2486:
	s_mov_b64 s[16:17], -1
	s_mov_b64 s[10:11], 0
	s_mov_b64 s[0:1], 0
                                        ; implicit-def: $vgpr8
	s_branch .LBB71_2501
.LBB71_2487:
	s_mov_b64 s[16:17], -1
	s_mov_b64 s[10:11], 0
	s_mov_b64 s[0:1], 0
                                        ; implicit-def: $vgpr8
	s_branch .LBB71_2496
.LBB71_2488:
	s_trap 2
	s_or_b64 s[4:5], s[4:5], exec
	s_cbranch_execz .LBB71_2425
	s_branch .LBB71_2426
.LBB71_2489:
	s_mov_b64 s[16:17], -1
	s_mov_b64 s[10:11], 0
	s_mov_b64 s[0:1], 0
                                        ; implicit-def: $vgpr8
	s_branch .LBB71_2491
.LBB71_2490:
	s_mov_b64 s[0:1], -1
                                        ; implicit-def: $vgpr8
	s_mov_b64 s[10:11], 0
.LBB71_2491:
	s_and_b64 vcc, exec, s[16:17]
	s_cbranch_vccz .LBB71_2495
; %bb.2492:
	s_cmp_eq_u32 s18, 44
	s_cbranch_scc0 .LBB71_2494
; %bb.2493:
	global_load_ubyte v1, v[19:20], off
	s_mov_b64 s[0:1], 0
	s_mov_b64 s[10:11], -1
	s_waitcnt vmcnt(0)
	v_lshlrev_b32_e32 v3, 23, v1
	v_cvt_i32_f32_e32 v3, v3
	v_cmp_ne_u32_e32 vcc, 0, v1
	v_cndmask_b32_e32 v8, 0, v3, vcc
	s_branch .LBB71_2495
.LBB71_2494:
	s_mov_b64 s[0:1], -1
                                        ; implicit-def: $vgpr8
.LBB71_2495:
	s_mov_b64 s[16:17], 0
.LBB71_2496:
	s_and_b64 vcc, exec, s[16:17]
	s_cbranch_vccz .LBB71_2500
; %bb.2497:
	s_cmp_eq_u32 s18, 29
	s_cbranch_scc0 .LBB71_2499
; %bb.2498:
	global_load_dwordx2 v[8:9], v[19:20], off
	s_mov_b64 s[0:1], 0
	s_mov_b64 s[10:11], -1
	s_branch .LBB71_2500
.LBB71_2499:
	s_mov_b64 s[0:1], -1
                                        ; implicit-def: $vgpr8
.LBB71_2500:
	s_mov_b64 s[16:17], 0
.LBB71_2501:
	s_and_b64 vcc, exec, s[16:17]
	s_cbranch_vccz .LBB71_2517
; %bb.2502:
	s_cmp_lt_i32 s18, 27
	s_cbranch_scc1 .LBB71_2505
; %bb.2503:
	s_cmp_gt_i32 s18, 27
	s_cbranch_scc0 .LBB71_2506
; %bb.2504:
	global_load_dword v8, v[19:20], off
	s_mov_b64 s[10:11], 0
	s_branch .LBB71_2507
.LBB71_2505:
	s_mov_b64 s[10:11], -1
                                        ; implicit-def: $vgpr8
	s_branch .LBB71_2510
.LBB71_2506:
	s_mov_b64 s[10:11], -1
                                        ; implicit-def: $vgpr8
.LBB71_2507:
	s_andn2_b64 vcc, exec, s[10:11]
	s_cbranch_vccnz .LBB71_2509
; %bb.2508:
	global_load_ushort v8, v[19:20], off
.LBB71_2509:
	s_mov_b64 s[10:11], 0
.LBB71_2510:
	s_andn2_b64 vcc, exec, s[10:11]
	s_cbranch_vccnz .LBB71_2516
; %bb.2511:
	global_load_ubyte v1, v[19:20], off
	s_movk_i32 s10, 0x7f
	s_mov_b64 s[16:17], 0
	s_waitcnt vmcnt(0)
	v_cmp_lt_i16_e32 vcc, s10, v1
	s_and_saveexec_b64 s[10:11], vcc
	s_xor_b64 s[10:11], exec, s[10:11]
	s_cbranch_execz .LBB71_2528
; %bb.2512:
	s_movk_i32 s16, 0x80
	v_cmp_ne_u16_e32 vcc, s16, v1
	s_and_b64 s[16:17], vcc, exec
	s_andn2_saveexec_b64 s[10:11], s[10:11]
	s_cbranch_execnz .LBB71_2529
.LBB71_2513:
	s_or_b64 exec, exec, s[10:11]
	v_mov_b32_e32 v8, 0
	s_and_saveexec_b64 s[10:11], s[16:17]
	s_cbranch_execz .LBB71_2515
.LBB71_2514:
	v_lshlrev_b32_e32 v3, 24, v1
	v_and_b32_e32 v1, 0xffff, v1
	v_and_b32_e32 v5, 7, v1
	v_ffbh_u32_e32 v9, v5
	v_min_u32_e32 v9, 32, v9
	v_subrev_u32_e32 v11, 28, v9
	v_bfe_u32 v8, v1, 3, 4
	v_lshlrev_b32_e32 v1, v11, v1
	v_sub_u32_e32 v9, 29, v9
	v_and_b32_e32 v1, 7, v1
	v_cmp_eq_u32_e32 vcc, 0, v8
	v_cndmask_b32_e32 v8, v8, v9, vcc
	v_cndmask_b32_e32 v1, v5, v1, vcc
	v_mov_b32_e32 v5, 0x3b800000
	v_lshlrev_b32_e32 v1, 20, v1
	v_and_b32_e32 v3, 0x80000000, v3
	v_lshl_add_u32 v5, v8, 23, v5
	v_or3_b32 v1, v3, v5, v1
	v_cvt_i32_f32_e32 v8, v1
.LBB71_2515:
	s_or_b64 exec, exec, s[10:11]
.LBB71_2516:
	s_mov_b64 s[10:11], -1
.LBB71_2517:
	s_mov_b64 s[16:17], 0
.LBB71_2518:
	s_and_b64 vcc, exec, s[16:17]
	s_cbranch_vccz .LBB71_2549
; %bb.2519:
	s_cmp_gt_i32 s18, 22
	s_cbranch_scc0 .LBB71_2527
; %bb.2520:
	s_cmp_lt_i32 s18, 24
	s_cbranch_scc1 .LBB71_2530
; %bb.2521:
	s_cmp_gt_i32 s18, 24
	s_cbranch_scc0 .LBB71_2531
; %bb.2522:
	global_load_ubyte v1, v[19:20], off
	s_movk_i32 s6, 0x7f
	s_mov_b64 s[10:11], 0
	s_waitcnt vmcnt(0)
	v_cmp_lt_i16_e32 vcc, s6, v1
	s_and_saveexec_b64 s[6:7], vcc
	s_xor_b64 s[6:7], exec, s[6:7]
	s_cbranch_execz .LBB71_2543
; %bb.2523:
	s_movk_i32 s10, 0x80
	v_cmp_ne_u16_e32 vcc, s10, v1
	s_and_b64 s[10:11], vcc, exec
	s_andn2_saveexec_b64 s[6:7], s[6:7]
	s_cbranch_execnz .LBB71_2544
.LBB71_2524:
	s_or_b64 exec, exec, s[6:7]
	v_mov_b32_e32 v8, 0
	s_and_saveexec_b64 s[6:7], s[10:11]
	s_cbranch_execz .LBB71_2526
.LBB71_2525:
	v_lshlrev_b32_e32 v3, 24, v1
	v_and_b32_e32 v1, 0xffff, v1
	v_and_b32_e32 v5, 3, v1
	v_ffbh_u32_e32 v9, v5
	v_min_u32_e32 v9, 32, v9
	v_subrev_u32_e32 v11, 29, v9
	v_bfe_u32 v8, v1, 2, 5
	v_lshlrev_b32_e32 v1, v11, v1
	v_sub_u32_e32 v9, 30, v9
	v_and_b32_e32 v1, 3, v1
	v_cmp_eq_u32_e32 vcc, 0, v8
	v_cndmask_b32_e32 v8, v8, v9, vcc
	v_cndmask_b32_e32 v1, v5, v1, vcc
	v_mov_b32_e32 v5, 0x37800000
	v_lshlrev_b32_e32 v1, 21, v1
	v_and_b32_e32 v3, 0x80000000, v3
	v_lshl_add_u32 v5, v8, 23, v5
	v_or3_b32 v1, v3, v5, v1
	v_cvt_i32_f32_e32 v8, v1
.LBB71_2526:
	s_or_b64 exec, exec, s[6:7]
	s_mov_b64 s[6:7], 0
	s_branch .LBB71_2532
.LBB71_2527:
	s_mov_b64 s[6:7], -1
                                        ; implicit-def: $vgpr8
	s_branch .LBB71_2538
.LBB71_2528:
	s_andn2_saveexec_b64 s[10:11], s[10:11]
	s_cbranch_execz .LBB71_2513
.LBB71_2529:
	v_cmp_ne_u16_e32 vcc, 0, v1
	s_andn2_b64 s[16:17], s[16:17], exec
	s_and_b64 s[20:21], vcc, exec
	s_or_b64 s[16:17], s[16:17], s[20:21]
	s_or_b64 exec, exec, s[10:11]
	v_mov_b32_e32 v8, 0
	s_and_saveexec_b64 s[10:11], s[16:17]
	s_cbranch_execnz .LBB71_2514
	s_branch .LBB71_2515
.LBB71_2530:
	s_mov_b64 s[6:7], -1
                                        ; implicit-def: $vgpr8
	s_branch .LBB71_2535
.LBB71_2531:
	s_mov_b64 s[6:7], -1
                                        ; implicit-def: $vgpr8
.LBB71_2532:
	s_and_b64 vcc, exec, s[6:7]
	s_cbranch_vccz .LBB71_2534
; %bb.2533:
	global_load_ubyte v1, v[19:20], off
	s_mov_b32 s6, 0x7f800000
	s_waitcnt vmcnt(0)
	v_lshlrev_b32_e32 v1, 24, v1
	v_and_b32_e32 v3, 0x7f000000, v1
	v_ffbh_u32_e32 v5, v3
	v_min_u32_e32 v5, 32, v5
	v_sub_u32_e64 v5, v5, 4 clamp
	v_lshlrev_b32_e32 v9, v5, v3
	v_lshlrev_b32_e32 v5, 23, v5
	v_lshrrev_b32_e32 v9, 4, v9
	v_add_u32_e32 v8, 0x1000000, v3
	v_sub_u32_e32 v5, v9, v5
	v_ashrrev_i32_e32 v8, 8, v8
	v_add_u32_e32 v5, 0x3c000000, v5
	v_and_or_b32 v5, v8, s6, v5
	v_cmp_ne_u32_e32 vcc, 0, v3
	v_cndmask_b32_e32 v3, 0, v5, vcc
	s_brev_b32 s6, 1
	v_and_or_b32 v1, v1, s6, v3
	v_cvt_i32_f32_e32 v8, v1
.LBB71_2534:
	s_mov_b64 s[6:7], 0
.LBB71_2535:
	s_andn2_b64 vcc, exec, s[6:7]
	s_cbranch_vccnz .LBB71_2537
; %bb.2536:
	global_load_ubyte v1, v[19:20], off
	s_movk_i32 s6, 0x7f00
	s_brev_b32 s7, 16
	s_waitcnt vmcnt(0)
	v_lshlrev_b16_e32 v3, 8, v1
	v_lshlrev_b32_e32 v1, 25, v1
	v_lshrrev_b32_e32 v5, 4, v1
	v_and_or_b32 v8, v3, s6, 0.5
	v_or_b32_e32 v5, 0x70000000, v5
	v_add_f32_e32 v8, -0.5, v8
	v_mul_f32_e32 v5, 0x7800000, v5
	v_cmp_gt_u32_e32 vcc, s7, v1
	v_bfe_i32 v3, v3, 0, 16
	v_cndmask_b32_e32 v1, v5, v8, vcc
	s_brev_b32 s6, 1
	v_and_or_b32 v1, v3, s6, v1
	v_cvt_i32_f32_e32 v8, v1
.LBB71_2537:
	s_mov_b64 s[6:7], 0
	s_mov_b64 s[10:11], -1
.LBB71_2538:
	s_andn2_b64 vcc, exec, s[6:7]
	s_mov_b64 s[6:7], 0
	s_cbranch_vccnz .LBB71_2549
; %bb.2539:
	s_cmp_gt_i32 s18, 14
	s_cbranch_scc0 .LBB71_2542
; %bb.2540:
	s_cmp_eq_u32 s18, 15
	s_cbranch_scc0 .LBB71_2545
; %bb.2541:
	global_load_ushort v1, v[19:20], off
	s_mov_b64 s[0:1], 0
	s_mov_b64 s[10:11], -1
	s_waitcnt vmcnt(0)
	v_lshlrev_b32_e32 v1, 16, v1
	v_cvt_i32_f32_e32 v8, v1
	s_branch .LBB71_2546
.LBB71_2542:
	s_mov_b64 s[16:17], -1
                                        ; implicit-def: $vgpr8
	s_branch .LBB71_2547
.LBB71_2543:
	s_andn2_saveexec_b64 s[6:7], s[6:7]
	s_cbranch_execz .LBB71_2524
.LBB71_2544:
	v_cmp_ne_u16_e32 vcc, 0, v1
	s_andn2_b64 s[10:11], s[10:11], exec
	s_and_b64 s[16:17], vcc, exec
	s_or_b64 s[10:11], s[10:11], s[16:17]
	s_or_b64 exec, exec, s[6:7]
	v_mov_b32_e32 v8, 0
	s_and_saveexec_b64 s[6:7], s[10:11]
	s_cbranch_execnz .LBB71_2525
	s_branch .LBB71_2526
.LBB71_2545:
	s_mov_b64 s[0:1], -1
                                        ; implicit-def: $vgpr8
.LBB71_2546:
	s_mov_b64 s[16:17], 0
.LBB71_2547:
	s_and_b64 vcc, exec, s[16:17]
	s_cbranch_vccz .LBB71_2549
; %bb.2548:
	s_cmp_lg_u32 s18, 11
	s_mov_b64 s[6:7], -1
	s_cselect_b64 s[0:1], -1, 0
.LBB71_2549:
	s_and_b64 vcc, exec, s[0:1]
	s_cbranch_vccnz .LBB71_3082
; %bb.2550:
	s_andn2_b64 vcc, exec, s[6:7]
	s_cbranch_vccnz .LBB71_2552
.LBB71_2551:
	global_load_ubyte v1, v[19:20], off
	s_mov_b64 s[10:11], -1
	s_waitcnt vmcnt(0)
	v_cmp_ne_u16_e32 vcc, 0, v1
	v_cndmask_b32_e64 v8, 0, 1, vcc
.LBB71_2552:
	s_mov_b64 s[0:1], 0
.LBB71_2553:
	s_and_b64 vcc, exec, s[0:1]
	s_cbranch_vccz .LBB71_2602
; %bb.2554:
	s_and_b32 s6, 0xffff, s23
	s_cmp_lt_i32 s6, 5
	s_cbranch_scc1 .LBB71_2559
; %bb.2555:
	s_cmp_lt_i32 s6, 8
	s_cbranch_scc1 .LBB71_2560
; %bb.2556:
	;; [unrolled: 3-line block ×3, first 2 shown]
	s_cmp_gt_i32 s6, 9
	s_cbranch_scc0 .LBB71_2562
; %bb.2558:
	global_load_dwordx2 v[8:9], v[19:20], off
	s_mov_b64 s[0:1], 0
	s_waitcnt vmcnt(0)
	v_cvt_i32_f64_e32 v8, v[8:9]
	s_branch .LBB71_2563
.LBB71_2559:
	s_mov_b64 s[0:1], -1
                                        ; implicit-def: $vgpr8
	s_branch .LBB71_2581
.LBB71_2560:
	s_mov_b64 s[0:1], -1
                                        ; implicit-def: $vgpr8
	s_branch .LBB71_2569
.LBB71_2561:
	s_mov_b64 s[0:1], -1
                                        ; implicit-def: $vgpr8
	s_branch .LBB71_2566
.LBB71_2562:
	s_mov_b64 s[0:1], -1
                                        ; implicit-def: $vgpr8
.LBB71_2563:
	s_andn2_b64 vcc, exec, s[0:1]
	s_cbranch_vccnz .LBB71_2565
; %bb.2564:
	global_load_dword v1, v[19:20], off
	s_waitcnt vmcnt(0)
	v_cvt_i32_f32_e32 v8, v1
.LBB71_2565:
	s_mov_b64 s[0:1], 0
.LBB71_2566:
	s_andn2_b64 vcc, exec, s[0:1]
	s_cbranch_vccnz .LBB71_2568
; %bb.2567:
	global_load_dword v1, v[19:20], off
	s_waitcnt vmcnt(0)
	v_cvt_i16_f16_e32 v8, v1
.LBB71_2568:
	s_mov_b64 s[0:1], 0
.LBB71_2569:
	s_andn2_b64 vcc, exec, s[0:1]
	s_cbranch_vccnz .LBB71_2580
; %bb.2570:
	s_cmp_lt_i32 s6, 6
	s_cbranch_scc1 .LBB71_2573
; %bb.2571:
	s_cmp_gt_i32 s6, 6
	s_cbranch_scc0 .LBB71_2574
; %bb.2572:
	global_load_dwordx2 v[8:9], v[19:20], off
	s_mov_b64 s[0:1], 0
	s_waitcnt vmcnt(0)
	v_cvt_i32_f64_e32 v8, v[8:9]
	s_branch .LBB71_2575
.LBB71_2573:
	s_mov_b64 s[0:1], -1
                                        ; implicit-def: $vgpr8
	s_branch .LBB71_2578
.LBB71_2574:
	s_mov_b64 s[0:1], -1
                                        ; implicit-def: $vgpr8
.LBB71_2575:
	s_andn2_b64 vcc, exec, s[0:1]
	s_cbranch_vccnz .LBB71_2577
; %bb.2576:
	global_load_dword v1, v[19:20], off
	s_waitcnt vmcnt(0)
	v_cvt_i32_f32_e32 v8, v1
.LBB71_2577:
	s_mov_b64 s[0:1], 0
.LBB71_2578:
	s_andn2_b64 vcc, exec, s[0:1]
	s_cbranch_vccnz .LBB71_2580
; %bb.2579:
	global_load_ushort v1, v[19:20], off
	s_waitcnt vmcnt(0)
	v_cvt_i16_f16_e32 v8, v1
.LBB71_2580:
	s_mov_b64 s[0:1], 0
.LBB71_2581:
	s_andn2_b64 vcc, exec, s[0:1]
	s_cbranch_vccnz .LBB71_2601
; %bb.2582:
	s_cmp_lt_i32 s6, 2
	s_cbranch_scc1 .LBB71_2586
; %bb.2583:
	s_cmp_lt_i32 s6, 3
	s_cbranch_scc1 .LBB71_2587
; %bb.2584:
	s_cmp_gt_i32 s6, 3
	s_cbranch_scc0 .LBB71_2588
; %bb.2585:
	global_load_dwordx2 v[8:9], v[19:20], off
	s_mov_b64 s[0:1], 0
	s_branch .LBB71_2589
.LBB71_2586:
	s_mov_b64 s[0:1], -1
                                        ; implicit-def: $vgpr8
	s_branch .LBB71_2595
.LBB71_2587:
	s_mov_b64 s[0:1], -1
                                        ; implicit-def: $vgpr8
	s_branch .LBB71_2592
.LBB71_2588:
	s_mov_b64 s[0:1], -1
                                        ; implicit-def: $vgpr8
.LBB71_2589:
	s_andn2_b64 vcc, exec, s[0:1]
	s_cbranch_vccnz .LBB71_2591
; %bb.2590:
	global_load_dword v8, v[19:20], off
.LBB71_2591:
	s_mov_b64 s[0:1], 0
.LBB71_2592:
	s_andn2_b64 vcc, exec, s[0:1]
	s_cbranch_vccnz .LBB71_2594
; %bb.2593:
	global_load_ushort v8, v[19:20], off
.LBB71_2594:
	s_mov_b64 s[0:1], 0
.LBB71_2595:
	s_andn2_b64 vcc, exec, s[0:1]
	s_cbranch_vccnz .LBB71_2601
; %bb.2596:
	s_cmp_gt_i32 s6, 0
	s_cbranch_scc0 .LBB71_2598
; %bb.2597:
	global_load_sbyte v8, v[19:20], off
	s_mov_b64 s[0:1], 0
	s_branch .LBB71_2599
.LBB71_2598:
	s_mov_b64 s[0:1], -1
                                        ; implicit-def: $vgpr8
.LBB71_2599:
	s_andn2_b64 vcc, exec, s[0:1]
	s_cbranch_vccnz .LBB71_2601
; %bb.2600:
	global_load_ubyte v8, v[19:20], off
.LBB71_2601:
	s_mov_b64 s[10:11], -1
.LBB71_2602:
	s_andn2_b64 vcc, exec, s[10:11]
	s_cbranch_vccnz .LBB71_3036
; %bb.2603:
	s_load_dwordx2 s[0:1], s[2:3], 0x1a0
	v_cmp_ne_u16_e32 vcc, v7, v12
	v_mov_b32_e32 v1, s9
	s_waitcnt lgkmcnt(0)
	s_cmp_eq_u32 s0, 0
	s_cselect_b64 s[2:3], -1, 0
	s_and_b32 s22, s1, 0xff
	s_xor_b64 s[6:7], s[2:3], vcc
	v_add_co_u32_e32 v5, vcc, s8, v6
	s_cmp_lt_i32 s22, 11
	v_addc_co_u32_e32 v6, vcc, 0, v1, vcc
	s_cbranch_scc1 .LBB71_2681
; %bb.2604:
	s_and_b32 s23, 0xffff, s22
	s_mov_b64 s[18:19], -1
	s_mov_b64 s[10:11], 0
	s_cmp_gt_i32 s23, 25
	s_mov_b64 s[16:17], 0
	s_mov_b64 s[0:1], 0
	s_cbranch_scc0 .LBB71_2637
; %bb.2605:
	s_cmp_gt_i32 s23, 28
	s_cbranch_scc0 .LBB71_2620
; %bb.2606:
	s_cmp_gt_i32 s23, 43
	;; [unrolled: 3-line block ×3, first 2 shown]
	s_cbranch_scc0 .LBB71_2610
; %bb.2608:
	s_mov_b64 s[0:1], -1
	s_mov_b64 s[18:19], 0
	s_cmp_eq_u32 s23, 46
	s_cbranch_scc0 .LBB71_2610
; %bb.2609:
	v_cndmask_b32_e64 v1, 0, 1.0, s[6:7]
	v_bfe_u32 v3, v1, 16, 1
	s_movk_i32 s0, 0x7fff
	v_add3_u32 v1, v1, v3, s0
	v_lshrrev_b32_e32 v1, 16, v1
	global_store_dword v[5:6], v1, off
	s_mov_b64 s[0:1], 0
	s_mov_b64 s[16:17], -1
.LBB71_2610:
	s_and_b64 vcc, exec, s[18:19]
	s_cbranch_vccz .LBB71_2615
; %bb.2611:
	s_cmp_eq_u32 s23, 44
	s_mov_b64 s[0:1], -1
	s_cbranch_scc0 .LBB71_2615
; %bb.2612:
	v_cndmask_b32_e64 v3, 0, 1.0, s[6:7]
	v_lshrrev_b32_e32 v1, 23, v3
	s_movk_i32 s0, 0xff
	v_cmp_ne_u32_e32 vcc, s0, v1
	v_mov_b32_e32 v7, 0xff
	s_and_saveexec_b64 s[16:17], vcc
; %bb.2613:
	s_mov_b32 s0, 0x3fffff
	v_and_b32_e32 v7, 0x400000, v3
	v_and_or_b32 v3, v3, s0, v1
	v_cmp_ne_u32_e32 vcc, 0, v7
	v_cmp_ne_u32_e64 s[0:1], 0, v3
	s_and_b64 s[0:1], vcc, s[0:1]
	v_cndmask_b32_e64 v3, 0, 1, s[0:1]
	v_add_u32_e32 v7, v1, v3
; %bb.2614:
	s_or_b64 exec, exec, s[16:17]
	s_mov_b64 s[0:1], 0
	s_mov_b64 s[16:17], -1
	global_store_byte v[5:6], v7, off
.LBB71_2615:
	s_mov_b64 s[18:19], 0
.LBB71_2616:
	s_and_b64 vcc, exec, s[18:19]
	s_cbranch_vccz .LBB71_2619
; %bb.2617:
	s_cmp_eq_u32 s23, 29
	s_mov_b64 s[0:1], -1
	s_cbranch_scc0 .LBB71_2619
; %bb.2618:
	s_mov_b32 s0, 0
	v_cndmask_b32_e64 v11, 0, 1, s[6:7]
	v_mov_b32_e32 v12, s0
	global_store_dwordx2 v[5:6], v[11:12], off
	s_mov_b64 s[0:1], 0
	s_mov_b64 s[16:17], -1
.LBB71_2619:
	s_mov_b64 s[18:19], 0
.LBB71_2620:
	s_and_b64 vcc, exec, s[18:19]
	s_cbranch_vccz .LBB71_2636
; %bb.2621:
	s_cmp_lt_i32 s23, 27
	s_mov_b64 s[16:17], -1
	s_cbranch_scc1 .LBB71_2627
; %bb.2622:
	s_cmp_gt_i32 s23, 27
	s_cbranch_scc0 .LBB71_2624
; %bb.2623:
	v_cndmask_b32_e64 v1, 0, 1, s[6:7]
	s_mov_b64 s[16:17], 0
	global_store_dword v[5:6], v1, off
.LBB71_2624:
	s_andn2_b64 vcc, exec, s[16:17]
	s_cbranch_vccnz .LBB71_2626
; %bb.2625:
	v_cndmask_b32_e64 v1, 0, 1, s[6:7]
	global_store_short v[5:6], v1, off
.LBB71_2626:
	s_mov_b64 s[16:17], 0
.LBB71_2627:
	s_andn2_b64 vcc, exec, s[16:17]
	s_cbranch_vccnz .LBB71_2635
; %bb.2628:
	v_cndmask_b32_e64 v3, 0, 1.0, s[6:7]
	s_mov_b32 s16, 0x43800000
	v_cmp_gt_u32_e32 vcc, s16, v3
	v_mov_b32_e32 v7, 0x80
	s_and_saveexec_b64 s[16:17], vcc
	s_cbranch_execz .LBB71_2634
; %bb.2629:
	s_mov_b32 s18, 0x3bffffff
	v_cmp_lt_u32_e32 vcc, s18, v3
	s_mov_b64 s[18:19], 0
                                        ; implicit-def: $vgpr1
	s_and_saveexec_b64 s[20:21], vcc
	s_xor_b64 s[20:21], exec, s[20:21]
	s_cbranch_execz .LBB71_3083
; %bb.2630:
	v_bfe_u32 v1, v3, 20, 1
	s_mov_b32 s24, 0x487ffff
	v_add3_u32 v1, v3, v1, s24
	s_mov_b64 s[18:19], exec
	v_lshrrev_b32_e32 v1, 20, v1
                                        ; implicit-def: $vgpr3
	s_andn2_saveexec_b64 s[20:21], s[20:21]
	s_cbranch_execnz .LBB71_3084
.LBB71_2631:
	s_or_b64 exec, exec, s[20:21]
	v_mov_b32_e32 v7, 0
	s_and_saveexec_b64 s[20:21], s[18:19]
.LBB71_2632:
	v_mov_b32_e32 v7, v1
.LBB71_2633:
	s_or_b64 exec, exec, s[20:21]
.LBB71_2634:
	s_or_b64 exec, exec, s[16:17]
	global_store_byte v[5:6], v7, off
.LBB71_2635:
	s_mov_b64 s[16:17], -1
.LBB71_2636:
	s_mov_b64 s[18:19], 0
.LBB71_2637:
	s_and_b64 vcc, exec, s[18:19]
	s_cbranch_vccz .LBB71_2677
; %bb.2638:
	s_cmp_gt_i32 s23, 22
	s_mov_b64 s[10:11], -1
	s_cbranch_scc0 .LBB71_2670
; %bb.2639:
	s_cmp_lt_i32 s23, 24
	s_cbranch_scc1 .LBB71_2659
; %bb.2640:
	s_cmp_gt_i32 s23, 24
	s_cbranch_scc0 .LBB71_2648
; %bb.2641:
	v_cndmask_b32_e64 v3, 0, 1.0, s[6:7]
	s_mov_b32 s10, 0x47800000
	v_cmp_gt_u32_e32 vcc, s10, v3
	v_mov_b32_e32 v7, 0x80
	s_and_saveexec_b64 s[10:11], vcc
	s_cbranch_execz .LBB71_2647
; %bb.2642:
	s_mov_b32 s16, 0x37ffffff
	v_cmp_lt_u32_e32 vcc, s16, v3
	s_mov_b64 s[16:17], 0
                                        ; implicit-def: $vgpr1
	s_and_saveexec_b64 s[18:19], vcc
	s_xor_b64 s[18:19], exec, s[18:19]
	s_cbranch_execz .LBB71_3086
; %bb.2643:
	v_bfe_u32 v1, v3, 21, 1
	s_mov_b32 s20, 0x88fffff
	v_add3_u32 v1, v3, v1, s20
	s_mov_b64 s[16:17], exec
	v_lshrrev_b32_e32 v1, 21, v1
                                        ; implicit-def: $vgpr3
	s_andn2_saveexec_b64 s[18:19], s[18:19]
	s_cbranch_execnz .LBB71_3087
.LBB71_2644:
	s_or_b64 exec, exec, s[18:19]
	v_mov_b32_e32 v7, 0
	s_and_saveexec_b64 s[18:19], s[16:17]
.LBB71_2645:
	v_mov_b32_e32 v7, v1
.LBB71_2646:
	s_or_b64 exec, exec, s[18:19]
.LBB71_2647:
	s_or_b64 exec, exec, s[10:11]
	s_mov_b64 s[10:11], 0
	global_store_byte v[5:6], v7, off
.LBB71_2648:
	s_and_b64 vcc, exec, s[10:11]
	s_cbranch_vccz .LBB71_2658
; %bb.2649:
	v_cndmask_b32_e64 v1, 0, 1.0, s[6:7]
	s_mov_b32 s10, 0x43f00000
	v_cmp_gt_u32_e32 vcc, s10, v1
                                        ; implicit-def: $vgpr3
	s_and_saveexec_b64 s[10:11], vcc
	s_xor_b64 s[10:11], exec, s[10:11]
	s_cbranch_execz .LBB71_2655
; %bb.2650:
	s_mov_b32 s16, 0x3c7fffff
	v_cmp_lt_u32_e32 vcc, s16, v1
                                        ; implicit-def: $vgpr3
	s_and_saveexec_b64 s[16:17], vcc
	s_xor_b64 s[16:17], exec, s[16:17]
; %bb.2651:
	v_bfe_u32 v3, v1, 20, 1
	s_mov_b32 s18, 0x407ffff
	v_add3_u32 v1, v1, v3, s18
	v_lshrrev_b32_e32 v3, 20, v1
	v_and_b32_e32 v1, 0xff00000, v1
	s_mov_b32 s18, 0x7f00000
	v_mov_b32_e32 v7, 0x7e
	v_cmp_ne_u32_e32 vcc, s18, v1
	v_cndmask_b32_e32 v3, v7, v3, vcc
                                        ; implicit-def: $vgpr1
; %bb.2652:
	s_andn2_saveexec_b64 s[16:17], s[16:17]
; %bb.2653:
	v_add_f32_e32 v3, 0x46800000, v1
; %bb.2654:
	s_or_b64 exec, exec, s[16:17]
                                        ; implicit-def: $vgpr1
.LBB71_2655:
	s_andn2_saveexec_b64 s[10:11], s[10:11]
; %bb.2656:
	s_mov_b32 s16, 0x7f800000
	v_mov_b32_e32 v3, 0x7e
	v_mov_b32_e32 v7, 0x7f
	v_cmp_lt_u32_e32 vcc, s16, v1
	v_cndmask_b32_e32 v3, v3, v7, vcc
; %bb.2657:
	s_or_b64 exec, exec, s[10:11]
	global_store_byte v[5:6], v3, off
.LBB71_2658:
	s_mov_b64 s[10:11], 0
.LBB71_2659:
	s_andn2_b64 vcc, exec, s[10:11]
	s_cbranch_vccnz .LBB71_2669
; %bb.2660:
	v_cndmask_b32_e64 v1, 0, 1.0, s[6:7]
	s_mov_b32 s10, 0x47800000
	v_cmp_gt_u32_e32 vcc, s10, v1
                                        ; implicit-def: $vgpr3
	s_and_saveexec_b64 s[10:11], vcc
	s_xor_b64 s[10:11], exec, s[10:11]
	s_cbranch_execz .LBB71_2666
; %bb.2661:
	s_mov_b32 s16, 0x387fffff
	v_cmp_lt_u32_e32 vcc, s16, v1
                                        ; implicit-def: $vgpr3
	s_and_saveexec_b64 s[16:17], vcc
	s_xor_b64 s[16:17], exec, s[16:17]
; %bb.2662:
	v_bfe_u32 v3, v1, 21, 1
	s_mov_b32 s18, 0x80fffff
	v_add3_u32 v1, v1, v3, s18
	v_lshrrev_b32_e32 v3, 21, v1
                                        ; implicit-def: $vgpr1
; %bb.2663:
	s_andn2_saveexec_b64 s[16:17], s[16:17]
; %bb.2664:
	v_add_f32_e32 v3, 0x43000000, v1
; %bb.2665:
	s_or_b64 exec, exec, s[16:17]
                                        ; implicit-def: $vgpr1
.LBB71_2666:
	s_andn2_saveexec_b64 s[10:11], s[10:11]
; %bb.2667:
	s_mov_b32 s16, 0x7f800000
	v_mov_b32_e32 v3, 0x7c
	v_mov_b32_e32 v7, 0x7f
	v_cmp_lt_u32_e32 vcc, s16, v1
	v_cndmask_b32_e32 v3, v3, v7, vcc
; %bb.2668:
	s_or_b64 exec, exec, s[10:11]
	global_store_byte v[5:6], v3, off
.LBB71_2669:
	s_mov_b64 s[10:11], 0
	s_mov_b64 s[16:17], -1
.LBB71_2670:
	s_andn2_b64 vcc, exec, s[10:11]
	s_mov_b64 s[10:11], 0
	s_cbranch_vccnz .LBB71_2677
; %bb.2671:
	s_cmp_gt_i32 s23, 14
	s_mov_b64 s[18:19], -1
	s_cbranch_scc0 .LBB71_2675
; %bb.2672:
	s_cmp_eq_u32 s23, 15
	s_mov_b64 s[0:1], -1
	s_cbranch_scc0 .LBB71_2674
; %bb.2673:
	v_cndmask_b32_e64 v1, 0, 1.0, s[6:7]
	v_bfe_u32 v3, v1, 16, 1
	s_movk_i32 s0, 0x7fff
	v_add3_u32 v1, v1, v3, s0
	global_store_short_d16_hi v[5:6], v1, off
	s_mov_b64 s[0:1], 0
	s_mov_b64 s[16:17], -1
.LBB71_2674:
	s_mov_b64 s[18:19], 0
.LBB71_2675:
	s_and_b64 vcc, exec, s[18:19]
	s_cbranch_vccz .LBB71_2677
; %bb.2676:
	s_cmp_lg_u32 s23, 11
	s_mov_b64 s[10:11], -1
	s_cselect_b64 s[0:1], -1, 0
.LBB71_2677:
	s_and_b64 vcc, exec, s[0:1]
	s_cbranch_vccnz .LBB71_3085
; %bb.2678:
	s_andn2_b64 vcc, exec, s[10:11]
	s_cbranch_vccnz .LBB71_2680
.LBB71_2679:
	v_cndmask_b32_e64 v1, 0, 1, s[6:7]
	s_mov_b64 s[16:17], -1
	global_store_byte v[5:6], v1, off
.LBB71_2680:
	s_mov_b64 s[0:1], 0
	s_branch .LBB71_2682
.LBB71_2681:
	s_mov_b64 s[0:1], -1
	s_mov_b64 s[16:17], 0
.LBB71_2682:
	s_and_b64 vcc, exec, s[0:1]
	s_cbranch_vccz .LBB71_2721
; %bb.2683:
	s_and_b32 s10, 0xffff, s22
	s_cmp_lt_i32 s10, 5
	s_mov_b64 s[0:1], -1
	s_cbranch_scc1 .LBB71_2704
; %bb.2684:
	s_cmp_lt_i32 s10, 8
	s_cbranch_scc1 .LBB71_2694
; %bb.2685:
	s_cmp_lt_i32 s10, 9
	s_cbranch_scc1 .LBB71_2691
; %bb.2686:
	s_cmp_gt_i32 s10, 9
	s_cbranch_scc0 .LBB71_2688
; %bb.2687:
	v_cndmask_b32_e64 v1, 0, 1, s[6:7]
	v_cvt_f64_u32_e32 v[19:20], v1
	v_mov_b32_e32 v21, 0
	v_mov_b32_e32 v22, v21
	s_mov_b64 s[0:1], 0
	global_store_dwordx4 v[5:6], v[19:22], off
.LBB71_2688:
	s_andn2_b64 vcc, exec, s[0:1]
	s_cbranch_vccnz .LBB71_2690
; %bb.2689:
	v_cndmask_b32_e64 v11, 0, 1.0, s[6:7]
	v_mov_b32_e32 v12, 0
	global_store_dwordx2 v[5:6], v[11:12], off
.LBB71_2690:
	s_mov_b64 s[0:1], 0
.LBB71_2691:
	s_andn2_b64 vcc, exec, s[0:1]
	s_cbranch_vccnz .LBB71_2693
; %bb.2692:
	v_cndmask_b32_e64 v1, 0, 1.0, s[6:7]
	v_cvt_f16_f32_e32 v1, v1
	global_store_dword v[5:6], v1, off
.LBB71_2693:
	s_mov_b64 s[0:1], 0
.LBB71_2694:
	s_andn2_b64 vcc, exec, s[0:1]
	s_cbranch_vccnz .LBB71_2703
; %bb.2695:
	s_cmp_lt_i32 s10, 6
	s_mov_b64 s[0:1], -1
	s_cbranch_scc1 .LBB71_2701
; %bb.2696:
	s_cmp_gt_i32 s10, 6
	s_cbranch_scc0 .LBB71_2698
; %bb.2697:
	v_cndmask_b32_e64 v1, 0, 1, s[6:7]
	v_cvt_f64_u32_e32 v[11:12], v1
	s_mov_b64 s[0:1], 0
	global_store_dwordx2 v[5:6], v[11:12], off
.LBB71_2698:
	s_andn2_b64 vcc, exec, s[0:1]
	s_cbranch_vccnz .LBB71_2700
; %bb.2699:
	v_cndmask_b32_e64 v1, 0, 1.0, s[6:7]
	global_store_dword v[5:6], v1, off
.LBB71_2700:
	s_mov_b64 s[0:1], 0
.LBB71_2701:
	s_andn2_b64 vcc, exec, s[0:1]
	s_cbranch_vccnz .LBB71_2703
; %bb.2702:
	v_cndmask_b32_e64 v1, 0, 1.0, s[6:7]
	v_cvt_f16_f32_e32 v1, v1
	global_store_short v[5:6], v1, off
.LBB71_2703:
	s_mov_b64 s[0:1], 0
.LBB71_2704:
	s_andn2_b64 vcc, exec, s[0:1]
	s_cbranch_vccnz .LBB71_2720
; %bb.2705:
	s_cmp_lt_i32 s10, 2
	s_mov_b64 s[0:1], -1
	s_cbranch_scc1 .LBB71_2715
; %bb.2706:
	s_cmp_lt_i32 s10, 3
	s_cbranch_scc1 .LBB71_2712
; %bb.2707:
	s_cmp_gt_i32 s10, 3
	s_cbranch_scc0 .LBB71_2709
; %bb.2708:
	s_mov_b32 s0, 0
	v_cndmask_b32_e64 v11, 0, 1, s[6:7]
	v_mov_b32_e32 v12, s0
	global_store_dwordx2 v[5:6], v[11:12], off
	s_mov_b64 s[0:1], 0
.LBB71_2709:
	s_andn2_b64 vcc, exec, s[0:1]
	s_cbranch_vccnz .LBB71_2711
; %bb.2710:
	v_cndmask_b32_e64 v1, 0, 1, s[6:7]
	global_store_dword v[5:6], v1, off
.LBB71_2711:
	s_mov_b64 s[0:1], 0
.LBB71_2712:
	s_andn2_b64 vcc, exec, s[0:1]
	s_cbranch_vccnz .LBB71_2714
; %bb.2713:
	v_cndmask_b32_e64 v1, 0, 1, s[6:7]
	global_store_short v[5:6], v1, off
.LBB71_2714:
	s_mov_b64 s[0:1], 0
.LBB71_2715:
	s_andn2_b64 vcc, exec, s[0:1]
	s_cbranch_vccnz .LBB71_2720
; %bb.2716:
	s_mov_b64 s[0:1], -1
	s_cmp_gt_i32 s10, 0
	v_cndmask_b32_e64 v1, 0, 1, s[6:7]
	s_cbranch_scc0 .LBB71_2718
; %bb.2717:
	global_store_byte v[5:6], v1, off
	s_mov_b64 s[0:1], 0
.LBB71_2718:
	s_andn2_b64 vcc, exec, s[0:1]
	s_cbranch_vccnz .LBB71_2720
; %bb.2719:
	global_store_byte v[5:6], v1, off
.LBB71_2720:
	s_mov_b64 s[16:17], -1
.LBB71_2721:
	s_andn2_b64 vcc, exec, s[16:17]
	s_cbranch_vccnz .LBB71_3036
; %bb.2722:
	v_cmp_ne_u16_e32 vcc, v10, v17
	s_xor_b64 s[6:7], s[2:3], vcc
	v_mov_b32_e32 v1, s9
	s_and_b32 s23, 0xffff, s22
	v_add_co_u32_e32 v3, vcc, s8, v4
	s_cmp_lt_i32 s23, 11
	v_addc_co_u32_e32 v4, vcc, 0, v1, vcc
	s_cbranch_scc1 .LBB71_2800
; %bb.2723:
	s_mov_b64 s[18:19], -1
	s_mov_b64 s[10:11], 0
	s_cmp_gt_i32 s23, 25
	s_mov_b64 s[16:17], 0
	s_mov_b64 s[0:1], 0
	s_cbranch_scc0 .LBB71_2756
; %bb.2724:
	s_cmp_gt_i32 s23, 28
	s_cbranch_scc0 .LBB71_2739
; %bb.2725:
	s_cmp_gt_i32 s23, 43
	;; [unrolled: 3-line block ×3, first 2 shown]
	s_cbranch_scc0 .LBB71_2729
; %bb.2727:
	s_mov_b64 s[0:1], -1
	s_mov_b64 s[18:19], 0
	s_cmp_eq_u32 s23, 46
	s_cbranch_scc0 .LBB71_2729
; %bb.2728:
	v_cndmask_b32_e64 v1, 0, 1.0, s[6:7]
	v_bfe_u32 v5, v1, 16, 1
	s_movk_i32 s0, 0x7fff
	v_add3_u32 v1, v1, v5, s0
	v_lshrrev_b32_e32 v1, 16, v1
	global_store_dword v[3:4], v1, off
	s_mov_b64 s[0:1], 0
	s_mov_b64 s[16:17], -1
.LBB71_2729:
	s_and_b64 vcc, exec, s[18:19]
	s_cbranch_vccz .LBB71_2734
; %bb.2730:
	s_cmp_eq_u32 s23, 44
	s_mov_b64 s[0:1], -1
	s_cbranch_scc0 .LBB71_2734
; %bb.2731:
	v_cndmask_b32_e64 v5, 0, 1.0, s[6:7]
	v_lshrrev_b32_e32 v1, 23, v5
	s_movk_i32 s0, 0xff
	v_cmp_ne_u32_e32 vcc, s0, v1
	v_mov_b32_e32 v6, 0xff
	s_and_saveexec_b64 s[16:17], vcc
; %bb.2732:
	s_mov_b32 s0, 0x3fffff
	v_and_b32_e32 v6, 0x400000, v5
	v_and_or_b32 v5, v5, s0, v1
	v_cmp_ne_u32_e32 vcc, 0, v6
	v_cmp_ne_u32_e64 s[0:1], 0, v5
	s_and_b64 s[0:1], vcc, s[0:1]
	v_cndmask_b32_e64 v5, 0, 1, s[0:1]
	v_add_u32_e32 v6, v1, v5
; %bb.2733:
	s_or_b64 exec, exec, s[16:17]
	s_mov_b64 s[0:1], 0
	s_mov_b64 s[16:17], -1
	global_store_byte v[3:4], v6, off
.LBB71_2734:
	s_mov_b64 s[18:19], 0
.LBB71_2735:
	s_and_b64 vcc, exec, s[18:19]
	s_cbranch_vccz .LBB71_2738
; %bb.2736:
	s_cmp_eq_u32 s23, 29
	s_mov_b64 s[0:1], -1
	s_cbranch_scc0 .LBB71_2738
; %bb.2737:
	s_mov_b32 s0, 0
	v_cndmask_b32_e64 v5, 0, 1, s[6:7]
	v_mov_b32_e32 v6, s0
	global_store_dwordx2 v[3:4], v[5:6], off
	s_mov_b64 s[0:1], 0
	s_mov_b64 s[16:17], -1
.LBB71_2738:
	s_mov_b64 s[18:19], 0
.LBB71_2739:
	s_and_b64 vcc, exec, s[18:19]
	s_cbranch_vccz .LBB71_2755
; %bb.2740:
	s_cmp_lt_i32 s23, 27
	s_mov_b64 s[16:17], -1
	s_cbranch_scc1 .LBB71_2746
; %bb.2741:
	s_cmp_gt_i32 s23, 27
	s_cbranch_scc0 .LBB71_2743
; %bb.2742:
	v_cndmask_b32_e64 v1, 0, 1, s[6:7]
	s_mov_b64 s[16:17], 0
	global_store_dword v[3:4], v1, off
.LBB71_2743:
	s_andn2_b64 vcc, exec, s[16:17]
	s_cbranch_vccnz .LBB71_2745
; %bb.2744:
	v_cndmask_b32_e64 v1, 0, 1, s[6:7]
	global_store_short v[3:4], v1, off
.LBB71_2745:
	s_mov_b64 s[16:17], 0
.LBB71_2746:
	s_andn2_b64 vcc, exec, s[16:17]
	s_cbranch_vccnz .LBB71_2754
; %bb.2747:
	v_cndmask_b32_e64 v5, 0, 1.0, s[6:7]
	s_mov_b32 s16, 0x43800000
	v_cmp_gt_u32_e32 vcc, s16, v5
	v_mov_b32_e32 v6, 0x80
	s_and_saveexec_b64 s[16:17], vcc
	s_cbranch_execz .LBB71_2753
; %bb.2748:
	s_mov_b32 s18, 0x3bffffff
	v_cmp_lt_u32_e32 vcc, s18, v5
	s_mov_b64 s[18:19], 0
                                        ; implicit-def: $vgpr1
	s_and_saveexec_b64 s[20:21], vcc
	s_xor_b64 s[20:21], exec, s[20:21]
	s_cbranch_execz .LBB71_3088
; %bb.2749:
	v_bfe_u32 v1, v5, 20, 1
	s_mov_b32 s24, 0x487ffff
	v_add3_u32 v1, v5, v1, s24
	s_mov_b64 s[18:19], exec
	v_lshrrev_b32_e32 v1, 20, v1
                                        ; implicit-def: $vgpr5
	s_andn2_saveexec_b64 s[20:21], s[20:21]
	s_cbranch_execnz .LBB71_3089
.LBB71_2750:
	s_or_b64 exec, exec, s[20:21]
	v_mov_b32_e32 v6, 0
	s_and_saveexec_b64 s[20:21], s[18:19]
.LBB71_2751:
	v_mov_b32_e32 v6, v1
.LBB71_2752:
	s_or_b64 exec, exec, s[20:21]
.LBB71_2753:
	s_or_b64 exec, exec, s[16:17]
	global_store_byte v[3:4], v6, off
.LBB71_2754:
	s_mov_b64 s[16:17], -1
.LBB71_2755:
	s_mov_b64 s[18:19], 0
.LBB71_2756:
	s_and_b64 vcc, exec, s[18:19]
	s_cbranch_vccz .LBB71_2796
; %bb.2757:
	s_cmp_gt_i32 s23, 22
	s_mov_b64 s[10:11], -1
	s_cbranch_scc0 .LBB71_2789
; %bb.2758:
	s_cmp_lt_i32 s23, 24
	s_cbranch_scc1 .LBB71_2778
; %bb.2759:
	s_cmp_gt_i32 s23, 24
	s_cbranch_scc0 .LBB71_2767
; %bb.2760:
	v_cndmask_b32_e64 v5, 0, 1.0, s[6:7]
	s_mov_b32 s10, 0x47800000
	v_cmp_gt_u32_e32 vcc, s10, v5
	v_mov_b32_e32 v6, 0x80
	s_and_saveexec_b64 s[10:11], vcc
	s_cbranch_execz .LBB71_2766
; %bb.2761:
	s_mov_b32 s16, 0x37ffffff
	v_cmp_lt_u32_e32 vcc, s16, v5
	s_mov_b64 s[16:17], 0
                                        ; implicit-def: $vgpr1
	s_and_saveexec_b64 s[18:19], vcc
	s_xor_b64 s[18:19], exec, s[18:19]
	s_cbranch_execz .LBB71_3091
; %bb.2762:
	v_bfe_u32 v1, v5, 21, 1
	s_mov_b32 s20, 0x88fffff
	v_add3_u32 v1, v5, v1, s20
	s_mov_b64 s[16:17], exec
	v_lshrrev_b32_e32 v1, 21, v1
                                        ; implicit-def: $vgpr5
	s_andn2_saveexec_b64 s[18:19], s[18:19]
	s_cbranch_execnz .LBB71_3092
.LBB71_2763:
	s_or_b64 exec, exec, s[18:19]
	v_mov_b32_e32 v6, 0
	s_and_saveexec_b64 s[18:19], s[16:17]
.LBB71_2764:
	v_mov_b32_e32 v6, v1
.LBB71_2765:
	s_or_b64 exec, exec, s[18:19]
.LBB71_2766:
	s_or_b64 exec, exec, s[10:11]
	s_mov_b64 s[10:11], 0
	global_store_byte v[3:4], v6, off
.LBB71_2767:
	s_and_b64 vcc, exec, s[10:11]
	s_cbranch_vccz .LBB71_2777
; %bb.2768:
	v_cndmask_b32_e64 v1, 0, 1.0, s[6:7]
	s_mov_b32 s10, 0x43f00000
	v_cmp_gt_u32_e32 vcc, s10, v1
                                        ; implicit-def: $vgpr5
	s_and_saveexec_b64 s[10:11], vcc
	s_xor_b64 s[10:11], exec, s[10:11]
	s_cbranch_execz .LBB71_2774
; %bb.2769:
	s_mov_b32 s16, 0x3c7fffff
	v_cmp_lt_u32_e32 vcc, s16, v1
                                        ; implicit-def: $vgpr5
	s_and_saveexec_b64 s[16:17], vcc
	s_xor_b64 s[16:17], exec, s[16:17]
; %bb.2770:
	v_bfe_u32 v5, v1, 20, 1
	s_mov_b32 s18, 0x407ffff
	v_add3_u32 v1, v1, v5, s18
	v_lshrrev_b32_e32 v5, 20, v1
	v_and_b32_e32 v1, 0xff00000, v1
	s_mov_b32 s18, 0x7f00000
	v_mov_b32_e32 v6, 0x7e
	v_cmp_ne_u32_e32 vcc, s18, v1
	v_cndmask_b32_e32 v5, v6, v5, vcc
                                        ; implicit-def: $vgpr1
; %bb.2771:
	s_andn2_saveexec_b64 s[16:17], s[16:17]
; %bb.2772:
	v_add_f32_e32 v5, 0x46800000, v1
; %bb.2773:
	s_or_b64 exec, exec, s[16:17]
                                        ; implicit-def: $vgpr1
.LBB71_2774:
	s_andn2_saveexec_b64 s[10:11], s[10:11]
; %bb.2775:
	s_mov_b32 s16, 0x7f800000
	v_mov_b32_e32 v5, 0x7e
	v_mov_b32_e32 v6, 0x7f
	v_cmp_lt_u32_e32 vcc, s16, v1
	v_cndmask_b32_e32 v5, v5, v6, vcc
; %bb.2776:
	s_or_b64 exec, exec, s[10:11]
	global_store_byte v[3:4], v5, off
.LBB71_2777:
	s_mov_b64 s[10:11], 0
.LBB71_2778:
	s_andn2_b64 vcc, exec, s[10:11]
	s_cbranch_vccnz .LBB71_2788
; %bb.2779:
	v_cndmask_b32_e64 v1, 0, 1.0, s[6:7]
	s_mov_b32 s10, 0x47800000
	v_cmp_gt_u32_e32 vcc, s10, v1
                                        ; implicit-def: $vgpr5
	s_and_saveexec_b64 s[10:11], vcc
	s_xor_b64 s[10:11], exec, s[10:11]
	s_cbranch_execz .LBB71_2785
; %bb.2780:
	s_mov_b32 s16, 0x387fffff
	v_cmp_lt_u32_e32 vcc, s16, v1
                                        ; implicit-def: $vgpr5
	s_and_saveexec_b64 s[16:17], vcc
	s_xor_b64 s[16:17], exec, s[16:17]
; %bb.2781:
	v_bfe_u32 v5, v1, 21, 1
	s_mov_b32 s18, 0x80fffff
	v_add3_u32 v1, v1, v5, s18
	v_lshrrev_b32_e32 v5, 21, v1
                                        ; implicit-def: $vgpr1
; %bb.2782:
	s_andn2_saveexec_b64 s[16:17], s[16:17]
; %bb.2783:
	v_add_f32_e32 v5, 0x43000000, v1
; %bb.2784:
	s_or_b64 exec, exec, s[16:17]
                                        ; implicit-def: $vgpr1
.LBB71_2785:
	s_andn2_saveexec_b64 s[10:11], s[10:11]
; %bb.2786:
	s_mov_b32 s16, 0x7f800000
	v_mov_b32_e32 v5, 0x7c
	v_mov_b32_e32 v6, 0x7f
	v_cmp_lt_u32_e32 vcc, s16, v1
	v_cndmask_b32_e32 v5, v5, v6, vcc
; %bb.2787:
	s_or_b64 exec, exec, s[10:11]
	global_store_byte v[3:4], v5, off
.LBB71_2788:
	s_mov_b64 s[10:11], 0
	s_mov_b64 s[16:17], -1
.LBB71_2789:
	s_andn2_b64 vcc, exec, s[10:11]
	s_mov_b64 s[10:11], 0
	s_cbranch_vccnz .LBB71_2796
; %bb.2790:
	s_cmp_gt_i32 s23, 14
	s_mov_b64 s[18:19], -1
	s_cbranch_scc0 .LBB71_2794
; %bb.2791:
	s_cmp_eq_u32 s23, 15
	s_mov_b64 s[0:1], -1
	s_cbranch_scc0 .LBB71_2793
; %bb.2792:
	v_cndmask_b32_e64 v1, 0, 1.0, s[6:7]
	v_bfe_u32 v5, v1, 16, 1
	s_movk_i32 s0, 0x7fff
	v_add3_u32 v1, v1, v5, s0
	global_store_short_d16_hi v[3:4], v1, off
	s_mov_b64 s[0:1], 0
	s_mov_b64 s[16:17], -1
.LBB71_2793:
	s_mov_b64 s[18:19], 0
.LBB71_2794:
	s_and_b64 vcc, exec, s[18:19]
	s_cbranch_vccz .LBB71_2796
; %bb.2795:
	s_cmp_lg_u32 s23, 11
	s_mov_b64 s[10:11], -1
	s_cselect_b64 s[0:1], -1, 0
.LBB71_2796:
	s_and_b64 vcc, exec, s[0:1]
	s_cbranch_vccnz .LBB71_3090
; %bb.2797:
	s_andn2_b64 vcc, exec, s[10:11]
	s_cbranch_vccnz .LBB71_2799
.LBB71_2798:
	v_cndmask_b32_e64 v1, 0, 1, s[6:7]
	s_mov_b64 s[16:17], -1
	global_store_byte v[3:4], v1, off
.LBB71_2799:
	s_mov_b64 s[0:1], 0
	s_branch .LBB71_2801
.LBB71_2800:
	s_mov_b64 s[0:1], -1
	s_mov_b64 s[16:17], 0
.LBB71_2801:
	s_and_b64 vcc, exec, s[0:1]
	s_cbranch_vccz .LBB71_2840
; %bb.2802:
	s_cmp_lt_i32 s23, 5
	s_mov_b64 s[0:1], -1
	s_cbranch_scc1 .LBB71_2823
; %bb.2803:
	s_cmp_lt_i32 s23, 8
	s_cbranch_scc1 .LBB71_2813
; %bb.2804:
	s_cmp_lt_i32 s23, 9
	s_cbranch_scc1 .LBB71_2810
; %bb.2805:
	s_cmp_gt_i32 s23, 9
	s_cbranch_scc0 .LBB71_2807
; %bb.2806:
	v_cndmask_b32_e64 v1, 0, 1, s[6:7]
	s_waitcnt vmcnt(0)
	v_cvt_f64_u32_e32 v[9:10], v1
	v_mov_b32_e32 v11, 0
	v_mov_b32_e32 v12, v11
	s_mov_b64 s[0:1], 0
	global_store_dwordx4 v[3:4], v[9:12], off
.LBB71_2807:
	s_andn2_b64 vcc, exec, s[0:1]
	s_cbranch_vccnz .LBB71_2809
; %bb.2808:
	v_cndmask_b32_e64 v5, 0, 1.0, s[6:7]
	v_mov_b32_e32 v6, 0
	global_store_dwordx2 v[3:4], v[5:6], off
.LBB71_2809:
	s_mov_b64 s[0:1], 0
.LBB71_2810:
	s_andn2_b64 vcc, exec, s[0:1]
	s_cbranch_vccnz .LBB71_2812
; %bb.2811:
	v_cndmask_b32_e64 v1, 0, 1.0, s[6:7]
	v_cvt_f16_f32_e32 v1, v1
	global_store_dword v[3:4], v1, off
.LBB71_2812:
	s_mov_b64 s[0:1], 0
.LBB71_2813:
	s_andn2_b64 vcc, exec, s[0:1]
	s_cbranch_vccnz .LBB71_2822
; %bb.2814:
	s_cmp_lt_i32 s23, 6
	s_mov_b64 s[0:1], -1
	s_cbranch_scc1 .LBB71_2820
; %bb.2815:
	s_cmp_gt_i32 s23, 6
	s_cbranch_scc0 .LBB71_2817
; %bb.2816:
	v_cndmask_b32_e64 v1, 0, 1, s[6:7]
	v_cvt_f64_u32_e32 v[5:6], v1
	s_mov_b64 s[0:1], 0
	global_store_dwordx2 v[3:4], v[5:6], off
.LBB71_2817:
	s_andn2_b64 vcc, exec, s[0:1]
	s_cbranch_vccnz .LBB71_2819
; %bb.2818:
	v_cndmask_b32_e64 v1, 0, 1.0, s[6:7]
	global_store_dword v[3:4], v1, off
.LBB71_2819:
	s_mov_b64 s[0:1], 0
.LBB71_2820:
	s_andn2_b64 vcc, exec, s[0:1]
	s_cbranch_vccnz .LBB71_2822
; %bb.2821:
	v_cndmask_b32_e64 v1, 0, 1.0, s[6:7]
	v_cvt_f16_f32_e32 v1, v1
	global_store_short v[3:4], v1, off
.LBB71_2822:
	s_mov_b64 s[0:1], 0
.LBB71_2823:
	s_andn2_b64 vcc, exec, s[0:1]
	s_cbranch_vccnz .LBB71_2839
; %bb.2824:
	s_cmp_lt_i32 s23, 2
	s_mov_b64 s[0:1], -1
	s_cbranch_scc1 .LBB71_2834
; %bb.2825:
	s_cmp_lt_i32 s23, 3
	s_cbranch_scc1 .LBB71_2831
; %bb.2826:
	s_cmp_gt_i32 s23, 3
	s_cbranch_scc0 .LBB71_2828
; %bb.2827:
	s_mov_b32 s0, 0
	v_cndmask_b32_e64 v5, 0, 1, s[6:7]
	v_mov_b32_e32 v6, s0
	global_store_dwordx2 v[3:4], v[5:6], off
	s_mov_b64 s[0:1], 0
.LBB71_2828:
	s_andn2_b64 vcc, exec, s[0:1]
	s_cbranch_vccnz .LBB71_2830
; %bb.2829:
	v_cndmask_b32_e64 v1, 0, 1, s[6:7]
	global_store_dword v[3:4], v1, off
.LBB71_2830:
	s_mov_b64 s[0:1], 0
.LBB71_2831:
	s_andn2_b64 vcc, exec, s[0:1]
	s_cbranch_vccnz .LBB71_2833
; %bb.2832:
	v_cndmask_b32_e64 v1, 0, 1, s[6:7]
	global_store_short v[3:4], v1, off
.LBB71_2833:
	s_mov_b64 s[0:1], 0
.LBB71_2834:
	s_andn2_b64 vcc, exec, s[0:1]
	s_cbranch_vccnz .LBB71_2839
; %bb.2835:
	s_mov_b64 s[0:1], -1
	s_cmp_gt_i32 s23, 0
	v_cndmask_b32_e64 v1, 0, 1, s[6:7]
	s_cbranch_scc0 .LBB71_2837
; %bb.2836:
	global_store_byte v[3:4], v1, off
	s_mov_b64 s[0:1], 0
.LBB71_2837:
	s_andn2_b64 vcc, exec, s[0:1]
	s_cbranch_vccnz .LBB71_2839
; %bb.2838:
	global_store_byte v[3:4], v1, off
.LBB71_2839:
	s_mov_b64 s[16:17], -1
.LBB71_2840:
	s_andn2_b64 vcc, exec, s[16:17]
	s_cbranch_vccnz .LBB71_3036
; %bb.2841:
	v_cmp_ne_u16_e32 vcc, v15, v18
	s_xor_b64 s[6:7], s[2:3], vcc
	v_mov_b32_e32 v3, s9
	v_add_co_u32_e32 v1, vcc, s8, v2
	s_cmp_lt_i32 s23, 11
	v_addc_co_u32_e32 v2, vcc, 0, v3, vcc
	s_cbranch_scc1 .LBB71_2919
; %bb.2842:
	s_mov_b64 s[18:19], -1
	s_mov_b64 s[10:11], 0
	s_cmp_gt_i32 s23, 25
	s_mov_b64 s[16:17], 0
	s_mov_b64 s[0:1], 0
	s_cbranch_scc0 .LBB71_2875
; %bb.2843:
	s_cmp_gt_i32 s23, 28
	s_cbranch_scc0 .LBB71_2858
; %bb.2844:
	s_cmp_gt_i32 s23, 43
	s_cbranch_scc0 .LBB71_2854
; %bb.2845:
	s_cmp_gt_i32 s23, 45
	s_cbranch_scc0 .LBB71_2848
; %bb.2846:
	s_mov_b64 s[0:1], -1
	s_mov_b64 s[18:19], 0
	s_cmp_eq_u32 s23, 46
	s_cbranch_scc0 .LBB71_2848
; %bb.2847:
	v_cndmask_b32_e64 v3, 0, 1.0, s[6:7]
	v_bfe_u32 v4, v3, 16, 1
	s_movk_i32 s0, 0x7fff
	v_add3_u32 v3, v3, v4, s0
	v_lshrrev_b32_e32 v3, 16, v3
	global_store_dword v[1:2], v3, off
	s_mov_b64 s[0:1], 0
	s_mov_b64 s[16:17], -1
.LBB71_2848:
	s_and_b64 vcc, exec, s[18:19]
	s_cbranch_vccz .LBB71_2853
; %bb.2849:
	s_cmp_eq_u32 s23, 44
	s_mov_b64 s[0:1], -1
	s_cbranch_scc0 .LBB71_2853
; %bb.2850:
	v_cndmask_b32_e64 v4, 0, 1.0, s[6:7]
	v_lshrrev_b32_e32 v3, 23, v4
	s_movk_i32 s0, 0xff
	v_cmp_ne_u32_e32 vcc, s0, v3
	v_mov_b32_e32 v5, 0xff
	s_and_saveexec_b64 s[16:17], vcc
; %bb.2851:
	s_mov_b32 s0, 0x3fffff
	v_and_b32_e32 v5, 0x400000, v4
	v_and_or_b32 v4, v4, s0, v3
	v_cmp_ne_u32_e32 vcc, 0, v5
	v_cmp_ne_u32_e64 s[0:1], 0, v4
	s_and_b64 s[0:1], vcc, s[0:1]
	v_cndmask_b32_e64 v4, 0, 1, s[0:1]
	v_add_u32_e32 v5, v3, v4
; %bb.2852:
	s_or_b64 exec, exec, s[16:17]
	s_mov_b64 s[0:1], 0
	s_mov_b64 s[16:17], -1
	global_store_byte v[1:2], v5, off
.LBB71_2853:
	s_mov_b64 s[18:19], 0
.LBB71_2854:
	s_and_b64 vcc, exec, s[18:19]
	s_cbranch_vccz .LBB71_2857
; %bb.2855:
	s_cmp_eq_u32 s23, 29
	s_mov_b64 s[0:1], -1
	s_cbranch_scc0 .LBB71_2857
; %bb.2856:
	s_mov_b32 s0, 0
	v_cndmask_b32_e64 v3, 0, 1, s[6:7]
	v_mov_b32_e32 v4, s0
	global_store_dwordx2 v[1:2], v[3:4], off
	s_mov_b64 s[0:1], 0
	s_mov_b64 s[16:17], -1
.LBB71_2857:
	s_mov_b64 s[18:19], 0
.LBB71_2858:
	s_and_b64 vcc, exec, s[18:19]
	s_cbranch_vccz .LBB71_2874
; %bb.2859:
	s_cmp_lt_i32 s23, 27
	s_mov_b64 s[16:17], -1
	s_cbranch_scc1 .LBB71_2865
; %bb.2860:
	s_cmp_gt_i32 s23, 27
	s_cbranch_scc0 .LBB71_2862
; %bb.2861:
	v_cndmask_b32_e64 v3, 0, 1, s[6:7]
	s_mov_b64 s[16:17], 0
	global_store_dword v[1:2], v3, off
.LBB71_2862:
	s_andn2_b64 vcc, exec, s[16:17]
	s_cbranch_vccnz .LBB71_2864
; %bb.2863:
	v_cndmask_b32_e64 v3, 0, 1, s[6:7]
	global_store_short v[1:2], v3, off
.LBB71_2864:
	s_mov_b64 s[16:17], 0
.LBB71_2865:
	s_andn2_b64 vcc, exec, s[16:17]
	s_cbranch_vccnz .LBB71_2873
; %bb.2866:
	v_cndmask_b32_e64 v4, 0, 1.0, s[6:7]
	s_mov_b32 s16, 0x43800000
	v_cmp_gt_u32_e32 vcc, s16, v4
	v_mov_b32_e32 v5, 0x80
	s_and_saveexec_b64 s[16:17], vcc
	s_cbranch_execz .LBB71_2872
; %bb.2867:
	s_mov_b32 s18, 0x3bffffff
	v_cmp_lt_u32_e32 vcc, s18, v4
	s_mov_b64 s[18:19], 0
                                        ; implicit-def: $vgpr3
	s_and_saveexec_b64 s[20:21], vcc
	s_xor_b64 s[20:21], exec, s[20:21]
	s_cbranch_execz .LBB71_3093
; %bb.2868:
	v_bfe_u32 v3, v4, 20, 1
	s_mov_b32 s24, 0x487ffff
	v_add3_u32 v3, v4, v3, s24
	s_mov_b64 s[18:19], exec
	v_lshrrev_b32_e32 v3, 20, v3
                                        ; implicit-def: $vgpr4
	s_andn2_saveexec_b64 s[20:21], s[20:21]
	s_cbranch_execnz .LBB71_3094
.LBB71_2869:
	s_or_b64 exec, exec, s[20:21]
	v_mov_b32_e32 v5, 0
	s_and_saveexec_b64 s[20:21], s[18:19]
.LBB71_2870:
	v_mov_b32_e32 v5, v3
.LBB71_2871:
	s_or_b64 exec, exec, s[20:21]
.LBB71_2872:
	s_or_b64 exec, exec, s[16:17]
	global_store_byte v[1:2], v5, off
.LBB71_2873:
	s_mov_b64 s[16:17], -1
.LBB71_2874:
	s_mov_b64 s[18:19], 0
.LBB71_2875:
	s_and_b64 vcc, exec, s[18:19]
	s_cbranch_vccz .LBB71_2915
; %bb.2876:
	s_cmp_gt_i32 s23, 22
	s_mov_b64 s[10:11], -1
	s_cbranch_scc0 .LBB71_2908
; %bb.2877:
	s_cmp_lt_i32 s23, 24
	s_cbranch_scc1 .LBB71_2897
; %bb.2878:
	s_cmp_gt_i32 s23, 24
	s_cbranch_scc0 .LBB71_2886
; %bb.2879:
	v_cndmask_b32_e64 v4, 0, 1.0, s[6:7]
	s_mov_b32 s10, 0x47800000
	v_cmp_gt_u32_e32 vcc, s10, v4
	v_mov_b32_e32 v5, 0x80
	s_and_saveexec_b64 s[10:11], vcc
	s_cbranch_execz .LBB71_2885
; %bb.2880:
	s_mov_b32 s16, 0x37ffffff
	v_cmp_lt_u32_e32 vcc, s16, v4
	s_mov_b64 s[16:17], 0
                                        ; implicit-def: $vgpr3
	s_and_saveexec_b64 s[18:19], vcc
	s_xor_b64 s[18:19], exec, s[18:19]
	s_cbranch_execz .LBB71_3096
; %bb.2881:
	v_bfe_u32 v3, v4, 21, 1
	s_mov_b32 s20, 0x88fffff
	v_add3_u32 v3, v4, v3, s20
	s_mov_b64 s[16:17], exec
	v_lshrrev_b32_e32 v3, 21, v3
                                        ; implicit-def: $vgpr4
	s_andn2_saveexec_b64 s[18:19], s[18:19]
	s_cbranch_execnz .LBB71_3097
.LBB71_2882:
	s_or_b64 exec, exec, s[18:19]
	v_mov_b32_e32 v5, 0
	s_and_saveexec_b64 s[18:19], s[16:17]
.LBB71_2883:
	v_mov_b32_e32 v5, v3
.LBB71_2884:
	s_or_b64 exec, exec, s[18:19]
.LBB71_2885:
	s_or_b64 exec, exec, s[10:11]
	s_mov_b64 s[10:11], 0
	global_store_byte v[1:2], v5, off
.LBB71_2886:
	s_and_b64 vcc, exec, s[10:11]
	s_cbranch_vccz .LBB71_2896
; %bb.2887:
	v_cndmask_b32_e64 v3, 0, 1.0, s[6:7]
	s_mov_b32 s10, 0x43f00000
	v_cmp_gt_u32_e32 vcc, s10, v3
                                        ; implicit-def: $vgpr4
	s_and_saveexec_b64 s[10:11], vcc
	s_xor_b64 s[10:11], exec, s[10:11]
	s_cbranch_execz .LBB71_2893
; %bb.2888:
	s_mov_b32 s16, 0x3c7fffff
	v_cmp_lt_u32_e32 vcc, s16, v3
                                        ; implicit-def: $vgpr4
	s_and_saveexec_b64 s[16:17], vcc
	s_xor_b64 s[16:17], exec, s[16:17]
; %bb.2889:
	v_bfe_u32 v4, v3, 20, 1
	s_mov_b32 s18, 0x407ffff
	v_add3_u32 v3, v3, v4, s18
	v_lshrrev_b32_e32 v4, 20, v3
	v_and_b32_e32 v3, 0xff00000, v3
	s_mov_b32 s18, 0x7f00000
	v_mov_b32_e32 v5, 0x7e
	v_cmp_ne_u32_e32 vcc, s18, v3
	v_cndmask_b32_e32 v4, v5, v4, vcc
                                        ; implicit-def: $vgpr3
; %bb.2890:
	s_andn2_saveexec_b64 s[16:17], s[16:17]
; %bb.2891:
	v_add_f32_e32 v4, 0x46800000, v3
; %bb.2892:
	s_or_b64 exec, exec, s[16:17]
                                        ; implicit-def: $vgpr3
.LBB71_2893:
	s_andn2_saveexec_b64 s[10:11], s[10:11]
; %bb.2894:
	s_mov_b32 s16, 0x7f800000
	v_mov_b32_e32 v4, 0x7e
	v_mov_b32_e32 v5, 0x7f
	v_cmp_lt_u32_e32 vcc, s16, v3
	v_cndmask_b32_e32 v4, v4, v5, vcc
; %bb.2895:
	s_or_b64 exec, exec, s[10:11]
	global_store_byte v[1:2], v4, off
.LBB71_2896:
	s_mov_b64 s[10:11], 0
.LBB71_2897:
	s_andn2_b64 vcc, exec, s[10:11]
	s_cbranch_vccnz .LBB71_2907
; %bb.2898:
	v_cndmask_b32_e64 v3, 0, 1.0, s[6:7]
	s_mov_b32 s10, 0x47800000
	v_cmp_gt_u32_e32 vcc, s10, v3
                                        ; implicit-def: $vgpr4
	s_and_saveexec_b64 s[10:11], vcc
	s_xor_b64 s[10:11], exec, s[10:11]
	s_cbranch_execz .LBB71_2904
; %bb.2899:
	s_mov_b32 s16, 0x387fffff
	v_cmp_lt_u32_e32 vcc, s16, v3
                                        ; implicit-def: $vgpr4
	s_and_saveexec_b64 s[16:17], vcc
	s_xor_b64 s[16:17], exec, s[16:17]
; %bb.2900:
	v_bfe_u32 v4, v3, 21, 1
	s_mov_b32 s18, 0x80fffff
	v_add3_u32 v3, v3, v4, s18
	v_lshrrev_b32_e32 v4, 21, v3
                                        ; implicit-def: $vgpr3
; %bb.2901:
	s_andn2_saveexec_b64 s[16:17], s[16:17]
; %bb.2902:
	v_add_f32_e32 v4, 0x43000000, v3
; %bb.2903:
	s_or_b64 exec, exec, s[16:17]
                                        ; implicit-def: $vgpr3
.LBB71_2904:
	s_andn2_saveexec_b64 s[10:11], s[10:11]
; %bb.2905:
	s_mov_b32 s16, 0x7f800000
	v_mov_b32_e32 v4, 0x7c
	v_mov_b32_e32 v5, 0x7f
	v_cmp_lt_u32_e32 vcc, s16, v3
	v_cndmask_b32_e32 v4, v4, v5, vcc
; %bb.2906:
	s_or_b64 exec, exec, s[10:11]
	global_store_byte v[1:2], v4, off
.LBB71_2907:
	s_mov_b64 s[10:11], 0
	s_mov_b64 s[16:17], -1
.LBB71_2908:
	s_andn2_b64 vcc, exec, s[10:11]
	s_mov_b64 s[10:11], 0
	s_cbranch_vccnz .LBB71_2915
; %bb.2909:
	s_cmp_gt_i32 s23, 14
	s_mov_b64 s[18:19], -1
	s_cbranch_scc0 .LBB71_2913
; %bb.2910:
	s_cmp_eq_u32 s23, 15
	s_mov_b64 s[0:1], -1
	s_cbranch_scc0 .LBB71_2912
; %bb.2911:
	v_cndmask_b32_e64 v3, 0, 1.0, s[6:7]
	v_bfe_u32 v4, v3, 16, 1
	s_movk_i32 s0, 0x7fff
	v_add3_u32 v3, v3, v4, s0
	global_store_short_d16_hi v[1:2], v3, off
	s_mov_b64 s[0:1], 0
	s_mov_b64 s[16:17], -1
.LBB71_2912:
	s_mov_b64 s[18:19], 0
.LBB71_2913:
	s_and_b64 vcc, exec, s[18:19]
	s_cbranch_vccz .LBB71_2915
; %bb.2914:
	s_cmp_lg_u32 s23, 11
	s_mov_b64 s[10:11], -1
	s_cselect_b64 s[0:1], -1, 0
.LBB71_2915:
	s_and_b64 vcc, exec, s[0:1]
	s_cbranch_vccnz .LBB71_3095
; %bb.2916:
	s_andn2_b64 vcc, exec, s[10:11]
	s_cbranch_vccnz .LBB71_2918
.LBB71_2917:
	v_cndmask_b32_e64 v3, 0, 1, s[6:7]
	s_mov_b64 s[16:17], -1
	global_store_byte v[1:2], v3, off
.LBB71_2918:
	s_mov_b64 s[0:1], 0
	s_branch .LBB71_2920
.LBB71_2919:
	s_mov_b64 s[0:1], -1
	s_mov_b64 s[16:17], 0
.LBB71_2920:
	s_and_b64 vcc, exec, s[0:1]
	s_cbranch_vccz .LBB71_2959
; %bb.2921:
	s_cmp_lt_i32 s23, 5
	s_mov_b64 s[0:1], -1
	s_cbranch_scc1 .LBB71_2942
; %bb.2922:
	s_cmp_lt_i32 s23, 8
	s_cbranch_scc1 .LBB71_2932
; %bb.2923:
	s_cmp_lt_i32 s23, 9
	s_cbranch_scc1 .LBB71_2929
; %bb.2924:
	s_cmp_gt_i32 s23, 9
	s_cbranch_scc0 .LBB71_2926
; %bb.2925:
	v_cndmask_b32_e64 v3, 0, 1, s[6:7]
	v_cvt_f64_u32_e32 v[3:4], v3
	v_mov_b32_e32 v5, 0
	v_mov_b32_e32 v6, v5
	s_mov_b64 s[0:1], 0
	global_store_dwordx4 v[1:2], v[3:6], off
.LBB71_2926:
	s_andn2_b64 vcc, exec, s[0:1]
	s_cbranch_vccnz .LBB71_2928
; %bb.2927:
	v_cndmask_b32_e64 v3, 0, 1.0, s[6:7]
	v_mov_b32_e32 v4, 0
	global_store_dwordx2 v[1:2], v[3:4], off
.LBB71_2928:
	s_mov_b64 s[0:1], 0
.LBB71_2929:
	s_andn2_b64 vcc, exec, s[0:1]
	s_cbranch_vccnz .LBB71_2931
; %bb.2930:
	v_cndmask_b32_e64 v3, 0, 1.0, s[6:7]
	v_cvt_f16_f32_e32 v3, v3
	global_store_dword v[1:2], v3, off
.LBB71_2931:
	s_mov_b64 s[0:1], 0
.LBB71_2932:
	s_andn2_b64 vcc, exec, s[0:1]
	s_cbranch_vccnz .LBB71_2941
; %bb.2933:
	s_cmp_lt_i32 s23, 6
	s_mov_b64 s[0:1], -1
	s_cbranch_scc1 .LBB71_2939
; %bb.2934:
	s_cmp_gt_i32 s23, 6
	s_cbranch_scc0 .LBB71_2936
; %bb.2935:
	v_cndmask_b32_e64 v3, 0, 1, s[6:7]
	v_cvt_f64_u32_e32 v[3:4], v3
	s_mov_b64 s[0:1], 0
	global_store_dwordx2 v[1:2], v[3:4], off
.LBB71_2936:
	s_andn2_b64 vcc, exec, s[0:1]
	s_cbranch_vccnz .LBB71_2938
; %bb.2937:
	v_cndmask_b32_e64 v3, 0, 1.0, s[6:7]
	global_store_dword v[1:2], v3, off
.LBB71_2938:
	s_mov_b64 s[0:1], 0
.LBB71_2939:
	s_andn2_b64 vcc, exec, s[0:1]
	s_cbranch_vccnz .LBB71_2941
; %bb.2940:
	v_cndmask_b32_e64 v3, 0, 1.0, s[6:7]
	v_cvt_f16_f32_e32 v3, v3
	global_store_short v[1:2], v3, off
.LBB71_2941:
	s_mov_b64 s[0:1], 0
.LBB71_2942:
	s_andn2_b64 vcc, exec, s[0:1]
	s_cbranch_vccnz .LBB71_2958
; %bb.2943:
	s_cmp_lt_i32 s23, 2
	s_mov_b64 s[0:1], -1
	s_cbranch_scc1 .LBB71_2953
; %bb.2944:
	s_cmp_lt_i32 s23, 3
	s_cbranch_scc1 .LBB71_2950
; %bb.2945:
	s_cmp_gt_i32 s23, 3
	s_cbranch_scc0 .LBB71_2947
; %bb.2946:
	s_mov_b32 s0, 0
	v_cndmask_b32_e64 v3, 0, 1, s[6:7]
	v_mov_b32_e32 v4, s0
	global_store_dwordx2 v[1:2], v[3:4], off
	s_mov_b64 s[0:1], 0
.LBB71_2947:
	s_andn2_b64 vcc, exec, s[0:1]
	s_cbranch_vccnz .LBB71_2949
; %bb.2948:
	v_cndmask_b32_e64 v3, 0, 1, s[6:7]
	global_store_dword v[1:2], v3, off
.LBB71_2949:
	s_mov_b64 s[0:1], 0
.LBB71_2950:
	s_andn2_b64 vcc, exec, s[0:1]
	s_cbranch_vccnz .LBB71_2952
; %bb.2951:
	v_cndmask_b32_e64 v3, 0, 1, s[6:7]
	global_store_short v[1:2], v3, off
.LBB71_2952:
	s_mov_b64 s[0:1], 0
.LBB71_2953:
	s_andn2_b64 vcc, exec, s[0:1]
	s_cbranch_vccnz .LBB71_2958
; %bb.2954:
	s_cmp_gt_i32 s23, 0
	s_mov_b64 s[0:1], -1
	s_cbranch_scc0 .LBB71_2956
; %bb.2955:
	v_cndmask_b32_e64 v3, 0, 1, s[6:7]
	global_store_byte v[1:2], v3, off
	s_mov_b64 s[0:1], 0
.LBB71_2956:
	s_andn2_b64 vcc, exec, s[0:1]
	s_cbranch_vccnz .LBB71_2958
; %bb.2957:
	v_cndmask_b32_e64 v3, 0, 1, s[6:7]
	global_store_byte v[1:2], v3, off
.LBB71_2958:
	s_mov_b64 s[16:17], -1
.LBB71_2959:
	s_andn2_b64 vcc, exec, s[16:17]
	s_cbranch_vccnz .LBB71_3036
; %bb.2960:
	s_waitcnt vmcnt(0)
	v_cmp_ne_u16_e32 vcc, v13, v8
	s_xor_b64 s[10:11], s[2:3], vcc
	v_mov_b32_e32 v1, s9
	v_add_co_u32_e32 v0, vcc, s8, v0
	s_cmp_lt_i32 s23, 11
	v_addc_co_u32_e32 v1, vcc, 0, v1, vcc
	s_cbranch_scc1 .LBB71_3081
; %bb.2961:
	s_mov_b64 s[6:7], -1
	s_mov_b64 s[2:3], 0
	s_cmp_gt_i32 s23, 25
	s_mov_b64 s[0:1], 0
	s_cbranch_scc0 .LBB71_2994
; %bb.2962:
	s_cmp_gt_i32 s23, 28
	s_cbranch_scc0 .LBB71_2978
; %bb.2963:
	s_cmp_gt_i32 s23, 43
	;; [unrolled: 3-line block ×3, first 2 shown]
	s_cbranch_scc0 .LBB71_2968
; %bb.2965:
	s_cmp_eq_u32 s23, 46
	s_mov_b64 s[0:1], -1
	s_cbranch_scc0 .LBB71_2967
; %bb.2966:
	v_cndmask_b32_e64 v2, 0, 1.0, s[10:11]
	v_bfe_u32 v3, v2, 16, 1
	s_movk_i32 s0, 0x7fff
	v_add3_u32 v2, v2, v3, s0
	v_lshrrev_b32_e32 v2, 16, v2
	global_store_dword v[0:1], v2, off
	s_mov_b64 s[0:1], 0
.LBB71_2967:
	s_mov_b64 s[6:7], 0
.LBB71_2968:
	s_and_b64 vcc, exec, s[6:7]
	s_cbranch_vccz .LBB71_2973
; %bb.2969:
	s_cmp_eq_u32 s23, 44
	s_mov_b64 s[0:1], -1
	s_cbranch_scc0 .LBB71_2973
; %bb.2970:
	v_cndmask_b32_e64 v3, 0, 1.0, s[10:11]
	v_lshrrev_b32_e32 v2, 23, v3
	s_movk_i32 s0, 0xff
	v_cmp_ne_u32_e32 vcc, s0, v2
	v_mov_b32_e32 v4, 0xff
	s_and_saveexec_b64 s[6:7], vcc
; %bb.2971:
	s_mov_b32 s0, 0x3fffff
	v_and_b32_e32 v4, 0x400000, v3
	v_and_or_b32 v3, v3, s0, v2
	v_cmp_ne_u32_e32 vcc, 0, v4
	v_cmp_ne_u32_e64 s[0:1], 0, v3
	s_and_b64 s[0:1], vcc, s[0:1]
	v_cndmask_b32_e64 v3, 0, 1, s[0:1]
	v_add_u32_e32 v4, v2, v3
; %bb.2972:
	s_or_b64 exec, exec, s[6:7]
	s_mov_b64 s[0:1], 0
	global_store_byte v[0:1], v4, off
.LBB71_2973:
	s_mov_b64 s[6:7], 0
.LBB71_2974:
	s_and_b64 vcc, exec, s[6:7]
	s_cbranch_vccz .LBB71_2977
; %bb.2975:
	s_cmp_eq_u32 s23, 29
	s_mov_b64 s[0:1], -1
	s_cbranch_scc0 .LBB71_2977
; %bb.2976:
	s_mov_b32 s0, 0
	v_cndmask_b32_e64 v2, 0, 1, s[10:11]
	v_mov_b32_e32 v3, s0
	global_store_dwordx2 v[0:1], v[2:3], off
	s_mov_b64 s[0:1], 0
.LBB71_2977:
	s_mov_b64 s[6:7], 0
.LBB71_2978:
	s_and_b64 vcc, exec, s[6:7]
	s_cbranch_vccz .LBB71_2993
; %bb.2979:
	s_cmp_lt_i32 s23, 27
	s_mov_b64 s[6:7], -1
	s_cbranch_scc1 .LBB71_2985
; %bb.2980:
	s_cmp_gt_i32 s23, 27
	v_cndmask_b32_e64 v2, 0, 1, s[10:11]
	s_cbranch_scc0 .LBB71_2982
; %bb.2981:
	global_store_dword v[0:1], v2, off
	s_mov_b64 s[6:7], 0
.LBB71_2982:
	s_andn2_b64 vcc, exec, s[6:7]
	s_cbranch_vccnz .LBB71_2984
; %bb.2983:
	global_store_short v[0:1], v2, off
.LBB71_2984:
	s_mov_b64 s[6:7], 0
.LBB71_2985:
	s_andn2_b64 vcc, exec, s[6:7]
	s_cbranch_vccnz .LBB71_2993
; %bb.2986:
	v_cndmask_b32_e64 v3, 0, 1.0, s[10:11]
	s_mov_b32 s6, 0x43800000
	v_cmp_gt_u32_e32 vcc, s6, v3
	v_mov_b32_e32 v4, 0x80
	s_and_saveexec_b64 s[6:7], vcc
	s_cbranch_execz .LBB71_2992
; %bb.2987:
	s_mov_b32 s8, 0x3bffffff
	v_cmp_lt_u32_e32 vcc, s8, v3
	s_mov_b64 s[8:9], 0
                                        ; implicit-def: $vgpr2
	s_and_saveexec_b64 s[16:17], vcc
	s_xor_b64 s[16:17], exec, s[16:17]
	s_cbranch_execz .LBB71_3098
; %bb.2988:
	v_bfe_u32 v2, v3, 20, 1
	s_mov_b32 s18, 0x487ffff
	v_add3_u32 v2, v3, v2, s18
	s_mov_b64 s[8:9], exec
	v_lshrrev_b32_e32 v2, 20, v2
                                        ; implicit-def: $vgpr3
	s_andn2_saveexec_b64 s[16:17], s[16:17]
	s_cbranch_execnz .LBB71_3099
.LBB71_2989:
	s_or_b64 exec, exec, s[16:17]
	v_mov_b32_e32 v4, 0
	s_and_saveexec_b64 s[16:17], s[8:9]
.LBB71_2990:
	v_mov_b32_e32 v4, v2
.LBB71_2991:
	s_or_b64 exec, exec, s[16:17]
.LBB71_2992:
	s_or_b64 exec, exec, s[6:7]
	global_store_byte v[0:1], v4, off
.LBB71_2993:
	s_mov_b64 s[6:7], 0
.LBB71_2994:
	s_and_b64 vcc, exec, s[6:7]
	s_cbranch_vccz .LBB71_3034
; %bb.2995:
	s_cmp_gt_i32 s23, 22
	s_mov_b64 s[2:3], -1
	s_cbranch_scc0 .LBB71_3027
; %bb.2996:
	s_cmp_lt_i32 s23, 24
	s_cbranch_scc1 .LBB71_3016
; %bb.2997:
	s_cmp_gt_i32 s23, 24
	s_cbranch_scc0 .LBB71_3005
; %bb.2998:
	v_cndmask_b32_e64 v3, 0, 1.0, s[10:11]
	s_mov_b32 s2, 0x47800000
	v_cmp_gt_u32_e32 vcc, s2, v3
	v_mov_b32_e32 v4, 0x80
	s_and_saveexec_b64 s[2:3], vcc
	s_cbranch_execz .LBB71_3004
; %bb.2999:
	s_mov_b32 s6, 0x37ffffff
	v_cmp_lt_u32_e32 vcc, s6, v3
	s_mov_b64 s[6:7], 0
                                        ; implicit-def: $vgpr2
	s_and_saveexec_b64 s[8:9], vcc
	s_xor_b64 s[8:9], exec, s[8:9]
	s_cbranch_execz .LBB71_3101
; %bb.3000:
	v_bfe_u32 v2, v3, 21, 1
	s_mov_b32 s16, 0x88fffff
	v_add3_u32 v2, v3, v2, s16
	s_mov_b64 s[6:7], exec
	v_lshrrev_b32_e32 v2, 21, v2
                                        ; implicit-def: $vgpr3
	s_andn2_saveexec_b64 s[8:9], s[8:9]
	s_cbranch_execnz .LBB71_3102
.LBB71_3001:
	s_or_b64 exec, exec, s[8:9]
	v_mov_b32_e32 v4, 0
	s_and_saveexec_b64 s[8:9], s[6:7]
.LBB71_3002:
	v_mov_b32_e32 v4, v2
.LBB71_3003:
	s_or_b64 exec, exec, s[8:9]
.LBB71_3004:
	s_or_b64 exec, exec, s[2:3]
	s_mov_b64 s[2:3], 0
	global_store_byte v[0:1], v4, off
.LBB71_3005:
	s_and_b64 vcc, exec, s[2:3]
	s_cbranch_vccz .LBB71_3015
; %bb.3006:
	v_cndmask_b32_e64 v2, 0, 1.0, s[10:11]
	s_mov_b32 s2, 0x43f00000
	v_cmp_gt_u32_e32 vcc, s2, v2
                                        ; implicit-def: $vgpr3
	s_and_saveexec_b64 s[2:3], vcc
	s_xor_b64 s[2:3], exec, s[2:3]
	s_cbranch_execz .LBB71_3012
; %bb.3007:
	s_mov_b32 s6, 0x3c7fffff
	v_cmp_lt_u32_e32 vcc, s6, v2
                                        ; implicit-def: $vgpr3
	s_and_saveexec_b64 s[6:7], vcc
	s_xor_b64 s[6:7], exec, s[6:7]
; %bb.3008:
	v_bfe_u32 v3, v2, 20, 1
	s_mov_b32 s8, 0x407ffff
	v_add3_u32 v2, v2, v3, s8
	v_lshrrev_b32_e32 v3, 20, v2
	v_and_b32_e32 v2, 0xff00000, v2
	s_mov_b32 s8, 0x7f00000
	v_mov_b32_e32 v4, 0x7e
	v_cmp_ne_u32_e32 vcc, s8, v2
	v_cndmask_b32_e32 v3, v4, v3, vcc
                                        ; implicit-def: $vgpr2
; %bb.3009:
	s_andn2_saveexec_b64 s[6:7], s[6:7]
; %bb.3010:
	v_add_f32_e32 v3, 0x46800000, v2
; %bb.3011:
	s_or_b64 exec, exec, s[6:7]
                                        ; implicit-def: $vgpr2
.LBB71_3012:
	s_andn2_saveexec_b64 s[2:3], s[2:3]
; %bb.3013:
	s_mov_b32 s6, 0x7f800000
	v_mov_b32_e32 v3, 0x7e
	v_mov_b32_e32 v4, 0x7f
	v_cmp_lt_u32_e32 vcc, s6, v2
	v_cndmask_b32_e32 v3, v3, v4, vcc
; %bb.3014:
	s_or_b64 exec, exec, s[2:3]
	global_store_byte v[0:1], v3, off
.LBB71_3015:
	s_mov_b64 s[2:3], 0
.LBB71_3016:
	s_andn2_b64 vcc, exec, s[2:3]
	s_cbranch_vccnz .LBB71_3026
; %bb.3017:
	v_cndmask_b32_e64 v2, 0, 1.0, s[10:11]
	s_mov_b32 s2, 0x47800000
	v_cmp_gt_u32_e32 vcc, s2, v2
                                        ; implicit-def: $vgpr3
	s_and_saveexec_b64 s[2:3], vcc
	s_xor_b64 s[2:3], exec, s[2:3]
	s_cbranch_execz .LBB71_3023
; %bb.3018:
	s_mov_b32 s6, 0x387fffff
	v_cmp_lt_u32_e32 vcc, s6, v2
                                        ; implicit-def: $vgpr3
	s_and_saveexec_b64 s[6:7], vcc
	s_xor_b64 s[6:7], exec, s[6:7]
; %bb.3019:
	v_bfe_u32 v3, v2, 21, 1
	s_mov_b32 s8, 0x80fffff
	v_add3_u32 v2, v2, v3, s8
	v_lshrrev_b32_e32 v3, 21, v2
                                        ; implicit-def: $vgpr2
; %bb.3020:
	s_andn2_saveexec_b64 s[6:7], s[6:7]
; %bb.3021:
	v_add_f32_e32 v3, 0x43000000, v2
; %bb.3022:
	s_or_b64 exec, exec, s[6:7]
                                        ; implicit-def: $vgpr2
.LBB71_3023:
	s_andn2_saveexec_b64 s[2:3], s[2:3]
; %bb.3024:
	s_mov_b32 s6, 0x7f800000
	v_mov_b32_e32 v3, 0x7c
	v_mov_b32_e32 v4, 0x7f
	v_cmp_lt_u32_e32 vcc, s6, v2
	v_cndmask_b32_e32 v3, v3, v4, vcc
; %bb.3025:
	s_or_b64 exec, exec, s[2:3]
	global_store_byte v[0:1], v3, off
.LBB71_3026:
	s_mov_b64 s[2:3], 0
.LBB71_3027:
	s_andn2_b64 vcc, exec, s[2:3]
	s_mov_b64 s[2:3], 0
	s_cbranch_vccnz .LBB71_3034
; %bb.3028:
	s_cmp_gt_i32 s23, 14
	s_mov_b64 s[6:7], -1
	s_cbranch_scc0 .LBB71_3032
; %bb.3029:
	s_cmp_eq_u32 s23, 15
	s_mov_b64 s[0:1], -1
	s_cbranch_scc0 .LBB71_3031
; %bb.3030:
	v_cndmask_b32_e64 v2, 0, 1.0, s[10:11]
	v_bfe_u32 v3, v2, 16, 1
	s_movk_i32 s0, 0x7fff
	v_add3_u32 v2, v2, v3, s0
	global_store_short_d16_hi v[0:1], v2, off
	s_mov_b64 s[0:1], 0
.LBB71_3031:
	s_mov_b64 s[6:7], 0
.LBB71_3032:
	s_and_b64 vcc, exec, s[6:7]
	s_cbranch_vccz .LBB71_3034
; %bb.3033:
	s_cmp_lg_u32 s23, 11
	s_mov_b64 s[2:3], -1
	s_cselect_b64 s[0:1], -1, 0
.LBB71_3034:
	s_and_b64 vcc, exec, s[0:1]
	s_cbranch_vccnz .LBB71_3100
.LBB71_3035:
	s_mov_b64 s[0:1], 0
	s_branch .LBB71_3037
.LBB71_3036:
	s_mov_b64 s[0:1], 0
	s_mov_b64 s[2:3], 0
                                        ; implicit-def: $sgpr10_sgpr11
                                        ; implicit-def: $vgpr0_vgpr1
                                        ; implicit-def: $sgpr22
.LBB71_3037:
	s_and_b64 s[6:7], s[2:3], exec
	s_andn2_b64 s[2:3], s[12:13], exec
	s_and_b64 s[4:5], s[4:5], exec
	s_and_b64 s[0:1], s[0:1], exec
	s_or_b64 s[12:13], s[2:3], s[4:5]
.LBB71_3038:
	s_or_b64 exec, exec, s[14:15]
	s_and_saveexec_b64 s[2:3], s[12:13]
	s_cbranch_execz .LBB71_3041
; %bb.3039:
	; divergent unreachable
	s_or_b64 exec, exec, s[2:3]
	s_and_saveexec_b64 s[2:3], s[6:7]
	s_xor_b64 s[2:3], exec, s[2:3]
	s_cbranch_execnz .LBB71_3042
.LBB71_3040:
	s_or_b64 exec, exec, s[2:3]
	s_and_saveexec_b64 s[2:3], s[0:1]
	s_cbranch_execnz .LBB71_3043
	s_branch .LBB71_3080
.LBB71_3041:
	s_or_b64 exec, exec, s[2:3]
	s_and_saveexec_b64 s[2:3], s[6:7]
	s_xor_b64 s[2:3], exec, s[2:3]
	s_cbranch_execz .LBB71_3040
.LBB71_3042:
	s_waitcnt vmcnt(0)
	v_cndmask_b32_e64 v2, 0, 1, s[10:11]
	global_store_byte v[0:1], v2, off
	s_or_b64 exec, exec, s[2:3]
	s_and_saveexec_b64 s[2:3], s[0:1]
	s_cbranch_execz .LBB71_3080
.LBB71_3043:
	s_sext_i32_i16 s2, s22
	s_cmp_lt_i32 s2, 5
	s_mov_b64 s[0:1], -1
	s_cbranch_scc1 .LBB71_3064
; %bb.3044:
	s_cmp_lt_i32 s2, 8
	s_cbranch_scc1 .LBB71_3054
; %bb.3045:
	s_cmp_lt_i32 s2, 9
	s_cbranch_scc1 .LBB71_3051
; %bb.3046:
	s_cmp_gt_i32 s2, 9
	s_cbranch_scc0 .LBB71_3048
; %bb.3047:
	s_waitcnt vmcnt(0)
	v_cndmask_b32_e64 v2, 0, 1, s[10:11]
	v_cvt_f64_u32_e32 v[2:3], v2
	v_mov_b32_e32 v4, 0
	v_mov_b32_e32 v5, v4
	s_mov_b64 s[0:1], 0
	global_store_dwordx4 v[0:1], v[2:5], off
.LBB71_3048:
	s_andn2_b64 vcc, exec, s[0:1]
	s_cbranch_vccnz .LBB71_3050
; %bb.3049:
	s_waitcnt vmcnt(0)
	v_cndmask_b32_e64 v2, 0, 1.0, s[10:11]
	v_mov_b32_e32 v3, 0
	global_store_dwordx2 v[0:1], v[2:3], off
.LBB71_3050:
	s_mov_b64 s[0:1], 0
.LBB71_3051:
	s_andn2_b64 vcc, exec, s[0:1]
	s_cbranch_vccnz .LBB71_3053
; %bb.3052:
	s_waitcnt vmcnt(0)
	v_cndmask_b32_e64 v2, 0, 1.0, s[10:11]
	v_cvt_f16_f32_e32 v2, v2
	global_store_dword v[0:1], v2, off
.LBB71_3053:
	s_mov_b64 s[0:1], 0
.LBB71_3054:
	s_andn2_b64 vcc, exec, s[0:1]
	s_cbranch_vccnz .LBB71_3063
; %bb.3055:
	s_sext_i32_i16 s2, s22
	s_cmp_lt_i32 s2, 6
	s_mov_b64 s[0:1], -1
	s_cbranch_scc1 .LBB71_3061
; %bb.3056:
	s_cmp_gt_i32 s2, 6
	s_cbranch_scc0 .LBB71_3058
; %bb.3057:
	s_waitcnt vmcnt(0)
	v_cndmask_b32_e64 v2, 0, 1, s[10:11]
	v_cvt_f64_u32_e32 v[2:3], v2
	s_mov_b64 s[0:1], 0
	global_store_dwordx2 v[0:1], v[2:3], off
.LBB71_3058:
	s_andn2_b64 vcc, exec, s[0:1]
	s_cbranch_vccnz .LBB71_3060
; %bb.3059:
	s_waitcnt vmcnt(0)
	v_cndmask_b32_e64 v2, 0, 1.0, s[10:11]
	global_store_dword v[0:1], v2, off
.LBB71_3060:
	s_mov_b64 s[0:1], 0
.LBB71_3061:
	s_andn2_b64 vcc, exec, s[0:1]
	s_cbranch_vccnz .LBB71_3063
; %bb.3062:
	s_waitcnt vmcnt(0)
	v_cndmask_b32_e64 v2, 0, 1.0, s[10:11]
	v_cvt_f16_f32_e32 v2, v2
	global_store_short v[0:1], v2, off
.LBB71_3063:
	s_mov_b64 s[0:1], 0
.LBB71_3064:
	s_andn2_b64 vcc, exec, s[0:1]
	s_cbranch_vccnz .LBB71_3080
; %bb.3065:
	s_sext_i32_i16 s2, s22
	s_cmp_lt_i32 s2, 2
	s_mov_b64 s[0:1], -1
	s_cbranch_scc1 .LBB71_3075
; %bb.3066:
	s_cmp_lt_i32 s2, 3
	s_cbranch_scc1 .LBB71_3072
; %bb.3067:
	s_cmp_gt_i32 s2, 3
	s_cbranch_scc0 .LBB71_3069
; %bb.3068:
	s_mov_b32 s0, 0
	s_waitcnt vmcnt(0)
	v_cndmask_b32_e64 v2, 0, 1, s[10:11]
	v_mov_b32_e32 v3, s0
	global_store_dwordx2 v[0:1], v[2:3], off
	s_mov_b64 s[0:1], 0
.LBB71_3069:
	s_andn2_b64 vcc, exec, s[0:1]
	s_cbranch_vccnz .LBB71_3071
; %bb.3070:
	s_waitcnt vmcnt(0)
	v_cndmask_b32_e64 v2, 0, 1, s[10:11]
	global_store_dword v[0:1], v2, off
.LBB71_3071:
	s_mov_b64 s[0:1], 0
.LBB71_3072:
	s_andn2_b64 vcc, exec, s[0:1]
	s_cbranch_vccnz .LBB71_3074
; %bb.3073:
	s_waitcnt vmcnt(0)
	v_cndmask_b32_e64 v2, 0, 1, s[10:11]
	global_store_short v[0:1], v2, off
.LBB71_3074:
	s_mov_b64 s[0:1], 0
.LBB71_3075:
	s_andn2_b64 vcc, exec, s[0:1]
	s_cbranch_vccnz .LBB71_3080
; %bb.3076:
	s_sext_i32_i16 s0, s22
	s_cmp_gt_i32 s0, 0
	s_mov_b64 s[0:1], -1
	s_cbranch_scc0 .LBB71_3078
; %bb.3077:
	s_waitcnt vmcnt(0)
	v_cndmask_b32_e64 v2, 0, 1, s[10:11]
	global_store_byte v[0:1], v2, off
	s_mov_b64 s[0:1], 0
.LBB71_3078:
	s_andn2_b64 vcc, exec, s[0:1]
	s_cbranch_vccnz .LBB71_3080
; %bb.3079:
	s_waitcnt vmcnt(0)
	v_cndmask_b32_e64 v2, 0, 1, s[10:11]
	global_store_byte v[0:1], v2, off
	s_endpgm
.LBB71_3080:
	s_endpgm
.LBB71_3081:
	s_mov_b64 s[2:3], 0
	s_mov_b64 s[0:1], -1
	s_branch .LBB71_3037
.LBB71_3082:
	s_trap 2
	s_or_b64 s[4:5], s[4:5], exec
	s_cbranch_execz .LBB71_2551
	s_branch .LBB71_2552
.LBB71_3083:
	s_andn2_saveexec_b64 s[20:21], s[20:21]
	s_cbranch_execz .LBB71_2631
.LBB71_3084:
	v_add_f32_e32 v1, 0x46000000, v3
	v_and_b32_e32 v1, 0xff, v1
	v_cmp_ne_u32_e32 vcc, 0, v1
	s_andn2_b64 s[18:19], s[18:19], exec
	s_and_b64 s[24:25], vcc, exec
	s_or_b64 s[18:19], s[18:19], s[24:25]
	s_or_b64 exec, exec, s[20:21]
	v_mov_b32_e32 v7, 0
	s_and_saveexec_b64 s[20:21], s[18:19]
	s_cbranch_execnz .LBB71_2632
	s_branch .LBB71_2633
.LBB71_3085:
	s_trap 2
	s_or_b64 s[4:5], s[4:5], exec
	s_cbranch_execz .LBB71_2679
	s_branch .LBB71_2680
.LBB71_3086:
	s_andn2_saveexec_b64 s[18:19], s[18:19]
	s_cbranch_execz .LBB71_2644
.LBB71_3087:
	v_add_f32_e32 v1, 0x42800000, v3
	v_and_b32_e32 v1, 0xff, v1
	v_cmp_ne_u32_e32 vcc, 0, v1
	s_andn2_b64 s[16:17], s[16:17], exec
	s_and_b64 s[20:21], vcc, exec
	s_or_b64 s[16:17], s[16:17], s[20:21]
	s_or_b64 exec, exec, s[18:19]
	v_mov_b32_e32 v7, 0
	s_and_saveexec_b64 s[18:19], s[16:17]
	s_cbranch_execnz .LBB71_2645
	s_branch .LBB71_2646
.LBB71_3088:
	s_andn2_saveexec_b64 s[20:21], s[20:21]
	s_cbranch_execz .LBB71_2750
.LBB71_3089:
	v_add_f32_e32 v1, 0x46000000, v5
	v_and_b32_e32 v1, 0xff, v1
	v_cmp_ne_u32_e32 vcc, 0, v1
	s_andn2_b64 s[18:19], s[18:19], exec
	s_and_b64 s[24:25], vcc, exec
	s_or_b64 s[18:19], s[18:19], s[24:25]
	s_or_b64 exec, exec, s[20:21]
	v_mov_b32_e32 v6, 0
	s_and_saveexec_b64 s[20:21], s[18:19]
	s_cbranch_execnz .LBB71_2751
	s_branch .LBB71_2752
.LBB71_3090:
	s_trap 2
	s_or_b64 s[4:5], s[4:5], exec
	s_cbranch_execz .LBB71_2798
	s_branch .LBB71_2799
.LBB71_3091:
	s_andn2_saveexec_b64 s[18:19], s[18:19]
	s_cbranch_execz .LBB71_2763
.LBB71_3092:
	v_add_f32_e32 v1, 0x42800000, v5
	v_and_b32_e32 v1, 0xff, v1
	v_cmp_ne_u32_e32 vcc, 0, v1
	s_andn2_b64 s[16:17], s[16:17], exec
	s_and_b64 s[20:21], vcc, exec
	s_or_b64 s[16:17], s[16:17], s[20:21]
	s_or_b64 exec, exec, s[18:19]
	v_mov_b32_e32 v6, 0
	s_and_saveexec_b64 s[18:19], s[16:17]
	s_cbranch_execnz .LBB71_2764
	s_branch .LBB71_2765
.LBB71_3093:
	s_andn2_saveexec_b64 s[20:21], s[20:21]
	s_cbranch_execz .LBB71_2869
.LBB71_3094:
	v_add_f32_e32 v3, 0x46000000, v4
	v_and_b32_e32 v3, 0xff, v3
	v_cmp_ne_u32_e32 vcc, 0, v3
	s_andn2_b64 s[18:19], s[18:19], exec
	s_and_b64 s[24:25], vcc, exec
	s_or_b64 s[18:19], s[18:19], s[24:25]
	s_or_b64 exec, exec, s[20:21]
	v_mov_b32_e32 v5, 0
	s_and_saveexec_b64 s[20:21], s[18:19]
	s_cbranch_execnz .LBB71_2870
	s_branch .LBB71_2871
.LBB71_3095:
	s_trap 2
	s_or_b64 s[4:5], s[4:5], exec
	s_cbranch_execz .LBB71_2917
	s_branch .LBB71_2918
.LBB71_3096:
	s_andn2_saveexec_b64 s[18:19], s[18:19]
	s_cbranch_execz .LBB71_2882
.LBB71_3097:
	v_add_f32_e32 v3, 0x42800000, v4
	v_and_b32_e32 v3, 0xff, v3
	v_cmp_ne_u32_e32 vcc, 0, v3
	s_andn2_b64 s[16:17], s[16:17], exec
	s_and_b64 s[20:21], vcc, exec
	s_or_b64 s[16:17], s[16:17], s[20:21]
	s_or_b64 exec, exec, s[18:19]
	v_mov_b32_e32 v5, 0
	s_and_saveexec_b64 s[18:19], s[16:17]
	s_cbranch_execnz .LBB71_2883
	s_branch .LBB71_2884
.LBB71_3098:
	s_andn2_saveexec_b64 s[16:17], s[16:17]
	s_cbranch_execz .LBB71_2989
.LBB71_3099:
	v_add_f32_e32 v2, 0x46000000, v3
	v_and_b32_e32 v2, 0xff, v2
	v_cmp_ne_u32_e32 vcc, 0, v2
	s_andn2_b64 s[8:9], s[8:9], exec
	s_and_b64 s[18:19], vcc, exec
	s_or_b64 s[8:9], s[8:9], s[18:19]
	s_or_b64 exec, exec, s[16:17]
	v_mov_b32_e32 v4, 0
	s_and_saveexec_b64 s[16:17], s[8:9]
	s_cbranch_execnz .LBB71_2990
	s_branch .LBB71_2991
.LBB71_3100:
	s_mov_b64 s[2:3], 0
	s_or_b64 s[4:5], s[4:5], exec
	s_trap 2
	s_branch .LBB71_3035
.LBB71_3101:
	s_andn2_saveexec_b64 s[8:9], s[8:9]
	s_cbranch_execz .LBB71_3001
.LBB71_3102:
	v_add_f32_e32 v2, 0x42800000, v3
	v_and_b32_e32 v2, 0xff, v2
	v_cmp_ne_u32_e32 vcc, 0, v2
	s_andn2_b64 s[6:7], s[6:7], exec
	s_and_b64 s[16:17], vcc, exec
	s_or_b64 s[6:7], s[6:7], s[16:17]
	s_or_b64 exec, exec, s[8:9]
	v_mov_b32_e32 v4, 0
	s_and_saveexec_b64 s[8:9], s[6:7]
	s_cbranch_execnz .LBB71_3002
	s_branch .LBB71_3003
	.section	.rodata,"a",@progbits
	.p2align	6, 0x0
	.amdhsa_kernel _ZN2at6native32elementwise_kernel_manual_unrollILi128ELi4EZNS0_15gpu_kernel_implINS0_13BinaryFunctorIssbNS0_12_GLOBAL__N_116CompareEqFunctorIsEEEEEEvRNS_18TensorIteratorBaseERKT_EUlibE0_EEviT1_
		.amdhsa_group_segment_fixed_size 0
		.amdhsa_private_segment_fixed_size 0
		.amdhsa_kernarg_size 432
		.amdhsa_user_sgpr_count 6
		.amdhsa_user_sgpr_private_segment_buffer 1
		.amdhsa_user_sgpr_dispatch_ptr 0
		.amdhsa_user_sgpr_queue_ptr 0
		.amdhsa_user_sgpr_kernarg_segment_ptr 1
		.amdhsa_user_sgpr_dispatch_id 0
		.amdhsa_user_sgpr_flat_scratch_init 0
		.amdhsa_user_sgpr_private_segment_size 0
		.amdhsa_uses_dynamic_stack 0
		.amdhsa_system_sgpr_private_segment_wavefront_offset 0
		.amdhsa_system_sgpr_workgroup_id_x 1
		.amdhsa_system_sgpr_workgroup_id_y 0
		.amdhsa_system_sgpr_workgroup_id_z 0
		.amdhsa_system_sgpr_workgroup_info 0
		.amdhsa_system_vgpr_workitem_id 0
		.amdhsa_next_free_vgpr 23
		.amdhsa_next_free_sgpr 80
		.amdhsa_reserve_vcc 1
		.amdhsa_reserve_flat_scratch 0
		.amdhsa_float_round_mode_32 0
		.amdhsa_float_round_mode_16_64 0
		.amdhsa_float_denorm_mode_32 3
		.amdhsa_float_denorm_mode_16_64 3
		.amdhsa_dx10_clamp 1
		.amdhsa_ieee_mode 1
		.amdhsa_fp16_overflow 0
		.amdhsa_exception_fp_ieee_invalid_op 0
		.amdhsa_exception_fp_denorm_src 0
		.amdhsa_exception_fp_ieee_div_zero 0
		.amdhsa_exception_fp_ieee_overflow 0
		.amdhsa_exception_fp_ieee_underflow 0
		.amdhsa_exception_fp_ieee_inexact 0
		.amdhsa_exception_int_div_zero 0
	.end_amdhsa_kernel
	.section	.text._ZN2at6native32elementwise_kernel_manual_unrollILi128ELi4EZNS0_15gpu_kernel_implINS0_13BinaryFunctorIssbNS0_12_GLOBAL__N_116CompareEqFunctorIsEEEEEEvRNS_18TensorIteratorBaseERKT_EUlibE0_EEviT1_,"axG",@progbits,_ZN2at6native32elementwise_kernel_manual_unrollILi128ELi4EZNS0_15gpu_kernel_implINS0_13BinaryFunctorIssbNS0_12_GLOBAL__N_116CompareEqFunctorIsEEEEEEvRNS_18TensorIteratorBaseERKT_EUlibE0_EEviT1_,comdat
.Lfunc_end71:
	.size	_ZN2at6native32elementwise_kernel_manual_unrollILi128ELi4EZNS0_15gpu_kernel_implINS0_13BinaryFunctorIssbNS0_12_GLOBAL__N_116CompareEqFunctorIsEEEEEEvRNS_18TensorIteratorBaseERKT_EUlibE0_EEviT1_, .Lfunc_end71-_ZN2at6native32elementwise_kernel_manual_unrollILi128ELi4EZNS0_15gpu_kernel_implINS0_13BinaryFunctorIssbNS0_12_GLOBAL__N_116CompareEqFunctorIsEEEEEEvRNS_18TensorIteratorBaseERKT_EUlibE0_EEviT1_
                                        ; -- End function
	.set _ZN2at6native32elementwise_kernel_manual_unrollILi128ELi4EZNS0_15gpu_kernel_implINS0_13BinaryFunctorIssbNS0_12_GLOBAL__N_116CompareEqFunctorIsEEEEEEvRNS_18TensorIteratorBaseERKT_EUlibE0_EEviT1_.num_vgpr, 23
	.set _ZN2at6native32elementwise_kernel_manual_unrollILi128ELi4EZNS0_15gpu_kernel_implINS0_13BinaryFunctorIssbNS0_12_GLOBAL__N_116CompareEqFunctorIsEEEEEEvRNS_18TensorIteratorBaseERKT_EUlibE0_EEviT1_.num_agpr, 0
	.set _ZN2at6native32elementwise_kernel_manual_unrollILi128ELi4EZNS0_15gpu_kernel_implINS0_13BinaryFunctorIssbNS0_12_GLOBAL__N_116CompareEqFunctorIsEEEEEEvRNS_18TensorIteratorBaseERKT_EUlibE0_EEviT1_.numbered_sgpr, 80
	.set _ZN2at6native32elementwise_kernel_manual_unrollILi128ELi4EZNS0_15gpu_kernel_implINS0_13BinaryFunctorIssbNS0_12_GLOBAL__N_116CompareEqFunctorIsEEEEEEvRNS_18TensorIteratorBaseERKT_EUlibE0_EEviT1_.num_named_barrier, 0
	.set _ZN2at6native32elementwise_kernel_manual_unrollILi128ELi4EZNS0_15gpu_kernel_implINS0_13BinaryFunctorIssbNS0_12_GLOBAL__N_116CompareEqFunctorIsEEEEEEvRNS_18TensorIteratorBaseERKT_EUlibE0_EEviT1_.private_seg_size, 0
	.set _ZN2at6native32elementwise_kernel_manual_unrollILi128ELi4EZNS0_15gpu_kernel_implINS0_13BinaryFunctorIssbNS0_12_GLOBAL__N_116CompareEqFunctorIsEEEEEEvRNS_18TensorIteratorBaseERKT_EUlibE0_EEviT1_.uses_vcc, 1
	.set _ZN2at6native32elementwise_kernel_manual_unrollILi128ELi4EZNS0_15gpu_kernel_implINS0_13BinaryFunctorIssbNS0_12_GLOBAL__N_116CompareEqFunctorIsEEEEEEvRNS_18TensorIteratorBaseERKT_EUlibE0_EEviT1_.uses_flat_scratch, 0
	.set _ZN2at6native32elementwise_kernel_manual_unrollILi128ELi4EZNS0_15gpu_kernel_implINS0_13BinaryFunctorIssbNS0_12_GLOBAL__N_116CompareEqFunctorIsEEEEEEvRNS_18TensorIteratorBaseERKT_EUlibE0_EEviT1_.has_dyn_sized_stack, 0
	.set _ZN2at6native32elementwise_kernel_manual_unrollILi128ELi4EZNS0_15gpu_kernel_implINS0_13BinaryFunctorIssbNS0_12_GLOBAL__N_116CompareEqFunctorIsEEEEEEvRNS_18TensorIteratorBaseERKT_EUlibE0_EEviT1_.has_recursion, 0
	.set _ZN2at6native32elementwise_kernel_manual_unrollILi128ELi4EZNS0_15gpu_kernel_implINS0_13BinaryFunctorIssbNS0_12_GLOBAL__N_116CompareEqFunctorIsEEEEEEvRNS_18TensorIteratorBaseERKT_EUlibE0_EEviT1_.has_indirect_call, 0
	.section	.AMDGPU.csdata,"",@progbits
; Kernel info:
; codeLenInByte = 47588
; TotalNumSgprs: 84
; NumVgprs: 23
; ScratchSize: 0
; MemoryBound: 1
; FloatMode: 240
; IeeeMode: 1
; LDSByteSize: 0 bytes/workgroup (compile time only)
; SGPRBlocks: 10
; VGPRBlocks: 5
; NumSGPRsForWavesPerEU: 84
; NumVGPRsForWavesPerEU: 23
; Occupancy: 9
; WaveLimiterHint : 1
; COMPUTE_PGM_RSRC2:SCRATCH_EN: 0
; COMPUTE_PGM_RSRC2:USER_SGPR: 6
; COMPUTE_PGM_RSRC2:TRAP_HANDLER: 0
; COMPUTE_PGM_RSRC2:TGID_X_EN: 1
; COMPUTE_PGM_RSRC2:TGID_Y_EN: 0
; COMPUTE_PGM_RSRC2:TGID_Z_EN: 0
; COMPUTE_PGM_RSRC2:TIDIG_COMP_CNT: 0
	.section	.text._ZN2at6native29vectorized_elementwise_kernelILi16ENS0_13AUnaryFunctorIssbNS0_12_GLOBAL__N_116CompareEqFunctorIsEEEESt5arrayIPcLm2EEEEviT0_T1_,"axG",@progbits,_ZN2at6native29vectorized_elementwise_kernelILi16ENS0_13AUnaryFunctorIssbNS0_12_GLOBAL__N_116CompareEqFunctorIsEEEESt5arrayIPcLm2EEEEviT0_T1_,comdat
	.globl	_ZN2at6native29vectorized_elementwise_kernelILi16ENS0_13AUnaryFunctorIssbNS0_12_GLOBAL__N_116CompareEqFunctorIsEEEESt5arrayIPcLm2EEEEviT0_T1_ ; -- Begin function _ZN2at6native29vectorized_elementwise_kernelILi16ENS0_13AUnaryFunctorIssbNS0_12_GLOBAL__N_116CompareEqFunctorIsEEEESt5arrayIPcLm2EEEEviT0_T1_
	.p2align	8
	.type	_ZN2at6native29vectorized_elementwise_kernelILi16ENS0_13AUnaryFunctorIssbNS0_12_GLOBAL__N_116CompareEqFunctorIsEEEESt5arrayIPcLm2EEEEviT0_T1_,@function
_ZN2at6native29vectorized_elementwise_kernelILi16ENS0_13AUnaryFunctorIssbNS0_12_GLOBAL__N_116CompareEqFunctorIsEEEESt5arrayIPcLm2EEEEviT0_T1_: ; @_ZN2at6native29vectorized_elementwise_kernelILi16ENS0_13AUnaryFunctorIssbNS0_12_GLOBAL__N_116CompareEqFunctorIsEEEESt5arrayIPcLm2EEEEviT0_T1_
; %bb.0:
	s_load_dwordx8 s[16:23], s[4:5], 0x0
	s_lshl_b32 s14, s6, 12
	s_mov_b64 s[0:1], -1
	s_waitcnt lgkmcnt(0)
	s_sub_i32 s16, s16, s14
	s_cmpk_gt_i32 s16, 0xfff
	s_cbranch_scc0 .LBB72_2
; %bb.1:
	s_ashr_i32 s15, s14, 31
	s_lshl_b64 s[0:1], s[14:15], 1
	s_add_u32 s0, s22, s0
	s_addc_u32 s1, s23, s1
	v_lshlrev_b32_e32 v9, 5, v0
	global_load_dwordx4 v[1:4], v9, s[0:1]
	global_load_dwordx4 v[5:8], v9, s[0:1] offset:16
	s_cmp_eq_u32 s17, 0
	s_cselect_b64 s[24:25], -1, 0
	v_lshlrev_b32_e32 v9, 4, v0
	s_waitcnt vmcnt(1)
	v_cmp_ne_u16_e64 s[0:1], s18, v2
	v_cmp_ne_u16_sdwa s[28:29], v2, s18 src0_sel:WORD_1 src1_sel:DWORD
	s_xor_b64 s[0:1], s[24:25], s[0:1]
	v_cmp_ne_u16_e64 s[2:3], s18, v3
	v_cmp_ne_u16_sdwa s[30:31], v3, s18 src0_sel:WORD_1 src1_sel:DWORD
	v_cndmask_b32_e64 v3, 0, 1, s[0:1]
	s_xor_b64 s[0:1], s[24:25], s[28:29]
	v_cmp_ne_u16_e64 s[4:5], s18, v4
	v_cmp_ne_u16_sdwa s[34:35], v4, s18 src0_sel:WORD_1 src1_sel:DWORD
	v_cndmask_b32_e64 v4, 0, 1, s[0:1]
	s_xor_b64 s[0:1], s[24:25], s[2:3]
	s_waitcnt vmcnt(0)
	v_cmp_ne_u16_e64 s[6:7], s18, v5
	v_cmp_ne_u16_sdwa s[36:37], v5, s18 src0_sel:WORD_1 src1_sel:DWORD
	v_cndmask_b32_e64 v5, 0, 1, s[0:1]
	s_xor_b64 s[0:1], s[24:25], s[30:31]
	v_cmp_ne_u16_e64 s[8:9], s18, v6
	v_cmp_ne_u16_sdwa s[38:39], v6, s18 src0_sel:WORD_1 src1_sel:DWORD
	v_cndmask_b32_e64 v6, 0, 1, s[0:1]
	s_xor_b64 s[0:1], s[24:25], s[4:5]
	;; [unrolled: 4-line block ×4, first 2 shown]
	v_cndmask_b32_e64 v10, 0, 1, s[0:1]
	s_xor_b64 s[0:1], s[24:25], s[36:37]
	v_cndmask_b32_e64 v11, 0, 1, s[0:1]
	s_xor_b64 s[0:1], s[24:25], s[8:9]
	v_cndmask_b32_e64 v12, 0, 1, s[0:1]
	s_xor_b64 s[0:1], s[24:25], s[38:39]
	v_cndmask_b32_e64 v13, 0, 1, s[0:1]
	s_xor_b64 s[0:1], s[24:25], s[10:11]
	v_cndmask_b32_e64 v14, 0, 1, s[0:1]
	s_xor_b64 s[0:1], s[24:25], s[40:41]
	v_cmp_ne_u16_sdwa s[26:27], v1, s18 src0_sel:WORD_1 src1_sel:DWORD
	v_cndmask_b32_e64 v15, 0, 1, s[0:1]
	s_xor_b64 s[0:1], s[24:25], s[12:13]
	v_cmp_ne_u16_e32 vcc, s18, v1
	s_xor_b64 s[26:27], s[24:25], s[26:27]
	v_cndmask_b32_e64 v16, 0, 1, s[0:1]
	s_xor_b64 s[0:1], s[24:25], s[42:43]
	s_xor_b64 s[44:45], s[24:25], vcc
	v_cndmask_b32_e64 v2, 0, 1, s[26:27]
	v_cndmask_b32_e64 v17, 0, 1, s[0:1]
	;; [unrolled: 1-line block ×3, first 2 shown]
	v_lshlrev_b16_e32 v15, 8, v15
	v_lshlrev_b16_e32 v17, 8, v17
	v_lshlrev_b16_e32 v11, 8, v11
	v_lshlrev_b16_e32 v13, 8, v13
	v_lshlrev_b16_e32 v6, 8, v6
	v_lshlrev_b16_e32 v8, 8, v8
	v_lshlrev_b16_e32 v2, 8, v2
	v_lshlrev_b16_e32 v4, 8, v4
	s_add_u32 s0, s20, s14
	v_or_b32_e32 v14, v14, v15
	v_or_b32_sdwa v15, v16, v17 dst_sel:WORD_1 dst_unused:UNUSED_PAD src0_sel:DWORD src1_sel:DWORD
	v_or_b32_e32 v10, v10, v11
	v_or_b32_sdwa v11, v12, v13 dst_sel:WORD_1 dst_unused:UNUSED_PAD src0_sel:DWORD src1_sel:DWORD
	v_or_b32_e32 v5, v5, v6
	v_or_b32_sdwa v6, v7, v8 dst_sel:WORD_1 dst_unused:UNUSED_PAD src0_sel:DWORD src1_sel:DWORD
	v_or_b32_e32 v1, v1, v2
	v_or_b32_sdwa v7, v3, v4 dst_sel:WORD_1 dst_unused:UNUSED_PAD src0_sel:DWORD src1_sel:DWORD
	s_addc_u32 s1, s21, s15
	v_or_b32_sdwa v4, v14, v15 dst_sel:DWORD dst_unused:UNUSED_PAD src0_sel:WORD_0 src1_sel:DWORD
	v_or_b32_sdwa v3, v10, v11 dst_sel:DWORD dst_unused:UNUSED_PAD src0_sel:WORD_0 src1_sel:DWORD
	;; [unrolled: 1-line block ×4, first 2 shown]
	global_store_dwordx4 v9, v[1:4], s[0:1]
	s_mov_b64 s[0:1], 0
.LBB72_2:
	s_andn2_b64 vcc, exec, s[0:1]
	s_cbranch_vccnz .LBB72_52
; %bb.3:
	v_cmp_gt_i32_e32 vcc, s16, v0
	v_mov_b32_e32 v3, 0
	v_or_b32_e32 v1, s14, v0
	v_mov_b32_e32 v2, 0
	v_mov_b32_e32 v4, v0
	s_and_saveexec_b64 s[2:3], vcc
	s_cbranch_execz .LBB72_5
; %bb.4:
	v_mov_b32_e32 v2, 0
	v_lshlrev_b64 v[4:5], 1, v[1:2]
	v_mov_b32_e32 v2, s23
	v_add_co_u32_e64 v4, s[0:1], s22, v4
	v_addc_co_u32_e64 v5, s[0:1], v2, v5, s[0:1]
	global_load_ushort v2, v[4:5], off
	v_or_b32_e32 v4, 0x100, v0
.LBB72_5:
	s_or_b64 exec, exec, s[2:3]
	v_cmp_gt_i32_e64 s[0:1], s16, v4
	s_and_saveexec_b64 s[2:3], s[0:1]
	s_cbranch_execz .LBB72_7
; %bb.6:
	v_add_u32_e32 v5, s14, v4
	v_mov_b32_e32 v6, 0
	v_lshlrev_b64 v[5:6], 1, v[5:6]
	v_mov_b32_e32 v3, s23
	v_add_co_u32_e64 v5, s[0:1], s22, v5
	v_addc_co_u32_e64 v6, s[0:1], v3, v6, s[0:1]
	global_load_ushort v3, v[5:6], off
	v_add_u32_e32 v4, 0x100, v4
.LBB72_7:
	s_or_b64 exec, exec, s[2:3]
	v_cmp_gt_i32_e64 s[0:1], s16, v4
	v_mov_b32_e32 v5, 0
	v_mov_b32_e32 v6, 0
	s_and_saveexec_b64 s[2:3], s[0:1]
	s_cbranch_execz .LBB72_9
; %bb.8:
	v_add_u32_e32 v6, s14, v4
	v_mov_b32_e32 v7, 0
	v_lshlrev_b64 v[6:7], 1, v[6:7]
	v_mov_b32_e32 v8, s23
	v_add_co_u32_e64 v6, s[0:1], s22, v6
	v_addc_co_u32_e64 v7, s[0:1], v8, v7, s[0:1]
	global_load_ushort v6, v[6:7], off
	v_add_u32_e32 v4, 0x100, v4
.LBB72_9:
	s_or_b64 exec, exec, s[2:3]
	v_cmp_gt_i32_e64 s[0:1], s16, v4
	s_and_saveexec_b64 s[2:3], s[0:1]
	s_cbranch_execz .LBB72_11
; %bb.10:
	v_add_u32_e32 v7, s14, v4
	v_mov_b32_e32 v8, 0
	v_lshlrev_b64 v[7:8], 1, v[7:8]
	v_mov_b32_e32 v5, s23
	v_add_co_u32_e64 v7, s[0:1], s22, v7
	v_addc_co_u32_e64 v8, s[0:1], v5, v8, s[0:1]
	global_load_ushort v5, v[7:8], off
	v_add_u32_e32 v4, 0x100, v4
.LBB72_11:
	s_or_b64 exec, exec, s[2:3]
	v_cmp_gt_i32_e64 s[0:1], s16, v4
	v_mov_b32_e32 v7, 0
	v_mov_b32_e32 v8, 0
	s_and_saveexec_b64 s[2:3], s[0:1]
	s_cbranch_execz .LBB72_13
; %bb.12:
	v_add_u32_e32 v8, s14, v4
	v_mov_b32_e32 v9, 0
	v_lshlrev_b64 v[8:9], 1, v[8:9]
	v_mov_b32_e32 v10, s23
	v_add_co_u32_e64 v8, s[0:1], s22, v8
	v_addc_co_u32_e64 v9, s[0:1], v10, v9, s[0:1]
	global_load_ushort v8, v[8:9], off
	v_add_u32_e32 v4, 0x100, v4
.LBB72_13:
	;; [unrolled: 30-line block ×7, first 2 shown]
	s_or_b64 exec, exec, s[2:3]
	v_cmp_gt_i32_e64 s[0:1], s16, v4
	s_and_saveexec_b64 s[2:3], s[0:1]
	s_cbranch_execz .LBB72_35
; %bb.34:
	v_add_u32_e32 v19, s14, v4
	v_mov_b32_e32 v20, 0
	v_lshlrev_b64 v[19:20], 1, v[19:20]
	v_mov_b32_e32 v4, s23
	v_add_co_u32_e64 v19, s[0:1], s22, v19
	v_addc_co_u32_e64 v20, s[0:1], v4, v20, s[0:1]
	global_load_ushort v17, v[19:20], off
.LBB72_35:
	s_or_b64 exec, exec, s[2:3]
	s_cmp_eq_u32 s17, 0
	s_cselect_b64 s[2:3], -1, 0
	s_waitcnt vmcnt(0)
	v_cmp_ne_u16_e64 s[0:1], s18, v2
	s_xor_b64 s[0:1], s[2:3], s[0:1]
	v_cndmask_b32_e64 v2, 0, 1, s[0:1]
	v_cmp_ne_u16_e64 s[0:1], s18, v3
	s_xor_b64 s[0:1], s[2:3], s[0:1]
	v_cndmask_b32_e64 v3, 0, 1, s[0:1]
	v_cndmask_b32_e32 v2, 0, v2, vcc
	v_lshlrev_b16_e32 v3, 8, v3
	v_or_b32_e32 v19, 0x100, v0
	v_or_b32_e32 v3, v2, v3
	v_and_b32_e32 v3, 0xffff, v3
	v_cmp_gt_i32_e64 s[0:1], s16, v19
	v_cndmask_b32_e64 v2, v2, v3, s[0:1]
	v_cmp_ne_u16_e64 s[0:1], s18, v6
	s_xor_b64 s[0:1], s[2:3], s[0:1]
	v_or_b32_e32 v3, 0x200, v0
	v_cndmask_b32_e64 v4, 0, 1, s[0:1]
	v_lshl_or_b32 v4, v4, 16, v2
	v_cmp_gt_i32_e64 s[0:1], s16, v3
	v_cndmask_b32_e64 v2, v2, v4, s[0:1]
	v_cmp_ne_u16_e64 s[0:1], s18, v5
	s_xor_b64 s[0:1], s[2:3], s[0:1]
	s_movk_i32 s5, 0xff
	v_cndmask_b32_e64 v5, 0, 1, s[0:1]
	v_and_b32_sdwa v3, v2, s5 dst_sel:DWORD dst_unused:UNUSED_PAD src0_sel:WORD_1 src1_sel:DWORD
	v_lshlrev_b16_e32 v5, 8, v5
	s_mov_b32 s4, 0xffff
	v_or_b32_e32 v4, 0x300, v0
	v_or_b32_sdwa v3, v3, v5 dst_sel:WORD_1 dst_unused:UNUSED_PAD src0_sel:DWORD src1_sel:DWORD
	v_and_or_b32 v3, v2, s4, v3
	v_cmp_gt_i32_e64 s[0:1], s16, v4
	v_cndmask_b32_e64 v5, v2, v3, s[0:1]
	v_cmp_ne_u16_e64 s[0:1], s18, v8
	s_xor_b64 s[0:1], s[2:3], s[0:1]
	v_cndmask_b32_e64 v2, 0, 1, s[0:1]
	v_or_b32_e32 v3, 0x400, v0
	v_and_b32_e32 v2, 0xffff, v2
	v_cmp_gt_i32_e64 s[0:1], s16, v3
	v_cndmask_b32_e64 v2, 0, v2, s[0:1]
	v_cmp_ne_u16_e64 s[0:1], s18, v7
	s_xor_b64 s[0:1], s[2:3], s[0:1]
	v_cndmask_b32_e64 v4, 0, 1, s[0:1]
	v_lshlrev_b16_e32 v4, 8, v4
	v_or_b32_e32 v3, 0x500, v0
	v_or_b32_sdwa v4, v2, v4 dst_sel:DWORD dst_unused:UNUSED_PAD src0_sel:BYTE_0 src1_sel:DWORD
	v_and_b32_e32 v4, 0xffff, v4
	v_cmp_gt_i32_e64 s[0:1], s16, v3
	v_cndmask_b32_e64 v2, v2, v4, s[0:1]
	v_cmp_ne_u16_e64 s[0:1], s18, v10
	s_movk_i32 s6, 0xff00
	s_xor_b64 s[0:1], s[2:3], s[0:1]
	v_and_b32_sdwa v3, v2, s6 dst_sel:DWORD dst_unused:UNUSED_PAD src0_sel:WORD_1 src1_sel:DWORD
	v_cndmask_b32_e64 v4, 0, 1, s[0:1]
	v_or_b32_sdwa v3, v4, v3 dst_sel:WORD_1 dst_unused:UNUSED_PAD src0_sel:DWORD src1_sel:DWORD
	v_or_b32_e32 v4, 0x600, v0
	v_and_or_b32 v3, v2, s4, v3
	v_cmp_gt_i32_e64 s[0:1], s16, v4
	v_cndmask_b32_e64 v2, v2, v3, s[0:1]
	v_cmp_ne_u16_e64 s[0:1], s18, v9
	s_xor_b64 s[0:1], s[2:3], s[0:1]
	v_cndmask_b32_e64 v6, 0, 1, s[0:1]
	v_and_b32_sdwa v3, v2, s5 dst_sel:DWORD dst_unused:UNUSED_PAD src0_sel:WORD_1 src1_sel:DWORD
	v_lshlrev_b16_e32 v6, 8, v6
	v_or_b32_e32 v4, 0x700, v0
	v_or_b32_sdwa v3, v3, v6 dst_sel:WORD_1 dst_unused:UNUSED_PAD src0_sel:DWORD src1_sel:DWORD
	v_and_or_b32 v3, v2, s4, v3
	v_cmp_gt_i32_e64 s[0:1], s16, v4
	v_cndmask_b32_e64 v4, v2, v3, s[0:1]
	v_cmp_ne_u16_e64 s[0:1], s18, v12
	v_or_b32_e32 v2, 0x800, v0
	s_xor_b64 s[0:1], s[2:3], s[0:1]
	v_cndmask_b32_e64 v3, 0, 1, s[0:1]
	v_cmp_gt_i32_e64 s[0:1], s16, v2
	v_cndmask_b32_e64 v2, 0, v3, s[0:1]
	v_cmp_ne_u16_e64 s[0:1], s18, v11
	s_xor_b64 s[0:1], s[2:3], s[0:1]
	v_cndmask_b32_e64 v6, 0, 1, s[0:1]
	v_lshlrev_b16_e32 v6, 8, v6
	v_or_b32_e32 v3, 0x900, v0
	v_or_b32_e32 v6, v2, v6
	v_and_b32_e32 v6, 0xffff, v6
	v_cmp_gt_i32_e64 s[0:1], s16, v3
	v_cndmask_b32_e64 v2, v2, v6, s[0:1]
	v_cmp_ne_u16_e64 s[0:1], s18, v14
	s_xor_b64 s[0:1], s[2:3], s[0:1]
	v_cndmask_b32_e64 v6, 0, 1, s[0:1]
	v_or_b32_e32 v3, 0xa00, v0
	v_lshlrev_b32_e32 v6, 16, v6
	s_movk_i32 s0, 0x1ff
	v_and_or_b32 v6, v2, s0, v6
	v_cmp_gt_i32_e64 s[0:1], s16, v3
	v_cndmask_b32_e64 v2, v2, v6, s[0:1]
	v_cmp_ne_u16_e64 s[0:1], s18, v13
	s_xor_b64 s[0:1], s[2:3], s[0:1]
	v_cndmask_b32_e64 v7, 0, 1, s[0:1]
	v_and_b32_sdwa v3, v2, s5 dst_sel:DWORD dst_unused:UNUSED_PAD src0_sel:WORD_1 src1_sel:DWORD
	v_lshlrev_b16_e32 v7, 8, v7
	v_or_b32_e32 v6, 0xb00, v0
	v_or_b32_sdwa v3, v3, v7 dst_sel:WORD_1 dst_unused:UNUSED_PAD src0_sel:DWORD src1_sel:DWORD
	v_and_or_b32 v3, v2, s4, v3
	v_cmp_gt_i32_e64 s[0:1], s16, v6
	v_cndmask_b32_e64 v3, v2, v3, s[0:1]
	v_cmp_ne_u16_e64 s[0:1], s18, v16
	v_or_b32_e32 v2, 0xc00, v0
	s_xor_b64 s[0:1], s[2:3], s[0:1]
	v_cndmask_b32_e64 v6, 0, 1, s[0:1]
	v_cmp_gt_i32_e64 s[0:1], s16, v2
	v_cndmask_b32_e64 v2, 0, v6, s[0:1]
	v_cmp_ne_u16_e64 s[0:1], s18, v15
	s_xor_b64 s[0:1], s[2:3], s[0:1]
	v_cndmask_b32_e64 v7, 0, 1, s[0:1]
	v_lshlrev_b16_e32 v7, 8, v7
	v_or_b32_e32 v6, 0xd00, v0
	v_or_b32_sdwa v7, v2, v7 dst_sel:DWORD dst_unused:UNUSED_PAD src0_sel:BYTE_0 src1_sel:DWORD
	v_and_b32_e32 v7, 0xffff, v7
	v_cmp_gt_i32_e64 s[0:1], s16, v6
	v_cndmask_b32_e64 v2, v2, v7, s[0:1]
	v_cmp_ne_u16_e64 s[0:1], s18, v18
	s_xor_b64 s[0:1], s[2:3], s[0:1]
	v_and_b32_sdwa v6, v2, s6 dst_sel:DWORD dst_unused:UNUSED_PAD src0_sel:WORD_1 src1_sel:DWORD
	v_cndmask_b32_e64 v7, 0, 1, s[0:1]
	v_or_b32_sdwa v6, v7, v6 dst_sel:WORD_1 dst_unused:UNUSED_PAD src0_sel:DWORD src1_sel:DWORD
	v_or_b32_e32 v7, 0xe00, v0
	v_and_or_b32 v6, v2, s4, v6
	v_cmp_gt_i32_e64 s[0:1], s16, v7
	v_cndmask_b32_e64 v2, v2, v6, s[0:1]
	v_cmp_ne_u16_e64 s[0:1], s18, v17
	s_xor_b64 s[0:1], s[2:3], s[0:1]
	v_cndmask_b32_e64 v8, 0, 1, s[0:1]
	v_and_b32_sdwa v6, v2, s5 dst_sel:DWORD dst_unused:UNUSED_PAD src0_sel:WORD_1 src1_sel:DWORD
	v_lshlrev_b16_e32 v8, 8, v8
	v_or_b32_e32 v7, 0xf00, v0
	v_or_b32_sdwa v6, v6, v8 dst_sel:WORD_1 dst_unused:UNUSED_PAD src0_sel:DWORD src1_sel:DWORD
	v_and_or_b32 v6, v2, s4, v6
	v_cmp_gt_i32_e64 s[0:1], s16, v7
	v_cndmask_b32_e64 v2, v2, v6, s[0:1]
	s_and_saveexec_b64 s[0:1], vcc
	s_cbranch_execnz .LBB72_53
; %bb.36:
	s_or_b64 exec, exec, s[0:1]
	v_cmp_gt_i32_e32 vcc, s16, v0
	s_and_saveexec_b64 s[0:1], vcc
	s_cbranch_execnz .LBB72_54
.LBB72_37:
	s_or_b64 exec, exec, s[0:1]
	v_cmp_gt_i32_e32 vcc, s16, v0
	s_and_saveexec_b64 s[0:1], vcc
	s_cbranch_execnz .LBB72_55
.LBB72_38:
	s_or_b64 exec, exec, s[0:1]
	v_cmp_gt_i32_e32 vcc, s16, v0
	s_and_saveexec_b64 s[0:1], vcc
	s_cbranch_execnz .LBB72_56
.LBB72_39:
	s_or_b64 exec, exec, s[0:1]
	v_cmp_gt_i32_e32 vcc, s16, v0
	s_and_saveexec_b64 s[0:1], vcc
	s_cbranch_execnz .LBB72_57
.LBB72_40:
	s_or_b64 exec, exec, s[0:1]
	v_cmp_gt_i32_e32 vcc, s16, v0
	s_and_saveexec_b64 s[0:1], vcc
	s_cbranch_execnz .LBB72_58
.LBB72_41:
	s_or_b64 exec, exec, s[0:1]
	v_cmp_gt_i32_e32 vcc, s16, v0
	s_and_saveexec_b64 s[0:1], vcc
	s_cbranch_execnz .LBB72_59
.LBB72_42:
	s_or_b64 exec, exec, s[0:1]
	v_cmp_gt_i32_e32 vcc, s16, v0
	s_and_saveexec_b64 s[0:1], vcc
	s_cbranch_execnz .LBB72_60
.LBB72_43:
	s_or_b64 exec, exec, s[0:1]
	v_cmp_gt_i32_e32 vcc, s16, v0
	s_and_saveexec_b64 s[0:1], vcc
	s_cbranch_execnz .LBB72_61
.LBB72_44:
	s_or_b64 exec, exec, s[0:1]
	v_cmp_gt_i32_e32 vcc, s16, v0
	s_and_saveexec_b64 s[0:1], vcc
	s_cbranch_execnz .LBB72_62
.LBB72_45:
	s_or_b64 exec, exec, s[0:1]
	v_cmp_gt_i32_e32 vcc, s16, v0
	s_and_saveexec_b64 s[0:1], vcc
	s_cbranch_execnz .LBB72_63
.LBB72_46:
	s_or_b64 exec, exec, s[0:1]
	v_cmp_gt_i32_e32 vcc, s16, v0
	s_and_saveexec_b64 s[0:1], vcc
	s_cbranch_execnz .LBB72_64
.LBB72_47:
	s_or_b64 exec, exec, s[0:1]
	v_cmp_gt_i32_e32 vcc, s16, v0
	s_and_saveexec_b64 s[0:1], vcc
	s_cbranch_execnz .LBB72_65
.LBB72_48:
	s_or_b64 exec, exec, s[0:1]
	v_cmp_gt_i32_e32 vcc, s16, v0
	s_and_saveexec_b64 s[0:1], vcc
	s_cbranch_execnz .LBB72_66
.LBB72_49:
	s_or_b64 exec, exec, s[0:1]
	v_cmp_gt_i32_e32 vcc, s16, v0
	s_and_saveexec_b64 s[0:1], vcc
	s_cbranch_execnz .LBB72_67
.LBB72_50:
	s_or_b64 exec, exec, s[0:1]
	v_cmp_gt_i32_e32 vcc, s16, v0
	s_and_saveexec_b64 s[0:1], vcc
	s_cbranch_execz .LBB72_52
.LBB72_51:
	v_lshrrev_b32_e32 v1, 24, v2
	v_add_u32_e32 v0, s14, v0
	global_store_byte v0, v1, s[20:21]
.LBB72_52:
	s_endpgm
.LBB72_53:
	v_mov_b32_e32 v0, v19
	global_store_byte v1, v5, s[20:21]
	s_or_b64 exec, exec, s[0:1]
	v_cmp_gt_i32_e32 vcc, s16, v0
	s_and_saveexec_b64 s[0:1], vcc
	s_cbranch_execz .LBB72_37
.LBB72_54:
	v_lshrrev_b32_e32 v1, 8, v5
	v_add_u32_e32 v6, s14, v0
	v_add_u32_e32 v0, 0x100, v0
	global_store_byte v6, v1, s[20:21]
	s_or_b64 exec, exec, s[0:1]
	v_cmp_gt_i32_e32 vcc, s16, v0
	s_and_saveexec_b64 s[0:1], vcc
	s_cbranch_execz .LBB72_38
.LBB72_55:
	v_add_u32_e32 v1, s14, v0
	v_add_u32_e32 v0, 0x100, v0
	global_store_byte_d16_hi v1, v5, s[20:21]
	s_or_b64 exec, exec, s[0:1]
	v_cmp_gt_i32_e32 vcc, s16, v0
	s_and_saveexec_b64 s[0:1], vcc
	s_cbranch_execz .LBB72_39
.LBB72_56:
	v_lshrrev_b32_e32 v1, 24, v5
	v_add_u32_e32 v5, s14, v0
	v_add_u32_e32 v0, 0x100, v0
	global_store_byte v5, v1, s[20:21]
	s_or_b64 exec, exec, s[0:1]
	v_cmp_gt_i32_e32 vcc, s16, v0
	s_and_saveexec_b64 s[0:1], vcc
	s_cbranch_execz .LBB72_40
.LBB72_57:
	v_add_u32_e32 v1, s14, v0
	v_add_u32_e32 v0, 0x100, v0
	global_store_byte v1, v4, s[20:21]
	s_or_b64 exec, exec, s[0:1]
	v_cmp_gt_i32_e32 vcc, s16, v0
	s_and_saveexec_b64 s[0:1], vcc
	s_cbranch_execz .LBB72_41
.LBB72_58:
	v_lshrrev_b32_e32 v1, 8, v4
	v_add_u32_e32 v5, s14, v0
	v_add_u32_e32 v0, 0x100, v0
	global_store_byte v5, v1, s[20:21]
	s_or_b64 exec, exec, s[0:1]
	v_cmp_gt_i32_e32 vcc, s16, v0
	s_and_saveexec_b64 s[0:1], vcc
	s_cbranch_execz .LBB72_42
.LBB72_59:
	v_add_u32_e32 v1, s14, v0
	v_add_u32_e32 v0, 0x100, v0
	global_store_byte_d16_hi v1, v4, s[20:21]
	s_or_b64 exec, exec, s[0:1]
	v_cmp_gt_i32_e32 vcc, s16, v0
	s_and_saveexec_b64 s[0:1], vcc
	s_cbranch_execz .LBB72_43
.LBB72_60:
	v_lshrrev_b32_e32 v1, 24, v4
	v_add_u32_e32 v4, s14, v0
	v_add_u32_e32 v0, 0x100, v0
	global_store_byte v4, v1, s[20:21]
	s_or_b64 exec, exec, s[0:1]
	v_cmp_gt_i32_e32 vcc, s16, v0
	s_and_saveexec_b64 s[0:1], vcc
	s_cbranch_execz .LBB72_44
.LBB72_61:
	v_add_u32_e32 v1, s14, v0
	v_add_u32_e32 v0, 0x100, v0
	global_store_byte v1, v3, s[20:21]
	s_or_b64 exec, exec, s[0:1]
	v_cmp_gt_i32_e32 vcc, s16, v0
	s_and_saveexec_b64 s[0:1], vcc
	s_cbranch_execz .LBB72_45
.LBB72_62:
	v_lshrrev_b32_e32 v1, 8, v3
	v_add_u32_e32 v4, s14, v0
	v_add_u32_e32 v0, 0x100, v0
	global_store_byte v4, v1, s[20:21]
	s_or_b64 exec, exec, s[0:1]
	v_cmp_gt_i32_e32 vcc, s16, v0
	s_and_saveexec_b64 s[0:1], vcc
	s_cbranch_execz .LBB72_46
.LBB72_63:
	v_add_u32_e32 v1, s14, v0
	v_add_u32_e32 v0, 0x100, v0
	global_store_byte_d16_hi v1, v3, s[20:21]
	s_or_b64 exec, exec, s[0:1]
	v_cmp_gt_i32_e32 vcc, s16, v0
	s_and_saveexec_b64 s[0:1], vcc
	s_cbranch_execz .LBB72_47
.LBB72_64:
	v_lshrrev_b32_e32 v1, 24, v3
	v_add_u32_e32 v3, s14, v0
	v_add_u32_e32 v0, 0x100, v0
	global_store_byte v3, v1, s[20:21]
	s_or_b64 exec, exec, s[0:1]
	v_cmp_gt_i32_e32 vcc, s16, v0
	s_and_saveexec_b64 s[0:1], vcc
	s_cbranch_execz .LBB72_48
.LBB72_65:
	v_add_u32_e32 v1, s14, v0
	v_add_u32_e32 v0, 0x100, v0
	global_store_byte v1, v2, s[20:21]
	s_or_b64 exec, exec, s[0:1]
	v_cmp_gt_i32_e32 vcc, s16, v0
	s_and_saveexec_b64 s[0:1], vcc
	s_cbranch_execz .LBB72_49
.LBB72_66:
	v_lshrrev_b32_e32 v1, 8, v2
	v_add_u32_e32 v3, s14, v0
	v_add_u32_e32 v0, 0x100, v0
	global_store_byte v3, v1, s[20:21]
	s_or_b64 exec, exec, s[0:1]
	v_cmp_gt_i32_e32 vcc, s16, v0
	s_and_saveexec_b64 s[0:1], vcc
	s_cbranch_execz .LBB72_50
.LBB72_67:
	v_add_u32_e32 v1, s14, v0
	v_add_u32_e32 v0, 0x100, v0
	global_store_byte_d16_hi v1, v2, s[20:21]
	s_or_b64 exec, exec, s[0:1]
	v_cmp_gt_i32_e32 vcc, s16, v0
	s_and_saveexec_b64 s[0:1], vcc
	s_cbranch_execnz .LBB72_51
	s_branch .LBB72_52
	.section	.rodata,"a",@progbits
	.p2align	6, 0x0
	.amdhsa_kernel _ZN2at6native29vectorized_elementwise_kernelILi16ENS0_13AUnaryFunctorIssbNS0_12_GLOBAL__N_116CompareEqFunctorIsEEEESt5arrayIPcLm2EEEEviT0_T1_
		.amdhsa_group_segment_fixed_size 0
		.amdhsa_private_segment_fixed_size 0
		.amdhsa_kernarg_size 32
		.amdhsa_user_sgpr_count 6
		.amdhsa_user_sgpr_private_segment_buffer 1
		.amdhsa_user_sgpr_dispatch_ptr 0
		.amdhsa_user_sgpr_queue_ptr 0
		.amdhsa_user_sgpr_kernarg_segment_ptr 1
		.amdhsa_user_sgpr_dispatch_id 0
		.amdhsa_user_sgpr_flat_scratch_init 0
		.amdhsa_user_sgpr_private_segment_size 0
		.amdhsa_uses_dynamic_stack 0
		.amdhsa_system_sgpr_private_segment_wavefront_offset 0
		.amdhsa_system_sgpr_workgroup_id_x 1
		.amdhsa_system_sgpr_workgroup_id_y 0
		.amdhsa_system_sgpr_workgroup_id_z 0
		.amdhsa_system_sgpr_workgroup_info 0
		.amdhsa_system_vgpr_workitem_id 0
		.amdhsa_next_free_vgpr 21
		.amdhsa_next_free_sgpr 46
		.amdhsa_reserve_vcc 1
		.amdhsa_reserve_flat_scratch 0
		.amdhsa_float_round_mode_32 0
		.amdhsa_float_round_mode_16_64 0
		.amdhsa_float_denorm_mode_32 3
		.amdhsa_float_denorm_mode_16_64 3
		.amdhsa_dx10_clamp 1
		.amdhsa_ieee_mode 1
		.amdhsa_fp16_overflow 0
		.amdhsa_exception_fp_ieee_invalid_op 0
		.amdhsa_exception_fp_denorm_src 0
		.amdhsa_exception_fp_ieee_div_zero 0
		.amdhsa_exception_fp_ieee_overflow 0
		.amdhsa_exception_fp_ieee_underflow 0
		.amdhsa_exception_fp_ieee_inexact 0
		.amdhsa_exception_int_div_zero 0
	.end_amdhsa_kernel
	.section	.text._ZN2at6native29vectorized_elementwise_kernelILi16ENS0_13AUnaryFunctorIssbNS0_12_GLOBAL__N_116CompareEqFunctorIsEEEESt5arrayIPcLm2EEEEviT0_T1_,"axG",@progbits,_ZN2at6native29vectorized_elementwise_kernelILi16ENS0_13AUnaryFunctorIssbNS0_12_GLOBAL__N_116CompareEqFunctorIsEEEESt5arrayIPcLm2EEEEviT0_T1_,comdat
.Lfunc_end72:
	.size	_ZN2at6native29vectorized_elementwise_kernelILi16ENS0_13AUnaryFunctorIssbNS0_12_GLOBAL__N_116CompareEqFunctorIsEEEESt5arrayIPcLm2EEEEviT0_T1_, .Lfunc_end72-_ZN2at6native29vectorized_elementwise_kernelILi16ENS0_13AUnaryFunctorIssbNS0_12_GLOBAL__N_116CompareEqFunctorIsEEEESt5arrayIPcLm2EEEEviT0_T1_
                                        ; -- End function
	.set _ZN2at6native29vectorized_elementwise_kernelILi16ENS0_13AUnaryFunctorIssbNS0_12_GLOBAL__N_116CompareEqFunctorIsEEEESt5arrayIPcLm2EEEEviT0_T1_.num_vgpr, 21
	.set _ZN2at6native29vectorized_elementwise_kernelILi16ENS0_13AUnaryFunctorIssbNS0_12_GLOBAL__N_116CompareEqFunctorIsEEEESt5arrayIPcLm2EEEEviT0_T1_.num_agpr, 0
	.set _ZN2at6native29vectorized_elementwise_kernelILi16ENS0_13AUnaryFunctorIssbNS0_12_GLOBAL__N_116CompareEqFunctorIsEEEESt5arrayIPcLm2EEEEviT0_T1_.numbered_sgpr, 46
	.set _ZN2at6native29vectorized_elementwise_kernelILi16ENS0_13AUnaryFunctorIssbNS0_12_GLOBAL__N_116CompareEqFunctorIsEEEESt5arrayIPcLm2EEEEviT0_T1_.num_named_barrier, 0
	.set _ZN2at6native29vectorized_elementwise_kernelILi16ENS0_13AUnaryFunctorIssbNS0_12_GLOBAL__N_116CompareEqFunctorIsEEEESt5arrayIPcLm2EEEEviT0_T1_.private_seg_size, 0
	.set _ZN2at6native29vectorized_elementwise_kernelILi16ENS0_13AUnaryFunctorIssbNS0_12_GLOBAL__N_116CompareEqFunctorIsEEEESt5arrayIPcLm2EEEEviT0_T1_.uses_vcc, 1
	.set _ZN2at6native29vectorized_elementwise_kernelILi16ENS0_13AUnaryFunctorIssbNS0_12_GLOBAL__N_116CompareEqFunctorIsEEEESt5arrayIPcLm2EEEEviT0_T1_.uses_flat_scratch, 0
	.set _ZN2at6native29vectorized_elementwise_kernelILi16ENS0_13AUnaryFunctorIssbNS0_12_GLOBAL__N_116CompareEqFunctorIsEEEESt5arrayIPcLm2EEEEviT0_T1_.has_dyn_sized_stack, 0
	.set _ZN2at6native29vectorized_elementwise_kernelILi16ENS0_13AUnaryFunctorIssbNS0_12_GLOBAL__N_116CompareEqFunctorIsEEEESt5arrayIPcLm2EEEEviT0_T1_.has_recursion, 0
	.set _ZN2at6native29vectorized_elementwise_kernelILi16ENS0_13AUnaryFunctorIssbNS0_12_GLOBAL__N_116CompareEqFunctorIsEEEESt5arrayIPcLm2EEEEviT0_T1_.has_indirect_call, 0
	.section	.AMDGPU.csdata,"",@progbits
; Kernel info:
; codeLenInByte = 3560
; TotalNumSgprs: 50
; NumVgprs: 21
; ScratchSize: 0
; MemoryBound: 0
; FloatMode: 240
; IeeeMode: 1
; LDSByteSize: 0 bytes/workgroup (compile time only)
; SGPRBlocks: 6
; VGPRBlocks: 5
; NumSGPRsForWavesPerEU: 50
; NumVGPRsForWavesPerEU: 21
; Occupancy: 10
; WaveLimiterHint : 0
; COMPUTE_PGM_RSRC2:SCRATCH_EN: 0
; COMPUTE_PGM_RSRC2:USER_SGPR: 6
; COMPUTE_PGM_RSRC2:TRAP_HANDLER: 0
; COMPUTE_PGM_RSRC2:TGID_X_EN: 1
; COMPUTE_PGM_RSRC2:TGID_Y_EN: 0
; COMPUTE_PGM_RSRC2:TGID_Z_EN: 0
; COMPUTE_PGM_RSRC2:TIDIG_COMP_CNT: 0
	.section	.text._ZN2at6native29vectorized_elementwise_kernelILi8ENS0_13AUnaryFunctorIssbNS0_12_GLOBAL__N_116CompareEqFunctorIsEEEESt5arrayIPcLm2EEEEviT0_T1_,"axG",@progbits,_ZN2at6native29vectorized_elementwise_kernelILi8ENS0_13AUnaryFunctorIssbNS0_12_GLOBAL__N_116CompareEqFunctorIsEEEESt5arrayIPcLm2EEEEviT0_T1_,comdat
	.globl	_ZN2at6native29vectorized_elementwise_kernelILi8ENS0_13AUnaryFunctorIssbNS0_12_GLOBAL__N_116CompareEqFunctorIsEEEESt5arrayIPcLm2EEEEviT0_T1_ ; -- Begin function _ZN2at6native29vectorized_elementwise_kernelILi8ENS0_13AUnaryFunctorIssbNS0_12_GLOBAL__N_116CompareEqFunctorIsEEEESt5arrayIPcLm2EEEEviT0_T1_
	.p2align	8
	.type	_ZN2at6native29vectorized_elementwise_kernelILi8ENS0_13AUnaryFunctorIssbNS0_12_GLOBAL__N_116CompareEqFunctorIsEEEESt5arrayIPcLm2EEEEviT0_T1_,@function
_ZN2at6native29vectorized_elementwise_kernelILi8ENS0_13AUnaryFunctorIssbNS0_12_GLOBAL__N_116CompareEqFunctorIsEEEESt5arrayIPcLm2EEEEviT0_T1_: ; @_ZN2at6native29vectorized_elementwise_kernelILi8ENS0_13AUnaryFunctorIssbNS0_12_GLOBAL__N_116CompareEqFunctorIsEEEESt5arrayIPcLm2EEEEviT0_T1_
; %bb.0:
	s_load_dwordx8 s[8:15], s[4:5], 0x0
	s_lshl_b32 s6, s6, 12
	s_mov_b64 s[0:1], -1
	s_waitcnt lgkmcnt(0)
	s_sub_i32 s8, s8, s6
	s_cmpk_gt_i32 s8, 0xfff
	s_cbranch_scc0 .LBB73_2
; %bb.1:
	s_ashr_i32 s7, s6, 31
	s_lshl_b64 s[0:1], s[6:7], 1
	s_add_u32 s0, s14, s0
	s_addc_u32 s1, s15, s1
	v_lshlrev_b32_e32 v5, 4, v0
	global_load_dwordx4 v[1:4], v5, s[0:1]
	v_mov_b32_e32 v6, s1
	v_add_co_u32_e32 v5, vcc, s0, v5
	v_addc_co_u32_e32 v6, vcc, 0, v6, vcc
	v_add_co_u32_e32 v5, vcc, 0x1000, v5
	v_addc_co_u32_e32 v6, vcc, 0, v6, vcc
	global_load_dwordx4 v[5:8], v[5:6], off
	s_cmp_eq_u32 s9, 0
	s_cselect_b64 s[16:17], -1, 0
	v_lshlrev_b32_e32 v9, 3, v0
	s_waitcnt vmcnt(1)
	v_cmp_ne_u16_e64 s[0:1], s10, v2
	v_cmp_ne_u16_sdwa s[20:21], v2, s10 src0_sel:WORD_1 src1_sel:DWORD
	s_xor_b64 s[0:1], s[16:17], s[0:1]
	v_cmp_ne_u16_e64 s[2:3], s10, v3
	v_cmp_ne_u16_sdwa s[22:23], v3, s10 src0_sel:WORD_1 src1_sel:DWORD
	v_cndmask_b32_e64 v3, 0, 1, s[0:1]
	s_xor_b64 s[0:1], s[16:17], s[20:21]
	v_cmp_ne_u16_e64 s[4:5], s10, v4
	v_cmp_ne_u16_sdwa s[24:25], v4, s10 src0_sel:WORD_1 src1_sel:DWORD
	v_cndmask_b32_e64 v4, 0, 1, s[0:1]
	s_xor_b64 s[0:1], s[16:17], s[2:3]
	v_cndmask_b32_e64 v10, 0, 1, s[0:1]
	s_xor_b64 s[0:1], s[16:17], s[22:23]
	;; [unrolled: 2-line block ×4, first 2 shown]
	v_cndmask_b32_e64 v13, 0, 1, s[0:1]
	s_waitcnt vmcnt(0)
	v_cmp_ne_u16_e64 s[0:1], s10, v6
	v_cmp_ne_u16_sdwa s[18:19], v1, s10 src0_sel:WORD_1 src1_sel:DWORD
	v_cmp_ne_u16_sdwa s[20:21], v6, s10 src0_sel:WORD_1 src1_sel:DWORD
	s_xor_b64 s[0:1], s[16:17], s[0:1]
	v_cmp_ne_u16_e32 vcc, s10, v1
	s_xor_b64 s[18:19], s[16:17], s[18:19]
	v_lshlrev_b16_e32 v11, 8, v11
	v_cmp_ne_u16_e64 s[2:3], s10, v7
	v_cmp_ne_u16_e64 s[4:5], s10, v8
	v_cmp_ne_u16_sdwa s[24:25], v8, s10 src0_sel:WORD_1 src1_sel:DWORD
	v_cndmask_b32_e64 v8, 0, 1, s[0:1]
	s_xor_b64 s[0:1], s[16:17], s[20:21]
	s_xor_b64 s[26:27], s[16:17], vcc
	v_cndmask_b32_e64 v2, 0, 1, s[18:19]
	v_cmp_ne_u16_e32 vcc, s10, v5
	v_cmp_ne_u16_sdwa s[18:19], v5, s10 src0_sel:WORD_1 src1_sel:DWORD
	v_cmp_ne_u16_sdwa s[22:23], v7, s10 src0_sel:WORD_1 src1_sel:DWORD
	v_or_b32_e32 v5, v10, v11
	v_cndmask_b32_e64 v10, 0, 1, s[0:1]
	s_xor_b64 s[0:1], s[16:17], s[2:3]
	v_lshlrev_b16_e32 v13, 8, v13
	v_cndmask_b32_e64 v11, 0, 1, s[0:1]
	s_xor_b64 s[0:1], s[16:17], s[22:23]
	v_or_b32_sdwa v6, v12, v13 dst_sel:WORD_1 dst_unused:UNUSED_PAD src0_sel:DWORD src1_sel:DWORD
	v_cndmask_b32_e64 v12, 0, 1, s[0:1]
	s_xor_b64 s[0:1], s[16:17], s[4:5]
	v_cndmask_b32_e64 v1, 0, 1, s[26:27]
	v_lshlrev_b16_e32 v2, 8, v2
	v_lshlrev_b16_e32 v4, 8, v4
	s_xor_b64 s[18:19], s[16:17], s[18:19]
	v_cndmask_b32_e64 v13, 0, 1, s[0:1]
	s_xor_b64 s[0:1], s[16:17], s[24:25]
	v_or_b32_e32 v1, v1, v2
	v_or_b32_sdwa v3, v3, v4 dst_sel:WORD_1 dst_unused:UNUSED_PAD src0_sel:DWORD src1_sel:DWORD
	s_xor_b64 s[26:27], s[16:17], vcc
	v_cndmask_b32_e64 v7, 0, 1, s[18:19]
	v_cndmask_b32_e64 v14, 0, 1, s[0:1]
	;; [unrolled: 1-line block ×3, first 2 shown]
	v_or_b32_sdwa v2, v5, v6 dst_sel:DWORD dst_unused:UNUSED_PAD src0_sel:WORD_0 src1_sel:DWORD
	v_or_b32_sdwa v1, v1, v3 dst_sel:DWORD dst_unused:UNUSED_PAD src0_sel:WORD_0 src1_sel:DWORD
	v_lshlrev_b16_e32 v3, 8, v12
	v_lshlrev_b16_e32 v5, 8, v14
	;; [unrolled: 1-line block ×4, first 2 shown]
	s_add_u32 s0, s12, s6
	v_or_b32_e32 v3, v11, v3
	v_or_b32_sdwa v5, v13, v5 dst_sel:WORD_1 dst_unused:UNUSED_PAD src0_sel:DWORD src1_sel:DWORD
	v_or_b32_e32 v6, v4, v6
	v_or_b32_sdwa v7, v8, v7 dst_sel:WORD_1 dst_unused:UNUSED_PAD src0_sel:DWORD src1_sel:DWORD
	s_addc_u32 s1, s13, s7
	v_or_b32_sdwa v4, v3, v5 dst_sel:DWORD dst_unused:UNUSED_PAD src0_sel:WORD_0 src1_sel:DWORD
	v_or_b32_sdwa v3, v6, v7 dst_sel:DWORD dst_unused:UNUSED_PAD src0_sel:WORD_0 src1_sel:DWORD
	global_store_dwordx2 v9, v[1:2], s[0:1]
	global_store_dwordx2 v9, v[3:4], s[0:1] offset:2048
	s_mov_b64 s[0:1], 0
.LBB73_2:
	s_andn2_b64 vcc, exec, s[0:1]
	s_cbranch_vccnz .LBB73_52
; %bb.3:
	v_cmp_gt_i32_e32 vcc, s8, v0
	v_mov_b32_e32 v3, 0
	v_or_b32_e32 v1, s6, v0
	v_mov_b32_e32 v2, 0
	v_mov_b32_e32 v4, v0
	s_and_saveexec_b64 s[2:3], vcc
	s_cbranch_execz .LBB73_5
; %bb.4:
	v_mov_b32_e32 v2, 0
	v_lshlrev_b64 v[4:5], 1, v[1:2]
	v_mov_b32_e32 v2, s15
	v_add_co_u32_e64 v4, s[0:1], s14, v4
	v_addc_co_u32_e64 v5, s[0:1], v2, v5, s[0:1]
	global_load_ushort v2, v[4:5], off
	v_or_b32_e32 v4, 0x100, v0
.LBB73_5:
	s_or_b64 exec, exec, s[2:3]
	v_cmp_gt_i32_e64 s[0:1], s8, v4
	s_and_saveexec_b64 s[2:3], s[0:1]
	s_cbranch_execz .LBB73_7
; %bb.6:
	v_add_u32_e32 v5, s6, v4
	v_mov_b32_e32 v6, 0
	v_lshlrev_b64 v[5:6], 1, v[5:6]
	v_mov_b32_e32 v3, s15
	v_add_co_u32_e64 v5, s[0:1], s14, v5
	v_addc_co_u32_e64 v6, s[0:1], v3, v6, s[0:1]
	global_load_ushort v3, v[5:6], off
	v_add_u32_e32 v4, 0x100, v4
.LBB73_7:
	s_or_b64 exec, exec, s[2:3]
	v_cmp_gt_i32_e64 s[0:1], s8, v4
	v_mov_b32_e32 v5, 0
	v_mov_b32_e32 v6, 0
	s_and_saveexec_b64 s[2:3], s[0:1]
	s_cbranch_execz .LBB73_9
; %bb.8:
	v_add_u32_e32 v6, s6, v4
	v_mov_b32_e32 v7, 0
	v_lshlrev_b64 v[6:7], 1, v[6:7]
	v_mov_b32_e32 v8, s15
	v_add_co_u32_e64 v6, s[0:1], s14, v6
	v_addc_co_u32_e64 v7, s[0:1], v8, v7, s[0:1]
	global_load_ushort v6, v[6:7], off
	v_add_u32_e32 v4, 0x100, v4
.LBB73_9:
	s_or_b64 exec, exec, s[2:3]
	v_cmp_gt_i32_e64 s[0:1], s8, v4
	s_and_saveexec_b64 s[2:3], s[0:1]
	s_cbranch_execz .LBB73_11
; %bb.10:
	v_add_u32_e32 v7, s6, v4
	v_mov_b32_e32 v8, 0
	v_lshlrev_b64 v[7:8], 1, v[7:8]
	v_mov_b32_e32 v5, s15
	v_add_co_u32_e64 v7, s[0:1], s14, v7
	v_addc_co_u32_e64 v8, s[0:1], v5, v8, s[0:1]
	global_load_ushort v5, v[7:8], off
	v_add_u32_e32 v4, 0x100, v4
.LBB73_11:
	s_or_b64 exec, exec, s[2:3]
	v_cmp_gt_i32_e64 s[0:1], s8, v4
	v_mov_b32_e32 v7, 0
	v_mov_b32_e32 v8, 0
	s_and_saveexec_b64 s[2:3], s[0:1]
	s_cbranch_execz .LBB73_13
; %bb.12:
	v_add_u32_e32 v8, s6, v4
	v_mov_b32_e32 v9, 0
	v_lshlrev_b64 v[8:9], 1, v[8:9]
	v_mov_b32_e32 v10, s15
	v_add_co_u32_e64 v8, s[0:1], s14, v8
	v_addc_co_u32_e64 v9, s[0:1], v10, v9, s[0:1]
	global_load_ushort v8, v[8:9], off
	v_add_u32_e32 v4, 0x100, v4
.LBB73_13:
	;; [unrolled: 30-line block ×7, first 2 shown]
	s_or_b64 exec, exec, s[2:3]
	v_cmp_gt_i32_e64 s[0:1], s8, v4
	s_and_saveexec_b64 s[2:3], s[0:1]
	s_cbranch_execz .LBB73_35
; %bb.34:
	v_add_u32_e32 v19, s6, v4
	v_mov_b32_e32 v20, 0
	v_lshlrev_b64 v[19:20], 1, v[19:20]
	v_mov_b32_e32 v4, s15
	v_add_co_u32_e64 v19, s[0:1], s14, v19
	v_addc_co_u32_e64 v20, s[0:1], v4, v20, s[0:1]
	global_load_ushort v17, v[19:20], off
.LBB73_35:
	s_or_b64 exec, exec, s[2:3]
	s_cmp_eq_u32 s9, 0
	s_cselect_b64 s[2:3], -1, 0
	s_waitcnt vmcnt(0)
	v_cmp_ne_u16_e64 s[0:1], s10, v2
	s_xor_b64 s[0:1], s[2:3], s[0:1]
	v_cndmask_b32_e64 v2, 0, 1, s[0:1]
	v_cmp_ne_u16_e64 s[0:1], s10, v3
	s_xor_b64 s[0:1], s[2:3], s[0:1]
	v_cndmask_b32_e64 v3, 0, 1, s[0:1]
	v_cndmask_b32_e32 v2, 0, v2, vcc
	v_lshlrev_b16_e32 v3, 8, v3
	v_or_b32_e32 v19, 0x100, v0
	v_or_b32_e32 v3, v2, v3
	v_and_b32_e32 v3, 0xffff, v3
	v_cmp_gt_i32_e64 s[0:1], s8, v19
	v_cndmask_b32_e64 v2, v2, v3, s[0:1]
	v_cmp_ne_u16_e64 s[0:1], s10, v6
	s_xor_b64 s[0:1], s[2:3], s[0:1]
	v_or_b32_e32 v3, 0x200, v0
	v_cndmask_b32_e64 v4, 0, 1, s[0:1]
	v_lshl_or_b32 v4, v4, 16, v2
	v_cmp_gt_i32_e64 s[0:1], s8, v3
	v_cndmask_b32_e64 v2, v2, v4, s[0:1]
	v_cmp_ne_u16_e64 s[0:1], s10, v5
	s_xor_b64 s[0:1], s[2:3], s[0:1]
	s_movk_i32 s5, 0xff
	v_cndmask_b32_e64 v5, 0, 1, s[0:1]
	v_and_b32_sdwa v3, v2, s5 dst_sel:DWORD dst_unused:UNUSED_PAD src0_sel:WORD_1 src1_sel:DWORD
	v_lshlrev_b16_e32 v5, 8, v5
	s_mov_b32 s4, 0xffff
	v_or_b32_e32 v4, 0x300, v0
	v_or_b32_sdwa v3, v3, v5 dst_sel:WORD_1 dst_unused:UNUSED_PAD src0_sel:DWORD src1_sel:DWORD
	v_and_or_b32 v3, v2, s4, v3
	v_cmp_gt_i32_e64 s[0:1], s8, v4
	v_cndmask_b32_e64 v5, v2, v3, s[0:1]
	v_cmp_ne_u16_e64 s[0:1], s10, v8
	s_xor_b64 s[0:1], s[2:3], s[0:1]
	v_cndmask_b32_e64 v2, 0, 1, s[0:1]
	v_or_b32_e32 v3, 0x400, v0
	v_and_b32_e32 v2, 0xffff, v2
	v_cmp_gt_i32_e64 s[0:1], s8, v3
	v_cndmask_b32_e64 v2, 0, v2, s[0:1]
	v_cmp_ne_u16_e64 s[0:1], s10, v7
	s_xor_b64 s[0:1], s[2:3], s[0:1]
	v_cndmask_b32_e64 v4, 0, 1, s[0:1]
	v_lshlrev_b16_e32 v4, 8, v4
	v_or_b32_e32 v3, 0x500, v0
	v_or_b32_sdwa v4, v2, v4 dst_sel:DWORD dst_unused:UNUSED_PAD src0_sel:BYTE_0 src1_sel:DWORD
	v_and_b32_e32 v4, 0xffff, v4
	v_cmp_gt_i32_e64 s[0:1], s8, v3
	v_cndmask_b32_e64 v2, v2, v4, s[0:1]
	v_cmp_ne_u16_e64 s[0:1], s10, v10
	s_movk_i32 s7, 0xff00
	s_xor_b64 s[0:1], s[2:3], s[0:1]
	v_and_b32_sdwa v3, v2, s7 dst_sel:DWORD dst_unused:UNUSED_PAD src0_sel:WORD_1 src1_sel:DWORD
	v_cndmask_b32_e64 v4, 0, 1, s[0:1]
	v_or_b32_sdwa v3, v4, v3 dst_sel:WORD_1 dst_unused:UNUSED_PAD src0_sel:DWORD src1_sel:DWORD
	v_or_b32_e32 v4, 0x600, v0
	v_and_or_b32 v3, v2, s4, v3
	v_cmp_gt_i32_e64 s[0:1], s8, v4
	v_cndmask_b32_e64 v2, v2, v3, s[0:1]
	v_cmp_ne_u16_e64 s[0:1], s10, v9
	s_xor_b64 s[0:1], s[2:3], s[0:1]
	v_cndmask_b32_e64 v6, 0, 1, s[0:1]
	v_and_b32_sdwa v3, v2, s5 dst_sel:DWORD dst_unused:UNUSED_PAD src0_sel:WORD_1 src1_sel:DWORD
	v_lshlrev_b16_e32 v6, 8, v6
	v_or_b32_e32 v4, 0x700, v0
	v_or_b32_sdwa v3, v3, v6 dst_sel:WORD_1 dst_unused:UNUSED_PAD src0_sel:DWORD src1_sel:DWORD
	v_and_or_b32 v3, v2, s4, v3
	v_cmp_gt_i32_e64 s[0:1], s8, v4
	v_cndmask_b32_e64 v4, v2, v3, s[0:1]
	v_cmp_ne_u16_e64 s[0:1], s10, v12
	v_or_b32_e32 v2, 0x800, v0
	s_xor_b64 s[0:1], s[2:3], s[0:1]
	v_cndmask_b32_e64 v3, 0, 1, s[0:1]
	v_cmp_gt_i32_e64 s[0:1], s8, v2
	v_cndmask_b32_e64 v2, 0, v3, s[0:1]
	v_cmp_ne_u16_e64 s[0:1], s10, v11
	s_xor_b64 s[0:1], s[2:3], s[0:1]
	v_cndmask_b32_e64 v6, 0, 1, s[0:1]
	v_lshlrev_b16_e32 v6, 8, v6
	v_or_b32_e32 v3, 0x900, v0
	v_or_b32_e32 v6, v2, v6
	v_and_b32_e32 v6, 0xffff, v6
	v_cmp_gt_i32_e64 s[0:1], s8, v3
	v_cndmask_b32_e64 v2, v2, v6, s[0:1]
	v_cmp_ne_u16_e64 s[0:1], s10, v14
	s_xor_b64 s[0:1], s[2:3], s[0:1]
	v_cndmask_b32_e64 v6, 0, 1, s[0:1]
	v_or_b32_e32 v3, 0xa00, v0
	v_lshlrev_b32_e32 v6, 16, v6
	s_movk_i32 s0, 0x1ff
	v_and_or_b32 v6, v2, s0, v6
	v_cmp_gt_i32_e64 s[0:1], s8, v3
	v_cndmask_b32_e64 v2, v2, v6, s[0:1]
	v_cmp_ne_u16_e64 s[0:1], s10, v13
	s_xor_b64 s[0:1], s[2:3], s[0:1]
	v_cndmask_b32_e64 v7, 0, 1, s[0:1]
	v_and_b32_sdwa v3, v2, s5 dst_sel:DWORD dst_unused:UNUSED_PAD src0_sel:WORD_1 src1_sel:DWORD
	v_lshlrev_b16_e32 v7, 8, v7
	v_or_b32_e32 v6, 0xb00, v0
	v_or_b32_sdwa v3, v3, v7 dst_sel:WORD_1 dst_unused:UNUSED_PAD src0_sel:DWORD src1_sel:DWORD
	v_and_or_b32 v3, v2, s4, v3
	v_cmp_gt_i32_e64 s[0:1], s8, v6
	v_cndmask_b32_e64 v3, v2, v3, s[0:1]
	v_cmp_ne_u16_e64 s[0:1], s10, v16
	v_or_b32_e32 v2, 0xc00, v0
	s_xor_b64 s[0:1], s[2:3], s[0:1]
	v_cndmask_b32_e64 v6, 0, 1, s[0:1]
	v_cmp_gt_i32_e64 s[0:1], s8, v2
	v_cndmask_b32_e64 v2, 0, v6, s[0:1]
	v_cmp_ne_u16_e64 s[0:1], s10, v15
	s_xor_b64 s[0:1], s[2:3], s[0:1]
	v_cndmask_b32_e64 v7, 0, 1, s[0:1]
	v_lshlrev_b16_e32 v7, 8, v7
	v_or_b32_e32 v6, 0xd00, v0
	v_or_b32_sdwa v7, v2, v7 dst_sel:DWORD dst_unused:UNUSED_PAD src0_sel:BYTE_0 src1_sel:DWORD
	v_and_b32_e32 v7, 0xffff, v7
	v_cmp_gt_i32_e64 s[0:1], s8, v6
	v_cndmask_b32_e64 v2, v2, v7, s[0:1]
	v_cmp_ne_u16_e64 s[0:1], s10, v18
	s_xor_b64 s[0:1], s[2:3], s[0:1]
	v_and_b32_sdwa v6, v2, s7 dst_sel:DWORD dst_unused:UNUSED_PAD src0_sel:WORD_1 src1_sel:DWORD
	v_cndmask_b32_e64 v7, 0, 1, s[0:1]
	v_or_b32_sdwa v6, v7, v6 dst_sel:WORD_1 dst_unused:UNUSED_PAD src0_sel:DWORD src1_sel:DWORD
	v_or_b32_e32 v7, 0xe00, v0
	v_and_or_b32 v6, v2, s4, v6
	v_cmp_gt_i32_e64 s[0:1], s8, v7
	v_cndmask_b32_e64 v2, v2, v6, s[0:1]
	v_cmp_ne_u16_e64 s[0:1], s10, v17
	s_xor_b64 s[0:1], s[2:3], s[0:1]
	v_cndmask_b32_e64 v8, 0, 1, s[0:1]
	v_and_b32_sdwa v6, v2, s5 dst_sel:DWORD dst_unused:UNUSED_PAD src0_sel:WORD_1 src1_sel:DWORD
	v_lshlrev_b16_e32 v8, 8, v8
	v_or_b32_e32 v7, 0xf00, v0
	v_or_b32_sdwa v6, v6, v8 dst_sel:WORD_1 dst_unused:UNUSED_PAD src0_sel:DWORD src1_sel:DWORD
	v_and_or_b32 v6, v2, s4, v6
	v_cmp_gt_i32_e64 s[0:1], s8, v7
	v_cndmask_b32_e64 v2, v2, v6, s[0:1]
	s_and_saveexec_b64 s[0:1], vcc
	s_cbranch_execnz .LBB73_53
; %bb.36:
	s_or_b64 exec, exec, s[0:1]
	v_cmp_gt_i32_e32 vcc, s8, v0
	s_and_saveexec_b64 s[0:1], vcc
	s_cbranch_execnz .LBB73_54
.LBB73_37:
	s_or_b64 exec, exec, s[0:1]
	v_cmp_gt_i32_e32 vcc, s8, v0
	s_and_saveexec_b64 s[0:1], vcc
	s_cbranch_execnz .LBB73_55
.LBB73_38:
	s_or_b64 exec, exec, s[0:1]
	v_cmp_gt_i32_e32 vcc, s8, v0
	s_and_saveexec_b64 s[0:1], vcc
	s_cbranch_execnz .LBB73_56
.LBB73_39:
	s_or_b64 exec, exec, s[0:1]
	v_cmp_gt_i32_e32 vcc, s8, v0
	s_and_saveexec_b64 s[0:1], vcc
	s_cbranch_execnz .LBB73_57
.LBB73_40:
	s_or_b64 exec, exec, s[0:1]
	v_cmp_gt_i32_e32 vcc, s8, v0
	s_and_saveexec_b64 s[0:1], vcc
	s_cbranch_execnz .LBB73_58
.LBB73_41:
	s_or_b64 exec, exec, s[0:1]
	v_cmp_gt_i32_e32 vcc, s8, v0
	s_and_saveexec_b64 s[0:1], vcc
	s_cbranch_execnz .LBB73_59
.LBB73_42:
	s_or_b64 exec, exec, s[0:1]
	v_cmp_gt_i32_e32 vcc, s8, v0
	s_and_saveexec_b64 s[0:1], vcc
	s_cbranch_execnz .LBB73_60
.LBB73_43:
	s_or_b64 exec, exec, s[0:1]
	v_cmp_gt_i32_e32 vcc, s8, v0
	s_and_saveexec_b64 s[0:1], vcc
	s_cbranch_execnz .LBB73_61
.LBB73_44:
	s_or_b64 exec, exec, s[0:1]
	v_cmp_gt_i32_e32 vcc, s8, v0
	s_and_saveexec_b64 s[0:1], vcc
	s_cbranch_execnz .LBB73_62
.LBB73_45:
	s_or_b64 exec, exec, s[0:1]
	v_cmp_gt_i32_e32 vcc, s8, v0
	s_and_saveexec_b64 s[0:1], vcc
	s_cbranch_execnz .LBB73_63
.LBB73_46:
	s_or_b64 exec, exec, s[0:1]
	v_cmp_gt_i32_e32 vcc, s8, v0
	s_and_saveexec_b64 s[0:1], vcc
	s_cbranch_execnz .LBB73_64
.LBB73_47:
	s_or_b64 exec, exec, s[0:1]
	v_cmp_gt_i32_e32 vcc, s8, v0
	s_and_saveexec_b64 s[0:1], vcc
	s_cbranch_execnz .LBB73_65
.LBB73_48:
	s_or_b64 exec, exec, s[0:1]
	v_cmp_gt_i32_e32 vcc, s8, v0
	s_and_saveexec_b64 s[0:1], vcc
	s_cbranch_execnz .LBB73_66
.LBB73_49:
	s_or_b64 exec, exec, s[0:1]
	v_cmp_gt_i32_e32 vcc, s8, v0
	s_and_saveexec_b64 s[0:1], vcc
	s_cbranch_execnz .LBB73_67
.LBB73_50:
	s_or_b64 exec, exec, s[0:1]
	v_cmp_gt_i32_e32 vcc, s8, v0
	s_and_saveexec_b64 s[0:1], vcc
	s_cbranch_execz .LBB73_52
.LBB73_51:
	v_lshrrev_b32_e32 v1, 24, v2
	v_add_u32_e32 v0, s6, v0
	global_store_byte v0, v1, s[12:13]
.LBB73_52:
	s_endpgm
.LBB73_53:
	v_mov_b32_e32 v0, v19
	global_store_byte v1, v5, s[12:13]
	s_or_b64 exec, exec, s[0:1]
	v_cmp_gt_i32_e32 vcc, s8, v0
	s_and_saveexec_b64 s[0:1], vcc
	s_cbranch_execz .LBB73_37
.LBB73_54:
	v_lshrrev_b32_e32 v1, 8, v5
	v_add_u32_e32 v6, s6, v0
	v_add_u32_e32 v0, 0x100, v0
	global_store_byte v6, v1, s[12:13]
	s_or_b64 exec, exec, s[0:1]
	v_cmp_gt_i32_e32 vcc, s8, v0
	s_and_saveexec_b64 s[0:1], vcc
	s_cbranch_execz .LBB73_38
.LBB73_55:
	v_add_u32_e32 v1, s6, v0
	v_add_u32_e32 v0, 0x100, v0
	global_store_byte_d16_hi v1, v5, s[12:13]
	s_or_b64 exec, exec, s[0:1]
	v_cmp_gt_i32_e32 vcc, s8, v0
	s_and_saveexec_b64 s[0:1], vcc
	s_cbranch_execz .LBB73_39
.LBB73_56:
	v_lshrrev_b32_e32 v1, 24, v5
	v_add_u32_e32 v5, s6, v0
	v_add_u32_e32 v0, 0x100, v0
	global_store_byte v5, v1, s[12:13]
	s_or_b64 exec, exec, s[0:1]
	v_cmp_gt_i32_e32 vcc, s8, v0
	s_and_saveexec_b64 s[0:1], vcc
	s_cbranch_execz .LBB73_40
.LBB73_57:
	v_add_u32_e32 v1, s6, v0
	v_add_u32_e32 v0, 0x100, v0
	global_store_byte v1, v4, s[12:13]
	s_or_b64 exec, exec, s[0:1]
	v_cmp_gt_i32_e32 vcc, s8, v0
	s_and_saveexec_b64 s[0:1], vcc
	s_cbranch_execz .LBB73_41
.LBB73_58:
	v_lshrrev_b32_e32 v1, 8, v4
	v_add_u32_e32 v5, s6, v0
	v_add_u32_e32 v0, 0x100, v0
	global_store_byte v5, v1, s[12:13]
	s_or_b64 exec, exec, s[0:1]
	v_cmp_gt_i32_e32 vcc, s8, v0
	s_and_saveexec_b64 s[0:1], vcc
	s_cbranch_execz .LBB73_42
.LBB73_59:
	v_add_u32_e32 v1, s6, v0
	v_add_u32_e32 v0, 0x100, v0
	global_store_byte_d16_hi v1, v4, s[12:13]
	s_or_b64 exec, exec, s[0:1]
	v_cmp_gt_i32_e32 vcc, s8, v0
	s_and_saveexec_b64 s[0:1], vcc
	s_cbranch_execz .LBB73_43
.LBB73_60:
	v_lshrrev_b32_e32 v1, 24, v4
	v_add_u32_e32 v4, s6, v0
	v_add_u32_e32 v0, 0x100, v0
	global_store_byte v4, v1, s[12:13]
	s_or_b64 exec, exec, s[0:1]
	v_cmp_gt_i32_e32 vcc, s8, v0
	s_and_saveexec_b64 s[0:1], vcc
	s_cbranch_execz .LBB73_44
.LBB73_61:
	v_add_u32_e32 v1, s6, v0
	v_add_u32_e32 v0, 0x100, v0
	global_store_byte v1, v3, s[12:13]
	s_or_b64 exec, exec, s[0:1]
	v_cmp_gt_i32_e32 vcc, s8, v0
	s_and_saveexec_b64 s[0:1], vcc
	s_cbranch_execz .LBB73_45
.LBB73_62:
	v_lshrrev_b32_e32 v1, 8, v3
	v_add_u32_e32 v4, s6, v0
	v_add_u32_e32 v0, 0x100, v0
	global_store_byte v4, v1, s[12:13]
	s_or_b64 exec, exec, s[0:1]
	v_cmp_gt_i32_e32 vcc, s8, v0
	s_and_saveexec_b64 s[0:1], vcc
	s_cbranch_execz .LBB73_46
.LBB73_63:
	v_add_u32_e32 v1, s6, v0
	v_add_u32_e32 v0, 0x100, v0
	global_store_byte_d16_hi v1, v3, s[12:13]
	s_or_b64 exec, exec, s[0:1]
	v_cmp_gt_i32_e32 vcc, s8, v0
	s_and_saveexec_b64 s[0:1], vcc
	s_cbranch_execz .LBB73_47
.LBB73_64:
	v_lshrrev_b32_e32 v1, 24, v3
	v_add_u32_e32 v3, s6, v0
	v_add_u32_e32 v0, 0x100, v0
	global_store_byte v3, v1, s[12:13]
	s_or_b64 exec, exec, s[0:1]
	v_cmp_gt_i32_e32 vcc, s8, v0
	s_and_saveexec_b64 s[0:1], vcc
	s_cbranch_execz .LBB73_48
.LBB73_65:
	v_add_u32_e32 v1, s6, v0
	v_add_u32_e32 v0, 0x100, v0
	global_store_byte v1, v2, s[12:13]
	s_or_b64 exec, exec, s[0:1]
	v_cmp_gt_i32_e32 vcc, s8, v0
	s_and_saveexec_b64 s[0:1], vcc
	s_cbranch_execz .LBB73_49
.LBB73_66:
	v_lshrrev_b32_e32 v1, 8, v2
	v_add_u32_e32 v3, s6, v0
	v_add_u32_e32 v0, 0x100, v0
	global_store_byte v3, v1, s[12:13]
	s_or_b64 exec, exec, s[0:1]
	v_cmp_gt_i32_e32 vcc, s8, v0
	s_and_saveexec_b64 s[0:1], vcc
	s_cbranch_execz .LBB73_50
.LBB73_67:
	v_add_u32_e32 v1, s6, v0
	v_add_u32_e32 v0, 0x100, v0
	global_store_byte_d16_hi v1, v2, s[12:13]
	s_or_b64 exec, exec, s[0:1]
	v_cmp_gt_i32_e32 vcc, s8, v0
	s_and_saveexec_b64 s[0:1], vcc
	s_cbranch_execnz .LBB73_51
	s_branch .LBB73_52
	.section	.rodata,"a",@progbits
	.p2align	6, 0x0
	.amdhsa_kernel _ZN2at6native29vectorized_elementwise_kernelILi8ENS0_13AUnaryFunctorIssbNS0_12_GLOBAL__N_116CompareEqFunctorIsEEEESt5arrayIPcLm2EEEEviT0_T1_
		.amdhsa_group_segment_fixed_size 0
		.amdhsa_private_segment_fixed_size 0
		.amdhsa_kernarg_size 32
		.amdhsa_user_sgpr_count 6
		.amdhsa_user_sgpr_private_segment_buffer 1
		.amdhsa_user_sgpr_dispatch_ptr 0
		.amdhsa_user_sgpr_queue_ptr 0
		.amdhsa_user_sgpr_kernarg_segment_ptr 1
		.amdhsa_user_sgpr_dispatch_id 0
		.amdhsa_user_sgpr_flat_scratch_init 0
		.amdhsa_user_sgpr_private_segment_size 0
		.amdhsa_uses_dynamic_stack 0
		.amdhsa_system_sgpr_private_segment_wavefront_offset 0
		.amdhsa_system_sgpr_workgroup_id_x 1
		.amdhsa_system_sgpr_workgroup_id_y 0
		.amdhsa_system_sgpr_workgroup_id_z 0
		.amdhsa_system_sgpr_workgroup_info 0
		.amdhsa_system_vgpr_workitem_id 0
		.amdhsa_next_free_vgpr 21
		.amdhsa_next_free_sgpr 28
		.amdhsa_reserve_vcc 1
		.amdhsa_reserve_flat_scratch 0
		.amdhsa_float_round_mode_32 0
		.amdhsa_float_round_mode_16_64 0
		.amdhsa_float_denorm_mode_32 3
		.amdhsa_float_denorm_mode_16_64 3
		.amdhsa_dx10_clamp 1
		.amdhsa_ieee_mode 1
		.amdhsa_fp16_overflow 0
		.amdhsa_exception_fp_ieee_invalid_op 0
		.amdhsa_exception_fp_denorm_src 0
		.amdhsa_exception_fp_ieee_div_zero 0
		.amdhsa_exception_fp_ieee_overflow 0
		.amdhsa_exception_fp_ieee_underflow 0
		.amdhsa_exception_fp_ieee_inexact 0
		.amdhsa_exception_int_div_zero 0
	.end_amdhsa_kernel
	.section	.text._ZN2at6native29vectorized_elementwise_kernelILi8ENS0_13AUnaryFunctorIssbNS0_12_GLOBAL__N_116CompareEqFunctorIsEEEESt5arrayIPcLm2EEEEviT0_T1_,"axG",@progbits,_ZN2at6native29vectorized_elementwise_kernelILi8ENS0_13AUnaryFunctorIssbNS0_12_GLOBAL__N_116CompareEqFunctorIsEEEESt5arrayIPcLm2EEEEviT0_T1_,comdat
.Lfunc_end73:
	.size	_ZN2at6native29vectorized_elementwise_kernelILi8ENS0_13AUnaryFunctorIssbNS0_12_GLOBAL__N_116CompareEqFunctorIsEEEESt5arrayIPcLm2EEEEviT0_T1_, .Lfunc_end73-_ZN2at6native29vectorized_elementwise_kernelILi8ENS0_13AUnaryFunctorIssbNS0_12_GLOBAL__N_116CompareEqFunctorIsEEEESt5arrayIPcLm2EEEEviT0_T1_
                                        ; -- End function
	.set _ZN2at6native29vectorized_elementwise_kernelILi8ENS0_13AUnaryFunctorIssbNS0_12_GLOBAL__N_116CompareEqFunctorIsEEEESt5arrayIPcLm2EEEEviT0_T1_.num_vgpr, 21
	.set _ZN2at6native29vectorized_elementwise_kernelILi8ENS0_13AUnaryFunctorIssbNS0_12_GLOBAL__N_116CompareEqFunctorIsEEEESt5arrayIPcLm2EEEEviT0_T1_.num_agpr, 0
	.set _ZN2at6native29vectorized_elementwise_kernelILi8ENS0_13AUnaryFunctorIssbNS0_12_GLOBAL__N_116CompareEqFunctorIsEEEESt5arrayIPcLm2EEEEviT0_T1_.numbered_sgpr, 28
	.set _ZN2at6native29vectorized_elementwise_kernelILi8ENS0_13AUnaryFunctorIssbNS0_12_GLOBAL__N_116CompareEqFunctorIsEEEESt5arrayIPcLm2EEEEviT0_T1_.num_named_barrier, 0
	.set _ZN2at6native29vectorized_elementwise_kernelILi8ENS0_13AUnaryFunctorIssbNS0_12_GLOBAL__N_116CompareEqFunctorIsEEEESt5arrayIPcLm2EEEEviT0_T1_.private_seg_size, 0
	.set _ZN2at6native29vectorized_elementwise_kernelILi8ENS0_13AUnaryFunctorIssbNS0_12_GLOBAL__N_116CompareEqFunctorIsEEEESt5arrayIPcLm2EEEEviT0_T1_.uses_vcc, 1
	.set _ZN2at6native29vectorized_elementwise_kernelILi8ENS0_13AUnaryFunctorIssbNS0_12_GLOBAL__N_116CompareEqFunctorIsEEEESt5arrayIPcLm2EEEEviT0_T1_.uses_flat_scratch, 0
	.set _ZN2at6native29vectorized_elementwise_kernelILi8ENS0_13AUnaryFunctorIssbNS0_12_GLOBAL__N_116CompareEqFunctorIsEEEESt5arrayIPcLm2EEEEviT0_T1_.has_dyn_sized_stack, 0
	.set _ZN2at6native29vectorized_elementwise_kernelILi8ENS0_13AUnaryFunctorIssbNS0_12_GLOBAL__N_116CompareEqFunctorIsEEEESt5arrayIPcLm2EEEEviT0_T1_.has_recursion, 0
	.set _ZN2at6native29vectorized_elementwise_kernelILi8ENS0_13AUnaryFunctorIssbNS0_12_GLOBAL__N_116CompareEqFunctorIsEEEESt5arrayIPcLm2EEEEviT0_T1_.has_indirect_call, 0
	.section	.AMDGPU.csdata,"",@progbits
; Kernel info:
; codeLenInByte = 3588
; TotalNumSgprs: 32
; NumVgprs: 21
; ScratchSize: 0
; MemoryBound: 0
; FloatMode: 240
; IeeeMode: 1
; LDSByteSize: 0 bytes/workgroup (compile time only)
; SGPRBlocks: 3
; VGPRBlocks: 5
; NumSGPRsForWavesPerEU: 32
; NumVGPRsForWavesPerEU: 21
; Occupancy: 10
; WaveLimiterHint : 1
; COMPUTE_PGM_RSRC2:SCRATCH_EN: 0
; COMPUTE_PGM_RSRC2:USER_SGPR: 6
; COMPUTE_PGM_RSRC2:TRAP_HANDLER: 0
; COMPUTE_PGM_RSRC2:TGID_X_EN: 1
; COMPUTE_PGM_RSRC2:TGID_Y_EN: 0
; COMPUTE_PGM_RSRC2:TGID_Z_EN: 0
; COMPUTE_PGM_RSRC2:TIDIG_COMP_CNT: 0
	.section	.text._ZN2at6native29vectorized_elementwise_kernelILi4ENS0_13AUnaryFunctorIssbNS0_12_GLOBAL__N_116CompareEqFunctorIsEEEESt5arrayIPcLm2EEEEviT0_T1_,"axG",@progbits,_ZN2at6native29vectorized_elementwise_kernelILi4ENS0_13AUnaryFunctorIssbNS0_12_GLOBAL__N_116CompareEqFunctorIsEEEESt5arrayIPcLm2EEEEviT0_T1_,comdat
	.globl	_ZN2at6native29vectorized_elementwise_kernelILi4ENS0_13AUnaryFunctorIssbNS0_12_GLOBAL__N_116CompareEqFunctorIsEEEESt5arrayIPcLm2EEEEviT0_T1_ ; -- Begin function _ZN2at6native29vectorized_elementwise_kernelILi4ENS0_13AUnaryFunctorIssbNS0_12_GLOBAL__N_116CompareEqFunctorIsEEEESt5arrayIPcLm2EEEEviT0_T1_
	.p2align	8
	.type	_ZN2at6native29vectorized_elementwise_kernelILi4ENS0_13AUnaryFunctorIssbNS0_12_GLOBAL__N_116CompareEqFunctorIsEEEESt5arrayIPcLm2EEEEviT0_T1_,@function
_ZN2at6native29vectorized_elementwise_kernelILi4ENS0_13AUnaryFunctorIssbNS0_12_GLOBAL__N_116CompareEqFunctorIsEEEESt5arrayIPcLm2EEEEviT0_T1_: ; @_ZN2at6native29vectorized_elementwise_kernelILi4ENS0_13AUnaryFunctorIssbNS0_12_GLOBAL__N_116CompareEqFunctorIsEEEESt5arrayIPcLm2EEEEviT0_T1_
; %bb.0:
	s_load_dwordx8 s[8:15], s[4:5], 0x0
	s_lshl_b32 s6, s6, 12
	s_mov_b64 s[0:1], -1
	s_waitcnt lgkmcnt(0)
	s_sub_i32 s8, s8, s6
	s_cmpk_gt_i32 s8, 0xfff
	s_cbranch_scc0 .LBB74_2
; %bb.1:
	s_ashr_i32 s7, s6, 31
	s_lshl_b64 s[0:1], s[6:7], 1
	s_add_u32 s0, s14, s0
	s_addc_u32 s1, s15, s1
	v_lshlrev_b32_e32 v5, 3, v0
	global_load_dwordx2 v[1:2], v5, s[0:1]
	global_load_dwordx2 v[3:4], v5, s[0:1] offset:2048
	v_mov_b32_e32 v6, s1
	v_add_co_u32_e32 v5, vcc, s0, v5
	v_addc_co_u32_e32 v6, vcc, 0, v6, vcc
	v_add_co_u32_e32 v5, vcc, 0x1000, v5
	v_addc_co_u32_e32 v6, vcc, 0, v6, vcc
	global_load_dwordx2 v[7:8], v[5:6], off
	global_load_dwordx2 v[9:10], v[5:6], off offset:2048
	s_cmp_eq_u32 s9, 0
	s_cselect_b64 s[16:17], -1, 0
	v_lshlrev_b32_e32 v5, 2, v0
	s_waitcnt vmcnt(3)
	v_cmp_ne_u16_e64 s[0:1], s10, v2
	v_cmp_ne_u16_sdwa s[20:21], v2, s10 src0_sel:WORD_1 src1_sel:DWORD
	s_xor_b64 s[0:1], s[16:17], s[0:1]
	s_waitcnt vmcnt(2)
	v_cmp_ne_u16_e64 s[2:3], s10, v3
	v_cmp_ne_u16_sdwa s[22:23], v3, s10 src0_sel:WORD_1 src1_sel:DWORD
	v_cndmask_b32_e64 v3, 0, 1, s[0:1]
	s_xor_b64 s[0:1], s[16:17], s[20:21]
	v_cmp_ne_u16_e64 s[4:5], s10, v4
	v_cmp_ne_u16_sdwa s[24:25], v4, s10 src0_sel:WORD_1 src1_sel:DWORD
	v_cndmask_b32_e64 v4, 0, 1, s[0:1]
	s_xor_b64 s[0:1], s[16:17], s[2:3]
	v_cndmask_b32_e64 v6, 0, 1, s[0:1]
	s_xor_b64 s[0:1], s[16:17], s[22:23]
	;; [unrolled: 2-line block ×4, first 2 shown]
	v_cndmask_b32_e64 v13, 0, 1, s[0:1]
	s_waitcnt vmcnt(1)
	v_cmp_ne_u16_e64 s[0:1], s10, v8
	v_cmp_ne_u16_sdwa s[20:21], v8, s10 src0_sel:WORD_1 src1_sel:DWORD
	s_xor_b64 s[0:1], s[16:17], s[0:1]
	s_waitcnt vmcnt(0)
	v_cmp_ne_u16_e64 s[2:3], s10, v9
	v_cndmask_b32_e64 v8, 0, 1, s[0:1]
	s_xor_b64 s[0:1], s[16:17], s[20:21]
	v_cmp_ne_u16_sdwa s[18:19], v1, s10 src0_sel:WORD_1 src1_sel:DWORD
	v_cmp_ne_u16_sdwa s[22:23], v9, s10 src0_sel:WORD_1 src1_sel:DWORD
	v_cndmask_b32_e64 v9, 0, 1, s[0:1]
	s_xor_b64 s[0:1], s[16:17], s[2:3]
	v_cmp_ne_u16_e32 vcc, s10, v1
	s_xor_b64 s[18:19], s[16:17], s[18:19]
	v_lshlrev_b16_e32 v11, 8, v11
	v_cmp_ne_u16_e64 s[4:5], s10, v10
	v_cmp_ne_u16_sdwa s[24:25], v10, s10 src0_sel:WORD_1 src1_sel:DWORD
	v_cndmask_b32_e64 v10, 0, 1, s[0:1]
	s_xor_b64 s[0:1], s[16:17], s[22:23]
	s_xor_b64 s[26:27], s[16:17], vcc
	v_cndmask_b32_e64 v2, 0, 1, s[18:19]
	v_lshlrev_b16_e32 v13, 8, v13
	v_cmp_ne_u16_sdwa s[18:19], v7, s10 src0_sel:WORD_1 src1_sel:DWORD
	v_or_b32_e32 v6, v6, v11
	v_cndmask_b32_e64 v11, 0, 1, s[0:1]
	s_xor_b64 s[0:1], s[16:17], s[4:5]
	v_cndmask_b32_e64 v1, 0, 1, s[26:27]
	v_lshlrev_b16_e32 v2, 8, v2
	v_lshlrev_b16_e32 v4, 8, v4
	v_cmp_ne_u16_e32 vcc, s10, v7
	v_or_b32_sdwa v7, v12, v13 dst_sel:WORD_1 dst_unused:UNUSED_PAD src0_sel:DWORD src1_sel:DWORD
	s_xor_b64 s[18:19], s[16:17], s[18:19]
	v_cndmask_b32_e64 v12, 0, 1, s[0:1]
	s_xor_b64 s[0:1], s[16:17], s[24:25]
	v_or_b32_e32 v1, v1, v2
	v_or_b32_sdwa v2, v3, v4 dst_sel:WORD_1 dst_unused:UNUSED_PAD src0_sel:DWORD src1_sel:DWORD
	s_xor_b64 s[26:27], s[16:17], vcc
	v_cndmask_b32_e64 v4, 0, 1, s[18:19]
	v_cndmask_b32_e64 v13, 0, 1, s[0:1]
	v_cndmask_b32_e64 v3, 0, 1, s[26:27]
	v_or_b32_sdwa v6, v6, v7 dst_sel:DWORD dst_unused:UNUSED_PAD src0_sel:WORD_0 src1_sel:DWORD
	v_or_b32_sdwa v1, v1, v2 dst_sel:DWORD dst_unused:UNUSED_PAD src0_sel:WORD_0 src1_sel:DWORD
	v_lshlrev_b16_e32 v2, 8, v11
	v_lshlrev_b16_e32 v7, 8, v13
	;; [unrolled: 1-line block ×4, first 2 shown]
	s_add_u32 s0, s12, s6
	v_or_b32_e32 v2, v10, v2
	v_or_b32_sdwa v7, v12, v7 dst_sel:WORD_1 dst_unused:UNUSED_PAD src0_sel:DWORD src1_sel:DWORD
	v_or_b32_e32 v3, v3, v4
	v_or_b32_sdwa v4, v8, v9 dst_sel:WORD_1 dst_unused:UNUSED_PAD src0_sel:DWORD src1_sel:DWORD
	s_addc_u32 s1, s13, s7
	v_or_b32_sdwa v2, v2, v7 dst_sel:DWORD dst_unused:UNUSED_PAD src0_sel:WORD_0 src1_sel:DWORD
	v_or_b32_sdwa v3, v3, v4 dst_sel:DWORD dst_unused:UNUSED_PAD src0_sel:WORD_0 src1_sel:DWORD
	global_store_dword v5, v1, s[0:1]
	global_store_dword v5, v6, s[0:1] offset:1024
	global_store_dword v5, v3, s[0:1] offset:2048
	;; [unrolled: 1-line block ×3, first 2 shown]
	s_mov_b64 s[0:1], 0
.LBB74_2:
	s_andn2_b64 vcc, exec, s[0:1]
	s_cbranch_vccnz .LBB74_52
; %bb.3:
	v_cmp_gt_i32_e32 vcc, s8, v0
	v_mov_b32_e32 v3, 0
	v_or_b32_e32 v1, s6, v0
	v_mov_b32_e32 v2, 0
	v_mov_b32_e32 v4, v0
	s_and_saveexec_b64 s[2:3], vcc
	s_cbranch_execz .LBB74_5
; %bb.4:
	v_mov_b32_e32 v2, 0
	v_lshlrev_b64 v[4:5], 1, v[1:2]
	v_mov_b32_e32 v2, s15
	v_add_co_u32_e64 v4, s[0:1], s14, v4
	v_addc_co_u32_e64 v5, s[0:1], v2, v5, s[0:1]
	global_load_ushort v2, v[4:5], off
	v_or_b32_e32 v4, 0x100, v0
.LBB74_5:
	s_or_b64 exec, exec, s[2:3]
	v_cmp_gt_i32_e64 s[0:1], s8, v4
	s_and_saveexec_b64 s[2:3], s[0:1]
	s_cbranch_execz .LBB74_7
; %bb.6:
	v_add_u32_e32 v5, s6, v4
	v_mov_b32_e32 v6, 0
	v_lshlrev_b64 v[5:6], 1, v[5:6]
	v_mov_b32_e32 v3, s15
	v_add_co_u32_e64 v5, s[0:1], s14, v5
	v_addc_co_u32_e64 v6, s[0:1], v3, v6, s[0:1]
	global_load_ushort v3, v[5:6], off
	v_add_u32_e32 v4, 0x100, v4
.LBB74_7:
	s_or_b64 exec, exec, s[2:3]
	v_cmp_gt_i32_e64 s[0:1], s8, v4
	v_mov_b32_e32 v5, 0
	v_mov_b32_e32 v6, 0
	s_and_saveexec_b64 s[2:3], s[0:1]
	s_cbranch_execz .LBB74_9
; %bb.8:
	v_add_u32_e32 v6, s6, v4
	v_mov_b32_e32 v7, 0
	v_lshlrev_b64 v[6:7], 1, v[6:7]
	v_mov_b32_e32 v8, s15
	v_add_co_u32_e64 v6, s[0:1], s14, v6
	v_addc_co_u32_e64 v7, s[0:1], v8, v7, s[0:1]
	global_load_ushort v6, v[6:7], off
	v_add_u32_e32 v4, 0x100, v4
.LBB74_9:
	s_or_b64 exec, exec, s[2:3]
	v_cmp_gt_i32_e64 s[0:1], s8, v4
	s_and_saveexec_b64 s[2:3], s[0:1]
	s_cbranch_execz .LBB74_11
; %bb.10:
	v_add_u32_e32 v7, s6, v4
	v_mov_b32_e32 v8, 0
	v_lshlrev_b64 v[7:8], 1, v[7:8]
	v_mov_b32_e32 v5, s15
	v_add_co_u32_e64 v7, s[0:1], s14, v7
	v_addc_co_u32_e64 v8, s[0:1], v5, v8, s[0:1]
	global_load_ushort v5, v[7:8], off
	v_add_u32_e32 v4, 0x100, v4
.LBB74_11:
	s_or_b64 exec, exec, s[2:3]
	v_cmp_gt_i32_e64 s[0:1], s8, v4
	v_mov_b32_e32 v7, 0
	v_mov_b32_e32 v8, 0
	s_and_saveexec_b64 s[2:3], s[0:1]
	s_cbranch_execz .LBB74_13
; %bb.12:
	v_add_u32_e32 v8, s6, v4
	v_mov_b32_e32 v9, 0
	v_lshlrev_b64 v[8:9], 1, v[8:9]
	v_mov_b32_e32 v10, s15
	v_add_co_u32_e64 v8, s[0:1], s14, v8
	v_addc_co_u32_e64 v9, s[0:1], v10, v9, s[0:1]
	global_load_ushort v8, v[8:9], off
	v_add_u32_e32 v4, 0x100, v4
.LBB74_13:
	;; [unrolled: 30-line block ×7, first 2 shown]
	s_or_b64 exec, exec, s[2:3]
	v_cmp_gt_i32_e64 s[0:1], s8, v4
	s_and_saveexec_b64 s[2:3], s[0:1]
	s_cbranch_execz .LBB74_35
; %bb.34:
	v_add_u32_e32 v19, s6, v4
	v_mov_b32_e32 v20, 0
	v_lshlrev_b64 v[19:20], 1, v[19:20]
	v_mov_b32_e32 v4, s15
	v_add_co_u32_e64 v19, s[0:1], s14, v19
	v_addc_co_u32_e64 v20, s[0:1], v4, v20, s[0:1]
	global_load_ushort v17, v[19:20], off
.LBB74_35:
	s_or_b64 exec, exec, s[2:3]
	s_cmp_eq_u32 s9, 0
	s_cselect_b64 s[2:3], -1, 0
	s_waitcnt vmcnt(0)
	v_cmp_ne_u16_e64 s[0:1], s10, v2
	s_xor_b64 s[0:1], s[2:3], s[0:1]
	v_cndmask_b32_e64 v2, 0, 1, s[0:1]
	v_cmp_ne_u16_e64 s[0:1], s10, v3
	s_xor_b64 s[0:1], s[2:3], s[0:1]
	v_cndmask_b32_e64 v3, 0, 1, s[0:1]
	v_cndmask_b32_e32 v2, 0, v2, vcc
	v_lshlrev_b16_e32 v3, 8, v3
	v_or_b32_e32 v19, 0x100, v0
	v_or_b32_e32 v3, v2, v3
	v_and_b32_e32 v3, 0xffff, v3
	v_cmp_gt_i32_e64 s[0:1], s8, v19
	v_cndmask_b32_e64 v2, v2, v3, s[0:1]
	v_cmp_ne_u16_e64 s[0:1], s10, v6
	s_xor_b64 s[0:1], s[2:3], s[0:1]
	v_or_b32_e32 v3, 0x200, v0
	v_cndmask_b32_e64 v4, 0, 1, s[0:1]
	v_lshl_or_b32 v4, v4, 16, v2
	v_cmp_gt_i32_e64 s[0:1], s8, v3
	v_cndmask_b32_e64 v2, v2, v4, s[0:1]
	v_cmp_ne_u16_e64 s[0:1], s10, v5
	s_xor_b64 s[0:1], s[2:3], s[0:1]
	s_movk_i32 s5, 0xff
	v_cndmask_b32_e64 v5, 0, 1, s[0:1]
	v_and_b32_sdwa v3, v2, s5 dst_sel:DWORD dst_unused:UNUSED_PAD src0_sel:WORD_1 src1_sel:DWORD
	v_lshlrev_b16_e32 v5, 8, v5
	s_mov_b32 s4, 0xffff
	v_or_b32_e32 v4, 0x300, v0
	v_or_b32_sdwa v3, v3, v5 dst_sel:WORD_1 dst_unused:UNUSED_PAD src0_sel:DWORD src1_sel:DWORD
	v_and_or_b32 v3, v2, s4, v3
	v_cmp_gt_i32_e64 s[0:1], s8, v4
	v_cndmask_b32_e64 v5, v2, v3, s[0:1]
	v_cmp_ne_u16_e64 s[0:1], s10, v8
	s_xor_b64 s[0:1], s[2:3], s[0:1]
	v_cndmask_b32_e64 v2, 0, 1, s[0:1]
	v_or_b32_e32 v3, 0x400, v0
	v_and_b32_e32 v2, 0xffff, v2
	v_cmp_gt_i32_e64 s[0:1], s8, v3
	v_cndmask_b32_e64 v2, 0, v2, s[0:1]
	v_cmp_ne_u16_e64 s[0:1], s10, v7
	s_xor_b64 s[0:1], s[2:3], s[0:1]
	v_cndmask_b32_e64 v4, 0, 1, s[0:1]
	v_lshlrev_b16_e32 v4, 8, v4
	v_or_b32_e32 v3, 0x500, v0
	v_or_b32_sdwa v4, v2, v4 dst_sel:DWORD dst_unused:UNUSED_PAD src0_sel:BYTE_0 src1_sel:DWORD
	v_and_b32_e32 v4, 0xffff, v4
	v_cmp_gt_i32_e64 s[0:1], s8, v3
	v_cndmask_b32_e64 v2, v2, v4, s[0:1]
	v_cmp_ne_u16_e64 s[0:1], s10, v10
	s_movk_i32 s7, 0xff00
	s_xor_b64 s[0:1], s[2:3], s[0:1]
	v_and_b32_sdwa v3, v2, s7 dst_sel:DWORD dst_unused:UNUSED_PAD src0_sel:WORD_1 src1_sel:DWORD
	v_cndmask_b32_e64 v4, 0, 1, s[0:1]
	v_or_b32_sdwa v3, v4, v3 dst_sel:WORD_1 dst_unused:UNUSED_PAD src0_sel:DWORD src1_sel:DWORD
	v_or_b32_e32 v4, 0x600, v0
	v_and_or_b32 v3, v2, s4, v3
	v_cmp_gt_i32_e64 s[0:1], s8, v4
	v_cndmask_b32_e64 v2, v2, v3, s[0:1]
	v_cmp_ne_u16_e64 s[0:1], s10, v9
	s_xor_b64 s[0:1], s[2:3], s[0:1]
	v_cndmask_b32_e64 v6, 0, 1, s[0:1]
	v_and_b32_sdwa v3, v2, s5 dst_sel:DWORD dst_unused:UNUSED_PAD src0_sel:WORD_1 src1_sel:DWORD
	v_lshlrev_b16_e32 v6, 8, v6
	v_or_b32_e32 v4, 0x700, v0
	v_or_b32_sdwa v3, v3, v6 dst_sel:WORD_1 dst_unused:UNUSED_PAD src0_sel:DWORD src1_sel:DWORD
	v_and_or_b32 v3, v2, s4, v3
	v_cmp_gt_i32_e64 s[0:1], s8, v4
	v_cndmask_b32_e64 v4, v2, v3, s[0:1]
	v_cmp_ne_u16_e64 s[0:1], s10, v12
	v_or_b32_e32 v2, 0x800, v0
	s_xor_b64 s[0:1], s[2:3], s[0:1]
	v_cndmask_b32_e64 v3, 0, 1, s[0:1]
	v_cmp_gt_i32_e64 s[0:1], s8, v2
	v_cndmask_b32_e64 v2, 0, v3, s[0:1]
	v_cmp_ne_u16_e64 s[0:1], s10, v11
	s_xor_b64 s[0:1], s[2:3], s[0:1]
	v_cndmask_b32_e64 v6, 0, 1, s[0:1]
	v_lshlrev_b16_e32 v6, 8, v6
	v_or_b32_e32 v3, 0x900, v0
	v_or_b32_e32 v6, v2, v6
	v_and_b32_e32 v6, 0xffff, v6
	v_cmp_gt_i32_e64 s[0:1], s8, v3
	v_cndmask_b32_e64 v2, v2, v6, s[0:1]
	v_cmp_ne_u16_e64 s[0:1], s10, v14
	s_xor_b64 s[0:1], s[2:3], s[0:1]
	v_cndmask_b32_e64 v6, 0, 1, s[0:1]
	v_or_b32_e32 v3, 0xa00, v0
	v_lshlrev_b32_e32 v6, 16, v6
	s_movk_i32 s0, 0x1ff
	v_and_or_b32 v6, v2, s0, v6
	v_cmp_gt_i32_e64 s[0:1], s8, v3
	v_cndmask_b32_e64 v2, v2, v6, s[0:1]
	v_cmp_ne_u16_e64 s[0:1], s10, v13
	s_xor_b64 s[0:1], s[2:3], s[0:1]
	v_cndmask_b32_e64 v7, 0, 1, s[0:1]
	v_and_b32_sdwa v3, v2, s5 dst_sel:DWORD dst_unused:UNUSED_PAD src0_sel:WORD_1 src1_sel:DWORD
	v_lshlrev_b16_e32 v7, 8, v7
	v_or_b32_e32 v6, 0xb00, v0
	v_or_b32_sdwa v3, v3, v7 dst_sel:WORD_1 dst_unused:UNUSED_PAD src0_sel:DWORD src1_sel:DWORD
	v_and_or_b32 v3, v2, s4, v3
	v_cmp_gt_i32_e64 s[0:1], s8, v6
	v_cndmask_b32_e64 v3, v2, v3, s[0:1]
	v_cmp_ne_u16_e64 s[0:1], s10, v16
	v_or_b32_e32 v2, 0xc00, v0
	s_xor_b64 s[0:1], s[2:3], s[0:1]
	v_cndmask_b32_e64 v6, 0, 1, s[0:1]
	v_cmp_gt_i32_e64 s[0:1], s8, v2
	v_cndmask_b32_e64 v2, 0, v6, s[0:1]
	v_cmp_ne_u16_e64 s[0:1], s10, v15
	s_xor_b64 s[0:1], s[2:3], s[0:1]
	v_cndmask_b32_e64 v7, 0, 1, s[0:1]
	v_lshlrev_b16_e32 v7, 8, v7
	v_or_b32_e32 v6, 0xd00, v0
	v_or_b32_sdwa v7, v2, v7 dst_sel:DWORD dst_unused:UNUSED_PAD src0_sel:BYTE_0 src1_sel:DWORD
	v_and_b32_e32 v7, 0xffff, v7
	v_cmp_gt_i32_e64 s[0:1], s8, v6
	v_cndmask_b32_e64 v2, v2, v7, s[0:1]
	v_cmp_ne_u16_e64 s[0:1], s10, v18
	s_xor_b64 s[0:1], s[2:3], s[0:1]
	v_and_b32_sdwa v6, v2, s7 dst_sel:DWORD dst_unused:UNUSED_PAD src0_sel:WORD_1 src1_sel:DWORD
	v_cndmask_b32_e64 v7, 0, 1, s[0:1]
	v_or_b32_sdwa v6, v7, v6 dst_sel:WORD_1 dst_unused:UNUSED_PAD src0_sel:DWORD src1_sel:DWORD
	v_or_b32_e32 v7, 0xe00, v0
	v_and_or_b32 v6, v2, s4, v6
	v_cmp_gt_i32_e64 s[0:1], s8, v7
	v_cndmask_b32_e64 v2, v2, v6, s[0:1]
	v_cmp_ne_u16_e64 s[0:1], s10, v17
	s_xor_b64 s[0:1], s[2:3], s[0:1]
	v_cndmask_b32_e64 v8, 0, 1, s[0:1]
	v_and_b32_sdwa v6, v2, s5 dst_sel:DWORD dst_unused:UNUSED_PAD src0_sel:WORD_1 src1_sel:DWORD
	v_lshlrev_b16_e32 v8, 8, v8
	v_or_b32_e32 v7, 0xf00, v0
	v_or_b32_sdwa v6, v6, v8 dst_sel:WORD_1 dst_unused:UNUSED_PAD src0_sel:DWORD src1_sel:DWORD
	v_and_or_b32 v6, v2, s4, v6
	v_cmp_gt_i32_e64 s[0:1], s8, v7
	v_cndmask_b32_e64 v2, v2, v6, s[0:1]
	s_and_saveexec_b64 s[0:1], vcc
	s_cbranch_execnz .LBB74_53
; %bb.36:
	s_or_b64 exec, exec, s[0:1]
	v_cmp_gt_i32_e32 vcc, s8, v0
	s_and_saveexec_b64 s[0:1], vcc
	s_cbranch_execnz .LBB74_54
.LBB74_37:
	s_or_b64 exec, exec, s[0:1]
	v_cmp_gt_i32_e32 vcc, s8, v0
	s_and_saveexec_b64 s[0:1], vcc
	s_cbranch_execnz .LBB74_55
.LBB74_38:
	s_or_b64 exec, exec, s[0:1]
	v_cmp_gt_i32_e32 vcc, s8, v0
	s_and_saveexec_b64 s[0:1], vcc
	s_cbranch_execnz .LBB74_56
.LBB74_39:
	s_or_b64 exec, exec, s[0:1]
	v_cmp_gt_i32_e32 vcc, s8, v0
	s_and_saveexec_b64 s[0:1], vcc
	s_cbranch_execnz .LBB74_57
.LBB74_40:
	s_or_b64 exec, exec, s[0:1]
	v_cmp_gt_i32_e32 vcc, s8, v0
	s_and_saveexec_b64 s[0:1], vcc
	s_cbranch_execnz .LBB74_58
.LBB74_41:
	s_or_b64 exec, exec, s[0:1]
	v_cmp_gt_i32_e32 vcc, s8, v0
	s_and_saveexec_b64 s[0:1], vcc
	s_cbranch_execnz .LBB74_59
.LBB74_42:
	s_or_b64 exec, exec, s[0:1]
	v_cmp_gt_i32_e32 vcc, s8, v0
	s_and_saveexec_b64 s[0:1], vcc
	s_cbranch_execnz .LBB74_60
.LBB74_43:
	s_or_b64 exec, exec, s[0:1]
	v_cmp_gt_i32_e32 vcc, s8, v0
	s_and_saveexec_b64 s[0:1], vcc
	s_cbranch_execnz .LBB74_61
.LBB74_44:
	s_or_b64 exec, exec, s[0:1]
	v_cmp_gt_i32_e32 vcc, s8, v0
	s_and_saveexec_b64 s[0:1], vcc
	s_cbranch_execnz .LBB74_62
.LBB74_45:
	s_or_b64 exec, exec, s[0:1]
	v_cmp_gt_i32_e32 vcc, s8, v0
	s_and_saveexec_b64 s[0:1], vcc
	s_cbranch_execnz .LBB74_63
.LBB74_46:
	s_or_b64 exec, exec, s[0:1]
	v_cmp_gt_i32_e32 vcc, s8, v0
	s_and_saveexec_b64 s[0:1], vcc
	s_cbranch_execnz .LBB74_64
.LBB74_47:
	s_or_b64 exec, exec, s[0:1]
	v_cmp_gt_i32_e32 vcc, s8, v0
	s_and_saveexec_b64 s[0:1], vcc
	s_cbranch_execnz .LBB74_65
.LBB74_48:
	s_or_b64 exec, exec, s[0:1]
	v_cmp_gt_i32_e32 vcc, s8, v0
	s_and_saveexec_b64 s[0:1], vcc
	s_cbranch_execnz .LBB74_66
.LBB74_49:
	s_or_b64 exec, exec, s[0:1]
	v_cmp_gt_i32_e32 vcc, s8, v0
	s_and_saveexec_b64 s[0:1], vcc
	s_cbranch_execnz .LBB74_67
.LBB74_50:
	s_or_b64 exec, exec, s[0:1]
	v_cmp_gt_i32_e32 vcc, s8, v0
	s_and_saveexec_b64 s[0:1], vcc
	s_cbranch_execz .LBB74_52
.LBB74_51:
	v_lshrrev_b32_e32 v1, 24, v2
	v_add_u32_e32 v0, s6, v0
	global_store_byte v0, v1, s[12:13]
.LBB74_52:
	s_endpgm
.LBB74_53:
	v_mov_b32_e32 v0, v19
	global_store_byte v1, v5, s[12:13]
	s_or_b64 exec, exec, s[0:1]
	v_cmp_gt_i32_e32 vcc, s8, v0
	s_and_saveexec_b64 s[0:1], vcc
	s_cbranch_execz .LBB74_37
.LBB74_54:
	v_lshrrev_b32_e32 v1, 8, v5
	v_add_u32_e32 v6, s6, v0
	v_add_u32_e32 v0, 0x100, v0
	global_store_byte v6, v1, s[12:13]
	s_or_b64 exec, exec, s[0:1]
	v_cmp_gt_i32_e32 vcc, s8, v0
	s_and_saveexec_b64 s[0:1], vcc
	s_cbranch_execz .LBB74_38
.LBB74_55:
	v_add_u32_e32 v1, s6, v0
	v_add_u32_e32 v0, 0x100, v0
	global_store_byte_d16_hi v1, v5, s[12:13]
	s_or_b64 exec, exec, s[0:1]
	v_cmp_gt_i32_e32 vcc, s8, v0
	s_and_saveexec_b64 s[0:1], vcc
	s_cbranch_execz .LBB74_39
.LBB74_56:
	v_lshrrev_b32_e32 v1, 24, v5
	v_add_u32_e32 v5, s6, v0
	v_add_u32_e32 v0, 0x100, v0
	global_store_byte v5, v1, s[12:13]
	s_or_b64 exec, exec, s[0:1]
	v_cmp_gt_i32_e32 vcc, s8, v0
	s_and_saveexec_b64 s[0:1], vcc
	s_cbranch_execz .LBB74_40
.LBB74_57:
	v_add_u32_e32 v1, s6, v0
	v_add_u32_e32 v0, 0x100, v0
	global_store_byte v1, v4, s[12:13]
	s_or_b64 exec, exec, s[0:1]
	v_cmp_gt_i32_e32 vcc, s8, v0
	s_and_saveexec_b64 s[0:1], vcc
	s_cbranch_execz .LBB74_41
.LBB74_58:
	v_lshrrev_b32_e32 v1, 8, v4
	v_add_u32_e32 v5, s6, v0
	v_add_u32_e32 v0, 0x100, v0
	global_store_byte v5, v1, s[12:13]
	s_or_b64 exec, exec, s[0:1]
	v_cmp_gt_i32_e32 vcc, s8, v0
	s_and_saveexec_b64 s[0:1], vcc
	s_cbranch_execz .LBB74_42
.LBB74_59:
	v_add_u32_e32 v1, s6, v0
	v_add_u32_e32 v0, 0x100, v0
	global_store_byte_d16_hi v1, v4, s[12:13]
	s_or_b64 exec, exec, s[0:1]
	v_cmp_gt_i32_e32 vcc, s8, v0
	s_and_saveexec_b64 s[0:1], vcc
	s_cbranch_execz .LBB74_43
.LBB74_60:
	v_lshrrev_b32_e32 v1, 24, v4
	v_add_u32_e32 v4, s6, v0
	v_add_u32_e32 v0, 0x100, v0
	global_store_byte v4, v1, s[12:13]
	s_or_b64 exec, exec, s[0:1]
	v_cmp_gt_i32_e32 vcc, s8, v0
	s_and_saveexec_b64 s[0:1], vcc
	s_cbranch_execz .LBB74_44
.LBB74_61:
	v_add_u32_e32 v1, s6, v0
	v_add_u32_e32 v0, 0x100, v0
	global_store_byte v1, v3, s[12:13]
	s_or_b64 exec, exec, s[0:1]
	v_cmp_gt_i32_e32 vcc, s8, v0
	s_and_saveexec_b64 s[0:1], vcc
	s_cbranch_execz .LBB74_45
.LBB74_62:
	v_lshrrev_b32_e32 v1, 8, v3
	v_add_u32_e32 v4, s6, v0
	v_add_u32_e32 v0, 0x100, v0
	global_store_byte v4, v1, s[12:13]
	s_or_b64 exec, exec, s[0:1]
	v_cmp_gt_i32_e32 vcc, s8, v0
	s_and_saveexec_b64 s[0:1], vcc
	s_cbranch_execz .LBB74_46
.LBB74_63:
	v_add_u32_e32 v1, s6, v0
	v_add_u32_e32 v0, 0x100, v0
	global_store_byte_d16_hi v1, v3, s[12:13]
	s_or_b64 exec, exec, s[0:1]
	v_cmp_gt_i32_e32 vcc, s8, v0
	s_and_saveexec_b64 s[0:1], vcc
	s_cbranch_execz .LBB74_47
.LBB74_64:
	v_lshrrev_b32_e32 v1, 24, v3
	v_add_u32_e32 v3, s6, v0
	v_add_u32_e32 v0, 0x100, v0
	global_store_byte v3, v1, s[12:13]
	s_or_b64 exec, exec, s[0:1]
	v_cmp_gt_i32_e32 vcc, s8, v0
	s_and_saveexec_b64 s[0:1], vcc
	s_cbranch_execz .LBB74_48
.LBB74_65:
	v_add_u32_e32 v1, s6, v0
	v_add_u32_e32 v0, 0x100, v0
	global_store_byte v1, v2, s[12:13]
	s_or_b64 exec, exec, s[0:1]
	v_cmp_gt_i32_e32 vcc, s8, v0
	s_and_saveexec_b64 s[0:1], vcc
	s_cbranch_execz .LBB74_49
.LBB74_66:
	v_lshrrev_b32_e32 v1, 8, v2
	v_add_u32_e32 v3, s6, v0
	v_add_u32_e32 v0, 0x100, v0
	global_store_byte v3, v1, s[12:13]
	s_or_b64 exec, exec, s[0:1]
	v_cmp_gt_i32_e32 vcc, s8, v0
	s_and_saveexec_b64 s[0:1], vcc
	s_cbranch_execz .LBB74_50
.LBB74_67:
	v_add_u32_e32 v1, s6, v0
	v_add_u32_e32 v0, 0x100, v0
	global_store_byte_d16_hi v1, v2, s[12:13]
	s_or_b64 exec, exec, s[0:1]
	v_cmp_gt_i32_e32 vcc, s8, v0
	s_and_saveexec_b64 s[0:1], vcc
	s_cbranch_execnz .LBB74_51
	s_branch .LBB74_52
	.section	.rodata,"a",@progbits
	.p2align	6, 0x0
	.amdhsa_kernel _ZN2at6native29vectorized_elementwise_kernelILi4ENS0_13AUnaryFunctorIssbNS0_12_GLOBAL__N_116CompareEqFunctorIsEEEESt5arrayIPcLm2EEEEviT0_T1_
		.amdhsa_group_segment_fixed_size 0
		.amdhsa_private_segment_fixed_size 0
		.amdhsa_kernarg_size 32
		.amdhsa_user_sgpr_count 6
		.amdhsa_user_sgpr_private_segment_buffer 1
		.amdhsa_user_sgpr_dispatch_ptr 0
		.amdhsa_user_sgpr_queue_ptr 0
		.amdhsa_user_sgpr_kernarg_segment_ptr 1
		.amdhsa_user_sgpr_dispatch_id 0
		.amdhsa_user_sgpr_flat_scratch_init 0
		.amdhsa_user_sgpr_private_segment_size 0
		.amdhsa_uses_dynamic_stack 0
		.amdhsa_system_sgpr_private_segment_wavefront_offset 0
		.amdhsa_system_sgpr_workgroup_id_x 1
		.amdhsa_system_sgpr_workgroup_id_y 0
		.amdhsa_system_sgpr_workgroup_id_z 0
		.amdhsa_system_sgpr_workgroup_info 0
		.amdhsa_system_vgpr_workitem_id 0
		.amdhsa_next_free_vgpr 21
		.amdhsa_next_free_sgpr 28
		.amdhsa_reserve_vcc 1
		.amdhsa_reserve_flat_scratch 0
		.amdhsa_float_round_mode_32 0
		.amdhsa_float_round_mode_16_64 0
		.amdhsa_float_denorm_mode_32 3
		.amdhsa_float_denorm_mode_16_64 3
		.amdhsa_dx10_clamp 1
		.amdhsa_ieee_mode 1
		.amdhsa_fp16_overflow 0
		.amdhsa_exception_fp_ieee_invalid_op 0
		.amdhsa_exception_fp_denorm_src 0
		.amdhsa_exception_fp_ieee_div_zero 0
		.amdhsa_exception_fp_ieee_overflow 0
		.amdhsa_exception_fp_ieee_underflow 0
		.amdhsa_exception_fp_ieee_inexact 0
		.amdhsa_exception_int_div_zero 0
	.end_amdhsa_kernel
	.section	.text._ZN2at6native29vectorized_elementwise_kernelILi4ENS0_13AUnaryFunctorIssbNS0_12_GLOBAL__N_116CompareEqFunctorIsEEEESt5arrayIPcLm2EEEEviT0_T1_,"axG",@progbits,_ZN2at6native29vectorized_elementwise_kernelILi4ENS0_13AUnaryFunctorIssbNS0_12_GLOBAL__N_116CompareEqFunctorIsEEEESt5arrayIPcLm2EEEEviT0_T1_,comdat
.Lfunc_end74:
	.size	_ZN2at6native29vectorized_elementwise_kernelILi4ENS0_13AUnaryFunctorIssbNS0_12_GLOBAL__N_116CompareEqFunctorIsEEEESt5arrayIPcLm2EEEEviT0_T1_, .Lfunc_end74-_ZN2at6native29vectorized_elementwise_kernelILi4ENS0_13AUnaryFunctorIssbNS0_12_GLOBAL__N_116CompareEqFunctorIsEEEESt5arrayIPcLm2EEEEviT0_T1_
                                        ; -- End function
	.set _ZN2at6native29vectorized_elementwise_kernelILi4ENS0_13AUnaryFunctorIssbNS0_12_GLOBAL__N_116CompareEqFunctorIsEEEESt5arrayIPcLm2EEEEviT0_T1_.num_vgpr, 21
	.set _ZN2at6native29vectorized_elementwise_kernelILi4ENS0_13AUnaryFunctorIssbNS0_12_GLOBAL__N_116CompareEqFunctorIsEEEESt5arrayIPcLm2EEEEviT0_T1_.num_agpr, 0
	.set _ZN2at6native29vectorized_elementwise_kernelILi4ENS0_13AUnaryFunctorIssbNS0_12_GLOBAL__N_116CompareEqFunctorIsEEEESt5arrayIPcLm2EEEEviT0_T1_.numbered_sgpr, 28
	.set _ZN2at6native29vectorized_elementwise_kernelILi4ENS0_13AUnaryFunctorIssbNS0_12_GLOBAL__N_116CompareEqFunctorIsEEEESt5arrayIPcLm2EEEEviT0_T1_.num_named_barrier, 0
	.set _ZN2at6native29vectorized_elementwise_kernelILi4ENS0_13AUnaryFunctorIssbNS0_12_GLOBAL__N_116CompareEqFunctorIsEEEESt5arrayIPcLm2EEEEviT0_T1_.private_seg_size, 0
	.set _ZN2at6native29vectorized_elementwise_kernelILi4ENS0_13AUnaryFunctorIssbNS0_12_GLOBAL__N_116CompareEqFunctorIsEEEESt5arrayIPcLm2EEEEviT0_T1_.uses_vcc, 1
	.set _ZN2at6native29vectorized_elementwise_kernelILi4ENS0_13AUnaryFunctorIssbNS0_12_GLOBAL__N_116CompareEqFunctorIsEEEESt5arrayIPcLm2EEEEviT0_T1_.uses_flat_scratch, 0
	.set _ZN2at6native29vectorized_elementwise_kernelILi4ENS0_13AUnaryFunctorIssbNS0_12_GLOBAL__N_116CompareEqFunctorIsEEEESt5arrayIPcLm2EEEEviT0_T1_.has_dyn_sized_stack, 0
	.set _ZN2at6native29vectorized_elementwise_kernelILi4ENS0_13AUnaryFunctorIssbNS0_12_GLOBAL__N_116CompareEqFunctorIsEEEESt5arrayIPcLm2EEEEviT0_T1_.has_recursion, 0
	.set _ZN2at6native29vectorized_elementwise_kernelILi4ENS0_13AUnaryFunctorIssbNS0_12_GLOBAL__N_116CompareEqFunctorIsEEEESt5arrayIPcLm2EEEEviT0_T1_.has_indirect_call, 0
	.section	.AMDGPU.csdata,"",@progbits
; Kernel info:
; codeLenInByte = 3628
; TotalNumSgprs: 32
; NumVgprs: 21
; ScratchSize: 0
; MemoryBound: 0
; FloatMode: 240
; IeeeMode: 1
; LDSByteSize: 0 bytes/workgroup (compile time only)
; SGPRBlocks: 3
; VGPRBlocks: 5
; NumSGPRsForWavesPerEU: 32
; NumVGPRsForWavesPerEU: 21
; Occupancy: 10
; WaveLimiterHint : 1
; COMPUTE_PGM_RSRC2:SCRATCH_EN: 0
; COMPUTE_PGM_RSRC2:USER_SGPR: 6
; COMPUTE_PGM_RSRC2:TRAP_HANDLER: 0
; COMPUTE_PGM_RSRC2:TGID_X_EN: 1
; COMPUTE_PGM_RSRC2:TGID_Y_EN: 0
; COMPUTE_PGM_RSRC2:TGID_Z_EN: 0
; COMPUTE_PGM_RSRC2:TIDIG_COMP_CNT: 0
	.section	.text._ZN2at6native29vectorized_elementwise_kernelILi2ENS0_13AUnaryFunctorIssbNS0_12_GLOBAL__N_116CompareEqFunctorIsEEEESt5arrayIPcLm2EEEEviT0_T1_,"axG",@progbits,_ZN2at6native29vectorized_elementwise_kernelILi2ENS0_13AUnaryFunctorIssbNS0_12_GLOBAL__N_116CompareEqFunctorIsEEEESt5arrayIPcLm2EEEEviT0_T1_,comdat
	.globl	_ZN2at6native29vectorized_elementwise_kernelILi2ENS0_13AUnaryFunctorIssbNS0_12_GLOBAL__N_116CompareEqFunctorIsEEEESt5arrayIPcLm2EEEEviT0_T1_ ; -- Begin function _ZN2at6native29vectorized_elementwise_kernelILi2ENS0_13AUnaryFunctorIssbNS0_12_GLOBAL__N_116CompareEqFunctorIsEEEESt5arrayIPcLm2EEEEviT0_T1_
	.p2align	8
	.type	_ZN2at6native29vectorized_elementwise_kernelILi2ENS0_13AUnaryFunctorIssbNS0_12_GLOBAL__N_116CompareEqFunctorIsEEEESt5arrayIPcLm2EEEEviT0_T1_,@function
_ZN2at6native29vectorized_elementwise_kernelILi2ENS0_13AUnaryFunctorIssbNS0_12_GLOBAL__N_116CompareEqFunctorIsEEEESt5arrayIPcLm2EEEEviT0_T1_: ; @_ZN2at6native29vectorized_elementwise_kernelILi2ENS0_13AUnaryFunctorIssbNS0_12_GLOBAL__N_116CompareEqFunctorIsEEEESt5arrayIPcLm2EEEEviT0_T1_
; %bb.0:
	s_load_dwordx8 s[8:15], s[4:5], 0x0
	s_lshl_b32 s6, s6, 12
	s_mov_b64 s[0:1], -1
	s_waitcnt lgkmcnt(0)
	s_sub_i32 s8, s8, s6
	s_cmpk_gt_i32 s8, 0xfff
	s_cbranch_scc0 .LBB75_2
; %bb.1:
	s_ashr_i32 s7, s6, 31
	s_lshl_b64 s[0:1], s[6:7], 1
	s_add_u32 s0, s14, s0
	s_addc_u32 s1, s15, s1
	v_lshlrev_b32_e32 v1, 2, v0
	global_load_dword v3, v1, s[0:1]
	global_load_dword v4, v1, s[0:1] offset:1024
	global_load_dword v5, v1, s[0:1] offset:2048
	;; [unrolled: 1-line block ×3, first 2 shown]
	v_mov_b32_e32 v2, s1
	v_add_co_u32_e32 v1, vcc, s0, v1
	v_addc_co_u32_e32 v2, vcc, 0, v2, vcc
	v_add_co_u32_e32 v1, vcc, 0x1000, v1
	v_addc_co_u32_e32 v2, vcc, 0, v2, vcc
	global_load_dword v7, v[1:2], off
	global_load_dword v8, v[1:2], off offset:1024
	global_load_dword v9, v[1:2], off offset:2048
	;; [unrolled: 1-line block ×3, first 2 shown]
	s_cmp_eq_u32 s9, 0
	s_cselect_b64 s[16:17], -1, 0
	s_waitcnt vmcnt(7)
	v_cmp_ne_u16_e32 vcc, s10, v3
	s_waitcnt vmcnt(6)
	v_cmp_ne_u16_e64 s[0:1], s10, v4
	v_cmp_ne_u16_sdwa s[20:21], v4, s10 src0_sel:WORD_1 src1_sel:DWORD
	s_xor_b64 s[0:1], s[16:17], s[0:1]
	v_cmp_ne_u16_sdwa s[18:19], v3, s10 src0_sel:WORD_1 src1_sel:DWORD
	s_waitcnt vmcnt(5)
	v_cmp_ne_u16_e64 s[2:3], s10, v5
	v_cndmask_b32_e64 v3, 0, 1, s[0:1]
	s_xor_b64 s[0:1], s[16:17], s[20:21]
	v_cmp_ne_u16_sdwa s[22:23], v5, s10 src0_sel:WORD_1 src1_sel:DWORD
	v_cndmask_b32_e64 v4, 0, 1, s[0:1]
	s_xor_b64 s[0:1], s[16:17], s[2:3]
	s_waitcnt vmcnt(4)
	v_cmp_ne_u16_e64 s[4:5], s10, v6
	v_cndmask_b32_e64 v5, 0, 1, s[0:1]
	s_xor_b64 s[0:1], s[16:17], s[22:23]
	v_cmp_ne_u16_sdwa s[24:25], v6, s10 src0_sel:WORD_1 src1_sel:DWORD
	v_cndmask_b32_e64 v6, 0, 1, s[0:1]
	s_xor_b64 s[0:1], s[16:17], s[4:5]
	v_cndmask_b32_e64 v11, 0, 1, s[0:1]
	s_xor_b64 s[0:1], s[16:17], s[24:25]
	v_cndmask_b32_e64 v12, 0, 1, s[0:1]
	s_waitcnt vmcnt(2)
	v_cmp_ne_u16_e64 s[0:1], s10, v8
	v_lshlrev_b16_e32 v6, 8, v6
	v_cmp_ne_u16_sdwa s[20:21], v8, s10 src0_sel:WORD_1 src1_sel:DWORD
	s_xor_b64 s[0:1], s[16:17], s[0:1]
	s_waitcnt vmcnt(1)
	v_cmp_ne_u16_e64 s[2:3], s10, v9
	v_or_b32_e32 v5, v5, v6
	v_cndmask_b32_e64 v6, 0, 1, s[0:1]
	s_xor_b64 s[0:1], s[16:17], s[20:21]
	s_xor_b64 s[18:19], s[16:17], s[18:19]
	v_cmp_ne_u16_sdwa s[22:23], v9, s10 src0_sel:WORD_1 src1_sel:DWORD
	v_cndmask_b32_e64 v8, 0, 1, s[0:1]
	s_xor_b64 s[0:1], s[16:17], s[2:3]
	v_cndmask_b32_e64 v2, 0, 1, s[18:19]
	v_cmp_ne_u16_sdwa s[18:19], v7, s10 src0_sel:WORD_1 src1_sel:DWORD
	s_waitcnt vmcnt(0)
	v_cmp_ne_u16_e64 s[4:5], s10, v10
	v_cndmask_b32_e64 v9, 0, 1, s[0:1]
	s_xor_b64 s[0:1], s[16:17], s[22:23]
	s_xor_b64 s[26:27], s[16:17], vcc
	v_lshlrev_b16_e32 v12, 8, v12
	v_lshlrev_b16_e32 v4, 8, v4
	v_cmp_ne_u16_e32 vcc, s10, v7
	v_cmp_ne_u16_sdwa s[24:25], v10, s10 src0_sel:WORD_1 src1_sel:DWORD
	s_xor_b64 s[18:19], s[16:17], s[18:19]
	v_cndmask_b32_e64 v10, 0, 1, s[0:1]
	s_xor_b64 s[0:1], s[16:17], s[4:5]
	v_cndmask_b32_e64 v1, 0, 1, s[26:27]
	v_lshlrev_b16_e32 v2, 8, v2
	v_or_b32_e32 v7, v11, v12
	v_or_b32_e32 v3, v3, v4
	s_xor_b64 s[26:27], s[16:17], vcc
	v_cndmask_b32_e64 v4, 0, 1, s[18:19]
	v_cndmask_b32_e64 v11, 0, 1, s[0:1]
	s_xor_b64 s[0:1], s[16:17], s[24:25]
	v_or_b32_e32 v1, v1, v2
	v_cndmask_b32_e64 v2, 0, 1, s[26:27]
	v_cndmask_b32_e64 v12, 0, 1, s[0:1]
	v_lshlrev_b16_e32 v4, 8, v4
	s_add_u32 s0, s12, s6
	v_lshlrev_b16_e32 v12, 8, v12
	v_lshlrev_b16_e32 v10, 8, v10
	;; [unrolled: 1-line block ×3, first 2 shown]
	v_or_b32_e32 v2, v2, v4
	s_addc_u32 s1, s13, s7
	v_lshlrev_b32_e32 v4, 1, v0
	v_or_b32_e32 v11, v11, v12
	v_or_b32_e32 v9, v9, v10
	;; [unrolled: 1-line block ×3, first 2 shown]
	global_store_short v4, v1, s[0:1]
	global_store_short v4, v3, s[0:1] offset:512
	global_store_short v4, v5, s[0:1] offset:1024
	;; [unrolled: 1-line block ×7, first 2 shown]
	s_mov_b64 s[0:1], 0
.LBB75_2:
	s_andn2_b64 vcc, exec, s[0:1]
	s_cbranch_vccnz .LBB75_52
; %bb.3:
	v_cmp_gt_i32_e32 vcc, s8, v0
	v_mov_b32_e32 v3, 0
	v_or_b32_e32 v1, s6, v0
	v_mov_b32_e32 v2, 0
	v_mov_b32_e32 v4, v0
	s_and_saveexec_b64 s[2:3], vcc
	s_cbranch_execz .LBB75_5
; %bb.4:
	v_mov_b32_e32 v2, 0
	v_lshlrev_b64 v[4:5], 1, v[1:2]
	v_mov_b32_e32 v2, s15
	v_add_co_u32_e64 v4, s[0:1], s14, v4
	v_addc_co_u32_e64 v5, s[0:1], v2, v5, s[0:1]
	global_load_ushort v2, v[4:5], off
	v_or_b32_e32 v4, 0x100, v0
.LBB75_5:
	s_or_b64 exec, exec, s[2:3]
	v_cmp_gt_i32_e64 s[0:1], s8, v4
	s_and_saveexec_b64 s[2:3], s[0:1]
	s_cbranch_execz .LBB75_7
; %bb.6:
	v_add_u32_e32 v5, s6, v4
	v_mov_b32_e32 v6, 0
	v_lshlrev_b64 v[5:6], 1, v[5:6]
	v_mov_b32_e32 v3, s15
	v_add_co_u32_e64 v5, s[0:1], s14, v5
	v_addc_co_u32_e64 v6, s[0:1], v3, v6, s[0:1]
	global_load_ushort v3, v[5:6], off
	v_add_u32_e32 v4, 0x100, v4
.LBB75_7:
	s_or_b64 exec, exec, s[2:3]
	v_cmp_gt_i32_e64 s[0:1], s8, v4
	v_mov_b32_e32 v5, 0
	v_mov_b32_e32 v6, 0
	s_and_saveexec_b64 s[2:3], s[0:1]
	s_cbranch_execz .LBB75_9
; %bb.8:
	v_add_u32_e32 v6, s6, v4
	v_mov_b32_e32 v7, 0
	v_lshlrev_b64 v[6:7], 1, v[6:7]
	v_mov_b32_e32 v8, s15
	v_add_co_u32_e64 v6, s[0:1], s14, v6
	v_addc_co_u32_e64 v7, s[0:1], v8, v7, s[0:1]
	global_load_ushort v6, v[6:7], off
	v_add_u32_e32 v4, 0x100, v4
.LBB75_9:
	s_or_b64 exec, exec, s[2:3]
	v_cmp_gt_i32_e64 s[0:1], s8, v4
	s_and_saveexec_b64 s[2:3], s[0:1]
	s_cbranch_execz .LBB75_11
; %bb.10:
	v_add_u32_e32 v7, s6, v4
	v_mov_b32_e32 v8, 0
	v_lshlrev_b64 v[7:8], 1, v[7:8]
	v_mov_b32_e32 v5, s15
	v_add_co_u32_e64 v7, s[0:1], s14, v7
	v_addc_co_u32_e64 v8, s[0:1], v5, v8, s[0:1]
	global_load_ushort v5, v[7:8], off
	v_add_u32_e32 v4, 0x100, v4
.LBB75_11:
	s_or_b64 exec, exec, s[2:3]
	v_cmp_gt_i32_e64 s[0:1], s8, v4
	v_mov_b32_e32 v7, 0
	v_mov_b32_e32 v8, 0
	s_and_saveexec_b64 s[2:3], s[0:1]
	s_cbranch_execz .LBB75_13
; %bb.12:
	v_add_u32_e32 v8, s6, v4
	v_mov_b32_e32 v9, 0
	v_lshlrev_b64 v[8:9], 1, v[8:9]
	v_mov_b32_e32 v10, s15
	v_add_co_u32_e64 v8, s[0:1], s14, v8
	v_addc_co_u32_e64 v9, s[0:1], v10, v9, s[0:1]
	global_load_ushort v8, v[8:9], off
	v_add_u32_e32 v4, 0x100, v4
.LBB75_13:
	;; [unrolled: 30-line block ×7, first 2 shown]
	s_or_b64 exec, exec, s[2:3]
	v_cmp_gt_i32_e64 s[0:1], s8, v4
	s_and_saveexec_b64 s[2:3], s[0:1]
	s_cbranch_execz .LBB75_35
; %bb.34:
	v_add_u32_e32 v19, s6, v4
	v_mov_b32_e32 v20, 0
	v_lshlrev_b64 v[19:20], 1, v[19:20]
	v_mov_b32_e32 v4, s15
	v_add_co_u32_e64 v19, s[0:1], s14, v19
	v_addc_co_u32_e64 v20, s[0:1], v4, v20, s[0:1]
	global_load_ushort v17, v[19:20], off
.LBB75_35:
	s_or_b64 exec, exec, s[2:3]
	s_cmp_eq_u32 s9, 0
	s_cselect_b64 s[2:3], -1, 0
	s_waitcnt vmcnt(0)
	v_cmp_ne_u16_e64 s[0:1], s10, v2
	s_xor_b64 s[0:1], s[2:3], s[0:1]
	v_cndmask_b32_e64 v2, 0, 1, s[0:1]
	v_cmp_ne_u16_e64 s[0:1], s10, v3
	s_xor_b64 s[0:1], s[2:3], s[0:1]
	v_cndmask_b32_e64 v3, 0, 1, s[0:1]
	v_cndmask_b32_e32 v2, 0, v2, vcc
	v_lshlrev_b16_e32 v3, 8, v3
	v_or_b32_e32 v19, 0x100, v0
	v_or_b32_e32 v3, v2, v3
	v_and_b32_e32 v3, 0xffff, v3
	v_cmp_gt_i32_e64 s[0:1], s8, v19
	v_cndmask_b32_e64 v2, v2, v3, s[0:1]
	v_cmp_ne_u16_e64 s[0:1], s10, v6
	s_xor_b64 s[0:1], s[2:3], s[0:1]
	v_or_b32_e32 v3, 0x200, v0
	v_cndmask_b32_e64 v4, 0, 1, s[0:1]
	v_lshl_or_b32 v4, v4, 16, v2
	v_cmp_gt_i32_e64 s[0:1], s8, v3
	v_cndmask_b32_e64 v2, v2, v4, s[0:1]
	v_cmp_ne_u16_e64 s[0:1], s10, v5
	s_xor_b64 s[0:1], s[2:3], s[0:1]
	s_movk_i32 s5, 0xff
	v_cndmask_b32_e64 v5, 0, 1, s[0:1]
	v_and_b32_sdwa v3, v2, s5 dst_sel:DWORD dst_unused:UNUSED_PAD src0_sel:WORD_1 src1_sel:DWORD
	v_lshlrev_b16_e32 v5, 8, v5
	s_mov_b32 s4, 0xffff
	v_or_b32_e32 v4, 0x300, v0
	v_or_b32_sdwa v3, v3, v5 dst_sel:WORD_1 dst_unused:UNUSED_PAD src0_sel:DWORD src1_sel:DWORD
	v_and_or_b32 v3, v2, s4, v3
	v_cmp_gt_i32_e64 s[0:1], s8, v4
	v_cndmask_b32_e64 v5, v2, v3, s[0:1]
	v_cmp_ne_u16_e64 s[0:1], s10, v8
	s_xor_b64 s[0:1], s[2:3], s[0:1]
	v_cndmask_b32_e64 v2, 0, 1, s[0:1]
	v_or_b32_e32 v3, 0x400, v0
	v_and_b32_e32 v2, 0xffff, v2
	v_cmp_gt_i32_e64 s[0:1], s8, v3
	v_cndmask_b32_e64 v2, 0, v2, s[0:1]
	v_cmp_ne_u16_e64 s[0:1], s10, v7
	s_xor_b64 s[0:1], s[2:3], s[0:1]
	v_cndmask_b32_e64 v4, 0, 1, s[0:1]
	v_lshlrev_b16_e32 v4, 8, v4
	v_or_b32_e32 v3, 0x500, v0
	v_or_b32_sdwa v4, v2, v4 dst_sel:DWORD dst_unused:UNUSED_PAD src0_sel:BYTE_0 src1_sel:DWORD
	v_and_b32_e32 v4, 0xffff, v4
	v_cmp_gt_i32_e64 s[0:1], s8, v3
	v_cndmask_b32_e64 v2, v2, v4, s[0:1]
	v_cmp_ne_u16_e64 s[0:1], s10, v10
	s_movk_i32 s7, 0xff00
	s_xor_b64 s[0:1], s[2:3], s[0:1]
	v_and_b32_sdwa v3, v2, s7 dst_sel:DWORD dst_unused:UNUSED_PAD src0_sel:WORD_1 src1_sel:DWORD
	v_cndmask_b32_e64 v4, 0, 1, s[0:1]
	v_or_b32_sdwa v3, v4, v3 dst_sel:WORD_1 dst_unused:UNUSED_PAD src0_sel:DWORD src1_sel:DWORD
	v_or_b32_e32 v4, 0x600, v0
	v_and_or_b32 v3, v2, s4, v3
	v_cmp_gt_i32_e64 s[0:1], s8, v4
	v_cndmask_b32_e64 v2, v2, v3, s[0:1]
	v_cmp_ne_u16_e64 s[0:1], s10, v9
	s_xor_b64 s[0:1], s[2:3], s[0:1]
	v_cndmask_b32_e64 v6, 0, 1, s[0:1]
	v_and_b32_sdwa v3, v2, s5 dst_sel:DWORD dst_unused:UNUSED_PAD src0_sel:WORD_1 src1_sel:DWORD
	v_lshlrev_b16_e32 v6, 8, v6
	v_or_b32_e32 v4, 0x700, v0
	v_or_b32_sdwa v3, v3, v6 dst_sel:WORD_1 dst_unused:UNUSED_PAD src0_sel:DWORD src1_sel:DWORD
	v_and_or_b32 v3, v2, s4, v3
	v_cmp_gt_i32_e64 s[0:1], s8, v4
	v_cndmask_b32_e64 v4, v2, v3, s[0:1]
	v_cmp_ne_u16_e64 s[0:1], s10, v12
	v_or_b32_e32 v2, 0x800, v0
	s_xor_b64 s[0:1], s[2:3], s[0:1]
	v_cndmask_b32_e64 v3, 0, 1, s[0:1]
	v_cmp_gt_i32_e64 s[0:1], s8, v2
	v_cndmask_b32_e64 v2, 0, v3, s[0:1]
	v_cmp_ne_u16_e64 s[0:1], s10, v11
	s_xor_b64 s[0:1], s[2:3], s[0:1]
	v_cndmask_b32_e64 v6, 0, 1, s[0:1]
	v_lshlrev_b16_e32 v6, 8, v6
	v_or_b32_e32 v3, 0x900, v0
	v_or_b32_e32 v6, v2, v6
	v_and_b32_e32 v6, 0xffff, v6
	v_cmp_gt_i32_e64 s[0:1], s8, v3
	v_cndmask_b32_e64 v2, v2, v6, s[0:1]
	v_cmp_ne_u16_e64 s[0:1], s10, v14
	s_xor_b64 s[0:1], s[2:3], s[0:1]
	v_cndmask_b32_e64 v6, 0, 1, s[0:1]
	v_or_b32_e32 v3, 0xa00, v0
	v_lshlrev_b32_e32 v6, 16, v6
	s_movk_i32 s0, 0x1ff
	v_and_or_b32 v6, v2, s0, v6
	v_cmp_gt_i32_e64 s[0:1], s8, v3
	v_cndmask_b32_e64 v2, v2, v6, s[0:1]
	v_cmp_ne_u16_e64 s[0:1], s10, v13
	s_xor_b64 s[0:1], s[2:3], s[0:1]
	v_cndmask_b32_e64 v7, 0, 1, s[0:1]
	v_and_b32_sdwa v3, v2, s5 dst_sel:DWORD dst_unused:UNUSED_PAD src0_sel:WORD_1 src1_sel:DWORD
	v_lshlrev_b16_e32 v7, 8, v7
	v_or_b32_e32 v6, 0xb00, v0
	v_or_b32_sdwa v3, v3, v7 dst_sel:WORD_1 dst_unused:UNUSED_PAD src0_sel:DWORD src1_sel:DWORD
	v_and_or_b32 v3, v2, s4, v3
	v_cmp_gt_i32_e64 s[0:1], s8, v6
	v_cndmask_b32_e64 v3, v2, v3, s[0:1]
	v_cmp_ne_u16_e64 s[0:1], s10, v16
	v_or_b32_e32 v2, 0xc00, v0
	s_xor_b64 s[0:1], s[2:3], s[0:1]
	v_cndmask_b32_e64 v6, 0, 1, s[0:1]
	v_cmp_gt_i32_e64 s[0:1], s8, v2
	v_cndmask_b32_e64 v2, 0, v6, s[0:1]
	v_cmp_ne_u16_e64 s[0:1], s10, v15
	s_xor_b64 s[0:1], s[2:3], s[0:1]
	v_cndmask_b32_e64 v7, 0, 1, s[0:1]
	v_lshlrev_b16_e32 v7, 8, v7
	v_or_b32_e32 v6, 0xd00, v0
	v_or_b32_sdwa v7, v2, v7 dst_sel:DWORD dst_unused:UNUSED_PAD src0_sel:BYTE_0 src1_sel:DWORD
	v_and_b32_e32 v7, 0xffff, v7
	v_cmp_gt_i32_e64 s[0:1], s8, v6
	v_cndmask_b32_e64 v2, v2, v7, s[0:1]
	v_cmp_ne_u16_e64 s[0:1], s10, v18
	s_xor_b64 s[0:1], s[2:3], s[0:1]
	v_and_b32_sdwa v6, v2, s7 dst_sel:DWORD dst_unused:UNUSED_PAD src0_sel:WORD_1 src1_sel:DWORD
	v_cndmask_b32_e64 v7, 0, 1, s[0:1]
	v_or_b32_sdwa v6, v7, v6 dst_sel:WORD_1 dst_unused:UNUSED_PAD src0_sel:DWORD src1_sel:DWORD
	v_or_b32_e32 v7, 0xe00, v0
	v_and_or_b32 v6, v2, s4, v6
	v_cmp_gt_i32_e64 s[0:1], s8, v7
	v_cndmask_b32_e64 v2, v2, v6, s[0:1]
	v_cmp_ne_u16_e64 s[0:1], s10, v17
	s_xor_b64 s[0:1], s[2:3], s[0:1]
	v_cndmask_b32_e64 v8, 0, 1, s[0:1]
	v_and_b32_sdwa v6, v2, s5 dst_sel:DWORD dst_unused:UNUSED_PAD src0_sel:WORD_1 src1_sel:DWORD
	v_lshlrev_b16_e32 v8, 8, v8
	v_or_b32_e32 v7, 0xf00, v0
	v_or_b32_sdwa v6, v6, v8 dst_sel:WORD_1 dst_unused:UNUSED_PAD src0_sel:DWORD src1_sel:DWORD
	v_and_or_b32 v6, v2, s4, v6
	v_cmp_gt_i32_e64 s[0:1], s8, v7
	v_cndmask_b32_e64 v2, v2, v6, s[0:1]
	s_and_saveexec_b64 s[0:1], vcc
	s_cbranch_execnz .LBB75_53
; %bb.36:
	s_or_b64 exec, exec, s[0:1]
	v_cmp_gt_i32_e32 vcc, s8, v0
	s_and_saveexec_b64 s[0:1], vcc
	s_cbranch_execnz .LBB75_54
.LBB75_37:
	s_or_b64 exec, exec, s[0:1]
	v_cmp_gt_i32_e32 vcc, s8, v0
	s_and_saveexec_b64 s[0:1], vcc
	s_cbranch_execnz .LBB75_55
.LBB75_38:
	s_or_b64 exec, exec, s[0:1]
	v_cmp_gt_i32_e32 vcc, s8, v0
	s_and_saveexec_b64 s[0:1], vcc
	s_cbranch_execnz .LBB75_56
.LBB75_39:
	s_or_b64 exec, exec, s[0:1]
	v_cmp_gt_i32_e32 vcc, s8, v0
	s_and_saveexec_b64 s[0:1], vcc
	s_cbranch_execnz .LBB75_57
.LBB75_40:
	s_or_b64 exec, exec, s[0:1]
	v_cmp_gt_i32_e32 vcc, s8, v0
	s_and_saveexec_b64 s[0:1], vcc
	s_cbranch_execnz .LBB75_58
.LBB75_41:
	s_or_b64 exec, exec, s[0:1]
	v_cmp_gt_i32_e32 vcc, s8, v0
	s_and_saveexec_b64 s[0:1], vcc
	s_cbranch_execnz .LBB75_59
.LBB75_42:
	s_or_b64 exec, exec, s[0:1]
	v_cmp_gt_i32_e32 vcc, s8, v0
	s_and_saveexec_b64 s[0:1], vcc
	s_cbranch_execnz .LBB75_60
.LBB75_43:
	s_or_b64 exec, exec, s[0:1]
	v_cmp_gt_i32_e32 vcc, s8, v0
	s_and_saveexec_b64 s[0:1], vcc
	s_cbranch_execnz .LBB75_61
.LBB75_44:
	s_or_b64 exec, exec, s[0:1]
	v_cmp_gt_i32_e32 vcc, s8, v0
	s_and_saveexec_b64 s[0:1], vcc
	s_cbranch_execnz .LBB75_62
.LBB75_45:
	s_or_b64 exec, exec, s[0:1]
	v_cmp_gt_i32_e32 vcc, s8, v0
	s_and_saveexec_b64 s[0:1], vcc
	s_cbranch_execnz .LBB75_63
.LBB75_46:
	s_or_b64 exec, exec, s[0:1]
	v_cmp_gt_i32_e32 vcc, s8, v0
	s_and_saveexec_b64 s[0:1], vcc
	s_cbranch_execnz .LBB75_64
.LBB75_47:
	s_or_b64 exec, exec, s[0:1]
	v_cmp_gt_i32_e32 vcc, s8, v0
	s_and_saveexec_b64 s[0:1], vcc
	s_cbranch_execnz .LBB75_65
.LBB75_48:
	s_or_b64 exec, exec, s[0:1]
	v_cmp_gt_i32_e32 vcc, s8, v0
	s_and_saveexec_b64 s[0:1], vcc
	s_cbranch_execnz .LBB75_66
.LBB75_49:
	s_or_b64 exec, exec, s[0:1]
	v_cmp_gt_i32_e32 vcc, s8, v0
	s_and_saveexec_b64 s[0:1], vcc
	s_cbranch_execnz .LBB75_67
.LBB75_50:
	s_or_b64 exec, exec, s[0:1]
	v_cmp_gt_i32_e32 vcc, s8, v0
	s_and_saveexec_b64 s[0:1], vcc
	s_cbranch_execz .LBB75_52
.LBB75_51:
	v_lshrrev_b32_e32 v1, 24, v2
	v_add_u32_e32 v0, s6, v0
	global_store_byte v0, v1, s[12:13]
.LBB75_52:
	s_endpgm
.LBB75_53:
	v_mov_b32_e32 v0, v19
	global_store_byte v1, v5, s[12:13]
	s_or_b64 exec, exec, s[0:1]
	v_cmp_gt_i32_e32 vcc, s8, v0
	s_and_saveexec_b64 s[0:1], vcc
	s_cbranch_execz .LBB75_37
.LBB75_54:
	v_lshrrev_b32_e32 v1, 8, v5
	v_add_u32_e32 v6, s6, v0
	v_add_u32_e32 v0, 0x100, v0
	global_store_byte v6, v1, s[12:13]
	s_or_b64 exec, exec, s[0:1]
	v_cmp_gt_i32_e32 vcc, s8, v0
	s_and_saveexec_b64 s[0:1], vcc
	s_cbranch_execz .LBB75_38
.LBB75_55:
	v_add_u32_e32 v1, s6, v0
	v_add_u32_e32 v0, 0x100, v0
	global_store_byte_d16_hi v1, v5, s[12:13]
	s_or_b64 exec, exec, s[0:1]
	v_cmp_gt_i32_e32 vcc, s8, v0
	s_and_saveexec_b64 s[0:1], vcc
	s_cbranch_execz .LBB75_39
.LBB75_56:
	v_lshrrev_b32_e32 v1, 24, v5
	v_add_u32_e32 v5, s6, v0
	v_add_u32_e32 v0, 0x100, v0
	global_store_byte v5, v1, s[12:13]
	s_or_b64 exec, exec, s[0:1]
	v_cmp_gt_i32_e32 vcc, s8, v0
	s_and_saveexec_b64 s[0:1], vcc
	s_cbranch_execz .LBB75_40
.LBB75_57:
	v_add_u32_e32 v1, s6, v0
	v_add_u32_e32 v0, 0x100, v0
	global_store_byte v1, v4, s[12:13]
	s_or_b64 exec, exec, s[0:1]
	v_cmp_gt_i32_e32 vcc, s8, v0
	s_and_saveexec_b64 s[0:1], vcc
	s_cbranch_execz .LBB75_41
.LBB75_58:
	v_lshrrev_b32_e32 v1, 8, v4
	v_add_u32_e32 v5, s6, v0
	v_add_u32_e32 v0, 0x100, v0
	global_store_byte v5, v1, s[12:13]
	s_or_b64 exec, exec, s[0:1]
	v_cmp_gt_i32_e32 vcc, s8, v0
	s_and_saveexec_b64 s[0:1], vcc
	s_cbranch_execz .LBB75_42
.LBB75_59:
	v_add_u32_e32 v1, s6, v0
	v_add_u32_e32 v0, 0x100, v0
	global_store_byte_d16_hi v1, v4, s[12:13]
	s_or_b64 exec, exec, s[0:1]
	v_cmp_gt_i32_e32 vcc, s8, v0
	s_and_saveexec_b64 s[0:1], vcc
	s_cbranch_execz .LBB75_43
.LBB75_60:
	v_lshrrev_b32_e32 v1, 24, v4
	v_add_u32_e32 v4, s6, v0
	v_add_u32_e32 v0, 0x100, v0
	global_store_byte v4, v1, s[12:13]
	s_or_b64 exec, exec, s[0:1]
	v_cmp_gt_i32_e32 vcc, s8, v0
	s_and_saveexec_b64 s[0:1], vcc
	s_cbranch_execz .LBB75_44
.LBB75_61:
	v_add_u32_e32 v1, s6, v0
	v_add_u32_e32 v0, 0x100, v0
	global_store_byte v1, v3, s[12:13]
	s_or_b64 exec, exec, s[0:1]
	v_cmp_gt_i32_e32 vcc, s8, v0
	s_and_saveexec_b64 s[0:1], vcc
	s_cbranch_execz .LBB75_45
.LBB75_62:
	v_lshrrev_b32_e32 v1, 8, v3
	v_add_u32_e32 v4, s6, v0
	v_add_u32_e32 v0, 0x100, v0
	global_store_byte v4, v1, s[12:13]
	s_or_b64 exec, exec, s[0:1]
	v_cmp_gt_i32_e32 vcc, s8, v0
	s_and_saveexec_b64 s[0:1], vcc
	s_cbranch_execz .LBB75_46
.LBB75_63:
	v_add_u32_e32 v1, s6, v0
	v_add_u32_e32 v0, 0x100, v0
	global_store_byte_d16_hi v1, v3, s[12:13]
	s_or_b64 exec, exec, s[0:1]
	v_cmp_gt_i32_e32 vcc, s8, v0
	s_and_saveexec_b64 s[0:1], vcc
	s_cbranch_execz .LBB75_47
.LBB75_64:
	v_lshrrev_b32_e32 v1, 24, v3
	v_add_u32_e32 v3, s6, v0
	v_add_u32_e32 v0, 0x100, v0
	global_store_byte v3, v1, s[12:13]
	s_or_b64 exec, exec, s[0:1]
	v_cmp_gt_i32_e32 vcc, s8, v0
	s_and_saveexec_b64 s[0:1], vcc
	s_cbranch_execz .LBB75_48
.LBB75_65:
	v_add_u32_e32 v1, s6, v0
	v_add_u32_e32 v0, 0x100, v0
	global_store_byte v1, v2, s[12:13]
	s_or_b64 exec, exec, s[0:1]
	v_cmp_gt_i32_e32 vcc, s8, v0
	s_and_saveexec_b64 s[0:1], vcc
	s_cbranch_execz .LBB75_49
.LBB75_66:
	v_lshrrev_b32_e32 v1, 8, v2
	v_add_u32_e32 v3, s6, v0
	v_add_u32_e32 v0, 0x100, v0
	global_store_byte v3, v1, s[12:13]
	s_or_b64 exec, exec, s[0:1]
	v_cmp_gt_i32_e32 vcc, s8, v0
	s_and_saveexec_b64 s[0:1], vcc
	s_cbranch_execz .LBB75_50
.LBB75_67:
	v_add_u32_e32 v1, s6, v0
	v_add_u32_e32 v0, 0x100, v0
	global_store_byte_d16_hi v1, v2, s[12:13]
	s_or_b64 exec, exec, s[0:1]
	v_cmp_gt_i32_e32 vcc, s8, v0
	s_and_saveexec_b64 s[0:1], vcc
	s_cbranch_execnz .LBB75_51
	s_branch .LBB75_52
	.section	.rodata,"a",@progbits
	.p2align	6, 0x0
	.amdhsa_kernel _ZN2at6native29vectorized_elementwise_kernelILi2ENS0_13AUnaryFunctorIssbNS0_12_GLOBAL__N_116CompareEqFunctorIsEEEESt5arrayIPcLm2EEEEviT0_T1_
		.amdhsa_group_segment_fixed_size 0
		.amdhsa_private_segment_fixed_size 0
		.amdhsa_kernarg_size 32
		.amdhsa_user_sgpr_count 6
		.amdhsa_user_sgpr_private_segment_buffer 1
		.amdhsa_user_sgpr_dispatch_ptr 0
		.amdhsa_user_sgpr_queue_ptr 0
		.amdhsa_user_sgpr_kernarg_segment_ptr 1
		.amdhsa_user_sgpr_dispatch_id 0
		.amdhsa_user_sgpr_flat_scratch_init 0
		.amdhsa_user_sgpr_private_segment_size 0
		.amdhsa_uses_dynamic_stack 0
		.amdhsa_system_sgpr_private_segment_wavefront_offset 0
		.amdhsa_system_sgpr_workgroup_id_x 1
		.amdhsa_system_sgpr_workgroup_id_y 0
		.amdhsa_system_sgpr_workgroup_id_z 0
		.amdhsa_system_sgpr_workgroup_info 0
		.amdhsa_system_vgpr_workitem_id 0
		.amdhsa_next_free_vgpr 21
		.amdhsa_next_free_sgpr 28
		.amdhsa_reserve_vcc 1
		.amdhsa_reserve_flat_scratch 0
		.amdhsa_float_round_mode_32 0
		.amdhsa_float_round_mode_16_64 0
		.amdhsa_float_denorm_mode_32 3
		.amdhsa_float_denorm_mode_16_64 3
		.amdhsa_dx10_clamp 1
		.amdhsa_ieee_mode 1
		.amdhsa_fp16_overflow 0
		.amdhsa_exception_fp_ieee_invalid_op 0
		.amdhsa_exception_fp_denorm_src 0
		.amdhsa_exception_fp_ieee_div_zero 0
		.amdhsa_exception_fp_ieee_overflow 0
		.amdhsa_exception_fp_ieee_underflow 0
		.amdhsa_exception_fp_ieee_inexact 0
		.amdhsa_exception_int_div_zero 0
	.end_amdhsa_kernel
	.section	.text._ZN2at6native29vectorized_elementwise_kernelILi2ENS0_13AUnaryFunctorIssbNS0_12_GLOBAL__N_116CompareEqFunctorIsEEEESt5arrayIPcLm2EEEEviT0_T1_,"axG",@progbits,_ZN2at6native29vectorized_elementwise_kernelILi2ENS0_13AUnaryFunctorIssbNS0_12_GLOBAL__N_116CompareEqFunctorIsEEEESt5arrayIPcLm2EEEEviT0_T1_,comdat
.Lfunc_end75:
	.size	_ZN2at6native29vectorized_elementwise_kernelILi2ENS0_13AUnaryFunctorIssbNS0_12_GLOBAL__N_116CompareEqFunctorIsEEEESt5arrayIPcLm2EEEEviT0_T1_, .Lfunc_end75-_ZN2at6native29vectorized_elementwise_kernelILi2ENS0_13AUnaryFunctorIssbNS0_12_GLOBAL__N_116CompareEqFunctorIsEEEESt5arrayIPcLm2EEEEviT0_T1_
                                        ; -- End function
	.set _ZN2at6native29vectorized_elementwise_kernelILi2ENS0_13AUnaryFunctorIssbNS0_12_GLOBAL__N_116CompareEqFunctorIsEEEESt5arrayIPcLm2EEEEviT0_T1_.num_vgpr, 21
	.set _ZN2at6native29vectorized_elementwise_kernelILi2ENS0_13AUnaryFunctorIssbNS0_12_GLOBAL__N_116CompareEqFunctorIsEEEESt5arrayIPcLm2EEEEviT0_T1_.num_agpr, 0
	.set _ZN2at6native29vectorized_elementwise_kernelILi2ENS0_13AUnaryFunctorIssbNS0_12_GLOBAL__N_116CompareEqFunctorIsEEEESt5arrayIPcLm2EEEEviT0_T1_.numbered_sgpr, 28
	.set _ZN2at6native29vectorized_elementwise_kernelILi2ENS0_13AUnaryFunctorIssbNS0_12_GLOBAL__N_116CompareEqFunctorIsEEEESt5arrayIPcLm2EEEEviT0_T1_.num_named_barrier, 0
	.set _ZN2at6native29vectorized_elementwise_kernelILi2ENS0_13AUnaryFunctorIssbNS0_12_GLOBAL__N_116CompareEqFunctorIsEEEESt5arrayIPcLm2EEEEviT0_T1_.private_seg_size, 0
	.set _ZN2at6native29vectorized_elementwise_kernelILi2ENS0_13AUnaryFunctorIssbNS0_12_GLOBAL__N_116CompareEqFunctorIsEEEESt5arrayIPcLm2EEEEviT0_T1_.uses_vcc, 1
	.set _ZN2at6native29vectorized_elementwise_kernelILi2ENS0_13AUnaryFunctorIssbNS0_12_GLOBAL__N_116CompareEqFunctorIsEEEESt5arrayIPcLm2EEEEviT0_T1_.uses_flat_scratch, 0
	.set _ZN2at6native29vectorized_elementwise_kernelILi2ENS0_13AUnaryFunctorIssbNS0_12_GLOBAL__N_116CompareEqFunctorIsEEEESt5arrayIPcLm2EEEEviT0_T1_.has_dyn_sized_stack, 0
	.set _ZN2at6native29vectorized_elementwise_kernelILi2ENS0_13AUnaryFunctorIssbNS0_12_GLOBAL__N_116CompareEqFunctorIsEEEESt5arrayIPcLm2EEEEviT0_T1_.has_recursion, 0
	.set _ZN2at6native29vectorized_elementwise_kernelILi2ENS0_13AUnaryFunctorIssbNS0_12_GLOBAL__N_116CompareEqFunctorIsEEEESt5arrayIPcLm2EEEEviT0_T1_.has_indirect_call, 0
	.section	.AMDGPU.csdata,"",@progbits
; Kernel info:
; codeLenInByte = 3656
; TotalNumSgprs: 32
; NumVgprs: 21
; ScratchSize: 0
; MemoryBound: 0
; FloatMode: 240
; IeeeMode: 1
; LDSByteSize: 0 bytes/workgroup (compile time only)
; SGPRBlocks: 3
; VGPRBlocks: 5
; NumSGPRsForWavesPerEU: 32
; NumVGPRsForWavesPerEU: 21
; Occupancy: 10
; WaveLimiterHint : 1
; COMPUTE_PGM_RSRC2:SCRATCH_EN: 0
; COMPUTE_PGM_RSRC2:USER_SGPR: 6
; COMPUTE_PGM_RSRC2:TRAP_HANDLER: 0
; COMPUTE_PGM_RSRC2:TGID_X_EN: 1
; COMPUTE_PGM_RSRC2:TGID_Y_EN: 0
; COMPUTE_PGM_RSRC2:TGID_Z_EN: 0
; COMPUTE_PGM_RSRC2:TIDIG_COMP_CNT: 0
	.section	.text._ZN2at6native27unrolled_elementwise_kernelINS0_13AUnaryFunctorIssbNS0_12_GLOBAL__N_116CompareEqFunctorIsEEEESt5arrayIPcLm2EELi4E23TrivialOffsetCalculatorILi1EjESB_NS0_6memory15LoadWithoutCastENSC_16StoreWithoutCastEEEviT_T0_T2_T3_T4_T5_,"axG",@progbits,_ZN2at6native27unrolled_elementwise_kernelINS0_13AUnaryFunctorIssbNS0_12_GLOBAL__N_116CompareEqFunctorIsEEEESt5arrayIPcLm2EELi4E23TrivialOffsetCalculatorILi1EjESB_NS0_6memory15LoadWithoutCastENSC_16StoreWithoutCastEEEviT_T0_T2_T3_T4_T5_,comdat
	.globl	_ZN2at6native27unrolled_elementwise_kernelINS0_13AUnaryFunctorIssbNS0_12_GLOBAL__N_116CompareEqFunctorIsEEEESt5arrayIPcLm2EELi4E23TrivialOffsetCalculatorILi1EjESB_NS0_6memory15LoadWithoutCastENSC_16StoreWithoutCastEEEviT_T0_T2_T3_T4_T5_ ; -- Begin function _ZN2at6native27unrolled_elementwise_kernelINS0_13AUnaryFunctorIssbNS0_12_GLOBAL__N_116CompareEqFunctorIsEEEESt5arrayIPcLm2EELi4E23TrivialOffsetCalculatorILi1EjESB_NS0_6memory15LoadWithoutCastENSC_16StoreWithoutCastEEEviT_T0_T2_T3_T4_T5_
	.p2align	8
	.type	_ZN2at6native27unrolled_elementwise_kernelINS0_13AUnaryFunctorIssbNS0_12_GLOBAL__N_116CompareEqFunctorIsEEEESt5arrayIPcLm2EELi4E23TrivialOffsetCalculatorILi1EjESB_NS0_6memory15LoadWithoutCastENSC_16StoreWithoutCastEEEviT_T0_T2_T3_T4_T5_,@function
_ZN2at6native27unrolled_elementwise_kernelINS0_13AUnaryFunctorIssbNS0_12_GLOBAL__N_116CompareEqFunctorIsEEEESt5arrayIPcLm2EELi4E23TrivialOffsetCalculatorILi1EjESB_NS0_6memory15LoadWithoutCastENSC_16StoreWithoutCastEEEviT_T0_T2_T3_T4_T5_: ; @_ZN2at6native27unrolled_elementwise_kernelINS0_13AUnaryFunctorIssbNS0_12_GLOBAL__N_116CompareEqFunctorIsEEEESt5arrayIPcLm2EELi4E23TrivialOffsetCalculatorILi1EjESB_NS0_6memory15LoadWithoutCastENSC_16StoreWithoutCastEEEviT_T0_T2_T3_T4_T5_
; %bb.0:
	s_load_dwordx8 s[8:15], s[4:5], 0x0
	s_lshl_b32 s4, s6, 10
	v_mov_b32_e32 v3, 0
	v_or_b32_e32 v1, s4, v0
	v_mov_b32_e32 v2, 0
	s_waitcnt lgkmcnt(0)
	s_sub_i32 s5, s8, s4
	v_cmp_gt_i32_e32 vcc, s5, v0
	v_mov_b32_e32 v4, v0
	s_and_saveexec_b64 s[2:3], vcc
	s_cbranch_execz .LBB76_2
; %bb.1:
	v_mov_b32_e32 v2, 0
	v_lshlrev_b64 v[4:5], 1, v[1:2]
	v_mov_b32_e32 v2, s15
	v_add_co_u32_e64 v4, s[0:1], s14, v4
	v_addc_co_u32_e64 v5, s[0:1], v2, v5, s[0:1]
	global_load_ushort v2, v[4:5], off
	v_or_b32_e32 v4, 0x100, v0
.LBB76_2:
	s_or_b64 exec, exec, s[2:3]
	v_cmp_gt_i32_e64 s[0:1], s5, v4
	s_and_saveexec_b64 s[2:3], s[0:1]
	s_cbranch_execz .LBB76_4
; %bb.3:
	v_add_u32_e32 v5, s4, v4
	v_mov_b32_e32 v6, 0
	v_lshlrev_b64 v[5:6], 1, v[5:6]
	v_mov_b32_e32 v3, s15
	v_add_co_u32_e64 v5, s[0:1], s14, v5
	v_addc_co_u32_e64 v6, s[0:1], v3, v6, s[0:1]
	global_load_ushort v3, v[5:6], off
	v_add_u32_e32 v4, 0x100, v4
.LBB76_4:
	s_or_b64 exec, exec, s[2:3]
	v_cmp_gt_i32_e64 s[0:1], s5, v4
	v_mov_b32_e32 v5, 0
	v_mov_b32_e32 v6, 0
	s_and_saveexec_b64 s[2:3], s[0:1]
	s_cbranch_execz .LBB76_6
; %bb.5:
	v_add_u32_e32 v6, s4, v4
	v_mov_b32_e32 v7, 0
	v_lshlrev_b64 v[6:7], 1, v[6:7]
	v_mov_b32_e32 v8, s15
	v_add_co_u32_e64 v6, s[0:1], s14, v6
	v_addc_co_u32_e64 v7, s[0:1], v8, v7, s[0:1]
	global_load_ushort v6, v[6:7], off
	v_add_u32_e32 v4, 0x100, v4
.LBB76_6:
	s_or_b64 exec, exec, s[2:3]
	v_cmp_gt_i32_e64 s[0:1], s5, v4
	s_and_saveexec_b64 s[2:3], s[0:1]
	s_cbranch_execz .LBB76_8
; %bb.7:
	v_add_u32_e32 v4, s4, v4
	v_mov_b32_e32 v5, 0
	v_lshlrev_b64 v[4:5], 1, v[4:5]
	v_mov_b32_e32 v7, s15
	v_add_co_u32_e64 v4, s[0:1], s14, v4
	v_addc_co_u32_e64 v5, s[0:1], v7, v5, s[0:1]
	global_load_ushort v5, v[4:5], off
.LBB76_8:
	s_or_b64 exec, exec, s[2:3]
	s_cmp_eq_u32 s9, 0
	s_cselect_b64 s[2:3], -1, 0
	s_waitcnt vmcnt(0)
	v_cmp_ne_u16_e64 s[0:1], s10, v2
	s_xor_b64 s[0:1], s[2:3], s[0:1]
	v_cndmask_b32_e64 v2, 0, 1, s[0:1]
	v_cmp_ne_u16_e64 s[0:1], s10, v3
	s_xor_b64 s[0:1], s[2:3], s[0:1]
	v_cndmask_b32_e64 v3, 0, 1, s[0:1]
	v_cndmask_b32_e32 v2, 0, v2, vcc
	v_lshlrev_b16_e32 v3, 8, v3
	v_or_b32_e32 v4, 0x100, v0
	v_or_b32_e32 v3, v2, v3
	v_and_b32_e32 v3, 0xffff, v3
	v_cmp_gt_i32_e64 s[0:1], s5, v4
	v_cndmask_b32_e64 v2, v2, v3, s[0:1]
	v_cmp_ne_u16_e64 s[0:1], s10, v6
	s_xor_b64 s[0:1], s[2:3], s[0:1]
	v_cndmask_b32_e64 v6, 0, 1, s[0:1]
	v_or_b32_e32 v3, 0x200, v0
	v_lshlrev_b32_e32 v6, 16, v6
	v_or_b32_e32 v6, v2, v6
	v_cmp_gt_i32_e64 s[0:1], s5, v3
	v_cndmask_b32_e64 v2, v2, v6, s[0:1]
	s_movk_i32 s0, 0xff
	v_and_b32_sdwa v3, v2, s0 dst_sel:DWORD dst_unused:UNUSED_PAD src0_sel:WORD_1 src1_sel:DWORD
	v_cmp_ne_u16_e64 s[0:1], s10, v5
	s_xor_b64 s[0:1], s[2:3], s[0:1]
	v_cndmask_b32_e64 v5, 0, 1, s[0:1]
	v_lshlrev_b16_e32 v5, 8, v5
	s_mov_b32 s6, 0xffff
	v_or_b32_e32 v6, 0x300, v0
	v_or_b32_sdwa v3, v3, v5 dst_sel:WORD_1 dst_unused:UNUSED_PAD src0_sel:DWORD src1_sel:DWORD
	v_and_or_b32 v3, v2, s6, v3
	v_cmp_gt_i32_e64 s[0:1], s5, v6
	v_cndmask_b32_e64 v2, v2, v3, s[0:1]
	s_and_saveexec_b64 s[0:1], vcc
	s_cbranch_execnz .LBB76_13
; %bb.9:
	s_or_b64 exec, exec, s[0:1]
	v_cmp_gt_i32_e32 vcc, s5, v0
	s_and_saveexec_b64 s[0:1], vcc
	s_cbranch_execnz .LBB76_14
.LBB76_10:
	s_or_b64 exec, exec, s[0:1]
	v_cmp_gt_i32_e32 vcc, s5, v0
	s_and_saveexec_b64 s[0:1], vcc
	s_cbranch_execnz .LBB76_15
.LBB76_11:
	s_or_b64 exec, exec, s[0:1]
	v_cmp_gt_i32_e32 vcc, s5, v0
	s_and_saveexec_b64 s[0:1], vcc
	s_cbranch_execnz .LBB76_16
.LBB76_12:
	s_endpgm
.LBB76_13:
	v_mov_b32_e32 v0, v4
	global_store_byte v1, v2, s[12:13]
	s_or_b64 exec, exec, s[0:1]
	v_cmp_gt_i32_e32 vcc, s5, v0
	s_and_saveexec_b64 s[0:1], vcc
	s_cbranch_execz .LBB76_10
.LBB76_14:
	v_add_u32_e32 v1, 0x100, v0
	v_add_u32_e32 v0, s4, v0
	v_lshrrev_b32_e32 v3, 8, v2
	global_store_byte v0, v3, s[12:13]
	v_mov_b32_e32 v0, v1
	s_or_b64 exec, exec, s[0:1]
	v_cmp_gt_i32_e32 vcc, s5, v0
	s_and_saveexec_b64 s[0:1], vcc
	s_cbranch_execz .LBB76_11
.LBB76_15:
	v_add_u32_e32 v1, 0x100, v0
	v_add_u32_e32 v0, s4, v0
	global_store_byte_d16_hi v0, v2, s[12:13]
	v_mov_b32_e32 v0, v1
	s_or_b64 exec, exec, s[0:1]
	v_cmp_gt_i32_e32 vcc, s5, v0
	s_and_saveexec_b64 s[0:1], vcc
	s_cbranch_execz .LBB76_12
.LBB76_16:
	v_add_u32_e32 v0, s4, v0
	v_lshrrev_b32_e32 v1, 24, v2
	global_store_byte v0, v1, s[12:13]
	s_endpgm
	.section	.rodata,"a",@progbits
	.p2align	6, 0x0
	.amdhsa_kernel _ZN2at6native27unrolled_elementwise_kernelINS0_13AUnaryFunctorIssbNS0_12_GLOBAL__N_116CompareEqFunctorIsEEEESt5arrayIPcLm2EELi4E23TrivialOffsetCalculatorILi1EjESB_NS0_6memory15LoadWithoutCastENSC_16StoreWithoutCastEEEviT_T0_T2_T3_T4_T5_
		.amdhsa_group_segment_fixed_size 0
		.amdhsa_private_segment_fixed_size 0
		.amdhsa_kernarg_size 36
		.amdhsa_user_sgpr_count 6
		.amdhsa_user_sgpr_private_segment_buffer 1
		.amdhsa_user_sgpr_dispatch_ptr 0
		.amdhsa_user_sgpr_queue_ptr 0
		.amdhsa_user_sgpr_kernarg_segment_ptr 1
		.amdhsa_user_sgpr_dispatch_id 0
		.amdhsa_user_sgpr_flat_scratch_init 0
		.amdhsa_user_sgpr_private_segment_size 0
		.amdhsa_uses_dynamic_stack 0
		.amdhsa_system_sgpr_private_segment_wavefront_offset 0
		.amdhsa_system_sgpr_workgroup_id_x 1
		.amdhsa_system_sgpr_workgroup_id_y 0
		.amdhsa_system_sgpr_workgroup_id_z 0
		.amdhsa_system_sgpr_workgroup_info 0
		.amdhsa_system_vgpr_workitem_id 0
		.amdhsa_next_free_vgpr 9
		.amdhsa_next_free_sgpr 16
		.amdhsa_reserve_vcc 1
		.amdhsa_reserve_flat_scratch 0
		.amdhsa_float_round_mode_32 0
		.amdhsa_float_round_mode_16_64 0
		.amdhsa_float_denorm_mode_32 3
		.amdhsa_float_denorm_mode_16_64 3
		.amdhsa_dx10_clamp 1
		.amdhsa_ieee_mode 1
		.amdhsa_fp16_overflow 0
		.amdhsa_exception_fp_ieee_invalid_op 0
		.amdhsa_exception_fp_denorm_src 0
		.amdhsa_exception_fp_ieee_div_zero 0
		.amdhsa_exception_fp_ieee_overflow 0
		.amdhsa_exception_fp_ieee_underflow 0
		.amdhsa_exception_fp_ieee_inexact 0
		.amdhsa_exception_int_div_zero 0
	.end_amdhsa_kernel
	.section	.text._ZN2at6native27unrolled_elementwise_kernelINS0_13AUnaryFunctorIssbNS0_12_GLOBAL__N_116CompareEqFunctorIsEEEESt5arrayIPcLm2EELi4E23TrivialOffsetCalculatorILi1EjESB_NS0_6memory15LoadWithoutCastENSC_16StoreWithoutCastEEEviT_T0_T2_T3_T4_T5_,"axG",@progbits,_ZN2at6native27unrolled_elementwise_kernelINS0_13AUnaryFunctorIssbNS0_12_GLOBAL__N_116CompareEqFunctorIsEEEESt5arrayIPcLm2EELi4E23TrivialOffsetCalculatorILi1EjESB_NS0_6memory15LoadWithoutCastENSC_16StoreWithoutCastEEEviT_T0_T2_T3_T4_T5_,comdat
.Lfunc_end76:
	.size	_ZN2at6native27unrolled_elementwise_kernelINS0_13AUnaryFunctorIssbNS0_12_GLOBAL__N_116CompareEqFunctorIsEEEESt5arrayIPcLm2EELi4E23TrivialOffsetCalculatorILi1EjESB_NS0_6memory15LoadWithoutCastENSC_16StoreWithoutCastEEEviT_T0_T2_T3_T4_T5_, .Lfunc_end76-_ZN2at6native27unrolled_elementwise_kernelINS0_13AUnaryFunctorIssbNS0_12_GLOBAL__N_116CompareEqFunctorIsEEEESt5arrayIPcLm2EELi4E23TrivialOffsetCalculatorILi1EjESB_NS0_6memory15LoadWithoutCastENSC_16StoreWithoutCastEEEviT_T0_T2_T3_T4_T5_
                                        ; -- End function
	.set _ZN2at6native27unrolled_elementwise_kernelINS0_13AUnaryFunctorIssbNS0_12_GLOBAL__N_116CompareEqFunctorIsEEEESt5arrayIPcLm2EELi4E23TrivialOffsetCalculatorILi1EjESB_NS0_6memory15LoadWithoutCastENSC_16StoreWithoutCastEEEviT_T0_T2_T3_T4_T5_.num_vgpr, 9
	.set _ZN2at6native27unrolled_elementwise_kernelINS0_13AUnaryFunctorIssbNS0_12_GLOBAL__N_116CompareEqFunctorIsEEEESt5arrayIPcLm2EELi4E23TrivialOffsetCalculatorILi1EjESB_NS0_6memory15LoadWithoutCastENSC_16StoreWithoutCastEEEviT_T0_T2_T3_T4_T5_.num_agpr, 0
	.set _ZN2at6native27unrolled_elementwise_kernelINS0_13AUnaryFunctorIssbNS0_12_GLOBAL__N_116CompareEqFunctorIsEEEESt5arrayIPcLm2EELi4E23TrivialOffsetCalculatorILi1EjESB_NS0_6memory15LoadWithoutCastENSC_16StoreWithoutCastEEEviT_T0_T2_T3_T4_T5_.numbered_sgpr, 16
	.set _ZN2at6native27unrolled_elementwise_kernelINS0_13AUnaryFunctorIssbNS0_12_GLOBAL__N_116CompareEqFunctorIsEEEESt5arrayIPcLm2EELi4E23TrivialOffsetCalculatorILi1EjESB_NS0_6memory15LoadWithoutCastENSC_16StoreWithoutCastEEEviT_T0_T2_T3_T4_T5_.num_named_barrier, 0
	.set _ZN2at6native27unrolled_elementwise_kernelINS0_13AUnaryFunctorIssbNS0_12_GLOBAL__N_116CompareEqFunctorIsEEEESt5arrayIPcLm2EELi4E23TrivialOffsetCalculatorILi1EjESB_NS0_6memory15LoadWithoutCastENSC_16StoreWithoutCastEEEviT_T0_T2_T3_T4_T5_.private_seg_size, 0
	.set _ZN2at6native27unrolled_elementwise_kernelINS0_13AUnaryFunctorIssbNS0_12_GLOBAL__N_116CompareEqFunctorIsEEEESt5arrayIPcLm2EELi4E23TrivialOffsetCalculatorILi1EjESB_NS0_6memory15LoadWithoutCastENSC_16StoreWithoutCastEEEviT_T0_T2_T3_T4_T5_.uses_vcc, 1
	.set _ZN2at6native27unrolled_elementwise_kernelINS0_13AUnaryFunctorIssbNS0_12_GLOBAL__N_116CompareEqFunctorIsEEEESt5arrayIPcLm2EELi4E23TrivialOffsetCalculatorILi1EjESB_NS0_6memory15LoadWithoutCastENSC_16StoreWithoutCastEEEviT_T0_T2_T3_T4_T5_.uses_flat_scratch, 0
	.set _ZN2at6native27unrolled_elementwise_kernelINS0_13AUnaryFunctorIssbNS0_12_GLOBAL__N_116CompareEqFunctorIsEEEESt5arrayIPcLm2EELi4E23TrivialOffsetCalculatorILi1EjESB_NS0_6memory15LoadWithoutCastENSC_16StoreWithoutCastEEEviT_T0_T2_T3_T4_T5_.has_dyn_sized_stack, 0
	.set _ZN2at6native27unrolled_elementwise_kernelINS0_13AUnaryFunctorIssbNS0_12_GLOBAL__N_116CompareEqFunctorIsEEEESt5arrayIPcLm2EELi4E23TrivialOffsetCalculatorILi1EjESB_NS0_6memory15LoadWithoutCastENSC_16StoreWithoutCastEEEviT_T0_T2_T3_T4_T5_.has_recursion, 0
	.set _ZN2at6native27unrolled_elementwise_kernelINS0_13AUnaryFunctorIssbNS0_12_GLOBAL__N_116CompareEqFunctorIsEEEESt5arrayIPcLm2EELi4E23TrivialOffsetCalculatorILi1EjESB_NS0_6memory15LoadWithoutCastENSC_16StoreWithoutCastEEEviT_T0_T2_T3_T4_T5_.has_indirect_call, 0
	.section	.AMDGPU.csdata,"",@progbits
; Kernel info:
; codeLenInByte = 740
; TotalNumSgprs: 20
; NumVgprs: 9
; ScratchSize: 0
; MemoryBound: 0
; FloatMode: 240
; IeeeMode: 1
; LDSByteSize: 0 bytes/workgroup (compile time only)
; SGPRBlocks: 2
; VGPRBlocks: 2
; NumSGPRsForWavesPerEU: 20
; NumVGPRsForWavesPerEU: 9
; Occupancy: 10
; WaveLimiterHint : 0
; COMPUTE_PGM_RSRC2:SCRATCH_EN: 0
; COMPUTE_PGM_RSRC2:USER_SGPR: 6
; COMPUTE_PGM_RSRC2:TRAP_HANDLER: 0
; COMPUTE_PGM_RSRC2:TGID_X_EN: 1
; COMPUTE_PGM_RSRC2:TGID_Y_EN: 0
; COMPUTE_PGM_RSRC2:TGID_Z_EN: 0
; COMPUTE_PGM_RSRC2:TIDIG_COMP_CNT: 0
	.section	.text._ZN2at6native32elementwise_kernel_manual_unrollILi128ELi8EZNS0_22gpu_kernel_impl_nocastINS0_13AUnaryFunctorIssbNS0_12_GLOBAL__N_116CompareEqFunctorIsEEEEEEvRNS_18TensorIteratorBaseERKT_EUlibE_EEviT1_,"axG",@progbits,_ZN2at6native32elementwise_kernel_manual_unrollILi128ELi8EZNS0_22gpu_kernel_impl_nocastINS0_13AUnaryFunctorIssbNS0_12_GLOBAL__N_116CompareEqFunctorIsEEEEEEvRNS_18TensorIteratorBaseERKT_EUlibE_EEviT1_,comdat
	.globl	_ZN2at6native32elementwise_kernel_manual_unrollILi128ELi8EZNS0_22gpu_kernel_impl_nocastINS0_13AUnaryFunctorIssbNS0_12_GLOBAL__N_116CompareEqFunctorIsEEEEEEvRNS_18TensorIteratorBaseERKT_EUlibE_EEviT1_ ; -- Begin function _ZN2at6native32elementwise_kernel_manual_unrollILi128ELi8EZNS0_22gpu_kernel_impl_nocastINS0_13AUnaryFunctorIssbNS0_12_GLOBAL__N_116CompareEqFunctorIsEEEEEEvRNS_18TensorIteratorBaseERKT_EUlibE_EEviT1_
	.p2align	8
	.type	_ZN2at6native32elementwise_kernel_manual_unrollILi128ELi8EZNS0_22gpu_kernel_impl_nocastINS0_13AUnaryFunctorIssbNS0_12_GLOBAL__N_116CompareEqFunctorIsEEEEEEvRNS_18TensorIteratorBaseERKT_EUlibE_EEviT1_,@function
_ZN2at6native32elementwise_kernel_manual_unrollILi128ELi8EZNS0_22gpu_kernel_impl_nocastINS0_13AUnaryFunctorIssbNS0_12_GLOBAL__N_116CompareEqFunctorIsEEEEEEvRNS_18TensorIteratorBaseERKT_EUlibE_EEviT1_: ; @_ZN2at6native32elementwise_kernel_manual_unrollILi128ELi8EZNS0_22gpu_kernel_impl_nocastINS0_13AUnaryFunctorIssbNS0_12_GLOBAL__N_116CompareEqFunctorIsEEEEEEvRNS_18TensorIteratorBaseERKT_EUlibE_EEviT1_
; %bb.0:
	s_load_dword s59, s[4:5], 0x0
	s_load_dword s33, s[4:5], 0x8
	s_add_u32 s34, s4, 8
	s_addc_u32 s35, s5, 0
	v_lshl_or_b32 v19, s6, 10, v0
	v_or_b32_e32 v25, 0x380, v19
	s_waitcnt lgkmcnt(0)
	s_add_i32 s58, s33, -1
	s_cmp_gt_u32 s58, 1
	v_cmp_le_i32_e32 vcc, s59, v25
	s_cselect_b64 s[36:37], -1, 0
	s_and_saveexec_b64 s[0:1], vcc
	s_xor_b64 s[38:39], exec, s[0:1]
	s_cbranch_execz .LBB77_7
; %bb.1:
	s_load_dwordx4 s[20:23], s[34:35], 0x4
	s_load_dwordx2 s[44:45], s[34:35], 0x14
	s_load_dwordx2 s[40:41], s[34:35], 0x158
	s_cmp_lg_u32 s33, 0
	s_cselect_b64 s[50:51], -1, 0
	s_add_u32 s48, s34, 0xc4
	s_load_dwordx4 s[24:27], s[34:35], 0xc4
	s_load_dwordx4 s[16:19], s[34:35], 0x148
	s_addc_u32 s49, s35, 0
	s_min_u32 s60, s58, 15
	s_cmp_gt_u32 s33, 1
	s_cselect_b64 s[46:47], -1, 0
	s_waitcnt lgkmcnt(0)
	s_cmp_eq_u32 s40, 0
	s_cselect_b64 s[42:43], -1, 0
	v_cmp_gt_i32_e32 vcc, s59, v19
	s_and_saveexec_b64 s[52:53], vcc
	s_cbranch_execz .LBB77_14
; %bb.2:
	s_andn2_b64 vcc, exec, s[36:37]
	s_cbranch_vccnz .LBB77_21
; %bb.3:
	s_andn2_b64 vcc, exec, s[50:51]
	s_cbranch_vccnz .LBB77_129
; %bb.4:
	s_add_i32 s61, s60, 1
	s_cmp_eq_u32 s58, 2
	s_cbranch_scc1 .LBB77_131
; %bb.5:
	s_and_b32 s40, s61, 28
	v_mov_b32_e32 v2, 0
	s_mov_b32 s62, 0
	s_mov_b64 s[54:55], s[34:35]
	s_mov_b64 s[56:57], s[48:49]
	v_mov_b32_e32 v0, 0
	v_mov_b32_e32 v1, v19
.LBB77_6:                               ; =>This Inner Loop Header: Depth=1
	s_load_dwordx8 s[8:15], s[54:55], 0x4
	s_load_dwordx4 s[28:31], s[54:55], 0x24
	s_load_dwordx8 s[0:7], s[56:57], 0x0
	s_add_u32 s54, s54, 48
	s_addc_u32 s55, s55, 0
	s_waitcnt lgkmcnt(0)
	v_mul_hi_u32 v3, s9, v1
	s_add_i32 s62, s62, 4
	s_add_u32 s56, s56, 32
	s_addc_u32 s57, s57, 0
	v_add_u32_e32 v3, v1, v3
	v_lshrrev_b32_e32 v3, s10, v3
	v_mul_lo_u32 v4, v3, s8
	v_mul_hi_u32 v5, s12, v3
	s_cmp_lg_u32 s40, s62
	v_sub_u32_e32 v1, v1, v4
	v_add_u32_e32 v4, v3, v5
	v_mul_lo_u32 v5, v1, s0
	v_mul_lo_u32 v6, v1, s1
	v_lshrrev_b32_e32 v1, s13, v4
	v_mul_lo_u32 v4, v1, s11
	v_mul_hi_u32 v7, s15, v1
	v_sub_u32_e32 v3, v3, v4
	v_add_u32_e32 v4, v1, v7
	v_lshrrev_b32_e32 v4, s28, v4
	v_mul_hi_u32 v8, s30, v4
	v_mul_lo_u32 v9, v4, s14
	v_mul_lo_u32 v7, v3, s2
	v_mul_lo_u32 v3, v3, s3
	v_sub_u32_e32 v9, v1, v9
	v_add_u32_e32 v1, v4, v8
	v_lshrrev_b32_e32 v1, s31, v1
	v_mul_lo_u32 v8, v1, s29
	v_mul_lo_u32 v10, v9, s4
	;; [unrolled: 1-line block ×3, first 2 shown]
	v_add3_u32 v0, v5, v0, v7
	v_sub_u32_e32 v4, v4, v8
	v_mul_lo_u32 v8, v4, s6
	v_mul_lo_u32 v4, v4, s7
	v_add3_u32 v2, v6, v2, v3
	v_add3_u32 v0, v10, v0, v8
	;; [unrolled: 1-line block ×3, first 2 shown]
	s_cbranch_scc1 .LBB77_6
	s_branch .LBB77_132
.LBB77_7:
	s_andn2_saveexec_b64 s[0:1], s[38:39]
	s_cbranch_execz .LBB77_221
.LBB77_8:
	v_cndmask_b32_e64 v0, 0, 1, s[36:37]
	v_cmp_ne_u32_e64 s[0:1], 1, v0
	s_andn2_b64 vcc, exec, s[36:37]
	s_cbranch_vccnz .LBB77_20
; %bb.9:
	s_cmp_lg_u32 s33, 0
	s_mov_b32 s26, 0
	s_cbranch_scc0 .LBB77_23
; %bb.10:
	s_min_u32 s27, s58, 15
	s_add_i32 s27, s27, 1
	s_cmp_eq_u32 s58, 2
	s_cbranch_scc1 .LBB77_24
; %bb.11:
	s_and_b32 s26, s27, 28
	s_add_u32 s2, s34, 0xc4
	s_addc_u32 s3, s35, 0
	v_mov_b32_e32 v2, 0
	s_mov_b32 s28, 0
	s_mov_b64 s[24:25], s[34:35]
	v_mov_b32_e32 v0, 0
	v_mov_b32_e32 v1, v19
.LBB77_12:                              ; =>This Inner Loop Header: Depth=1
	s_load_dwordx8 s[12:19], s[24:25], 0x4
	s_load_dwordx4 s[20:23], s[24:25], 0x24
	s_load_dwordx8 s[4:11], s[2:3], 0x0
	s_add_u32 s24, s24, 48
	s_addc_u32 s25, s25, 0
	s_waitcnt lgkmcnt(0)
	v_mul_hi_u32 v3, s13, v1
	s_add_i32 s28, s28, 4
	s_add_u32 s2, s2, 32
	s_addc_u32 s3, s3, 0
	v_add_u32_e32 v3, v1, v3
	v_lshrrev_b32_e32 v3, s14, v3
	v_mul_lo_u32 v4, v3, s12
	v_mul_hi_u32 v5, s16, v3
	s_cmp_lg_u32 s26, s28
	v_sub_u32_e32 v1, v1, v4
	v_add_u32_e32 v4, v3, v5
	v_mul_lo_u32 v5, v1, s4
	v_mul_lo_u32 v6, v1, s5
	v_lshrrev_b32_e32 v1, s17, v4
	v_mul_lo_u32 v4, v1, s15
	v_mul_hi_u32 v7, s19, v1
	v_sub_u32_e32 v3, v3, v4
	v_add_u32_e32 v4, v1, v7
	v_lshrrev_b32_e32 v4, s20, v4
	v_mul_hi_u32 v8, s22, v4
	v_mul_lo_u32 v9, v4, s18
	v_mul_lo_u32 v7, v3, s6
	;; [unrolled: 1-line block ×3, first 2 shown]
	v_sub_u32_e32 v9, v1, v9
	v_add_u32_e32 v1, v4, v8
	v_lshrrev_b32_e32 v1, s23, v1
	v_mul_lo_u32 v8, v1, s21
	v_mul_lo_u32 v10, v9, s8
	;; [unrolled: 1-line block ×3, first 2 shown]
	v_add3_u32 v0, v5, v0, v7
	v_sub_u32_e32 v4, v4, v8
	v_mul_lo_u32 v8, v4, s10
	v_mul_lo_u32 v4, v4, s11
	v_add3_u32 v2, v6, v2, v3
	v_add3_u32 v0, v10, v0, v8
	;; [unrolled: 1-line block ×3, first 2 shown]
	s_cbranch_scc1 .LBB77_12
; %bb.13:
	s_and_b32 s6, s27, 3
	s_cmp_eq_u32 s6, 0
	s_cbranch_scc0 .LBB77_25
	s_branch .LBB77_27
.LBB77_14:
	s_or_b64 exec, exec, s[52:53]
	v_cmp_gt_i32_e32 vcc, s59, v19
	s_and_saveexec_b64 s[52:53], vcc
	s_cbranch_execz .LBB77_139
.LBB77_15:
	s_andn2_b64 vcc, exec, s[36:37]
	s_cbranch_vccnz .LBB77_22
; %bb.16:
	s_andn2_b64 vcc, exec, s[50:51]
	s_cbranch_vccnz .LBB77_130
; %bb.17:
	s_add_i32 s61, s60, 1
	s_cmp_eq_u32 s58, 2
	s_cbranch_scc1 .LBB77_147
; %bb.18:
	s_and_b32 s40, s61, 28
	v_mov_b32_e32 v2, 0
	s_mov_b32 s62, 0
	s_mov_b64 s[54:55], s[34:35]
	s_mov_b64 s[56:57], s[48:49]
	v_mov_b32_e32 v0, 0
	v_mov_b32_e32 v1, v19
.LBB77_19:                              ; =>This Inner Loop Header: Depth=1
	s_load_dwordx8 s[8:15], s[54:55], 0x4
	s_load_dwordx4 s[28:31], s[54:55], 0x24
	s_load_dwordx8 s[0:7], s[56:57], 0x0
	s_add_u32 s54, s54, 48
	s_addc_u32 s55, s55, 0
	s_waitcnt lgkmcnt(0)
	v_mul_hi_u32 v3, s9, v1
	s_add_i32 s62, s62, 4
	s_add_u32 s56, s56, 32
	s_addc_u32 s57, s57, 0
	v_add_u32_e32 v3, v1, v3
	v_lshrrev_b32_e32 v3, s10, v3
	v_mul_lo_u32 v4, v3, s8
	v_mul_hi_u32 v5, s12, v3
	s_cmp_eq_u32 s40, s62
	v_sub_u32_e32 v1, v1, v4
	v_add_u32_e32 v4, v3, v5
	v_mul_lo_u32 v5, v1, s0
	v_mul_lo_u32 v6, v1, s1
	v_lshrrev_b32_e32 v1, s13, v4
	v_mul_lo_u32 v4, v1, s11
	v_mul_hi_u32 v7, s15, v1
	v_sub_u32_e32 v3, v3, v4
	v_add_u32_e32 v4, v1, v7
	v_lshrrev_b32_e32 v4, s28, v4
	v_mul_hi_u32 v8, s30, v4
	v_mul_lo_u32 v9, v4, s14
	v_mul_lo_u32 v7, v3, s2
	;; [unrolled: 1-line block ×3, first 2 shown]
	v_sub_u32_e32 v9, v1, v9
	v_add_u32_e32 v1, v4, v8
	v_lshrrev_b32_e32 v1, s31, v1
	v_mul_lo_u32 v8, v1, s29
	v_mul_lo_u32 v10, v9, s4
	;; [unrolled: 1-line block ×3, first 2 shown]
	v_add3_u32 v0, v5, v0, v7
	v_sub_u32_e32 v4, v4, v8
	v_mul_lo_u32 v8, v4, s6
	v_mul_lo_u32 v4, v4, s7
	v_add3_u32 v2, v6, v2, v3
	v_add3_u32 v0, v10, v0, v8
	v_add3_u32 v2, v9, v2, v4
	s_cbranch_scc0 .LBB77_19
	s_branch .LBB77_148
.LBB77_20:
                                        ; implicit-def: $vgpr0
                                        ; implicit-def: $vgpr2
	s_branch .LBB77_28
.LBB77_21:
                                        ; implicit-def: $vgpr0
                                        ; implicit-def: $vgpr2
	s_branch .LBB77_136
.LBB77_22:
                                        ; implicit-def: $vgpr0
                                        ; implicit-def: $vgpr2
	s_branch .LBB77_152
.LBB77_23:
	v_mov_b32_e32 v0, 0
	v_mov_b32_e32 v2, 0
	s_branch .LBB77_27
.LBB77_24:
	v_mov_b32_e32 v0, 0
	v_mov_b32_e32 v2, 0
	;; [unrolled: 1-line block ×3, first 2 shown]
	s_and_b32 s6, s27, 3
	s_cmp_eq_u32 s6, 0
	s_cbranch_scc1 .LBB77_27
.LBB77_25:
	s_lshl_b32 s2, s26, 3
	s_add_u32 s2, s34, s2
	s_addc_u32 s3, s35, 0
	s_add_u32 s2, s2, 0xc4
	s_addc_u32 s3, s3, 0
	s_mul_i32 s4, s26, 12
	s_add_u32 s4, s34, s4
	s_addc_u32 s5, s35, 0
.LBB77_26:                              ; =>This Inner Loop Header: Depth=1
	s_load_dwordx2 s[8:9], s[4:5], 0x4
	s_load_dword s7, s[4:5], 0xc
	s_load_dwordx2 s[10:11], s[2:3], 0x0
	s_add_u32 s4, s4, 12
	s_addc_u32 s5, s5, 0
	s_waitcnt lgkmcnt(0)
	v_mul_hi_u32 v4, s9, v1
	s_add_u32 s2, s2, 8
	s_addc_u32 s3, s3, 0
	s_add_i32 s6, s6, -1
	v_add_u32_e32 v4, v1, v4
	v_lshrrev_b32_e32 v4, s7, v4
	v_mul_lo_u32 v5, v4, s8
	s_cmp_lg_u32 s6, 0
	v_sub_u32_e32 v5, v1, v5
	v_mad_u64_u32 v[0:1], s[8:9], v5, s10, v[0:1]
	v_mad_u64_u32 v[2:3], s[8:9], v5, s11, v[2:3]
	v_mov_b32_e32 v1, v4
	s_cbranch_scc1 .LBB77_26
.LBB77_27:
	s_cbranch_execnz .LBB77_30
.LBB77_28:
	s_load_dwordx4 s[4:7], s[34:35], 0x4
	s_load_dwordx2 s[2:3], s[34:35], 0xc4
	s_cmp_lt_u32 s33, 2
	s_waitcnt lgkmcnt(0)
	v_mul_hi_u32 v0, s5, v19
	v_add_u32_e32 v0, v19, v0
	v_lshrrev_b32_e32 v1, s6, v0
	v_mul_lo_u32 v0, v1, s4
	v_sub_u32_e32 v2, v19, v0
	v_mul_lo_u32 v0, v2, s2
	v_mul_lo_u32 v2, v2, s3
	s_cbranch_scc1 .LBB77_30
; %bb.29:
	s_load_dwordx4 s[4:7], s[34:35], 0x10
	s_load_dwordx2 s[2:3], s[34:35], 0xcc
	s_waitcnt lgkmcnt(0)
	v_mul_hi_u32 v3, s5, v1
	v_add_u32_e32 v3, v1, v3
	v_lshrrev_b32_e32 v3, s6, v3
	v_mul_lo_u32 v3, v3, s4
	v_sub_u32_e32 v3, v1, v3
	v_mad_u64_u32 v[0:1], s[4:5], v3, s2, v[0:1]
	v_mad_u64_u32 v[2:3], s[2:3], v3, s3, v[2:3]
.LBB77_30:
	s_and_b64 vcc, exec, s[0:1]
	v_add_u32_e32 v1, 0x80, v19
	s_cbranch_vccnz .LBB77_36
; %bb.31:
	s_cmp_lg_u32 s33, 0
	s_mov_b32 s26, 0
	s_cbranch_scc0 .LBB77_37
; %bb.32:
	s_min_u32 s27, s58, 15
	s_add_i32 s27, s27, 1
	s_cmp_eq_u32 s58, 2
	s_cbranch_scc1 .LBB77_38
; %bb.33:
	s_and_b32 s26, s27, 28
	s_add_u32 s2, s34, 0xc4
	s_addc_u32 s3, s35, 0
	v_mov_b32_e32 v5, 0
	s_mov_b32 s28, 0
	s_mov_b64 s[24:25], s[34:35]
	v_mov_b32_e32 v3, 0
	v_mov_b32_e32 v4, v1
.LBB77_34:                              ; =>This Inner Loop Header: Depth=1
	s_load_dwordx8 s[12:19], s[24:25], 0x4
	s_load_dwordx4 s[20:23], s[24:25], 0x24
	s_load_dwordx8 s[4:11], s[2:3], 0x0
	s_add_u32 s24, s24, 48
	s_addc_u32 s25, s25, 0
	s_waitcnt lgkmcnt(0)
	v_mul_hi_u32 v6, s13, v4
	s_add_i32 s28, s28, 4
	s_add_u32 s2, s2, 32
	s_addc_u32 s3, s3, 0
	v_add_u32_e32 v6, v4, v6
	v_lshrrev_b32_e32 v6, s14, v6
	v_mul_lo_u32 v7, v6, s12
	v_mul_hi_u32 v8, s16, v6
	s_cmp_lg_u32 s26, s28
	v_sub_u32_e32 v4, v4, v7
	v_add_u32_e32 v7, v6, v8
	v_mul_lo_u32 v8, v4, s4
	v_mul_lo_u32 v9, v4, s5
	v_lshrrev_b32_e32 v4, s17, v7
	v_mul_lo_u32 v7, v4, s15
	v_mul_hi_u32 v10, s19, v4
	v_sub_u32_e32 v6, v6, v7
	v_add_u32_e32 v7, v4, v10
	v_lshrrev_b32_e32 v7, s20, v7
	v_mul_hi_u32 v11, s22, v7
	v_mul_lo_u32 v12, v7, s18
	v_mul_lo_u32 v10, v6, s6
	;; [unrolled: 1-line block ×3, first 2 shown]
	v_sub_u32_e32 v12, v4, v12
	v_add_u32_e32 v4, v7, v11
	v_lshrrev_b32_e32 v4, s23, v4
	v_mul_lo_u32 v11, v4, s21
	v_mul_lo_u32 v13, v12, s8
	;; [unrolled: 1-line block ×3, first 2 shown]
	v_add3_u32 v3, v8, v3, v10
	v_sub_u32_e32 v7, v7, v11
	v_mul_lo_u32 v11, v7, s10
	v_mul_lo_u32 v7, v7, s11
	v_add3_u32 v5, v9, v5, v6
	v_add3_u32 v3, v13, v3, v11
	v_add3_u32 v5, v12, v5, v7
	s_cbranch_scc1 .LBB77_34
; %bb.35:
	s_and_b32 s6, s27, 3
	s_cmp_eq_u32 s6, 0
	s_cbranch_scc0 .LBB77_39
	s_branch .LBB77_41
.LBB77_36:
                                        ; implicit-def: $vgpr3
                                        ; implicit-def: $vgpr5
	s_branch .LBB77_42
.LBB77_37:
	v_mov_b32_e32 v3, 0
	v_mov_b32_e32 v5, 0
	s_branch .LBB77_41
.LBB77_38:
	v_mov_b32_e32 v3, 0
	v_mov_b32_e32 v5, 0
	;; [unrolled: 1-line block ×3, first 2 shown]
	s_and_b32 s6, s27, 3
	s_cmp_eq_u32 s6, 0
	s_cbranch_scc1 .LBB77_41
.LBB77_39:
	s_lshl_b32 s2, s26, 3
	s_add_u32 s2, s34, s2
	s_addc_u32 s3, s35, 0
	s_add_u32 s2, s2, 0xc4
	s_addc_u32 s3, s3, 0
	s_mul_i32 s4, s26, 12
	s_add_u32 s4, s34, s4
	s_addc_u32 s5, s35, 0
.LBB77_40:                              ; =>This Inner Loop Header: Depth=1
	s_load_dwordx2 s[8:9], s[4:5], 0x4
	s_load_dword s7, s[4:5], 0xc
	s_load_dwordx2 s[10:11], s[2:3], 0x0
	s_add_u32 s4, s4, 12
	s_addc_u32 s5, s5, 0
	s_waitcnt lgkmcnt(0)
	v_mul_hi_u32 v7, s9, v4
	s_add_u32 s2, s2, 8
	s_addc_u32 s3, s3, 0
	s_add_i32 s6, s6, -1
	v_add_u32_e32 v7, v4, v7
	v_lshrrev_b32_e32 v7, s7, v7
	v_mul_lo_u32 v8, v7, s8
	s_cmp_lg_u32 s6, 0
	v_sub_u32_e32 v8, v4, v8
	v_mad_u64_u32 v[3:4], s[8:9], v8, s10, v[3:4]
	v_mad_u64_u32 v[5:6], s[8:9], v8, s11, v[5:6]
	v_mov_b32_e32 v4, v7
	s_cbranch_scc1 .LBB77_40
.LBB77_41:
	s_cbranch_execnz .LBB77_44
.LBB77_42:
	s_load_dwordx4 s[4:7], s[34:35], 0x4
	s_load_dwordx2 s[2:3], s[34:35], 0xc4
	s_cmp_lt_u32 s33, 2
	s_waitcnt lgkmcnt(0)
	v_mul_hi_u32 v3, s5, v1
	v_add_u32_e32 v3, v1, v3
	v_lshrrev_b32_e32 v4, s6, v3
	v_mul_lo_u32 v3, v4, s4
	v_sub_u32_e32 v1, v1, v3
	v_mul_lo_u32 v3, v1, s2
	v_mul_lo_u32 v5, v1, s3
	s_cbranch_scc1 .LBB77_44
; %bb.43:
	s_load_dwordx4 s[4:7], s[34:35], 0x10
	s_load_dwordx2 s[2:3], s[34:35], 0xcc
	s_waitcnt lgkmcnt(0)
	v_mul_hi_u32 v1, s5, v4
	v_add_u32_e32 v1, v4, v1
	v_lshrrev_b32_e32 v1, s6, v1
	v_mul_lo_u32 v1, v1, s4
	v_sub_u32_e32 v1, v4, v1
	v_mad_u64_u32 v[3:4], s[4:5], v1, s2, v[3:4]
	v_mad_u64_u32 v[5:6], s[2:3], v1, s3, v[5:6]
.LBB77_44:
	s_and_b64 vcc, exec, s[0:1]
	v_add_u32_e32 v1, 0x100, v19
	s_cbranch_vccnz .LBB77_50
; %bb.45:
	s_cmp_lg_u32 s33, 0
	s_mov_b32 s26, 0
	s_cbranch_scc0 .LBB77_51
; %bb.46:
	s_min_u32 s27, s58, 15
	s_add_i32 s27, s27, 1
	s_cmp_eq_u32 s58, 2
	s_cbranch_scc1 .LBB77_52
; %bb.47:
	s_and_b32 s26, s27, 28
	s_add_u32 s2, s34, 0xc4
	s_addc_u32 s3, s35, 0
	v_mov_b32_e32 v8, 0
	s_mov_b32 s28, 0
	s_mov_b64 s[24:25], s[34:35]
	v_mov_b32_e32 v6, 0
	v_mov_b32_e32 v4, v1
.LBB77_48:                              ; =>This Inner Loop Header: Depth=1
	s_load_dwordx8 s[12:19], s[24:25], 0x4
	s_load_dwordx4 s[20:23], s[24:25], 0x24
	s_load_dwordx8 s[4:11], s[2:3], 0x0
	s_add_u32 s24, s24, 48
	s_addc_u32 s25, s25, 0
	s_waitcnt lgkmcnt(0)
	v_mul_hi_u32 v7, s13, v4
	s_add_i32 s28, s28, 4
	s_add_u32 s2, s2, 32
	s_addc_u32 s3, s3, 0
	v_add_u32_e32 v7, v4, v7
	v_lshrrev_b32_e32 v7, s14, v7
	v_mul_lo_u32 v9, v7, s12
	v_mul_hi_u32 v10, s16, v7
	s_cmp_lg_u32 s26, s28
	v_sub_u32_e32 v4, v4, v9
	v_add_u32_e32 v9, v7, v10
	v_mul_lo_u32 v10, v4, s4
	v_mul_lo_u32 v11, v4, s5
	v_lshrrev_b32_e32 v4, s17, v9
	v_mul_lo_u32 v9, v4, s15
	v_mul_hi_u32 v12, s19, v4
	v_sub_u32_e32 v7, v7, v9
	v_add_u32_e32 v9, v4, v12
	v_lshrrev_b32_e32 v9, s20, v9
	v_mul_hi_u32 v13, s22, v9
	v_mul_lo_u32 v14, v9, s18
	v_mul_lo_u32 v12, v7, s6
	;; [unrolled: 1-line block ×3, first 2 shown]
	v_sub_u32_e32 v14, v4, v14
	v_add_u32_e32 v4, v9, v13
	v_lshrrev_b32_e32 v4, s23, v4
	v_mul_lo_u32 v13, v4, s21
	v_mul_lo_u32 v15, v14, s8
	v_mul_lo_u32 v14, v14, s9
	v_add3_u32 v6, v10, v6, v12
	v_sub_u32_e32 v9, v9, v13
	v_mul_lo_u32 v13, v9, s10
	v_mul_lo_u32 v9, v9, s11
	v_add3_u32 v7, v11, v8, v7
	v_add3_u32 v6, v15, v6, v13
	;; [unrolled: 1-line block ×3, first 2 shown]
	s_cbranch_scc1 .LBB77_48
; %bb.49:
	s_and_b32 s6, s27, 3
	s_cmp_eq_u32 s6, 0
	s_cbranch_scc0 .LBB77_53
	s_branch .LBB77_55
.LBB77_50:
                                        ; implicit-def: $vgpr6
                                        ; implicit-def: $vgpr8
	s_branch .LBB77_56
.LBB77_51:
	v_mov_b32_e32 v6, 0
	v_mov_b32_e32 v8, 0
	s_branch .LBB77_55
.LBB77_52:
	v_mov_b32_e32 v6, 0
	v_mov_b32_e32 v8, 0
	;; [unrolled: 1-line block ×3, first 2 shown]
	s_and_b32 s6, s27, 3
	s_cmp_eq_u32 s6, 0
	s_cbranch_scc1 .LBB77_55
.LBB77_53:
	s_lshl_b32 s2, s26, 3
	s_add_u32 s2, s34, s2
	s_addc_u32 s3, s35, 0
	s_add_u32 s2, s2, 0xc4
	s_addc_u32 s3, s3, 0
	s_mul_i32 s4, s26, 12
	s_add_u32 s4, s34, s4
	s_addc_u32 s5, s35, 0
.LBB77_54:                              ; =>This Inner Loop Header: Depth=1
	s_load_dwordx2 s[8:9], s[4:5], 0x4
	s_load_dword s7, s[4:5], 0xc
	s_load_dwordx2 s[10:11], s[2:3], 0x0
	s_add_u32 s4, s4, 12
	s_addc_u32 s5, s5, 0
	s_waitcnt lgkmcnt(0)
	v_mul_hi_u32 v7, s9, v4
	s_add_u32 s2, s2, 8
	s_addc_u32 s3, s3, 0
	s_add_i32 s6, s6, -1
	v_add_u32_e32 v7, v4, v7
	v_lshrrev_b32_e32 v10, s7, v7
	v_mul_lo_u32 v7, v10, s8
	s_cmp_lg_u32 s6, 0
	v_sub_u32_e32 v4, v4, v7
	v_mad_u64_u32 v[6:7], s[8:9], v4, s10, v[6:7]
	v_mad_u64_u32 v[8:9], s[8:9], v4, s11, v[8:9]
	v_mov_b32_e32 v4, v10
	s_cbranch_scc1 .LBB77_54
.LBB77_55:
	s_cbranch_execnz .LBB77_58
.LBB77_56:
	s_load_dwordx4 s[4:7], s[34:35], 0x4
	s_load_dwordx2 s[2:3], s[34:35], 0xc4
	s_cmp_lt_u32 s33, 2
	s_waitcnt lgkmcnt(0)
	v_mul_hi_u32 v4, s5, v1
	v_add_u32_e32 v4, v1, v4
	v_lshrrev_b32_e32 v4, s6, v4
	v_mul_lo_u32 v6, v4, s4
	v_sub_u32_e32 v1, v1, v6
	v_mul_lo_u32 v6, v1, s2
	v_mul_lo_u32 v8, v1, s3
	s_cbranch_scc1 .LBB77_58
; %bb.57:
	s_load_dwordx4 s[4:7], s[34:35], 0x10
	s_load_dwordx2 s[2:3], s[34:35], 0xcc
	s_waitcnt lgkmcnt(0)
	v_mul_hi_u32 v1, s5, v4
	v_add_u32_e32 v1, v4, v1
	v_lshrrev_b32_e32 v1, s6, v1
	v_mul_lo_u32 v1, v1, s4
	v_sub_u32_e32 v1, v4, v1
	v_mad_u64_u32 v[6:7], s[4:5], v1, s2, v[6:7]
	v_mad_u64_u32 v[8:9], s[2:3], v1, s3, v[8:9]
.LBB77_58:
	s_and_b64 vcc, exec, s[0:1]
	v_add_u32_e32 v1, 0x180, v19
	s_cbranch_vccnz .LBB77_64
; %bb.59:
	s_cmp_lg_u32 s33, 0
	s_mov_b32 s26, 0
	s_cbranch_scc0 .LBB77_65
; %bb.60:
	s_min_u32 s27, s58, 15
	s_add_i32 s27, s27, 1
	s_cmp_eq_u32 s58, 2
	s_cbranch_scc1 .LBB77_66
; %bb.61:
	s_and_b32 s26, s27, 28
	s_add_u32 s2, s34, 0xc4
	s_addc_u32 s3, s35, 0
	v_mov_b32_e32 v11, 0
	s_mov_b32 s28, 0
	s_mov_b64 s[24:25], s[34:35]
	v_mov_b32_e32 v9, 0
	v_mov_b32_e32 v4, v1
.LBB77_62:                              ; =>This Inner Loop Header: Depth=1
	s_load_dwordx8 s[12:19], s[24:25], 0x4
	s_load_dwordx4 s[20:23], s[24:25], 0x24
	s_load_dwordx8 s[4:11], s[2:3], 0x0
	s_add_u32 s24, s24, 48
	s_addc_u32 s25, s25, 0
	s_waitcnt lgkmcnt(0)
	v_mul_hi_u32 v7, s13, v4
	s_add_i32 s28, s28, 4
	s_add_u32 s2, s2, 32
	s_addc_u32 s3, s3, 0
	v_add_u32_e32 v7, v4, v7
	v_lshrrev_b32_e32 v7, s14, v7
	v_mul_lo_u32 v10, v7, s12
	v_mul_hi_u32 v12, s16, v7
	s_cmp_lg_u32 s26, s28
	v_sub_u32_e32 v4, v4, v10
	v_add_u32_e32 v10, v7, v12
	v_mul_lo_u32 v12, v4, s4
	v_mul_lo_u32 v13, v4, s5
	v_lshrrev_b32_e32 v4, s17, v10
	v_mul_lo_u32 v10, v4, s15
	v_mul_hi_u32 v14, s19, v4
	v_sub_u32_e32 v7, v7, v10
	v_add_u32_e32 v10, v4, v14
	v_lshrrev_b32_e32 v10, s20, v10
	v_mul_hi_u32 v15, s22, v10
	v_mul_lo_u32 v16, v10, s18
	v_mul_lo_u32 v14, v7, s6
	;; [unrolled: 1-line block ×3, first 2 shown]
	v_sub_u32_e32 v16, v4, v16
	v_add_u32_e32 v4, v10, v15
	v_lshrrev_b32_e32 v4, s23, v4
	v_mul_lo_u32 v15, v4, s21
	v_mul_lo_u32 v17, v16, s8
	;; [unrolled: 1-line block ×3, first 2 shown]
	v_add3_u32 v9, v12, v9, v14
	v_sub_u32_e32 v10, v10, v15
	v_mul_lo_u32 v15, v10, s10
	v_mul_lo_u32 v10, v10, s11
	v_add3_u32 v7, v13, v11, v7
	v_add3_u32 v9, v17, v9, v15
	;; [unrolled: 1-line block ×3, first 2 shown]
	s_cbranch_scc1 .LBB77_62
; %bb.63:
	s_and_b32 s6, s27, 3
	s_cmp_eq_u32 s6, 0
	s_cbranch_scc0 .LBB77_67
	s_branch .LBB77_69
.LBB77_64:
                                        ; implicit-def: $vgpr9
                                        ; implicit-def: $vgpr11
	s_branch .LBB77_70
.LBB77_65:
	v_mov_b32_e32 v9, 0
	v_mov_b32_e32 v11, 0
	s_branch .LBB77_69
.LBB77_66:
	v_mov_b32_e32 v9, 0
	v_mov_b32_e32 v11, 0
	;; [unrolled: 1-line block ×3, first 2 shown]
	s_and_b32 s6, s27, 3
	s_cmp_eq_u32 s6, 0
	s_cbranch_scc1 .LBB77_69
.LBB77_67:
	s_lshl_b32 s2, s26, 3
	s_add_u32 s2, s34, s2
	s_addc_u32 s3, s35, 0
	s_add_u32 s2, s2, 0xc4
	s_addc_u32 s3, s3, 0
	s_mul_i32 s4, s26, 12
	s_add_u32 s4, s34, s4
	s_addc_u32 s5, s35, 0
.LBB77_68:                              ; =>This Inner Loop Header: Depth=1
	s_load_dwordx2 s[8:9], s[4:5], 0x4
	s_load_dword s7, s[4:5], 0xc
	s_load_dwordx2 s[10:11], s[2:3], 0x0
	s_add_u32 s4, s4, 12
	s_addc_u32 s5, s5, 0
	s_waitcnt lgkmcnt(0)
	v_mul_hi_u32 v7, s9, v4
	s_add_u32 s2, s2, 8
	s_addc_u32 s3, s3, 0
	s_add_i32 s6, s6, -1
	v_add_u32_e32 v7, v4, v7
	v_lshrrev_b32_e32 v7, s7, v7
	v_mul_lo_u32 v10, v7, s8
	s_cmp_lg_u32 s6, 0
	v_sub_u32_e32 v4, v4, v10
	v_mad_u64_u32 v[9:10], s[8:9], v4, s10, v[9:10]
	v_mad_u64_u32 v[11:12], s[8:9], v4, s11, v[11:12]
	v_mov_b32_e32 v4, v7
	s_cbranch_scc1 .LBB77_68
.LBB77_69:
	s_cbranch_execnz .LBB77_72
.LBB77_70:
	s_load_dwordx4 s[4:7], s[34:35], 0x4
	s_load_dwordx2 s[2:3], s[34:35], 0xc4
	s_cmp_lt_u32 s33, 2
	s_waitcnt lgkmcnt(0)
	v_mul_hi_u32 v4, s5, v1
	v_add_u32_e32 v4, v1, v4
	v_lshrrev_b32_e32 v4, s6, v4
	v_mul_lo_u32 v7, v4, s4
	v_sub_u32_e32 v1, v1, v7
	v_mul_lo_u32 v9, v1, s2
	v_mul_lo_u32 v11, v1, s3
	s_cbranch_scc1 .LBB77_72
; %bb.71:
	s_load_dwordx4 s[4:7], s[34:35], 0x10
	s_load_dwordx2 s[2:3], s[34:35], 0xcc
	s_waitcnt lgkmcnt(0)
	v_mul_hi_u32 v1, s5, v4
	v_add_u32_e32 v1, v4, v1
	v_lshrrev_b32_e32 v1, s6, v1
	v_mul_lo_u32 v1, v1, s4
	v_sub_u32_e32 v1, v4, v1
	v_mad_u64_u32 v[9:10], s[4:5], v1, s2, v[9:10]
	v_mad_u64_u32 v[11:12], s[2:3], v1, s3, v[11:12]
.LBB77_72:
	s_and_b64 vcc, exec, s[0:1]
	v_add_u32_e32 v1, 0x200, v19
	s_cbranch_vccnz .LBB77_78
; %bb.73:
	s_cmp_lg_u32 s33, 0
	s_mov_b32 s26, 0
	s_cbranch_scc0 .LBB77_79
; %bb.74:
	s_min_u32 s27, s58, 15
	s_add_i32 s27, s27, 1
	s_cmp_eq_u32 s58, 2
	s_cbranch_scc1 .LBB77_80
; %bb.75:
	s_and_b32 s26, s27, 28
	s_add_u32 s2, s34, 0xc4
	s_addc_u32 s3, s35, 0
	v_mov_b32_e32 v14, 0
	s_mov_b32 s28, 0
	s_mov_b64 s[24:25], s[34:35]
	v_mov_b32_e32 v12, 0
	v_mov_b32_e32 v4, v1
.LBB77_76:                              ; =>This Inner Loop Header: Depth=1
	s_load_dwordx8 s[12:19], s[24:25], 0x4
	s_load_dwordx4 s[20:23], s[24:25], 0x24
	s_load_dwordx8 s[4:11], s[2:3], 0x0
	s_add_u32 s24, s24, 48
	s_addc_u32 s25, s25, 0
	s_waitcnt lgkmcnt(0)
	v_mul_hi_u32 v7, s13, v4
	s_add_i32 s28, s28, 4
	s_add_u32 s2, s2, 32
	s_addc_u32 s3, s3, 0
	v_add_u32_e32 v7, v4, v7
	v_lshrrev_b32_e32 v7, s14, v7
	v_mul_lo_u32 v10, v7, s12
	v_mul_hi_u32 v13, s16, v7
	s_cmp_lg_u32 s26, s28
	v_sub_u32_e32 v4, v4, v10
	v_add_u32_e32 v10, v7, v13
	v_mul_lo_u32 v13, v4, s4
	v_mul_lo_u32 v15, v4, s5
	v_lshrrev_b32_e32 v4, s17, v10
	v_mul_lo_u32 v10, v4, s15
	v_mul_hi_u32 v16, s19, v4
	v_sub_u32_e32 v7, v7, v10
	v_add_u32_e32 v10, v4, v16
	v_lshrrev_b32_e32 v10, s20, v10
	v_mul_hi_u32 v17, s22, v10
	v_mul_lo_u32 v18, v10, s18
	v_mul_lo_u32 v16, v7, s6
	;; [unrolled: 1-line block ×3, first 2 shown]
	v_sub_u32_e32 v18, v4, v18
	v_add_u32_e32 v4, v10, v17
	v_lshrrev_b32_e32 v4, s23, v4
	v_mul_lo_u32 v17, v4, s21
	v_mul_lo_u32 v20, v18, s8
	;; [unrolled: 1-line block ×3, first 2 shown]
	v_add3_u32 v12, v13, v12, v16
	v_sub_u32_e32 v10, v10, v17
	v_mul_lo_u32 v17, v10, s10
	v_mul_lo_u32 v10, v10, s11
	v_add3_u32 v7, v15, v14, v7
	v_add3_u32 v12, v20, v12, v17
	;; [unrolled: 1-line block ×3, first 2 shown]
	s_cbranch_scc1 .LBB77_76
; %bb.77:
	s_and_b32 s6, s27, 3
	s_cmp_eq_u32 s6, 0
	s_cbranch_scc0 .LBB77_81
	s_branch .LBB77_83
.LBB77_78:
                                        ; implicit-def: $vgpr12
                                        ; implicit-def: $vgpr14
	s_branch .LBB77_84
.LBB77_79:
	v_mov_b32_e32 v12, 0
	v_mov_b32_e32 v14, 0
	s_branch .LBB77_83
.LBB77_80:
	v_mov_b32_e32 v12, 0
	v_mov_b32_e32 v14, 0
	;; [unrolled: 1-line block ×3, first 2 shown]
	s_and_b32 s6, s27, 3
	s_cmp_eq_u32 s6, 0
	s_cbranch_scc1 .LBB77_83
.LBB77_81:
	s_lshl_b32 s2, s26, 3
	s_add_u32 s2, s34, s2
	s_addc_u32 s3, s35, 0
	s_add_u32 s2, s2, 0xc4
	s_addc_u32 s3, s3, 0
	s_mul_i32 s4, s26, 12
	s_add_u32 s4, s34, s4
	s_addc_u32 s5, s35, 0
.LBB77_82:                              ; =>This Inner Loop Header: Depth=1
	s_load_dwordx2 s[8:9], s[4:5], 0x4
	s_load_dword s7, s[4:5], 0xc
	s_load_dwordx2 s[10:11], s[2:3], 0x0
	s_add_u32 s4, s4, 12
	s_addc_u32 s5, s5, 0
	s_waitcnt lgkmcnt(0)
	v_mul_hi_u32 v7, s9, v4
	s_add_u32 s2, s2, 8
	s_addc_u32 s3, s3, 0
	s_add_i32 s6, s6, -1
	v_add_u32_e32 v7, v4, v7
	v_lshrrev_b32_e32 v7, s7, v7
	v_mul_lo_u32 v10, v7, s8
	s_cmp_lg_u32 s6, 0
	v_sub_u32_e32 v4, v4, v10
	v_mad_u64_u32 v[12:13], s[8:9], v4, s10, v[12:13]
	v_mad_u64_u32 v[14:15], s[8:9], v4, s11, v[14:15]
	v_mov_b32_e32 v4, v7
	s_cbranch_scc1 .LBB77_82
.LBB77_83:
	s_cbranch_execnz .LBB77_86
.LBB77_84:
	s_load_dwordx4 s[4:7], s[34:35], 0x4
	s_load_dwordx2 s[2:3], s[34:35], 0xc4
	s_cmp_lt_u32 s33, 2
	s_waitcnt lgkmcnt(0)
	v_mul_hi_u32 v4, s5, v1
	v_add_u32_e32 v4, v1, v4
	v_lshrrev_b32_e32 v4, s6, v4
	v_mul_lo_u32 v7, v4, s4
	v_sub_u32_e32 v1, v1, v7
	v_mul_lo_u32 v12, v1, s2
	v_mul_lo_u32 v14, v1, s3
	s_cbranch_scc1 .LBB77_86
; %bb.85:
	s_load_dwordx4 s[4:7], s[34:35], 0x10
	s_load_dwordx2 s[2:3], s[34:35], 0xcc
	s_waitcnt lgkmcnt(0)
	v_mul_hi_u32 v1, s5, v4
	v_add_u32_e32 v1, v4, v1
	v_lshrrev_b32_e32 v1, s6, v1
	v_mul_lo_u32 v1, v1, s4
	v_sub_u32_e32 v1, v4, v1
	v_mad_u64_u32 v[12:13], s[4:5], v1, s2, v[12:13]
	v_mad_u64_u32 v[14:15], s[2:3], v1, s3, v[14:15]
.LBB77_86:
	s_and_b64 vcc, exec, s[0:1]
	v_add_u32_e32 v1, 0x280, v19
	s_cbranch_vccnz .LBB77_92
; %bb.87:
	s_cmp_lg_u32 s33, 0
	s_mov_b32 s26, 0
	s_cbranch_scc0 .LBB77_93
; %bb.88:
	s_min_u32 s27, s58, 15
	s_add_i32 s27, s27, 1
	s_cmp_eq_u32 s58, 2
	s_cbranch_scc1 .LBB77_94
; %bb.89:
	s_and_b32 s26, s27, 28
	s_add_u32 s2, s34, 0xc4
	s_addc_u32 s3, s35, 0
	v_mov_b32_e32 v17, 0
	s_mov_b32 s28, 0
	s_mov_b64 s[24:25], s[34:35]
	v_mov_b32_e32 v15, 0
	v_mov_b32_e32 v4, v1
.LBB77_90:                              ; =>This Inner Loop Header: Depth=1
	s_load_dwordx8 s[12:19], s[24:25], 0x4
	s_load_dwordx4 s[20:23], s[24:25], 0x24
	s_load_dwordx8 s[4:11], s[2:3], 0x0
	s_add_u32 s24, s24, 48
	s_addc_u32 s25, s25, 0
	s_waitcnt lgkmcnt(0)
	v_mul_hi_u32 v7, s13, v4
	s_add_i32 s28, s28, 4
	s_add_u32 s2, s2, 32
	s_addc_u32 s3, s3, 0
	v_add_u32_e32 v7, v4, v7
	v_lshrrev_b32_e32 v7, s14, v7
	v_mul_lo_u32 v10, v7, s12
	v_mul_hi_u32 v13, s16, v7
	s_cmp_lg_u32 s26, s28
	v_sub_u32_e32 v4, v4, v10
	v_add_u32_e32 v10, v7, v13
	v_mul_lo_u32 v13, v4, s4
	v_mul_lo_u32 v16, v4, s5
	v_lshrrev_b32_e32 v4, s17, v10
	v_mul_lo_u32 v10, v4, s15
	v_mul_hi_u32 v18, s19, v4
	v_sub_u32_e32 v7, v7, v10
	v_add_u32_e32 v10, v4, v18
	v_lshrrev_b32_e32 v10, s20, v10
	v_mul_hi_u32 v20, s22, v10
	v_mul_lo_u32 v21, v10, s18
	v_mul_lo_u32 v18, v7, s6
	v_mul_lo_u32 v7, v7, s7
	v_sub_u32_e32 v21, v4, v21
	v_add_u32_e32 v4, v10, v20
	v_lshrrev_b32_e32 v4, s23, v4
	v_mul_lo_u32 v20, v4, s21
	v_mul_lo_u32 v22, v21, s8
	;; [unrolled: 1-line block ×3, first 2 shown]
	v_add3_u32 v13, v13, v15, v18
	v_sub_u32_e32 v10, v10, v20
	v_mul_lo_u32 v20, v10, s10
	v_mul_lo_u32 v10, v10, s11
	v_add3_u32 v7, v16, v17, v7
	v_add3_u32 v15, v22, v13, v20
	;; [unrolled: 1-line block ×3, first 2 shown]
	s_cbranch_scc1 .LBB77_90
; %bb.91:
	s_and_b32 s6, s27, 3
	s_cmp_eq_u32 s6, 0
	s_cbranch_scc0 .LBB77_95
	s_branch .LBB77_97
.LBB77_92:
                                        ; implicit-def: $vgpr15
                                        ; implicit-def: $vgpr17
	s_branch .LBB77_98
.LBB77_93:
	v_mov_b32_e32 v15, 0
	v_mov_b32_e32 v17, 0
	s_branch .LBB77_97
.LBB77_94:
	v_mov_b32_e32 v15, 0
	v_mov_b32_e32 v17, 0
	;; [unrolled: 1-line block ×3, first 2 shown]
	s_and_b32 s6, s27, 3
	s_cmp_eq_u32 s6, 0
	s_cbranch_scc1 .LBB77_97
.LBB77_95:
	s_lshl_b32 s2, s26, 3
	s_add_u32 s2, s34, s2
	s_addc_u32 s3, s35, 0
	s_add_u32 s2, s2, 0xc4
	s_addc_u32 s3, s3, 0
	s_mul_i32 s4, s26, 12
	s_add_u32 s4, s34, s4
	s_addc_u32 s5, s35, 0
.LBB77_96:                              ; =>This Inner Loop Header: Depth=1
	s_load_dwordx2 s[8:9], s[4:5], 0x4
	s_load_dword s7, s[4:5], 0xc
	s_load_dwordx2 s[10:11], s[2:3], 0x0
	s_add_u32 s4, s4, 12
	s_addc_u32 s5, s5, 0
	s_waitcnt lgkmcnt(0)
	v_mul_hi_u32 v7, s9, v4
	s_add_u32 s2, s2, 8
	s_addc_u32 s3, s3, 0
	s_add_i32 s6, s6, -1
	v_add_u32_e32 v7, v4, v7
	v_lshrrev_b32_e32 v7, s7, v7
	v_mul_lo_u32 v10, v7, s8
	s_cmp_lg_u32 s6, 0
	v_sub_u32_e32 v4, v4, v10
	v_mad_u64_u32 v[15:16], s[8:9], v4, s10, v[15:16]
	v_mad_u64_u32 v[17:18], s[8:9], v4, s11, v[17:18]
	v_mov_b32_e32 v4, v7
	s_cbranch_scc1 .LBB77_96
.LBB77_97:
	s_cbranch_execnz .LBB77_100
.LBB77_98:
	s_load_dwordx4 s[4:7], s[34:35], 0x4
	s_load_dwordx2 s[2:3], s[34:35], 0xc4
	s_cmp_lt_u32 s33, 2
	s_waitcnt lgkmcnt(0)
	v_mul_hi_u32 v4, s5, v1
	v_add_u32_e32 v4, v1, v4
	v_lshrrev_b32_e32 v4, s6, v4
	v_mul_lo_u32 v7, v4, s4
	v_sub_u32_e32 v1, v1, v7
	v_mul_lo_u32 v15, v1, s2
	v_mul_lo_u32 v17, v1, s3
	s_cbranch_scc1 .LBB77_100
; %bb.99:
	s_load_dwordx4 s[4:7], s[34:35], 0x10
	s_load_dwordx2 s[2:3], s[34:35], 0xcc
	s_waitcnt lgkmcnt(0)
	v_mul_hi_u32 v1, s5, v4
	v_add_u32_e32 v1, v4, v1
	v_lshrrev_b32_e32 v1, s6, v1
	v_mul_lo_u32 v1, v1, s4
	v_sub_u32_e32 v1, v4, v1
	v_mad_u64_u32 v[15:16], s[4:5], v1, s2, v[15:16]
	v_mad_u64_u32 v[17:18], s[2:3], v1, s3, v[17:18]
.LBB77_100:
	s_and_b64 vcc, exec, s[0:1]
	v_add_u32_e32 v1, 0x300, v19
	s_cbranch_vccnz .LBB77_106
; %bb.101:
	s_cmp_lg_u32 s33, 0
	s_mov_b32 s26, 0
	s_cbranch_scc0 .LBB77_107
; %bb.102:
	s_min_u32 s27, s58, 15
	s_add_i32 s27, s27, 1
	s_cmp_eq_u32 s58, 2
	s_cbranch_scc1 .LBB77_108
; %bb.103:
	s_and_b32 s26, s27, 28
	s_add_u32 s2, s34, 0xc4
	s_addc_u32 s3, s35, 0
	v_mov_b32_e32 v20, 0
	s_mov_b32 s28, 0
	s_mov_b64 s[24:25], s[34:35]
	v_mov_b32_e32 v18, 0
	v_mov_b32_e32 v4, v1
.LBB77_104:                             ; =>This Inner Loop Header: Depth=1
	s_load_dwordx8 s[12:19], s[24:25], 0x4
	s_load_dwordx4 s[20:23], s[24:25], 0x24
	s_load_dwordx8 s[4:11], s[2:3], 0x0
	s_add_u32 s24, s24, 48
	s_addc_u32 s25, s25, 0
	s_waitcnt lgkmcnt(0)
	v_mul_hi_u32 v7, s13, v4
	s_add_i32 s28, s28, 4
	s_add_u32 s2, s2, 32
	s_addc_u32 s3, s3, 0
	v_add_u32_e32 v7, v4, v7
	v_lshrrev_b32_e32 v7, s14, v7
	v_mul_lo_u32 v10, v7, s12
	v_mul_hi_u32 v13, s16, v7
	s_cmp_lg_u32 s26, s28
	v_sub_u32_e32 v4, v4, v10
	v_add_u32_e32 v10, v7, v13
	v_mul_lo_u32 v13, v4, s4
	v_mul_lo_u32 v16, v4, s5
	v_lshrrev_b32_e32 v4, s17, v10
	v_mul_lo_u32 v10, v4, s15
	v_mul_hi_u32 v19, s19, v4
	v_sub_u32_e32 v7, v7, v10
	v_add_u32_e32 v10, v4, v19
	v_lshrrev_b32_e32 v10, s20, v10
	v_mul_hi_u32 v21, s22, v10
	v_mul_lo_u32 v22, v10, s18
	v_mul_lo_u32 v19, v7, s6
	;; [unrolled: 1-line block ×3, first 2 shown]
	v_sub_u32_e32 v22, v4, v22
	v_add_u32_e32 v4, v10, v21
	v_lshrrev_b32_e32 v4, s23, v4
	v_mul_lo_u32 v21, v4, s21
	v_mul_lo_u32 v23, v22, s8
	;; [unrolled: 1-line block ×3, first 2 shown]
	v_add3_u32 v13, v13, v18, v19
	v_sub_u32_e32 v10, v10, v21
	v_mul_lo_u32 v21, v10, s10
	v_mul_lo_u32 v10, v10, s11
	v_add3_u32 v7, v16, v20, v7
	v_add3_u32 v18, v23, v13, v21
	;; [unrolled: 1-line block ×3, first 2 shown]
	s_cbranch_scc1 .LBB77_104
; %bb.105:
	s_and_b32 s6, s27, 3
	s_cmp_eq_u32 s6, 0
	s_cbranch_scc0 .LBB77_109
	s_branch .LBB77_111
.LBB77_106:
                                        ; implicit-def: $vgpr18
                                        ; implicit-def: $vgpr20
	s_branch .LBB77_112
.LBB77_107:
	v_mov_b32_e32 v18, 0
	v_mov_b32_e32 v20, 0
	s_branch .LBB77_111
.LBB77_108:
	v_mov_b32_e32 v18, 0
	v_mov_b32_e32 v20, 0
	;; [unrolled: 1-line block ×3, first 2 shown]
	s_and_b32 s6, s27, 3
	s_cmp_eq_u32 s6, 0
	s_cbranch_scc1 .LBB77_111
.LBB77_109:
	s_lshl_b32 s2, s26, 3
	s_add_u32 s2, s34, s2
	s_addc_u32 s3, s35, 0
	s_add_u32 s2, s2, 0xc4
	s_addc_u32 s3, s3, 0
	s_mul_i32 s4, s26, 12
	s_add_u32 s4, s34, s4
	s_addc_u32 s5, s35, 0
.LBB77_110:                             ; =>This Inner Loop Header: Depth=1
	s_load_dwordx2 s[8:9], s[4:5], 0x4
	s_load_dword s7, s[4:5], 0xc
	s_load_dwordx2 s[10:11], s[2:3], 0x0
	s_add_u32 s4, s4, 12
	s_addc_u32 s5, s5, 0
	s_waitcnt lgkmcnt(0)
	v_mul_hi_u32 v7, s9, v4
	s_add_u32 s2, s2, 8
	s_addc_u32 s3, s3, 0
	s_add_i32 s6, s6, -1
	v_add_u32_e32 v7, v4, v7
	v_lshrrev_b32_e32 v7, s7, v7
	v_mul_lo_u32 v10, v7, s8
	s_cmp_lg_u32 s6, 0
	v_sub_u32_e32 v4, v4, v10
	v_mad_u64_u32 v[18:19], s[8:9], v4, s10, v[18:19]
	v_mad_u64_u32 v[20:21], s[8:9], v4, s11, v[20:21]
	v_mov_b32_e32 v4, v7
	s_cbranch_scc1 .LBB77_110
.LBB77_111:
	s_cbranch_execnz .LBB77_114
.LBB77_112:
	s_load_dwordx4 s[4:7], s[34:35], 0x4
	s_load_dwordx2 s[2:3], s[34:35], 0xc4
	s_cmp_lt_u32 s33, 2
	s_waitcnt lgkmcnt(0)
	v_mul_hi_u32 v4, s5, v1
	v_add_u32_e32 v4, v1, v4
	v_lshrrev_b32_e32 v4, s6, v4
	v_mul_lo_u32 v7, v4, s4
	v_sub_u32_e32 v1, v1, v7
	v_mul_lo_u32 v18, v1, s2
	v_mul_lo_u32 v20, v1, s3
	s_cbranch_scc1 .LBB77_114
; %bb.113:
	s_load_dwordx4 s[4:7], s[34:35], 0x10
	s_load_dwordx2 s[2:3], s[34:35], 0xcc
	s_waitcnt lgkmcnt(0)
	v_mul_hi_u32 v1, s5, v4
	v_add_u32_e32 v1, v4, v1
	v_lshrrev_b32_e32 v1, s6, v1
	v_mul_lo_u32 v1, v1, s4
	v_sub_u32_e32 v1, v4, v1
	v_mad_u64_u32 v[18:19], s[4:5], v1, s2, v[18:19]
	v_mad_u64_u32 v[20:21], s[2:3], v1, s3, v[20:21]
.LBB77_114:
	s_and_b64 vcc, exec, s[0:1]
	s_cbranch_vccnz .LBB77_120
; %bb.115:
	s_cmp_lg_u32 s33, 0
	s_mov_b32 s24, 0
	s_cbranch_scc0 .LBB77_121
; %bb.116:
	s_min_u32 s25, s58, 15
	s_add_i32 s25, s25, 1
	s_cmp_eq_u32 s58, 2
	s_cbranch_scc1 .LBB77_122
; %bb.117:
	s_and_b32 s24, s25, 28
	s_add_u32 s20, s34, 0xc4
	s_addc_u32 s21, s35, 0
	v_mov_b32_e32 v23, 0
	s_mov_b32 s26, 0
	s_mov_b64 s[22:23], s[34:35]
	v_mov_b32_e32 v21, 0
	v_mov_b32_e32 v1, v25
.LBB77_118:                             ; =>This Inner Loop Header: Depth=1
	s_load_dwordx8 s[8:15], s[22:23], 0x4
	s_load_dwordx4 s[16:19], s[22:23], 0x24
	s_load_dwordx8 s[0:7], s[20:21], 0x0
	s_add_u32 s22, s22, 48
	s_addc_u32 s23, s23, 0
	s_waitcnt lgkmcnt(0)
	v_mul_hi_u32 v4, s9, v1
	s_add_i32 s26, s26, 4
	s_add_u32 s20, s20, 32
	s_addc_u32 s21, s21, 0
	v_add_u32_e32 v4, v1, v4
	v_lshrrev_b32_e32 v4, s10, v4
	v_mul_lo_u32 v7, v4, s8
	v_mul_hi_u32 v10, s12, v4
	s_cmp_lg_u32 s24, s26
	v_sub_u32_e32 v1, v1, v7
	v_add_u32_e32 v7, v4, v10
	v_mul_lo_u32 v10, v1, s0
	v_mul_lo_u32 v13, v1, s1
	v_lshrrev_b32_e32 v1, s13, v7
	v_mul_lo_u32 v7, v1, s11
	v_mul_hi_u32 v16, s15, v1
	v_sub_u32_e32 v4, v4, v7
	v_add_u32_e32 v7, v1, v16
	v_lshrrev_b32_e32 v7, s16, v7
	v_mul_hi_u32 v19, s18, v7
	v_mul_lo_u32 v22, v7, s14
	v_mul_lo_u32 v16, v4, s2
	;; [unrolled: 1-line block ×3, first 2 shown]
	v_sub_u32_e32 v22, v1, v22
	v_add_u32_e32 v1, v7, v19
	v_lshrrev_b32_e32 v1, s19, v1
	v_mul_lo_u32 v19, v1, s17
	v_mul_lo_u32 v24, v22, s4
	;; [unrolled: 1-line block ×3, first 2 shown]
	v_add3_u32 v10, v10, v21, v16
	v_sub_u32_e32 v7, v7, v19
	v_mul_lo_u32 v19, v7, s6
	v_mul_lo_u32 v7, v7, s7
	v_add3_u32 v4, v13, v23, v4
	v_add3_u32 v21, v24, v10, v19
	;; [unrolled: 1-line block ×3, first 2 shown]
	s_cbranch_scc1 .LBB77_118
; %bb.119:
	s_and_b32 s4, s25, 3
	s_cmp_eq_u32 s4, 0
	s_cbranch_scc0 .LBB77_123
	s_branch .LBB77_125
.LBB77_120:
                                        ; implicit-def: $vgpr21
                                        ; implicit-def: $vgpr23
	s_branch .LBB77_126
.LBB77_121:
	v_mov_b32_e32 v21, 0
	v_mov_b32_e32 v23, 0
	s_branch .LBB77_125
.LBB77_122:
	v_mov_b32_e32 v21, 0
	v_mov_b32_e32 v23, 0
	v_mov_b32_e32 v1, v25
	s_and_b32 s4, s25, 3
	s_cmp_eq_u32 s4, 0
	s_cbranch_scc1 .LBB77_125
.LBB77_123:
	s_lshl_b32 s0, s24, 3
	s_add_u32 s0, s34, s0
	s_addc_u32 s1, s35, 0
	s_add_u32 s0, s0, 0xc4
	s_addc_u32 s1, s1, 0
	s_mul_i32 s2, s24, 12
	s_add_u32 s2, s34, s2
	s_addc_u32 s3, s35, 0
.LBB77_124:                             ; =>This Inner Loop Header: Depth=1
	s_load_dwordx2 s[6:7], s[2:3], 0x4
	s_load_dword s5, s[2:3], 0xc
	s_load_dwordx2 s[8:9], s[0:1], 0x0
	s_add_u32 s2, s2, 12
	s_addc_u32 s3, s3, 0
	s_waitcnt lgkmcnt(0)
	v_mul_hi_u32 v4, s7, v1
	s_add_u32 s0, s0, 8
	s_addc_u32 s1, s1, 0
	s_add_i32 s4, s4, -1
	v_add_u32_e32 v4, v1, v4
	v_lshrrev_b32_e32 v4, s5, v4
	v_mul_lo_u32 v7, v4, s6
	s_cmp_lg_u32 s4, 0
	v_sub_u32_e32 v1, v1, v7
	v_mad_u64_u32 v[21:22], s[6:7], v1, s8, v[21:22]
	v_mad_u64_u32 v[23:24], s[6:7], v1, s9, v[23:24]
	v_mov_b32_e32 v1, v4
	s_cbranch_scc1 .LBB77_124
.LBB77_125:
	s_cbranch_execnz .LBB77_128
.LBB77_126:
	s_load_dwordx4 s[0:3], s[34:35], 0x4
	s_load_dwordx2 s[4:5], s[34:35], 0xc4
	s_cmp_lt_u32 s33, 2
	s_waitcnt lgkmcnt(0)
	v_mul_hi_u32 v1, s1, v25
	v_add_u32_e32 v1, v25, v1
	v_lshrrev_b32_e32 v1, s2, v1
	v_mul_lo_u32 v4, v1, s0
	v_sub_u32_e32 v4, v25, v4
	v_mul_lo_u32 v21, v4, s4
	v_mul_lo_u32 v23, v4, s5
	s_cbranch_scc1 .LBB77_128
; %bb.127:
	s_load_dwordx4 s[0:3], s[34:35], 0x10
	s_load_dwordx2 s[4:5], s[34:35], 0xcc
	s_waitcnt lgkmcnt(0)
	v_mul_hi_u32 v4, s1, v1
	v_add_u32_e32 v4, v1, v4
	v_lshrrev_b32_e32 v4, s2, v4
	v_mul_lo_u32 v4, v4, s0
	v_sub_u32_e32 v1, v1, v4
	v_mad_u64_u32 v[21:22], s[0:1], v1, s4, v[21:22]
	v_mad_u64_u32 v[23:24], s[0:1], v1, s5, v[23:24]
.LBB77_128:
	s_load_dwordx4 s[16:19], s[34:35], 0x148
	s_load_dwordx2 s[12:13], s[34:35], 0x158
	s_waitcnt lgkmcnt(0)
	global_load_ushort v1, v2, s[18:19]
	global_load_ushort v4, v5, s[18:19]
	;; [unrolled: 1-line block ×8, first 2 shown]
	s_cmp_eq_u32 s12, 0
	s_cselect_b64 s[14:15], -1, 0
	s_waitcnt vmcnt(7)
	v_cmp_ne_u16_e32 vcc, s13, v1
	s_waitcnt vmcnt(6)
	v_cmp_ne_u16_e64 s[0:1], s13, v4
	s_waitcnt vmcnt(5)
	v_cmp_ne_u16_e64 s[2:3], s13, v7
	s_xor_b64 s[0:1], s[14:15], s[0:1]
	s_waitcnt vmcnt(4)
	v_cmp_ne_u16_e64 s[4:5], s13, v10
	v_cndmask_b32_e64 v2, 0, 1, s[0:1]
	s_xor_b64 s[0:1], s[14:15], s[2:3]
	s_waitcnt vmcnt(3)
	v_cmp_ne_u16_e64 s[6:7], s13, v13
	v_cndmask_b32_e64 v4, 0, 1, s[0:1]
	;; [unrolled: 4-line block ×4, first 2 shown]
	s_xor_b64 s[0:1], s[14:15], s[8:9]
	s_waitcnt vmcnt(0)
	v_cmp_ne_u16_e64 s[12:13], s13, v22
	s_xor_b64 s[18:19], s[14:15], vcc
	v_cndmask_b32_e64 v8, 0, 1, s[0:1]
	s_xor_b64 s[0:1], s[14:15], s[10:11]
	v_cndmask_b32_e64 v1, 0, 1, s[18:19]
	v_cndmask_b32_e64 v10, 0, 1, s[0:1]
	s_xor_b64 s[0:1], s[14:15], s[12:13]
	v_cndmask_b32_e64 v11, 0, 1, s[0:1]
	global_store_byte v0, v1, s[16:17]
	global_store_byte v3, v2, s[16:17]
	;; [unrolled: 1-line block ×8, first 2 shown]
	s_endpgm
.LBB77_129:
	v_mov_b32_e32 v0, 0
	v_mov_b32_e32 v2, 0
	s_branch .LBB77_135
.LBB77_130:
	v_mov_b32_e32 v0, 0
	v_mov_b32_e32 v2, 0
	s_branch .LBB77_151
.LBB77_131:
	s_mov_b32 s40, 0
	v_mov_b32_e32 v0, 0
	v_mov_b32_e32 v2, 0
	;; [unrolled: 1-line block ×3, first 2 shown]
.LBB77_132:
	s_and_b32 s4, s61, 3
	s_cmp_eq_u32 s4, 0
	s_cbranch_scc1 .LBB77_135
; %bb.133:
	s_lshl_b32 s0, s40, 3
	s_add_u32 s0, s34, s0
	s_addc_u32 s1, s35, 0
	s_add_u32 s0, s0, 0xc4
	s_addc_u32 s1, s1, 0
	s_mul_i32 s2, s40, 12
	s_add_u32 s2, s34, s2
	s_addc_u32 s3, s35, 0
.LBB77_134:                             ; =>This Inner Loop Header: Depth=1
	s_load_dwordx2 s[6:7], s[2:3], 0x4
	s_load_dword s5, s[2:3], 0xc
	s_load_dwordx2 s[8:9], s[0:1], 0x0
	s_add_u32 s2, s2, 12
	s_addc_u32 s3, s3, 0
	s_waitcnt lgkmcnt(0)
	v_mul_hi_u32 v3, s7, v1
	s_add_u32 s0, s0, 8
	s_addc_u32 s1, s1, 0
	s_add_i32 s4, s4, -1
	v_add_u32_e32 v3, v1, v3
	v_lshrrev_b32_e32 v4, s5, v3
	v_mul_lo_u32 v3, v4, s6
	s_cmp_lg_u32 s4, 0
	v_sub_u32_e32 v3, v1, v3
	v_mad_u64_u32 v[0:1], s[6:7], v3, s8, v[0:1]
	v_mad_u64_u32 v[2:3], s[6:7], v3, s9, v[2:3]
	v_mov_b32_e32 v1, v4
	s_cbranch_scc1 .LBB77_134
.LBB77_135:
	s_cbranch_execnz .LBB77_138
.LBB77_136:
	v_mul_hi_u32 v0, s21, v19
	s_andn2_b64 vcc, exec, s[46:47]
	v_add_u32_e32 v0, v19, v0
	v_lshrrev_b32_e32 v1, s22, v0
	v_mul_lo_u32 v0, v1, s20
	v_sub_u32_e32 v2, v19, v0
	v_mul_lo_u32 v0, v2, s24
	v_mul_lo_u32 v2, v2, s25
	s_cbranch_vccnz .LBB77_138
; %bb.137:
	v_mul_hi_u32 v3, s44, v1
	v_add_u32_e32 v3, v1, v3
	v_lshrrev_b32_e32 v3, s45, v3
	v_mul_lo_u32 v3, v3, s23
	v_sub_u32_e32 v3, v1, v3
	v_mad_u64_u32 v[0:1], s[0:1], v3, s26, v[0:1]
	v_mad_u64_u32 v[2:3], s[0:1], v3, s27, v[2:3]
.LBB77_138:
	global_load_ushort v1, v2, s[18:19]
	v_add_u32_e32 v19, 0x80, v19
	s_waitcnt vmcnt(0)
	v_cmp_ne_u16_e32 vcc, s41, v1
	s_xor_b64 s[0:1], s[42:43], vcc
	v_cndmask_b32_e64 v1, 0, 1, s[0:1]
	global_store_byte v0, v1, s[16:17]
	s_or_b64 exec, exec, s[52:53]
	v_cmp_gt_i32_e32 vcc, s59, v19
	s_and_saveexec_b64 s[52:53], vcc
	s_cbranch_execnz .LBB77_15
.LBB77_139:
	s_or_b64 exec, exec, s[52:53]
	v_cmp_gt_i32_e32 vcc, s59, v19
	s_and_saveexec_b64 s[52:53], vcc
	s_cbranch_execz .LBB77_155
.LBB77_140:
	s_andn2_b64 vcc, exec, s[36:37]
	s_cbranch_vccnz .LBB77_145
; %bb.141:
	s_andn2_b64 vcc, exec, s[50:51]
	s_cbranch_vccnz .LBB77_146
; %bb.142:
	s_add_i32 s61, s60, 1
	s_cmp_eq_u32 s58, 2
	s_cbranch_scc1 .LBB77_163
; %bb.143:
	s_and_b32 s40, s61, 28
	v_mov_b32_e32 v2, 0
	s_mov_b32 s62, 0
	s_mov_b64 s[54:55], s[34:35]
	s_mov_b64 s[56:57], s[48:49]
	v_mov_b32_e32 v0, 0
	v_mov_b32_e32 v1, v19
.LBB77_144:                             ; =>This Inner Loop Header: Depth=1
	s_load_dwordx8 s[8:15], s[54:55], 0x4
	s_load_dwordx4 s[28:31], s[54:55], 0x24
	s_load_dwordx8 s[0:7], s[56:57], 0x0
	s_add_u32 s54, s54, 48
	s_addc_u32 s55, s55, 0
	s_waitcnt lgkmcnt(0)
	v_mul_hi_u32 v3, s9, v1
	s_add_i32 s62, s62, 4
	s_add_u32 s56, s56, 32
	s_addc_u32 s57, s57, 0
	v_add_u32_e32 v3, v1, v3
	v_lshrrev_b32_e32 v3, s10, v3
	v_mul_lo_u32 v4, v3, s8
	v_mul_hi_u32 v5, s12, v3
	s_cmp_eq_u32 s40, s62
	v_sub_u32_e32 v1, v1, v4
	v_add_u32_e32 v4, v3, v5
	v_mul_lo_u32 v5, v1, s0
	v_mul_lo_u32 v6, v1, s1
	v_lshrrev_b32_e32 v1, s13, v4
	v_mul_lo_u32 v4, v1, s11
	v_mul_hi_u32 v7, s15, v1
	v_sub_u32_e32 v3, v3, v4
	v_add_u32_e32 v4, v1, v7
	v_lshrrev_b32_e32 v4, s28, v4
	v_mul_hi_u32 v8, s30, v4
	v_mul_lo_u32 v9, v4, s14
	v_mul_lo_u32 v7, v3, s2
	;; [unrolled: 1-line block ×3, first 2 shown]
	v_sub_u32_e32 v9, v1, v9
	v_add_u32_e32 v1, v4, v8
	v_lshrrev_b32_e32 v1, s31, v1
	v_mul_lo_u32 v8, v1, s29
	v_mul_lo_u32 v10, v9, s4
	;; [unrolled: 1-line block ×3, first 2 shown]
	v_add3_u32 v0, v5, v0, v7
	v_sub_u32_e32 v4, v4, v8
	v_mul_lo_u32 v8, v4, s6
	v_mul_lo_u32 v4, v4, s7
	v_add3_u32 v2, v6, v2, v3
	v_add3_u32 v0, v10, v0, v8
	;; [unrolled: 1-line block ×3, first 2 shown]
	s_cbranch_scc0 .LBB77_144
	s_branch .LBB77_164
.LBB77_145:
                                        ; implicit-def: $vgpr0
                                        ; implicit-def: $vgpr2
	s_branch .LBB77_168
.LBB77_146:
	v_mov_b32_e32 v0, 0
	v_mov_b32_e32 v2, 0
	s_branch .LBB77_167
.LBB77_147:
	s_mov_b32 s40, 0
	v_mov_b32_e32 v0, 0
	v_mov_b32_e32 v2, 0
	;; [unrolled: 1-line block ×3, first 2 shown]
.LBB77_148:
	s_and_b32 s4, s61, 3
	s_cmp_eq_u32 s4, 0
	s_cbranch_scc1 .LBB77_151
; %bb.149:
	s_lshl_b32 s0, s40, 3
	s_add_u32 s0, s34, s0
	s_addc_u32 s1, s35, 0
	s_add_u32 s0, s0, 0xc4
	s_addc_u32 s1, s1, 0
	s_mul_i32 s2, s40, 12
	s_add_u32 s2, s34, s2
	s_addc_u32 s3, s35, 0
.LBB77_150:                             ; =>This Inner Loop Header: Depth=1
	s_load_dwordx2 s[6:7], s[2:3], 0x4
	s_load_dword s5, s[2:3], 0xc
	s_load_dwordx2 s[8:9], s[0:1], 0x0
	s_add_u32 s2, s2, 12
	s_addc_u32 s3, s3, 0
	s_waitcnt lgkmcnt(0)
	v_mul_hi_u32 v3, s7, v1
	s_add_u32 s0, s0, 8
	s_addc_u32 s1, s1, 0
	s_add_i32 s4, s4, -1
	v_add_u32_e32 v3, v1, v3
	v_lshrrev_b32_e32 v4, s5, v3
	v_mul_lo_u32 v3, v4, s6
	s_cmp_lg_u32 s4, 0
	v_sub_u32_e32 v3, v1, v3
	v_mad_u64_u32 v[0:1], s[6:7], v3, s8, v[0:1]
	v_mad_u64_u32 v[2:3], s[6:7], v3, s9, v[2:3]
	v_mov_b32_e32 v1, v4
	s_cbranch_scc1 .LBB77_150
.LBB77_151:
	s_cbranch_execnz .LBB77_154
.LBB77_152:
	v_mul_hi_u32 v0, s21, v19
	s_andn2_b64 vcc, exec, s[46:47]
	v_add_u32_e32 v0, v19, v0
	v_lshrrev_b32_e32 v1, s22, v0
	v_mul_lo_u32 v0, v1, s20
	v_sub_u32_e32 v2, v19, v0
	v_mul_lo_u32 v0, v2, s24
	v_mul_lo_u32 v2, v2, s25
	s_cbranch_vccnz .LBB77_154
; %bb.153:
	v_mul_hi_u32 v3, s44, v1
	v_add_u32_e32 v3, v1, v3
	v_lshrrev_b32_e32 v3, s45, v3
	v_mul_lo_u32 v3, v3, s23
	v_sub_u32_e32 v3, v1, v3
	v_mad_u64_u32 v[0:1], s[0:1], v3, s26, v[0:1]
	v_mad_u64_u32 v[2:3], s[0:1], v3, s27, v[2:3]
.LBB77_154:
	global_load_ushort v1, v2, s[18:19]
	v_add_u32_e32 v19, 0x80, v19
	s_waitcnt vmcnt(0)
	v_cmp_ne_u16_e32 vcc, s41, v1
	s_xor_b64 s[0:1], s[42:43], vcc
	v_cndmask_b32_e64 v1, 0, 1, s[0:1]
	global_store_byte v0, v1, s[16:17]
	s_or_b64 exec, exec, s[52:53]
	v_cmp_gt_i32_e32 vcc, s59, v19
	s_and_saveexec_b64 s[52:53], vcc
	s_cbranch_execnz .LBB77_140
.LBB77_155:
	s_or_b64 exec, exec, s[52:53]
	v_cmp_gt_i32_e32 vcc, s59, v19
	s_and_saveexec_b64 s[52:53], vcc
	s_cbranch_execz .LBB77_171
.LBB77_156:
	s_andn2_b64 vcc, exec, s[36:37]
	s_cbranch_vccnz .LBB77_161
; %bb.157:
	s_andn2_b64 vcc, exec, s[50:51]
	s_cbranch_vccnz .LBB77_162
; %bb.158:
	s_add_i32 s61, s60, 1
	s_cmp_eq_u32 s58, 2
	s_cbranch_scc1 .LBB77_179
; %bb.159:
	s_and_b32 s40, s61, 28
	v_mov_b32_e32 v2, 0
	s_mov_b32 s62, 0
	s_mov_b64 s[54:55], s[34:35]
	s_mov_b64 s[56:57], s[48:49]
	v_mov_b32_e32 v0, 0
	v_mov_b32_e32 v1, v19
.LBB77_160:                             ; =>This Inner Loop Header: Depth=1
	s_load_dwordx8 s[8:15], s[54:55], 0x4
	s_load_dwordx4 s[28:31], s[54:55], 0x24
	s_load_dwordx8 s[0:7], s[56:57], 0x0
	s_add_u32 s54, s54, 48
	s_addc_u32 s55, s55, 0
	s_waitcnt lgkmcnt(0)
	v_mul_hi_u32 v3, s9, v1
	s_add_i32 s62, s62, 4
	s_add_u32 s56, s56, 32
	s_addc_u32 s57, s57, 0
	v_add_u32_e32 v3, v1, v3
	v_lshrrev_b32_e32 v3, s10, v3
	v_mul_lo_u32 v4, v3, s8
	v_mul_hi_u32 v5, s12, v3
	s_cmp_eq_u32 s40, s62
	v_sub_u32_e32 v1, v1, v4
	v_add_u32_e32 v4, v3, v5
	v_mul_lo_u32 v5, v1, s0
	v_mul_lo_u32 v6, v1, s1
	v_lshrrev_b32_e32 v1, s13, v4
	v_mul_lo_u32 v4, v1, s11
	v_mul_hi_u32 v7, s15, v1
	v_sub_u32_e32 v3, v3, v4
	v_add_u32_e32 v4, v1, v7
	v_lshrrev_b32_e32 v4, s28, v4
	v_mul_hi_u32 v8, s30, v4
	v_mul_lo_u32 v9, v4, s14
	v_mul_lo_u32 v7, v3, s2
	;; [unrolled: 1-line block ×3, first 2 shown]
	v_sub_u32_e32 v9, v1, v9
	v_add_u32_e32 v1, v4, v8
	v_lshrrev_b32_e32 v1, s31, v1
	v_mul_lo_u32 v8, v1, s29
	v_mul_lo_u32 v10, v9, s4
	;; [unrolled: 1-line block ×3, first 2 shown]
	v_add3_u32 v0, v5, v0, v7
	v_sub_u32_e32 v4, v4, v8
	v_mul_lo_u32 v8, v4, s6
	v_mul_lo_u32 v4, v4, s7
	v_add3_u32 v2, v6, v2, v3
	v_add3_u32 v0, v10, v0, v8
	;; [unrolled: 1-line block ×3, first 2 shown]
	s_cbranch_scc0 .LBB77_160
	s_branch .LBB77_180
.LBB77_161:
                                        ; implicit-def: $vgpr0
                                        ; implicit-def: $vgpr2
	s_branch .LBB77_184
.LBB77_162:
	v_mov_b32_e32 v0, 0
	v_mov_b32_e32 v2, 0
	s_branch .LBB77_183
.LBB77_163:
	s_mov_b32 s40, 0
	v_mov_b32_e32 v0, 0
	v_mov_b32_e32 v2, 0
	;; [unrolled: 1-line block ×3, first 2 shown]
.LBB77_164:
	s_and_b32 s4, s61, 3
	s_cmp_eq_u32 s4, 0
	s_cbranch_scc1 .LBB77_167
; %bb.165:
	s_lshl_b32 s0, s40, 3
	s_add_u32 s0, s34, s0
	s_addc_u32 s1, s35, 0
	s_add_u32 s0, s0, 0xc4
	s_addc_u32 s1, s1, 0
	s_mul_i32 s2, s40, 12
	s_add_u32 s2, s34, s2
	s_addc_u32 s3, s35, 0
.LBB77_166:                             ; =>This Inner Loop Header: Depth=1
	s_load_dwordx2 s[6:7], s[2:3], 0x4
	s_load_dword s5, s[2:3], 0xc
	s_load_dwordx2 s[8:9], s[0:1], 0x0
	s_add_u32 s2, s2, 12
	s_addc_u32 s3, s3, 0
	s_waitcnt lgkmcnt(0)
	v_mul_hi_u32 v3, s7, v1
	s_add_u32 s0, s0, 8
	s_addc_u32 s1, s1, 0
	s_add_i32 s4, s4, -1
	v_add_u32_e32 v3, v1, v3
	v_lshrrev_b32_e32 v4, s5, v3
	v_mul_lo_u32 v3, v4, s6
	s_cmp_lg_u32 s4, 0
	v_sub_u32_e32 v3, v1, v3
	v_mad_u64_u32 v[0:1], s[6:7], v3, s8, v[0:1]
	v_mad_u64_u32 v[2:3], s[6:7], v3, s9, v[2:3]
	v_mov_b32_e32 v1, v4
	s_cbranch_scc1 .LBB77_166
.LBB77_167:
	s_cbranch_execnz .LBB77_170
.LBB77_168:
	v_mul_hi_u32 v0, s21, v19
	s_andn2_b64 vcc, exec, s[46:47]
	v_add_u32_e32 v0, v19, v0
	v_lshrrev_b32_e32 v1, s22, v0
	v_mul_lo_u32 v0, v1, s20
	v_sub_u32_e32 v2, v19, v0
	v_mul_lo_u32 v0, v2, s24
	v_mul_lo_u32 v2, v2, s25
	s_cbranch_vccnz .LBB77_170
; %bb.169:
	v_mul_hi_u32 v3, s44, v1
	v_add_u32_e32 v3, v1, v3
	v_lshrrev_b32_e32 v3, s45, v3
	v_mul_lo_u32 v3, v3, s23
	v_sub_u32_e32 v3, v1, v3
	v_mad_u64_u32 v[0:1], s[0:1], v3, s26, v[0:1]
	v_mad_u64_u32 v[2:3], s[0:1], v3, s27, v[2:3]
.LBB77_170:
	global_load_ushort v1, v2, s[18:19]
	v_add_u32_e32 v19, 0x80, v19
	s_waitcnt vmcnt(0)
	v_cmp_ne_u16_e32 vcc, s41, v1
	s_xor_b64 s[0:1], s[42:43], vcc
	v_cndmask_b32_e64 v1, 0, 1, s[0:1]
	global_store_byte v0, v1, s[16:17]
	s_or_b64 exec, exec, s[52:53]
	v_cmp_gt_i32_e32 vcc, s59, v19
	s_and_saveexec_b64 s[52:53], vcc
	s_cbranch_execnz .LBB77_156
.LBB77_171:
	s_or_b64 exec, exec, s[52:53]
	v_cmp_gt_i32_e32 vcc, s59, v19
	s_and_saveexec_b64 s[52:53], vcc
	s_cbranch_execz .LBB77_187
.LBB77_172:
	s_andn2_b64 vcc, exec, s[36:37]
	s_cbranch_vccnz .LBB77_177
; %bb.173:
	s_andn2_b64 vcc, exec, s[50:51]
	s_cbranch_vccnz .LBB77_178
; %bb.174:
	s_add_i32 s61, s60, 1
	s_cmp_eq_u32 s58, 2
	s_cbranch_scc1 .LBB77_195
; %bb.175:
	s_and_b32 s40, s61, 28
	v_mov_b32_e32 v2, 0
	s_mov_b32 s62, 0
	s_mov_b64 s[54:55], s[34:35]
	s_mov_b64 s[56:57], s[48:49]
	v_mov_b32_e32 v0, 0
	v_mov_b32_e32 v1, v19
.LBB77_176:                             ; =>This Inner Loop Header: Depth=1
	s_load_dwordx8 s[8:15], s[54:55], 0x4
	s_load_dwordx4 s[28:31], s[54:55], 0x24
	s_load_dwordx8 s[0:7], s[56:57], 0x0
	s_add_u32 s54, s54, 48
	s_addc_u32 s55, s55, 0
	s_waitcnt lgkmcnt(0)
	v_mul_hi_u32 v3, s9, v1
	s_add_i32 s62, s62, 4
	s_add_u32 s56, s56, 32
	s_addc_u32 s57, s57, 0
	v_add_u32_e32 v3, v1, v3
	v_lshrrev_b32_e32 v3, s10, v3
	v_mul_lo_u32 v4, v3, s8
	v_mul_hi_u32 v5, s12, v3
	s_cmp_eq_u32 s40, s62
	v_sub_u32_e32 v1, v1, v4
	v_add_u32_e32 v4, v3, v5
	v_mul_lo_u32 v5, v1, s0
	v_mul_lo_u32 v6, v1, s1
	v_lshrrev_b32_e32 v1, s13, v4
	v_mul_lo_u32 v4, v1, s11
	v_mul_hi_u32 v7, s15, v1
	v_sub_u32_e32 v3, v3, v4
	v_add_u32_e32 v4, v1, v7
	v_lshrrev_b32_e32 v4, s28, v4
	v_mul_hi_u32 v8, s30, v4
	v_mul_lo_u32 v9, v4, s14
	v_mul_lo_u32 v7, v3, s2
	;; [unrolled: 1-line block ×3, first 2 shown]
	v_sub_u32_e32 v9, v1, v9
	v_add_u32_e32 v1, v4, v8
	v_lshrrev_b32_e32 v1, s31, v1
	v_mul_lo_u32 v8, v1, s29
	v_mul_lo_u32 v10, v9, s4
	v_mul_lo_u32 v9, v9, s5
	v_add3_u32 v0, v5, v0, v7
	v_sub_u32_e32 v4, v4, v8
	v_mul_lo_u32 v8, v4, s6
	v_mul_lo_u32 v4, v4, s7
	v_add3_u32 v2, v6, v2, v3
	v_add3_u32 v0, v10, v0, v8
	;; [unrolled: 1-line block ×3, first 2 shown]
	s_cbranch_scc0 .LBB77_176
	s_branch .LBB77_196
.LBB77_177:
                                        ; implicit-def: $vgpr0
                                        ; implicit-def: $vgpr2
	s_branch .LBB77_200
.LBB77_178:
	v_mov_b32_e32 v0, 0
	v_mov_b32_e32 v2, 0
	s_branch .LBB77_199
.LBB77_179:
	s_mov_b32 s40, 0
	v_mov_b32_e32 v0, 0
	v_mov_b32_e32 v2, 0
	;; [unrolled: 1-line block ×3, first 2 shown]
.LBB77_180:
	s_and_b32 s4, s61, 3
	s_cmp_eq_u32 s4, 0
	s_cbranch_scc1 .LBB77_183
; %bb.181:
	s_lshl_b32 s0, s40, 3
	s_add_u32 s0, s34, s0
	s_addc_u32 s1, s35, 0
	s_add_u32 s0, s0, 0xc4
	s_addc_u32 s1, s1, 0
	s_mul_i32 s2, s40, 12
	s_add_u32 s2, s34, s2
	s_addc_u32 s3, s35, 0
.LBB77_182:                             ; =>This Inner Loop Header: Depth=1
	s_load_dwordx2 s[6:7], s[2:3], 0x4
	s_load_dword s5, s[2:3], 0xc
	s_load_dwordx2 s[8:9], s[0:1], 0x0
	s_add_u32 s2, s2, 12
	s_addc_u32 s3, s3, 0
	s_waitcnt lgkmcnt(0)
	v_mul_hi_u32 v3, s7, v1
	s_add_u32 s0, s0, 8
	s_addc_u32 s1, s1, 0
	s_add_i32 s4, s4, -1
	v_add_u32_e32 v3, v1, v3
	v_lshrrev_b32_e32 v4, s5, v3
	v_mul_lo_u32 v3, v4, s6
	s_cmp_lg_u32 s4, 0
	v_sub_u32_e32 v3, v1, v3
	v_mad_u64_u32 v[0:1], s[6:7], v3, s8, v[0:1]
	v_mad_u64_u32 v[2:3], s[6:7], v3, s9, v[2:3]
	v_mov_b32_e32 v1, v4
	s_cbranch_scc1 .LBB77_182
.LBB77_183:
	s_cbranch_execnz .LBB77_186
.LBB77_184:
	v_mul_hi_u32 v0, s21, v19
	s_andn2_b64 vcc, exec, s[46:47]
	v_add_u32_e32 v0, v19, v0
	v_lshrrev_b32_e32 v1, s22, v0
	v_mul_lo_u32 v0, v1, s20
	v_sub_u32_e32 v2, v19, v0
	v_mul_lo_u32 v0, v2, s24
	v_mul_lo_u32 v2, v2, s25
	s_cbranch_vccnz .LBB77_186
; %bb.185:
	v_mul_hi_u32 v3, s44, v1
	v_add_u32_e32 v3, v1, v3
	v_lshrrev_b32_e32 v3, s45, v3
	v_mul_lo_u32 v3, v3, s23
	v_sub_u32_e32 v3, v1, v3
	v_mad_u64_u32 v[0:1], s[0:1], v3, s26, v[0:1]
	v_mad_u64_u32 v[2:3], s[0:1], v3, s27, v[2:3]
.LBB77_186:
	global_load_ushort v1, v2, s[18:19]
	v_add_u32_e32 v19, 0x80, v19
	s_waitcnt vmcnt(0)
	v_cmp_ne_u16_e32 vcc, s41, v1
	s_xor_b64 s[0:1], s[42:43], vcc
	v_cndmask_b32_e64 v1, 0, 1, s[0:1]
	global_store_byte v0, v1, s[16:17]
	s_or_b64 exec, exec, s[52:53]
	v_cmp_gt_i32_e32 vcc, s59, v19
	s_and_saveexec_b64 s[52:53], vcc
	s_cbranch_execnz .LBB77_172
.LBB77_187:
	s_or_b64 exec, exec, s[52:53]
	v_cmp_gt_i32_e32 vcc, s59, v19
	s_and_saveexec_b64 s[52:53], vcc
	s_cbranch_execz .LBB77_203
.LBB77_188:
	s_andn2_b64 vcc, exec, s[36:37]
	s_cbranch_vccnz .LBB77_193
; %bb.189:
	s_andn2_b64 vcc, exec, s[50:51]
	s_cbranch_vccnz .LBB77_194
; %bb.190:
	s_add_i32 s61, s60, 1
	s_cmp_eq_u32 s58, 2
	s_cbranch_scc1 .LBB77_211
; %bb.191:
	s_and_b32 s40, s61, 28
	v_mov_b32_e32 v2, 0
	s_mov_b32 s62, 0
	s_mov_b64 s[54:55], s[34:35]
	s_mov_b64 s[56:57], s[48:49]
	v_mov_b32_e32 v0, 0
	v_mov_b32_e32 v1, v19
.LBB77_192:                             ; =>This Inner Loop Header: Depth=1
	s_load_dwordx8 s[8:15], s[54:55], 0x4
	s_load_dwordx4 s[28:31], s[54:55], 0x24
	s_load_dwordx8 s[0:7], s[56:57], 0x0
	s_add_u32 s54, s54, 48
	s_addc_u32 s55, s55, 0
	s_waitcnt lgkmcnt(0)
	v_mul_hi_u32 v3, s9, v1
	s_add_i32 s62, s62, 4
	s_add_u32 s56, s56, 32
	s_addc_u32 s57, s57, 0
	v_add_u32_e32 v3, v1, v3
	v_lshrrev_b32_e32 v3, s10, v3
	v_mul_lo_u32 v4, v3, s8
	v_mul_hi_u32 v5, s12, v3
	s_cmp_eq_u32 s40, s62
	v_sub_u32_e32 v1, v1, v4
	v_add_u32_e32 v4, v3, v5
	v_mul_lo_u32 v5, v1, s0
	v_mul_lo_u32 v6, v1, s1
	v_lshrrev_b32_e32 v1, s13, v4
	v_mul_lo_u32 v4, v1, s11
	v_mul_hi_u32 v7, s15, v1
	v_sub_u32_e32 v3, v3, v4
	v_add_u32_e32 v4, v1, v7
	v_lshrrev_b32_e32 v4, s28, v4
	v_mul_hi_u32 v8, s30, v4
	v_mul_lo_u32 v9, v4, s14
	v_mul_lo_u32 v7, v3, s2
	;; [unrolled: 1-line block ×3, first 2 shown]
	v_sub_u32_e32 v9, v1, v9
	v_add_u32_e32 v1, v4, v8
	v_lshrrev_b32_e32 v1, s31, v1
	v_mul_lo_u32 v8, v1, s29
	v_mul_lo_u32 v10, v9, s4
	;; [unrolled: 1-line block ×3, first 2 shown]
	v_add3_u32 v0, v5, v0, v7
	v_sub_u32_e32 v4, v4, v8
	v_mul_lo_u32 v8, v4, s6
	v_mul_lo_u32 v4, v4, s7
	v_add3_u32 v2, v6, v2, v3
	v_add3_u32 v0, v10, v0, v8
	;; [unrolled: 1-line block ×3, first 2 shown]
	s_cbranch_scc0 .LBB77_192
	s_branch .LBB77_212
.LBB77_193:
                                        ; implicit-def: $vgpr0
                                        ; implicit-def: $vgpr2
	s_branch .LBB77_216
.LBB77_194:
	v_mov_b32_e32 v0, 0
	v_mov_b32_e32 v2, 0
	s_branch .LBB77_215
.LBB77_195:
	s_mov_b32 s40, 0
	v_mov_b32_e32 v0, 0
	v_mov_b32_e32 v2, 0
	;; [unrolled: 1-line block ×3, first 2 shown]
.LBB77_196:
	s_and_b32 s4, s61, 3
	s_cmp_eq_u32 s4, 0
	s_cbranch_scc1 .LBB77_199
; %bb.197:
	s_lshl_b32 s0, s40, 3
	s_add_u32 s0, s34, s0
	s_addc_u32 s1, s35, 0
	s_add_u32 s0, s0, 0xc4
	s_addc_u32 s1, s1, 0
	s_mul_i32 s2, s40, 12
	s_add_u32 s2, s34, s2
	s_addc_u32 s3, s35, 0
.LBB77_198:                             ; =>This Inner Loop Header: Depth=1
	s_load_dwordx2 s[6:7], s[2:3], 0x4
	s_load_dword s5, s[2:3], 0xc
	s_load_dwordx2 s[8:9], s[0:1], 0x0
	s_add_u32 s2, s2, 12
	s_addc_u32 s3, s3, 0
	s_waitcnt lgkmcnt(0)
	v_mul_hi_u32 v3, s7, v1
	s_add_u32 s0, s0, 8
	s_addc_u32 s1, s1, 0
	s_add_i32 s4, s4, -1
	v_add_u32_e32 v3, v1, v3
	v_lshrrev_b32_e32 v4, s5, v3
	v_mul_lo_u32 v3, v4, s6
	s_cmp_lg_u32 s4, 0
	v_sub_u32_e32 v3, v1, v3
	v_mad_u64_u32 v[0:1], s[6:7], v3, s8, v[0:1]
	v_mad_u64_u32 v[2:3], s[6:7], v3, s9, v[2:3]
	v_mov_b32_e32 v1, v4
	s_cbranch_scc1 .LBB77_198
.LBB77_199:
	s_cbranch_execnz .LBB77_202
.LBB77_200:
	v_mul_hi_u32 v0, s21, v19
	s_andn2_b64 vcc, exec, s[46:47]
	v_add_u32_e32 v0, v19, v0
	v_lshrrev_b32_e32 v1, s22, v0
	v_mul_lo_u32 v0, v1, s20
	v_sub_u32_e32 v2, v19, v0
	v_mul_lo_u32 v0, v2, s24
	v_mul_lo_u32 v2, v2, s25
	s_cbranch_vccnz .LBB77_202
; %bb.201:
	v_mul_hi_u32 v3, s44, v1
	v_add_u32_e32 v3, v1, v3
	v_lshrrev_b32_e32 v3, s45, v3
	v_mul_lo_u32 v3, v3, s23
	v_sub_u32_e32 v3, v1, v3
	v_mad_u64_u32 v[0:1], s[0:1], v3, s26, v[0:1]
	v_mad_u64_u32 v[2:3], s[0:1], v3, s27, v[2:3]
.LBB77_202:
	global_load_ushort v1, v2, s[18:19]
	v_add_u32_e32 v19, 0x80, v19
	s_waitcnt vmcnt(0)
	v_cmp_ne_u16_e32 vcc, s41, v1
	s_xor_b64 s[0:1], s[42:43], vcc
	v_cndmask_b32_e64 v1, 0, 1, s[0:1]
	global_store_byte v0, v1, s[16:17]
	s_or_b64 exec, exec, s[52:53]
	v_cmp_gt_i32_e32 vcc, s59, v19
	s_and_saveexec_b64 s[52:53], vcc
	s_cbranch_execnz .LBB77_188
.LBB77_203:
	s_or_b64 exec, exec, s[52:53]
	v_cmp_gt_i32_e32 vcc, s59, v19
	s_and_saveexec_b64 s[52:53], vcc
	s_cbranch_execz .LBB77_219
.LBB77_204:
	s_andn2_b64 vcc, exec, s[36:37]
	s_cbranch_vccnz .LBB77_209
; %bb.205:
	s_andn2_b64 vcc, exec, s[50:51]
	s_cbranch_vccnz .LBB77_210
; %bb.206:
	s_add_i32 s61, s60, 1
	s_cmp_eq_u32 s58, 2
	s_cbranch_scc1 .LBB77_222
; %bb.207:
	s_and_b32 s40, s61, 28
	v_mov_b32_e32 v2, 0
	s_mov_b32 s62, 0
	s_mov_b64 s[54:55], s[34:35]
	s_mov_b64 s[56:57], s[48:49]
	v_mov_b32_e32 v0, 0
	v_mov_b32_e32 v1, v19
.LBB77_208:                             ; =>This Inner Loop Header: Depth=1
	s_load_dwordx8 s[8:15], s[54:55], 0x4
	s_load_dwordx4 s[28:31], s[54:55], 0x24
	s_load_dwordx8 s[0:7], s[56:57], 0x0
	s_add_u32 s54, s54, 48
	s_addc_u32 s55, s55, 0
	s_waitcnt lgkmcnt(0)
	v_mul_hi_u32 v3, s9, v1
	s_add_i32 s62, s62, 4
	s_add_u32 s56, s56, 32
	s_addc_u32 s57, s57, 0
	v_add_u32_e32 v3, v1, v3
	v_lshrrev_b32_e32 v3, s10, v3
	v_mul_lo_u32 v4, v3, s8
	v_mul_hi_u32 v5, s12, v3
	s_cmp_eq_u32 s40, s62
	v_sub_u32_e32 v1, v1, v4
	v_add_u32_e32 v4, v3, v5
	v_mul_lo_u32 v5, v1, s0
	v_mul_lo_u32 v6, v1, s1
	v_lshrrev_b32_e32 v1, s13, v4
	v_mul_lo_u32 v4, v1, s11
	v_mul_hi_u32 v7, s15, v1
	v_sub_u32_e32 v3, v3, v4
	v_add_u32_e32 v4, v1, v7
	v_lshrrev_b32_e32 v4, s28, v4
	v_mul_hi_u32 v8, s30, v4
	v_mul_lo_u32 v9, v4, s14
	v_mul_lo_u32 v7, v3, s2
	;; [unrolled: 1-line block ×3, first 2 shown]
	v_sub_u32_e32 v9, v1, v9
	v_add_u32_e32 v1, v4, v8
	v_lshrrev_b32_e32 v1, s31, v1
	v_mul_lo_u32 v8, v1, s29
	v_mul_lo_u32 v10, v9, s4
	;; [unrolled: 1-line block ×3, first 2 shown]
	v_add3_u32 v0, v5, v0, v7
	v_sub_u32_e32 v4, v4, v8
	v_mul_lo_u32 v8, v4, s6
	v_mul_lo_u32 v4, v4, s7
	v_add3_u32 v2, v6, v2, v3
	v_add3_u32 v0, v10, v0, v8
	;; [unrolled: 1-line block ×3, first 2 shown]
	s_cbranch_scc0 .LBB77_208
	s_branch .LBB77_223
.LBB77_209:
                                        ; implicit-def: $vgpr0
                                        ; implicit-def: $vgpr2
	s_branch .LBB77_227
.LBB77_210:
	v_mov_b32_e32 v0, 0
	v_mov_b32_e32 v2, 0
	s_branch .LBB77_226
.LBB77_211:
	s_mov_b32 s40, 0
	v_mov_b32_e32 v0, 0
	v_mov_b32_e32 v2, 0
	;; [unrolled: 1-line block ×3, first 2 shown]
.LBB77_212:
	s_and_b32 s4, s61, 3
	s_cmp_eq_u32 s4, 0
	s_cbranch_scc1 .LBB77_215
; %bb.213:
	s_lshl_b32 s0, s40, 3
	s_add_u32 s0, s34, s0
	s_addc_u32 s1, s35, 0
	s_add_u32 s0, s0, 0xc4
	s_addc_u32 s1, s1, 0
	s_mul_i32 s2, s40, 12
	s_add_u32 s2, s34, s2
	s_addc_u32 s3, s35, 0
.LBB77_214:                             ; =>This Inner Loop Header: Depth=1
	s_load_dwordx2 s[6:7], s[2:3], 0x4
	s_load_dword s5, s[2:3], 0xc
	s_load_dwordx2 s[8:9], s[0:1], 0x0
	s_add_u32 s2, s2, 12
	s_addc_u32 s3, s3, 0
	s_waitcnt lgkmcnt(0)
	v_mul_hi_u32 v3, s7, v1
	s_add_u32 s0, s0, 8
	s_addc_u32 s1, s1, 0
	s_add_i32 s4, s4, -1
	v_add_u32_e32 v3, v1, v3
	v_lshrrev_b32_e32 v4, s5, v3
	v_mul_lo_u32 v3, v4, s6
	s_cmp_lg_u32 s4, 0
	v_sub_u32_e32 v3, v1, v3
	v_mad_u64_u32 v[0:1], s[6:7], v3, s8, v[0:1]
	v_mad_u64_u32 v[2:3], s[6:7], v3, s9, v[2:3]
	v_mov_b32_e32 v1, v4
	s_cbranch_scc1 .LBB77_214
.LBB77_215:
	s_cbranch_execnz .LBB77_218
.LBB77_216:
	v_mul_hi_u32 v0, s21, v19
	s_andn2_b64 vcc, exec, s[46:47]
	v_add_u32_e32 v0, v19, v0
	v_lshrrev_b32_e32 v1, s22, v0
	v_mul_lo_u32 v0, v1, s20
	v_sub_u32_e32 v2, v19, v0
	v_mul_lo_u32 v0, v2, s24
	v_mul_lo_u32 v2, v2, s25
	s_cbranch_vccnz .LBB77_218
; %bb.217:
	v_mul_hi_u32 v3, s44, v1
	v_add_u32_e32 v3, v1, v3
	v_lshrrev_b32_e32 v3, s45, v3
	v_mul_lo_u32 v3, v3, s23
	v_sub_u32_e32 v3, v1, v3
	v_mad_u64_u32 v[0:1], s[0:1], v3, s26, v[0:1]
	v_mad_u64_u32 v[2:3], s[0:1], v3, s27, v[2:3]
.LBB77_218:
	global_load_ushort v1, v2, s[18:19]
	v_add_u32_e32 v19, 0x80, v19
	s_waitcnt vmcnt(0)
	v_cmp_ne_u16_e32 vcc, s41, v1
	s_xor_b64 s[0:1], s[42:43], vcc
	v_cndmask_b32_e64 v1, 0, 1, s[0:1]
	global_store_byte v0, v1, s[16:17]
	s_or_b64 exec, exec, s[52:53]
	v_cmp_gt_i32_e32 vcc, s59, v19
	s_and_saveexec_b64 s[52:53], vcc
	s_cbranch_execnz .LBB77_204
.LBB77_219:
	s_or_b64 exec, exec, s[52:53]
	v_cmp_gt_i32_e32 vcc, s59, v19
	s_and_saveexec_b64 s[52:53], vcc
	s_cbranch_execnz .LBB77_230
.LBB77_220:
	s_or_b64 exec, exec, s[52:53]
                                        ; implicit-def: $vgpr25
                                        ; implicit-def: $vgpr19
	s_andn2_saveexec_b64 s[0:1], s[38:39]
	s_cbranch_execnz .LBB77_8
.LBB77_221:
	s_endpgm
.LBB77_222:
	s_mov_b32 s40, 0
	v_mov_b32_e32 v0, 0
	v_mov_b32_e32 v2, 0
	;; [unrolled: 1-line block ×3, first 2 shown]
.LBB77_223:
	s_and_b32 s4, s61, 3
	s_cmp_eq_u32 s4, 0
	s_cbranch_scc1 .LBB77_226
; %bb.224:
	s_lshl_b32 s0, s40, 3
	s_add_u32 s0, s34, s0
	s_addc_u32 s1, s35, 0
	s_add_u32 s0, s0, 0xc4
	s_addc_u32 s1, s1, 0
	s_mul_i32 s2, s40, 12
	s_add_u32 s2, s34, s2
	s_addc_u32 s3, s35, 0
.LBB77_225:                             ; =>This Inner Loop Header: Depth=1
	s_load_dwordx2 s[6:7], s[2:3], 0x4
	s_load_dword s5, s[2:3], 0xc
	s_load_dwordx2 s[8:9], s[0:1], 0x0
	s_add_u32 s2, s2, 12
	s_addc_u32 s3, s3, 0
	s_waitcnt lgkmcnt(0)
	v_mul_hi_u32 v3, s7, v1
	s_add_u32 s0, s0, 8
	s_addc_u32 s1, s1, 0
	s_add_i32 s4, s4, -1
	v_add_u32_e32 v3, v1, v3
	v_lshrrev_b32_e32 v4, s5, v3
	v_mul_lo_u32 v3, v4, s6
	s_cmp_lg_u32 s4, 0
	v_sub_u32_e32 v3, v1, v3
	v_mad_u64_u32 v[0:1], s[6:7], v3, s8, v[0:1]
	v_mad_u64_u32 v[2:3], s[6:7], v3, s9, v[2:3]
	v_mov_b32_e32 v1, v4
	s_cbranch_scc1 .LBB77_225
.LBB77_226:
	s_cbranch_execnz .LBB77_229
.LBB77_227:
	v_mul_hi_u32 v0, s21, v19
	s_andn2_b64 vcc, exec, s[46:47]
	v_add_u32_e32 v0, v19, v0
	v_lshrrev_b32_e32 v1, s22, v0
	v_mul_lo_u32 v0, v1, s20
	v_sub_u32_e32 v2, v19, v0
	v_mul_lo_u32 v0, v2, s24
	v_mul_lo_u32 v2, v2, s25
	s_cbranch_vccnz .LBB77_229
; %bb.228:
	v_mul_hi_u32 v3, s44, v1
	v_add_u32_e32 v3, v1, v3
	v_lshrrev_b32_e32 v3, s45, v3
	v_mul_lo_u32 v3, v3, s23
	v_sub_u32_e32 v3, v1, v3
	v_mad_u64_u32 v[0:1], s[0:1], v3, s26, v[0:1]
	v_mad_u64_u32 v[2:3], s[0:1], v3, s27, v[2:3]
.LBB77_229:
	global_load_ushort v1, v2, s[18:19]
	v_add_u32_e32 v19, 0x80, v19
	s_waitcnt vmcnt(0)
	v_cmp_ne_u16_e32 vcc, s41, v1
	s_xor_b64 s[0:1], s[42:43], vcc
	v_cndmask_b32_e64 v1, 0, 1, s[0:1]
	global_store_byte v0, v1, s[16:17]
	s_or_b64 exec, exec, s[52:53]
	v_cmp_gt_i32_e32 vcc, s59, v19
	s_and_saveexec_b64 s[52:53], vcc
	s_cbranch_execz .LBB77_220
.LBB77_230:
	s_andn2_b64 vcc, exec, s[36:37]
	s_cbranch_vccnz .LBB77_235
; %bb.231:
	s_andn2_b64 vcc, exec, s[50:51]
	s_cbranch_vccnz .LBB77_236
; %bb.232:
	s_add_i32 s60, s60, 1
	s_cmp_eq_u32 s58, 2
	s_cbranch_scc1 .LBB77_237
; %bb.233:
	s_and_b32 s40, s60, 28
	v_mov_b32_e32 v2, 0
	s_mov_b32 s54, 0
	s_mov_b64 s[50:51], s[34:35]
	v_mov_b32_e32 v0, 0
	v_mov_b32_e32 v1, v19
.LBB77_234:                             ; =>This Inner Loop Header: Depth=1
	s_load_dwordx8 s[8:15], s[50:51], 0x4
	s_load_dwordx4 s[28:31], s[50:51], 0x24
	s_load_dwordx8 s[0:7], s[48:49], 0x0
	s_add_u32 s50, s50, 48
	s_addc_u32 s51, s51, 0
	s_waitcnt lgkmcnt(0)
	v_mul_hi_u32 v3, s9, v1
	s_add_i32 s54, s54, 4
	s_add_u32 s48, s48, 32
	s_addc_u32 s49, s49, 0
	v_add_u32_e32 v3, v1, v3
	v_lshrrev_b32_e32 v3, s10, v3
	v_mul_lo_u32 v4, v3, s8
	v_mul_hi_u32 v5, s12, v3
	s_cmp_eq_u32 s40, s54
	v_sub_u32_e32 v1, v1, v4
	v_add_u32_e32 v4, v3, v5
	v_mul_lo_u32 v5, v1, s0
	v_mul_lo_u32 v6, v1, s1
	v_lshrrev_b32_e32 v1, s13, v4
	v_mul_lo_u32 v4, v1, s11
	v_mul_hi_u32 v7, s15, v1
	v_sub_u32_e32 v3, v3, v4
	v_add_u32_e32 v4, v1, v7
	v_lshrrev_b32_e32 v4, s28, v4
	v_mul_hi_u32 v8, s30, v4
	v_mul_lo_u32 v9, v4, s14
	v_mul_lo_u32 v7, v3, s2
	;; [unrolled: 1-line block ×3, first 2 shown]
	v_sub_u32_e32 v9, v1, v9
	v_add_u32_e32 v1, v4, v8
	v_lshrrev_b32_e32 v1, s31, v1
	v_mul_lo_u32 v8, v1, s29
	v_mul_lo_u32 v10, v9, s4
	;; [unrolled: 1-line block ×3, first 2 shown]
	v_add3_u32 v0, v5, v0, v7
	v_sub_u32_e32 v4, v4, v8
	v_mul_lo_u32 v8, v4, s6
	v_mul_lo_u32 v4, v4, s7
	v_add3_u32 v2, v6, v2, v3
	v_add3_u32 v0, v10, v0, v8
	;; [unrolled: 1-line block ×3, first 2 shown]
	s_cbranch_scc0 .LBB77_234
	s_branch .LBB77_238
.LBB77_235:
                                        ; implicit-def: $vgpr0
                                        ; implicit-def: $vgpr2
	s_branch .LBB77_242
.LBB77_236:
	v_mov_b32_e32 v0, 0
	v_mov_b32_e32 v2, 0
	s_branch .LBB77_241
.LBB77_237:
	s_mov_b32 s40, 0
	v_mov_b32_e32 v0, 0
	v_mov_b32_e32 v2, 0
	;; [unrolled: 1-line block ×3, first 2 shown]
.LBB77_238:
	s_and_b32 s4, s60, 3
	s_cmp_eq_u32 s4, 0
	s_cbranch_scc1 .LBB77_241
; %bb.239:
	s_lshl_b32 s0, s40, 3
	s_add_u32 s0, s34, s0
	s_addc_u32 s1, s35, 0
	s_add_u32 s0, s0, 0xc4
	s_addc_u32 s1, s1, 0
	s_mul_i32 s2, s40, 12
	s_add_u32 s2, s34, s2
	s_addc_u32 s3, s35, 0
.LBB77_240:                             ; =>This Inner Loop Header: Depth=1
	s_load_dwordx2 s[6:7], s[2:3], 0x4
	s_load_dword s5, s[2:3], 0xc
	s_load_dwordx2 s[8:9], s[0:1], 0x0
	s_add_u32 s2, s2, 12
	s_addc_u32 s3, s3, 0
	s_waitcnt lgkmcnt(0)
	v_mul_hi_u32 v3, s7, v1
	s_add_u32 s0, s0, 8
	s_addc_u32 s1, s1, 0
	s_add_i32 s4, s4, -1
	v_add_u32_e32 v3, v1, v3
	v_lshrrev_b32_e32 v4, s5, v3
	v_mul_lo_u32 v3, v4, s6
	s_cmp_lg_u32 s4, 0
	v_sub_u32_e32 v3, v1, v3
	v_mad_u64_u32 v[0:1], s[6:7], v3, s8, v[0:1]
	v_mad_u64_u32 v[2:3], s[6:7], v3, s9, v[2:3]
	v_mov_b32_e32 v1, v4
	s_cbranch_scc1 .LBB77_240
.LBB77_241:
	s_cbranch_execnz .LBB77_244
.LBB77_242:
	v_mul_hi_u32 v0, s21, v19
	s_andn2_b64 vcc, exec, s[46:47]
	v_add_u32_e32 v0, v19, v0
	v_lshrrev_b32_e32 v1, s22, v0
	v_mul_lo_u32 v0, v1, s20
	v_sub_u32_e32 v2, v19, v0
	v_mul_lo_u32 v0, v2, s24
	v_mul_lo_u32 v2, v2, s25
	s_cbranch_vccnz .LBB77_244
; %bb.243:
	v_mul_hi_u32 v3, s44, v1
	v_add_u32_e32 v3, v1, v3
	v_lshrrev_b32_e32 v3, s45, v3
	v_mul_lo_u32 v3, v3, s23
	v_sub_u32_e32 v3, v1, v3
	v_mad_u64_u32 v[0:1], s[0:1], v3, s26, v[0:1]
	v_mad_u64_u32 v[2:3], s[0:1], v3, s27, v[2:3]
.LBB77_244:
	global_load_ushort v1, v2, s[18:19]
	s_waitcnt vmcnt(0)
	v_cmp_ne_u16_e32 vcc, s41, v1
	s_xor_b64 s[0:1], s[42:43], vcc
	v_cndmask_b32_e64 v1, 0, 1, s[0:1]
	global_store_byte v0, v1, s[16:17]
	s_or_b64 exec, exec, s[52:53]
                                        ; implicit-def: $vgpr25
                                        ; implicit-def: $vgpr19
	s_andn2_saveexec_b64 s[0:1], s[38:39]
	s_cbranch_execz .LBB77_221
	s_branch .LBB77_8
	.section	.rodata,"a",@progbits
	.p2align	6, 0x0
	.amdhsa_kernel _ZN2at6native32elementwise_kernel_manual_unrollILi128ELi8EZNS0_22gpu_kernel_impl_nocastINS0_13AUnaryFunctorIssbNS0_12_GLOBAL__N_116CompareEqFunctorIsEEEEEEvRNS_18TensorIteratorBaseERKT_EUlibE_EEviT1_
		.amdhsa_group_segment_fixed_size 0
		.amdhsa_private_segment_fixed_size 0
		.amdhsa_kernarg_size 360
		.amdhsa_user_sgpr_count 6
		.amdhsa_user_sgpr_private_segment_buffer 1
		.amdhsa_user_sgpr_dispatch_ptr 0
		.amdhsa_user_sgpr_queue_ptr 0
		.amdhsa_user_sgpr_kernarg_segment_ptr 1
		.amdhsa_user_sgpr_dispatch_id 0
		.amdhsa_user_sgpr_flat_scratch_init 0
		.amdhsa_user_sgpr_private_segment_size 0
		.amdhsa_uses_dynamic_stack 0
		.amdhsa_system_sgpr_private_segment_wavefront_offset 0
		.amdhsa_system_sgpr_workgroup_id_x 1
		.amdhsa_system_sgpr_workgroup_id_y 0
		.amdhsa_system_sgpr_workgroup_id_z 0
		.amdhsa_system_sgpr_workgroup_info 0
		.amdhsa_system_vgpr_workitem_id 0
		.amdhsa_next_free_vgpr 26
		.amdhsa_next_free_sgpr 63
		.amdhsa_reserve_vcc 1
		.amdhsa_reserve_flat_scratch 0
		.amdhsa_float_round_mode_32 0
		.amdhsa_float_round_mode_16_64 0
		.amdhsa_float_denorm_mode_32 3
		.amdhsa_float_denorm_mode_16_64 3
		.amdhsa_dx10_clamp 1
		.amdhsa_ieee_mode 1
		.amdhsa_fp16_overflow 0
		.amdhsa_exception_fp_ieee_invalid_op 0
		.amdhsa_exception_fp_denorm_src 0
		.amdhsa_exception_fp_ieee_div_zero 0
		.amdhsa_exception_fp_ieee_overflow 0
		.amdhsa_exception_fp_ieee_underflow 0
		.amdhsa_exception_fp_ieee_inexact 0
		.amdhsa_exception_int_div_zero 0
	.end_amdhsa_kernel
	.section	.text._ZN2at6native32elementwise_kernel_manual_unrollILi128ELi8EZNS0_22gpu_kernel_impl_nocastINS0_13AUnaryFunctorIssbNS0_12_GLOBAL__N_116CompareEqFunctorIsEEEEEEvRNS_18TensorIteratorBaseERKT_EUlibE_EEviT1_,"axG",@progbits,_ZN2at6native32elementwise_kernel_manual_unrollILi128ELi8EZNS0_22gpu_kernel_impl_nocastINS0_13AUnaryFunctorIssbNS0_12_GLOBAL__N_116CompareEqFunctorIsEEEEEEvRNS_18TensorIteratorBaseERKT_EUlibE_EEviT1_,comdat
.Lfunc_end77:
	.size	_ZN2at6native32elementwise_kernel_manual_unrollILi128ELi8EZNS0_22gpu_kernel_impl_nocastINS0_13AUnaryFunctorIssbNS0_12_GLOBAL__N_116CompareEqFunctorIsEEEEEEvRNS_18TensorIteratorBaseERKT_EUlibE_EEviT1_, .Lfunc_end77-_ZN2at6native32elementwise_kernel_manual_unrollILi128ELi8EZNS0_22gpu_kernel_impl_nocastINS0_13AUnaryFunctorIssbNS0_12_GLOBAL__N_116CompareEqFunctorIsEEEEEEvRNS_18TensorIteratorBaseERKT_EUlibE_EEviT1_
                                        ; -- End function
	.set _ZN2at6native32elementwise_kernel_manual_unrollILi128ELi8EZNS0_22gpu_kernel_impl_nocastINS0_13AUnaryFunctorIssbNS0_12_GLOBAL__N_116CompareEqFunctorIsEEEEEEvRNS_18TensorIteratorBaseERKT_EUlibE_EEviT1_.num_vgpr, 26
	.set _ZN2at6native32elementwise_kernel_manual_unrollILi128ELi8EZNS0_22gpu_kernel_impl_nocastINS0_13AUnaryFunctorIssbNS0_12_GLOBAL__N_116CompareEqFunctorIsEEEEEEvRNS_18TensorIteratorBaseERKT_EUlibE_EEviT1_.num_agpr, 0
	.set _ZN2at6native32elementwise_kernel_manual_unrollILi128ELi8EZNS0_22gpu_kernel_impl_nocastINS0_13AUnaryFunctorIssbNS0_12_GLOBAL__N_116CompareEqFunctorIsEEEEEEvRNS_18TensorIteratorBaseERKT_EUlibE_EEviT1_.numbered_sgpr, 63
	.set _ZN2at6native32elementwise_kernel_manual_unrollILi128ELi8EZNS0_22gpu_kernel_impl_nocastINS0_13AUnaryFunctorIssbNS0_12_GLOBAL__N_116CompareEqFunctorIsEEEEEEvRNS_18TensorIteratorBaseERKT_EUlibE_EEviT1_.num_named_barrier, 0
	.set _ZN2at6native32elementwise_kernel_manual_unrollILi128ELi8EZNS0_22gpu_kernel_impl_nocastINS0_13AUnaryFunctorIssbNS0_12_GLOBAL__N_116CompareEqFunctorIsEEEEEEvRNS_18TensorIteratorBaseERKT_EUlibE_EEviT1_.private_seg_size, 0
	.set _ZN2at6native32elementwise_kernel_manual_unrollILi128ELi8EZNS0_22gpu_kernel_impl_nocastINS0_13AUnaryFunctorIssbNS0_12_GLOBAL__N_116CompareEqFunctorIsEEEEEEvRNS_18TensorIteratorBaseERKT_EUlibE_EEviT1_.uses_vcc, 1
	.set _ZN2at6native32elementwise_kernel_manual_unrollILi128ELi8EZNS0_22gpu_kernel_impl_nocastINS0_13AUnaryFunctorIssbNS0_12_GLOBAL__N_116CompareEqFunctorIsEEEEEEvRNS_18TensorIteratorBaseERKT_EUlibE_EEviT1_.uses_flat_scratch, 0
	.set _ZN2at6native32elementwise_kernel_manual_unrollILi128ELi8EZNS0_22gpu_kernel_impl_nocastINS0_13AUnaryFunctorIssbNS0_12_GLOBAL__N_116CompareEqFunctorIsEEEEEEvRNS_18TensorIteratorBaseERKT_EUlibE_EEviT1_.has_dyn_sized_stack, 0
	.set _ZN2at6native32elementwise_kernel_manual_unrollILi128ELi8EZNS0_22gpu_kernel_impl_nocastINS0_13AUnaryFunctorIssbNS0_12_GLOBAL__N_116CompareEqFunctorIsEEEEEEvRNS_18TensorIteratorBaseERKT_EUlibE_EEviT1_.has_recursion, 0
	.set _ZN2at6native32elementwise_kernel_manual_unrollILi128ELi8EZNS0_22gpu_kernel_impl_nocastINS0_13AUnaryFunctorIssbNS0_12_GLOBAL__N_116CompareEqFunctorIsEEEEEEvRNS_18TensorIteratorBaseERKT_EUlibE_EEviT1_.has_indirect_call, 0
	.section	.AMDGPU.csdata,"",@progbits
; Kernel info:
; codeLenInByte = 11424
; TotalNumSgprs: 67
; NumVgprs: 26
; ScratchSize: 0
; MemoryBound: 0
; FloatMode: 240
; IeeeMode: 1
; LDSByteSize: 0 bytes/workgroup (compile time only)
; SGPRBlocks: 8
; VGPRBlocks: 6
; NumSGPRsForWavesPerEU: 67
; NumVGPRsForWavesPerEU: 26
; Occupancy: 9
; WaveLimiterHint : 1
; COMPUTE_PGM_RSRC2:SCRATCH_EN: 0
; COMPUTE_PGM_RSRC2:USER_SGPR: 6
; COMPUTE_PGM_RSRC2:TRAP_HANDLER: 0
; COMPUTE_PGM_RSRC2:TGID_X_EN: 1
; COMPUTE_PGM_RSRC2:TGID_Y_EN: 0
; COMPUTE_PGM_RSRC2:TGID_Z_EN: 0
; COMPUTE_PGM_RSRC2:TIDIG_COMP_CNT: 0
	.section	.text._ZN2at6native32elementwise_kernel_manual_unrollILi128ELi4EZNS0_15gpu_kernel_implINS0_13AUnaryFunctorIssbNS0_12_GLOBAL__N_116CompareEqFunctorIsEEEEEEvRNS_18TensorIteratorBaseERKT_EUlibE_EEviT1_,"axG",@progbits,_ZN2at6native32elementwise_kernel_manual_unrollILi128ELi4EZNS0_15gpu_kernel_implINS0_13AUnaryFunctorIssbNS0_12_GLOBAL__N_116CompareEqFunctorIsEEEEEEvRNS_18TensorIteratorBaseERKT_EUlibE_EEviT1_,comdat
	.globl	_ZN2at6native32elementwise_kernel_manual_unrollILi128ELi4EZNS0_15gpu_kernel_implINS0_13AUnaryFunctorIssbNS0_12_GLOBAL__N_116CompareEqFunctorIsEEEEEEvRNS_18TensorIteratorBaseERKT_EUlibE_EEviT1_ ; -- Begin function _ZN2at6native32elementwise_kernel_manual_unrollILi128ELi4EZNS0_15gpu_kernel_implINS0_13AUnaryFunctorIssbNS0_12_GLOBAL__N_116CompareEqFunctorIsEEEEEEvRNS_18TensorIteratorBaseERKT_EUlibE_EEviT1_
	.p2align	8
	.type	_ZN2at6native32elementwise_kernel_manual_unrollILi128ELi4EZNS0_15gpu_kernel_implINS0_13AUnaryFunctorIssbNS0_12_GLOBAL__N_116CompareEqFunctorIsEEEEEEvRNS_18TensorIteratorBaseERKT_EUlibE_EEviT1_,@function
_ZN2at6native32elementwise_kernel_manual_unrollILi128ELi4EZNS0_15gpu_kernel_implINS0_13AUnaryFunctorIssbNS0_12_GLOBAL__N_116CompareEqFunctorIsEEEEEEvRNS_18TensorIteratorBaseERKT_EUlibE_EEviT1_: ; @_ZN2at6native32elementwise_kernel_manual_unrollILi128ELi4EZNS0_15gpu_kernel_implINS0_13AUnaryFunctorIssbNS0_12_GLOBAL__N_116CompareEqFunctorIsEEEEEEvRNS_18TensorIteratorBaseERKT_EUlibE_EEviT1_
; %bb.0:
	s_load_dwordx2 s[2:3], s[4:5], 0x24
	s_load_dword s33, s[4:5], 0x0
	s_load_dwordx8 s[8:15], s[4:5], 0x8
	v_lshl_or_b32 v9, s6, 9, v0
	v_or_b32_e32 v0, 0x180, v9
	s_waitcnt lgkmcnt(0)
	s_bfe_u32 s15, s3, 0x80008
	v_cmp_le_i32_e32 vcc, s33, v0
	s_mov_b64 s[4:5], 0
	s_mov_b64 s[16:17], 0
	s_and_saveexec_b64 s[0:1], vcc
	s_xor_b64 s[6:7], exec, s[0:1]
	s_cbranch_execz .LBB78_1011
; %bb.1:
	s_cmp_eq_u32 s14, 0
	s_cselect_b64 s[16:17], -1, 0
	v_cmp_gt_i32_e32 vcc, s33, v9
	s_mov_b64 s[24:25], -1
	s_mov_b64 s[26:27], 0
	s_mov_b64 s[20:21], 0
	;; [unrolled: 1-line block ×3, first 2 shown]
	s_and_saveexec_b64 s[22:23], vcc
	s_cbranch_execz .LBB78_248
; %bb.2:
	v_mul_lo_u32 v0, v9, s13
	v_mov_b32_e32 v1, s11
	s_and_b32 s24, 0xffff, s15
	s_cmp_lt_i32 s24, 11
	v_ashrrev_i32_e32 v2, 31, v0
	v_add_co_u32_e32 v0, vcc, s10, v0
	v_addc_co_u32_e32 v1, vcc, v1, v2, vcc
	s_cbranch_scc1 .LBB78_9
; %bb.3:
	s_cmp_gt_i32 s24, 25
	s_cbranch_scc0 .LBB78_18
; %bb.4:
	s_cmp_gt_i32 s24, 28
	s_cbranch_scc0 .LBB78_22
; %bb.5:
	s_cmp_gt_i32 s24, 43
	s_cbranch_scc0 .LBB78_24
; %bb.6:
	s_cmp_gt_i32 s24, 45
	s_cbranch_scc0 .LBB78_26
; %bb.7:
	s_cmp_eq_u32 s24, 46
	s_cbranch_scc0 .LBB78_28
; %bb.8:
	global_load_dword v2, v[0:1], off
	s_mov_b64 s[0:1], -1
	s_waitcnt vmcnt(0)
	v_lshlrev_b32_e32 v2, 16, v2
	v_cvt_i32_f32_e32 v2, v2
	s_branch .LBB78_30
.LBB78_9:
                                        ; implicit-def: $vgpr2
	s_mov_b64 s[0:1], 0
	s_cbranch_execnz .LBB78_199
.LBB78_10:
	s_andn2_b64 vcc, exec, s[0:1]
	s_cbranch_vccnz .LBB78_246
.LBB78_11:
	v_mul_lo_u32 v0, v9, s12
	s_waitcnt vmcnt(0)
	v_cmp_ne_u16_e32 vcc, s2, v2
	v_mov_b32_e32 v1, s9
	s_xor_b64 s[18:19], s[16:17], vcc
	v_ashrrev_i32_e32 v2, 31, v0
	s_and_b32 s34, s3, 0xff
	v_add_co_u32_e32 v0, vcc, s8, v0
	s_cmp_lt_i32 s34, 11
	v_addc_co_u32_e32 v1, vcc, v1, v2, vcc
	s_cbranch_scc1 .LBB78_19
; %bb.12:
	s_and_b32 s35, 0xffff, s34
	s_cmp_gt_i32 s35, 25
	s_cbranch_scc0 .LBB78_23
; %bb.13:
	s_cmp_gt_i32 s35, 28
	s_cbranch_scc0 .LBB78_25
; %bb.14:
	;; [unrolled: 3-line block ×4, first 2 shown]
	s_mov_b64 s[28:29], 0
	s_mov_b64 s[0:1], -1
	s_cmp_eq_u32 s35, 46
	s_mov_b64 s[24:25], 0
	s_cbranch_scc0 .LBB78_34
; %bb.17:
	v_cndmask_b32_e64 v2, 0, 1.0, s[18:19]
	v_bfe_u32 v3, v2, 16, 1
	s_movk_i32 s0, 0x7fff
	v_add3_u32 v2, v2, v3, s0
	v_lshrrev_b32_e32 v2, 16, v2
	global_store_dword v[0:1], v2, off
	s_mov_b64 s[24:25], -1
	s_mov_b64 s[0:1], 0
	s_branch .LBB78_34
.LBB78_18:
	s_mov_b64 s[0:1], 0
                                        ; implicit-def: $vgpr2
	s_cbranch_execnz .LBB78_166
	s_branch .LBB78_198
.LBB78_19:
	s_mov_b64 s[0:1], 0
	s_mov_b64 s[24:25], 0
	s_cbranch_execnz .LBB78_103
.LBB78_20:
	s_andn2_b64 vcc, exec, s[24:25]
	s_cbranch_vccnz .LBB78_141
.LBB78_21:
	v_add_u32_e32 v9, 0x80, v9
	s_mov_b64 s[24:25], -1
	s_branch .LBB78_247
.LBB78_22:
	s_mov_b64 s[18:19], -1
	s_mov_b64 s[0:1], 0
                                        ; implicit-def: $vgpr2
	s_branch .LBB78_149
.LBB78_23:
	s_mov_b64 s[28:29], -1
	s_mov_b64 s[0:1], 0
	s_mov_b64 s[24:25], 0
	s_branch .LBB78_61
.LBB78_24:
	s_mov_b64 s[18:19], -1
	s_mov_b64 s[0:1], 0
                                        ; implicit-def: $vgpr2
	s_branch .LBB78_144
.LBB78_25:
	s_mov_b64 s[28:29], -1
	s_mov_b64 s[0:1], 0
	s_mov_b64 s[24:25], 0
	s_branch .LBB78_44
.LBB78_26:
	s_mov_b64 s[18:19], -1
	s_branch .LBB78_29
.LBB78_27:
	s_mov_b64 s[28:29], -1
	s_mov_b64 s[0:1], 0
	s_mov_b64 s[24:25], 0
	s_branch .LBB78_40
.LBB78_28:
	s_mov_b64 s[20:21], -1
.LBB78_29:
	s_mov_b64 s[0:1], 0
                                        ; implicit-def: $vgpr2
.LBB78_30:
	s_and_b64 vcc, exec, s[18:19]
	s_cbranch_vccz .LBB78_143
; %bb.31:
	s_cmp_eq_u32 s24, 44
	s_cbranch_scc0 .LBB78_142
; %bb.32:
	global_load_ubyte v2, v[0:1], off
	s_mov_b64 s[0:1], -1
	s_mov_b64 s[20:21], 0
	s_waitcnt vmcnt(0)
	v_lshlrev_b32_e32 v3, 23, v2
	v_cvt_i32_f32_e32 v3, v3
	v_cmp_ne_u32_e32 vcc, 0, v2
	v_cndmask_b32_e32 v2, 0, v3, vcc
	s_branch .LBB78_143
.LBB78_33:
	s_mov_b64 s[28:29], -1
	s_mov_b64 s[0:1], 0
	s_mov_b64 s[24:25], 0
.LBB78_34:
	s_and_b64 vcc, exec, s[28:29]
	s_cbranch_vccz .LBB78_39
; %bb.35:
	s_cmp_eq_u32 s35, 44
	s_mov_b64 s[0:1], -1
	s_cbranch_scc0 .LBB78_39
; %bb.36:
	v_cndmask_b32_e64 v3, 0, 1.0, s[18:19]
	v_lshrrev_b32_e32 v2, 23, v3
	s_movk_i32 s0, 0xff
	v_cmp_ne_u32_e32 vcc, s0, v2
	v_mov_b32_e32 v4, 0xff
	s_and_saveexec_b64 s[24:25], vcc
; %bb.37:
	s_mov_b32 s0, 0x3fffff
	v_and_b32_e32 v4, 0x400000, v3
	v_and_or_b32 v3, v3, s0, v2
	v_cmp_ne_u32_e32 vcc, 0, v4
	v_cmp_ne_u32_e64 s[0:1], 0, v3
	s_and_b64 s[0:1], vcc, s[0:1]
	v_cndmask_b32_e64 v3, 0, 1, s[0:1]
	v_add_u32_e32 v4, v2, v3
; %bb.38:
	s_or_b64 exec, exec, s[24:25]
	s_mov_b64 s[24:25], -1
	s_mov_b64 s[0:1], 0
	global_store_byte v[0:1], v4, off
.LBB78_39:
	s_mov_b64 s[28:29], 0
.LBB78_40:
	s_and_b64 vcc, exec, s[28:29]
	s_cbranch_vccz .LBB78_43
; %bb.41:
	s_cmp_eq_u32 s35, 29
	s_mov_b64 s[0:1], -1
	s_cbranch_scc0 .LBB78_43
; %bb.42:
	s_mov_b32 s0, 0
	v_cndmask_b32_e64 v2, 0, 1, s[18:19]
	v_mov_b32_e32 v3, s0
	global_store_dwordx2 v[0:1], v[2:3], off
	s_mov_b64 s[24:25], -1
	s_mov_b64 s[0:1], 0
.LBB78_43:
	s_mov_b64 s[28:29], 0
.LBB78_44:
	s_and_b64 vcc, exec, s[28:29]
	s_cbranch_vccz .LBB78_60
; %bb.45:
	s_cmp_lt_i32 s35, 27
	s_mov_b64 s[24:25], -1
	s_cbranch_scc1 .LBB78_51
; %bb.46:
	s_cmp_gt_i32 s35, 27
	s_cbranch_scc0 .LBB78_48
; %bb.47:
	v_cndmask_b32_e64 v2, 0, 1, s[18:19]
	s_mov_b64 s[24:25], 0
	global_store_dword v[0:1], v2, off
.LBB78_48:
	s_andn2_b64 vcc, exec, s[24:25]
	s_cbranch_vccnz .LBB78_50
; %bb.49:
	v_cndmask_b32_e64 v2, 0, 1, s[18:19]
	global_store_short v[0:1], v2, off
.LBB78_50:
	s_mov_b64 s[24:25], 0
.LBB78_51:
	s_andn2_b64 vcc, exec, s[24:25]
	s_cbranch_vccnz .LBB78_59
; %bb.52:
	v_cndmask_b32_e64 v3, 0, 1.0, s[18:19]
	s_mov_b32 s24, 0x43800000
	v_cmp_gt_u32_e32 vcc, s24, v3
	v_mov_b32_e32 v4, 0x80
	s_and_saveexec_b64 s[24:25], vcc
	s_cbranch_execz .LBB78_58
; %bb.53:
	s_mov_b32 s28, 0x3bffffff
	v_cmp_lt_u32_e32 vcc, s28, v3
	s_mov_b64 s[28:29], 0
                                        ; implicit-def: $vgpr2
	s_and_saveexec_b64 s[30:31], vcc
	s_xor_b64 s[30:31], exec, s[30:31]
	s_cbranch_execz .LBB78_275
; %bb.54:
	v_bfe_u32 v2, v3, 20, 1
	s_mov_b32 s36, 0x487ffff
	v_add3_u32 v2, v3, v2, s36
	s_mov_b64 s[28:29], exec
	v_lshrrev_b32_e32 v2, 20, v2
                                        ; implicit-def: $vgpr3
	s_andn2_saveexec_b64 s[30:31], s[30:31]
	s_cbranch_execnz .LBB78_276
.LBB78_55:
	s_or_b64 exec, exec, s[30:31]
	v_mov_b32_e32 v4, 0
	s_and_saveexec_b64 s[30:31], s[28:29]
.LBB78_56:
	v_mov_b32_e32 v4, v2
.LBB78_57:
	s_or_b64 exec, exec, s[30:31]
.LBB78_58:
	s_or_b64 exec, exec, s[24:25]
	global_store_byte v[0:1], v4, off
.LBB78_59:
	s_mov_b64 s[24:25], -1
.LBB78_60:
	s_mov_b64 s[28:29], 0
.LBB78_61:
	s_and_b64 vcc, exec, s[28:29]
	s_cbranch_vccz .LBB78_102
; %bb.62:
	s_cmp_gt_i32 s35, 22
	s_mov_b64 s[28:29], -1
	s_cbranch_scc0 .LBB78_94
; %bb.63:
	s_cmp_lt_i32 s35, 24
	s_mov_b64 s[24:25], -1
	s_cbranch_scc1 .LBB78_83
; %bb.64:
	s_cmp_gt_i32 s35, 24
	s_cbranch_scc0 .LBB78_72
; %bb.65:
	v_cndmask_b32_e64 v3, 0, 1.0, s[18:19]
	s_mov_b32 s24, 0x47800000
	v_cmp_gt_u32_e32 vcc, s24, v3
	v_mov_b32_e32 v4, 0x80
	s_and_saveexec_b64 s[24:25], vcc
	s_cbranch_execz .LBB78_71
; %bb.66:
	s_mov_b32 s28, 0x37ffffff
	v_cmp_lt_u32_e32 vcc, s28, v3
	s_mov_b64 s[28:29], 0
                                        ; implicit-def: $vgpr2
	s_and_saveexec_b64 s[30:31], vcc
	s_xor_b64 s[30:31], exec, s[30:31]
	s_cbranch_execz .LBB78_279
; %bb.67:
	v_bfe_u32 v2, v3, 21, 1
	s_mov_b32 s36, 0x88fffff
	v_add3_u32 v2, v3, v2, s36
	s_mov_b64 s[28:29], exec
	v_lshrrev_b32_e32 v2, 21, v2
                                        ; implicit-def: $vgpr3
	s_andn2_saveexec_b64 s[30:31], s[30:31]
	s_cbranch_execnz .LBB78_280
.LBB78_68:
	s_or_b64 exec, exec, s[30:31]
	v_mov_b32_e32 v4, 0
	s_and_saveexec_b64 s[30:31], s[28:29]
.LBB78_69:
	v_mov_b32_e32 v4, v2
.LBB78_70:
	s_or_b64 exec, exec, s[30:31]
.LBB78_71:
	s_or_b64 exec, exec, s[24:25]
	s_mov_b64 s[24:25], 0
	global_store_byte v[0:1], v4, off
.LBB78_72:
	s_and_b64 vcc, exec, s[24:25]
	s_cbranch_vccz .LBB78_82
; %bb.73:
	v_cndmask_b32_e64 v2, 0, 1.0, s[18:19]
	s_mov_b32 s24, 0x43f00000
	v_cmp_gt_u32_e32 vcc, s24, v2
                                        ; implicit-def: $vgpr3
	s_and_saveexec_b64 s[24:25], vcc
	s_xor_b64 s[24:25], exec, s[24:25]
	s_cbranch_execz .LBB78_79
; %bb.74:
	s_mov_b32 s28, 0x3c7fffff
	v_cmp_lt_u32_e32 vcc, s28, v2
                                        ; implicit-def: $vgpr3
	s_and_saveexec_b64 s[28:29], vcc
	s_xor_b64 s[28:29], exec, s[28:29]
; %bb.75:
	v_bfe_u32 v3, v2, 20, 1
	s_mov_b32 s30, 0x407ffff
	v_add3_u32 v2, v2, v3, s30
	v_lshrrev_b32_e32 v3, 20, v2
	v_and_b32_e32 v2, 0xff00000, v2
	s_mov_b32 s30, 0x7f00000
	v_mov_b32_e32 v4, 0x7e
	v_cmp_ne_u32_e32 vcc, s30, v2
	v_cndmask_b32_e32 v3, v4, v3, vcc
                                        ; implicit-def: $vgpr2
; %bb.76:
	s_andn2_saveexec_b64 s[28:29], s[28:29]
; %bb.77:
	v_add_f32_e32 v3, 0x46800000, v2
; %bb.78:
	s_or_b64 exec, exec, s[28:29]
                                        ; implicit-def: $vgpr2
.LBB78_79:
	s_andn2_saveexec_b64 s[24:25], s[24:25]
; %bb.80:
	s_mov_b32 s28, 0x7f800000
	v_mov_b32_e32 v3, 0x7e
	v_mov_b32_e32 v4, 0x7f
	v_cmp_lt_u32_e32 vcc, s28, v2
	v_cndmask_b32_e32 v3, v3, v4, vcc
; %bb.81:
	s_or_b64 exec, exec, s[24:25]
	global_store_byte v[0:1], v3, off
.LBB78_82:
	s_mov_b64 s[24:25], 0
.LBB78_83:
	s_andn2_b64 vcc, exec, s[24:25]
	s_cbranch_vccnz .LBB78_93
; %bb.84:
	v_cndmask_b32_e64 v2, 0, 1.0, s[18:19]
	s_mov_b32 s24, 0x47800000
	v_cmp_gt_u32_e32 vcc, s24, v2
                                        ; implicit-def: $vgpr3
	s_and_saveexec_b64 s[24:25], vcc
	s_xor_b64 s[24:25], exec, s[24:25]
	s_cbranch_execz .LBB78_90
; %bb.85:
	s_mov_b32 s28, 0x387fffff
	v_cmp_lt_u32_e32 vcc, s28, v2
                                        ; implicit-def: $vgpr3
	s_and_saveexec_b64 s[28:29], vcc
	s_xor_b64 s[28:29], exec, s[28:29]
; %bb.86:
	v_bfe_u32 v3, v2, 21, 1
	s_mov_b32 s30, 0x80fffff
	v_add3_u32 v2, v2, v3, s30
	v_lshrrev_b32_e32 v3, 21, v2
                                        ; implicit-def: $vgpr2
; %bb.87:
	s_andn2_saveexec_b64 s[28:29], s[28:29]
; %bb.88:
	v_add_f32_e32 v3, 0x43000000, v2
; %bb.89:
	s_or_b64 exec, exec, s[28:29]
                                        ; implicit-def: $vgpr2
.LBB78_90:
	s_andn2_saveexec_b64 s[24:25], s[24:25]
; %bb.91:
	s_mov_b32 s28, 0x7f800000
	v_mov_b32_e32 v3, 0x7c
	v_mov_b32_e32 v4, 0x7f
	v_cmp_lt_u32_e32 vcc, s28, v2
	v_cndmask_b32_e32 v3, v3, v4, vcc
; %bb.92:
	s_or_b64 exec, exec, s[24:25]
	global_store_byte v[0:1], v3, off
.LBB78_93:
	s_mov_b64 s[28:29], 0
	s_mov_b64 s[24:25], -1
.LBB78_94:
	s_andn2_b64 vcc, exec, s[28:29]
	s_cbranch_vccnz .LBB78_102
; %bb.95:
	s_cmp_gt_i32 s35, 14
	s_mov_b64 s[28:29], -1
	s_cbranch_scc0 .LBB78_99
; %bb.96:
	s_cmp_eq_u32 s35, 15
	s_mov_b64 s[0:1], -1
	s_cbranch_scc0 .LBB78_98
; %bb.97:
	v_cndmask_b32_e64 v2, 0, 1.0, s[18:19]
	v_bfe_u32 v3, v2, 16, 1
	s_movk_i32 s0, 0x7fff
	v_add3_u32 v2, v2, v3, s0
	global_store_short_d16_hi v[0:1], v2, off
	s_mov_b64 s[24:25], -1
	s_mov_b64 s[0:1], 0
.LBB78_98:
	s_mov_b64 s[28:29], 0
.LBB78_99:
	s_and_b64 vcc, exec, s[28:29]
	s_cbranch_vccz .LBB78_102
; %bb.100:
	s_cmp_eq_u32 s35, 11
	s_mov_b64 s[0:1], -1
	s_cbranch_scc0 .LBB78_102
; %bb.101:
	v_cndmask_b32_e64 v2, 0, 1, s[18:19]
	s_mov_b64 s[24:25], -1
	s_mov_b64 s[0:1], 0
	global_store_byte v[0:1], v2, off
.LBB78_102:
	s_branch .LBB78_20
.LBB78_103:
	s_and_b32 s28, 0xffff, s34
	s_cmp_lt_i32 s28, 5
	s_mov_b64 s[24:25], -1
	s_cbranch_scc1 .LBB78_124
; %bb.104:
	s_cmp_lt_i32 s28, 8
	s_cbranch_scc1 .LBB78_114
; %bb.105:
	s_cmp_lt_i32 s28, 9
	s_cbranch_scc1 .LBB78_111
; %bb.106:
	s_cmp_gt_i32 s28, 9
	s_cbranch_scc0 .LBB78_108
; %bb.107:
	v_cndmask_b32_e64 v2, 0, 1, s[18:19]
	v_cvt_f64_u32_e32 v[2:3], v2
	v_mov_b32_e32 v4, 0
	v_mov_b32_e32 v5, v4
	s_mov_b64 s[24:25], 0
	global_store_dwordx4 v[0:1], v[2:5], off
.LBB78_108:
	s_andn2_b64 vcc, exec, s[24:25]
	s_cbranch_vccnz .LBB78_110
; %bb.109:
	v_cndmask_b32_e64 v2, 0, 1.0, s[18:19]
	v_mov_b32_e32 v3, 0
	global_store_dwordx2 v[0:1], v[2:3], off
.LBB78_110:
	s_mov_b64 s[24:25], 0
.LBB78_111:
	s_andn2_b64 vcc, exec, s[24:25]
	s_cbranch_vccnz .LBB78_113
; %bb.112:
	v_cndmask_b32_e64 v2, 0, 1.0, s[18:19]
	v_cvt_f16_f32_e32 v2, v2
	global_store_dword v[0:1], v2, off
.LBB78_113:
	s_mov_b64 s[24:25], 0
.LBB78_114:
	s_andn2_b64 vcc, exec, s[24:25]
	s_cbranch_vccnz .LBB78_123
; %bb.115:
	s_cmp_lt_i32 s28, 6
	s_mov_b64 s[24:25], -1
	s_cbranch_scc1 .LBB78_121
; %bb.116:
	s_cmp_gt_i32 s28, 6
	s_cbranch_scc0 .LBB78_118
; %bb.117:
	v_cndmask_b32_e64 v2, 0, 1, s[18:19]
	v_cvt_f64_u32_e32 v[2:3], v2
	s_mov_b64 s[24:25], 0
	global_store_dwordx2 v[0:1], v[2:3], off
.LBB78_118:
	s_andn2_b64 vcc, exec, s[24:25]
	s_cbranch_vccnz .LBB78_120
; %bb.119:
	v_cndmask_b32_e64 v2, 0, 1.0, s[18:19]
	global_store_dword v[0:1], v2, off
.LBB78_120:
	s_mov_b64 s[24:25], 0
.LBB78_121:
	s_andn2_b64 vcc, exec, s[24:25]
	s_cbranch_vccnz .LBB78_123
; %bb.122:
	v_cndmask_b32_e64 v2, 0, 1.0, s[18:19]
	v_cvt_f16_f32_e32 v2, v2
	global_store_short v[0:1], v2, off
.LBB78_123:
	s_mov_b64 s[24:25], 0
.LBB78_124:
	s_andn2_b64 vcc, exec, s[24:25]
	s_cbranch_vccnz .LBB78_140
; %bb.125:
	s_cmp_lt_i32 s28, 2
	s_mov_b64 s[24:25], -1
	s_cbranch_scc1 .LBB78_135
; %bb.126:
	s_cmp_lt_i32 s28, 3
	s_cbranch_scc1 .LBB78_132
; %bb.127:
	s_cmp_gt_i32 s28, 3
	s_cbranch_scc0 .LBB78_129
; %bb.128:
	s_mov_b32 s24, 0
	v_cndmask_b32_e64 v2, 0, 1, s[18:19]
	v_mov_b32_e32 v3, s24
	global_store_dwordx2 v[0:1], v[2:3], off
	s_mov_b64 s[24:25], 0
.LBB78_129:
	s_andn2_b64 vcc, exec, s[24:25]
	s_cbranch_vccnz .LBB78_131
; %bb.130:
	v_cndmask_b32_e64 v2, 0, 1, s[18:19]
	global_store_dword v[0:1], v2, off
.LBB78_131:
	s_mov_b64 s[24:25], 0
.LBB78_132:
	s_andn2_b64 vcc, exec, s[24:25]
	s_cbranch_vccnz .LBB78_134
; %bb.133:
	v_cndmask_b32_e64 v2, 0, 1, s[18:19]
	global_store_short v[0:1], v2, off
.LBB78_134:
	s_mov_b64 s[24:25], 0
.LBB78_135:
	s_andn2_b64 vcc, exec, s[24:25]
	s_cbranch_vccnz .LBB78_140
; %bb.136:
	s_mov_b64 s[24:25], -1
	s_cmp_gt_i32 s28, 0
	v_cndmask_b32_e64 v2, 0, 1, s[18:19]
	s_cbranch_scc0 .LBB78_138
; %bb.137:
	global_store_byte v[0:1], v2, off
	s_mov_b64 s[24:25], 0
.LBB78_138:
	s_andn2_b64 vcc, exec, s[24:25]
	s_cbranch_vccnz .LBB78_140
; %bb.139:
	global_store_byte v[0:1], v2, off
.LBB78_140:
	s_branch .LBB78_21
.LBB78_141:
	s_mov_b64 s[24:25], 0
                                        ; implicit-def: $vgpr9
	s_branch .LBB78_247
.LBB78_142:
	s_mov_b64 s[20:21], -1
                                        ; implicit-def: $vgpr2
.LBB78_143:
	s_mov_b64 s[18:19], 0
.LBB78_144:
	s_and_b64 vcc, exec, s[18:19]
	s_cbranch_vccz .LBB78_148
; %bb.145:
	s_cmp_eq_u32 s24, 29
	s_cbranch_scc0 .LBB78_147
; %bb.146:
	global_load_dwordx2 v[2:3], v[0:1], off
	s_mov_b64 s[0:1], -1
	s_mov_b64 s[20:21], 0
	s_branch .LBB78_148
.LBB78_147:
	s_mov_b64 s[20:21], -1
                                        ; implicit-def: $vgpr2
.LBB78_148:
	s_mov_b64 s[18:19], 0
.LBB78_149:
	s_and_b64 vcc, exec, s[18:19]
	s_cbranch_vccz .LBB78_165
; %bb.150:
	s_cmp_lt_i32 s24, 27
	s_cbranch_scc1 .LBB78_153
; %bb.151:
	s_cmp_gt_i32 s24, 27
	s_cbranch_scc0 .LBB78_154
; %bb.152:
	global_load_dword v2, v[0:1], off
	s_mov_b64 s[0:1], 0
	s_branch .LBB78_155
.LBB78_153:
	s_mov_b64 s[0:1], -1
                                        ; implicit-def: $vgpr2
	s_branch .LBB78_158
.LBB78_154:
	s_mov_b64 s[0:1], -1
                                        ; implicit-def: $vgpr2
.LBB78_155:
	s_andn2_b64 vcc, exec, s[0:1]
	s_cbranch_vccnz .LBB78_157
; %bb.156:
	global_load_ushort v2, v[0:1], off
.LBB78_157:
	s_mov_b64 s[0:1], 0
.LBB78_158:
	s_andn2_b64 vcc, exec, s[0:1]
	s_cbranch_vccnz .LBB78_164
; %bb.159:
	global_load_ubyte v3, v[0:1], off
	s_movk_i32 s0, 0x7f
	s_mov_b64 s[18:19], 0
	s_waitcnt vmcnt(0)
	v_cmp_lt_i16_e32 vcc, s0, v3
	s_and_saveexec_b64 s[0:1], vcc
	s_xor_b64 s[0:1], exec, s[0:1]
	s_cbranch_execz .LBB78_175
; %bb.160:
	s_movk_i32 s18, 0x80
	v_cmp_ne_u16_e32 vcc, s18, v3
	s_and_b64 s[18:19], vcc, exec
	s_andn2_saveexec_b64 s[0:1], s[0:1]
	s_cbranch_execnz .LBB78_176
.LBB78_161:
	s_or_b64 exec, exec, s[0:1]
	v_mov_b32_e32 v2, 0
	s_and_saveexec_b64 s[0:1], s[18:19]
	s_cbranch_execz .LBB78_163
.LBB78_162:
	v_lshlrev_b32_e32 v2, 24, v3
	v_and_b32_e32 v3, 0xffff, v3
	v_and_b32_e32 v4, 7, v3
	v_ffbh_u32_e32 v6, v4
	v_min_u32_e32 v6, 32, v6
	v_subrev_u32_e32 v7, 28, v6
	v_bfe_u32 v5, v3, 3, 4
	v_lshlrev_b32_e32 v3, v7, v3
	v_sub_u32_e32 v6, 29, v6
	v_and_b32_e32 v3, 7, v3
	v_cmp_eq_u32_e32 vcc, 0, v5
	v_cndmask_b32_e32 v5, v5, v6, vcc
	v_cndmask_b32_e32 v3, v4, v3, vcc
	v_mov_b32_e32 v4, 0x3b800000
	v_lshlrev_b32_e32 v3, 20, v3
	v_and_b32_e32 v2, 0x80000000, v2
	v_lshl_add_u32 v4, v5, 23, v4
	v_or3_b32 v2, v2, v4, v3
	v_cvt_i32_f32_e32 v2, v2
.LBB78_163:
	s_or_b64 exec, exec, s[0:1]
.LBB78_164:
	s_mov_b64 s[0:1], -1
.LBB78_165:
	s_branch .LBB78_198
.LBB78_166:
	s_cmp_gt_i32 s24, 22
	s_cbranch_scc0 .LBB78_174
; %bb.167:
	s_cmp_lt_i32 s24, 24
	s_cbranch_scc1 .LBB78_177
; %bb.168:
	s_cmp_gt_i32 s24, 24
	s_cbranch_scc0 .LBB78_178
; %bb.169:
	global_load_ubyte v3, v[0:1], off
	s_movk_i32 s0, 0x7f
	s_mov_b64 s[18:19], 0
	s_waitcnt vmcnt(0)
	v_cmp_lt_i16_e32 vcc, s0, v3
	s_and_saveexec_b64 s[0:1], vcc
	s_xor_b64 s[0:1], exec, s[0:1]
	s_cbranch_execz .LBB78_190
; %bb.170:
	s_movk_i32 s18, 0x80
	v_cmp_ne_u16_e32 vcc, s18, v3
	s_and_b64 s[18:19], vcc, exec
	s_andn2_saveexec_b64 s[0:1], s[0:1]
	s_cbranch_execnz .LBB78_191
.LBB78_171:
	s_or_b64 exec, exec, s[0:1]
	v_mov_b32_e32 v2, 0
	s_and_saveexec_b64 s[0:1], s[18:19]
	s_cbranch_execz .LBB78_173
.LBB78_172:
	v_lshlrev_b32_e32 v2, 24, v3
	v_and_b32_e32 v3, 0xffff, v3
	v_and_b32_e32 v4, 3, v3
	v_ffbh_u32_e32 v6, v4
	v_min_u32_e32 v6, 32, v6
	v_subrev_u32_e32 v7, 29, v6
	v_bfe_u32 v5, v3, 2, 5
	v_lshlrev_b32_e32 v3, v7, v3
	v_sub_u32_e32 v6, 30, v6
	v_and_b32_e32 v3, 3, v3
	v_cmp_eq_u32_e32 vcc, 0, v5
	v_cndmask_b32_e32 v5, v5, v6, vcc
	v_cndmask_b32_e32 v3, v4, v3, vcc
	v_mov_b32_e32 v4, 0x37800000
	v_lshlrev_b32_e32 v3, 21, v3
	v_and_b32_e32 v2, 0x80000000, v2
	v_lshl_add_u32 v4, v5, 23, v4
	v_or3_b32 v2, v2, v4, v3
	v_cvt_i32_f32_e32 v2, v2
.LBB78_173:
	s_or_b64 exec, exec, s[0:1]
	s_mov_b64 s[0:1], 0
	s_branch .LBB78_179
.LBB78_174:
	s_mov_b64 s[18:19], -1
                                        ; implicit-def: $vgpr2
	s_branch .LBB78_185
.LBB78_175:
	s_andn2_saveexec_b64 s[0:1], s[0:1]
	s_cbranch_execz .LBB78_161
.LBB78_176:
	v_cmp_ne_u16_e32 vcc, 0, v3
	s_andn2_b64 s[18:19], s[18:19], exec
	s_and_b64 s[28:29], vcc, exec
	s_or_b64 s[18:19], s[18:19], s[28:29]
	s_or_b64 exec, exec, s[0:1]
	v_mov_b32_e32 v2, 0
	s_and_saveexec_b64 s[0:1], s[18:19]
	s_cbranch_execnz .LBB78_162
	s_branch .LBB78_163
.LBB78_177:
	s_mov_b64 s[0:1], -1
                                        ; implicit-def: $vgpr2
	s_branch .LBB78_182
.LBB78_178:
	s_mov_b64 s[0:1], -1
                                        ; implicit-def: $vgpr2
.LBB78_179:
	s_and_b64 vcc, exec, s[0:1]
	s_cbranch_vccz .LBB78_181
; %bb.180:
	global_load_ubyte v2, v[0:1], off
	s_mov_b32 s0, 0x7f800000
	s_waitcnt vmcnt(0)
	v_lshlrev_b32_e32 v2, 24, v2
	v_and_b32_e32 v3, 0x7f000000, v2
	v_ffbh_u32_e32 v4, v3
	v_min_u32_e32 v4, 32, v4
	v_sub_u32_e64 v4, v4, 4 clamp
	v_lshlrev_b32_e32 v6, v4, v3
	v_lshlrev_b32_e32 v4, 23, v4
	v_lshrrev_b32_e32 v6, 4, v6
	v_add_u32_e32 v5, 0x1000000, v3
	v_sub_u32_e32 v4, v6, v4
	v_ashrrev_i32_e32 v5, 8, v5
	v_add_u32_e32 v4, 0x3c000000, v4
	v_and_or_b32 v4, v5, s0, v4
	v_cmp_ne_u32_e32 vcc, 0, v3
	v_cndmask_b32_e32 v3, 0, v4, vcc
	s_brev_b32 s0, 1
	v_and_or_b32 v2, v2, s0, v3
	v_cvt_i32_f32_e32 v2, v2
.LBB78_181:
	s_mov_b64 s[0:1], 0
.LBB78_182:
	s_andn2_b64 vcc, exec, s[0:1]
	s_cbranch_vccnz .LBB78_184
; %bb.183:
	global_load_ubyte v2, v[0:1], off
	s_movk_i32 s0, 0x7f00
	s_brev_b32 s1, 16
	s_waitcnt vmcnt(0)
	v_lshlrev_b16_e32 v3, 8, v2
	v_lshlrev_b32_e32 v2, 25, v2
	v_lshrrev_b32_e32 v4, 4, v2
	v_and_or_b32 v5, v3, s0, 0.5
	v_or_b32_e32 v4, 0x70000000, v4
	v_add_f32_e32 v5, -0.5, v5
	v_mul_f32_e32 v4, 0x7800000, v4
	v_cmp_gt_u32_e32 vcc, s1, v2
	v_bfe_i32 v3, v3, 0, 16
	v_cndmask_b32_e32 v2, v4, v5, vcc
	s_brev_b32 s0, 1
	v_and_or_b32 v2, v3, s0, v2
	v_cvt_i32_f32_e32 v2, v2
.LBB78_184:
	s_mov_b64 s[18:19], 0
	s_mov_b64 s[0:1], -1
.LBB78_185:
	s_andn2_b64 vcc, exec, s[18:19]
	s_cbranch_vccnz .LBB78_198
; %bb.186:
	s_cmp_gt_i32 s24, 14
	s_cbranch_scc0 .LBB78_189
; %bb.187:
	s_cmp_eq_u32 s24, 15
	s_cbranch_scc0 .LBB78_192
; %bb.188:
	global_load_ushort v2, v[0:1], off
	s_mov_b64 s[0:1], -1
	s_mov_b64 s[20:21], 0
	s_waitcnt vmcnt(0)
	v_lshlrev_b32_e32 v2, 16, v2
	v_cvt_i32_f32_e32 v2, v2
	s_branch .LBB78_193
.LBB78_189:
	s_mov_b64 s[18:19], -1
                                        ; implicit-def: $vgpr2
	s_branch .LBB78_194
.LBB78_190:
	s_andn2_saveexec_b64 s[0:1], s[0:1]
	s_cbranch_execz .LBB78_171
.LBB78_191:
	v_cmp_ne_u16_e32 vcc, 0, v3
	s_andn2_b64 s[18:19], s[18:19], exec
	s_and_b64 s[28:29], vcc, exec
	s_or_b64 s[18:19], s[18:19], s[28:29]
	s_or_b64 exec, exec, s[0:1]
	v_mov_b32_e32 v2, 0
	s_and_saveexec_b64 s[0:1], s[18:19]
	s_cbranch_execnz .LBB78_172
	s_branch .LBB78_173
.LBB78_192:
	s_mov_b64 s[20:21], -1
                                        ; implicit-def: $vgpr2
.LBB78_193:
	s_mov_b64 s[18:19], 0
.LBB78_194:
	s_and_b64 vcc, exec, s[18:19]
	s_cbranch_vccz .LBB78_198
; %bb.195:
	s_cmp_eq_u32 s24, 11
	s_cbranch_scc0 .LBB78_197
; %bb.196:
	global_load_ubyte v2, v[0:1], off
	s_mov_b64 s[0:1], -1
	s_mov_b64 s[20:21], 0
	s_waitcnt vmcnt(0)
	v_cmp_ne_u16_e32 vcc, 0, v2
	v_cndmask_b32_e64 v2, 0, 1, vcc
	s_branch .LBB78_198
.LBB78_197:
	s_mov_b64 s[20:21], -1
                                        ; implicit-def: $vgpr2
.LBB78_198:
	s_branch .LBB78_10
.LBB78_199:
	s_cmp_lt_i32 s24, 5
	s_cbranch_scc1 .LBB78_204
; %bb.200:
	s_cmp_lt_i32 s24, 8
	s_cbranch_scc1 .LBB78_205
; %bb.201:
	;; [unrolled: 3-line block ×3, first 2 shown]
	s_cmp_gt_i32 s24, 9
	s_cbranch_scc0 .LBB78_207
; %bb.203:
	global_load_dwordx2 v[2:3], v[0:1], off
	s_mov_b64 s[0:1], 0
	s_waitcnt vmcnt(0)
	v_cvt_i32_f64_e32 v2, v[2:3]
	s_branch .LBB78_208
.LBB78_204:
                                        ; implicit-def: $vgpr2
	s_branch .LBB78_226
.LBB78_205:
	s_mov_b64 s[0:1], -1
                                        ; implicit-def: $vgpr2
	s_branch .LBB78_214
.LBB78_206:
	s_mov_b64 s[0:1], -1
                                        ; implicit-def: $vgpr2
	s_branch .LBB78_211
.LBB78_207:
	s_mov_b64 s[0:1], -1
                                        ; implicit-def: $vgpr2
.LBB78_208:
	s_andn2_b64 vcc, exec, s[0:1]
	s_cbranch_vccnz .LBB78_210
; %bb.209:
	global_load_dword v2, v[0:1], off
	s_waitcnt vmcnt(0)
	v_cvt_i32_f32_e32 v2, v2
.LBB78_210:
	s_mov_b64 s[0:1], 0
.LBB78_211:
	s_andn2_b64 vcc, exec, s[0:1]
	s_cbranch_vccnz .LBB78_213
; %bb.212:
	global_load_dword v2, v[0:1], off
	s_waitcnt vmcnt(0)
	v_cvt_i16_f16_e32 v2, v2
.LBB78_213:
	s_mov_b64 s[0:1], 0
.LBB78_214:
	s_andn2_b64 vcc, exec, s[0:1]
	s_cbranch_vccnz .LBB78_225
; %bb.215:
	s_cmp_lt_i32 s24, 6
	s_cbranch_scc1 .LBB78_218
; %bb.216:
	s_cmp_gt_i32 s24, 6
	s_cbranch_scc0 .LBB78_219
; %bb.217:
	global_load_dwordx2 v[2:3], v[0:1], off
	s_mov_b64 s[0:1], 0
	s_waitcnt vmcnt(0)
	v_cvt_i32_f64_e32 v2, v[2:3]
	s_branch .LBB78_220
.LBB78_218:
	s_mov_b64 s[0:1], -1
                                        ; implicit-def: $vgpr2
	s_branch .LBB78_223
.LBB78_219:
	s_mov_b64 s[0:1], -1
                                        ; implicit-def: $vgpr2
.LBB78_220:
	s_andn2_b64 vcc, exec, s[0:1]
	s_cbranch_vccnz .LBB78_222
; %bb.221:
	global_load_dword v2, v[0:1], off
	s_waitcnt vmcnt(0)
	v_cvt_i32_f32_e32 v2, v2
.LBB78_222:
	s_mov_b64 s[0:1], 0
.LBB78_223:
	s_andn2_b64 vcc, exec, s[0:1]
	s_cbranch_vccnz .LBB78_225
; %bb.224:
	global_load_ushort v2, v[0:1], off
	s_waitcnt vmcnt(0)
	v_cvt_i16_f16_e32 v2, v2
.LBB78_225:
	s_cbranch_execnz .LBB78_245
.LBB78_226:
	s_cmp_lt_i32 s24, 2
	s_cbranch_scc1 .LBB78_230
; %bb.227:
	s_cmp_lt_i32 s24, 3
	s_cbranch_scc1 .LBB78_231
; %bb.228:
	s_cmp_gt_i32 s24, 3
	s_cbranch_scc0 .LBB78_232
; %bb.229:
	global_load_dwordx2 v[2:3], v[0:1], off
	s_mov_b64 s[0:1], 0
	s_branch .LBB78_233
.LBB78_230:
	s_mov_b64 s[0:1], -1
                                        ; implicit-def: $vgpr2
	s_branch .LBB78_239
.LBB78_231:
	s_mov_b64 s[0:1], -1
                                        ; implicit-def: $vgpr2
	s_branch .LBB78_236
.LBB78_232:
	s_mov_b64 s[0:1], -1
                                        ; implicit-def: $vgpr2
.LBB78_233:
	s_andn2_b64 vcc, exec, s[0:1]
	s_cbranch_vccnz .LBB78_235
; %bb.234:
	global_load_dword v2, v[0:1], off
.LBB78_235:
	s_mov_b64 s[0:1], 0
.LBB78_236:
	s_andn2_b64 vcc, exec, s[0:1]
	s_cbranch_vccnz .LBB78_238
; %bb.237:
	global_load_ushort v2, v[0:1], off
.LBB78_238:
	s_mov_b64 s[0:1], 0
.LBB78_239:
	s_andn2_b64 vcc, exec, s[0:1]
	s_cbranch_vccnz .LBB78_245
; %bb.240:
	s_cmp_gt_i32 s24, 0
	s_cbranch_scc0 .LBB78_242
; %bb.241:
	global_load_sbyte v2, v[0:1], off
	s_mov_b64 s[0:1], 0
	s_branch .LBB78_243
.LBB78_242:
	s_mov_b64 s[0:1], -1
                                        ; implicit-def: $vgpr2
.LBB78_243:
	s_andn2_b64 vcc, exec, s[0:1]
	s_cbranch_vccnz .LBB78_245
; %bb.244:
	global_load_ubyte v2, v[0:1], off
.LBB78_245:
	s_branch .LBB78_11
.LBB78_246:
	s_mov_b64 s[0:1], 0
                                        ; implicit-def: $vgpr9
	s_mov_b64 s[24:25], 0
.LBB78_247:
	s_and_b64 s[18:19], s[0:1], exec
	s_and_b64 s[20:21], s[20:21], exec
	s_orn2_b64 s[24:25], s[24:25], exec
.LBB78_248:
	s_or_b64 exec, exec, s[22:23]
	s_mov_b64 s[28:29], 0
	s_mov_b64 s[0:1], 0
                                        ; implicit-def: $vgpr0_vgpr1
                                        ; implicit-def: $vgpr2
	s_and_saveexec_b64 s[22:23], s[24:25]
	s_cbranch_execz .LBB78_257
; %bb.249:
	v_cmp_gt_i32_e32 vcc, s33, v9
	s_mov_b64 s[0:1], -1
	s_mov_b64 s[24:25], s[20:21]
	s_mov_b64 s[26:27], s[18:19]
	s_and_saveexec_b64 s[28:29], vcc
	s_cbranch_execz .LBB78_505
; %bb.250:
	v_mul_lo_u32 v0, v9, s13
	v_mov_b32_e32 v1, s11
	s_and_b32 s30, 0xffff, s15
	s_cmp_lt_i32 s30, 11
	s_waitcnt vmcnt(0)
	v_ashrrev_i32_e32 v2, 31, v0
	v_add_co_u32_e32 v0, vcc, s10, v0
	v_addc_co_u32_e32 v1, vcc, v1, v2, vcc
	s_cbranch_scc1 .LBB78_260
; %bb.251:
	s_cmp_gt_i32 s30, 25
	s_cbranch_scc0 .LBB78_269
; %bb.252:
	s_cmp_gt_i32 s30, 28
	s_cbranch_scc0 .LBB78_271
	;; [unrolled: 3-line block ×4, first 2 shown]
; %bb.255:
	s_cmp_eq_u32 s30, 46
	s_mov_b64 s[26:27], 0
	s_cbranch_scc0 .LBB78_281
; %bb.256:
	global_load_dword v2, v[0:1], off
	s_mov_b64 s[24:25], 0
	s_waitcnt vmcnt(0)
	v_lshlrev_b32_e32 v2, 16, v2
	v_cvt_i32_f32_e32 v2, v2
	s_branch .LBB78_282
.LBB78_257:
	s_or_b64 exec, exec, s[22:23]
	s_mov_b64 s[22:23], 0
	s_and_saveexec_b64 s[24:25], s[20:21]
	s_cbranch_execnz .LBB78_843
.LBB78_258:
	s_or_b64 exec, exec, s[24:25]
	s_and_saveexec_b64 s[20:21], s[26:27]
	s_xor_b64 s[20:21], exec, s[20:21]
	s_cbranch_execz .LBB78_844
.LBB78_259:
	global_load_ubyte v2, v[0:1], off
	s_or_b64 s[0:1], s[0:1], exec
	s_waitcnt vmcnt(0)
	v_cmp_ne_u16_e32 vcc, 0, v2
	v_cndmask_b32_e64 v2, 0, 1, vcc
	s_or_b64 exec, exec, s[20:21]
	s_and_saveexec_b64 s[20:21], s[28:29]
	s_cbranch_execz .LBB78_890
	s_branch .LBB78_845
.LBB78_260:
	s_mov_b64 s[0:1], 0
                                        ; implicit-def: $vgpr2
	s_mov_b64 s[24:25], s[20:21]
	s_cbranch_execnz .LBB78_455
.LBB78_261:
	s_andn2_b64 vcc, exec, s[0:1]
	s_cbranch_vccnz .LBB78_503
.LBB78_262:
	v_mul_lo_u32 v0, v9, s12
	s_waitcnt vmcnt(0)
	v_cmp_ne_u16_e32 vcc, s2, v2
	v_mov_b32_e32 v1, s9
	s_xor_b64 s[26:27], s[16:17], vcc
	v_ashrrev_i32_e32 v2, 31, v0
	s_and_b32 s38, s3, 0xff
	v_add_co_u32_e32 v0, vcc, s8, v0
	s_cmp_lt_i32 s38, 11
	v_addc_co_u32_e32 v1, vcc, v1, v2, vcc
	s_cbranch_scc1 .LBB78_270
; %bb.263:
	s_and_b32 s39, 0xffff, s38
	s_cmp_gt_i32 s39, 25
	s_cbranch_scc0 .LBB78_272
; %bb.264:
	s_cmp_gt_i32 s39, 28
	s_cbranch_scc0 .LBB78_274
; %bb.265:
	;; [unrolled: 3-line block ×4, first 2 shown]
	s_mov_b64 s[34:35], 0
	s_mov_b64 s[0:1], -1
	s_cmp_eq_u32 s39, 46
	s_mov_b64 s[30:31], 0
	s_cbranch_scc0 .LBB78_286
; %bb.268:
	v_cndmask_b32_e64 v2, 0, 1.0, s[26:27]
	v_bfe_u32 v3, v2, 16, 1
	s_movk_i32 s0, 0x7fff
	v_add3_u32 v2, v2, v3, s0
	v_lshrrev_b32_e32 v2, 16, v2
	global_store_dword v[0:1], v2, off
	s_mov_b64 s[30:31], -1
	s_mov_b64 s[0:1], 0
	s_branch .LBB78_286
.LBB78_269:
	s_mov_b64 s[26:27], -1
	s_mov_b64 s[0:1], 0
	s_mov_b64 s[24:25], s[20:21]
                                        ; implicit-def: $vgpr2
	s_branch .LBB78_421
.LBB78_270:
	s_mov_b64 s[34:35], -1
	s_mov_b64 s[30:31], 0
	s_mov_b64 s[0:1], s[18:19]
	s_branch .LBB78_355
.LBB78_271:
	s_mov_b64 s[26:27], -1
	s_mov_b64 s[0:1], 0
	s_mov_b64 s[24:25], s[20:21]
                                        ; implicit-def: $vgpr2
	s_branch .LBB78_404
.LBB78_272:
	s_mov_b64 s[34:35], -1
	s_mov_b64 s[30:31], 0
	s_mov_b64 s[0:1], s[18:19]
	s_branch .LBB78_313
.LBB78_273:
	s_mov_b64 s[26:27], -1
	s_mov_b64 s[0:1], 0
	s_mov_b64 s[24:25], s[20:21]
                                        ; implicit-def: $vgpr2
	s_branch .LBB78_399
.LBB78_274:
	s_mov_b64 s[34:35], -1
	s_mov_b64 s[30:31], 0
	s_mov_b64 s[0:1], s[18:19]
	s_branch .LBB78_296
.LBB78_275:
	s_andn2_saveexec_b64 s[30:31], s[30:31]
	s_cbranch_execz .LBB78_55
.LBB78_276:
	v_add_f32_e32 v2, 0x46000000, v3
	v_and_b32_e32 v2, 0xff, v2
	v_cmp_ne_u32_e32 vcc, 0, v2
	s_andn2_b64 s[28:29], s[28:29], exec
	s_and_b64 s[36:37], vcc, exec
	s_or_b64 s[28:29], s[28:29], s[36:37]
	s_or_b64 exec, exec, s[30:31]
	v_mov_b32_e32 v4, 0
	s_and_saveexec_b64 s[30:31], s[28:29]
	s_cbranch_execnz .LBB78_56
	s_branch .LBB78_57
.LBB78_277:
	s_mov_b64 s[26:27], -1
	s_mov_b64 s[0:1], 0
	s_mov_b64 s[24:25], s[20:21]
                                        ; implicit-def: $vgpr2
	s_branch .LBB78_282
.LBB78_278:
	s_mov_b64 s[34:35], -1
	s_mov_b64 s[30:31], 0
	s_mov_b64 s[0:1], s[18:19]
	s_branch .LBB78_292
.LBB78_279:
	s_andn2_saveexec_b64 s[30:31], s[30:31]
	s_cbranch_execz .LBB78_68
.LBB78_280:
	v_add_f32_e32 v2, 0x42800000, v3
	v_and_b32_e32 v2, 0xff, v2
	v_cmp_ne_u32_e32 vcc, 0, v2
	s_andn2_b64 s[28:29], s[28:29], exec
	s_and_b64 s[36:37], vcc, exec
	s_or_b64 s[28:29], s[28:29], s[36:37]
	s_or_b64 exec, exec, s[30:31]
	v_mov_b32_e32 v4, 0
	s_and_saveexec_b64 s[30:31], s[28:29]
	s_cbranch_execnz .LBB78_69
	s_branch .LBB78_70
.LBB78_281:
	s_mov_b64 s[24:25], -1
                                        ; implicit-def: $vgpr2
	s_mov_b64 s[0:1], 0
.LBB78_282:
	s_and_b64 vcc, exec, s[26:27]
	s_cbranch_vccz .LBB78_398
; %bb.283:
	s_cmp_eq_u32 s30, 44
	s_cbranch_scc0 .LBB78_397
; %bb.284:
	global_load_ubyte v2, v[0:1], off
	s_mov_b64 s[0:1], -1
	s_mov_b64 s[24:25], 0
	s_waitcnt vmcnt(0)
	v_lshlrev_b32_e32 v3, 23, v2
	v_cvt_i32_f32_e32 v3, v3
	v_cmp_ne_u32_e32 vcc, 0, v2
	v_cndmask_b32_e32 v2, 0, v3, vcc
	s_branch .LBB78_398
.LBB78_285:
	s_mov_b64 s[34:35], -1
	s_mov_b64 s[30:31], 0
	s_mov_b64 s[0:1], s[18:19]
.LBB78_286:
	s_and_b64 vcc, exec, s[34:35]
	s_cbranch_vccz .LBB78_291
; %bb.287:
	s_cmp_eq_u32 s39, 44
	s_mov_b64 s[0:1], -1
	s_cbranch_scc0 .LBB78_291
; %bb.288:
	v_cndmask_b32_e64 v3, 0, 1.0, s[26:27]
	v_lshrrev_b32_e32 v2, 23, v3
	s_movk_i32 s0, 0xff
	v_cmp_ne_u32_e32 vcc, s0, v2
	v_mov_b32_e32 v4, 0xff
	s_and_saveexec_b64 s[30:31], vcc
; %bb.289:
	s_mov_b32 s0, 0x3fffff
	v_and_b32_e32 v4, 0x400000, v3
	v_and_or_b32 v3, v3, s0, v2
	v_cmp_ne_u32_e32 vcc, 0, v4
	v_cmp_ne_u32_e64 s[0:1], 0, v3
	s_and_b64 s[0:1], vcc, s[0:1]
	v_cndmask_b32_e64 v3, 0, 1, s[0:1]
	v_add_u32_e32 v4, v2, v3
; %bb.290:
	s_or_b64 exec, exec, s[30:31]
	s_mov_b64 s[30:31], -1
	s_mov_b64 s[0:1], 0
	global_store_byte v[0:1], v4, off
.LBB78_291:
	s_mov_b64 s[34:35], 0
.LBB78_292:
	s_and_b64 vcc, exec, s[34:35]
	s_cbranch_vccz .LBB78_295
; %bb.293:
	s_cmp_eq_u32 s39, 29
	s_mov_b64 s[0:1], -1
	s_cbranch_scc0 .LBB78_295
; %bb.294:
	s_mov_b32 s0, 0
	v_cndmask_b32_e64 v2, 0, 1, s[26:27]
	v_mov_b32_e32 v3, s0
	global_store_dwordx2 v[0:1], v[2:3], off
	s_mov_b64 s[30:31], -1
	s_mov_b64 s[0:1], 0
.LBB78_295:
	s_mov_b64 s[34:35], 0
.LBB78_296:
	s_and_b64 vcc, exec, s[34:35]
	s_cbranch_vccz .LBB78_312
; %bb.297:
	s_cmp_lt_i32 s39, 27
	s_mov_b64 s[30:31], -1
	s_cbranch_scc1 .LBB78_303
; %bb.298:
	s_cmp_gt_i32 s39, 27
	s_cbranch_scc0 .LBB78_300
; %bb.299:
	v_cndmask_b32_e64 v2, 0, 1, s[26:27]
	s_mov_b64 s[30:31], 0
	global_store_dword v[0:1], v2, off
.LBB78_300:
	s_andn2_b64 vcc, exec, s[30:31]
	s_cbranch_vccnz .LBB78_302
; %bb.301:
	v_cndmask_b32_e64 v2, 0, 1, s[26:27]
	global_store_short v[0:1], v2, off
.LBB78_302:
	s_mov_b64 s[30:31], 0
.LBB78_303:
	s_andn2_b64 vcc, exec, s[30:31]
	s_cbranch_vccnz .LBB78_311
; %bb.304:
	v_cndmask_b32_e64 v3, 0, 1.0, s[26:27]
	s_mov_b32 s30, 0x43800000
	v_cmp_gt_u32_e32 vcc, s30, v3
	v_mov_b32_e32 v4, 0x80
	s_and_saveexec_b64 s[30:31], vcc
	s_cbranch_execz .LBB78_310
; %bb.305:
	s_mov_b32 s34, 0x3bffffff
	v_cmp_lt_u32_e32 vcc, s34, v3
	s_mov_b64 s[34:35], 0
                                        ; implicit-def: $vgpr2
	s_and_saveexec_b64 s[36:37], vcc
	s_xor_b64 s[36:37], exec, s[36:37]
	s_cbranch_execz .LBB78_518
; %bb.306:
	v_bfe_u32 v2, v3, 20, 1
	s_mov_b32 s40, 0x487ffff
	v_add3_u32 v2, v3, v2, s40
	s_mov_b64 s[34:35], exec
	v_lshrrev_b32_e32 v2, 20, v2
                                        ; implicit-def: $vgpr3
	s_andn2_saveexec_b64 s[36:37], s[36:37]
	s_cbranch_execnz .LBB78_519
.LBB78_307:
	s_or_b64 exec, exec, s[36:37]
	v_mov_b32_e32 v4, 0
	s_and_saveexec_b64 s[36:37], s[34:35]
.LBB78_308:
	v_mov_b32_e32 v4, v2
.LBB78_309:
	s_or_b64 exec, exec, s[36:37]
.LBB78_310:
	s_or_b64 exec, exec, s[30:31]
	global_store_byte v[0:1], v4, off
.LBB78_311:
	s_mov_b64 s[30:31], -1
.LBB78_312:
	s_mov_b64 s[34:35], 0
.LBB78_313:
	s_and_b64 vcc, exec, s[34:35]
	s_cbranch_vccz .LBB78_354
; %bb.314:
	s_cmp_gt_i32 s39, 22
	s_mov_b64 s[34:35], -1
	s_cbranch_scc0 .LBB78_346
; %bb.315:
	s_cmp_lt_i32 s39, 24
	s_mov_b64 s[30:31], -1
	s_cbranch_scc1 .LBB78_335
; %bb.316:
	s_cmp_gt_i32 s39, 24
	s_cbranch_scc0 .LBB78_324
; %bb.317:
	v_cndmask_b32_e64 v3, 0, 1.0, s[26:27]
	s_mov_b32 s30, 0x47800000
	v_cmp_gt_u32_e32 vcc, s30, v3
	v_mov_b32_e32 v4, 0x80
	s_and_saveexec_b64 s[30:31], vcc
	s_cbranch_execz .LBB78_323
; %bb.318:
	s_mov_b32 s34, 0x37ffffff
	v_cmp_lt_u32_e32 vcc, s34, v3
	s_mov_b64 s[34:35], 0
                                        ; implicit-def: $vgpr2
	s_and_saveexec_b64 s[36:37], vcc
	s_xor_b64 s[36:37], exec, s[36:37]
	s_cbranch_execz .LBB78_521
; %bb.319:
	v_bfe_u32 v2, v3, 21, 1
	s_mov_b32 s40, 0x88fffff
	v_add3_u32 v2, v3, v2, s40
	s_mov_b64 s[34:35], exec
	v_lshrrev_b32_e32 v2, 21, v2
                                        ; implicit-def: $vgpr3
	s_andn2_saveexec_b64 s[36:37], s[36:37]
	s_cbranch_execnz .LBB78_522
.LBB78_320:
	s_or_b64 exec, exec, s[36:37]
	v_mov_b32_e32 v4, 0
	s_and_saveexec_b64 s[36:37], s[34:35]
.LBB78_321:
	v_mov_b32_e32 v4, v2
.LBB78_322:
	s_or_b64 exec, exec, s[36:37]
.LBB78_323:
	s_or_b64 exec, exec, s[30:31]
	s_mov_b64 s[30:31], 0
	global_store_byte v[0:1], v4, off
.LBB78_324:
	s_and_b64 vcc, exec, s[30:31]
	s_cbranch_vccz .LBB78_334
; %bb.325:
	v_cndmask_b32_e64 v2, 0, 1.0, s[26:27]
	s_mov_b32 s30, 0x43f00000
	v_cmp_gt_u32_e32 vcc, s30, v2
                                        ; implicit-def: $vgpr3
	s_and_saveexec_b64 s[30:31], vcc
	s_xor_b64 s[30:31], exec, s[30:31]
	s_cbranch_execz .LBB78_331
; %bb.326:
	s_mov_b32 s34, 0x3c7fffff
	v_cmp_lt_u32_e32 vcc, s34, v2
                                        ; implicit-def: $vgpr3
	s_and_saveexec_b64 s[34:35], vcc
	s_xor_b64 s[34:35], exec, s[34:35]
; %bb.327:
	v_bfe_u32 v3, v2, 20, 1
	s_mov_b32 s36, 0x407ffff
	v_add3_u32 v2, v2, v3, s36
	v_lshrrev_b32_e32 v3, 20, v2
	v_and_b32_e32 v2, 0xff00000, v2
	s_mov_b32 s36, 0x7f00000
	v_mov_b32_e32 v4, 0x7e
	v_cmp_ne_u32_e32 vcc, s36, v2
	v_cndmask_b32_e32 v3, v4, v3, vcc
                                        ; implicit-def: $vgpr2
; %bb.328:
	s_andn2_saveexec_b64 s[34:35], s[34:35]
; %bb.329:
	v_add_f32_e32 v3, 0x46800000, v2
; %bb.330:
	s_or_b64 exec, exec, s[34:35]
                                        ; implicit-def: $vgpr2
.LBB78_331:
	s_andn2_saveexec_b64 s[30:31], s[30:31]
; %bb.332:
	s_mov_b32 s34, 0x7f800000
	v_mov_b32_e32 v3, 0x7e
	v_mov_b32_e32 v4, 0x7f
	v_cmp_lt_u32_e32 vcc, s34, v2
	v_cndmask_b32_e32 v3, v3, v4, vcc
; %bb.333:
	s_or_b64 exec, exec, s[30:31]
	global_store_byte v[0:1], v3, off
.LBB78_334:
	s_mov_b64 s[30:31], 0
.LBB78_335:
	s_andn2_b64 vcc, exec, s[30:31]
	s_cbranch_vccnz .LBB78_345
; %bb.336:
	v_cndmask_b32_e64 v2, 0, 1.0, s[26:27]
	s_mov_b32 s30, 0x47800000
	v_cmp_gt_u32_e32 vcc, s30, v2
                                        ; implicit-def: $vgpr3
	s_and_saveexec_b64 s[30:31], vcc
	s_xor_b64 s[30:31], exec, s[30:31]
	s_cbranch_execz .LBB78_342
; %bb.337:
	s_mov_b32 s34, 0x387fffff
	v_cmp_lt_u32_e32 vcc, s34, v2
                                        ; implicit-def: $vgpr3
	s_and_saveexec_b64 s[34:35], vcc
	s_xor_b64 s[34:35], exec, s[34:35]
; %bb.338:
	v_bfe_u32 v3, v2, 21, 1
	s_mov_b32 s36, 0x80fffff
	v_add3_u32 v2, v2, v3, s36
	v_lshrrev_b32_e32 v3, 21, v2
                                        ; implicit-def: $vgpr2
; %bb.339:
	s_andn2_saveexec_b64 s[34:35], s[34:35]
; %bb.340:
	v_add_f32_e32 v3, 0x43000000, v2
; %bb.341:
	s_or_b64 exec, exec, s[34:35]
                                        ; implicit-def: $vgpr2
.LBB78_342:
	s_andn2_saveexec_b64 s[30:31], s[30:31]
; %bb.343:
	s_mov_b32 s34, 0x7f800000
	v_mov_b32_e32 v3, 0x7c
	v_mov_b32_e32 v4, 0x7f
	v_cmp_lt_u32_e32 vcc, s34, v2
	v_cndmask_b32_e32 v3, v3, v4, vcc
; %bb.344:
	s_or_b64 exec, exec, s[30:31]
	global_store_byte v[0:1], v3, off
.LBB78_345:
	s_mov_b64 s[34:35], 0
	s_mov_b64 s[30:31], -1
.LBB78_346:
	s_andn2_b64 vcc, exec, s[34:35]
	s_cbranch_vccnz .LBB78_354
; %bb.347:
	s_cmp_gt_i32 s39, 14
	s_mov_b64 s[34:35], -1
	s_cbranch_scc0 .LBB78_351
; %bb.348:
	s_cmp_eq_u32 s39, 15
	s_mov_b64 s[0:1], -1
	s_cbranch_scc0 .LBB78_350
; %bb.349:
	v_cndmask_b32_e64 v2, 0, 1.0, s[26:27]
	v_bfe_u32 v3, v2, 16, 1
	s_movk_i32 s0, 0x7fff
	v_add3_u32 v2, v2, v3, s0
	global_store_short_d16_hi v[0:1], v2, off
	s_mov_b64 s[30:31], -1
	s_mov_b64 s[0:1], 0
.LBB78_350:
	s_mov_b64 s[34:35], 0
.LBB78_351:
	s_and_b64 vcc, exec, s[34:35]
	s_cbranch_vccz .LBB78_354
; %bb.352:
	s_cmp_eq_u32 s39, 11
	s_mov_b64 s[0:1], -1
	s_cbranch_scc0 .LBB78_354
; %bb.353:
	v_cndmask_b32_e64 v2, 0, 1, s[26:27]
	s_mov_b64 s[30:31], -1
	s_mov_b64 s[0:1], 0
	global_store_byte v[0:1], v2, off
.LBB78_354:
	s_mov_b64 s[34:35], 0
.LBB78_355:
	s_and_b64 vcc, exec, s[34:35]
	s_cbranch_vccz .LBB78_394
; %bb.356:
	s_and_b32 s34, 0xffff, s38
	s_cmp_lt_i32 s34, 5
	s_mov_b64 s[30:31], -1
	s_cbranch_scc1 .LBB78_377
; %bb.357:
	s_cmp_lt_i32 s34, 8
	s_cbranch_scc1 .LBB78_367
; %bb.358:
	s_cmp_lt_i32 s34, 9
	s_cbranch_scc1 .LBB78_364
; %bb.359:
	s_cmp_gt_i32 s34, 9
	s_cbranch_scc0 .LBB78_361
; %bb.360:
	v_cndmask_b32_e64 v2, 0, 1, s[26:27]
	v_cvt_f64_u32_e32 v[2:3], v2
	v_mov_b32_e32 v4, 0
	v_mov_b32_e32 v5, v4
	s_mov_b64 s[30:31], 0
	global_store_dwordx4 v[0:1], v[2:5], off
.LBB78_361:
	s_andn2_b64 vcc, exec, s[30:31]
	s_cbranch_vccnz .LBB78_363
; %bb.362:
	v_cndmask_b32_e64 v2, 0, 1.0, s[26:27]
	v_mov_b32_e32 v3, 0
	global_store_dwordx2 v[0:1], v[2:3], off
.LBB78_363:
	s_mov_b64 s[30:31], 0
.LBB78_364:
	s_andn2_b64 vcc, exec, s[30:31]
	s_cbranch_vccnz .LBB78_366
; %bb.365:
	v_cndmask_b32_e64 v2, 0, 1.0, s[26:27]
	v_cvt_f16_f32_e32 v2, v2
	global_store_dword v[0:1], v2, off
.LBB78_366:
	s_mov_b64 s[30:31], 0
.LBB78_367:
	s_andn2_b64 vcc, exec, s[30:31]
	s_cbranch_vccnz .LBB78_376
; %bb.368:
	s_cmp_lt_i32 s34, 6
	s_mov_b64 s[30:31], -1
	s_cbranch_scc1 .LBB78_374
; %bb.369:
	s_cmp_gt_i32 s34, 6
	s_cbranch_scc0 .LBB78_371
; %bb.370:
	v_cndmask_b32_e64 v2, 0, 1, s[26:27]
	v_cvt_f64_u32_e32 v[2:3], v2
	s_mov_b64 s[30:31], 0
	global_store_dwordx2 v[0:1], v[2:3], off
.LBB78_371:
	s_andn2_b64 vcc, exec, s[30:31]
	s_cbranch_vccnz .LBB78_373
; %bb.372:
	v_cndmask_b32_e64 v2, 0, 1.0, s[26:27]
	global_store_dword v[0:1], v2, off
.LBB78_373:
	s_mov_b64 s[30:31], 0
.LBB78_374:
	s_andn2_b64 vcc, exec, s[30:31]
	s_cbranch_vccnz .LBB78_376
; %bb.375:
	v_cndmask_b32_e64 v2, 0, 1.0, s[26:27]
	v_cvt_f16_f32_e32 v2, v2
	global_store_short v[0:1], v2, off
.LBB78_376:
	s_mov_b64 s[30:31], 0
.LBB78_377:
	s_andn2_b64 vcc, exec, s[30:31]
	s_cbranch_vccnz .LBB78_393
; %bb.378:
	s_cmp_lt_i32 s34, 2
	s_mov_b64 s[30:31], -1
	s_cbranch_scc1 .LBB78_388
; %bb.379:
	s_cmp_lt_i32 s34, 3
	s_cbranch_scc1 .LBB78_385
; %bb.380:
	s_cmp_gt_i32 s34, 3
	s_cbranch_scc0 .LBB78_382
; %bb.381:
	s_mov_b32 s30, 0
	v_cndmask_b32_e64 v2, 0, 1, s[26:27]
	v_mov_b32_e32 v3, s30
	s_mov_b64 s[30:31], 0
	global_store_dwordx2 v[0:1], v[2:3], off
.LBB78_382:
	s_andn2_b64 vcc, exec, s[30:31]
	s_cbranch_vccnz .LBB78_384
; %bb.383:
	v_cndmask_b32_e64 v2, 0, 1, s[26:27]
	global_store_dword v[0:1], v2, off
.LBB78_384:
	s_mov_b64 s[30:31], 0
.LBB78_385:
	s_andn2_b64 vcc, exec, s[30:31]
	s_cbranch_vccnz .LBB78_387
; %bb.386:
	v_cndmask_b32_e64 v2, 0, 1, s[26:27]
	global_store_short v[0:1], v2, off
.LBB78_387:
	s_mov_b64 s[30:31], 0
.LBB78_388:
	s_andn2_b64 vcc, exec, s[30:31]
	s_cbranch_vccnz .LBB78_393
; %bb.389:
	s_mov_b64 s[30:31], -1
	s_cmp_gt_i32 s34, 0
	v_cndmask_b32_e64 v2, 0, 1, s[26:27]
	s_cbranch_scc0 .LBB78_391
; %bb.390:
	s_mov_b64 s[30:31], 0
	global_store_byte v[0:1], v2, off
.LBB78_391:
	s_andn2_b64 vcc, exec, s[30:31]
	s_cbranch_vccnz .LBB78_393
; %bb.392:
	global_store_byte v[0:1], v2, off
.LBB78_393:
	s_mov_b64 s[30:31], -1
.LBB78_394:
	s_andn2_b64 vcc, exec, s[30:31]
	s_cbranch_vccnz .LBB78_396
; %bb.395:
	v_add_u32_e32 v9, 0x80, v9
	s_mov_b64 s[30:31], -1
	s_branch .LBB78_504
.LBB78_396:
	s_mov_b64 s[30:31], 0
                                        ; implicit-def: $vgpr9
	s_branch .LBB78_504
.LBB78_397:
	s_mov_b64 s[24:25], -1
                                        ; implicit-def: $vgpr2
.LBB78_398:
	s_mov_b64 s[26:27], 0
.LBB78_399:
	s_and_b64 vcc, exec, s[26:27]
	s_cbranch_vccz .LBB78_403
; %bb.400:
	s_cmp_eq_u32 s30, 29
	s_cbranch_scc0 .LBB78_402
; %bb.401:
	global_load_dwordx2 v[2:3], v[0:1], off
	s_mov_b64 s[0:1], -1
	s_mov_b64 s[24:25], 0
	s_branch .LBB78_403
.LBB78_402:
	s_mov_b64 s[24:25], -1
                                        ; implicit-def: $vgpr2
.LBB78_403:
	s_mov_b64 s[26:27], 0
.LBB78_404:
	s_and_b64 vcc, exec, s[26:27]
	s_cbranch_vccz .LBB78_420
; %bb.405:
	s_cmp_lt_i32 s30, 27
	s_cbranch_scc1 .LBB78_408
; %bb.406:
	s_cmp_gt_i32 s30, 27
	s_cbranch_scc0 .LBB78_409
; %bb.407:
	global_load_dword v2, v[0:1], off
	s_mov_b64 s[0:1], 0
	s_branch .LBB78_410
.LBB78_408:
	s_mov_b64 s[0:1], -1
                                        ; implicit-def: $vgpr2
	s_branch .LBB78_413
.LBB78_409:
	s_mov_b64 s[0:1], -1
                                        ; implicit-def: $vgpr2
.LBB78_410:
	s_andn2_b64 vcc, exec, s[0:1]
	s_cbranch_vccnz .LBB78_412
; %bb.411:
	global_load_ushort v2, v[0:1], off
.LBB78_412:
	s_mov_b64 s[0:1], 0
.LBB78_413:
	s_andn2_b64 vcc, exec, s[0:1]
	s_cbranch_vccnz .LBB78_419
; %bb.414:
	global_load_ubyte v3, v[0:1], off
	s_movk_i32 s0, 0x7f
	s_mov_b64 s[26:27], 0
	s_waitcnt vmcnt(0)
	v_cmp_lt_i16_e32 vcc, s0, v3
	s_and_saveexec_b64 s[0:1], vcc
	s_xor_b64 s[0:1], exec, s[0:1]
	s_cbranch_execz .LBB78_431
; %bb.415:
	s_movk_i32 s26, 0x80
	v_cmp_ne_u16_e32 vcc, s26, v3
	s_and_b64 s[26:27], vcc, exec
	s_andn2_saveexec_b64 s[0:1], s[0:1]
	s_cbranch_execnz .LBB78_432
.LBB78_416:
	s_or_b64 exec, exec, s[0:1]
	v_mov_b32_e32 v2, 0
	s_and_saveexec_b64 s[0:1], s[26:27]
	s_cbranch_execz .LBB78_418
.LBB78_417:
	v_lshlrev_b32_e32 v2, 24, v3
	v_and_b32_e32 v3, 0xffff, v3
	v_and_b32_e32 v4, 7, v3
	v_ffbh_u32_e32 v6, v4
	v_min_u32_e32 v6, 32, v6
	v_subrev_u32_e32 v7, 28, v6
	v_bfe_u32 v5, v3, 3, 4
	v_lshlrev_b32_e32 v3, v7, v3
	v_sub_u32_e32 v6, 29, v6
	v_and_b32_e32 v3, 7, v3
	v_cmp_eq_u32_e32 vcc, 0, v5
	v_cndmask_b32_e32 v5, v5, v6, vcc
	v_cndmask_b32_e32 v3, v4, v3, vcc
	v_mov_b32_e32 v4, 0x3b800000
	v_lshlrev_b32_e32 v3, 20, v3
	v_and_b32_e32 v2, 0x80000000, v2
	v_lshl_add_u32 v4, v5, 23, v4
	v_or3_b32 v2, v2, v4, v3
	v_cvt_i32_f32_e32 v2, v2
.LBB78_418:
	s_or_b64 exec, exec, s[0:1]
.LBB78_419:
	s_mov_b64 s[0:1], -1
.LBB78_420:
	s_mov_b64 s[26:27], 0
.LBB78_421:
	s_and_b64 vcc, exec, s[26:27]
	s_cbranch_vccz .LBB78_454
; %bb.422:
	s_cmp_gt_i32 s30, 22
	s_cbranch_scc0 .LBB78_430
; %bb.423:
	s_cmp_lt_i32 s30, 24
	s_cbranch_scc1 .LBB78_433
; %bb.424:
	s_cmp_gt_i32 s30, 24
	s_cbranch_scc0 .LBB78_434
; %bb.425:
	global_load_ubyte v3, v[0:1], off
	s_movk_i32 s0, 0x7f
	s_mov_b64 s[26:27], 0
	s_waitcnt vmcnt(0)
	v_cmp_lt_i16_e32 vcc, s0, v3
	s_and_saveexec_b64 s[0:1], vcc
	s_xor_b64 s[0:1], exec, s[0:1]
	s_cbranch_execz .LBB78_446
; %bb.426:
	s_movk_i32 s26, 0x80
	v_cmp_ne_u16_e32 vcc, s26, v3
	s_and_b64 s[26:27], vcc, exec
	s_andn2_saveexec_b64 s[0:1], s[0:1]
	s_cbranch_execnz .LBB78_447
.LBB78_427:
	s_or_b64 exec, exec, s[0:1]
	v_mov_b32_e32 v2, 0
	s_and_saveexec_b64 s[0:1], s[26:27]
	s_cbranch_execz .LBB78_429
.LBB78_428:
	v_lshlrev_b32_e32 v2, 24, v3
	v_and_b32_e32 v3, 0xffff, v3
	v_and_b32_e32 v4, 3, v3
	v_ffbh_u32_e32 v6, v4
	v_min_u32_e32 v6, 32, v6
	v_subrev_u32_e32 v7, 29, v6
	v_bfe_u32 v5, v3, 2, 5
	v_lshlrev_b32_e32 v3, v7, v3
	v_sub_u32_e32 v6, 30, v6
	v_and_b32_e32 v3, 3, v3
	v_cmp_eq_u32_e32 vcc, 0, v5
	v_cndmask_b32_e32 v5, v5, v6, vcc
	v_cndmask_b32_e32 v3, v4, v3, vcc
	v_mov_b32_e32 v4, 0x37800000
	v_lshlrev_b32_e32 v3, 21, v3
	v_and_b32_e32 v2, 0x80000000, v2
	v_lshl_add_u32 v4, v5, 23, v4
	v_or3_b32 v2, v2, v4, v3
	v_cvt_i32_f32_e32 v2, v2
.LBB78_429:
	s_or_b64 exec, exec, s[0:1]
	s_mov_b64 s[0:1], 0
	s_branch .LBB78_435
.LBB78_430:
	s_mov_b64 s[26:27], -1
                                        ; implicit-def: $vgpr2
	s_branch .LBB78_441
.LBB78_431:
	s_andn2_saveexec_b64 s[0:1], s[0:1]
	s_cbranch_execz .LBB78_416
.LBB78_432:
	v_cmp_ne_u16_e32 vcc, 0, v3
	s_andn2_b64 s[26:27], s[26:27], exec
	s_and_b64 s[34:35], vcc, exec
	s_or_b64 s[26:27], s[26:27], s[34:35]
	s_or_b64 exec, exec, s[0:1]
	v_mov_b32_e32 v2, 0
	s_and_saveexec_b64 s[0:1], s[26:27]
	s_cbranch_execnz .LBB78_417
	s_branch .LBB78_418
.LBB78_433:
	s_mov_b64 s[0:1], -1
                                        ; implicit-def: $vgpr2
	s_branch .LBB78_438
.LBB78_434:
	s_mov_b64 s[0:1], -1
                                        ; implicit-def: $vgpr2
.LBB78_435:
	s_and_b64 vcc, exec, s[0:1]
	s_cbranch_vccz .LBB78_437
; %bb.436:
	global_load_ubyte v2, v[0:1], off
	s_mov_b32 s0, 0x7f800000
	s_waitcnt vmcnt(0)
	v_lshlrev_b32_e32 v2, 24, v2
	v_and_b32_e32 v3, 0x7f000000, v2
	v_ffbh_u32_e32 v4, v3
	v_min_u32_e32 v4, 32, v4
	v_sub_u32_e64 v4, v4, 4 clamp
	v_lshlrev_b32_e32 v6, v4, v3
	v_lshlrev_b32_e32 v4, 23, v4
	v_lshrrev_b32_e32 v6, 4, v6
	v_add_u32_e32 v5, 0x1000000, v3
	v_sub_u32_e32 v4, v6, v4
	v_ashrrev_i32_e32 v5, 8, v5
	v_add_u32_e32 v4, 0x3c000000, v4
	v_and_or_b32 v4, v5, s0, v4
	v_cmp_ne_u32_e32 vcc, 0, v3
	v_cndmask_b32_e32 v3, 0, v4, vcc
	s_brev_b32 s0, 1
	v_and_or_b32 v2, v2, s0, v3
	v_cvt_i32_f32_e32 v2, v2
.LBB78_437:
	s_mov_b64 s[0:1], 0
.LBB78_438:
	s_andn2_b64 vcc, exec, s[0:1]
	s_cbranch_vccnz .LBB78_440
; %bb.439:
	global_load_ubyte v2, v[0:1], off
	s_movk_i32 s0, 0x7f00
	s_brev_b32 s1, 16
	s_waitcnt vmcnt(0)
	v_lshlrev_b16_e32 v3, 8, v2
	v_lshlrev_b32_e32 v2, 25, v2
	v_lshrrev_b32_e32 v4, 4, v2
	v_and_or_b32 v5, v3, s0, 0.5
	v_or_b32_e32 v4, 0x70000000, v4
	v_add_f32_e32 v5, -0.5, v5
	v_mul_f32_e32 v4, 0x7800000, v4
	v_cmp_gt_u32_e32 vcc, s1, v2
	v_bfe_i32 v3, v3, 0, 16
	v_cndmask_b32_e32 v2, v4, v5, vcc
	s_brev_b32 s0, 1
	v_and_or_b32 v2, v3, s0, v2
	v_cvt_i32_f32_e32 v2, v2
.LBB78_440:
	s_mov_b64 s[26:27], 0
	s_mov_b64 s[0:1], -1
.LBB78_441:
	s_andn2_b64 vcc, exec, s[26:27]
	s_cbranch_vccnz .LBB78_454
; %bb.442:
	s_cmp_gt_i32 s30, 14
	s_cbranch_scc0 .LBB78_445
; %bb.443:
	s_cmp_eq_u32 s30, 15
	s_cbranch_scc0 .LBB78_448
; %bb.444:
	global_load_ushort v2, v[0:1], off
	s_mov_b64 s[0:1], -1
	s_mov_b64 s[24:25], 0
	s_waitcnt vmcnt(0)
	v_lshlrev_b32_e32 v2, 16, v2
	v_cvt_i32_f32_e32 v2, v2
	s_branch .LBB78_449
.LBB78_445:
	s_mov_b64 s[26:27], -1
                                        ; implicit-def: $vgpr2
	s_branch .LBB78_450
.LBB78_446:
	s_andn2_saveexec_b64 s[0:1], s[0:1]
	s_cbranch_execz .LBB78_427
.LBB78_447:
	v_cmp_ne_u16_e32 vcc, 0, v3
	s_andn2_b64 s[26:27], s[26:27], exec
	s_and_b64 s[34:35], vcc, exec
	s_or_b64 s[26:27], s[26:27], s[34:35]
	s_or_b64 exec, exec, s[0:1]
	v_mov_b32_e32 v2, 0
	s_and_saveexec_b64 s[0:1], s[26:27]
	s_cbranch_execnz .LBB78_428
	s_branch .LBB78_429
.LBB78_448:
	s_mov_b64 s[24:25], -1
                                        ; implicit-def: $vgpr2
.LBB78_449:
	s_mov_b64 s[26:27], 0
.LBB78_450:
	s_and_b64 vcc, exec, s[26:27]
	s_cbranch_vccz .LBB78_454
; %bb.451:
	s_cmp_eq_u32 s30, 11
	s_cbranch_scc0 .LBB78_453
; %bb.452:
	global_load_ubyte v2, v[0:1], off
	s_mov_b64 s[0:1], -1
	s_mov_b64 s[24:25], 0
	s_waitcnt vmcnt(0)
	v_cmp_ne_u16_e32 vcc, 0, v2
	v_cndmask_b32_e64 v2, 0, 1, vcc
	s_branch .LBB78_454
.LBB78_453:
	s_mov_b64 s[24:25], -1
                                        ; implicit-def: $vgpr2
.LBB78_454:
	s_branch .LBB78_261
.LBB78_455:
	s_cmp_lt_i32 s30, 5
	s_cbranch_scc1 .LBB78_460
; %bb.456:
	s_cmp_lt_i32 s30, 8
	s_cbranch_scc1 .LBB78_461
; %bb.457:
	s_cmp_lt_i32 s30, 9
	s_cbranch_scc1 .LBB78_462
; %bb.458:
	s_cmp_gt_i32 s30, 9
	s_cbranch_scc0 .LBB78_463
; %bb.459:
	global_load_dwordx2 v[2:3], v[0:1], off
	s_mov_b64 s[0:1], 0
	s_waitcnt vmcnt(0)
	v_cvt_i32_f64_e32 v2, v[2:3]
	s_branch .LBB78_464
.LBB78_460:
	s_mov_b64 s[0:1], -1
                                        ; implicit-def: $vgpr2
	s_branch .LBB78_482
.LBB78_461:
	s_mov_b64 s[0:1], -1
                                        ; implicit-def: $vgpr2
	s_branch .LBB78_470
.LBB78_462:
	s_mov_b64 s[0:1], -1
                                        ; implicit-def: $vgpr2
	s_branch .LBB78_467
.LBB78_463:
	s_mov_b64 s[0:1], -1
                                        ; implicit-def: $vgpr2
.LBB78_464:
	s_andn2_b64 vcc, exec, s[0:1]
	s_cbranch_vccnz .LBB78_466
; %bb.465:
	global_load_dword v2, v[0:1], off
	s_waitcnt vmcnt(0)
	v_cvt_i32_f32_e32 v2, v2
.LBB78_466:
	s_mov_b64 s[0:1], 0
.LBB78_467:
	s_andn2_b64 vcc, exec, s[0:1]
	s_cbranch_vccnz .LBB78_469
; %bb.468:
	global_load_dword v2, v[0:1], off
	s_waitcnt vmcnt(0)
	v_cvt_i16_f16_e32 v2, v2
.LBB78_469:
	s_mov_b64 s[0:1], 0
.LBB78_470:
	s_andn2_b64 vcc, exec, s[0:1]
	s_cbranch_vccnz .LBB78_481
; %bb.471:
	s_cmp_lt_i32 s30, 6
	s_cbranch_scc1 .LBB78_474
; %bb.472:
	s_cmp_gt_i32 s30, 6
	s_cbranch_scc0 .LBB78_475
; %bb.473:
	global_load_dwordx2 v[2:3], v[0:1], off
	s_mov_b64 s[0:1], 0
	s_waitcnt vmcnt(0)
	v_cvt_i32_f64_e32 v2, v[2:3]
	s_branch .LBB78_476
.LBB78_474:
	s_mov_b64 s[0:1], -1
                                        ; implicit-def: $vgpr2
	s_branch .LBB78_479
.LBB78_475:
	s_mov_b64 s[0:1], -1
                                        ; implicit-def: $vgpr2
.LBB78_476:
	s_andn2_b64 vcc, exec, s[0:1]
	s_cbranch_vccnz .LBB78_478
; %bb.477:
	global_load_dword v2, v[0:1], off
	s_waitcnt vmcnt(0)
	v_cvt_i32_f32_e32 v2, v2
.LBB78_478:
	s_mov_b64 s[0:1], 0
.LBB78_479:
	s_andn2_b64 vcc, exec, s[0:1]
	s_cbranch_vccnz .LBB78_481
; %bb.480:
	global_load_ushort v2, v[0:1], off
	s_waitcnt vmcnt(0)
	v_cvt_i16_f16_e32 v2, v2
.LBB78_481:
	s_mov_b64 s[0:1], 0
.LBB78_482:
	s_andn2_b64 vcc, exec, s[0:1]
	s_cbranch_vccnz .LBB78_502
; %bb.483:
	s_cmp_lt_i32 s30, 2
	s_cbranch_scc1 .LBB78_487
; %bb.484:
	s_cmp_lt_i32 s30, 3
	s_cbranch_scc1 .LBB78_488
; %bb.485:
	s_cmp_gt_i32 s30, 3
	s_cbranch_scc0 .LBB78_489
; %bb.486:
	global_load_dwordx2 v[2:3], v[0:1], off
	s_mov_b64 s[0:1], 0
	s_branch .LBB78_490
.LBB78_487:
	s_mov_b64 s[0:1], -1
                                        ; implicit-def: $vgpr2
	s_branch .LBB78_496
.LBB78_488:
	s_mov_b64 s[0:1], -1
                                        ; implicit-def: $vgpr2
	s_branch .LBB78_493
.LBB78_489:
	s_mov_b64 s[0:1], -1
                                        ; implicit-def: $vgpr2
.LBB78_490:
	s_andn2_b64 vcc, exec, s[0:1]
	s_cbranch_vccnz .LBB78_492
; %bb.491:
	global_load_dword v2, v[0:1], off
.LBB78_492:
	s_mov_b64 s[0:1], 0
.LBB78_493:
	s_andn2_b64 vcc, exec, s[0:1]
	s_cbranch_vccnz .LBB78_495
; %bb.494:
	global_load_ushort v2, v[0:1], off
.LBB78_495:
	s_mov_b64 s[0:1], 0
.LBB78_496:
	s_andn2_b64 vcc, exec, s[0:1]
	s_cbranch_vccnz .LBB78_502
; %bb.497:
	s_cmp_gt_i32 s30, 0
	s_cbranch_scc0 .LBB78_499
; %bb.498:
	global_load_sbyte v2, v[0:1], off
	s_mov_b64 s[0:1], 0
	s_branch .LBB78_500
.LBB78_499:
	s_mov_b64 s[0:1], -1
                                        ; implicit-def: $vgpr2
.LBB78_500:
	s_andn2_b64 vcc, exec, s[0:1]
	s_cbranch_vccnz .LBB78_502
; %bb.501:
	global_load_ubyte v2, v[0:1], off
.LBB78_502:
	s_branch .LBB78_262
.LBB78_503:
	s_mov_b64 s[30:31], 0
                                        ; implicit-def: $vgpr9
	s_mov_b64 s[0:1], s[18:19]
.LBB78_504:
	s_andn2_b64 s[26:27], s[18:19], exec
	s_and_b64 s[0:1], s[0:1], exec
	s_or_b64 s[26:27], s[26:27], s[0:1]
	s_andn2_b64 s[0:1], s[20:21], exec
	s_and_b64 s[24:25], s[24:25], exec
	s_or_b64 s[24:25], s[0:1], s[24:25]
	s_orn2_b64 s[0:1], s[30:31], exec
.LBB78_505:
	s_or_b64 exec, exec, s[28:29]
	s_mov_b64 s[30:31], 0
	s_mov_b64 s[34:35], 0
	;; [unrolled: 1-line block ×3, first 2 shown]
                                        ; implicit-def: $vgpr0_vgpr1
                                        ; implicit-def: $vgpr2
	s_and_saveexec_b64 s[28:29], s[0:1]
	s_cbranch_execz .LBB78_842
; %bb.506:
	v_cmp_gt_i32_e32 vcc, s33, v9
	s_mov_b64 s[40:41], -1
	s_mov_b64 s[0:1], s[24:25]
	s_mov_b64 s[36:37], s[26:27]
	s_and_saveexec_b64 s[30:31], vcc
	s_cbranch_execz .LBB78_760
; %bb.507:
	v_mul_lo_u32 v0, v9, s13
	v_mov_b32_e32 v1, s11
	s_and_b32 s38, 0xffff, s15
	s_cmp_lt_i32 s38, 11
	s_waitcnt vmcnt(0)
	v_ashrrev_i32_e32 v2, 31, v0
	v_add_co_u32_e32 v0, vcc, s10, v0
	v_addc_co_u32_e32 v1, vcc, v1, v2, vcc
	s_cbranch_scc1 .LBB78_514
; %bb.508:
	s_cmp_gt_i32 s38, 25
	s_cbranch_scc0 .LBB78_515
; %bb.509:
	s_cmp_gt_i32 s38, 28
	s_cbranch_scc0 .LBB78_516
	;; [unrolled: 3-line block ×4, first 2 shown]
; %bb.512:
	s_cmp_eq_u32 s38, 46
	s_mov_b64 s[36:37], 0
	s_cbranch_scc0 .LBB78_523
; %bb.513:
	global_load_dword v2, v[0:1], off
	s_mov_b64 s[0:1], -1
	s_waitcnt vmcnt(0)
	v_lshlrev_b32_e32 v2, 16, v2
	v_cvt_i32_f32_e32 v2, v2
	s_branch .LBB78_524
.LBB78_514:
	s_mov_b64 s[36:37], -1
	s_mov_b64 s[0:1], 0
                                        ; implicit-def: $vgpr2
	s_mov_b64 s[34:35], s[24:25]
	s_branch .LBB78_585
.LBB78_515:
	s_mov_b64 s[36:37], -1
	s_mov_b64 s[0:1], 0
	s_mov_b64 s[34:35], s[24:25]
                                        ; implicit-def: $vgpr2
	s_branch .LBB78_551
.LBB78_516:
	s_mov_b64 s[36:37], -1
	s_mov_b64 s[0:1], 0
	s_mov_b64 s[34:35], s[24:25]
                                        ; implicit-def: $vgpr2
	s_branch .LBB78_534
.LBB78_517:
	s_mov_b64 s[36:37], -1
	s_mov_b64 s[0:1], 0
	s_mov_b64 s[34:35], s[24:25]
                                        ; implicit-def: $vgpr2
	s_branch .LBB78_529
.LBB78_518:
	s_andn2_saveexec_b64 s[36:37], s[36:37]
	s_cbranch_execz .LBB78_307
.LBB78_519:
	v_add_f32_e32 v2, 0x46000000, v3
	v_and_b32_e32 v2, 0xff, v2
	v_cmp_ne_u32_e32 vcc, 0, v2
	s_andn2_b64 s[34:35], s[34:35], exec
	s_and_b64 s[40:41], vcc, exec
	s_or_b64 s[34:35], s[34:35], s[40:41]
	s_or_b64 exec, exec, s[36:37]
	v_mov_b32_e32 v4, 0
	s_and_saveexec_b64 s[36:37], s[34:35]
	s_cbranch_execnz .LBB78_308
	s_branch .LBB78_309
.LBB78_520:
	s_mov_b64 s[36:37], -1
	s_mov_b64 s[0:1], 0
	s_mov_b64 s[34:35], s[24:25]
                                        ; implicit-def: $vgpr2
	s_branch .LBB78_524
.LBB78_521:
	s_andn2_saveexec_b64 s[36:37], s[36:37]
	s_cbranch_execz .LBB78_320
.LBB78_522:
	v_add_f32_e32 v2, 0x42800000, v3
	v_and_b32_e32 v2, 0xff, v2
	v_cmp_ne_u32_e32 vcc, 0, v2
	s_andn2_b64 s[34:35], s[34:35], exec
	s_and_b64 s[40:41], vcc, exec
	s_or_b64 s[34:35], s[34:35], s[40:41]
	s_or_b64 exec, exec, s[36:37]
	v_mov_b32_e32 v4, 0
	s_and_saveexec_b64 s[36:37], s[34:35]
	s_cbranch_execnz .LBB78_321
	s_branch .LBB78_322
.LBB78_523:
	s_mov_b64 s[34:35], -1
                                        ; implicit-def: $vgpr2
	s_mov_b64 s[0:1], 0
.LBB78_524:
	s_and_b64 vcc, exec, s[36:37]
	s_cbranch_vccz .LBB78_528
; %bb.525:
	s_cmp_eq_u32 s38, 44
	s_cbranch_scc0 .LBB78_527
; %bb.526:
	global_load_ubyte v2, v[0:1], off
	s_mov_b64 s[0:1], -1
	s_mov_b64 s[34:35], 0
	s_waitcnt vmcnt(0)
	v_lshlrev_b32_e32 v3, 23, v2
	v_cvt_i32_f32_e32 v3, v3
	v_cmp_ne_u32_e32 vcc, 0, v2
	v_cndmask_b32_e32 v2, 0, v3, vcc
	s_branch .LBB78_528
.LBB78_527:
	s_mov_b64 s[34:35], -1
                                        ; implicit-def: $vgpr2
.LBB78_528:
	s_mov_b64 s[36:37], 0
.LBB78_529:
	s_and_b64 vcc, exec, s[36:37]
	s_cbranch_vccz .LBB78_533
; %bb.530:
	s_cmp_eq_u32 s38, 29
	s_cbranch_scc0 .LBB78_532
; %bb.531:
	global_load_dwordx2 v[2:3], v[0:1], off
	s_mov_b64 s[0:1], -1
	s_mov_b64 s[34:35], 0
	s_branch .LBB78_533
.LBB78_532:
	s_mov_b64 s[34:35], -1
                                        ; implicit-def: $vgpr2
.LBB78_533:
	s_mov_b64 s[36:37], 0
.LBB78_534:
	s_and_b64 vcc, exec, s[36:37]
	s_cbranch_vccz .LBB78_550
; %bb.535:
	s_cmp_lt_i32 s38, 27
	s_cbranch_scc1 .LBB78_538
; %bb.536:
	s_cmp_gt_i32 s38, 27
	s_cbranch_scc0 .LBB78_539
; %bb.537:
	global_load_dword v2, v[0:1], off
	s_mov_b64 s[0:1], 0
	s_branch .LBB78_540
.LBB78_538:
	s_mov_b64 s[0:1], -1
                                        ; implicit-def: $vgpr2
	s_branch .LBB78_543
.LBB78_539:
	s_mov_b64 s[0:1], -1
                                        ; implicit-def: $vgpr2
.LBB78_540:
	s_andn2_b64 vcc, exec, s[0:1]
	s_cbranch_vccnz .LBB78_542
; %bb.541:
	global_load_ushort v2, v[0:1], off
.LBB78_542:
	s_mov_b64 s[0:1], 0
.LBB78_543:
	s_andn2_b64 vcc, exec, s[0:1]
	s_cbranch_vccnz .LBB78_549
; %bb.544:
	global_load_ubyte v3, v[0:1], off
	s_movk_i32 s0, 0x7f
	s_mov_b64 s[36:37], 0
	s_waitcnt vmcnt(0)
	v_cmp_lt_i16_e32 vcc, s0, v3
	s_and_saveexec_b64 s[0:1], vcc
	s_xor_b64 s[0:1], exec, s[0:1]
	s_cbranch_execz .LBB78_561
; %bb.545:
	s_movk_i32 s36, 0x80
	v_cmp_ne_u16_e32 vcc, s36, v3
	s_and_b64 s[36:37], vcc, exec
	s_andn2_saveexec_b64 s[0:1], s[0:1]
	s_cbranch_execnz .LBB78_562
.LBB78_546:
	s_or_b64 exec, exec, s[0:1]
	v_mov_b32_e32 v2, 0
	s_and_saveexec_b64 s[0:1], s[36:37]
	s_cbranch_execz .LBB78_548
.LBB78_547:
	v_lshlrev_b32_e32 v2, 24, v3
	v_and_b32_e32 v3, 0xffff, v3
	v_and_b32_e32 v4, 7, v3
	v_ffbh_u32_e32 v6, v4
	v_min_u32_e32 v6, 32, v6
	v_subrev_u32_e32 v7, 28, v6
	v_bfe_u32 v5, v3, 3, 4
	v_lshlrev_b32_e32 v3, v7, v3
	v_sub_u32_e32 v6, 29, v6
	v_and_b32_e32 v3, 7, v3
	v_cmp_eq_u32_e32 vcc, 0, v5
	v_cndmask_b32_e32 v5, v5, v6, vcc
	v_cndmask_b32_e32 v3, v4, v3, vcc
	v_mov_b32_e32 v4, 0x3b800000
	v_lshlrev_b32_e32 v3, 20, v3
	v_and_b32_e32 v2, 0x80000000, v2
	v_lshl_add_u32 v4, v5, 23, v4
	v_or3_b32 v2, v2, v4, v3
	v_cvt_i32_f32_e32 v2, v2
.LBB78_548:
	s_or_b64 exec, exec, s[0:1]
.LBB78_549:
	s_mov_b64 s[0:1], -1
.LBB78_550:
	s_mov_b64 s[36:37], 0
.LBB78_551:
	s_and_b64 vcc, exec, s[36:37]
	s_cbranch_vccz .LBB78_584
; %bb.552:
	s_cmp_gt_i32 s38, 22
	s_cbranch_scc0 .LBB78_560
; %bb.553:
	s_cmp_lt_i32 s38, 24
	s_cbranch_scc1 .LBB78_563
; %bb.554:
	s_cmp_gt_i32 s38, 24
	s_cbranch_scc0 .LBB78_564
; %bb.555:
	global_load_ubyte v3, v[0:1], off
	s_movk_i32 s0, 0x7f
	s_mov_b64 s[36:37], 0
	s_waitcnt vmcnt(0)
	v_cmp_lt_i16_e32 vcc, s0, v3
	s_and_saveexec_b64 s[0:1], vcc
	s_xor_b64 s[0:1], exec, s[0:1]
	s_cbranch_execz .LBB78_576
; %bb.556:
	s_movk_i32 s36, 0x80
	v_cmp_ne_u16_e32 vcc, s36, v3
	s_and_b64 s[36:37], vcc, exec
	s_andn2_saveexec_b64 s[0:1], s[0:1]
	s_cbranch_execnz .LBB78_577
.LBB78_557:
	s_or_b64 exec, exec, s[0:1]
	v_mov_b32_e32 v2, 0
	s_and_saveexec_b64 s[0:1], s[36:37]
	s_cbranch_execz .LBB78_559
.LBB78_558:
	v_lshlrev_b32_e32 v2, 24, v3
	v_and_b32_e32 v3, 0xffff, v3
	v_and_b32_e32 v4, 3, v3
	v_ffbh_u32_e32 v6, v4
	v_min_u32_e32 v6, 32, v6
	v_subrev_u32_e32 v7, 29, v6
	v_bfe_u32 v5, v3, 2, 5
	v_lshlrev_b32_e32 v3, v7, v3
	v_sub_u32_e32 v6, 30, v6
	v_and_b32_e32 v3, 3, v3
	v_cmp_eq_u32_e32 vcc, 0, v5
	v_cndmask_b32_e32 v5, v5, v6, vcc
	v_cndmask_b32_e32 v3, v4, v3, vcc
	v_mov_b32_e32 v4, 0x37800000
	v_lshlrev_b32_e32 v3, 21, v3
	v_and_b32_e32 v2, 0x80000000, v2
	v_lshl_add_u32 v4, v5, 23, v4
	v_or3_b32 v2, v2, v4, v3
	v_cvt_i32_f32_e32 v2, v2
.LBB78_559:
	s_or_b64 exec, exec, s[0:1]
	s_mov_b64 s[0:1], 0
	s_branch .LBB78_565
.LBB78_560:
	s_mov_b64 s[36:37], -1
                                        ; implicit-def: $vgpr2
	s_branch .LBB78_571
.LBB78_561:
	s_andn2_saveexec_b64 s[0:1], s[0:1]
	s_cbranch_execz .LBB78_546
.LBB78_562:
	v_cmp_ne_u16_e32 vcc, 0, v3
	s_andn2_b64 s[36:37], s[36:37], exec
	s_and_b64 s[40:41], vcc, exec
	s_or_b64 s[36:37], s[36:37], s[40:41]
	s_or_b64 exec, exec, s[0:1]
	v_mov_b32_e32 v2, 0
	s_and_saveexec_b64 s[0:1], s[36:37]
	s_cbranch_execnz .LBB78_547
	s_branch .LBB78_548
.LBB78_563:
	s_mov_b64 s[0:1], -1
                                        ; implicit-def: $vgpr2
	s_branch .LBB78_568
.LBB78_564:
	s_mov_b64 s[0:1], -1
                                        ; implicit-def: $vgpr2
.LBB78_565:
	s_and_b64 vcc, exec, s[0:1]
	s_cbranch_vccz .LBB78_567
; %bb.566:
	global_load_ubyte v2, v[0:1], off
	s_mov_b32 s0, 0x7f800000
	s_waitcnt vmcnt(0)
	v_lshlrev_b32_e32 v2, 24, v2
	v_and_b32_e32 v3, 0x7f000000, v2
	v_ffbh_u32_e32 v4, v3
	v_min_u32_e32 v4, 32, v4
	v_sub_u32_e64 v4, v4, 4 clamp
	v_lshlrev_b32_e32 v6, v4, v3
	v_lshlrev_b32_e32 v4, 23, v4
	v_lshrrev_b32_e32 v6, 4, v6
	v_add_u32_e32 v5, 0x1000000, v3
	v_sub_u32_e32 v4, v6, v4
	v_ashrrev_i32_e32 v5, 8, v5
	v_add_u32_e32 v4, 0x3c000000, v4
	v_and_or_b32 v4, v5, s0, v4
	v_cmp_ne_u32_e32 vcc, 0, v3
	v_cndmask_b32_e32 v3, 0, v4, vcc
	s_brev_b32 s0, 1
	v_and_or_b32 v2, v2, s0, v3
	v_cvt_i32_f32_e32 v2, v2
.LBB78_567:
	s_mov_b64 s[0:1], 0
.LBB78_568:
	s_andn2_b64 vcc, exec, s[0:1]
	s_cbranch_vccnz .LBB78_570
; %bb.569:
	global_load_ubyte v2, v[0:1], off
	s_movk_i32 s0, 0x7f00
	s_brev_b32 s1, 16
	s_waitcnt vmcnt(0)
	v_lshlrev_b16_e32 v3, 8, v2
	v_lshlrev_b32_e32 v2, 25, v2
	v_lshrrev_b32_e32 v4, 4, v2
	v_and_or_b32 v5, v3, s0, 0.5
	v_or_b32_e32 v4, 0x70000000, v4
	v_add_f32_e32 v5, -0.5, v5
	v_mul_f32_e32 v4, 0x7800000, v4
	v_cmp_gt_u32_e32 vcc, s1, v2
	v_bfe_i32 v3, v3, 0, 16
	v_cndmask_b32_e32 v2, v4, v5, vcc
	s_brev_b32 s0, 1
	v_and_or_b32 v2, v3, s0, v2
	v_cvt_i32_f32_e32 v2, v2
.LBB78_570:
	s_mov_b64 s[36:37], 0
	s_mov_b64 s[0:1], -1
.LBB78_571:
	s_andn2_b64 vcc, exec, s[36:37]
	s_cbranch_vccnz .LBB78_584
; %bb.572:
	s_cmp_gt_i32 s38, 14
	s_cbranch_scc0 .LBB78_575
; %bb.573:
	s_cmp_eq_u32 s38, 15
	s_cbranch_scc0 .LBB78_578
; %bb.574:
	global_load_ushort v2, v[0:1], off
	s_mov_b64 s[0:1], -1
	s_mov_b64 s[34:35], 0
	s_waitcnt vmcnt(0)
	v_lshlrev_b32_e32 v2, 16, v2
	v_cvt_i32_f32_e32 v2, v2
	s_branch .LBB78_579
.LBB78_575:
	s_mov_b64 s[36:37], -1
                                        ; implicit-def: $vgpr2
	s_branch .LBB78_580
.LBB78_576:
	s_andn2_saveexec_b64 s[0:1], s[0:1]
	s_cbranch_execz .LBB78_557
.LBB78_577:
	v_cmp_ne_u16_e32 vcc, 0, v3
	s_andn2_b64 s[36:37], s[36:37], exec
	s_and_b64 s[40:41], vcc, exec
	s_or_b64 s[36:37], s[36:37], s[40:41]
	s_or_b64 exec, exec, s[0:1]
	v_mov_b32_e32 v2, 0
	s_and_saveexec_b64 s[0:1], s[36:37]
	s_cbranch_execnz .LBB78_558
	s_branch .LBB78_559
.LBB78_578:
	s_mov_b64 s[34:35], -1
                                        ; implicit-def: $vgpr2
.LBB78_579:
	s_mov_b64 s[36:37], 0
.LBB78_580:
	s_and_b64 vcc, exec, s[36:37]
	s_cbranch_vccz .LBB78_584
; %bb.581:
	s_cmp_eq_u32 s38, 11
	s_cbranch_scc0 .LBB78_583
; %bb.582:
	global_load_ubyte v2, v[0:1], off
	s_mov_b64 s[0:1], -1
	s_mov_b64 s[34:35], 0
	s_waitcnt vmcnt(0)
	v_cmp_ne_u16_e32 vcc, 0, v2
	v_cndmask_b32_e64 v2, 0, 1, vcc
	s_branch .LBB78_584
.LBB78_583:
	s_mov_b64 s[34:35], -1
                                        ; implicit-def: $vgpr2
.LBB78_584:
	s_mov_b64 s[36:37], 0
.LBB78_585:
	s_and_b64 vcc, exec, s[36:37]
	s_cbranch_vccz .LBB78_634
; %bb.586:
	s_cmp_lt_i32 s38, 5
	s_cbranch_scc1 .LBB78_591
; %bb.587:
	s_cmp_lt_i32 s38, 8
	s_cbranch_scc1 .LBB78_592
	;; [unrolled: 3-line block ×3, first 2 shown]
; %bb.589:
	s_cmp_gt_i32 s38, 9
	s_cbranch_scc0 .LBB78_594
; %bb.590:
	global_load_dwordx2 v[2:3], v[0:1], off
	s_mov_b64 s[0:1], 0
	s_waitcnt vmcnt(0)
	v_cvt_i32_f64_e32 v2, v[2:3]
	s_branch .LBB78_595
.LBB78_591:
	s_mov_b64 s[0:1], -1
                                        ; implicit-def: $vgpr2
	s_branch .LBB78_613
.LBB78_592:
	s_mov_b64 s[0:1], -1
                                        ; implicit-def: $vgpr2
	s_branch .LBB78_601
.LBB78_593:
	s_mov_b64 s[0:1], -1
                                        ; implicit-def: $vgpr2
	s_branch .LBB78_598
.LBB78_594:
	s_mov_b64 s[0:1], -1
                                        ; implicit-def: $vgpr2
.LBB78_595:
	s_andn2_b64 vcc, exec, s[0:1]
	s_cbranch_vccnz .LBB78_597
; %bb.596:
	global_load_dword v2, v[0:1], off
	s_waitcnt vmcnt(0)
	v_cvt_i32_f32_e32 v2, v2
.LBB78_597:
	s_mov_b64 s[0:1], 0
.LBB78_598:
	s_andn2_b64 vcc, exec, s[0:1]
	s_cbranch_vccnz .LBB78_600
; %bb.599:
	global_load_dword v2, v[0:1], off
	s_waitcnt vmcnt(0)
	v_cvt_i16_f16_e32 v2, v2
.LBB78_600:
	s_mov_b64 s[0:1], 0
.LBB78_601:
	s_andn2_b64 vcc, exec, s[0:1]
	s_cbranch_vccnz .LBB78_612
; %bb.602:
	s_cmp_lt_i32 s38, 6
	s_cbranch_scc1 .LBB78_605
; %bb.603:
	s_cmp_gt_i32 s38, 6
	s_cbranch_scc0 .LBB78_606
; %bb.604:
	global_load_dwordx2 v[2:3], v[0:1], off
	s_mov_b64 s[0:1], 0
	s_waitcnt vmcnt(0)
	v_cvt_i32_f64_e32 v2, v[2:3]
	s_branch .LBB78_607
.LBB78_605:
	s_mov_b64 s[0:1], -1
                                        ; implicit-def: $vgpr2
	s_branch .LBB78_610
.LBB78_606:
	s_mov_b64 s[0:1], -1
                                        ; implicit-def: $vgpr2
.LBB78_607:
	s_andn2_b64 vcc, exec, s[0:1]
	s_cbranch_vccnz .LBB78_609
; %bb.608:
	global_load_dword v2, v[0:1], off
	s_waitcnt vmcnt(0)
	v_cvt_i32_f32_e32 v2, v2
.LBB78_609:
	s_mov_b64 s[0:1], 0
.LBB78_610:
	s_andn2_b64 vcc, exec, s[0:1]
	s_cbranch_vccnz .LBB78_612
; %bb.611:
	global_load_ushort v2, v[0:1], off
	s_waitcnt vmcnt(0)
	v_cvt_i16_f16_e32 v2, v2
.LBB78_612:
	s_mov_b64 s[0:1], 0
.LBB78_613:
	s_andn2_b64 vcc, exec, s[0:1]
	s_cbranch_vccnz .LBB78_633
; %bb.614:
	s_cmp_lt_i32 s38, 2
	s_cbranch_scc1 .LBB78_618
; %bb.615:
	s_cmp_lt_i32 s38, 3
	s_cbranch_scc1 .LBB78_619
; %bb.616:
	s_cmp_gt_i32 s38, 3
	s_cbranch_scc0 .LBB78_620
; %bb.617:
	global_load_dwordx2 v[2:3], v[0:1], off
	s_mov_b64 s[0:1], 0
	s_branch .LBB78_621
.LBB78_618:
	s_mov_b64 s[0:1], -1
                                        ; implicit-def: $vgpr2
	s_branch .LBB78_627
.LBB78_619:
	s_mov_b64 s[0:1], -1
                                        ; implicit-def: $vgpr2
	s_branch .LBB78_624
.LBB78_620:
	s_mov_b64 s[0:1], -1
                                        ; implicit-def: $vgpr2
.LBB78_621:
	s_andn2_b64 vcc, exec, s[0:1]
	s_cbranch_vccnz .LBB78_623
; %bb.622:
	global_load_dword v2, v[0:1], off
.LBB78_623:
	s_mov_b64 s[0:1], 0
.LBB78_624:
	s_andn2_b64 vcc, exec, s[0:1]
	s_cbranch_vccnz .LBB78_626
; %bb.625:
	global_load_ushort v2, v[0:1], off
.LBB78_626:
	s_mov_b64 s[0:1], 0
.LBB78_627:
	s_andn2_b64 vcc, exec, s[0:1]
	s_cbranch_vccnz .LBB78_633
; %bb.628:
	s_cmp_gt_i32 s38, 0
	s_cbranch_scc0 .LBB78_630
; %bb.629:
	global_load_sbyte v2, v[0:1], off
	s_mov_b64 s[0:1], 0
	s_branch .LBB78_631
.LBB78_630:
	s_mov_b64 s[0:1], -1
                                        ; implicit-def: $vgpr2
.LBB78_631:
	s_andn2_b64 vcc, exec, s[0:1]
	s_cbranch_vccnz .LBB78_633
; %bb.632:
	global_load_ubyte v2, v[0:1], off
.LBB78_633:
	s_mov_b64 s[0:1], -1
.LBB78_634:
	s_andn2_b64 vcc, exec, s[0:1]
	s_cbranch_vccnz .LBB78_642
; %bb.635:
	v_mul_lo_u32 v0, v9, s12
	s_waitcnt vmcnt(0)
	v_cmp_ne_u16_e32 vcc, s2, v2
	v_mov_b32_e32 v1, s9
	s_xor_b64 s[36:37], s[16:17], vcc
	v_ashrrev_i32_e32 v2, 31, v0
	s_and_b32 s44, s3, 0xff
	v_add_co_u32_e32 v0, vcc, s8, v0
	s_cmp_lt_i32 s44, 11
	v_addc_co_u32_e32 v1, vcc, v1, v2, vcc
	s_cbranch_scc1 .LBB78_643
; %bb.636:
	s_and_b32 s45, 0xffff, s44
	s_cmp_gt_i32 s45, 25
	s_cbranch_scc0 .LBB78_644
; %bb.637:
	s_cmp_gt_i32 s45, 28
	s_cbranch_scc0 .LBB78_645
; %bb.638:
	s_cmp_gt_i32 s45, 43
	s_cbranch_scc0 .LBB78_646
; %bb.639:
	s_cmp_gt_i32 s45, 45
	s_cbranch_scc0 .LBB78_647
; %bb.640:
	s_mov_b64 s[40:41], 0
	s_mov_b64 s[0:1], -1
	s_cmp_eq_u32 s45, 46
	s_mov_b64 s[38:39], 0
	s_cbranch_scc0 .LBB78_648
; %bb.641:
	v_cndmask_b32_e64 v2, 0, 1.0, s[36:37]
	v_bfe_u32 v3, v2, 16, 1
	s_movk_i32 s0, 0x7fff
	v_add3_u32 v2, v2, v3, s0
	v_lshrrev_b32_e32 v2, 16, v2
	global_store_dword v[0:1], v2, off
	s_mov_b64 s[38:39], -1
	s_mov_b64 s[0:1], 0
	s_branch .LBB78_648
.LBB78_642:
	s_mov_b64 s[38:39], 0
                                        ; implicit-def: $vgpr9
	s_mov_b64 s[0:1], s[26:27]
	s_branch .LBB78_759
.LBB78_643:
	s_mov_b64 s[40:41], -1
	s_mov_b64 s[38:39], 0
	s_mov_b64 s[0:1], s[26:27]
	s_branch .LBB78_717
.LBB78_644:
	s_mov_b64 s[40:41], -1
	s_mov_b64 s[38:39], 0
	s_mov_b64 s[0:1], s[26:27]
	s_branch .LBB78_675
.LBB78_645:
	s_mov_b64 s[40:41], -1
	s_mov_b64 s[38:39], 0
	s_mov_b64 s[0:1], s[26:27]
	s_branch .LBB78_658
.LBB78_646:
	s_mov_b64 s[40:41], -1
	s_mov_b64 s[38:39], 0
	s_mov_b64 s[0:1], s[26:27]
	s_branch .LBB78_654
.LBB78_647:
	s_mov_b64 s[40:41], -1
	s_mov_b64 s[38:39], 0
	s_mov_b64 s[0:1], s[26:27]
.LBB78_648:
	s_and_b64 vcc, exec, s[40:41]
	s_cbranch_vccz .LBB78_653
; %bb.649:
	s_cmp_eq_u32 s45, 44
	s_mov_b64 s[0:1], -1
	s_cbranch_scc0 .LBB78_653
; %bb.650:
	v_cndmask_b32_e64 v3, 0, 1.0, s[36:37]
	v_lshrrev_b32_e32 v2, 23, v3
	s_movk_i32 s0, 0xff
	v_cmp_ne_u32_e32 vcc, s0, v2
	v_mov_b32_e32 v4, 0xff
	s_and_saveexec_b64 s[38:39], vcc
; %bb.651:
	s_mov_b32 s0, 0x3fffff
	v_and_b32_e32 v4, 0x400000, v3
	v_and_or_b32 v3, v3, s0, v2
	v_cmp_ne_u32_e32 vcc, 0, v4
	v_cmp_ne_u32_e64 s[0:1], 0, v3
	s_and_b64 s[0:1], vcc, s[0:1]
	v_cndmask_b32_e64 v3, 0, 1, s[0:1]
	v_add_u32_e32 v4, v2, v3
; %bb.652:
	s_or_b64 exec, exec, s[38:39]
	s_mov_b64 s[38:39], -1
	s_mov_b64 s[0:1], 0
	global_store_byte v[0:1], v4, off
.LBB78_653:
	s_mov_b64 s[40:41], 0
.LBB78_654:
	s_and_b64 vcc, exec, s[40:41]
	s_cbranch_vccz .LBB78_657
; %bb.655:
	s_cmp_eq_u32 s45, 29
	s_mov_b64 s[0:1], -1
	s_cbranch_scc0 .LBB78_657
; %bb.656:
	s_mov_b32 s0, 0
	v_cndmask_b32_e64 v2, 0, 1, s[36:37]
	v_mov_b32_e32 v3, s0
	global_store_dwordx2 v[0:1], v[2:3], off
	s_mov_b64 s[38:39], -1
	s_mov_b64 s[0:1], 0
.LBB78_657:
	s_mov_b64 s[40:41], 0
.LBB78_658:
	s_and_b64 vcc, exec, s[40:41]
	s_cbranch_vccz .LBB78_674
; %bb.659:
	s_cmp_lt_i32 s45, 27
	s_mov_b64 s[38:39], -1
	s_cbranch_scc1 .LBB78_665
; %bb.660:
	s_cmp_gt_i32 s45, 27
	s_cbranch_scc0 .LBB78_662
; %bb.661:
	v_cndmask_b32_e64 v2, 0, 1, s[36:37]
	s_mov_b64 s[38:39], 0
	global_store_dword v[0:1], v2, off
.LBB78_662:
	s_andn2_b64 vcc, exec, s[38:39]
	s_cbranch_vccnz .LBB78_664
; %bb.663:
	v_cndmask_b32_e64 v2, 0, 1, s[36:37]
	global_store_short v[0:1], v2, off
.LBB78_664:
	s_mov_b64 s[38:39], 0
.LBB78_665:
	s_andn2_b64 vcc, exec, s[38:39]
	s_cbranch_vccnz .LBB78_673
; %bb.666:
	v_cndmask_b32_e64 v3, 0, 1.0, s[36:37]
	s_mov_b32 s38, 0x43800000
	v_cmp_gt_u32_e32 vcc, s38, v3
	v_mov_b32_e32 v4, 0x80
	s_and_saveexec_b64 s[38:39], vcc
	s_cbranch_execz .LBB78_672
; %bb.667:
	s_mov_b32 s40, 0x3bffffff
	v_cmp_lt_u32_e32 vcc, s40, v3
	s_mov_b64 s[40:41], 0
                                        ; implicit-def: $vgpr2
	s_and_saveexec_b64 s[42:43], vcc
	s_xor_b64 s[42:43], exec, s[42:43]
	s_cbranch_execz .LBB78_773
; %bb.668:
	v_bfe_u32 v2, v3, 20, 1
	s_mov_b32 s46, 0x487ffff
	v_add3_u32 v2, v3, v2, s46
	s_mov_b64 s[40:41], exec
	v_lshrrev_b32_e32 v2, 20, v2
                                        ; implicit-def: $vgpr3
	s_andn2_saveexec_b64 s[42:43], s[42:43]
	s_cbranch_execnz .LBB78_774
.LBB78_669:
	s_or_b64 exec, exec, s[42:43]
	v_mov_b32_e32 v4, 0
	s_and_saveexec_b64 s[42:43], s[40:41]
.LBB78_670:
	v_mov_b32_e32 v4, v2
.LBB78_671:
	s_or_b64 exec, exec, s[42:43]
.LBB78_672:
	s_or_b64 exec, exec, s[38:39]
	global_store_byte v[0:1], v4, off
.LBB78_673:
	s_mov_b64 s[38:39], -1
.LBB78_674:
	s_mov_b64 s[40:41], 0
.LBB78_675:
	s_and_b64 vcc, exec, s[40:41]
	s_cbranch_vccz .LBB78_716
; %bb.676:
	s_cmp_gt_i32 s45, 22
	s_mov_b64 s[40:41], -1
	s_cbranch_scc0 .LBB78_708
; %bb.677:
	s_cmp_lt_i32 s45, 24
	s_mov_b64 s[38:39], -1
	s_cbranch_scc1 .LBB78_697
; %bb.678:
	s_cmp_gt_i32 s45, 24
	s_cbranch_scc0 .LBB78_686
; %bb.679:
	v_cndmask_b32_e64 v3, 0, 1.0, s[36:37]
	s_mov_b32 s38, 0x47800000
	v_cmp_gt_u32_e32 vcc, s38, v3
	v_mov_b32_e32 v4, 0x80
	s_and_saveexec_b64 s[38:39], vcc
	s_cbranch_execz .LBB78_685
; %bb.680:
	s_mov_b32 s40, 0x37ffffff
	v_cmp_lt_u32_e32 vcc, s40, v3
	s_mov_b64 s[40:41], 0
                                        ; implicit-def: $vgpr2
	s_and_saveexec_b64 s[42:43], vcc
	s_xor_b64 s[42:43], exec, s[42:43]
	s_cbranch_execz .LBB78_776
; %bb.681:
	v_bfe_u32 v2, v3, 21, 1
	s_mov_b32 s46, 0x88fffff
	v_add3_u32 v2, v3, v2, s46
	s_mov_b64 s[40:41], exec
	v_lshrrev_b32_e32 v2, 21, v2
                                        ; implicit-def: $vgpr3
	s_andn2_saveexec_b64 s[42:43], s[42:43]
	s_cbranch_execnz .LBB78_777
.LBB78_682:
	s_or_b64 exec, exec, s[42:43]
	v_mov_b32_e32 v4, 0
	s_and_saveexec_b64 s[42:43], s[40:41]
.LBB78_683:
	v_mov_b32_e32 v4, v2
.LBB78_684:
	s_or_b64 exec, exec, s[42:43]
.LBB78_685:
	s_or_b64 exec, exec, s[38:39]
	s_mov_b64 s[38:39], 0
	global_store_byte v[0:1], v4, off
.LBB78_686:
	s_and_b64 vcc, exec, s[38:39]
	s_cbranch_vccz .LBB78_696
; %bb.687:
	v_cndmask_b32_e64 v2, 0, 1.0, s[36:37]
	s_mov_b32 s38, 0x43f00000
	v_cmp_gt_u32_e32 vcc, s38, v2
                                        ; implicit-def: $vgpr3
	s_and_saveexec_b64 s[38:39], vcc
	s_xor_b64 s[38:39], exec, s[38:39]
	s_cbranch_execz .LBB78_693
; %bb.688:
	s_mov_b32 s40, 0x3c7fffff
	v_cmp_lt_u32_e32 vcc, s40, v2
                                        ; implicit-def: $vgpr3
	s_and_saveexec_b64 s[40:41], vcc
	s_xor_b64 s[40:41], exec, s[40:41]
; %bb.689:
	v_bfe_u32 v3, v2, 20, 1
	s_mov_b32 s42, 0x407ffff
	v_add3_u32 v2, v2, v3, s42
	v_lshrrev_b32_e32 v3, 20, v2
	v_and_b32_e32 v2, 0xff00000, v2
	s_mov_b32 s42, 0x7f00000
	v_mov_b32_e32 v4, 0x7e
	v_cmp_ne_u32_e32 vcc, s42, v2
	v_cndmask_b32_e32 v3, v4, v3, vcc
                                        ; implicit-def: $vgpr2
; %bb.690:
	s_andn2_saveexec_b64 s[40:41], s[40:41]
; %bb.691:
	v_add_f32_e32 v3, 0x46800000, v2
; %bb.692:
	s_or_b64 exec, exec, s[40:41]
                                        ; implicit-def: $vgpr2
.LBB78_693:
	s_andn2_saveexec_b64 s[38:39], s[38:39]
; %bb.694:
	s_mov_b32 s40, 0x7f800000
	v_mov_b32_e32 v3, 0x7e
	v_mov_b32_e32 v4, 0x7f
	v_cmp_lt_u32_e32 vcc, s40, v2
	v_cndmask_b32_e32 v3, v3, v4, vcc
; %bb.695:
	s_or_b64 exec, exec, s[38:39]
	global_store_byte v[0:1], v3, off
.LBB78_696:
	s_mov_b64 s[38:39], 0
.LBB78_697:
	s_andn2_b64 vcc, exec, s[38:39]
	s_cbranch_vccnz .LBB78_707
; %bb.698:
	v_cndmask_b32_e64 v2, 0, 1.0, s[36:37]
	s_mov_b32 s38, 0x47800000
	v_cmp_gt_u32_e32 vcc, s38, v2
                                        ; implicit-def: $vgpr3
	s_and_saveexec_b64 s[38:39], vcc
	s_xor_b64 s[38:39], exec, s[38:39]
	s_cbranch_execz .LBB78_704
; %bb.699:
	s_mov_b32 s40, 0x387fffff
	v_cmp_lt_u32_e32 vcc, s40, v2
                                        ; implicit-def: $vgpr3
	s_and_saveexec_b64 s[40:41], vcc
	s_xor_b64 s[40:41], exec, s[40:41]
; %bb.700:
	v_bfe_u32 v3, v2, 21, 1
	s_mov_b32 s42, 0x80fffff
	v_add3_u32 v2, v2, v3, s42
	v_lshrrev_b32_e32 v3, 21, v2
                                        ; implicit-def: $vgpr2
; %bb.701:
	s_andn2_saveexec_b64 s[40:41], s[40:41]
; %bb.702:
	v_add_f32_e32 v3, 0x43000000, v2
; %bb.703:
	s_or_b64 exec, exec, s[40:41]
                                        ; implicit-def: $vgpr2
.LBB78_704:
	s_andn2_saveexec_b64 s[38:39], s[38:39]
; %bb.705:
	s_mov_b32 s40, 0x7f800000
	v_mov_b32_e32 v3, 0x7c
	v_mov_b32_e32 v4, 0x7f
	v_cmp_lt_u32_e32 vcc, s40, v2
	v_cndmask_b32_e32 v3, v3, v4, vcc
; %bb.706:
	s_or_b64 exec, exec, s[38:39]
	global_store_byte v[0:1], v3, off
.LBB78_707:
	s_mov_b64 s[40:41], 0
	s_mov_b64 s[38:39], -1
.LBB78_708:
	s_andn2_b64 vcc, exec, s[40:41]
	s_cbranch_vccnz .LBB78_716
; %bb.709:
	s_cmp_gt_i32 s45, 14
	s_mov_b64 s[40:41], -1
	s_cbranch_scc0 .LBB78_713
; %bb.710:
	s_cmp_eq_u32 s45, 15
	s_mov_b64 s[0:1], -1
	s_cbranch_scc0 .LBB78_712
; %bb.711:
	v_cndmask_b32_e64 v2, 0, 1.0, s[36:37]
	v_bfe_u32 v3, v2, 16, 1
	s_movk_i32 s0, 0x7fff
	v_add3_u32 v2, v2, v3, s0
	global_store_short_d16_hi v[0:1], v2, off
	s_mov_b64 s[38:39], -1
	s_mov_b64 s[0:1], 0
.LBB78_712:
	s_mov_b64 s[40:41], 0
.LBB78_713:
	s_and_b64 vcc, exec, s[40:41]
	s_cbranch_vccz .LBB78_716
; %bb.714:
	s_cmp_eq_u32 s45, 11
	s_mov_b64 s[0:1], -1
	s_cbranch_scc0 .LBB78_716
; %bb.715:
	v_cndmask_b32_e64 v2, 0, 1, s[36:37]
	s_mov_b64 s[38:39], -1
	s_mov_b64 s[0:1], 0
	global_store_byte v[0:1], v2, off
.LBB78_716:
	s_mov_b64 s[40:41], 0
.LBB78_717:
	s_and_b64 vcc, exec, s[40:41]
	s_cbranch_vccz .LBB78_756
; %bb.718:
	s_and_b32 s40, 0xffff, s44
	s_cmp_lt_i32 s40, 5
	s_mov_b64 s[38:39], -1
	s_cbranch_scc1 .LBB78_739
; %bb.719:
	s_cmp_lt_i32 s40, 8
	s_cbranch_scc1 .LBB78_729
; %bb.720:
	s_cmp_lt_i32 s40, 9
	s_cbranch_scc1 .LBB78_726
; %bb.721:
	s_cmp_gt_i32 s40, 9
	s_cbranch_scc0 .LBB78_723
; %bb.722:
	v_cndmask_b32_e64 v2, 0, 1, s[36:37]
	v_cvt_f64_u32_e32 v[2:3], v2
	v_mov_b32_e32 v4, 0
	v_mov_b32_e32 v5, v4
	s_mov_b64 s[38:39], 0
	global_store_dwordx4 v[0:1], v[2:5], off
.LBB78_723:
	s_andn2_b64 vcc, exec, s[38:39]
	s_cbranch_vccnz .LBB78_725
; %bb.724:
	v_cndmask_b32_e64 v2, 0, 1.0, s[36:37]
	v_mov_b32_e32 v3, 0
	global_store_dwordx2 v[0:1], v[2:3], off
.LBB78_725:
	s_mov_b64 s[38:39], 0
.LBB78_726:
	s_andn2_b64 vcc, exec, s[38:39]
	s_cbranch_vccnz .LBB78_728
; %bb.727:
	v_cndmask_b32_e64 v2, 0, 1.0, s[36:37]
	v_cvt_f16_f32_e32 v2, v2
	global_store_dword v[0:1], v2, off
.LBB78_728:
	s_mov_b64 s[38:39], 0
.LBB78_729:
	s_andn2_b64 vcc, exec, s[38:39]
	s_cbranch_vccnz .LBB78_738
; %bb.730:
	s_cmp_lt_i32 s40, 6
	s_mov_b64 s[38:39], -1
	s_cbranch_scc1 .LBB78_736
; %bb.731:
	s_cmp_gt_i32 s40, 6
	s_cbranch_scc0 .LBB78_733
; %bb.732:
	v_cndmask_b32_e64 v2, 0, 1, s[36:37]
	v_cvt_f64_u32_e32 v[2:3], v2
	s_mov_b64 s[38:39], 0
	global_store_dwordx2 v[0:1], v[2:3], off
.LBB78_733:
	s_andn2_b64 vcc, exec, s[38:39]
	s_cbranch_vccnz .LBB78_735
; %bb.734:
	v_cndmask_b32_e64 v2, 0, 1.0, s[36:37]
	global_store_dword v[0:1], v2, off
.LBB78_735:
	s_mov_b64 s[38:39], 0
.LBB78_736:
	s_andn2_b64 vcc, exec, s[38:39]
	s_cbranch_vccnz .LBB78_738
; %bb.737:
	v_cndmask_b32_e64 v2, 0, 1.0, s[36:37]
	v_cvt_f16_f32_e32 v2, v2
	global_store_short v[0:1], v2, off
.LBB78_738:
	s_mov_b64 s[38:39], 0
.LBB78_739:
	s_andn2_b64 vcc, exec, s[38:39]
	s_cbranch_vccnz .LBB78_755
; %bb.740:
	s_cmp_lt_i32 s40, 2
	s_mov_b64 s[38:39], -1
	s_cbranch_scc1 .LBB78_750
; %bb.741:
	s_cmp_lt_i32 s40, 3
	s_cbranch_scc1 .LBB78_747
; %bb.742:
	s_cmp_gt_i32 s40, 3
	s_cbranch_scc0 .LBB78_744
; %bb.743:
	s_mov_b32 s38, 0
	v_cndmask_b32_e64 v2, 0, 1, s[36:37]
	v_mov_b32_e32 v3, s38
	s_mov_b64 s[38:39], 0
	global_store_dwordx2 v[0:1], v[2:3], off
.LBB78_744:
	s_andn2_b64 vcc, exec, s[38:39]
	s_cbranch_vccnz .LBB78_746
; %bb.745:
	v_cndmask_b32_e64 v2, 0, 1, s[36:37]
	global_store_dword v[0:1], v2, off
.LBB78_746:
	s_mov_b64 s[38:39], 0
.LBB78_747:
	s_andn2_b64 vcc, exec, s[38:39]
	s_cbranch_vccnz .LBB78_749
; %bb.748:
	v_cndmask_b32_e64 v2, 0, 1, s[36:37]
	global_store_short v[0:1], v2, off
.LBB78_749:
	s_mov_b64 s[38:39], 0
.LBB78_750:
	s_andn2_b64 vcc, exec, s[38:39]
	s_cbranch_vccnz .LBB78_755
; %bb.751:
	s_mov_b64 s[38:39], -1
	s_cmp_gt_i32 s40, 0
	v_cndmask_b32_e64 v2, 0, 1, s[36:37]
	s_cbranch_scc0 .LBB78_753
; %bb.752:
	s_mov_b64 s[38:39], 0
	global_store_byte v[0:1], v2, off
.LBB78_753:
	s_andn2_b64 vcc, exec, s[38:39]
	s_cbranch_vccnz .LBB78_755
; %bb.754:
	global_store_byte v[0:1], v2, off
.LBB78_755:
	s_mov_b64 s[38:39], -1
.LBB78_756:
	s_andn2_b64 vcc, exec, s[38:39]
	s_cbranch_vccnz .LBB78_758
; %bb.757:
	v_add_u32_e32 v9, 0x80, v9
	s_mov_b64 s[38:39], -1
	s_branch .LBB78_759
.LBB78_758:
	s_mov_b64 s[38:39], 0
                                        ; implicit-def: $vgpr9
.LBB78_759:
	s_andn2_b64 s[36:37], s[26:27], exec
	s_and_b64 s[0:1], s[0:1], exec
	s_or_b64 s[36:37], s[36:37], s[0:1]
	s_andn2_b64 s[0:1], s[24:25], exec
	s_and_b64 s[34:35], s[34:35], exec
	s_or_b64 s[0:1], s[0:1], s[34:35]
	s_orn2_b64 s[40:41], s[38:39], exec
.LBB78_760:
	s_or_b64 exec, exec, s[30:31]
	s_mov_b64 s[38:39], 0
	s_mov_b64 s[34:35], 0
	;; [unrolled: 1-line block ×3, first 2 shown]
                                        ; implicit-def: $vgpr0_vgpr1
                                        ; implicit-def: $vgpr2
	s_and_saveexec_b64 s[30:31], s[40:41]
	s_cbranch_execz .LBB78_841
; %bb.761:
	v_cmp_gt_i32_e32 vcc, s33, v9
	s_mov_b64 s[40:41], 0
	s_mov_b64 s[44:45], s[0:1]
	;; [unrolled: 1-line block ×3, first 2 shown]
                                        ; implicit-def: $vgpr0_vgpr1
                                        ; implicit-def: $vgpr2
	s_and_saveexec_b64 s[34:35], vcc
	s_cbranch_execz .LBB78_840
; %bb.762:
	v_mul_lo_u32 v0, v9, s13
	v_mov_b32_e32 v1, s11
	s_and_b32 s33, 0xffff, s15
	s_cmp_lt_i32 s33, 11
	s_waitcnt vmcnt(0)
	v_ashrrev_i32_e32 v2, 31, v0
	v_add_co_u32_e32 v0, vcc, s10, v0
	v_addc_co_u32_e32 v1, vcc, v1, v2, vcc
	s_cbranch_scc1 .LBB78_769
; %bb.763:
	s_cmp_gt_i32 s33, 25
	s_cbranch_scc0 .LBB78_770
; %bb.764:
	s_cmp_gt_i32 s33, 28
	s_cbranch_scc0 .LBB78_771
; %bb.765:
	s_cmp_gt_i32 s33, 43
	s_cbranch_scc0 .LBB78_772
; %bb.766:
	s_cmp_gt_i32 s33, 45
	s_cbranch_scc0 .LBB78_775
; %bb.767:
	s_cmp_eq_u32 s33, 46
	s_mov_b64 s[44:45], 0
	s_cbranch_scc0 .LBB78_778
; %bb.768:
	global_load_dword v2, v[0:1], off
	s_mov_b64 s[42:43], -1
	s_waitcnt vmcnt(0)
	v_lshlrev_b32_e32 v2, 16, v2
	v_cvt_i32_f32_e32 v2, v2
	s_branch .LBB78_780
.LBB78_769:
	s_mov_b64 s[44:45], -1
                                        ; implicit-def: $vgpr2
	s_mov_b64 s[38:39], s[0:1]
	s_branch .LBB78_839
.LBB78_770:
	s_mov_b64 s[44:45], -1
	s_mov_b64 s[38:39], s[0:1]
                                        ; implicit-def: $vgpr2
	s_branch .LBB78_807
.LBB78_771:
	s_mov_b64 s[44:45], -1
	s_mov_b64 s[38:39], s[0:1]
                                        ; implicit-def: $vgpr2
	s_branch .LBB78_790
.LBB78_772:
	s_mov_b64 s[44:45], -1
	s_mov_b64 s[38:39], s[0:1]
                                        ; implicit-def: $vgpr2
	s_branch .LBB78_785
.LBB78_773:
	s_andn2_saveexec_b64 s[42:43], s[42:43]
	s_cbranch_execz .LBB78_669
.LBB78_774:
	v_add_f32_e32 v2, 0x46000000, v3
	v_and_b32_e32 v2, 0xff, v2
	v_cmp_ne_u32_e32 vcc, 0, v2
	s_andn2_b64 s[40:41], s[40:41], exec
	s_and_b64 s[46:47], vcc, exec
	s_or_b64 s[40:41], s[40:41], s[46:47]
	s_or_b64 exec, exec, s[42:43]
	v_mov_b32_e32 v4, 0
	s_and_saveexec_b64 s[42:43], s[40:41]
	s_cbranch_execnz .LBB78_670
	s_branch .LBB78_671
.LBB78_775:
	s_mov_b64 s[44:45], -1
	s_mov_b64 s[38:39], s[0:1]
	s_branch .LBB78_779
.LBB78_776:
	s_andn2_saveexec_b64 s[42:43], s[42:43]
	s_cbranch_execz .LBB78_682
.LBB78_777:
	v_add_f32_e32 v2, 0x42800000, v3
	v_and_b32_e32 v2, 0xff, v2
	v_cmp_ne_u32_e32 vcc, 0, v2
	s_andn2_b64 s[40:41], s[40:41], exec
	s_and_b64 s[46:47], vcc, exec
	s_or_b64 s[40:41], s[40:41], s[46:47]
	s_or_b64 exec, exec, s[42:43]
	v_mov_b32_e32 v4, 0
	s_and_saveexec_b64 s[42:43], s[40:41]
	s_cbranch_execnz .LBB78_683
	s_branch .LBB78_684
.LBB78_778:
	s_mov_b64 s[38:39], -1
.LBB78_779:
                                        ; implicit-def: $vgpr2
.LBB78_780:
	s_and_b64 vcc, exec, s[44:45]
	s_cbranch_vccz .LBB78_784
; %bb.781:
	s_cmp_eq_u32 s33, 44
	s_cbranch_scc0 .LBB78_783
; %bb.782:
	global_load_ubyte v2, v[0:1], off
	s_mov_b64 s[38:39], 0
	s_mov_b64 s[42:43], -1
	s_waitcnt vmcnt(0)
	v_lshlrev_b32_e32 v3, 23, v2
	v_cvt_i32_f32_e32 v3, v3
	v_cmp_ne_u32_e32 vcc, 0, v2
	v_cndmask_b32_e32 v2, 0, v3, vcc
	s_branch .LBB78_784
.LBB78_783:
	s_mov_b64 s[38:39], -1
                                        ; implicit-def: $vgpr2
.LBB78_784:
	s_mov_b64 s[44:45], 0
.LBB78_785:
	s_and_b64 vcc, exec, s[44:45]
	s_cbranch_vccz .LBB78_789
; %bb.786:
	s_cmp_eq_u32 s33, 29
	s_cbranch_scc0 .LBB78_788
; %bb.787:
	global_load_dwordx2 v[2:3], v[0:1], off
	s_mov_b64 s[38:39], 0
	s_mov_b64 s[42:43], -1
	s_branch .LBB78_789
.LBB78_788:
	s_mov_b64 s[38:39], -1
                                        ; implicit-def: $vgpr2
.LBB78_789:
	s_mov_b64 s[44:45], 0
.LBB78_790:
	s_and_b64 vcc, exec, s[44:45]
	s_cbranch_vccz .LBB78_806
; %bb.791:
	s_cmp_lt_i32 s33, 27
	s_cbranch_scc1 .LBB78_794
; %bb.792:
	s_cmp_gt_i32 s33, 27
	s_cbranch_scc0 .LBB78_795
; %bb.793:
	global_load_dword v2, v[0:1], off
	s_mov_b64 s[42:43], 0
	s_branch .LBB78_796
.LBB78_794:
	s_mov_b64 s[42:43], -1
                                        ; implicit-def: $vgpr2
	s_branch .LBB78_799
.LBB78_795:
	s_mov_b64 s[42:43], -1
                                        ; implicit-def: $vgpr2
.LBB78_796:
	s_andn2_b64 vcc, exec, s[42:43]
	s_cbranch_vccnz .LBB78_798
; %bb.797:
	global_load_ushort v2, v[0:1], off
.LBB78_798:
	s_mov_b64 s[42:43], 0
.LBB78_799:
	s_andn2_b64 vcc, exec, s[42:43]
	s_cbranch_vccnz .LBB78_805
; %bb.800:
	global_load_ubyte v3, v[0:1], off
	s_movk_i32 s42, 0x7f
	s_mov_b64 s[44:45], 0
	s_waitcnt vmcnt(0)
	v_cmp_lt_i16_e32 vcc, s42, v3
	s_and_saveexec_b64 s[42:43], vcc
	s_xor_b64 s[42:43], exec, s[42:43]
	s_cbranch_execz .LBB78_817
; %bb.801:
	s_movk_i32 s44, 0x80
	v_cmp_ne_u16_e32 vcc, s44, v3
	s_and_b64 s[44:45], vcc, exec
	s_andn2_saveexec_b64 s[42:43], s[42:43]
	s_cbranch_execnz .LBB78_818
.LBB78_802:
	s_or_b64 exec, exec, s[42:43]
	v_mov_b32_e32 v2, 0
	s_and_saveexec_b64 s[42:43], s[44:45]
	s_cbranch_execz .LBB78_804
.LBB78_803:
	v_lshlrev_b32_e32 v2, 24, v3
	v_and_b32_e32 v3, 0xffff, v3
	v_and_b32_e32 v4, 7, v3
	v_ffbh_u32_e32 v6, v4
	v_min_u32_e32 v6, 32, v6
	v_subrev_u32_e32 v7, 28, v6
	v_bfe_u32 v5, v3, 3, 4
	v_lshlrev_b32_e32 v3, v7, v3
	v_sub_u32_e32 v6, 29, v6
	v_and_b32_e32 v3, 7, v3
	v_cmp_eq_u32_e32 vcc, 0, v5
	v_cndmask_b32_e32 v5, v5, v6, vcc
	v_cndmask_b32_e32 v3, v4, v3, vcc
	v_mov_b32_e32 v4, 0x3b800000
	v_lshlrev_b32_e32 v3, 20, v3
	v_and_b32_e32 v2, 0x80000000, v2
	v_lshl_add_u32 v4, v5, 23, v4
	v_or3_b32 v2, v2, v4, v3
	v_cvt_i32_f32_e32 v2, v2
.LBB78_804:
	s_or_b64 exec, exec, s[42:43]
.LBB78_805:
	s_mov_b64 s[42:43], -1
.LBB78_806:
	s_mov_b64 s[44:45], 0
.LBB78_807:
	s_and_b64 vcc, exec, s[44:45]
	s_cbranch_vccz .LBB78_838
; %bb.808:
	s_cmp_gt_i32 s33, 22
	s_cbranch_scc0 .LBB78_816
; %bb.809:
	s_cmp_lt_i32 s33, 24
	s_cbranch_scc1 .LBB78_819
; %bb.810:
	s_cmp_gt_i32 s33, 24
	s_cbranch_scc0 .LBB78_820
; %bb.811:
	global_load_ubyte v3, v[0:1], off
	s_movk_i32 s40, 0x7f
	s_mov_b64 s[42:43], 0
	s_waitcnt vmcnt(0)
	v_cmp_lt_i16_e32 vcc, s40, v3
	s_and_saveexec_b64 s[40:41], vcc
	s_xor_b64 s[40:41], exec, s[40:41]
	s_cbranch_execz .LBB78_832
; %bb.812:
	s_movk_i32 s42, 0x80
	v_cmp_ne_u16_e32 vcc, s42, v3
	s_and_b64 s[42:43], vcc, exec
	s_andn2_saveexec_b64 s[40:41], s[40:41]
	s_cbranch_execnz .LBB78_833
.LBB78_813:
	s_or_b64 exec, exec, s[40:41]
	v_mov_b32_e32 v2, 0
	s_and_saveexec_b64 s[40:41], s[42:43]
	s_cbranch_execz .LBB78_815
.LBB78_814:
	v_lshlrev_b32_e32 v2, 24, v3
	v_and_b32_e32 v3, 0xffff, v3
	v_and_b32_e32 v4, 3, v3
	v_ffbh_u32_e32 v6, v4
	v_min_u32_e32 v6, 32, v6
	v_subrev_u32_e32 v7, 29, v6
	v_bfe_u32 v5, v3, 2, 5
	v_lshlrev_b32_e32 v3, v7, v3
	v_sub_u32_e32 v6, 30, v6
	v_and_b32_e32 v3, 3, v3
	v_cmp_eq_u32_e32 vcc, 0, v5
	v_cndmask_b32_e32 v5, v5, v6, vcc
	v_cndmask_b32_e32 v3, v4, v3, vcc
	v_mov_b32_e32 v4, 0x37800000
	v_lshlrev_b32_e32 v3, 21, v3
	v_and_b32_e32 v2, 0x80000000, v2
	v_lshl_add_u32 v4, v5, 23, v4
	v_or3_b32 v2, v2, v4, v3
	v_cvt_i32_f32_e32 v2, v2
.LBB78_815:
	s_or_b64 exec, exec, s[40:41]
	s_mov_b64 s[40:41], 0
	s_branch .LBB78_821
.LBB78_816:
	s_mov_b64 s[40:41], -1
                                        ; implicit-def: $vgpr2
	s_branch .LBB78_827
.LBB78_817:
	s_andn2_saveexec_b64 s[42:43], s[42:43]
	s_cbranch_execz .LBB78_802
.LBB78_818:
	v_cmp_ne_u16_e32 vcc, 0, v3
	s_andn2_b64 s[44:45], s[44:45], exec
	s_and_b64 s[46:47], vcc, exec
	s_or_b64 s[44:45], s[44:45], s[46:47]
	s_or_b64 exec, exec, s[42:43]
	v_mov_b32_e32 v2, 0
	s_and_saveexec_b64 s[42:43], s[44:45]
	s_cbranch_execnz .LBB78_803
	s_branch .LBB78_804
.LBB78_819:
	s_mov_b64 s[40:41], -1
                                        ; implicit-def: $vgpr2
	s_branch .LBB78_824
.LBB78_820:
	s_mov_b64 s[40:41], -1
                                        ; implicit-def: $vgpr2
.LBB78_821:
	s_and_b64 vcc, exec, s[40:41]
	s_cbranch_vccz .LBB78_823
; %bb.822:
	global_load_ubyte v2, v[0:1], off
	s_mov_b32 s40, 0x7f800000
	s_waitcnt vmcnt(0)
	v_lshlrev_b32_e32 v2, 24, v2
	v_and_b32_e32 v3, 0x7f000000, v2
	v_ffbh_u32_e32 v4, v3
	v_min_u32_e32 v4, 32, v4
	v_sub_u32_e64 v4, v4, 4 clamp
	v_lshlrev_b32_e32 v6, v4, v3
	v_lshlrev_b32_e32 v4, 23, v4
	v_lshrrev_b32_e32 v6, 4, v6
	v_add_u32_e32 v5, 0x1000000, v3
	v_sub_u32_e32 v4, v6, v4
	v_ashrrev_i32_e32 v5, 8, v5
	v_add_u32_e32 v4, 0x3c000000, v4
	v_and_or_b32 v4, v5, s40, v4
	v_cmp_ne_u32_e32 vcc, 0, v3
	v_cndmask_b32_e32 v3, 0, v4, vcc
	s_brev_b32 s40, 1
	v_and_or_b32 v2, v2, s40, v3
	v_cvt_i32_f32_e32 v2, v2
.LBB78_823:
	s_mov_b64 s[40:41], 0
.LBB78_824:
	s_andn2_b64 vcc, exec, s[40:41]
	s_cbranch_vccnz .LBB78_826
; %bb.825:
	global_load_ubyte v2, v[0:1], off
	s_movk_i32 s40, 0x7f00
	s_brev_b32 s41, 16
	s_waitcnt vmcnt(0)
	v_lshlrev_b16_e32 v3, 8, v2
	v_lshlrev_b32_e32 v2, 25, v2
	v_lshrrev_b32_e32 v4, 4, v2
	v_and_or_b32 v5, v3, s40, 0.5
	v_or_b32_e32 v4, 0x70000000, v4
	v_add_f32_e32 v5, -0.5, v5
	v_mul_f32_e32 v4, 0x7800000, v4
	v_cmp_gt_u32_e32 vcc, s41, v2
	v_bfe_i32 v3, v3, 0, 16
	v_cndmask_b32_e32 v2, v4, v5, vcc
	s_brev_b32 s40, 1
	v_and_or_b32 v2, v3, s40, v2
	v_cvt_i32_f32_e32 v2, v2
.LBB78_826:
	s_mov_b64 s[40:41], 0
	s_mov_b64 s[42:43], -1
.LBB78_827:
	s_andn2_b64 vcc, exec, s[40:41]
	s_mov_b64 s[40:41], 0
	s_cbranch_vccnz .LBB78_838
; %bb.828:
	s_cmp_gt_i32 s33, 14
	s_cbranch_scc0 .LBB78_831
; %bb.829:
	s_cmp_eq_u32 s33, 15
	s_cbranch_scc0 .LBB78_834
; %bb.830:
	global_load_ushort v2, v[0:1], off
	s_mov_b64 s[38:39], 0
	s_mov_b64 s[42:43], -1
	s_waitcnt vmcnt(0)
	v_lshlrev_b32_e32 v2, 16, v2
	v_cvt_i32_f32_e32 v2, v2
	s_branch .LBB78_835
.LBB78_831:
	s_mov_b64 s[44:45], -1
                                        ; implicit-def: $vgpr2
	s_branch .LBB78_836
.LBB78_832:
	s_andn2_saveexec_b64 s[40:41], s[40:41]
	s_cbranch_execz .LBB78_813
.LBB78_833:
	v_cmp_ne_u16_e32 vcc, 0, v3
	s_andn2_b64 s[42:43], s[42:43], exec
	s_and_b64 s[44:45], vcc, exec
	s_or_b64 s[42:43], s[42:43], s[44:45]
	s_or_b64 exec, exec, s[40:41]
	v_mov_b32_e32 v2, 0
	s_and_saveexec_b64 s[40:41], s[42:43]
	s_cbranch_execnz .LBB78_814
	s_branch .LBB78_815
.LBB78_834:
	s_mov_b64 s[38:39], -1
                                        ; implicit-def: $vgpr2
.LBB78_835:
	s_mov_b64 s[44:45], 0
.LBB78_836:
	s_and_b64 vcc, exec, s[44:45]
	s_cbranch_vccz .LBB78_838
; %bb.837:
	s_cmp_lg_u32 s33, 11
	s_cselect_b64 s[44:45], -1, 0
	s_andn2_b64 s[38:39], s[38:39], exec
	s_and_b64 s[44:45], s[44:45], exec
	s_mov_b64 s[40:41], -1
	s_or_b64 s[38:39], s[38:39], s[44:45]
.LBB78_838:
	s_mov_b64 s[44:45], 0
.LBB78_839:
	s_and_b64 s[46:47], s[44:45], exec
	s_andn2_b64 s[44:45], s[0:1], exec
	s_and_b64 s[38:39], s[38:39], exec
	s_and_b64 s[42:43], s[42:43], exec
	;; [unrolled: 1-line block ×3, first 2 shown]
	s_or_b64 s[44:45], s[44:45], s[38:39]
.LBB78_840:
	s_or_b64 exec, exec, s[34:35]
	s_and_b64 s[38:39], s[40:41], exec
	s_andn2_b64 s[0:1], s[0:1], exec
	s_and_b64 s[40:41], s[44:45], exec
	s_and_b64 s[42:43], s[42:43], exec
	;; [unrolled: 1-line block ×3, first 2 shown]
	s_or_b64 s[0:1], s[0:1], s[40:41]
.LBB78_841:
	s_or_b64 exec, exec, s[30:31]
	s_andn2_b64 s[26:27], s[26:27], exec
	s_and_b64 s[30:31], s[36:37], exec
	s_andn2_b64 s[24:25], s[24:25], exec
	s_and_b64 s[0:1], s[0:1], exec
	s_or_b64 s[26:27], s[26:27], s[30:31]
	s_and_b64 s[36:37], s[42:43], exec
	s_and_b64 s[34:35], s[34:35], exec
	;; [unrolled: 1-line block ×3, first 2 shown]
	s_or_b64 s[24:25], s[24:25], s[0:1]
.LBB78_842:
	s_or_b64 exec, exec, s[28:29]
	s_andn2_b64 s[0:1], s[18:19], exec
	s_and_b64 s[18:19], s[26:27], exec
	s_andn2_b64 s[20:21], s[20:21], exec
	s_and_b64 s[24:25], s[24:25], exec
	s_or_b64 s[18:19], s[0:1], s[18:19]
	s_and_b64 s[0:1], s[36:37], exec
	s_and_b64 s[28:29], s[34:35], exec
	s_and_b64 s[26:27], s[30:31], exec
	s_or_b64 s[20:21], s[20:21], s[24:25]
	s_or_b64 exec, exec, s[22:23]
	s_mov_b64 s[22:23], 0
	s_and_saveexec_b64 s[24:25], s[20:21]
	s_cbranch_execz .LBB78_258
.LBB78_843:
	s_mov_b64 s[22:23], exec
	s_andn2_b64 s[26:27], s[26:27], exec
	s_trap 2
	s_or_b64 exec, exec, s[24:25]
	s_and_saveexec_b64 s[20:21], s[26:27]
	s_xor_b64 s[20:21], exec, s[20:21]
	s_cbranch_execnz .LBB78_259
.LBB78_844:
	s_or_b64 exec, exec, s[20:21]
	s_and_saveexec_b64 s[20:21], s[28:29]
	s_cbranch_execz .LBB78_890
.LBB78_845:
	s_sext_i32_i16 s24, s15
	s_cmp_lt_i32 s24, 5
	s_cbranch_scc1 .LBB78_850
; %bb.846:
	s_cmp_lt_i32 s24, 8
	s_cbranch_scc1 .LBB78_851
; %bb.847:
	;; [unrolled: 3-line block ×3, first 2 shown]
	s_cmp_gt_i32 s24, 9
	s_cbranch_scc0 .LBB78_853
; %bb.849:
	global_load_dwordx2 v[2:3], v[0:1], off
	s_mov_b64 s[24:25], 0
	s_waitcnt vmcnt(0)
	v_cvt_i32_f64_e32 v2, v[2:3]
	s_branch .LBB78_854
.LBB78_850:
                                        ; implicit-def: $vgpr2
	s_branch .LBB78_871
.LBB78_851:
                                        ; implicit-def: $vgpr2
	s_branch .LBB78_860
.LBB78_852:
	s_mov_b64 s[24:25], -1
                                        ; implicit-def: $vgpr2
	s_branch .LBB78_857
.LBB78_853:
	s_mov_b64 s[24:25], -1
                                        ; implicit-def: $vgpr2
.LBB78_854:
	s_andn2_b64 vcc, exec, s[24:25]
	s_cbranch_vccnz .LBB78_856
; %bb.855:
	global_load_dword v2, v[0:1], off
	s_waitcnt vmcnt(0)
	v_cvt_i32_f32_e32 v2, v2
.LBB78_856:
	s_mov_b64 s[24:25], 0
.LBB78_857:
	s_andn2_b64 vcc, exec, s[24:25]
	s_cbranch_vccnz .LBB78_859
; %bb.858:
	global_load_dword v2, v[0:1], off
	s_waitcnt vmcnt(0)
	v_cvt_i16_f16_e32 v2, v2
.LBB78_859:
	s_cbranch_execnz .LBB78_870
.LBB78_860:
	s_sext_i32_i16 s24, s15
	s_cmp_lt_i32 s24, 6
	s_cbranch_scc1 .LBB78_863
; %bb.861:
	s_cmp_gt_i32 s24, 6
	s_cbranch_scc0 .LBB78_864
; %bb.862:
	global_load_dwordx2 v[2:3], v[0:1], off
	s_mov_b64 s[24:25], 0
	s_waitcnt vmcnt(0)
	v_cvt_i32_f64_e32 v2, v[2:3]
	s_branch .LBB78_865
.LBB78_863:
	s_mov_b64 s[24:25], -1
                                        ; implicit-def: $vgpr2
	s_branch .LBB78_868
.LBB78_864:
	s_mov_b64 s[24:25], -1
                                        ; implicit-def: $vgpr2
.LBB78_865:
	s_andn2_b64 vcc, exec, s[24:25]
	s_cbranch_vccnz .LBB78_867
; %bb.866:
	global_load_dword v2, v[0:1], off
	s_waitcnt vmcnt(0)
	v_cvt_i32_f32_e32 v2, v2
.LBB78_867:
	s_mov_b64 s[24:25], 0
.LBB78_868:
	s_andn2_b64 vcc, exec, s[24:25]
	s_cbranch_vccnz .LBB78_870
; %bb.869:
	global_load_ushort v2, v[0:1], off
	s_waitcnt vmcnt(0)
	v_cvt_i16_f16_e32 v2, v2
.LBB78_870:
	s_cbranch_execnz .LBB78_889
.LBB78_871:
	s_sext_i32_i16 s24, s15
	s_cmp_lt_i32 s24, 2
	s_cbranch_scc1 .LBB78_875
; %bb.872:
	s_cmp_lt_i32 s24, 3
	s_cbranch_scc1 .LBB78_876
; %bb.873:
	s_cmp_gt_i32 s24, 3
	s_cbranch_scc0 .LBB78_877
; %bb.874:
	global_load_dwordx2 v[2:3], v[0:1], off
	s_mov_b64 s[24:25], 0
	s_branch .LBB78_878
.LBB78_875:
                                        ; implicit-def: $vgpr2
	s_branch .LBB78_884
.LBB78_876:
	s_mov_b64 s[24:25], -1
                                        ; implicit-def: $vgpr2
	s_branch .LBB78_881
.LBB78_877:
	s_mov_b64 s[24:25], -1
                                        ; implicit-def: $vgpr2
.LBB78_878:
	s_andn2_b64 vcc, exec, s[24:25]
	s_cbranch_vccnz .LBB78_880
; %bb.879:
	global_load_dword v2, v[0:1], off
.LBB78_880:
	s_mov_b64 s[24:25], 0
.LBB78_881:
	s_andn2_b64 vcc, exec, s[24:25]
	s_cbranch_vccnz .LBB78_883
; %bb.882:
	global_load_ushort v2, v[0:1], off
.LBB78_883:
	s_cbranch_execnz .LBB78_889
.LBB78_884:
	s_sext_i32_i16 s24, s15
	s_cmp_gt_i32 s24, 0
	s_cbranch_scc0 .LBB78_886
; %bb.885:
	global_load_sbyte v2, v[0:1], off
	s_mov_b64 s[24:25], 0
	s_branch .LBB78_887
.LBB78_886:
	s_mov_b64 s[24:25], -1
                                        ; implicit-def: $vgpr2
.LBB78_887:
	s_andn2_b64 vcc, exec, s[24:25]
	s_cbranch_vccnz .LBB78_889
; %bb.888:
	global_load_ubyte v2, v[0:1], off
.LBB78_889:
	s_or_b64 s[0:1], s[0:1], exec
.LBB78_890:
	s_or_b64 exec, exec, s[20:21]
	s_mov_b64 s[28:29], 0
	s_mov_b64 s[26:27], 0
                                        ; implicit-def: $sgpr20_sgpr21
                                        ; implicit-def: $sgpr33
                                        ; implicit-def: $vgpr0_vgpr1
	s_and_saveexec_b64 s[24:25], s[0:1]
	s_cbranch_execz .LBB78_965
; %bb.891:
	v_mul_lo_u32 v0, v9, s12
	s_waitcnt vmcnt(0)
	v_cmp_ne_u16_e32 vcc, s2, v2
	v_mov_b32_e32 v1, s9
	s_xor_b64 s[20:21], s[16:17], vcc
	v_ashrrev_i32_e32 v2, 31, v0
	s_and_b32 s33, s3, 0xff
	v_add_co_u32_e32 v0, vcc, s8, v0
	s_cmp_lt_i32 s33, 11
	v_addc_co_u32_e32 v1, vcc, v1, v2, vcc
	s_cbranch_scc1 .LBB78_968
; %bb.892:
	s_and_b32 s34, 0xffff, s33
	s_mov_b64 s[26:27], -1
	s_cmp_gt_i32 s34, 25
	s_mov_b64 s[0:1], s[18:19]
	s_cbranch_scc0 .LBB78_925
; %bb.893:
	s_mov_b64 s[16:17], -1
	s_cmp_gt_i32 s34, 28
	s_mov_b64 s[0:1], s[18:19]
	s_cbranch_scc0 .LBB78_909
; %bb.894:
	s_cmp_gt_i32 s34, 43
	s_mov_b64 s[0:1], s[18:19]
	s_cbranch_scc0 .LBB78_905
; %bb.895:
	;; [unrolled: 4-line block ×3, first 2 shown]
	s_cmp_eq_u32 s34, 46
	s_mov_b64 s[0:1], -1
	s_cbranch_scc0 .LBB78_898
; %bb.897:
	v_cndmask_b32_e64 v2, 0, 1.0, s[20:21]
	v_bfe_u32 v3, v2, 16, 1
	s_movk_i32 s0, 0x7fff
	v_add3_u32 v2, v2, v3, s0
	v_lshrrev_b32_e32 v2, 16, v2
	global_store_dword v[0:1], v2, off
	s_mov_b64 s[0:1], 0
.LBB78_898:
	s_mov_b64 s[16:17], 0
.LBB78_899:
	s_and_b64 vcc, exec, s[16:17]
	s_cbranch_vccz .LBB78_904
; %bb.900:
	s_cmp_eq_u32 s34, 44
	s_mov_b64 s[0:1], -1
	s_cbranch_scc0 .LBB78_904
; %bb.901:
	v_cndmask_b32_e64 v3, 0, 1.0, s[20:21]
	v_lshrrev_b32_e32 v2, 23, v3
	s_movk_i32 s0, 0xff
	v_cmp_ne_u32_e32 vcc, s0, v2
	v_mov_b32_e32 v4, 0xff
	s_and_saveexec_b64 s[16:17], vcc
; %bb.902:
	s_mov_b32 s0, 0x3fffff
	v_and_b32_e32 v4, 0x400000, v3
	v_and_or_b32 v3, v3, s0, v2
	v_cmp_ne_u32_e32 vcc, 0, v4
	v_cmp_ne_u32_e64 s[0:1], 0, v3
	s_and_b64 s[0:1], vcc, s[0:1]
	v_cndmask_b32_e64 v3, 0, 1, s[0:1]
	v_add_u32_e32 v4, v2, v3
; %bb.903:
	s_or_b64 exec, exec, s[16:17]
	s_mov_b64 s[0:1], 0
	global_store_byte v[0:1], v4, off
.LBB78_904:
	s_mov_b64 s[16:17], 0
.LBB78_905:
	s_and_b64 vcc, exec, s[16:17]
	s_cbranch_vccz .LBB78_908
; %bb.906:
	s_cmp_eq_u32 s34, 29
	s_mov_b64 s[0:1], -1
	s_cbranch_scc0 .LBB78_908
; %bb.907:
	s_mov_b32 s0, 0
	v_cndmask_b32_e64 v2, 0, 1, s[20:21]
	v_mov_b32_e32 v3, s0
	global_store_dwordx2 v[0:1], v[2:3], off
	s_mov_b64 s[0:1], 0
.LBB78_908:
	s_mov_b64 s[16:17], 0
.LBB78_909:
	s_and_b64 vcc, exec, s[16:17]
	s_cbranch_vccz .LBB78_924
; %bb.910:
	s_cmp_lt_i32 s34, 27
	s_mov_b64 s[16:17], -1
	s_cbranch_scc1 .LBB78_916
; %bb.911:
	s_cmp_gt_i32 s34, 27
	v_cndmask_b32_e64 v2, 0, 1, s[20:21]
	s_cbranch_scc0 .LBB78_913
; %bb.912:
	s_mov_b64 s[16:17], 0
	global_store_dword v[0:1], v2, off
.LBB78_913:
	s_andn2_b64 vcc, exec, s[16:17]
	s_cbranch_vccnz .LBB78_915
; %bb.914:
	global_store_short v[0:1], v2, off
.LBB78_915:
	s_mov_b64 s[16:17], 0
.LBB78_916:
	s_andn2_b64 vcc, exec, s[16:17]
	s_cbranch_vccnz .LBB78_924
; %bb.917:
	v_cndmask_b32_e64 v3, 0, 1.0, s[20:21]
	s_mov_b32 s16, 0x43800000
	v_cmp_gt_u32_e32 vcc, s16, v3
	v_mov_b32_e32 v4, 0x80
	s_and_saveexec_b64 s[16:17], vcc
	s_cbranch_execz .LBB78_923
; %bb.918:
	s_mov_b32 s26, 0x3bffffff
	v_cmp_lt_u32_e32 vcc, s26, v3
	s_mov_b64 s[26:27], 0
                                        ; implicit-def: $vgpr2
	s_and_saveexec_b64 s[28:29], vcc
	s_xor_b64 s[28:29], exec, s[28:29]
	s_cbranch_execz .LBB78_1025
; %bb.919:
	v_bfe_u32 v2, v3, 20, 1
	s_mov_b32 s30, 0x487ffff
	v_add3_u32 v2, v3, v2, s30
	s_mov_b64 s[26:27], exec
	v_lshrrev_b32_e32 v2, 20, v2
                                        ; implicit-def: $vgpr3
	s_andn2_saveexec_b64 s[28:29], s[28:29]
	s_cbranch_execnz .LBB78_1026
.LBB78_920:
	s_or_b64 exec, exec, s[28:29]
	v_mov_b32_e32 v4, 0
	s_and_saveexec_b64 s[28:29], s[26:27]
.LBB78_921:
	v_mov_b32_e32 v4, v2
.LBB78_922:
	s_or_b64 exec, exec, s[28:29]
.LBB78_923:
	s_or_b64 exec, exec, s[16:17]
	global_store_byte v[0:1], v4, off
.LBB78_924:
	s_mov_b64 s[26:27], 0
.LBB78_925:
	s_mov_b64 s[16:17], 0
	s_and_b64 vcc, exec, s[26:27]
	s_cbranch_vccz .LBB78_969
; %bb.926:
	s_cmp_gt_i32 s34, 22
	s_mov_b64 s[26:27], -1
	s_cbranch_scc0 .LBB78_958
; %bb.927:
	s_cmp_lt_i32 s34, 24
	s_cbranch_scc1 .LBB78_947
; %bb.928:
	s_cmp_gt_i32 s34, 24
	s_cbranch_scc0 .LBB78_936
; %bb.929:
	v_cndmask_b32_e64 v3, 0, 1.0, s[20:21]
	s_mov_b32 s26, 0x47800000
	v_cmp_gt_u32_e32 vcc, s26, v3
	v_mov_b32_e32 v4, 0x80
	s_and_saveexec_b64 s[26:27], vcc
	s_cbranch_execz .LBB78_935
; %bb.930:
	s_mov_b32 s28, 0x37ffffff
	v_cmp_lt_u32_e32 vcc, s28, v3
	s_mov_b64 s[28:29], 0
                                        ; implicit-def: $vgpr2
	s_and_saveexec_b64 s[30:31], vcc
	s_xor_b64 s[30:31], exec, s[30:31]
	s_cbranch_execz .LBB78_1145
; %bb.931:
	v_bfe_u32 v2, v3, 21, 1
	s_mov_b32 s35, 0x88fffff
	v_add3_u32 v2, v3, v2, s35
	s_mov_b64 s[28:29], exec
	v_lshrrev_b32_e32 v2, 21, v2
                                        ; implicit-def: $vgpr3
	s_andn2_saveexec_b64 s[30:31], s[30:31]
	s_cbranch_execnz .LBB78_1146
.LBB78_932:
	s_or_b64 exec, exec, s[30:31]
	v_mov_b32_e32 v4, 0
	s_and_saveexec_b64 s[30:31], s[28:29]
.LBB78_933:
	v_mov_b32_e32 v4, v2
.LBB78_934:
	s_or_b64 exec, exec, s[30:31]
.LBB78_935:
	s_or_b64 exec, exec, s[26:27]
	s_mov_b64 s[26:27], 0
	global_store_byte v[0:1], v4, off
.LBB78_936:
	s_and_b64 vcc, exec, s[26:27]
	s_cbranch_vccz .LBB78_946
; %bb.937:
	v_cndmask_b32_e64 v2, 0, 1.0, s[20:21]
	s_mov_b32 s26, 0x43f00000
	v_cmp_gt_u32_e32 vcc, s26, v2
                                        ; implicit-def: $vgpr3
	s_and_saveexec_b64 s[26:27], vcc
	s_xor_b64 s[26:27], exec, s[26:27]
	s_cbranch_execz .LBB78_943
; %bb.938:
	s_mov_b32 s28, 0x3c7fffff
	v_cmp_lt_u32_e32 vcc, s28, v2
                                        ; implicit-def: $vgpr3
	s_and_saveexec_b64 s[28:29], vcc
	s_xor_b64 s[28:29], exec, s[28:29]
; %bb.939:
	v_bfe_u32 v3, v2, 20, 1
	s_mov_b32 s30, 0x407ffff
	v_add3_u32 v2, v2, v3, s30
	v_lshrrev_b32_e32 v3, 20, v2
	v_and_b32_e32 v2, 0xff00000, v2
	s_mov_b32 s30, 0x7f00000
	v_mov_b32_e32 v4, 0x7e
	v_cmp_ne_u32_e32 vcc, s30, v2
	v_cndmask_b32_e32 v3, v4, v3, vcc
                                        ; implicit-def: $vgpr2
; %bb.940:
	s_andn2_saveexec_b64 s[28:29], s[28:29]
; %bb.941:
	v_add_f32_e32 v3, 0x46800000, v2
; %bb.942:
	s_or_b64 exec, exec, s[28:29]
                                        ; implicit-def: $vgpr2
.LBB78_943:
	s_andn2_saveexec_b64 s[26:27], s[26:27]
; %bb.944:
	s_mov_b32 s28, 0x7f800000
	v_mov_b32_e32 v3, 0x7e
	v_mov_b32_e32 v4, 0x7f
	v_cmp_lt_u32_e32 vcc, s28, v2
	v_cndmask_b32_e32 v3, v3, v4, vcc
; %bb.945:
	s_or_b64 exec, exec, s[26:27]
	global_store_byte v[0:1], v3, off
.LBB78_946:
	s_mov_b64 s[26:27], 0
.LBB78_947:
	s_andn2_b64 vcc, exec, s[26:27]
	s_cbranch_vccnz .LBB78_957
; %bb.948:
	v_cndmask_b32_e64 v2, 0, 1.0, s[20:21]
	s_mov_b32 s26, 0x47800000
	v_cmp_gt_u32_e32 vcc, s26, v2
                                        ; implicit-def: $vgpr3
	s_and_saveexec_b64 s[26:27], vcc
	s_xor_b64 s[26:27], exec, s[26:27]
	s_cbranch_execz .LBB78_954
; %bb.949:
	s_mov_b32 s28, 0x387fffff
	v_cmp_lt_u32_e32 vcc, s28, v2
                                        ; implicit-def: $vgpr3
	s_and_saveexec_b64 s[28:29], vcc
	s_xor_b64 s[28:29], exec, s[28:29]
; %bb.950:
	v_bfe_u32 v3, v2, 21, 1
	s_mov_b32 s30, 0x80fffff
	v_add3_u32 v2, v2, v3, s30
	v_lshrrev_b32_e32 v3, 21, v2
                                        ; implicit-def: $vgpr2
; %bb.951:
	s_andn2_saveexec_b64 s[28:29], s[28:29]
; %bb.952:
	v_add_f32_e32 v3, 0x43000000, v2
; %bb.953:
	s_or_b64 exec, exec, s[28:29]
                                        ; implicit-def: $vgpr2
.LBB78_954:
	s_andn2_saveexec_b64 s[26:27], s[26:27]
; %bb.955:
	s_mov_b32 s28, 0x7f800000
	v_mov_b32_e32 v3, 0x7c
	v_mov_b32_e32 v4, 0x7f
	v_cmp_lt_u32_e32 vcc, s28, v2
	v_cndmask_b32_e32 v3, v3, v4, vcc
; %bb.956:
	s_or_b64 exec, exec, s[26:27]
	global_store_byte v[0:1], v3, off
.LBB78_957:
	s_mov_b64 s[26:27], 0
.LBB78_958:
	s_andn2_b64 vcc, exec, s[26:27]
	s_mov_b64 s[28:29], 0
	s_cbranch_vccnz .LBB78_970
; %bb.959:
	s_cmp_gt_i32 s34, 14
	s_mov_b64 s[26:27], -1
	s_cbranch_scc0 .LBB78_963
; %bb.960:
	s_cmp_eq_u32 s34, 15
	s_mov_b64 s[0:1], -1
	s_cbranch_scc0 .LBB78_962
; %bb.961:
	v_cndmask_b32_e64 v2, 0, 1.0, s[20:21]
	v_bfe_u32 v3, v2, 16, 1
	s_movk_i32 s0, 0x7fff
	v_add3_u32 v2, v2, v3, s0
	global_store_short_d16_hi v[0:1], v2, off
	s_mov_b64 s[0:1], 0
.LBB78_962:
	s_mov_b64 s[26:27], 0
.LBB78_963:
	s_and_b64 vcc, exec, s[26:27]
	s_cbranch_vccz .LBB78_970
; %bb.964:
	s_cmp_lg_u32 s34, 11
	s_cselect_b64 s[26:27], -1, 0
	s_andn2_b64 s[0:1], s[0:1], exec
	s_and_b64 s[26:27], s[26:27], exec
	s_mov_b64 s[28:29], -1
	s_or_b64 s[0:1], s[0:1], s[26:27]
	s_branch .LBB78_970
.LBB78_965:
	s_or_b64 exec, exec, s[24:25]
	s_and_saveexec_b64 s[0:1], s[18:19]
	s_cbranch_execnz .LBB78_971
.LBB78_966:
	s_or_b64 exec, exec, s[0:1]
	s_and_saveexec_b64 s[0:1], s[28:29]
	s_xor_b64 s[0:1], exec, s[0:1]
	s_cbranch_execz .LBB78_972
.LBB78_967:
	s_waitcnt vmcnt(0)
	v_cndmask_b32_e64 v2, 0, 1, s[20:21]
	global_store_byte v[0:1], v2, off
	s_or_b64 exec, exec, s[0:1]
	s_and_saveexec_b64 s[0:1], s[26:27]
	s_xor_b64 s[0:1], exec, s[0:1]
	s_cbranch_execz .LBB78_1010
	s_branch .LBB78_973
.LBB78_968:
	s_mov_b64 s[16:17], -1
	s_mov_b64 s[0:1], s[18:19]
	s_branch .LBB78_970
.LBB78_969:
	s_mov_b64 s[28:29], 0
.LBB78_970:
	s_and_b64 s[26:27], s[16:17], exec
	s_andn2_b64 s[16:17], s[18:19], exec
	s_and_b64 s[0:1], s[0:1], exec
	s_and_b64 s[28:29], s[28:29], exec
	s_or_b64 s[18:19], s[16:17], s[0:1]
	s_or_b64 exec, exec, s[24:25]
	s_and_saveexec_b64 s[0:1], s[18:19]
	s_cbranch_execz .LBB78_966
.LBB78_971:
	s_or_b64 s[22:23], s[22:23], exec
	s_andn2_b64 s[28:29], s[28:29], exec
	s_trap 2
	s_or_b64 exec, exec, s[0:1]
	s_and_saveexec_b64 s[0:1], s[28:29]
	s_xor_b64 s[0:1], exec, s[0:1]
	s_cbranch_execnz .LBB78_967
.LBB78_972:
	s_or_b64 exec, exec, s[0:1]
	s_and_saveexec_b64 s[0:1], s[26:27]
	s_xor_b64 s[0:1], exec, s[0:1]
	s_cbranch_execz .LBB78_1010
.LBB78_973:
	s_sext_i32_i16 s18, s33
	s_cmp_lt_i32 s18, 5
	s_mov_b64 s[16:17], -1
	s_cbranch_scc1 .LBB78_994
; %bb.974:
	s_cmp_lt_i32 s18, 8
	s_cbranch_scc1 .LBB78_984
; %bb.975:
	s_cmp_lt_i32 s18, 9
	s_cbranch_scc1 .LBB78_981
; %bb.976:
	s_cmp_gt_i32 s18, 9
	s_cbranch_scc0 .LBB78_978
; %bb.977:
	s_waitcnt vmcnt(0)
	v_cndmask_b32_e64 v2, 0, 1, s[20:21]
	v_cvt_f64_u32_e32 v[2:3], v2
	v_mov_b32_e32 v4, 0
	v_mov_b32_e32 v5, v4
	s_mov_b64 s[16:17], 0
	global_store_dwordx4 v[0:1], v[2:5], off
.LBB78_978:
	s_andn2_b64 vcc, exec, s[16:17]
	s_cbranch_vccnz .LBB78_980
; %bb.979:
	s_waitcnt vmcnt(0)
	v_cndmask_b32_e64 v2, 0, 1.0, s[20:21]
	v_mov_b32_e32 v3, 0
	global_store_dwordx2 v[0:1], v[2:3], off
.LBB78_980:
	s_mov_b64 s[16:17], 0
.LBB78_981:
	s_andn2_b64 vcc, exec, s[16:17]
	s_cbranch_vccnz .LBB78_983
; %bb.982:
	s_waitcnt vmcnt(0)
	v_cndmask_b32_e64 v2, 0, 1.0, s[20:21]
	v_cvt_f16_f32_e32 v2, v2
	global_store_dword v[0:1], v2, off
.LBB78_983:
	s_mov_b64 s[16:17], 0
.LBB78_984:
	s_andn2_b64 vcc, exec, s[16:17]
	s_cbranch_vccnz .LBB78_993
; %bb.985:
	s_sext_i32_i16 s18, s33
	s_cmp_lt_i32 s18, 6
	s_mov_b64 s[16:17], -1
	s_cbranch_scc1 .LBB78_991
; %bb.986:
	s_cmp_gt_i32 s18, 6
	s_cbranch_scc0 .LBB78_988
; %bb.987:
	s_waitcnt vmcnt(0)
	v_cndmask_b32_e64 v2, 0, 1, s[20:21]
	v_cvt_f64_u32_e32 v[2:3], v2
	s_mov_b64 s[16:17], 0
	global_store_dwordx2 v[0:1], v[2:3], off
.LBB78_988:
	s_andn2_b64 vcc, exec, s[16:17]
	s_cbranch_vccnz .LBB78_990
; %bb.989:
	s_waitcnt vmcnt(0)
	v_cndmask_b32_e64 v2, 0, 1.0, s[20:21]
	global_store_dword v[0:1], v2, off
.LBB78_990:
	s_mov_b64 s[16:17], 0
.LBB78_991:
	s_andn2_b64 vcc, exec, s[16:17]
	s_cbranch_vccnz .LBB78_993
; %bb.992:
	s_waitcnt vmcnt(0)
	v_cndmask_b32_e64 v2, 0, 1.0, s[20:21]
	v_cvt_f16_f32_e32 v2, v2
	global_store_short v[0:1], v2, off
.LBB78_993:
	s_mov_b64 s[16:17], 0
.LBB78_994:
	s_andn2_b64 vcc, exec, s[16:17]
	s_cbranch_vccnz .LBB78_1010
; %bb.995:
	s_sext_i32_i16 s18, s33
	s_cmp_lt_i32 s18, 2
	s_mov_b64 s[16:17], -1
	s_cbranch_scc1 .LBB78_1005
; %bb.996:
	s_cmp_lt_i32 s18, 3
	s_cbranch_scc1 .LBB78_1002
; %bb.997:
	s_cmp_gt_i32 s18, 3
	s_cbranch_scc0 .LBB78_999
; %bb.998:
	s_mov_b32 s16, 0
	s_waitcnt vmcnt(0)
	v_cndmask_b32_e64 v2, 0, 1, s[20:21]
	v_mov_b32_e32 v3, s16
	s_mov_b64 s[16:17], 0
	global_store_dwordx2 v[0:1], v[2:3], off
.LBB78_999:
	s_andn2_b64 vcc, exec, s[16:17]
	s_cbranch_vccnz .LBB78_1001
; %bb.1000:
	s_waitcnt vmcnt(0)
	v_cndmask_b32_e64 v2, 0, 1, s[20:21]
	global_store_dword v[0:1], v2, off
.LBB78_1001:
	s_mov_b64 s[16:17], 0
.LBB78_1002:
	s_andn2_b64 vcc, exec, s[16:17]
	s_cbranch_vccnz .LBB78_1004
; %bb.1003:
	s_waitcnt vmcnt(0)
	v_cndmask_b32_e64 v2, 0, 1, s[20:21]
	global_store_short v[0:1], v2, off
.LBB78_1004:
	s_mov_b64 s[16:17], 0
.LBB78_1005:
	s_andn2_b64 vcc, exec, s[16:17]
	s_cbranch_vccnz .LBB78_1010
; %bb.1006:
	s_sext_i32_i16 s18, s33
	s_mov_b64 s[16:17], -1
	s_cmp_gt_i32 s18, 0
	s_waitcnt vmcnt(0)
	v_cndmask_b32_e64 v2, 0, 1, s[20:21]
	s_cbranch_scc0 .LBB78_1008
; %bb.1007:
	s_mov_b64 s[16:17], 0
	global_store_byte v[0:1], v2, off
.LBB78_1008:
	s_andn2_b64 vcc, exec, s[16:17]
	s_cbranch_vccnz .LBB78_1010
; %bb.1009:
	global_store_byte v[0:1], v2, off
.LBB78_1010:
	s_or_b64 exec, exec, s[0:1]
	s_and_b64 s[16:17], s[22:23], exec
                                        ; implicit-def: $vgpr9
.LBB78_1011:
	s_or_saveexec_b64 s[6:7], s[6:7]
	s_mov_b64 s[0:1], 0
                                        ; implicit-def: $sgpr20_sgpr21
                                        ; implicit-def: $sgpr26
                                        ; implicit-def: $vgpr0_vgpr1
	s_xor_b64 exec, exec, s[6:7]
	s_cbranch_execz .LBB78_1942
; %bb.1012:
	s_waitcnt vmcnt(0)
	v_mul_lo_u32 v2, s13, v9
	v_mov_b32_e32 v1, s11
	s_and_b32 s15, 0xffff, s15
	s_cmp_lt_i32 s15, 11
	v_ashrrev_i32_e32 v3, 31, v2
	v_add_co_u32_e32 v0, vcc, s10, v2
	v_addc_co_u32_e32 v1, vcc, v1, v3, vcc
	s_cbranch_scc1 .LBB78_1019
; %bb.1013:
	s_cmp_gt_i32 s15, 25
	s_cbranch_scc0 .LBB78_1021
; %bb.1014:
	s_cmp_gt_i32 s15, 28
	s_cbranch_scc0 .LBB78_1022
	;; [unrolled: 3-line block ×4, first 2 shown]
; %bb.1017:
	s_cmp_eq_u32 s15, 46
	s_mov_b64 s[18:19], 0
	s_cbranch_scc0 .LBB78_1027
; %bb.1018:
	global_load_dword v3, v[0:1], off
	s_mov_b64 s[20:21], -1
	s_waitcnt vmcnt(0)
	v_lshlrev_b32_e32 v3, 16, v3
	v_cvt_i32_f32_e32 v6, v3
	s_branch .LBB78_1028
.LBB78_1019:
	s_mov_b64 s[20:21], 0
                                        ; implicit-def: $vgpr6
	s_mov_b64 s[18:19], s[16:17]
	s_cbranch_execnz .LBB78_1086
.LBB78_1020:
	s_andn2_b64 vcc, exec, s[20:21]
	s_cbranch_vccz .LBB78_1131
	s_branch .LBB78_1940
.LBB78_1021:
	s_mov_b64 s[20:21], 0
                                        ; implicit-def: $vgpr6
	s_cbranch_execnz .LBB78_1053
	s_branch .LBB78_1082
.LBB78_1022:
	s_mov_b64 s[20:21], 0
                                        ; implicit-def: $vgpr6
	s_cbranch_execz .LBB78_1052
	s_branch .LBB78_1037
.LBB78_1023:
	s_mov_b64 s[20:21], 0
                                        ; implicit-def: $vgpr6
	s_cbranch_execnz .LBB78_1033
	s_branch .LBB78_1036
.LBB78_1024:
	s_mov_b64 s[18:19], -1
	s_mov_b64 s[20:21], 0
                                        ; implicit-def: $vgpr6
	s_branch .LBB78_1028
.LBB78_1025:
	s_andn2_saveexec_b64 s[28:29], s[28:29]
	s_cbranch_execz .LBB78_920
.LBB78_1026:
	v_add_f32_e32 v2, 0x46000000, v3
	v_and_b32_e32 v2, 0xff, v2
	v_cmp_ne_u32_e32 vcc, 0, v2
	s_andn2_b64 s[26:27], s[26:27], exec
	s_and_b64 s[30:31], vcc, exec
	s_or_b64 s[26:27], s[26:27], s[30:31]
	s_or_b64 exec, exec, s[28:29]
	v_mov_b32_e32 v4, 0
	s_and_saveexec_b64 s[28:29], s[26:27]
	s_cbranch_execnz .LBB78_921
	s_branch .LBB78_922
.LBB78_1027:
	s_mov_b64 s[0:1], -1
                                        ; implicit-def: $vgpr6
	s_mov_b64 s[20:21], 0
.LBB78_1028:
	s_and_b64 vcc, exec, s[18:19]
	s_cbranch_vccz .LBB78_1031
; %bb.1029:
	s_cmp_eq_u32 s15, 44
	s_cbranch_scc0 .LBB78_1032
; %bb.1030:
	global_load_ubyte v3, v[0:1], off
	s_mov_b64 s[0:1], 0
	s_mov_b64 s[20:21], -1
	s_waitcnt vmcnt(0)
	v_lshlrev_b32_e32 v4, 23, v3
	v_cvt_i32_f32_e32 v4, v4
	v_cmp_ne_u32_e32 vcc, 0, v3
	v_cndmask_b32_e32 v6, 0, v4, vcc
.LBB78_1031:
	s_branch .LBB78_1036
.LBB78_1032:
	s_mov_b64 s[0:1], -1
                                        ; implicit-def: $vgpr6
	s_branch .LBB78_1036
.LBB78_1033:
	s_cmp_eq_u32 s15, 29
	s_cbranch_scc0 .LBB78_1035
; %bb.1034:
	global_load_dwordx2 v[6:7], v[0:1], off
	s_mov_b64 s[0:1], 0
	s_mov_b64 s[20:21], -1
	s_branch .LBB78_1036
.LBB78_1035:
	s_mov_b64 s[0:1], -1
                                        ; implicit-def: $vgpr6
.LBB78_1036:
	s_branch .LBB78_1052
.LBB78_1037:
	s_cmp_lt_i32 s15, 27
	s_cbranch_scc1 .LBB78_1040
; %bb.1038:
	s_cmp_gt_i32 s15, 27
	s_cbranch_scc0 .LBB78_1041
; %bb.1039:
	global_load_dword v6, v[0:1], off
	s_mov_b64 s[18:19], 0
	s_branch .LBB78_1042
.LBB78_1040:
	s_mov_b64 s[18:19], -1
                                        ; implicit-def: $vgpr6
	s_branch .LBB78_1045
.LBB78_1041:
	s_mov_b64 s[18:19], -1
                                        ; implicit-def: $vgpr6
.LBB78_1042:
	s_andn2_b64 vcc, exec, s[18:19]
	s_cbranch_vccnz .LBB78_1044
; %bb.1043:
	global_load_ushort v6, v[0:1], off
.LBB78_1044:
	s_mov_b64 s[18:19], 0
.LBB78_1045:
	s_andn2_b64 vcc, exec, s[18:19]
	s_cbranch_vccnz .LBB78_1051
; %bb.1046:
	global_load_ubyte v3, v[0:1], off
	s_movk_i32 s18, 0x7f
	s_mov_b64 s[20:21], 0
	s_waitcnt vmcnt(0)
	v_cmp_lt_i16_e32 vcc, s18, v3
	s_and_saveexec_b64 s[18:19], vcc
	s_xor_b64 s[18:19], exec, s[18:19]
	s_cbranch_execz .LBB78_1062
; %bb.1047:
	s_movk_i32 s20, 0x80
	v_cmp_ne_u16_e32 vcc, s20, v3
	s_and_b64 s[20:21], vcc, exec
	s_andn2_saveexec_b64 s[18:19], s[18:19]
	s_cbranch_execnz .LBB78_1063
.LBB78_1048:
	s_or_b64 exec, exec, s[18:19]
	v_mov_b32_e32 v6, 0
	s_and_saveexec_b64 s[18:19], s[20:21]
	s_cbranch_execz .LBB78_1050
.LBB78_1049:
	v_lshlrev_b32_e32 v4, 24, v3
	v_and_b32_e32 v3, 0xffff, v3
	v_and_b32_e32 v5, 7, v3
	v_ffbh_u32_e32 v7, v5
	v_min_u32_e32 v7, 32, v7
	v_subrev_u32_e32 v8, 28, v7
	v_bfe_u32 v6, v3, 3, 4
	v_lshlrev_b32_e32 v3, v8, v3
	v_sub_u32_e32 v7, 29, v7
	v_and_b32_e32 v3, 7, v3
	v_cmp_eq_u32_e32 vcc, 0, v6
	v_cndmask_b32_e32 v6, v6, v7, vcc
	v_cndmask_b32_e32 v3, v5, v3, vcc
	v_mov_b32_e32 v5, 0x3b800000
	v_lshlrev_b32_e32 v3, 20, v3
	v_and_b32_e32 v4, 0x80000000, v4
	v_lshl_add_u32 v5, v6, 23, v5
	v_or3_b32 v3, v4, v5, v3
	v_cvt_i32_f32_e32 v6, v3
.LBB78_1050:
	s_or_b64 exec, exec, s[18:19]
.LBB78_1051:
	s_mov_b64 s[20:21], -1
.LBB78_1052:
	s_branch .LBB78_1082
.LBB78_1053:
	s_cmp_gt_i32 s15, 22
	s_cbranch_scc0 .LBB78_1061
; %bb.1054:
	s_cmp_lt_i32 s15, 24
	s_cbranch_scc1 .LBB78_1064
; %bb.1055:
	s_cmp_gt_i32 s15, 24
	s_cbranch_scc0 .LBB78_1065
; %bb.1056:
	global_load_ubyte v3, v[0:1], off
	s_movk_i32 s4, 0x7f
	s_mov_b64 s[18:19], 0
	s_waitcnt vmcnt(0)
	v_cmp_lt_i16_e32 vcc, s4, v3
	s_and_saveexec_b64 s[4:5], vcc
	s_xor_b64 s[4:5], exec, s[4:5]
	s_cbranch_execz .LBB78_1076
; %bb.1057:
	s_movk_i32 s18, 0x80
	v_cmp_ne_u16_e32 vcc, s18, v3
	s_and_b64 s[18:19], vcc, exec
	s_andn2_saveexec_b64 s[4:5], s[4:5]
	s_cbranch_execnz .LBB78_1077
.LBB78_1058:
	s_or_b64 exec, exec, s[4:5]
	v_mov_b32_e32 v6, 0
	s_and_saveexec_b64 s[4:5], s[18:19]
	s_cbranch_execz .LBB78_1060
.LBB78_1059:
	v_lshlrev_b32_e32 v4, 24, v3
	v_and_b32_e32 v3, 0xffff, v3
	v_and_b32_e32 v5, 3, v3
	v_ffbh_u32_e32 v7, v5
	v_min_u32_e32 v7, 32, v7
	v_subrev_u32_e32 v8, 29, v7
	v_bfe_u32 v6, v3, 2, 5
	v_lshlrev_b32_e32 v3, v8, v3
	v_sub_u32_e32 v7, 30, v7
	v_and_b32_e32 v3, 3, v3
	v_cmp_eq_u32_e32 vcc, 0, v6
	v_cndmask_b32_e32 v6, v6, v7, vcc
	v_cndmask_b32_e32 v3, v5, v3, vcc
	v_mov_b32_e32 v5, 0x37800000
	v_lshlrev_b32_e32 v3, 21, v3
	v_and_b32_e32 v4, 0x80000000, v4
	v_lshl_add_u32 v5, v6, 23, v5
	v_or3_b32 v3, v4, v5, v3
	v_cvt_i32_f32_e32 v6, v3
.LBB78_1060:
	s_or_b64 exec, exec, s[4:5]
	s_mov_b64 s[4:5], 0
	s_branch .LBB78_1066
.LBB78_1061:
                                        ; implicit-def: $vgpr6
	s_mov_b64 s[4:5], 0
	s_branch .LBB78_1072
.LBB78_1062:
	s_andn2_saveexec_b64 s[18:19], s[18:19]
	s_cbranch_execz .LBB78_1048
.LBB78_1063:
	v_cmp_ne_u16_e32 vcc, 0, v3
	s_andn2_b64 s[20:21], s[20:21], exec
	s_and_b64 s[22:23], vcc, exec
	s_or_b64 s[20:21], s[20:21], s[22:23]
	s_or_b64 exec, exec, s[18:19]
	v_mov_b32_e32 v6, 0
	s_and_saveexec_b64 s[18:19], s[20:21]
	s_cbranch_execnz .LBB78_1049
	s_branch .LBB78_1050
.LBB78_1064:
	s_mov_b64 s[4:5], -1
                                        ; implicit-def: $vgpr6
	s_branch .LBB78_1069
.LBB78_1065:
	s_mov_b64 s[4:5], -1
                                        ; implicit-def: $vgpr6
.LBB78_1066:
	s_and_b64 vcc, exec, s[4:5]
	s_cbranch_vccz .LBB78_1068
; %bb.1067:
	global_load_ubyte v3, v[0:1], off
	s_mov_b32 s4, 0x7f800000
	s_waitcnt vmcnt(0)
	v_lshlrev_b32_e32 v3, 24, v3
	v_and_b32_e32 v4, 0x7f000000, v3
	v_ffbh_u32_e32 v5, v4
	v_min_u32_e32 v5, 32, v5
	v_sub_u32_e64 v5, v5, 4 clamp
	v_lshlrev_b32_e32 v7, v5, v4
	v_lshlrev_b32_e32 v5, 23, v5
	v_lshrrev_b32_e32 v7, 4, v7
	v_add_u32_e32 v6, 0x1000000, v4
	v_sub_u32_e32 v5, v7, v5
	v_ashrrev_i32_e32 v6, 8, v6
	v_add_u32_e32 v5, 0x3c000000, v5
	v_and_or_b32 v5, v6, s4, v5
	v_cmp_ne_u32_e32 vcc, 0, v4
	v_cndmask_b32_e32 v4, 0, v5, vcc
	s_brev_b32 s4, 1
	v_and_or_b32 v3, v3, s4, v4
	v_cvt_i32_f32_e32 v6, v3
.LBB78_1068:
	s_mov_b64 s[4:5], 0
.LBB78_1069:
	s_andn2_b64 vcc, exec, s[4:5]
	s_cbranch_vccnz .LBB78_1071
; %bb.1070:
	global_load_ubyte v3, v[0:1], off
	s_movk_i32 s4, 0x7f00
	s_brev_b32 s5, 16
	s_waitcnt vmcnt(0)
	v_lshlrev_b16_e32 v4, 8, v3
	v_lshlrev_b32_e32 v3, 25, v3
	v_lshrrev_b32_e32 v5, 4, v3
	v_and_or_b32 v6, v4, s4, 0.5
	v_or_b32_e32 v5, 0x70000000, v5
	v_add_f32_e32 v6, -0.5, v6
	v_mul_f32_e32 v5, 0x7800000, v5
	v_cmp_gt_u32_e32 vcc, s5, v3
	v_bfe_i32 v4, v4, 0, 16
	v_cndmask_b32_e32 v3, v5, v6, vcc
	s_brev_b32 s4, 1
	v_and_or_b32 v3, v4, s4, v3
	v_cvt_i32_f32_e32 v6, v3
.LBB78_1071:
	s_mov_b64 s[20:21], -1
	s_mov_b64 s[4:5], 0
	s_cbranch_execnz .LBB78_1082
.LBB78_1072:
	s_cmp_gt_i32 s15, 14
	s_cbranch_scc0 .LBB78_1075
; %bb.1073:
	s_cmp_eq_u32 s15, 15
	s_cbranch_scc0 .LBB78_1078
; %bb.1074:
	global_load_ushort v3, v[0:1], off
	s_mov_b64 s[0:1], 0
	s_mov_b64 s[20:21], -1
	s_waitcnt vmcnt(0)
	v_lshlrev_b32_e32 v3, 16, v3
	v_cvt_i32_f32_e32 v6, v3
	s_branch .LBB78_1079
.LBB78_1075:
	s_mov_b64 s[18:19], -1
                                        ; implicit-def: $vgpr6
	s_branch .LBB78_1080
.LBB78_1076:
	s_andn2_saveexec_b64 s[4:5], s[4:5]
	s_cbranch_execz .LBB78_1058
.LBB78_1077:
	v_cmp_ne_u16_e32 vcc, 0, v3
	s_andn2_b64 s[18:19], s[18:19], exec
	s_and_b64 s[20:21], vcc, exec
	s_or_b64 s[18:19], s[18:19], s[20:21]
	s_or_b64 exec, exec, s[4:5]
	v_mov_b32_e32 v6, 0
	s_and_saveexec_b64 s[4:5], s[18:19]
	s_cbranch_execnz .LBB78_1059
	s_branch .LBB78_1060
.LBB78_1078:
	s_mov_b64 s[0:1], -1
                                        ; implicit-def: $vgpr6
.LBB78_1079:
	s_mov_b64 s[18:19], 0
.LBB78_1080:
	s_and_b64 vcc, exec, s[18:19]
	s_cbranch_vccz .LBB78_1082
; %bb.1081:
	s_cmp_lg_u32 s15, 11
	s_mov_b64 s[4:5], -1
	s_cselect_b64 s[0:1], -1, 0
.LBB78_1082:
	s_and_b64 vcc, exec, s[0:1]
	s_mov_b64 s[18:19], s[16:17]
	s_cbranch_vccnz .LBB78_1143
; %bb.1083:
	s_andn2_b64 vcc, exec, s[4:5]
	s_cbranch_vccnz .LBB78_1085
.LBB78_1084:
	global_load_ubyte v3, v[0:1], off
	s_mov_b64 s[20:21], -1
	s_waitcnt vmcnt(0)
	v_cmp_ne_u16_e32 vcc, 0, v3
	v_cndmask_b32_e64 v6, 0, 1, vcc
.LBB78_1085:
	s_branch .LBB78_1020
.LBB78_1086:
	s_cmp_lt_i32 s15, 5
	s_cbranch_scc1 .LBB78_1091
; %bb.1087:
	s_cmp_lt_i32 s15, 8
	s_cbranch_scc1 .LBB78_1092
; %bb.1088:
	s_cmp_lt_i32 s15, 9
	s_cbranch_scc1 .LBB78_1093
; %bb.1089:
	s_cmp_gt_i32 s15, 9
	s_cbranch_scc0 .LBB78_1094
; %bb.1090:
	global_load_dwordx2 v[3:4], v[0:1], off
	s_mov_b64 s[0:1], 0
	s_waitcnt vmcnt(0)
	v_cvt_i32_f64_e32 v6, v[3:4]
	s_branch .LBB78_1095
.LBB78_1091:
                                        ; implicit-def: $vgpr6
	s_branch .LBB78_1112
.LBB78_1092:
                                        ; implicit-def: $vgpr6
	s_branch .LBB78_1101
.LBB78_1093:
	s_mov_b64 s[0:1], -1
                                        ; implicit-def: $vgpr6
	s_branch .LBB78_1098
.LBB78_1094:
	s_mov_b64 s[0:1], -1
                                        ; implicit-def: $vgpr6
.LBB78_1095:
	s_andn2_b64 vcc, exec, s[0:1]
	s_cbranch_vccnz .LBB78_1097
; %bb.1096:
	global_load_dword v3, v[0:1], off
	s_waitcnt vmcnt(0)
	v_cvt_i32_f32_e32 v6, v3
.LBB78_1097:
	s_mov_b64 s[0:1], 0
.LBB78_1098:
	s_andn2_b64 vcc, exec, s[0:1]
	s_cbranch_vccnz .LBB78_1100
; %bb.1099:
	global_load_dword v3, v[0:1], off
	s_waitcnt vmcnt(0)
	v_cvt_i16_f16_e32 v6, v3
.LBB78_1100:
	s_cbranch_execnz .LBB78_1111
.LBB78_1101:
	s_cmp_lt_i32 s15, 6
	s_cbranch_scc1 .LBB78_1104
; %bb.1102:
	s_cmp_gt_i32 s15, 6
	s_cbranch_scc0 .LBB78_1105
; %bb.1103:
	global_load_dwordx2 v[3:4], v[0:1], off
	s_mov_b64 s[0:1], 0
	s_waitcnt vmcnt(0)
	v_cvt_i32_f64_e32 v6, v[3:4]
	s_branch .LBB78_1106
.LBB78_1104:
	s_mov_b64 s[0:1], -1
                                        ; implicit-def: $vgpr6
	s_branch .LBB78_1109
.LBB78_1105:
	s_mov_b64 s[0:1], -1
                                        ; implicit-def: $vgpr6
.LBB78_1106:
	s_andn2_b64 vcc, exec, s[0:1]
	s_cbranch_vccnz .LBB78_1108
; %bb.1107:
	global_load_dword v3, v[0:1], off
	s_waitcnt vmcnt(0)
	v_cvt_i32_f32_e32 v6, v3
.LBB78_1108:
	s_mov_b64 s[0:1], 0
.LBB78_1109:
	s_andn2_b64 vcc, exec, s[0:1]
	s_cbranch_vccnz .LBB78_1111
; %bb.1110:
	global_load_ushort v3, v[0:1], off
	s_waitcnt vmcnt(0)
	v_cvt_i16_f16_e32 v6, v3
.LBB78_1111:
	s_cbranch_execnz .LBB78_1130
.LBB78_1112:
	s_cmp_lt_i32 s15, 2
	s_cbranch_scc1 .LBB78_1116
; %bb.1113:
	s_cmp_lt_i32 s15, 3
	s_cbranch_scc1 .LBB78_1117
; %bb.1114:
	s_cmp_gt_i32 s15, 3
	s_cbranch_scc0 .LBB78_1118
; %bb.1115:
	global_load_dwordx2 v[6:7], v[0:1], off
	s_mov_b64 s[0:1], 0
	s_branch .LBB78_1119
.LBB78_1116:
                                        ; implicit-def: $vgpr6
	s_branch .LBB78_1125
.LBB78_1117:
	s_mov_b64 s[0:1], -1
                                        ; implicit-def: $vgpr6
	s_branch .LBB78_1122
.LBB78_1118:
	s_mov_b64 s[0:1], -1
                                        ; implicit-def: $vgpr6
.LBB78_1119:
	s_andn2_b64 vcc, exec, s[0:1]
	s_cbranch_vccnz .LBB78_1121
; %bb.1120:
	global_load_dword v6, v[0:1], off
.LBB78_1121:
	s_mov_b64 s[0:1], 0
.LBB78_1122:
	s_andn2_b64 vcc, exec, s[0:1]
	s_cbranch_vccnz .LBB78_1124
; %bb.1123:
	global_load_ushort v6, v[0:1], off
.LBB78_1124:
	s_cbranch_execnz .LBB78_1130
.LBB78_1125:
	s_cmp_gt_i32 s15, 0
	s_cbranch_scc0 .LBB78_1127
; %bb.1126:
	global_load_sbyte v6, v[0:1], off
	s_mov_b64 s[0:1], 0
	s_branch .LBB78_1128
.LBB78_1127:
	s_mov_b64 s[0:1], -1
                                        ; implicit-def: $vgpr6
.LBB78_1128:
	s_andn2_b64 vcc, exec, s[0:1]
	s_cbranch_vccnz .LBB78_1130
; %bb.1129:
	global_load_ubyte v6, v[0:1], off
.LBB78_1130:
.LBB78_1131:
	s_lshl_b32 s13, s13, 7
	v_add_u32_e32 v2, s13, v2
	v_ashrrev_i32_e32 v1, 31, v2
	v_mov_b32_e32 v3, s11
	v_add_co_u32_e32 v0, vcc, s10, v2
	s_cmp_lt_i32 s15, 11
	v_addc_co_u32_e32 v1, vcc, v3, v1, vcc
	s_cbranch_scc1 .LBB78_1138
; %bb.1132:
	s_cmp_gt_i32 s15, 25
	s_mov_b64 s[4:5], 0
	s_cbranch_scc0 .LBB78_1140
; %bb.1133:
	s_cmp_gt_i32 s15, 28
	s_cbranch_scc0 .LBB78_1141
; %bb.1134:
	s_cmp_gt_i32 s15, 43
	;; [unrolled: 3-line block ×3, first 2 shown]
	s_cbranch_scc0 .LBB78_1144
; %bb.1136:
	s_cmp_eq_u32 s15, 46
	s_mov_b64 s[22:23], 0
	s_cbranch_scc0 .LBB78_1147
; %bb.1137:
	global_load_dword v3, v[0:1], off
	s_mov_b64 s[0:1], 0
	s_mov_b64 s[20:21], -1
	s_waitcnt vmcnt(0)
	v_lshlrev_b32_e32 v3, 16, v3
	v_cvt_i32_f32_e32 v4, v3
	s_branch .LBB78_1148
.LBB78_1138:
	s_mov_b64 s[20:21], 0
                                        ; implicit-def: $vgpr4
	s_cbranch_execnz .LBB78_1209
.LBB78_1139:
	s_andn2_b64 vcc, exec, s[20:21]
	s_cbranch_vccnz .LBB78_1940
	s_branch .LBB78_1256
.LBB78_1140:
	s_mov_b64 s[20:21], 0
	s_mov_b64 s[0:1], 0
                                        ; implicit-def: $vgpr4
	s_cbranch_execnz .LBB78_1175
	s_branch .LBB78_1205
.LBB78_1141:
	s_mov_b64 s[22:23], -1
	s_mov_b64 s[20:21], 0
	s_mov_b64 s[0:1], 0
                                        ; implicit-def: $vgpr4
	s_branch .LBB78_1158
.LBB78_1142:
	s_mov_b64 s[22:23], -1
	s_mov_b64 s[20:21], 0
	s_mov_b64 s[0:1], 0
                                        ; implicit-def: $vgpr4
	s_branch .LBB78_1153
.LBB78_1143:
	s_or_b64 s[18:19], s[16:17], exec
	s_trap 2
	s_cbranch_execz .LBB78_1084
	s_branch .LBB78_1085
.LBB78_1144:
	s_mov_b64 s[22:23], -1
	s_mov_b64 s[20:21], 0
	s_mov_b64 s[0:1], 0
                                        ; implicit-def: $vgpr4
	s_branch .LBB78_1148
.LBB78_1145:
	s_andn2_saveexec_b64 s[30:31], s[30:31]
	s_cbranch_execz .LBB78_932
.LBB78_1146:
	v_add_f32_e32 v2, 0x42800000, v3
	v_and_b32_e32 v2, 0xff, v2
	v_cmp_ne_u32_e32 vcc, 0, v2
	s_andn2_b64 s[28:29], s[28:29], exec
	s_and_b64 s[36:37], vcc, exec
	s_or_b64 s[28:29], s[28:29], s[36:37]
	s_or_b64 exec, exec, s[30:31]
	v_mov_b32_e32 v4, 0
	s_and_saveexec_b64 s[30:31], s[28:29]
	s_cbranch_execnz .LBB78_933
	s_branch .LBB78_934
.LBB78_1147:
	s_mov_b64 s[0:1], -1
                                        ; implicit-def: $vgpr4
	s_mov_b64 s[20:21], 0
.LBB78_1148:
	s_and_b64 vcc, exec, s[22:23]
	s_cbranch_vccz .LBB78_1152
; %bb.1149:
	s_cmp_eq_u32 s15, 44
	s_cbranch_scc0 .LBB78_1151
; %bb.1150:
	global_load_ubyte v3, v[0:1], off
	s_mov_b64 s[0:1], 0
	s_mov_b64 s[20:21], -1
	s_waitcnt vmcnt(0)
	v_lshlrev_b32_e32 v4, 23, v3
	v_cvt_i32_f32_e32 v4, v4
	v_cmp_ne_u32_e32 vcc, 0, v3
	v_cndmask_b32_e32 v4, 0, v4, vcc
	s_branch .LBB78_1152
.LBB78_1151:
	s_mov_b64 s[0:1], -1
                                        ; implicit-def: $vgpr4
.LBB78_1152:
	s_mov_b64 s[22:23], 0
.LBB78_1153:
	s_and_b64 vcc, exec, s[22:23]
	s_cbranch_vccz .LBB78_1157
; %bb.1154:
	s_cmp_eq_u32 s15, 29
	s_cbranch_scc0 .LBB78_1156
; %bb.1155:
	global_load_dwordx2 v[4:5], v[0:1], off
	s_mov_b64 s[0:1], 0
	s_mov_b64 s[20:21], -1
	s_branch .LBB78_1157
.LBB78_1156:
	s_mov_b64 s[0:1], -1
                                        ; implicit-def: $vgpr4
.LBB78_1157:
	s_mov_b64 s[22:23], 0
.LBB78_1158:
	s_and_b64 vcc, exec, s[22:23]
	s_cbranch_vccz .LBB78_1174
; %bb.1159:
	s_cmp_lt_i32 s15, 27
	s_cbranch_scc1 .LBB78_1162
; %bb.1160:
	s_cmp_gt_i32 s15, 27
	s_cbranch_scc0 .LBB78_1163
; %bb.1161:
	global_load_dword v4, v[0:1], off
	s_mov_b64 s[20:21], 0
	s_branch .LBB78_1164
.LBB78_1162:
	s_mov_b64 s[20:21], -1
                                        ; implicit-def: $vgpr4
	s_branch .LBB78_1167
.LBB78_1163:
	s_mov_b64 s[20:21], -1
                                        ; implicit-def: $vgpr4
.LBB78_1164:
	s_andn2_b64 vcc, exec, s[20:21]
	s_cbranch_vccnz .LBB78_1166
; %bb.1165:
	global_load_ushort v4, v[0:1], off
.LBB78_1166:
	s_mov_b64 s[20:21], 0
.LBB78_1167:
	s_andn2_b64 vcc, exec, s[20:21]
	s_cbranch_vccnz .LBB78_1173
; %bb.1168:
	global_load_ubyte v3, v[0:1], off
	s_movk_i32 s20, 0x7f
	s_mov_b64 s[22:23], 0
	s_waitcnt vmcnt(0)
	v_cmp_lt_i16_e32 vcc, s20, v3
	s_and_saveexec_b64 s[20:21], vcc
	s_xor_b64 s[20:21], exec, s[20:21]
	s_cbranch_execz .LBB78_1184
; %bb.1169:
	s_movk_i32 s22, 0x80
	v_cmp_ne_u16_e32 vcc, s22, v3
	s_and_b64 s[22:23], vcc, exec
	s_andn2_saveexec_b64 s[20:21], s[20:21]
	s_cbranch_execnz .LBB78_1185
.LBB78_1170:
	s_or_b64 exec, exec, s[20:21]
	v_mov_b32_e32 v4, 0
	s_and_saveexec_b64 s[20:21], s[22:23]
	s_cbranch_execz .LBB78_1172
.LBB78_1171:
	v_lshlrev_b32_e32 v4, 24, v3
	v_and_b32_e32 v3, 0xffff, v3
	v_and_b32_e32 v5, 7, v3
	v_ffbh_u32_e32 v8, v5
	v_min_u32_e32 v8, 32, v8
	v_subrev_u32_e32 v10, 28, v8
	v_bfe_u32 v7, v3, 3, 4
	v_lshlrev_b32_e32 v3, v10, v3
	v_sub_u32_e32 v8, 29, v8
	v_and_b32_e32 v3, 7, v3
	v_cmp_eq_u32_e32 vcc, 0, v7
	v_cndmask_b32_e32 v7, v7, v8, vcc
	v_cndmask_b32_e32 v3, v5, v3, vcc
	v_mov_b32_e32 v5, 0x3b800000
	v_lshlrev_b32_e32 v3, 20, v3
	v_and_b32_e32 v4, 0x80000000, v4
	v_lshl_add_u32 v5, v7, 23, v5
	v_or3_b32 v3, v4, v5, v3
	v_cvt_i32_f32_e32 v4, v3
.LBB78_1172:
	s_or_b64 exec, exec, s[20:21]
.LBB78_1173:
	s_mov_b64 s[20:21], -1
.LBB78_1174:
	s_branch .LBB78_1205
.LBB78_1175:
	s_cmp_gt_i32 s15, 22
	s_cbranch_scc0 .LBB78_1183
; %bb.1176:
	s_cmp_lt_i32 s15, 24
	s_cbranch_scc1 .LBB78_1186
; %bb.1177:
	s_cmp_gt_i32 s15, 24
	s_cbranch_scc0 .LBB78_1187
; %bb.1178:
	global_load_ubyte v3, v[0:1], off
	s_movk_i32 s4, 0x7f
	s_mov_b64 s[20:21], 0
	s_waitcnt vmcnt(0)
	v_cmp_lt_i16_e32 vcc, s4, v3
	s_and_saveexec_b64 s[4:5], vcc
	s_xor_b64 s[4:5], exec, s[4:5]
	s_cbranch_execz .LBB78_1199
; %bb.1179:
	s_movk_i32 s20, 0x80
	v_cmp_ne_u16_e32 vcc, s20, v3
	s_and_b64 s[20:21], vcc, exec
	s_andn2_saveexec_b64 s[4:5], s[4:5]
	s_cbranch_execnz .LBB78_1200
.LBB78_1180:
	s_or_b64 exec, exec, s[4:5]
	v_mov_b32_e32 v4, 0
	s_and_saveexec_b64 s[4:5], s[20:21]
	s_cbranch_execz .LBB78_1182
.LBB78_1181:
	v_lshlrev_b32_e32 v4, 24, v3
	v_and_b32_e32 v3, 0xffff, v3
	v_and_b32_e32 v5, 3, v3
	v_ffbh_u32_e32 v8, v5
	v_min_u32_e32 v8, 32, v8
	v_subrev_u32_e32 v10, 29, v8
	v_bfe_u32 v7, v3, 2, 5
	v_lshlrev_b32_e32 v3, v10, v3
	v_sub_u32_e32 v8, 30, v8
	v_and_b32_e32 v3, 3, v3
	v_cmp_eq_u32_e32 vcc, 0, v7
	v_cndmask_b32_e32 v7, v7, v8, vcc
	v_cndmask_b32_e32 v3, v5, v3, vcc
	v_mov_b32_e32 v5, 0x37800000
	v_lshlrev_b32_e32 v3, 21, v3
	v_and_b32_e32 v4, 0x80000000, v4
	v_lshl_add_u32 v5, v7, 23, v5
	v_or3_b32 v3, v4, v5, v3
	v_cvt_i32_f32_e32 v4, v3
.LBB78_1182:
	s_or_b64 exec, exec, s[4:5]
	s_mov_b64 s[4:5], 0
	s_branch .LBB78_1188
.LBB78_1183:
	s_mov_b64 s[4:5], -1
                                        ; implicit-def: $vgpr4
	s_branch .LBB78_1194
.LBB78_1184:
	s_andn2_saveexec_b64 s[20:21], s[20:21]
	s_cbranch_execz .LBB78_1170
.LBB78_1185:
	v_cmp_ne_u16_e32 vcc, 0, v3
	s_andn2_b64 s[22:23], s[22:23], exec
	s_and_b64 s[24:25], vcc, exec
	s_or_b64 s[22:23], s[22:23], s[24:25]
	s_or_b64 exec, exec, s[20:21]
	v_mov_b32_e32 v4, 0
	s_and_saveexec_b64 s[20:21], s[22:23]
	s_cbranch_execnz .LBB78_1171
	s_branch .LBB78_1172
.LBB78_1186:
	s_mov_b64 s[4:5], -1
                                        ; implicit-def: $vgpr4
	s_branch .LBB78_1191
.LBB78_1187:
	s_mov_b64 s[4:5], -1
                                        ; implicit-def: $vgpr4
.LBB78_1188:
	s_and_b64 vcc, exec, s[4:5]
	s_cbranch_vccz .LBB78_1190
; %bb.1189:
	global_load_ubyte v3, v[0:1], off
	s_mov_b32 s4, 0x7f800000
	s_waitcnt vmcnt(0)
	v_lshlrev_b32_e32 v3, 24, v3
	v_and_b32_e32 v4, 0x7f000000, v3
	v_ffbh_u32_e32 v5, v4
	v_min_u32_e32 v5, 32, v5
	v_sub_u32_e64 v5, v5, 4 clamp
	v_lshlrev_b32_e32 v8, v5, v4
	v_lshlrev_b32_e32 v5, 23, v5
	v_lshrrev_b32_e32 v8, 4, v8
	v_add_u32_e32 v7, 0x1000000, v4
	v_sub_u32_e32 v5, v8, v5
	v_ashrrev_i32_e32 v7, 8, v7
	v_add_u32_e32 v5, 0x3c000000, v5
	v_and_or_b32 v5, v7, s4, v5
	v_cmp_ne_u32_e32 vcc, 0, v4
	v_cndmask_b32_e32 v4, 0, v5, vcc
	s_brev_b32 s4, 1
	v_and_or_b32 v3, v3, s4, v4
	v_cvt_i32_f32_e32 v4, v3
.LBB78_1190:
	s_mov_b64 s[4:5], 0
.LBB78_1191:
	s_andn2_b64 vcc, exec, s[4:5]
	s_cbranch_vccnz .LBB78_1193
; %bb.1192:
	global_load_ubyte v3, v[0:1], off
	s_movk_i32 s4, 0x7f00
	s_brev_b32 s5, 16
	s_waitcnt vmcnt(0)
	v_lshlrev_b16_e32 v4, 8, v3
	v_lshlrev_b32_e32 v3, 25, v3
	v_lshrrev_b32_e32 v5, 4, v3
	v_and_or_b32 v7, v4, s4, 0.5
	v_or_b32_e32 v5, 0x70000000, v5
	v_add_f32_e32 v7, -0.5, v7
	v_mul_f32_e32 v5, 0x7800000, v5
	v_cmp_gt_u32_e32 vcc, s5, v3
	v_bfe_i32 v4, v4, 0, 16
	v_cndmask_b32_e32 v3, v5, v7, vcc
	s_brev_b32 s4, 1
	v_and_or_b32 v3, v4, s4, v3
	v_cvt_i32_f32_e32 v4, v3
.LBB78_1193:
	s_mov_b64 s[4:5], 0
	s_mov_b64 s[20:21], -1
.LBB78_1194:
	s_andn2_b64 vcc, exec, s[4:5]
	s_mov_b64 s[4:5], 0
	s_cbranch_vccnz .LBB78_1205
; %bb.1195:
	s_cmp_gt_i32 s15, 14
	s_cbranch_scc0 .LBB78_1198
; %bb.1196:
	s_cmp_eq_u32 s15, 15
	s_cbranch_scc0 .LBB78_1201
; %bb.1197:
	global_load_ushort v3, v[0:1], off
	s_mov_b64 s[0:1], 0
	s_mov_b64 s[20:21], -1
	s_waitcnt vmcnt(0)
	v_lshlrev_b32_e32 v3, 16, v3
	v_cvt_i32_f32_e32 v4, v3
	s_branch .LBB78_1202
.LBB78_1198:
	s_mov_b64 s[22:23], -1
                                        ; implicit-def: $vgpr4
	s_branch .LBB78_1203
.LBB78_1199:
	s_andn2_saveexec_b64 s[4:5], s[4:5]
	s_cbranch_execz .LBB78_1180
.LBB78_1200:
	v_cmp_ne_u16_e32 vcc, 0, v3
	s_andn2_b64 s[20:21], s[20:21], exec
	s_and_b64 s[22:23], vcc, exec
	s_or_b64 s[20:21], s[20:21], s[22:23]
	s_or_b64 exec, exec, s[4:5]
	v_mov_b32_e32 v4, 0
	s_and_saveexec_b64 s[4:5], s[20:21]
	s_cbranch_execnz .LBB78_1181
	s_branch .LBB78_1182
.LBB78_1201:
	s_mov_b64 s[0:1], -1
                                        ; implicit-def: $vgpr4
.LBB78_1202:
	s_mov_b64 s[22:23], 0
.LBB78_1203:
	s_and_b64 vcc, exec, s[22:23]
	s_cbranch_vccz .LBB78_1205
; %bb.1204:
	s_cmp_lg_u32 s15, 11
	s_mov_b64 s[4:5], -1
	s_cselect_b64 s[0:1], -1, 0
.LBB78_1205:
	s_and_b64 vcc, exec, s[0:1]
	s_cbranch_vccnz .LBB78_1268
; %bb.1206:
	s_andn2_b64 vcc, exec, s[4:5]
	s_cbranch_vccnz .LBB78_1208
.LBB78_1207:
	global_load_ubyte v3, v[0:1], off
	s_mov_b64 s[20:21], -1
	s_waitcnt vmcnt(0)
	v_cmp_ne_u16_e32 vcc, 0, v3
	v_cndmask_b32_e64 v4, 0, 1, vcc
.LBB78_1208:
	s_branch .LBB78_1139
.LBB78_1209:
	s_cmp_lt_i32 s15, 5
	s_cbranch_scc1 .LBB78_1214
; %bb.1210:
	s_cmp_lt_i32 s15, 8
	s_cbranch_scc1 .LBB78_1215
; %bb.1211:
	;; [unrolled: 3-line block ×3, first 2 shown]
	s_cmp_gt_i32 s15, 9
	s_cbranch_scc0 .LBB78_1217
; %bb.1213:
	global_load_dwordx2 v[3:4], v[0:1], off
	s_mov_b64 s[0:1], 0
	s_waitcnt vmcnt(0)
	v_cvt_i32_f64_e32 v4, v[3:4]
	s_branch .LBB78_1218
.LBB78_1214:
                                        ; implicit-def: $vgpr4
	s_branch .LBB78_1236
.LBB78_1215:
	s_mov_b64 s[0:1], -1
                                        ; implicit-def: $vgpr4
	s_branch .LBB78_1224
.LBB78_1216:
	s_mov_b64 s[0:1], -1
                                        ; implicit-def: $vgpr4
	s_branch .LBB78_1221
.LBB78_1217:
	s_mov_b64 s[0:1], -1
                                        ; implicit-def: $vgpr4
.LBB78_1218:
	s_andn2_b64 vcc, exec, s[0:1]
	s_cbranch_vccnz .LBB78_1220
; %bb.1219:
	global_load_dword v3, v[0:1], off
	s_waitcnt vmcnt(0)
	v_cvt_i32_f32_e32 v4, v3
.LBB78_1220:
	s_mov_b64 s[0:1], 0
.LBB78_1221:
	s_andn2_b64 vcc, exec, s[0:1]
	s_cbranch_vccnz .LBB78_1223
; %bb.1222:
	global_load_dword v3, v[0:1], off
	s_waitcnt vmcnt(0)
	v_cvt_i16_f16_e32 v4, v3
.LBB78_1223:
	s_mov_b64 s[0:1], 0
.LBB78_1224:
	s_andn2_b64 vcc, exec, s[0:1]
	s_cbranch_vccnz .LBB78_1235
; %bb.1225:
	s_cmp_lt_i32 s15, 6
	s_cbranch_scc1 .LBB78_1228
; %bb.1226:
	s_cmp_gt_i32 s15, 6
	s_cbranch_scc0 .LBB78_1229
; %bb.1227:
	global_load_dwordx2 v[3:4], v[0:1], off
	s_mov_b64 s[0:1], 0
	s_waitcnt vmcnt(0)
	v_cvt_i32_f64_e32 v4, v[3:4]
	s_branch .LBB78_1230
.LBB78_1228:
	s_mov_b64 s[0:1], -1
                                        ; implicit-def: $vgpr4
	s_branch .LBB78_1233
.LBB78_1229:
	s_mov_b64 s[0:1], -1
                                        ; implicit-def: $vgpr4
.LBB78_1230:
	s_andn2_b64 vcc, exec, s[0:1]
	s_cbranch_vccnz .LBB78_1232
; %bb.1231:
	global_load_dword v3, v[0:1], off
	s_waitcnt vmcnt(0)
	v_cvt_i32_f32_e32 v4, v3
.LBB78_1232:
	s_mov_b64 s[0:1], 0
.LBB78_1233:
	s_andn2_b64 vcc, exec, s[0:1]
	s_cbranch_vccnz .LBB78_1235
; %bb.1234:
	global_load_ushort v3, v[0:1], off
	s_waitcnt vmcnt(0)
	v_cvt_i16_f16_e32 v4, v3
.LBB78_1235:
	s_cbranch_execnz .LBB78_1255
.LBB78_1236:
	s_cmp_lt_i32 s15, 2
	s_cbranch_scc1 .LBB78_1240
; %bb.1237:
	s_cmp_lt_i32 s15, 3
	s_cbranch_scc1 .LBB78_1241
; %bb.1238:
	s_cmp_gt_i32 s15, 3
	s_cbranch_scc0 .LBB78_1242
; %bb.1239:
	global_load_dwordx2 v[4:5], v[0:1], off
	s_mov_b64 s[0:1], 0
	s_branch .LBB78_1243
.LBB78_1240:
	s_mov_b64 s[0:1], -1
                                        ; implicit-def: $vgpr4
	s_branch .LBB78_1249
.LBB78_1241:
	s_mov_b64 s[0:1], -1
                                        ; implicit-def: $vgpr4
	s_branch .LBB78_1246
.LBB78_1242:
	s_mov_b64 s[0:1], -1
                                        ; implicit-def: $vgpr4
.LBB78_1243:
	s_andn2_b64 vcc, exec, s[0:1]
	s_cbranch_vccnz .LBB78_1245
; %bb.1244:
	global_load_dword v4, v[0:1], off
.LBB78_1245:
	s_mov_b64 s[0:1], 0
.LBB78_1246:
	s_andn2_b64 vcc, exec, s[0:1]
	s_cbranch_vccnz .LBB78_1248
; %bb.1247:
	global_load_ushort v4, v[0:1], off
.LBB78_1248:
	s_mov_b64 s[0:1], 0
.LBB78_1249:
	s_andn2_b64 vcc, exec, s[0:1]
	s_cbranch_vccnz .LBB78_1255
; %bb.1250:
	s_cmp_gt_i32 s15, 0
	s_cbranch_scc0 .LBB78_1252
; %bb.1251:
	global_load_sbyte v4, v[0:1], off
	s_mov_b64 s[0:1], 0
	s_branch .LBB78_1253
.LBB78_1252:
	s_mov_b64 s[0:1], -1
                                        ; implicit-def: $vgpr4
.LBB78_1253:
	s_andn2_b64 vcc, exec, s[0:1]
	s_cbranch_vccnz .LBB78_1255
; %bb.1254:
	global_load_ubyte v4, v[0:1], off
.LBB78_1255:
.LBB78_1256:
	s_waitcnt vmcnt(0)
	v_add_u32_e32 v5, s13, v2
	v_ashrrev_i32_e32 v1, 31, v5
	v_mov_b32_e32 v2, s11
	v_add_co_u32_e32 v0, vcc, s10, v5
	s_cmp_lt_i32 s15, 11
	v_addc_co_u32_e32 v1, vcc, v2, v1, vcc
	s_cbranch_scc1 .LBB78_1263
; %bb.1257:
	s_cmp_gt_i32 s15, 25
	s_mov_b64 s[4:5], 0
	s_cbranch_scc0 .LBB78_1265
; %bb.1258:
	s_cmp_gt_i32 s15, 28
	s_cbranch_scc0 .LBB78_1266
; %bb.1259:
	s_cmp_gt_i32 s15, 43
	s_cbranch_scc0 .LBB78_1267
; %bb.1260:
	s_cmp_gt_i32 s15, 45
	s_cbranch_scc0 .LBB78_1269
; %bb.1261:
	s_cmp_eq_u32 s15, 46
	s_mov_b64 s[22:23], 0
	s_cbranch_scc0 .LBB78_1270
; %bb.1262:
	global_load_dword v2, v[0:1], off
	s_mov_b64 s[0:1], 0
	s_mov_b64 s[20:21], -1
	s_waitcnt vmcnt(0)
	v_lshlrev_b32_e32 v2, 16, v2
	v_cvt_i32_f32_e32 v2, v2
	s_branch .LBB78_1271
.LBB78_1263:
	s_mov_b64 s[20:21], 0
                                        ; implicit-def: $vgpr2
	s_cbranch_execnz .LBB78_1333
.LBB78_1264:
	s_andn2_b64 vcc, exec, s[20:21]
	s_cbranch_vccnz .LBB78_1940
	s_branch .LBB78_1381
.LBB78_1265:
	s_mov_b64 s[22:23], -1
	s_mov_b64 s[20:21], 0
	s_mov_b64 s[0:1], 0
                                        ; implicit-def: $vgpr2
	s_branch .LBB78_1298
.LBB78_1266:
	s_mov_b64 s[22:23], -1
	s_mov_b64 s[20:21], 0
	s_mov_b64 s[0:1], 0
                                        ; implicit-def: $vgpr2
	s_branch .LBB78_1281
.LBB78_1267:
	s_mov_b64 s[22:23], -1
	s_mov_b64 s[20:21], 0
	s_mov_b64 s[0:1], 0
                                        ; implicit-def: $vgpr2
	s_branch .LBB78_1276
.LBB78_1268:
	s_trap 2
	s_or_b64 s[18:19], s[18:19], exec
	s_cbranch_execz .LBB78_1207
	s_branch .LBB78_1208
.LBB78_1269:
	s_mov_b64 s[22:23], -1
	s_mov_b64 s[20:21], 0
	s_mov_b64 s[0:1], 0
                                        ; implicit-def: $vgpr2
	s_branch .LBB78_1271
.LBB78_1270:
	s_mov_b64 s[0:1], -1
                                        ; implicit-def: $vgpr2
	s_mov_b64 s[20:21], 0
.LBB78_1271:
	s_and_b64 vcc, exec, s[22:23]
	s_cbranch_vccz .LBB78_1275
; %bb.1272:
	s_cmp_eq_u32 s15, 44
	s_cbranch_scc0 .LBB78_1274
; %bb.1273:
	global_load_ubyte v2, v[0:1], off
	s_mov_b64 s[0:1], 0
	s_mov_b64 s[20:21], -1
	s_waitcnt vmcnt(0)
	v_lshlrev_b32_e32 v3, 23, v2
	v_cvt_i32_f32_e32 v3, v3
	v_cmp_ne_u32_e32 vcc, 0, v2
	v_cndmask_b32_e32 v2, 0, v3, vcc
	s_branch .LBB78_1275
.LBB78_1274:
	s_mov_b64 s[0:1], -1
                                        ; implicit-def: $vgpr2
.LBB78_1275:
	s_mov_b64 s[22:23], 0
.LBB78_1276:
	s_and_b64 vcc, exec, s[22:23]
	s_cbranch_vccz .LBB78_1280
; %bb.1277:
	s_cmp_eq_u32 s15, 29
	s_cbranch_scc0 .LBB78_1279
; %bb.1278:
	global_load_dwordx2 v[2:3], v[0:1], off
	s_mov_b64 s[0:1], 0
	s_mov_b64 s[20:21], -1
	s_branch .LBB78_1280
.LBB78_1279:
	s_mov_b64 s[0:1], -1
                                        ; implicit-def: $vgpr2
.LBB78_1280:
	s_mov_b64 s[22:23], 0
.LBB78_1281:
	s_and_b64 vcc, exec, s[22:23]
	s_cbranch_vccz .LBB78_1297
; %bb.1282:
	s_cmp_lt_i32 s15, 27
	s_cbranch_scc1 .LBB78_1285
; %bb.1283:
	s_cmp_gt_i32 s15, 27
	s_cbranch_scc0 .LBB78_1286
; %bb.1284:
	global_load_dword v2, v[0:1], off
	s_mov_b64 s[20:21], 0
	s_branch .LBB78_1287
.LBB78_1285:
	s_mov_b64 s[20:21], -1
                                        ; implicit-def: $vgpr2
	s_branch .LBB78_1290
.LBB78_1286:
	s_mov_b64 s[20:21], -1
                                        ; implicit-def: $vgpr2
.LBB78_1287:
	s_andn2_b64 vcc, exec, s[20:21]
	s_cbranch_vccnz .LBB78_1289
; %bb.1288:
	global_load_ushort v2, v[0:1], off
.LBB78_1289:
	s_mov_b64 s[20:21], 0
.LBB78_1290:
	s_andn2_b64 vcc, exec, s[20:21]
	s_cbranch_vccnz .LBB78_1296
; %bb.1291:
	global_load_ubyte v3, v[0:1], off
	s_movk_i32 s20, 0x7f
	s_mov_b64 s[22:23], 0
	s_waitcnt vmcnt(0)
	v_cmp_lt_i16_e32 vcc, s20, v3
	s_and_saveexec_b64 s[20:21], vcc
	s_xor_b64 s[20:21], exec, s[20:21]
	s_cbranch_execz .LBB78_1308
; %bb.1292:
	s_movk_i32 s22, 0x80
	v_cmp_ne_u16_e32 vcc, s22, v3
	s_and_b64 s[22:23], vcc, exec
	s_andn2_saveexec_b64 s[20:21], s[20:21]
	s_cbranch_execnz .LBB78_1309
.LBB78_1293:
	s_or_b64 exec, exec, s[20:21]
	v_mov_b32_e32 v2, 0
	s_and_saveexec_b64 s[20:21], s[22:23]
	s_cbranch_execz .LBB78_1295
.LBB78_1294:
	v_lshlrev_b32_e32 v2, 24, v3
	v_and_b32_e32 v3, 0xffff, v3
	v_and_b32_e32 v7, 7, v3
	v_ffbh_u32_e32 v10, v7
	v_min_u32_e32 v10, 32, v10
	v_subrev_u32_e32 v11, 28, v10
	v_bfe_u32 v8, v3, 3, 4
	v_lshlrev_b32_e32 v3, v11, v3
	v_sub_u32_e32 v10, 29, v10
	v_and_b32_e32 v3, 7, v3
	v_cmp_eq_u32_e32 vcc, 0, v8
	v_cndmask_b32_e32 v8, v8, v10, vcc
	v_cndmask_b32_e32 v3, v7, v3, vcc
	v_mov_b32_e32 v7, 0x3b800000
	v_lshlrev_b32_e32 v3, 20, v3
	v_and_b32_e32 v2, 0x80000000, v2
	v_lshl_add_u32 v7, v8, 23, v7
	v_or3_b32 v2, v2, v7, v3
	v_cvt_i32_f32_e32 v2, v2
.LBB78_1295:
	s_or_b64 exec, exec, s[20:21]
.LBB78_1296:
	s_mov_b64 s[20:21], -1
.LBB78_1297:
	s_mov_b64 s[22:23], 0
.LBB78_1298:
	s_and_b64 vcc, exec, s[22:23]
	s_cbranch_vccz .LBB78_1329
; %bb.1299:
	s_cmp_gt_i32 s15, 22
	s_cbranch_scc0 .LBB78_1307
; %bb.1300:
	s_cmp_lt_i32 s15, 24
	s_cbranch_scc1 .LBB78_1310
; %bb.1301:
	s_cmp_gt_i32 s15, 24
	s_cbranch_scc0 .LBB78_1311
; %bb.1302:
	global_load_ubyte v3, v[0:1], off
	s_movk_i32 s4, 0x7f
	s_mov_b64 s[20:21], 0
	s_waitcnt vmcnt(0)
	v_cmp_lt_i16_e32 vcc, s4, v3
	s_and_saveexec_b64 s[4:5], vcc
	s_xor_b64 s[4:5], exec, s[4:5]
	s_cbranch_execz .LBB78_1323
; %bb.1303:
	s_movk_i32 s20, 0x80
	v_cmp_ne_u16_e32 vcc, s20, v3
	s_and_b64 s[20:21], vcc, exec
	s_andn2_saveexec_b64 s[4:5], s[4:5]
	s_cbranch_execnz .LBB78_1324
.LBB78_1304:
	s_or_b64 exec, exec, s[4:5]
	v_mov_b32_e32 v2, 0
	s_and_saveexec_b64 s[4:5], s[20:21]
	s_cbranch_execz .LBB78_1306
.LBB78_1305:
	v_lshlrev_b32_e32 v2, 24, v3
	v_and_b32_e32 v3, 0xffff, v3
	v_and_b32_e32 v7, 3, v3
	v_ffbh_u32_e32 v10, v7
	v_min_u32_e32 v10, 32, v10
	v_subrev_u32_e32 v11, 29, v10
	v_bfe_u32 v8, v3, 2, 5
	v_lshlrev_b32_e32 v3, v11, v3
	v_sub_u32_e32 v10, 30, v10
	v_and_b32_e32 v3, 3, v3
	v_cmp_eq_u32_e32 vcc, 0, v8
	v_cndmask_b32_e32 v8, v8, v10, vcc
	v_cndmask_b32_e32 v3, v7, v3, vcc
	v_mov_b32_e32 v7, 0x37800000
	v_lshlrev_b32_e32 v3, 21, v3
	v_and_b32_e32 v2, 0x80000000, v2
	v_lshl_add_u32 v7, v8, 23, v7
	v_or3_b32 v2, v2, v7, v3
	v_cvt_i32_f32_e32 v2, v2
.LBB78_1306:
	s_or_b64 exec, exec, s[4:5]
	s_mov_b64 s[4:5], 0
	s_branch .LBB78_1312
.LBB78_1307:
	s_mov_b64 s[4:5], -1
                                        ; implicit-def: $vgpr2
	s_branch .LBB78_1318
.LBB78_1308:
	s_andn2_saveexec_b64 s[20:21], s[20:21]
	s_cbranch_execz .LBB78_1293
.LBB78_1309:
	v_cmp_ne_u16_e32 vcc, 0, v3
	s_andn2_b64 s[22:23], s[22:23], exec
	s_and_b64 s[24:25], vcc, exec
	s_or_b64 s[22:23], s[22:23], s[24:25]
	s_or_b64 exec, exec, s[20:21]
	v_mov_b32_e32 v2, 0
	s_and_saveexec_b64 s[20:21], s[22:23]
	s_cbranch_execnz .LBB78_1294
	s_branch .LBB78_1295
.LBB78_1310:
	s_mov_b64 s[4:5], -1
                                        ; implicit-def: $vgpr2
	s_branch .LBB78_1315
.LBB78_1311:
	s_mov_b64 s[4:5], -1
                                        ; implicit-def: $vgpr2
.LBB78_1312:
	s_and_b64 vcc, exec, s[4:5]
	s_cbranch_vccz .LBB78_1314
; %bb.1313:
	global_load_ubyte v2, v[0:1], off
	s_mov_b32 s4, 0x7f800000
	s_waitcnt vmcnt(0)
	v_lshlrev_b32_e32 v2, 24, v2
	v_and_b32_e32 v3, 0x7f000000, v2
	v_ffbh_u32_e32 v7, v3
	v_min_u32_e32 v7, 32, v7
	v_sub_u32_e64 v7, v7, 4 clamp
	v_lshlrev_b32_e32 v10, v7, v3
	v_lshlrev_b32_e32 v7, 23, v7
	v_lshrrev_b32_e32 v10, 4, v10
	v_add_u32_e32 v8, 0x1000000, v3
	v_sub_u32_e32 v7, v10, v7
	v_ashrrev_i32_e32 v8, 8, v8
	v_add_u32_e32 v7, 0x3c000000, v7
	v_and_or_b32 v7, v8, s4, v7
	v_cmp_ne_u32_e32 vcc, 0, v3
	v_cndmask_b32_e32 v3, 0, v7, vcc
	s_brev_b32 s4, 1
	v_and_or_b32 v2, v2, s4, v3
	v_cvt_i32_f32_e32 v2, v2
.LBB78_1314:
	s_mov_b64 s[4:5], 0
.LBB78_1315:
	s_andn2_b64 vcc, exec, s[4:5]
	s_cbranch_vccnz .LBB78_1317
; %bb.1316:
	global_load_ubyte v2, v[0:1], off
	s_movk_i32 s4, 0x7f00
	s_brev_b32 s5, 16
	s_waitcnt vmcnt(0)
	v_lshlrev_b16_e32 v3, 8, v2
	v_lshlrev_b32_e32 v2, 25, v2
	v_lshrrev_b32_e32 v7, 4, v2
	v_and_or_b32 v8, v3, s4, 0.5
	v_or_b32_e32 v7, 0x70000000, v7
	v_add_f32_e32 v8, -0.5, v8
	v_mul_f32_e32 v7, 0x7800000, v7
	v_cmp_gt_u32_e32 vcc, s5, v2
	v_bfe_i32 v3, v3, 0, 16
	v_cndmask_b32_e32 v2, v7, v8, vcc
	s_brev_b32 s4, 1
	v_and_or_b32 v2, v3, s4, v2
	v_cvt_i32_f32_e32 v2, v2
.LBB78_1317:
	s_mov_b64 s[4:5], 0
	s_mov_b64 s[20:21], -1
.LBB78_1318:
	s_andn2_b64 vcc, exec, s[4:5]
	s_mov_b64 s[4:5], 0
	s_cbranch_vccnz .LBB78_1329
; %bb.1319:
	s_cmp_gt_i32 s15, 14
	s_cbranch_scc0 .LBB78_1322
; %bb.1320:
	s_cmp_eq_u32 s15, 15
	s_cbranch_scc0 .LBB78_1325
; %bb.1321:
	global_load_ushort v2, v[0:1], off
	s_mov_b64 s[0:1], 0
	s_mov_b64 s[20:21], -1
	s_waitcnt vmcnt(0)
	v_lshlrev_b32_e32 v2, 16, v2
	v_cvt_i32_f32_e32 v2, v2
	s_branch .LBB78_1326
.LBB78_1322:
	s_mov_b64 s[22:23], -1
                                        ; implicit-def: $vgpr2
	s_branch .LBB78_1327
.LBB78_1323:
	s_andn2_saveexec_b64 s[4:5], s[4:5]
	s_cbranch_execz .LBB78_1304
.LBB78_1324:
	v_cmp_ne_u16_e32 vcc, 0, v3
	s_andn2_b64 s[20:21], s[20:21], exec
	s_and_b64 s[22:23], vcc, exec
	s_or_b64 s[20:21], s[20:21], s[22:23]
	s_or_b64 exec, exec, s[4:5]
	v_mov_b32_e32 v2, 0
	s_and_saveexec_b64 s[4:5], s[20:21]
	s_cbranch_execnz .LBB78_1305
	s_branch .LBB78_1306
.LBB78_1325:
	s_mov_b64 s[0:1], -1
                                        ; implicit-def: $vgpr2
.LBB78_1326:
	s_mov_b64 s[22:23], 0
.LBB78_1327:
	s_and_b64 vcc, exec, s[22:23]
	s_cbranch_vccz .LBB78_1329
; %bb.1328:
	s_cmp_lg_u32 s15, 11
	s_mov_b64 s[4:5], -1
	s_cselect_b64 s[0:1], -1, 0
.LBB78_1329:
	s_and_b64 vcc, exec, s[0:1]
	s_cbranch_vccnz .LBB78_1392
; %bb.1330:
	s_andn2_b64 vcc, exec, s[4:5]
	s_cbranch_vccnz .LBB78_1332
.LBB78_1331:
	global_load_ubyte v2, v[0:1], off
	s_mov_b64 s[20:21], -1
	s_waitcnt vmcnt(0)
	v_cmp_ne_u16_e32 vcc, 0, v2
	v_cndmask_b32_e64 v2, 0, 1, vcc
.LBB78_1332:
	s_branch .LBB78_1264
.LBB78_1333:
	s_cmp_lt_i32 s15, 5
	s_cbranch_scc1 .LBB78_1338
; %bb.1334:
	s_cmp_lt_i32 s15, 8
	s_cbranch_scc1 .LBB78_1339
; %bb.1335:
	s_cmp_lt_i32 s15, 9
	s_cbranch_scc1 .LBB78_1340
; %bb.1336:
	s_cmp_gt_i32 s15, 9
	s_cbranch_scc0 .LBB78_1341
; %bb.1337:
	global_load_dwordx2 v[2:3], v[0:1], off
	s_mov_b64 s[0:1], 0
	s_waitcnt vmcnt(0)
	v_cvt_i32_f64_e32 v2, v[2:3]
	s_branch .LBB78_1342
.LBB78_1338:
	s_mov_b64 s[0:1], -1
                                        ; implicit-def: $vgpr2
	s_branch .LBB78_1360
.LBB78_1339:
	s_mov_b64 s[0:1], -1
                                        ; implicit-def: $vgpr2
	s_branch .LBB78_1348
.LBB78_1340:
	s_mov_b64 s[0:1], -1
                                        ; implicit-def: $vgpr2
	s_branch .LBB78_1345
.LBB78_1341:
	s_mov_b64 s[0:1], -1
                                        ; implicit-def: $vgpr2
.LBB78_1342:
	s_andn2_b64 vcc, exec, s[0:1]
	s_cbranch_vccnz .LBB78_1344
; %bb.1343:
	global_load_dword v2, v[0:1], off
	s_waitcnt vmcnt(0)
	v_cvt_i32_f32_e32 v2, v2
.LBB78_1344:
	s_mov_b64 s[0:1], 0
.LBB78_1345:
	s_andn2_b64 vcc, exec, s[0:1]
	s_cbranch_vccnz .LBB78_1347
; %bb.1346:
	global_load_dword v2, v[0:1], off
	s_waitcnt vmcnt(0)
	v_cvt_i16_f16_e32 v2, v2
.LBB78_1347:
	s_mov_b64 s[0:1], 0
.LBB78_1348:
	s_andn2_b64 vcc, exec, s[0:1]
	s_cbranch_vccnz .LBB78_1359
; %bb.1349:
	s_cmp_lt_i32 s15, 6
	s_cbranch_scc1 .LBB78_1352
; %bb.1350:
	s_cmp_gt_i32 s15, 6
	s_cbranch_scc0 .LBB78_1353
; %bb.1351:
	global_load_dwordx2 v[2:3], v[0:1], off
	s_mov_b64 s[0:1], 0
	s_waitcnt vmcnt(0)
	v_cvt_i32_f64_e32 v2, v[2:3]
	s_branch .LBB78_1354
.LBB78_1352:
	s_mov_b64 s[0:1], -1
                                        ; implicit-def: $vgpr2
	s_branch .LBB78_1357
.LBB78_1353:
	s_mov_b64 s[0:1], -1
                                        ; implicit-def: $vgpr2
.LBB78_1354:
	s_andn2_b64 vcc, exec, s[0:1]
	s_cbranch_vccnz .LBB78_1356
; %bb.1355:
	global_load_dword v2, v[0:1], off
	s_waitcnt vmcnt(0)
	v_cvt_i32_f32_e32 v2, v2
.LBB78_1356:
	s_mov_b64 s[0:1], 0
.LBB78_1357:
	s_andn2_b64 vcc, exec, s[0:1]
	s_cbranch_vccnz .LBB78_1359
; %bb.1358:
	global_load_ushort v2, v[0:1], off
	s_waitcnt vmcnt(0)
	v_cvt_i16_f16_e32 v2, v2
.LBB78_1359:
	s_mov_b64 s[0:1], 0
.LBB78_1360:
	s_andn2_b64 vcc, exec, s[0:1]
	s_cbranch_vccnz .LBB78_1380
; %bb.1361:
	s_cmp_lt_i32 s15, 2
	s_cbranch_scc1 .LBB78_1365
; %bb.1362:
	s_cmp_lt_i32 s15, 3
	s_cbranch_scc1 .LBB78_1366
; %bb.1363:
	s_cmp_gt_i32 s15, 3
	s_cbranch_scc0 .LBB78_1367
; %bb.1364:
	global_load_dwordx2 v[2:3], v[0:1], off
	s_mov_b64 s[0:1], 0
	s_branch .LBB78_1368
.LBB78_1365:
	s_mov_b64 s[0:1], -1
                                        ; implicit-def: $vgpr2
	s_branch .LBB78_1374
.LBB78_1366:
	s_mov_b64 s[0:1], -1
                                        ; implicit-def: $vgpr2
	s_branch .LBB78_1371
.LBB78_1367:
	s_mov_b64 s[0:1], -1
                                        ; implicit-def: $vgpr2
.LBB78_1368:
	s_andn2_b64 vcc, exec, s[0:1]
	s_cbranch_vccnz .LBB78_1370
; %bb.1369:
	global_load_dword v2, v[0:1], off
.LBB78_1370:
	s_mov_b64 s[0:1], 0
.LBB78_1371:
	s_andn2_b64 vcc, exec, s[0:1]
	s_cbranch_vccnz .LBB78_1373
; %bb.1372:
	global_load_ushort v2, v[0:1], off
.LBB78_1373:
	s_mov_b64 s[0:1], 0
.LBB78_1374:
	s_andn2_b64 vcc, exec, s[0:1]
	s_cbranch_vccnz .LBB78_1380
; %bb.1375:
	s_cmp_gt_i32 s15, 0
	s_cbranch_scc0 .LBB78_1377
; %bb.1376:
	global_load_sbyte v2, v[0:1], off
	s_mov_b64 s[0:1], 0
	s_branch .LBB78_1378
.LBB78_1377:
	s_mov_b64 s[0:1], -1
                                        ; implicit-def: $vgpr2
.LBB78_1378:
	s_andn2_b64 vcc, exec, s[0:1]
	s_cbranch_vccnz .LBB78_1380
; %bb.1379:
	global_load_ubyte v2, v[0:1], off
.LBB78_1380:
.LBB78_1381:
	v_add_u32_e32 v0, s13, v5
	v_ashrrev_i32_e32 v1, 31, v0
	s_waitcnt vmcnt(0)
	v_mov_b32_e32 v3, s11
	v_add_co_u32_e32 v7, vcc, s10, v0
	s_cmp_lt_i32 s15, 11
	v_addc_co_u32_e32 v8, vcc, v3, v1, vcc
	s_cbranch_scc1 .LBB78_1388
; %bb.1382:
	s_cmp_gt_i32 s15, 25
	s_mov_b64 s[4:5], 0
	s_cbranch_scc0 .LBB78_1389
; %bb.1383:
	s_cmp_gt_i32 s15, 28
	s_cbranch_scc0 .LBB78_1390
; %bb.1384:
	s_cmp_gt_i32 s15, 43
	;; [unrolled: 3-line block ×3, first 2 shown]
	s_cbranch_scc0 .LBB78_1393
; %bb.1386:
	s_cmp_eq_u32 s15, 46
	s_mov_b64 s[20:21], 0
	s_cbranch_scc0 .LBB78_1394
; %bb.1387:
	global_load_dword v0, v[7:8], off
	s_mov_b64 s[0:1], 0
	s_mov_b64 s[10:11], -1
	s_waitcnt vmcnt(0)
	v_lshlrev_b32_e32 v0, 16, v0
	v_cvt_i32_f32_e32 v0, v0
	s_branch .LBB78_1395
.LBB78_1388:
	s_mov_b64 s[0:1], -1
	s_mov_b64 s[10:11], 0
                                        ; implicit-def: $vgpr0
	s_branch .LBB78_1457
.LBB78_1389:
	s_mov_b64 s[20:21], -1
	s_mov_b64 s[10:11], 0
	s_mov_b64 s[0:1], 0
                                        ; implicit-def: $vgpr0
	s_branch .LBB78_1422
.LBB78_1390:
	s_mov_b64 s[20:21], -1
	s_mov_b64 s[10:11], 0
	s_mov_b64 s[0:1], 0
                                        ; implicit-def: $vgpr0
	s_branch .LBB78_1405
.LBB78_1391:
	s_mov_b64 s[20:21], -1
	s_mov_b64 s[10:11], 0
	s_mov_b64 s[0:1], 0
                                        ; implicit-def: $vgpr0
	s_branch .LBB78_1400
.LBB78_1392:
	s_trap 2
	s_or_b64 s[18:19], s[18:19], exec
	s_cbranch_execz .LBB78_1331
	s_branch .LBB78_1332
.LBB78_1393:
	s_mov_b64 s[20:21], -1
	s_mov_b64 s[10:11], 0
	s_mov_b64 s[0:1], 0
                                        ; implicit-def: $vgpr0
	s_branch .LBB78_1395
.LBB78_1394:
	s_mov_b64 s[0:1], -1
                                        ; implicit-def: $vgpr0
	s_mov_b64 s[10:11], 0
.LBB78_1395:
	s_and_b64 vcc, exec, s[20:21]
	s_cbranch_vccz .LBB78_1399
; %bb.1396:
	s_cmp_eq_u32 s15, 44
	s_cbranch_scc0 .LBB78_1398
; %bb.1397:
	global_load_ubyte v0, v[7:8], off
	s_mov_b64 s[0:1], 0
	s_mov_b64 s[10:11], -1
	s_waitcnt vmcnt(0)
	v_lshlrev_b32_e32 v1, 23, v0
	v_cvt_i32_f32_e32 v1, v1
	v_cmp_ne_u32_e32 vcc, 0, v0
	v_cndmask_b32_e32 v0, 0, v1, vcc
	s_branch .LBB78_1399
.LBB78_1398:
	s_mov_b64 s[0:1], -1
                                        ; implicit-def: $vgpr0
.LBB78_1399:
	s_mov_b64 s[20:21], 0
.LBB78_1400:
	s_and_b64 vcc, exec, s[20:21]
	s_cbranch_vccz .LBB78_1404
; %bb.1401:
	s_cmp_eq_u32 s15, 29
	s_cbranch_scc0 .LBB78_1403
; %bb.1402:
	global_load_dwordx2 v[0:1], v[7:8], off
	s_mov_b64 s[0:1], 0
	s_mov_b64 s[10:11], -1
	s_branch .LBB78_1404
.LBB78_1403:
	s_mov_b64 s[0:1], -1
                                        ; implicit-def: $vgpr0
.LBB78_1404:
	s_mov_b64 s[20:21], 0
.LBB78_1405:
	s_and_b64 vcc, exec, s[20:21]
	s_cbranch_vccz .LBB78_1421
; %bb.1406:
	s_cmp_lt_i32 s15, 27
	s_cbranch_scc1 .LBB78_1409
; %bb.1407:
	s_cmp_gt_i32 s15, 27
	s_cbranch_scc0 .LBB78_1410
; %bb.1408:
	global_load_dword v0, v[7:8], off
	s_mov_b64 s[10:11], 0
	s_branch .LBB78_1411
.LBB78_1409:
	s_mov_b64 s[10:11], -1
                                        ; implicit-def: $vgpr0
	s_branch .LBB78_1414
.LBB78_1410:
	s_mov_b64 s[10:11], -1
                                        ; implicit-def: $vgpr0
.LBB78_1411:
	s_andn2_b64 vcc, exec, s[10:11]
	s_cbranch_vccnz .LBB78_1413
; %bb.1412:
	global_load_ushort v0, v[7:8], off
.LBB78_1413:
	s_mov_b64 s[10:11], 0
.LBB78_1414:
	s_andn2_b64 vcc, exec, s[10:11]
	s_cbranch_vccnz .LBB78_1420
; %bb.1415:
	global_load_ubyte v1, v[7:8], off
	s_movk_i32 s10, 0x7f
	s_mov_b64 s[20:21], 0
	s_waitcnt vmcnt(0)
	v_cmp_lt_i16_e32 vcc, s10, v1
	s_and_saveexec_b64 s[10:11], vcc
	s_xor_b64 s[10:11], exec, s[10:11]
	s_cbranch_execz .LBB78_1432
; %bb.1416:
	s_movk_i32 s13, 0x80
	v_cmp_ne_u16_e32 vcc, s13, v1
	s_and_b64 s[20:21], vcc, exec
	s_andn2_saveexec_b64 s[10:11], s[10:11]
	s_cbranch_execnz .LBB78_1433
.LBB78_1417:
	s_or_b64 exec, exec, s[10:11]
	v_mov_b32_e32 v0, 0
	s_and_saveexec_b64 s[10:11], s[20:21]
	s_cbranch_execz .LBB78_1419
.LBB78_1418:
	v_lshlrev_b32_e32 v0, 24, v1
	v_and_b32_e32 v1, 0xffff, v1
	v_and_b32_e32 v3, 7, v1
	v_ffbh_u32_e32 v10, v3
	v_min_u32_e32 v10, 32, v10
	v_subrev_u32_e32 v11, 28, v10
	v_bfe_u32 v5, v1, 3, 4
	v_lshlrev_b32_e32 v1, v11, v1
	v_sub_u32_e32 v10, 29, v10
	v_and_b32_e32 v1, 7, v1
	v_cmp_eq_u32_e32 vcc, 0, v5
	v_cndmask_b32_e32 v5, v5, v10, vcc
	v_cndmask_b32_e32 v1, v3, v1, vcc
	v_mov_b32_e32 v3, 0x3b800000
	v_lshlrev_b32_e32 v1, 20, v1
	v_and_b32_e32 v0, 0x80000000, v0
	v_lshl_add_u32 v3, v5, 23, v3
	v_or3_b32 v0, v0, v3, v1
	v_cvt_i32_f32_e32 v0, v0
.LBB78_1419:
	s_or_b64 exec, exec, s[10:11]
.LBB78_1420:
	s_mov_b64 s[10:11], -1
.LBB78_1421:
	s_mov_b64 s[20:21], 0
.LBB78_1422:
	s_and_b64 vcc, exec, s[20:21]
	s_cbranch_vccz .LBB78_1453
; %bb.1423:
	s_cmp_gt_i32 s15, 22
	s_cbranch_scc0 .LBB78_1431
; %bb.1424:
	s_cmp_lt_i32 s15, 24
	s_cbranch_scc1 .LBB78_1434
; %bb.1425:
	s_cmp_gt_i32 s15, 24
	s_cbranch_scc0 .LBB78_1435
; %bb.1426:
	global_load_ubyte v1, v[7:8], off
	s_movk_i32 s4, 0x7f
	s_mov_b64 s[10:11], 0
	s_waitcnt vmcnt(0)
	v_cmp_lt_i16_e32 vcc, s4, v1
	s_and_saveexec_b64 s[4:5], vcc
	s_xor_b64 s[4:5], exec, s[4:5]
	s_cbranch_execz .LBB78_1447
; %bb.1427:
	s_movk_i32 s10, 0x80
	v_cmp_ne_u16_e32 vcc, s10, v1
	s_and_b64 s[10:11], vcc, exec
	s_andn2_saveexec_b64 s[4:5], s[4:5]
	s_cbranch_execnz .LBB78_1448
.LBB78_1428:
	s_or_b64 exec, exec, s[4:5]
	v_mov_b32_e32 v0, 0
	s_and_saveexec_b64 s[4:5], s[10:11]
	s_cbranch_execz .LBB78_1430
.LBB78_1429:
	v_lshlrev_b32_e32 v0, 24, v1
	v_and_b32_e32 v1, 0xffff, v1
	v_and_b32_e32 v3, 3, v1
	v_ffbh_u32_e32 v10, v3
	v_min_u32_e32 v10, 32, v10
	v_subrev_u32_e32 v11, 29, v10
	v_bfe_u32 v5, v1, 2, 5
	v_lshlrev_b32_e32 v1, v11, v1
	v_sub_u32_e32 v10, 30, v10
	v_and_b32_e32 v1, 3, v1
	v_cmp_eq_u32_e32 vcc, 0, v5
	v_cndmask_b32_e32 v5, v5, v10, vcc
	v_cndmask_b32_e32 v1, v3, v1, vcc
	v_mov_b32_e32 v3, 0x37800000
	v_lshlrev_b32_e32 v1, 21, v1
	v_and_b32_e32 v0, 0x80000000, v0
	v_lshl_add_u32 v3, v5, 23, v3
	v_or3_b32 v0, v0, v3, v1
	v_cvt_i32_f32_e32 v0, v0
.LBB78_1430:
	s_or_b64 exec, exec, s[4:5]
	s_mov_b64 s[4:5], 0
	s_branch .LBB78_1436
.LBB78_1431:
	s_mov_b64 s[4:5], -1
                                        ; implicit-def: $vgpr0
	s_branch .LBB78_1442
.LBB78_1432:
	s_andn2_saveexec_b64 s[10:11], s[10:11]
	s_cbranch_execz .LBB78_1417
.LBB78_1433:
	v_cmp_ne_u16_e32 vcc, 0, v1
	s_andn2_b64 s[20:21], s[20:21], exec
	s_and_b64 s[22:23], vcc, exec
	s_or_b64 s[20:21], s[20:21], s[22:23]
	s_or_b64 exec, exec, s[10:11]
	v_mov_b32_e32 v0, 0
	s_and_saveexec_b64 s[10:11], s[20:21]
	s_cbranch_execnz .LBB78_1418
	s_branch .LBB78_1419
.LBB78_1434:
	s_mov_b64 s[4:5], -1
                                        ; implicit-def: $vgpr0
	s_branch .LBB78_1439
.LBB78_1435:
	s_mov_b64 s[4:5], -1
                                        ; implicit-def: $vgpr0
.LBB78_1436:
	s_and_b64 vcc, exec, s[4:5]
	s_cbranch_vccz .LBB78_1438
; %bb.1437:
	global_load_ubyte v0, v[7:8], off
	s_mov_b32 s4, 0x7f800000
	s_waitcnt vmcnt(0)
	v_lshlrev_b32_e32 v0, 24, v0
	v_and_b32_e32 v1, 0x7f000000, v0
	v_ffbh_u32_e32 v3, v1
	v_min_u32_e32 v3, 32, v3
	v_sub_u32_e64 v3, v3, 4 clamp
	v_lshlrev_b32_e32 v10, v3, v1
	v_lshlrev_b32_e32 v3, 23, v3
	v_lshrrev_b32_e32 v10, 4, v10
	v_add_u32_e32 v5, 0x1000000, v1
	v_sub_u32_e32 v3, v10, v3
	v_ashrrev_i32_e32 v5, 8, v5
	v_add_u32_e32 v3, 0x3c000000, v3
	v_and_or_b32 v3, v5, s4, v3
	v_cmp_ne_u32_e32 vcc, 0, v1
	v_cndmask_b32_e32 v1, 0, v3, vcc
	s_brev_b32 s4, 1
	v_and_or_b32 v0, v0, s4, v1
	v_cvt_i32_f32_e32 v0, v0
.LBB78_1438:
	s_mov_b64 s[4:5], 0
.LBB78_1439:
	s_andn2_b64 vcc, exec, s[4:5]
	s_cbranch_vccnz .LBB78_1441
; %bb.1440:
	global_load_ubyte v0, v[7:8], off
	s_movk_i32 s4, 0x7f00
	s_brev_b32 s5, 16
	s_waitcnt vmcnt(0)
	v_lshlrev_b16_e32 v1, 8, v0
	v_lshlrev_b32_e32 v0, 25, v0
	v_lshrrev_b32_e32 v3, 4, v0
	v_and_or_b32 v5, v1, s4, 0.5
	v_or_b32_e32 v3, 0x70000000, v3
	v_add_f32_e32 v5, -0.5, v5
	v_mul_f32_e32 v3, 0x7800000, v3
	v_cmp_gt_u32_e32 vcc, s5, v0
	v_bfe_i32 v1, v1, 0, 16
	v_cndmask_b32_e32 v0, v3, v5, vcc
	s_brev_b32 s4, 1
	v_and_or_b32 v0, v1, s4, v0
	v_cvt_i32_f32_e32 v0, v0
.LBB78_1441:
	s_mov_b64 s[4:5], 0
	s_mov_b64 s[10:11], -1
.LBB78_1442:
	s_andn2_b64 vcc, exec, s[4:5]
	s_mov_b64 s[4:5], 0
	s_cbranch_vccnz .LBB78_1453
; %bb.1443:
	s_cmp_gt_i32 s15, 14
	s_cbranch_scc0 .LBB78_1446
; %bb.1444:
	s_cmp_eq_u32 s15, 15
	s_cbranch_scc0 .LBB78_1449
; %bb.1445:
	global_load_ushort v0, v[7:8], off
	s_mov_b64 s[0:1], 0
	s_mov_b64 s[10:11], -1
	s_waitcnt vmcnt(0)
	v_lshlrev_b32_e32 v0, 16, v0
	v_cvt_i32_f32_e32 v0, v0
	s_branch .LBB78_1450
.LBB78_1446:
	s_mov_b64 s[20:21], -1
                                        ; implicit-def: $vgpr0
	s_branch .LBB78_1451
.LBB78_1447:
	s_andn2_saveexec_b64 s[4:5], s[4:5]
	s_cbranch_execz .LBB78_1428
.LBB78_1448:
	v_cmp_ne_u16_e32 vcc, 0, v1
	s_andn2_b64 s[10:11], s[10:11], exec
	s_and_b64 s[20:21], vcc, exec
	s_or_b64 s[10:11], s[10:11], s[20:21]
	s_or_b64 exec, exec, s[4:5]
	v_mov_b32_e32 v0, 0
	s_and_saveexec_b64 s[4:5], s[10:11]
	s_cbranch_execnz .LBB78_1429
	s_branch .LBB78_1430
.LBB78_1449:
	s_mov_b64 s[0:1], -1
                                        ; implicit-def: $vgpr0
.LBB78_1450:
	s_mov_b64 s[20:21], 0
.LBB78_1451:
	s_and_b64 vcc, exec, s[20:21]
	s_cbranch_vccz .LBB78_1453
; %bb.1452:
	s_cmp_lg_u32 s15, 11
	s_mov_b64 s[4:5], -1
	s_cselect_b64 s[0:1], -1, 0
.LBB78_1453:
	s_and_b64 vcc, exec, s[0:1]
	s_cbranch_vccnz .LBB78_1986
; %bb.1454:
	s_andn2_b64 vcc, exec, s[4:5]
	s_cbranch_vccnz .LBB78_1456
.LBB78_1455:
	global_load_ubyte v0, v[7:8], off
	s_mov_b64 s[10:11], -1
	s_waitcnt vmcnt(0)
	v_cmp_ne_u16_e32 vcc, 0, v0
	v_cndmask_b32_e64 v0, 0, 1, vcc
.LBB78_1456:
	s_mov_b64 s[0:1], 0
.LBB78_1457:
	s_and_b64 vcc, exec, s[0:1]
	s_cbranch_vccz .LBB78_1506
; %bb.1458:
	s_cmp_lt_i32 s15, 5
	s_cbranch_scc1 .LBB78_1463
; %bb.1459:
	s_cmp_lt_i32 s15, 8
	s_cbranch_scc1 .LBB78_1464
	;; [unrolled: 3-line block ×3, first 2 shown]
; %bb.1461:
	s_cmp_gt_i32 s15, 9
	s_cbranch_scc0 .LBB78_1466
; %bb.1462:
	global_load_dwordx2 v[0:1], v[7:8], off
	s_mov_b64 s[0:1], 0
	s_waitcnt vmcnt(0)
	v_cvt_i32_f64_e32 v0, v[0:1]
	s_branch .LBB78_1467
.LBB78_1463:
	s_mov_b64 s[0:1], -1
                                        ; implicit-def: $vgpr0
	s_branch .LBB78_1485
.LBB78_1464:
	s_mov_b64 s[0:1], -1
                                        ; implicit-def: $vgpr0
	s_branch .LBB78_1473
.LBB78_1465:
	s_mov_b64 s[0:1], -1
                                        ; implicit-def: $vgpr0
	s_branch .LBB78_1470
.LBB78_1466:
	s_mov_b64 s[0:1], -1
                                        ; implicit-def: $vgpr0
.LBB78_1467:
	s_andn2_b64 vcc, exec, s[0:1]
	s_cbranch_vccnz .LBB78_1469
; %bb.1468:
	global_load_dword v0, v[7:8], off
	s_waitcnt vmcnt(0)
	v_cvt_i32_f32_e32 v0, v0
.LBB78_1469:
	s_mov_b64 s[0:1], 0
.LBB78_1470:
	s_andn2_b64 vcc, exec, s[0:1]
	s_cbranch_vccnz .LBB78_1472
; %bb.1471:
	global_load_dword v0, v[7:8], off
	s_waitcnt vmcnt(0)
	v_cvt_i16_f16_e32 v0, v0
.LBB78_1472:
	s_mov_b64 s[0:1], 0
.LBB78_1473:
	s_andn2_b64 vcc, exec, s[0:1]
	s_cbranch_vccnz .LBB78_1484
; %bb.1474:
	s_cmp_lt_i32 s15, 6
	s_cbranch_scc1 .LBB78_1477
; %bb.1475:
	s_cmp_gt_i32 s15, 6
	s_cbranch_scc0 .LBB78_1478
; %bb.1476:
	global_load_dwordx2 v[0:1], v[7:8], off
	s_mov_b64 s[0:1], 0
	s_waitcnt vmcnt(0)
	v_cvt_i32_f64_e32 v0, v[0:1]
	s_branch .LBB78_1479
.LBB78_1477:
	s_mov_b64 s[0:1], -1
                                        ; implicit-def: $vgpr0
	s_branch .LBB78_1482
.LBB78_1478:
	s_mov_b64 s[0:1], -1
                                        ; implicit-def: $vgpr0
.LBB78_1479:
	s_andn2_b64 vcc, exec, s[0:1]
	s_cbranch_vccnz .LBB78_1481
; %bb.1480:
	global_load_dword v0, v[7:8], off
	s_waitcnt vmcnt(0)
	v_cvt_i32_f32_e32 v0, v0
.LBB78_1481:
	s_mov_b64 s[0:1], 0
.LBB78_1482:
	s_andn2_b64 vcc, exec, s[0:1]
	s_cbranch_vccnz .LBB78_1484
; %bb.1483:
	global_load_ushort v0, v[7:8], off
	s_waitcnt vmcnt(0)
	v_cvt_i16_f16_e32 v0, v0
.LBB78_1484:
	s_mov_b64 s[0:1], 0
.LBB78_1485:
	s_andn2_b64 vcc, exec, s[0:1]
	s_cbranch_vccnz .LBB78_1505
; %bb.1486:
	s_cmp_lt_i32 s15, 2
	s_cbranch_scc1 .LBB78_1490
; %bb.1487:
	s_cmp_lt_i32 s15, 3
	s_cbranch_scc1 .LBB78_1491
; %bb.1488:
	s_cmp_gt_i32 s15, 3
	s_cbranch_scc0 .LBB78_1492
; %bb.1489:
	global_load_dwordx2 v[0:1], v[7:8], off
	s_mov_b64 s[0:1], 0
	s_branch .LBB78_1493
.LBB78_1490:
	s_mov_b64 s[0:1], -1
                                        ; implicit-def: $vgpr0
	s_branch .LBB78_1499
.LBB78_1491:
	s_mov_b64 s[0:1], -1
                                        ; implicit-def: $vgpr0
	s_branch .LBB78_1496
.LBB78_1492:
	s_mov_b64 s[0:1], -1
                                        ; implicit-def: $vgpr0
.LBB78_1493:
	s_andn2_b64 vcc, exec, s[0:1]
	s_cbranch_vccnz .LBB78_1495
; %bb.1494:
	global_load_dword v0, v[7:8], off
.LBB78_1495:
	s_mov_b64 s[0:1], 0
.LBB78_1496:
	s_andn2_b64 vcc, exec, s[0:1]
	s_cbranch_vccnz .LBB78_1498
; %bb.1497:
	global_load_ushort v0, v[7:8], off
.LBB78_1498:
	s_mov_b64 s[0:1], 0
.LBB78_1499:
	s_andn2_b64 vcc, exec, s[0:1]
	s_cbranch_vccnz .LBB78_1505
; %bb.1500:
	s_cmp_gt_i32 s15, 0
	s_cbranch_scc0 .LBB78_1502
; %bb.1501:
	global_load_sbyte v0, v[7:8], off
	s_mov_b64 s[0:1], 0
	s_branch .LBB78_1503
.LBB78_1502:
	s_mov_b64 s[0:1], -1
                                        ; implicit-def: $vgpr0
.LBB78_1503:
	s_andn2_b64 vcc, exec, s[0:1]
	s_cbranch_vccnz .LBB78_1505
; %bb.1504:
	global_load_ubyte v0, v[7:8], off
.LBB78_1505:
	s_mov_b64 s[10:11], -1
.LBB78_1506:
	s_andn2_b64 vcc, exec, s[10:11]
	s_cbranch_vccnz .LBB78_1940
; %bb.1507:
	s_waitcnt vmcnt(0)
	v_mul_lo_u32 v1, s12, v9
	s_cmp_eq_u32 s14, 0
	s_cselect_b64 s[4:5], -1, 0
	v_cmp_ne_u16_e32 vcc, s2, v6
	s_xor_b64 s[10:11], s[4:5], vcc
	v_ashrrev_i32_e32 v3, 31, v1
	v_mov_b32_e32 v6, s9
	s_and_b32 s26, s3, 0xff
	v_add_co_u32_e32 v5, vcc, s8, v1
	s_cmp_lt_i32 s26, 11
	v_addc_co_u32_e32 v6, vcc, v6, v3, vcc
	s_cbranch_scc1 .LBB78_1585
; %bb.1508:
	s_and_b32 s3, 0xffff, s26
	s_mov_b64 s[22:23], -1
	s_mov_b64 s[14:15], 0
	s_cmp_gt_i32 s3, 25
	s_mov_b64 s[20:21], 0
	s_mov_b64 s[0:1], 0
	s_cbranch_scc0 .LBB78_1541
; %bb.1509:
	s_cmp_gt_i32 s3, 28
	s_cbranch_scc0 .LBB78_1524
; %bb.1510:
	s_cmp_gt_i32 s3, 43
	;; [unrolled: 3-line block ×3, first 2 shown]
	s_cbranch_scc0 .LBB78_1514
; %bb.1512:
	s_mov_b64 s[0:1], -1
	s_mov_b64 s[22:23], 0
	s_cmp_eq_u32 s3, 46
	s_cbranch_scc0 .LBB78_1514
; %bb.1513:
	v_cndmask_b32_e64 v3, 0, 1.0, s[10:11]
	v_bfe_u32 v7, v3, 16, 1
	s_movk_i32 s0, 0x7fff
	v_add3_u32 v3, v3, v7, s0
	v_lshrrev_b32_e32 v3, 16, v3
	global_store_dword v[5:6], v3, off
	s_mov_b64 s[0:1], 0
	s_mov_b64 s[20:21], -1
.LBB78_1514:
	s_and_b64 vcc, exec, s[22:23]
	s_cbranch_vccz .LBB78_1519
; %bb.1515:
	s_cmp_eq_u32 s3, 44
	s_mov_b64 s[0:1], -1
	s_cbranch_scc0 .LBB78_1519
; %bb.1516:
	v_cndmask_b32_e64 v7, 0, 1.0, s[10:11]
	v_lshrrev_b32_e32 v3, 23, v7
	s_movk_i32 s0, 0xff
	v_cmp_ne_u32_e32 vcc, s0, v3
	v_mov_b32_e32 v8, 0xff
	s_and_saveexec_b64 s[20:21], vcc
; %bb.1517:
	s_mov_b32 s0, 0x3fffff
	v_and_b32_e32 v8, 0x400000, v7
	v_and_or_b32 v7, v7, s0, v3
	v_cmp_ne_u32_e32 vcc, 0, v8
	v_cmp_ne_u32_e64 s[0:1], 0, v7
	s_and_b64 s[0:1], vcc, s[0:1]
	v_cndmask_b32_e64 v7, 0, 1, s[0:1]
	v_add_u32_e32 v8, v3, v7
; %bb.1518:
	s_or_b64 exec, exec, s[20:21]
	s_mov_b64 s[0:1], 0
	s_mov_b64 s[20:21], -1
	global_store_byte v[5:6], v8, off
.LBB78_1519:
	s_mov_b64 s[22:23], 0
.LBB78_1520:
	s_and_b64 vcc, exec, s[22:23]
	s_cbranch_vccz .LBB78_1523
; %bb.1521:
	s_cmp_eq_u32 s3, 29
	s_mov_b64 s[0:1], -1
	s_cbranch_scc0 .LBB78_1523
; %bb.1522:
	s_mov_b32 s0, 0
	v_cndmask_b32_e64 v7, 0, 1, s[10:11]
	v_mov_b32_e32 v8, s0
	global_store_dwordx2 v[5:6], v[7:8], off
	s_mov_b64 s[0:1], 0
	s_mov_b64 s[20:21], -1
.LBB78_1523:
	s_mov_b64 s[22:23], 0
.LBB78_1524:
	s_and_b64 vcc, exec, s[22:23]
	s_cbranch_vccz .LBB78_1540
; %bb.1525:
	s_cmp_lt_i32 s3, 27
	s_mov_b64 s[20:21], -1
	s_cbranch_scc1 .LBB78_1531
; %bb.1526:
	s_cmp_gt_i32 s3, 27
	s_cbranch_scc0 .LBB78_1528
; %bb.1527:
	v_cndmask_b32_e64 v3, 0, 1, s[10:11]
	s_mov_b64 s[20:21], 0
	global_store_dword v[5:6], v3, off
.LBB78_1528:
	s_andn2_b64 vcc, exec, s[20:21]
	s_cbranch_vccnz .LBB78_1530
; %bb.1529:
	v_cndmask_b32_e64 v3, 0, 1, s[10:11]
	global_store_short v[5:6], v3, off
.LBB78_1530:
	s_mov_b64 s[20:21], 0
.LBB78_1531:
	s_andn2_b64 vcc, exec, s[20:21]
	s_cbranch_vccnz .LBB78_1539
; %bb.1532:
	v_cndmask_b32_e64 v7, 0, 1.0, s[10:11]
	s_mov_b32 s13, 0x43800000
	v_cmp_gt_u32_e32 vcc, s13, v7
	v_mov_b32_e32 v8, 0x80
	s_and_saveexec_b64 s[20:21], vcc
	s_cbranch_execz .LBB78_1538
; %bb.1533:
	s_mov_b32 s13, 0x3bffffff
	v_cmp_lt_u32_e32 vcc, s13, v7
	s_mov_b64 s[22:23], 0
                                        ; implicit-def: $vgpr3
	s_and_saveexec_b64 s[24:25], vcc
	s_xor_b64 s[24:25], exec, s[24:25]
	s_cbranch_execz .LBB78_1987
; %bb.1534:
	v_bfe_u32 v3, v7, 20, 1
	s_mov_b32 s13, 0x487ffff
	v_add3_u32 v3, v7, v3, s13
	s_mov_b64 s[22:23], exec
	v_lshrrev_b32_e32 v3, 20, v3
                                        ; implicit-def: $vgpr7
	s_andn2_saveexec_b64 s[24:25], s[24:25]
	s_cbranch_execnz .LBB78_1988
.LBB78_1535:
	s_or_b64 exec, exec, s[24:25]
	v_mov_b32_e32 v8, 0
	s_and_saveexec_b64 s[24:25], s[22:23]
.LBB78_1536:
	v_mov_b32_e32 v8, v3
.LBB78_1537:
	s_or_b64 exec, exec, s[24:25]
.LBB78_1538:
	s_or_b64 exec, exec, s[20:21]
	global_store_byte v[5:6], v8, off
.LBB78_1539:
	s_mov_b64 s[20:21], -1
.LBB78_1540:
	s_mov_b64 s[22:23], 0
.LBB78_1541:
	s_and_b64 vcc, exec, s[22:23]
	s_cbranch_vccz .LBB78_1581
; %bb.1542:
	s_cmp_gt_i32 s3, 22
	s_mov_b64 s[14:15], -1
	s_cbranch_scc0 .LBB78_1574
; %bb.1543:
	s_cmp_lt_i32 s3, 24
	s_cbranch_scc1 .LBB78_1563
; %bb.1544:
	s_cmp_gt_i32 s3, 24
	s_cbranch_scc0 .LBB78_1552
; %bb.1545:
	v_cndmask_b32_e64 v7, 0, 1.0, s[10:11]
	s_mov_b32 s13, 0x47800000
	v_cmp_gt_u32_e32 vcc, s13, v7
	v_mov_b32_e32 v8, 0x80
	s_and_saveexec_b64 s[14:15], vcc
	s_cbranch_execz .LBB78_1551
; %bb.1546:
	s_mov_b32 s13, 0x37ffffff
	v_cmp_lt_u32_e32 vcc, s13, v7
	s_mov_b64 s[20:21], 0
                                        ; implicit-def: $vgpr3
	s_and_saveexec_b64 s[22:23], vcc
	s_xor_b64 s[22:23], exec, s[22:23]
	s_cbranch_execz .LBB78_1990
; %bb.1547:
	v_bfe_u32 v3, v7, 21, 1
	s_mov_b32 s13, 0x88fffff
	v_add3_u32 v3, v7, v3, s13
	s_mov_b64 s[20:21], exec
	v_lshrrev_b32_e32 v3, 21, v3
                                        ; implicit-def: $vgpr7
	s_andn2_saveexec_b64 s[22:23], s[22:23]
	s_cbranch_execnz .LBB78_1991
.LBB78_1548:
	s_or_b64 exec, exec, s[22:23]
	v_mov_b32_e32 v8, 0
	s_and_saveexec_b64 s[22:23], s[20:21]
.LBB78_1549:
	v_mov_b32_e32 v8, v3
.LBB78_1550:
	s_or_b64 exec, exec, s[22:23]
.LBB78_1551:
	s_or_b64 exec, exec, s[14:15]
	s_mov_b64 s[14:15], 0
	global_store_byte v[5:6], v8, off
.LBB78_1552:
	s_and_b64 vcc, exec, s[14:15]
	s_cbranch_vccz .LBB78_1562
; %bb.1553:
	v_cndmask_b32_e64 v3, 0, 1.0, s[10:11]
	s_mov_b32 s13, 0x43f00000
	v_cmp_gt_u32_e32 vcc, s13, v3
                                        ; implicit-def: $vgpr7
	s_and_saveexec_b64 s[14:15], vcc
	s_xor_b64 s[14:15], exec, s[14:15]
	s_cbranch_execz .LBB78_1559
; %bb.1554:
	s_mov_b32 s13, 0x3c7fffff
	v_cmp_lt_u32_e32 vcc, s13, v3
                                        ; implicit-def: $vgpr7
	s_and_saveexec_b64 s[20:21], vcc
	s_xor_b64 s[20:21], exec, s[20:21]
; %bb.1555:
	v_bfe_u32 v7, v3, 20, 1
	s_mov_b32 s13, 0x407ffff
	v_add3_u32 v3, v3, v7, s13
	v_lshrrev_b32_e32 v7, 20, v3
	v_and_b32_e32 v3, 0xff00000, v3
	s_mov_b32 s13, 0x7f00000
	v_mov_b32_e32 v8, 0x7e
	v_cmp_ne_u32_e32 vcc, s13, v3
	v_cndmask_b32_e32 v7, v8, v7, vcc
                                        ; implicit-def: $vgpr3
; %bb.1556:
	s_andn2_saveexec_b64 s[20:21], s[20:21]
; %bb.1557:
	v_add_f32_e32 v7, 0x46800000, v3
; %bb.1558:
	s_or_b64 exec, exec, s[20:21]
                                        ; implicit-def: $vgpr3
.LBB78_1559:
	s_andn2_saveexec_b64 s[14:15], s[14:15]
; %bb.1560:
	s_mov_b32 s13, 0x7f800000
	v_mov_b32_e32 v7, 0x7e
	v_mov_b32_e32 v8, 0x7f
	v_cmp_lt_u32_e32 vcc, s13, v3
	v_cndmask_b32_e32 v7, v7, v8, vcc
; %bb.1561:
	s_or_b64 exec, exec, s[14:15]
	global_store_byte v[5:6], v7, off
.LBB78_1562:
	s_mov_b64 s[14:15], 0
.LBB78_1563:
	s_andn2_b64 vcc, exec, s[14:15]
	s_cbranch_vccnz .LBB78_1573
; %bb.1564:
	v_cndmask_b32_e64 v3, 0, 1.0, s[10:11]
	s_mov_b32 s13, 0x47800000
	v_cmp_gt_u32_e32 vcc, s13, v3
                                        ; implicit-def: $vgpr7
	s_and_saveexec_b64 s[14:15], vcc
	s_xor_b64 s[14:15], exec, s[14:15]
	s_cbranch_execz .LBB78_1570
; %bb.1565:
	s_mov_b32 s13, 0x387fffff
	v_cmp_lt_u32_e32 vcc, s13, v3
                                        ; implicit-def: $vgpr7
	s_and_saveexec_b64 s[20:21], vcc
	s_xor_b64 s[20:21], exec, s[20:21]
; %bb.1566:
	v_bfe_u32 v7, v3, 21, 1
	s_mov_b32 s13, 0x80fffff
	v_add3_u32 v3, v3, v7, s13
	v_lshrrev_b32_e32 v7, 21, v3
                                        ; implicit-def: $vgpr3
; %bb.1567:
	s_andn2_saveexec_b64 s[20:21], s[20:21]
; %bb.1568:
	v_add_f32_e32 v7, 0x43000000, v3
; %bb.1569:
	s_or_b64 exec, exec, s[20:21]
                                        ; implicit-def: $vgpr3
.LBB78_1570:
	s_andn2_saveexec_b64 s[14:15], s[14:15]
; %bb.1571:
	s_mov_b32 s13, 0x7f800000
	v_mov_b32_e32 v7, 0x7c
	v_mov_b32_e32 v8, 0x7f
	v_cmp_lt_u32_e32 vcc, s13, v3
	v_cndmask_b32_e32 v7, v7, v8, vcc
; %bb.1572:
	s_or_b64 exec, exec, s[14:15]
	global_store_byte v[5:6], v7, off
.LBB78_1573:
	s_mov_b64 s[14:15], 0
	s_mov_b64 s[20:21], -1
.LBB78_1574:
	s_andn2_b64 vcc, exec, s[14:15]
	s_mov_b64 s[14:15], 0
	s_cbranch_vccnz .LBB78_1581
; %bb.1575:
	s_cmp_gt_i32 s3, 14
	s_mov_b64 s[22:23], -1
	s_cbranch_scc0 .LBB78_1579
; %bb.1576:
	s_cmp_eq_u32 s3, 15
	s_mov_b64 s[0:1], -1
	s_cbranch_scc0 .LBB78_1578
; %bb.1577:
	v_cndmask_b32_e64 v3, 0, 1.0, s[10:11]
	v_bfe_u32 v7, v3, 16, 1
	s_movk_i32 s0, 0x7fff
	v_add3_u32 v3, v3, v7, s0
	global_store_short_d16_hi v[5:6], v3, off
	s_mov_b64 s[0:1], 0
	s_mov_b64 s[20:21], -1
.LBB78_1578:
	s_mov_b64 s[22:23], 0
.LBB78_1579:
	s_and_b64 vcc, exec, s[22:23]
	s_cbranch_vccz .LBB78_1581
; %bb.1580:
	s_cmp_lg_u32 s3, 11
	s_mov_b64 s[14:15], -1
	s_cselect_b64 s[0:1], -1, 0
.LBB78_1581:
	s_and_b64 vcc, exec, s[0:1]
	s_cbranch_vccnz .LBB78_1989
; %bb.1582:
	s_andn2_b64 vcc, exec, s[14:15]
	s_cbranch_vccnz .LBB78_1584
.LBB78_1583:
	v_cndmask_b32_e64 v3, 0, 1, s[10:11]
	s_mov_b64 s[20:21], -1
	global_store_byte v[5:6], v3, off
.LBB78_1584:
	s_mov_b64 s[0:1], 0
	s_branch .LBB78_1586
.LBB78_1585:
	s_mov_b64 s[0:1], -1
	s_mov_b64 s[20:21], 0
.LBB78_1586:
	s_and_b64 vcc, exec, s[0:1]
	s_cbranch_vccz .LBB78_1625
; %bb.1587:
	s_and_b32 s3, 0xffff, s26
	s_cmp_lt_i32 s3, 5
	s_mov_b64 s[0:1], -1
	s_cbranch_scc1 .LBB78_1608
; %bb.1588:
	s_cmp_lt_i32 s3, 8
	s_cbranch_scc1 .LBB78_1598
; %bb.1589:
	s_cmp_lt_i32 s3, 9
	s_cbranch_scc1 .LBB78_1595
; %bb.1590:
	s_cmp_gt_i32 s3, 9
	s_cbranch_scc0 .LBB78_1592
; %bb.1591:
	v_cndmask_b32_e64 v3, 0, 1, s[10:11]
	v_cvt_f64_u32_e32 v[7:8], v3
	v_mov_b32_e32 v9, 0
	v_mov_b32_e32 v10, v9
	s_mov_b64 s[0:1], 0
	global_store_dwordx4 v[5:6], v[7:10], off
.LBB78_1592:
	s_andn2_b64 vcc, exec, s[0:1]
	s_cbranch_vccnz .LBB78_1594
; %bb.1593:
	v_cndmask_b32_e64 v7, 0, 1.0, s[10:11]
	v_mov_b32_e32 v8, 0
	global_store_dwordx2 v[5:6], v[7:8], off
.LBB78_1594:
	s_mov_b64 s[0:1], 0
.LBB78_1595:
	s_andn2_b64 vcc, exec, s[0:1]
	s_cbranch_vccnz .LBB78_1597
; %bb.1596:
	v_cndmask_b32_e64 v3, 0, 1.0, s[10:11]
	v_cvt_f16_f32_e32 v3, v3
	global_store_dword v[5:6], v3, off
.LBB78_1597:
	s_mov_b64 s[0:1], 0
.LBB78_1598:
	s_andn2_b64 vcc, exec, s[0:1]
	s_cbranch_vccnz .LBB78_1607
; %bb.1599:
	s_cmp_lt_i32 s3, 6
	s_mov_b64 s[0:1], -1
	s_cbranch_scc1 .LBB78_1605
; %bb.1600:
	s_cmp_gt_i32 s3, 6
	s_cbranch_scc0 .LBB78_1602
; %bb.1601:
	v_cndmask_b32_e64 v3, 0, 1, s[10:11]
	v_cvt_f64_u32_e32 v[7:8], v3
	s_mov_b64 s[0:1], 0
	global_store_dwordx2 v[5:6], v[7:8], off
.LBB78_1602:
	s_andn2_b64 vcc, exec, s[0:1]
	s_cbranch_vccnz .LBB78_1604
; %bb.1603:
	v_cndmask_b32_e64 v3, 0, 1.0, s[10:11]
	global_store_dword v[5:6], v3, off
.LBB78_1604:
	s_mov_b64 s[0:1], 0
.LBB78_1605:
	s_andn2_b64 vcc, exec, s[0:1]
	s_cbranch_vccnz .LBB78_1607
; %bb.1606:
	v_cndmask_b32_e64 v3, 0, 1.0, s[10:11]
	v_cvt_f16_f32_e32 v3, v3
	global_store_short v[5:6], v3, off
.LBB78_1607:
	s_mov_b64 s[0:1], 0
.LBB78_1608:
	s_andn2_b64 vcc, exec, s[0:1]
	s_cbranch_vccnz .LBB78_1624
; %bb.1609:
	s_cmp_lt_i32 s3, 2
	s_mov_b64 s[0:1], -1
	s_cbranch_scc1 .LBB78_1619
; %bb.1610:
	s_cmp_lt_i32 s3, 3
	s_cbranch_scc1 .LBB78_1616
; %bb.1611:
	s_cmp_gt_i32 s3, 3
	s_cbranch_scc0 .LBB78_1613
; %bb.1612:
	s_mov_b32 s0, 0
	v_cndmask_b32_e64 v7, 0, 1, s[10:11]
	v_mov_b32_e32 v8, s0
	global_store_dwordx2 v[5:6], v[7:8], off
	s_mov_b64 s[0:1], 0
.LBB78_1613:
	s_andn2_b64 vcc, exec, s[0:1]
	s_cbranch_vccnz .LBB78_1615
; %bb.1614:
	v_cndmask_b32_e64 v3, 0, 1, s[10:11]
	global_store_dword v[5:6], v3, off
.LBB78_1615:
	s_mov_b64 s[0:1], 0
.LBB78_1616:
	s_andn2_b64 vcc, exec, s[0:1]
	s_cbranch_vccnz .LBB78_1618
; %bb.1617:
	v_cndmask_b32_e64 v3, 0, 1, s[10:11]
	global_store_short v[5:6], v3, off
.LBB78_1618:
	s_mov_b64 s[0:1], 0
.LBB78_1619:
	s_andn2_b64 vcc, exec, s[0:1]
	s_cbranch_vccnz .LBB78_1624
; %bb.1620:
	s_mov_b64 s[0:1], -1
	s_cmp_gt_i32 s3, 0
	v_cndmask_b32_e64 v3, 0, 1, s[10:11]
	s_cbranch_scc0 .LBB78_1622
; %bb.1621:
	global_store_byte v[5:6], v3, off
	s_mov_b64 s[0:1], 0
.LBB78_1622:
	s_andn2_b64 vcc, exec, s[0:1]
	s_cbranch_vccnz .LBB78_1624
; %bb.1623:
	global_store_byte v[5:6], v3, off
.LBB78_1624:
	s_mov_b64 s[20:21], -1
.LBB78_1625:
	s_andn2_b64 vcc, exec, s[20:21]
	s_cbranch_vccnz .LBB78_1940
; %bb.1626:
	s_lshl_b32 s3, s12, 7
	v_cmp_ne_u16_e32 vcc, s2, v4
	v_add_u32_e32 v1, s3, v1
	s_xor_b64 s[10:11], s[4:5], vcc
	v_ashrrev_i32_e32 v4, 31, v1
	v_mov_b32_e32 v5, s9
	v_add_co_u32_e32 v3, vcc, s8, v1
	s_cmp_lt_i32 s26, 11
	v_addc_co_u32_e32 v4, vcc, v5, v4, vcc
	s_cbranch_scc1 .LBB78_1704
; %bb.1627:
	s_and_b32 s24, 0xffff, s26
	s_mov_b64 s[20:21], -1
	s_mov_b64 s[12:13], 0
	s_cmp_gt_i32 s24, 25
	s_mov_b64 s[14:15], 0
	s_mov_b64 s[0:1], 0
	s_cbranch_scc0 .LBB78_1660
; %bb.1628:
	s_cmp_gt_i32 s24, 28
	s_cbranch_scc0 .LBB78_1643
; %bb.1629:
	s_cmp_gt_i32 s24, 43
	;; [unrolled: 3-line block ×3, first 2 shown]
	s_cbranch_scc0 .LBB78_1633
; %bb.1631:
	s_mov_b64 s[0:1], -1
	s_mov_b64 s[20:21], 0
	s_cmp_eq_u32 s24, 46
	s_cbranch_scc0 .LBB78_1633
; %bb.1632:
	v_cndmask_b32_e64 v5, 0, 1.0, s[10:11]
	v_bfe_u32 v6, v5, 16, 1
	s_movk_i32 s0, 0x7fff
	v_add3_u32 v5, v5, v6, s0
	v_lshrrev_b32_e32 v5, 16, v5
	global_store_dword v[3:4], v5, off
	s_mov_b64 s[0:1], 0
	s_mov_b64 s[14:15], -1
.LBB78_1633:
	s_and_b64 vcc, exec, s[20:21]
	s_cbranch_vccz .LBB78_1638
; %bb.1634:
	s_cmp_eq_u32 s24, 44
	s_mov_b64 s[0:1], -1
	s_cbranch_scc0 .LBB78_1638
; %bb.1635:
	v_cndmask_b32_e64 v6, 0, 1.0, s[10:11]
	v_lshrrev_b32_e32 v5, 23, v6
	s_movk_i32 s0, 0xff
	v_cmp_ne_u32_e32 vcc, s0, v5
	v_mov_b32_e32 v7, 0xff
	s_and_saveexec_b64 s[14:15], vcc
; %bb.1636:
	s_mov_b32 s0, 0x3fffff
	v_and_b32_e32 v7, 0x400000, v6
	v_and_or_b32 v6, v6, s0, v5
	v_cmp_ne_u32_e32 vcc, 0, v7
	v_cmp_ne_u32_e64 s[0:1], 0, v6
	s_and_b64 s[0:1], vcc, s[0:1]
	v_cndmask_b32_e64 v6, 0, 1, s[0:1]
	v_add_u32_e32 v7, v5, v6
; %bb.1637:
	s_or_b64 exec, exec, s[14:15]
	s_mov_b64 s[0:1], 0
	s_mov_b64 s[14:15], -1
	global_store_byte v[3:4], v7, off
.LBB78_1638:
	s_mov_b64 s[20:21], 0
.LBB78_1639:
	s_and_b64 vcc, exec, s[20:21]
	s_cbranch_vccz .LBB78_1642
; %bb.1640:
	s_cmp_eq_u32 s24, 29
	s_mov_b64 s[0:1], -1
	s_cbranch_scc0 .LBB78_1642
; %bb.1641:
	s_mov_b32 s0, 0
	v_cndmask_b32_e64 v5, 0, 1, s[10:11]
	v_mov_b32_e32 v6, s0
	global_store_dwordx2 v[3:4], v[5:6], off
	s_mov_b64 s[0:1], 0
	s_mov_b64 s[14:15], -1
.LBB78_1642:
	s_mov_b64 s[20:21], 0
.LBB78_1643:
	s_and_b64 vcc, exec, s[20:21]
	s_cbranch_vccz .LBB78_1659
; %bb.1644:
	s_cmp_lt_i32 s24, 27
	s_mov_b64 s[14:15], -1
	s_cbranch_scc1 .LBB78_1650
; %bb.1645:
	s_cmp_gt_i32 s24, 27
	s_cbranch_scc0 .LBB78_1647
; %bb.1646:
	v_cndmask_b32_e64 v5, 0, 1, s[10:11]
	s_mov_b64 s[14:15], 0
	global_store_dword v[3:4], v5, off
.LBB78_1647:
	s_andn2_b64 vcc, exec, s[14:15]
	s_cbranch_vccnz .LBB78_1649
; %bb.1648:
	v_cndmask_b32_e64 v5, 0, 1, s[10:11]
	global_store_short v[3:4], v5, off
.LBB78_1649:
	s_mov_b64 s[14:15], 0
.LBB78_1650:
	s_andn2_b64 vcc, exec, s[14:15]
	s_cbranch_vccnz .LBB78_1658
; %bb.1651:
	v_cndmask_b32_e64 v6, 0, 1.0, s[10:11]
	s_mov_b32 s14, 0x43800000
	v_cmp_gt_u32_e32 vcc, s14, v6
	v_mov_b32_e32 v7, 0x80
	s_and_saveexec_b64 s[14:15], vcc
	s_cbranch_execz .LBB78_1657
; %bb.1652:
	s_mov_b32 s20, 0x3bffffff
	v_cmp_lt_u32_e32 vcc, s20, v6
	s_mov_b64 s[20:21], 0
                                        ; implicit-def: $vgpr5
	s_and_saveexec_b64 s[22:23], vcc
	s_xor_b64 s[22:23], exec, s[22:23]
	s_cbranch_execz .LBB78_1992
; %bb.1653:
	v_bfe_u32 v5, v6, 20, 1
	s_mov_b32 s25, 0x487ffff
	v_add3_u32 v5, v6, v5, s25
	s_mov_b64 s[20:21], exec
	v_lshrrev_b32_e32 v5, 20, v5
                                        ; implicit-def: $vgpr6
	s_andn2_saveexec_b64 s[22:23], s[22:23]
	s_cbranch_execnz .LBB78_1993
.LBB78_1654:
	s_or_b64 exec, exec, s[22:23]
	v_mov_b32_e32 v7, 0
	s_and_saveexec_b64 s[22:23], s[20:21]
.LBB78_1655:
	v_mov_b32_e32 v7, v5
.LBB78_1656:
	s_or_b64 exec, exec, s[22:23]
.LBB78_1657:
	s_or_b64 exec, exec, s[14:15]
	global_store_byte v[3:4], v7, off
.LBB78_1658:
	s_mov_b64 s[14:15], -1
.LBB78_1659:
	s_mov_b64 s[20:21], 0
.LBB78_1660:
	s_and_b64 vcc, exec, s[20:21]
	s_cbranch_vccz .LBB78_1700
; %bb.1661:
	s_cmp_gt_i32 s24, 22
	s_mov_b64 s[12:13], -1
	s_cbranch_scc0 .LBB78_1693
; %bb.1662:
	s_cmp_lt_i32 s24, 24
	s_cbranch_scc1 .LBB78_1682
; %bb.1663:
	s_cmp_gt_i32 s24, 24
	s_cbranch_scc0 .LBB78_1671
; %bb.1664:
	v_cndmask_b32_e64 v6, 0, 1.0, s[10:11]
	s_mov_b32 s12, 0x47800000
	v_cmp_gt_u32_e32 vcc, s12, v6
	v_mov_b32_e32 v7, 0x80
	s_and_saveexec_b64 s[12:13], vcc
	s_cbranch_execz .LBB78_1670
; %bb.1665:
	s_mov_b32 s14, 0x37ffffff
	v_cmp_lt_u32_e32 vcc, s14, v6
	s_mov_b64 s[14:15], 0
                                        ; implicit-def: $vgpr5
	s_and_saveexec_b64 s[20:21], vcc
	s_xor_b64 s[20:21], exec, s[20:21]
	s_cbranch_execz .LBB78_1995
; %bb.1666:
	v_bfe_u32 v5, v6, 21, 1
	s_mov_b32 s22, 0x88fffff
	v_add3_u32 v5, v6, v5, s22
	s_mov_b64 s[14:15], exec
	v_lshrrev_b32_e32 v5, 21, v5
                                        ; implicit-def: $vgpr6
	s_andn2_saveexec_b64 s[20:21], s[20:21]
	s_cbranch_execnz .LBB78_1996
.LBB78_1667:
	s_or_b64 exec, exec, s[20:21]
	v_mov_b32_e32 v7, 0
	s_and_saveexec_b64 s[20:21], s[14:15]
.LBB78_1668:
	v_mov_b32_e32 v7, v5
.LBB78_1669:
	s_or_b64 exec, exec, s[20:21]
.LBB78_1670:
	s_or_b64 exec, exec, s[12:13]
	s_mov_b64 s[12:13], 0
	global_store_byte v[3:4], v7, off
.LBB78_1671:
	s_and_b64 vcc, exec, s[12:13]
	s_cbranch_vccz .LBB78_1681
; %bb.1672:
	v_cndmask_b32_e64 v5, 0, 1.0, s[10:11]
	s_mov_b32 s12, 0x43f00000
	v_cmp_gt_u32_e32 vcc, s12, v5
                                        ; implicit-def: $vgpr6
	s_and_saveexec_b64 s[12:13], vcc
	s_xor_b64 s[12:13], exec, s[12:13]
	s_cbranch_execz .LBB78_1678
; %bb.1673:
	s_mov_b32 s14, 0x3c7fffff
	v_cmp_lt_u32_e32 vcc, s14, v5
                                        ; implicit-def: $vgpr6
	s_and_saveexec_b64 s[14:15], vcc
	s_xor_b64 s[14:15], exec, s[14:15]
; %bb.1674:
	v_bfe_u32 v6, v5, 20, 1
	s_mov_b32 s20, 0x407ffff
	v_add3_u32 v5, v5, v6, s20
	v_lshrrev_b32_e32 v6, 20, v5
	v_and_b32_e32 v5, 0xff00000, v5
	s_mov_b32 s20, 0x7f00000
	v_mov_b32_e32 v7, 0x7e
	v_cmp_ne_u32_e32 vcc, s20, v5
	v_cndmask_b32_e32 v6, v7, v6, vcc
                                        ; implicit-def: $vgpr5
; %bb.1675:
	s_andn2_saveexec_b64 s[14:15], s[14:15]
; %bb.1676:
	v_add_f32_e32 v6, 0x46800000, v5
; %bb.1677:
	s_or_b64 exec, exec, s[14:15]
                                        ; implicit-def: $vgpr5
.LBB78_1678:
	s_andn2_saveexec_b64 s[12:13], s[12:13]
; %bb.1679:
	s_mov_b32 s14, 0x7f800000
	v_mov_b32_e32 v6, 0x7e
	v_mov_b32_e32 v7, 0x7f
	v_cmp_lt_u32_e32 vcc, s14, v5
	v_cndmask_b32_e32 v6, v6, v7, vcc
; %bb.1680:
	s_or_b64 exec, exec, s[12:13]
	global_store_byte v[3:4], v6, off
.LBB78_1681:
	s_mov_b64 s[12:13], 0
.LBB78_1682:
	s_andn2_b64 vcc, exec, s[12:13]
	s_cbranch_vccnz .LBB78_1692
; %bb.1683:
	v_cndmask_b32_e64 v5, 0, 1.0, s[10:11]
	s_mov_b32 s12, 0x47800000
	v_cmp_gt_u32_e32 vcc, s12, v5
                                        ; implicit-def: $vgpr6
	s_and_saveexec_b64 s[12:13], vcc
	s_xor_b64 s[12:13], exec, s[12:13]
	s_cbranch_execz .LBB78_1689
; %bb.1684:
	s_mov_b32 s14, 0x387fffff
	v_cmp_lt_u32_e32 vcc, s14, v5
                                        ; implicit-def: $vgpr6
	s_and_saveexec_b64 s[14:15], vcc
	s_xor_b64 s[14:15], exec, s[14:15]
; %bb.1685:
	v_bfe_u32 v6, v5, 21, 1
	s_mov_b32 s20, 0x80fffff
	v_add3_u32 v5, v5, v6, s20
	v_lshrrev_b32_e32 v6, 21, v5
                                        ; implicit-def: $vgpr5
; %bb.1686:
	s_andn2_saveexec_b64 s[14:15], s[14:15]
; %bb.1687:
	v_add_f32_e32 v6, 0x43000000, v5
; %bb.1688:
	s_or_b64 exec, exec, s[14:15]
                                        ; implicit-def: $vgpr5
.LBB78_1689:
	s_andn2_saveexec_b64 s[12:13], s[12:13]
; %bb.1690:
	s_mov_b32 s14, 0x7f800000
	v_mov_b32_e32 v6, 0x7c
	v_mov_b32_e32 v7, 0x7f
	v_cmp_lt_u32_e32 vcc, s14, v5
	v_cndmask_b32_e32 v6, v6, v7, vcc
; %bb.1691:
	s_or_b64 exec, exec, s[12:13]
	global_store_byte v[3:4], v6, off
.LBB78_1692:
	s_mov_b64 s[12:13], 0
	s_mov_b64 s[14:15], -1
.LBB78_1693:
	s_andn2_b64 vcc, exec, s[12:13]
	s_mov_b64 s[12:13], 0
	s_cbranch_vccnz .LBB78_1700
; %bb.1694:
	s_cmp_gt_i32 s24, 14
	s_mov_b64 s[20:21], -1
	s_cbranch_scc0 .LBB78_1698
; %bb.1695:
	s_cmp_eq_u32 s24, 15
	s_mov_b64 s[0:1], -1
	s_cbranch_scc0 .LBB78_1697
; %bb.1696:
	v_cndmask_b32_e64 v5, 0, 1.0, s[10:11]
	v_bfe_u32 v6, v5, 16, 1
	s_movk_i32 s0, 0x7fff
	v_add3_u32 v5, v5, v6, s0
	global_store_short_d16_hi v[3:4], v5, off
	s_mov_b64 s[0:1], 0
	s_mov_b64 s[14:15], -1
.LBB78_1697:
	s_mov_b64 s[20:21], 0
.LBB78_1698:
	s_and_b64 vcc, exec, s[20:21]
	s_cbranch_vccz .LBB78_1700
; %bb.1699:
	s_cmp_lg_u32 s24, 11
	s_mov_b64 s[12:13], -1
	s_cselect_b64 s[0:1], -1, 0
.LBB78_1700:
	s_and_b64 vcc, exec, s[0:1]
	s_cbranch_vccnz .LBB78_1994
; %bb.1701:
	s_andn2_b64 vcc, exec, s[12:13]
	s_cbranch_vccnz .LBB78_1703
.LBB78_1702:
	v_cndmask_b32_e64 v5, 0, 1, s[10:11]
	s_mov_b64 s[14:15], -1
	global_store_byte v[3:4], v5, off
.LBB78_1703:
	s_mov_b64 s[0:1], 0
	s_branch .LBB78_1705
.LBB78_1704:
	s_mov_b64 s[0:1], -1
	s_mov_b64 s[14:15], 0
.LBB78_1705:
	s_and_b64 vcc, exec, s[0:1]
	s_cbranch_vccz .LBB78_1744
; %bb.1706:
	s_and_b32 s12, 0xffff, s26
	s_cmp_lt_i32 s12, 5
	s_mov_b64 s[0:1], -1
	s_cbranch_scc1 .LBB78_1727
; %bb.1707:
	s_cmp_lt_i32 s12, 8
	s_cbranch_scc1 .LBB78_1717
; %bb.1708:
	s_cmp_lt_i32 s12, 9
	s_cbranch_scc1 .LBB78_1714
; %bb.1709:
	s_cmp_gt_i32 s12, 9
	s_cbranch_scc0 .LBB78_1711
; %bb.1710:
	v_cndmask_b32_e64 v5, 0, 1, s[10:11]
	v_cvt_f64_u32_e32 v[5:6], v5
	v_mov_b32_e32 v7, 0
	v_mov_b32_e32 v8, v7
	s_mov_b64 s[0:1], 0
	global_store_dwordx4 v[3:4], v[5:8], off
.LBB78_1711:
	s_andn2_b64 vcc, exec, s[0:1]
	s_cbranch_vccnz .LBB78_1713
; %bb.1712:
	v_cndmask_b32_e64 v5, 0, 1.0, s[10:11]
	v_mov_b32_e32 v6, 0
	global_store_dwordx2 v[3:4], v[5:6], off
.LBB78_1713:
	s_mov_b64 s[0:1], 0
.LBB78_1714:
	s_andn2_b64 vcc, exec, s[0:1]
	s_cbranch_vccnz .LBB78_1716
; %bb.1715:
	v_cndmask_b32_e64 v5, 0, 1.0, s[10:11]
	v_cvt_f16_f32_e32 v5, v5
	global_store_dword v[3:4], v5, off
.LBB78_1716:
	s_mov_b64 s[0:1], 0
.LBB78_1717:
	s_andn2_b64 vcc, exec, s[0:1]
	s_cbranch_vccnz .LBB78_1726
; %bb.1718:
	s_cmp_lt_i32 s12, 6
	s_mov_b64 s[0:1], -1
	s_cbranch_scc1 .LBB78_1724
; %bb.1719:
	s_cmp_gt_i32 s12, 6
	s_cbranch_scc0 .LBB78_1721
; %bb.1720:
	v_cndmask_b32_e64 v5, 0, 1, s[10:11]
	v_cvt_f64_u32_e32 v[5:6], v5
	s_mov_b64 s[0:1], 0
	global_store_dwordx2 v[3:4], v[5:6], off
.LBB78_1721:
	s_andn2_b64 vcc, exec, s[0:1]
	s_cbranch_vccnz .LBB78_1723
; %bb.1722:
	v_cndmask_b32_e64 v5, 0, 1.0, s[10:11]
	global_store_dword v[3:4], v5, off
.LBB78_1723:
	s_mov_b64 s[0:1], 0
.LBB78_1724:
	s_andn2_b64 vcc, exec, s[0:1]
	s_cbranch_vccnz .LBB78_1726
; %bb.1725:
	v_cndmask_b32_e64 v5, 0, 1.0, s[10:11]
	v_cvt_f16_f32_e32 v5, v5
	global_store_short v[3:4], v5, off
.LBB78_1726:
	s_mov_b64 s[0:1], 0
.LBB78_1727:
	s_andn2_b64 vcc, exec, s[0:1]
	s_cbranch_vccnz .LBB78_1743
; %bb.1728:
	s_cmp_lt_i32 s12, 2
	s_mov_b64 s[0:1], -1
	s_cbranch_scc1 .LBB78_1738
; %bb.1729:
	s_cmp_lt_i32 s12, 3
	s_cbranch_scc1 .LBB78_1735
; %bb.1730:
	s_cmp_gt_i32 s12, 3
	s_cbranch_scc0 .LBB78_1732
; %bb.1731:
	s_mov_b32 s0, 0
	v_cndmask_b32_e64 v5, 0, 1, s[10:11]
	v_mov_b32_e32 v6, s0
	global_store_dwordx2 v[3:4], v[5:6], off
	s_mov_b64 s[0:1], 0
.LBB78_1732:
	s_andn2_b64 vcc, exec, s[0:1]
	s_cbranch_vccnz .LBB78_1734
; %bb.1733:
	v_cndmask_b32_e64 v5, 0, 1, s[10:11]
	global_store_dword v[3:4], v5, off
.LBB78_1734:
	s_mov_b64 s[0:1], 0
.LBB78_1735:
	s_andn2_b64 vcc, exec, s[0:1]
	s_cbranch_vccnz .LBB78_1737
; %bb.1736:
	v_cndmask_b32_e64 v5, 0, 1, s[10:11]
	global_store_short v[3:4], v5, off
.LBB78_1737:
	s_mov_b64 s[0:1], 0
.LBB78_1738:
	s_andn2_b64 vcc, exec, s[0:1]
	s_cbranch_vccnz .LBB78_1743
; %bb.1739:
	s_mov_b64 s[0:1], -1
	s_cmp_gt_i32 s12, 0
	v_cndmask_b32_e64 v5, 0, 1, s[10:11]
	s_cbranch_scc0 .LBB78_1741
; %bb.1740:
	global_store_byte v[3:4], v5, off
	s_mov_b64 s[0:1], 0
.LBB78_1741:
	s_andn2_b64 vcc, exec, s[0:1]
	s_cbranch_vccnz .LBB78_1743
; %bb.1742:
	global_store_byte v[3:4], v5, off
.LBB78_1743:
	s_mov_b64 s[14:15], -1
.LBB78_1744:
	s_andn2_b64 vcc, exec, s[14:15]
	s_cbranch_vccnz .LBB78_1940
; %bb.1745:
	v_cmp_ne_u16_e32 vcc, s2, v2
	v_add_u32_e32 v3, s3, v1
	s_xor_b64 s[10:11], s[4:5], vcc
	v_ashrrev_i32_e32 v2, 31, v3
	v_mov_b32_e32 v4, s9
	v_add_co_u32_e32 v1, vcc, s8, v3
	s_cmp_lt_i32 s26, 11
	v_addc_co_u32_e32 v2, vcc, v4, v2, vcc
	s_cbranch_scc1 .LBB78_1823
; %bb.1746:
	s_and_b32 s24, 0xffff, s26
	s_mov_b64 s[20:21], -1
	s_mov_b64 s[12:13], 0
	s_cmp_gt_i32 s24, 25
	s_mov_b64 s[14:15], 0
	s_mov_b64 s[0:1], 0
	s_cbranch_scc0 .LBB78_1779
; %bb.1747:
	s_cmp_gt_i32 s24, 28
	s_cbranch_scc0 .LBB78_1762
; %bb.1748:
	s_cmp_gt_i32 s24, 43
	;; [unrolled: 3-line block ×3, first 2 shown]
	s_cbranch_scc0 .LBB78_1752
; %bb.1750:
	s_mov_b64 s[0:1], -1
	s_mov_b64 s[20:21], 0
	s_cmp_eq_u32 s24, 46
	s_cbranch_scc0 .LBB78_1752
; %bb.1751:
	v_cndmask_b32_e64 v4, 0, 1.0, s[10:11]
	v_bfe_u32 v5, v4, 16, 1
	s_movk_i32 s0, 0x7fff
	v_add3_u32 v4, v4, v5, s0
	v_lshrrev_b32_e32 v4, 16, v4
	global_store_dword v[1:2], v4, off
	s_mov_b64 s[0:1], 0
	s_mov_b64 s[14:15], -1
.LBB78_1752:
	s_and_b64 vcc, exec, s[20:21]
	s_cbranch_vccz .LBB78_1757
; %bb.1753:
	s_cmp_eq_u32 s24, 44
	s_mov_b64 s[0:1], -1
	s_cbranch_scc0 .LBB78_1757
; %bb.1754:
	v_cndmask_b32_e64 v5, 0, 1.0, s[10:11]
	v_lshrrev_b32_e32 v4, 23, v5
	s_movk_i32 s0, 0xff
	v_cmp_ne_u32_e32 vcc, s0, v4
	v_mov_b32_e32 v6, 0xff
	s_and_saveexec_b64 s[14:15], vcc
; %bb.1755:
	s_mov_b32 s0, 0x3fffff
	v_and_b32_e32 v6, 0x400000, v5
	v_and_or_b32 v5, v5, s0, v4
	v_cmp_ne_u32_e32 vcc, 0, v6
	v_cmp_ne_u32_e64 s[0:1], 0, v5
	s_and_b64 s[0:1], vcc, s[0:1]
	v_cndmask_b32_e64 v5, 0, 1, s[0:1]
	v_add_u32_e32 v6, v4, v5
; %bb.1756:
	s_or_b64 exec, exec, s[14:15]
	s_mov_b64 s[0:1], 0
	s_mov_b64 s[14:15], -1
	global_store_byte v[1:2], v6, off
.LBB78_1757:
	s_mov_b64 s[20:21], 0
.LBB78_1758:
	s_and_b64 vcc, exec, s[20:21]
	s_cbranch_vccz .LBB78_1761
; %bb.1759:
	s_cmp_eq_u32 s24, 29
	s_mov_b64 s[0:1], -1
	s_cbranch_scc0 .LBB78_1761
; %bb.1760:
	s_mov_b32 s0, 0
	v_cndmask_b32_e64 v4, 0, 1, s[10:11]
	v_mov_b32_e32 v5, s0
	global_store_dwordx2 v[1:2], v[4:5], off
	s_mov_b64 s[0:1], 0
	s_mov_b64 s[14:15], -1
.LBB78_1761:
	s_mov_b64 s[20:21], 0
.LBB78_1762:
	s_and_b64 vcc, exec, s[20:21]
	s_cbranch_vccz .LBB78_1778
; %bb.1763:
	s_cmp_lt_i32 s24, 27
	s_mov_b64 s[14:15], -1
	s_cbranch_scc1 .LBB78_1769
; %bb.1764:
	s_cmp_gt_i32 s24, 27
	s_cbranch_scc0 .LBB78_1766
; %bb.1765:
	v_cndmask_b32_e64 v4, 0, 1, s[10:11]
	s_mov_b64 s[14:15], 0
	global_store_dword v[1:2], v4, off
.LBB78_1766:
	s_andn2_b64 vcc, exec, s[14:15]
	s_cbranch_vccnz .LBB78_1768
; %bb.1767:
	v_cndmask_b32_e64 v4, 0, 1, s[10:11]
	global_store_short v[1:2], v4, off
.LBB78_1768:
	s_mov_b64 s[14:15], 0
.LBB78_1769:
	s_andn2_b64 vcc, exec, s[14:15]
	s_cbranch_vccnz .LBB78_1777
; %bb.1770:
	v_cndmask_b32_e64 v5, 0, 1.0, s[10:11]
	s_mov_b32 s14, 0x43800000
	v_cmp_gt_u32_e32 vcc, s14, v5
	v_mov_b32_e32 v6, 0x80
	s_and_saveexec_b64 s[14:15], vcc
	s_cbranch_execz .LBB78_1776
; %bb.1771:
	s_mov_b32 s20, 0x3bffffff
	v_cmp_lt_u32_e32 vcc, s20, v5
	s_mov_b64 s[20:21], 0
                                        ; implicit-def: $vgpr4
	s_and_saveexec_b64 s[22:23], vcc
	s_xor_b64 s[22:23], exec, s[22:23]
	s_cbranch_execz .LBB78_1997
; %bb.1772:
	v_bfe_u32 v4, v5, 20, 1
	s_mov_b32 s25, 0x487ffff
	v_add3_u32 v4, v5, v4, s25
	s_mov_b64 s[20:21], exec
	v_lshrrev_b32_e32 v4, 20, v4
                                        ; implicit-def: $vgpr5
	s_andn2_saveexec_b64 s[22:23], s[22:23]
	s_cbranch_execnz .LBB78_1998
.LBB78_1773:
	s_or_b64 exec, exec, s[22:23]
	v_mov_b32_e32 v6, 0
	s_and_saveexec_b64 s[22:23], s[20:21]
.LBB78_1774:
	v_mov_b32_e32 v6, v4
.LBB78_1775:
	s_or_b64 exec, exec, s[22:23]
.LBB78_1776:
	s_or_b64 exec, exec, s[14:15]
	global_store_byte v[1:2], v6, off
.LBB78_1777:
	s_mov_b64 s[14:15], -1
.LBB78_1778:
	s_mov_b64 s[20:21], 0
.LBB78_1779:
	s_and_b64 vcc, exec, s[20:21]
	s_cbranch_vccz .LBB78_1819
; %bb.1780:
	s_cmp_gt_i32 s24, 22
	s_mov_b64 s[12:13], -1
	s_cbranch_scc0 .LBB78_1812
; %bb.1781:
	s_cmp_lt_i32 s24, 24
	s_cbranch_scc1 .LBB78_1801
; %bb.1782:
	s_cmp_gt_i32 s24, 24
	s_cbranch_scc0 .LBB78_1790
; %bb.1783:
	v_cndmask_b32_e64 v5, 0, 1.0, s[10:11]
	s_mov_b32 s12, 0x47800000
	v_cmp_gt_u32_e32 vcc, s12, v5
	v_mov_b32_e32 v6, 0x80
	s_and_saveexec_b64 s[12:13], vcc
	s_cbranch_execz .LBB78_1789
; %bb.1784:
	s_mov_b32 s14, 0x37ffffff
	v_cmp_lt_u32_e32 vcc, s14, v5
	s_mov_b64 s[14:15], 0
                                        ; implicit-def: $vgpr4
	s_and_saveexec_b64 s[20:21], vcc
	s_xor_b64 s[20:21], exec, s[20:21]
	s_cbranch_execz .LBB78_2000
; %bb.1785:
	v_bfe_u32 v4, v5, 21, 1
	s_mov_b32 s22, 0x88fffff
	v_add3_u32 v4, v5, v4, s22
	s_mov_b64 s[14:15], exec
	v_lshrrev_b32_e32 v4, 21, v4
                                        ; implicit-def: $vgpr5
	s_andn2_saveexec_b64 s[20:21], s[20:21]
	s_cbranch_execnz .LBB78_2001
.LBB78_1786:
	s_or_b64 exec, exec, s[20:21]
	v_mov_b32_e32 v6, 0
	s_and_saveexec_b64 s[20:21], s[14:15]
.LBB78_1787:
	v_mov_b32_e32 v6, v4
.LBB78_1788:
	s_or_b64 exec, exec, s[20:21]
.LBB78_1789:
	s_or_b64 exec, exec, s[12:13]
	s_mov_b64 s[12:13], 0
	global_store_byte v[1:2], v6, off
.LBB78_1790:
	s_and_b64 vcc, exec, s[12:13]
	s_cbranch_vccz .LBB78_1800
; %bb.1791:
	v_cndmask_b32_e64 v4, 0, 1.0, s[10:11]
	s_mov_b32 s12, 0x43f00000
	v_cmp_gt_u32_e32 vcc, s12, v4
                                        ; implicit-def: $vgpr5
	s_and_saveexec_b64 s[12:13], vcc
	s_xor_b64 s[12:13], exec, s[12:13]
	s_cbranch_execz .LBB78_1797
; %bb.1792:
	s_mov_b32 s14, 0x3c7fffff
	v_cmp_lt_u32_e32 vcc, s14, v4
                                        ; implicit-def: $vgpr5
	s_and_saveexec_b64 s[14:15], vcc
	s_xor_b64 s[14:15], exec, s[14:15]
; %bb.1793:
	v_bfe_u32 v5, v4, 20, 1
	s_mov_b32 s20, 0x407ffff
	v_add3_u32 v4, v4, v5, s20
	v_lshrrev_b32_e32 v5, 20, v4
	v_and_b32_e32 v4, 0xff00000, v4
	s_mov_b32 s20, 0x7f00000
	v_mov_b32_e32 v6, 0x7e
	v_cmp_ne_u32_e32 vcc, s20, v4
	v_cndmask_b32_e32 v5, v6, v5, vcc
                                        ; implicit-def: $vgpr4
; %bb.1794:
	s_andn2_saveexec_b64 s[14:15], s[14:15]
; %bb.1795:
	v_add_f32_e32 v5, 0x46800000, v4
; %bb.1796:
	s_or_b64 exec, exec, s[14:15]
                                        ; implicit-def: $vgpr4
.LBB78_1797:
	s_andn2_saveexec_b64 s[12:13], s[12:13]
; %bb.1798:
	s_mov_b32 s14, 0x7f800000
	v_mov_b32_e32 v5, 0x7e
	v_mov_b32_e32 v6, 0x7f
	v_cmp_lt_u32_e32 vcc, s14, v4
	v_cndmask_b32_e32 v5, v5, v6, vcc
; %bb.1799:
	s_or_b64 exec, exec, s[12:13]
	global_store_byte v[1:2], v5, off
.LBB78_1800:
	s_mov_b64 s[12:13], 0
.LBB78_1801:
	s_andn2_b64 vcc, exec, s[12:13]
	s_cbranch_vccnz .LBB78_1811
; %bb.1802:
	v_cndmask_b32_e64 v4, 0, 1.0, s[10:11]
	s_mov_b32 s12, 0x47800000
	v_cmp_gt_u32_e32 vcc, s12, v4
                                        ; implicit-def: $vgpr5
	s_and_saveexec_b64 s[12:13], vcc
	s_xor_b64 s[12:13], exec, s[12:13]
	s_cbranch_execz .LBB78_1808
; %bb.1803:
	s_mov_b32 s14, 0x387fffff
	v_cmp_lt_u32_e32 vcc, s14, v4
                                        ; implicit-def: $vgpr5
	s_and_saveexec_b64 s[14:15], vcc
	s_xor_b64 s[14:15], exec, s[14:15]
; %bb.1804:
	v_bfe_u32 v5, v4, 21, 1
	s_mov_b32 s20, 0x80fffff
	v_add3_u32 v4, v4, v5, s20
	v_lshrrev_b32_e32 v5, 21, v4
                                        ; implicit-def: $vgpr4
; %bb.1805:
	s_andn2_saveexec_b64 s[14:15], s[14:15]
; %bb.1806:
	v_add_f32_e32 v5, 0x43000000, v4
; %bb.1807:
	s_or_b64 exec, exec, s[14:15]
                                        ; implicit-def: $vgpr4
.LBB78_1808:
	s_andn2_saveexec_b64 s[12:13], s[12:13]
; %bb.1809:
	s_mov_b32 s14, 0x7f800000
	v_mov_b32_e32 v5, 0x7c
	v_mov_b32_e32 v6, 0x7f
	v_cmp_lt_u32_e32 vcc, s14, v4
	v_cndmask_b32_e32 v5, v5, v6, vcc
; %bb.1810:
	s_or_b64 exec, exec, s[12:13]
	global_store_byte v[1:2], v5, off
.LBB78_1811:
	s_mov_b64 s[12:13], 0
	s_mov_b64 s[14:15], -1
.LBB78_1812:
	s_andn2_b64 vcc, exec, s[12:13]
	s_mov_b64 s[12:13], 0
	s_cbranch_vccnz .LBB78_1819
; %bb.1813:
	s_cmp_gt_i32 s24, 14
	s_mov_b64 s[20:21], -1
	s_cbranch_scc0 .LBB78_1817
; %bb.1814:
	s_cmp_eq_u32 s24, 15
	s_mov_b64 s[0:1], -1
	s_cbranch_scc0 .LBB78_1816
; %bb.1815:
	v_cndmask_b32_e64 v4, 0, 1.0, s[10:11]
	v_bfe_u32 v5, v4, 16, 1
	s_movk_i32 s0, 0x7fff
	v_add3_u32 v4, v4, v5, s0
	global_store_short_d16_hi v[1:2], v4, off
	s_mov_b64 s[0:1], 0
	s_mov_b64 s[14:15], -1
.LBB78_1816:
	s_mov_b64 s[20:21], 0
.LBB78_1817:
	s_and_b64 vcc, exec, s[20:21]
	s_cbranch_vccz .LBB78_1819
; %bb.1818:
	s_cmp_lg_u32 s24, 11
	s_mov_b64 s[12:13], -1
	s_cselect_b64 s[0:1], -1, 0
.LBB78_1819:
	s_and_b64 vcc, exec, s[0:1]
	s_cbranch_vccnz .LBB78_1999
; %bb.1820:
	s_andn2_b64 vcc, exec, s[12:13]
	s_cbranch_vccnz .LBB78_1822
.LBB78_1821:
	v_cndmask_b32_e64 v4, 0, 1, s[10:11]
	s_mov_b64 s[14:15], -1
	global_store_byte v[1:2], v4, off
.LBB78_1822:
	s_mov_b64 s[0:1], 0
	s_branch .LBB78_1824
.LBB78_1823:
	s_mov_b64 s[0:1], -1
	s_mov_b64 s[14:15], 0
.LBB78_1824:
	s_and_b64 vcc, exec, s[0:1]
	s_cbranch_vccz .LBB78_1863
; %bb.1825:
	s_and_b32 s12, 0xffff, s26
	s_cmp_lt_i32 s12, 5
	s_mov_b64 s[0:1], -1
	s_cbranch_scc1 .LBB78_1846
; %bb.1826:
	s_cmp_lt_i32 s12, 8
	s_cbranch_scc1 .LBB78_1836
; %bb.1827:
	s_cmp_lt_i32 s12, 9
	s_cbranch_scc1 .LBB78_1833
; %bb.1828:
	s_cmp_gt_i32 s12, 9
	s_cbranch_scc0 .LBB78_1830
; %bb.1829:
	v_cndmask_b32_e64 v4, 0, 1, s[10:11]
	v_cvt_f64_u32_e32 v[4:5], v4
	v_mov_b32_e32 v6, 0
	v_mov_b32_e32 v7, v6
	s_mov_b64 s[0:1], 0
	global_store_dwordx4 v[1:2], v[4:7], off
.LBB78_1830:
	s_andn2_b64 vcc, exec, s[0:1]
	s_cbranch_vccnz .LBB78_1832
; %bb.1831:
	v_cndmask_b32_e64 v4, 0, 1.0, s[10:11]
	v_mov_b32_e32 v5, 0
	global_store_dwordx2 v[1:2], v[4:5], off
.LBB78_1832:
	s_mov_b64 s[0:1], 0
.LBB78_1833:
	s_andn2_b64 vcc, exec, s[0:1]
	s_cbranch_vccnz .LBB78_1835
; %bb.1834:
	v_cndmask_b32_e64 v4, 0, 1.0, s[10:11]
	v_cvt_f16_f32_e32 v4, v4
	global_store_dword v[1:2], v4, off
.LBB78_1835:
	s_mov_b64 s[0:1], 0
.LBB78_1836:
	s_andn2_b64 vcc, exec, s[0:1]
	s_cbranch_vccnz .LBB78_1845
; %bb.1837:
	s_cmp_lt_i32 s12, 6
	s_mov_b64 s[0:1], -1
	s_cbranch_scc1 .LBB78_1843
; %bb.1838:
	s_cmp_gt_i32 s12, 6
	s_cbranch_scc0 .LBB78_1840
; %bb.1839:
	v_cndmask_b32_e64 v4, 0, 1, s[10:11]
	v_cvt_f64_u32_e32 v[4:5], v4
	s_mov_b64 s[0:1], 0
	global_store_dwordx2 v[1:2], v[4:5], off
.LBB78_1840:
	s_andn2_b64 vcc, exec, s[0:1]
	s_cbranch_vccnz .LBB78_1842
; %bb.1841:
	v_cndmask_b32_e64 v4, 0, 1.0, s[10:11]
	global_store_dword v[1:2], v4, off
.LBB78_1842:
	s_mov_b64 s[0:1], 0
.LBB78_1843:
	s_andn2_b64 vcc, exec, s[0:1]
	s_cbranch_vccnz .LBB78_1845
; %bb.1844:
	v_cndmask_b32_e64 v4, 0, 1.0, s[10:11]
	v_cvt_f16_f32_e32 v4, v4
	global_store_short v[1:2], v4, off
.LBB78_1845:
	s_mov_b64 s[0:1], 0
.LBB78_1846:
	s_andn2_b64 vcc, exec, s[0:1]
	s_cbranch_vccnz .LBB78_1862
; %bb.1847:
	s_cmp_lt_i32 s12, 2
	s_mov_b64 s[0:1], -1
	s_cbranch_scc1 .LBB78_1857
; %bb.1848:
	s_cmp_lt_i32 s12, 3
	s_cbranch_scc1 .LBB78_1854
; %bb.1849:
	s_cmp_gt_i32 s12, 3
	s_cbranch_scc0 .LBB78_1851
; %bb.1850:
	s_mov_b32 s0, 0
	v_cndmask_b32_e64 v4, 0, 1, s[10:11]
	v_mov_b32_e32 v5, s0
	global_store_dwordx2 v[1:2], v[4:5], off
	s_mov_b64 s[0:1], 0
.LBB78_1851:
	s_andn2_b64 vcc, exec, s[0:1]
	s_cbranch_vccnz .LBB78_1853
; %bb.1852:
	v_cndmask_b32_e64 v4, 0, 1, s[10:11]
	global_store_dword v[1:2], v4, off
.LBB78_1853:
	s_mov_b64 s[0:1], 0
.LBB78_1854:
	s_andn2_b64 vcc, exec, s[0:1]
	s_cbranch_vccnz .LBB78_1856
; %bb.1855:
	v_cndmask_b32_e64 v4, 0, 1, s[10:11]
	global_store_short v[1:2], v4, off
.LBB78_1856:
	s_mov_b64 s[0:1], 0
.LBB78_1857:
	s_andn2_b64 vcc, exec, s[0:1]
	s_cbranch_vccnz .LBB78_1862
; %bb.1858:
	s_mov_b64 s[0:1], -1
	s_cmp_gt_i32 s12, 0
	v_cndmask_b32_e64 v4, 0, 1, s[10:11]
	s_cbranch_scc0 .LBB78_1860
; %bb.1859:
	global_store_byte v[1:2], v4, off
	s_mov_b64 s[0:1], 0
.LBB78_1860:
	s_andn2_b64 vcc, exec, s[0:1]
	s_cbranch_vccnz .LBB78_1862
; %bb.1861:
	global_store_byte v[1:2], v4, off
.LBB78_1862:
	s_mov_b64 s[14:15], -1
.LBB78_1863:
	s_andn2_b64 vcc, exec, s[14:15]
	s_cbranch_vccnz .LBB78_1940
; %bb.1864:
	v_cmp_ne_u16_e32 vcc, s2, v0
	v_add_u32_e32 v0, s3, v3
	s_xor_b64 s[20:21], s[4:5], vcc
	v_ashrrev_i32_e32 v1, 31, v0
	v_mov_b32_e32 v2, s9
	v_add_co_u32_e32 v0, vcc, s8, v0
	s_cmp_lt_i32 s26, 11
	v_addc_co_u32_e32 v1, vcc, v2, v1, vcc
	s_cbranch_scc1 .LBB78_1985
; %bb.1865:
	s_and_b32 s12, 0xffff, s26
	s_mov_b64 s[4:5], -1
	s_mov_b64 s[2:3], 0
	s_cmp_gt_i32 s12, 25
	s_mov_b64 s[0:1], 0
	s_cbranch_scc0 .LBB78_1898
; %bb.1866:
	s_cmp_gt_i32 s12, 28
	s_cbranch_scc0 .LBB78_1882
; %bb.1867:
	s_cmp_gt_i32 s12, 43
	;; [unrolled: 3-line block ×3, first 2 shown]
	s_cbranch_scc0 .LBB78_1872
; %bb.1869:
	s_cmp_eq_u32 s12, 46
	s_mov_b64 s[0:1], -1
	s_cbranch_scc0 .LBB78_1871
; %bb.1870:
	v_cndmask_b32_e64 v2, 0, 1.0, s[20:21]
	v_bfe_u32 v3, v2, 16, 1
	s_movk_i32 s0, 0x7fff
	v_add3_u32 v2, v2, v3, s0
	v_lshrrev_b32_e32 v2, 16, v2
	global_store_dword v[0:1], v2, off
	s_mov_b64 s[0:1], 0
.LBB78_1871:
	s_mov_b64 s[4:5], 0
.LBB78_1872:
	s_and_b64 vcc, exec, s[4:5]
	s_cbranch_vccz .LBB78_1877
; %bb.1873:
	s_cmp_eq_u32 s12, 44
	s_mov_b64 s[0:1], -1
	s_cbranch_scc0 .LBB78_1877
; %bb.1874:
	v_cndmask_b32_e64 v3, 0, 1.0, s[20:21]
	v_lshrrev_b32_e32 v2, 23, v3
	s_movk_i32 s0, 0xff
	v_cmp_ne_u32_e32 vcc, s0, v2
	v_mov_b32_e32 v4, 0xff
	s_and_saveexec_b64 s[4:5], vcc
; %bb.1875:
	s_mov_b32 s0, 0x3fffff
	v_and_b32_e32 v4, 0x400000, v3
	v_and_or_b32 v3, v3, s0, v2
	v_cmp_ne_u32_e32 vcc, 0, v4
	v_cmp_ne_u32_e64 s[0:1], 0, v3
	s_and_b64 s[0:1], vcc, s[0:1]
	v_cndmask_b32_e64 v3, 0, 1, s[0:1]
	v_add_u32_e32 v4, v2, v3
; %bb.1876:
	s_or_b64 exec, exec, s[4:5]
	s_mov_b64 s[0:1], 0
	global_store_byte v[0:1], v4, off
.LBB78_1877:
	s_mov_b64 s[4:5], 0
.LBB78_1878:
	s_and_b64 vcc, exec, s[4:5]
	s_cbranch_vccz .LBB78_1881
; %bb.1879:
	s_cmp_eq_u32 s12, 29
	s_mov_b64 s[0:1], -1
	s_cbranch_scc0 .LBB78_1881
; %bb.1880:
	s_mov_b32 s0, 0
	v_cndmask_b32_e64 v2, 0, 1, s[20:21]
	v_mov_b32_e32 v3, s0
	global_store_dwordx2 v[0:1], v[2:3], off
	s_mov_b64 s[0:1], 0
.LBB78_1881:
	s_mov_b64 s[4:5], 0
.LBB78_1882:
	s_and_b64 vcc, exec, s[4:5]
	s_cbranch_vccz .LBB78_1897
; %bb.1883:
	s_cmp_lt_i32 s12, 27
	s_mov_b64 s[4:5], -1
	s_cbranch_scc1 .LBB78_1889
; %bb.1884:
	s_cmp_gt_i32 s12, 27
	v_cndmask_b32_e64 v2, 0, 1, s[20:21]
	s_cbranch_scc0 .LBB78_1886
; %bb.1885:
	global_store_dword v[0:1], v2, off
	s_mov_b64 s[4:5], 0
.LBB78_1886:
	s_andn2_b64 vcc, exec, s[4:5]
	s_cbranch_vccnz .LBB78_1888
; %bb.1887:
	global_store_short v[0:1], v2, off
.LBB78_1888:
	s_mov_b64 s[4:5], 0
.LBB78_1889:
	s_andn2_b64 vcc, exec, s[4:5]
	s_cbranch_vccnz .LBB78_1897
; %bb.1890:
	v_cndmask_b32_e64 v3, 0, 1.0, s[20:21]
	s_mov_b32 s4, 0x43800000
	v_cmp_gt_u32_e32 vcc, s4, v3
	v_mov_b32_e32 v4, 0x80
	s_and_saveexec_b64 s[4:5], vcc
	s_cbranch_execz .LBB78_1896
; %bb.1891:
	s_mov_b32 s8, 0x3bffffff
	v_cmp_lt_u32_e32 vcc, s8, v3
	s_mov_b64 s[8:9], 0
                                        ; implicit-def: $vgpr2
	s_and_saveexec_b64 s[10:11], vcc
	s_xor_b64 s[10:11], exec, s[10:11]
	s_cbranch_execz .LBB78_2002
; %bb.1892:
	v_bfe_u32 v2, v3, 20, 1
	s_mov_b32 s13, 0x487ffff
	v_add3_u32 v2, v3, v2, s13
	s_mov_b64 s[8:9], exec
	v_lshrrev_b32_e32 v2, 20, v2
                                        ; implicit-def: $vgpr3
	s_andn2_saveexec_b64 s[10:11], s[10:11]
	s_cbranch_execnz .LBB78_2003
.LBB78_1893:
	s_or_b64 exec, exec, s[10:11]
	v_mov_b32_e32 v4, 0
	s_and_saveexec_b64 s[10:11], s[8:9]
.LBB78_1894:
	v_mov_b32_e32 v4, v2
.LBB78_1895:
	s_or_b64 exec, exec, s[10:11]
.LBB78_1896:
	s_or_b64 exec, exec, s[4:5]
	global_store_byte v[0:1], v4, off
.LBB78_1897:
	s_mov_b64 s[4:5], 0
.LBB78_1898:
	s_and_b64 vcc, exec, s[4:5]
	s_cbranch_vccz .LBB78_1938
; %bb.1899:
	s_cmp_gt_i32 s12, 22
	s_mov_b64 s[2:3], -1
	s_cbranch_scc0 .LBB78_1931
; %bb.1900:
	s_cmp_lt_i32 s12, 24
	s_cbranch_scc1 .LBB78_1920
; %bb.1901:
	s_cmp_gt_i32 s12, 24
	s_cbranch_scc0 .LBB78_1909
; %bb.1902:
	v_cndmask_b32_e64 v3, 0, 1.0, s[20:21]
	s_mov_b32 s2, 0x47800000
	v_cmp_gt_u32_e32 vcc, s2, v3
	v_mov_b32_e32 v4, 0x80
	s_and_saveexec_b64 s[2:3], vcc
	s_cbranch_execz .LBB78_1908
; %bb.1903:
	s_mov_b32 s4, 0x37ffffff
	v_cmp_lt_u32_e32 vcc, s4, v3
	s_mov_b64 s[4:5], 0
                                        ; implicit-def: $vgpr2
	s_and_saveexec_b64 s[8:9], vcc
	s_xor_b64 s[8:9], exec, s[8:9]
	s_cbranch_execz .LBB78_2005
; %bb.1904:
	v_bfe_u32 v2, v3, 21, 1
	s_mov_b32 s10, 0x88fffff
	v_add3_u32 v2, v3, v2, s10
	s_mov_b64 s[4:5], exec
	v_lshrrev_b32_e32 v2, 21, v2
                                        ; implicit-def: $vgpr3
	s_andn2_saveexec_b64 s[8:9], s[8:9]
	s_cbranch_execnz .LBB78_2006
.LBB78_1905:
	s_or_b64 exec, exec, s[8:9]
	v_mov_b32_e32 v4, 0
	s_and_saveexec_b64 s[8:9], s[4:5]
.LBB78_1906:
	v_mov_b32_e32 v4, v2
.LBB78_1907:
	s_or_b64 exec, exec, s[8:9]
.LBB78_1908:
	s_or_b64 exec, exec, s[2:3]
	s_mov_b64 s[2:3], 0
	global_store_byte v[0:1], v4, off
.LBB78_1909:
	s_and_b64 vcc, exec, s[2:3]
	s_cbranch_vccz .LBB78_1919
; %bb.1910:
	v_cndmask_b32_e64 v2, 0, 1.0, s[20:21]
	s_mov_b32 s2, 0x43f00000
	v_cmp_gt_u32_e32 vcc, s2, v2
                                        ; implicit-def: $vgpr3
	s_and_saveexec_b64 s[2:3], vcc
	s_xor_b64 s[2:3], exec, s[2:3]
	s_cbranch_execz .LBB78_1916
; %bb.1911:
	s_mov_b32 s4, 0x3c7fffff
	v_cmp_lt_u32_e32 vcc, s4, v2
                                        ; implicit-def: $vgpr3
	s_and_saveexec_b64 s[4:5], vcc
	s_xor_b64 s[4:5], exec, s[4:5]
; %bb.1912:
	v_bfe_u32 v3, v2, 20, 1
	s_mov_b32 s8, 0x407ffff
	v_add3_u32 v2, v2, v3, s8
	v_lshrrev_b32_e32 v3, 20, v2
	v_and_b32_e32 v2, 0xff00000, v2
	s_mov_b32 s8, 0x7f00000
	v_mov_b32_e32 v4, 0x7e
	v_cmp_ne_u32_e32 vcc, s8, v2
	v_cndmask_b32_e32 v3, v4, v3, vcc
                                        ; implicit-def: $vgpr2
; %bb.1913:
	s_andn2_saveexec_b64 s[4:5], s[4:5]
; %bb.1914:
	v_add_f32_e32 v3, 0x46800000, v2
; %bb.1915:
	s_or_b64 exec, exec, s[4:5]
                                        ; implicit-def: $vgpr2
.LBB78_1916:
	s_andn2_saveexec_b64 s[2:3], s[2:3]
; %bb.1917:
	s_mov_b32 s4, 0x7f800000
	v_mov_b32_e32 v3, 0x7e
	v_mov_b32_e32 v4, 0x7f
	v_cmp_lt_u32_e32 vcc, s4, v2
	v_cndmask_b32_e32 v3, v3, v4, vcc
; %bb.1918:
	s_or_b64 exec, exec, s[2:3]
	global_store_byte v[0:1], v3, off
.LBB78_1919:
	s_mov_b64 s[2:3], 0
.LBB78_1920:
	s_andn2_b64 vcc, exec, s[2:3]
	s_cbranch_vccnz .LBB78_1930
; %bb.1921:
	v_cndmask_b32_e64 v2, 0, 1.0, s[20:21]
	s_mov_b32 s2, 0x47800000
	v_cmp_gt_u32_e32 vcc, s2, v2
                                        ; implicit-def: $vgpr3
	s_and_saveexec_b64 s[2:3], vcc
	s_xor_b64 s[2:3], exec, s[2:3]
	s_cbranch_execz .LBB78_1927
; %bb.1922:
	s_mov_b32 s4, 0x387fffff
	v_cmp_lt_u32_e32 vcc, s4, v2
                                        ; implicit-def: $vgpr3
	s_and_saveexec_b64 s[4:5], vcc
	s_xor_b64 s[4:5], exec, s[4:5]
; %bb.1923:
	v_bfe_u32 v3, v2, 21, 1
	s_mov_b32 s8, 0x80fffff
	v_add3_u32 v2, v2, v3, s8
	v_lshrrev_b32_e32 v3, 21, v2
                                        ; implicit-def: $vgpr2
; %bb.1924:
	s_andn2_saveexec_b64 s[4:5], s[4:5]
; %bb.1925:
	v_add_f32_e32 v3, 0x43000000, v2
; %bb.1926:
	s_or_b64 exec, exec, s[4:5]
                                        ; implicit-def: $vgpr2
.LBB78_1927:
	s_andn2_saveexec_b64 s[2:3], s[2:3]
; %bb.1928:
	s_mov_b32 s4, 0x7f800000
	v_mov_b32_e32 v3, 0x7c
	v_mov_b32_e32 v4, 0x7f
	v_cmp_lt_u32_e32 vcc, s4, v2
	v_cndmask_b32_e32 v3, v3, v4, vcc
; %bb.1929:
	s_or_b64 exec, exec, s[2:3]
	global_store_byte v[0:1], v3, off
.LBB78_1930:
	s_mov_b64 s[2:3], 0
.LBB78_1931:
	s_andn2_b64 vcc, exec, s[2:3]
	s_mov_b64 s[2:3], 0
	s_cbranch_vccnz .LBB78_1938
; %bb.1932:
	s_cmp_gt_i32 s12, 14
	s_mov_b64 s[4:5], -1
	s_cbranch_scc0 .LBB78_1936
; %bb.1933:
	s_cmp_eq_u32 s12, 15
	s_mov_b64 s[0:1], -1
	s_cbranch_scc0 .LBB78_1935
; %bb.1934:
	v_cndmask_b32_e64 v2, 0, 1.0, s[20:21]
	v_bfe_u32 v3, v2, 16, 1
	s_movk_i32 s0, 0x7fff
	v_add3_u32 v2, v2, v3, s0
	global_store_short_d16_hi v[0:1], v2, off
	s_mov_b64 s[0:1], 0
.LBB78_1935:
	s_mov_b64 s[4:5], 0
.LBB78_1936:
	s_and_b64 vcc, exec, s[4:5]
	s_cbranch_vccz .LBB78_1938
; %bb.1937:
	s_cmp_lg_u32 s12, 11
	s_mov_b64 s[2:3], -1
	s_cselect_b64 s[0:1], -1, 0
.LBB78_1938:
	s_and_b64 vcc, exec, s[0:1]
	s_cbranch_vccnz .LBB78_2004
.LBB78_1939:
	s_mov_b64 s[0:1], 0
	s_branch .LBB78_1941
.LBB78_1940:
	s_mov_b64 s[0:1], 0
	s_mov_b64 s[2:3], 0
                                        ; implicit-def: $sgpr20_sgpr21
                                        ; implicit-def: $sgpr26
                                        ; implicit-def: $vgpr0_vgpr1
.LBB78_1941:
	s_and_b64 s[4:5], s[2:3], exec
	s_andn2_b64 s[2:3], s[16:17], exec
	s_and_b64 s[8:9], s[18:19], exec
	s_and_b64 s[0:1], s[0:1], exec
	s_or_b64 s[16:17], s[2:3], s[8:9]
.LBB78_1942:
	s_or_b64 exec, exec, s[6:7]
	s_and_saveexec_b64 s[2:3], s[16:17]
	s_cbranch_execz .LBB78_1945
; %bb.1943:
	; divergent unreachable
	s_or_b64 exec, exec, s[2:3]
	s_and_saveexec_b64 s[2:3], s[4:5]
	s_xor_b64 s[2:3], exec, s[2:3]
	s_cbranch_execnz .LBB78_1946
.LBB78_1944:
	s_or_b64 exec, exec, s[2:3]
	s_and_saveexec_b64 s[2:3], s[0:1]
	s_cbranch_execnz .LBB78_1947
	s_branch .LBB78_1984
.LBB78_1945:
	s_or_b64 exec, exec, s[2:3]
	s_and_saveexec_b64 s[2:3], s[4:5]
	s_xor_b64 s[2:3], exec, s[2:3]
	s_cbranch_execz .LBB78_1944
.LBB78_1946:
	s_waitcnt vmcnt(0)
	v_cndmask_b32_e64 v2, 0, 1, s[20:21]
	global_store_byte v[0:1], v2, off
	s_or_b64 exec, exec, s[2:3]
	s_and_saveexec_b64 s[2:3], s[0:1]
	s_cbranch_execz .LBB78_1984
.LBB78_1947:
	s_sext_i32_i16 s2, s26
	s_cmp_lt_i32 s2, 5
	s_mov_b64 s[0:1], -1
	s_cbranch_scc1 .LBB78_1968
; %bb.1948:
	s_cmp_lt_i32 s2, 8
	s_cbranch_scc1 .LBB78_1958
; %bb.1949:
	s_cmp_lt_i32 s2, 9
	s_cbranch_scc1 .LBB78_1955
; %bb.1950:
	s_cmp_gt_i32 s2, 9
	s_cbranch_scc0 .LBB78_1952
; %bb.1951:
	s_waitcnt vmcnt(0)
	v_cndmask_b32_e64 v2, 0, 1, s[20:21]
	v_cvt_f64_u32_e32 v[2:3], v2
	v_mov_b32_e32 v4, 0
	v_mov_b32_e32 v5, v4
	s_mov_b64 s[0:1], 0
	global_store_dwordx4 v[0:1], v[2:5], off
.LBB78_1952:
	s_andn2_b64 vcc, exec, s[0:1]
	s_cbranch_vccnz .LBB78_1954
; %bb.1953:
	s_waitcnt vmcnt(0)
	v_cndmask_b32_e64 v2, 0, 1.0, s[20:21]
	v_mov_b32_e32 v3, 0
	global_store_dwordx2 v[0:1], v[2:3], off
.LBB78_1954:
	s_mov_b64 s[0:1], 0
.LBB78_1955:
	s_andn2_b64 vcc, exec, s[0:1]
	s_cbranch_vccnz .LBB78_1957
; %bb.1956:
	s_waitcnt vmcnt(0)
	v_cndmask_b32_e64 v2, 0, 1.0, s[20:21]
	v_cvt_f16_f32_e32 v2, v2
	global_store_dword v[0:1], v2, off
.LBB78_1957:
	s_mov_b64 s[0:1], 0
.LBB78_1958:
	s_andn2_b64 vcc, exec, s[0:1]
	s_cbranch_vccnz .LBB78_1967
; %bb.1959:
	s_sext_i32_i16 s2, s26
	s_cmp_lt_i32 s2, 6
	s_mov_b64 s[0:1], -1
	s_cbranch_scc1 .LBB78_1965
; %bb.1960:
	s_cmp_gt_i32 s2, 6
	s_cbranch_scc0 .LBB78_1962
; %bb.1961:
	s_waitcnt vmcnt(0)
	v_cndmask_b32_e64 v2, 0, 1, s[20:21]
	v_cvt_f64_u32_e32 v[2:3], v2
	s_mov_b64 s[0:1], 0
	global_store_dwordx2 v[0:1], v[2:3], off
.LBB78_1962:
	s_andn2_b64 vcc, exec, s[0:1]
	s_cbranch_vccnz .LBB78_1964
; %bb.1963:
	s_waitcnt vmcnt(0)
	v_cndmask_b32_e64 v2, 0, 1.0, s[20:21]
	global_store_dword v[0:1], v2, off
.LBB78_1964:
	s_mov_b64 s[0:1], 0
.LBB78_1965:
	s_andn2_b64 vcc, exec, s[0:1]
	s_cbranch_vccnz .LBB78_1967
; %bb.1966:
	s_waitcnt vmcnt(0)
	v_cndmask_b32_e64 v2, 0, 1.0, s[20:21]
	v_cvt_f16_f32_e32 v2, v2
	global_store_short v[0:1], v2, off
.LBB78_1967:
	s_mov_b64 s[0:1], 0
.LBB78_1968:
	s_andn2_b64 vcc, exec, s[0:1]
	s_cbranch_vccnz .LBB78_1984
; %bb.1969:
	s_sext_i32_i16 s2, s26
	s_cmp_lt_i32 s2, 2
	s_mov_b64 s[0:1], -1
	s_cbranch_scc1 .LBB78_1979
; %bb.1970:
	s_cmp_lt_i32 s2, 3
	s_cbranch_scc1 .LBB78_1976
; %bb.1971:
	s_cmp_gt_i32 s2, 3
	s_cbranch_scc0 .LBB78_1973
; %bb.1972:
	s_mov_b32 s0, 0
	s_waitcnt vmcnt(0)
	v_cndmask_b32_e64 v2, 0, 1, s[20:21]
	v_mov_b32_e32 v3, s0
	global_store_dwordx2 v[0:1], v[2:3], off
	s_mov_b64 s[0:1], 0
.LBB78_1973:
	s_andn2_b64 vcc, exec, s[0:1]
	s_cbranch_vccnz .LBB78_1975
; %bb.1974:
	s_waitcnt vmcnt(0)
	v_cndmask_b32_e64 v2, 0, 1, s[20:21]
	global_store_dword v[0:1], v2, off
.LBB78_1975:
	s_mov_b64 s[0:1], 0
.LBB78_1976:
	s_andn2_b64 vcc, exec, s[0:1]
	s_cbranch_vccnz .LBB78_1978
; %bb.1977:
	s_waitcnt vmcnt(0)
	v_cndmask_b32_e64 v2, 0, 1, s[20:21]
	global_store_short v[0:1], v2, off
.LBB78_1978:
	s_mov_b64 s[0:1], 0
.LBB78_1979:
	s_andn2_b64 vcc, exec, s[0:1]
	s_cbranch_vccnz .LBB78_1984
; %bb.1980:
	s_sext_i32_i16 s2, s26
	s_mov_b64 s[0:1], -1
	s_cmp_gt_i32 s2, 0
	s_waitcnt vmcnt(0)
	v_cndmask_b32_e64 v2, 0, 1, s[20:21]
	s_cbranch_scc0 .LBB78_1982
; %bb.1981:
	global_store_byte v[0:1], v2, off
	s_mov_b64 s[0:1], 0
.LBB78_1982:
	s_andn2_b64 vcc, exec, s[0:1]
	s_cbranch_vccnz .LBB78_1984
; %bb.1983:
	global_store_byte v[0:1], v2, off
	s_endpgm
.LBB78_1984:
	s_endpgm
.LBB78_1985:
	s_mov_b64 s[2:3], 0
	s_mov_b64 s[0:1], -1
	s_branch .LBB78_1941
.LBB78_1986:
	s_trap 2
	s_or_b64 s[18:19], s[18:19], exec
	s_cbranch_execz .LBB78_1455
	s_branch .LBB78_1456
.LBB78_1987:
	s_andn2_saveexec_b64 s[24:25], s[24:25]
	s_cbranch_execz .LBB78_1535
.LBB78_1988:
	v_add_f32_e32 v3, 0x46000000, v7
	v_and_b32_e32 v3, 0xff, v3
	v_cmp_ne_u32_e32 vcc, 0, v3
	s_andn2_b64 s[22:23], s[22:23], exec
	s_and_b64 s[28:29], vcc, exec
	s_or_b64 s[22:23], s[22:23], s[28:29]
	s_or_b64 exec, exec, s[24:25]
	v_mov_b32_e32 v8, 0
	s_and_saveexec_b64 s[24:25], s[22:23]
	s_cbranch_execnz .LBB78_1536
	s_branch .LBB78_1537
.LBB78_1989:
	s_trap 2
	s_or_b64 s[18:19], s[18:19], exec
	s_cbranch_execz .LBB78_1583
	s_branch .LBB78_1584
.LBB78_1990:
	s_andn2_saveexec_b64 s[22:23], s[22:23]
	s_cbranch_execz .LBB78_1548
.LBB78_1991:
	v_add_f32_e32 v3, 0x42800000, v7
	v_and_b32_e32 v3, 0xff, v3
	v_cmp_ne_u32_e32 vcc, 0, v3
	s_andn2_b64 s[20:21], s[20:21], exec
	s_and_b64 s[24:25], vcc, exec
	s_or_b64 s[20:21], s[20:21], s[24:25]
	s_or_b64 exec, exec, s[22:23]
	v_mov_b32_e32 v8, 0
	s_and_saveexec_b64 s[22:23], s[20:21]
	s_cbranch_execnz .LBB78_1549
	s_branch .LBB78_1550
.LBB78_1992:
	s_andn2_saveexec_b64 s[22:23], s[22:23]
	s_cbranch_execz .LBB78_1654
.LBB78_1993:
	v_add_f32_e32 v5, 0x46000000, v6
	v_and_b32_e32 v5, 0xff, v5
	v_cmp_ne_u32_e32 vcc, 0, v5
	s_andn2_b64 s[20:21], s[20:21], exec
	s_and_b64 s[28:29], vcc, exec
	s_or_b64 s[20:21], s[20:21], s[28:29]
	s_or_b64 exec, exec, s[22:23]
	v_mov_b32_e32 v7, 0
	s_and_saveexec_b64 s[22:23], s[20:21]
	s_cbranch_execnz .LBB78_1655
	s_branch .LBB78_1656
.LBB78_1994:
	s_trap 2
	s_or_b64 s[18:19], s[18:19], exec
	s_cbranch_execz .LBB78_1702
	s_branch .LBB78_1703
.LBB78_1995:
	s_andn2_saveexec_b64 s[20:21], s[20:21]
	s_cbranch_execz .LBB78_1667
.LBB78_1996:
	v_add_f32_e32 v5, 0x42800000, v6
	v_and_b32_e32 v5, 0xff, v5
	v_cmp_ne_u32_e32 vcc, 0, v5
	s_andn2_b64 s[14:15], s[14:15], exec
	s_and_b64 s[22:23], vcc, exec
	s_or_b64 s[14:15], s[14:15], s[22:23]
	s_or_b64 exec, exec, s[20:21]
	v_mov_b32_e32 v7, 0
	s_and_saveexec_b64 s[20:21], s[14:15]
	s_cbranch_execnz .LBB78_1668
	s_branch .LBB78_1669
.LBB78_1997:
	s_andn2_saveexec_b64 s[22:23], s[22:23]
	s_cbranch_execz .LBB78_1773
.LBB78_1998:
	v_add_f32_e32 v4, 0x46000000, v5
	v_and_b32_e32 v4, 0xff, v4
	v_cmp_ne_u32_e32 vcc, 0, v4
	s_andn2_b64 s[20:21], s[20:21], exec
	s_and_b64 s[28:29], vcc, exec
	s_or_b64 s[20:21], s[20:21], s[28:29]
	s_or_b64 exec, exec, s[22:23]
	v_mov_b32_e32 v6, 0
	s_and_saveexec_b64 s[22:23], s[20:21]
	s_cbranch_execnz .LBB78_1774
	s_branch .LBB78_1775
.LBB78_1999:
	s_trap 2
	s_or_b64 s[18:19], s[18:19], exec
	s_cbranch_execz .LBB78_1821
	s_branch .LBB78_1822
.LBB78_2000:
	s_andn2_saveexec_b64 s[20:21], s[20:21]
	s_cbranch_execz .LBB78_1786
.LBB78_2001:
	v_add_f32_e32 v4, 0x42800000, v5
	v_and_b32_e32 v4, 0xff, v4
	v_cmp_ne_u32_e32 vcc, 0, v4
	s_andn2_b64 s[14:15], s[14:15], exec
	s_and_b64 s[22:23], vcc, exec
	s_or_b64 s[14:15], s[14:15], s[22:23]
	s_or_b64 exec, exec, s[20:21]
	v_mov_b32_e32 v6, 0
	s_and_saveexec_b64 s[20:21], s[14:15]
	s_cbranch_execnz .LBB78_1787
	s_branch .LBB78_1788
.LBB78_2002:
	s_andn2_saveexec_b64 s[10:11], s[10:11]
	s_cbranch_execz .LBB78_1893
.LBB78_2003:
	v_add_f32_e32 v2, 0x46000000, v3
	v_and_b32_e32 v2, 0xff, v2
	v_cmp_ne_u32_e32 vcc, 0, v2
	s_andn2_b64 s[8:9], s[8:9], exec
	s_and_b64 s[14:15], vcc, exec
	s_or_b64 s[8:9], s[8:9], s[14:15]
	s_or_b64 exec, exec, s[10:11]
	v_mov_b32_e32 v4, 0
	s_and_saveexec_b64 s[10:11], s[8:9]
	s_cbranch_execnz .LBB78_1894
	s_branch .LBB78_1895
.LBB78_2004:
	s_mov_b64 s[2:3], 0
	s_or_b64 s[18:19], s[18:19], exec
	s_trap 2
	s_branch .LBB78_1939
.LBB78_2005:
	s_andn2_saveexec_b64 s[8:9], s[8:9]
	s_cbranch_execz .LBB78_1905
.LBB78_2006:
	v_add_f32_e32 v2, 0x42800000, v3
	v_and_b32_e32 v2, 0xff, v2
	v_cmp_ne_u32_e32 vcc, 0, v2
	s_andn2_b64 s[4:5], s[4:5], exec
	s_and_b64 s[10:11], vcc, exec
	s_or_b64 s[4:5], s[4:5], s[10:11]
	s_or_b64 exec, exec, s[8:9]
	v_mov_b32_e32 v4, 0
	s_and_saveexec_b64 s[8:9], s[4:5]
	s_cbranch_execnz .LBB78_1906
	s_branch .LBB78_1907
	.section	.rodata,"a",@progbits
	.p2align	6, 0x0
	.amdhsa_kernel _ZN2at6native32elementwise_kernel_manual_unrollILi128ELi4EZNS0_15gpu_kernel_implINS0_13AUnaryFunctorIssbNS0_12_GLOBAL__N_116CompareEqFunctorIsEEEEEEvRNS_18TensorIteratorBaseERKT_EUlibE_EEviT1_
		.amdhsa_group_segment_fixed_size 0
		.amdhsa_private_segment_fixed_size 0
		.amdhsa_kernarg_size 48
		.amdhsa_user_sgpr_count 6
		.amdhsa_user_sgpr_private_segment_buffer 1
		.amdhsa_user_sgpr_dispatch_ptr 0
		.amdhsa_user_sgpr_queue_ptr 0
		.amdhsa_user_sgpr_kernarg_segment_ptr 1
		.amdhsa_user_sgpr_dispatch_id 0
		.amdhsa_user_sgpr_flat_scratch_init 0
		.amdhsa_user_sgpr_private_segment_size 0
		.amdhsa_uses_dynamic_stack 0
		.amdhsa_system_sgpr_private_segment_wavefront_offset 0
		.amdhsa_system_sgpr_workgroup_id_x 1
		.amdhsa_system_sgpr_workgroup_id_y 0
		.amdhsa_system_sgpr_workgroup_id_z 0
		.amdhsa_system_sgpr_workgroup_info 0
		.amdhsa_system_vgpr_workitem_id 0
		.amdhsa_next_free_vgpr 12
		.amdhsa_next_free_sgpr 48
		.amdhsa_reserve_vcc 1
		.amdhsa_reserve_flat_scratch 0
		.amdhsa_float_round_mode_32 0
		.amdhsa_float_round_mode_16_64 0
		.amdhsa_float_denorm_mode_32 3
		.amdhsa_float_denorm_mode_16_64 3
		.amdhsa_dx10_clamp 1
		.amdhsa_ieee_mode 1
		.amdhsa_fp16_overflow 0
		.amdhsa_exception_fp_ieee_invalid_op 0
		.amdhsa_exception_fp_denorm_src 0
		.amdhsa_exception_fp_ieee_div_zero 0
		.amdhsa_exception_fp_ieee_overflow 0
		.amdhsa_exception_fp_ieee_underflow 0
		.amdhsa_exception_fp_ieee_inexact 0
		.amdhsa_exception_int_div_zero 0
	.end_amdhsa_kernel
	.section	.text._ZN2at6native32elementwise_kernel_manual_unrollILi128ELi4EZNS0_15gpu_kernel_implINS0_13AUnaryFunctorIssbNS0_12_GLOBAL__N_116CompareEqFunctorIsEEEEEEvRNS_18TensorIteratorBaseERKT_EUlibE_EEviT1_,"axG",@progbits,_ZN2at6native32elementwise_kernel_manual_unrollILi128ELi4EZNS0_15gpu_kernel_implINS0_13AUnaryFunctorIssbNS0_12_GLOBAL__N_116CompareEqFunctorIsEEEEEEvRNS_18TensorIteratorBaseERKT_EUlibE_EEviT1_,comdat
.Lfunc_end78:
	.size	_ZN2at6native32elementwise_kernel_manual_unrollILi128ELi4EZNS0_15gpu_kernel_implINS0_13AUnaryFunctorIssbNS0_12_GLOBAL__N_116CompareEqFunctorIsEEEEEEvRNS_18TensorIteratorBaseERKT_EUlibE_EEviT1_, .Lfunc_end78-_ZN2at6native32elementwise_kernel_manual_unrollILi128ELi4EZNS0_15gpu_kernel_implINS0_13AUnaryFunctorIssbNS0_12_GLOBAL__N_116CompareEqFunctorIsEEEEEEvRNS_18TensorIteratorBaseERKT_EUlibE_EEviT1_
                                        ; -- End function
	.set _ZN2at6native32elementwise_kernel_manual_unrollILi128ELi4EZNS0_15gpu_kernel_implINS0_13AUnaryFunctorIssbNS0_12_GLOBAL__N_116CompareEqFunctorIsEEEEEEvRNS_18TensorIteratorBaseERKT_EUlibE_EEviT1_.num_vgpr, 12
	.set _ZN2at6native32elementwise_kernel_manual_unrollILi128ELi4EZNS0_15gpu_kernel_implINS0_13AUnaryFunctorIssbNS0_12_GLOBAL__N_116CompareEqFunctorIsEEEEEEvRNS_18TensorIteratorBaseERKT_EUlibE_EEviT1_.num_agpr, 0
	.set _ZN2at6native32elementwise_kernel_manual_unrollILi128ELi4EZNS0_15gpu_kernel_implINS0_13AUnaryFunctorIssbNS0_12_GLOBAL__N_116CompareEqFunctorIsEEEEEEvRNS_18TensorIteratorBaseERKT_EUlibE_EEviT1_.numbered_sgpr, 48
	.set _ZN2at6native32elementwise_kernel_manual_unrollILi128ELi4EZNS0_15gpu_kernel_implINS0_13AUnaryFunctorIssbNS0_12_GLOBAL__N_116CompareEqFunctorIsEEEEEEvRNS_18TensorIteratorBaseERKT_EUlibE_EEviT1_.num_named_barrier, 0
	.set _ZN2at6native32elementwise_kernel_manual_unrollILi128ELi4EZNS0_15gpu_kernel_implINS0_13AUnaryFunctorIssbNS0_12_GLOBAL__N_116CompareEqFunctorIsEEEEEEvRNS_18TensorIteratorBaseERKT_EUlibE_EEviT1_.private_seg_size, 0
	.set _ZN2at6native32elementwise_kernel_manual_unrollILi128ELi4EZNS0_15gpu_kernel_implINS0_13AUnaryFunctorIssbNS0_12_GLOBAL__N_116CompareEqFunctorIsEEEEEEvRNS_18TensorIteratorBaseERKT_EUlibE_EEviT1_.uses_vcc, 1
	.set _ZN2at6native32elementwise_kernel_manual_unrollILi128ELi4EZNS0_15gpu_kernel_implINS0_13AUnaryFunctorIssbNS0_12_GLOBAL__N_116CompareEqFunctorIsEEEEEEvRNS_18TensorIteratorBaseERKT_EUlibE_EEviT1_.uses_flat_scratch, 0
	.set _ZN2at6native32elementwise_kernel_manual_unrollILi128ELi4EZNS0_15gpu_kernel_implINS0_13AUnaryFunctorIssbNS0_12_GLOBAL__N_116CompareEqFunctorIsEEEEEEvRNS_18TensorIteratorBaseERKT_EUlibE_EEviT1_.has_dyn_sized_stack, 0
	.set _ZN2at6native32elementwise_kernel_manual_unrollILi128ELi4EZNS0_15gpu_kernel_implINS0_13AUnaryFunctorIssbNS0_12_GLOBAL__N_116CompareEqFunctorIsEEEEEEvRNS_18TensorIteratorBaseERKT_EUlibE_EEviT1_.has_recursion, 0
	.set _ZN2at6native32elementwise_kernel_manual_unrollILi128ELi4EZNS0_15gpu_kernel_implINS0_13AUnaryFunctorIssbNS0_12_GLOBAL__N_116CompareEqFunctorIsEEEEEEvRNS_18TensorIteratorBaseERKT_EUlibE_EEviT1_.has_indirect_call, 0
	.section	.AMDGPU.csdata,"",@progbits
; Kernel info:
; codeLenInByte = 29184
; TotalNumSgprs: 52
; NumVgprs: 12
; ScratchSize: 0
; MemoryBound: 1
; FloatMode: 240
; IeeeMode: 1
; LDSByteSize: 0 bytes/workgroup (compile time only)
; SGPRBlocks: 6
; VGPRBlocks: 2
; NumSGPRsForWavesPerEU: 52
; NumVGPRsForWavesPerEU: 12
; Occupancy: 10
; WaveLimiterHint : 0
; COMPUTE_PGM_RSRC2:SCRATCH_EN: 0
; COMPUTE_PGM_RSRC2:USER_SGPR: 6
; COMPUTE_PGM_RSRC2:TRAP_HANDLER: 0
; COMPUTE_PGM_RSRC2:TGID_X_EN: 1
; COMPUTE_PGM_RSRC2:TGID_Y_EN: 0
; COMPUTE_PGM_RSRC2:TGID_Z_EN: 0
; COMPUTE_PGM_RSRC2:TIDIG_COMP_CNT: 0
	.section	.text._ZN2at6native32elementwise_kernel_manual_unrollILi128ELi4EZNS0_15gpu_kernel_implINS0_13AUnaryFunctorIssbNS0_12_GLOBAL__N_116CompareEqFunctorIsEEEEEEvRNS_18TensorIteratorBaseERKT_EUlibE0_EEviT1_,"axG",@progbits,_ZN2at6native32elementwise_kernel_manual_unrollILi128ELi4EZNS0_15gpu_kernel_implINS0_13AUnaryFunctorIssbNS0_12_GLOBAL__N_116CompareEqFunctorIsEEEEEEvRNS_18TensorIteratorBaseERKT_EUlibE0_EEviT1_,comdat
	.globl	_ZN2at6native32elementwise_kernel_manual_unrollILi128ELi4EZNS0_15gpu_kernel_implINS0_13AUnaryFunctorIssbNS0_12_GLOBAL__N_116CompareEqFunctorIsEEEEEEvRNS_18TensorIteratorBaseERKT_EUlibE0_EEviT1_ ; -- Begin function _ZN2at6native32elementwise_kernel_manual_unrollILi128ELi4EZNS0_15gpu_kernel_implINS0_13AUnaryFunctorIssbNS0_12_GLOBAL__N_116CompareEqFunctorIsEEEEEEvRNS_18TensorIteratorBaseERKT_EUlibE0_EEviT1_
	.p2align	8
	.type	_ZN2at6native32elementwise_kernel_manual_unrollILi128ELi4EZNS0_15gpu_kernel_implINS0_13AUnaryFunctorIssbNS0_12_GLOBAL__N_116CompareEqFunctorIsEEEEEEvRNS_18TensorIteratorBaseERKT_EUlibE0_EEviT1_,@function
_ZN2at6native32elementwise_kernel_manual_unrollILi128ELi4EZNS0_15gpu_kernel_implINS0_13AUnaryFunctorIssbNS0_12_GLOBAL__N_116CompareEqFunctorIsEEEEEEvRNS_18TensorIteratorBaseERKT_EUlibE0_EEviT1_: ; @_ZN2at6native32elementwise_kernel_manual_unrollILi128ELi4EZNS0_15gpu_kernel_implINS0_13AUnaryFunctorIssbNS0_12_GLOBAL__N_116CompareEqFunctorIsEEEEEEvRNS_18TensorIteratorBaseERKT_EUlibE0_EEviT1_
; %bb.0:
	s_load_dword s74, s[4:5], 0x0
	s_load_dword s33, s[4:5], 0x8
	s_add_u32 s34, s4, 8
	s_addc_u32 s35, s5, 0
	v_lshl_or_b32 v8, s6, 9, v0
	v_or_b32_e32 v15, 0x180, v8
	s_waitcnt lgkmcnt(0)
	s_add_i32 s76, s33, -1
	s_cmp_gt_u32 s76, 1
	v_cmp_le_i32_e32 vcc, s74, v15
	s_cselect_b64 s[40:41], -1, 0
	s_mov_b64 s[6:7], 0
	s_mov_b64 s[28:29], 0
	s_and_saveexec_b64 s[0:1], vcc
	s_xor_b64 s[42:43], exec, s[0:1]
	s_cbranch_execz .LBB79_1070
; %bb.1:
	s_load_dwordx4 s[28:31], s[34:35], 0x4
	s_load_dwordx2 s[48:49], s[34:35], 0x14
	s_load_dwordx2 s[44:45], s[34:35], 0x158
	s_load_dword s77, s[34:35], 0x160
	s_cmp_lg_u32 s33, 0
	s_cselect_b64 s[54:55], -1, 0
	s_add_u32 s52, s34, 0xc4
	s_addc_u32 s53, s35, 0
	s_min_u32 s79, s76, 15
	s_load_dwordx4 s[36:39], s[34:35], 0xc4
	s_load_dwordx4 s[24:27], s[34:35], 0x148
	s_cmp_gt_u32 s33, 1
	s_cselect_b64 s[50:51], -1, 0
	s_waitcnt lgkmcnt(0)
	s_bfe_u32 s78, s77, 0x80008
	s_cmp_eq_u32 s44, 0
	s_cselect_b64 s[46:47], -1, 0
	v_cmp_gt_i32_e32 vcc, s74, v8
	s_mov_b64 s[2:3], -1
	s_mov_b64 s[64:65], 0
	s_mov_b64 s[58:59], 0
	;; [unrolled: 1-line block ×3, first 2 shown]
	s_and_saveexec_b64 s[60:61], vcc
	s_cbranch_execz .LBB79_262
; %bb.2:
	s_andn2_b64 vcc, exec, s[40:41]
	s_cbranch_vccnz .LBB79_7
; %bb.3:
	s_andn2_b64 vcc, exec, s[54:55]
	s_cbranch_vccnz .LBB79_8
; %bb.4:
	s_add_i32 s62, s79, 1
	s_cmp_eq_u32 s76, 2
	s_cbranch_scc1 .LBB79_9
; %bb.5:
	s_and_b32 s44, s62, 28
	v_mov_b32_e32 v2, 0
	s_mov_b32 s63, 0
	s_mov_b64 s[56:57], s[34:35]
	s_mov_b64 s[58:59], s[52:53]
	v_mov_b32_e32 v0, 0
	v_mov_b32_e32 v1, v8
.LBB79_6:                               ; =>This Inner Loop Header: Depth=1
	s_load_dwordx8 s[16:23], s[56:57], 0x4
	s_load_dwordx4 s[0:3], s[56:57], 0x24
	s_load_dwordx8 s[8:15], s[58:59], 0x0
	s_add_u32 s56, s56, 48
	s_addc_u32 s57, s57, 0
	s_waitcnt lgkmcnt(0)
	v_mul_hi_u32 v3, s17, v1
	s_add_i32 s63, s63, 4
	s_add_u32 s58, s58, 32
	s_addc_u32 s59, s59, 0
	v_add_u32_e32 v3, v1, v3
	v_lshrrev_b32_e32 v3, s18, v3
	v_mul_lo_u32 v4, v3, s16
	v_mul_hi_u32 v5, s20, v3
	s_cmp_lg_u32 s44, s63
	v_sub_u32_e32 v1, v1, v4
	v_add_u32_e32 v4, v3, v5
	v_mul_lo_u32 v5, v1, s8
	v_mul_lo_u32 v6, v1, s9
	v_lshrrev_b32_e32 v1, s21, v4
	v_mul_lo_u32 v4, v1, s19
	v_mul_hi_u32 v7, s23, v1
	v_sub_u32_e32 v3, v3, v4
	v_add_u32_e32 v4, v1, v7
	v_lshrrev_b32_e32 v4, s0, v4
	v_mul_hi_u32 v9, s2, v4
	v_mul_lo_u32 v10, v4, s22
	v_mul_lo_u32 v7, v3, s10
	;; [unrolled: 1-line block ×3, first 2 shown]
	v_sub_u32_e32 v10, v1, v10
	v_add_u32_e32 v1, v4, v9
	v_lshrrev_b32_e32 v1, s3, v1
	v_mul_lo_u32 v9, v1, s1
	v_mul_lo_u32 v11, v10, s12
	v_mul_lo_u32 v10, v10, s13
	v_add3_u32 v0, v5, v0, v7
	v_sub_u32_e32 v4, v4, v9
	v_mul_lo_u32 v9, v4, s14
	v_mul_lo_u32 v4, v4, s15
	v_add3_u32 v2, v6, v2, v3
	v_add3_u32 v0, v11, v0, v9
	v_add3_u32 v2, v10, v2, v4
	s_cbranch_scc1 .LBB79_6
	s_branch .LBB79_10
.LBB79_7:
                                        ; implicit-def: $vgpr0
                                        ; implicit-def: $vgpr2
	s_branch .LBB79_14
.LBB79_8:
	v_mov_b32_e32 v0, 0
	v_mov_b32_e32 v2, 0
	s_branch .LBB79_13
.LBB79_9:
	s_mov_b32 s44, 0
	v_mov_b32_e32 v0, 0
	v_mov_b32_e32 v2, 0
	;; [unrolled: 1-line block ×3, first 2 shown]
.LBB79_10:
	s_and_b32 s8, s62, 3
	s_cmp_eq_u32 s8, 0
	s_cbranch_scc1 .LBB79_13
; %bb.11:
	s_lshl_b32 s0, s44, 3
	s_add_u32 s0, s34, s0
	s_addc_u32 s1, s35, 0
	s_add_u32 s0, s0, 0xc4
	s_addc_u32 s1, s1, 0
	s_mul_i32 s2, s44, 12
	s_add_u32 s2, s34, s2
	s_addc_u32 s3, s35, 0
.LBB79_12:                              ; =>This Inner Loop Header: Depth=1
	s_load_dwordx2 s[10:11], s[2:3], 0x4
	s_load_dword s9, s[2:3], 0xc
	s_load_dwordx2 s[12:13], s[0:1], 0x0
	s_add_u32 s2, s2, 12
	s_addc_u32 s3, s3, 0
	s_waitcnt lgkmcnt(0)
	v_mul_hi_u32 v3, s11, v1
	s_add_u32 s0, s0, 8
	s_addc_u32 s1, s1, 0
	s_add_i32 s8, s8, -1
	v_add_u32_e32 v3, v1, v3
	v_lshrrev_b32_e32 v4, s9, v3
	v_mul_lo_u32 v3, v4, s10
	s_cmp_lg_u32 s8, 0
	v_sub_u32_e32 v3, v1, v3
	v_mad_u64_u32 v[0:1], s[10:11], v3, s12, v[0:1]
	v_mad_u64_u32 v[2:3], s[10:11], v3, s13, v[2:3]
	v_mov_b32_e32 v1, v4
	s_cbranch_scc1 .LBB79_12
.LBB79_13:
	s_cbranch_execnz .LBB79_16
.LBB79_14:
	v_mul_hi_u32 v0, s29, v8
	s_andn2_b64 vcc, exec, s[50:51]
	v_add_u32_e32 v0, v8, v0
	v_lshrrev_b32_e32 v1, s30, v0
	v_mul_lo_u32 v0, v1, s28
	v_sub_u32_e32 v2, v8, v0
	v_mul_lo_u32 v0, v2, s36
	v_mul_lo_u32 v2, v2, s37
	s_cbranch_vccnz .LBB79_16
; %bb.15:
	v_mul_hi_u32 v3, s48, v1
	v_add_u32_e32 v3, v1, v3
	v_lshrrev_b32_e32 v3, s49, v3
	v_mul_lo_u32 v3, v3, s31
	v_sub_u32_e32 v3, v1, v3
	v_mad_u64_u32 v[0:1], s[0:1], v3, s38, v[0:1]
	v_mad_u64_u32 v[2:3], s[0:1], v3, s39, v[2:3]
.LBB79_16:
	v_mov_b32_e32 v3, s27
	s_and_b32 s10, 0xffff, s78
	v_add_co_u32_e32 v1, vcc, s26, v2
	s_cmp_lt_i32 s10, 11
	v_addc_co_u32_e32 v2, vcc, 0, v3, vcc
	s_cbranch_scc1 .LBB79_23
; %bb.17:
	s_cmp_gt_i32 s10, 25
	s_cbranch_scc0 .LBB79_32
; %bb.18:
	s_cmp_gt_i32 s10, 28
	s_cbranch_scc0 .LBB79_35
	;; [unrolled: 3-line block ×4, first 2 shown]
; %bb.21:
	s_cmp_eq_u32 s10, 46
	s_mov_b64 s[8:9], 0
	s_cbranch_scc0 .LBB79_41
; %bb.22:
	global_load_dword v3, v[1:2], off
	s_mov_b64 s[0:1], -1
	s_mov_b64 s[2:3], 0
	s_waitcnt vmcnt(0)
	v_lshlrev_b32_e32 v3, 16, v3
	v_cvt_i32_f32_e32 v3, v3
	s_branch .LBB79_43
.LBB79_23:
	s_mov_b64 s[2:3], 0
                                        ; implicit-def: $vgpr3
	s_mov_b64 s[0:1], 0
	s_cbranch_execnz .LBB79_212
.LBB79_24:
	s_andn2_b64 vcc, exec, s[0:1]
	s_cbranch_vccnz .LBB79_259
.LBB79_25:
	s_waitcnt vmcnt(0)
	v_cmp_ne_u16_e32 vcc, s45, v3
	s_xor_b64 s[8:9], s[46:47], vcc
	v_mov_b32_e32 v1, s25
	s_and_b32 s16, s77, 0xff
	v_add_co_u32_e32 v0, vcc, s24, v0
	s_cmp_lt_i32 s16, 11
	v_addc_co_u32_e32 v1, vcc, 0, v1, vcc
	s_cbranch_scc1 .LBB79_33
; %bb.26:
	s_and_b32 s17, 0xffff, s16
	s_cmp_gt_i32 s17, 25
	s_cbranch_scc0 .LBB79_36
; %bb.27:
	s_cmp_gt_i32 s17, 28
	s_cbranch_scc0 .LBB79_38
; %bb.28:
	;; [unrolled: 3-line block ×4, first 2 shown]
	s_mov_b64 s[12:13], 0
	s_mov_b64 s[0:1], -1
	s_cmp_eq_u32 s17, 46
	s_mov_b64 s[10:11], 0
	s_cbranch_scc0 .LBB79_47
; %bb.31:
	v_cndmask_b32_e64 v2, 0, 1.0, s[8:9]
	v_bfe_u32 v3, v2, 16, 1
	s_movk_i32 s0, 0x7fff
	v_add3_u32 v2, v2, v3, s0
	v_lshrrev_b32_e32 v2, 16, v2
	global_store_dword v[0:1], v2, off
	s_mov_b64 s[10:11], -1
	s_mov_b64 s[0:1], 0
	s_branch .LBB79_47
.LBB79_32:
	s_mov_b64 s[2:3], 0
	s_mov_b64 s[0:1], 0
                                        ; implicit-def: $vgpr3
	s_cbranch_execnz .LBB79_179
	s_branch .LBB79_211
.LBB79_33:
	s_mov_b64 s[0:1], 0
	s_mov_b64 s[10:11], 0
	s_cbranch_execnz .LBB79_116
.LBB79_34:
	s_andn2_b64 vcc, exec, s[10:11]
	s_cbranch_vccnz .LBB79_260
	s_branch .LBB79_154
.LBB79_35:
	s_mov_b64 s[8:9], -1
	s_mov_b64 s[2:3], 0
	s_mov_b64 s[0:1], 0
                                        ; implicit-def: $vgpr3
	s_branch .LBB79_162
.LBB79_36:
	s_mov_b64 s[12:13], -1
	s_mov_b64 s[0:1], 0
	s_mov_b64 s[10:11], 0
	s_branch .LBB79_74
.LBB79_37:
	s_mov_b64 s[8:9], -1
	s_mov_b64 s[2:3], 0
	s_mov_b64 s[0:1], 0
                                        ; implicit-def: $vgpr3
	s_branch .LBB79_157
.LBB79_38:
	s_mov_b64 s[12:13], -1
	s_mov_b64 s[0:1], 0
	s_mov_b64 s[10:11], 0
	s_branch .LBB79_57
.LBB79_39:
	s_mov_b64 s[8:9], -1
	s_mov_b64 s[2:3], 0
	s_branch .LBB79_42
.LBB79_40:
	s_mov_b64 s[12:13], -1
	s_mov_b64 s[0:1], 0
	s_mov_b64 s[10:11], 0
	s_branch .LBB79_53
.LBB79_41:
	s_mov_b64 s[2:3], -1
.LBB79_42:
	s_mov_b64 s[0:1], 0
                                        ; implicit-def: $vgpr3
.LBB79_43:
	s_and_b64 vcc, exec, s[8:9]
	s_cbranch_vccz .LBB79_156
; %bb.44:
	s_cmp_eq_u32 s10, 44
	s_cbranch_scc0 .LBB79_155
; %bb.45:
	global_load_ubyte v3, v[1:2], off
	s_mov_b64 s[0:1], -1
	s_mov_b64 s[2:3], 0
	s_waitcnt vmcnt(0)
	v_lshlrev_b32_e32 v4, 23, v3
	v_cvt_i32_f32_e32 v4, v4
	v_cmp_ne_u32_e32 vcc, 0, v3
	v_cndmask_b32_e32 v3, 0, v4, vcc
	s_branch .LBB79_156
.LBB79_46:
	s_mov_b64 s[12:13], -1
	s_mov_b64 s[0:1], 0
	s_mov_b64 s[10:11], 0
.LBB79_47:
	s_and_b64 vcc, exec, s[12:13]
	s_cbranch_vccz .LBB79_52
; %bb.48:
	s_cmp_eq_u32 s17, 44
	s_mov_b64 s[0:1], -1
	s_cbranch_scc0 .LBB79_52
; %bb.49:
	v_cndmask_b32_e64 v3, 0, 1.0, s[8:9]
	v_lshrrev_b32_e32 v2, 23, v3
	s_movk_i32 s0, 0xff
	v_cmp_ne_u32_e32 vcc, s0, v2
	v_mov_b32_e32 v4, 0xff
	s_and_saveexec_b64 s[10:11], vcc
; %bb.50:
	s_mov_b32 s0, 0x3fffff
	v_and_b32_e32 v4, 0x400000, v3
	v_and_or_b32 v3, v3, s0, v2
	v_cmp_ne_u32_e32 vcc, 0, v4
	v_cmp_ne_u32_e64 s[0:1], 0, v3
	s_and_b64 s[0:1], vcc, s[0:1]
	v_cndmask_b32_e64 v3, 0, 1, s[0:1]
	v_add_u32_e32 v4, v2, v3
; %bb.51:
	s_or_b64 exec, exec, s[10:11]
	s_mov_b64 s[10:11], -1
	s_mov_b64 s[0:1], 0
	global_store_byte v[0:1], v4, off
.LBB79_52:
	s_mov_b64 s[12:13], 0
.LBB79_53:
	s_and_b64 vcc, exec, s[12:13]
	s_cbranch_vccz .LBB79_56
; %bb.54:
	s_cmp_eq_u32 s17, 29
	s_mov_b64 s[0:1], -1
	s_cbranch_scc0 .LBB79_56
; %bb.55:
	s_mov_b32 s0, 0
	v_cndmask_b32_e64 v2, 0, 1, s[8:9]
	v_mov_b32_e32 v3, s0
	global_store_dwordx2 v[0:1], v[2:3], off
	s_mov_b64 s[10:11], -1
	s_mov_b64 s[0:1], 0
.LBB79_56:
	s_mov_b64 s[12:13], 0
.LBB79_57:
	s_and_b64 vcc, exec, s[12:13]
	s_cbranch_vccz .LBB79_73
; %bb.58:
	s_cmp_lt_i32 s17, 27
	s_mov_b64 s[10:11], -1
	s_cbranch_scc1 .LBB79_64
; %bb.59:
	s_cmp_gt_i32 s17, 27
	s_cbranch_scc0 .LBB79_61
; %bb.60:
	v_cndmask_b32_e64 v2, 0, 1, s[8:9]
	s_mov_b64 s[10:11], 0
	global_store_dword v[0:1], v2, off
.LBB79_61:
	s_andn2_b64 vcc, exec, s[10:11]
	s_cbranch_vccnz .LBB79_63
; %bb.62:
	v_cndmask_b32_e64 v2, 0, 1, s[8:9]
	global_store_short v[0:1], v2, off
.LBB79_63:
	s_mov_b64 s[10:11], 0
.LBB79_64:
	s_andn2_b64 vcc, exec, s[10:11]
	s_cbranch_vccnz .LBB79_72
; %bb.65:
	v_cndmask_b32_e64 v3, 0, 1.0, s[8:9]
	s_mov_b32 s10, 0x43800000
	v_cmp_gt_u32_e32 vcc, s10, v3
	v_mov_b32_e32 v4, 0x80
	s_and_saveexec_b64 s[10:11], vcc
	s_cbranch_execz .LBB79_71
; %bb.66:
	s_mov_b32 s12, 0x3bffffff
	v_cmp_lt_u32_e32 vcc, s12, v3
	s_mov_b64 s[12:13], 0
                                        ; implicit-def: $vgpr2
	s_and_saveexec_b64 s[14:15], vcc
	s_xor_b64 s[14:15], exec, s[14:15]
	s_cbranch_execz .LBB79_303
; %bb.67:
	v_bfe_u32 v2, v3, 20, 1
	s_mov_b32 s18, 0x487ffff
	v_add3_u32 v2, v3, v2, s18
	s_mov_b64 s[12:13], exec
	v_lshrrev_b32_e32 v2, 20, v2
                                        ; implicit-def: $vgpr3
	s_andn2_saveexec_b64 s[14:15], s[14:15]
	s_cbranch_execnz .LBB79_304
.LBB79_68:
	s_or_b64 exec, exec, s[14:15]
	v_mov_b32_e32 v4, 0
	s_and_saveexec_b64 s[14:15], s[12:13]
.LBB79_69:
	v_mov_b32_e32 v4, v2
.LBB79_70:
	s_or_b64 exec, exec, s[14:15]
.LBB79_71:
	s_or_b64 exec, exec, s[10:11]
	global_store_byte v[0:1], v4, off
.LBB79_72:
	s_mov_b64 s[10:11], -1
.LBB79_73:
	s_mov_b64 s[12:13], 0
.LBB79_74:
	s_and_b64 vcc, exec, s[12:13]
	s_cbranch_vccz .LBB79_115
; %bb.75:
	s_cmp_gt_i32 s17, 22
	s_mov_b64 s[12:13], -1
	s_cbranch_scc0 .LBB79_107
; %bb.76:
	s_cmp_lt_i32 s17, 24
	s_mov_b64 s[10:11], -1
	s_cbranch_scc1 .LBB79_96
; %bb.77:
	s_cmp_gt_i32 s17, 24
	s_cbranch_scc0 .LBB79_85
; %bb.78:
	v_cndmask_b32_e64 v3, 0, 1.0, s[8:9]
	s_mov_b32 s10, 0x47800000
	v_cmp_gt_u32_e32 vcc, s10, v3
	v_mov_b32_e32 v4, 0x80
	s_and_saveexec_b64 s[10:11], vcc
	s_cbranch_execz .LBB79_84
; %bb.79:
	s_mov_b32 s12, 0x37ffffff
	v_cmp_lt_u32_e32 vcc, s12, v3
	s_mov_b64 s[12:13], 0
                                        ; implicit-def: $vgpr2
	s_and_saveexec_b64 s[14:15], vcc
	s_xor_b64 s[14:15], exec, s[14:15]
	s_cbranch_execz .LBB79_307
; %bb.80:
	v_bfe_u32 v2, v3, 21, 1
	s_mov_b32 s18, 0x88fffff
	v_add3_u32 v2, v3, v2, s18
	s_mov_b64 s[12:13], exec
	v_lshrrev_b32_e32 v2, 21, v2
                                        ; implicit-def: $vgpr3
	s_andn2_saveexec_b64 s[14:15], s[14:15]
	s_cbranch_execnz .LBB79_308
.LBB79_81:
	s_or_b64 exec, exec, s[14:15]
	v_mov_b32_e32 v4, 0
	s_and_saveexec_b64 s[14:15], s[12:13]
.LBB79_82:
	v_mov_b32_e32 v4, v2
.LBB79_83:
	s_or_b64 exec, exec, s[14:15]
.LBB79_84:
	s_or_b64 exec, exec, s[10:11]
	s_mov_b64 s[10:11], 0
	global_store_byte v[0:1], v4, off
.LBB79_85:
	s_and_b64 vcc, exec, s[10:11]
	s_cbranch_vccz .LBB79_95
; %bb.86:
	v_cndmask_b32_e64 v2, 0, 1.0, s[8:9]
	s_mov_b32 s10, 0x43f00000
	v_cmp_gt_u32_e32 vcc, s10, v2
                                        ; implicit-def: $vgpr3
	s_and_saveexec_b64 s[10:11], vcc
	s_xor_b64 s[10:11], exec, s[10:11]
	s_cbranch_execz .LBB79_92
; %bb.87:
	s_mov_b32 s12, 0x3c7fffff
	v_cmp_lt_u32_e32 vcc, s12, v2
                                        ; implicit-def: $vgpr3
	s_and_saveexec_b64 s[12:13], vcc
	s_xor_b64 s[12:13], exec, s[12:13]
; %bb.88:
	v_bfe_u32 v3, v2, 20, 1
	s_mov_b32 s14, 0x407ffff
	v_add3_u32 v2, v2, v3, s14
	v_lshrrev_b32_e32 v3, 20, v2
	v_and_b32_e32 v2, 0xff00000, v2
	s_mov_b32 s14, 0x7f00000
	v_mov_b32_e32 v4, 0x7e
	v_cmp_ne_u32_e32 vcc, s14, v2
	v_cndmask_b32_e32 v3, v4, v3, vcc
                                        ; implicit-def: $vgpr2
; %bb.89:
	s_andn2_saveexec_b64 s[12:13], s[12:13]
; %bb.90:
	v_add_f32_e32 v3, 0x46800000, v2
; %bb.91:
	s_or_b64 exec, exec, s[12:13]
                                        ; implicit-def: $vgpr2
.LBB79_92:
	s_andn2_saveexec_b64 s[10:11], s[10:11]
; %bb.93:
	s_mov_b32 s12, 0x7f800000
	v_mov_b32_e32 v3, 0x7e
	v_mov_b32_e32 v4, 0x7f
	v_cmp_lt_u32_e32 vcc, s12, v2
	v_cndmask_b32_e32 v3, v3, v4, vcc
; %bb.94:
	s_or_b64 exec, exec, s[10:11]
	global_store_byte v[0:1], v3, off
.LBB79_95:
	s_mov_b64 s[10:11], 0
.LBB79_96:
	s_andn2_b64 vcc, exec, s[10:11]
	s_cbranch_vccnz .LBB79_106
; %bb.97:
	v_cndmask_b32_e64 v2, 0, 1.0, s[8:9]
	s_mov_b32 s10, 0x47800000
	v_cmp_gt_u32_e32 vcc, s10, v2
                                        ; implicit-def: $vgpr3
	s_and_saveexec_b64 s[10:11], vcc
	s_xor_b64 s[10:11], exec, s[10:11]
	s_cbranch_execz .LBB79_103
; %bb.98:
	s_mov_b32 s12, 0x387fffff
	v_cmp_lt_u32_e32 vcc, s12, v2
                                        ; implicit-def: $vgpr3
	s_and_saveexec_b64 s[12:13], vcc
	s_xor_b64 s[12:13], exec, s[12:13]
; %bb.99:
	v_bfe_u32 v3, v2, 21, 1
	s_mov_b32 s14, 0x80fffff
	v_add3_u32 v2, v2, v3, s14
	v_lshrrev_b32_e32 v3, 21, v2
                                        ; implicit-def: $vgpr2
; %bb.100:
	s_andn2_saveexec_b64 s[12:13], s[12:13]
; %bb.101:
	v_add_f32_e32 v3, 0x43000000, v2
; %bb.102:
	s_or_b64 exec, exec, s[12:13]
                                        ; implicit-def: $vgpr2
.LBB79_103:
	s_andn2_saveexec_b64 s[10:11], s[10:11]
; %bb.104:
	s_mov_b32 s12, 0x7f800000
	v_mov_b32_e32 v3, 0x7c
	v_mov_b32_e32 v4, 0x7f
	v_cmp_lt_u32_e32 vcc, s12, v2
	v_cndmask_b32_e32 v3, v3, v4, vcc
; %bb.105:
	s_or_b64 exec, exec, s[10:11]
	global_store_byte v[0:1], v3, off
.LBB79_106:
	s_mov_b64 s[12:13], 0
	s_mov_b64 s[10:11], -1
.LBB79_107:
	s_andn2_b64 vcc, exec, s[12:13]
	s_cbranch_vccnz .LBB79_115
; %bb.108:
	s_cmp_gt_i32 s17, 14
	s_mov_b64 s[12:13], -1
	s_cbranch_scc0 .LBB79_112
; %bb.109:
	s_cmp_eq_u32 s17, 15
	s_mov_b64 s[0:1], -1
	s_cbranch_scc0 .LBB79_111
; %bb.110:
	v_cndmask_b32_e64 v2, 0, 1.0, s[8:9]
	v_bfe_u32 v3, v2, 16, 1
	s_movk_i32 s0, 0x7fff
	v_add3_u32 v2, v2, v3, s0
	global_store_short_d16_hi v[0:1], v2, off
	s_mov_b64 s[10:11], -1
	s_mov_b64 s[0:1], 0
.LBB79_111:
	s_mov_b64 s[12:13], 0
.LBB79_112:
	s_and_b64 vcc, exec, s[12:13]
	s_cbranch_vccz .LBB79_115
; %bb.113:
	s_cmp_eq_u32 s17, 11
	s_mov_b64 s[0:1], -1
	s_cbranch_scc0 .LBB79_115
; %bb.114:
	v_cndmask_b32_e64 v2, 0, 1, s[8:9]
	s_mov_b64 s[10:11], -1
	s_mov_b64 s[0:1], 0
	global_store_byte v[0:1], v2, off
.LBB79_115:
	s_branch .LBB79_34
.LBB79_116:
	s_and_b32 s12, 0xffff, s16
	s_cmp_lt_i32 s12, 5
	s_mov_b64 s[10:11], -1
	s_cbranch_scc1 .LBB79_137
; %bb.117:
	s_cmp_lt_i32 s12, 8
	s_cbranch_scc1 .LBB79_127
; %bb.118:
	s_cmp_lt_i32 s12, 9
	s_cbranch_scc1 .LBB79_124
; %bb.119:
	s_cmp_gt_i32 s12, 9
	s_cbranch_scc0 .LBB79_121
; %bb.120:
	v_cndmask_b32_e64 v2, 0, 1, s[8:9]
	v_cvt_f64_u32_e32 v[2:3], v2
	v_mov_b32_e32 v4, 0
	v_mov_b32_e32 v5, v4
	s_mov_b64 s[10:11], 0
	global_store_dwordx4 v[0:1], v[2:5], off
.LBB79_121:
	s_andn2_b64 vcc, exec, s[10:11]
	s_cbranch_vccnz .LBB79_123
; %bb.122:
	v_cndmask_b32_e64 v2, 0, 1.0, s[8:9]
	v_mov_b32_e32 v3, 0
	global_store_dwordx2 v[0:1], v[2:3], off
.LBB79_123:
	s_mov_b64 s[10:11], 0
.LBB79_124:
	s_andn2_b64 vcc, exec, s[10:11]
	s_cbranch_vccnz .LBB79_126
; %bb.125:
	v_cndmask_b32_e64 v2, 0, 1.0, s[8:9]
	v_cvt_f16_f32_e32 v2, v2
	global_store_dword v[0:1], v2, off
.LBB79_126:
	s_mov_b64 s[10:11], 0
.LBB79_127:
	s_andn2_b64 vcc, exec, s[10:11]
	s_cbranch_vccnz .LBB79_136
; %bb.128:
	s_cmp_lt_i32 s12, 6
	s_mov_b64 s[10:11], -1
	s_cbranch_scc1 .LBB79_134
; %bb.129:
	s_cmp_gt_i32 s12, 6
	s_cbranch_scc0 .LBB79_131
; %bb.130:
	v_cndmask_b32_e64 v2, 0, 1, s[8:9]
	v_cvt_f64_u32_e32 v[2:3], v2
	s_mov_b64 s[10:11], 0
	global_store_dwordx2 v[0:1], v[2:3], off
.LBB79_131:
	s_andn2_b64 vcc, exec, s[10:11]
	s_cbranch_vccnz .LBB79_133
; %bb.132:
	v_cndmask_b32_e64 v2, 0, 1.0, s[8:9]
	global_store_dword v[0:1], v2, off
.LBB79_133:
	s_mov_b64 s[10:11], 0
.LBB79_134:
	s_andn2_b64 vcc, exec, s[10:11]
	s_cbranch_vccnz .LBB79_136
; %bb.135:
	v_cndmask_b32_e64 v2, 0, 1.0, s[8:9]
	v_cvt_f16_f32_e32 v2, v2
	global_store_short v[0:1], v2, off
.LBB79_136:
	s_mov_b64 s[10:11], 0
.LBB79_137:
	s_andn2_b64 vcc, exec, s[10:11]
	s_cbranch_vccnz .LBB79_153
; %bb.138:
	s_cmp_lt_i32 s12, 2
	s_mov_b64 s[10:11], -1
	s_cbranch_scc1 .LBB79_148
; %bb.139:
	s_cmp_lt_i32 s12, 3
	s_cbranch_scc1 .LBB79_145
; %bb.140:
	s_cmp_gt_i32 s12, 3
	s_cbranch_scc0 .LBB79_142
; %bb.141:
	s_mov_b32 s10, 0
	v_cndmask_b32_e64 v2, 0, 1, s[8:9]
	v_mov_b32_e32 v3, s10
	global_store_dwordx2 v[0:1], v[2:3], off
	s_mov_b64 s[10:11], 0
.LBB79_142:
	s_andn2_b64 vcc, exec, s[10:11]
	s_cbranch_vccnz .LBB79_144
; %bb.143:
	v_cndmask_b32_e64 v2, 0, 1, s[8:9]
	global_store_dword v[0:1], v2, off
.LBB79_144:
	s_mov_b64 s[10:11], 0
.LBB79_145:
	s_andn2_b64 vcc, exec, s[10:11]
	s_cbranch_vccnz .LBB79_147
; %bb.146:
	v_cndmask_b32_e64 v2, 0, 1, s[8:9]
	global_store_short v[0:1], v2, off
.LBB79_147:
	s_mov_b64 s[10:11], 0
.LBB79_148:
	s_andn2_b64 vcc, exec, s[10:11]
	s_cbranch_vccnz .LBB79_153
; %bb.149:
	s_cmp_gt_i32 s12, 0
	s_mov_b64 s[10:11], -1
	s_cbranch_scc0 .LBB79_151
; %bb.150:
	v_cndmask_b32_e64 v2, 0, 1, s[8:9]
	global_store_byte v[0:1], v2, off
	s_mov_b64 s[10:11], 0
.LBB79_151:
	s_andn2_b64 vcc, exec, s[10:11]
	s_cbranch_vccnz .LBB79_153
; %bb.152:
	v_cndmask_b32_e64 v2, 0, 1, s[8:9]
	global_store_byte v[0:1], v2, off
.LBB79_153:
.LBB79_154:
	v_add_u32_e32 v8, 0x80, v8
	s_mov_b64 s[8:9], -1
	s_branch .LBB79_261
.LBB79_155:
	s_mov_b64 s[2:3], -1
                                        ; implicit-def: $vgpr3
.LBB79_156:
	s_mov_b64 s[8:9], 0
.LBB79_157:
	s_and_b64 vcc, exec, s[8:9]
	s_cbranch_vccz .LBB79_161
; %bb.158:
	s_cmp_eq_u32 s10, 29
	s_cbranch_scc0 .LBB79_160
; %bb.159:
	global_load_dwordx2 v[3:4], v[1:2], off
	s_mov_b64 s[0:1], -1
	s_mov_b64 s[2:3], 0
	s_branch .LBB79_161
.LBB79_160:
	s_mov_b64 s[2:3], -1
                                        ; implicit-def: $vgpr3
.LBB79_161:
	s_mov_b64 s[8:9], 0
.LBB79_162:
	s_and_b64 vcc, exec, s[8:9]
	s_cbranch_vccz .LBB79_178
; %bb.163:
	s_cmp_lt_i32 s10, 27
	s_cbranch_scc1 .LBB79_166
; %bb.164:
	s_cmp_gt_i32 s10, 27
	s_cbranch_scc0 .LBB79_167
; %bb.165:
	global_load_dword v3, v[1:2], off
	s_mov_b64 s[0:1], 0
	s_branch .LBB79_168
.LBB79_166:
	s_mov_b64 s[0:1], -1
                                        ; implicit-def: $vgpr3
	s_branch .LBB79_171
.LBB79_167:
	s_mov_b64 s[0:1], -1
                                        ; implicit-def: $vgpr3
.LBB79_168:
	s_andn2_b64 vcc, exec, s[0:1]
	s_cbranch_vccnz .LBB79_170
; %bb.169:
	global_load_ushort v3, v[1:2], off
.LBB79_170:
	s_mov_b64 s[0:1], 0
.LBB79_171:
	s_andn2_b64 vcc, exec, s[0:1]
	s_cbranch_vccnz .LBB79_177
; %bb.172:
	global_load_ubyte v4, v[1:2], off
	s_movk_i32 s0, 0x7f
	s_mov_b64 s[8:9], 0
	s_waitcnt vmcnt(0)
	v_cmp_lt_i16_e32 vcc, s0, v4
	s_and_saveexec_b64 s[0:1], vcc
	s_xor_b64 s[0:1], exec, s[0:1]
	s_cbranch_execz .LBB79_188
; %bb.173:
	s_movk_i32 s8, 0x80
	v_cmp_ne_u16_e32 vcc, s8, v4
	s_and_b64 s[8:9], vcc, exec
	s_andn2_saveexec_b64 s[0:1], s[0:1]
	s_cbranch_execnz .LBB79_189
.LBB79_174:
	s_or_b64 exec, exec, s[0:1]
	v_mov_b32_e32 v3, 0
	s_and_saveexec_b64 s[0:1], s[8:9]
	s_cbranch_execz .LBB79_176
.LBB79_175:
	v_lshlrev_b32_e32 v3, 24, v4
	v_and_b32_e32 v4, 0xffff, v4
	v_and_b32_e32 v5, 7, v4
	v_ffbh_u32_e32 v7, v5
	v_min_u32_e32 v7, 32, v7
	v_subrev_u32_e32 v9, 28, v7
	v_bfe_u32 v6, v4, 3, 4
	v_lshlrev_b32_e32 v4, v9, v4
	v_sub_u32_e32 v7, 29, v7
	v_and_b32_e32 v4, 7, v4
	v_cmp_eq_u32_e32 vcc, 0, v6
	v_cndmask_b32_e32 v6, v6, v7, vcc
	v_cndmask_b32_e32 v4, v5, v4, vcc
	v_mov_b32_e32 v5, 0x3b800000
	v_lshlrev_b32_e32 v4, 20, v4
	v_and_b32_e32 v3, 0x80000000, v3
	v_lshl_add_u32 v5, v6, 23, v5
	v_or3_b32 v3, v3, v5, v4
	v_cvt_i32_f32_e32 v3, v3
.LBB79_176:
	s_or_b64 exec, exec, s[0:1]
.LBB79_177:
	s_mov_b64 s[0:1], -1
.LBB79_178:
	s_branch .LBB79_211
.LBB79_179:
	s_cmp_gt_i32 s10, 22
	s_cbranch_scc0 .LBB79_187
; %bb.180:
	s_cmp_lt_i32 s10, 24
	s_cbranch_scc1 .LBB79_190
; %bb.181:
	s_cmp_gt_i32 s10, 24
	s_cbranch_scc0 .LBB79_191
; %bb.182:
	global_load_ubyte v4, v[1:2], off
	s_movk_i32 s0, 0x7f
	s_mov_b64 s[8:9], 0
	s_waitcnt vmcnt(0)
	v_cmp_lt_i16_e32 vcc, s0, v4
	s_and_saveexec_b64 s[0:1], vcc
	s_xor_b64 s[0:1], exec, s[0:1]
	s_cbranch_execz .LBB79_203
; %bb.183:
	s_movk_i32 s8, 0x80
	v_cmp_ne_u16_e32 vcc, s8, v4
	s_and_b64 s[8:9], vcc, exec
	s_andn2_saveexec_b64 s[0:1], s[0:1]
	s_cbranch_execnz .LBB79_204
.LBB79_184:
	s_or_b64 exec, exec, s[0:1]
	v_mov_b32_e32 v3, 0
	s_and_saveexec_b64 s[0:1], s[8:9]
	s_cbranch_execz .LBB79_186
.LBB79_185:
	v_lshlrev_b32_e32 v3, 24, v4
	v_and_b32_e32 v4, 0xffff, v4
	v_and_b32_e32 v5, 3, v4
	v_ffbh_u32_e32 v7, v5
	v_min_u32_e32 v7, 32, v7
	v_subrev_u32_e32 v9, 29, v7
	v_bfe_u32 v6, v4, 2, 5
	v_lshlrev_b32_e32 v4, v9, v4
	v_sub_u32_e32 v7, 30, v7
	v_and_b32_e32 v4, 3, v4
	v_cmp_eq_u32_e32 vcc, 0, v6
	v_cndmask_b32_e32 v6, v6, v7, vcc
	v_cndmask_b32_e32 v4, v5, v4, vcc
	v_mov_b32_e32 v5, 0x37800000
	v_lshlrev_b32_e32 v4, 21, v4
	v_and_b32_e32 v3, 0x80000000, v3
	v_lshl_add_u32 v5, v6, 23, v5
	v_or3_b32 v3, v3, v5, v4
	v_cvt_i32_f32_e32 v3, v3
.LBB79_186:
	s_or_b64 exec, exec, s[0:1]
	s_mov_b64 s[0:1], 0
	s_branch .LBB79_192
.LBB79_187:
	s_mov_b64 s[8:9], -1
                                        ; implicit-def: $vgpr3
	s_branch .LBB79_198
.LBB79_188:
	s_andn2_saveexec_b64 s[0:1], s[0:1]
	s_cbranch_execz .LBB79_174
.LBB79_189:
	v_cmp_ne_u16_e32 vcc, 0, v4
	s_andn2_b64 s[8:9], s[8:9], exec
	s_and_b64 s[12:13], vcc, exec
	s_or_b64 s[8:9], s[8:9], s[12:13]
	s_or_b64 exec, exec, s[0:1]
	v_mov_b32_e32 v3, 0
	s_and_saveexec_b64 s[0:1], s[8:9]
	s_cbranch_execnz .LBB79_175
	s_branch .LBB79_176
.LBB79_190:
	s_mov_b64 s[0:1], -1
                                        ; implicit-def: $vgpr3
	s_branch .LBB79_195
.LBB79_191:
	s_mov_b64 s[0:1], -1
                                        ; implicit-def: $vgpr3
.LBB79_192:
	s_and_b64 vcc, exec, s[0:1]
	s_cbranch_vccz .LBB79_194
; %bb.193:
	global_load_ubyte v3, v[1:2], off
	s_mov_b32 s0, 0x7f800000
	s_waitcnt vmcnt(0)
	v_lshlrev_b32_e32 v3, 24, v3
	v_and_b32_e32 v4, 0x7f000000, v3
	v_ffbh_u32_e32 v5, v4
	v_min_u32_e32 v5, 32, v5
	v_sub_u32_e64 v5, v5, 4 clamp
	v_lshlrev_b32_e32 v7, v5, v4
	v_lshlrev_b32_e32 v5, 23, v5
	v_lshrrev_b32_e32 v7, 4, v7
	v_add_u32_e32 v6, 0x1000000, v4
	v_sub_u32_e32 v5, v7, v5
	v_ashrrev_i32_e32 v6, 8, v6
	v_add_u32_e32 v5, 0x3c000000, v5
	v_and_or_b32 v5, v6, s0, v5
	v_cmp_ne_u32_e32 vcc, 0, v4
	v_cndmask_b32_e32 v4, 0, v5, vcc
	s_brev_b32 s0, 1
	v_and_or_b32 v3, v3, s0, v4
	v_cvt_i32_f32_e32 v3, v3
.LBB79_194:
	s_mov_b64 s[0:1], 0
.LBB79_195:
	s_andn2_b64 vcc, exec, s[0:1]
	s_cbranch_vccnz .LBB79_197
; %bb.196:
	global_load_ubyte v3, v[1:2], off
	s_movk_i32 s0, 0x7f00
	s_brev_b32 s1, 16
	s_waitcnt vmcnt(0)
	v_lshlrev_b16_e32 v4, 8, v3
	v_lshlrev_b32_e32 v3, 25, v3
	v_lshrrev_b32_e32 v5, 4, v3
	v_and_or_b32 v6, v4, s0, 0.5
	v_or_b32_e32 v5, 0x70000000, v5
	v_add_f32_e32 v6, -0.5, v6
	v_mul_f32_e32 v5, 0x7800000, v5
	v_cmp_gt_u32_e32 vcc, s1, v3
	v_bfe_i32 v4, v4, 0, 16
	v_cndmask_b32_e32 v3, v5, v6, vcc
	s_brev_b32 s0, 1
	v_and_or_b32 v3, v4, s0, v3
	v_cvt_i32_f32_e32 v3, v3
.LBB79_197:
	s_mov_b64 s[8:9], 0
	s_mov_b64 s[0:1], -1
.LBB79_198:
	s_andn2_b64 vcc, exec, s[8:9]
	s_cbranch_vccnz .LBB79_211
; %bb.199:
	s_cmp_gt_i32 s10, 14
	s_cbranch_scc0 .LBB79_202
; %bb.200:
	s_cmp_eq_u32 s10, 15
	s_cbranch_scc0 .LBB79_205
; %bb.201:
	global_load_ushort v3, v[1:2], off
	s_mov_b64 s[0:1], -1
	s_mov_b64 s[2:3], 0
	s_waitcnt vmcnt(0)
	v_lshlrev_b32_e32 v3, 16, v3
	v_cvt_i32_f32_e32 v3, v3
	s_branch .LBB79_206
.LBB79_202:
	s_mov_b64 s[8:9], -1
                                        ; implicit-def: $vgpr3
	s_branch .LBB79_207
.LBB79_203:
	s_andn2_saveexec_b64 s[0:1], s[0:1]
	s_cbranch_execz .LBB79_184
.LBB79_204:
	v_cmp_ne_u16_e32 vcc, 0, v4
	s_andn2_b64 s[8:9], s[8:9], exec
	s_and_b64 s[12:13], vcc, exec
	s_or_b64 s[8:9], s[8:9], s[12:13]
	s_or_b64 exec, exec, s[0:1]
	v_mov_b32_e32 v3, 0
	s_and_saveexec_b64 s[0:1], s[8:9]
	s_cbranch_execnz .LBB79_185
	s_branch .LBB79_186
.LBB79_205:
	s_mov_b64 s[2:3], -1
                                        ; implicit-def: $vgpr3
.LBB79_206:
	s_mov_b64 s[8:9], 0
.LBB79_207:
	s_and_b64 vcc, exec, s[8:9]
	s_cbranch_vccz .LBB79_211
; %bb.208:
	s_cmp_eq_u32 s10, 11
	s_cbranch_scc0 .LBB79_210
; %bb.209:
	global_load_ubyte v3, v[1:2], off
	s_mov_b64 s[0:1], -1
	s_mov_b64 s[2:3], 0
	s_waitcnt vmcnt(0)
	v_cmp_ne_u16_e32 vcc, 0, v3
	v_cndmask_b32_e64 v3, 0, 1, vcc
	s_branch .LBB79_211
.LBB79_210:
	s_mov_b64 s[2:3], -1
                                        ; implicit-def: $vgpr3
.LBB79_211:
	s_branch .LBB79_24
.LBB79_212:
	s_cmp_lt_i32 s10, 5
	s_cbranch_scc1 .LBB79_217
; %bb.213:
	s_cmp_lt_i32 s10, 8
	s_cbranch_scc1 .LBB79_218
; %bb.214:
	;; [unrolled: 3-line block ×3, first 2 shown]
	s_cmp_gt_i32 s10, 9
	s_cbranch_scc0 .LBB79_220
; %bb.216:
	global_load_dwordx2 v[3:4], v[1:2], off
	s_mov_b64 s[0:1], 0
	s_waitcnt vmcnt(0)
	v_cvt_i32_f64_e32 v3, v[3:4]
	s_branch .LBB79_221
.LBB79_217:
                                        ; implicit-def: $vgpr3
	s_branch .LBB79_239
.LBB79_218:
	s_mov_b64 s[0:1], -1
                                        ; implicit-def: $vgpr3
	s_branch .LBB79_227
.LBB79_219:
	s_mov_b64 s[0:1], -1
                                        ; implicit-def: $vgpr3
	s_branch .LBB79_224
.LBB79_220:
	s_mov_b64 s[0:1], -1
                                        ; implicit-def: $vgpr3
.LBB79_221:
	s_andn2_b64 vcc, exec, s[0:1]
	s_cbranch_vccnz .LBB79_223
; %bb.222:
	global_load_dword v3, v[1:2], off
	s_waitcnt vmcnt(0)
	v_cvt_i32_f32_e32 v3, v3
.LBB79_223:
	s_mov_b64 s[0:1], 0
.LBB79_224:
	s_andn2_b64 vcc, exec, s[0:1]
	s_cbranch_vccnz .LBB79_226
; %bb.225:
	global_load_dword v3, v[1:2], off
	s_waitcnt vmcnt(0)
	v_cvt_i16_f16_e32 v3, v3
.LBB79_226:
	s_mov_b64 s[0:1], 0
.LBB79_227:
	s_andn2_b64 vcc, exec, s[0:1]
	s_cbranch_vccnz .LBB79_238
; %bb.228:
	s_cmp_lt_i32 s10, 6
	s_cbranch_scc1 .LBB79_231
; %bb.229:
	s_cmp_gt_i32 s10, 6
	s_cbranch_scc0 .LBB79_232
; %bb.230:
	global_load_dwordx2 v[3:4], v[1:2], off
	s_mov_b64 s[0:1], 0
	s_waitcnt vmcnt(0)
	v_cvt_i32_f64_e32 v3, v[3:4]
	s_branch .LBB79_233
.LBB79_231:
	s_mov_b64 s[0:1], -1
                                        ; implicit-def: $vgpr3
	s_branch .LBB79_236
.LBB79_232:
	s_mov_b64 s[0:1], -1
                                        ; implicit-def: $vgpr3
.LBB79_233:
	s_andn2_b64 vcc, exec, s[0:1]
	s_cbranch_vccnz .LBB79_235
; %bb.234:
	global_load_dword v3, v[1:2], off
	s_waitcnt vmcnt(0)
	v_cvt_i32_f32_e32 v3, v3
.LBB79_235:
	s_mov_b64 s[0:1], 0
.LBB79_236:
	s_andn2_b64 vcc, exec, s[0:1]
	s_cbranch_vccnz .LBB79_238
; %bb.237:
	global_load_ushort v3, v[1:2], off
	s_waitcnt vmcnt(0)
	v_cvt_i16_f16_e32 v3, v3
.LBB79_238:
	s_cbranch_execnz .LBB79_258
.LBB79_239:
	s_cmp_lt_i32 s10, 2
	s_cbranch_scc1 .LBB79_243
; %bb.240:
	s_cmp_lt_i32 s10, 3
	s_cbranch_scc1 .LBB79_244
; %bb.241:
	s_cmp_gt_i32 s10, 3
	s_cbranch_scc0 .LBB79_245
; %bb.242:
	global_load_dwordx2 v[3:4], v[1:2], off
	s_mov_b64 s[0:1], 0
	s_branch .LBB79_246
.LBB79_243:
	s_mov_b64 s[0:1], -1
                                        ; implicit-def: $vgpr3
	s_branch .LBB79_252
.LBB79_244:
	s_mov_b64 s[0:1], -1
                                        ; implicit-def: $vgpr3
	s_branch .LBB79_249
.LBB79_245:
	s_mov_b64 s[0:1], -1
                                        ; implicit-def: $vgpr3
.LBB79_246:
	s_andn2_b64 vcc, exec, s[0:1]
	s_cbranch_vccnz .LBB79_248
; %bb.247:
	global_load_dword v3, v[1:2], off
.LBB79_248:
	s_mov_b64 s[0:1], 0
.LBB79_249:
	s_andn2_b64 vcc, exec, s[0:1]
	s_cbranch_vccnz .LBB79_251
; %bb.250:
	global_load_ushort v3, v[1:2], off
.LBB79_251:
	s_mov_b64 s[0:1], 0
.LBB79_252:
	s_andn2_b64 vcc, exec, s[0:1]
	s_cbranch_vccnz .LBB79_258
; %bb.253:
	s_cmp_gt_i32 s10, 0
	s_cbranch_scc0 .LBB79_255
; %bb.254:
	global_load_sbyte v3, v[1:2], off
	s_mov_b64 s[0:1], 0
	s_branch .LBB79_256
.LBB79_255:
	s_mov_b64 s[0:1], -1
                                        ; implicit-def: $vgpr3
.LBB79_256:
	s_andn2_b64 vcc, exec, s[0:1]
	s_cbranch_vccnz .LBB79_258
; %bb.257:
	global_load_ubyte v3, v[1:2], off
.LBB79_258:
	s_branch .LBB79_25
.LBB79_259:
	s_mov_b64 s[0:1], 0
.LBB79_260:
	s_mov_b64 s[8:9], 0
                                        ; implicit-def: $vgpr8
.LBB79_261:
	s_and_b64 s[56:57], s[0:1], exec
	s_and_b64 s[58:59], s[2:3], exec
	s_orn2_b64 s[2:3], s[8:9], exec
.LBB79_262:
	s_or_b64 exec, exec, s[60:61]
	s_mov_b64 s[10:11], 0
	s_mov_b64 s[0:1], 0
                                        ; implicit-def: $vgpr1_vgpr2
                                        ; implicit-def: $vgpr0
                                        ; implicit-def: $vgpr3
	s_and_saveexec_b64 s[60:61], s[2:3]
	s_cbranch_execz .LBB79_269
; %bb.263:
	v_cmp_gt_i32_e32 vcc, s74, v8
	s_mov_b64 s[0:1], -1
	s_mov_b64 s[62:63], s[58:59]
	s_mov_b64 s[64:65], s[56:57]
	s_and_saveexec_b64 s[66:67], vcc
	s_cbranch_execz .LBB79_534
; %bb.264:
	s_andn2_b64 vcc, exec, s[40:41]
	s_cbranch_vccnz .LBB79_272
; %bb.265:
	s_andn2_b64 vcc, exec, s[54:55]
	s_cbranch_vccnz .LBB79_273
; %bb.266:
	s_add_i32 s68, s79, 1
	s_cmp_eq_u32 s76, 2
	s_cbranch_scc1 .LBB79_274
; %bb.267:
	s_and_b32 s44, s68, 28
	v_mov_b32_e32 v2, 0
	s_mov_b32 s69, 0
	s_mov_b64 s[62:63], s[34:35]
	s_mov_b64 s[64:65], s[52:53]
	v_mov_b32_e32 v0, 0
	v_mov_b32_e32 v1, v8
.LBB79_268:                             ; =>This Inner Loop Header: Depth=1
	s_load_dwordx8 s[16:23], s[62:63], 0x4
	s_load_dwordx4 s[0:3], s[62:63], 0x24
	s_load_dwordx8 s[8:15], s[64:65], 0x0
	s_add_u32 s62, s62, 48
	s_addc_u32 s63, s63, 0
	s_waitcnt vmcnt(0) lgkmcnt(0)
	v_mul_hi_u32 v3, s17, v1
	s_add_i32 s69, s69, 4
	s_add_u32 s64, s64, 32
	s_addc_u32 s65, s65, 0
	v_add_u32_e32 v3, v1, v3
	v_lshrrev_b32_e32 v3, s18, v3
	v_mul_lo_u32 v4, v3, s16
	v_mul_hi_u32 v5, s20, v3
	s_cmp_eq_u32 s44, s69
	v_sub_u32_e32 v1, v1, v4
	v_add_u32_e32 v4, v3, v5
	v_mul_lo_u32 v5, v1, s8
	v_mul_lo_u32 v6, v1, s9
	v_lshrrev_b32_e32 v1, s21, v4
	v_mul_lo_u32 v4, v1, s19
	v_mul_hi_u32 v7, s23, v1
	v_sub_u32_e32 v3, v3, v4
	v_add_u32_e32 v4, v1, v7
	v_lshrrev_b32_e32 v4, s0, v4
	v_mul_hi_u32 v9, s2, v4
	v_mul_lo_u32 v10, v4, s22
	v_mul_lo_u32 v7, v3, s10
	;; [unrolled: 1-line block ×3, first 2 shown]
	v_sub_u32_e32 v10, v1, v10
	v_add_u32_e32 v1, v4, v9
	v_lshrrev_b32_e32 v1, s3, v1
	v_mul_lo_u32 v9, v1, s1
	v_mul_lo_u32 v11, v10, s12
	;; [unrolled: 1-line block ×3, first 2 shown]
	v_add3_u32 v0, v5, v0, v7
	v_sub_u32_e32 v4, v4, v9
	v_mul_lo_u32 v9, v4, s14
	v_mul_lo_u32 v4, v4, s15
	v_add3_u32 v2, v6, v2, v3
	v_add3_u32 v0, v11, v0, v9
	;; [unrolled: 1-line block ×3, first 2 shown]
	s_cbranch_scc0 .LBB79_268
	s_branch .LBB79_275
.LBB79_269:
	s_or_b64 exec, exec, s[60:61]
	s_mov_b64 s[2:3], 0
	s_and_saveexec_b64 s[8:9], s[58:59]
	s_cbranch_execnz .LBB79_902
.LBB79_270:
	s_or_b64 exec, exec, s[8:9]
	s_and_saveexec_b64 s[8:9], s[64:65]
	s_xor_b64 s[8:9], exec, s[8:9]
	s_cbranch_execz .LBB79_903
.LBB79_271:
	global_load_ubyte v3, v[1:2], off
	s_or_b64 s[0:1], s[0:1], exec
	s_waitcnt vmcnt(0)
	v_cmp_ne_u16_e32 vcc, 0, v3
	v_cndmask_b32_e64 v3, 0, 1, vcc
	s_or_b64 exec, exec, s[8:9]
	s_and_saveexec_b64 s[8:9], s[10:11]
	s_cbranch_execz .LBB79_949
	s_branch .LBB79_904
.LBB79_272:
                                        ; implicit-def: $vgpr0
                                        ; implicit-def: $vgpr2
	s_andn2_b64 vcc, exec, s[0:1]
	s_cbranch_vccz .LBB79_279
	s_branch .LBB79_281
.LBB79_273:
	v_mov_b32_e32 v0, 0
	v_mov_b32_e32 v2, 0
	s_branch .LBB79_278
.LBB79_274:
	s_mov_b32 s44, 0
	v_mov_b32_e32 v0, 0
	v_mov_b32_e32 v2, 0
	;; [unrolled: 1-line block ×3, first 2 shown]
.LBB79_275:
	s_and_b32 s8, s68, 3
	s_cmp_eq_u32 s8, 0
	s_cbranch_scc1 .LBB79_278
; %bb.276:
	s_lshl_b32 s0, s44, 3
	s_add_u32 s0, s34, s0
	s_addc_u32 s1, s35, 0
	s_add_u32 s0, s0, 0xc4
	s_addc_u32 s1, s1, 0
	s_mul_i32 s2, s44, 12
	s_add_u32 s2, s34, s2
	s_addc_u32 s3, s35, 0
.LBB79_277:                             ; =>This Inner Loop Header: Depth=1
	s_load_dwordx2 s[10:11], s[2:3], 0x4
	s_load_dword s9, s[2:3], 0xc
	s_load_dwordx2 s[12:13], s[0:1], 0x0
	s_add_u32 s2, s2, 12
	s_addc_u32 s3, s3, 0
	s_waitcnt vmcnt(0) lgkmcnt(0)
	v_mul_hi_u32 v3, s11, v1
	s_add_u32 s0, s0, 8
	s_addc_u32 s1, s1, 0
	s_add_i32 s8, s8, -1
	v_add_u32_e32 v3, v1, v3
	v_lshrrev_b32_e32 v4, s9, v3
	v_mul_lo_u32 v3, v4, s10
	s_cmp_lg_u32 s8, 0
	v_sub_u32_e32 v3, v1, v3
	v_mad_u64_u32 v[0:1], s[10:11], v3, s12, v[0:1]
	v_mad_u64_u32 v[2:3], s[10:11], v3, s13, v[2:3]
	v_mov_b32_e32 v1, v4
	s_cbranch_scc1 .LBB79_277
.LBB79_278:
	s_cbranch_execnz .LBB79_281
.LBB79_279:
	v_mul_hi_u32 v0, s29, v8
	s_andn2_b64 vcc, exec, s[50:51]
	v_add_u32_e32 v0, v8, v0
	v_lshrrev_b32_e32 v1, s30, v0
	v_mul_lo_u32 v0, v1, s28
	v_sub_u32_e32 v2, v8, v0
	v_mul_lo_u32 v0, v2, s36
	v_mul_lo_u32 v2, v2, s37
	s_cbranch_vccnz .LBB79_281
; %bb.280:
	s_waitcnt vmcnt(0)
	v_mul_hi_u32 v3, s48, v1
	v_add_u32_e32 v3, v1, v3
	v_lshrrev_b32_e32 v3, s49, v3
	v_mul_lo_u32 v3, v3, s31
	v_sub_u32_e32 v3, v1, v3
	v_mad_u64_u32 v[0:1], s[0:1], v3, s38, v[0:1]
	v_mad_u64_u32 v[2:3], s[0:1], v3, s39, v[2:3]
.LBB79_281:
	s_waitcnt vmcnt(0)
	v_mov_b32_e32 v3, s27
	s_and_b32 s10, 0xffff, s78
	v_add_co_u32_e32 v1, vcc, s26, v2
	s_cmp_lt_i32 s10, 11
	v_addc_co_u32_e32 v2, vcc, 0, v3, vcc
	s_cbranch_scc1 .LBB79_288
; %bb.282:
	s_cmp_gt_i32 s10, 25
	s_cbranch_scc0 .LBB79_297
; %bb.283:
	s_cmp_gt_i32 s10, 28
	s_cbranch_scc0 .LBB79_299
	;; [unrolled: 3-line block ×4, first 2 shown]
; %bb.286:
	s_cmp_eq_u32 s10, 46
	s_mov_b64 s[8:9], 0
	s_cbranch_scc0 .LBB79_309
; %bb.287:
	global_load_dword v3, v[1:2], off
	s_mov_b64 s[0:1], -1
	s_mov_b64 s[2:3], 0
	s_waitcnt vmcnt(0)
	v_lshlrev_b32_e32 v3, 16, v3
	v_cvt_i32_f32_e32 v3, v3
	s_branch .LBB79_310
.LBB79_288:
	s_mov_b64 s[0:1], 0
                                        ; implicit-def: $vgpr3
	s_mov_b64 s[2:3], s[58:59]
	s_cbranch_execnz .LBB79_483
.LBB79_289:
	s_andn2_b64 vcc, exec, s[0:1]
	s_cbranch_vccnz .LBB79_531
.LBB79_290:
	s_waitcnt vmcnt(0)
	v_cmp_ne_u16_e32 vcc, s45, v3
	s_xor_b64 s[8:9], s[46:47], vcc
	v_mov_b32_e32 v1, s25
	s_and_b32 s16, s77, 0xff
	v_add_co_u32_e32 v0, vcc, s24, v0
	s_cmp_lt_i32 s16, 11
	v_addc_co_u32_e32 v1, vcc, 0, v1, vcc
	s_cbranch_scc1 .LBB79_298
; %bb.291:
	s_and_b32 s17, 0xffff, s16
	s_cmp_gt_i32 s17, 25
	s_cbranch_scc0 .LBB79_300
; %bb.292:
	s_cmp_gt_i32 s17, 28
	s_cbranch_scc0 .LBB79_302
; %bb.293:
	;; [unrolled: 3-line block ×4, first 2 shown]
	s_mov_b64 s[12:13], 0
	s_mov_b64 s[0:1], -1
	s_cmp_eq_u32 s17, 46
	s_mov_b64 s[10:11], 0
	s_cbranch_scc0 .LBB79_314
; %bb.296:
	v_cndmask_b32_e64 v2, 0, 1.0, s[8:9]
	v_bfe_u32 v3, v2, 16, 1
	s_movk_i32 s0, 0x7fff
	v_add3_u32 v2, v2, v3, s0
	v_lshrrev_b32_e32 v2, 16, v2
	global_store_dword v[0:1], v2, off
	s_mov_b64 s[10:11], -1
	s_mov_b64 s[0:1], 0
	s_branch .LBB79_314
.LBB79_297:
	s_mov_b64 s[8:9], -1
	s_mov_b64 s[0:1], 0
	s_mov_b64 s[2:3], s[58:59]
                                        ; implicit-def: $vgpr3
	s_branch .LBB79_449
.LBB79_298:
	s_mov_b64 s[12:13], -1
	s_mov_b64 s[10:11], 0
	s_mov_b64 s[0:1], s[56:57]
	s_branch .LBB79_383
.LBB79_299:
	s_mov_b64 s[8:9], -1
	s_mov_b64 s[0:1], 0
	s_mov_b64 s[2:3], s[58:59]
                                        ; implicit-def: $vgpr3
	s_branch .LBB79_432
.LBB79_300:
	s_mov_b64 s[12:13], -1
	s_mov_b64 s[10:11], 0
	s_mov_b64 s[0:1], s[56:57]
	s_branch .LBB79_341
.LBB79_301:
	s_mov_b64 s[8:9], -1
	s_mov_b64 s[0:1], 0
	s_mov_b64 s[2:3], s[58:59]
                                        ; implicit-def: $vgpr3
	s_branch .LBB79_427
.LBB79_302:
	s_mov_b64 s[12:13], -1
	s_mov_b64 s[10:11], 0
	s_mov_b64 s[0:1], s[56:57]
	s_branch .LBB79_324
.LBB79_303:
	s_andn2_saveexec_b64 s[14:15], s[14:15]
	s_cbranch_execz .LBB79_68
.LBB79_304:
	v_add_f32_e32 v2, 0x46000000, v3
	v_and_b32_e32 v2, 0xff, v2
	v_cmp_ne_u32_e32 vcc, 0, v2
	s_andn2_b64 s[12:13], s[12:13], exec
	s_and_b64 s[18:19], vcc, exec
	s_or_b64 s[12:13], s[12:13], s[18:19]
	s_or_b64 exec, exec, s[14:15]
	v_mov_b32_e32 v4, 0
	s_and_saveexec_b64 s[14:15], s[12:13]
	s_cbranch_execnz .LBB79_69
	s_branch .LBB79_70
.LBB79_305:
	s_mov_b64 s[8:9], -1
	s_mov_b64 s[0:1], 0
	s_mov_b64 s[2:3], s[58:59]
                                        ; implicit-def: $vgpr3
	s_branch .LBB79_310
.LBB79_306:
	s_mov_b64 s[12:13], -1
	s_mov_b64 s[10:11], 0
	s_mov_b64 s[0:1], s[56:57]
	s_branch .LBB79_320
.LBB79_307:
	s_andn2_saveexec_b64 s[14:15], s[14:15]
	s_cbranch_execz .LBB79_81
.LBB79_308:
	v_add_f32_e32 v2, 0x42800000, v3
	v_and_b32_e32 v2, 0xff, v2
	v_cmp_ne_u32_e32 vcc, 0, v2
	s_andn2_b64 s[12:13], s[12:13], exec
	s_and_b64 s[18:19], vcc, exec
	s_or_b64 s[12:13], s[12:13], s[18:19]
	s_or_b64 exec, exec, s[14:15]
	v_mov_b32_e32 v4, 0
	s_and_saveexec_b64 s[14:15], s[12:13]
	s_cbranch_execnz .LBB79_82
	s_branch .LBB79_83
.LBB79_309:
	s_mov_b64 s[2:3], -1
                                        ; implicit-def: $vgpr3
	s_mov_b64 s[0:1], 0
.LBB79_310:
	s_and_b64 vcc, exec, s[8:9]
	s_cbranch_vccz .LBB79_426
; %bb.311:
	s_cmp_eq_u32 s10, 44
	s_cbranch_scc0 .LBB79_425
; %bb.312:
	global_load_ubyte v3, v[1:2], off
	s_mov_b64 s[0:1], -1
	s_mov_b64 s[2:3], 0
	s_waitcnt vmcnt(0)
	v_lshlrev_b32_e32 v4, 23, v3
	v_cvt_i32_f32_e32 v4, v4
	v_cmp_ne_u32_e32 vcc, 0, v3
	v_cndmask_b32_e32 v3, 0, v4, vcc
	s_branch .LBB79_426
.LBB79_313:
	s_mov_b64 s[12:13], -1
	s_mov_b64 s[10:11], 0
	s_mov_b64 s[0:1], s[56:57]
.LBB79_314:
	s_and_b64 vcc, exec, s[12:13]
	s_cbranch_vccz .LBB79_319
; %bb.315:
	s_cmp_eq_u32 s17, 44
	s_mov_b64 s[0:1], -1
	s_cbranch_scc0 .LBB79_319
; %bb.316:
	v_cndmask_b32_e64 v3, 0, 1.0, s[8:9]
	v_lshrrev_b32_e32 v2, 23, v3
	s_movk_i32 s0, 0xff
	v_cmp_ne_u32_e32 vcc, s0, v2
	v_mov_b32_e32 v4, 0xff
	s_and_saveexec_b64 s[10:11], vcc
; %bb.317:
	s_mov_b32 s0, 0x3fffff
	v_and_b32_e32 v4, 0x400000, v3
	v_and_or_b32 v3, v3, s0, v2
	v_cmp_ne_u32_e32 vcc, 0, v4
	v_cmp_ne_u32_e64 s[0:1], 0, v3
	s_and_b64 s[0:1], vcc, s[0:1]
	v_cndmask_b32_e64 v3, 0, 1, s[0:1]
	v_add_u32_e32 v4, v2, v3
; %bb.318:
	s_or_b64 exec, exec, s[10:11]
	s_mov_b64 s[10:11], -1
	s_mov_b64 s[0:1], 0
	global_store_byte v[0:1], v4, off
.LBB79_319:
	s_mov_b64 s[12:13], 0
.LBB79_320:
	s_and_b64 vcc, exec, s[12:13]
	s_cbranch_vccz .LBB79_323
; %bb.321:
	s_cmp_eq_u32 s17, 29
	s_mov_b64 s[0:1], -1
	s_cbranch_scc0 .LBB79_323
; %bb.322:
	s_mov_b32 s0, 0
	v_cndmask_b32_e64 v2, 0, 1, s[8:9]
	v_mov_b32_e32 v3, s0
	global_store_dwordx2 v[0:1], v[2:3], off
	s_mov_b64 s[10:11], -1
	s_mov_b64 s[0:1], 0
.LBB79_323:
	s_mov_b64 s[12:13], 0
.LBB79_324:
	s_and_b64 vcc, exec, s[12:13]
	s_cbranch_vccz .LBB79_340
; %bb.325:
	s_cmp_lt_i32 s17, 27
	s_mov_b64 s[10:11], -1
	s_cbranch_scc1 .LBB79_331
; %bb.326:
	s_cmp_gt_i32 s17, 27
	s_cbranch_scc0 .LBB79_328
; %bb.327:
	v_cndmask_b32_e64 v2, 0, 1, s[8:9]
	s_mov_b64 s[10:11], 0
	global_store_dword v[0:1], v2, off
.LBB79_328:
	s_andn2_b64 vcc, exec, s[10:11]
	s_cbranch_vccnz .LBB79_330
; %bb.329:
	v_cndmask_b32_e64 v2, 0, 1, s[8:9]
	global_store_short v[0:1], v2, off
.LBB79_330:
	s_mov_b64 s[10:11], 0
.LBB79_331:
	s_andn2_b64 vcc, exec, s[10:11]
	s_cbranch_vccnz .LBB79_339
; %bb.332:
	v_cndmask_b32_e64 v3, 0, 1.0, s[8:9]
	s_mov_b32 s10, 0x43800000
	v_cmp_gt_u32_e32 vcc, s10, v3
	v_mov_b32_e32 v4, 0x80
	s_and_saveexec_b64 s[10:11], vcc
	s_cbranch_execz .LBB79_338
; %bb.333:
	s_mov_b32 s12, 0x3bffffff
	v_cmp_lt_u32_e32 vcc, s12, v3
	s_mov_b64 s[12:13], 0
                                        ; implicit-def: $vgpr2
	s_and_saveexec_b64 s[14:15], vcc
	s_xor_b64 s[14:15], exec, s[14:15]
	s_cbranch_execz .LBB79_562
; %bb.334:
	v_bfe_u32 v2, v3, 20, 1
	s_mov_b32 s18, 0x487ffff
	v_add3_u32 v2, v3, v2, s18
	s_mov_b64 s[12:13], exec
	v_lshrrev_b32_e32 v2, 20, v2
                                        ; implicit-def: $vgpr3
	s_andn2_saveexec_b64 s[14:15], s[14:15]
	s_cbranch_execnz .LBB79_563
.LBB79_335:
	s_or_b64 exec, exec, s[14:15]
	v_mov_b32_e32 v4, 0
	s_and_saveexec_b64 s[14:15], s[12:13]
.LBB79_336:
	v_mov_b32_e32 v4, v2
.LBB79_337:
	s_or_b64 exec, exec, s[14:15]
.LBB79_338:
	s_or_b64 exec, exec, s[10:11]
	global_store_byte v[0:1], v4, off
.LBB79_339:
	s_mov_b64 s[10:11], -1
.LBB79_340:
	s_mov_b64 s[12:13], 0
.LBB79_341:
	s_and_b64 vcc, exec, s[12:13]
	s_cbranch_vccz .LBB79_382
; %bb.342:
	s_cmp_gt_i32 s17, 22
	s_mov_b64 s[12:13], -1
	s_cbranch_scc0 .LBB79_374
; %bb.343:
	s_cmp_lt_i32 s17, 24
	s_mov_b64 s[10:11], -1
	s_cbranch_scc1 .LBB79_363
; %bb.344:
	s_cmp_gt_i32 s17, 24
	s_cbranch_scc0 .LBB79_352
; %bb.345:
	v_cndmask_b32_e64 v3, 0, 1.0, s[8:9]
	s_mov_b32 s10, 0x47800000
	v_cmp_gt_u32_e32 vcc, s10, v3
	v_mov_b32_e32 v4, 0x80
	s_and_saveexec_b64 s[10:11], vcc
	s_cbranch_execz .LBB79_351
; %bb.346:
	s_mov_b32 s12, 0x37ffffff
	v_cmp_lt_u32_e32 vcc, s12, v3
	s_mov_b64 s[12:13], 0
                                        ; implicit-def: $vgpr2
	s_and_saveexec_b64 s[14:15], vcc
	s_xor_b64 s[14:15], exec, s[14:15]
	s_cbranch_execz .LBB79_565
; %bb.347:
	v_bfe_u32 v2, v3, 21, 1
	s_mov_b32 s18, 0x88fffff
	v_add3_u32 v2, v3, v2, s18
	s_mov_b64 s[12:13], exec
	v_lshrrev_b32_e32 v2, 21, v2
                                        ; implicit-def: $vgpr3
	s_andn2_saveexec_b64 s[14:15], s[14:15]
	s_cbranch_execnz .LBB79_566
.LBB79_348:
	s_or_b64 exec, exec, s[14:15]
	v_mov_b32_e32 v4, 0
	s_and_saveexec_b64 s[14:15], s[12:13]
.LBB79_349:
	v_mov_b32_e32 v4, v2
.LBB79_350:
	s_or_b64 exec, exec, s[14:15]
.LBB79_351:
	s_or_b64 exec, exec, s[10:11]
	s_mov_b64 s[10:11], 0
	global_store_byte v[0:1], v4, off
.LBB79_352:
	s_and_b64 vcc, exec, s[10:11]
	s_cbranch_vccz .LBB79_362
; %bb.353:
	v_cndmask_b32_e64 v2, 0, 1.0, s[8:9]
	s_mov_b32 s10, 0x43f00000
	v_cmp_gt_u32_e32 vcc, s10, v2
                                        ; implicit-def: $vgpr3
	s_and_saveexec_b64 s[10:11], vcc
	s_xor_b64 s[10:11], exec, s[10:11]
	s_cbranch_execz .LBB79_359
; %bb.354:
	s_mov_b32 s12, 0x3c7fffff
	v_cmp_lt_u32_e32 vcc, s12, v2
                                        ; implicit-def: $vgpr3
	s_and_saveexec_b64 s[12:13], vcc
	s_xor_b64 s[12:13], exec, s[12:13]
; %bb.355:
	v_bfe_u32 v3, v2, 20, 1
	s_mov_b32 s14, 0x407ffff
	v_add3_u32 v2, v2, v3, s14
	v_lshrrev_b32_e32 v3, 20, v2
	v_and_b32_e32 v2, 0xff00000, v2
	s_mov_b32 s14, 0x7f00000
	v_mov_b32_e32 v4, 0x7e
	v_cmp_ne_u32_e32 vcc, s14, v2
	v_cndmask_b32_e32 v3, v4, v3, vcc
                                        ; implicit-def: $vgpr2
; %bb.356:
	s_andn2_saveexec_b64 s[12:13], s[12:13]
; %bb.357:
	v_add_f32_e32 v3, 0x46800000, v2
; %bb.358:
	s_or_b64 exec, exec, s[12:13]
                                        ; implicit-def: $vgpr2
.LBB79_359:
	s_andn2_saveexec_b64 s[10:11], s[10:11]
; %bb.360:
	s_mov_b32 s12, 0x7f800000
	v_mov_b32_e32 v3, 0x7e
	v_mov_b32_e32 v4, 0x7f
	v_cmp_lt_u32_e32 vcc, s12, v2
	v_cndmask_b32_e32 v3, v3, v4, vcc
; %bb.361:
	s_or_b64 exec, exec, s[10:11]
	global_store_byte v[0:1], v3, off
.LBB79_362:
	s_mov_b64 s[10:11], 0
.LBB79_363:
	s_andn2_b64 vcc, exec, s[10:11]
	s_cbranch_vccnz .LBB79_373
; %bb.364:
	v_cndmask_b32_e64 v2, 0, 1.0, s[8:9]
	s_mov_b32 s10, 0x47800000
	v_cmp_gt_u32_e32 vcc, s10, v2
                                        ; implicit-def: $vgpr3
	s_and_saveexec_b64 s[10:11], vcc
	s_xor_b64 s[10:11], exec, s[10:11]
	s_cbranch_execz .LBB79_370
; %bb.365:
	s_mov_b32 s12, 0x387fffff
	v_cmp_lt_u32_e32 vcc, s12, v2
                                        ; implicit-def: $vgpr3
	s_and_saveexec_b64 s[12:13], vcc
	s_xor_b64 s[12:13], exec, s[12:13]
; %bb.366:
	v_bfe_u32 v3, v2, 21, 1
	s_mov_b32 s14, 0x80fffff
	v_add3_u32 v2, v2, v3, s14
	v_lshrrev_b32_e32 v3, 21, v2
                                        ; implicit-def: $vgpr2
; %bb.367:
	s_andn2_saveexec_b64 s[12:13], s[12:13]
; %bb.368:
	v_add_f32_e32 v3, 0x43000000, v2
; %bb.369:
	s_or_b64 exec, exec, s[12:13]
                                        ; implicit-def: $vgpr2
.LBB79_370:
	s_andn2_saveexec_b64 s[10:11], s[10:11]
; %bb.371:
	s_mov_b32 s12, 0x7f800000
	v_mov_b32_e32 v3, 0x7c
	v_mov_b32_e32 v4, 0x7f
	v_cmp_lt_u32_e32 vcc, s12, v2
	v_cndmask_b32_e32 v3, v3, v4, vcc
; %bb.372:
	s_or_b64 exec, exec, s[10:11]
	global_store_byte v[0:1], v3, off
.LBB79_373:
	s_mov_b64 s[12:13], 0
	s_mov_b64 s[10:11], -1
.LBB79_374:
	s_andn2_b64 vcc, exec, s[12:13]
	s_cbranch_vccnz .LBB79_382
; %bb.375:
	s_cmp_gt_i32 s17, 14
	s_mov_b64 s[12:13], -1
	s_cbranch_scc0 .LBB79_379
; %bb.376:
	s_cmp_eq_u32 s17, 15
	s_mov_b64 s[0:1], -1
	s_cbranch_scc0 .LBB79_378
; %bb.377:
	v_cndmask_b32_e64 v2, 0, 1.0, s[8:9]
	v_bfe_u32 v3, v2, 16, 1
	s_movk_i32 s0, 0x7fff
	v_add3_u32 v2, v2, v3, s0
	global_store_short_d16_hi v[0:1], v2, off
	s_mov_b64 s[10:11], -1
	s_mov_b64 s[0:1], 0
.LBB79_378:
	s_mov_b64 s[12:13], 0
.LBB79_379:
	s_and_b64 vcc, exec, s[12:13]
	s_cbranch_vccz .LBB79_382
; %bb.380:
	s_cmp_eq_u32 s17, 11
	s_mov_b64 s[0:1], -1
	s_cbranch_scc0 .LBB79_382
; %bb.381:
	v_cndmask_b32_e64 v2, 0, 1, s[8:9]
	s_mov_b64 s[10:11], -1
	s_mov_b64 s[0:1], 0
	global_store_byte v[0:1], v2, off
.LBB79_382:
	s_mov_b64 s[12:13], 0
.LBB79_383:
	s_and_b64 vcc, exec, s[12:13]
	s_cbranch_vccz .LBB79_422
; %bb.384:
	s_and_b32 s12, 0xffff, s16
	s_cmp_lt_i32 s12, 5
	s_mov_b64 s[10:11], -1
	s_cbranch_scc1 .LBB79_405
; %bb.385:
	s_cmp_lt_i32 s12, 8
	s_cbranch_scc1 .LBB79_395
; %bb.386:
	s_cmp_lt_i32 s12, 9
	s_cbranch_scc1 .LBB79_392
; %bb.387:
	s_cmp_gt_i32 s12, 9
	s_cbranch_scc0 .LBB79_389
; %bb.388:
	v_cndmask_b32_e64 v2, 0, 1, s[8:9]
	v_cvt_f64_u32_e32 v[2:3], v2
	v_mov_b32_e32 v4, 0
	v_mov_b32_e32 v5, v4
	s_mov_b64 s[10:11], 0
	global_store_dwordx4 v[0:1], v[2:5], off
.LBB79_389:
	s_andn2_b64 vcc, exec, s[10:11]
	s_cbranch_vccnz .LBB79_391
; %bb.390:
	v_cndmask_b32_e64 v2, 0, 1.0, s[8:9]
	v_mov_b32_e32 v3, 0
	global_store_dwordx2 v[0:1], v[2:3], off
.LBB79_391:
	s_mov_b64 s[10:11], 0
.LBB79_392:
	s_andn2_b64 vcc, exec, s[10:11]
	s_cbranch_vccnz .LBB79_394
; %bb.393:
	v_cndmask_b32_e64 v2, 0, 1.0, s[8:9]
	v_cvt_f16_f32_e32 v2, v2
	global_store_dword v[0:1], v2, off
.LBB79_394:
	s_mov_b64 s[10:11], 0
.LBB79_395:
	s_andn2_b64 vcc, exec, s[10:11]
	s_cbranch_vccnz .LBB79_404
; %bb.396:
	s_cmp_lt_i32 s12, 6
	s_mov_b64 s[10:11], -1
	s_cbranch_scc1 .LBB79_402
; %bb.397:
	s_cmp_gt_i32 s12, 6
	s_cbranch_scc0 .LBB79_399
; %bb.398:
	v_cndmask_b32_e64 v2, 0, 1, s[8:9]
	v_cvt_f64_u32_e32 v[2:3], v2
	s_mov_b64 s[10:11], 0
	global_store_dwordx2 v[0:1], v[2:3], off
.LBB79_399:
	s_andn2_b64 vcc, exec, s[10:11]
	s_cbranch_vccnz .LBB79_401
; %bb.400:
	v_cndmask_b32_e64 v2, 0, 1.0, s[8:9]
	global_store_dword v[0:1], v2, off
.LBB79_401:
	s_mov_b64 s[10:11], 0
.LBB79_402:
	s_andn2_b64 vcc, exec, s[10:11]
	s_cbranch_vccnz .LBB79_404
; %bb.403:
	v_cndmask_b32_e64 v2, 0, 1.0, s[8:9]
	v_cvt_f16_f32_e32 v2, v2
	global_store_short v[0:1], v2, off
.LBB79_404:
	s_mov_b64 s[10:11], 0
.LBB79_405:
	s_andn2_b64 vcc, exec, s[10:11]
	s_cbranch_vccnz .LBB79_421
; %bb.406:
	s_cmp_lt_i32 s12, 2
	s_mov_b64 s[10:11], -1
	s_cbranch_scc1 .LBB79_416
; %bb.407:
	s_cmp_lt_i32 s12, 3
	s_cbranch_scc1 .LBB79_413
; %bb.408:
	s_cmp_gt_i32 s12, 3
	s_cbranch_scc0 .LBB79_410
; %bb.409:
	s_mov_b32 s10, 0
	v_cndmask_b32_e64 v2, 0, 1, s[8:9]
	v_mov_b32_e32 v3, s10
	s_mov_b64 s[10:11], 0
	global_store_dwordx2 v[0:1], v[2:3], off
.LBB79_410:
	s_andn2_b64 vcc, exec, s[10:11]
	s_cbranch_vccnz .LBB79_412
; %bb.411:
	v_cndmask_b32_e64 v2, 0, 1, s[8:9]
	global_store_dword v[0:1], v2, off
.LBB79_412:
	s_mov_b64 s[10:11], 0
.LBB79_413:
	s_andn2_b64 vcc, exec, s[10:11]
	s_cbranch_vccnz .LBB79_415
; %bb.414:
	v_cndmask_b32_e64 v2, 0, 1, s[8:9]
	global_store_short v[0:1], v2, off
.LBB79_415:
	s_mov_b64 s[10:11], 0
.LBB79_416:
	s_andn2_b64 vcc, exec, s[10:11]
	s_cbranch_vccnz .LBB79_421
; %bb.417:
	s_mov_b64 s[10:11], -1
	s_cmp_gt_i32 s12, 0
	v_cndmask_b32_e64 v2, 0, 1, s[8:9]
	s_cbranch_scc0 .LBB79_419
; %bb.418:
	s_mov_b64 s[10:11], 0
	global_store_byte v[0:1], v2, off
.LBB79_419:
	s_andn2_b64 vcc, exec, s[10:11]
	s_cbranch_vccnz .LBB79_421
; %bb.420:
	global_store_byte v[0:1], v2, off
.LBB79_421:
	s_mov_b64 s[10:11], -1
.LBB79_422:
	s_andn2_b64 vcc, exec, s[10:11]
	s_cbranch_vccnz .LBB79_424
; %bb.423:
	v_add_u32_e32 v8, 0x80, v8
	s_mov_b64 s[8:9], -1
	s_branch .LBB79_533
.LBB79_424:
	s_mov_b64 s[8:9], 0
	s_branch .LBB79_532
.LBB79_425:
	s_mov_b64 s[2:3], -1
                                        ; implicit-def: $vgpr3
.LBB79_426:
	s_mov_b64 s[8:9], 0
.LBB79_427:
	s_and_b64 vcc, exec, s[8:9]
	s_cbranch_vccz .LBB79_431
; %bb.428:
	s_cmp_eq_u32 s10, 29
	s_cbranch_scc0 .LBB79_430
; %bb.429:
	global_load_dwordx2 v[3:4], v[1:2], off
	s_mov_b64 s[0:1], -1
	s_mov_b64 s[2:3], 0
	s_branch .LBB79_431
.LBB79_430:
	s_mov_b64 s[2:3], -1
                                        ; implicit-def: $vgpr3
.LBB79_431:
	s_mov_b64 s[8:9], 0
.LBB79_432:
	s_and_b64 vcc, exec, s[8:9]
	s_cbranch_vccz .LBB79_448
; %bb.433:
	s_cmp_lt_i32 s10, 27
	s_cbranch_scc1 .LBB79_436
; %bb.434:
	s_cmp_gt_i32 s10, 27
	s_cbranch_scc0 .LBB79_437
; %bb.435:
	global_load_dword v3, v[1:2], off
	s_mov_b64 s[0:1], 0
	s_branch .LBB79_438
.LBB79_436:
	s_mov_b64 s[0:1], -1
                                        ; implicit-def: $vgpr3
	s_branch .LBB79_441
.LBB79_437:
	s_mov_b64 s[0:1], -1
                                        ; implicit-def: $vgpr3
.LBB79_438:
	s_andn2_b64 vcc, exec, s[0:1]
	s_cbranch_vccnz .LBB79_440
; %bb.439:
	global_load_ushort v3, v[1:2], off
.LBB79_440:
	s_mov_b64 s[0:1], 0
.LBB79_441:
	s_andn2_b64 vcc, exec, s[0:1]
	s_cbranch_vccnz .LBB79_447
; %bb.442:
	global_load_ubyte v4, v[1:2], off
	s_movk_i32 s0, 0x7f
	s_mov_b64 s[8:9], 0
	s_waitcnt vmcnt(0)
	v_cmp_lt_i16_e32 vcc, s0, v4
	s_and_saveexec_b64 s[0:1], vcc
	s_xor_b64 s[0:1], exec, s[0:1]
	s_cbranch_execz .LBB79_459
; %bb.443:
	s_movk_i32 s8, 0x80
	v_cmp_ne_u16_e32 vcc, s8, v4
	s_and_b64 s[8:9], vcc, exec
	s_andn2_saveexec_b64 s[0:1], s[0:1]
	s_cbranch_execnz .LBB79_460
.LBB79_444:
	s_or_b64 exec, exec, s[0:1]
	v_mov_b32_e32 v3, 0
	s_and_saveexec_b64 s[0:1], s[8:9]
	s_cbranch_execz .LBB79_446
.LBB79_445:
	v_lshlrev_b32_e32 v3, 24, v4
	v_and_b32_e32 v4, 0xffff, v4
	v_and_b32_e32 v5, 7, v4
	v_ffbh_u32_e32 v7, v5
	v_min_u32_e32 v7, 32, v7
	v_subrev_u32_e32 v9, 28, v7
	v_bfe_u32 v6, v4, 3, 4
	v_lshlrev_b32_e32 v4, v9, v4
	v_sub_u32_e32 v7, 29, v7
	v_and_b32_e32 v4, 7, v4
	v_cmp_eq_u32_e32 vcc, 0, v6
	v_cndmask_b32_e32 v6, v6, v7, vcc
	v_cndmask_b32_e32 v4, v5, v4, vcc
	v_mov_b32_e32 v5, 0x3b800000
	v_lshlrev_b32_e32 v4, 20, v4
	v_and_b32_e32 v3, 0x80000000, v3
	v_lshl_add_u32 v5, v6, 23, v5
	v_or3_b32 v3, v3, v5, v4
	v_cvt_i32_f32_e32 v3, v3
.LBB79_446:
	s_or_b64 exec, exec, s[0:1]
.LBB79_447:
	s_mov_b64 s[0:1], -1
.LBB79_448:
	s_mov_b64 s[8:9], 0
.LBB79_449:
	s_and_b64 vcc, exec, s[8:9]
	s_cbranch_vccz .LBB79_482
; %bb.450:
	s_cmp_gt_i32 s10, 22
	s_cbranch_scc0 .LBB79_458
; %bb.451:
	s_cmp_lt_i32 s10, 24
	s_cbranch_scc1 .LBB79_461
; %bb.452:
	s_cmp_gt_i32 s10, 24
	s_cbranch_scc0 .LBB79_462
; %bb.453:
	global_load_ubyte v4, v[1:2], off
	s_movk_i32 s0, 0x7f
	s_mov_b64 s[8:9], 0
	s_waitcnt vmcnt(0)
	v_cmp_lt_i16_e32 vcc, s0, v4
	s_and_saveexec_b64 s[0:1], vcc
	s_xor_b64 s[0:1], exec, s[0:1]
	s_cbranch_execz .LBB79_474
; %bb.454:
	s_movk_i32 s8, 0x80
	v_cmp_ne_u16_e32 vcc, s8, v4
	s_and_b64 s[8:9], vcc, exec
	s_andn2_saveexec_b64 s[0:1], s[0:1]
	s_cbranch_execnz .LBB79_475
.LBB79_455:
	s_or_b64 exec, exec, s[0:1]
	v_mov_b32_e32 v3, 0
	s_and_saveexec_b64 s[0:1], s[8:9]
	s_cbranch_execz .LBB79_457
.LBB79_456:
	v_lshlrev_b32_e32 v3, 24, v4
	v_and_b32_e32 v4, 0xffff, v4
	v_and_b32_e32 v5, 3, v4
	v_ffbh_u32_e32 v7, v5
	v_min_u32_e32 v7, 32, v7
	v_subrev_u32_e32 v9, 29, v7
	v_bfe_u32 v6, v4, 2, 5
	v_lshlrev_b32_e32 v4, v9, v4
	v_sub_u32_e32 v7, 30, v7
	v_and_b32_e32 v4, 3, v4
	v_cmp_eq_u32_e32 vcc, 0, v6
	v_cndmask_b32_e32 v6, v6, v7, vcc
	v_cndmask_b32_e32 v4, v5, v4, vcc
	v_mov_b32_e32 v5, 0x37800000
	v_lshlrev_b32_e32 v4, 21, v4
	v_and_b32_e32 v3, 0x80000000, v3
	v_lshl_add_u32 v5, v6, 23, v5
	v_or3_b32 v3, v3, v5, v4
	v_cvt_i32_f32_e32 v3, v3
.LBB79_457:
	s_or_b64 exec, exec, s[0:1]
	s_mov_b64 s[0:1], 0
	s_branch .LBB79_463
.LBB79_458:
	s_mov_b64 s[8:9], -1
                                        ; implicit-def: $vgpr3
	s_branch .LBB79_469
.LBB79_459:
	s_andn2_saveexec_b64 s[0:1], s[0:1]
	s_cbranch_execz .LBB79_444
.LBB79_460:
	v_cmp_ne_u16_e32 vcc, 0, v4
	s_andn2_b64 s[8:9], s[8:9], exec
	s_and_b64 s[12:13], vcc, exec
	s_or_b64 s[8:9], s[8:9], s[12:13]
	s_or_b64 exec, exec, s[0:1]
	v_mov_b32_e32 v3, 0
	s_and_saveexec_b64 s[0:1], s[8:9]
	s_cbranch_execnz .LBB79_445
	s_branch .LBB79_446
.LBB79_461:
	s_mov_b64 s[0:1], -1
                                        ; implicit-def: $vgpr3
	s_branch .LBB79_466
.LBB79_462:
	s_mov_b64 s[0:1], -1
                                        ; implicit-def: $vgpr3
.LBB79_463:
	s_and_b64 vcc, exec, s[0:1]
	s_cbranch_vccz .LBB79_465
; %bb.464:
	global_load_ubyte v3, v[1:2], off
	s_mov_b32 s0, 0x7f800000
	s_waitcnt vmcnt(0)
	v_lshlrev_b32_e32 v3, 24, v3
	v_and_b32_e32 v4, 0x7f000000, v3
	v_ffbh_u32_e32 v5, v4
	v_min_u32_e32 v5, 32, v5
	v_sub_u32_e64 v5, v5, 4 clamp
	v_lshlrev_b32_e32 v7, v5, v4
	v_lshlrev_b32_e32 v5, 23, v5
	v_lshrrev_b32_e32 v7, 4, v7
	v_add_u32_e32 v6, 0x1000000, v4
	v_sub_u32_e32 v5, v7, v5
	v_ashrrev_i32_e32 v6, 8, v6
	v_add_u32_e32 v5, 0x3c000000, v5
	v_and_or_b32 v5, v6, s0, v5
	v_cmp_ne_u32_e32 vcc, 0, v4
	v_cndmask_b32_e32 v4, 0, v5, vcc
	s_brev_b32 s0, 1
	v_and_or_b32 v3, v3, s0, v4
	v_cvt_i32_f32_e32 v3, v3
.LBB79_465:
	s_mov_b64 s[0:1], 0
.LBB79_466:
	s_andn2_b64 vcc, exec, s[0:1]
	s_cbranch_vccnz .LBB79_468
; %bb.467:
	global_load_ubyte v3, v[1:2], off
	s_movk_i32 s0, 0x7f00
	s_brev_b32 s1, 16
	s_waitcnt vmcnt(0)
	v_lshlrev_b16_e32 v4, 8, v3
	v_lshlrev_b32_e32 v3, 25, v3
	v_lshrrev_b32_e32 v5, 4, v3
	v_and_or_b32 v6, v4, s0, 0.5
	v_or_b32_e32 v5, 0x70000000, v5
	v_add_f32_e32 v6, -0.5, v6
	v_mul_f32_e32 v5, 0x7800000, v5
	v_cmp_gt_u32_e32 vcc, s1, v3
	v_bfe_i32 v4, v4, 0, 16
	v_cndmask_b32_e32 v3, v5, v6, vcc
	s_brev_b32 s0, 1
	v_and_or_b32 v3, v4, s0, v3
	v_cvt_i32_f32_e32 v3, v3
.LBB79_468:
	s_mov_b64 s[8:9], 0
	s_mov_b64 s[0:1], -1
.LBB79_469:
	s_andn2_b64 vcc, exec, s[8:9]
	s_cbranch_vccnz .LBB79_482
; %bb.470:
	s_cmp_gt_i32 s10, 14
	s_cbranch_scc0 .LBB79_473
; %bb.471:
	s_cmp_eq_u32 s10, 15
	s_cbranch_scc0 .LBB79_476
; %bb.472:
	global_load_ushort v3, v[1:2], off
	s_mov_b64 s[0:1], -1
	s_mov_b64 s[2:3], 0
	s_waitcnt vmcnt(0)
	v_lshlrev_b32_e32 v3, 16, v3
	v_cvt_i32_f32_e32 v3, v3
	s_branch .LBB79_477
.LBB79_473:
	s_mov_b64 s[8:9], -1
                                        ; implicit-def: $vgpr3
	s_branch .LBB79_478
.LBB79_474:
	s_andn2_saveexec_b64 s[0:1], s[0:1]
	s_cbranch_execz .LBB79_455
.LBB79_475:
	v_cmp_ne_u16_e32 vcc, 0, v4
	s_andn2_b64 s[8:9], s[8:9], exec
	s_and_b64 s[12:13], vcc, exec
	s_or_b64 s[8:9], s[8:9], s[12:13]
	s_or_b64 exec, exec, s[0:1]
	v_mov_b32_e32 v3, 0
	s_and_saveexec_b64 s[0:1], s[8:9]
	s_cbranch_execnz .LBB79_456
	s_branch .LBB79_457
.LBB79_476:
	s_mov_b64 s[2:3], -1
                                        ; implicit-def: $vgpr3
.LBB79_477:
	s_mov_b64 s[8:9], 0
.LBB79_478:
	s_and_b64 vcc, exec, s[8:9]
	s_cbranch_vccz .LBB79_482
; %bb.479:
	s_cmp_eq_u32 s10, 11
	s_cbranch_scc0 .LBB79_481
; %bb.480:
	global_load_ubyte v3, v[1:2], off
	s_mov_b64 s[0:1], -1
	s_mov_b64 s[2:3], 0
	s_waitcnt vmcnt(0)
	v_cmp_ne_u16_e32 vcc, 0, v3
	v_cndmask_b32_e64 v3, 0, 1, vcc
	s_branch .LBB79_482
.LBB79_481:
	s_mov_b64 s[2:3], -1
                                        ; implicit-def: $vgpr3
.LBB79_482:
	s_branch .LBB79_289
.LBB79_483:
	s_cmp_lt_i32 s10, 5
	s_cbranch_scc1 .LBB79_488
; %bb.484:
	s_cmp_lt_i32 s10, 8
	s_cbranch_scc1 .LBB79_489
; %bb.485:
	;; [unrolled: 3-line block ×3, first 2 shown]
	s_cmp_gt_i32 s10, 9
	s_cbranch_scc0 .LBB79_491
; %bb.487:
	global_load_dwordx2 v[3:4], v[1:2], off
	s_mov_b64 s[0:1], 0
	s_waitcnt vmcnt(0)
	v_cvt_i32_f64_e32 v3, v[3:4]
	s_branch .LBB79_492
.LBB79_488:
	s_mov_b64 s[0:1], -1
                                        ; implicit-def: $vgpr3
	s_branch .LBB79_510
.LBB79_489:
	s_mov_b64 s[0:1], -1
                                        ; implicit-def: $vgpr3
	s_branch .LBB79_498
.LBB79_490:
	s_mov_b64 s[0:1], -1
                                        ; implicit-def: $vgpr3
	s_branch .LBB79_495
.LBB79_491:
	s_mov_b64 s[0:1], -1
                                        ; implicit-def: $vgpr3
.LBB79_492:
	s_andn2_b64 vcc, exec, s[0:1]
	s_cbranch_vccnz .LBB79_494
; %bb.493:
	global_load_dword v3, v[1:2], off
	s_waitcnt vmcnt(0)
	v_cvt_i32_f32_e32 v3, v3
.LBB79_494:
	s_mov_b64 s[0:1], 0
.LBB79_495:
	s_andn2_b64 vcc, exec, s[0:1]
	s_cbranch_vccnz .LBB79_497
; %bb.496:
	global_load_dword v3, v[1:2], off
	s_waitcnt vmcnt(0)
	v_cvt_i16_f16_e32 v3, v3
.LBB79_497:
	s_mov_b64 s[0:1], 0
.LBB79_498:
	s_andn2_b64 vcc, exec, s[0:1]
	s_cbranch_vccnz .LBB79_509
; %bb.499:
	s_cmp_lt_i32 s10, 6
	s_cbranch_scc1 .LBB79_502
; %bb.500:
	s_cmp_gt_i32 s10, 6
	s_cbranch_scc0 .LBB79_503
; %bb.501:
	global_load_dwordx2 v[3:4], v[1:2], off
	s_mov_b64 s[0:1], 0
	s_waitcnt vmcnt(0)
	v_cvt_i32_f64_e32 v3, v[3:4]
	s_branch .LBB79_504
.LBB79_502:
	s_mov_b64 s[0:1], -1
                                        ; implicit-def: $vgpr3
	s_branch .LBB79_507
.LBB79_503:
	s_mov_b64 s[0:1], -1
                                        ; implicit-def: $vgpr3
.LBB79_504:
	s_andn2_b64 vcc, exec, s[0:1]
	s_cbranch_vccnz .LBB79_506
; %bb.505:
	global_load_dword v3, v[1:2], off
	s_waitcnt vmcnt(0)
	v_cvt_i32_f32_e32 v3, v3
.LBB79_506:
	s_mov_b64 s[0:1], 0
.LBB79_507:
	s_andn2_b64 vcc, exec, s[0:1]
	s_cbranch_vccnz .LBB79_509
; %bb.508:
	global_load_ushort v3, v[1:2], off
	s_waitcnt vmcnt(0)
	v_cvt_i16_f16_e32 v3, v3
.LBB79_509:
	s_mov_b64 s[0:1], 0
.LBB79_510:
	s_andn2_b64 vcc, exec, s[0:1]
	s_cbranch_vccnz .LBB79_530
; %bb.511:
	s_cmp_lt_i32 s10, 2
	s_cbranch_scc1 .LBB79_515
; %bb.512:
	s_cmp_lt_i32 s10, 3
	s_cbranch_scc1 .LBB79_516
; %bb.513:
	s_cmp_gt_i32 s10, 3
	s_cbranch_scc0 .LBB79_517
; %bb.514:
	global_load_dwordx2 v[3:4], v[1:2], off
	s_mov_b64 s[0:1], 0
	s_branch .LBB79_518
.LBB79_515:
	s_mov_b64 s[0:1], -1
                                        ; implicit-def: $vgpr3
	s_branch .LBB79_524
.LBB79_516:
	s_mov_b64 s[0:1], -1
                                        ; implicit-def: $vgpr3
	s_branch .LBB79_521
.LBB79_517:
	s_mov_b64 s[0:1], -1
                                        ; implicit-def: $vgpr3
.LBB79_518:
	s_andn2_b64 vcc, exec, s[0:1]
	s_cbranch_vccnz .LBB79_520
; %bb.519:
	global_load_dword v3, v[1:2], off
.LBB79_520:
	s_mov_b64 s[0:1], 0
.LBB79_521:
	s_andn2_b64 vcc, exec, s[0:1]
	s_cbranch_vccnz .LBB79_523
; %bb.522:
	global_load_ushort v3, v[1:2], off
.LBB79_523:
	s_mov_b64 s[0:1], 0
.LBB79_524:
	s_andn2_b64 vcc, exec, s[0:1]
	s_cbranch_vccnz .LBB79_530
; %bb.525:
	s_cmp_gt_i32 s10, 0
	s_cbranch_scc0 .LBB79_527
; %bb.526:
	global_load_sbyte v3, v[1:2], off
	s_mov_b64 s[0:1], 0
	s_branch .LBB79_528
.LBB79_527:
	s_mov_b64 s[0:1], -1
                                        ; implicit-def: $vgpr3
.LBB79_528:
	s_andn2_b64 vcc, exec, s[0:1]
	s_cbranch_vccnz .LBB79_530
; %bb.529:
	global_load_ubyte v3, v[1:2], off
.LBB79_530:
	s_branch .LBB79_290
.LBB79_531:
	s_mov_b64 s[8:9], 0
	s_mov_b64 s[0:1], s[56:57]
.LBB79_532:
                                        ; implicit-def: $vgpr8
.LBB79_533:
	s_andn2_b64 s[10:11], s[56:57], exec
	s_and_b64 s[0:1], s[0:1], exec
	s_or_b64 s[64:65], s[10:11], s[0:1]
	s_andn2_b64 s[0:1], s[58:59], exec
	s_and_b64 s[2:3], s[2:3], exec
	s_or_b64 s[62:63], s[0:1], s[2:3]
	s_orn2_b64 s[0:1], s[8:9], exec
.LBB79_534:
	s_or_b64 exec, exec, s[66:67]
	s_mov_b64 s[2:3], 0
	s_mov_b64 s[8:9], 0
	;; [unrolled: 1-line block ×3, first 2 shown]
                                        ; implicit-def: $vgpr1_vgpr2
                                        ; implicit-def: $vgpr0
                                        ; implicit-def: $vgpr3
	s_and_saveexec_b64 s[66:67], s[0:1]
	s_cbranch_execz .LBB79_901
; %bb.535:
	v_cmp_gt_i32_e32 vcc, s74, v8
	s_mov_b64 s[2:3], -1
	s_mov_b64 s[70:71], s[62:63]
	s_mov_b64 s[72:73], s[64:65]
	s_and_saveexec_b64 s[68:69], vcc
	s_cbranch_execz .LBB79_805
; %bb.536:
	s_andn2_b64 vcc, exec, s[40:41]
	s_cbranch_vccnz .LBB79_541
; %bb.537:
	s_andn2_b64 vcc, exec, s[54:55]
	s_cbranch_vccnz .LBB79_542
; %bb.538:
	s_add_i32 s75, s79, 1
	s_cmp_eq_u32 s76, 2
	s_cbranch_scc1 .LBB79_543
; %bb.539:
	s_and_b32 s44, s75, 28
	v_mov_b32_e32 v2, 0
	s_mov_b32 s80, 0
	s_mov_b64 s[70:71], s[34:35]
	s_mov_b64 s[72:73], s[52:53]
	v_mov_b32_e32 v0, 0
	v_mov_b32_e32 v1, v8
.LBB79_540:                             ; =>This Inner Loop Header: Depth=1
	s_load_dwordx8 s[16:23], s[70:71], 0x4
	s_load_dwordx4 s[0:3], s[70:71], 0x24
	s_load_dwordx8 s[8:15], s[72:73], 0x0
	s_add_u32 s70, s70, 48
	s_addc_u32 s71, s71, 0
	s_waitcnt vmcnt(0) lgkmcnt(0)
	v_mul_hi_u32 v3, s17, v1
	s_add_i32 s80, s80, 4
	s_add_u32 s72, s72, 32
	s_addc_u32 s73, s73, 0
	v_add_u32_e32 v3, v1, v3
	v_lshrrev_b32_e32 v3, s18, v3
	v_mul_lo_u32 v4, v3, s16
	v_mul_hi_u32 v5, s20, v3
	s_cmp_eq_u32 s44, s80
	v_sub_u32_e32 v1, v1, v4
	v_add_u32_e32 v4, v3, v5
	v_mul_lo_u32 v5, v1, s8
	v_mul_lo_u32 v6, v1, s9
	v_lshrrev_b32_e32 v1, s21, v4
	v_mul_lo_u32 v4, v1, s19
	v_mul_hi_u32 v7, s23, v1
	v_sub_u32_e32 v3, v3, v4
	v_add_u32_e32 v4, v1, v7
	v_lshrrev_b32_e32 v4, s0, v4
	v_mul_hi_u32 v9, s2, v4
	v_mul_lo_u32 v10, v4, s22
	v_mul_lo_u32 v7, v3, s10
	;; [unrolled: 1-line block ×3, first 2 shown]
	v_sub_u32_e32 v10, v1, v10
	v_add_u32_e32 v1, v4, v9
	v_lshrrev_b32_e32 v1, s3, v1
	v_mul_lo_u32 v9, v1, s1
	v_mul_lo_u32 v11, v10, s12
	;; [unrolled: 1-line block ×3, first 2 shown]
	v_add3_u32 v0, v5, v0, v7
	v_sub_u32_e32 v4, v4, v9
	v_mul_lo_u32 v9, v4, s14
	v_mul_lo_u32 v4, v4, s15
	v_add3_u32 v2, v6, v2, v3
	v_add3_u32 v0, v11, v0, v9
	;; [unrolled: 1-line block ×3, first 2 shown]
	s_cbranch_scc0 .LBB79_540
	s_branch .LBB79_544
.LBB79_541:
	s_mov_b64 s[0:1], -1
                                        ; implicit-def: $vgpr0
                                        ; implicit-def: $vgpr2
	s_branch .LBB79_548
.LBB79_542:
	v_mov_b32_e32 v0, 0
	v_mov_b32_e32 v2, 0
	s_branch .LBB79_547
.LBB79_543:
	s_mov_b32 s44, 0
	v_mov_b32_e32 v0, 0
	v_mov_b32_e32 v2, 0
	;; [unrolled: 1-line block ×3, first 2 shown]
.LBB79_544:
	s_and_b32 s8, s75, 3
	s_cmp_eq_u32 s8, 0
	s_cbranch_scc1 .LBB79_547
; %bb.545:
	s_lshl_b32 s0, s44, 3
	s_add_u32 s0, s34, s0
	s_addc_u32 s1, s35, 0
	s_add_u32 s0, s0, 0xc4
	s_addc_u32 s1, s1, 0
	s_mul_i32 s2, s44, 12
	s_add_u32 s2, s34, s2
	s_addc_u32 s3, s35, 0
.LBB79_546:                             ; =>This Inner Loop Header: Depth=1
	s_load_dwordx2 s[10:11], s[2:3], 0x4
	s_load_dword s9, s[2:3], 0xc
	s_load_dwordx2 s[12:13], s[0:1], 0x0
	s_add_u32 s2, s2, 12
	s_addc_u32 s3, s3, 0
	s_waitcnt vmcnt(0) lgkmcnt(0)
	v_mul_hi_u32 v3, s11, v1
	s_add_u32 s0, s0, 8
	s_addc_u32 s1, s1, 0
	s_add_i32 s8, s8, -1
	v_add_u32_e32 v3, v1, v3
	v_lshrrev_b32_e32 v4, s9, v3
	v_mul_lo_u32 v3, v4, s10
	s_cmp_lg_u32 s8, 0
	v_sub_u32_e32 v3, v1, v3
	v_mad_u64_u32 v[0:1], s[10:11], v3, s12, v[0:1]
	v_mad_u64_u32 v[2:3], s[10:11], v3, s13, v[2:3]
	v_mov_b32_e32 v1, v4
	s_cbranch_scc1 .LBB79_546
.LBB79_547:
	s_mov_b64 s[0:1], 0
.LBB79_548:
	s_andn2_b64 vcc, exec, s[0:1]
	s_cbranch_vccnz .LBB79_551
; %bb.549:
	v_mul_hi_u32 v0, s29, v8
	s_andn2_b64 vcc, exec, s[50:51]
	v_add_u32_e32 v0, v8, v0
	v_lshrrev_b32_e32 v1, s30, v0
	v_mul_lo_u32 v0, v1, s28
	v_sub_u32_e32 v2, v8, v0
	v_mul_lo_u32 v0, v2, s36
	v_mul_lo_u32 v2, v2, s37
	s_cbranch_vccnz .LBB79_551
; %bb.550:
	s_waitcnt vmcnt(0)
	v_mul_hi_u32 v3, s48, v1
	v_add_u32_e32 v3, v1, v3
	v_lshrrev_b32_e32 v3, s49, v3
	v_mul_lo_u32 v3, v3, s31
	v_sub_u32_e32 v3, v1, v3
	v_mad_u64_u32 v[0:1], s[0:1], v3, s38, v[0:1]
	v_mad_u64_u32 v[2:3], s[0:1], v3, s39, v[2:3]
.LBB79_551:
	s_waitcnt vmcnt(0)
	v_mov_b32_e32 v3, s27
	s_and_b32 s10, 0xffff, s78
	v_add_co_u32_e32 v1, vcc, s26, v2
	s_cmp_lt_i32 s10, 11
	v_addc_co_u32_e32 v2, vcc, 0, v3, vcc
	s_cbranch_scc1 .LBB79_558
; %bb.552:
	s_cmp_gt_i32 s10, 25
	s_cbranch_scc0 .LBB79_559
; %bb.553:
	s_cmp_gt_i32 s10, 28
	s_cbranch_scc0 .LBB79_560
	;; [unrolled: 3-line block ×4, first 2 shown]
; %bb.556:
	s_cmp_eq_u32 s10, 46
	s_mov_b64 s[8:9], 0
	s_cbranch_scc0 .LBB79_567
; %bb.557:
	global_load_dword v3, v[1:2], off
	s_mov_b64 s[0:1], -1
	s_mov_b64 s[2:3], 0
	s_waitcnt vmcnt(0)
	v_lshlrev_b32_e32 v3, 16, v3
	v_cvt_i32_f32_e32 v3, v3
	s_branch .LBB79_568
.LBB79_558:
	s_mov_b64 s[8:9], -1
	s_mov_b64 s[0:1], 0
                                        ; implicit-def: $vgpr3
	s_mov_b64 s[2:3], s[62:63]
	s_branch .LBB79_629
.LBB79_559:
	s_mov_b64 s[8:9], -1
	s_mov_b64 s[0:1], 0
	s_mov_b64 s[2:3], s[62:63]
                                        ; implicit-def: $vgpr3
	s_branch .LBB79_595
.LBB79_560:
	s_mov_b64 s[8:9], -1
	s_mov_b64 s[0:1], 0
	s_mov_b64 s[2:3], s[62:63]
                                        ; implicit-def: $vgpr3
	s_branch .LBB79_578
.LBB79_561:
	s_mov_b64 s[8:9], -1
	s_mov_b64 s[0:1], 0
	s_mov_b64 s[2:3], s[62:63]
                                        ; implicit-def: $vgpr3
	s_branch .LBB79_573
.LBB79_562:
	s_andn2_saveexec_b64 s[14:15], s[14:15]
	s_cbranch_execz .LBB79_335
.LBB79_563:
	v_add_f32_e32 v2, 0x46000000, v3
	v_and_b32_e32 v2, 0xff, v2
	v_cmp_ne_u32_e32 vcc, 0, v2
	s_andn2_b64 s[12:13], s[12:13], exec
	s_and_b64 s[18:19], vcc, exec
	s_or_b64 s[12:13], s[12:13], s[18:19]
	s_or_b64 exec, exec, s[14:15]
	v_mov_b32_e32 v4, 0
	s_and_saveexec_b64 s[14:15], s[12:13]
	s_cbranch_execnz .LBB79_336
	s_branch .LBB79_337
.LBB79_564:
	s_mov_b64 s[8:9], -1
	s_mov_b64 s[0:1], 0
	s_mov_b64 s[2:3], s[62:63]
                                        ; implicit-def: $vgpr3
	s_branch .LBB79_568
.LBB79_565:
	s_andn2_saveexec_b64 s[14:15], s[14:15]
	s_cbranch_execz .LBB79_348
.LBB79_566:
	v_add_f32_e32 v2, 0x42800000, v3
	v_and_b32_e32 v2, 0xff, v2
	v_cmp_ne_u32_e32 vcc, 0, v2
	s_andn2_b64 s[12:13], s[12:13], exec
	s_and_b64 s[18:19], vcc, exec
	s_or_b64 s[12:13], s[12:13], s[18:19]
	s_or_b64 exec, exec, s[14:15]
	v_mov_b32_e32 v4, 0
	s_and_saveexec_b64 s[14:15], s[12:13]
	s_cbranch_execnz .LBB79_349
	s_branch .LBB79_350
.LBB79_567:
	s_mov_b64 s[2:3], -1
                                        ; implicit-def: $vgpr3
	s_mov_b64 s[0:1], 0
.LBB79_568:
	s_and_b64 vcc, exec, s[8:9]
	s_cbranch_vccz .LBB79_572
; %bb.569:
	s_cmp_eq_u32 s10, 44
	s_cbranch_scc0 .LBB79_571
; %bb.570:
	global_load_ubyte v3, v[1:2], off
	s_mov_b64 s[0:1], -1
	s_mov_b64 s[2:3], 0
	s_waitcnt vmcnt(0)
	v_lshlrev_b32_e32 v4, 23, v3
	v_cvt_i32_f32_e32 v4, v4
	v_cmp_ne_u32_e32 vcc, 0, v3
	v_cndmask_b32_e32 v3, 0, v4, vcc
	s_branch .LBB79_572
.LBB79_571:
	s_mov_b64 s[2:3], -1
                                        ; implicit-def: $vgpr3
.LBB79_572:
	s_mov_b64 s[8:9], 0
.LBB79_573:
	s_and_b64 vcc, exec, s[8:9]
	s_cbranch_vccz .LBB79_577
; %bb.574:
	s_cmp_eq_u32 s10, 29
	s_cbranch_scc0 .LBB79_576
; %bb.575:
	global_load_dwordx2 v[3:4], v[1:2], off
	s_mov_b64 s[0:1], -1
	s_mov_b64 s[2:3], 0
	s_branch .LBB79_577
.LBB79_576:
	s_mov_b64 s[2:3], -1
                                        ; implicit-def: $vgpr3
.LBB79_577:
	s_mov_b64 s[8:9], 0
.LBB79_578:
	s_and_b64 vcc, exec, s[8:9]
	s_cbranch_vccz .LBB79_594
; %bb.579:
	s_cmp_lt_i32 s10, 27
	s_cbranch_scc1 .LBB79_582
; %bb.580:
	s_cmp_gt_i32 s10, 27
	s_cbranch_scc0 .LBB79_583
; %bb.581:
	global_load_dword v3, v[1:2], off
	s_mov_b64 s[0:1], 0
	s_branch .LBB79_584
.LBB79_582:
	s_mov_b64 s[0:1], -1
                                        ; implicit-def: $vgpr3
	s_branch .LBB79_587
.LBB79_583:
	s_mov_b64 s[0:1], -1
                                        ; implicit-def: $vgpr3
.LBB79_584:
	s_andn2_b64 vcc, exec, s[0:1]
	s_cbranch_vccnz .LBB79_586
; %bb.585:
	global_load_ushort v3, v[1:2], off
.LBB79_586:
	s_mov_b64 s[0:1], 0
.LBB79_587:
	s_andn2_b64 vcc, exec, s[0:1]
	s_cbranch_vccnz .LBB79_593
; %bb.588:
	global_load_ubyte v4, v[1:2], off
	s_movk_i32 s0, 0x7f
	s_mov_b64 s[8:9], 0
	s_waitcnt vmcnt(0)
	v_cmp_lt_i16_e32 vcc, s0, v4
	s_and_saveexec_b64 s[0:1], vcc
	s_xor_b64 s[0:1], exec, s[0:1]
	s_cbranch_execz .LBB79_605
; %bb.589:
	s_movk_i32 s8, 0x80
	v_cmp_ne_u16_e32 vcc, s8, v4
	s_and_b64 s[8:9], vcc, exec
	s_andn2_saveexec_b64 s[0:1], s[0:1]
	s_cbranch_execnz .LBB79_606
.LBB79_590:
	s_or_b64 exec, exec, s[0:1]
	v_mov_b32_e32 v3, 0
	s_and_saveexec_b64 s[0:1], s[8:9]
	s_cbranch_execz .LBB79_592
.LBB79_591:
	v_lshlrev_b32_e32 v3, 24, v4
	v_and_b32_e32 v4, 0xffff, v4
	v_and_b32_e32 v5, 7, v4
	v_ffbh_u32_e32 v7, v5
	v_min_u32_e32 v7, 32, v7
	v_subrev_u32_e32 v9, 28, v7
	v_bfe_u32 v6, v4, 3, 4
	v_lshlrev_b32_e32 v4, v9, v4
	v_sub_u32_e32 v7, 29, v7
	v_and_b32_e32 v4, 7, v4
	v_cmp_eq_u32_e32 vcc, 0, v6
	v_cndmask_b32_e32 v6, v6, v7, vcc
	v_cndmask_b32_e32 v4, v5, v4, vcc
	v_mov_b32_e32 v5, 0x3b800000
	v_lshlrev_b32_e32 v4, 20, v4
	v_and_b32_e32 v3, 0x80000000, v3
	v_lshl_add_u32 v5, v6, 23, v5
	v_or3_b32 v3, v3, v5, v4
	v_cvt_i32_f32_e32 v3, v3
.LBB79_592:
	s_or_b64 exec, exec, s[0:1]
.LBB79_593:
	s_mov_b64 s[0:1], -1
.LBB79_594:
	s_mov_b64 s[8:9], 0
.LBB79_595:
	s_and_b64 vcc, exec, s[8:9]
	s_cbranch_vccz .LBB79_628
; %bb.596:
	s_cmp_gt_i32 s10, 22
	s_cbranch_scc0 .LBB79_604
; %bb.597:
	s_cmp_lt_i32 s10, 24
	s_cbranch_scc1 .LBB79_607
; %bb.598:
	s_cmp_gt_i32 s10, 24
	s_cbranch_scc0 .LBB79_608
; %bb.599:
	global_load_ubyte v4, v[1:2], off
	s_movk_i32 s0, 0x7f
	s_mov_b64 s[8:9], 0
	s_waitcnt vmcnt(0)
	v_cmp_lt_i16_e32 vcc, s0, v4
	s_and_saveexec_b64 s[0:1], vcc
	s_xor_b64 s[0:1], exec, s[0:1]
	s_cbranch_execz .LBB79_620
; %bb.600:
	s_movk_i32 s8, 0x80
	v_cmp_ne_u16_e32 vcc, s8, v4
	s_and_b64 s[8:9], vcc, exec
	s_andn2_saveexec_b64 s[0:1], s[0:1]
	s_cbranch_execnz .LBB79_621
.LBB79_601:
	s_or_b64 exec, exec, s[0:1]
	v_mov_b32_e32 v3, 0
	s_and_saveexec_b64 s[0:1], s[8:9]
	s_cbranch_execz .LBB79_603
.LBB79_602:
	v_lshlrev_b32_e32 v3, 24, v4
	v_and_b32_e32 v4, 0xffff, v4
	v_and_b32_e32 v5, 3, v4
	v_ffbh_u32_e32 v7, v5
	v_min_u32_e32 v7, 32, v7
	v_subrev_u32_e32 v9, 29, v7
	v_bfe_u32 v6, v4, 2, 5
	v_lshlrev_b32_e32 v4, v9, v4
	v_sub_u32_e32 v7, 30, v7
	v_and_b32_e32 v4, 3, v4
	v_cmp_eq_u32_e32 vcc, 0, v6
	v_cndmask_b32_e32 v6, v6, v7, vcc
	v_cndmask_b32_e32 v4, v5, v4, vcc
	v_mov_b32_e32 v5, 0x37800000
	v_lshlrev_b32_e32 v4, 21, v4
	v_and_b32_e32 v3, 0x80000000, v3
	v_lshl_add_u32 v5, v6, 23, v5
	v_or3_b32 v3, v3, v5, v4
	v_cvt_i32_f32_e32 v3, v3
.LBB79_603:
	s_or_b64 exec, exec, s[0:1]
	s_mov_b64 s[0:1], 0
	s_branch .LBB79_609
.LBB79_604:
	s_mov_b64 s[8:9], -1
                                        ; implicit-def: $vgpr3
	s_branch .LBB79_615
.LBB79_605:
	s_andn2_saveexec_b64 s[0:1], s[0:1]
	s_cbranch_execz .LBB79_590
.LBB79_606:
	v_cmp_ne_u16_e32 vcc, 0, v4
	s_andn2_b64 s[8:9], s[8:9], exec
	s_and_b64 s[12:13], vcc, exec
	s_or_b64 s[8:9], s[8:9], s[12:13]
	s_or_b64 exec, exec, s[0:1]
	v_mov_b32_e32 v3, 0
	s_and_saveexec_b64 s[0:1], s[8:9]
	s_cbranch_execnz .LBB79_591
	s_branch .LBB79_592
.LBB79_607:
	s_mov_b64 s[0:1], -1
                                        ; implicit-def: $vgpr3
	s_branch .LBB79_612
.LBB79_608:
	s_mov_b64 s[0:1], -1
                                        ; implicit-def: $vgpr3
.LBB79_609:
	s_and_b64 vcc, exec, s[0:1]
	s_cbranch_vccz .LBB79_611
; %bb.610:
	global_load_ubyte v3, v[1:2], off
	s_mov_b32 s0, 0x7f800000
	s_waitcnt vmcnt(0)
	v_lshlrev_b32_e32 v3, 24, v3
	v_and_b32_e32 v4, 0x7f000000, v3
	v_ffbh_u32_e32 v5, v4
	v_min_u32_e32 v5, 32, v5
	v_sub_u32_e64 v5, v5, 4 clamp
	v_lshlrev_b32_e32 v7, v5, v4
	v_lshlrev_b32_e32 v5, 23, v5
	v_lshrrev_b32_e32 v7, 4, v7
	v_add_u32_e32 v6, 0x1000000, v4
	v_sub_u32_e32 v5, v7, v5
	v_ashrrev_i32_e32 v6, 8, v6
	v_add_u32_e32 v5, 0x3c000000, v5
	v_and_or_b32 v5, v6, s0, v5
	v_cmp_ne_u32_e32 vcc, 0, v4
	v_cndmask_b32_e32 v4, 0, v5, vcc
	s_brev_b32 s0, 1
	v_and_or_b32 v3, v3, s0, v4
	v_cvt_i32_f32_e32 v3, v3
.LBB79_611:
	s_mov_b64 s[0:1], 0
.LBB79_612:
	s_andn2_b64 vcc, exec, s[0:1]
	s_cbranch_vccnz .LBB79_614
; %bb.613:
	global_load_ubyte v3, v[1:2], off
	s_movk_i32 s0, 0x7f00
	s_brev_b32 s1, 16
	s_waitcnt vmcnt(0)
	v_lshlrev_b16_e32 v4, 8, v3
	v_lshlrev_b32_e32 v3, 25, v3
	v_lshrrev_b32_e32 v5, 4, v3
	v_and_or_b32 v6, v4, s0, 0.5
	v_or_b32_e32 v5, 0x70000000, v5
	v_add_f32_e32 v6, -0.5, v6
	v_mul_f32_e32 v5, 0x7800000, v5
	v_cmp_gt_u32_e32 vcc, s1, v3
	v_bfe_i32 v4, v4, 0, 16
	v_cndmask_b32_e32 v3, v5, v6, vcc
	s_brev_b32 s0, 1
	v_and_or_b32 v3, v4, s0, v3
	v_cvt_i32_f32_e32 v3, v3
.LBB79_614:
	s_mov_b64 s[8:9], 0
	s_mov_b64 s[0:1], -1
.LBB79_615:
	s_andn2_b64 vcc, exec, s[8:9]
	s_cbranch_vccnz .LBB79_628
; %bb.616:
	s_cmp_gt_i32 s10, 14
	s_cbranch_scc0 .LBB79_619
; %bb.617:
	s_cmp_eq_u32 s10, 15
	s_cbranch_scc0 .LBB79_622
; %bb.618:
	global_load_ushort v3, v[1:2], off
	s_mov_b64 s[0:1], -1
	s_mov_b64 s[2:3], 0
	s_waitcnt vmcnt(0)
	v_lshlrev_b32_e32 v3, 16, v3
	v_cvt_i32_f32_e32 v3, v3
	s_branch .LBB79_623
.LBB79_619:
	s_mov_b64 s[8:9], -1
                                        ; implicit-def: $vgpr3
	s_branch .LBB79_624
.LBB79_620:
	s_andn2_saveexec_b64 s[0:1], s[0:1]
	s_cbranch_execz .LBB79_601
.LBB79_621:
	v_cmp_ne_u16_e32 vcc, 0, v4
	s_andn2_b64 s[8:9], s[8:9], exec
	s_and_b64 s[12:13], vcc, exec
	s_or_b64 s[8:9], s[8:9], s[12:13]
	s_or_b64 exec, exec, s[0:1]
	v_mov_b32_e32 v3, 0
	s_and_saveexec_b64 s[0:1], s[8:9]
	s_cbranch_execnz .LBB79_602
	s_branch .LBB79_603
.LBB79_622:
	s_mov_b64 s[2:3], -1
                                        ; implicit-def: $vgpr3
.LBB79_623:
	s_mov_b64 s[8:9], 0
.LBB79_624:
	s_and_b64 vcc, exec, s[8:9]
	s_cbranch_vccz .LBB79_628
; %bb.625:
	s_cmp_eq_u32 s10, 11
	s_cbranch_scc0 .LBB79_627
; %bb.626:
	global_load_ubyte v3, v[1:2], off
	s_mov_b64 s[0:1], -1
	s_mov_b64 s[2:3], 0
	s_waitcnt vmcnt(0)
	v_cmp_ne_u16_e32 vcc, 0, v3
	v_cndmask_b32_e64 v3, 0, 1, vcc
	s_branch .LBB79_628
.LBB79_627:
	s_mov_b64 s[2:3], -1
                                        ; implicit-def: $vgpr3
.LBB79_628:
	s_mov_b64 s[8:9], 0
.LBB79_629:
	s_and_b64 vcc, exec, s[8:9]
	s_cbranch_vccz .LBB79_678
; %bb.630:
	s_cmp_lt_i32 s10, 5
	s_cbranch_scc1 .LBB79_635
; %bb.631:
	s_cmp_lt_i32 s10, 8
	s_cbranch_scc1 .LBB79_636
	;; [unrolled: 3-line block ×3, first 2 shown]
; %bb.633:
	s_cmp_gt_i32 s10, 9
	s_cbranch_scc0 .LBB79_638
; %bb.634:
	global_load_dwordx2 v[3:4], v[1:2], off
	s_mov_b64 s[0:1], 0
	s_waitcnt vmcnt(0)
	v_cvt_i32_f64_e32 v3, v[3:4]
	s_branch .LBB79_639
.LBB79_635:
	s_mov_b64 s[0:1], -1
                                        ; implicit-def: $vgpr3
	s_branch .LBB79_657
.LBB79_636:
	s_mov_b64 s[0:1], -1
                                        ; implicit-def: $vgpr3
	s_branch .LBB79_645
.LBB79_637:
	s_mov_b64 s[0:1], -1
                                        ; implicit-def: $vgpr3
	s_branch .LBB79_642
.LBB79_638:
	s_mov_b64 s[0:1], -1
                                        ; implicit-def: $vgpr3
.LBB79_639:
	s_andn2_b64 vcc, exec, s[0:1]
	s_cbranch_vccnz .LBB79_641
; %bb.640:
	global_load_dword v3, v[1:2], off
	s_waitcnt vmcnt(0)
	v_cvt_i32_f32_e32 v3, v3
.LBB79_641:
	s_mov_b64 s[0:1], 0
.LBB79_642:
	s_andn2_b64 vcc, exec, s[0:1]
	s_cbranch_vccnz .LBB79_644
; %bb.643:
	global_load_dword v3, v[1:2], off
	s_waitcnt vmcnt(0)
	v_cvt_i16_f16_e32 v3, v3
.LBB79_644:
	s_mov_b64 s[0:1], 0
.LBB79_645:
	s_andn2_b64 vcc, exec, s[0:1]
	s_cbranch_vccnz .LBB79_656
; %bb.646:
	s_cmp_lt_i32 s10, 6
	s_cbranch_scc1 .LBB79_649
; %bb.647:
	s_cmp_gt_i32 s10, 6
	s_cbranch_scc0 .LBB79_650
; %bb.648:
	global_load_dwordx2 v[3:4], v[1:2], off
	s_mov_b64 s[0:1], 0
	s_waitcnt vmcnt(0)
	v_cvt_i32_f64_e32 v3, v[3:4]
	s_branch .LBB79_651
.LBB79_649:
	s_mov_b64 s[0:1], -1
                                        ; implicit-def: $vgpr3
	s_branch .LBB79_654
.LBB79_650:
	s_mov_b64 s[0:1], -1
                                        ; implicit-def: $vgpr3
.LBB79_651:
	s_andn2_b64 vcc, exec, s[0:1]
	s_cbranch_vccnz .LBB79_653
; %bb.652:
	global_load_dword v3, v[1:2], off
	s_waitcnt vmcnt(0)
	v_cvt_i32_f32_e32 v3, v3
.LBB79_653:
	s_mov_b64 s[0:1], 0
.LBB79_654:
	s_andn2_b64 vcc, exec, s[0:1]
	s_cbranch_vccnz .LBB79_656
; %bb.655:
	global_load_ushort v3, v[1:2], off
	s_waitcnt vmcnt(0)
	v_cvt_i16_f16_e32 v3, v3
.LBB79_656:
	s_mov_b64 s[0:1], 0
.LBB79_657:
	s_andn2_b64 vcc, exec, s[0:1]
	s_cbranch_vccnz .LBB79_677
; %bb.658:
	s_cmp_lt_i32 s10, 2
	s_cbranch_scc1 .LBB79_662
; %bb.659:
	s_cmp_lt_i32 s10, 3
	s_cbranch_scc1 .LBB79_663
; %bb.660:
	s_cmp_gt_i32 s10, 3
	s_cbranch_scc0 .LBB79_664
; %bb.661:
	global_load_dwordx2 v[3:4], v[1:2], off
	s_mov_b64 s[0:1], 0
	s_branch .LBB79_665
.LBB79_662:
	s_mov_b64 s[0:1], -1
                                        ; implicit-def: $vgpr3
	s_branch .LBB79_671
.LBB79_663:
	s_mov_b64 s[0:1], -1
                                        ; implicit-def: $vgpr3
	s_branch .LBB79_668
.LBB79_664:
	s_mov_b64 s[0:1], -1
                                        ; implicit-def: $vgpr3
.LBB79_665:
	s_andn2_b64 vcc, exec, s[0:1]
	s_cbranch_vccnz .LBB79_667
; %bb.666:
	global_load_dword v3, v[1:2], off
.LBB79_667:
	s_mov_b64 s[0:1], 0
.LBB79_668:
	s_andn2_b64 vcc, exec, s[0:1]
	s_cbranch_vccnz .LBB79_670
; %bb.669:
	global_load_ushort v3, v[1:2], off
.LBB79_670:
	s_mov_b64 s[0:1], 0
.LBB79_671:
	s_andn2_b64 vcc, exec, s[0:1]
	s_cbranch_vccnz .LBB79_677
; %bb.672:
	s_cmp_gt_i32 s10, 0
	s_cbranch_scc0 .LBB79_674
; %bb.673:
	global_load_sbyte v3, v[1:2], off
	s_mov_b64 s[0:1], 0
	s_branch .LBB79_675
.LBB79_674:
	s_mov_b64 s[0:1], -1
                                        ; implicit-def: $vgpr3
.LBB79_675:
	s_andn2_b64 vcc, exec, s[0:1]
	s_cbranch_vccnz .LBB79_677
; %bb.676:
	global_load_ubyte v3, v[1:2], off
.LBB79_677:
	s_mov_b64 s[0:1], -1
.LBB79_678:
	s_andn2_b64 vcc, exec, s[0:1]
	s_cbranch_vccnz .LBB79_686
; %bb.679:
	s_waitcnt vmcnt(0)
	v_cmp_ne_u16_e32 vcc, s45, v3
	s_xor_b64 s[8:9], s[46:47], vcc
	v_mov_b32_e32 v1, s25
	s_and_b32 s16, s77, 0xff
	v_add_co_u32_e32 v0, vcc, s24, v0
	s_cmp_lt_i32 s16, 11
	v_addc_co_u32_e32 v1, vcc, 0, v1, vcc
	s_cbranch_scc1 .LBB79_687
; %bb.680:
	s_and_b32 s17, 0xffff, s16
	s_cmp_gt_i32 s17, 25
	s_cbranch_scc0 .LBB79_688
; %bb.681:
	s_cmp_gt_i32 s17, 28
	s_cbranch_scc0 .LBB79_689
; %bb.682:
	;; [unrolled: 3-line block ×4, first 2 shown]
	s_mov_b64 s[12:13], 0
	s_mov_b64 s[0:1], -1
	s_cmp_eq_u32 s17, 46
	s_mov_b64 s[10:11], 0
	s_cbranch_scc0 .LBB79_692
; %bb.685:
	v_cndmask_b32_e64 v2, 0, 1.0, s[8:9]
	v_bfe_u32 v3, v2, 16, 1
	s_movk_i32 s0, 0x7fff
	v_add3_u32 v2, v2, v3, s0
	v_lshrrev_b32_e32 v2, 16, v2
	global_store_dword v[0:1], v2, off
	s_mov_b64 s[10:11], -1
	s_mov_b64 s[0:1], 0
	s_branch .LBB79_692
.LBB79_686:
	s_mov_b64 s[8:9], 0
	s_mov_b64 s[0:1], s[64:65]
	s_branch .LBB79_803
.LBB79_687:
	s_mov_b64 s[12:13], -1
	s_mov_b64 s[10:11], 0
	s_mov_b64 s[0:1], s[64:65]
	s_branch .LBB79_761
.LBB79_688:
	s_mov_b64 s[12:13], -1
	s_mov_b64 s[10:11], 0
	s_mov_b64 s[0:1], s[64:65]
	s_branch .LBB79_719
.LBB79_689:
	s_mov_b64 s[12:13], -1
	s_mov_b64 s[10:11], 0
	s_mov_b64 s[0:1], s[64:65]
	s_branch .LBB79_702
.LBB79_690:
	s_mov_b64 s[12:13], -1
	s_mov_b64 s[10:11], 0
	s_mov_b64 s[0:1], s[64:65]
	s_branch .LBB79_698
.LBB79_691:
	s_mov_b64 s[12:13], -1
	s_mov_b64 s[10:11], 0
	s_mov_b64 s[0:1], s[64:65]
.LBB79_692:
	s_and_b64 vcc, exec, s[12:13]
	s_cbranch_vccz .LBB79_697
; %bb.693:
	s_cmp_eq_u32 s17, 44
	s_mov_b64 s[0:1], -1
	s_cbranch_scc0 .LBB79_697
; %bb.694:
	v_cndmask_b32_e64 v3, 0, 1.0, s[8:9]
	v_lshrrev_b32_e32 v2, 23, v3
	s_movk_i32 s0, 0xff
	v_cmp_ne_u32_e32 vcc, s0, v2
	v_mov_b32_e32 v4, 0xff
	s_and_saveexec_b64 s[10:11], vcc
; %bb.695:
	s_mov_b32 s0, 0x3fffff
	v_and_b32_e32 v4, 0x400000, v3
	v_and_or_b32 v3, v3, s0, v2
	v_cmp_ne_u32_e32 vcc, 0, v4
	v_cmp_ne_u32_e64 s[0:1], 0, v3
	s_and_b64 s[0:1], vcc, s[0:1]
	v_cndmask_b32_e64 v3, 0, 1, s[0:1]
	v_add_u32_e32 v4, v2, v3
; %bb.696:
	s_or_b64 exec, exec, s[10:11]
	s_mov_b64 s[10:11], -1
	s_mov_b64 s[0:1], 0
	global_store_byte v[0:1], v4, off
.LBB79_697:
	s_mov_b64 s[12:13], 0
.LBB79_698:
	s_and_b64 vcc, exec, s[12:13]
	s_cbranch_vccz .LBB79_701
; %bb.699:
	s_cmp_eq_u32 s17, 29
	s_mov_b64 s[0:1], -1
	s_cbranch_scc0 .LBB79_701
; %bb.700:
	s_mov_b32 s0, 0
	v_cndmask_b32_e64 v2, 0, 1, s[8:9]
	v_mov_b32_e32 v3, s0
	global_store_dwordx2 v[0:1], v[2:3], off
	s_mov_b64 s[10:11], -1
	s_mov_b64 s[0:1], 0
.LBB79_701:
	s_mov_b64 s[12:13], 0
.LBB79_702:
	s_and_b64 vcc, exec, s[12:13]
	s_cbranch_vccz .LBB79_718
; %bb.703:
	s_cmp_lt_i32 s17, 27
	s_mov_b64 s[10:11], -1
	s_cbranch_scc1 .LBB79_709
; %bb.704:
	s_cmp_gt_i32 s17, 27
	s_cbranch_scc0 .LBB79_706
; %bb.705:
	v_cndmask_b32_e64 v2, 0, 1, s[8:9]
	s_mov_b64 s[10:11], 0
	global_store_dword v[0:1], v2, off
.LBB79_706:
	s_andn2_b64 vcc, exec, s[10:11]
	s_cbranch_vccnz .LBB79_708
; %bb.707:
	v_cndmask_b32_e64 v2, 0, 1, s[8:9]
	global_store_short v[0:1], v2, off
.LBB79_708:
	s_mov_b64 s[10:11], 0
.LBB79_709:
	s_andn2_b64 vcc, exec, s[10:11]
	s_cbranch_vccnz .LBB79_717
; %bb.710:
	v_cndmask_b32_e64 v3, 0, 1.0, s[8:9]
	s_mov_b32 s10, 0x43800000
	v_cmp_gt_u32_e32 vcc, s10, v3
	v_mov_b32_e32 v4, 0x80
	s_and_saveexec_b64 s[10:11], vcc
	s_cbranch_execz .LBB79_716
; %bb.711:
	s_mov_b32 s12, 0x3bffffff
	v_cmp_lt_u32_e32 vcc, s12, v3
	s_mov_b64 s[12:13], 0
                                        ; implicit-def: $vgpr2
	s_and_saveexec_b64 s[14:15], vcc
	s_xor_b64 s[14:15], exec, s[14:15]
	s_cbranch_execz .LBB79_833
; %bb.712:
	v_bfe_u32 v2, v3, 20, 1
	s_mov_b32 s18, 0x487ffff
	v_add3_u32 v2, v3, v2, s18
	s_mov_b64 s[12:13], exec
	v_lshrrev_b32_e32 v2, 20, v2
                                        ; implicit-def: $vgpr3
	s_andn2_saveexec_b64 s[14:15], s[14:15]
	s_cbranch_execnz .LBB79_834
.LBB79_713:
	s_or_b64 exec, exec, s[14:15]
	v_mov_b32_e32 v4, 0
	s_and_saveexec_b64 s[14:15], s[12:13]
.LBB79_714:
	v_mov_b32_e32 v4, v2
.LBB79_715:
	s_or_b64 exec, exec, s[14:15]
.LBB79_716:
	s_or_b64 exec, exec, s[10:11]
	global_store_byte v[0:1], v4, off
.LBB79_717:
	s_mov_b64 s[10:11], -1
.LBB79_718:
	s_mov_b64 s[12:13], 0
.LBB79_719:
	s_and_b64 vcc, exec, s[12:13]
	s_cbranch_vccz .LBB79_760
; %bb.720:
	s_cmp_gt_i32 s17, 22
	s_mov_b64 s[12:13], -1
	s_cbranch_scc0 .LBB79_752
; %bb.721:
	s_cmp_lt_i32 s17, 24
	s_mov_b64 s[10:11], -1
	s_cbranch_scc1 .LBB79_741
; %bb.722:
	s_cmp_gt_i32 s17, 24
	s_cbranch_scc0 .LBB79_730
; %bb.723:
	v_cndmask_b32_e64 v3, 0, 1.0, s[8:9]
	s_mov_b32 s10, 0x47800000
	v_cmp_gt_u32_e32 vcc, s10, v3
	v_mov_b32_e32 v4, 0x80
	s_and_saveexec_b64 s[10:11], vcc
	s_cbranch_execz .LBB79_729
; %bb.724:
	s_mov_b32 s12, 0x37ffffff
	v_cmp_lt_u32_e32 vcc, s12, v3
	s_mov_b64 s[12:13], 0
                                        ; implicit-def: $vgpr2
	s_and_saveexec_b64 s[14:15], vcc
	s_xor_b64 s[14:15], exec, s[14:15]
	s_cbranch_execz .LBB79_836
; %bb.725:
	v_bfe_u32 v2, v3, 21, 1
	s_mov_b32 s18, 0x88fffff
	v_add3_u32 v2, v3, v2, s18
	s_mov_b64 s[12:13], exec
	v_lshrrev_b32_e32 v2, 21, v2
                                        ; implicit-def: $vgpr3
	s_andn2_saveexec_b64 s[14:15], s[14:15]
	s_cbranch_execnz .LBB79_837
.LBB79_726:
	s_or_b64 exec, exec, s[14:15]
	v_mov_b32_e32 v4, 0
	s_and_saveexec_b64 s[14:15], s[12:13]
.LBB79_727:
	v_mov_b32_e32 v4, v2
.LBB79_728:
	s_or_b64 exec, exec, s[14:15]
.LBB79_729:
	s_or_b64 exec, exec, s[10:11]
	s_mov_b64 s[10:11], 0
	global_store_byte v[0:1], v4, off
.LBB79_730:
	s_and_b64 vcc, exec, s[10:11]
	s_cbranch_vccz .LBB79_740
; %bb.731:
	v_cndmask_b32_e64 v2, 0, 1.0, s[8:9]
	s_mov_b32 s10, 0x43f00000
	v_cmp_gt_u32_e32 vcc, s10, v2
                                        ; implicit-def: $vgpr3
	s_and_saveexec_b64 s[10:11], vcc
	s_xor_b64 s[10:11], exec, s[10:11]
	s_cbranch_execz .LBB79_737
; %bb.732:
	s_mov_b32 s12, 0x3c7fffff
	v_cmp_lt_u32_e32 vcc, s12, v2
                                        ; implicit-def: $vgpr3
	s_and_saveexec_b64 s[12:13], vcc
	s_xor_b64 s[12:13], exec, s[12:13]
; %bb.733:
	v_bfe_u32 v3, v2, 20, 1
	s_mov_b32 s14, 0x407ffff
	v_add3_u32 v2, v2, v3, s14
	v_lshrrev_b32_e32 v3, 20, v2
	v_and_b32_e32 v2, 0xff00000, v2
	s_mov_b32 s14, 0x7f00000
	v_mov_b32_e32 v4, 0x7e
	v_cmp_ne_u32_e32 vcc, s14, v2
	v_cndmask_b32_e32 v3, v4, v3, vcc
                                        ; implicit-def: $vgpr2
; %bb.734:
	s_andn2_saveexec_b64 s[12:13], s[12:13]
; %bb.735:
	v_add_f32_e32 v3, 0x46800000, v2
; %bb.736:
	s_or_b64 exec, exec, s[12:13]
                                        ; implicit-def: $vgpr2
.LBB79_737:
	s_andn2_saveexec_b64 s[10:11], s[10:11]
; %bb.738:
	s_mov_b32 s12, 0x7f800000
	v_mov_b32_e32 v3, 0x7e
	v_mov_b32_e32 v4, 0x7f
	v_cmp_lt_u32_e32 vcc, s12, v2
	v_cndmask_b32_e32 v3, v3, v4, vcc
; %bb.739:
	s_or_b64 exec, exec, s[10:11]
	global_store_byte v[0:1], v3, off
.LBB79_740:
	s_mov_b64 s[10:11], 0
.LBB79_741:
	s_andn2_b64 vcc, exec, s[10:11]
	s_cbranch_vccnz .LBB79_751
; %bb.742:
	v_cndmask_b32_e64 v2, 0, 1.0, s[8:9]
	s_mov_b32 s10, 0x47800000
	v_cmp_gt_u32_e32 vcc, s10, v2
                                        ; implicit-def: $vgpr3
	s_and_saveexec_b64 s[10:11], vcc
	s_xor_b64 s[10:11], exec, s[10:11]
	s_cbranch_execz .LBB79_748
; %bb.743:
	s_mov_b32 s12, 0x387fffff
	v_cmp_lt_u32_e32 vcc, s12, v2
                                        ; implicit-def: $vgpr3
	s_and_saveexec_b64 s[12:13], vcc
	s_xor_b64 s[12:13], exec, s[12:13]
; %bb.744:
	v_bfe_u32 v3, v2, 21, 1
	s_mov_b32 s14, 0x80fffff
	v_add3_u32 v2, v2, v3, s14
	v_lshrrev_b32_e32 v3, 21, v2
                                        ; implicit-def: $vgpr2
; %bb.745:
	s_andn2_saveexec_b64 s[12:13], s[12:13]
; %bb.746:
	v_add_f32_e32 v3, 0x43000000, v2
; %bb.747:
	s_or_b64 exec, exec, s[12:13]
                                        ; implicit-def: $vgpr2
.LBB79_748:
	s_andn2_saveexec_b64 s[10:11], s[10:11]
; %bb.749:
	s_mov_b32 s12, 0x7f800000
	v_mov_b32_e32 v3, 0x7c
	v_mov_b32_e32 v4, 0x7f
	v_cmp_lt_u32_e32 vcc, s12, v2
	v_cndmask_b32_e32 v3, v3, v4, vcc
; %bb.750:
	s_or_b64 exec, exec, s[10:11]
	global_store_byte v[0:1], v3, off
.LBB79_751:
	s_mov_b64 s[12:13], 0
	s_mov_b64 s[10:11], -1
.LBB79_752:
	s_andn2_b64 vcc, exec, s[12:13]
	s_cbranch_vccnz .LBB79_760
; %bb.753:
	s_cmp_gt_i32 s17, 14
	s_mov_b64 s[12:13], -1
	s_cbranch_scc0 .LBB79_757
; %bb.754:
	s_cmp_eq_u32 s17, 15
	s_mov_b64 s[0:1], -1
	s_cbranch_scc0 .LBB79_756
; %bb.755:
	v_cndmask_b32_e64 v2, 0, 1.0, s[8:9]
	v_bfe_u32 v3, v2, 16, 1
	s_movk_i32 s0, 0x7fff
	v_add3_u32 v2, v2, v3, s0
	global_store_short_d16_hi v[0:1], v2, off
	s_mov_b64 s[10:11], -1
	s_mov_b64 s[0:1], 0
.LBB79_756:
	s_mov_b64 s[12:13], 0
.LBB79_757:
	s_and_b64 vcc, exec, s[12:13]
	s_cbranch_vccz .LBB79_760
; %bb.758:
	s_cmp_eq_u32 s17, 11
	s_mov_b64 s[0:1], -1
	s_cbranch_scc0 .LBB79_760
; %bb.759:
	v_cndmask_b32_e64 v2, 0, 1, s[8:9]
	s_mov_b64 s[10:11], -1
	s_mov_b64 s[0:1], 0
	global_store_byte v[0:1], v2, off
.LBB79_760:
	s_mov_b64 s[12:13], 0
.LBB79_761:
	s_and_b64 vcc, exec, s[12:13]
	s_cbranch_vccz .LBB79_800
; %bb.762:
	s_and_b32 s12, 0xffff, s16
	s_cmp_lt_i32 s12, 5
	s_mov_b64 s[10:11], -1
	s_cbranch_scc1 .LBB79_783
; %bb.763:
	s_cmp_lt_i32 s12, 8
	s_cbranch_scc1 .LBB79_773
; %bb.764:
	s_cmp_lt_i32 s12, 9
	s_cbranch_scc1 .LBB79_770
; %bb.765:
	s_cmp_gt_i32 s12, 9
	s_cbranch_scc0 .LBB79_767
; %bb.766:
	v_cndmask_b32_e64 v2, 0, 1, s[8:9]
	v_cvt_f64_u32_e32 v[2:3], v2
	v_mov_b32_e32 v4, 0
	v_mov_b32_e32 v5, v4
	s_mov_b64 s[10:11], 0
	global_store_dwordx4 v[0:1], v[2:5], off
.LBB79_767:
	s_andn2_b64 vcc, exec, s[10:11]
	s_cbranch_vccnz .LBB79_769
; %bb.768:
	v_cndmask_b32_e64 v2, 0, 1.0, s[8:9]
	v_mov_b32_e32 v3, 0
	global_store_dwordx2 v[0:1], v[2:3], off
.LBB79_769:
	s_mov_b64 s[10:11], 0
.LBB79_770:
	s_andn2_b64 vcc, exec, s[10:11]
	s_cbranch_vccnz .LBB79_772
; %bb.771:
	v_cndmask_b32_e64 v2, 0, 1.0, s[8:9]
	v_cvt_f16_f32_e32 v2, v2
	global_store_dword v[0:1], v2, off
.LBB79_772:
	s_mov_b64 s[10:11], 0
.LBB79_773:
	s_andn2_b64 vcc, exec, s[10:11]
	s_cbranch_vccnz .LBB79_782
; %bb.774:
	s_cmp_lt_i32 s12, 6
	s_mov_b64 s[10:11], -1
	s_cbranch_scc1 .LBB79_780
; %bb.775:
	s_cmp_gt_i32 s12, 6
	s_cbranch_scc0 .LBB79_777
; %bb.776:
	v_cndmask_b32_e64 v2, 0, 1, s[8:9]
	v_cvt_f64_u32_e32 v[2:3], v2
	s_mov_b64 s[10:11], 0
	global_store_dwordx2 v[0:1], v[2:3], off
.LBB79_777:
	s_andn2_b64 vcc, exec, s[10:11]
	s_cbranch_vccnz .LBB79_779
; %bb.778:
	v_cndmask_b32_e64 v2, 0, 1.0, s[8:9]
	global_store_dword v[0:1], v2, off
.LBB79_779:
	s_mov_b64 s[10:11], 0
.LBB79_780:
	s_andn2_b64 vcc, exec, s[10:11]
	s_cbranch_vccnz .LBB79_782
; %bb.781:
	v_cndmask_b32_e64 v2, 0, 1.0, s[8:9]
	v_cvt_f16_f32_e32 v2, v2
	global_store_short v[0:1], v2, off
.LBB79_782:
	s_mov_b64 s[10:11], 0
.LBB79_783:
	s_andn2_b64 vcc, exec, s[10:11]
	s_cbranch_vccnz .LBB79_799
; %bb.784:
	s_cmp_lt_i32 s12, 2
	s_mov_b64 s[10:11], -1
	s_cbranch_scc1 .LBB79_794
; %bb.785:
	s_cmp_lt_i32 s12, 3
	s_cbranch_scc1 .LBB79_791
; %bb.786:
	s_cmp_gt_i32 s12, 3
	s_cbranch_scc0 .LBB79_788
; %bb.787:
	s_mov_b32 s10, 0
	v_cndmask_b32_e64 v2, 0, 1, s[8:9]
	v_mov_b32_e32 v3, s10
	s_mov_b64 s[10:11], 0
	global_store_dwordx2 v[0:1], v[2:3], off
.LBB79_788:
	s_andn2_b64 vcc, exec, s[10:11]
	s_cbranch_vccnz .LBB79_790
; %bb.789:
	v_cndmask_b32_e64 v2, 0, 1, s[8:9]
	global_store_dword v[0:1], v2, off
.LBB79_790:
	s_mov_b64 s[10:11], 0
.LBB79_791:
	s_andn2_b64 vcc, exec, s[10:11]
	s_cbranch_vccnz .LBB79_793
; %bb.792:
	v_cndmask_b32_e64 v2, 0, 1, s[8:9]
	global_store_short v[0:1], v2, off
.LBB79_793:
	s_mov_b64 s[10:11], 0
.LBB79_794:
	s_andn2_b64 vcc, exec, s[10:11]
	s_cbranch_vccnz .LBB79_799
; %bb.795:
	s_mov_b64 s[10:11], -1
	s_cmp_gt_i32 s12, 0
	v_cndmask_b32_e64 v2, 0, 1, s[8:9]
	s_cbranch_scc0 .LBB79_797
; %bb.796:
	s_mov_b64 s[10:11], 0
	global_store_byte v[0:1], v2, off
.LBB79_797:
	s_andn2_b64 vcc, exec, s[10:11]
	s_cbranch_vccnz .LBB79_799
; %bb.798:
	global_store_byte v[0:1], v2, off
.LBB79_799:
	s_mov_b64 s[10:11], -1
.LBB79_800:
	s_andn2_b64 vcc, exec, s[10:11]
	s_cbranch_vccnz .LBB79_802
; %bb.801:
	v_add_u32_e32 v8, 0x80, v8
	s_mov_b64 s[8:9], -1
	s_branch .LBB79_804
.LBB79_802:
	s_mov_b64 s[8:9], 0
.LBB79_803:
                                        ; implicit-def: $vgpr8
.LBB79_804:
	s_andn2_b64 s[10:11], s[64:65], exec
	s_and_b64 s[0:1], s[0:1], exec
	s_or_b64 s[72:73], s[10:11], s[0:1]
	s_andn2_b64 s[0:1], s[62:63], exec
	s_and_b64 s[2:3], s[2:3], exec
	s_or_b64 s[70:71], s[0:1], s[2:3]
	s_orn2_b64 s[2:3], s[8:9], exec
.LBB79_805:
	s_or_b64 exec, exec, s[68:69]
	s_mov_b64 s[0:1], 0
	s_mov_b64 s[8:9], 0
	;; [unrolled: 1-line block ×3, first 2 shown]
                                        ; implicit-def: $vgpr1_vgpr2
                                        ; implicit-def: $vgpr0
                                        ; implicit-def: $vgpr3
	s_and_saveexec_b64 s[68:69], s[2:3]
	s_cbranch_execz .LBB79_900
; %bb.806:
	v_cmp_gt_i32_e32 vcc, s74, v8
	s_mov_b64 s[2:3], 0
	s_mov_b64 s[12:13], s[70:71]
                                        ; implicit-def: $vgpr1_vgpr2
                                        ; implicit-def: $vgpr0
                                        ; implicit-def: $vgpr3
	s_and_saveexec_b64 s[74:75], vcc
	s_cbranch_execz .LBB79_899
; %bb.807:
	s_andn2_b64 vcc, exec, s[40:41]
	s_cbranch_vccnz .LBB79_812
; %bb.808:
	s_andn2_b64 vcc, exec, s[54:55]
	s_cbranch_vccnz .LBB79_813
; %bb.809:
	s_add_i32 s79, s79, 1
	s_cmp_eq_u32 s76, 2
	s_cbranch_scc1 .LBB79_814
; %bb.810:
	s_and_b32 s44, s79, 28
	v_mov_b32_e32 v2, 0
	s_mov_b32 s80, 0
	s_mov_b64 s[54:55], s[34:35]
	v_mov_b32_e32 v0, 0
	v_mov_b32_e32 v1, v8
.LBB79_811:                             ; =>This Inner Loop Header: Depth=1
	s_load_dwordx8 s[16:23], s[54:55], 0x4
	s_load_dwordx4 s[0:3], s[54:55], 0x24
	s_load_dwordx8 s[8:15], s[52:53], 0x0
	s_add_u32 s54, s54, 48
	s_addc_u32 s55, s55, 0
	s_waitcnt vmcnt(0) lgkmcnt(0)
	v_mul_hi_u32 v3, s17, v1
	s_add_i32 s80, s80, 4
	s_add_u32 s52, s52, 32
	s_addc_u32 s53, s53, 0
	v_add_u32_e32 v3, v1, v3
	v_lshrrev_b32_e32 v3, s18, v3
	v_mul_lo_u32 v4, v3, s16
	v_mul_hi_u32 v5, s20, v3
	s_cmp_eq_u32 s44, s80
	v_sub_u32_e32 v1, v1, v4
	v_add_u32_e32 v4, v3, v5
	v_mul_lo_u32 v5, v1, s8
	v_mul_lo_u32 v6, v1, s9
	v_lshrrev_b32_e32 v1, s21, v4
	v_mul_lo_u32 v4, v1, s19
	v_mul_hi_u32 v7, s23, v1
	v_sub_u32_e32 v3, v3, v4
	v_add_u32_e32 v4, v1, v7
	v_lshrrev_b32_e32 v4, s0, v4
	v_mul_hi_u32 v9, s2, v4
	v_mul_lo_u32 v10, v4, s22
	v_mul_lo_u32 v7, v3, s10
	;; [unrolled: 1-line block ×3, first 2 shown]
	v_sub_u32_e32 v10, v1, v10
	v_add_u32_e32 v1, v4, v9
	v_lshrrev_b32_e32 v1, s3, v1
	v_mul_lo_u32 v9, v1, s1
	v_mul_lo_u32 v11, v10, s12
	;; [unrolled: 1-line block ×3, first 2 shown]
	v_add3_u32 v0, v5, v0, v7
	v_sub_u32_e32 v4, v4, v9
	v_mul_lo_u32 v9, v4, s14
	v_mul_lo_u32 v4, v4, s15
	v_add3_u32 v2, v6, v2, v3
	v_add3_u32 v0, v11, v0, v9
	;; [unrolled: 1-line block ×3, first 2 shown]
	s_cbranch_scc0 .LBB79_811
	s_branch .LBB79_815
.LBB79_812:
	s_mov_b64 s[0:1], -1
                                        ; implicit-def: $vgpr0
                                        ; implicit-def: $vgpr2
	s_branch .LBB79_819
.LBB79_813:
	v_mov_b32_e32 v0, 0
	v_mov_b32_e32 v2, 0
	s_branch .LBB79_818
.LBB79_814:
	s_mov_b32 s44, 0
	v_mov_b32_e32 v0, 0
	v_mov_b32_e32 v2, 0
	;; [unrolled: 1-line block ×3, first 2 shown]
.LBB79_815:
	s_and_b32 s8, s79, 3
	s_cmp_eq_u32 s8, 0
	s_cbranch_scc1 .LBB79_818
; %bb.816:
	s_lshl_b32 s0, s44, 3
	s_add_u32 s0, s34, s0
	s_addc_u32 s1, s35, 0
	s_add_u32 s0, s0, 0xc4
	s_addc_u32 s1, s1, 0
	s_mul_i32 s2, s44, 12
	s_add_u32 s2, s34, s2
	s_addc_u32 s3, s35, 0
.LBB79_817:                             ; =>This Inner Loop Header: Depth=1
	s_load_dwordx2 s[10:11], s[2:3], 0x4
	s_load_dword s9, s[2:3], 0xc
	s_load_dwordx2 s[12:13], s[0:1], 0x0
	s_add_u32 s2, s2, 12
	s_addc_u32 s3, s3, 0
	s_waitcnt vmcnt(0) lgkmcnt(0)
	v_mul_hi_u32 v3, s11, v1
	s_add_u32 s0, s0, 8
	s_addc_u32 s1, s1, 0
	s_add_i32 s8, s8, -1
	v_add_u32_e32 v3, v1, v3
	v_lshrrev_b32_e32 v4, s9, v3
	v_mul_lo_u32 v3, v4, s10
	s_cmp_lg_u32 s8, 0
	v_sub_u32_e32 v3, v1, v3
	v_mad_u64_u32 v[0:1], s[10:11], v3, s12, v[0:1]
	v_mad_u64_u32 v[2:3], s[10:11], v3, s13, v[2:3]
	v_mov_b32_e32 v1, v4
	s_cbranch_scc1 .LBB79_817
.LBB79_818:
	s_mov_b64 s[0:1], 0
.LBB79_819:
	s_andn2_b64 vcc, exec, s[0:1]
	s_cbranch_vccnz .LBB79_822
; %bb.820:
	v_mul_hi_u32 v0, s29, v8
	s_andn2_b64 vcc, exec, s[50:51]
	v_add_u32_e32 v0, v8, v0
	v_lshrrev_b32_e32 v1, s30, v0
	v_mul_lo_u32 v0, v1, s28
	v_sub_u32_e32 v2, v8, v0
	v_mul_lo_u32 v0, v2, s36
	v_mul_lo_u32 v2, v2, s37
	s_cbranch_vccnz .LBB79_822
; %bb.821:
	s_waitcnt vmcnt(0)
	v_mul_hi_u32 v3, s48, v1
	v_add_u32_e32 v3, v1, v3
	v_lshrrev_b32_e32 v3, s49, v3
	v_mul_lo_u32 v3, v3, s31
	v_sub_u32_e32 v3, v1, v3
	v_mad_u64_u32 v[0:1], s[0:1], v3, s38, v[0:1]
	v_mad_u64_u32 v[2:3], s[0:1], v3, s39, v[2:3]
.LBB79_822:
	s_waitcnt vmcnt(0)
	v_mov_b32_e32 v3, s27
	s_and_b32 s12, 0xffff, s78
	v_add_co_u32_e32 v1, vcc, s26, v2
	s_cmp_lt_i32 s12, 11
	v_addc_co_u32_e32 v2, vcc, 0, v3, vcc
	s_cbranch_scc1 .LBB79_829
; %bb.823:
	s_cmp_gt_i32 s12, 25
	s_mov_b64 s[2:3], 0
	s_cbranch_scc0 .LBB79_830
; %bb.824:
	s_cmp_gt_i32 s12, 28
	s_cbranch_scc0 .LBB79_831
; %bb.825:
	s_cmp_gt_i32 s12, 43
	;; [unrolled: 3-line block ×3, first 2 shown]
	s_cbranch_scc0 .LBB79_835
; %bb.827:
	s_cmp_eq_u32 s12, 46
	s_mov_b64 s[10:11], 0
	s_cbranch_scc0 .LBB79_838
; %bb.828:
	global_load_dword v3, v[1:2], off
	s_mov_b64 s[0:1], 0
	s_mov_b64 s[8:9], -1
	s_waitcnt vmcnt(0)
	v_lshlrev_b32_e32 v3, 16, v3
	v_cvt_i32_f32_e32 v3, v3
	s_branch .LBB79_839
.LBB79_829:
	s_mov_b64 s[12:13], -1
	s_mov_b64 s[8:9], 0
	s_mov_b64 s[2:3], 0
	;; [unrolled: 1-line block ×3, first 2 shown]
                                        ; implicit-def: $vgpr3
	s_branch .LBB79_898
.LBB79_830:
	s_mov_b64 s[10:11], -1
	s_mov_b64 s[8:9], 0
	s_mov_b64 s[0:1], s[70:71]
                                        ; implicit-def: $vgpr3
	s_branch .LBB79_866
.LBB79_831:
	s_mov_b64 s[10:11], -1
	s_mov_b64 s[8:9], 0
	s_mov_b64 s[0:1], s[70:71]
                                        ; implicit-def: $vgpr3
	s_branch .LBB79_849
.LBB79_832:
	s_mov_b64 s[10:11], -1
	s_mov_b64 s[8:9], 0
	s_mov_b64 s[0:1], s[70:71]
                                        ; implicit-def: $vgpr3
	s_branch .LBB79_844
.LBB79_833:
	s_andn2_saveexec_b64 s[14:15], s[14:15]
	s_cbranch_execz .LBB79_713
.LBB79_834:
	v_add_f32_e32 v2, 0x46000000, v3
	v_and_b32_e32 v2, 0xff, v2
	v_cmp_ne_u32_e32 vcc, 0, v2
	s_andn2_b64 s[12:13], s[12:13], exec
	s_and_b64 s[18:19], vcc, exec
	s_or_b64 s[12:13], s[12:13], s[18:19]
	s_or_b64 exec, exec, s[14:15]
	v_mov_b32_e32 v4, 0
	s_and_saveexec_b64 s[14:15], s[12:13]
	s_cbranch_execnz .LBB79_714
	s_branch .LBB79_715
.LBB79_835:
	s_mov_b64 s[10:11], -1
	s_mov_b64 s[8:9], 0
	s_mov_b64 s[0:1], s[70:71]
                                        ; implicit-def: $vgpr3
	s_branch .LBB79_839
.LBB79_836:
	s_andn2_saveexec_b64 s[14:15], s[14:15]
	s_cbranch_execz .LBB79_726
.LBB79_837:
	v_add_f32_e32 v2, 0x42800000, v3
	v_and_b32_e32 v2, 0xff, v2
	v_cmp_ne_u32_e32 vcc, 0, v2
	s_andn2_b64 s[12:13], s[12:13], exec
	s_and_b64 s[18:19], vcc, exec
	s_or_b64 s[12:13], s[12:13], s[18:19]
	s_or_b64 exec, exec, s[14:15]
	v_mov_b32_e32 v4, 0
	s_and_saveexec_b64 s[14:15], s[12:13]
	s_cbranch_execnz .LBB79_727
	s_branch .LBB79_728
.LBB79_838:
	s_mov_b64 s[0:1], -1
                                        ; implicit-def: $vgpr3
	s_mov_b64 s[8:9], 0
.LBB79_839:
	s_and_b64 vcc, exec, s[10:11]
	s_cbranch_vccz .LBB79_843
; %bb.840:
	s_cmp_eq_u32 s12, 44
	s_cbranch_scc0 .LBB79_842
; %bb.841:
	global_load_ubyte v3, v[1:2], off
	s_mov_b64 s[0:1], 0
	s_mov_b64 s[8:9], -1
	s_waitcnt vmcnt(0)
	v_lshlrev_b32_e32 v4, 23, v3
	v_cvt_i32_f32_e32 v4, v4
	v_cmp_ne_u32_e32 vcc, 0, v3
	v_cndmask_b32_e32 v3, 0, v4, vcc
	s_branch .LBB79_843
.LBB79_842:
	s_mov_b64 s[0:1], -1
                                        ; implicit-def: $vgpr3
.LBB79_843:
	s_mov_b64 s[10:11], 0
.LBB79_844:
	s_and_b64 vcc, exec, s[10:11]
	s_cbranch_vccz .LBB79_848
; %bb.845:
	s_cmp_eq_u32 s12, 29
	s_cbranch_scc0 .LBB79_847
; %bb.846:
	global_load_dwordx2 v[3:4], v[1:2], off
	s_mov_b64 s[0:1], 0
	s_mov_b64 s[8:9], -1
	s_branch .LBB79_848
.LBB79_847:
	s_mov_b64 s[0:1], -1
                                        ; implicit-def: $vgpr3
.LBB79_848:
	s_mov_b64 s[10:11], 0
.LBB79_849:
	s_and_b64 vcc, exec, s[10:11]
	s_cbranch_vccz .LBB79_865
; %bb.850:
	s_cmp_lt_i32 s12, 27
	s_cbranch_scc1 .LBB79_853
; %bb.851:
	s_cmp_gt_i32 s12, 27
	s_cbranch_scc0 .LBB79_854
; %bb.852:
	global_load_dword v3, v[1:2], off
	s_mov_b64 s[8:9], 0
	s_branch .LBB79_855
.LBB79_853:
	s_mov_b64 s[8:9], -1
                                        ; implicit-def: $vgpr3
	s_branch .LBB79_858
.LBB79_854:
	s_mov_b64 s[8:9], -1
                                        ; implicit-def: $vgpr3
.LBB79_855:
	s_andn2_b64 vcc, exec, s[8:9]
	s_cbranch_vccnz .LBB79_857
; %bb.856:
	global_load_ushort v3, v[1:2], off
.LBB79_857:
	s_mov_b64 s[8:9], 0
.LBB79_858:
	s_andn2_b64 vcc, exec, s[8:9]
	s_cbranch_vccnz .LBB79_864
; %bb.859:
	global_load_ubyte v4, v[1:2], off
	s_movk_i32 s8, 0x7f
	s_mov_b64 s[10:11], 0
	s_waitcnt vmcnt(0)
	v_cmp_lt_i16_e32 vcc, s8, v4
	s_and_saveexec_b64 s[8:9], vcc
	s_xor_b64 s[8:9], exec, s[8:9]
	s_cbranch_execz .LBB79_876
; %bb.860:
	s_movk_i32 s10, 0x80
	v_cmp_ne_u16_e32 vcc, s10, v4
	s_and_b64 s[10:11], vcc, exec
	s_andn2_saveexec_b64 s[8:9], s[8:9]
	s_cbranch_execnz .LBB79_877
.LBB79_861:
	s_or_b64 exec, exec, s[8:9]
	v_mov_b32_e32 v3, 0
	s_and_saveexec_b64 s[8:9], s[10:11]
	s_cbranch_execz .LBB79_863
.LBB79_862:
	v_lshlrev_b32_e32 v3, 24, v4
	v_and_b32_e32 v4, 0xffff, v4
	v_and_b32_e32 v5, 7, v4
	v_ffbh_u32_e32 v7, v5
	v_min_u32_e32 v7, 32, v7
	v_subrev_u32_e32 v8, 28, v7
	v_bfe_u32 v6, v4, 3, 4
	v_lshlrev_b32_e32 v4, v8, v4
	v_sub_u32_e32 v7, 29, v7
	v_and_b32_e32 v4, 7, v4
	v_cmp_eq_u32_e32 vcc, 0, v6
	v_cndmask_b32_e32 v6, v6, v7, vcc
	v_cndmask_b32_e32 v4, v5, v4, vcc
	v_mov_b32_e32 v5, 0x3b800000
	v_lshlrev_b32_e32 v4, 20, v4
	v_and_b32_e32 v3, 0x80000000, v3
	v_lshl_add_u32 v5, v6, 23, v5
	v_or3_b32 v3, v3, v5, v4
	v_cvt_i32_f32_e32 v3, v3
.LBB79_863:
	s_or_b64 exec, exec, s[8:9]
.LBB79_864:
	s_mov_b64 s[8:9], -1
.LBB79_865:
	s_mov_b64 s[10:11], 0
.LBB79_866:
	s_and_b64 vcc, exec, s[10:11]
	s_cbranch_vccz .LBB79_897
; %bb.867:
	s_cmp_gt_i32 s12, 22
	s_cbranch_scc0 .LBB79_875
; %bb.868:
	s_cmp_lt_i32 s12, 24
	s_cbranch_scc1 .LBB79_878
; %bb.869:
	s_cmp_gt_i32 s12, 24
	s_cbranch_scc0 .LBB79_879
; %bb.870:
	global_load_ubyte v4, v[1:2], off
	s_movk_i32 s2, 0x7f
	s_mov_b64 s[8:9], 0
	s_waitcnt vmcnt(0)
	v_cmp_lt_i16_e32 vcc, s2, v4
	s_and_saveexec_b64 s[2:3], vcc
	s_xor_b64 s[2:3], exec, s[2:3]
	s_cbranch_execz .LBB79_891
; %bb.871:
	s_movk_i32 s8, 0x80
	v_cmp_ne_u16_e32 vcc, s8, v4
	s_and_b64 s[8:9], vcc, exec
	s_andn2_saveexec_b64 s[2:3], s[2:3]
	s_cbranch_execnz .LBB79_892
.LBB79_872:
	s_or_b64 exec, exec, s[2:3]
	v_mov_b32_e32 v3, 0
	s_and_saveexec_b64 s[2:3], s[8:9]
	s_cbranch_execz .LBB79_874
.LBB79_873:
	v_lshlrev_b32_e32 v3, 24, v4
	v_and_b32_e32 v4, 0xffff, v4
	v_and_b32_e32 v5, 3, v4
	v_ffbh_u32_e32 v7, v5
	v_min_u32_e32 v7, 32, v7
	v_subrev_u32_e32 v8, 29, v7
	v_bfe_u32 v6, v4, 2, 5
	v_lshlrev_b32_e32 v4, v8, v4
	v_sub_u32_e32 v7, 30, v7
	v_and_b32_e32 v4, 3, v4
	v_cmp_eq_u32_e32 vcc, 0, v6
	v_cndmask_b32_e32 v6, v6, v7, vcc
	v_cndmask_b32_e32 v4, v5, v4, vcc
	v_mov_b32_e32 v5, 0x37800000
	v_lshlrev_b32_e32 v4, 21, v4
	v_and_b32_e32 v3, 0x80000000, v3
	v_lshl_add_u32 v5, v6, 23, v5
	v_or3_b32 v3, v3, v5, v4
	v_cvt_i32_f32_e32 v3, v3
.LBB79_874:
	s_or_b64 exec, exec, s[2:3]
	s_mov_b64 s[2:3], 0
	s_branch .LBB79_880
.LBB79_875:
	s_mov_b64 s[2:3], -1
                                        ; implicit-def: $vgpr3
	s_branch .LBB79_886
.LBB79_876:
	s_andn2_saveexec_b64 s[8:9], s[8:9]
	s_cbranch_execz .LBB79_861
.LBB79_877:
	v_cmp_ne_u16_e32 vcc, 0, v4
	s_andn2_b64 s[10:11], s[10:11], exec
	s_and_b64 s[14:15], vcc, exec
	s_or_b64 s[10:11], s[10:11], s[14:15]
	s_or_b64 exec, exec, s[8:9]
	v_mov_b32_e32 v3, 0
	s_and_saveexec_b64 s[8:9], s[10:11]
	s_cbranch_execnz .LBB79_862
	s_branch .LBB79_863
.LBB79_878:
	s_mov_b64 s[2:3], -1
                                        ; implicit-def: $vgpr3
	s_branch .LBB79_883
.LBB79_879:
	s_mov_b64 s[2:3], -1
                                        ; implicit-def: $vgpr3
.LBB79_880:
	s_and_b64 vcc, exec, s[2:3]
	s_cbranch_vccz .LBB79_882
; %bb.881:
	global_load_ubyte v3, v[1:2], off
	s_mov_b32 s2, 0x7f800000
	s_waitcnt vmcnt(0)
	v_lshlrev_b32_e32 v3, 24, v3
	v_and_b32_e32 v4, 0x7f000000, v3
	v_ffbh_u32_e32 v5, v4
	v_min_u32_e32 v5, 32, v5
	v_sub_u32_e64 v5, v5, 4 clamp
	v_lshlrev_b32_e32 v7, v5, v4
	v_lshlrev_b32_e32 v5, 23, v5
	v_lshrrev_b32_e32 v7, 4, v7
	v_add_u32_e32 v6, 0x1000000, v4
	v_sub_u32_e32 v5, v7, v5
	v_ashrrev_i32_e32 v6, 8, v6
	v_add_u32_e32 v5, 0x3c000000, v5
	v_and_or_b32 v5, v6, s2, v5
	v_cmp_ne_u32_e32 vcc, 0, v4
	v_cndmask_b32_e32 v4, 0, v5, vcc
	s_brev_b32 s2, 1
	v_and_or_b32 v3, v3, s2, v4
	v_cvt_i32_f32_e32 v3, v3
.LBB79_882:
	s_mov_b64 s[2:3], 0
.LBB79_883:
	s_andn2_b64 vcc, exec, s[2:3]
	s_cbranch_vccnz .LBB79_885
; %bb.884:
	global_load_ubyte v3, v[1:2], off
	s_movk_i32 s2, 0x7f00
	s_brev_b32 s3, 16
	s_waitcnt vmcnt(0)
	v_lshlrev_b16_e32 v4, 8, v3
	v_lshlrev_b32_e32 v3, 25, v3
	v_lshrrev_b32_e32 v5, 4, v3
	v_and_or_b32 v6, v4, s2, 0.5
	v_or_b32_e32 v5, 0x70000000, v5
	v_add_f32_e32 v6, -0.5, v6
	v_mul_f32_e32 v5, 0x7800000, v5
	v_cmp_gt_u32_e32 vcc, s3, v3
	v_bfe_i32 v4, v4, 0, 16
	v_cndmask_b32_e32 v3, v5, v6, vcc
	s_brev_b32 s2, 1
	v_and_or_b32 v3, v4, s2, v3
	v_cvt_i32_f32_e32 v3, v3
.LBB79_885:
	s_mov_b64 s[2:3], 0
	s_mov_b64 s[8:9], -1
.LBB79_886:
	s_andn2_b64 vcc, exec, s[2:3]
	s_mov_b64 s[2:3], 0
	s_cbranch_vccnz .LBB79_897
; %bb.887:
	s_cmp_gt_i32 s12, 14
	s_cbranch_scc0 .LBB79_890
; %bb.888:
	s_cmp_eq_u32 s12, 15
	s_cbranch_scc0 .LBB79_893
; %bb.889:
	global_load_ushort v3, v[1:2], off
	s_mov_b64 s[0:1], 0
	s_mov_b64 s[8:9], -1
	s_waitcnt vmcnt(0)
	v_lshlrev_b32_e32 v3, 16, v3
	v_cvt_i32_f32_e32 v3, v3
	s_branch .LBB79_894
.LBB79_890:
	s_mov_b64 s[10:11], -1
                                        ; implicit-def: $vgpr3
	s_branch .LBB79_895
.LBB79_891:
	s_andn2_saveexec_b64 s[2:3], s[2:3]
	s_cbranch_execz .LBB79_872
.LBB79_892:
	v_cmp_ne_u16_e32 vcc, 0, v4
	s_andn2_b64 s[8:9], s[8:9], exec
	s_and_b64 s[10:11], vcc, exec
	s_or_b64 s[8:9], s[8:9], s[10:11]
	s_or_b64 exec, exec, s[2:3]
	v_mov_b32_e32 v3, 0
	s_and_saveexec_b64 s[2:3], s[8:9]
	s_cbranch_execnz .LBB79_873
	s_branch .LBB79_874
.LBB79_893:
	s_mov_b64 s[0:1], -1
                                        ; implicit-def: $vgpr3
.LBB79_894:
	s_mov_b64 s[10:11], 0
.LBB79_895:
	s_and_b64 vcc, exec, s[10:11]
	s_cbranch_vccz .LBB79_897
; %bb.896:
	s_cmp_lg_u32 s12, 11
	s_cselect_b64 s[10:11], -1, 0
	s_andn2_b64 s[0:1], s[0:1], exec
	s_and_b64 s[10:11], s[10:11], exec
	s_mov_b64 s[2:3], -1
	s_or_b64 s[0:1], s[0:1], s[10:11]
.LBB79_897:
	s_mov_b64 s[12:13], 0
.LBB79_898:
	s_and_b64 s[10:11], s[8:9], exec
	s_and_b64 s[8:9], s[12:13], exec
	s_andn2_b64 s[12:13], s[70:71], exec
	s_and_b64 s[0:1], s[0:1], exec
	s_and_b64 s[2:3], s[2:3], exec
	s_or_b64 s[12:13], s[12:13], s[0:1]
.LBB79_899:
	s_or_b64 exec, exec, s[74:75]
	s_and_b64 s[0:1], s[2:3], exec
	s_andn2_b64 s[2:3], s[70:71], exec
	s_and_b64 s[12:13], s[12:13], exec
	s_and_b64 s[10:11], s[10:11], exec
	;; [unrolled: 1-line block ×3, first 2 shown]
	s_or_b64 s[70:71], s[2:3], s[12:13]
.LBB79_900:
	s_or_b64 exec, exec, s[68:69]
	s_andn2_b64 s[2:3], s[64:65], exec
	s_and_b64 s[12:13], s[72:73], exec
	s_or_b64 s[64:65], s[2:3], s[12:13]
	s_and_b64 s[2:3], s[0:1], exec
	s_andn2_b64 s[0:1], s[62:63], exec
	s_and_b64 s[12:13], s[70:71], exec
	s_and_b64 s[10:11], s[10:11], exec
	;; [unrolled: 1-line block ×3, first 2 shown]
	s_or_b64 s[62:63], s[0:1], s[12:13]
.LBB79_901:
	s_or_b64 exec, exec, s[66:67]
	s_andn2_b64 s[0:1], s[56:57], exec
	s_and_b64 s[12:13], s[64:65], exec
	s_or_b64 s[56:57], s[0:1], s[12:13]
	s_and_b64 s[0:1], s[10:11], exec
	s_and_b64 s[10:11], s[8:9], exec
	;; [unrolled: 1-line block ×3, first 2 shown]
	s_andn2_b64 s[2:3], s[58:59], exec
	s_and_b64 s[8:9], s[62:63], exec
	s_or_b64 s[58:59], s[2:3], s[8:9]
	s_or_b64 exec, exec, s[60:61]
	s_mov_b64 s[2:3], 0
	s_and_saveexec_b64 s[8:9], s[58:59]
	s_cbranch_execz .LBB79_270
.LBB79_902:
	s_mov_b64 s[2:3], exec
	s_andn2_b64 s[64:65], s[64:65], exec
	s_trap 2
	s_or_b64 exec, exec, s[8:9]
	s_and_saveexec_b64 s[8:9], s[64:65]
	s_xor_b64 s[8:9], exec, s[8:9]
	s_cbranch_execnz .LBB79_271
.LBB79_903:
	s_or_b64 exec, exec, s[8:9]
	s_and_saveexec_b64 s[8:9], s[10:11]
	s_cbranch_execz .LBB79_949
.LBB79_904:
	s_sext_i32_i16 s10, s78
	s_cmp_lt_i32 s10, 5
	s_cbranch_scc1 .LBB79_909
; %bb.905:
	s_cmp_lt_i32 s10, 8
	s_cbranch_scc1 .LBB79_910
; %bb.906:
	s_cmp_lt_i32 s10, 9
	s_cbranch_scc1 .LBB79_911
; %bb.907:
	s_cmp_gt_i32 s10, 9
	s_cbranch_scc0 .LBB79_912
; %bb.908:
	global_load_dwordx2 v[3:4], v[1:2], off
	s_mov_b64 s[10:11], 0
	s_waitcnt vmcnt(0)
	v_cvt_i32_f64_e32 v3, v[3:4]
	s_branch .LBB79_913
.LBB79_909:
                                        ; implicit-def: $vgpr3
	s_branch .LBB79_930
.LBB79_910:
                                        ; implicit-def: $vgpr3
	s_branch .LBB79_919
.LBB79_911:
	s_mov_b64 s[10:11], -1
                                        ; implicit-def: $vgpr3
	s_branch .LBB79_916
.LBB79_912:
	s_mov_b64 s[10:11], -1
                                        ; implicit-def: $vgpr3
.LBB79_913:
	s_andn2_b64 vcc, exec, s[10:11]
	s_cbranch_vccnz .LBB79_915
; %bb.914:
	global_load_dword v3, v[1:2], off
	s_waitcnt vmcnt(0)
	v_cvt_i32_f32_e32 v3, v3
.LBB79_915:
	s_mov_b64 s[10:11], 0
.LBB79_916:
	s_andn2_b64 vcc, exec, s[10:11]
	s_cbranch_vccnz .LBB79_918
; %bb.917:
	global_load_dword v3, v[1:2], off
	s_waitcnt vmcnt(0)
	v_cvt_i16_f16_e32 v3, v3
.LBB79_918:
	s_cbranch_execnz .LBB79_929
.LBB79_919:
	s_sext_i32_i16 s10, s78
	s_cmp_lt_i32 s10, 6
	s_cbranch_scc1 .LBB79_922
; %bb.920:
	s_cmp_gt_i32 s10, 6
	s_cbranch_scc0 .LBB79_923
; %bb.921:
	global_load_dwordx2 v[3:4], v[1:2], off
	s_mov_b64 s[10:11], 0
	s_waitcnt vmcnt(0)
	v_cvt_i32_f64_e32 v3, v[3:4]
	s_branch .LBB79_924
.LBB79_922:
	s_mov_b64 s[10:11], -1
                                        ; implicit-def: $vgpr3
	s_branch .LBB79_927
.LBB79_923:
	s_mov_b64 s[10:11], -1
                                        ; implicit-def: $vgpr3
.LBB79_924:
	s_andn2_b64 vcc, exec, s[10:11]
	s_cbranch_vccnz .LBB79_926
; %bb.925:
	global_load_dword v3, v[1:2], off
	s_waitcnt vmcnt(0)
	v_cvt_i32_f32_e32 v3, v3
.LBB79_926:
	s_mov_b64 s[10:11], 0
.LBB79_927:
	s_andn2_b64 vcc, exec, s[10:11]
	s_cbranch_vccnz .LBB79_929
; %bb.928:
	global_load_ushort v3, v[1:2], off
	s_waitcnt vmcnt(0)
	v_cvt_i16_f16_e32 v3, v3
.LBB79_929:
	s_cbranch_execnz .LBB79_948
.LBB79_930:
	s_sext_i32_i16 s10, s78
	s_cmp_lt_i32 s10, 2
	s_cbranch_scc1 .LBB79_934
; %bb.931:
	s_cmp_lt_i32 s10, 3
	s_cbranch_scc1 .LBB79_935
; %bb.932:
	s_cmp_gt_i32 s10, 3
	s_cbranch_scc0 .LBB79_936
; %bb.933:
	global_load_dwordx2 v[3:4], v[1:2], off
	s_mov_b64 s[10:11], 0
	s_branch .LBB79_937
.LBB79_934:
                                        ; implicit-def: $vgpr3
	s_branch .LBB79_943
.LBB79_935:
	s_mov_b64 s[10:11], -1
                                        ; implicit-def: $vgpr3
	s_branch .LBB79_940
.LBB79_936:
	s_mov_b64 s[10:11], -1
                                        ; implicit-def: $vgpr3
.LBB79_937:
	s_andn2_b64 vcc, exec, s[10:11]
	s_cbranch_vccnz .LBB79_939
; %bb.938:
	global_load_dword v3, v[1:2], off
.LBB79_939:
	s_mov_b64 s[10:11], 0
.LBB79_940:
	s_andn2_b64 vcc, exec, s[10:11]
	s_cbranch_vccnz .LBB79_942
; %bb.941:
	global_load_ushort v3, v[1:2], off
.LBB79_942:
	s_cbranch_execnz .LBB79_948
.LBB79_943:
	s_sext_i32_i16 s10, s78
	s_cmp_gt_i32 s10, 0
	s_cbranch_scc0 .LBB79_945
; %bb.944:
	global_load_sbyte v3, v[1:2], off
	s_mov_b64 s[10:11], 0
	s_branch .LBB79_946
.LBB79_945:
	s_mov_b64 s[10:11], -1
                                        ; implicit-def: $vgpr3
.LBB79_946:
	s_andn2_b64 vcc, exec, s[10:11]
	s_cbranch_vccnz .LBB79_948
; %bb.947:
	global_load_ubyte v3, v[1:2], off
.LBB79_948:
	s_or_b64 s[0:1], s[0:1], exec
.LBB79_949:
	s_or_b64 exec, exec, s[8:9]
	s_mov_b64 s[14:15], 0
	s_mov_b64 s[12:13], 0
                                        ; implicit-def: $sgpr8_sgpr9
                                        ; implicit-def: $sgpr20
                                        ; implicit-def: $vgpr1_vgpr2
	s_and_saveexec_b64 s[10:11], s[0:1]
	s_cbranch_execz .LBB79_1024
; %bb.950:
	s_waitcnt vmcnt(0)
	v_cmp_ne_u16_e32 vcc, s45, v3
	s_xor_b64 s[8:9], s[46:47], vcc
	v_mov_b32_e32 v2, s25
	s_and_b32 s20, s77, 0xff
	v_add_co_u32_e32 v1, vcc, s24, v0
	s_cmp_lt_i32 s20, 11
	v_addc_co_u32_e32 v2, vcc, 0, v2, vcc
	s_cbranch_scc1 .LBB79_1027
; %bb.951:
	s_and_b32 s21, 0xffff, s20
	s_mov_b64 s[14:15], -1
	s_cmp_gt_i32 s21, 25
	s_mov_b64 s[0:1], s[56:57]
	s_cbranch_scc0 .LBB79_984
; %bb.952:
	s_mov_b64 s[12:13], -1
	s_cmp_gt_i32 s21, 28
	s_mov_b64 s[0:1], s[56:57]
	s_cbranch_scc0 .LBB79_968
; %bb.953:
	s_cmp_gt_i32 s21, 43
	s_mov_b64 s[0:1], s[56:57]
	s_cbranch_scc0 .LBB79_964
; %bb.954:
	;; [unrolled: 4-line block ×3, first 2 shown]
	s_cmp_eq_u32 s21, 46
	s_mov_b64 s[0:1], -1
	s_cbranch_scc0 .LBB79_957
; %bb.956:
	v_cndmask_b32_e64 v0, 0, 1.0, s[8:9]
	v_bfe_u32 v3, v0, 16, 1
	s_movk_i32 s0, 0x7fff
	v_add3_u32 v0, v0, v3, s0
	v_lshrrev_b32_e32 v0, 16, v0
	global_store_dword v[1:2], v0, off
	s_mov_b64 s[0:1], 0
.LBB79_957:
	s_mov_b64 s[12:13], 0
.LBB79_958:
	s_and_b64 vcc, exec, s[12:13]
	s_cbranch_vccz .LBB79_963
; %bb.959:
	s_cmp_eq_u32 s21, 44
	s_mov_b64 s[0:1], -1
	s_cbranch_scc0 .LBB79_963
; %bb.960:
	v_cndmask_b32_e64 v3, 0, 1.0, s[8:9]
	v_lshrrev_b32_e32 v0, 23, v3
	s_movk_i32 s0, 0xff
	v_cmp_ne_u32_e32 vcc, s0, v0
	v_mov_b32_e32 v4, 0xff
	s_and_saveexec_b64 s[12:13], vcc
; %bb.961:
	s_mov_b32 s0, 0x3fffff
	v_and_b32_e32 v4, 0x400000, v3
	v_and_or_b32 v3, v3, s0, v0
	v_cmp_ne_u32_e32 vcc, 0, v4
	v_cmp_ne_u32_e64 s[0:1], 0, v3
	s_and_b64 s[0:1], vcc, s[0:1]
	v_cndmask_b32_e64 v3, 0, 1, s[0:1]
	v_add_u32_e32 v4, v0, v3
; %bb.962:
	s_or_b64 exec, exec, s[12:13]
	s_mov_b64 s[0:1], 0
	global_store_byte v[1:2], v4, off
.LBB79_963:
	s_mov_b64 s[12:13], 0
.LBB79_964:
	s_and_b64 vcc, exec, s[12:13]
	s_cbranch_vccz .LBB79_967
; %bb.965:
	s_cmp_eq_u32 s21, 29
	s_mov_b64 s[0:1], -1
	s_cbranch_scc0 .LBB79_967
; %bb.966:
	s_mov_b32 s0, 0
	v_cndmask_b32_e64 v3, 0, 1, s[8:9]
	v_mov_b32_e32 v4, s0
	global_store_dwordx2 v[1:2], v[3:4], off
	s_mov_b64 s[0:1], 0
.LBB79_967:
	s_mov_b64 s[12:13], 0
.LBB79_968:
	s_and_b64 vcc, exec, s[12:13]
	s_cbranch_vccz .LBB79_983
; %bb.969:
	s_cmp_lt_i32 s21, 27
	s_mov_b64 s[12:13], -1
	s_cbranch_scc1 .LBB79_975
; %bb.970:
	s_cmp_gt_i32 s21, 27
	s_cbranch_scc0 .LBB79_972
; %bb.971:
	v_cndmask_b32_e64 v0, 0, 1, s[8:9]
	s_mov_b64 s[12:13], 0
	global_store_dword v[1:2], v0, off
.LBB79_972:
	s_andn2_b64 vcc, exec, s[12:13]
	s_cbranch_vccnz .LBB79_974
; %bb.973:
	v_cndmask_b32_e64 v0, 0, 1, s[8:9]
	global_store_short v[1:2], v0, off
.LBB79_974:
	s_mov_b64 s[12:13], 0
.LBB79_975:
	s_andn2_b64 vcc, exec, s[12:13]
	s_cbranch_vccnz .LBB79_983
; %bb.976:
	v_cndmask_b32_e64 v3, 0, 1.0, s[8:9]
	s_mov_b32 s12, 0x43800000
	v_cmp_gt_u32_e32 vcc, s12, v3
	v_mov_b32_e32 v4, 0x80
	s_and_saveexec_b64 s[12:13], vcc
	s_cbranch_execz .LBB79_982
; %bb.977:
	s_mov_b32 s14, 0x3bffffff
	v_cmp_lt_u32_e32 vcc, s14, v3
	s_mov_b64 s[14:15], 0
                                        ; implicit-def: $vgpr0
	s_and_saveexec_b64 s[16:17], vcc
	s_xor_b64 s[16:17], exec, s[16:17]
	s_cbranch_execz .LBB79_1140
; %bb.978:
	v_bfe_u32 v0, v3, 20, 1
	s_mov_b32 s18, 0x487ffff
	v_add3_u32 v0, v3, v0, s18
	s_mov_b64 s[14:15], exec
	v_lshrrev_b32_e32 v0, 20, v0
                                        ; implicit-def: $vgpr3
	s_andn2_saveexec_b64 s[16:17], s[16:17]
	s_cbranch_execnz .LBB79_1141
.LBB79_979:
	s_or_b64 exec, exec, s[16:17]
	v_mov_b32_e32 v4, 0
	s_and_saveexec_b64 s[16:17], s[14:15]
.LBB79_980:
	v_mov_b32_e32 v4, v0
.LBB79_981:
	s_or_b64 exec, exec, s[16:17]
.LBB79_982:
	s_or_b64 exec, exec, s[12:13]
	global_store_byte v[1:2], v4, off
.LBB79_983:
	s_mov_b64 s[14:15], 0
.LBB79_984:
	s_mov_b64 s[12:13], 0
	s_and_b64 vcc, exec, s[14:15]
	s_cbranch_vccz .LBB79_1028
; %bb.985:
	s_cmp_gt_i32 s21, 22
	s_mov_b64 s[14:15], -1
	s_cbranch_scc0 .LBB79_1017
; %bb.986:
	s_cmp_lt_i32 s21, 24
	s_cbranch_scc1 .LBB79_1006
; %bb.987:
	s_cmp_gt_i32 s21, 24
	s_cbranch_scc0 .LBB79_995
; %bb.988:
	v_cndmask_b32_e64 v3, 0, 1.0, s[8:9]
	s_mov_b32 s14, 0x47800000
	v_cmp_gt_u32_e32 vcc, s14, v3
	v_mov_b32_e32 v4, 0x80
	s_and_saveexec_b64 s[14:15], vcc
	s_cbranch_execz .LBB79_994
; %bb.989:
	s_mov_b32 s16, 0x37ffffff
	v_cmp_lt_u32_e32 vcc, s16, v3
	s_mov_b64 s[16:17], 0
                                        ; implicit-def: $vgpr0
	s_and_saveexec_b64 s[18:19], vcc
	s_xor_b64 s[18:19], exec, s[18:19]
	s_cbranch_execz .LBB79_1260
; %bb.990:
	v_bfe_u32 v0, v3, 21, 1
	s_mov_b32 s22, 0x88fffff
	v_add3_u32 v0, v3, v0, s22
	s_mov_b64 s[16:17], exec
	v_lshrrev_b32_e32 v0, 21, v0
                                        ; implicit-def: $vgpr3
	s_andn2_saveexec_b64 s[18:19], s[18:19]
	s_cbranch_execnz .LBB79_1261
.LBB79_991:
	s_or_b64 exec, exec, s[18:19]
	v_mov_b32_e32 v4, 0
	s_and_saveexec_b64 s[18:19], s[16:17]
.LBB79_992:
	v_mov_b32_e32 v4, v0
.LBB79_993:
	s_or_b64 exec, exec, s[18:19]
.LBB79_994:
	s_or_b64 exec, exec, s[14:15]
	s_mov_b64 s[14:15], 0
	global_store_byte v[1:2], v4, off
.LBB79_995:
	s_and_b64 vcc, exec, s[14:15]
	s_cbranch_vccz .LBB79_1005
; %bb.996:
	v_cndmask_b32_e64 v0, 0, 1.0, s[8:9]
	s_mov_b32 s14, 0x43f00000
	v_cmp_gt_u32_e32 vcc, s14, v0
                                        ; implicit-def: $vgpr3
	s_and_saveexec_b64 s[14:15], vcc
	s_xor_b64 s[14:15], exec, s[14:15]
	s_cbranch_execz .LBB79_1002
; %bb.997:
	s_mov_b32 s16, 0x3c7fffff
	v_cmp_lt_u32_e32 vcc, s16, v0
                                        ; implicit-def: $vgpr3
	s_and_saveexec_b64 s[16:17], vcc
	s_xor_b64 s[16:17], exec, s[16:17]
; %bb.998:
	v_bfe_u32 v3, v0, 20, 1
	s_mov_b32 s18, 0x407ffff
	v_add3_u32 v0, v0, v3, s18
	v_lshrrev_b32_e32 v3, 20, v0
	v_and_b32_e32 v0, 0xff00000, v0
	s_mov_b32 s18, 0x7f00000
	v_mov_b32_e32 v4, 0x7e
	v_cmp_ne_u32_e32 vcc, s18, v0
	v_cndmask_b32_e32 v3, v4, v3, vcc
                                        ; implicit-def: $vgpr0
; %bb.999:
	s_andn2_saveexec_b64 s[16:17], s[16:17]
; %bb.1000:
	v_add_f32_e32 v3, 0x46800000, v0
; %bb.1001:
	s_or_b64 exec, exec, s[16:17]
                                        ; implicit-def: $vgpr0
.LBB79_1002:
	s_andn2_saveexec_b64 s[14:15], s[14:15]
; %bb.1003:
	s_mov_b32 s16, 0x7f800000
	v_mov_b32_e32 v3, 0x7e
	v_mov_b32_e32 v4, 0x7f
	v_cmp_lt_u32_e32 vcc, s16, v0
	v_cndmask_b32_e32 v3, v3, v4, vcc
; %bb.1004:
	s_or_b64 exec, exec, s[14:15]
	global_store_byte v[1:2], v3, off
.LBB79_1005:
	s_mov_b64 s[14:15], 0
.LBB79_1006:
	s_andn2_b64 vcc, exec, s[14:15]
	s_cbranch_vccnz .LBB79_1016
; %bb.1007:
	v_cndmask_b32_e64 v0, 0, 1.0, s[8:9]
	s_mov_b32 s14, 0x47800000
	v_cmp_gt_u32_e32 vcc, s14, v0
                                        ; implicit-def: $vgpr3
	s_and_saveexec_b64 s[14:15], vcc
	s_xor_b64 s[14:15], exec, s[14:15]
	s_cbranch_execz .LBB79_1013
; %bb.1008:
	s_mov_b32 s16, 0x387fffff
	v_cmp_lt_u32_e32 vcc, s16, v0
                                        ; implicit-def: $vgpr3
	s_and_saveexec_b64 s[16:17], vcc
	s_xor_b64 s[16:17], exec, s[16:17]
; %bb.1009:
	v_bfe_u32 v3, v0, 21, 1
	s_mov_b32 s18, 0x80fffff
	v_add3_u32 v0, v0, v3, s18
	v_lshrrev_b32_e32 v3, 21, v0
                                        ; implicit-def: $vgpr0
; %bb.1010:
	s_andn2_saveexec_b64 s[16:17], s[16:17]
; %bb.1011:
	v_add_f32_e32 v3, 0x43000000, v0
; %bb.1012:
	s_or_b64 exec, exec, s[16:17]
                                        ; implicit-def: $vgpr0
.LBB79_1013:
	s_andn2_saveexec_b64 s[14:15], s[14:15]
; %bb.1014:
	s_mov_b32 s16, 0x7f800000
	v_mov_b32_e32 v3, 0x7c
	v_mov_b32_e32 v4, 0x7f
	v_cmp_lt_u32_e32 vcc, s16, v0
	v_cndmask_b32_e32 v3, v3, v4, vcc
; %bb.1015:
	s_or_b64 exec, exec, s[14:15]
	global_store_byte v[1:2], v3, off
.LBB79_1016:
	s_mov_b64 s[14:15], 0
.LBB79_1017:
	s_andn2_b64 vcc, exec, s[14:15]
	s_mov_b64 s[14:15], 0
	s_cbranch_vccnz .LBB79_1029
; %bb.1018:
	s_cmp_gt_i32 s21, 14
	s_mov_b64 s[16:17], -1
	s_cbranch_scc0 .LBB79_1022
; %bb.1019:
	s_cmp_eq_u32 s21, 15
	s_mov_b64 s[0:1], -1
	s_cbranch_scc0 .LBB79_1021
; %bb.1020:
	v_cndmask_b32_e64 v0, 0, 1.0, s[8:9]
	v_bfe_u32 v3, v0, 16, 1
	s_movk_i32 s0, 0x7fff
	v_add3_u32 v0, v0, v3, s0
	global_store_short_d16_hi v[1:2], v0, off
	s_mov_b64 s[0:1], 0
.LBB79_1021:
	s_mov_b64 s[16:17], 0
.LBB79_1022:
	s_and_b64 vcc, exec, s[16:17]
	s_cbranch_vccz .LBB79_1029
; %bb.1023:
	s_cmp_lg_u32 s21, 11
	s_cselect_b64 s[16:17], -1, 0
	s_andn2_b64 s[0:1], s[0:1], exec
	s_and_b64 s[16:17], s[16:17], exec
	s_mov_b64 s[14:15], -1
	s_or_b64 s[0:1], s[0:1], s[16:17]
	s_branch .LBB79_1029
.LBB79_1024:
	s_or_b64 exec, exec, s[10:11]
	s_and_saveexec_b64 s[0:1], s[56:57]
	s_cbranch_execnz .LBB79_1030
.LBB79_1025:
	s_or_b64 exec, exec, s[0:1]
	s_and_saveexec_b64 s[0:1], s[14:15]
	s_xor_b64 s[0:1], exec, s[0:1]
	s_cbranch_execz .LBB79_1031
.LBB79_1026:
	v_cndmask_b32_e64 v0, 0, 1, s[8:9]
	global_store_byte v[1:2], v0, off
	s_or_b64 exec, exec, s[0:1]
	s_and_saveexec_b64 s[0:1], s[12:13]
	s_xor_b64 s[0:1], exec, s[0:1]
	s_cbranch_execz .LBB79_1069
	s_branch .LBB79_1032
.LBB79_1027:
	s_mov_b64 s[12:13], -1
	s_mov_b64 s[0:1], s[56:57]
	s_branch .LBB79_1029
.LBB79_1028:
	s_mov_b64 s[14:15], 0
.LBB79_1029:
	s_andn2_b64 s[16:17], s[56:57], exec
	s_and_b64 s[0:1], s[0:1], exec
	s_and_b64 s[12:13], s[12:13], exec
	s_and_b64 s[14:15], s[14:15], exec
	s_or_b64 s[56:57], s[16:17], s[0:1]
	s_or_b64 exec, exec, s[10:11]
	s_and_saveexec_b64 s[0:1], s[56:57]
	s_cbranch_execz .LBB79_1025
.LBB79_1030:
	s_or_b64 s[2:3], s[2:3], exec
	s_andn2_b64 s[14:15], s[14:15], exec
	s_trap 2
	s_or_b64 exec, exec, s[0:1]
	s_and_saveexec_b64 s[0:1], s[14:15]
	s_xor_b64 s[0:1], exec, s[0:1]
	s_cbranch_execnz .LBB79_1026
.LBB79_1031:
	s_or_b64 exec, exec, s[0:1]
	s_and_saveexec_b64 s[0:1], s[12:13]
	s_xor_b64 s[0:1], exec, s[0:1]
	s_cbranch_execz .LBB79_1069
.LBB79_1032:
	s_sext_i32_i16 s12, s20
	s_cmp_lt_i32 s12, 5
	s_mov_b64 s[10:11], -1
	s_cbranch_scc1 .LBB79_1053
; %bb.1033:
	s_cmp_lt_i32 s12, 8
	s_cbranch_scc1 .LBB79_1043
; %bb.1034:
	s_cmp_lt_i32 s12, 9
	s_cbranch_scc1 .LBB79_1040
; %bb.1035:
	s_cmp_gt_i32 s12, 9
	s_cbranch_scc0 .LBB79_1037
; %bb.1036:
	v_cndmask_b32_e64 v0, 0, 1, s[8:9]
	s_waitcnt vmcnt(0)
	v_cvt_f64_u32_e32 v[3:4], v0
	v_mov_b32_e32 v5, 0
	v_mov_b32_e32 v6, v5
	s_mov_b64 s[10:11], 0
	global_store_dwordx4 v[1:2], v[3:6], off
.LBB79_1037:
	s_andn2_b64 vcc, exec, s[10:11]
	s_cbranch_vccnz .LBB79_1039
; %bb.1038:
	s_waitcnt vmcnt(0)
	v_cndmask_b32_e64 v3, 0, 1.0, s[8:9]
	v_mov_b32_e32 v4, 0
	global_store_dwordx2 v[1:2], v[3:4], off
.LBB79_1039:
	s_mov_b64 s[10:11], 0
.LBB79_1040:
	s_andn2_b64 vcc, exec, s[10:11]
	s_cbranch_vccnz .LBB79_1042
; %bb.1041:
	v_cndmask_b32_e64 v0, 0, 1.0, s[8:9]
	v_cvt_f16_f32_e32 v0, v0
	global_store_dword v[1:2], v0, off
.LBB79_1042:
	s_mov_b64 s[10:11], 0
.LBB79_1043:
	s_andn2_b64 vcc, exec, s[10:11]
	s_cbranch_vccnz .LBB79_1052
; %bb.1044:
	s_sext_i32_i16 s12, s20
	s_cmp_lt_i32 s12, 6
	s_mov_b64 s[10:11], -1
	s_cbranch_scc1 .LBB79_1050
; %bb.1045:
	s_cmp_gt_i32 s12, 6
	s_cbranch_scc0 .LBB79_1047
; %bb.1046:
	v_cndmask_b32_e64 v0, 0, 1, s[8:9]
	s_waitcnt vmcnt(0)
	v_cvt_f64_u32_e32 v[3:4], v0
	s_mov_b64 s[10:11], 0
	global_store_dwordx2 v[1:2], v[3:4], off
.LBB79_1047:
	s_andn2_b64 vcc, exec, s[10:11]
	s_cbranch_vccnz .LBB79_1049
; %bb.1048:
	v_cndmask_b32_e64 v0, 0, 1.0, s[8:9]
	global_store_dword v[1:2], v0, off
.LBB79_1049:
	s_mov_b64 s[10:11], 0
.LBB79_1050:
	s_andn2_b64 vcc, exec, s[10:11]
	s_cbranch_vccnz .LBB79_1052
; %bb.1051:
	v_cndmask_b32_e64 v0, 0, 1.0, s[8:9]
	v_cvt_f16_f32_e32 v0, v0
	global_store_short v[1:2], v0, off
.LBB79_1052:
	s_mov_b64 s[10:11], 0
.LBB79_1053:
	s_andn2_b64 vcc, exec, s[10:11]
	s_cbranch_vccnz .LBB79_1069
; %bb.1054:
	s_sext_i32_i16 s12, s20
	s_cmp_lt_i32 s12, 2
	s_mov_b64 s[10:11], -1
	s_cbranch_scc1 .LBB79_1064
; %bb.1055:
	s_cmp_lt_i32 s12, 3
	s_cbranch_scc1 .LBB79_1061
; %bb.1056:
	s_cmp_gt_i32 s12, 3
	s_cbranch_scc0 .LBB79_1058
; %bb.1057:
	s_mov_b32 s10, 0
	s_waitcnt vmcnt(0)
	v_cndmask_b32_e64 v3, 0, 1, s[8:9]
	v_mov_b32_e32 v4, s10
	s_mov_b64 s[10:11], 0
	global_store_dwordx2 v[1:2], v[3:4], off
.LBB79_1058:
	s_andn2_b64 vcc, exec, s[10:11]
	s_cbranch_vccnz .LBB79_1060
; %bb.1059:
	v_cndmask_b32_e64 v0, 0, 1, s[8:9]
	global_store_dword v[1:2], v0, off
.LBB79_1060:
	s_mov_b64 s[10:11], 0
.LBB79_1061:
	s_andn2_b64 vcc, exec, s[10:11]
	s_cbranch_vccnz .LBB79_1063
; %bb.1062:
	v_cndmask_b32_e64 v0, 0, 1, s[8:9]
	global_store_short v[1:2], v0, off
.LBB79_1063:
	s_mov_b64 s[10:11], 0
.LBB79_1064:
	s_andn2_b64 vcc, exec, s[10:11]
	s_cbranch_vccnz .LBB79_1069
; %bb.1065:
	s_sext_i32_i16 s10, s20
	s_cmp_gt_i32 s10, 0
	s_mov_b64 s[10:11], -1
	s_cbranch_scc0 .LBB79_1067
; %bb.1066:
	v_cndmask_b32_e64 v0, 0, 1, s[8:9]
	s_mov_b64 s[10:11], 0
	global_store_byte v[1:2], v0, off
.LBB79_1067:
	s_andn2_b64 vcc, exec, s[10:11]
	s_cbranch_vccnz .LBB79_1069
; %bb.1068:
	v_cndmask_b32_e64 v0, 0, 1, s[8:9]
	global_store_byte v[1:2], v0, off
.LBB79_1069:
	s_or_b64 exec, exec, s[0:1]
	s_and_b64 s[28:29], s[2:3], exec
                                        ; implicit-def: $vgpr15
                                        ; implicit-def: $vgpr8
.LBB79_1070:
	s_or_saveexec_b64 s[30:31], s[42:43]
	s_mov_b64 s[0:1], 0
                                        ; implicit-def: $sgpr10_sgpr11
                                        ; implicit-def: $vgpr0_vgpr1
                                        ; implicit-def: $sgpr20
	s_xor_b64 exec, exec, s[30:31]
	s_cbranch_execz .LBB79_2057
; %bb.1071:
	v_cndmask_b32_e64 v0, 0, 1, s[40:41]
	v_cmp_ne_u32_e64 s[0:1], 1, v0
	s_andn2_b64 vcc, exec, s[40:41]
	s_cbranch_vccnz .LBB79_1077
; %bb.1072:
	s_cmp_lg_u32 s33, 0
	s_mov_b32 s36, 0
	s_cbranch_scc0 .LBB79_1078
; %bb.1073:
	s_min_u32 s37, s76, 15
	s_add_i32 s37, s37, 1
	s_cmp_eq_u32 s76, 2
	s_cbranch_scc1 .LBB79_1079
; %bb.1074:
	s_and_b32 s36, s37, 28
	s_add_u32 s2, s34, 0xc4
	s_addc_u32 s3, s35, 0
	v_mov_b32_e32 v13, 0
	s_mov_b32 s38, 0
	s_mov_b64 s[6:7], s[34:35]
	v_mov_b32_e32 v6, 0
	v_mov_b32_e32 v0, v8
.LBB79_1075:                            ; =>This Inner Loop Header: Depth=1
	s_load_dwordx8 s[16:23], s[6:7], 0x4
	s_load_dwordx4 s[24:27], s[6:7], 0x24
	s_load_dwordx8 s[8:15], s[2:3], 0x0
	s_add_u32 s6, s6, 48
	s_addc_u32 s7, s7, 0
	s_waitcnt lgkmcnt(0)
	v_mul_hi_u32 v1, s17, v0
	s_add_i32 s38, s38, 4
	s_add_u32 s2, s2, 32
	s_addc_u32 s3, s3, 0
	v_add_u32_e32 v1, v0, v1
	v_lshrrev_b32_e32 v1, s18, v1
	v_mul_lo_u32 v2, v1, s16
	s_waitcnt vmcnt(0)
	v_mul_hi_u32 v3, s20, v1
	s_cmp_lg_u32 s36, s38
	v_sub_u32_e32 v0, v0, v2
	v_add_u32_e32 v2, v1, v3
	v_mul_lo_u32 v3, v0, s8
	v_mul_lo_u32 v4, v0, s9
	v_lshrrev_b32_e32 v0, s21, v2
	v_mul_lo_u32 v2, v0, s19
	v_mul_hi_u32 v5, s23, v0
	v_sub_u32_e32 v1, v1, v2
	v_add_u32_e32 v2, v0, v5
	v_lshrrev_b32_e32 v2, s24, v2
	v_mul_hi_u32 v7, s26, v2
	v_mul_lo_u32 v9, v2, s22
	v_mul_lo_u32 v5, v1, s10
	;; [unrolled: 1-line block ×3, first 2 shown]
	v_sub_u32_e32 v9, v0, v9
	v_add_u32_e32 v0, v2, v7
	v_lshrrev_b32_e32 v0, s27, v0
	v_mul_lo_u32 v7, v0, s25
	v_mul_lo_u32 v10, v9, s12
	;; [unrolled: 1-line block ×3, first 2 shown]
	v_add3_u32 v3, v3, v6, v5
	v_sub_u32_e32 v2, v2, v7
	v_mul_lo_u32 v7, v2, s14
	v_mul_lo_u32 v2, v2, s15
	v_add3_u32 v1, v4, v13, v1
	v_add3_u32 v6, v10, v3, v7
	;; [unrolled: 1-line block ×3, first 2 shown]
	s_cbranch_scc1 .LBB79_1075
; %bb.1076:
	s_and_b32 s8, s37, 3
	s_cmp_eq_u32 s8, 0
	s_cbranch_scc0 .LBB79_1080
	s_branch .LBB79_1082
.LBB79_1077:
                                        ; implicit-def: $vgpr6
                                        ; implicit-def: $vgpr13
	s_branch .LBB79_1083
.LBB79_1078:
	v_mov_b32_e32 v6, 0
	v_mov_b32_e32 v13, 0
	s_branch .LBB79_1082
.LBB79_1079:
	v_mov_b32_e32 v6, 0
	v_mov_b32_e32 v13, 0
	;; [unrolled: 1-line block ×3, first 2 shown]
	s_and_b32 s8, s37, 3
	s_cmp_eq_u32 s8, 0
	s_cbranch_scc1 .LBB79_1082
.LBB79_1080:
	s_lshl_b32 s2, s36, 3
	s_add_u32 s2, s34, s2
	s_addc_u32 s3, s35, 0
	s_add_u32 s2, s2, 0xc4
	s_addc_u32 s3, s3, 0
	s_mul_i32 s6, s36, 12
	s_add_u32 s6, s34, s6
	s_addc_u32 s7, s35, 0
.LBB79_1081:                            ; =>This Inner Loop Header: Depth=1
	s_load_dwordx2 s[10:11], s[6:7], 0x4
	s_load_dword s9, s[6:7], 0xc
	s_load_dwordx2 s[12:13], s[2:3], 0x0
	s_add_u32 s6, s6, 12
	s_addc_u32 s7, s7, 0
	s_waitcnt lgkmcnt(0)
	v_mul_hi_u32 v1, s11, v0
	s_add_u32 s2, s2, 8
	s_addc_u32 s3, s3, 0
	s_add_i32 s8, s8, -1
	v_add_u32_e32 v1, v0, v1
	v_lshrrev_b32_e32 v1, s9, v1
	v_mul_lo_u32 v2, v1, s10
	s_cmp_lg_u32 s8, 0
	v_sub_u32_e32 v0, v0, v2
	v_mad_u64_u32 v[6:7], s[10:11], v0, s12, v[6:7]
	v_mad_u64_u32 v[13:14], s[10:11], v0, s13, v[13:14]
	v_mov_b32_e32 v0, v1
	s_cbranch_scc1 .LBB79_1081
.LBB79_1082:
	s_cbranch_execnz .LBB79_1085
.LBB79_1083:
	s_load_dwordx4 s[8:11], s[34:35], 0x4
	s_load_dwordx2 s[2:3], s[34:35], 0xc4
	s_cmp_lt_u32 s33, 2
	s_waitcnt lgkmcnt(0)
	v_mul_hi_u32 v0, s9, v8
	v_add_u32_e32 v0, v8, v0
	v_lshrrev_b32_e32 v0, s10, v0
	v_mul_lo_u32 v1, v0, s8
	v_sub_u32_e32 v1, v8, v1
	v_mul_lo_u32 v6, v1, s2
	v_mul_lo_u32 v13, v1, s3
	s_cbranch_scc1 .LBB79_1085
; %bb.1084:
	s_load_dwordx4 s[8:11], s[34:35], 0x10
	s_load_dwordx2 s[2:3], s[34:35], 0xcc
	s_waitcnt lgkmcnt(0)
	v_mul_hi_u32 v1, s9, v0
	v_add_u32_e32 v1, v0, v1
	v_lshrrev_b32_e32 v1, s10, v1
	v_mul_lo_u32 v1, v1, s8
	v_sub_u32_e32 v0, v0, v1
	v_mad_u64_u32 v[6:7], s[6:7], v0, s2, v[6:7]
	v_mad_u64_u32 v[13:14], s[2:3], v0, s3, v[13:14]
.LBB79_1085:
	s_and_b64 vcc, exec, s[0:1]
	v_add_u32_e32 v0, 0x80, v8
	s_cbranch_vccnz .LBB79_1091
; %bb.1086:
	s_cmp_lg_u32 s33, 0
	s_mov_b32 s36, 0
	s_cbranch_scc0 .LBB79_1092
; %bb.1087:
	s_min_u32 s37, s76, 15
	s_add_i32 s37, s37, 1
	s_cmp_eq_u32 s76, 2
	s_cbranch_scc1 .LBB79_1093
; %bb.1088:
	s_and_b32 s36, s37, 28
	s_add_u32 s2, s34, 0xc4
	s_addc_u32 s3, s35, 0
	v_mov_b32_e32 v11, 0
	s_mov_b32 s38, 0
	s_mov_b64 s[6:7], s[34:35]
	s_waitcnt vmcnt(0)
	v_mov_b32_e32 v4, 0
	v_mov_b32_e32 v1, v0
.LBB79_1089:                            ; =>This Inner Loop Header: Depth=1
	s_load_dwordx8 s[16:23], s[6:7], 0x4
	s_load_dwordx4 s[24:27], s[6:7], 0x24
	s_load_dwordx8 s[8:15], s[2:3], 0x0
	s_add_u32 s6, s6, 48
	s_addc_u32 s7, s7, 0
	s_waitcnt lgkmcnt(0)
	v_mul_hi_u32 v2, s17, v1
	s_add_i32 s38, s38, 4
	s_add_u32 s2, s2, 32
	s_addc_u32 s3, s3, 0
	v_add_u32_e32 v2, v1, v2
	v_lshrrev_b32_e32 v2, s18, v2
	v_mul_lo_u32 v3, v2, s16
	v_mul_hi_u32 v5, s20, v2
	s_cmp_lg_u32 s36, s38
	v_sub_u32_e32 v1, v1, v3
	v_add_u32_e32 v3, v2, v5
	v_mul_lo_u32 v5, v1, s8
	v_mul_lo_u32 v7, v1, s9
	v_lshrrev_b32_e32 v1, s21, v3
	v_mul_lo_u32 v3, v1, s19
	v_mul_hi_u32 v9, s23, v1
	v_sub_u32_e32 v2, v2, v3
	v_add_u32_e32 v3, v1, v9
	v_lshrrev_b32_e32 v3, s24, v3
	v_mul_hi_u32 v10, s26, v3
	v_mul_lo_u32 v12, v3, s22
	v_mul_lo_u32 v9, v2, s10
	;; [unrolled: 1-line block ×3, first 2 shown]
	v_sub_u32_e32 v12, v1, v12
	v_add_u32_e32 v1, v3, v10
	v_lshrrev_b32_e32 v1, s27, v1
	v_mul_lo_u32 v10, v1, s25
	v_mul_lo_u32 v14, v12, s12
	;; [unrolled: 1-line block ×3, first 2 shown]
	v_add3_u32 v4, v5, v4, v9
	v_sub_u32_e32 v3, v3, v10
	v_mul_lo_u32 v10, v3, s14
	v_mul_lo_u32 v3, v3, s15
	v_add3_u32 v2, v7, v11, v2
	v_add3_u32 v4, v14, v4, v10
	v_add3_u32 v11, v12, v2, v3
	s_cbranch_scc1 .LBB79_1089
; %bb.1090:
	s_and_b32 s8, s37, 3
	s_cmp_eq_u32 s8, 0
	s_cbranch_scc0 .LBB79_1094
	s_branch .LBB79_1096
.LBB79_1091:
                                        ; implicit-def: $vgpr4
                                        ; implicit-def: $vgpr11
	s_branch .LBB79_1097
.LBB79_1092:
	s_waitcnt vmcnt(0)
	v_mov_b32_e32 v4, 0
	v_mov_b32_e32 v11, 0
	s_branch .LBB79_1096
.LBB79_1093:
	s_waitcnt vmcnt(0)
	v_mov_b32_e32 v4, 0
	v_mov_b32_e32 v11, 0
	;; [unrolled: 1-line block ×3, first 2 shown]
	s_and_b32 s8, s37, 3
	s_cmp_eq_u32 s8, 0
	s_cbranch_scc1 .LBB79_1096
.LBB79_1094:
	s_lshl_b32 s2, s36, 3
	s_add_u32 s2, s34, s2
	s_addc_u32 s3, s35, 0
	s_add_u32 s2, s2, 0xc4
	s_addc_u32 s3, s3, 0
	s_mul_i32 s6, s36, 12
	s_add_u32 s6, s34, s6
	s_addc_u32 s7, s35, 0
.LBB79_1095:                            ; =>This Inner Loop Header: Depth=1
	s_load_dwordx2 s[10:11], s[6:7], 0x4
	s_load_dword s9, s[6:7], 0xc
	s_load_dwordx2 s[12:13], s[2:3], 0x0
	s_add_u32 s6, s6, 12
	s_addc_u32 s7, s7, 0
	s_waitcnt lgkmcnt(0)
	v_mul_hi_u32 v2, s11, v1
	s_add_u32 s2, s2, 8
	s_addc_u32 s3, s3, 0
	s_add_i32 s8, s8, -1
	v_add_u32_e32 v2, v1, v2
	v_lshrrev_b32_e32 v2, s9, v2
	v_mul_lo_u32 v3, v2, s10
	s_cmp_lg_u32 s8, 0
	v_sub_u32_e32 v1, v1, v3
	v_mad_u64_u32 v[4:5], s[10:11], v1, s12, v[4:5]
	v_mad_u64_u32 v[11:12], s[10:11], v1, s13, v[11:12]
	v_mov_b32_e32 v1, v2
	s_cbranch_scc1 .LBB79_1095
.LBB79_1096:
	s_cbranch_execnz .LBB79_1099
.LBB79_1097:
	s_load_dwordx4 s[8:11], s[34:35], 0x4
	s_load_dwordx2 s[2:3], s[34:35], 0xc4
	s_cmp_lt_u32 s33, 2
	s_waitcnt lgkmcnt(0)
	v_mul_hi_u32 v1, s9, v0
	v_add_u32_e32 v1, v0, v1
	v_lshrrev_b32_e32 v1, s10, v1
	v_mul_lo_u32 v2, v1, s8
	v_sub_u32_e32 v0, v0, v2
	s_waitcnt vmcnt(0)
	v_mul_lo_u32 v4, v0, s2
	v_mul_lo_u32 v11, v0, s3
	s_cbranch_scc1 .LBB79_1099
; %bb.1098:
	s_load_dwordx4 s[8:11], s[34:35], 0x10
	s_load_dwordx2 s[2:3], s[34:35], 0xcc
	s_waitcnt lgkmcnt(0)
	v_mul_hi_u32 v0, s9, v1
	v_add_u32_e32 v0, v1, v0
	v_lshrrev_b32_e32 v0, s10, v0
	v_mul_lo_u32 v0, v0, s8
	v_sub_u32_e32 v0, v1, v0
	v_mad_u64_u32 v[4:5], s[6:7], v0, s2, v[4:5]
	v_mad_u64_u32 v[11:12], s[2:3], v0, s3, v[11:12]
.LBB79_1099:
	s_and_b64 vcc, exec, s[0:1]
	v_add_u32_e32 v0, 0x100, v8
	s_cbranch_vccnz .LBB79_1105
; %bb.1100:
	s_cmp_lg_u32 s33, 0
	s_mov_b32 s36, 0
	s_cbranch_scc0 .LBB79_1106
; %bb.1101:
	s_min_u32 s37, s76, 15
	s_add_i32 s37, s37, 1
	s_cmp_eq_u32 s76, 2
	s_cbranch_scc1 .LBB79_1107
; %bb.1102:
	s_and_b32 s36, s37, 28
	s_add_u32 s2, s34, 0xc4
	s_addc_u32 s3, s35, 0
	v_mov_b32_e32 v9, 0
	s_mov_b32 s38, 0
	s_mov_b64 s[6:7], s[34:35]
	v_mov_b32_e32 v2, 0
	v_mov_b32_e32 v1, v0
.LBB79_1103:                            ; =>This Inner Loop Header: Depth=1
	s_load_dwordx8 s[16:23], s[6:7], 0x4
	s_load_dwordx4 s[24:27], s[6:7], 0x24
	s_load_dwordx8 s[8:15], s[2:3], 0x0
	s_add_u32 s6, s6, 48
	s_addc_u32 s7, s7, 0
	s_waitcnt vmcnt(0) lgkmcnt(0)
	v_mul_hi_u32 v3, s17, v1
	s_add_i32 s38, s38, 4
	s_add_u32 s2, s2, 32
	s_addc_u32 s3, s3, 0
	v_add_u32_e32 v3, v1, v3
	v_lshrrev_b32_e32 v3, s18, v3
	v_mul_lo_u32 v5, v3, s16
	v_mul_hi_u32 v7, s20, v3
	s_cmp_lg_u32 s36, s38
	v_sub_u32_e32 v1, v1, v5
	v_add_u32_e32 v5, v3, v7
	v_mul_lo_u32 v7, v1, s8
	v_mul_lo_u32 v8, v1, s9
	v_lshrrev_b32_e32 v1, s21, v5
	v_mul_lo_u32 v5, v1, s19
	v_mul_hi_u32 v10, s23, v1
	v_sub_u32_e32 v3, v3, v5
	v_add_u32_e32 v5, v1, v10
	v_lshrrev_b32_e32 v5, s24, v5
	v_mul_hi_u32 v12, s26, v5
	v_mul_lo_u32 v14, v5, s22
	v_mul_lo_u32 v10, v3, s10
	;; [unrolled: 1-line block ×3, first 2 shown]
	v_sub_u32_e32 v14, v1, v14
	v_add_u32_e32 v1, v5, v12
	v_lshrrev_b32_e32 v1, s27, v1
	v_mul_lo_u32 v12, v1, s25
	v_mul_lo_u32 v16, v14, s12
	v_mul_lo_u32 v14, v14, s13
	v_add3_u32 v2, v7, v2, v10
	v_sub_u32_e32 v5, v5, v12
	v_mul_lo_u32 v12, v5, s14
	v_mul_lo_u32 v5, v5, s15
	v_add3_u32 v3, v8, v9, v3
	v_add3_u32 v2, v16, v2, v12
	;; [unrolled: 1-line block ×3, first 2 shown]
	s_cbranch_scc1 .LBB79_1103
; %bb.1104:
	s_and_b32 s8, s37, 3
	s_cmp_eq_u32 s8, 0
	s_cbranch_scc0 .LBB79_1108
	s_branch .LBB79_1110
.LBB79_1105:
                                        ; implicit-def: $vgpr2
                                        ; implicit-def: $vgpr9
	s_branch .LBB79_1111
.LBB79_1106:
	v_mov_b32_e32 v2, 0
	v_mov_b32_e32 v9, 0
	s_branch .LBB79_1110
.LBB79_1107:
	v_mov_b32_e32 v2, 0
	v_mov_b32_e32 v9, 0
	;; [unrolled: 1-line block ×3, first 2 shown]
	s_and_b32 s8, s37, 3
	s_cmp_eq_u32 s8, 0
	s_cbranch_scc1 .LBB79_1110
.LBB79_1108:
	s_lshl_b32 s2, s36, 3
	s_add_u32 s2, s34, s2
	s_addc_u32 s3, s35, 0
	s_add_u32 s2, s2, 0xc4
	s_addc_u32 s3, s3, 0
	s_mul_i32 s6, s36, 12
	s_add_u32 s6, s34, s6
	s_addc_u32 s7, s35, 0
.LBB79_1109:                            ; =>This Inner Loop Header: Depth=1
	s_load_dwordx2 s[10:11], s[6:7], 0x4
	s_load_dword s9, s[6:7], 0xc
	s_load_dwordx2 s[12:13], s[2:3], 0x0
	s_add_u32 s6, s6, 12
	s_addc_u32 s7, s7, 0
	s_waitcnt vmcnt(0) lgkmcnt(0)
	v_mul_hi_u32 v3, s11, v1
	s_add_u32 s2, s2, 8
	s_addc_u32 s3, s3, 0
	s_add_i32 s8, s8, -1
	v_add_u32_e32 v3, v1, v3
	v_lshrrev_b32_e32 v5, s9, v3
	v_mul_lo_u32 v3, v5, s10
	s_cmp_lg_u32 s8, 0
	v_sub_u32_e32 v1, v1, v3
	v_mad_u64_u32 v[2:3], s[10:11], v1, s12, v[2:3]
	v_mad_u64_u32 v[9:10], s[10:11], v1, s13, v[9:10]
	v_mov_b32_e32 v1, v5
	s_cbranch_scc1 .LBB79_1109
.LBB79_1110:
	s_cbranch_execnz .LBB79_1113
.LBB79_1111:
	s_load_dwordx4 s[8:11], s[34:35], 0x4
	s_load_dwordx2 s[2:3], s[34:35], 0xc4
	s_cmp_lt_u32 s33, 2
	s_waitcnt lgkmcnt(0)
	v_mul_hi_u32 v1, s9, v0
	v_add_u32_e32 v1, v0, v1
	v_lshrrev_b32_e32 v1, s10, v1
	v_mul_lo_u32 v2, v1, s8
	v_sub_u32_e32 v0, v0, v2
	v_mul_lo_u32 v2, v0, s2
	v_mul_lo_u32 v9, v0, s3
	s_cbranch_scc1 .LBB79_1113
; %bb.1112:
	s_load_dwordx4 s[8:11], s[34:35], 0x10
	s_load_dwordx2 s[2:3], s[34:35], 0xcc
	s_waitcnt lgkmcnt(0)
	v_mul_hi_u32 v0, s9, v1
	v_add_u32_e32 v0, v1, v0
	v_lshrrev_b32_e32 v0, s10, v0
	v_mul_lo_u32 v0, v0, s8
	v_sub_u32_e32 v0, v1, v0
	s_waitcnt vmcnt(0)
	v_mad_u64_u32 v[2:3], s[6:7], v0, s2, v[2:3]
	v_mad_u64_u32 v[9:10], s[2:3], v0, s3, v[9:10]
.LBB79_1113:
	s_and_b64 vcc, exec, s[0:1]
	s_cbranch_vccnz .LBB79_1119
; %bb.1114:
	s_cmp_lg_u32 s33, 0
	s_mov_b32 s26, 0
	s_cbranch_scc0 .LBB79_1120
; %bb.1115:
	s_min_u32 s27, s76, 15
	s_add_i32 s27, s27, 1
	s_cmp_eq_u32 s76, 2
	s_cbranch_scc1 .LBB79_1121
; %bb.1116:
	s_and_b32 s26, s27, 28
	s_add_u32 s6, s34, 0xc4
	s_addc_u32 s7, s35, 0
	v_mov_b32_e32 v7, 0
	s_mov_b32 s36, 0
	s_mov_b64 s[24:25], s[34:35]
	v_mov_b32_e32 v0, 0
	v_mov_b32_e32 v1, v15
.LBB79_1117:                            ; =>This Inner Loop Header: Depth=1
	s_load_dwordx8 s[16:23], s[24:25], 0x4
	s_load_dwordx4 s[0:3], s[24:25], 0x24
	s_load_dwordx8 s[8:15], s[6:7], 0x0
	s_add_u32 s24, s24, 48
	s_addc_u32 s25, s25, 0
	s_waitcnt vmcnt(0) lgkmcnt(0)
	v_mul_hi_u32 v3, s17, v1
	s_add_i32 s36, s36, 4
	s_add_u32 s6, s6, 32
	s_addc_u32 s7, s7, 0
	v_add_u32_e32 v3, v1, v3
	v_lshrrev_b32_e32 v3, s18, v3
	v_mul_lo_u32 v5, v3, s16
	v_mul_hi_u32 v8, s20, v3
	s_cmp_lg_u32 s26, s36
	v_sub_u32_e32 v1, v1, v5
	v_add_u32_e32 v5, v3, v8
	v_mul_lo_u32 v8, v1, s8
	v_mul_lo_u32 v10, v1, s9
	v_lshrrev_b32_e32 v1, s21, v5
	v_mul_lo_u32 v5, v1, s19
	v_mul_hi_u32 v12, s23, v1
	v_sub_u32_e32 v3, v3, v5
	v_add_u32_e32 v5, v1, v12
	v_lshrrev_b32_e32 v5, s0, v5
	v_mul_hi_u32 v14, s2, v5
	v_mul_lo_u32 v16, v5, s22
	v_mul_lo_u32 v12, v3, s10
	;; [unrolled: 1-line block ×3, first 2 shown]
	v_sub_u32_e32 v16, v1, v16
	v_add_u32_e32 v1, v5, v14
	v_lshrrev_b32_e32 v1, s3, v1
	v_mul_lo_u32 v14, v1, s1
	v_mul_lo_u32 v17, v16, s12
	;; [unrolled: 1-line block ×3, first 2 shown]
	v_add3_u32 v0, v8, v0, v12
	v_sub_u32_e32 v5, v5, v14
	v_mul_lo_u32 v14, v5, s14
	v_mul_lo_u32 v5, v5, s15
	v_add3_u32 v3, v10, v7, v3
	v_add3_u32 v0, v17, v0, v14
	;; [unrolled: 1-line block ×3, first 2 shown]
	s_cbranch_scc1 .LBB79_1117
; %bb.1118:
	s_and_b32 s6, s27, 3
	s_cmp_eq_u32 s6, 0
	s_cbranch_scc0 .LBB79_1122
	s_branch .LBB79_1124
.LBB79_1119:
                                        ; implicit-def: $vgpr0
                                        ; implicit-def: $vgpr7
	s_branch .LBB79_1125
.LBB79_1120:
	v_mov_b32_e32 v0, 0
	v_mov_b32_e32 v7, 0
	s_branch .LBB79_1124
.LBB79_1121:
	v_mov_b32_e32 v0, 0
	v_mov_b32_e32 v7, 0
	;; [unrolled: 1-line block ×3, first 2 shown]
	s_and_b32 s6, s27, 3
	s_cmp_eq_u32 s6, 0
	s_cbranch_scc1 .LBB79_1124
.LBB79_1122:
	s_lshl_b32 s0, s26, 3
	s_add_u32 s0, s34, s0
	s_addc_u32 s1, s35, 0
	s_add_u32 s0, s0, 0xc4
	s_addc_u32 s1, s1, 0
	s_mul_i32 s2, s26, 12
	s_add_u32 s2, s34, s2
	s_addc_u32 s3, s35, 0
.LBB79_1123:                            ; =>This Inner Loop Header: Depth=1
	s_load_dwordx2 s[8:9], s[2:3], 0x4
	s_load_dword s7, s[2:3], 0xc
	s_load_dwordx2 s[10:11], s[0:1], 0x0
	s_add_u32 s2, s2, 12
	s_addc_u32 s3, s3, 0
	s_waitcnt vmcnt(0) lgkmcnt(0)
	v_mul_hi_u32 v3, s9, v1
	s_add_u32 s0, s0, 8
	s_addc_u32 s1, s1, 0
	s_add_i32 s6, s6, -1
	v_add_u32_e32 v3, v1, v3
	v_lshrrev_b32_e32 v3, s7, v3
	v_mul_lo_u32 v5, v3, s8
	s_cmp_lg_u32 s6, 0
	v_sub_u32_e32 v5, v1, v5
	v_mad_u64_u32 v[0:1], s[8:9], v5, s10, v[0:1]
	v_mad_u64_u32 v[7:8], s[8:9], v5, s11, v[7:8]
	v_mov_b32_e32 v1, v3
	s_cbranch_scc1 .LBB79_1123
.LBB79_1124:
	s_cbranch_execnz .LBB79_1127
.LBB79_1125:
	s_load_dwordx4 s[0:3], s[34:35], 0x4
	s_load_dwordx2 s[6:7], s[34:35], 0xc4
	s_cmp_lt_u32 s33, 2
	s_waitcnt lgkmcnt(0)
	v_mul_hi_u32 v0, s1, v15
	v_add_u32_e32 v0, v15, v0
	v_lshrrev_b32_e32 v1, s2, v0
	v_mul_lo_u32 v0, v1, s0
	s_waitcnt vmcnt(0)
	v_sub_u32_e32 v3, v15, v0
	v_mul_lo_u32 v0, v3, s6
	v_mul_lo_u32 v7, v3, s7
	s_cbranch_scc1 .LBB79_1127
; %bb.1126:
	s_load_dwordx4 s[0:3], s[34:35], 0x10
	s_load_dwordx2 s[6:7], s[34:35], 0xcc
	s_waitcnt lgkmcnt(0)
	v_mul_hi_u32 v3, s1, v1
	v_add_u32_e32 v3, v1, v3
	v_lshrrev_b32_e32 v3, s2, v3
	v_mul_lo_u32 v3, v3, s0
	v_sub_u32_e32 v3, v1, v3
	v_mad_u64_u32 v[0:1], s[0:1], v3, s6, v[0:1]
	v_mad_u64_u32 v[7:8], s[0:1], v3, s7, v[7:8]
.LBB79_1127:
	s_load_dwordx4 s[8:11], s[34:35], 0x148
	s_load_dword s12, s[4:5], 0x168
	s_waitcnt lgkmcnt(0)
	v_mov_b32_e32 v1, s11
	s_bfe_u32 s13, s12, 0x80008
	v_add_co_u32_e32 v15, vcc, s10, v13
	s_cmp_lt_i32 s13, 11
	v_addc_co_u32_e32 v16, vcc, 0, v1, vcc
	s_cbranch_scc1 .LBB79_1134
; %bb.1128:
	s_and_b32 s14, 0xffff, s13
	s_cmp_gt_i32 s14, 25
	s_mov_b64 s[4:5], 0
	s_cbranch_scc0 .LBB79_1136
; %bb.1129:
	s_cmp_gt_i32 s14, 28
	s_cbranch_scc0 .LBB79_1137
; %bb.1130:
	s_cmp_gt_i32 s14, 43
	;; [unrolled: 3-line block ×3, first 2 shown]
	s_cbranch_scc0 .LBB79_1139
; %bb.1132:
	s_cmp_eq_u32 s14, 46
	s_mov_b64 s[2:3], 0
	s_cbranch_scc0 .LBB79_1142
; %bb.1133:
	global_load_dword v1, v[15:16], off
	s_mov_b64 s[0:1], 0
	s_mov_b64 s[6:7], -1
	s_waitcnt vmcnt(0)
	v_lshlrev_b32_e32 v1, 16, v1
	v_cvt_i32_f32_e32 v13, v1
	s_branch .LBB79_1143
.LBB79_1134:
	s_mov_b64 s[6:7], 0
                                        ; implicit-def: $vgpr13
	s_mov_b64 s[2:3], s[28:29]
	s_cbranch_execnz .LBB79_1201
.LBB79_1135:
	s_andn2_b64 vcc, exec, s[6:7]
	s_cbranch_vccz .LBB79_1246
	s_branch .LBB79_2055
.LBB79_1136:
	s_mov_b64 s[6:7], 0
	s_mov_b64 s[0:1], 0
                                        ; implicit-def: $vgpr13
	s_cbranch_execnz .LBB79_1168
	s_branch .LBB79_1197
.LBB79_1137:
	s_mov_b64 s[6:7], 0
	s_mov_b64 s[0:1], 0
                                        ; implicit-def: $vgpr13
	s_cbranch_execz .LBB79_1167
	s_branch .LBB79_1152
.LBB79_1138:
	s_mov_b64 s[6:7], 0
	s_mov_b64 s[0:1], 0
                                        ; implicit-def: $vgpr13
	s_cbranch_execnz .LBB79_1148
	s_branch .LBB79_1151
.LBB79_1139:
	s_mov_b64 s[2:3], -1
	s_mov_b64 s[6:7], 0
	s_mov_b64 s[0:1], 0
                                        ; implicit-def: $vgpr13
	s_branch .LBB79_1143
.LBB79_1140:
	s_andn2_saveexec_b64 s[16:17], s[16:17]
	s_cbranch_execz .LBB79_979
.LBB79_1141:
	v_add_f32_e32 v0, 0x46000000, v3
	v_and_b32_e32 v0, 0xff, v0
	v_cmp_ne_u32_e32 vcc, 0, v0
	s_andn2_b64 s[14:15], s[14:15], exec
	s_and_b64 s[18:19], vcc, exec
	s_or_b64 s[14:15], s[14:15], s[18:19]
	s_or_b64 exec, exec, s[16:17]
	v_mov_b32_e32 v4, 0
	s_and_saveexec_b64 s[16:17], s[14:15]
	s_cbranch_execnz .LBB79_980
	s_branch .LBB79_981
.LBB79_1142:
	s_mov_b64 s[0:1], -1
                                        ; implicit-def: $vgpr13
	s_mov_b64 s[6:7], 0
.LBB79_1143:
	s_and_b64 vcc, exec, s[2:3]
	s_cbranch_vccz .LBB79_1146
; %bb.1144:
	s_cmp_eq_u32 s14, 44
	s_cbranch_scc0 .LBB79_1147
; %bb.1145:
	global_load_ubyte v1, v[15:16], off
	s_mov_b64 s[0:1], 0
	s_mov_b64 s[6:7], -1
	s_waitcnt vmcnt(0)
	v_lshlrev_b32_e32 v3, 23, v1
	v_cvt_i32_f32_e32 v3, v3
	v_cmp_ne_u32_e32 vcc, 0, v1
	v_cndmask_b32_e32 v13, 0, v3, vcc
.LBB79_1146:
	s_branch .LBB79_1151
.LBB79_1147:
	s_mov_b64 s[0:1], -1
                                        ; implicit-def: $vgpr13
	s_branch .LBB79_1151
.LBB79_1148:
	s_cmp_eq_u32 s14, 29
	s_cbranch_scc0 .LBB79_1150
; %bb.1149:
	global_load_dwordx2 v[13:14], v[15:16], off
	s_mov_b64 s[0:1], 0
	s_mov_b64 s[6:7], -1
	s_branch .LBB79_1151
.LBB79_1150:
	s_mov_b64 s[0:1], -1
                                        ; implicit-def: $vgpr13
.LBB79_1151:
	s_branch .LBB79_1167
.LBB79_1152:
	s_cmp_lt_i32 s14, 27
	s_cbranch_scc1 .LBB79_1155
; %bb.1153:
	s_cmp_gt_i32 s14, 27
	s_cbranch_scc0 .LBB79_1156
; %bb.1154:
	global_load_dword v13, v[15:16], off
	s_mov_b64 s[2:3], 0
	s_branch .LBB79_1157
.LBB79_1155:
	s_mov_b64 s[2:3], -1
                                        ; implicit-def: $vgpr13
	s_branch .LBB79_1160
.LBB79_1156:
	s_mov_b64 s[2:3], -1
                                        ; implicit-def: $vgpr13
.LBB79_1157:
	s_andn2_b64 vcc, exec, s[2:3]
	s_cbranch_vccnz .LBB79_1159
; %bb.1158:
	global_load_ushort v13, v[15:16], off
.LBB79_1159:
	s_mov_b64 s[2:3], 0
.LBB79_1160:
	s_andn2_b64 vcc, exec, s[2:3]
	s_cbranch_vccnz .LBB79_1166
; %bb.1161:
	global_load_ubyte v1, v[15:16], off
	s_movk_i32 s2, 0x7f
	s_mov_b64 s[6:7], 0
	s_waitcnt vmcnt(0)
	v_cmp_lt_i16_e32 vcc, s2, v1
	s_and_saveexec_b64 s[2:3], vcc
	s_xor_b64 s[2:3], exec, s[2:3]
	s_cbranch_execz .LBB79_1177
; %bb.1162:
	s_movk_i32 s6, 0x80
	v_cmp_ne_u16_e32 vcc, s6, v1
	s_and_b64 s[6:7], vcc, exec
	s_andn2_saveexec_b64 s[2:3], s[2:3]
	s_cbranch_execnz .LBB79_1178
.LBB79_1163:
	s_or_b64 exec, exec, s[2:3]
	v_mov_b32_e32 v13, 0
	s_and_saveexec_b64 s[2:3], s[6:7]
	s_cbranch_execz .LBB79_1165
.LBB79_1164:
	v_lshlrev_b32_e32 v3, 24, v1
	v_and_b32_e32 v1, 0xffff, v1
	v_and_b32_e32 v5, 7, v1
	v_ffbh_u32_e32 v10, v5
	v_min_u32_e32 v10, 32, v10
	v_subrev_u32_e32 v12, 28, v10
	v_bfe_u32 v8, v1, 3, 4
	v_lshlrev_b32_e32 v1, v12, v1
	v_sub_u32_e32 v10, 29, v10
	v_and_b32_e32 v1, 7, v1
	v_cmp_eq_u32_e32 vcc, 0, v8
	v_cndmask_b32_e32 v8, v8, v10, vcc
	v_cndmask_b32_e32 v1, v5, v1, vcc
	v_mov_b32_e32 v5, 0x3b800000
	v_lshlrev_b32_e32 v1, 20, v1
	v_and_b32_e32 v3, 0x80000000, v3
	v_lshl_add_u32 v5, v8, 23, v5
	v_or3_b32 v1, v3, v5, v1
	v_cvt_i32_f32_e32 v13, v1
.LBB79_1165:
	s_or_b64 exec, exec, s[2:3]
.LBB79_1166:
	s_mov_b64 s[6:7], -1
.LBB79_1167:
	s_branch .LBB79_1197
.LBB79_1168:
	s_cmp_gt_i32 s14, 22
	s_cbranch_scc0 .LBB79_1176
; %bb.1169:
	s_cmp_lt_i32 s14, 24
	s_cbranch_scc1 .LBB79_1179
; %bb.1170:
	s_cmp_gt_i32 s14, 24
	s_cbranch_scc0 .LBB79_1180
; %bb.1171:
	global_load_ubyte v1, v[15:16], off
	s_movk_i32 s2, 0x7f
	s_waitcnt vmcnt(0)
	v_cmp_lt_i16_e32 vcc, s2, v1
	s_and_saveexec_b64 s[2:3], vcc
	s_xor_b64 s[2:3], exec, s[2:3]
	s_cbranch_execz .LBB79_1191
; %bb.1172:
	s_movk_i32 s4, 0x80
	v_cmp_ne_u16_e32 vcc, s4, v1
	s_and_b64 s[4:5], vcc, exec
	s_andn2_saveexec_b64 s[2:3], s[2:3]
	s_cbranch_execnz .LBB79_1192
.LBB79_1173:
	s_or_b64 exec, exec, s[2:3]
	v_mov_b32_e32 v13, 0
	s_and_saveexec_b64 s[2:3], s[4:5]
	s_cbranch_execz .LBB79_1175
.LBB79_1174:
	v_lshlrev_b32_e32 v3, 24, v1
	v_and_b32_e32 v1, 0xffff, v1
	v_and_b32_e32 v5, 3, v1
	v_ffbh_u32_e32 v10, v5
	v_min_u32_e32 v10, 32, v10
	v_subrev_u32_e32 v12, 29, v10
	v_bfe_u32 v8, v1, 2, 5
	v_lshlrev_b32_e32 v1, v12, v1
	v_sub_u32_e32 v10, 30, v10
	v_and_b32_e32 v1, 3, v1
	v_cmp_eq_u32_e32 vcc, 0, v8
	v_cndmask_b32_e32 v8, v8, v10, vcc
	v_cndmask_b32_e32 v1, v5, v1, vcc
	v_mov_b32_e32 v5, 0x37800000
	v_lshlrev_b32_e32 v1, 21, v1
	v_and_b32_e32 v3, 0x80000000, v3
	v_lshl_add_u32 v5, v8, 23, v5
	v_or3_b32 v1, v3, v5, v1
	v_cvt_i32_f32_e32 v13, v1
.LBB79_1175:
	s_or_b64 exec, exec, s[2:3]
	s_mov_b64 s[2:3], 0
	s_branch .LBB79_1181
.LBB79_1176:
                                        ; implicit-def: $vgpr13
	s_mov_b64 s[4:5], 0
	s_branch .LBB79_1187
.LBB79_1177:
	s_andn2_saveexec_b64 s[2:3], s[2:3]
	s_cbranch_execz .LBB79_1163
.LBB79_1178:
	v_cmp_ne_u16_e32 vcc, 0, v1
	s_andn2_b64 s[6:7], s[6:7], exec
	s_and_b64 s[16:17], vcc, exec
	s_or_b64 s[6:7], s[6:7], s[16:17]
	s_or_b64 exec, exec, s[2:3]
	v_mov_b32_e32 v13, 0
	s_and_saveexec_b64 s[2:3], s[6:7]
	s_cbranch_execnz .LBB79_1164
	s_branch .LBB79_1165
.LBB79_1179:
	s_mov_b64 s[2:3], -1
                                        ; implicit-def: $vgpr13
	s_branch .LBB79_1184
.LBB79_1180:
	s_mov_b64 s[2:3], -1
                                        ; implicit-def: $vgpr13
.LBB79_1181:
	s_and_b64 vcc, exec, s[2:3]
	s_cbranch_vccz .LBB79_1183
; %bb.1182:
	global_load_ubyte v1, v[15:16], off
	s_mov_b32 s2, 0x7f800000
	s_waitcnt vmcnt(0)
	v_lshlrev_b32_e32 v1, 24, v1
	v_and_b32_e32 v3, 0x7f000000, v1
	v_ffbh_u32_e32 v5, v3
	v_min_u32_e32 v5, 32, v5
	v_sub_u32_e64 v5, v5, 4 clamp
	v_lshlrev_b32_e32 v10, v5, v3
	v_lshlrev_b32_e32 v5, 23, v5
	v_lshrrev_b32_e32 v10, 4, v10
	v_add_u32_e32 v8, 0x1000000, v3
	v_sub_u32_e32 v5, v10, v5
	v_ashrrev_i32_e32 v8, 8, v8
	v_add_u32_e32 v5, 0x3c000000, v5
	v_and_or_b32 v5, v8, s2, v5
	v_cmp_ne_u32_e32 vcc, 0, v3
	v_cndmask_b32_e32 v3, 0, v5, vcc
	s_brev_b32 s2, 1
	v_and_or_b32 v1, v1, s2, v3
	v_cvt_i32_f32_e32 v13, v1
.LBB79_1183:
	s_mov_b64 s[2:3], 0
.LBB79_1184:
	s_andn2_b64 vcc, exec, s[2:3]
	s_cbranch_vccnz .LBB79_1186
; %bb.1185:
	global_load_ubyte v1, v[15:16], off
	s_movk_i32 s2, 0x7f00
	s_brev_b32 s3, 16
	s_waitcnt vmcnt(0)
	v_lshlrev_b16_e32 v3, 8, v1
	v_lshlrev_b32_e32 v1, 25, v1
	v_lshrrev_b32_e32 v5, 4, v1
	v_and_or_b32 v8, v3, s2, 0.5
	v_or_b32_e32 v5, 0x70000000, v5
	v_add_f32_e32 v8, -0.5, v8
	v_mul_f32_e32 v5, 0x7800000, v5
	v_cmp_gt_u32_e32 vcc, s3, v1
	v_bfe_i32 v3, v3, 0, 16
	v_cndmask_b32_e32 v1, v5, v8, vcc
	s_brev_b32 s2, 1
	v_and_or_b32 v1, v3, s2, v1
	v_cvt_i32_f32_e32 v13, v1
.LBB79_1186:
	s_mov_b64 s[6:7], -1
	s_mov_b64 s[4:5], 0
	s_cbranch_execnz .LBB79_1197
.LBB79_1187:
	s_cmp_gt_i32 s14, 14
	s_cbranch_scc0 .LBB79_1190
; %bb.1188:
	s_cmp_eq_u32 s14, 15
	s_cbranch_scc0 .LBB79_1193
; %bb.1189:
	global_load_ushort v1, v[15:16], off
	s_mov_b64 s[0:1], 0
	s_mov_b64 s[6:7], -1
	s_waitcnt vmcnt(0)
	v_lshlrev_b32_e32 v1, 16, v1
	v_cvt_i32_f32_e32 v13, v1
	s_branch .LBB79_1194
.LBB79_1190:
	s_mov_b64 s[2:3], -1
                                        ; implicit-def: $vgpr13
	s_branch .LBB79_1195
.LBB79_1191:
	s_andn2_saveexec_b64 s[2:3], s[2:3]
	s_cbranch_execz .LBB79_1173
.LBB79_1192:
	v_cmp_ne_u16_e32 vcc, 0, v1
	s_andn2_b64 s[4:5], s[4:5], exec
	s_and_b64 s[6:7], vcc, exec
	s_or_b64 s[4:5], s[4:5], s[6:7]
	s_or_b64 exec, exec, s[2:3]
	v_mov_b32_e32 v13, 0
	s_and_saveexec_b64 s[2:3], s[4:5]
	s_cbranch_execnz .LBB79_1174
	s_branch .LBB79_1175
.LBB79_1193:
	s_mov_b64 s[0:1], -1
                                        ; implicit-def: $vgpr13
.LBB79_1194:
	s_mov_b64 s[2:3], 0
.LBB79_1195:
	s_and_b64 vcc, exec, s[2:3]
	s_cbranch_vccz .LBB79_1197
; %bb.1196:
	s_cmp_lg_u32 s14, 11
	s_mov_b64 s[4:5], -1
	s_cselect_b64 s[0:1], -1, 0
.LBB79_1197:
	s_and_b64 vcc, exec, s[0:1]
	s_mov_b64 s[2:3], s[28:29]
	s_cbranch_vccnz .LBB79_1258
; %bb.1198:
	s_andn2_b64 vcc, exec, s[4:5]
	s_cbranch_vccnz .LBB79_1200
.LBB79_1199:
	global_load_ubyte v1, v[15:16], off
	s_mov_b64 s[6:7], -1
	s_waitcnt vmcnt(0)
	v_cmp_ne_u16_e32 vcc, 0, v1
	v_cndmask_b32_e64 v13, 0, 1, vcc
.LBB79_1200:
	s_branch .LBB79_1135
.LBB79_1201:
	s_and_b32 s4, 0xffff, s13
	s_cmp_lt_i32 s4, 5
	s_cbranch_scc1 .LBB79_1206
; %bb.1202:
	s_cmp_lt_i32 s4, 8
	s_cbranch_scc1 .LBB79_1207
; %bb.1203:
	;; [unrolled: 3-line block ×3, first 2 shown]
	s_cmp_gt_i32 s4, 9
	s_cbranch_scc0 .LBB79_1209
; %bb.1205:
	global_load_dwordx2 v[12:13], v[15:16], off
	s_mov_b64 s[0:1], 0
	s_waitcnt vmcnt(0)
	v_cvt_i32_f64_e32 v13, v[12:13]
	s_branch .LBB79_1210
.LBB79_1206:
                                        ; implicit-def: $vgpr13
	s_branch .LBB79_1227
.LBB79_1207:
                                        ; implicit-def: $vgpr13
	s_branch .LBB79_1216
.LBB79_1208:
	s_mov_b64 s[0:1], -1
                                        ; implicit-def: $vgpr13
	s_branch .LBB79_1213
.LBB79_1209:
	s_mov_b64 s[0:1], -1
                                        ; implicit-def: $vgpr13
.LBB79_1210:
	s_andn2_b64 vcc, exec, s[0:1]
	s_cbranch_vccnz .LBB79_1212
; %bb.1211:
	global_load_dword v1, v[15:16], off
	s_waitcnt vmcnt(0)
	v_cvt_i32_f32_e32 v13, v1
.LBB79_1212:
	s_mov_b64 s[0:1], 0
.LBB79_1213:
	s_andn2_b64 vcc, exec, s[0:1]
	s_cbranch_vccnz .LBB79_1215
; %bb.1214:
	global_load_dword v1, v[15:16], off
	s_waitcnt vmcnt(0)
	v_cvt_i16_f16_e32 v13, v1
.LBB79_1215:
	s_cbranch_execnz .LBB79_1226
.LBB79_1216:
	s_cmp_lt_i32 s4, 6
	s_cbranch_scc1 .LBB79_1219
; %bb.1217:
	s_cmp_gt_i32 s4, 6
	s_cbranch_scc0 .LBB79_1220
; %bb.1218:
	global_load_dwordx2 v[12:13], v[15:16], off
	s_mov_b64 s[0:1], 0
	s_waitcnt vmcnt(0)
	v_cvt_i32_f64_e32 v13, v[12:13]
	s_branch .LBB79_1221
.LBB79_1219:
	s_mov_b64 s[0:1], -1
                                        ; implicit-def: $vgpr13
	s_branch .LBB79_1224
.LBB79_1220:
	s_mov_b64 s[0:1], -1
                                        ; implicit-def: $vgpr13
.LBB79_1221:
	s_andn2_b64 vcc, exec, s[0:1]
	s_cbranch_vccnz .LBB79_1223
; %bb.1222:
	global_load_dword v1, v[15:16], off
	s_waitcnt vmcnt(0)
	v_cvt_i32_f32_e32 v13, v1
.LBB79_1223:
	s_mov_b64 s[0:1], 0
.LBB79_1224:
	s_andn2_b64 vcc, exec, s[0:1]
	s_cbranch_vccnz .LBB79_1226
; %bb.1225:
	global_load_ushort v1, v[15:16], off
	s_waitcnt vmcnt(0)
	v_cvt_i16_f16_e32 v13, v1
.LBB79_1226:
	s_cbranch_execnz .LBB79_1245
.LBB79_1227:
	s_cmp_lt_i32 s4, 2
	s_cbranch_scc1 .LBB79_1231
; %bb.1228:
	s_cmp_lt_i32 s4, 3
	s_cbranch_scc1 .LBB79_1232
; %bb.1229:
	s_cmp_gt_i32 s4, 3
	s_cbranch_scc0 .LBB79_1233
; %bb.1230:
	global_load_dwordx2 v[13:14], v[15:16], off
	s_mov_b64 s[0:1], 0
	s_branch .LBB79_1234
.LBB79_1231:
                                        ; implicit-def: $vgpr13
	s_branch .LBB79_1240
.LBB79_1232:
	s_mov_b64 s[0:1], -1
                                        ; implicit-def: $vgpr13
	s_branch .LBB79_1237
.LBB79_1233:
	s_mov_b64 s[0:1], -1
                                        ; implicit-def: $vgpr13
.LBB79_1234:
	s_andn2_b64 vcc, exec, s[0:1]
	s_cbranch_vccnz .LBB79_1236
; %bb.1235:
	global_load_dword v13, v[15:16], off
.LBB79_1236:
	s_mov_b64 s[0:1], 0
.LBB79_1237:
	s_andn2_b64 vcc, exec, s[0:1]
	s_cbranch_vccnz .LBB79_1239
; %bb.1238:
	global_load_ushort v13, v[15:16], off
.LBB79_1239:
	s_cbranch_execnz .LBB79_1245
.LBB79_1240:
	s_cmp_gt_i32 s4, 0
	s_cbranch_scc0 .LBB79_1242
; %bb.1241:
	global_load_sbyte v13, v[15:16], off
	s_mov_b64 s[0:1], 0
	s_branch .LBB79_1243
.LBB79_1242:
	s_mov_b64 s[0:1], -1
                                        ; implicit-def: $vgpr13
.LBB79_1243:
	s_andn2_b64 vcc, exec, s[0:1]
	s_cbranch_vccnz .LBB79_1245
; %bb.1244:
	global_load_ubyte v13, v[15:16], off
.LBB79_1245:
.LBB79_1246:
	s_lshr_b32 s0, s12, 8
	v_mov_b32_e32 v1, s11
	s_and_b32 s14, s0, 0xff
	s_waitcnt vmcnt(0)
	v_add_co_u32_e32 v14, vcc, s10, v11
	s_cmp_lt_i32 s14, 11
	v_addc_co_u32_e32 v15, vcc, 0, v1, vcc
	s_cbranch_scc1 .LBB79_1253
; %bb.1247:
	s_and_b32 s15, 0xffff, s14
	s_cmp_gt_i32 s15, 25
	s_mov_b64 s[4:5], 0
	s_cbranch_scc0 .LBB79_1255
; %bb.1248:
	s_cmp_gt_i32 s15, 28
	s_cbranch_scc0 .LBB79_1256
; %bb.1249:
	s_cmp_gt_i32 s15, 43
	;; [unrolled: 3-line block ×3, first 2 shown]
	s_cbranch_scc0 .LBB79_1259
; %bb.1251:
	s_cmp_eq_u32 s15, 46
	s_mov_b64 s[12:13], 0
	s_cbranch_scc0 .LBB79_1262
; %bb.1252:
	global_load_dword v1, v[14:15], off
	s_mov_b64 s[0:1], 0
	s_mov_b64 s[6:7], -1
	s_waitcnt vmcnt(0)
	v_lshlrev_b32_e32 v1, 16, v1
	v_cvt_i32_f32_e32 v11, v1
	s_branch .LBB79_1263
.LBB79_1253:
	s_mov_b64 s[6:7], 0
                                        ; implicit-def: $vgpr11
	s_cbranch_execnz .LBB79_1324
.LBB79_1254:
	s_andn2_b64 vcc, exec, s[6:7]
	s_cbranch_vccnz .LBB79_2055
	s_branch .LBB79_1371
.LBB79_1255:
	s_mov_b64 s[6:7], 0
	s_mov_b64 s[0:1], 0
                                        ; implicit-def: $vgpr11
	s_cbranch_execnz .LBB79_1290
	s_branch .LBB79_1320
.LBB79_1256:
	s_mov_b64 s[12:13], -1
	s_mov_b64 s[6:7], 0
	s_mov_b64 s[0:1], 0
                                        ; implicit-def: $vgpr11
	s_branch .LBB79_1273
.LBB79_1257:
	s_mov_b64 s[12:13], -1
	s_mov_b64 s[6:7], 0
	s_mov_b64 s[0:1], 0
                                        ; implicit-def: $vgpr11
	s_branch .LBB79_1268
.LBB79_1258:
	s_or_b64 s[2:3], s[28:29], exec
	s_trap 2
	s_cbranch_execz .LBB79_1199
	s_branch .LBB79_1200
.LBB79_1259:
	s_mov_b64 s[12:13], -1
	s_mov_b64 s[6:7], 0
	s_mov_b64 s[0:1], 0
                                        ; implicit-def: $vgpr11
	s_branch .LBB79_1263
.LBB79_1260:
	s_andn2_saveexec_b64 s[18:19], s[18:19]
	s_cbranch_execz .LBB79_991
.LBB79_1261:
	v_add_f32_e32 v0, 0x42800000, v3
	v_and_b32_e32 v0, 0xff, v0
	v_cmp_ne_u32_e32 vcc, 0, v0
	s_andn2_b64 s[16:17], s[16:17], exec
	s_and_b64 s[22:23], vcc, exec
	s_or_b64 s[16:17], s[16:17], s[22:23]
	s_or_b64 exec, exec, s[18:19]
	v_mov_b32_e32 v4, 0
	s_and_saveexec_b64 s[18:19], s[16:17]
	s_cbranch_execnz .LBB79_992
	s_branch .LBB79_993
.LBB79_1262:
	s_mov_b64 s[0:1], -1
                                        ; implicit-def: $vgpr11
	s_mov_b64 s[6:7], 0
.LBB79_1263:
	s_and_b64 vcc, exec, s[12:13]
	s_cbranch_vccz .LBB79_1267
; %bb.1264:
	s_cmp_eq_u32 s15, 44
	s_cbranch_scc0 .LBB79_1266
; %bb.1265:
	global_load_ubyte v1, v[14:15], off
	s_mov_b64 s[0:1], 0
	s_mov_b64 s[6:7], -1
	s_waitcnt vmcnt(0)
	v_lshlrev_b32_e32 v3, 23, v1
	v_cvt_i32_f32_e32 v3, v3
	v_cmp_ne_u32_e32 vcc, 0, v1
	v_cndmask_b32_e32 v11, 0, v3, vcc
	s_branch .LBB79_1267
.LBB79_1266:
	s_mov_b64 s[0:1], -1
                                        ; implicit-def: $vgpr11
.LBB79_1267:
	s_mov_b64 s[12:13], 0
.LBB79_1268:
	s_and_b64 vcc, exec, s[12:13]
	s_cbranch_vccz .LBB79_1272
; %bb.1269:
	s_cmp_eq_u32 s15, 29
	s_cbranch_scc0 .LBB79_1271
; %bb.1270:
	global_load_dwordx2 v[11:12], v[14:15], off
	s_mov_b64 s[0:1], 0
	s_mov_b64 s[6:7], -1
	s_branch .LBB79_1272
.LBB79_1271:
	s_mov_b64 s[0:1], -1
                                        ; implicit-def: $vgpr11
.LBB79_1272:
	s_mov_b64 s[12:13], 0
.LBB79_1273:
	s_and_b64 vcc, exec, s[12:13]
	s_cbranch_vccz .LBB79_1289
; %bb.1274:
	s_cmp_lt_i32 s15, 27
	s_cbranch_scc1 .LBB79_1277
; %bb.1275:
	s_cmp_gt_i32 s15, 27
	s_cbranch_scc0 .LBB79_1278
; %bb.1276:
	global_load_dword v11, v[14:15], off
	s_mov_b64 s[6:7], 0
	s_branch .LBB79_1279
.LBB79_1277:
	s_mov_b64 s[6:7], -1
                                        ; implicit-def: $vgpr11
	s_branch .LBB79_1282
.LBB79_1278:
	s_mov_b64 s[6:7], -1
                                        ; implicit-def: $vgpr11
.LBB79_1279:
	s_andn2_b64 vcc, exec, s[6:7]
	s_cbranch_vccnz .LBB79_1281
; %bb.1280:
	global_load_ushort v11, v[14:15], off
.LBB79_1281:
	s_mov_b64 s[6:7], 0
.LBB79_1282:
	s_andn2_b64 vcc, exec, s[6:7]
	s_cbranch_vccnz .LBB79_1288
; %bb.1283:
	global_load_ubyte v1, v[14:15], off
	s_movk_i32 s6, 0x7f
	s_mov_b64 s[12:13], 0
	s_waitcnt vmcnt(0)
	v_cmp_lt_i16_e32 vcc, s6, v1
	s_and_saveexec_b64 s[6:7], vcc
	s_xor_b64 s[6:7], exec, s[6:7]
	s_cbranch_execz .LBB79_1299
; %bb.1284:
	s_movk_i32 s12, 0x80
	v_cmp_ne_u16_e32 vcc, s12, v1
	s_and_b64 s[12:13], vcc, exec
	s_andn2_saveexec_b64 s[6:7], s[6:7]
	s_cbranch_execnz .LBB79_1300
.LBB79_1285:
	s_or_b64 exec, exec, s[6:7]
	v_mov_b32_e32 v11, 0
	s_and_saveexec_b64 s[6:7], s[12:13]
	s_cbranch_execz .LBB79_1287
.LBB79_1286:
	v_lshlrev_b32_e32 v3, 24, v1
	v_and_b32_e32 v1, 0xffff, v1
	v_and_b32_e32 v5, 7, v1
	v_ffbh_u32_e32 v10, v5
	v_min_u32_e32 v10, 32, v10
	v_subrev_u32_e32 v11, 28, v10
	v_bfe_u32 v8, v1, 3, 4
	v_lshlrev_b32_e32 v1, v11, v1
	v_sub_u32_e32 v10, 29, v10
	v_and_b32_e32 v1, 7, v1
	v_cmp_eq_u32_e32 vcc, 0, v8
	v_cndmask_b32_e32 v8, v8, v10, vcc
	v_cndmask_b32_e32 v1, v5, v1, vcc
	v_mov_b32_e32 v5, 0x3b800000
	v_lshlrev_b32_e32 v1, 20, v1
	v_and_b32_e32 v3, 0x80000000, v3
	v_lshl_add_u32 v5, v8, 23, v5
	v_or3_b32 v1, v3, v5, v1
	v_cvt_i32_f32_e32 v11, v1
.LBB79_1287:
	s_or_b64 exec, exec, s[6:7]
.LBB79_1288:
	s_mov_b64 s[6:7], -1
.LBB79_1289:
	s_branch .LBB79_1320
.LBB79_1290:
	s_cmp_gt_i32 s15, 22
	s_cbranch_scc0 .LBB79_1298
; %bb.1291:
	s_cmp_lt_i32 s15, 24
	s_cbranch_scc1 .LBB79_1301
; %bb.1292:
	s_cmp_gt_i32 s15, 24
	s_cbranch_scc0 .LBB79_1302
; %bb.1293:
	global_load_ubyte v1, v[14:15], off
	s_movk_i32 s4, 0x7f
	s_mov_b64 s[6:7], 0
	s_waitcnt vmcnt(0)
	v_cmp_lt_i16_e32 vcc, s4, v1
	s_and_saveexec_b64 s[4:5], vcc
	s_xor_b64 s[4:5], exec, s[4:5]
	s_cbranch_execz .LBB79_1314
; %bb.1294:
	s_movk_i32 s6, 0x80
	v_cmp_ne_u16_e32 vcc, s6, v1
	s_and_b64 s[6:7], vcc, exec
	s_andn2_saveexec_b64 s[4:5], s[4:5]
	s_cbranch_execnz .LBB79_1315
.LBB79_1295:
	s_or_b64 exec, exec, s[4:5]
	v_mov_b32_e32 v11, 0
	s_and_saveexec_b64 s[4:5], s[6:7]
	s_cbranch_execz .LBB79_1297
.LBB79_1296:
	v_lshlrev_b32_e32 v3, 24, v1
	v_and_b32_e32 v1, 0xffff, v1
	v_and_b32_e32 v5, 3, v1
	v_ffbh_u32_e32 v10, v5
	v_min_u32_e32 v10, 32, v10
	v_subrev_u32_e32 v11, 29, v10
	v_bfe_u32 v8, v1, 2, 5
	v_lshlrev_b32_e32 v1, v11, v1
	v_sub_u32_e32 v10, 30, v10
	v_and_b32_e32 v1, 3, v1
	v_cmp_eq_u32_e32 vcc, 0, v8
	v_cndmask_b32_e32 v8, v8, v10, vcc
	v_cndmask_b32_e32 v1, v5, v1, vcc
	v_mov_b32_e32 v5, 0x37800000
	v_lshlrev_b32_e32 v1, 21, v1
	v_and_b32_e32 v3, 0x80000000, v3
	v_lshl_add_u32 v5, v8, 23, v5
	v_or3_b32 v1, v3, v5, v1
	v_cvt_i32_f32_e32 v11, v1
.LBB79_1297:
	s_or_b64 exec, exec, s[4:5]
	s_mov_b64 s[4:5], 0
	s_branch .LBB79_1303
.LBB79_1298:
	s_mov_b64 s[4:5], -1
                                        ; implicit-def: $vgpr11
	s_branch .LBB79_1309
.LBB79_1299:
	s_andn2_saveexec_b64 s[6:7], s[6:7]
	s_cbranch_execz .LBB79_1285
.LBB79_1300:
	v_cmp_ne_u16_e32 vcc, 0, v1
	s_andn2_b64 s[12:13], s[12:13], exec
	s_and_b64 s[16:17], vcc, exec
	s_or_b64 s[12:13], s[12:13], s[16:17]
	s_or_b64 exec, exec, s[6:7]
	v_mov_b32_e32 v11, 0
	s_and_saveexec_b64 s[6:7], s[12:13]
	s_cbranch_execnz .LBB79_1286
	s_branch .LBB79_1287
.LBB79_1301:
	s_mov_b64 s[4:5], -1
                                        ; implicit-def: $vgpr11
	s_branch .LBB79_1306
.LBB79_1302:
	s_mov_b64 s[4:5], -1
                                        ; implicit-def: $vgpr11
.LBB79_1303:
	s_and_b64 vcc, exec, s[4:5]
	s_cbranch_vccz .LBB79_1305
; %bb.1304:
	global_load_ubyte v1, v[14:15], off
	s_mov_b32 s4, 0x7f800000
	s_waitcnt vmcnt(0)
	v_lshlrev_b32_e32 v1, 24, v1
	v_and_b32_e32 v3, 0x7f000000, v1
	v_ffbh_u32_e32 v5, v3
	v_min_u32_e32 v5, 32, v5
	v_sub_u32_e64 v5, v5, 4 clamp
	v_lshlrev_b32_e32 v10, v5, v3
	v_lshlrev_b32_e32 v5, 23, v5
	v_lshrrev_b32_e32 v10, 4, v10
	v_add_u32_e32 v8, 0x1000000, v3
	v_sub_u32_e32 v5, v10, v5
	v_ashrrev_i32_e32 v8, 8, v8
	v_add_u32_e32 v5, 0x3c000000, v5
	v_and_or_b32 v5, v8, s4, v5
	v_cmp_ne_u32_e32 vcc, 0, v3
	v_cndmask_b32_e32 v3, 0, v5, vcc
	s_brev_b32 s4, 1
	v_and_or_b32 v1, v1, s4, v3
	v_cvt_i32_f32_e32 v11, v1
.LBB79_1305:
	s_mov_b64 s[4:5], 0
.LBB79_1306:
	s_andn2_b64 vcc, exec, s[4:5]
	s_cbranch_vccnz .LBB79_1308
; %bb.1307:
	global_load_ubyte v1, v[14:15], off
	s_movk_i32 s4, 0x7f00
	s_brev_b32 s5, 16
	s_waitcnt vmcnt(0)
	v_lshlrev_b16_e32 v3, 8, v1
	v_lshlrev_b32_e32 v1, 25, v1
	v_lshrrev_b32_e32 v5, 4, v1
	v_and_or_b32 v8, v3, s4, 0.5
	v_or_b32_e32 v5, 0x70000000, v5
	v_add_f32_e32 v8, -0.5, v8
	v_mul_f32_e32 v5, 0x7800000, v5
	v_cmp_gt_u32_e32 vcc, s5, v1
	v_bfe_i32 v3, v3, 0, 16
	v_cndmask_b32_e32 v1, v5, v8, vcc
	s_brev_b32 s4, 1
	v_and_or_b32 v1, v3, s4, v1
	v_cvt_i32_f32_e32 v11, v1
.LBB79_1308:
	s_mov_b64 s[4:5], 0
	s_mov_b64 s[6:7], -1
.LBB79_1309:
	s_andn2_b64 vcc, exec, s[4:5]
	s_mov_b64 s[4:5], 0
	s_cbranch_vccnz .LBB79_1320
; %bb.1310:
	s_cmp_gt_i32 s15, 14
	s_cbranch_scc0 .LBB79_1313
; %bb.1311:
	s_cmp_eq_u32 s15, 15
	s_cbranch_scc0 .LBB79_1316
; %bb.1312:
	global_load_ushort v1, v[14:15], off
	s_mov_b64 s[0:1], 0
	s_mov_b64 s[6:7], -1
	s_waitcnt vmcnt(0)
	v_lshlrev_b32_e32 v1, 16, v1
	v_cvt_i32_f32_e32 v11, v1
	s_branch .LBB79_1317
.LBB79_1313:
	s_mov_b64 s[12:13], -1
                                        ; implicit-def: $vgpr11
	s_branch .LBB79_1318
.LBB79_1314:
	s_andn2_saveexec_b64 s[4:5], s[4:5]
	s_cbranch_execz .LBB79_1295
.LBB79_1315:
	v_cmp_ne_u16_e32 vcc, 0, v1
	s_andn2_b64 s[6:7], s[6:7], exec
	s_and_b64 s[12:13], vcc, exec
	s_or_b64 s[6:7], s[6:7], s[12:13]
	s_or_b64 exec, exec, s[4:5]
	v_mov_b32_e32 v11, 0
	s_and_saveexec_b64 s[4:5], s[6:7]
	s_cbranch_execnz .LBB79_1296
	s_branch .LBB79_1297
.LBB79_1316:
	s_mov_b64 s[0:1], -1
                                        ; implicit-def: $vgpr11
.LBB79_1317:
	s_mov_b64 s[12:13], 0
.LBB79_1318:
	s_and_b64 vcc, exec, s[12:13]
	s_cbranch_vccz .LBB79_1320
; %bb.1319:
	s_cmp_lg_u32 s15, 11
	s_mov_b64 s[4:5], -1
	s_cselect_b64 s[0:1], -1, 0
.LBB79_1320:
	s_and_b64 vcc, exec, s[0:1]
	s_cbranch_vccnz .LBB79_1383
; %bb.1321:
	s_andn2_b64 vcc, exec, s[4:5]
	s_cbranch_vccnz .LBB79_1323
.LBB79_1322:
	global_load_ubyte v1, v[14:15], off
	s_mov_b64 s[6:7], -1
	s_waitcnt vmcnt(0)
	v_cmp_ne_u16_e32 vcc, 0, v1
	v_cndmask_b32_e64 v11, 0, 1, vcc
.LBB79_1323:
	s_branch .LBB79_1254
.LBB79_1324:
	s_and_b32 s4, 0xffff, s14
	s_cmp_lt_i32 s4, 5
	s_cbranch_scc1 .LBB79_1329
; %bb.1325:
	s_cmp_lt_i32 s4, 8
	s_cbranch_scc1 .LBB79_1330
; %bb.1326:
	;; [unrolled: 3-line block ×3, first 2 shown]
	s_cmp_gt_i32 s4, 9
	s_cbranch_scc0 .LBB79_1332
; %bb.1328:
	global_load_dwordx2 v[10:11], v[14:15], off
	s_mov_b64 s[0:1], 0
	s_waitcnt vmcnt(0)
	v_cvt_i32_f64_e32 v11, v[10:11]
	s_branch .LBB79_1333
.LBB79_1329:
                                        ; implicit-def: $vgpr11
	s_branch .LBB79_1351
.LBB79_1330:
	s_mov_b64 s[0:1], -1
                                        ; implicit-def: $vgpr11
	s_branch .LBB79_1339
.LBB79_1331:
	s_mov_b64 s[0:1], -1
                                        ; implicit-def: $vgpr11
	s_branch .LBB79_1336
.LBB79_1332:
	s_mov_b64 s[0:1], -1
                                        ; implicit-def: $vgpr11
.LBB79_1333:
	s_andn2_b64 vcc, exec, s[0:1]
	s_cbranch_vccnz .LBB79_1335
; %bb.1334:
	global_load_dword v1, v[14:15], off
	s_waitcnt vmcnt(0)
	v_cvt_i32_f32_e32 v11, v1
.LBB79_1335:
	s_mov_b64 s[0:1], 0
.LBB79_1336:
	s_andn2_b64 vcc, exec, s[0:1]
	s_cbranch_vccnz .LBB79_1338
; %bb.1337:
	global_load_dword v1, v[14:15], off
	s_waitcnt vmcnt(0)
	v_cvt_i16_f16_e32 v11, v1
.LBB79_1338:
	s_mov_b64 s[0:1], 0
.LBB79_1339:
	s_andn2_b64 vcc, exec, s[0:1]
	s_cbranch_vccnz .LBB79_1350
; %bb.1340:
	s_cmp_lt_i32 s4, 6
	s_cbranch_scc1 .LBB79_1343
; %bb.1341:
	s_cmp_gt_i32 s4, 6
	s_cbranch_scc0 .LBB79_1344
; %bb.1342:
	global_load_dwordx2 v[10:11], v[14:15], off
	s_mov_b64 s[0:1], 0
	s_waitcnt vmcnt(0)
	v_cvt_i32_f64_e32 v11, v[10:11]
	s_branch .LBB79_1345
.LBB79_1343:
	s_mov_b64 s[0:1], -1
                                        ; implicit-def: $vgpr11
	s_branch .LBB79_1348
.LBB79_1344:
	s_mov_b64 s[0:1], -1
                                        ; implicit-def: $vgpr11
.LBB79_1345:
	s_andn2_b64 vcc, exec, s[0:1]
	s_cbranch_vccnz .LBB79_1347
; %bb.1346:
	global_load_dword v1, v[14:15], off
	s_waitcnt vmcnt(0)
	v_cvt_i32_f32_e32 v11, v1
.LBB79_1347:
	s_mov_b64 s[0:1], 0
.LBB79_1348:
	s_andn2_b64 vcc, exec, s[0:1]
	s_cbranch_vccnz .LBB79_1350
; %bb.1349:
	global_load_ushort v1, v[14:15], off
	s_waitcnt vmcnt(0)
	v_cvt_i16_f16_e32 v11, v1
.LBB79_1350:
	s_cbranch_execnz .LBB79_1370
.LBB79_1351:
	s_cmp_lt_i32 s4, 2
	s_cbranch_scc1 .LBB79_1355
; %bb.1352:
	s_cmp_lt_i32 s4, 3
	s_cbranch_scc1 .LBB79_1356
; %bb.1353:
	s_cmp_gt_i32 s4, 3
	s_cbranch_scc0 .LBB79_1357
; %bb.1354:
	global_load_dwordx2 v[11:12], v[14:15], off
	s_mov_b64 s[0:1], 0
	s_branch .LBB79_1358
.LBB79_1355:
	s_mov_b64 s[0:1], -1
                                        ; implicit-def: $vgpr11
	s_branch .LBB79_1364
.LBB79_1356:
	s_mov_b64 s[0:1], -1
                                        ; implicit-def: $vgpr11
	s_branch .LBB79_1361
.LBB79_1357:
	s_mov_b64 s[0:1], -1
                                        ; implicit-def: $vgpr11
.LBB79_1358:
	s_andn2_b64 vcc, exec, s[0:1]
	s_cbranch_vccnz .LBB79_1360
; %bb.1359:
	global_load_dword v11, v[14:15], off
.LBB79_1360:
	s_mov_b64 s[0:1], 0
.LBB79_1361:
	s_andn2_b64 vcc, exec, s[0:1]
	s_cbranch_vccnz .LBB79_1363
; %bb.1362:
	global_load_ushort v11, v[14:15], off
.LBB79_1363:
	s_mov_b64 s[0:1], 0
.LBB79_1364:
	s_andn2_b64 vcc, exec, s[0:1]
	s_cbranch_vccnz .LBB79_1370
; %bb.1365:
	s_cmp_gt_i32 s4, 0
	s_cbranch_scc0 .LBB79_1367
; %bb.1366:
	global_load_sbyte v11, v[14:15], off
	s_mov_b64 s[0:1], 0
	s_branch .LBB79_1368
.LBB79_1367:
	s_mov_b64 s[0:1], -1
                                        ; implicit-def: $vgpr11
.LBB79_1368:
	s_andn2_b64 vcc, exec, s[0:1]
	s_cbranch_vccnz .LBB79_1370
; %bb.1369:
	global_load_ubyte v11, v[14:15], off
.LBB79_1370:
.LBB79_1371:
	v_mov_b32_e32 v1, s11
	v_add_co_u32_e32 v14, vcc, s10, v9
	s_cmp_lt_i32 s14, 11
	v_addc_co_u32_e32 v15, vcc, 0, v1, vcc
	s_cbranch_scc1 .LBB79_1378
; %bb.1372:
	s_and_b32 s15, 0xffff, s14
	s_cmp_gt_i32 s15, 25
	s_mov_b64 s[4:5], 0
	s_cbranch_scc0 .LBB79_1380
; %bb.1373:
	s_cmp_gt_i32 s15, 28
	s_cbranch_scc0 .LBB79_1381
; %bb.1374:
	s_cmp_gt_i32 s15, 43
	;; [unrolled: 3-line block ×3, first 2 shown]
	s_cbranch_scc0 .LBB79_1384
; %bb.1376:
	s_cmp_eq_u32 s15, 46
	s_mov_b64 s[12:13], 0
	s_cbranch_scc0 .LBB79_1385
; %bb.1377:
	global_load_dword v1, v[14:15], off
	s_mov_b64 s[0:1], 0
	s_mov_b64 s[6:7], -1
	s_waitcnt vmcnt(0)
	v_lshlrev_b32_e32 v1, 16, v1
	v_cvt_i32_f32_e32 v9, v1
	s_branch .LBB79_1386
.LBB79_1378:
	s_mov_b64 s[6:7], 0
                                        ; implicit-def: $vgpr9
	s_cbranch_execnz .LBB79_1448
.LBB79_1379:
	s_andn2_b64 vcc, exec, s[6:7]
	s_cbranch_vccnz .LBB79_2055
	s_branch .LBB79_1496
.LBB79_1380:
	s_mov_b64 s[12:13], -1
	s_mov_b64 s[6:7], 0
	s_mov_b64 s[0:1], 0
                                        ; implicit-def: $vgpr9
	s_branch .LBB79_1413
.LBB79_1381:
	s_mov_b64 s[12:13], -1
	s_mov_b64 s[6:7], 0
	s_mov_b64 s[0:1], 0
                                        ; implicit-def: $vgpr9
	s_branch .LBB79_1396
.LBB79_1382:
	s_mov_b64 s[12:13], -1
	s_mov_b64 s[6:7], 0
	s_mov_b64 s[0:1], 0
                                        ; implicit-def: $vgpr9
	s_branch .LBB79_1391
.LBB79_1383:
	s_trap 2
	s_or_b64 s[2:3], s[2:3], exec
	s_cbranch_execz .LBB79_1322
	s_branch .LBB79_1323
.LBB79_1384:
	s_mov_b64 s[12:13], -1
	s_mov_b64 s[6:7], 0
	s_mov_b64 s[0:1], 0
                                        ; implicit-def: $vgpr9
	s_branch .LBB79_1386
.LBB79_1385:
	s_mov_b64 s[0:1], -1
                                        ; implicit-def: $vgpr9
	s_mov_b64 s[6:7], 0
.LBB79_1386:
	s_and_b64 vcc, exec, s[12:13]
	s_cbranch_vccz .LBB79_1390
; %bb.1387:
	s_cmp_eq_u32 s15, 44
	s_cbranch_scc0 .LBB79_1389
; %bb.1388:
	global_load_ubyte v1, v[14:15], off
	s_mov_b64 s[0:1], 0
	s_mov_b64 s[6:7], -1
	s_waitcnt vmcnt(0)
	v_lshlrev_b32_e32 v3, 23, v1
	v_cvt_i32_f32_e32 v3, v3
	v_cmp_ne_u32_e32 vcc, 0, v1
	v_cndmask_b32_e32 v9, 0, v3, vcc
	s_branch .LBB79_1390
.LBB79_1389:
	s_mov_b64 s[0:1], -1
                                        ; implicit-def: $vgpr9
.LBB79_1390:
	s_mov_b64 s[12:13], 0
.LBB79_1391:
	s_and_b64 vcc, exec, s[12:13]
	s_cbranch_vccz .LBB79_1395
; %bb.1392:
	s_cmp_eq_u32 s15, 29
	s_cbranch_scc0 .LBB79_1394
; %bb.1393:
	global_load_dwordx2 v[9:10], v[14:15], off
	s_mov_b64 s[0:1], 0
	s_mov_b64 s[6:7], -1
	s_branch .LBB79_1395
.LBB79_1394:
	s_mov_b64 s[0:1], -1
                                        ; implicit-def: $vgpr9
.LBB79_1395:
	s_mov_b64 s[12:13], 0
.LBB79_1396:
	s_and_b64 vcc, exec, s[12:13]
	s_cbranch_vccz .LBB79_1412
; %bb.1397:
	s_cmp_lt_i32 s15, 27
	s_cbranch_scc1 .LBB79_1400
; %bb.1398:
	s_cmp_gt_i32 s15, 27
	s_cbranch_scc0 .LBB79_1401
; %bb.1399:
	global_load_dword v9, v[14:15], off
	s_mov_b64 s[6:7], 0
	s_branch .LBB79_1402
.LBB79_1400:
	s_mov_b64 s[6:7], -1
                                        ; implicit-def: $vgpr9
	s_branch .LBB79_1405
.LBB79_1401:
	s_mov_b64 s[6:7], -1
                                        ; implicit-def: $vgpr9
.LBB79_1402:
	s_andn2_b64 vcc, exec, s[6:7]
	s_cbranch_vccnz .LBB79_1404
; %bb.1403:
	global_load_ushort v9, v[14:15], off
.LBB79_1404:
	s_mov_b64 s[6:7], 0
.LBB79_1405:
	s_andn2_b64 vcc, exec, s[6:7]
	s_cbranch_vccnz .LBB79_1411
; %bb.1406:
	global_load_ubyte v1, v[14:15], off
	s_movk_i32 s6, 0x7f
	s_mov_b64 s[12:13], 0
	s_waitcnt vmcnt(0)
	v_cmp_lt_i16_e32 vcc, s6, v1
	s_and_saveexec_b64 s[6:7], vcc
	s_xor_b64 s[6:7], exec, s[6:7]
	s_cbranch_execz .LBB79_1423
; %bb.1407:
	s_movk_i32 s12, 0x80
	v_cmp_ne_u16_e32 vcc, s12, v1
	s_and_b64 s[12:13], vcc, exec
	s_andn2_saveexec_b64 s[6:7], s[6:7]
	s_cbranch_execnz .LBB79_1424
.LBB79_1408:
	s_or_b64 exec, exec, s[6:7]
	v_mov_b32_e32 v9, 0
	s_and_saveexec_b64 s[6:7], s[12:13]
	s_cbranch_execz .LBB79_1410
.LBB79_1409:
	v_lshlrev_b32_e32 v3, 24, v1
	v_and_b32_e32 v1, 0xffff, v1
	v_and_b32_e32 v5, 7, v1
	v_ffbh_u32_e32 v9, v5
	v_min_u32_e32 v9, 32, v9
	v_subrev_u32_e32 v10, 28, v9
	v_bfe_u32 v8, v1, 3, 4
	v_lshlrev_b32_e32 v1, v10, v1
	v_sub_u32_e32 v9, 29, v9
	v_and_b32_e32 v1, 7, v1
	v_cmp_eq_u32_e32 vcc, 0, v8
	v_cndmask_b32_e32 v8, v8, v9, vcc
	v_cndmask_b32_e32 v1, v5, v1, vcc
	v_mov_b32_e32 v5, 0x3b800000
	v_lshlrev_b32_e32 v1, 20, v1
	v_and_b32_e32 v3, 0x80000000, v3
	v_lshl_add_u32 v5, v8, 23, v5
	v_or3_b32 v1, v3, v5, v1
	v_cvt_i32_f32_e32 v9, v1
.LBB79_1410:
	s_or_b64 exec, exec, s[6:7]
.LBB79_1411:
	s_mov_b64 s[6:7], -1
.LBB79_1412:
	s_mov_b64 s[12:13], 0
.LBB79_1413:
	s_and_b64 vcc, exec, s[12:13]
	s_cbranch_vccz .LBB79_1444
; %bb.1414:
	s_cmp_gt_i32 s15, 22
	s_cbranch_scc0 .LBB79_1422
; %bb.1415:
	s_cmp_lt_i32 s15, 24
	s_cbranch_scc1 .LBB79_1425
; %bb.1416:
	s_cmp_gt_i32 s15, 24
	s_cbranch_scc0 .LBB79_1426
; %bb.1417:
	global_load_ubyte v1, v[14:15], off
	s_movk_i32 s4, 0x7f
	s_mov_b64 s[6:7], 0
	s_waitcnt vmcnt(0)
	v_cmp_lt_i16_e32 vcc, s4, v1
	s_and_saveexec_b64 s[4:5], vcc
	s_xor_b64 s[4:5], exec, s[4:5]
	s_cbranch_execz .LBB79_1438
; %bb.1418:
	s_movk_i32 s6, 0x80
	v_cmp_ne_u16_e32 vcc, s6, v1
	s_and_b64 s[6:7], vcc, exec
	s_andn2_saveexec_b64 s[4:5], s[4:5]
	s_cbranch_execnz .LBB79_1439
.LBB79_1419:
	s_or_b64 exec, exec, s[4:5]
	v_mov_b32_e32 v9, 0
	s_and_saveexec_b64 s[4:5], s[6:7]
	s_cbranch_execz .LBB79_1421
.LBB79_1420:
	v_lshlrev_b32_e32 v3, 24, v1
	v_and_b32_e32 v1, 0xffff, v1
	v_and_b32_e32 v5, 3, v1
	v_ffbh_u32_e32 v9, v5
	v_min_u32_e32 v9, 32, v9
	v_subrev_u32_e32 v10, 29, v9
	v_bfe_u32 v8, v1, 2, 5
	v_lshlrev_b32_e32 v1, v10, v1
	v_sub_u32_e32 v9, 30, v9
	v_and_b32_e32 v1, 3, v1
	v_cmp_eq_u32_e32 vcc, 0, v8
	v_cndmask_b32_e32 v8, v8, v9, vcc
	v_cndmask_b32_e32 v1, v5, v1, vcc
	v_mov_b32_e32 v5, 0x37800000
	v_lshlrev_b32_e32 v1, 21, v1
	v_and_b32_e32 v3, 0x80000000, v3
	v_lshl_add_u32 v5, v8, 23, v5
	v_or3_b32 v1, v3, v5, v1
	v_cvt_i32_f32_e32 v9, v1
.LBB79_1421:
	s_or_b64 exec, exec, s[4:5]
	s_mov_b64 s[4:5], 0
	s_branch .LBB79_1427
.LBB79_1422:
	s_mov_b64 s[4:5], -1
                                        ; implicit-def: $vgpr9
	s_branch .LBB79_1433
.LBB79_1423:
	s_andn2_saveexec_b64 s[6:7], s[6:7]
	s_cbranch_execz .LBB79_1408
.LBB79_1424:
	v_cmp_ne_u16_e32 vcc, 0, v1
	s_andn2_b64 s[12:13], s[12:13], exec
	s_and_b64 s[16:17], vcc, exec
	s_or_b64 s[12:13], s[12:13], s[16:17]
	s_or_b64 exec, exec, s[6:7]
	v_mov_b32_e32 v9, 0
	s_and_saveexec_b64 s[6:7], s[12:13]
	s_cbranch_execnz .LBB79_1409
	s_branch .LBB79_1410
.LBB79_1425:
	s_mov_b64 s[4:5], -1
                                        ; implicit-def: $vgpr9
	s_branch .LBB79_1430
.LBB79_1426:
	s_mov_b64 s[4:5], -1
                                        ; implicit-def: $vgpr9
.LBB79_1427:
	s_and_b64 vcc, exec, s[4:5]
	s_cbranch_vccz .LBB79_1429
; %bb.1428:
	global_load_ubyte v1, v[14:15], off
	s_mov_b32 s4, 0x7f800000
	s_waitcnt vmcnt(0)
	v_lshlrev_b32_e32 v1, 24, v1
	v_and_b32_e32 v3, 0x7f000000, v1
	v_ffbh_u32_e32 v5, v3
	v_min_u32_e32 v5, 32, v5
	v_sub_u32_e64 v5, v5, 4 clamp
	v_lshlrev_b32_e32 v9, v5, v3
	v_lshlrev_b32_e32 v5, 23, v5
	v_lshrrev_b32_e32 v9, 4, v9
	v_add_u32_e32 v8, 0x1000000, v3
	v_sub_u32_e32 v5, v9, v5
	v_ashrrev_i32_e32 v8, 8, v8
	v_add_u32_e32 v5, 0x3c000000, v5
	v_and_or_b32 v5, v8, s4, v5
	v_cmp_ne_u32_e32 vcc, 0, v3
	v_cndmask_b32_e32 v3, 0, v5, vcc
	s_brev_b32 s4, 1
	v_and_or_b32 v1, v1, s4, v3
	v_cvt_i32_f32_e32 v9, v1
.LBB79_1429:
	s_mov_b64 s[4:5], 0
.LBB79_1430:
	s_andn2_b64 vcc, exec, s[4:5]
	s_cbranch_vccnz .LBB79_1432
; %bb.1431:
	global_load_ubyte v1, v[14:15], off
	s_movk_i32 s4, 0x7f00
	s_brev_b32 s5, 16
	s_waitcnt vmcnt(0)
	v_lshlrev_b16_e32 v3, 8, v1
	v_lshlrev_b32_e32 v1, 25, v1
	v_lshrrev_b32_e32 v5, 4, v1
	v_and_or_b32 v8, v3, s4, 0.5
	v_or_b32_e32 v5, 0x70000000, v5
	v_add_f32_e32 v8, -0.5, v8
	v_mul_f32_e32 v5, 0x7800000, v5
	v_cmp_gt_u32_e32 vcc, s5, v1
	v_bfe_i32 v3, v3, 0, 16
	v_cndmask_b32_e32 v1, v5, v8, vcc
	s_brev_b32 s4, 1
	v_and_or_b32 v1, v3, s4, v1
	v_cvt_i32_f32_e32 v9, v1
.LBB79_1432:
	s_mov_b64 s[4:5], 0
	s_mov_b64 s[6:7], -1
.LBB79_1433:
	s_andn2_b64 vcc, exec, s[4:5]
	s_mov_b64 s[4:5], 0
	s_cbranch_vccnz .LBB79_1444
; %bb.1434:
	s_cmp_gt_i32 s15, 14
	s_cbranch_scc0 .LBB79_1437
; %bb.1435:
	s_cmp_eq_u32 s15, 15
	s_cbranch_scc0 .LBB79_1440
; %bb.1436:
	global_load_ushort v1, v[14:15], off
	s_mov_b64 s[0:1], 0
	s_mov_b64 s[6:7], -1
	s_waitcnt vmcnt(0)
	v_lshlrev_b32_e32 v1, 16, v1
	v_cvt_i32_f32_e32 v9, v1
	s_branch .LBB79_1441
.LBB79_1437:
	s_mov_b64 s[12:13], -1
                                        ; implicit-def: $vgpr9
	s_branch .LBB79_1442
.LBB79_1438:
	s_andn2_saveexec_b64 s[4:5], s[4:5]
	s_cbranch_execz .LBB79_1419
.LBB79_1439:
	v_cmp_ne_u16_e32 vcc, 0, v1
	s_andn2_b64 s[6:7], s[6:7], exec
	s_and_b64 s[12:13], vcc, exec
	s_or_b64 s[6:7], s[6:7], s[12:13]
	s_or_b64 exec, exec, s[4:5]
	v_mov_b32_e32 v9, 0
	s_and_saveexec_b64 s[4:5], s[6:7]
	s_cbranch_execnz .LBB79_1420
	s_branch .LBB79_1421
.LBB79_1440:
	s_mov_b64 s[0:1], -1
                                        ; implicit-def: $vgpr9
.LBB79_1441:
	s_mov_b64 s[12:13], 0
.LBB79_1442:
	s_and_b64 vcc, exec, s[12:13]
	s_cbranch_vccz .LBB79_1444
; %bb.1443:
	s_cmp_lg_u32 s15, 11
	s_mov_b64 s[4:5], -1
	s_cselect_b64 s[0:1], -1, 0
.LBB79_1444:
	s_and_b64 vcc, exec, s[0:1]
	s_cbranch_vccnz .LBB79_1507
; %bb.1445:
	s_andn2_b64 vcc, exec, s[4:5]
	s_cbranch_vccnz .LBB79_1447
.LBB79_1446:
	global_load_ubyte v1, v[14:15], off
	s_mov_b64 s[6:7], -1
	s_waitcnt vmcnt(0)
	v_cmp_ne_u16_e32 vcc, 0, v1
	v_cndmask_b32_e64 v9, 0, 1, vcc
.LBB79_1447:
	s_branch .LBB79_1379
.LBB79_1448:
	s_and_b32 s4, 0xffff, s14
	s_cmp_lt_i32 s4, 5
	s_cbranch_scc1 .LBB79_1453
; %bb.1449:
	s_cmp_lt_i32 s4, 8
	s_cbranch_scc1 .LBB79_1454
; %bb.1450:
	;; [unrolled: 3-line block ×3, first 2 shown]
	s_cmp_gt_i32 s4, 9
	s_cbranch_scc0 .LBB79_1456
; %bb.1452:
	global_load_dwordx2 v[8:9], v[14:15], off
	s_mov_b64 s[0:1], 0
	s_waitcnt vmcnt(0)
	v_cvt_i32_f64_e32 v9, v[8:9]
	s_branch .LBB79_1457
.LBB79_1453:
	s_mov_b64 s[0:1], -1
                                        ; implicit-def: $vgpr9
	s_branch .LBB79_1475
.LBB79_1454:
	s_mov_b64 s[0:1], -1
                                        ; implicit-def: $vgpr9
	s_branch .LBB79_1463
.LBB79_1455:
	s_mov_b64 s[0:1], -1
                                        ; implicit-def: $vgpr9
	s_branch .LBB79_1460
.LBB79_1456:
	s_mov_b64 s[0:1], -1
                                        ; implicit-def: $vgpr9
.LBB79_1457:
	s_andn2_b64 vcc, exec, s[0:1]
	s_cbranch_vccnz .LBB79_1459
; %bb.1458:
	global_load_dword v1, v[14:15], off
	s_waitcnt vmcnt(0)
	v_cvt_i32_f32_e32 v9, v1
.LBB79_1459:
	s_mov_b64 s[0:1], 0
.LBB79_1460:
	s_andn2_b64 vcc, exec, s[0:1]
	s_cbranch_vccnz .LBB79_1462
; %bb.1461:
	global_load_dword v1, v[14:15], off
	s_waitcnt vmcnt(0)
	v_cvt_i16_f16_e32 v9, v1
.LBB79_1462:
	s_mov_b64 s[0:1], 0
.LBB79_1463:
	s_andn2_b64 vcc, exec, s[0:1]
	s_cbranch_vccnz .LBB79_1474
; %bb.1464:
	s_cmp_lt_i32 s4, 6
	s_cbranch_scc1 .LBB79_1467
; %bb.1465:
	s_cmp_gt_i32 s4, 6
	s_cbranch_scc0 .LBB79_1468
; %bb.1466:
	global_load_dwordx2 v[8:9], v[14:15], off
	s_mov_b64 s[0:1], 0
	s_waitcnt vmcnt(0)
	v_cvt_i32_f64_e32 v9, v[8:9]
	s_branch .LBB79_1469
.LBB79_1467:
	s_mov_b64 s[0:1], -1
                                        ; implicit-def: $vgpr9
	s_branch .LBB79_1472
.LBB79_1468:
	s_mov_b64 s[0:1], -1
                                        ; implicit-def: $vgpr9
.LBB79_1469:
	s_andn2_b64 vcc, exec, s[0:1]
	s_cbranch_vccnz .LBB79_1471
; %bb.1470:
	global_load_dword v1, v[14:15], off
	s_waitcnt vmcnt(0)
	v_cvt_i32_f32_e32 v9, v1
.LBB79_1471:
	s_mov_b64 s[0:1], 0
.LBB79_1472:
	s_andn2_b64 vcc, exec, s[0:1]
	s_cbranch_vccnz .LBB79_1474
; %bb.1473:
	global_load_ushort v1, v[14:15], off
	s_waitcnt vmcnt(0)
	v_cvt_i16_f16_e32 v9, v1
.LBB79_1474:
	s_mov_b64 s[0:1], 0
.LBB79_1475:
	s_andn2_b64 vcc, exec, s[0:1]
	s_cbranch_vccnz .LBB79_1495
; %bb.1476:
	s_cmp_lt_i32 s4, 2
	s_cbranch_scc1 .LBB79_1480
; %bb.1477:
	s_cmp_lt_i32 s4, 3
	s_cbranch_scc1 .LBB79_1481
; %bb.1478:
	s_cmp_gt_i32 s4, 3
	s_cbranch_scc0 .LBB79_1482
; %bb.1479:
	global_load_dwordx2 v[9:10], v[14:15], off
	s_mov_b64 s[0:1], 0
	s_branch .LBB79_1483
.LBB79_1480:
	s_mov_b64 s[0:1], -1
                                        ; implicit-def: $vgpr9
	s_branch .LBB79_1489
.LBB79_1481:
	s_mov_b64 s[0:1], -1
                                        ; implicit-def: $vgpr9
	s_branch .LBB79_1486
.LBB79_1482:
	s_mov_b64 s[0:1], -1
                                        ; implicit-def: $vgpr9
.LBB79_1483:
	s_andn2_b64 vcc, exec, s[0:1]
	s_cbranch_vccnz .LBB79_1485
; %bb.1484:
	global_load_dword v9, v[14:15], off
.LBB79_1485:
	s_mov_b64 s[0:1], 0
.LBB79_1486:
	s_andn2_b64 vcc, exec, s[0:1]
	s_cbranch_vccnz .LBB79_1488
; %bb.1487:
	global_load_ushort v9, v[14:15], off
.LBB79_1488:
	s_mov_b64 s[0:1], 0
.LBB79_1489:
	s_andn2_b64 vcc, exec, s[0:1]
	s_cbranch_vccnz .LBB79_1495
; %bb.1490:
	s_cmp_gt_i32 s4, 0
	s_cbranch_scc0 .LBB79_1492
; %bb.1491:
	global_load_sbyte v9, v[14:15], off
	s_mov_b64 s[0:1], 0
	s_branch .LBB79_1493
.LBB79_1492:
	s_mov_b64 s[0:1], -1
                                        ; implicit-def: $vgpr9
.LBB79_1493:
	s_andn2_b64 vcc, exec, s[0:1]
	s_cbranch_vccnz .LBB79_1495
; %bb.1494:
	global_load_ubyte v9, v[14:15], off
.LBB79_1495:
.LBB79_1496:
	v_mov_b32_e32 v1, s11
	v_add_co_u32_e32 v14, vcc, s10, v7
	s_cmp_lt_i32 s14, 11
	v_addc_co_u32_e32 v15, vcc, 0, v1, vcc
	s_cbranch_scc1 .LBB79_1503
; %bb.1497:
	s_and_b32 s12, 0xffff, s14
	s_cmp_gt_i32 s12, 25
	s_mov_b64 s[4:5], 0
	s_cbranch_scc0 .LBB79_1504
; %bb.1498:
	s_cmp_gt_i32 s12, 28
	s_cbranch_scc0 .LBB79_1505
; %bb.1499:
	s_cmp_gt_i32 s12, 43
	;; [unrolled: 3-line block ×3, first 2 shown]
	s_cbranch_scc0 .LBB79_1508
; %bb.1501:
	s_cmp_eq_u32 s12, 46
	s_mov_b64 s[10:11], 0
	s_cbranch_scc0 .LBB79_1509
; %bb.1502:
	global_load_dword v1, v[14:15], off
	s_mov_b64 s[0:1], 0
	s_mov_b64 s[6:7], -1
	s_waitcnt vmcnt(0)
	v_lshlrev_b32_e32 v1, 16, v1
	v_cvt_i32_f32_e32 v7, v1
	s_branch .LBB79_1510
.LBB79_1503:
	s_mov_b64 s[0:1], -1
	s_mov_b64 s[6:7], 0
                                        ; implicit-def: $vgpr7
	s_branch .LBB79_1572
.LBB79_1504:
	s_mov_b64 s[10:11], -1
	s_mov_b64 s[6:7], 0
	s_mov_b64 s[0:1], 0
                                        ; implicit-def: $vgpr7
	s_branch .LBB79_1537
.LBB79_1505:
	s_mov_b64 s[10:11], -1
	s_mov_b64 s[6:7], 0
	s_mov_b64 s[0:1], 0
                                        ; implicit-def: $vgpr7
	s_branch .LBB79_1520
.LBB79_1506:
	s_mov_b64 s[10:11], -1
	s_mov_b64 s[6:7], 0
	s_mov_b64 s[0:1], 0
                                        ; implicit-def: $vgpr7
	s_branch .LBB79_1515
.LBB79_1507:
	s_trap 2
	s_or_b64 s[2:3], s[2:3], exec
	s_cbranch_execz .LBB79_1446
	s_branch .LBB79_1447
.LBB79_1508:
	s_mov_b64 s[10:11], -1
	s_mov_b64 s[6:7], 0
	s_mov_b64 s[0:1], 0
                                        ; implicit-def: $vgpr7
	s_branch .LBB79_1510
.LBB79_1509:
	s_mov_b64 s[0:1], -1
                                        ; implicit-def: $vgpr7
	s_mov_b64 s[6:7], 0
.LBB79_1510:
	s_and_b64 vcc, exec, s[10:11]
	s_cbranch_vccz .LBB79_1514
; %bb.1511:
	s_cmp_eq_u32 s12, 44
	s_cbranch_scc0 .LBB79_1513
; %bb.1512:
	global_load_ubyte v1, v[14:15], off
	s_mov_b64 s[0:1], 0
	s_mov_b64 s[6:7], -1
	s_waitcnt vmcnt(0)
	v_lshlrev_b32_e32 v3, 23, v1
	v_cvt_i32_f32_e32 v3, v3
	v_cmp_ne_u32_e32 vcc, 0, v1
	v_cndmask_b32_e32 v7, 0, v3, vcc
	s_branch .LBB79_1514
.LBB79_1513:
	s_mov_b64 s[0:1], -1
                                        ; implicit-def: $vgpr7
.LBB79_1514:
	s_mov_b64 s[10:11], 0
.LBB79_1515:
	s_and_b64 vcc, exec, s[10:11]
	s_cbranch_vccz .LBB79_1519
; %bb.1516:
	s_cmp_eq_u32 s12, 29
	s_cbranch_scc0 .LBB79_1518
; %bb.1517:
	global_load_dwordx2 v[7:8], v[14:15], off
	s_mov_b64 s[0:1], 0
	s_mov_b64 s[6:7], -1
	s_branch .LBB79_1519
.LBB79_1518:
	s_mov_b64 s[0:1], -1
                                        ; implicit-def: $vgpr7
.LBB79_1519:
	s_mov_b64 s[10:11], 0
.LBB79_1520:
	s_and_b64 vcc, exec, s[10:11]
	s_cbranch_vccz .LBB79_1536
; %bb.1521:
	s_cmp_lt_i32 s12, 27
	s_cbranch_scc1 .LBB79_1524
; %bb.1522:
	s_cmp_gt_i32 s12, 27
	s_cbranch_scc0 .LBB79_1525
; %bb.1523:
	global_load_dword v7, v[14:15], off
	s_mov_b64 s[6:7], 0
	s_branch .LBB79_1526
.LBB79_1524:
	s_mov_b64 s[6:7], -1
                                        ; implicit-def: $vgpr7
	s_branch .LBB79_1529
.LBB79_1525:
	s_mov_b64 s[6:7], -1
                                        ; implicit-def: $vgpr7
.LBB79_1526:
	s_andn2_b64 vcc, exec, s[6:7]
	s_cbranch_vccnz .LBB79_1528
; %bb.1527:
	global_load_ushort v7, v[14:15], off
.LBB79_1528:
	s_mov_b64 s[6:7], 0
.LBB79_1529:
	s_andn2_b64 vcc, exec, s[6:7]
	s_cbranch_vccnz .LBB79_1535
; %bb.1530:
	global_load_ubyte v1, v[14:15], off
	s_movk_i32 s6, 0x7f
	s_mov_b64 s[10:11], 0
	s_waitcnt vmcnt(0)
	v_cmp_lt_i16_e32 vcc, s6, v1
	s_and_saveexec_b64 s[6:7], vcc
	s_xor_b64 s[6:7], exec, s[6:7]
	s_cbranch_execz .LBB79_1547
; %bb.1531:
	s_movk_i32 s10, 0x80
	v_cmp_ne_u16_e32 vcc, s10, v1
	s_and_b64 s[10:11], vcc, exec
	s_andn2_saveexec_b64 s[6:7], s[6:7]
	s_cbranch_execnz .LBB79_1548
.LBB79_1532:
	s_or_b64 exec, exec, s[6:7]
	v_mov_b32_e32 v7, 0
	s_and_saveexec_b64 s[6:7], s[10:11]
	s_cbranch_execz .LBB79_1534
.LBB79_1533:
	v_lshlrev_b32_e32 v3, 24, v1
	v_and_b32_e32 v1, 0xffff, v1
	v_and_b32_e32 v5, 7, v1
	v_ffbh_u32_e32 v8, v5
	v_min_u32_e32 v8, 32, v8
	v_subrev_u32_e32 v10, 28, v8
	v_bfe_u32 v7, v1, 3, 4
	v_lshlrev_b32_e32 v1, v10, v1
	v_sub_u32_e32 v8, 29, v8
	v_and_b32_e32 v1, 7, v1
	v_cmp_eq_u32_e32 vcc, 0, v7
	v_cndmask_b32_e32 v7, v7, v8, vcc
	v_cndmask_b32_e32 v1, v5, v1, vcc
	v_mov_b32_e32 v5, 0x3b800000
	v_lshlrev_b32_e32 v1, 20, v1
	v_and_b32_e32 v3, 0x80000000, v3
	v_lshl_add_u32 v5, v7, 23, v5
	v_or3_b32 v1, v3, v5, v1
	v_cvt_i32_f32_e32 v7, v1
.LBB79_1534:
	s_or_b64 exec, exec, s[6:7]
.LBB79_1535:
	s_mov_b64 s[6:7], -1
.LBB79_1536:
	s_mov_b64 s[10:11], 0
.LBB79_1537:
	s_and_b64 vcc, exec, s[10:11]
	s_cbranch_vccz .LBB79_1568
; %bb.1538:
	s_cmp_gt_i32 s12, 22
	s_cbranch_scc0 .LBB79_1546
; %bb.1539:
	s_cmp_lt_i32 s12, 24
	s_cbranch_scc1 .LBB79_1549
; %bb.1540:
	s_cmp_gt_i32 s12, 24
	s_cbranch_scc0 .LBB79_1550
; %bb.1541:
	global_load_ubyte v1, v[14:15], off
	s_movk_i32 s4, 0x7f
	s_mov_b64 s[6:7], 0
	s_waitcnt vmcnt(0)
	v_cmp_lt_i16_e32 vcc, s4, v1
	s_and_saveexec_b64 s[4:5], vcc
	s_xor_b64 s[4:5], exec, s[4:5]
	s_cbranch_execz .LBB79_1562
; %bb.1542:
	s_movk_i32 s6, 0x80
	v_cmp_ne_u16_e32 vcc, s6, v1
	s_and_b64 s[6:7], vcc, exec
	s_andn2_saveexec_b64 s[4:5], s[4:5]
	s_cbranch_execnz .LBB79_1563
.LBB79_1543:
	s_or_b64 exec, exec, s[4:5]
	v_mov_b32_e32 v7, 0
	s_and_saveexec_b64 s[4:5], s[6:7]
	s_cbranch_execz .LBB79_1545
.LBB79_1544:
	v_lshlrev_b32_e32 v3, 24, v1
	v_and_b32_e32 v1, 0xffff, v1
	v_and_b32_e32 v5, 3, v1
	v_ffbh_u32_e32 v8, v5
	v_min_u32_e32 v8, 32, v8
	v_subrev_u32_e32 v10, 29, v8
	v_bfe_u32 v7, v1, 2, 5
	v_lshlrev_b32_e32 v1, v10, v1
	v_sub_u32_e32 v8, 30, v8
	v_and_b32_e32 v1, 3, v1
	v_cmp_eq_u32_e32 vcc, 0, v7
	v_cndmask_b32_e32 v7, v7, v8, vcc
	v_cndmask_b32_e32 v1, v5, v1, vcc
	v_mov_b32_e32 v5, 0x37800000
	v_lshlrev_b32_e32 v1, 21, v1
	v_and_b32_e32 v3, 0x80000000, v3
	v_lshl_add_u32 v5, v7, 23, v5
	v_or3_b32 v1, v3, v5, v1
	v_cvt_i32_f32_e32 v7, v1
.LBB79_1545:
	s_or_b64 exec, exec, s[4:5]
	s_mov_b64 s[4:5], 0
	s_branch .LBB79_1551
.LBB79_1546:
	s_mov_b64 s[4:5], -1
                                        ; implicit-def: $vgpr7
	s_branch .LBB79_1557
.LBB79_1547:
	s_andn2_saveexec_b64 s[6:7], s[6:7]
	s_cbranch_execz .LBB79_1532
.LBB79_1548:
	v_cmp_ne_u16_e32 vcc, 0, v1
	s_andn2_b64 s[10:11], s[10:11], exec
	s_and_b64 s[16:17], vcc, exec
	s_or_b64 s[10:11], s[10:11], s[16:17]
	s_or_b64 exec, exec, s[6:7]
	v_mov_b32_e32 v7, 0
	s_and_saveexec_b64 s[6:7], s[10:11]
	s_cbranch_execnz .LBB79_1533
	s_branch .LBB79_1534
.LBB79_1549:
	s_mov_b64 s[4:5], -1
                                        ; implicit-def: $vgpr7
	s_branch .LBB79_1554
.LBB79_1550:
	s_mov_b64 s[4:5], -1
                                        ; implicit-def: $vgpr7
.LBB79_1551:
	s_and_b64 vcc, exec, s[4:5]
	s_cbranch_vccz .LBB79_1553
; %bb.1552:
	global_load_ubyte v1, v[14:15], off
	s_mov_b32 s4, 0x7f800000
	s_waitcnt vmcnt(0)
	v_lshlrev_b32_e32 v1, 24, v1
	v_and_b32_e32 v3, 0x7f000000, v1
	v_ffbh_u32_e32 v5, v3
	v_min_u32_e32 v5, 32, v5
	v_sub_u32_e64 v5, v5, 4 clamp
	v_lshlrev_b32_e32 v8, v5, v3
	v_lshlrev_b32_e32 v5, 23, v5
	v_lshrrev_b32_e32 v8, 4, v8
	v_add_u32_e32 v7, 0x1000000, v3
	v_sub_u32_e32 v5, v8, v5
	v_ashrrev_i32_e32 v7, 8, v7
	v_add_u32_e32 v5, 0x3c000000, v5
	v_and_or_b32 v5, v7, s4, v5
	v_cmp_ne_u32_e32 vcc, 0, v3
	v_cndmask_b32_e32 v3, 0, v5, vcc
	s_brev_b32 s4, 1
	v_and_or_b32 v1, v1, s4, v3
	v_cvt_i32_f32_e32 v7, v1
.LBB79_1553:
	s_mov_b64 s[4:5], 0
.LBB79_1554:
	s_andn2_b64 vcc, exec, s[4:5]
	s_cbranch_vccnz .LBB79_1556
; %bb.1555:
	global_load_ubyte v1, v[14:15], off
	s_movk_i32 s4, 0x7f00
	s_brev_b32 s5, 16
	s_waitcnt vmcnt(0)
	v_lshlrev_b16_e32 v3, 8, v1
	v_lshlrev_b32_e32 v1, 25, v1
	v_lshrrev_b32_e32 v5, 4, v1
	v_and_or_b32 v7, v3, s4, 0.5
	v_or_b32_e32 v5, 0x70000000, v5
	v_add_f32_e32 v7, -0.5, v7
	v_mul_f32_e32 v5, 0x7800000, v5
	v_cmp_gt_u32_e32 vcc, s5, v1
	v_bfe_i32 v3, v3, 0, 16
	v_cndmask_b32_e32 v1, v5, v7, vcc
	s_brev_b32 s4, 1
	v_and_or_b32 v1, v3, s4, v1
	v_cvt_i32_f32_e32 v7, v1
.LBB79_1556:
	s_mov_b64 s[4:5], 0
	s_mov_b64 s[6:7], -1
.LBB79_1557:
	s_andn2_b64 vcc, exec, s[4:5]
	s_mov_b64 s[4:5], 0
	s_cbranch_vccnz .LBB79_1568
; %bb.1558:
	s_cmp_gt_i32 s12, 14
	s_cbranch_scc0 .LBB79_1561
; %bb.1559:
	s_cmp_eq_u32 s12, 15
	s_cbranch_scc0 .LBB79_1564
; %bb.1560:
	global_load_ushort v1, v[14:15], off
	s_mov_b64 s[0:1], 0
	s_mov_b64 s[6:7], -1
	s_waitcnt vmcnt(0)
	v_lshlrev_b32_e32 v1, 16, v1
	v_cvt_i32_f32_e32 v7, v1
	s_branch .LBB79_1565
.LBB79_1561:
	s_mov_b64 s[10:11], -1
                                        ; implicit-def: $vgpr7
	s_branch .LBB79_1566
.LBB79_1562:
	s_andn2_saveexec_b64 s[4:5], s[4:5]
	s_cbranch_execz .LBB79_1543
.LBB79_1563:
	v_cmp_ne_u16_e32 vcc, 0, v1
	s_andn2_b64 s[6:7], s[6:7], exec
	s_and_b64 s[10:11], vcc, exec
	s_or_b64 s[6:7], s[6:7], s[10:11]
	s_or_b64 exec, exec, s[4:5]
	v_mov_b32_e32 v7, 0
	s_and_saveexec_b64 s[4:5], s[6:7]
	s_cbranch_execnz .LBB79_1544
	s_branch .LBB79_1545
.LBB79_1564:
	s_mov_b64 s[0:1], -1
                                        ; implicit-def: $vgpr7
.LBB79_1565:
	s_mov_b64 s[10:11], 0
.LBB79_1566:
	s_and_b64 vcc, exec, s[10:11]
	s_cbranch_vccz .LBB79_1568
; %bb.1567:
	s_cmp_lg_u32 s12, 11
	s_mov_b64 s[4:5], -1
	s_cselect_b64 s[0:1], -1, 0
.LBB79_1568:
	s_and_b64 vcc, exec, s[0:1]
	s_cbranch_vccnz .LBB79_2101
; %bb.1569:
	s_andn2_b64 vcc, exec, s[4:5]
	s_cbranch_vccnz .LBB79_1571
.LBB79_1570:
	global_load_ubyte v1, v[14:15], off
	s_mov_b64 s[6:7], -1
	s_waitcnt vmcnt(0)
	v_cmp_ne_u16_e32 vcc, 0, v1
	v_cndmask_b32_e64 v7, 0, 1, vcc
.LBB79_1571:
	s_mov_b64 s[0:1], 0
.LBB79_1572:
	s_and_b64 vcc, exec, s[0:1]
	s_cbranch_vccz .LBB79_1621
; %bb.1573:
	s_and_b32 s4, 0xffff, s14
	s_cmp_lt_i32 s4, 5
	s_cbranch_scc1 .LBB79_1578
; %bb.1574:
	s_cmp_lt_i32 s4, 8
	s_cbranch_scc1 .LBB79_1579
; %bb.1575:
	;; [unrolled: 3-line block ×3, first 2 shown]
	s_cmp_gt_i32 s4, 9
	s_cbranch_scc0 .LBB79_1581
; %bb.1577:
	global_load_dwordx2 v[7:8], v[14:15], off
	s_mov_b64 s[0:1], 0
	s_waitcnt vmcnt(0)
	v_cvt_i32_f64_e32 v7, v[7:8]
	s_branch .LBB79_1582
.LBB79_1578:
	s_mov_b64 s[0:1], -1
                                        ; implicit-def: $vgpr7
	s_branch .LBB79_1600
.LBB79_1579:
	s_mov_b64 s[0:1], -1
                                        ; implicit-def: $vgpr7
	s_branch .LBB79_1588
.LBB79_1580:
	s_mov_b64 s[0:1], -1
                                        ; implicit-def: $vgpr7
	s_branch .LBB79_1585
.LBB79_1581:
	s_mov_b64 s[0:1], -1
                                        ; implicit-def: $vgpr7
.LBB79_1582:
	s_andn2_b64 vcc, exec, s[0:1]
	s_cbranch_vccnz .LBB79_1584
; %bb.1583:
	global_load_dword v1, v[14:15], off
	s_waitcnt vmcnt(0)
	v_cvt_i32_f32_e32 v7, v1
.LBB79_1584:
	s_mov_b64 s[0:1], 0
.LBB79_1585:
	s_andn2_b64 vcc, exec, s[0:1]
	s_cbranch_vccnz .LBB79_1587
; %bb.1586:
	global_load_dword v1, v[14:15], off
	s_waitcnt vmcnt(0)
	v_cvt_i16_f16_e32 v7, v1
.LBB79_1587:
	s_mov_b64 s[0:1], 0
.LBB79_1588:
	s_andn2_b64 vcc, exec, s[0:1]
	s_cbranch_vccnz .LBB79_1599
; %bb.1589:
	s_cmp_lt_i32 s4, 6
	s_cbranch_scc1 .LBB79_1592
; %bb.1590:
	s_cmp_gt_i32 s4, 6
	s_cbranch_scc0 .LBB79_1593
; %bb.1591:
	global_load_dwordx2 v[7:8], v[14:15], off
	s_mov_b64 s[0:1], 0
	s_waitcnt vmcnt(0)
	v_cvt_i32_f64_e32 v7, v[7:8]
	s_branch .LBB79_1594
.LBB79_1592:
	s_mov_b64 s[0:1], -1
                                        ; implicit-def: $vgpr7
	s_branch .LBB79_1597
.LBB79_1593:
	s_mov_b64 s[0:1], -1
                                        ; implicit-def: $vgpr7
.LBB79_1594:
	s_andn2_b64 vcc, exec, s[0:1]
	s_cbranch_vccnz .LBB79_1596
; %bb.1595:
	global_load_dword v1, v[14:15], off
	s_waitcnt vmcnt(0)
	v_cvt_i32_f32_e32 v7, v1
.LBB79_1596:
	s_mov_b64 s[0:1], 0
.LBB79_1597:
	s_andn2_b64 vcc, exec, s[0:1]
	s_cbranch_vccnz .LBB79_1599
; %bb.1598:
	global_load_ushort v1, v[14:15], off
	s_waitcnt vmcnt(0)
	v_cvt_i16_f16_e32 v7, v1
.LBB79_1599:
	s_mov_b64 s[0:1], 0
.LBB79_1600:
	s_andn2_b64 vcc, exec, s[0:1]
	s_cbranch_vccnz .LBB79_1620
; %bb.1601:
	s_cmp_lt_i32 s4, 2
	s_cbranch_scc1 .LBB79_1605
; %bb.1602:
	s_cmp_lt_i32 s4, 3
	s_cbranch_scc1 .LBB79_1606
; %bb.1603:
	s_cmp_gt_i32 s4, 3
	s_cbranch_scc0 .LBB79_1607
; %bb.1604:
	global_load_dwordx2 v[7:8], v[14:15], off
	s_mov_b64 s[0:1], 0
	s_branch .LBB79_1608
.LBB79_1605:
	s_mov_b64 s[0:1], -1
                                        ; implicit-def: $vgpr7
	s_branch .LBB79_1614
.LBB79_1606:
	s_mov_b64 s[0:1], -1
                                        ; implicit-def: $vgpr7
	s_branch .LBB79_1611
.LBB79_1607:
	s_mov_b64 s[0:1], -1
                                        ; implicit-def: $vgpr7
.LBB79_1608:
	s_andn2_b64 vcc, exec, s[0:1]
	s_cbranch_vccnz .LBB79_1610
; %bb.1609:
	global_load_dword v7, v[14:15], off
.LBB79_1610:
	s_mov_b64 s[0:1], 0
.LBB79_1611:
	s_andn2_b64 vcc, exec, s[0:1]
	s_cbranch_vccnz .LBB79_1613
; %bb.1612:
	global_load_ushort v7, v[14:15], off
.LBB79_1613:
	s_mov_b64 s[0:1], 0
.LBB79_1614:
	s_andn2_b64 vcc, exec, s[0:1]
	s_cbranch_vccnz .LBB79_1620
; %bb.1615:
	s_cmp_gt_i32 s4, 0
	s_cbranch_scc0 .LBB79_1617
; %bb.1616:
	global_load_sbyte v7, v[14:15], off
	s_mov_b64 s[0:1], 0
	s_branch .LBB79_1618
.LBB79_1617:
	s_mov_b64 s[0:1], -1
                                        ; implicit-def: $vgpr7
.LBB79_1618:
	s_andn2_b64 vcc, exec, s[0:1]
	s_cbranch_vccnz .LBB79_1620
; %bb.1619:
	global_load_ubyte v7, v[14:15], off
.LBB79_1620:
	s_mov_b64 s[6:7], -1
.LBB79_1621:
	s_andn2_b64 vcc, exec, s[6:7]
	s_cbranch_vccnz .LBB79_2055
; %bb.1622:
	s_load_dwordx2 s[4:5], s[34:35], 0x158
	s_load_dword s0, s[34:35], 0x160
	v_mov_b32_e32 v1, s9
	s_waitcnt lgkmcnt(0)
	s_cmp_eq_u32 s4, 0
	v_cmp_ne_u16_e32 vcc, s5, v13
	s_cselect_b64 s[6:7], -1, 0
	s_and_b32 s20, s0, 0xff
	s_xor_b64 s[10:11], s[6:7], vcc
	v_add_co_u32_e32 v5, vcc, s8, v6
	s_cmp_lt_i32 s20, 11
	v_addc_co_u32_e32 v6, vcc, 0, v1, vcc
	s_cbranch_scc1 .LBB79_1700
; %bb.1623:
	s_and_b32 s4, 0xffff, s20
	s_mov_b64 s[16:17], -1
	s_mov_b64 s[12:13], 0
	s_cmp_gt_i32 s4, 25
	s_mov_b64 s[14:15], 0
	s_mov_b64 s[0:1], 0
	s_cbranch_scc0 .LBB79_1656
; %bb.1624:
	s_cmp_gt_i32 s4, 28
	s_cbranch_scc0 .LBB79_1639
; %bb.1625:
	s_cmp_gt_i32 s4, 43
	;; [unrolled: 3-line block ×3, first 2 shown]
	s_cbranch_scc0 .LBB79_1629
; %bb.1627:
	s_mov_b64 s[0:1], -1
	s_mov_b64 s[16:17], 0
	s_cmp_eq_u32 s4, 46
	s_cbranch_scc0 .LBB79_1629
; %bb.1628:
	v_cndmask_b32_e64 v1, 0, 1.0, s[10:11]
	v_bfe_u32 v3, v1, 16, 1
	s_movk_i32 s0, 0x7fff
	v_add3_u32 v1, v1, v3, s0
	v_lshrrev_b32_e32 v1, 16, v1
	global_store_dword v[5:6], v1, off
	s_mov_b64 s[0:1], 0
	s_mov_b64 s[14:15], -1
.LBB79_1629:
	s_and_b64 vcc, exec, s[16:17]
	s_cbranch_vccz .LBB79_1634
; %bb.1630:
	s_cmp_eq_u32 s4, 44
	s_mov_b64 s[0:1], -1
	s_cbranch_scc0 .LBB79_1634
; %bb.1631:
	v_cndmask_b32_e64 v3, 0, 1.0, s[10:11]
	v_lshrrev_b32_e32 v1, 23, v3
	s_movk_i32 s0, 0xff
	v_cmp_ne_u32_e32 vcc, s0, v1
	s_waitcnt vmcnt(0)
	v_mov_b32_e32 v8, 0xff
	s_and_saveexec_b64 s[14:15], vcc
; %bb.1632:
	s_mov_b32 s0, 0x3fffff
	v_and_b32_e32 v8, 0x400000, v3
	v_and_or_b32 v3, v3, s0, v1
	v_cmp_ne_u32_e32 vcc, 0, v8
	v_cmp_ne_u32_e64 s[0:1], 0, v3
	s_and_b64 s[0:1], vcc, s[0:1]
	v_cndmask_b32_e64 v3, 0, 1, s[0:1]
	v_add_u32_e32 v8, v1, v3
; %bb.1633:
	s_or_b64 exec, exec, s[14:15]
	s_mov_b64 s[0:1], 0
	s_mov_b64 s[14:15], -1
	global_store_byte v[5:6], v8, off
.LBB79_1634:
	s_mov_b64 s[16:17], 0
.LBB79_1635:
	s_and_b64 vcc, exec, s[16:17]
	s_cbranch_vccz .LBB79_1638
; %bb.1636:
	s_cmp_eq_u32 s4, 29
	s_mov_b64 s[0:1], -1
	s_cbranch_scc0 .LBB79_1638
; %bb.1637:
	s_mov_b32 s0, 0
	s_waitcnt vmcnt(0)
	v_cndmask_b32_e64 v12, 0, 1, s[10:11]
	v_mov_b32_e32 v13, s0
	global_store_dwordx2 v[5:6], v[12:13], off
	s_mov_b64 s[0:1], 0
	s_mov_b64 s[14:15], -1
.LBB79_1638:
	s_mov_b64 s[16:17], 0
.LBB79_1639:
	s_and_b64 vcc, exec, s[16:17]
	s_cbranch_vccz .LBB79_1655
; %bb.1640:
	s_cmp_lt_i32 s4, 27
	s_mov_b64 s[14:15], -1
	s_cbranch_scc1 .LBB79_1646
; %bb.1641:
	s_cmp_gt_i32 s4, 27
	s_cbranch_scc0 .LBB79_1643
; %bb.1642:
	v_cndmask_b32_e64 v1, 0, 1, s[10:11]
	s_mov_b64 s[14:15], 0
	global_store_dword v[5:6], v1, off
.LBB79_1643:
	s_andn2_b64 vcc, exec, s[14:15]
	s_cbranch_vccnz .LBB79_1645
; %bb.1644:
	v_cndmask_b32_e64 v1, 0, 1, s[10:11]
	global_store_short v[5:6], v1, off
.LBB79_1645:
	s_mov_b64 s[14:15], 0
.LBB79_1646:
	s_andn2_b64 vcc, exec, s[14:15]
	s_cbranch_vccnz .LBB79_1654
; %bb.1647:
	v_cndmask_b32_e64 v3, 0, 1.0, s[10:11]
	s_mov_b32 s14, 0x43800000
	v_cmp_gt_u32_e32 vcc, s14, v3
	s_waitcnt vmcnt(0)
	v_mov_b32_e32 v8, 0x80
	s_and_saveexec_b64 s[14:15], vcc
	s_cbranch_execz .LBB79_1653
; %bb.1648:
	s_mov_b32 s16, 0x3bffffff
	v_cmp_lt_u32_e32 vcc, s16, v3
	s_mov_b64 s[16:17], 0
                                        ; implicit-def: $vgpr1
	s_and_saveexec_b64 s[18:19], vcc
	s_xor_b64 s[18:19], exec, s[18:19]
	s_cbranch_execz .LBB79_2102
; %bb.1649:
	v_bfe_u32 v1, v3, 20, 1
	s_mov_b32 s21, 0x487ffff
	v_add3_u32 v1, v3, v1, s21
	s_mov_b64 s[16:17], exec
	v_lshrrev_b32_e32 v1, 20, v1
                                        ; implicit-def: $vgpr3
	s_andn2_saveexec_b64 s[18:19], s[18:19]
	s_cbranch_execnz .LBB79_2103
.LBB79_1650:
	s_or_b64 exec, exec, s[18:19]
	v_mov_b32_e32 v8, 0
	s_and_saveexec_b64 s[18:19], s[16:17]
.LBB79_1651:
	v_mov_b32_e32 v8, v1
.LBB79_1652:
	s_or_b64 exec, exec, s[18:19]
.LBB79_1653:
	s_or_b64 exec, exec, s[14:15]
	global_store_byte v[5:6], v8, off
.LBB79_1654:
	s_mov_b64 s[14:15], -1
.LBB79_1655:
	s_mov_b64 s[16:17], 0
.LBB79_1656:
	s_and_b64 vcc, exec, s[16:17]
	s_cbranch_vccz .LBB79_1696
; %bb.1657:
	s_cmp_gt_i32 s4, 22
	s_mov_b64 s[12:13], -1
	s_cbranch_scc0 .LBB79_1689
; %bb.1658:
	s_cmp_lt_i32 s4, 24
	s_cbranch_scc1 .LBB79_1678
; %bb.1659:
	s_cmp_gt_i32 s4, 24
	s_cbranch_scc0 .LBB79_1667
; %bb.1660:
	v_cndmask_b32_e64 v3, 0, 1.0, s[10:11]
	s_mov_b32 s12, 0x47800000
	v_cmp_gt_u32_e32 vcc, s12, v3
	s_waitcnt vmcnt(0)
	v_mov_b32_e32 v8, 0x80
	s_and_saveexec_b64 s[12:13], vcc
	s_cbranch_execz .LBB79_1666
; %bb.1661:
	s_mov_b32 s14, 0x37ffffff
	v_cmp_lt_u32_e32 vcc, s14, v3
	s_mov_b64 s[14:15], 0
                                        ; implicit-def: $vgpr1
	s_and_saveexec_b64 s[16:17], vcc
	s_xor_b64 s[16:17], exec, s[16:17]
	s_cbranch_execz .LBB79_2105
; %bb.1662:
	v_bfe_u32 v1, v3, 21, 1
	s_mov_b32 s18, 0x88fffff
	v_add3_u32 v1, v3, v1, s18
	s_mov_b64 s[14:15], exec
	v_lshrrev_b32_e32 v1, 21, v1
                                        ; implicit-def: $vgpr3
	s_andn2_saveexec_b64 s[16:17], s[16:17]
	s_cbranch_execnz .LBB79_2106
.LBB79_1663:
	s_or_b64 exec, exec, s[16:17]
	v_mov_b32_e32 v8, 0
	s_and_saveexec_b64 s[16:17], s[14:15]
.LBB79_1664:
	v_mov_b32_e32 v8, v1
.LBB79_1665:
	s_or_b64 exec, exec, s[16:17]
.LBB79_1666:
	s_or_b64 exec, exec, s[12:13]
	s_mov_b64 s[12:13], 0
	global_store_byte v[5:6], v8, off
.LBB79_1667:
	s_and_b64 vcc, exec, s[12:13]
	s_cbranch_vccz .LBB79_1677
; %bb.1668:
	v_cndmask_b32_e64 v1, 0, 1.0, s[10:11]
	s_mov_b32 s12, 0x43f00000
	v_cmp_gt_u32_e32 vcc, s12, v1
                                        ; implicit-def: $vgpr3
	s_and_saveexec_b64 s[12:13], vcc
	s_xor_b64 s[12:13], exec, s[12:13]
	s_cbranch_execz .LBB79_1674
; %bb.1669:
	s_mov_b32 s14, 0x3c7fffff
	v_cmp_lt_u32_e32 vcc, s14, v1
                                        ; implicit-def: $vgpr3
	s_and_saveexec_b64 s[14:15], vcc
	s_xor_b64 s[14:15], exec, s[14:15]
	s_cbranch_execz .LBB79_1671
; %bb.1670:
	v_bfe_u32 v3, v1, 20, 1
	s_mov_b32 s16, 0x407ffff
	v_add3_u32 v1, v1, v3, s16
	v_lshrrev_b32_e32 v3, 20, v1
	v_and_b32_e32 v1, 0xff00000, v1
	s_mov_b32 s16, 0x7f00000
	s_waitcnt vmcnt(0)
	v_mov_b32_e32 v8, 0x7e
	v_cmp_ne_u32_e32 vcc, s16, v1
	v_cndmask_b32_e32 v3, v8, v3, vcc
                                        ; implicit-def: $vgpr1
.LBB79_1671:
	s_andn2_saveexec_b64 s[14:15], s[14:15]
; %bb.1672:
	v_add_f32_e32 v3, 0x46800000, v1
; %bb.1673:
	s_or_b64 exec, exec, s[14:15]
                                        ; implicit-def: $vgpr1
.LBB79_1674:
	s_andn2_saveexec_b64 s[12:13], s[12:13]
	s_cbranch_execz .LBB79_1676
; %bb.1675:
	s_mov_b32 s14, 0x7f800000
	v_mov_b32_e32 v3, 0x7e
	s_waitcnt vmcnt(0)
	v_mov_b32_e32 v8, 0x7f
	v_cmp_lt_u32_e32 vcc, s14, v1
	v_cndmask_b32_e32 v3, v3, v8, vcc
.LBB79_1676:
	s_or_b64 exec, exec, s[12:13]
	global_store_byte v[5:6], v3, off
.LBB79_1677:
	s_mov_b64 s[12:13], 0
.LBB79_1678:
	s_andn2_b64 vcc, exec, s[12:13]
	s_cbranch_vccnz .LBB79_1688
; %bb.1679:
	v_cndmask_b32_e64 v1, 0, 1.0, s[10:11]
	s_mov_b32 s12, 0x47800000
	v_cmp_gt_u32_e32 vcc, s12, v1
                                        ; implicit-def: $vgpr3
	s_and_saveexec_b64 s[12:13], vcc
	s_xor_b64 s[12:13], exec, s[12:13]
	s_cbranch_execz .LBB79_1685
; %bb.1680:
	s_mov_b32 s14, 0x387fffff
	v_cmp_lt_u32_e32 vcc, s14, v1
                                        ; implicit-def: $vgpr3
	s_and_saveexec_b64 s[14:15], vcc
	s_xor_b64 s[14:15], exec, s[14:15]
; %bb.1681:
	v_bfe_u32 v3, v1, 21, 1
	s_mov_b32 s16, 0x80fffff
	v_add3_u32 v1, v1, v3, s16
	v_lshrrev_b32_e32 v3, 21, v1
                                        ; implicit-def: $vgpr1
; %bb.1682:
	s_andn2_saveexec_b64 s[14:15], s[14:15]
; %bb.1683:
	v_add_f32_e32 v3, 0x43000000, v1
; %bb.1684:
	s_or_b64 exec, exec, s[14:15]
                                        ; implicit-def: $vgpr1
.LBB79_1685:
	s_andn2_saveexec_b64 s[12:13], s[12:13]
	s_cbranch_execz .LBB79_1687
; %bb.1686:
	s_mov_b32 s14, 0x7f800000
	v_mov_b32_e32 v3, 0x7c
	s_waitcnt vmcnt(0)
	v_mov_b32_e32 v8, 0x7f
	v_cmp_lt_u32_e32 vcc, s14, v1
	v_cndmask_b32_e32 v3, v3, v8, vcc
.LBB79_1687:
	s_or_b64 exec, exec, s[12:13]
	global_store_byte v[5:6], v3, off
.LBB79_1688:
	s_mov_b64 s[12:13], 0
	s_mov_b64 s[14:15], -1
.LBB79_1689:
	s_andn2_b64 vcc, exec, s[12:13]
	s_mov_b64 s[12:13], 0
	s_cbranch_vccnz .LBB79_1696
; %bb.1690:
	s_cmp_gt_i32 s4, 14
	s_mov_b64 s[16:17], -1
	s_cbranch_scc0 .LBB79_1694
; %bb.1691:
	s_cmp_eq_u32 s4, 15
	s_mov_b64 s[0:1], -1
	s_cbranch_scc0 .LBB79_1693
; %bb.1692:
	v_cndmask_b32_e64 v1, 0, 1.0, s[10:11]
	v_bfe_u32 v3, v1, 16, 1
	s_movk_i32 s0, 0x7fff
	v_add3_u32 v1, v1, v3, s0
	global_store_short_d16_hi v[5:6], v1, off
	s_mov_b64 s[0:1], 0
	s_mov_b64 s[14:15], -1
.LBB79_1693:
	s_mov_b64 s[16:17], 0
.LBB79_1694:
	s_and_b64 vcc, exec, s[16:17]
	s_cbranch_vccz .LBB79_1696
; %bb.1695:
	s_cmp_lg_u32 s4, 11
	s_mov_b64 s[12:13], -1
	s_cselect_b64 s[0:1], -1, 0
.LBB79_1696:
	s_and_b64 vcc, exec, s[0:1]
	s_cbranch_vccnz .LBB79_2104
; %bb.1697:
	s_andn2_b64 vcc, exec, s[12:13]
	s_cbranch_vccnz .LBB79_1699
.LBB79_1698:
	v_cndmask_b32_e64 v1, 0, 1, s[10:11]
	s_mov_b64 s[14:15], -1
	global_store_byte v[5:6], v1, off
.LBB79_1699:
	s_mov_b64 s[0:1], 0
	s_branch .LBB79_1701
.LBB79_1700:
	s_mov_b64 s[0:1], -1
	s_mov_b64 s[14:15], 0
.LBB79_1701:
	s_and_b64 vcc, exec, s[0:1]
	s_cbranch_vccz .LBB79_1740
; %bb.1702:
	s_and_b32 s4, 0xffff, s20
	s_cmp_lt_i32 s4, 5
	s_mov_b64 s[0:1], -1
	s_cbranch_scc1 .LBB79_1723
; %bb.1703:
	s_cmp_lt_i32 s4, 8
	s_cbranch_scc1 .LBB79_1713
; %bb.1704:
	s_cmp_lt_i32 s4, 9
	s_cbranch_scc1 .LBB79_1710
; %bb.1705:
	s_cmp_gt_i32 s4, 9
	s_cbranch_scc0 .LBB79_1707
; %bb.1706:
	v_cndmask_b32_e64 v1, 0, 1, s[10:11]
	s_waitcnt vmcnt(0)
	v_cvt_f64_u32_e32 v[12:13], v1
	v_mov_b32_e32 v14, 0
	v_mov_b32_e32 v15, v14
	s_mov_b64 s[0:1], 0
	global_store_dwordx4 v[5:6], v[12:15], off
.LBB79_1707:
	s_andn2_b64 vcc, exec, s[0:1]
	s_cbranch_vccnz .LBB79_1709
; %bb.1708:
	s_waitcnt vmcnt(0)
	v_cndmask_b32_e64 v12, 0, 1.0, s[10:11]
	v_mov_b32_e32 v13, 0
	global_store_dwordx2 v[5:6], v[12:13], off
.LBB79_1709:
	s_mov_b64 s[0:1], 0
.LBB79_1710:
	s_andn2_b64 vcc, exec, s[0:1]
	s_cbranch_vccnz .LBB79_1712
; %bb.1711:
	v_cndmask_b32_e64 v1, 0, 1.0, s[10:11]
	v_cvt_f16_f32_e32 v1, v1
	global_store_dword v[5:6], v1, off
.LBB79_1712:
	s_mov_b64 s[0:1], 0
.LBB79_1713:
	s_andn2_b64 vcc, exec, s[0:1]
	s_cbranch_vccnz .LBB79_1722
; %bb.1714:
	s_cmp_lt_i32 s4, 6
	s_mov_b64 s[0:1], -1
	s_cbranch_scc1 .LBB79_1720
; %bb.1715:
	s_cmp_gt_i32 s4, 6
	s_cbranch_scc0 .LBB79_1717
; %bb.1716:
	v_cndmask_b32_e64 v1, 0, 1, s[10:11]
	s_waitcnt vmcnt(0)
	v_cvt_f64_u32_e32 v[12:13], v1
	s_mov_b64 s[0:1], 0
	global_store_dwordx2 v[5:6], v[12:13], off
.LBB79_1717:
	s_andn2_b64 vcc, exec, s[0:1]
	s_cbranch_vccnz .LBB79_1719
; %bb.1718:
	v_cndmask_b32_e64 v1, 0, 1.0, s[10:11]
	global_store_dword v[5:6], v1, off
.LBB79_1719:
	s_mov_b64 s[0:1], 0
.LBB79_1720:
	s_andn2_b64 vcc, exec, s[0:1]
	s_cbranch_vccnz .LBB79_1722
; %bb.1721:
	v_cndmask_b32_e64 v1, 0, 1.0, s[10:11]
	v_cvt_f16_f32_e32 v1, v1
	global_store_short v[5:6], v1, off
.LBB79_1722:
	s_mov_b64 s[0:1], 0
.LBB79_1723:
	s_andn2_b64 vcc, exec, s[0:1]
	s_cbranch_vccnz .LBB79_1739
; %bb.1724:
	s_cmp_lt_i32 s4, 2
	s_mov_b64 s[0:1], -1
	s_cbranch_scc1 .LBB79_1734
; %bb.1725:
	s_cmp_lt_i32 s4, 3
	s_cbranch_scc1 .LBB79_1731
; %bb.1726:
	s_cmp_gt_i32 s4, 3
	s_cbranch_scc0 .LBB79_1728
; %bb.1727:
	s_mov_b32 s0, 0
	s_waitcnt vmcnt(0)
	v_cndmask_b32_e64 v12, 0, 1, s[10:11]
	v_mov_b32_e32 v13, s0
	global_store_dwordx2 v[5:6], v[12:13], off
	s_mov_b64 s[0:1], 0
.LBB79_1728:
	s_andn2_b64 vcc, exec, s[0:1]
	s_cbranch_vccnz .LBB79_1730
; %bb.1729:
	v_cndmask_b32_e64 v1, 0, 1, s[10:11]
	global_store_dword v[5:6], v1, off
.LBB79_1730:
	s_mov_b64 s[0:1], 0
.LBB79_1731:
	s_andn2_b64 vcc, exec, s[0:1]
	s_cbranch_vccnz .LBB79_1733
; %bb.1732:
	v_cndmask_b32_e64 v1, 0, 1, s[10:11]
	global_store_short v[5:6], v1, off
.LBB79_1733:
	s_mov_b64 s[0:1], 0
.LBB79_1734:
	s_andn2_b64 vcc, exec, s[0:1]
	s_cbranch_vccnz .LBB79_1739
; %bb.1735:
	s_mov_b64 s[0:1], -1
	s_cmp_gt_i32 s4, 0
	v_cndmask_b32_e64 v1, 0, 1, s[10:11]
	s_cbranch_scc0 .LBB79_1737
; %bb.1736:
	global_store_byte v[5:6], v1, off
	s_mov_b64 s[0:1], 0
.LBB79_1737:
	s_andn2_b64 vcc, exec, s[0:1]
	s_cbranch_vccnz .LBB79_1739
; %bb.1738:
	global_store_byte v[5:6], v1, off
.LBB79_1739:
	s_mov_b64 s[14:15], -1
.LBB79_1740:
	s_andn2_b64 vcc, exec, s[14:15]
	s_cbranch_vccnz .LBB79_2055
; %bb.1741:
	s_waitcnt vmcnt(0)
	v_cmp_ne_u16_e32 vcc, s5, v11
	s_xor_b64 s[10:11], s[6:7], vcc
	v_mov_b32_e32 v1, s9
	s_and_b32 s21, 0xffff, s20
	v_add_co_u32_e32 v3, vcc, s8, v4
	s_cmp_lt_i32 s21, 11
	v_addc_co_u32_e32 v4, vcc, 0, v1, vcc
	s_cbranch_scc1 .LBB79_1819
; %bb.1742:
	s_mov_b64 s[16:17], -1
	s_mov_b64 s[12:13], 0
	s_cmp_gt_i32 s21, 25
	s_mov_b64 s[14:15], 0
	s_mov_b64 s[0:1], 0
	s_cbranch_scc0 .LBB79_1775
; %bb.1743:
	s_cmp_gt_i32 s21, 28
	s_cbranch_scc0 .LBB79_1758
; %bb.1744:
	s_cmp_gt_i32 s21, 43
	;; [unrolled: 3-line block ×3, first 2 shown]
	s_cbranch_scc0 .LBB79_1748
; %bb.1746:
	s_mov_b64 s[0:1], -1
	s_mov_b64 s[16:17], 0
	s_cmp_eq_u32 s21, 46
	s_cbranch_scc0 .LBB79_1748
; %bb.1747:
	v_cndmask_b32_e64 v1, 0, 1.0, s[10:11]
	v_bfe_u32 v5, v1, 16, 1
	s_movk_i32 s0, 0x7fff
	v_add3_u32 v1, v1, v5, s0
	v_lshrrev_b32_e32 v1, 16, v1
	global_store_dword v[3:4], v1, off
	s_mov_b64 s[0:1], 0
	s_mov_b64 s[14:15], -1
.LBB79_1748:
	s_and_b64 vcc, exec, s[16:17]
	s_cbranch_vccz .LBB79_1753
; %bb.1749:
	s_cmp_eq_u32 s21, 44
	s_mov_b64 s[0:1], -1
	s_cbranch_scc0 .LBB79_1753
; %bb.1750:
	v_cndmask_b32_e64 v5, 0, 1.0, s[10:11]
	v_lshrrev_b32_e32 v1, 23, v5
	s_movk_i32 s0, 0xff
	v_cmp_ne_u32_e32 vcc, s0, v1
	v_mov_b32_e32 v6, 0xff
	s_and_saveexec_b64 s[14:15], vcc
; %bb.1751:
	s_mov_b32 s0, 0x3fffff
	v_and_b32_e32 v6, 0x400000, v5
	v_and_or_b32 v5, v5, s0, v1
	v_cmp_ne_u32_e32 vcc, 0, v6
	v_cmp_ne_u32_e64 s[0:1], 0, v5
	s_and_b64 s[0:1], vcc, s[0:1]
	v_cndmask_b32_e64 v5, 0, 1, s[0:1]
	v_add_u32_e32 v6, v1, v5
; %bb.1752:
	s_or_b64 exec, exec, s[14:15]
	s_mov_b64 s[0:1], 0
	s_mov_b64 s[14:15], -1
	global_store_byte v[3:4], v6, off
.LBB79_1753:
	s_mov_b64 s[16:17], 0
.LBB79_1754:
	s_and_b64 vcc, exec, s[16:17]
	s_cbranch_vccz .LBB79_1757
; %bb.1755:
	s_cmp_eq_u32 s21, 29
	s_mov_b64 s[0:1], -1
	s_cbranch_scc0 .LBB79_1757
; %bb.1756:
	s_mov_b32 s0, 0
	v_cndmask_b32_e64 v5, 0, 1, s[10:11]
	v_mov_b32_e32 v6, s0
	global_store_dwordx2 v[3:4], v[5:6], off
	s_mov_b64 s[0:1], 0
	s_mov_b64 s[14:15], -1
.LBB79_1757:
	s_mov_b64 s[16:17], 0
.LBB79_1758:
	s_and_b64 vcc, exec, s[16:17]
	s_cbranch_vccz .LBB79_1774
; %bb.1759:
	s_cmp_lt_i32 s21, 27
	s_mov_b64 s[14:15], -1
	s_cbranch_scc1 .LBB79_1765
; %bb.1760:
	s_cmp_gt_i32 s21, 27
	s_cbranch_scc0 .LBB79_1762
; %bb.1761:
	v_cndmask_b32_e64 v1, 0, 1, s[10:11]
	s_mov_b64 s[14:15], 0
	global_store_dword v[3:4], v1, off
.LBB79_1762:
	s_andn2_b64 vcc, exec, s[14:15]
	s_cbranch_vccnz .LBB79_1764
; %bb.1763:
	v_cndmask_b32_e64 v1, 0, 1, s[10:11]
	global_store_short v[3:4], v1, off
.LBB79_1764:
	s_mov_b64 s[14:15], 0
.LBB79_1765:
	s_andn2_b64 vcc, exec, s[14:15]
	s_cbranch_vccnz .LBB79_1773
; %bb.1766:
	v_cndmask_b32_e64 v5, 0, 1.0, s[10:11]
	s_mov_b32 s4, 0x43800000
	v_cmp_gt_u32_e32 vcc, s4, v5
	v_mov_b32_e32 v6, 0x80
	s_and_saveexec_b64 s[14:15], vcc
	s_cbranch_execz .LBB79_1772
; %bb.1767:
	s_mov_b32 s4, 0x3bffffff
	v_cmp_lt_u32_e32 vcc, s4, v5
	s_mov_b64 s[16:17], 0
                                        ; implicit-def: $vgpr1
	s_and_saveexec_b64 s[18:19], vcc
	s_xor_b64 s[18:19], exec, s[18:19]
	s_cbranch_execz .LBB79_2107
; %bb.1768:
	v_bfe_u32 v1, v5, 20, 1
	s_mov_b32 s4, 0x487ffff
	v_add3_u32 v1, v5, v1, s4
	s_mov_b64 s[16:17], exec
	v_lshrrev_b32_e32 v1, 20, v1
                                        ; implicit-def: $vgpr5
	s_andn2_saveexec_b64 s[18:19], s[18:19]
	s_cbranch_execnz .LBB79_2108
.LBB79_1769:
	s_or_b64 exec, exec, s[18:19]
	v_mov_b32_e32 v6, 0
	s_and_saveexec_b64 s[18:19], s[16:17]
.LBB79_1770:
	v_mov_b32_e32 v6, v1
.LBB79_1771:
	s_or_b64 exec, exec, s[18:19]
.LBB79_1772:
	s_or_b64 exec, exec, s[14:15]
	global_store_byte v[3:4], v6, off
.LBB79_1773:
	s_mov_b64 s[14:15], -1
.LBB79_1774:
	s_mov_b64 s[16:17], 0
.LBB79_1775:
	s_and_b64 vcc, exec, s[16:17]
	s_cbranch_vccz .LBB79_1815
; %bb.1776:
	s_cmp_gt_i32 s21, 22
	s_mov_b64 s[12:13], -1
	s_cbranch_scc0 .LBB79_1808
; %bb.1777:
	s_cmp_lt_i32 s21, 24
	s_cbranch_scc1 .LBB79_1797
; %bb.1778:
	s_cmp_gt_i32 s21, 24
	s_cbranch_scc0 .LBB79_1786
; %bb.1779:
	v_cndmask_b32_e64 v5, 0, 1.0, s[10:11]
	s_mov_b32 s4, 0x47800000
	v_cmp_gt_u32_e32 vcc, s4, v5
	v_mov_b32_e32 v6, 0x80
	s_and_saveexec_b64 s[12:13], vcc
	s_cbranch_execz .LBB79_1785
; %bb.1780:
	s_mov_b32 s4, 0x37ffffff
	v_cmp_lt_u32_e32 vcc, s4, v5
	s_mov_b64 s[14:15], 0
                                        ; implicit-def: $vgpr1
	s_and_saveexec_b64 s[16:17], vcc
	s_xor_b64 s[16:17], exec, s[16:17]
	s_cbranch_execz .LBB79_2110
; %bb.1781:
	v_bfe_u32 v1, v5, 21, 1
	s_mov_b32 s4, 0x88fffff
	v_add3_u32 v1, v5, v1, s4
	s_mov_b64 s[14:15], exec
	v_lshrrev_b32_e32 v1, 21, v1
                                        ; implicit-def: $vgpr5
	s_andn2_saveexec_b64 s[16:17], s[16:17]
	s_cbranch_execnz .LBB79_2111
.LBB79_1782:
	s_or_b64 exec, exec, s[16:17]
	v_mov_b32_e32 v6, 0
	s_and_saveexec_b64 s[16:17], s[14:15]
.LBB79_1783:
	v_mov_b32_e32 v6, v1
.LBB79_1784:
	s_or_b64 exec, exec, s[16:17]
.LBB79_1785:
	s_or_b64 exec, exec, s[12:13]
	s_mov_b64 s[12:13], 0
	global_store_byte v[3:4], v6, off
.LBB79_1786:
	s_and_b64 vcc, exec, s[12:13]
	s_cbranch_vccz .LBB79_1796
; %bb.1787:
	v_cndmask_b32_e64 v1, 0, 1.0, s[10:11]
	s_mov_b32 s4, 0x43f00000
	v_cmp_gt_u32_e32 vcc, s4, v1
                                        ; implicit-def: $vgpr5
	s_and_saveexec_b64 s[12:13], vcc
	s_xor_b64 s[12:13], exec, s[12:13]
	s_cbranch_execz .LBB79_1793
; %bb.1788:
	s_mov_b32 s4, 0x3c7fffff
	v_cmp_lt_u32_e32 vcc, s4, v1
                                        ; implicit-def: $vgpr5
	s_and_saveexec_b64 s[14:15], vcc
	s_xor_b64 s[14:15], exec, s[14:15]
; %bb.1789:
	v_bfe_u32 v5, v1, 20, 1
	s_mov_b32 s4, 0x407ffff
	v_add3_u32 v1, v1, v5, s4
	v_lshrrev_b32_e32 v5, 20, v1
	v_and_b32_e32 v1, 0xff00000, v1
	s_mov_b32 s4, 0x7f00000
	v_mov_b32_e32 v6, 0x7e
	v_cmp_ne_u32_e32 vcc, s4, v1
	v_cndmask_b32_e32 v5, v6, v5, vcc
                                        ; implicit-def: $vgpr1
; %bb.1790:
	s_andn2_saveexec_b64 s[14:15], s[14:15]
; %bb.1791:
	v_add_f32_e32 v5, 0x46800000, v1
; %bb.1792:
	s_or_b64 exec, exec, s[14:15]
                                        ; implicit-def: $vgpr1
.LBB79_1793:
	s_andn2_saveexec_b64 s[12:13], s[12:13]
; %bb.1794:
	s_mov_b32 s4, 0x7f800000
	v_mov_b32_e32 v5, 0x7e
	v_mov_b32_e32 v6, 0x7f
	v_cmp_lt_u32_e32 vcc, s4, v1
	v_cndmask_b32_e32 v5, v5, v6, vcc
; %bb.1795:
	s_or_b64 exec, exec, s[12:13]
	global_store_byte v[3:4], v5, off
.LBB79_1796:
	s_mov_b64 s[12:13], 0
.LBB79_1797:
	s_andn2_b64 vcc, exec, s[12:13]
	s_cbranch_vccnz .LBB79_1807
; %bb.1798:
	v_cndmask_b32_e64 v1, 0, 1.0, s[10:11]
	s_mov_b32 s4, 0x47800000
	v_cmp_gt_u32_e32 vcc, s4, v1
                                        ; implicit-def: $vgpr5
	s_and_saveexec_b64 s[12:13], vcc
	s_xor_b64 s[12:13], exec, s[12:13]
	s_cbranch_execz .LBB79_1804
; %bb.1799:
	s_mov_b32 s4, 0x387fffff
	v_cmp_lt_u32_e32 vcc, s4, v1
                                        ; implicit-def: $vgpr5
	s_and_saveexec_b64 s[14:15], vcc
	s_xor_b64 s[14:15], exec, s[14:15]
; %bb.1800:
	v_bfe_u32 v5, v1, 21, 1
	s_mov_b32 s4, 0x80fffff
	v_add3_u32 v1, v1, v5, s4
	v_lshrrev_b32_e32 v5, 21, v1
                                        ; implicit-def: $vgpr1
; %bb.1801:
	s_andn2_saveexec_b64 s[14:15], s[14:15]
; %bb.1802:
	v_add_f32_e32 v5, 0x43000000, v1
; %bb.1803:
	s_or_b64 exec, exec, s[14:15]
                                        ; implicit-def: $vgpr1
.LBB79_1804:
	s_andn2_saveexec_b64 s[12:13], s[12:13]
; %bb.1805:
	s_mov_b32 s4, 0x7f800000
	v_mov_b32_e32 v5, 0x7c
	v_mov_b32_e32 v6, 0x7f
	v_cmp_lt_u32_e32 vcc, s4, v1
	v_cndmask_b32_e32 v5, v5, v6, vcc
; %bb.1806:
	s_or_b64 exec, exec, s[12:13]
	global_store_byte v[3:4], v5, off
.LBB79_1807:
	s_mov_b64 s[12:13], 0
	s_mov_b64 s[14:15], -1
.LBB79_1808:
	s_andn2_b64 vcc, exec, s[12:13]
	s_mov_b64 s[12:13], 0
	s_cbranch_vccnz .LBB79_1815
; %bb.1809:
	s_cmp_gt_i32 s21, 14
	s_mov_b64 s[16:17], -1
	s_cbranch_scc0 .LBB79_1813
; %bb.1810:
	s_cmp_eq_u32 s21, 15
	s_mov_b64 s[0:1], -1
	s_cbranch_scc0 .LBB79_1812
; %bb.1811:
	v_cndmask_b32_e64 v1, 0, 1.0, s[10:11]
	v_bfe_u32 v5, v1, 16, 1
	s_movk_i32 s0, 0x7fff
	v_add3_u32 v1, v1, v5, s0
	global_store_short_d16_hi v[3:4], v1, off
	s_mov_b64 s[0:1], 0
	s_mov_b64 s[14:15], -1
.LBB79_1812:
	s_mov_b64 s[16:17], 0
.LBB79_1813:
	s_and_b64 vcc, exec, s[16:17]
	s_cbranch_vccz .LBB79_1815
; %bb.1814:
	s_cmp_lg_u32 s21, 11
	s_mov_b64 s[12:13], -1
	s_cselect_b64 s[0:1], -1, 0
.LBB79_1815:
	s_and_b64 vcc, exec, s[0:1]
	s_cbranch_vccnz .LBB79_2109
; %bb.1816:
	s_andn2_b64 vcc, exec, s[12:13]
	s_cbranch_vccnz .LBB79_1818
.LBB79_1817:
	v_cndmask_b32_e64 v1, 0, 1, s[10:11]
	s_mov_b64 s[14:15], -1
	global_store_byte v[3:4], v1, off
.LBB79_1818:
	s_mov_b64 s[0:1], 0
	s_branch .LBB79_1820
.LBB79_1819:
	s_mov_b64 s[0:1], -1
	s_mov_b64 s[14:15], 0
.LBB79_1820:
	s_and_b64 vcc, exec, s[0:1]
	s_cbranch_vccz .LBB79_1859
; %bb.1821:
	s_cmp_lt_i32 s21, 5
	s_mov_b64 s[0:1], -1
	s_cbranch_scc1 .LBB79_1842
; %bb.1822:
	s_cmp_lt_i32 s21, 8
	s_cbranch_scc1 .LBB79_1832
; %bb.1823:
	s_cmp_lt_i32 s21, 9
	s_cbranch_scc1 .LBB79_1829
; %bb.1824:
	s_cmp_gt_i32 s21, 9
	s_cbranch_scc0 .LBB79_1826
; %bb.1825:
	v_cndmask_b32_e64 v1, 0, 1, s[10:11]
	v_cvt_f64_u32_e32 v[10:11], v1
	v_mov_b32_e32 v12, 0
	v_mov_b32_e32 v13, v12
	s_mov_b64 s[0:1], 0
	global_store_dwordx4 v[3:4], v[10:13], off
.LBB79_1826:
	s_andn2_b64 vcc, exec, s[0:1]
	s_cbranch_vccnz .LBB79_1828
; %bb.1827:
	v_cndmask_b32_e64 v5, 0, 1.0, s[10:11]
	v_mov_b32_e32 v6, 0
	global_store_dwordx2 v[3:4], v[5:6], off
.LBB79_1828:
	s_mov_b64 s[0:1], 0
.LBB79_1829:
	s_andn2_b64 vcc, exec, s[0:1]
	s_cbranch_vccnz .LBB79_1831
; %bb.1830:
	v_cndmask_b32_e64 v1, 0, 1.0, s[10:11]
	v_cvt_f16_f32_e32 v1, v1
	global_store_dword v[3:4], v1, off
.LBB79_1831:
	s_mov_b64 s[0:1], 0
.LBB79_1832:
	s_andn2_b64 vcc, exec, s[0:1]
	s_cbranch_vccnz .LBB79_1841
; %bb.1833:
	s_cmp_lt_i32 s21, 6
	s_mov_b64 s[0:1], -1
	s_cbranch_scc1 .LBB79_1839
; %bb.1834:
	s_cmp_gt_i32 s21, 6
	s_cbranch_scc0 .LBB79_1836
; %bb.1835:
	v_cndmask_b32_e64 v1, 0, 1, s[10:11]
	v_cvt_f64_u32_e32 v[5:6], v1
	s_mov_b64 s[0:1], 0
	global_store_dwordx2 v[3:4], v[5:6], off
.LBB79_1836:
	s_andn2_b64 vcc, exec, s[0:1]
	s_cbranch_vccnz .LBB79_1838
; %bb.1837:
	v_cndmask_b32_e64 v1, 0, 1.0, s[10:11]
	global_store_dword v[3:4], v1, off
.LBB79_1838:
	s_mov_b64 s[0:1], 0
.LBB79_1839:
	s_andn2_b64 vcc, exec, s[0:1]
	s_cbranch_vccnz .LBB79_1841
; %bb.1840:
	v_cndmask_b32_e64 v1, 0, 1.0, s[10:11]
	v_cvt_f16_f32_e32 v1, v1
	global_store_short v[3:4], v1, off
.LBB79_1841:
	s_mov_b64 s[0:1], 0
.LBB79_1842:
	s_andn2_b64 vcc, exec, s[0:1]
	s_cbranch_vccnz .LBB79_1858
; %bb.1843:
	s_cmp_lt_i32 s21, 2
	s_mov_b64 s[0:1], -1
	s_cbranch_scc1 .LBB79_1853
; %bb.1844:
	s_cmp_lt_i32 s21, 3
	s_cbranch_scc1 .LBB79_1850
; %bb.1845:
	s_cmp_gt_i32 s21, 3
	s_cbranch_scc0 .LBB79_1847
; %bb.1846:
	s_mov_b32 s0, 0
	v_cndmask_b32_e64 v5, 0, 1, s[10:11]
	v_mov_b32_e32 v6, s0
	global_store_dwordx2 v[3:4], v[5:6], off
	s_mov_b64 s[0:1], 0
.LBB79_1847:
	s_andn2_b64 vcc, exec, s[0:1]
	s_cbranch_vccnz .LBB79_1849
; %bb.1848:
	v_cndmask_b32_e64 v1, 0, 1, s[10:11]
	global_store_dword v[3:4], v1, off
.LBB79_1849:
	s_mov_b64 s[0:1], 0
.LBB79_1850:
	s_andn2_b64 vcc, exec, s[0:1]
	s_cbranch_vccnz .LBB79_1852
; %bb.1851:
	v_cndmask_b32_e64 v1, 0, 1, s[10:11]
	global_store_short v[3:4], v1, off
.LBB79_1852:
	s_mov_b64 s[0:1], 0
.LBB79_1853:
	s_andn2_b64 vcc, exec, s[0:1]
	s_cbranch_vccnz .LBB79_1858
; %bb.1854:
	s_mov_b64 s[0:1], -1
	s_cmp_gt_i32 s21, 0
	v_cndmask_b32_e64 v1, 0, 1, s[10:11]
	s_cbranch_scc0 .LBB79_1856
; %bb.1855:
	global_store_byte v[3:4], v1, off
	s_mov_b64 s[0:1], 0
.LBB79_1856:
	s_andn2_b64 vcc, exec, s[0:1]
	s_cbranch_vccnz .LBB79_1858
; %bb.1857:
	global_store_byte v[3:4], v1, off
.LBB79_1858:
	s_mov_b64 s[14:15], -1
.LBB79_1859:
	s_andn2_b64 vcc, exec, s[14:15]
	s_cbranch_vccnz .LBB79_2055
; %bb.1860:
	v_cmp_ne_u16_e32 vcc, s5, v9
	s_xor_b64 s[10:11], s[6:7], vcc
	v_mov_b32_e32 v3, s9
	v_add_co_u32_e32 v1, vcc, s8, v2
	s_cmp_lt_i32 s21, 11
	v_addc_co_u32_e32 v2, vcc, 0, v3, vcc
	s_cbranch_scc1 .LBB79_1938
; %bb.1861:
	s_mov_b64 s[16:17], -1
	s_mov_b64 s[12:13], 0
	s_cmp_gt_i32 s21, 25
	s_mov_b64 s[14:15], 0
	s_mov_b64 s[0:1], 0
	s_cbranch_scc0 .LBB79_1894
; %bb.1862:
	s_cmp_gt_i32 s21, 28
	s_cbranch_scc0 .LBB79_1877
; %bb.1863:
	s_cmp_gt_i32 s21, 43
	;; [unrolled: 3-line block ×3, first 2 shown]
	s_cbranch_scc0 .LBB79_1867
; %bb.1865:
	s_mov_b64 s[0:1], -1
	s_mov_b64 s[16:17], 0
	s_cmp_eq_u32 s21, 46
	s_cbranch_scc0 .LBB79_1867
; %bb.1866:
	v_cndmask_b32_e64 v3, 0, 1.0, s[10:11]
	v_bfe_u32 v4, v3, 16, 1
	s_movk_i32 s0, 0x7fff
	v_add3_u32 v3, v3, v4, s0
	v_lshrrev_b32_e32 v3, 16, v3
	global_store_dword v[1:2], v3, off
	s_mov_b64 s[0:1], 0
	s_mov_b64 s[14:15], -1
.LBB79_1867:
	s_and_b64 vcc, exec, s[16:17]
	s_cbranch_vccz .LBB79_1872
; %bb.1868:
	s_cmp_eq_u32 s21, 44
	s_mov_b64 s[0:1], -1
	s_cbranch_scc0 .LBB79_1872
; %bb.1869:
	v_cndmask_b32_e64 v4, 0, 1.0, s[10:11]
	v_lshrrev_b32_e32 v3, 23, v4
	s_movk_i32 s0, 0xff
	v_cmp_ne_u32_e32 vcc, s0, v3
	v_mov_b32_e32 v5, 0xff
	s_and_saveexec_b64 s[14:15], vcc
; %bb.1870:
	s_mov_b32 s0, 0x3fffff
	v_and_b32_e32 v5, 0x400000, v4
	v_and_or_b32 v4, v4, s0, v3
	v_cmp_ne_u32_e32 vcc, 0, v5
	v_cmp_ne_u32_e64 s[0:1], 0, v4
	s_and_b64 s[0:1], vcc, s[0:1]
	v_cndmask_b32_e64 v4, 0, 1, s[0:1]
	v_add_u32_e32 v5, v3, v4
; %bb.1871:
	s_or_b64 exec, exec, s[14:15]
	s_mov_b64 s[0:1], 0
	s_mov_b64 s[14:15], -1
	global_store_byte v[1:2], v5, off
.LBB79_1872:
	s_mov_b64 s[16:17], 0
.LBB79_1873:
	s_and_b64 vcc, exec, s[16:17]
	s_cbranch_vccz .LBB79_1876
; %bb.1874:
	s_cmp_eq_u32 s21, 29
	s_mov_b64 s[0:1], -1
	s_cbranch_scc0 .LBB79_1876
; %bb.1875:
	s_mov_b32 s0, 0
	v_cndmask_b32_e64 v3, 0, 1, s[10:11]
	v_mov_b32_e32 v4, s0
	global_store_dwordx2 v[1:2], v[3:4], off
	s_mov_b64 s[0:1], 0
	s_mov_b64 s[14:15], -1
.LBB79_1876:
	s_mov_b64 s[16:17], 0
.LBB79_1877:
	s_and_b64 vcc, exec, s[16:17]
	s_cbranch_vccz .LBB79_1893
; %bb.1878:
	s_cmp_lt_i32 s21, 27
	s_mov_b64 s[14:15], -1
	s_cbranch_scc1 .LBB79_1884
; %bb.1879:
	s_cmp_gt_i32 s21, 27
	s_cbranch_scc0 .LBB79_1881
; %bb.1880:
	v_cndmask_b32_e64 v3, 0, 1, s[10:11]
	s_mov_b64 s[14:15], 0
	global_store_dword v[1:2], v3, off
.LBB79_1881:
	s_andn2_b64 vcc, exec, s[14:15]
	s_cbranch_vccnz .LBB79_1883
; %bb.1882:
	v_cndmask_b32_e64 v3, 0, 1, s[10:11]
	global_store_short v[1:2], v3, off
.LBB79_1883:
	s_mov_b64 s[14:15], 0
.LBB79_1884:
	s_andn2_b64 vcc, exec, s[14:15]
	s_cbranch_vccnz .LBB79_1892
; %bb.1885:
	v_cndmask_b32_e64 v4, 0, 1.0, s[10:11]
	s_mov_b32 s4, 0x43800000
	v_cmp_gt_u32_e32 vcc, s4, v4
	v_mov_b32_e32 v5, 0x80
	s_and_saveexec_b64 s[14:15], vcc
	s_cbranch_execz .LBB79_1891
; %bb.1886:
	s_mov_b32 s4, 0x3bffffff
	v_cmp_lt_u32_e32 vcc, s4, v4
	s_mov_b64 s[16:17], 0
                                        ; implicit-def: $vgpr3
	s_and_saveexec_b64 s[18:19], vcc
	s_xor_b64 s[18:19], exec, s[18:19]
	s_cbranch_execz .LBB79_2112
; %bb.1887:
	v_bfe_u32 v3, v4, 20, 1
	s_mov_b32 s4, 0x487ffff
	v_add3_u32 v3, v4, v3, s4
	s_mov_b64 s[16:17], exec
	v_lshrrev_b32_e32 v3, 20, v3
                                        ; implicit-def: $vgpr4
	s_andn2_saveexec_b64 s[18:19], s[18:19]
	s_cbranch_execnz .LBB79_2113
.LBB79_1888:
	s_or_b64 exec, exec, s[18:19]
	v_mov_b32_e32 v5, 0
	s_and_saveexec_b64 s[18:19], s[16:17]
.LBB79_1889:
	v_mov_b32_e32 v5, v3
.LBB79_1890:
	s_or_b64 exec, exec, s[18:19]
.LBB79_1891:
	s_or_b64 exec, exec, s[14:15]
	global_store_byte v[1:2], v5, off
.LBB79_1892:
	s_mov_b64 s[14:15], -1
.LBB79_1893:
	s_mov_b64 s[16:17], 0
.LBB79_1894:
	s_and_b64 vcc, exec, s[16:17]
	s_cbranch_vccz .LBB79_1934
; %bb.1895:
	s_cmp_gt_i32 s21, 22
	s_mov_b64 s[12:13], -1
	s_cbranch_scc0 .LBB79_1927
; %bb.1896:
	s_cmp_lt_i32 s21, 24
	s_cbranch_scc1 .LBB79_1916
; %bb.1897:
	s_cmp_gt_i32 s21, 24
	s_cbranch_scc0 .LBB79_1905
; %bb.1898:
	v_cndmask_b32_e64 v4, 0, 1.0, s[10:11]
	s_mov_b32 s4, 0x47800000
	v_cmp_gt_u32_e32 vcc, s4, v4
	v_mov_b32_e32 v5, 0x80
	s_and_saveexec_b64 s[12:13], vcc
	s_cbranch_execz .LBB79_1904
; %bb.1899:
	s_mov_b32 s4, 0x37ffffff
	v_cmp_lt_u32_e32 vcc, s4, v4
	s_mov_b64 s[14:15], 0
                                        ; implicit-def: $vgpr3
	s_and_saveexec_b64 s[16:17], vcc
	s_xor_b64 s[16:17], exec, s[16:17]
	s_cbranch_execz .LBB79_2115
; %bb.1900:
	v_bfe_u32 v3, v4, 21, 1
	s_mov_b32 s4, 0x88fffff
	v_add3_u32 v3, v4, v3, s4
	s_mov_b64 s[14:15], exec
	v_lshrrev_b32_e32 v3, 21, v3
                                        ; implicit-def: $vgpr4
	s_andn2_saveexec_b64 s[16:17], s[16:17]
	s_cbranch_execnz .LBB79_2116
.LBB79_1901:
	s_or_b64 exec, exec, s[16:17]
	v_mov_b32_e32 v5, 0
	s_and_saveexec_b64 s[16:17], s[14:15]
.LBB79_1902:
	v_mov_b32_e32 v5, v3
.LBB79_1903:
	s_or_b64 exec, exec, s[16:17]
.LBB79_1904:
	s_or_b64 exec, exec, s[12:13]
	s_mov_b64 s[12:13], 0
	global_store_byte v[1:2], v5, off
.LBB79_1905:
	s_and_b64 vcc, exec, s[12:13]
	s_cbranch_vccz .LBB79_1915
; %bb.1906:
	v_cndmask_b32_e64 v3, 0, 1.0, s[10:11]
	s_mov_b32 s4, 0x43f00000
	v_cmp_gt_u32_e32 vcc, s4, v3
                                        ; implicit-def: $vgpr4
	s_and_saveexec_b64 s[12:13], vcc
	s_xor_b64 s[12:13], exec, s[12:13]
	s_cbranch_execz .LBB79_1912
; %bb.1907:
	s_mov_b32 s4, 0x3c7fffff
	v_cmp_lt_u32_e32 vcc, s4, v3
                                        ; implicit-def: $vgpr4
	s_and_saveexec_b64 s[14:15], vcc
	s_xor_b64 s[14:15], exec, s[14:15]
; %bb.1908:
	v_bfe_u32 v4, v3, 20, 1
	s_mov_b32 s4, 0x407ffff
	v_add3_u32 v3, v3, v4, s4
	v_lshrrev_b32_e32 v4, 20, v3
	v_and_b32_e32 v3, 0xff00000, v3
	s_mov_b32 s4, 0x7f00000
	v_mov_b32_e32 v5, 0x7e
	v_cmp_ne_u32_e32 vcc, s4, v3
	v_cndmask_b32_e32 v4, v5, v4, vcc
                                        ; implicit-def: $vgpr3
; %bb.1909:
	s_andn2_saveexec_b64 s[14:15], s[14:15]
; %bb.1910:
	v_add_f32_e32 v4, 0x46800000, v3
; %bb.1911:
	s_or_b64 exec, exec, s[14:15]
                                        ; implicit-def: $vgpr3
.LBB79_1912:
	s_andn2_saveexec_b64 s[12:13], s[12:13]
; %bb.1913:
	s_mov_b32 s4, 0x7f800000
	v_mov_b32_e32 v4, 0x7e
	v_mov_b32_e32 v5, 0x7f
	v_cmp_lt_u32_e32 vcc, s4, v3
	v_cndmask_b32_e32 v4, v4, v5, vcc
; %bb.1914:
	s_or_b64 exec, exec, s[12:13]
	global_store_byte v[1:2], v4, off
.LBB79_1915:
	s_mov_b64 s[12:13], 0
.LBB79_1916:
	s_andn2_b64 vcc, exec, s[12:13]
	s_cbranch_vccnz .LBB79_1926
; %bb.1917:
	v_cndmask_b32_e64 v3, 0, 1.0, s[10:11]
	s_mov_b32 s4, 0x47800000
	v_cmp_gt_u32_e32 vcc, s4, v3
                                        ; implicit-def: $vgpr4
	s_and_saveexec_b64 s[12:13], vcc
	s_xor_b64 s[12:13], exec, s[12:13]
	s_cbranch_execz .LBB79_1923
; %bb.1918:
	s_mov_b32 s4, 0x387fffff
	v_cmp_lt_u32_e32 vcc, s4, v3
                                        ; implicit-def: $vgpr4
	s_and_saveexec_b64 s[14:15], vcc
	s_xor_b64 s[14:15], exec, s[14:15]
; %bb.1919:
	v_bfe_u32 v4, v3, 21, 1
	s_mov_b32 s4, 0x80fffff
	v_add3_u32 v3, v3, v4, s4
	v_lshrrev_b32_e32 v4, 21, v3
                                        ; implicit-def: $vgpr3
; %bb.1920:
	s_andn2_saveexec_b64 s[14:15], s[14:15]
; %bb.1921:
	v_add_f32_e32 v4, 0x43000000, v3
; %bb.1922:
	s_or_b64 exec, exec, s[14:15]
                                        ; implicit-def: $vgpr3
.LBB79_1923:
	s_andn2_saveexec_b64 s[12:13], s[12:13]
; %bb.1924:
	s_mov_b32 s4, 0x7f800000
	v_mov_b32_e32 v4, 0x7c
	v_mov_b32_e32 v5, 0x7f
	v_cmp_lt_u32_e32 vcc, s4, v3
	v_cndmask_b32_e32 v4, v4, v5, vcc
; %bb.1925:
	s_or_b64 exec, exec, s[12:13]
	global_store_byte v[1:2], v4, off
.LBB79_1926:
	s_mov_b64 s[12:13], 0
	s_mov_b64 s[14:15], -1
.LBB79_1927:
	s_andn2_b64 vcc, exec, s[12:13]
	s_mov_b64 s[12:13], 0
	s_cbranch_vccnz .LBB79_1934
; %bb.1928:
	s_cmp_gt_i32 s21, 14
	s_mov_b64 s[16:17], -1
	s_cbranch_scc0 .LBB79_1932
; %bb.1929:
	s_cmp_eq_u32 s21, 15
	s_mov_b64 s[0:1], -1
	s_cbranch_scc0 .LBB79_1931
; %bb.1930:
	v_cndmask_b32_e64 v3, 0, 1.0, s[10:11]
	v_bfe_u32 v4, v3, 16, 1
	s_movk_i32 s0, 0x7fff
	v_add3_u32 v3, v3, v4, s0
	global_store_short_d16_hi v[1:2], v3, off
	s_mov_b64 s[0:1], 0
	s_mov_b64 s[14:15], -1
.LBB79_1931:
	s_mov_b64 s[16:17], 0
.LBB79_1932:
	s_and_b64 vcc, exec, s[16:17]
	s_cbranch_vccz .LBB79_1934
; %bb.1933:
	s_cmp_lg_u32 s21, 11
	s_mov_b64 s[12:13], -1
	s_cselect_b64 s[0:1], -1, 0
.LBB79_1934:
	s_and_b64 vcc, exec, s[0:1]
	s_cbranch_vccnz .LBB79_2114
; %bb.1935:
	s_andn2_b64 vcc, exec, s[12:13]
	s_cbranch_vccnz .LBB79_1937
.LBB79_1936:
	v_cndmask_b32_e64 v3, 0, 1, s[10:11]
	s_mov_b64 s[14:15], -1
	global_store_byte v[1:2], v3, off
.LBB79_1937:
	s_mov_b64 s[0:1], 0
	s_branch .LBB79_1939
.LBB79_1938:
	s_mov_b64 s[0:1], -1
	s_mov_b64 s[14:15], 0
.LBB79_1939:
	s_and_b64 vcc, exec, s[0:1]
	s_cbranch_vccz .LBB79_1978
; %bb.1940:
	s_cmp_lt_i32 s21, 5
	s_mov_b64 s[0:1], -1
	s_cbranch_scc1 .LBB79_1961
; %bb.1941:
	s_cmp_lt_i32 s21, 8
	s_cbranch_scc1 .LBB79_1951
; %bb.1942:
	s_cmp_lt_i32 s21, 9
	s_cbranch_scc1 .LBB79_1948
; %bb.1943:
	s_cmp_gt_i32 s21, 9
	s_cbranch_scc0 .LBB79_1945
; %bb.1944:
	v_cndmask_b32_e64 v3, 0, 1, s[10:11]
	v_cvt_f64_u32_e32 v[3:4], v3
	v_mov_b32_e32 v5, 0
	v_mov_b32_e32 v6, v5
	s_mov_b64 s[0:1], 0
	global_store_dwordx4 v[1:2], v[3:6], off
.LBB79_1945:
	s_andn2_b64 vcc, exec, s[0:1]
	s_cbranch_vccnz .LBB79_1947
; %bb.1946:
	v_cndmask_b32_e64 v3, 0, 1.0, s[10:11]
	v_mov_b32_e32 v4, 0
	global_store_dwordx2 v[1:2], v[3:4], off
.LBB79_1947:
	s_mov_b64 s[0:1], 0
.LBB79_1948:
	s_andn2_b64 vcc, exec, s[0:1]
	s_cbranch_vccnz .LBB79_1950
; %bb.1949:
	v_cndmask_b32_e64 v3, 0, 1.0, s[10:11]
	v_cvt_f16_f32_e32 v3, v3
	global_store_dword v[1:2], v3, off
.LBB79_1950:
	s_mov_b64 s[0:1], 0
.LBB79_1951:
	s_andn2_b64 vcc, exec, s[0:1]
	s_cbranch_vccnz .LBB79_1960
; %bb.1952:
	s_cmp_lt_i32 s21, 6
	s_mov_b64 s[0:1], -1
	s_cbranch_scc1 .LBB79_1958
; %bb.1953:
	s_cmp_gt_i32 s21, 6
	s_cbranch_scc0 .LBB79_1955
; %bb.1954:
	v_cndmask_b32_e64 v3, 0, 1, s[10:11]
	v_cvt_f64_u32_e32 v[3:4], v3
	s_mov_b64 s[0:1], 0
	global_store_dwordx2 v[1:2], v[3:4], off
.LBB79_1955:
	s_andn2_b64 vcc, exec, s[0:1]
	s_cbranch_vccnz .LBB79_1957
; %bb.1956:
	v_cndmask_b32_e64 v3, 0, 1.0, s[10:11]
	global_store_dword v[1:2], v3, off
.LBB79_1957:
	s_mov_b64 s[0:1], 0
.LBB79_1958:
	s_andn2_b64 vcc, exec, s[0:1]
	s_cbranch_vccnz .LBB79_1960
; %bb.1959:
	v_cndmask_b32_e64 v3, 0, 1.0, s[10:11]
	v_cvt_f16_f32_e32 v3, v3
	global_store_short v[1:2], v3, off
.LBB79_1960:
	s_mov_b64 s[0:1], 0
.LBB79_1961:
	s_andn2_b64 vcc, exec, s[0:1]
	s_cbranch_vccnz .LBB79_1977
; %bb.1962:
	s_cmp_lt_i32 s21, 2
	s_mov_b64 s[0:1], -1
	s_cbranch_scc1 .LBB79_1972
; %bb.1963:
	s_cmp_lt_i32 s21, 3
	s_cbranch_scc1 .LBB79_1969
; %bb.1964:
	s_cmp_gt_i32 s21, 3
	s_cbranch_scc0 .LBB79_1966
; %bb.1965:
	s_mov_b32 s0, 0
	v_cndmask_b32_e64 v3, 0, 1, s[10:11]
	v_mov_b32_e32 v4, s0
	global_store_dwordx2 v[1:2], v[3:4], off
	s_mov_b64 s[0:1], 0
.LBB79_1966:
	s_andn2_b64 vcc, exec, s[0:1]
	s_cbranch_vccnz .LBB79_1968
; %bb.1967:
	v_cndmask_b32_e64 v3, 0, 1, s[10:11]
	global_store_dword v[1:2], v3, off
.LBB79_1968:
	s_mov_b64 s[0:1], 0
.LBB79_1969:
	s_andn2_b64 vcc, exec, s[0:1]
	s_cbranch_vccnz .LBB79_1971
; %bb.1970:
	v_cndmask_b32_e64 v3, 0, 1, s[10:11]
	global_store_short v[1:2], v3, off
.LBB79_1971:
	s_mov_b64 s[0:1], 0
.LBB79_1972:
	s_andn2_b64 vcc, exec, s[0:1]
	s_cbranch_vccnz .LBB79_1977
; %bb.1973:
	s_cmp_gt_i32 s21, 0
	s_mov_b64 s[0:1], -1
	s_cbranch_scc0 .LBB79_1975
; %bb.1974:
	v_cndmask_b32_e64 v3, 0, 1, s[10:11]
	global_store_byte v[1:2], v3, off
	s_mov_b64 s[0:1], 0
.LBB79_1975:
	s_andn2_b64 vcc, exec, s[0:1]
	s_cbranch_vccnz .LBB79_1977
; %bb.1976:
	v_cndmask_b32_e64 v3, 0, 1, s[10:11]
	global_store_byte v[1:2], v3, off
.LBB79_1977:
	s_mov_b64 s[14:15], -1
.LBB79_1978:
	s_andn2_b64 vcc, exec, s[14:15]
	s_cbranch_vccnz .LBB79_2055
; %bb.1979:
	v_cmp_ne_u16_e32 vcc, s5, v7
	s_xor_b64 s[10:11], s[6:7], vcc
	v_mov_b32_e32 v1, s9
	v_add_co_u32_e32 v0, vcc, s8, v0
	s_cmp_lt_i32 s21, 11
	v_addc_co_u32_e32 v1, vcc, 0, v1, vcc
	s_cbranch_scc1 .LBB79_2100
; %bb.1980:
	s_mov_b64 s[6:7], -1
	s_mov_b64 s[4:5], 0
	s_cmp_gt_i32 s21, 25
	s_mov_b64 s[0:1], 0
	s_cbranch_scc0 .LBB79_2013
; %bb.1981:
	s_cmp_gt_i32 s21, 28
	s_cbranch_scc0 .LBB79_1997
; %bb.1982:
	s_cmp_gt_i32 s21, 43
	;; [unrolled: 3-line block ×3, first 2 shown]
	s_cbranch_scc0 .LBB79_1987
; %bb.1984:
	s_cmp_eq_u32 s21, 46
	s_mov_b64 s[0:1], -1
	s_cbranch_scc0 .LBB79_1986
; %bb.1985:
	v_cndmask_b32_e64 v2, 0, 1.0, s[10:11]
	v_bfe_u32 v3, v2, 16, 1
	s_movk_i32 s0, 0x7fff
	v_add3_u32 v2, v2, v3, s0
	v_lshrrev_b32_e32 v2, 16, v2
	global_store_dword v[0:1], v2, off
	s_mov_b64 s[0:1], 0
.LBB79_1986:
	s_mov_b64 s[6:7], 0
.LBB79_1987:
	s_and_b64 vcc, exec, s[6:7]
	s_cbranch_vccz .LBB79_1992
; %bb.1988:
	s_cmp_eq_u32 s21, 44
	s_mov_b64 s[0:1], -1
	s_cbranch_scc0 .LBB79_1992
; %bb.1989:
	v_cndmask_b32_e64 v3, 0, 1.0, s[10:11]
	v_lshrrev_b32_e32 v2, 23, v3
	s_movk_i32 s0, 0xff
	v_cmp_ne_u32_e32 vcc, s0, v2
	v_mov_b32_e32 v4, 0xff
	s_and_saveexec_b64 s[6:7], vcc
; %bb.1990:
	s_mov_b32 s0, 0x3fffff
	v_and_b32_e32 v4, 0x400000, v3
	v_and_or_b32 v3, v3, s0, v2
	v_cmp_ne_u32_e32 vcc, 0, v4
	v_cmp_ne_u32_e64 s[0:1], 0, v3
	s_and_b64 s[0:1], vcc, s[0:1]
	v_cndmask_b32_e64 v3, 0, 1, s[0:1]
	v_add_u32_e32 v4, v2, v3
; %bb.1991:
	s_or_b64 exec, exec, s[6:7]
	s_mov_b64 s[0:1], 0
	global_store_byte v[0:1], v4, off
.LBB79_1992:
	s_mov_b64 s[6:7], 0
.LBB79_1993:
	s_and_b64 vcc, exec, s[6:7]
	s_cbranch_vccz .LBB79_1996
; %bb.1994:
	s_cmp_eq_u32 s21, 29
	s_mov_b64 s[0:1], -1
	s_cbranch_scc0 .LBB79_1996
; %bb.1995:
	s_mov_b32 s0, 0
	v_cndmask_b32_e64 v2, 0, 1, s[10:11]
	v_mov_b32_e32 v3, s0
	global_store_dwordx2 v[0:1], v[2:3], off
	s_mov_b64 s[0:1], 0
.LBB79_1996:
	s_mov_b64 s[6:7], 0
.LBB79_1997:
	s_and_b64 vcc, exec, s[6:7]
	s_cbranch_vccz .LBB79_2012
; %bb.1998:
	s_cmp_lt_i32 s21, 27
	s_mov_b64 s[6:7], -1
	s_cbranch_scc1 .LBB79_2004
; %bb.1999:
	s_cmp_gt_i32 s21, 27
	s_cbranch_scc0 .LBB79_2001
; %bb.2000:
	v_cndmask_b32_e64 v2, 0, 1, s[10:11]
	global_store_dword v[0:1], v2, off
	s_mov_b64 s[6:7], 0
.LBB79_2001:
	s_andn2_b64 vcc, exec, s[6:7]
	s_cbranch_vccnz .LBB79_2003
; %bb.2002:
	v_cndmask_b32_e64 v2, 0, 1, s[10:11]
	global_store_short v[0:1], v2, off
.LBB79_2003:
	s_mov_b64 s[6:7], 0
.LBB79_2004:
	s_andn2_b64 vcc, exec, s[6:7]
	s_cbranch_vccnz .LBB79_2012
; %bb.2005:
	v_cndmask_b32_e64 v3, 0, 1.0, s[10:11]
	s_mov_b32 s6, 0x43800000
	v_cmp_gt_u32_e32 vcc, s6, v3
	v_mov_b32_e32 v4, 0x80
	s_and_saveexec_b64 s[6:7], vcc
	s_cbranch_execz .LBB79_2011
; %bb.2006:
	s_mov_b32 s8, 0x3bffffff
	v_cmp_lt_u32_e32 vcc, s8, v3
	s_mov_b64 s[8:9], 0
                                        ; implicit-def: $vgpr2
	s_and_saveexec_b64 s[12:13], vcc
	s_xor_b64 s[12:13], exec, s[12:13]
	s_cbranch_execz .LBB79_2117
; %bb.2007:
	v_bfe_u32 v2, v3, 20, 1
	s_mov_b32 s14, 0x487ffff
	v_add3_u32 v2, v3, v2, s14
	s_mov_b64 s[8:9], exec
	v_lshrrev_b32_e32 v2, 20, v2
                                        ; implicit-def: $vgpr3
	s_andn2_saveexec_b64 s[12:13], s[12:13]
	s_cbranch_execnz .LBB79_2118
.LBB79_2008:
	s_or_b64 exec, exec, s[12:13]
	v_mov_b32_e32 v4, 0
	s_and_saveexec_b64 s[12:13], s[8:9]
.LBB79_2009:
	v_mov_b32_e32 v4, v2
.LBB79_2010:
	s_or_b64 exec, exec, s[12:13]
.LBB79_2011:
	s_or_b64 exec, exec, s[6:7]
	global_store_byte v[0:1], v4, off
.LBB79_2012:
	s_mov_b64 s[6:7], 0
.LBB79_2013:
	s_and_b64 vcc, exec, s[6:7]
	s_cbranch_vccz .LBB79_2053
; %bb.2014:
	s_cmp_gt_i32 s21, 22
	s_mov_b64 s[4:5], -1
	s_cbranch_scc0 .LBB79_2046
; %bb.2015:
	s_cmp_lt_i32 s21, 24
	s_cbranch_scc1 .LBB79_2035
; %bb.2016:
	s_cmp_gt_i32 s21, 24
	s_cbranch_scc0 .LBB79_2024
; %bb.2017:
	v_cndmask_b32_e64 v3, 0, 1.0, s[10:11]
	s_mov_b32 s4, 0x47800000
	v_cmp_gt_u32_e32 vcc, s4, v3
	v_mov_b32_e32 v4, 0x80
	s_and_saveexec_b64 s[4:5], vcc
	s_cbranch_execz .LBB79_2023
; %bb.2018:
	s_mov_b32 s6, 0x37ffffff
	v_cmp_lt_u32_e32 vcc, s6, v3
	s_mov_b64 s[6:7], 0
                                        ; implicit-def: $vgpr2
	s_and_saveexec_b64 s[8:9], vcc
	s_xor_b64 s[8:9], exec, s[8:9]
	s_cbranch_execz .LBB79_2120
; %bb.2019:
	v_bfe_u32 v2, v3, 21, 1
	s_mov_b32 s12, 0x88fffff
	v_add3_u32 v2, v3, v2, s12
	s_mov_b64 s[6:7], exec
	v_lshrrev_b32_e32 v2, 21, v2
                                        ; implicit-def: $vgpr3
	s_andn2_saveexec_b64 s[8:9], s[8:9]
	s_cbranch_execnz .LBB79_2121
.LBB79_2020:
	s_or_b64 exec, exec, s[8:9]
	v_mov_b32_e32 v4, 0
	s_and_saveexec_b64 s[8:9], s[6:7]
.LBB79_2021:
	v_mov_b32_e32 v4, v2
.LBB79_2022:
	s_or_b64 exec, exec, s[8:9]
.LBB79_2023:
	s_or_b64 exec, exec, s[4:5]
	s_mov_b64 s[4:5], 0
	global_store_byte v[0:1], v4, off
.LBB79_2024:
	s_and_b64 vcc, exec, s[4:5]
	s_cbranch_vccz .LBB79_2034
; %bb.2025:
	v_cndmask_b32_e64 v2, 0, 1.0, s[10:11]
	s_mov_b32 s4, 0x43f00000
	v_cmp_gt_u32_e32 vcc, s4, v2
                                        ; implicit-def: $vgpr3
	s_and_saveexec_b64 s[4:5], vcc
	s_xor_b64 s[4:5], exec, s[4:5]
	s_cbranch_execz .LBB79_2031
; %bb.2026:
	s_mov_b32 s6, 0x3c7fffff
	v_cmp_lt_u32_e32 vcc, s6, v2
                                        ; implicit-def: $vgpr3
	s_and_saveexec_b64 s[6:7], vcc
	s_xor_b64 s[6:7], exec, s[6:7]
; %bb.2027:
	v_bfe_u32 v3, v2, 20, 1
	s_mov_b32 s8, 0x407ffff
	v_add3_u32 v2, v2, v3, s8
	v_lshrrev_b32_e32 v3, 20, v2
	v_and_b32_e32 v2, 0xff00000, v2
	s_mov_b32 s8, 0x7f00000
	v_mov_b32_e32 v4, 0x7e
	v_cmp_ne_u32_e32 vcc, s8, v2
	v_cndmask_b32_e32 v3, v4, v3, vcc
                                        ; implicit-def: $vgpr2
; %bb.2028:
	s_andn2_saveexec_b64 s[6:7], s[6:7]
; %bb.2029:
	v_add_f32_e32 v3, 0x46800000, v2
; %bb.2030:
	s_or_b64 exec, exec, s[6:7]
                                        ; implicit-def: $vgpr2
.LBB79_2031:
	s_andn2_saveexec_b64 s[4:5], s[4:5]
; %bb.2032:
	s_mov_b32 s6, 0x7f800000
	v_mov_b32_e32 v3, 0x7e
	v_mov_b32_e32 v4, 0x7f
	v_cmp_lt_u32_e32 vcc, s6, v2
	v_cndmask_b32_e32 v3, v3, v4, vcc
; %bb.2033:
	s_or_b64 exec, exec, s[4:5]
	global_store_byte v[0:1], v3, off
.LBB79_2034:
	s_mov_b64 s[4:5], 0
.LBB79_2035:
	s_andn2_b64 vcc, exec, s[4:5]
	s_cbranch_vccnz .LBB79_2045
; %bb.2036:
	v_cndmask_b32_e64 v2, 0, 1.0, s[10:11]
	s_mov_b32 s4, 0x47800000
	v_cmp_gt_u32_e32 vcc, s4, v2
                                        ; implicit-def: $vgpr3
	s_and_saveexec_b64 s[4:5], vcc
	s_xor_b64 s[4:5], exec, s[4:5]
	s_cbranch_execz .LBB79_2042
; %bb.2037:
	s_mov_b32 s6, 0x387fffff
	v_cmp_lt_u32_e32 vcc, s6, v2
                                        ; implicit-def: $vgpr3
	s_and_saveexec_b64 s[6:7], vcc
	s_xor_b64 s[6:7], exec, s[6:7]
; %bb.2038:
	v_bfe_u32 v3, v2, 21, 1
	s_mov_b32 s8, 0x80fffff
	v_add3_u32 v2, v2, v3, s8
	v_lshrrev_b32_e32 v3, 21, v2
                                        ; implicit-def: $vgpr2
; %bb.2039:
	s_andn2_saveexec_b64 s[6:7], s[6:7]
; %bb.2040:
	v_add_f32_e32 v3, 0x43000000, v2
; %bb.2041:
	s_or_b64 exec, exec, s[6:7]
                                        ; implicit-def: $vgpr2
.LBB79_2042:
	s_andn2_saveexec_b64 s[4:5], s[4:5]
; %bb.2043:
	s_mov_b32 s6, 0x7f800000
	v_mov_b32_e32 v3, 0x7c
	v_mov_b32_e32 v4, 0x7f
	v_cmp_lt_u32_e32 vcc, s6, v2
	v_cndmask_b32_e32 v3, v3, v4, vcc
; %bb.2044:
	s_or_b64 exec, exec, s[4:5]
	global_store_byte v[0:1], v3, off
.LBB79_2045:
	s_mov_b64 s[4:5], 0
.LBB79_2046:
	s_andn2_b64 vcc, exec, s[4:5]
	s_mov_b64 s[4:5], 0
	s_cbranch_vccnz .LBB79_2053
; %bb.2047:
	s_cmp_gt_i32 s21, 14
	s_mov_b64 s[6:7], -1
	s_cbranch_scc0 .LBB79_2051
; %bb.2048:
	s_cmp_eq_u32 s21, 15
	s_mov_b64 s[0:1], -1
	s_cbranch_scc0 .LBB79_2050
; %bb.2049:
	v_cndmask_b32_e64 v2, 0, 1.0, s[10:11]
	v_bfe_u32 v3, v2, 16, 1
	s_movk_i32 s0, 0x7fff
	v_add3_u32 v2, v2, v3, s0
	global_store_short_d16_hi v[0:1], v2, off
	s_mov_b64 s[0:1], 0
.LBB79_2050:
	s_mov_b64 s[6:7], 0
.LBB79_2051:
	s_and_b64 vcc, exec, s[6:7]
	s_cbranch_vccz .LBB79_2053
; %bb.2052:
	s_cmp_lg_u32 s21, 11
	s_mov_b64 s[4:5], -1
	s_cselect_b64 s[0:1], -1, 0
.LBB79_2053:
	s_and_b64 vcc, exec, s[0:1]
	s_cbranch_vccnz .LBB79_2119
.LBB79_2054:
	s_mov_b64 s[0:1], 0
	s_branch .LBB79_2056
.LBB79_2055:
	s_mov_b64 s[0:1], 0
	s_mov_b64 s[4:5], 0
                                        ; implicit-def: $sgpr10_sgpr11
                                        ; implicit-def: $vgpr0_vgpr1
                                        ; implicit-def: $sgpr20
.LBB79_2056:
	s_and_b64 s[6:7], s[4:5], exec
	s_andn2_b64 s[4:5], s[28:29], exec
	s_and_b64 s[2:3], s[2:3], exec
	s_and_b64 s[0:1], s[0:1], exec
	s_or_b64 s[28:29], s[4:5], s[2:3]
.LBB79_2057:
	s_or_b64 exec, exec, s[30:31]
	s_and_saveexec_b64 s[2:3], s[28:29]
	s_cbranch_execz .LBB79_2060
; %bb.2058:
	; divergent unreachable
	s_or_b64 exec, exec, s[2:3]
	s_and_saveexec_b64 s[2:3], s[6:7]
	s_xor_b64 s[2:3], exec, s[2:3]
	s_cbranch_execnz .LBB79_2061
.LBB79_2059:
	s_or_b64 exec, exec, s[2:3]
	s_and_saveexec_b64 s[2:3], s[0:1]
	s_cbranch_execnz .LBB79_2062
	s_branch .LBB79_2099
.LBB79_2060:
	s_or_b64 exec, exec, s[2:3]
	s_and_saveexec_b64 s[2:3], s[6:7]
	s_xor_b64 s[2:3], exec, s[2:3]
	s_cbranch_execz .LBB79_2059
.LBB79_2061:
	v_cndmask_b32_e64 v2, 0, 1, s[10:11]
	global_store_byte v[0:1], v2, off
	s_or_b64 exec, exec, s[2:3]
	s_and_saveexec_b64 s[2:3], s[0:1]
	s_cbranch_execz .LBB79_2099
.LBB79_2062:
	s_sext_i32_i16 s2, s20
	s_cmp_lt_i32 s2, 5
	s_mov_b64 s[0:1], -1
	s_cbranch_scc1 .LBB79_2083
; %bb.2063:
	s_cmp_lt_i32 s2, 8
	s_cbranch_scc1 .LBB79_2073
; %bb.2064:
	s_cmp_lt_i32 s2, 9
	s_cbranch_scc1 .LBB79_2070
; %bb.2065:
	s_cmp_gt_i32 s2, 9
	s_cbranch_scc0 .LBB79_2067
; %bb.2066:
	v_cndmask_b32_e64 v2, 0, 1, s[10:11]
	s_waitcnt vmcnt(0)
	v_cvt_f64_u32_e32 v[2:3], v2
	v_mov_b32_e32 v4, 0
	v_mov_b32_e32 v5, v4
	s_mov_b64 s[0:1], 0
	global_store_dwordx4 v[0:1], v[2:5], off
.LBB79_2067:
	s_andn2_b64 vcc, exec, s[0:1]
	s_cbranch_vccnz .LBB79_2069
; %bb.2068:
	v_cndmask_b32_e64 v2, 0, 1.0, s[10:11]
	s_waitcnt vmcnt(0)
	v_mov_b32_e32 v3, 0
	global_store_dwordx2 v[0:1], v[2:3], off
.LBB79_2069:
	s_mov_b64 s[0:1], 0
.LBB79_2070:
	s_andn2_b64 vcc, exec, s[0:1]
	s_cbranch_vccnz .LBB79_2072
; %bb.2071:
	v_cndmask_b32_e64 v2, 0, 1.0, s[10:11]
	v_cvt_f16_f32_e32 v2, v2
	global_store_dword v[0:1], v2, off
.LBB79_2072:
	s_mov_b64 s[0:1], 0
.LBB79_2073:
	s_andn2_b64 vcc, exec, s[0:1]
	s_cbranch_vccnz .LBB79_2082
; %bb.2074:
	s_sext_i32_i16 s2, s20
	s_cmp_lt_i32 s2, 6
	s_mov_b64 s[0:1], -1
	s_cbranch_scc1 .LBB79_2080
; %bb.2075:
	s_cmp_gt_i32 s2, 6
	s_cbranch_scc0 .LBB79_2077
; %bb.2076:
	v_cndmask_b32_e64 v2, 0, 1, s[10:11]
	s_waitcnt vmcnt(0)
	v_cvt_f64_u32_e32 v[2:3], v2
	s_mov_b64 s[0:1], 0
	global_store_dwordx2 v[0:1], v[2:3], off
.LBB79_2077:
	s_andn2_b64 vcc, exec, s[0:1]
	s_cbranch_vccnz .LBB79_2079
; %bb.2078:
	v_cndmask_b32_e64 v2, 0, 1.0, s[10:11]
	global_store_dword v[0:1], v2, off
.LBB79_2079:
	s_mov_b64 s[0:1], 0
.LBB79_2080:
	s_andn2_b64 vcc, exec, s[0:1]
	s_cbranch_vccnz .LBB79_2082
; %bb.2081:
	v_cndmask_b32_e64 v2, 0, 1.0, s[10:11]
	v_cvt_f16_f32_e32 v2, v2
	global_store_short v[0:1], v2, off
.LBB79_2082:
	s_mov_b64 s[0:1], 0
.LBB79_2083:
	s_andn2_b64 vcc, exec, s[0:1]
	s_cbranch_vccnz .LBB79_2099
; %bb.2084:
	s_sext_i32_i16 s2, s20
	s_cmp_lt_i32 s2, 2
	s_mov_b64 s[0:1], -1
	s_cbranch_scc1 .LBB79_2094
; %bb.2085:
	s_cmp_lt_i32 s2, 3
	s_cbranch_scc1 .LBB79_2091
; %bb.2086:
	s_cmp_gt_i32 s2, 3
	s_cbranch_scc0 .LBB79_2088
; %bb.2087:
	s_mov_b32 s0, 0
	v_cndmask_b32_e64 v2, 0, 1, s[10:11]
	s_waitcnt vmcnt(0)
	v_mov_b32_e32 v3, s0
	global_store_dwordx2 v[0:1], v[2:3], off
	s_mov_b64 s[0:1], 0
.LBB79_2088:
	s_andn2_b64 vcc, exec, s[0:1]
	s_cbranch_vccnz .LBB79_2090
; %bb.2089:
	v_cndmask_b32_e64 v2, 0, 1, s[10:11]
	global_store_dword v[0:1], v2, off
.LBB79_2090:
	s_mov_b64 s[0:1], 0
.LBB79_2091:
	s_andn2_b64 vcc, exec, s[0:1]
	s_cbranch_vccnz .LBB79_2093
; %bb.2092:
	v_cndmask_b32_e64 v2, 0, 1, s[10:11]
	global_store_short v[0:1], v2, off
.LBB79_2093:
	s_mov_b64 s[0:1], 0
.LBB79_2094:
	s_andn2_b64 vcc, exec, s[0:1]
	s_cbranch_vccnz .LBB79_2099
; %bb.2095:
	s_sext_i32_i16 s0, s20
	s_cmp_gt_i32 s0, 0
	s_mov_b64 s[0:1], -1
	s_cbranch_scc0 .LBB79_2097
; %bb.2096:
	v_cndmask_b32_e64 v2, 0, 1, s[10:11]
	global_store_byte v[0:1], v2, off
	s_mov_b64 s[0:1], 0
.LBB79_2097:
	s_andn2_b64 vcc, exec, s[0:1]
	s_cbranch_vccnz .LBB79_2099
; %bb.2098:
	v_cndmask_b32_e64 v2, 0, 1, s[10:11]
	global_store_byte v[0:1], v2, off
	s_endpgm
.LBB79_2099:
	s_endpgm
.LBB79_2100:
	s_mov_b64 s[4:5], 0
	s_mov_b64 s[0:1], -1
	s_branch .LBB79_2056
.LBB79_2101:
	s_trap 2
	s_or_b64 s[2:3], s[2:3], exec
	s_cbranch_execz .LBB79_1570
	s_branch .LBB79_1571
.LBB79_2102:
	s_andn2_saveexec_b64 s[18:19], s[18:19]
	s_cbranch_execz .LBB79_1650
.LBB79_2103:
	v_add_f32_e32 v1, 0x46000000, v3
	v_and_b32_e32 v1, 0xff, v1
	v_cmp_ne_u32_e32 vcc, 0, v1
	s_andn2_b64 s[16:17], s[16:17], exec
	s_and_b64 s[22:23], vcc, exec
	s_or_b64 s[16:17], s[16:17], s[22:23]
	s_or_b64 exec, exec, s[18:19]
	v_mov_b32_e32 v8, 0
	s_and_saveexec_b64 s[18:19], s[16:17]
	s_cbranch_execnz .LBB79_1651
	s_branch .LBB79_1652
.LBB79_2104:
	s_trap 2
	s_or_b64 s[2:3], s[2:3], exec
	s_cbranch_execz .LBB79_1698
	s_branch .LBB79_1699
.LBB79_2105:
	s_andn2_saveexec_b64 s[16:17], s[16:17]
	s_cbranch_execz .LBB79_1663
.LBB79_2106:
	v_add_f32_e32 v1, 0x42800000, v3
	v_and_b32_e32 v1, 0xff, v1
	v_cmp_ne_u32_e32 vcc, 0, v1
	s_andn2_b64 s[14:15], s[14:15], exec
	s_and_b64 s[18:19], vcc, exec
	s_or_b64 s[14:15], s[14:15], s[18:19]
	s_or_b64 exec, exec, s[16:17]
	v_mov_b32_e32 v8, 0
	s_and_saveexec_b64 s[16:17], s[14:15]
	s_cbranch_execnz .LBB79_1664
	s_branch .LBB79_1665
.LBB79_2107:
	s_andn2_saveexec_b64 s[18:19], s[18:19]
	s_cbranch_execz .LBB79_1769
.LBB79_2108:
	v_add_f32_e32 v1, 0x46000000, v5
	v_and_b32_e32 v1, 0xff, v1
	v_cmp_ne_u32_e32 vcc, 0, v1
	s_andn2_b64 s[16:17], s[16:17], exec
	s_and_b64 s[22:23], vcc, exec
	s_or_b64 s[16:17], s[16:17], s[22:23]
	s_or_b64 exec, exec, s[18:19]
	v_mov_b32_e32 v6, 0
	s_and_saveexec_b64 s[18:19], s[16:17]
	s_cbranch_execnz .LBB79_1770
	s_branch .LBB79_1771
.LBB79_2109:
	s_trap 2
	s_or_b64 s[2:3], s[2:3], exec
	s_cbranch_execz .LBB79_1817
	s_branch .LBB79_1818
.LBB79_2110:
	s_andn2_saveexec_b64 s[16:17], s[16:17]
	s_cbranch_execz .LBB79_1782
.LBB79_2111:
	v_add_f32_e32 v1, 0x42800000, v5
	v_and_b32_e32 v1, 0xff, v1
	v_cmp_ne_u32_e32 vcc, 0, v1
	s_andn2_b64 s[14:15], s[14:15], exec
	s_and_b64 s[18:19], vcc, exec
	s_or_b64 s[14:15], s[14:15], s[18:19]
	s_or_b64 exec, exec, s[16:17]
	v_mov_b32_e32 v6, 0
	s_and_saveexec_b64 s[16:17], s[14:15]
	s_cbranch_execnz .LBB79_1783
	s_branch .LBB79_1784
.LBB79_2112:
	s_andn2_saveexec_b64 s[18:19], s[18:19]
	s_cbranch_execz .LBB79_1888
.LBB79_2113:
	v_add_f32_e32 v3, 0x46000000, v4
	v_and_b32_e32 v3, 0xff, v3
	v_cmp_ne_u32_e32 vcc, 0, v3
	s_andn2_b64 s[16:17], s[16:17], exec
	s_and_b64 s[22:23], vcc, exec
	s_or_b64 s[16:17], s[16:17], s[22:23]
	s_or_b64 exec, exec, s[18:19]
	v_mov_b32_e32 v5, 0
	s_and_saveexec_b64 s[18:19], s[16:17]
	s_cbranch_execnz .LBB79_1889
	s_branch .LBB79_1890
.LBB79_2114:
	s_trap 2
	s_or_b64 s[2:3], s[2:3], exec
	s_cbranch_execz .LBB79_1936
	s_branch .LBB79_1937
.LBB79_2115:
	s_andn2_saveexec_b64 s[16:17], s[16:17]
	s_cbranch_execz .LBB79_1901
.LBB79_2116:
	v_add_f32_e32 v3, 0x42800000, v4
	v_and_b32_e32 v3, 0xff, v3
	v_cmp_ne_u32_e32 vcc, 0, v3
	s_andn2_b64 s[14:15], s[14:15], exec
	s_and_b64 s[18:19], vcc, exec
	s_or_b64 s[14:15], s[14:15], s[18:19]
	s_or_b64 exec, exec, s[16:17]
	v_mov_b32_e32 v5, 0
	s_and_saveexec_b64 s[16:17], s[14:15]
	s_cbranch_execnz .LBB79_1902
	s_branch .LBB79_1903
.LBB79_2117:
	s_andn2_saveexec_b64 s[12:13], s[12:13]
	s_cbranch_execz .LBB79_2008
.LBB79_2118:
	v_add_f32_e32 v2, 0x46000000, v3
	v_and_b32_e32 v2, 0xff, v2
	v_cmp_ne_u32_e32 vcc, 0, v2
	s_andn2_b64 s[8:9], s[8:9], exec
	s_and_b64 s[14:15], vcc, exec
	s_or_b64 s[8:9], s[8:9], s[14:15]
	s_or_b64 exec, exec, s[12:13]
	v_mov_b32_e32 v4, 0
	s_and_saveexec_b64 s[12:13], s[8:9]
	s_cbranch_execnz .LBB79_2009
	s_branch .LBB79_2010
.LBB79_2119:
	s_mov_b64 s[4:5], 0
	s_or_b64 s[2:3], s[2:3], exec
	s_trap 2
	s_branch .LBB79_2054
.LBB79_2120:
	s_andn2_saveexec_b64 s[8:9], s[8:9]
	s_cbranch_execz .LBB79_2020
.LBB79_2121:
	v_add_f32_e32 v2, 0x42800000, v3
	v_and_b32_e32 v2, 0xff, v2
	v_cmp_ne_u32_e32 vcc, 0, v2
	s_andn2_b64 s[6:7], s[6:7], exec
	s_and_b64 s[12:13], vcc, exec
	s_or_b64 s[6:7], s[6:7], s[12:13]
	s_or_b64 exec, exec, s[8:9]
	v_mov_b32_e32 v4, 0
	s_and_saveexec_b64 s[8:9], s[6:7]
	s_cbranch_execnz .LBB79_2021
	s_branch .LBB79_2022
	.section	.rodata,"a",@progbits
	.p2align	6, 0x0
	.amdhsa_kernel _ZN2at6native32elementwise_kernel_manual_unrollILi128ELi4EZNS0_15gpu_kernel_implINS0_13AUnaryFunctorIssbNS0_12_GLOBAL__N_116CompareEqFunctorIsEEEEEEvRNS_18TensorIteratorBaseERKT_EUlibE0_EEviT1_
		.amdhsa_group_segment_fixed_size 0
		.amdhsa_private_segment_fixed_size 0
		.amdhsa_kernarg_size 368
		.amdhsa_user_sgpr_count 6
		.amdhsa_user_sgpr_private_segment_buffer 1
		.amdhsa_user_sgpr_dispatch_ptr 0
		.amdhsa_user_sgpr_queue_ptr 0
		.amdhsa_user_sgpr_kernarg_segment_ptr 1
		.amdhsa_user_sgpr_dispatch_id 0
		.amdhsa_user_sgpr_flat_scratch_init 0
		.amdhsa_user_sgpr_private_segment_size 0
		.amdhsa_uses_dynamic_stack 0
		.amdhsa_system_sgpr_private_segment_wavefront_offset 0
		.amdhsa_system_sgpr_workgroup_id_x 1
		.amdhsa_system_sgpr_workgroup_id_y 0
		.amdhsa_system_sgpr_workgroup_id_z 0
		.amdhsa_system_sgpr_workgroup_info 0
		.amdhsa_system_vgpr_workitem_id 0
		.amdhsa_next_free_vgpr 18
		.amdhsa_next_free_sgpr 81
		.amdhsa_reserve_vcc 1
		.amdhsa_reserve_flat_scratch 0
		.amdhsa_float_round_mode_32 0
		.amdhsa_float_round_mode_16_64 0
		.amdhsa_float_denorm_mode_32 3
		.amdhsa_float_denorm_mode_16_64 3
		.amdhsa_dx10_clamp 1
		.amdhsa_ieee_mode 1
		.amdhsa_fp16_overflow 0
		.amdhsa_exception_fp_ieee_invalid_op 0
		.amdhsa_exception_fp_denorm_src 0
		.amdhsa_exception_fp_ieee_div_zero 0
		.amdhsa_exception_fp_ieee_overflow 0
		.amdhsa_exception_fp_ieee_underflow 0
		.amdhsa_exception_fp_ieee_inexact 0
		.amdhsa_exception_int_div_zero 0
	.end_amdhsa_kernel
	.section	.text._ZN2at6native32elementwise_kernel_manual_unrollILi128ELi4EZNS0_15gpu_kernel_implINS0_13AUnaryFunctorIssbNS0_12_GLOBAL__N_116CompareEqFunctorIsEEEEEEvRNS_18TensorIteratorBaseERKT_EUlibE0_EEviT1_,"axG",@progbits,_ZN2at6native32elementwise_kernel_manual_unrollILi128ELi4EZNS0_15gpu_kernel_implINS0_13AUnaryFunctorIssbNS0_12_GLOBAL__N_116CompareEqFunctorIsEEEEEEvRNS_18TensorIteratorBaseERKT_EUlibE0_EEviT1_,comdat
.Lfunc_end79:
	.size	_ZN2at6native32elementwise_kernel_manual_unrollILi128ELi4EZNS0_15gpu_kernel_implINS0_13AUnaryFunctorIssbNS0_12_GLOBAL__N_116CompareEqFunctorIsEEEEEEvRNS_18TensorIteratorBaseERKT_EUlibE0_EEviT1_, .Lfunc_end79-_ZN2at6native32elementwise_kernel_manual_unrollILi128ELi4EZNS0_15gpu_kernel_implINS0_13AUnaryFunctorIssbNS0_12_GLOBAL__N_116CompareEqFunctorIsEEEEEEvRNS_18TensorIteratorBaseERKT_EUlibE0_EEviT1_
                                        ; -- End function
	.set _ZN2at6native32elementwise_kernel_manual_unrollILi128ELi4EZNS0_15gpu_kernel_implINS0_13AUnaryFunctorIssbNS0_12_GLOBAL__N_116CompareEqFunctorIsEEEEEEvRNS_18TensorIteratorBaseERKT_EUlibE0_EEviT1_.num_vgpr, 18
	.set _ZN2at6native32elementwise_kernel_manual_unrollILi128ELi4EZNS0_15gpu_kernel_implINS0_13AUnaryFunctorIssbNS0_12_GLOBAL__N_116CompareEqFunctorIsEEEEEEvRNS_18TensorIteratorBaseERKT_EUlibE0_EEviT1_.num_agpr, 0
	.set _ZN2at6native32elementwise_kernel_manual_unrollILi128ELi4EZNS0_15gpu_kernel_implINS0_13AUnaryFunctorIssbNS0_12_GLOBAL__N_116CompareEqFunctorIsEEEEEEvRNS_18TensorIteratorBaseERKT_EUlibE0_EEviT1_.numbered_sgpr, 81
	.set _ZN2at6native32elementwise_kernel_manual_unrollILi128ELi4EZNS0_15gpu_kernel_implINS0_13AUnaryFunctorIssbNS0_12_GLOBAL__N_116CompareEqFunctorIsEEEEEEvRNS_18TensorIteratorBaseERKT_EUlibE0_EEviT1_.num_named_barrier, 0
	.set _ZN2at6native32elementwise_kernel_manual_unrollILi128ELi4EZNS0_15gpu_kernel_implINS0_13AUnaryFunctorIssbNS0_12_GLOBAL__N_116CompareEqFunctorIsEEEEEEvRNS_18TensorIteratorBaseERKT_EUlibE0_EEviT1_.private_seg_size, 0
	.set _ZN2at6native32elementwise_kernel_manual_unrollILi128ELi4EZNS0_15gpu_kernel_implINS0_13AUnaryFunctorIssbNS0_12_GLOBAL__N_116CompareEqFunctorIsEEEEEEvRNS_18TensorIteratorBaseERKT_EUlibE0_EEviT1_.uses_vcc, 1
	.set _ZN2at6native32elementwise_kernel_manual_unrollILi128ELi4EZNS0_15gpu_kernel_implINS0_13AUnaryFunctorIssbNS0_12_GLOBAL__N_116CompareEqFunctorIsEEEEEEvRNS_18TensorIteratorBaseERKT_EUlibE0_EEviT1_.uses_flat_scratch, 0
	.set _ZN2at6native32elementwise_kernel_manual_unrollILi128ELi4EZNS0_15gpu_kernel_implINS0_13AUnaryFunctorIssbNS0_12_GLOBAL__N_116CompareEqFunctorIsEEEEEEvRNS_18TensorIteratorBaseERKT_EUlibE0_EEviT1_.has_dyn_sized_stack, 0
	.set _ZN2at6native32elementwise_kernel_manual_unrollILi128ELi4EZNS0_15gpu_kernel_implINS0_13AUnaryFunctorIssbNS0_12_GLOBAL__N_116CompareEqFunctorIsEEEEEEvRNS_18TensorIteratorBaseERKT_EUlibE0_EEviT1_.has_recursion, 0
	.set _ZN2at6native32elementwise_kernel_manual_unrollILi128ELi4EZNS0_15gpu_kernel_implINS0_13AUnaryFunctorIssbNS0_12_GLOBAL__N_116CompareEqFunctorIsEEEEEEvRNS_18TensorIteratorBaseERKT_EUlibE0_EEviT1_.has_indirect_call, 0
	.section	.AMDGPU.csdata,"",@progbits
; Kernel info:
; codeLenInByte = 34528
; TotalNumSgprs: 85
; NumVgprs: 18
; ScratchSize: 0
; MemoryBound: 1
; FloatMode: 240
; IeeeMode: 1
; LDSByteSize: 0 bytes/workgroup (compile time only)
; SGPRBlocks: 10
; VGPRBlocks: 4
; NumSGPRsForWavesPerEU: 85
; NumVGPRsForWavesPerEU: 18
; Occupancy: 9
; WaveLimiterHint : 1
; COMPUTE_PGM_RSRC2:SCRATCH_EN: 0
; COMPUTE_PGM_RSRC2:USER_SGPR: 6
; COMPUTE_PGM_RSRC2:TRAP_HANDLER: 0
; COMPUTE_PGM_RSRC2:TGID_X_EN: 1
; COMPUTE_PGM_RSRC2:TGID_Y_EN: 0
; COMPUTE_PGM_RSRC2:TGID_Z_EN: 0
; COMPUTE_PGM_RSRC2:TIDIG_COMP_CNT: 0
	.section	.text._ZN2at6native29vectorized_elementwise_kernelILi16ENS0_13BinaryFunctorIddbNS0_12_GLOBAL__N_116CompareEqFunctorIdEEEESt5arrayIPcLm3EEEEviT0_T1_,"axG",@progbits,_ZN2at6native29vectorized_elementwise_kernelILi16ENS0_13BinaryFunctorIddbNS0_12_GLOBAL__N_116CompareEqFunctorIdEEEESt5arrayIPcLm3EEEEviT0_T1_,comdat
	.globl	_ZN2at6native29vectorized_elementwise_kernelILi16ENS0_13BinaryFunctorIddbNS0_12_GLOBAL__N_116CompareEqFunctorIdEEEESt5arrayIPcLm3EEEEviT0_T1_ ; -- Begin function _ZN2at6native29vectorized_elementwise_kernelILi16ENS0_13BinaryFunctorIddbNS0_12_GLOBAL__N_116CompareEqFunctorIdEEEESt5arrayIPcLm3EEEEviT0_T1_
	.p2align	8
	.type	_ZN2at6native29vectorized_elementwise_kernelILi16ENS0_13BinaryFunctorIddbNS0_12_GLOBAL__N_116CompareEqFunctorIdEEEESt5arrayIPcLm3EEEEviT0_T1_,@function
_ZN2at6native29vectorized_elementwise_kernelILi16ENS0_13BinaryFunctorIddbNS0_12_GLOBAL__N_116CompareEqFunctorIdEEEESt5arrayIPcLm3EEEEviT0_T1_: ; @_ZN2at6native29vectorized_elementwise_kernelILi16ENS0_13BinaryFunctorIddbNS0_12_GLOBAL__N_116CompareEqFunctorIdEEEESt5arrayIPcLm3EEEEviT0_T1_
; %bb.0:
	s_load_dwordx2 s[12:13], s[4:5], 0x0
	s_load_dwordx4 s[8:11], s[4:5], 0x8
	s_load_dwordx2 s[14:15], s[4:5], 0x18
	s_lshl_b32 s2, s6, 12
	s_mov_b64 s[0:1], -1
	s_waitcnt lgkmcnt(0)
	s_sub_i32 s6, s12, s2
	s_cmpk_gt_i32 s6, 0xfff
	s_cbranch_scc0 .LBB80_2
; %bb.1:
	s_ashr_i32 s3, s2, 31
	s_lshl_b64 s[4:5], s[2:3], 3
	s_add_u32 s0, s10, s4
	s_addc_u32 s1, s11, s5
	s_add_u32 s4, s14, s4
	v_lshlrev_b32_e32 v65, 7, v0
	s_addc_u32 s5, s15, s5
	global_load_dwordx4 v[1:4], v65, s[4:5] offset:16
	global_load_dwordx4 v[5:8], v65, s[0:1] offset:16
	global_load_dwordx4 v[9:12], v65, s[0:1]
	global_load_dwordx4 v[13:16], v65, s[4:5]
	global_load_dwordx4 v[17:20], v65, s[4:5] offset:48
	global_load_dwordx4 v[21:24], v65, s[0:1] offset:48
	;; [unrolled: 1-line block ×12, first 2 shown]
	s_cmp_eq_u32 s13, 0
	v_mov_b32_e32 v67, 1
	v_lshlrev_b32_e32 v66, 4, v0
	s_waitcnt vmcnt(14)
	v_cmp_eq_f64_e32 vcc, v[7:8], v[3:4]
	v_cmp_eq_f64_e64 s[0:1], v[5:6], v[1:2]
	v_cndmask_b32_e64 v65, 0, 1, vcc
	v_cmp_neq_f64_e32 vcc, v[7:8], v[3:4]
	v_cndmask_b32_e64 v4, 0, 1, s[0:1]
	v_cmp_neq_f64_e64 s[0:1], v[5:6], v[1:2]
	v_cndmask_b32_e64 v3, 0, 1, vcc
	s_cselect_b64 vcc, -1, 0
	v_cndmask_b32_e64 v1, 0, 1, s[0:1]
	s_waitcnt vmcnt(12)
	v_cmp_eq_f64_e64 s[0:1], v[11:12], v[15:16]
	v_cndmask_b32_e32 v3, v3, v65, vcc
	v_cndmask_b32_e32 v1, v1, v4, vcc
	v_and_b32_e32 v1, 1, v1
	v_and_b32_sdwa v3, v3, v67 dst_sel:BYTE_1 dst_unused:UNUSED_PAD src0_sel:DWORD src1_sel:DWORD
	v_or_b32_sdwa v1, v1, v3 dst_sel:WORD_1 dst_unused:UNUSED_PAD src0_sel:DWORD src1_sel:DWORD
	s_add_u32 s4, s8, s2
	s_addc_u32 s5, s9, s3
	v_cndmask_b32_e64 v2, 0, 1, s[0:1]
	v_cmp_neq_f64_e64 s[0:1], v[11:12], v[15:16]
	v_cndmask_b32_e64 v5, 0, 1, s[0:1]
	v_cmp_eq_f64_e64 s[0:1], v[9:10], v[13:14]
	v_cndmask_b32_e32 v2, v5, v2, vcc
	v_and_b32_sdwa v2, v2, v67 dst_sel:BYTE_1 dst_unused:UNUSED_PAD src0_sel:DWORD src1_sel:DWORD
	v_cndmask_b32_e64 v6, 0, 1, s[0:1]
	v_cmp_neq_f64_e64 s[0:1], v[9:10], v[13:14]
	v_cndmask_b32_e64 v7, 0, 1, s[0:1]
	s_waitcnt vmcnt(10)
	v_cmp_eq_f64_e64 s[0:1], v[23:24], v[19:20]
	v_cndmask_b32_e32 v4, v7, v6, vcc
	v_and_b32_e32 v4, 1, v4
	v_or_b32_e32 v2, v4, v2
	v_or_b32_sdwa v1, v2, v1 dst_sel:DWORD dst_unused:UNUSED_PAD src0_sel:WORD_0 src1_sel:DWORD
	v_cndmask_b32_e64 v8, 0, 1, s[0:1]
	v_cmp_neq_f64_e64 s[0:1], v[23:24], v[19:20]
	v_cndmask_b32_e64 v9, 0, 1, s[0:1]
	v_cmp_eq_f64_e64 s[0:1], v[21:22], v[17:18]
	v_cndmask_b32_e32 v5, v9, v8, vcc
	v_and_b32_sdwa v5, v5, v67 dst_sel:BYTE_1 dst_unused:UNUSED_PAD src0_sel:DWORD src1_sel:DWORD
	v_cndmask_b32_e64 v10, 0, 1, s[0:1]
	v_cmp_neq_f64_e64 s[0:1], v[21:22], v[17:18]
	v_cndmask_b32_e64 v11, 0, 1, s[0:1]
	s_waitcnt vmcnt(8)
	v_cmp_eq_f64_e64 s[0:1], v[27:28], v[31:32]
	v_cndmask_b32_e32 v6, v11, v10, vcc
	v_and_b32_e32 v6, 1, v6
	v_or_b32_sdwa v4, v6, v5 dst_sel:WORD_1 dst_unused:UNUSED_PAD src0_sel:DWORD src1_sel:DWORD
	v_cndmask_b32_e64 v12, 0, 1, s[0:1]
	v_cmp_neq_f64_e64 s[0:1], v[27:28], v[31:32]
	v_cndmask_b32_e64 v13, 0, 1, s[0:1]
	v_cmp_eq_f64_e64 s[0:1], v[25:26], v[29:30]
	v_cndmask_b32_e32 v7, v13, v12, vcc
	v_and_b32_sdwa v7, v7, v67 dst_sel:BYTE_1 dst_unused:UNUSED_PAD src0_sel:DWORD src1_sel:DWORD
	v_cndmask_b32_e64 v14, 0, 1, s[0:1]
	v_cmp_neq_f64_e64 s[0:1], v[25:26], v[29:30]
	v_cndmask_b32_e64 v15, 0, 1, s[0:1]
	s_waitcnt vmcnt(6)
	v_cmp_eq_f64_e64 s[0:1], v[39:40], v[35:36]
	v_cndmask_b32_e32 v8, v15, v14, vcc
	v_and_b32_e32 v8, 1, v8
	v_or_b32_e32 v3, v8, v7
	v_or_b32_sdwa v2, v3, v4 dst_sel:DWORD dst_unused:UNUSED_PAD src0_sel:WORD_0 src1_sel:DWORD
	v_cndmask_b32_e64 v16, 0, 1, s[0:1]
	v_cmp_neq_f64_e64 s[0:1], v[39:40], v[35:36]
	v_cndmask_b32_e64 v17, 0, 1, s[0:1]
	v_cmp_eq_f64_e64 s[0:1], v[37:38], v[33:34]
	v_cndmask_b32_e32 v9, v17, v16, vcc
	v_cndmask_b32_e64 v18, 0, 1, s[0:1]
	v_cmp_neq_f64_e64 s[0:1], v[37:38], v[33:34]
	v_cndmask_b32_e64 v3, 0, 1, s[0:1]
	s_waitcnt vmcnt(4)
	v_cmp_eq_f64_e64 s[0:1], v[43:44], v[47:48]
	v_cndmask_b32_e32 v3, v3, v18, vcc
	v_and_b32_e32 v3, 1, v3
	v_cndmask_b32_e64 v4, 0, 1, s[0:1]
	v_cmp_neq_f64_e64 s[0:1], v[43:44], v[47:48]
	v_cndmask_b32_e64 v5, 0, 1, s[0:1]
	v_cmp_eq_f64_e64 s[0:1], v[41:42], v[45:46]
	v_cndmask_b32_e32 v4, v5, v4, vcc
	v_and_b32_sdwa v4, v4, v67 dst_sel:BYTE_1 dst_unused:UNUSED_PAD src0_sel:DWORD src1_sel:DWORD
	v_cndmask_b32_e64 v5, 0, 1, s[0:1]
	v_cmp_neq_f64_e64 s[0:1], v[41:42], v[45:46]
	v_cndmask_b32_e64 v6, 0, 1, s[0:1]
	s_waitcnt vmcnt(1)
	v_cmp_eq_f64_e64 s[0:1], v[51:52], v[59:60]
	v_cndmask_b32_e32 v5, v6, v5, vcc
	v_and_b32_e32 v5, 1, v5
	v_or_b32_e32 v4, v5, v4
	v_and_b32_sdwa v5, v9, v67 dst_sel:BYTE_1 dst_unused:UNUSED_PAD src0_sel:DWORD src1_sel:DWORD
	v_or_b32_sdwa v3, v3, v5 dst_sel:WORD_1 dst_unused:UNUSED_PAD src0_sel:DWORD src1_sel:DWORD
	v_or_b32_sdwa v3, v4, v3 dst_sel:DWORD dst_unused:UNUSED_PAD src0_sel:WORD_0 src1_sel:DWORD
	v_cndmask_b32_e64 v4, 0, 1, s[0:1]
	v_cmp_neq_f64_e64 s[0:1], v[51:52], v[59:60]
	v_cndmask_b32_e64 v5, 0, 1, s[0:1]
	v_cmp_eq_f64_e64 s[0:1], v[49:50], v[57:58]
	v_cndmask_b32_e32 v4, v5, v4, vcc
	v_and_b32_sdwa v4, v4, v67 dst_sel:BYTE_1 dst_unused:UNUSED_PAD src0_sel:DWORD src1_sel:DWORD
	v_cndmask_b32_e64 v5, 0, 1, s[0:1]
	v_cmp_neq_f64_e64 s[0:1], v[49:50], v[57:58]
	v_cndmask_b32_e64 v6, 0, 1, s[0:1]
	s_waitcnt vmcnt(0)
	v_cmp_eq_f64_e64 s[0:1], v[55:56], v[63:64]
	v_cndmask_b32_e32 v5, v6, v5, vcc
	v_and_b32_e32 v5, 1, v5
	v_or_b32_sdwa v4, v5, v4 dst_sel:WORD_1 dst_unused:UNUSED_PAD src0_sel:DWORD src1_sel:DWORD
	v_cndmask_b32_e64 v6, 0, 1, s[0:1]
	v_cmp_neq_f64_e64 s[0:1], v[55:56], v[63:64]
	v_cndmask_b32_e64 v7, 0, 1, s[0:1]
	v_cmp_eq_f64_e64 s[0:1], v[53:54], v[61:62]
	v_cndmask_b32_e32 v6, v7, v6, vcc
	v_and_b32_sdwa v6, v6, v67 dst_sel:BYTE_1 dst_unused:UNUSED_PAD src0_sel:DWORD src1_sel:DWORD
	v_cndmask_b32_e64 v7, 0, 1, s[0:1]
	v_cmp_neq_f64_e64 s[0:1], v[53:54], v[61:62]
	v_cndmask_b32_e64 v8, 0, 1, s[0:1]
	v_cndmask_b32_e32 v7, v8, v7, vcc
	v_and_b32_e32 v7, 1, v7
	v_or_b32_e32 v6, v7, v6
	v_or_b32_sdwa v4, v6, v4 dst_sel:DWORD dst_unused:UNUSED_PAD src0_sel:WORD_0 src1_sel:DWORD
	global_store_dwordx4 v66, v[1:4], s[4:5]
	s_mov_b64 s[0:1], 0
.LBB80_2:
	s_andn2_b64 vcc, exec, s[0:1]
	s_cbranch_vccnz .LBB80_52
; %bb.3:
	v_mov_b32_e32 v3, 0
	v_mov_b32_e32 v5, 0
	;; [unrolled: 1-line block ×3, first 2 shown]
	v_cmp_gt_i32_e32 vcc, s6, v0
	v_mov_b32_e32 v4, 0
	v_or_b32_e32 v1, s2, v0
	v_mov_b32_e32 v6, 0
	v_mov_b32_e32 v8, 0
	;; [unrolled: 1-line block ×3, first 2 shown]
	s_and_saveexec_b64 s[4:5], vcc
	s_cbranch_execz .LBB80_5
; %bb.4:
	v_mov_b32_e32 v2, 0
	v_lshlrev_b64 v[5:6], 3, v[1:2]
	v_mov_b32_e32 v2, s15
	v_add_co_u32_e64 v9, s[0:1], s14, v5
	v_addc_co_u32_e64 v10, s[0:1], v2, v6, s[0:1]
	v_mov_b32_e32 v2, s11
	v_add_co_u32_e64 v11, s[0:1], s10, v5
	v_addc_co_u32_e64 v12, s[0:1], v2, v6, s[0:1]
	global_load_dwordx2 v[5:6], v[11:12], off
	global_load_dwordx2 v[7:8], v[9:10], off
	v_or_b32_e32 v2, 0x100, v0
.LBB80_5:
	s_or_b64 exec, exec, s[4:5]
	v_mov_b32_e32 v11, 0
	v_mov_b32_e32 v12, 0
	v_cmp_gt_i32_e64 s[0:1], s6, v2
	s_and_saveexec_b64 s[4:5], s[0:1]
	s_cbranch_execz .LBB80_7
; %bb.6:
	v_add_u32_e32 v3, s2, v2
	v_mov_b32_e32 v4, 0
	v_lshlrev_b64 v[3:4], 3, v[3:4]
	v_mov_b32_e32 v10, s15
	v_add_co_u32_e64 v9, s[0:1], s14, v3
	v_addc_co_u32_e64 v10, s[0:1], v10, v4, s[0:1]
	v_mov_b32_e32 v11, s11
	v_add_co_u32_e64 v13, s[0:1], s10, v3
	v_addc_co_u32_e64 v14, s[0:1], v11, v4, s[0:1]
	global_load_dwordx2 v[3:4], v[13:14], off
	global_load_dwordx2 v[11:12], v[9:10], off
	v_add_u32_e32 v2, 0x100, v2
.LBB80_7:
	s_or_b64 exec, exec, s[4:5]
	v_mov_b32_e32 v9, 0
	v_mov_b32_e32 v13, 0
	v_mov_b32_e32 v15, 0
	v_mov_b32_e32 v10, 0
	v_mov_b32_e32 v14, 0
	v_mov_b32_e32 v16, 0
	v_cmp_gt_i32_e64 s[0:1], s6, v2
	s_and_saveexec_b64 s[4:5], s[0:1]
	s_cbranch_execz .LBB80_9
; %bb.8:
	v_add_u32_e32 v13, s2, v2
	v_mov_b32_e32 v14, 0
	v_lshlrev_b64 v[13:14], 3, v[13:14]
	v_mov_b32_e32 v15, s15
	v_add_co_u32_e64 v17, s[0:1], s14, v13
	v_addc_co_u32_e64 v18, s[0:1], v15, v14, s[0:1]
	v_mov_b32_e32 v15, s11
	v_add_co_u32_e64 v19, s[0:1], s10, v13
	v_addc_co_u32_e64 v20, s[0:1], v15, v14, s[0:1]
	global_load_dwordx2 v[13:14], v[19:20], off
	global_load_dwordx2 v[15:16], v[17:18], off
	v_add_u32_e32 v2, 0x100, v2
.LBB80_9:
	s_or_b64 exec, exec, s[4:5]
	v_mov_b32_e32 v19, 0
	v_mov_b32_e32 v20, 0
	v_cmp_gt_i32_e64 s[0:1], s6, v2
	s_and_saveexec_b64 s[4:5], s[0:1]
	s_cbranch_execz .LBB80_11
; %bb.10:
	v_add_u32_e32 v9, s2, v2
	v_mov_b32_e32 v10, 0
	v_lshlrev_b64 v[9:10], 3, v[9:10]
	v_mov_b32_e32 v18, s15
	v_add_co_u32_e64 v17, s[0:1], s14, v9
	v_addc_co_u32_e64 v18, s[0:1], v18, v10, s[0:1]
	v_mov_b32_e32 v19, s11
	v_add_co_u32_e64 v21, s[0:1], s10, v9
	v_addc_co_u32_e64 v22, s[0:1], v19, v10, s[0:1]
	global_load_dwordx2 v[9:10], v[21:22], off
	global_load_dwordx2 v[19:20], v[17:18], off
	v_add_u32_e32 v2, 0x100, v2
.LBB80_11:
	s_or_b64 exec, exec, s[4:5]
	v_mov_b32_e32 v17, 0
	v_mov_b32_e32 v21, 0
	v_mov_b32_e32 v23, 0
	v_mov_b32_e32 v18, 0
	v_mov_b32_e32 v22, 0
	v_mov_b32_e32 v24, 0
	v_cmp_gt_i32_e64 s[0:1], s6, v2
	s_and_saveexec_b64 s[4:5], s[0:1]
	s_cbranch_execz .LBB80_13
; %bb.12:
	v_add_u32_e32 v21, s2, v2
	v_mov_b32_e32 v22, 0
	v_lshlrev_b64 v[21:22], 3, v[21:22]
	v_mov_b32_e32 v23, s15
	v_add_co_u32_e64 v25, s[0:1], s14, v21
	v_addc_co_u32_e64 v26, s[0:1], v23, v22, s[0:1]
	v_mov_b32_e32 v23, s11
	v_add_co_u32_e64 v27, s[0:1], s10, v21
	v_addc_co_u32_e64 v28, s[0:1], v23, v22, s[0:1]
	global_load_dwordx2 v[21:22], v[27:28], off
	global_load_dwordx2 v[23:24], v[25:26], off
	v_add_u32_e32 v2, 0x100, v2
.LBB80_13:
	;; [unrolled: 44-line block ×7, first 2 shown]
	s_or_b64 exec, exec, s[4:5]
	v_mov_b32_e32 v65, 0
	v_mov_b32_e32 v66, 0
	v_cmp_gt_i32_e64 s[0:1], s6, v2
	s_and_saveexec_b64 s[4:5], s[0:1]
	s_cbranch_execz .LBB80_35
; %bb.34:
	v_add_u32_e32 v57, s2, v2
	v_mov_b32_e32 v58, 0
	v_lshlrev_b64 v[57:58], 3, v[57:58]
	v_mov_b32_e32 v2, s15
	v_add_co_u32_e64 v67, s[0:1], s14, v57
	v_addc_co_u32_e64 v68, s[0:1], v2, v58, s[0:1]
	v_mov_b32_e32 v2, s11
	v_add_co_u32_e64 v69, s[0:1], s10, v57
	v_addc_co_u32_e64 v70, s[0:1], v2, v58, s[0:1]
	global_load_dwordx2 v[57:58], v[69:70], off
	global_load_dwordx2 v[65:66], v[67:68], off
.LBB80_35:
	s_or_b64 exec, exec, s[4:5]
	s_cmp_eq_u32 s13, 0
	s_cselect_b64 s[0:1], -1, 0
	s_and_saveexec_b64 s[4:5], vcc
	s_cbranch_execnz .LBB80_53
; %bb.36:
	s_or_b64 exec, exec, s[4:5]
	v_cmp_gt_i32_e32 vcc, s6, v0
	s_and_saveexec_b64 s[4:5], vcc
	s_cbranch_execnz .LBB80_54
.LBB80_37:
	s_or_b64 exec, exec, s[4:5]
	v_cmp_gt_i32_e32 vcc, s6, v0
	s_and_saveexec_b64 s[4:5], vcc
	s_cbranch_execnz .LBB80_55
.LBB80_38:
	s_or_b64 exec, exec, s[4:5]
	v_cmp_gt_i32_e32 vcc, s6, v0
	s_and_saveexec_b64 s[4:5], vcc
	s_cbranch_execnz .LBB80_56
.LBB80_39:
	s_or_b64 exec, exec, s[4:5]
	v_cmp_gt_i32_e32 vcc, s6, v0
	s_and_saveexec_b64 s[4:5], vcc
	s_cbranch_execnz .LBB80_57
.LBB80_40:
	s_or_b64 exec, exec, s[4:5]
	v_cmp_gt_i32_e32 vcc, s6, v0
	s_and_saveexec_b64 s[4:5], vcc
	s_cbranch_execnz .LBB80_58
.LBB80_41:
	s_or_b64 exec, exec, s[4:5]
	v_cmp_gt_i32_e32 vcc, s6, v0
	s_and_saveexec_b64 s[4:5], vcc
	s_cbranch_execnz .LBB80_59
.LBB80_42:
	s_or_b64 exec, exec, s[4:5]
	v_cmp_gt_i32_e32 vcc, s6, v0
	s_and_saveexec_b64 s[4:5], vcc
	s_cbranch_execnz .LBB80_60
.LBB80_43:
	s_or_b64 exec, exec, s[4:5]
	v_cmp_gt_i32_e32 vcc, s6, v0
	s_and_saveexec_b64 s[4:5], vcc
	s_cbranch_execnz .LBB80_61
.LBB80_44:
	s_or_b64 exec, exec, s[4:5]
	v_cmp_gt_i32_e32 vcc, s6, v0
	s_and_saveexec_b64 s[4:5], vcc
	s_cbranch_execnz .LBB80_62
.LBB80_45:
	s_or_b64 exec, exec, s[4:5]
	v_cmp_gt_i32_e32 vcc, s6, v0
	s_and_saveexec_b64 s[4:5], vcc
	s_cbranch_execnz .LBB80_63
.LBB80_46:
	s_or_b64 exec, exec, s[4:5]
	v_cmp_gt_i32_e32 vcc, s6, v0
	s_and_saveexec_b64 s[4:5], vcc
	s_cbranch_execnz .LBB80_64
.LBB80_47:
	s_or_b64 exec, exec, s[4:5]
	v_cmp_gt_i32_e32 vcc, s6, v0
	s_and_saveexec_b64 s[4:5], vcc
	s_cbranch_execnz .LBB80_65
.LBB80_48:
	s_or_b64 exec, exec, s[4:5]
	v_cmp_gt_i32_e32 vcc, s6, v0
	s_and_saveexec_b64 s[4:5], vcc
	s_cbranch_execnz .LBB80_66
.LBB80_49:
	s_or_b64 exec, exec, s[4:5]
	v_cmp_gt_i32_e32 vcc, s6, v0
	s_and_saveexec_b64 s[4:5], vcc
	s_cbranch_execnz .LBB80_67
.LBB80_50:
	s_or_b64 exec, exec, s[4:5]
	v_cmp_gt_i32_e32 vcc, s6, v0
	s_and_saveexec_b64 s[4:5], vcc
	s_cbranch_execz .LBB80_52
.LBB80_51:
	s_waitcnt vmcnt(0)
	v_cmp_eq_f64_e32 vcc, v[57:58], v[65:66]
	v_add_u32_e32 v0, s2, v0
	v_cndmask_b32_e64 v1, 0, 1, vcc
	v_cmp_neq_f64_e32 vcc, v[57:58], v[65:66]
	v_cndmask_b32_e64 v2, 0, 1, vcc
	v_cndmask_b32_e64 v1, v2, v1, s[0:1]
	v_and_b32_e32 v1, 1, v1
	global_store_byte v0, v1, s[8:9]
.LBB80_52:
	s_endpgm
.LBB80_53:
	s_waitcnt vmcnt(0)
	v_cmp_eq_f64_e32 vcc, v[5:6], v[7:8]
	v_or_b32_e32 v0, 0x100, v0
	v_cndmask_b32_e64 v2, 0, 1, vcc
	v_cmp_neq_f64_e32 vcc, v[5:6], v[7:8]
	v_cndmask_b32_e64 v5, 0, 1, vcc
	v_cndmask_b32_e64 v2, v5, v2, s[0:1]
	v_and_b32_e32 v2, 1, v2
	global_store_byte v1, v2, s[8:9]
	s_or_b64 exec, exec, s[4:5]
	v_cmp_gt_i32_e32 vcc, s6, v0
	s_and_saveexec_b64 s[4:5], vcc
	s_cbranch_execz .LBB80_37
.LBB80_54:
	s_waitcnt vmcnt(0)
	v_cmp_eq_f64_e32 vcc, v[3:4], v[11:12]
	v_cndmask_b32_e64 v1, 0, 1, vcc
	v_cmp_neq_f64_e32 vcc, v[3:4], v[11:12]
	v_cndmask_b32_e64 v2, 0, 1, vcc
	v_cndmask_b32_e64 v1, v2, v1, s[0:1]
	v_and_b32_e32 v1, 1, v1
	v_add_u32_e32 v2, s2, v0
	v_add_u32_e32 v0, 0x100, v0
	global_store_byte v2, v1, s[8:9]
	s_or_b64 exec, exec, s[4:5]
	v_cmp_gt_i32_e32 vcc, s6, v0
	s_and_saveexec_b64 s[4:5], vcc
	s_cbranch_execz .LBB80_38
.LBB80_55:
	s_waitcnt vmcnt(0)
	v_cmp_eq_f64_e32 vcc, v[13:14], v[15:16]
	v_cndmask_b32_e64 v1, 0, 1, vcc
	v_cmp_neq_f64_e32 vcc, v[13:14], v[15:16]
	v_cndmask_b32_e64 v2, 0, 1, vcc
	v_cndmask_b32_e64 v1, v2, v1, s[0:1]
	v_and_b32_e32 v1, 1, v1
	v_add_u32_e32 v2, s2, v0
	v_add_u32_e32 v0, 0x100, v0
	global_store_byte v2, v1, s[8:9]
	s_or_b64 exec, exec, s[4:5]
	v_cmp_gt_i32_e32 vcc, s6, v0
	s_and_saveexec_b64 s[4:5], vcc
	s_cbranch_execz .LBB80_39
.LBB80_56:
	s_waitcnt vmcnt(0)
	v_cmp_eq_f64_e32 vcc, v[9:10], v[19:20]
	v_cndmask_b32_e64 v1, 0, 1, vcc
	v_cmp_neq_f64_e32 vcc, v[9:10], v[19:20]
	v_cndmask_b32_e64 v2, 0, 1, vcc
	v_cndmask_b32_e64 v1, v2, v1, s[0:1]
	v_and_b32_e32 v1, 1, v1
	v_add_u32_e32 v2, s2, v0
	v_add_u32_e32 v0, 0x100, v0
	global_store_byte v2, v1, s[8:9]
	s_or_b64 exec, exec, s[4:5]
	v_cmp_gt_i32_e32 vcc, s6, v0
	s_and_saveexec_b64 s[4:5], vcc
	s_cbranch_execz .LBB80_40
.LBB80_57:
	s_waitcnt vmcnt(0)
	v_cmp_eq_f64_e32 vcc, v[21:22], v[23:24]
	v_cndmask_b32_e64 v1, 0, 1, vcc
	v_cmp_neq_f64_e32 vcc, v[21:22], v[23:24]
	v_cndmask_b32_e64 v2, 0, 1, vcc
	v_cndmask_b32_e64 v1, v2, v1, s[0:1]
	v_and_b32_e32 v1, 1, v1
	v_add_u32_e32 v2, s2, v0
	v_add_u32_e32 v0, 0x100, v0
	global_store_byte v2, v1, s[8:9]
	s_or_b64 exec, exec, s[4:5]
	v_cmp_gt_i32_e32 vcc, s6, v0
	s_and_saveexec_b64 s[4:5], vcc
	s_cbranch_execz .LBB80_41
.LBB80_58:
	s_waitcnt vmcnt(0)
	v_cmp_eq_f64_e32 vcc, v[17:18], v[27:28]
	v_cndmask_b32_e64 v1, 0, 1, vcc
	v_cmp_neq_f64_e32 vcc, v[17:18], v[27:28]
	v_cndmask_b32_e64 v2, 0, 1, vcc
	v_cndmask_b32_e64 v1, v2, v1, s[0:1]
	v_and_b32_e32 v1, 1, v1
	v_add_u32_e32 v2, s2, v0
	v_add_u32_e32 v0, 0x100, v0
	global_store_byte v2, v1, s[8:9]
	s_or_b64 exec, exec, s[4:5]
	v_cmp_gt_i32_e32 vcc, s6, v0
	s_and_saveexec_b64 s[4:5], vcc
	s_cbranch_execz .LBB80_42
.LBB80_59:
	s_waitcnt vmcnt(0)
	v_cmp_eq_f64_e32 vcc, v[29:30], v[31:32]
	v_cndmask_b32_e64 v1, 0, 1, vcc
	v_cmp_neq_f64_e32 vcc, v[29:30], v[31:32]
	v_cndmask_b32_e64 v2, 0, 1, vcc
	v_cndmask_b32_e64 v1, v2, v1, s[0:1]
	v_and_b32_e32 v1, 1, v1
	v_add_u32_e32 v2, s2, v0
	v_add_u32_e32 v0, 0x100, v0
	global_store_byte v2, v1, s[8:9]
	s_or_b64 exec, exec, s[4:5]
	v_cmp_gt_i32_e32 vcc, s6, v0
	s_and_saveexec_b64 s[4:5], vcc
	s_cbranch_execz .LBB80_43
.LBB80_60:
	s_waitcnt vmcnt(0)
	v_cmp_eq_f64_e32 vcc, v[25:26], v[35:36]
	v_cndmask_b32_e64 v1, 0, 1, vcc
	v_cmp_neq_f64_e32 vcc, v[25:26], v[35:36]
	v_cndmask_b32_e64 v2, 0, 1, vcc
	v_cndmask_b32_e64 v1, v2, v1, s[0:1]
	v_and_b32_e32 v1, 1, v1
	v_add_u32_e32 v2, s2, v0
	v_add_u32_e32 v0, 0x100, v0
	global_store_byte v2, v1, s[8:9]
	s_or_b64 exec, exec, s[4:5]
	v_cmp_gt_i32_e32 vcc, s6, v0
	s_and_saveexec_b64 s[4:5], vcc
	s_cbranch_execz .LBB80_44
.LBB80_61:
	s_waitcnt vmcnt(0)
	v_cmp_eq_f64_e32 vcc, v[37:38], v[39:40]
	v_cndmask_b32_e64 v1, 0, 1, vcc
	v_cmp_neq_f64_e32 vcc, v[37:38], v[39:40]
	v_cndmask_b32_e64 v2, 0, 1, vcc
	v_cndmask_b32_e64 v1, v2, v1, s[0:1]
	v_and_b32_e32 v1, 1, v1
	v_add_u32_e32 v2, s2, v0
	v_add_u32_e32 v0, 0x100, v0
	global_store_byte v2, v1, s[8:9]
	s_or_b64 exec, exec, s[4:5]
	v_cmp_gt_i32_e32 vcc, s6, v0
	s_and_saveexec_b64 s[4:5], vcc
	s_cbranch_execz .LBB80_45
.LBB80_62:
	s_waitcnt vmcnt(0)
	v_cmp_eq_f64_e32 vcc, v[33:34], v[43:44]
	v_cndmask_b32_e64 v1, 0, 1, vcc
	v_cmp_neq_f64_e32 vcc, v[33:34], v[43:44]
	v_cndmask_b32_e64 v2, 0, 1, vcc
	v_cndmask_b32_e64 v1, v2, v1, s[0:1]
	v_and_b32_e32 v1, 1, v1
	v_add_u32_e32 v2, s2, v0
	v_add_u32_e32 v0, 0x100, v0
	global_store_byte v2, v1, s[8:9]
	s_or_b64 exec, exec, s[4:5]
	v_cmp_gt_i32_e32 vcc, s6, v0
	s_and_saveexec_b64 s[4:5], vcc
	s_cbranch_execz .LBB80_46
.LBB80_63:
	s_waitcnt vmcnt(0)
	v_cmp_eq_f64_e32 vcc, v[45:46], v[47:48]
	v_cndmask_b32_e64 v1, 0, 1, vcc
	v_cmp_neq_f64_e32 vcc, v[45:46], v[47:48]
	v_cndmask_b32_e64 v2, 0, 1, vcc
	v_cndmask_b32_e64 v1, v2, v1, s[0:1]
	v_and_b32_e32 v1, 1, v1
	v_add_u32_e32 v2, s2, v0
	v_add_u32_e32 v0, 0x100, v0
	global_store_byte v2, v1, s[8:9]
	s_or_b64 exec, exec, s[4:5]
	v_cmp_gt_i32_e32 vcc, s6, v0
	s_and_saveexec_b64 s[4:5], vcc
	s_cbranch_execz .LBB80_47
.LBB80_64:
	s_waitcnt vmcnt(0)
	v_cmp_eq_f64_e32 vcc, v[41:42], v[51:52]
	v_cndmask_b32_e64 v1, 0, 1, vcc
	v_cmp_neq_f64_e32 vcc, v[41:42], v[51:52]
	v_cndmask_b32_e64 v2, 0, 1, vcc
	v_cndmask_b32_e64 v1, v2, v1, s[0:1]
	v_and_b32_e32 v1, 1, v1
	v_add_u32_e32 v2, s2, v0
	v_add_u32_e32 v0, 0x100, v0
	global_store_byte v2, v1, s[8:9]
	s_or_b64 exec, exec, s[4:5]
	v_cmp_gt_i32_e32 vcc, s6, v0
	s_and_saveexec_b64 s[4:5], vcc
	s_cbranch_execz .LBB80_48
.LBB80_65:
	s_waitcnt vmcnt(0)
	v_cmp_eq_f64_e32 vcc, v[53:54], v[55:56]
	v_cndmask_b32_e64 v1, 0, 1, vcc
	v_cmp_neq_f64_e32 vcc, v[53:54], v[55:56]
	v_cndmask_b32_e64 v2, 0, 1, vcc
	v_cndmask_b32_e64 v1, v2, v1, s[0:1]
	v_and_b32_e32 v1, 1, v1
	v_add_u32_e32 v2, s2, v0
	v_add_u32_e32 v0, 0x100, v0
	global_store_byte v2, v1, s[8:9]
	s_or_b64 exec, exec, s[4:5]
	v_cmp_gt_i32_e32 vcc, s6, v0
	s_and_saveexec_b64 s[4:5], vcc
	s_cbranch_execz .LBB80_49
.LBB80_66:
	s_waitcnt vmcnt(0)
	v_cmp_eq_f64_e32 vcc, v[49:50], v[59:60]
	v_cndmask_b32_e64 v1, 0, 1, vcc
	v_cmp_neq_f64_e32 vcc, v[49:50], v[59:60]
	v_cndmask_b32_e64 v2, 0, 1, vcc
	v_cndmask_b32_e64 v1, v2, v1, s[0:1]
	v_and_b32_e32 v1, 1, v1
	v_add_u32_e32 v2, s2, v0
	v_add_u32_e32 v0, 0x100, v0
	global_store_byte v2, v1, s[8:9]
	s_or_b64 exec, exec, s[4:5]
	v_cmp_gt_i32_e32 vcc, s6, v0
	s_and_saveexec_b64 s[4:5], vcc
	s_cbranch_execz .LBB80_50
.LBB80_67:
	s_waitcnt vmcnt(0)
	v_cmp_eq_f64_e32 vcc, v[61:62], v[63:64]
	v_cndmask_b32_e64 v1, 0, 1, vcc
	v_cmp_neq_f64_e32 vcc, v[61:62], v[63:64]
	v_cndmask_b32_e64 v2, 0, 1, vcc
	v_cndmask_b32_e64 v1, v2, v1, s[0:1]
	v_and_b32_e32 v1, 1, v1
	v_add_u32_e32 v2, s2, v0
	v_add_u32_e32 v0, 0x100, v0
	global_store_byte v2, v1, s[8:9]
	s_or_b64 exec, exec, s[4:5]
	v_cmp_gt_i32_e32 vcc, s6, v0
	s_and_saveexec_b64 s[4:5], vcc
	s_cbranch_execnz .LBB80_51
	s_branch .LBB80_52
	.section	.rodata,"a",@progbits
	.p2align	6, 0x0
	.amdhsa_kernel _ZN2at6native29vectorized_elementwise_kernelILi16ENS0_13BinaryFunctorIddbNS0_12_GLOBAL__N_116CompareEqFunctorIdEEEESt5arrayIPcLm3EEEEviT0_T1_
		.amdhsa_group_segment_fixed_size 0
		.amdhsa_private_segment_fixed_size 0
		.amdhsa_kernarg_size 32
		.amdhsa_user_sgpr_count 6
		.amdhsa_user_sgpr_private_segment_buffer 1
		.amdhsa_user_sgpr_dispatch_ptr 0
		.amdhsa_user_sgpr_queue_ptr 0
		.amdhsa_user_sgpr_kernarg_segment_ptr 1
		.amdhsa_user_sgpr_dispatch_id 0
		.amdhsa_user_sgpr_flat_scratch_init 0
		.amdhsa_user_sgpr_private_segment_size 0
		.amdhsa_uses_dynamic_stack 0
		.amdhsa_system_sgpr_private_segment_wavefront_offset 0
		.amdhsa_system_sgpr_workgroup_id_x 1
		.amdhsa_system_sgpr_workgroup_id_y 0
		.amdhsa_system_sgpr_workgroup_id_z 0
		.amdhsa_system_sgpr_workgroup_info 0
		.amdhsa_system_vgpr_workitem_id 0
		.amdhsa_next_free_vgpr 71
		.amdhsa_next_free_sgpr 16
		.amdhsa_reserve_vcc 1
		.amdhsa_reserve_flat_scratch 0
		.amdhsa_float_round_mode_32 0
		.amdhsa_float_round_mode_16_64 0
		.amdhsa_float_denorm_mode_32 3
		.amdhsa_float_denorm_mode_16_64 3
		.amdhsa_dx10_clamp 1
		.amdhsa_ieee_mode 1
		.amdhsa_fp16_overflow 0
		.amdhsa_exception_fp_ieee_invalid_op 0
		.amdhsa_exception_fp_denorm_src 0
		.amdhsa_exception_fp_ieee_div_zero 0
		.amdhsa_exception_fp_ieee_overflow 0
		.amdhsa_exception_fp_ieee_underflow 0
		.amdhsa_exception_fp_ieee_inexact 0
		.amdhsa_exception_int_div_zero 0
	.end_amdhsa_kernel
	.section	.text._ZN2at6native29vectorized_elementwise_kernelILi16ENS0_13BinaryFunctorIddbNS0_12_GLOBAL__N_116CompareEqFunctorIdEEEESt5arrayIPcLm3EEEEviT0_T1_,"axG",@progbits,_ZN2at6native29vectorized_elementwise_kernelILi16ENS0_13BinaryFunctorIddbNS0_12_GLOBAL__N_116CompareEqFunctorIdEEEESt5arrayIPcLm3EEEEviT0_T1_,comdat
.Lfunc_end80:
	.size	_ZN2at6native29vectorized_elementwise_kernelILi16ENS0_13BinaryFunctorIddbNS0_12_GLOBAL__N_116CompareEqFunctorIdEEEESt5arrayIPcLm3EEEEviT0_T1_, .Lfunc_end80-_ZN2at6native29vectorized_elementwise_kernelILi16ENS0_13BinaryFunctorIddbNS0_12_GLOBAL__N_116CompareEqFunctorIdEEEESt5arrayIPcLm3EEEEviT0_T1_
                                        ; -- End function
	.set _ZN2at6native29vectorized_elementwise_kernelILi16ENS0_13BinaryFunctorIddbNS0_12_GLOBAL__N_116CompareEqFunctorIdEEEESt5arrayIPcLm3EEEEviT0_T1_.num_vgpr, 71
	.set _ZN2at6native29vectorized_elementwise_kernelILi16ENS0_13BinaryFunctorIddbNS0_12_GLOBAL__N_116CompareEqFunctorIdEEEESt5arrayIPcLm3EEEEviT0_T1_.num_agpr, 0
	.set _ZN2at6native29vectorized_elementwise_kernelILi16ENS0_13BinaryFunctorIddbNS0_12_GLOBAL__N_116CompareEqFunctorIdEEEESt5arrayIPcLm3EEEEviT0_T1_.numbered_sgpr, 16
	.set _ZN2at6native29vectorized_elementwise_kernelILi16ENS0_13BinaryFunctorIddbNS0_12_GLOBAL__N_116CompareEqFunctorIdEEEESt5arrayIPcLm3EEEEviT0_T1_.num_named_barrier, 0
	.set _ZN2at6native29vectorized_elementwise_kernelILi16ENS0_13BinaryFunctorIddbNS0_12_GLOBAL__N_116CompareEqFunctorIdEEEESt5arrayIPcLm3EEEEviT0_T1_.private_seg_size, 0
	.set _ZN2at6native29vectorized_elementwise_kernelILi16ENS0_13BinaryFunctorIddbNS0_12_GLOBAL__N_116CompareEqFunctorIdEEEESt5arrayIPcLm3EEEEviT0_T1_.uses_vcc, 1
	.set _ZN2at6native29vectorized_elementwise_kernelILi16ENS0_13BinaryFunctorIddbNS0_12_GLOBAL__N_116CompareEqFunctorIdEEEESt5arrayIPcLm3EEEEviT0_T1_.uses_flat_scratch, 0
	.set _ZN2at6native29vectorized_elementwise_kernelILi16ENS0_13BinaryFunctorIddbNS0_12_GLOBAL__N_116CompareEqFunctorIdEEEESt5arrayIPcLm3EEEEviT0_T1_.has_dyn_sized_stack, 0
	.set _ZN2at6native29vectorized_elementwise_kernelILi16ENS0_13BinaryFunctorIddbNS0_12_GLOBAL__N_116CompareEqFunctorIdEEEESt5arrayIPcLm3EEEEviT0_T1_.has_recursion, 0
	.set _ZN2at6native29vectorized_elementwise_kernelILi16ENS0_13BinaryFunctorIddbNS0_12_GLOBAL__N_116CompareEqFunctorIdEEEESt5arrayIPcLm3EEEEviT0_T1_.has_indirect_call, 0
	.section	.AMDGPU.csdata,"",@progbits
; Kernel info:
; codeLenInByte = 4324
; TotalNumSgprs: 20
; NumVgprs: 71
; ScratchSize: 0
; MemoryBound: 1
; FloatMode: 240
; IeeeMode: 1
; LDSByteSize: 0 bytes/workgroup (compile time only)
; SGPRBlocks: 2
; VGPRBlocks: 17
; NumSGPRsForWavesPerEU: 20
; NumVGPRsForWavesPerEU: 71
; Occupancy: 3
; WaveLimiterHint : 0
; COMPUTE_PGM_RSRC2:SCRATCH_EN: 0
; COMPUTE_PGM_RSRC2:USER_SGPR: 6
; COMPUTE_PGM_RSRC2:TRAP_HANDLER: 0
; COMPUTE_PGM_RSRC2:TGID_X_EN: 1
; COMPUTE_PGM_RSRC2:TGID_Y_EN: 0
; COMPUTE_PGM_RSRC2:TGID_Z_EN: 0
; COMPUTE_PGM_RSRC2:TIDIG_COMP_CNT: 0
	.section	.text._ZN2at6native29vectorized_elementwise_kernelILi8ENS0_13BinaryFunctorIddbNS0_12_GLOBAL__N_116CompareEqFunctorIdEEEESt5arrayIPcLm3EEEEviT0_T1_,"axG",@progbits,_ZN2at6native29vectorized_elementwise_kernelILi8ENS0_13BinaryFunctorIddbNS0_12_GLOBAL__N_116CompareEqFunctorIdEEEESt5arrayIPcLm3EEEEviT0_T1_,comdat
	.globl	_ZN2at6native29vectorized_elementwise_kernelILi8ENS0_13BinaryFunctorIddbNS0_12_GLOBAL__N_116CompareEqFunctorIdEEEESt5arrayIPcLm3EEEEviT0_T1_ ; -- Begin function _ZN2at6native29vectorized_elementwise_kernelILi8ENS0_13BinaryFunctorIddbNS0_12_GLOBAL__N_116CompareEqFunctorIdEEEESt5arrayIPcLm3EEEEviT0_T1_
	.p2align	8
	.type	_ZN2at6native29vectorized_elementwise_kernelILi8ENS0_13BinaryFunctorIddbNS0_12_GLOBAL__N_116CompareEqFunctorIdEEEESt5arrayIPcLm3EEEEviT0_T1_,@function
_ZN2at6native29vectorized_elementwise_kernelILi8ENS0_13BinaryFunctorIddbNS0_12_GLOBAL__N_116CompareEqFunctorIdEEEESt5arrayIPcLm3EEEEviT0_T1_: ; @_ZN2at6native29vectorized_elementwise_kernelILi8ENS0_13BinaryFunctorIddbNS0_12_GLOBAL__N_116CompareEqFunctorIdEEEESt5arrayIPcLm3EEEEviT0_T1_
; %bb.0:
	s_load_dwordx2 s[12:13], s[4:5], 0x0
	s_load_dwordx4 s[8:11], s[4:5], 0x8
	s_load_dwordx2 s[14:15], s[4:5], 0x18
	s_lshl_b32 s2, s6, 12
	s_mov_b64 s[0:1], -1
	s_waitcnt lgkmcnt(0)
	s_sub_i32 s6, s12, s2
	s_cmpk_gt_i32 s6, 0xfff
	s_cbranch_scc0 .LBB81_2
; %bb.1:
	s_ashr_i32 s3, s2, 31
	s_lshl_b64 s[4:5], s[2:3], 3
	s_add_u32 s0, s10, s4
	s_addc_u32 s1, s11, s5
	s_add_u32 s4, s14, s4
	v_lshlrev_b32_e32 v37, 6, v0
	s_addc_u32 s5, s15, s5
	global_load_dwordx4 v[1:4], v37, s[4:5]
	global_load_dwordx4 v[5:8], v37, s[0:1]
	global_load_dwordx4 v[9:12], v37, s[0:1] offset:16
	global_load_dwordx4 v[13:16], v37, s[4:5] offset:16
	;; [unrolled: 1-line block ×6, first 2 shown]
	v_mov_b32_e32 v33, s1
	v_add_co_u32_e32 v34, vcc, s0, v37
	s_movk_i32 s7, 0x4000
	v_addc_co_u32_e32 v33, vcc, 0, v33, vcc
	v_add_co_u32_e32 v65, vcc, s7, v34
	v_addc_co_u32_e32 v66, vcc, 0, v33, vcc
	v_mov_b32_e32 v38, s5
	v_add_co_u32_e32 v37, vcc, s4, v37
	v_addc_co_u32_e32 v38, vcc, 0, v38, vcc
	v_add_co_u32_e32 v67, vcc, s7, v37
	v_addc_co_u32_e32 v68, vcc, 0, v38, vcc
	global_load_dwordx4 v[33:36], v[65:66], off
	global_load_dwordx4 v[37:40], v[67:68], off
	global_load_dwordx4 v[41:44], v[65:66], off offset:48
	global_load_dwordx4 v[45:48], v[65:66], off offset:32
	;; [unrolled: 1-line block ×6, first 2 shown]
	s_cmp_eq_u32 s13, 0
	v_mov_b32_e32 v69, 0x100
	v_mov_b32_e32 v70, 0x10000
	;; [unrolled: 1-line block ×3, first 2 shown]
	v_or3_b32 v72, 0, 0, 0
	s_waitcnt vmcnt(14)
	v_cmp_eq_f64_e32 vcc, v[5:6], v[1:2]
	v_cndmask_b32_e64 v65, 0, 1, vcc
	v_cmp_neq_f64_e32 vcc, v[5:6], v[1:2]
	v_cndmask_b32_e64 v1, 0, 1, vcc
	v_cmp_eq_f64_e32 vcc, v[7:8], v[3:4]
	v_cndmask_b32_e64 v2, 0, 1, vcc
	v_cmp_neq_f64_e32 vcc, v[7:8], v[3:4]
	v_cndmask_b32_e64 v3, 0, 1, vcc
	s_waitcnt vmcnt(12)
	v_cmp_eq_f64_e32 vcc, v[9:10], v[13:14]
	v_cndmask_b32_e64 v4, 0, 1, vcc
	v_cmp_neq_f64_e32 vcc, v[9:10], v[13:14]
	v_cndmask_b32_e64 v5, 0, 1, vcc
	v_cmp_eq_f64_e32 vcc, v[11:12], v[15:16]
	v_cndmask_b32_e64 v6, 0, 1, vcc
	v_cmp_neq_f64_e32 vcc, v[11:12], v[15:16]
	v_cndmask_b32_e64 v7, 0, 1, vcc
	;; [unrolled: 9-line block ×3, first 2 shown]
	s_cselect_b64 vcc, -1, 0
	v_cndmask_b32_e32 v2, v3, v2, vcc
	v_cndmask_b32_e32 v3, v5, v4, vcc
	v_and_b32_e32 v2, 1, v2
	v_cndmask_b32_e32 v1, v1, v65, vcc
	v_cndmask_b32_e32 v4, v7, v6, vcc
	v_and_b32_e32 v3, 1, v3
	v_cmp_eq_u32_e64 s[0:1], 1, v2
	v_cndmask_b32_e32 v5, v9, v8, vcc
	v_and_b32_e32 v1, 1, v1
	v_and_b32_e32 v4, 1, v4
	v_cndmask_b32_e64 v2, 0, v69, s[0:1]
	v_cmp_eq_u32_e64 s[0:1], 1, v3
	v_and_b32_e32 v5, 1, v5
	v_cndmask_b32_e64 v3, 0, v70, s[0:1]
	v_cmp_eq_u32_e64 s[0:1], 1, v4
	v_or_b32_e32 v1, v2, v1
	v_cndmask_b32_e32 v2, v11, v10, vcc
	v_cndmask_b32_e64 v4, 0, v71, s[0:1]
	v_cmp_eq_u32_e64 s[0:1], 1, v5
	v_and_b32_e32 v2, 1, v2
	v_cndmask_b32_e64 v5, 0, 1, s[0:1]
	v_cmp_eq_u32_e64 s[0:1], 1, v2
	v_cndmask_b32_e64 v2, 0, v69, s[0:1]
	s_waitcnt vmcnt(8)
	v_cmp_eq_f64_e64 s[0:1], v[25:26], v[29:30]
	v_or3_b32 v1, v1, v3, v4
	v_or3_b32 v2, v72, v5, v2
	;; [unrolled: 1-line block ×4, first 2 shown]
	v_cndmask_b32_e64 v3, 0, 1, s[0:1]
	v_cmp_neq_f64_e64 s[0:1], v[25:26], v[29:30]
	v_cndmask_b32_e64 v4, 0, 1, s[0:1]
	v_cndmask_b32_e32 v3, v4, v3, vcc
	v_and_b32_e32 v3, 1, v3
	v_cmp_eq_u32_e64 s[0:1], 1, v3
	v_cndmask_b32_e64 v3, 0, v70, s[0:1]
	v_cmp_eq_f64_e64 s[0:1], v[27:28], v[31:32]
	v_cndmask_b32_e64 v4, 0, 1, s[0:1]
	v_cmp_neq_f64_e64 s[0:1], v[27:28], v[31:32]
	v_cndmask_b32_e64 v5, 0, 1, s[0:1]
	v_cndmask_b32_e32 v4, v5, v4, vcc
	v_and_b32_e32 v4, 1, v4
	v_cmp_eq_u32_e64 s[0:1], 1, v4
	v_cndmask_b32_e64 v4, 0, v71, s[0:1]
	s_waitcnt vmcnt(6)
	v_cmp_eq_f64_e64 s[0:1], v[33:34], v[37:38]
	v_or3_b32 v2, v2, v3, v4
	v_cndmask_b32_e64 v3, 0, 1, s[0:1]
	v_cmp_neq_f64_e64 s[0:1], v[33:34], v[37:38]
	v_cndmask_b32_e64 v4, 0, 1, s[0:1]
	v_cmp_eq_f64_e64 s[0:1], v[35:36], v[39:40]
	v_cndmask_b32_e32 v3, v4, v3, vcc
	v_and_b32_e32 v3, 1, v3
	v_cndmask_b32_e64 v4, 0, 1, s[0:1]
	v_cmp_neq_f64_e64 s[0:1], v[35:36], v[39:40]
	v_cndmask_b32_e64 v5, 0, 1, s[0:1]
	v_cndmask_b32_e32 v4, v5, v4, vcc
	v_and_b32_e32 v4, 1, v4
	v_cmp_eq_u32_e64 s[0:1], 1, v4
	v_cndmask_b32_e64 v4, 0, v69, s[0:1]
	s_waitcnt vmcnt(0)
	v_cmp_eq_f64_e64 s[0:1], v[49:50], v[61:62]
	v_or_b32_e32 v3, v4, v3
	v_cndmask_b32_e64 v4, 0, 1, s[0:1]
	v_cmp_neq_f64_e64 s[0:1], v[49:50], v[61:62]
	v_cndmask_b32_e64 v5, 0, 1, s[0:1]
	v_cndmask_b32_e32 v4, v5, v4, vcc
	v_and_b32_e32 v4, 1, v4
	v_cmp_eq_u32_e64 s[0:1], 1, v4
	v_cndmask_b32_e64 v4, 0, v70, s[0:1]
	v_cmp_eq_f64_e64 s[0:1], v[51:52], v[63:64]
	v_cndmask_b32_e64 v5, 0, 1, s[0:1]
	v_cmp_neq_f64_e64 s[0:1], v[51:52], v[63:64]
	v_cndmask_b32_e64 v6, 0, 1, s[0:1]
	v_cndmask_b32_e32 v5, v6, v5, vcc
	v_and_b32_e32 v5, 1, v5
	v_cmp_eq_u32_e64 s[0:1], 1, v5
	v_cndmask_b32_e64 v5, 0, v71, s[0:1]
	v_cmp_eq_f64_e64 s[0:1], v[45:46], v[57:58]
	v_or3_b32 v3, v3, v4, v5
	v_or3_b32 v3, v3, 0, 0
	;; [unrolled: 1-line block ×3, first 2 shown]
	v_cndmask_b32_e64 v4, 0, 1, s[0:1]
	v_cmp_neq_f64_e64 s[0:1], v[45:46], v[57:58]
	v_cndmask_b32_e64 v5, 0, 1, s[0:1]
	v_cndmask_b32_e32 v4, v5, v4, vcc
	v_and_b32_e32 v4, 1, v4
	v_cmp_eq_u32_e64 s[0:1], 1, v4
	v_cndmask_b32_e64 v4, 0, 1, s[0:1]
	v_cmp_eq_f64_e64 s[0:1], v[47:48], v[59:60]
	v_cndmask_b32_e64 v5, 0, 1, s[0:1]
	v_cmp_neq_f64_e64 s[0:1], v[47:48], v[59:60]
	v_cndmask_b32_e64 v6, 0, 1, s[0:1]
	v_cndmask_b32_e32 v5, v6, v5, vcc
	v_and_b32_e32 v5, 1, v5
	v_cmp_eq_u32_e64 s[0:1], 1, v5
	v_cndmask_b32_e64 v5, 0, v69, s[0:1]
	v_cmp_eq_f64_e64 s[0:1], v[41:42], v[53:54]
	v_or3_b32 v4, v72, v4, v5
	v_cndmask_b32_e64 v6, 0, 1, s[0:1]
	v_cmp_neq_f64_e64 s[0:1], v[41:42], v[53:54]
	v_cndmask_b32_e64 v7, 0, 1, s[0:1]
	v_cndmask_b32_e32 v6, v7, v6, vcc
	v_and_b32_e32 v6, 1, v6
	v_cmp_eq_u32_e64 s[0:1], 1, v6
	v_cndmask_b32_e64 v6, 0, v70, s[0:1]
	v_cmp_eq_f64_e64 s[0:1], v[43:44], v[55:56]
	v_cndmask_b32_e64 v5, 0, 1, s[0:1]
	v_cmp_neq_f64_e64 s[0:1], v[43:44], v[55:56]
	v_cndmask_b32_e64 v7, 0, 1, s[0:1]
	v_cndmask_b32_e32 v5, v7, v5, vcc
	v_and_b32_e32 v5, 1, v5
	v_cmp_eq_u32_e32 vcc, 1, v5
	v_cndmask_b32_e32 v5, 0, v71, vcc
	s_add_u32 s0, s8, s2
	v_or3_b32 v4, v4, v6, v5
	s_addc_u32 s1, s9, s3
	v_lshlrev_b32_e32 v5, 3, v0
	global_store_dwordx2 v5, v[1:2], s[0:1]
	global_store_dwordx2 v5, v[3:4], s[0:1] offset:2048
	s_mov_b64 s[0:1], 0
.LBB81_2:
	s_andn2_b64 vcc, exec, s[0:1]
	s_cbranch_vccnz .LBB81_52
; %bb.3:
	v_mov_b32_e32 v3, 0
	v_mov_b32_e32 v5, 0
	;; [unrolled: 1-line block ×3, first 2 shown]
	v_cmp_gt_i32_e32 vcc, s6, v0
	v_mov_b32_e32 v4, 0
	v_or_b32_e32 v1, s2, v0
	v_mov_b32_e32 v6, 0
	v_mov_b32_e32 v8, 0
	;; [unrolled: 1-line block ×3, first 2 shown]
	s_and_saveexec_b64 s[4:5], vcc
	s_cbranch_execz .LBB81_5
; %bb.4:
	v_mov_b32_e32 v2, 0
	v_lshlrev_b64 v[5:6], 3, v[1:2]
	v_mov_b32_e32 v2, s15
	v_add_co_u32_e64 v9, s[0:1], s14, v5
	v_addc_co_u32_e64 v10, s[0:1], v2, v6, s[0:1]
	v_mov_b32_e32 v2, s11
	v_add_co_u32_e64 v11, s[0:1], s10, v5
	v_addc_co_u32_e64 v12, s[0:1], v2, v6, s[0:1]
	global_load_dwordx2 v[5:6], v[11:12], off
	global_load_dwordx2 v[7:8], v[9:10], off
	v_or_b32_e32 v2, 0x100, v0
.LBB81_5:
	s_or_b64 exec, exec, s[4:5]
	v_mov_b32_e32 v11, 0
	v_mov_b32_e32 v12, 0
	v_cmp_gt_i32_e64 s[0:1], s6, v2
	s_and_saveexec_b64 s[4:5], s[0:1]
	s_cbranch_execz .LBB81_7
; %bb.6:
	v_add_u32_e32 v3, s2, v2
	v_mov_b32_e32 v4, 0
	v_lshlrev_b64 v[3:4], 3, v[3:4]
	v_mov_b32_e32 v10, s15
	v_add_co_u32_e64 v9, s[0:1], s14, v3
	v_addc_co_u32_e64 v10, s[0:1], v10, v4, s[0:1]
	v_mov_b32_e32 v11, s11
	v_add_co_u32_e64 v13, s[0:1], s10, v3
	v_addc_co_u32_e64 v14, s[0:1], v11, v4, s[0:1]
	global_load_dwordx2 v[3:4], v[13:14], off
	global_load_dwordx2 v[11:12], v[9:10], off
	v_add_u32_e32 v2, 0x100, v2
.LBB81_7:
	s_or_b64 exec, exec, s[4:5]
	v_mov_b32_e32 v9, 0
	v_mov_b32_e32 v13, 0
	v_mov_b32_e32 v15, 0
	v_mov_b32_e32 v10, 0
	v_mov_b32_e32 v14, 0
	v_mov_b32_e32 v16, 0
	v_cmp_gt_i32_e64 s[0:1], s6, v2
	s_and_saveexec_b64 s[4:5], s[0:1]
	s_cbranch_execz .LBB81_9
; %bb.8:
	v_add_u32_e32 v13, s2, v2
	v_mov_b32_e32 v14, 0
	v_lshlrev_b64 v[13:14], 3, v[13:14]
	v_mov_b32_e32 v15, s15
	v_add_co_u32_e64 v17, s[0:1], s14, v13
	v_addc_co_u32_e64 v18, s[0:1], v15, v14, s[0:1]
	v_mov_b32_e32 v15, s11
	v_add_co_u32_e64 v19, s[0:1], s10, v13
	v_addc_co_u32_e64 v20, s[0:1], v15, v14, s[0:1]
	global_load_dwordx2 v[13:14], v[19:20], off
	global_load_dwordx2 v[15:16], v[17:18], off
	v_add_u32_e32 v2, 0x100, v2
.LBB81_9:
	s_or_b64 exec, exec, s[4:5]
	v_mov_b32_e32 v19, 0
	v_mov_b32_e32 v20, 0
	v_cmp_gt_i32_e64 s[0:1], s6, v2
	s_and_saveexec_b64 s[4:5], s[0:1]
	s_cbranch_execz .LBB81_11
; %bb.10:
	v_add_u32_e32 v9, s2, v2
	v_mov_b32_e32 v10, 0
	v_lshlrev_b64 v[9:10], 3, v[9:10]
	v_mov_b32_e32 v18, s15
	v_add_co_u32_e64 v17, s[0:1], s14, v9
	v_addc_co_u32_e64 v18, s[0:1], v18, v10, s[0:1]
	v_mov_b32_e32 v19, s11
	v_add_co_u32_e64 v21, s[0:1], s10, v9
	v_addc_co_u32_e64 v22, s[0:1], v19, v10, s[0:1]
	global_load_dwordx2 v[9:10], v[21:22], off
	global_load_dwordx2 v[19:20], v[17:18], off
	v_add_u32_e32 v2, 0x100, v2
.LBB81_11:
	s_or_b64 exec, exec, s[4:5]
	v_mov_b32_e32 v17, 0
	v_mov_b32_e32 v21, 0
	v_mov_b32_e32 v23, 0
	v_mov_b32_e32 v18, 0
	v_mov_b32_e32 v22, 0
	v_mov_b32_e32 v24, 0
	v_cmp_gt_i32_e64 s[0:1], s6, v2
	s_and_saveexec_b64 s[4:5], s[0:1]
	s_cbranch_execz .LBB81_13
; %bb.12:
	v_add_u32_e32 v21, s2, v2
	v_mov_b32_e32 v22, 0
	v_lshlrev_b64 v[21:22], 3, v[21:22]
	v_mov_b32_e32 v23, s15
	v_add_co_u32_e64 v25, s[0:1], s14, v21
	v_addc_co_u32_e64 v26, s[0:1], v23, v22, s[0:1]
	v_mov_b32_e32 v23, s11
	v_add_co_u32_e64 v27, s[0:1], s10, v21
	v_addc_co_u32_e64 v28, s[0:1], v23, v22, s[0:1]
	global_load_dwordx2 v[21:22], v[27:28], off
	global_load_dwordx2 v[23:24], v[25:26], off
	v_add_u32_e32 v2, 0x100, v2
.LBB81_13:
	;; [unrolled: 44-line block ×7, first 2 shown]
	s_or_b64 exec, exec, s[4:5]
	v_mov_b32_e32 v65, 0
	v_mov_b32_e32 v66, 0
	v_cmp_gt_i32_e64 s[0:1], s6, v2
	s_and_saveexec_b64 s[4:5], s[0:1]
	s_cbranch_execz .LBB81_35
; %bb.34:
	v_add_u32_e32 v57, s2, v2
	v_mov_b32_e32 v58, 0
	v_lshlrev_b64 v[57:58], 3, v[57:58]
	v_mov_b32_e32 v2, s15
	v_add_co_u32_e64 v67, s[0:1], s14, v57
	v_addc_co_u32_e64 v68, s[0:1], v2, v58, s[0:1]
	v_mov_b32_e32 v2, s11
	v_add_co_u32_e64 v69, s[0:1], s10, v57
	v_addc_co_u32_e64 v70, s[0:1], v2, v58, s[0:1]
	global_load_dwordx2 v[57:58], v[69:70], off
	global_load_dwordx2 v[65:66], v[67:68], off
.LBB81_35:
	s_or_b64 exec, exec, s[4:5]
	s_cmp_eq_u32 s13, 0
	s_cselect_b64 s[0:1], -1, 0
	s_and_saveexec_b64 s[4:5], vcc
	s_cbranch_execnz .LBB81_53
; %bb.36:
	s_or_b64 exec, exec, s[4:5]
	v_cmp_gt_i32_e32 vcc, s6, v0
	s_and_saveexec_b64 s[4:5], vcc
	s_cbranch_execnz .LBB81_54
.LBB81_37:
	s_or_b64 exec, exec, s[4:5]
	v_cmp_gt_i32_e32 vcc, s6, v0
	s_and_saveexec_b64 s[4:5], vcc
	s_cbranch_execnz .LBB81_55
.LBB81_38:
	s_or_b64 exec, exec, s[4:5]
	v_cmp_gt_i32_e32 vcc, s6, v0
	s_and_saveexec_b64 s[4:5], vcc
	s_cbranch_execnz .LBB81_56
.LBB81_39:
	s_or_b64 exec, exec, s[4:5]
	v_cmp_gt_i32_e32 vcc, s6, v0
	s_and_saveexec_b64 s[4:5], vcc
	s_cbranch_execnz .LBB81_57
.LBB81_40:
	s_or_b64 exec, exec, s[4:5]
	v_cmp_gt_i32_e32 vcc, s6, v0
	s_and_saveexec_b64 s[4:5], vcc
	s_cbranch_execnz .LBB81_58
.LBB81_41:
	s_or_b64 exec, exec, s[4:5]
	v_cmp_gt_i32_e32 vcc, s6, v0
	s_and_saveexec_b64 s[4:5], vcc
	s_cbranch_execnz .LBB81_59
.LBB81_42:
	s_or_b64 exec, exec, s[4:5]
	v_cmp_gt_i32_e32 vcc, s6, v0
	s_and_saveexec_b64 s[4:5], vcc
	s_cbranch_execnz .LBB81_60
.LBB81_43:
	s_or_b64 exec, exec, s[4:5]
	v_cmp_gt_i32_e32 vcc, s6, v0
	s_and_saveexec_b64 s[4:5], vcc
	s_cbranch_execnz .LBB81_61
.LBB81_44:
	s_or_b64 exec, exec, s[4:5]
	v_cmp_gt_i32_e32 vcc, s6, v0
	s_and_saveexec_b64 s[4:5], vcc
	s_cbranch_execnz .LBB81_62
.LBB81_45:
	s_or_b64 exec, exec, s[4:5]
	v_cmp_gt_i32_e32 vcc, s6, v0
	s_and_saveexec_b64 s[4:5], vcc
	s_cbranch_execnz .LBB81_63
.LBB81_46:
	s_or_b64 exec, exec, s[4:5]
	v_cmp_gt_i32_e32 vcc, s6, v0
	s_and_saveexec_b64 s[4:5], vcc
	s_cbranch_execnz .LBB81_64
.LBB81_47:
	s_or_b64 exec, exec, s[4:5]
	v_cmp_gt_i32_e32 vcc, s6, v0
	s_and_saveexec_b64 s[4:5], vcc
	s_cbranch_execnz .LBB81_65
.LBB81_48:
	s_or_b64 exec, exec, s[4:5]
	v_cmp_gt_i32_e32 vcc, s6, v0
	s_and_saveexec_b64 s[4:5], vcc
	s_cbranch_execnz .LBB81_66
.LBB81_49:
	s_or_b64 exec, exec, s[4:5]
	v_cmp_gt_i32_e32 vcc, s6, v0
	s_and_saveexec_b64 s[4:5], vcc
	s_cbranch_execnz .LBB81_67
.LBB81_50:
	s_or_b64 exec, exec, s[4:5]
	v_cmp_gt_i32_e32 vcc, s6, v0
	s_and_saveexec_b64 s[4:5], vcc
	s_cbranch_execz .LBB81_52
.LBB81_51:
	s_waitcnt vmcnt(0)
	v_cmp_eq_f64_e32 vcc, v[57:58], v[65:66]
	v_add_u32_e32 v0, s2, v0
	v_cndmask_b32_e64 v1, 0, 1, vcc
	v_cmp_neq_f64_e32 vcc, v[57:58], v[65:66]
	v_cndmask_b32_e64 v2, 0, 1, vcc
	v_cndmask_b32_e64 v1, v2, v1, s[0:1]
	v_and_b32_e32 v1, 1, v1
	global_store_byte v0, v1, s[8:9]
.LBB81_52:
	s_endpgm
.LBB81_53:
	s_waitcnt vmcnt(0)
	v_cmp_eq_f64_e32 vcc, v[5:6], v[7:8]
	v_or_b32_e32 v0, 0x100, v0
	v_cndmask_b32_e64 v2, 0, 1, vcc
	v_cmp_neq_f64_e32 vcc, v[5:6], v[7:8]
	v_cndmask_b32_e64 v5, 0, 1, vcc
	v_cndmask_b32_e64 v2, v5, v2, s[0:1]
	v_and_b32_e32 v2, 1, v2
	global_store_byte v1, v2, s[8:9]
	s_or_b64 exec, exec, s[4:5]
	v_cmp_gt_i32_e32 vcc, s6, v0
	s_and_saveexec_b64 s[4:5], vcc
	s_cbranch_execz .LBB81_37
.LBB81_54:
	s_waitcnt vmcnt(0)
	v_cmp_eq_f64_e32 vcc, v[3:4], v[11:12]
	v_cndmask_b32_e64 v1, 0, 1, vcc
	v_cmp_neq_f64_e32 vcc, v[3:4], v[11:12]
	v_cndmask_b32_e64 v2, 0, 1, vcc
	v_cndmask_b32_e64 v1, v2, v1, s[0:1]
	v_and_b32_e32 v1, 1, v1
	v_add_u32_e32 v2, s2, v0
	v_add_u32_e32 v0, 0x100, v0
	global_store_byte v2, v1, s[8:9]
	s_or_b64 exec, exec, s[4:5]
	v_cmp_gt_i32_e32 vcc, s6, v0
	s_and_saveexec_b64 s[4:5], vcc
	s_cbranch_execz .LBB81_38
.LBB81_55:
	s_waitcnt vmcnt(0)
	v_cmp_eq_f64_e32 vcc, v[13:14], v[15:16]
	v_cndmask_b32_e64 v1, 0, 1, vcc
	v_cmp_neq_f64_e32 vcc, v[13:14], v[15:16]
	v_cndmask_b32_e64 v2, 0, 1, vcc
	v_cndmask_b32_e64 v1, v2, v1, s[0:1]
	v_and_b32_e32 v1, 1, v1
	v_add_u32_e32 v2, s2, v0
	v_add_u32_e32 v0, 0x100, v0
	global_store_byte v2, v1, s[8:9]
	s_or_b64 exec, exec, s[4:5]
	v_cmp_gt_i32_e32 vcc, s6, v0
	s_and_saveexec_b64 s[4:5], vcc
	s_cbranch_execz .LBB81_39
.LBB81_56:
	s_waitcnt vmcnt(0)
	v_cmp_eq_f64_e32 vcc, v[9:10], v[19:20]
	v_cndmask_b32_e64 v1, 0, 1, vcc
	v_cmp_neq_f64_e32 vcc, v[9:10], v[19:20]
	v_cndmask_b32_e64 v2, 0, 1, vcc
	v_cndmask_b32_e64 v1, v2, v1, s[0:1]
	v_and_b32_e32 v1, 1, v1
	v_add_u32_e32 v2, s2, v0
	v_add_u32_e32 v0, 0x100, v0
	global_store_byte v2, v1, s[8:9]
	s_or_b64 exec, exec, s[4:5]
	v_cmp_gt_i32_e32 vcc, s6, v0
	s_and_saveexec_b64 s[4:5], vcc
	s_cbranch_execz .LBB81_40
.LBB81_57:
	s_waitcnt vmcnt(0)
	v_cmp_eq_f64_e32 vcc, v[21:22], v[23:24]
	v_cndmask_b32_e64 v1, 0, 1, vcc
	v_cmp_neq_f64_e32 vcc, v[21:22], v[23:24]
	v_cndmask_b32_e64 v2, 0, 1, vcc
	v_cndmask_b32_e64 v1, v2, v1, s[0:1]
	v_and_b32_e32 v1, 1, v1
	v_add_u32_e32 v2, s2, v0
	v_add_u32_e32 v0, 0x100, v0
	global_store_byte v2, v1, s[8:9]
	s_or_b64 exec, exec, s[4:5]
	v_cmp_gt_i32_e32 vcc, s6, v0
	s_and_saveexec_b64 s[4:5], vcc
	s_cbranch_execz .LBB81_41
.LBB81_58:
	s_waitcnt vmcnt(0)
	v_cmp_eq_f64_e32 vcc, v[17:18], v[27:28]
	v_cndmask_b32_e64 v1, 0, 1, vcc
	v_cmp_neq_f64_e32 vcc, v[17:18], v[27:28]
	v_cndmask_b32_e64 v2, 0, 1, vcc
	v_cndmask_b32_e64 v1, v2, v1, s[0:1]
	v_and_b32_e32 v1, 1, v1
	v_add_u32_e32 v2, s2, v0
	v_add_u32_e32 v0, 0x100, v0
	global_store_byte v2, v1, s[8:9]
	s_or_b64 exec, exec, s[4:5]
	v_cmp_gt_i32_e32 vcc, s6, v0
	s_and_saveexec_b64 s[4:5], vcc
	s_cbranch_execz .LBB81_42
.LBB81_59:
	s_waitcnt vmcnt(0)
	v_cmp_eq_f64_e32 vcc, v[29:30], v[31:32]
	v_cndmask_b32_e64 v1, 0, 1, vcc
	v_cmp_neq_f64_e32 vcc, v[29:30], v[31:32]
	v_cndmask_b32_e64 v2, 0, 1, vcc
	v_cndmask_b32_e64 v1, v2, v1, s[0:1]
	v_and_b32_e32 v1, 1, v1
	v_add_u32_e32 v2, s2, v0
	v_add_u32_e32 v0, 0x100, v0
	global_store_byte v2, v1, s[8:9]
	s_or_b64 exec, exec, s[4:5]
	v_cmp_gt_i32_e32 vcc, s6, v0
	s_and_saveexec_b64 s[4:5], vcc
	s_cbranch_execz .LBB81_43
.LBB81_60:
	s_waitcnt vmcnt(0)
	v_cmp_eq_f64_e32 vcc, v[25:26], v[35:36]
	v_cndmask_b32_e64 v1, 0, 1, vcc
	v_cmp_neq_f64_e32 vcc, v[25:26], v[35:36]
	v_cndmask_b32_e64 v2, 0, 1, vcc
	v_cndmask_b32_e64 v1, v2, v1, s[0:1]
	v_and_b32_e32 v1, 1, v1
	v_add_u32_e32 v2, s2, v0
	v_add_u32_e32 v0, 0x100, v0
	global_store_byte v2, v1, s[8:9]
	s_or_b64 exec, exec, s[4:5]
	v_cmp_gt_i32_e32 vcc, s6, v0
	s_and_saveexec_b64 s[4:5], vcc
	s_cbranch_execz .LBB81_44
.LBB81_61:
	s_waitcnt vmcnt(0)
	v_cmp_eq_f64_e32 vcc, v[37:38], v[39:40]
	v_cndmask_b32_e64 v1, 0, 1, vcc
	v_cmp_neq_f64_e32 vcc, v[37:38], v[39:40]
	v_cndmask_b32_e64 v2, 0, 1, vcc
	v_cndmask_b32_e64 v1, v2, v1, s[0:1]
	v_and_b32_e32 v1, 1, v1
	v_add_u32_e32 v2, s2, v0
	v_add_u32_e32 v0, 0x100, v0
	global_store_byte v2, v1, s[8:9]
	s_or_b64 exec, exec, s[4:5]
	v_cmp_gt_i32_e32 vcc, s6, v0
	s_and_saveexec_b64 s[4:5], vcc
	s_cbranch_execz .LBB81_45
.LBB81_62:
	s_waitcnt vmcnt(0)
	v_cmp_eq_f64_e32 vcc, v[33:34], v[43:44]
	v_cndmask_b32_e64 v1, 0, 1, vcc
	v_cmp_neq_f64_e32 vcc, v[33:34], v[43:44]
	v_cndmask_b32_e64 v2, 0, 1, vcc
	v_cndmask_b32_e64 v1, v2, v1, s[0:1]
	v_and_b32_e32 v1, 1, v1
	v_add_u32_e32 v2, s2, v0
	v_add_u32_e32 v0, 0x100, v0
	global_store_byte v2, v1, s[8:9]
	s_or_b64 exec, exec, s[4:5]
	v_cmp_gt_i32_e32 vcc, s6, v0
	s_and_saveexec_b64 s[4:5], vcc
	s_cbranch_execz .LBB81_46
.LBB81_63:
	s_waitcnt vmcnt(0)
	v_cmp_eq_f64_e32 vcc, v[45:46], v[47:48]
	v_cndmask_b32_e64 v1, 0, 1, vcc
	v_cmp_neq_f64_e32 vcc, v[45:46], v[47:48]
	v_cndmask_b32_e64 v2, 0, 1, vcc
	v_cndmask_b32_e64 v1, v2, v1, s[0:1]
	v_and_b32_e32 v1, 1, v1
	v_add_u32_e32 v2, s2, v0
	v_add_u32_e32 v0, 0x100, v0
	global_store_byte v2, v1, s[8:9]
	s_or_b64 exec, exec, s[4:5]
	v_cmp_gt_i32_e32 vcc, s6, v0
	s_and_saveexec_b64 s[4:5], vcc
	s_cbranch_execz .LBB81_47
.LBB81_64:
	s_waitcnt vmcnt(0)
	v_cmp_eq_f64_e32 vcc, v[41:42], v[51:52]
	v_cndmask_b32_e64 v1, 0, 1, vcc
	v_cmp_neq_f64_e32 vcc, v[41:42], v[51:52]
	v_cndmask_b32_e64 v2, 0, 1, vcc
	v_cndmask_b32_e64 v1, v2, v1, s[0:1]
	v_and_b32_e32 v1, 1, v1
	v_add_u32_e32 v2, s2, v0
	v_add_u32_e32 v0, 0x100, v0
	global_store_byte v2, v1, s[8:9]
	s_or_b64 exec, exec, s[4:5]
	v_cmp_gt_i32_e32 vcc, s6, v0
	s_and_saveexec_b64 s[4:5], vcc
	s_cbranch_execz .LBB81_48
.LBB81_65:
	s_waitcnt vmcnt(0)
	v_cmp_eq_f64_e32 vcc, v[53:54], v[55:56]
	v_cndmask_b32_e64 v1, 0, 1, vcc
	v_cmp_neq_f64_e32 vcc, v[53:54], v[55:56]
	v_cndmask_b32_e64 v2, 0, 1, vcc
	v_cndmask_b32_e64 v1, v2, v1, s[0:1]
	v_and_b32_e32 v1, 1, v1
	v_add_u32_e32 v2, s2, v0
	v_add_u32_e32 v0, 0x100, v0
	global_store_byte v2, v1, s[8:9]
	s_or_b64 exec, exec, s[4:5]
	v_cmp_gt_i32_e32 vcc, s6, v0
	s_and_saveexec_b64 s[4:5], vcc
	s_cbranch_execz .LBB81_49
.LBB81_66:
	s_waitcnt vmcnt(0)
	v_cmp_eq_f64_e32 vcc, v[49:50], v[59:60]
	v_cndmask_b32_e64 v1, 0, 1, vcc
	v_cmp_neq_f64_e32 vcc, v[49:50], v[59:60]
	v_cndmask_b32_e64 v2, 0, 1, vcc
	v_cndmask_b32_e64 v1, v2, v1, s[0:1]
	v_and_b32_e32 v1, 1, v1
	v_add_u32_e32 v2, s2, v0
	v_add_u32_e32 v0, 0x100, v0
	global_store_byte v2, v1, s[8:9]
	s_or_b64 exec, exec, s[4:5]
	v_cmp_gt_i32_e32 vcc, s6, v0
	s_and_saveexec_b64 s[4:5], vcc
	s_cbranch_execz .LBB81_50
.LBB81_67:
	s_waitcnt vmcnt(0)
	v_cmp_eq_f64_e32 vcc, v[61:62], v[63:64]
	v_cndmask_b32_e64 v1, 0, 1, vcc
	v_cmp_neq_f64_e32 vcc, v[61:62], v[63:64]
	v_cndmask_b32_e64 v2, 0, 1, vcc
	v_cndmask_b32_e64 v1, v2, v1, s[0:1]
	v_and_b32_e32 v1, 1, v1
	v_add_u32_e32 v2, s2, v0
	v_add_u32_e32 v0, 0x100, v0
	global_store_byte v2, v1, s[8:9]
	s_or_b64 exec, exec, s[4:5]
	v_cmp_gt_i32_e32 vcc, s6, v0
	s_and_saveexec_b64 s[4:5], vcc
	s_cbranch_execnz .LBB81_51
	s_branch .LBB81_52
	.section	.rodata,"a",@progbits
	.p2align	6, 0x0
	.amdhsa_kernel _ZN2at6native29vectorized_elementwise_kernelILi8ENS0_13BinaryFunctorIddbNS0_12_GLOBAL__N_116CompareEqFunctorIdEEEESt5arrayIPcLm3EEEEviT0_T1_
		.amdhsa_group_segment_fixed_size 0
		.amdhsa_private_segment_fixed_size 0
		.amdhsa_kernarg_size 32
		.amdhsa_user_sgpr_count 6
		.amdhsa_user_sgpr_private_segment_buffer 1
		.amdhsa_user_sgpr_dispatch_ptr 0
		.amdhsa_user_sgpr_queue_ptr 0
		.amdhsa_user_sgpr_kernarg_segment_ptr 1
		.amdhsa_user_sgpr_dispatch_id 0
		.amdhsa_user_sgpr_flat_scratch_init 0
		.amdhsa_user_sgpr_private_segment_size 0
		.amdhsa_uses_dynamic_stack 0
		.amdhsa_system_sgpr_private_segment_wavefront_offset 0
		.amdhsa_system_sgpr_workgroup_id_x 1
		.amdhsa_system_sgpr_workgroup_id_y 0
		.amdhsa_system_sgpr_workgroup_id_z 0
		.amdhsa_system_sgpr_workgroup_info 0
		.amdhsa_system_vgpr_workitem_id 0
		.amdhsa_next_free_vgpr 73
		.amdhsa_next_free_sgpr 16
		.amdhsa_reserve_vcc 1
		.amdhsa_reserve_flat_scratch 0
		.amdhsa_float_round_mode_32 0
		.amdhsa_float_round_mode_16_64 0
		.amdhsa_float_denorm_mode_32 3
		.amdhsa_float_denorm_mode_16_64 3
		.amdhsa_dx10_clamp 1
		.amdhsa_ieee_mode 1
		.amdhsa_fp16_overflow 0
		.amdhsa_exception_fp_ieee_invalid_op 0
		.amdhsa_exception_fp_denorm_src 0
		.amdhsa_exception_fp_ieee_div_zero 0
		.amdhsa_exception_fp_ieee_overflow 0
		.amdhsa_exception_fp_ieee_underflow 0
		.amdhsa_exception_fp_ieee_inexact 0
		.amdhsa_exception_int_div_zero 0
	.end_amdhsa_kernel
	.section	.text._ZN2at6native29vectorized_elementwise_kernelILi8ENS0_13BinaryFunctorIddbNS0_12_GLOBAL__N_116CompareEqFunctorIdEEEESt5arrayIPcLm3EEEEviT0_T1_,"axG",@progbits,_ZN2at6native29vectorized_elementwise_kernelILi8ENS0_13BinaryFunctorIddbNS0_12_GLOBAL__N_116CompareEqFunctorIdEEEESt5arrayIPcLm3EEEEviT0_T1_,comdat
.Lfunc_end81:
	.size	_ZN2at6native29vectorized_elementwise_kernelILi8ENS0_13BinaryFunctorIddbNS0_12_GLOBAL__N_116CompareEqFunctorIdEEEESt5arrayIPcLm3EEEEviT0_T1_, .Lfunc_end81-_ZN2at6native29vectorized_elementwise_kernelILi8ENS0_13BinaryFunctorIddbNS0_12_GLOBAL__N_116CompareEqFunctorIdEEEESt5arrayIPcLm3EEEEviT0_T1_
                                        ; -- End function
	.set _ZN2at6native29vectorized_elementwise_kernelILi8ENS0_13BinaryFunctorIddbNS0_12_GLOBAL__N_116CompareEqFunctorIdEEEESt5arrayIPcLm3EEEEviT0_T1_.num_vgpr, 73
	.set _ZN2at6native29vectorized_elementwise_kernelILi8ENS0_13BinaryFunctorIddbNS0_12_GLOBAL__N_116CompareEqFunctorIdEEEESt5arrayIPcLm3EEEEviT0_T1_.num_agpr, 0
	.set _ZN2at6native29vectorized_elementwise_kernelILi8ENS0_13BinaryFunctorIddbNS0_12_GLOBAL__N_116CompareEqFunctorIdEEEESt5arrayIPcLm3EEEEviT0_T1_.numbered_sgpr, 16
	.set _ZN2at6native29vectorized_elementwise_kernelILi8ENS0_13BinaryFunctorIddbNS0_12_GLOBAL__N_116CompareEqFunctorIdEEEESt5arrayIPcLm3EEEEviT0_T1_.num_named_barrier, 0
	.set _ZN2at6native29vectorized_elementwise_kernelILi8ENS0_13BinaryFunctorIddbNS0_12_GLOBAL__N_116CompareEqFunctorIdEEEESt5arrayIPcLm3EEEEviT0_T1_.private_seg_size, 0
	.set _ZN2at6native29vectorized_elementwise_kernelILi8ENS0_13BinaryFunctorIddbNS0_12_GLOBAL__N_116CompareEqFunctorIdEEEESt5arrayIPcLm3EEEEviT0_T1_.uses_vcc, 1
	.set _ZN2at6native29vectorized_elementwise_kernelILi8ENS0_13BinaryFunctorIddbNS0_12_GLOBAL__N_116CompareEqFunctorIdEEEESt5arrayIPcLm3EEEEviT0_T1_.uses_flat_scratch, 0
	.set _ZN2at6native29vectorized_elementwise_kernelILi8ENS0_13BinaryFunctorIddbNS0_12_GLOBAL__N_116CompareEqFunctorIdEEEESt5arrayIPcLm3EEEEviT0_T1_.has_dyn_sized_stack, 0
	.set _ZN2at6native29vectorized_elementwise_kernelILi8ENS0_13BinaryFunctorIddbNS0_12_GLOBAL__N_116CompareEqFunctorIdEEEESt5arrayIPcLm3EEEEviT0_T1_.has_recursion, 0
	.set _ZN2at6native29vectorized_elementwise_kernelILi8ENS0_13BinaryFunctorIddbNS0_12_GLOBAL__N_116CompareEqFunctorIdEEEESt5arrayIPcLm3EEEEviT0_T1_.has_indirect_call, 0
	.section	.AMDGPU.csdata,"",@progbits
; Kernel info:
; codeLenInByte = 4548
; TotalNumSgprs: 20
; NumVgprs: 73
; ScratchSize: 0
; MemoryBound: 0
; FloatMode: 240
; IeeeMode: 1
; LDSByteSize: 0 bytes/workgroup (compile time only)
; SGPRBlocks: 2
; VGPRBlocks: 18
; NumSGPRsForWavesPerEU: 20
; NumVGPRsForWavesPerEU: 73
; Occupancy: 3
; WaveLimiterHint : 1
; COMPUTE_PGM_RSRC2:SCRATCH_EN: 0
; COMPUTE_PGM_RSRC2:USER_SGPR: 6
; COMPUTE_PGM_RSRC2:TRAP_HANDLER: 0
; COMPUTE_PGM_RSRC2:TGID_X_EN: 1
; COMPUTE_PGM_RSRC2:TGID_Y_EN: 0
; COMPUTE_PGM_RSRC2:TGID_Z_EN: 0
; COMPUTE_PGM_RSRC2:TIDIG_COMP_CNT: 0
	.section	.text._ZN2at6native29vectorized_elementwise_kernelILi4ENS0_13BinaryFunctorIddbNS0_12_GLOBAL__N_116CompareEqFunctorIdEEEESt5arrayIPcLm3EEEEviT0_T1_,"axG",@progbits,_ZN2at6native29vectorized_elementwise_kernelILi4ENS0_13BinaryFunctorIddbNS0_12_GLOBAL__N_116CompareEqFunctorIdEEEESt5arrayIPcLm3EEEEviT0_T1_,comdat
	.globl	_ZN2at6native29vectorized_elementwise_kernelILi4ENS0_13BinaryFunctorIddbNS0_12_GLOBAL__N_116CompareEqFunctorIdEEEESt5arrayIPcLm3EEEEviT0_T1_ ; -- Begin function _ZN2at6native29vectorized_elementwise_kernelILi4ENS0_13BinaryFunctorIddbNS0_12_GLOBAL__N_116CompareEqFunctorIdEEEESt5arrayIPcLm3EEEEviT0_T1_
	.p2align	8
	.type	_ZN2at6native29vectorized_elementwise_kernelILi4ENS0_13BinaryFunctorIddbNS0_12_GLOBAL__N_116CompareEqFunctorIdEEEESt5arrayIPcLm3EEEEviT0_T1_,@function
_ZN2at6native29vectorized_elementwise_kernelILi4ENS0_13BinaryFunctorIddbNS0_12_GLOBAL__N_116CompareEqFunctorIdEEEESt5arrayIPcLm3EEEEviT0_T1_: ; @_ZN2at6native29vectorized_elementwise_kernelILi4ENS0_13BinaryFunctorIddbNS0_12_GLOBAL__N_116CompareEqFunctorIdEEEESt5arrayIPcLm3EEEEviT0_T1_
; %bb.0:
	s_load_dwordx2 s[12:13], s[4:5], 0x0
	s_load_dwordx4 s[8:11], s[4:5], 0x8
	s_load_dwordx2 s[14:15], s[4:5], 0x18
	s_lshl_b32 s2, s6, 12
	s_mov_b64 s[0:1], -1
	s_waitcnt lgkmcnt(0)
	s_sub_i32 s6, s12, s2
	s_cmpk_gt_i32 s6, 0xfff
	s_cbranch_scc0 .LBB82_2
; %bb.1:
	s_ashr_i32 s3, s2, 31
	s_lshl_b64 s[0:1], s[2:3], 3
	s_add_u32 s4, s10, s0
	s_addc_u32 s5, s11, s1
	s_add_u32 s0, s14, s0
	v_lshlrev_b32_e32 v17, 5, v0
	s_addc_u32 s1, s15, s1
	global_load_dwordx4 v[1:4], v17, s[0:1]
	global_load_dwordx4 v[5:8], v17, s[4:5]
	global_load_dwordx4 v[9:12], v17, s[4:5] offset:16
	global_load_dwordx4 v[13:16], v17, s[0:1] offset:16
	v_mov_b32_e32 v18, s5
	v_add_co_u32_e32 v41, vcc, s4, v17
	s_movk_i32 s7, 0x2000
	v_addc_co_u32_e32 v42, vcc, 0, v18, vcc
	v_add_co_u32_e32 v33, vcc, s7, v41
	v_addc_co_u32_e32 v34, vcc, 0, v42, vcc
	v_mov_b32_e32 v18, s1
	v_add_co_u32_e32 v57, vcc, s0, v17
	v_addc_co_u32_e32 v58, vcc, 0, v18, vcc
	v_add_co_u32_e32 v35, vcc, s7, v57
	v_addc_co_u32_e32 v36, vcc, 0, v58, vcc
	s_movk_i32 s0, 0x4000
	v_add_co_u32_e32 v53, vcc, s0, v41
	global_load_dwordx4 v[17:20], v[35:36], off
	global_load_dwordx4 v[21:24], v[33:34], off
	global_load_dwordx4 v[25:28], v[33:34], off offset:16
	global_load_dwordx4 v[29:32], v[35:36], off offset:16
	v_addc_co_u32_e32 v54, vcc, 0, v42, vcc
	v_add_co_u32_e32 v65, vcc, s0, v57
	s_movk_i32 s1, 0x6000
	v_addc_co_u32_e32 v66, vcc, 0, v58, vcc
	v_add_co_u32_e32 v55, vcc, s1, v41
	v_addc_co_u32_e32 v56, vcc, 0, v42, vcc
	v_add_co_u32_e32 v67, vcc, s1, v57
	v_addc_co_u32_e32 v68, vcc, 0, v58, vcc
	global_load_dwordx4 v[33:36], v[53:54], off
	global_load_dwordx4 v[37:40], v[65:66], off
	global_load_dwordx4 v[41:44], v[53:54], off offset:16
	global_load_dwordx4 v[45:48], v[55:56], off
	global_load_dwordx4 v[49:52], v[55:56], off offset:16
	s_nop 0
	global_load_dwordx4 v[53:56], v[65:66], off offset:16
	global_load_dwordx4 v[57:60], v[67:68], off
	global_load_dwordx4 v[61:64], v[67:68], off offset:16
	s_cmp_eq_u32 s13, 0
	v_mov_b32_e32 v69, 0x100
	v_mov_b32_e32 v70, 0x10000
	s_waitcnt vmcnt(14)
	v_cmp_eq_f64_e32 vcc, v[5:6], v[1:2]
	v_cndmask_b32_e64 v65, 0, 1, vcc
	v_cmp_neq_f64_e32 vcc, v[5:6], v[1:2]
	v_cndmask_b32_e64 v1, 0, 1, vcc
	v_cmp_eq_f64_e32 vcc, v[7:8], v[3:4]
	v_cndmask_b32_e64 v2, 0, 1, vcc
	v_cmp_neq_f64_e32 vcc, v[7:8], v[3:4]
	v_cndmask_b32_e64 v3, 0, 1, vcc
	s_waitcnt vmcnt(12)
	v_cmp_eq_f64_e32 vcc, v[9:10], v[13:14]
	v_cndmask_b32_e64 v4, 0, 1, vcc
	v_cmp_neq_f64_e32 vcc, v[9:10], v[13:14]
	v_cndmask_b32_e64 v5, 0, 1, vcc
	v_cmp_eq_f64_e32 vcc, v[11:12], v[15:16]
	v_cndmask_b32_e64 v6, 0, 1, vcc
	v_cmp_neq_f64_e32 vcc, v[11:12], v[15:16]
	v_cndmask_b32_e64 v7, 0, 1, vcc
	s_cselect_b64 vcc, -1, 0
	v_cndmask_b32_e32 v2, v3, v2, vcc
	v_and_b32_e32 v2, 1, v2
	v_cndmask_b32_e32 v3, v5, v4, vcc
	v_cmp_eq_u32_e64 s[0:1], 1, v2
	v_cndmask_b32_e32 v1, v1, v65, vcc
	v_cndmask_b32_e32 v4, v7, v6, vcc
	v_and_b32_e32 v3, 1, v3
	v_cndmask_b32_e64 v2, 0, v69, s[0:1]
	v_cmp_eq_u32_e64 s[0:1], 1, v3
	v_and_or_b32 v1, v1, 1, v2
	v_and_b32_e32 v2, 1, v4
	v_cndmask_b32_e64 v3, 0, v70, s[0:1]
	v_mov_b32_e32 v4, 0x1000000
	v_cmp_eq_u32_e64 s[0:1], 1, v2
	v_cndmask_b32_e64 v2, 0, v4, s[0:1]
	s_waitcnt vmcnt(10)
	v_cmp_eq_f64_e64 s[0:1], v[21:22], v[17:18]
	v_or3_b32 v1, v1, v3, v2
	v_cndmask_b32_e64 v2, 0, 1, s[0:1]
	v_cmp_neq_f64_e64 s[0:1], v[21:22], v[17:18]
	v_cndmask_b32_e64 v3, 0, 1, s[0:1]
	v_cmp_eq_f64_e64 s[0:1], v[23:24], v[19:20]
	v_cndmask_b32_e32 v2, v3, v2, vcc
	v_cndmask_b32_e64 v3, 0, 1, s[0:1]
	v_cmp_neq_f64_e64 s[0:1], v[23:24], v[19:20]
	v_cndmask_b32_e64 v5, 0, 1, s[0:1]
	v_cndmask_b32_e32 v3, v5, v3, vcc
	v_and_b32_e32 v3, 1, v3
	v_cmp_eq_u32_e64 s[0:1], 1, v3
	v_cndmask_b32_e64 v3, 0, v69, s[0:1]
	s_waitcnt vmcnt(8)
	v_cmp_eq_f64_e64 s[0:1], v[25:26], v[29:30]
	v_and_or_b32 v2, v2, 1, v3
	v_cndmask_b32_e64 v3, 0, 1, s[0:1]
	v_cmp_neq_f64_e64 s[0:1], v[25:26], v[29:30]
	v_cndmask_b32_e64 v5, 0, 1, s[0:1]
	v_cndmask_b32_e32 v3, v5, v3, vcc
	v_and_b32_e32 v3, 1, v3
	v_cmp_eq_u32_e64 s[0:1], 1, v3
	v_cndmask_b32_e64 v3, 0, v70, s[0:1]
	v_cmp_eq_f64_e64 s[0:1], v[27:28], v[31:32]
	v_cndmask_b32_e64 v5, 0, 1, s[0:1]
	v_cmp_neq_f64_e64 s[0:1], v[27:28], v[31:32]
	v_cndmask_b32_e64 v6, 0, 1, s[0:1]
	v_cndmask_b32_e32 v5, v6, v5, vcc
	v_and_b32_e32 v5, 1, v5
	v_cmp_eq_u32_e64 s[0:1], 1, v5
	v_cndmask_b32_e64 v5, 0, v4, s[0:1]
	s_waitcnt vmcnt(6)
	v_cmp_eq_f64_e64 s[0:1], v[33:34], v[37:38]
	v_or3_b32 v2, v2, v3, v5
	v_cndmask_b32_e64 v3, 0, 1, s[0:1]
	v_cmp_neq_f64_e64 s[0:1], v[33:34], v[37:38]
	v_cndmask_b32_e64 v5, 0, 1, s[0:1]
	v_cmp_eq_f64_e64 s[0:1], v[35:36], v[39:40]
	v_cndmask_b32_e32 v3, v5, v3, vcc
	v_cndmask_b32_e64 v5, 0, 1, s[0:1]
	v_cmp_neq_f64_e64 s[0:1], v[35:36], v[39:40]
	v_cndmask_b32_e64 v6, 0, 1, s[0:1]
	v_cndmask_b32_e32 v5, v6, v5, vcc
	v_and_b32_e32 v5, 1, v5
	v_cmp_eq_u32_e64 s[0:1], 1, v5
	v_cndmask_b32_e64 v5, 0, v69, s[0:1]
	s_waitcnt vmcnt(2)
	v_cmp_eq_f64_e64 s[0:1], v[41:42], v[53:54]
	v_and_or_b32 v3, v3, 1, v5
	v_cndmask_b32_e64 v5, 0, 1, s[0:1]
	v_cmp_neq_f64_e64 s[0:1], v[41:42], v[53:54]
	v_cndmask_b32_e64 v6, 0, 1, s[0:1]
	v_cndmask_b32_e32 v5, v6, v5, vcc
	v_and_b32_e32 v5, 1, v5
	v_cmp_eq_u32_e64 s[0:1], 1, v5
	v_cndmask_b32_e64 v5, 0, v70, s[0:1]
	v_cmp_eq_f64_e64 s[0:1], v[43:44], v[55:56]
	v_cndmask_b32_e64 v6, 0, 1, s[0:1]
	v_cmp_neq_f64_e64 s[0:1], v[43:44], v[55:56]
	v_cndmask_b32_e64 v7, 0, 1, s[0:1]
	v_cndmask_b32_e32 v6, v7, v6, vcc
	v_and_b32_e32 v6, 1, v6
	;; [unrolled: 33-line block ×3, first 2 shown]
	v_cmp_eq_u32_e32 vcc, 1, v7
	v_cndmask_b32_e32 v4, 0, v4, vcc
	s_add_u32 s0, s8, s2
	v_or3_b32 v4, v5, v6, v4
	s_addc_u32 s1, s9, s3
	v_lshlrev_b32_e32 v5, 2, v0
	global_store_dword v5, v1, s[0:1]
	global_store_dword v5, v2, s[0:1] offset:1024
	global_store_dword v5, v3, s[0:1] offset:2048
	global_store_dword v5, v4, s[0:1] offset:3072
	s_mov_b64 s[0:1], 0
.LBB82_2:
	s_andn2_b64 vcc, exec, s[0:1]
	s_cbranch_vccnz .LBB82_52
; %bb.3:
	v_mov_b32_e32 v3, 0
	v_mov_b32_e32 v5, 0
	;; [unrolled: 1-line block ×3, first 2 shown]
	v_cmp_gt_i32_e32 vcc, s6, v0
	v_mov_b32_e32 v4, 0
	v_or_b32_e32 v1, s2, v0
	v_mov_b32_e32 v6, 0
	v_mov_b32_e32 v8, 0
	;; [unrolled: 1-line block ×3, first 2 shown]
	s_and_saveexec_b64 s[4:5], vcc
	s_cbranch_execz .LBB82_5
; %bb.4:
	v_mov_b32_e32 v2, 0
	v_lshlrev_b64 v[5:6], 3, v[1:2]
	v_mov_b32_e32 v2, s15
	v_add_co_u32_e64 v9, s[0:1], s14, v5
	v_addc_co_u32_e64 v10, s[0:1], v2, v6, s[0:1]
	v_mov_b32_e32 v2, s11
	v_add_co_u32_e64 v11, s[0:1], s10, v5
	v_addc_co_u32_e64 v12, s[0:1], v2, v6, s[0:1]
	global_load_dwordx2 v[5:6], v[11:12], off
	global_load_dwordx2 v[7:8], v[9:10], off
	v_or_b32_e32 v2, 0x100, v0
.LBB82_5:
	s_or_b64 exec, exec, s[4:5]
	v_mov_b32_e32 v11, 0
	v_mov_b32_e32 v12, 0
	v_cmp_gt_i32_e64 s[0:1], s6, v2
	s_and_saveexec_b64 s[4:5], s[0:1]
	s_cbranch_execz .LBB82_7
; %bb.6:
	v_add_u32_e32 v3, s2, v2
	v_mov_b32_e32 v4, 0
	v_lshlrev_b64 v[3:4], 3, v[3:4]
	v_mov_b32_e32 v10, s15
	v_add_co_u32_e64 v9, s[0:1], s14, v3
	v_addc_co_u32_e64 v10, s[0:1], v10, v4, s[0:1]
	v_mov_b32_e32 v11, s11
	v_add_co_u32_e64 v13, s[0:1], s10, v3
	v_addc_co_u32_e64 v14, s[0:1], v11, v4, s[0:1]
	global_load_dwordx2 v[3:4], v[13:14], off
	global_load_dwordx2 v[11:12], v[9:10], off
	v_add_u32_e32 v2, 0x100, v2
.LBB82_7:
	s_or_b64 exec, exec, s[4:5]
	v_mov_b32_e32 v9, 0
	v_mov_b32_e32 v13, 0
	v_mov_b32_e32 v15, 0
	v_mov_b32_e32 v10, 0
	v_mov_b32_e32 v14, 0
	v_mov_b32_e32 v16, 0
	v_cmp_gt_i32_e64 s[0:1], s6, v2
	s_and_saveexec_b64 s[4:5], s[0:1]
	s_cbranch_execz .LBB82_9
; %bb.8:
	v_add_u32_e32 v13, s2, v2
	v_mov_b32_e32 v14, 0
	v_lshlrev_b64 v[13:14], 3, v[13:14]
	v_mov_b32_e32 v15, s15
	v_add_co_u32_e64 v17, s[0:1], s14, v13
	v_addc_co_u32_e64 v18, s[0:1], v15, v14, s[0:1]
	v_mov_b32_e32 v15, s11
	v_add_co_u32_e64 v19, s[0:1], s10, v13
	v_addc_co_u32_e64 v20, s[0:1], v15, v14, s[0:1]
	global_load_dwordx2 v[13:14], v[19:20], off
	global_load_dwordx2 v[15:16], v[17:18], off
	v_add_u32_e32 v2, 0x100, v2
.LBB82_9:
	s_or_b64 exec, exec, s[4:5]
	v_mov_b32_e32 v19, 0
	v_mov_b32_e32 v20, 0
	v_cmp_gt_i32_e64 s[0:1], s6, v2
	s_and_saveexec_b64 s[4:5], s[0:1]
	s_cbranch_execz .LBB82_11
; %bb.10:
	v_add_u32_e32 v9, s2, v2
	v_mov_b32_e32 v10, 0
	v_lshlrev_b64 v[9:10], 3, v[9:10]
	v_mov_b32_e32 v18, s15
	v_add_co_u32_e64 v17, s[0:1], s14, v9
	v_addc_co_u32_e64 v18, s[0:1], v18, v10, s[0:1]
	v_mov_b32_e32 v19, s11
	v_add_co_u32_e64 v21, s[0:1], s10, v9
	v_addc_co_u32_e64 v22, s[0:1], v19, v10, s[0:1]
	global_load_dwordx2 v[9:10], v[21:22], off
	global_load_dwordx2 v[19:20], v[17:18], off
	v_add_u32_e32 v2, 0x100, v2
.LBB82_11:
	s_or_b64 exec, exec, s[4:5]
	v_mov_b32_e32 v17, 0
	v_mov_b32_e32 v21, 0
	v_mov_b32_e32 v23, 0
	v_mov_b32_e32 v18, 0
	v_mov_b32_e32 v22, 0
	v_mov_b32_e32 v24, 0
	v_cmp_gt_i32_e64 s[0:1], s6, v2
	s_and_saveexec_b64 s[4:5], s[0:1]
	s_cbranch_execz .LBB82_13
; %bb.12:
	v_add_u32_e32 v21, s2, v2
	v_mov_b32_e32 v22, 0
	v_lshlrev_b64 v[21:22], 3, v[21:22]
	v_mov_b32_e32 v23, s15
	v_add_co_u32_e64 v25, s[0:1], s14, v21
	v_addc_co_u32_e64 v26, s[0:1], v23, v22, s[0:1]
	v_mov_b32_e32 v23, s11
	v_add_co_u32_e64 v27, s[0:1], s10, v21
	v_addc_co_u32_e64 v28, s[0:1], v23, v22, s[0:1]
	global_load_dwordx2 v[21:22], v[27:28], off
	global_load_dwordx2 v[23:24], v[25:26], off
	v_add_u32_e32 v2, 0x100, v2
.LBB82_13:
	s_or_b64 exec, exec, s[4:5]
	v_mov_b32_e32 v27, 0
	v_mov_b32_e32 v28, 0
	v_cmp_gt_i32_e64 s[0:1], s6, v2
	s_and_saveexec_b64 s[4:5], s[0:1]
	s_cbranch_execz .LBB82_15
; %bb.14:
	v_add_u32_e32 v17, s2, v2
	v_mov_b32_e32 v18, 0
	v_lshlrev_b64 v[17:18], 3, v[17:18]
	v_mov_b32_e32 v26, s15
	v_add_co_u32_e64 v25, s[0:1], s14, v17
	v_addc_co_u32_e64 v26, s[0:1], v26, v18, s[0:1]
	v_mov_b32_e32 v27, s11
	v_add_co_u32_e64 v29, s[0:1], s10, v17
	v_addc_co_u32_e64 v30, s[0:1], v27, v18, s[0:1]
	global_load_dwordx2 v[17:18], v[29:30], off
	global_load_dwordx2 v[27:28], v[25:26], off
	v_add_u32_e32 v2, 0x100, v2
.LBB82_15:
	s_or_b64 exec, exec, s[4:5]
	v_mov_b32_e32 v25, 0
	v_mov_b32_e32 v29, 0
	v_mov_b32_e32 v31, 0
	v_mov_b32_e32 v26, 0
	v_mov_b32_e32 v30, 0
	v_mov_b32_e32 v32, 0
	v_cmp_gt_i32_e64 s[0:1], s6, v2
	s_and_saveexec_b64 s[4:5], s[0:1]
	s_cbranch_execz .LBB82_17
; %bb.16:
	v_add_u32_e32 v29, s2, v2
	v_mov_b32_e32 v30, 0
	v_lshlrev_b64 v[29:30], 3, v[29:30]
	v_mov_b32_e32 v31, s15
	v_add_co_u32_e64 v33, s[0:1], s14, v29
	v_addc_co_u32_e64 v34, s[0:1], v31, v30, s[0:1]
	v_mov_b32_e32 v31, s11
	v_add_co_u32_e64 v35, s[0:1], s10, v29
	v_addc_co_u32_e64 v36, s[0:1], v31, v30, s[0:1]
	global_load_dwordx2 v[29:30], v[35:36], off
	global_load_dwordx2 v[31:32], v[33:34], off
	v_add_u32_e32 v2, 0x100, v2
.LBB82_17:
	s_or_b64 exec, exec, s[4:5]
	v_mov_b32_e32 v35, 0
	v_mov_b32_e32 v36, 0
	v_cmp_gt_i32_e64 s[0:1], s6, v2
	s_and_saveexec_b64 s[4:5], s[0:1]
	s_cbranch_execz .LBB82_19
; %bb.18:
	v_add_u32_e32 v25, s2, v2
	v_mov_b32_e32 v26, 0
	v_lshlrev_b64 v[25:26], 3, v[25:26]
	v_mov_b32_e32 v34, s15
	v_add_co_u32_e64 v33, s[0:1], s14, v25
	v_addc_co_u32_e64 v34, s[0:1], v34, v26, s[0:1]
	v_mov_b32_e32 v35, s11
	v_add_co_u32_e64 v37, s[0:1], s10, v25
	v_addc_co_u32_e64 v38, s[0:1], v35, v26, s[0:1]
	global_load_dwordx2 v[25:26], v[37:38], off
	global_load_dwordx2 v[35:36], v[33:34], off
	v_add_u32_e32 v2, 0x100, v2
.LBB82_19:
	s_or_b64 exec, exec, s[4:5]
	v_mov_b32_e32 v33, 0
	v_mov_b32_e32 v37, 0
	v_mov_b32_e32 v39, 0
	v_mov_b32_e32 v34, 0
	v_mov_b32_e32 v38, 0
	v_mov_b32_e32 v40, 0
	v_cmp_gt_i32_e64 s[0:1], s6, v2
	s_and_saveexec_b64 s[4:5], s[0:1]
	s_cbranch_execz .LBB82_21
; %bb.20:
	v_add_u32_e32 v37, s2, v2
	v_mov_b32_e32 v38, 0
	v_lshlrev_b64 v[37:38], 3, v[37:38]
	v_mov_b32_e32 v39, s15
	v_add_co_u32_e64 v41, s[0:1], s14, v37
	v_addc_co_u32_e64 v42, s[0:1], v39, v38, s[0:1]
	v_mov_b32_e32 v39, s11
	v_add_co_u32_e64 v43, s[0:1], s10, v37
	v_addc_co_u32_e64 v44, s[0:1], v39, v38, s[0:1]
	global_load_dwordx2 v[37:38], v[43:44], off
	global_load_dwordx2 v[39:40], v[41:42], off
	v_add_u32_e32 v2, 0x100, v2
.LBB82_21:
	s_or_b64 exec, exec, s[4:5]
	v_mov_b32_e32 v43, 0
	v_mov_b32_e32 v44, 0
	v_cmp_gt_i32_e64 s[0:1], s6, v2
	s_and_saveexec_b64 s[4:5], s[0:1]
	s_cbranch_execz .LBB82_23
; %bb.22:
	v_add_u32_e32 v33, s2, v2
	v_mov_b32_e32 v34, 0
	v_lshlrev_b64 v[33:34], 3, v[33:34]
	v_mov_b32_e32 v42, s15
	v_add_co_u32_e64 v41, s[0:1], s14, v33
	v_addc_co_u32_e64 v42, s[0:1], v42, v34, s[0:1]
	v_mov_b32_e32 v43, s11
	v_add_co_u32_e64 v45, s[0:1], s10, v33
	v_addc_co_u32_e64 v46, s[0:1], v43, v34, s[0:1]
	global_load_dwordx2 v[33:34], v[45:46], off
	global_load_dwordx2 v[43:44], v[41:42], off
	v_add_u32_e32 v2, 0x100, v2
.LBB82_23:
	s_or_b64 exec, exec, s[4:5]
	v_mov_b32_e32 v41, 0
	v_mov_b32_e32 v45, 0
	v_mov_b32_e32 v47, 0
	v_mov_b32_e32 v42, 0
	v_mov_b32_e32 v46, 0
	v_mov_b32_e32 v48, 0
	v_cmp_gt_i32_e64 s[0:1], s6, v2
	s_and_saveexec_b64 s[4:5], s[0:1]
	s_cbranch_execz .LBB82_25
; %bb.24:
	v_add_u32_e32 v45, s2, v2
	v_mov_b32_e32 v46, 0
	v_lshlrev_b64 v[45:46], 3, v[45:46]
	v_mov_b32_e32 v47, s15
	v_add_co_u32_e64 v49, s[0:1], s14, v45
	v_addc_co_u32_e64 v50, s[0:1], v47, v46, s[0:1]
	v_mov_b32_e32 v47, s11
	v_add_co_u32_e64 v51, s[0:1], s10, v45
	v_addc_co_u32_e64 v52, s[0:1], v47, v46, s[0:1]
	global_load_dwordx2 v[45:46], v[51:52], off
	global_load_dwordx2 v[47:48], v[49:50], off
	v_add_u32_e32 v2, 0x100, v2
.LBB82_25:
	s_or_b64 exec, exec, s[4:5]
	v_mov_b32_e32 v51, 0
	v_mov_b32_e32 v52, 0
	v_cmp_gt_i32_e64 s[0:1], s6, v2
	s_and_saveexec_b64 s[4:5], s[0:1]
	s_cbranch_execz .LBB82_27
; %bb.26:
	v_add_u32_e32 v41, s2, v2
	v_mov_b32_e32 v42, 0
	v_lshlrev_b64 v[41:42], 3, v[41:42]
	v_mov_b32_e32 v50, s15
	v_add_co_u32_e64 v49, s[0:1], s14, v41
	v_addc_co_u32_e64 v50, s[0:1], v50, v42, s[0:1]
	v_mov_b32_e32 v51, s11
	v_add_co_u32_e64 v53, s[0:1], s10, v41
	v_addc_co_u32_e64 v54, s[0:1], v51, v42, s[0:1]
	global_load_dwordx2 v[41:42], v[53:54], off
	global_load_dwordx2 v[51:52], v[49:50], off
	v_add_u32_e32 v2, 0x100, v2
.LBB82_27:
	s_or_b64 exec, exec, s[4:5]
	v_mov_b32_e32 v49, 0
	v_mov_b32_e32 v53, 0
	v_mov_b32_e32 v55, 0
	v_mov_b32_e32 v50, 0
	v_mov_b32_e32 v54, 0
	v_mov_b32_e32 v56, 0
	v_cmp_gt_i32_e64 s[0:1], s6, v2
	s_and_saveexec_b64 s[4:5], s[0:1]
	s_cbranch_execz .LBB82_29
; %bb.28:
	v_add_u32_e32 v53, s2, v2
	v_mov_b32_e32 v54, 0
	v_lshlrev_b64 v[53:54], 3, v[53:54]
	v_mov_b32_e32 v55, s15
	v_add_co_u32_e64 v57, s[0:1], s14, v53
	v_addc_co_u32_e64 v58, s[0:1], v55, v54, s[0:1]
	v_mov_b32_e32 v55, s11
	v_add_co_u32_e64 v59, s[0:1], s10, v53
	v_addc_co_u32_e64 v60, s[0:1], v55, v54, s[0:1]
	global_load_dwordx2 v[53:54], v[59:60], off
	global_load_dwordx2 v[55:56], v[57:58], off
	v_add_u32_e32 v2, 0x100, v2
.LBB82_29:
	s_or_b64 exec, exec, s[4:5]
	v_mov_b32_e32 v59, 0
	v_mov_b32_e32 v60, 0
	v_cmp_gt_i32_e64 s[0:1], s6, v2
	s_and_saveexec_b64 s[4:5], s[0:1]
	s_cbranch_execz .LBB82_31
; %bb.30:
	v_add_u32_e32 v49, s2, v2
	v_mov_b32_e32 v50, 0
	v_lshlrev_b64 v[49:50], 3, v[49:50]
	v_mov_b32_e32 v58, s15
	v_add_co_u32_e64 v57, s[0:1], s14, v49
	v_addc_co_u32_e64 v58, s[0:1], v58, v50, s[0:1]
	v_mov_b32_e32 v59, s11
	v_add_co_u32_e64 v61, s[0:1], s10, v49
	v_addc_co_u32_e64 v62, s[0:1], v59, v50, s[0:1]
	global_load_dwordx2 v[49:50], v[61:62], off
	global_load_dwordx2 v[59:60], v[57:58], off
	v_add_u32_e32 v2, 0x100, v2
.LBB82_31:
	s_or_b64 exec, exec, s[4:5]
	v_mov_b32_e32 v57, 0
	v_mov_b32_e32 v61, 0
	v_mov_b32_e32 v63, 0
	v_mov_b32_e32 v58, 0
	v_mov_b32_e32 v62, 0
	v_mov_b32_e32 v64, 0
	v_cmp_gt_i32_e64 s[0:1], s6, v2
	s_and_saveexec_b64 s[4:5], s[0:1]
	s_cbranch_execz .LBB82_33
; %bb.32:
	v_add_u32_e32 v61, s2, v2
	v_mov_b32_e32 v62, 0
	v_lshlrev_b64 v[61:62], 3, v[61:62]
	v_mov_b32_e32 v63, s15
	v_add_co_u32_e64 v65, s[0:1], s14, v61
	v_addc_co_u32_e64 v66, s[0:1], v63, v62, s[0:1]
	v_mov_b32_e32 v63, s11
	v_add_co_u32_e64 v67, s[0:1], s10, v61
	v_addc_co_u32_e64 v68, s[0:1], v63, v62, s[0:1]
	global_load_dwordx2 v[61:62], v[67:68], off
	global_load_dwordx2 v[63:64], v[65:66], off
	v_add_u32_e32 v2, 0x100, v2
.LBB82_33:
	s_or_b64 exec, exec, s[4:5]
	v_mov_b32_e32 v65, 0
	v_mov_b32_e32 v66, 0
	v_cmp_gt_i32_e64 s[0:1], s6, v2
	s_and_saveexec_b64 s[4:5], s[0:1]
	s_cbranch_execz .LBB82_35
; %bb.34:
	v_add_u32_e32 v57, s2, v2
	v_mov_b32_e32 v58, 0
	v_lshlrev_b64 v[57:58], 3, v[57:58]
	v_mov_b32_e32 v2, s15
	v_add_co_u32_e64 v67, s[0:1], s14, v57
	v_addc_co_u32_e64 v68, s[0:1], v2, v58, s[0:1]
	v_mov_b32_e32 v2, s11
	v_add_co_u32_e64 v69, s[0:1], s10, v57
	v_addc_co_u32_e64 v70, s[0:1], v2, v58, s[0:1]
	global_load_dwordx2 v[57:58], v[69:70], off
	global_load_dwordx2 v[65:66], v[67:68], off
.LBB82_35:
	s_or_b64 exec, exec, s[4:5]
	s_cmp_eq_u32 s13, 0
	s_cselect_b64 s[0:1], -1, 0
	s_and_saveexec_b64 s[4:5], vcc
	s_cbranch_execnz .LBB82_53
; %bb.36:
	s_or_b64 exec, exec, s[4:5]
	v_cmp_gt_i32_e32 vcc, s6, v0
	s_and_saveexec_b64 s[4:5], vcc
	s_cbranch_execnz .LBB82_54
.LBB82_37:
	s_or_b64 exec, exec, s[4:5]
	v_cmp_gt_i32_e32 vcc, s6, v0
	s_and_saveexec_b64 s[4:5], vcc
	s_cbranch_execnz .LBB82_55
.LBB82_38:
	s_or_b64 exec, exec, s[4:5]
	v_cmp_gt_i32_e32 vcc, s6, v0
	s_and_saveexec_b64 s[4:5], vcc
	s_cbranch_execnz .LBB82_56
.LBB82_39:
	s_or_b64 exec, exec, s[4:5]
	v_cmp_gt_i32_e32 vcc, s6, v0
	s_and_saveexec_b64 s[4:5], vcc
	s_cbranch_execnz .LBB82_57
.LBB82_40:
	s_or_b64 exec, exec, s[4:5]
	v_cmp_gt_i32_e32 vcc, s6, v0
	s_and_saveexec_b64 s[4:5], vcc
	s_cbranch_execnz .LBB82_58
.LBB82_41:
	s_or_b64 exec, exec, s[4:5]
	v_cmp_gt_i32_e32 vcc, s6, v0
	s_and_saveexec_b64 s[4:5], vcc
	s_cbranch_execnz .LBB82_59
.LBB82_42:
	s_or_b64 exec, exec, s[4:5]
	v_cmp_gt_i32_e32 vcc, s6, v0
	s_and_saveexec_b64 s[4:5], vcc
	s_cbranch_execnz .LBB82_60
.LBB82_43:
	s_or_b64 exec, exec, s[4:5]
	v_cmp_gt_i32_e32 vcc, s6, v0
	s_and_saveexec_b64 s[4:5], vcc
	s_cbranch_execnz .LBB82_61
.LBB82_44:
	s_or_b64 exec, exec, s[4:5]
	v_cmp_gt_i32_e32 vcc, s6, v0
	s_and_saveexec_b64 s[4:5], vcc
	s_cbranch_execnz .LBB82_62
.LBB82_45:
	s_or_b64 exec, exec, s[4:5]
	v_cmp_gt_i32_e32 vcc, s6, v0
	s_and_saveexec_b64 s[4:5], vcc
	s_cbranch_execnz .LBB82_63
.LBB82_46:
	s_or_b64 exec, exec, s[4:5]
	v_cmp_gt_i32_e32 vcc, s6, v0
	s_and_saveexec_b64 s[4:5], vcc
	s_cbranch_execnz .LBB82_64
.LBB82_47:
	s_or_b64 exec, exec, s[4:5]
	v_cmp_gt_i32_e32 vcc, s6, v0
	s_and_saveexec_b64 s[4:5], vcc
	s_cbranch_execnz .LBB82_65
.LBB82_48:
	s_or_b64 exec, exec, s[4:5]
	v_cmp_gt_i32_e32 vcc, s6, v0
	s_and_saveexec_b64 s[4:5], vcc
	s_cbranch_execnz .LBB82_66
.LBB82_49:
	s_or_b64 exec, exec, s[4:5]
	v_cmp_gt_i32_e32 vcc, s6, v0
	s_and_saveexec_b64 s[4:5], vcc
	s_cbranch_execnz .LBB82_67
.LBB82_50:
	s_or_b64 exec, exec, s[4:5]
	v_cmp_gt_i32_e32 vcc, s6, v0
	s_and_saveexec_b64 s[4:5], vcc
	s_cbranch_execz .LBB82_52
.LBB82_51:
	s_waitcnt vmcnt(0)
	v_cmp_eq_f64_e32 vcc, v[57:58], v[65:66]
	v_add_u32_e32 v0, s2, v0
	v_cndmask_b32_e64 v1, 0, 1, vcc
	v_cmp_neq_f64_e32 vcc, v[57:58], v[65:66]
	v_cndmask_b32_e64 v2, 0, 1, vcc
	v_cndmask_b32_e64 v1, v2, v1, s[0:1]
	v_and_b32_e32 v1, 1, v1
	global_store_byte v0, v1, s[8:9]
.LBB82_52:
	s_endpgm
.LBB82_53:
	s_waitcnt vmcnt(0)
	v_cmp_eq_f64_e32 vcc, v[5:6], v[7:8]
	v_or_b32_e32 v0, 0x100, v0
	v_cndmask_b32_e64 v2, 0, 1, vcc
	v_cmp_neq_f64_e32 vcc, v[5:6], v[7:8]
	v_cndmask_b32_e64 v5, 0, 1, vcc
	v_cndmask_b32_e64 v2, v5, v2, s[0:1]
	v_and_b32_e32 v2, 1, v2
	global_store_byte v1, v2, s[8:9]
	s_or_b64 exec, exec, s[4:5]
	v_cmp_gt_i32_e32 vcc, s6, v0
	s_and_saveexec_b64 s[4:5], vcc
	s_cbranch_execz .LBB82_37
.LBB82_54:
	s_waitcnt vmcnt(0)
	v_cmp_eq_f64_e32 vcc, v[3:4], v[11:12]
	v_cndmask_b32_e64 v1, 0, 1, vcc
	v_cmp_neq_f64_e32 vcc, v[3:4], v[11:12]
	v_cndmask_b32_e64 v2, 0, 1, vcc
	v_cndmask_b32_e64 v1, v2, v1, s[0:1]
	v_and_b32_e32 v1, 1, v1
	v_add_u32_e32 v2, s2, v0
	v_add_u32_e32 v0, 0x100, v0
	global_store_byte v2, v1, s[8:9]
	s_or_b64 exec, exec, s[4:5]
	v_cmp_gt_i32_e32 vcc, s6, v0
	s_and_saveexec_b64 s[4:5], vcc
	s_cbranch_execz .LBB82_38
.LBB82_55:
	s_waitcnt vmcnt(0)
	v_cmp_eq_f64_e32 vcc, v[13:14], v[15:16]
	v_cndmask_b32_e64 v1, 0, 1, vcc
	v_cmp_neq_f64_e32 vcc, v[13:14], v[15:16]
	v_cndmask_b32_e64 v2, 0, 1, vcc
	v_cndmask_b32_e64 v1, v2, v1, s[0:1]
	v_and_b32_e32 v1, 1, v1
	v_add_u32_e32 v2, s2, v0
	v_add_u32_e32 v0, 0x100, v0
	global_store_byte v2, v1, s[8:9]
	s_or_b64 exec, exec, s[4:5]
	v_cmp_gt_i32_e32 vcc, s6, v0
	s_and_saveexec_b64 s[4:5], vcc
	s_cbranch_execz .LBB82_39
.LBB82_56:
	s_waitcnt vmcnt(0)
	v_cmp_eq_f64_e32 vcc, v[9:10], v[19:20]
	v_cndmask_b32_e64 v1, 0, 1, vcc
	v_cmp_neq_f64_e32 vcc, v[9:10], v[19:20]
	v_cndmask_b32_e64 v2, 0, 1, vcc
	v_cndmask_b32_e64 v1, v2, v1, s[0:1]
	v_and_b32_e32 v1, 1, v1
	v_add_u32_e32 v2, s2, v0
	v_add_u32_e32 v0, 0x100, v0
	global_store_byte v2, v1, s[8:9]
	s_or_b64 exec, exec, s[4:5]
	v_cmp_gt_i32_e32 vcc, s6, v0
	s_and_saveexec_b64 s[4:5], vcc
	s_cbranch_execz .LBB82_40
.LBB82_57:
	s_waitcnt vmcnt(0)
	v_cmp_eq_f64_e32 vcc, v[21:22], v[23:24]
	v_cndmask_b32_e64 v1, 0, 1, vcc
	v_cmp_neq_f64_e32 vcc, v[21:22], v[23:24]
	v_cndmask_b32_e64 v2, 0, 1, vcc
	v_cndmask_b32_e64 v1, v2, v1, s[0:1]
	v_and_b32_e32 v1, 1, v1
	v_add_u32_e32 v2, s2, v0
	v_add_u32_e32 v0, 0x100, v0
	global_store_byte v2, v1, s[8:9]
	s_or_b64 exec, exec, s[4:5]
	v_cmp_gt_i32_e32 vcc, s6, v0
	s_and_saveexec_b64 s[4:5], vcc
	s_cbranch_execz .LBB82_41
.LBB82_58:
	s_waitcnt vmcnt(0)
	v_cmp_eq_f64_e32 vcc, v[17:18], v[27:28]
	v_cndmask_b32_e64 v1, 0, 1, vcc
	v_cmp_neq_f64_e32 vcc, v[17:18], v[27:28]
	v_cndmask_b32_e64 v2, 0, 1, vcc
	v_cndmask_b32_e64 v1, v2, v1, s[0:1]
	v_and_b32_e32 v1, 1, v1
	v_add_u32_e32 v2, s2, v0
	v_add_u32_e32 v0, 0x100, v0
	global_store_byte v2, v1, s[8:9]
	s_or_b64 exec, exec, s[4:5]
	v_cmp_gt_i32_e32 vcc, s6, v0
	s_and_saveexec_b64 s[4:5], vcc
	s_cbranch_execz .LBB82_42
.LBB82_59:
	s_waitcnt vmcnt(0)
	v_cmp_eq_f64_e32 vcc, v[29:30], v[31:32]
	v_cndmask_b32_e64 v1, 0, 1, vcc
	v_cmp_neq_f64_e32 vcc, v[29:30], v[31:32]
	v_cndmask_b32_e64 v2, 0, 1, vcc
	v_cndmask_b32_e64 v1, v2, v1, s[0:1]
	v_and_b32_e32 v1, 1, v1
	v_add_u32_e32 v2, s2, v0
	v_add_u32_e32 v0, 0x100, v0
	global_store_byte v2, v1, s[8:9]
	s_or_b64 exec, exec, s[4:5]
	v_cmp_gt_i32_e32 vcc, s6, v0
	s_and_saveexec_b64 s[4:5], vcc
	s_cbranch_execz .LBB82_43
.LBB82_60:
	s_waitcnt vmcnt(0)
	v_cmp_eq_f64_e32 vcc, v[25:26], v[35:36]
	v_cndmask_b32_e64 v1, 0, 1, vcc
	v_cmp_neq_f64_e32 vcc, v[25:26], v[35:36]
	v_cndmask_b32_e64 v2, 0, 1, vcc
	v_cndmask_b32_e64 v1, v2, v1, s[0:1]
	v_and_b32_e32 v1, 1, v1
	v_add_u32_e32 v2, s2, v0
	v_add_u32_e32 v0, 0x100, v0
	global_store_byte v2, v1, s[8:9]
	s_or_b64 exec, exec, s[4:5]
	v_cmp_gt_i32_e32 vcc, s6, v0
	s_and_saveexec_b64 s[4:5], vcc
	s_cbranch_execz .LBB82_44
.LBB82_61:
	s_waitcnt vmcnt(0)
	v_cmp_eq_f64_e32 vcc, v[37:38], v[39:40]
	v_cndmask_b32_e64 v1, 0, 1, vcc
	v_cmp_neq_f64_e32 vcc, v[37:38], v[39:40]
	v_cndmask_b32_e64 v2, 0, 1, vcc
	v_cndmask_b32_e64 v1, v2, v1, s[0:1]
	v_and_b32_e32 v1, 1, v1
	v_add_u32_e32 v2, s2, v0
	v_add_u32_e32 v0, 0x100, v0
	global_store_byte v2, v1, s[8:9]
	s_or_b64 exec, exec, s[4:5]
	v_cmp_gt_i32_e32 vcc, s6, v0
	s_and_saveexec_b64 s[4:5], vcc
	s_cbranch_execz .LBB82_45
.LBB82_62:
	s_waitcnt vmcnt(0)
	v_cmp_eq_f64_e32 vcc, v[33:34], v[43:44]
	v_cndmask_b32_e64 v1, 0, 1, vcc
	v_cmp_neq_f64_e32 vcc, v[33:34], v[43:44]
	v_cndmask_b32_e64 v2, 0, 1, vcc
	v_cndmask_b32_e64 v1, v2, v1, s[0:1]
	v_and_b32_e32 v1, 1, v1
	v_add_u32_e32 v2, s2, v0
	v_add_u32_e32 v0, 0x100, v0
	global_store_byte v2, v1, s[8:9]
	s_or_b64 exec, exec, s[4:5]
	v_cmp_gt_i32_e32 vcc, s6, v0
	s_and_saveexec_b64 s[4:5], vcc
	s_cbranch_execz .LBB82_46
.LBB82_63:
	s_waitcnt vmcnt(0)
	v_cmp_eq_f64_e32 vcc, v[45:46], v[47:48]
	v_cndmask_b32_e64 v1, 0, 1, vcc
	v_cmp_neq_f64_e32 vcc, v[45:46], v[47:48]
	v_cndmask_b32_e64 v2, 0, 1, vcc
	v_cndmask_b32_e64 v1, v2, v1, s[0:1]
	v_and_b32_e32 v1, 1, v1
	v_add_u32_e32 v2, s2, v0
	v_add_u32_e32 v0, 0x100, v0
	global_store_byte v2, v1, s[8:9]
	s_or_b64 exec, exec, s[4:5]
	v_cmp_gt_i32_e32 vcc, s6, v0
	s_and_saveexec_b64 s[4:5], vcc
	s_cbranch_execz .LBB82_47
.LBB82_64:
	s_waitcnt vmcnt(0)
	v_cmp_eq_f64_e32 vcc, v[41:42], v[51:52]
	v_cndmask_b32_e64 v1, 0, 1, vcc
	v_cmp_neq_f64_e32 vcc, v[41:42], v[51:52]
	v_cndmask_b32_e64 v2, 0, 1, vcc
	v_cndmask_b32_e64 v1, v2, v1, s[0:1]
	v_and_b32_e32 v1, 1, v1
	v_add_u32_e32 v2, s2, v0
	v_add_u32_e32 v0, 0x100, v0
	global_store_byte v2, v1, s[8:9]
	s_or_b64 exec, exec, s[4:5]
	v_cmp_gt_i32_e32 vcc, s6, v0
	s_and_saveexec_b64 s[4:5], vcc
	s_cbranch_execz .LBB82_48
.LBB82_65:
	s_waitcnt vmcnt(0)
	v_cmp_eq_f64_e32 vcc, v[53:54], v[55:56]
	v_cndmask_b32_e64 v1, 0, 1, vcc
	v_cmp_neq_f64_e32 vcc, v[53:54], v[55:56]
	v_cndmask_b32_e64 v2, 0, 1, vcc
	v_cndmask_b32_e64 v1, v2, v1, s[0:1]
	v_and_b32_e32 v1, 1, v1
	v_add_u32_e32 v2, s2, v0
	v_add_u32_e32 v0, 0x100, v0
	global_store_byte v2, v1, s[8:9]
	s_or_b64 exec, exec, s[4:5]
	v_cmp_gt_i32_e32 vcc, s6, v0
	s_and_saveexec_b64 s[4:5], vcc
	s_cbranch_execz .LBB82_49
.LBB82_66:
	s_waitcnt vmcnt(0)
	v_cmp_eq_f64_e32 vcc, v[49:50], v[59:60]
	v_cndmask_b32_e64 v1, 0, 1, vcc
	v_cmp_neq_f64_e32 vcc, v[49:50], v[59:60]
	v_cndmask_b32_e64 v2, 0, 1, vcc
	v_cndmask_b32_e64 v1, v2, v1, s[0:1]
	v_and_b32_e32 v1, 1, v1
	v_add_u32_e32 v2, s2, v0
	v_add_u32_e32 v0, 0x100, v0
	global_store_byte v2, v1, s[8:9]
	s_or_b64 exec, exec, s[4:5]
	v_cmp_gt_i32_e32 vcc, s6, v0
	s_and_saveexec_b64 s[4:5], vcc
	s_cbranch_execz .LBB82_50
.LBB82_67:
	s_waitcnt vmcnt(0)
	v_cmp_eq_f64_e32 vcc, v[61:62], v[63:64]
	v_cndmask_b32_e64 v1, 0, 1, vcc
	v_cmp_neq_f64_e32 vcc, v[61:62], v[63:64]
	v_cndmask_b32_e64 v2, 0, 1, vcc
	v_cndmask_b32_e64 v1, v2, v1, s[0:1]
	v_and_b32_e32 v1, 1, v1
	v_add_u32_e32 v2, s2, v0
	v_add_u32_e32 v0, 0x100, v0
	global_store_byte v2, v1, s[8:9]
	s_or_b64 exec, exec, s[4:5]
	v_cmp_gt_i32_e32 vcc, s6, v0
	s_and_saveexec_b64 s[4:5], vcc
	s_cbranch_execnz .LBB82_51
	s_branch .LBB82_52
	.section	.rodata,"a",@progbits
	.p2align	6, 0x0
	.amdhsa_kernel _ZN2at6native29vectorized_elementwise_kernelILi4ENS0_13BinaryFunctorIddbNS0_12_GLOBAL__N_116CompareEqFunctorIdEEEESt5arrayIPcLm3EEEEviT0_T1_
		.amdhsa_group_segment_fixed_size 0
		.amdhsa_private_segment_fixed_size 0
		.amdhsa_kernarg_size 32
		.amdhsa_user_sgpr_count 6
		.amdhsa_user_sgpr_private_segment_buffer 1
		.amdhsa_user_sgpr_dispatch_ptr 0
		.amdhsa_user_sgpr_queue_ptr 0
		.amdhsa_user_sgpr_kernarg_segment_ptr 1
		.amdhsa_user_sgpr_dispatch_id 0
		.amdhsa_user_sgpr_flat_scratch_init 0
		.amdhsa_user_sgpr_private_segment_size 0
		.amdhsa_uses_dynamic_stack 0
		.amdhsa_system_sgpr_private_segment_wavefront_offset 0
		.amdhsa_system_sgpr_workgroup_id_x 1
		.amdhsa_system_sgpr_workgroup_id_y 0
		.amdhsa_system_sgpr_workgroup_id_z 0
		.amdhsa_system_sgpr_workgroup_info 0
		.amdhsa_system_vgpr_workitem_id 0
		.amdhsa_next_free_vgpr 71
		.amdhsa_next_free_sgpr 16
		.amdhsa_reserve_vcc 1
		.amdhsa_reserve_flat_scratch 0
		.amdhsa_float_round_mode_32 0
		.amdhsa_float_round_mode_16_64 0
		.amdhsa_float_denorm_mode_32 3
		.amdhsa_float_denorm_mode_16_64 3
		.amdhsa_dx10_clamp 1
		.amdhsa_ieee_mode 1
		.amdhsa_fp16_overflow 0
		.amdhsa_exception_fp_ieee_invalid_op 0
		.amdhsa_exception_fp_denorm_src 0
		.amdhsa_exception_fp_ieee_div_zero 0
		.amdhsa_exception_fp_ieee_overflow 0
		.amdhsa_exception_fp_ieee_underflow 0
		.amdhsa_exception_fp_ieee_inexact 0
		.amdhsa_exception_int_div_zero 0
	.end_amdhsa_kernel
	.section	.text._ZN2at6native29vectorized_elementwise_kernelILi4ENS0_13BinaryFunctorIddbNS0_12_GLOBAL__N_116CompareEqFunctorIdEEEESt5arrayIPcLm3EEEEviT0_T1_,"axG",@progbits,_ZN2at6native29vectorized_elementwise_kernelILi4ENS0_13BinaryFunctorIddbNS0_12_GLOBAL__N_116CompareEqFunctorIdEEEESt5arrayIPcLm3EEEEviT0_T1_,comdat
.Lfunc_end82:
	.size	_ZN2at6native29vectorized_elementwise_kernelILi4ENS0_13BinaryFunctorIddbNS0_12_GLOBAL__N_116CompareEqFunctorIdEEEESt5arrayIPcLm3EEEEviT0_T1_, .Lfunc_end82-_ZN2at6native29vectorized_elementwise_kernelILi4ENS0_13BinaryFunctorIddbNS0_12_GLOBAL__N_116CompareEqFunctorIdEEEESt5arrayIPcLm3EEEEviT0_T1_
                                        ; -- End function
	.set _ZN2at6native29vectorized_elementwise_kernelILi4ENS0_13BinaryFunctorIddbNS0_12_GLOBAL__N_116CompareEqFunctorIdEEEESt5arrayIPcLm3EEEEviT0_T1_.num_vgpr, 71
	.set _ZN2at6native29vectorized_elementwise_kernelILi4ENS0_13BinaryFunctorIddbNS0_12_GLOBAL__N_116CompareEqFunctorIdEEEESt5arrayIPcLm3EEEEviT0_T1_.num_agpr, 0
	.set _ZN2at6native29vectorized_elementwise_kernelILi4ENS0_13BinaryFunctorIddbNS0_12_GLOBAL__N_116CompareEqFunctorIdEEEESt5arrayIPcLm3EEEEviT0_T1_.numbered_sgpr, 16
	.set _ZN2at6native29vectorized_elementwise_kernelILi4ENS0_13BinaryFunctorIddbNS0_12_GLOBAL__N_116CompareEqFunctorIdEEEESt5arrayIPcLm3EEEEviT0_T1_.num_named_barrier, 0
	.set _ZN2at6native29vectorized_elementwise_kernelILi4ENS0_13BinaryFunctorIddbNS0_12_GLOBAL__N_116CompareEqFunctorIdEEEESt5arrayIPcLm3EEEEviT0_T1_.private_seg_size, 0
	.set _ZN2at6native29vectorized_elementwise_kernelILi4ENS0_13BinaryFunctorIddbNS0_12_GLOBAL__N_116CompareEqFunctorIdEEEESt5arrayIPcLm3EEEEviT0_T1_.uses_vcc, 1
	.set _ZN2at6native29vectorized_elementwise_kernelILi4ENS0_13BinaryFunctorIddbNS0_12_GLOBAL__N_116CompareEqFunctorIdEEEESt5arrayIPcLm3EEEEviT0_T1_.uses_flat_scratch, 0
	.set _ZN2at6native29vectorized_elementwise_kernelILi4ENS0_13BinaryFunctorIddbNS0_12_GLOBAL__N_116CompareEqFunctorIdEEEESt5arrayIPcLm3EEEEviT0_T1_.has_dyn_sized_stack, 0
	.set _ZN2at6native29vectorized_elementwise_kernelILi4ENS0_13BinaryFunctorIddbNS0_12_GLOBAL__N_116CompareEqFunctorIdEEEESt5arrayIPcLm3EEEEviT0_T1_.has_recursion, 0
	.set _ZN2at6native29vectorized_elementwise_kernelILi4ENS0_13BinaryFunctorIddbNS0_12_GLOBAL__N_116CompareEqFunctorIdEEEESt5arrayIPcLm3EEEEviT0_T1_.has_indirect_call, 0
	.section	.AMDGPU.csdata,"",@progbits
; Kernel info:
; codeLenInByte = 4552
; TotalNumSgprs: 20
; NumVgprs: 71
; ScratchSize: 0
; MemoryBound: 0
; FloatMode: 240
; IeeeMode: 1
; LDSByteSize: 0 bytes/workgroup (compile time only)
; SGPRBlocks: 2
; VGPRBlocks: 17
; NumSGPRsForWavesPerEU: 20
; NumVGPRsForWavesPerEU: 71
; Occupancy: 3
; WaveLimiterHint : 1
; COMPUTE_PGM_RSRC2:SCRATCH_EN: 0
; COMPUTE_PGM_RSRC2:USER_SGPR: 6
; COMPUTE_PGM_RSRC2:TRAP_HANDLER: 0
; COMPUTE_PGM_RSRC2:TGID_X_EN: 1
; COMPUTE_PGM_RSRC2:TGID_Y_EN: 0
; COMPUTE_PGM_RSRC2:TGID_Z_EN: 0
; COMPUTE_PGM_RSRC2:TIDIG_COMP_CNT: 0
	.section	.text._ZN2at6native29vectorized_elementwise_kernelILi2ENS0_13BinaryFunctorIddbNS0_12_GLOBAL__N_116CompareEqFunctorIdEEEESt5arrayIPcLm3EEEEviT0_T1_,"axG",@progbits,_ZN2at6native29vectorized_elementwise_kernelILi2ENS0_13BinaryFunctorIddbNS0_12_GLOBAL__N_116CompareEqFunctorIdEEEESt5arrayIPcLm3EEEEviT0_T1_,comdat
	.globl	_ZN2at6native29vectorized_elementwise_kernelILi2ENS0_13BinaryFunctorIddbNS0_12_GLOBAL__N_116CompareEqFunctorIdEEEESt5arrayIPcLm3EEEEviT0_T1_ ; -- Begin function _ZN2at6native29vectorized_elementwise_kernelILi2ENS0_13BinaryFunctorIddbNS0_12_GLOBAL__N_116CompareEqFunctorIdEEEESt5arrayIPcLm3EEEEviT0_T1_
	.p2align	8
	.type	_ZN2at6native29vectorized_elementwise_kernelILi2ENS0_13BinaryFunctorIddbNS0_12_GLOBAL__N_116CompareEqFunctorIdEEEESt5arrayIPcLm3EEEEviT0_T1_,@function
_ZN2at6native29vectorized_elementwise_kernelILi2ENS0_13BinaryFunctorIddbNS0_12_GLOBAL__N_116CompareEqFunctorIdEEEESt5arrayIPcLm3EEEEviT0_T1_: ; @_ZN2at6native29vectorized_elementwise_kernelILi2ENS0_13BinaryFunctorIddbNS0_12_GLOBAL__N_116CompareEqFunctorIdEEEESt5arrayIPcLm3EEEEviT0_T1_
; %bb.0:
	s_load_dwordx2 s[18:19], s[4:5], 0x0
	s_load_dwordx4 s[12:15], s[4:5], 0x8
	s_load_dwordx2 s[20:21], s[4:5], 0x18
	s_lshl_b32 s16, s6, 12
	s_mov_b64 s[0:1], -1
	s_waitcnt lgkmcnt(0)
	s_sub_i32 s18, s18, s16
	s_cmpk_gt_i32 s18, 0xfff
	s_cbranch_scc0 .LBB83_2
; %bb.1:
	s_ashr_i32 s17, s16, 31
	s_lshl_b64 s[8:9], s[16:17], 3
	s_add_u32 s6, s14, s8
	s_addc_u32 s7, s15, s9
	v_lshlrev_b32_e32 v13, 4, v0
	v_mov_b32_e32 v1, s7
	v_add_co_u32_e32 v14, vcc, s6, v13
	v_addc_co_u32_e32 v52, vcc, 0, v1, vcc
	v_add_co_u32_e32 v1, vcc, 0x1000, v14
	v_addc_co_u32_e32 v2, vcc, 0, v52, vcc
	s_add_u32 s10, s20, s8
	global_load_dwordx4 v[1:4], v[1:2], off
	s_addc_u32 s11, s21, s9
	global_load_dwordx4 v[5:8], v13, s[6:7]
	global_load_dwordx4 v[9:12], v13, s[10:11]
	v_add_co_u32_e32 v25, vcc, 0x2000, v14
	s_mov_b64 s[0:1], vcc
	v_add_co_u32_e32 v27, vcc, 0x3000, v14
	s_mov_b64 s[2:3], vcc
	;; [unrolled: 2-line block ×5, first 2 shown]
	v_add_co_u32_e32 v49, vcc, 0x7000, v14
	v_mov_b32_e32 v14, s11
	v_add_co_u32_e64 v63, s[10:11], s10, v13
	s_movk_i32 s22, 0x2000
	v_addc_co_u32_e64 v64, s[10:11], 0, v14, s[10:11]
	s_mov_b64 s[10:11], vcc
	v_add_co_u32_e32 v28, vcc, s22, v63
	v_addc_co_u32_e32 v29, vcc, 0, v64, vcc
	global_load_dwordx4 v[13:16], v[28:29], off offset:-4096
	v_addc_co_u32_e64 v26, vcc, 0, v52, s[0:1]
	global_load_dwordx4 v[17:20], v[25:26], off
	global_load_dwordx4 v[21:24], v[28:29], off
	v_addc_co_u32_e64 v28, vcc, 0, v52, s[2:3]
	s_movk_i32 s0, 0x4000
	v_add_co_u32_e32 v50, vcc, s0, v63
	v_addc_co_u32_e32 v51, vcc, 0, v64, vcc
	v_addc_co_u32_e64 v34, vcc, 0, v52, s[4:5]
	v_addc_co_u32_e64 v46, vcc, 0, v52, s[6:7]
	;; [unrolled: 1-line block ×3, first 2 shown]
	global_load_dwordx4 v[25:28], v[27:28], off
	s_movk_i32 s0, 0x6000
	global_load_dwordx4 v[29:32], v[50:51], off offset:-4096
	s_movk_i32 s1, 0x7000
	global_load_dwordx4 v[33:36], v[33:34], off
	s_nop 0
	global_load_dwordx4 v[37:40], v[45:46], off
	global_load_dwordx4 v[41:44], v[47:48], off
	s_cmp_eq_u32 s19, 0
	global_load_dwordx4 v[45:48], v[50:51], off
	v_addc_co_u32_e64 v50, vcc, 0, v52, s[10:11]
	v_add_co_u32_e32 v61, vcc, s0, v63
	v_addc_co_u32_e32 v62, vcc, 0, v64, vcc
	global_load_dwordx4 v[49:52], v[49:50], off
	s_nop 0
	global_load_dwordx4 v[53:56], v[61:62], off offset:-4096
	global_load_dwordx4 v[57:60], v[61:62], off
	v_add_co_u32_e32 v61, vcc, s1, v63
	v_addc_co_u32_e32 v62, vcc, 0, v64, vcc
	global_load_dwordx4 v[61:64], v[61:62], off
	s_waitcnt vmcnt(13)
	v_cmp_eq_f64_e32 vcc, v[5:6], v[9:10]
	v_cmp_eq_f64_e64 s[0:1], v[7:8], v[11:12]
	v_cndmask_b32_e64 v65, 0, 1, vcc
	v_cmp_neq_f64_e32 vcc, v[5:6], v[9:10]
	v_cndmask_b32_e64 v6, 0, 1, s[0:1]
	v_cmp_neq_f64_e64 s[0:1], v[7:8], v[11:12]
	v_cndmask_b32_e64 v5, 0, 1, vcc
	s_cselect_b64 vcc, -1, 0
	v_cndmask_b32_e64 v7, 0, 1, s[0:1]
	v_cndmask_b32_e32 v6, v7, v6, vcc
	v_and_b32_e32 v6, 1, v6
	v_mov_b32_e32 v7, 0x100
	v_cmp_eq_u32_e64 s[0:1], 1, v6
	v_cndmask_b32_e64 v6, 0, v7, s[0:1]
	v_cndmask_b32_e32 v5, v5, v65, vcc
	v_and_b32_e32 v5, 1, v5
	v_or_b32_e32 v5, v6, v5
	s_waitcnt vmcnt(12)
	v_cmp_eq_f64_e64 s[0:1], v[1:2], v[13:14]
	v_cndmask_b32_e64 v6, 0, 1, s[0:1]
	v_cmp_neq_f64_e64 s[0:1], v[1:2], v[13:14]
	v_cndmask_b32_e64 v1, 0, 1, s[0:1]
	v_cmp_eq_f64_e64 s[0:1], v[3:4], v[15:16]
	v_cndmask_b32_e32 v1, v1, v6, vcc
	v_and_b32_e32 v1, 1, v1
	v_cndmask_b32_e64 v2, 0, 1, s[0:1]
	v_cmp_neq_f64_e64 s[0:1], v[3:4], v[15:16]
	v_cndmask_b32_e64 v3, 0, 1, s[0:1]
	v_cndmask_b32_e32 v2, v3, v2, vcc
	v_and_b32_e32 v2, 1, v2
	v_cmp_eq_u32_e64 s[0:1], 1, v2
	v_cndmask_b32_e64 v2, 0, v7, s[0:1]
	s_waitcnt vmcnt(10)
	v_cmp_eq_f64_e64 s[0:1], v[17:18], v[21:22]
	v_or_b32_e32 v1, v2, v1
	v_cndmask_b32_e64 v2, 0, 1, s[0:1]
	v_cmp_neq_f64_e64 s[0:1], v[17:18], v[21:22]
	v_cndmask_b32_e64 v3, 0, 1, s[0:1]
	v_cmp_eq_f64_e64 s[0:1], v[19:20], v[23:24]
	v_cndmask_b32_e32 v2, v3, v2, vcc
	v_and_b32_e32 v2, 1, v2
	v_cndmask_b32_e64 v3, 0, 1, s[0:1]
	v_cmp_neq_f64_e64 s[0:1], v[19:20], v[23:24]
	v_cndmask_b32_e64 v4, 0, 1, s[0:1]
	v_cndmask_b32_e32 v3, v4, v3, vcc
	v_and_b32_e32 v3, 1, v3
	v_cmp_eq_u32_e64 s[0:1], 1, v3
	v_cndmask_b32_e64 v3, 0, v7, s[0:1]
	s_waitcnt vmcnt(8)
	v_cmp_eq_f64_e64 s[0:1], v[25:26], v[29:30]
	v_or_b32_e32 v2, v3, v2
	;; [unrolled: 16-line block ×6, first 2 shown]
	v_cndmask_b32_e64 v9, 0, 1, s[0:1]
	v_cmp_neq_f64_e64 s[0:1], v[49:50], v[61:62]
	v_cndmask_b32_e64 v10, 0, 1, s[0:1]
	v_cmp_eq_f64_e64 s[0:1], v[51:52], v[63:64]
	v_cndmask_b32_e32 v9, v10, v9, vcc
	v_and_b32_e32 v9, 1, v9
	v_cndmask_b32_e64 v10, 0, 1, s[0:1]
	v_cmp_neq_f64_e64 s[0:1], v[51:52], v[63:64]
	v_cndmask_b32_e64 v11, 0, 1, s[0:1]
	v_cndmask_b32_e32 v10, v11, v10, vcc
	v_and_b32_e32 v10, 1, v10
	v_cmp_eq_u32_e32 vcc, 1, v10
	v_cndmask_b32_e32 v7, 0, v7, vcc
	s_add_u32 s0, s12, s16
	v_or_b32_e32 v7, v7, v9
	s_addc_u32 s1, s13, s17
	v_lshlrev_b32_e32 v9, 1, v0
	global_store_short v9, v5, s[0:1]
	global_store_short v9, v1, s[0:1] offset:512
	global_store_short v9, v2, s[0:1] offset:1024
	;; [unrolled: 1-line block ×7, first 2 shown]
	s_mov_b64 s[0:1], 0
.LBB83_2:
	s_andn2_b64 vcc, exec, s[0:1]
	s_cbranch_vccnz .LBB83_52
; %bb.3:
	v_mov_b32_e32 v3, 0
	v_mov_b32_e32 v5, 0
	;; [unrolled: 1-line block ×3, first 2 shown]
	v_cmp_gt_i32_e32 vcc, s18, v0
	v_mov_b32_e32 v4, 0
	v_or_b32_e32 v1, s16, v0
	v_mov_b32_e32 v6, 0
	v_mov_b32_e32 v8, 0
	;; [unrolled: 1-line block ×3, first 2 shown]
	s_and_saveexec_b64 s[2:3], vcc
	s_cbranch_execz .LBB83_5
; %bb.4:
	v_mov_b32_e32 v2, 0
	v_lshlrev_b64 v[5:6], 3, v[1:2]
	v_mov_b32_e32 v2, s21
	v_add_co_u32_e64 v9, s[0:1], s20, v5
	v_addc_co_u32_e64 v10, s[0:1], v2, v6, s[0:1]
	v_mov_b32_e32 v2, s15
	v_add_co_u32_e64 v11, s[0:1], s14, v5
	v_addc_co_u32_e64 v12, s[0:1], v2, v6, s[0:1]
	global_load_dwordx2 v[5:6], v[11:12], off
	global_load_dwordx2 v[7:8], v[9:10], off
	v_or_b32_e32 v2, 0x100, v0
.LBB83_5:
	s_or_b64 exec, exec, s[2:3]
	v_mov_b32_e32 v11, 0
	v_mov_b32_e32 v12, 0
	v_cmp_gt_i32_e64 s[0:1], s18, v2
	s_and_saveexec_b64 s[2:3], s[0:1]
	s_cbranch_execz .LBB83_7
; %bb.6:
	v_add_u32_e32 v3, s16, v2
	v_mov_b32_e32 v4, 0
	v_lshlrev_b64 v[3:4], 3, v[3:4]
	v_mov_b32_e32 v10, s21
	v_add_co_u32_e64 v9, s[0:1], s20, v3
	v_addc_co_u32_e64 v10, s[0:1], v10, v4, s[0:1]
	v_mov_b32_e32 v11, s15
	v_add_co_u32_e64 v13, s[0:1], s14, v3
	v_addc_co_u32_e64 v14, s[0:1], v11, v4, s[0:1]
	global_load_dwordx2 v[3:4], v[13:14], off
	global_load_dwordx2 v[11:12], v[9:10], off
	v_add_u32_e32 v2, 0x100, v2
.LBB83_7:
	s_or_b64 exec, exec, s[2:3]
	v_mov_b32_e32 v9, 0
	v_mov_b32_e32 v13, 0
	v_mov_b32_e32 v15, 0
	v_mov_b32_e32 v10, 0
	v_mov_b32_e32 v14, 0
	v_mov_b32_e32 v16, 0
	v_cmp_gt_i32_e64 s[0:1], s18, v2
	s_and_saveexec_b64 s[2:3], s[0:1]
	s_cbranch_execz .LBB83_9
; %bb.8:
	v_add_u32_e32 v13, s16, v2
	v_mov_b32_e32 v14, 0
	v_lshlrev_b64 v[13:14], 3, v[13:14]
	v_mov_b32_e32 v15, s21
	v_add_co_u32_e64 v17, s[0:1], s20, v13
	v_addc_co_u32_e64 v18, s[0:1], v15, v14, s[0:1]
	v_mov_b32_e32 v15, s15
	v_add_co_u32_e64 v19, s[0:1], s14, v13
	v_addc_co_u32_e64 v20, s[0:1], v15, v14, s[0:1]
	global_load_dwordx2 v[13:14], v[19:20], off
	global_load_dwordx2 v[15:16], v[17:18], off
	v_add_u32_e32 v2, 0x100, v2
.LBB83_9:
	s_or_b64 exec, exec, s[2:3]
	v_mov_b32_e32 v19, 0
	v_mov_b32_e32 v20, 0
	v_cmp_gt_i32_e64 s[0:1], s18, v2
	s_and_saveexec_b64 s[2:3], s[0:1]
	s_cbranch_execz .LBB83_11
; %bb.10:
	v_add_u32_e32 v9, s16, v2
	v_mov_b32_e32 v10, 0
	v_lshlrev_b64 v[9:10], 3, v[9:10]
	v_mov_b32_e32 v18, s21
	v_add_co_u32_e64 v17, s[0:1], s20, v9
	v_addc_co_u32_e64 v18, s[0:1], v18, v10, s[0:1]
	v_mov_b32_e32 v19, s15
	v_add_co_u32_e64 v21, s[0:1], s14, v9
	v_addc_co_u32_e64 v22, s[0:1], v19, v10, s[0:1]
	global_load_dwordx2 v[9:10], v[21:22], off
	global_load_dwordx2 v[19:20], v[17:18], off
	v_add_u32_e32 v2, 0x100, v2
.LBB83_11:
	s_or_b64 exec, exec, s[2:3]
	v_mov_b32_e32 v17, 0
	v_mov_b32_e32 v21, 0
	v_mov_b32_e32 v23, 0
	v_mov_b32_e32 v18, 0
	v_mov_b32_e32 v22, 0
	v_mov_b32_e32 v24, 0
	v_cmp_gt_i32_e64 s[0:1], s18, v2
	s_and_saveexec_b64 s[2:3], s[0:1]
	s_cbranch_execz .LBB83_13
; %bb.12:
	v_add_u32_e32 v21, s16, v2
	v_mov_b32_e32 v22, 0
	v_lshlrev_b64 v[21:22], 3, v[21:22]
	v_mov_b32_e32 v23, s21
	v_add_co_u32_e64 v25, s[0:1], s20, v21
	v_addc_co_u32_e64 v26, s[0:1], v23, v22, s[0:1]
	v_mov_b32_e32 v23, s15
	v_add_co_u32_e64 v27, s[0:1], s14, v21
	v_addc_co_u32_e64 v28, s[0:1], v23, v22, s[0:1]
	global_load_dwordx2 v[21:22], v[27:28], off
	global_load_dwordx2 v[23:24], v[25:26], off
	v_add_u32_e32 v2, 0x100, v2
.LBB83_13:
	;; [unrolled: 44-line block ×7, first 2 shown]
	s_or_b64 exec, exec, s[2:3]
	v_mov_b32_e32 v65, 0
	v_mov_b32_e32 v66, 0
	v_cmp_gt_i32_e64 s[0:1], s18, v2
	s_and_saveexec_b64 s[2:3], s[0:1]
	s_cbranch_execz .LBB83_35
; %bb.34:
	v_add_u32_e32 v57, s16, v2
	v_mov_b32_e32 v58, 0
	v_lshlrev_b64 v[57:58], 3, v[57:58]
	v_mov_b32_e32 v2, s21
	v_add_co_u32_e64 v67, s[0:1], s20, v57
	v_addc_co_u32_e64 v68, s[0:1], v2, v58, s[0:1]
	v_mov_b32_e32 v2, s15
	v_add_co_u32_e64 v69, s[0:1], s14, v57
	v_addc_co_u32_e64 v70, s[0:1], v2, v58, s[0:1]
	global_load_dwordx2 v[57:58], v[69:70], off
	global_load_dwordx2 v[65:66], v[67:68], off
.LBB83_35:
	s_or_b64 exec, exec, s[2:3]
	s_cmp_eq_u32 s19, 0
	s_cselect_b64 s[0:1], -1, 0
	s_and_saveexec_b64 s[2:3], vcc
	s_cbranch_execnz .LBB83_53
; %bb.36:
	s_or_b64 exec, exec, s[2:3]
	v_cmp_gt_i32_e32 vcc, s18, v0
	s_and_saveexec_b64 s[2:3], vcc
	s_cbranch_execnz .LBB83_54
.LBB83_37:
	s_or_b64 exec, exec, s[2:3]
	v_cmp_gt_i32_e32 vcc, s18, v0
	s_and_saveexec_b64 s[2:3], vcc
	s_cbranch_execnz .LBB83_55
.LBB83_38:
	s_or_b64 exec, exec, s[2:3]
	v_cmp_gt_i32_e32 vcc, s18, v0
	s_and_saveexec_b64 s[2:3], vcc
	s_cbranch_execnz .LBB83_56
.LBB83_39:
	s_or_b64 exec, exec, s[2:3]
	v_cmp_gt_i32_e32 vcc, s18, v0
	s_and_saveexec_b64 s[2:3], vcc
	s_cbranch_execnz .LBB83_57
.LBB83_40:
	s_or_b64 exec, exec, s[2:3]
	v_cmp_gt_i32_e32 vcc, s18, v0
	s_and_saveexec_b64 s[2:3], vcc
	s_cbranch_execnz .LBB83_58
.LBB83_41:
	s_or_b64 exec, exec, s[2:3]
	v_cmp_gt_i32_e32 vcc, s18, v0
	s_and_saveexec_b64 s[2:3], vcc
	s_cbranch_execnz .LBB83_59
.LBB83_42:
	s_or_b64 exec, exec, s[2:3]
	v_cmp_gt_i32_e32 vcc, s18, v0
	s_and_saveexec_b64 s[2:3], vcc
	s_cbranch_execnz .LBB83_60
.LBB83_43:
	s_or_b64 exec, exec, s[2:3]
	v_cmp_gt_i32_e32 vcc, s18, v0
	s_and_saveexec_b64 s[2:3], vcc
	s_cbranch_execnz .LBB83_61
.LBB83_44:
	s_or_b64 exec, exec, s[2:3]
	v_cmp_gt_i32_e32 vcc, s18, v0
	s_and_saveexec_b64 s[2:3], vcc
	s_cbranch_execnz .LBB83_62
.LBB83_45:
	s_or_b64 exec, exec, s[2:3]
	v_cmp_gt_i32_e32 vcc, s18, v0
	s_and_saveexec_b64 s[2:3], vcc
	s_cbranch_execnz .LBB83_63
.LBB83_46:
	s_or_b64 exec, exec, s[2:3]
	v_cmp_gt_i32_e32 vcc, s18, v0
	s_and_saveexec_b64 s[2:3], vcc
	s_cbranch_execnz .LBB83_64
.LBB83_47:
	s_or_b64 exec, exec, s[2:3]
	v_cmp_gt_i32_e32 vcc, s18, v0
	s_and_saveexec_b64 s[2:3], vcc
	s_cbranch_execnz .LBB83_65
.LBB83_48:
	s_or_b64 exec, exec, s[2:3]
	v_cmp_gt_i32_e32 vcc, s18, v0
	s_and_saveexec_b64 s[2:3], vcc
	s_cbranch_execnz .LBB83_66
.LBB83_49:
	s_or_b64 exec, exec, s[2:3]
	v_cmp_gt_i32_e32 vcc, s18, v0
	s_and_saveexec_b64 s[2:3], vcc
	s_cbranch_execnz .LBB83_67
.LBB83_50:
	s_or_b64 exec, exec, s[2:3]
	v_cmp_gt_i32_e32 vcc, s18, v0
	s_and_saveexec_b64 s[2:3], vcc
	s_cbranch_execz .LBB83_52
.LBB83_51:
	s_waitcnt vmcnt(0)
	v_cmp_eq_f64_e32 vcc, v[57:58], v[65:66]
	v_add_u32_e32 v0, s16, v0
	v_cndmask_b32_e64 v1, 0, 1, vcc
	v_cmp_neq_f64_e32 vcc, v[57:58], v[65:66]
	v_cndmask_b32_e64 v2, 0, 1, vcc
	v_cndmask_b32_e64 v1, v2, v1, s[0:1]
	v_and_b32_e32 v1, 1, v1
	global_store_byte v0, v1, s[12:13]
.LBB83_52:
	s_endpgm
.LBB83_53:
	s_waitcnt vmcnt(0)
	v_cmp_eq_f64_e32 vcc, v[5:6], v[7:8]
	v_or_b32_e32 v0, 0x100, v0
	v_cndmask_b32_e64 v2, 0, 1, vcc
	v_cmp_neq_f64_e32 vcc, v[5:6], v[7:8]
	v_cndmask_b32_e64 v5, 0, 1, vcc
	v_cndmask_b32_e64 v2, v5, v2, s[0:1]
	v_and_b32_e32 v2, 1, v2
	global_store_byte v1, v2, s[12:13]
	s_or_b64 exec, exec, s[2:3]
	v_cmp_gt_i32_e32 vcc, s18, v0
	s_and_saveexec_b64 s[2:3], vcc
	s_cbranch_execz .LBB83_37
.LBB83_54:
	s_waitcnt vmcnt(0)
	v_cmp_eq_f64_e32 vcc, v[3:4], v[11:12]
	v_cndmask_b32_e64 v1, 0, 1, vcc
	v_cmp_neq_f64_e32 vcc, v[3:4], v[11:12]
	v_cndmask_b32_e64 v2, 0, 1, vcc
	v_cndmask_b32_e64 v1, v2, v1, s[0:1]
	v_and_b32_e32 v1, 1, v1
	v_add_u32_e32 v2, s16, v0
	v_add_u32_e32 v0, 0x100, v0
	global_store_byte v2, v1, s[12:13]
	s_or_b64 exec, exec, s[2:3]
	v_cmp_gt_i32_e32 vcc, s18, v0
	s_and_saveexec_b64 s[2:3], vcc
	s_cbranch_execz .LBB83_38
.LBB83_55:
	s_waitcnt vmcnt(0)
	v_cmp_eq_f64_e32 vcc, v[13:14], v[15:16]
	v_cndmask_b32_e64 v1, 0, 1, vcc
	v_cmp_neq_f64_e32 vcc, v[13:14], v[15:16]
	v_cndmask_b32_e64 v2, 0, 1, vcc
	v_cndmask_b32_e64 v1, v2, v1, s[0:1]
	v_and_b32_e32 v1, 1, v1
	v_add_u32_e32 v2, s16, v0
	v_add_u32_e32 v0, 0x100, v0
	global_store_byte v2, v1, s[12:13]
	s_or_b64 exec, exec, s[2:3]
	v_cmp_gt_i32_e32 vcc, s18, v0
	s_and_saveexec_b64 s[2:3], vcc
	s_cbranch_execz .LBB83_39
.LBB83_56:
	s_waitcnt vmcnt(0)
	v_cmp_eq_f64_e32 vcc, v[9:10], v[19:20]
	v_cndmask_b32_e64 v1, 0, 1, vcc
	v_cmp_neq_f64_e32 vcc, v[9:10], v[19:20]
	v_cndmask_b32_e64 v2, 0, 1, vcc
	v_cndmask_b32_e64 v1, v2, v1, s[0:1]
	v_and_b32_e32 v1, 1, v1
	v_add_u32_e32 v2, s16, v0
	v_add_u32_e32 v0, 0x100, v0
	global_store_byte v2, v1, s[12:13]
	s_or_b64 exec, exec, s[2:3]
	v_cmp_gt_i32_e32 vcc, s18, v0
	s_and_saveexec_b64 s[2:3], vcc
	s_cbranch_execz .LBB83_40
.LBB83_57:
	s_waitcnt vmcnt(0)
	v_cmp_eq_f64_e32 vcc, v[21:22], v[23:24]
	v_cndmask_b32_e64 v1, 0, 1, vcc
	v_cmp_neq_f64_e32 vcc, v[21:22], v[23:24]
	v_cndmask_b32_e64 v2, 0, 1, vcc
	v_cndmask_b32_e64 v1, v2, v1, s[0:1]
	v_and_b32_e32 v1, 1, v1
	v_add_u32_e32 v2, s16, v0
	v_add_u32_e32 v0, 0x100, v0
	global_store_byte v2, v1, s[12:13]
	s_or_b64 exec, exec, s[2:3]
	v_cmp_gt_i32_e32 vcc, s18, v0
	s_and_saveexec_b64 s[2:3], vcc
	s_cbranch_execz .LBB83_41
.LBB83_58:
	s_waitcnt vmcnt(0)
	v_cmp_eq_f64_e32 vcc, v[17:18], v[27:28]
	v_cndmask_b32_e64 v1, 0, 1, vcc
	v_cmp_neq_f64_e32 vcc, v[17:18], v[27:28]
	v_cndmask_b32_e64 v2, 0, 1, vcc
	v_cndmask_b32_e64 v1, v2, v1, s[0:1]
	v_and_b32_e32 v1, 1, v1
	v_add_u32_e32 v2, s16, v0
	v_add_u32_e32 v0, 0x100, v0
	global_store_byte v2, v1, s[12:13]
	s_or_b64 exec, exec, s[2:3]
	v_cmp_gt_i32_e32 vcc, s18, v0
	s_and_saveexec_b64 s[2:3], vcc
	s_cbranch_execz .LBB83_42
.LBB83_59:
	s_waitcnt vmcnt(0)
	v_cmp_eq_f64_e32 vcc, v[29:30], v[31:32]
	v_cndmask_b32_e64 v1, 0, 1, vcc
	v_cmp_neq_f64_e32 vcc, v[29:30], v[31:32]
	v_cndmask_b32_e64 v2, 0, 1, vcc
	v_cndmask_b32_e64 v1, v2, v1, s[0:1]
	v_and_b32_e32 v1, 1, v1
	v_add_u32_e32 v2, s16, v0
	v_add_u32_e32 v0, 0x100, v0
	global_store_byte v2, v1, s[12:13]
	s_or_b64 exec, exec, s[2:3]
	v_cmp_gt_i32_e32 vcc, s18, v0
	s_and_saveexec_b64 s[2:3], vcc
	s_cbranch_execz .LBB83_43
.LBB83_60:
	s_waitcnt vmcnt(0)
	v_cmp_eq_f64_e32 vcc, v[25:26], v[35:36]
	v_cndmask_b32_e64 v1, 0, 1, vcc
	v_cmp_neq_f64_e32 vcc, v[25:26], v[35:36]
	v_cndmask_b32_e64 v2, 0, 1, vcc
	v_cndmask_b32_e64 v1, v2, v1, s[0:1]
	v_and_b32_e32 v1, 1, v1
	v_add_u32_e32 v2, s16, v0
	v_add_u32_e32 v0, 0x100, v0
	global_store_byte v2, v1, s[12:13]
	s_or_b64 exec, exec, s[2:3]
	v_cmp_gt_i32_e32 vcc, s18, v0
	s_and_saveexec_b64 s[2:3], vcc
	s_cbranch_execz .LBB83_44
.LBB83_61:
	s_waitcnt vmcnt(0)
	v_cmp_eq_f64_e32 vcc, v[37:38], v[39:40]
	v_cndmask_b32_e64 v1, 0, 1, vcc
	v_cmp_neq_f64_e32 vcc, v[37:38], v[39:40]
	v_cndmask_b32_e64 v2, 0, 1, vcc
	v_cndmask_b32_e64 v1, v2, v1, s[0:1]
	v_and_b32_e32 v1, 1, v1
	v_add_u32_e32 v2, s16, v0
	v_add_u32_e32 v0, 0x100, v0
	global_store_byte v2, v1, s[12:13]
	s_or_b64 exec, exec, s[2:3]
	v_cmp_gt_i32_e32 vcc, s18, v0
	s_and_saveexec_b64 s[2:3], vcc
	s_cbranch_execz .LBB83_45
.LBB83_62:
	s_waitcnt vmcnt(0)
	v_cmp_eq_f64_e32 vcc, v[33:34], v[43:44]
	v_cndmask_b32_e64 v1, 0, 1, vcc
	v_cmp_neq_f64_e32 vcc, v[33:34], v[43:44]
	v_cndmask_b32_e64 v2, 0, 1, vcc
	v_cndmask_b32_e64 v1, v2, v1, s[0:1]
	v_and_b32_e32 v1, 1, v1
	v_add_u32_e32 v2, s16, v0
	v_add_u32_e32 v0, 0x100, v0
	global_store_byte v2, v1, s[12:13]
	s_or_b64 exec, exec, s[2:3]
	v_cmp_gt_i32_e32 vcc, s18, v0
	s_and_saveexec_b64 s[2:3], vcc
	s_cbranch_execz .LBB83_46
.LBB83_63:
	s_waitcnt vmcnt(0)
	v_cmp_eq_f64_e32 vcc, v[45:46], v[47:48]
	v_cndmask_b32_e64 v1, 0, 1, vcc
	v_cmp_neq_f64_e32 vcc, v[45:46], v[47:48]
	v_cndmask_b32_e64 v2, 0, 1, vcc
	v_cndmask_b32_e64 v1, v2, v1, s[0:1]
	v_and_b32_e32 v1, 1, v1
	v_add_u32_e32 v2, s16, v0
	v_add_u32_e32 v0, 0x100, v0
	global_store_byte v2, v1, s[12:13]
	s_or_b64 exec, exec, s[2:3]
	v_cmp_gt_i32_e32 vcc, s18, v0
	s_and_saveexec_b64 s[2:3], vcc
	s_cbranch_execz .LBB83_47
.LBB83_64:
	s_waitcnt vmcnt(0)
	v_cmp_eq_f64_e32 vcc, v[41:42], v[51:52]
	v_cndmask_b32_e64 v1, 0, 1, vcc
	v_cmp_neq_f64_e32 vcc, v[41:42], v[51:52]
	v_cndmask_b32_e64 v2, 0, 1, vcc
	v_cndmask_b32_e64 v1, v2, v1, s[0:1]
	v_and_b32_e32 v1, 1, v1
	v_add_u32_e32 v2, s16, v0
	v_add_u32_e32 v0, 0x100, v0
	global_store_byte v2, v1, s[12:13]
	s_or_b64 exec, exec, s[2:3]
	v_cmp_gt_i32_e32 vcc, s18, v0
	s_and_saveexec_b64 s[2:3], vcc
	s_cbranch_execz .LBB83_48
.LBB83_65:
	s_waitcnt vmcnt(0)
	v_cmp_eq_f64_e32 vcc, v[53:54], v[55:56]
	v_cndmask_b32_e64 v1, 0, 1, vcc
	v_cmp_neq_f64_e32 vcc, v[53:54], v[55:56]
	v_cndmask_b32_e64 v2, 0, 1, vcc
	v_cndmask_b32_e64 v1, v2, v1, s[0:1]
	v_and_b32_e32 v1, 1, v1
	v_add_u32_e32 v2, s16, v0
	v_add_u32_e32 v0, 0x100, v0
	global_store_byte v2, v1, s[12:13]
	s_or_b64 exec, exec, s[2:3]
	v_cmp_gt_i32_e32 vcc, s18, v0
	s_and_saveexec_b64 s[2:3], vcc
	s_cbranch_execz .LBB83_49
.LBB83_66:
	s_waitcnt vmcnt(0)
	v_cmp_eq_f64_e32 vcc, v[49:50], v[59:60]
	v_cndmask_b32_e64 v1, 0, 1, vcc
	v_cmp_neq_f64_e32 vcc, v[49:50], v[59:60]
	v_cndmask_b32_e64 v2, 0, 1, vcc
	v_cndmask_b32_e64 v1, v2, v1, s[0:1]
	v_and_b32_e32 v1, 1, v1
	v_add_u32_e32 v2, s16, v0
	v_add_u32_e32 v0, 0x100, v0
	global_store_byte v2, v1, s[12:13]
	s_or_b64 exec, exec, s[2:3]
	v_cmp_gt_i32_e32 vcc, s18, v0
	s_and_saveexec_b64 s[2:3], vcc
	s_cbranch_execz .LBB83_50
.LBB83_67:
	s_waitcnt vmcnt(0)
	v_cmp_eq_f64_e32 vcc, v[61:62], v[63:64]
	v_cndmask_b32_e64 v1, 0, 1, vcc
	v_cmp_neq_f64_e32 vcc, v[61:62], v[63:64]
	v_cndmask_b32_e64 v2, 0, 1, vcc
	v_cndmask_b32_e64 v1, v2, v1, s[0:1]
	v_and_b32_e32 v1, 1, v1
	v_add_u32_e32 v2, s16, v0
	v_add_u32_e32 v0, 0x100, v0
	global_store_byte v2, v1, s[12:13]
	s_or_b64 exec, exec, s[2:3]
	v_cmp_gt_i32_e32 vcc, s18, v0
	s_and_saveexec_b64 s[2:3], vcc
	s_cbranch_execnz .LBB83_51
	s_branch .LBB83_52
	.section	.rodata,"a",@progbits
	.p2align	6, 0x0
	.amdhsa_kernel _ZN2at6native29vectorized_elementwise_kernelILi2ENS0_13BinaryFunctorIddbNS0_12_GLOBAL__N_116CompareEqFunctorIdEEEESt5arrayIPcLm3EEEEviT0_T1_
		.amdhsa_group_segment_fixed_size 0
		.amdhsa_private_segment_fixed_size 0
		.amdhsa_kernarg_size 32
		.amdhsa_user_sgpr_count 6
		.amdhsa_user_sgpr_private_segment_buffer 1
		.amdhsa_user_sgpr_dispatch_ptr 0
		.amdhsa_user_sgpr_queue_ptr 0
		.amdhsa_user_sgpr_kernarg_segment_ptr 1
		.amdhsa_user_sgpr_dispatch_id 0
		.amdhsa_user_sgpr_flat_scratch_init 0
		.amdhsa_user_sgpr_private_segment_size 0
		.amdhsa_uses_dynamic_stack 0
		.amdhsa_system_sgpr_private_segment_wavefront_offset 0
		.amdhsa_system_sgpr_workgroup_id_x 1
		.amdhsa_system_sgpr_workgroup_id_y 0
		.amdhsa_system_sgpr_workgroup_id_z 0
		.amdhsa_system_sgpr_workgroup_info 0
		.amdhsa_system_vgpr_workitem_id 0
		.amdhsa_next_free_vgpr 71
		.amdhsa_next_free_sgpr 23
		.amdhsa_reserve_vcc 1
		.amdhsa_reserve_flat_scratch 0
		.amdhsa_float_round_mode_32 0
		.amdhsa_float_round_mode_16_64 0
		.amdhsa_float_denorm_mode_32 3
		.amdhsa_float_denorm_mode_16_64 3
		.amdhsa_dx10_clamp 1
		.amdhsa_ieee_mode 1
		.amdhsa_fp16_overflow 0
		.amdhsa_exception_fp_ieee_invalid_op 0
		.amdhsa_exception_fp_denorm_src 0
		.amdhsa_exception_fp_ieee_div_zero 0
		.amdhsa_exception_fp_ieee_overflow 0
		.amdhsa_exception_fp_ieee_underflow 0
		.amdhsa_exception_fp_ieee_inexact 0
		.amdhsa_exception_int_div_zero 0
	.end_amdhsa_kernel
	.section	.text._ZN2at6native29vectorized_elementwise_kernelILi2ENS0_13BinaryFunctorIddbNS0_12_GLOBAL__N_116CompareEqFunctorIdEEEESt5arrayIPcLm3EEEEviT0_T1_,"axG",@progbits,_ZN2at6native29vectorized_elementwise_kernelILi2ENS0_13BinaryFunctorIddbNS0_12_GLOBAL__N_116CompareEqFunctorIdEEEESt5arrayIPcLm3EEEEviT0_T1_,comdat
.Lfunc_end83:
	.size	_ZN2at6native29vectorized_elementwise_kernelILi2ENS0_13BinaryFunctorIddbNS0_12_GLOBAL__N_116CompareEqFunctorIdEEEESt5arrayIPcLm3EEEEviT0_T1_, .Lfunc_end83-_ZN2at6native29vectorized_elementwise_kernelILi2ENS0_13BinaryFunctorIddbNS0_12_GLOBAL__N_116CompareEqFunctorIdEEEESt5arrayIPcLm3EEEEviT0_T1_
                                        ; -- End function
	.set _ZN2at6native29vectorized_elementwise_kernelILi2ENS0_13BinaryFunctorIddbNS0_12_GLOBAL__N_116CompareEqFunctorIdEEEESt5arrayIPcLm3EEEEviT0_T1_.num_vgpr, 71
	.set _ZN2at6native29vectorized_elementwise_kernelILi2ENS0_13BinaryFunctorIddbNS0_12_GLOBAL__N_116CompareEqFunctorIdEEEESt5arrayIPcLm3EEEEviT0_T1_.num_agpr, 0
	.set _ZN2at6native29vectorized_elementwise_kernelILi2ENS0_13BinaryFunctorIddbNS0_12_GLOBAL__N_116CompareEqFunctorIdEEEESt5arrayIPcLm3EEEEviT0_T1_.numbered_sgpr, 23
	.set _ZN2at6native29vectorized_elementwise_kernelILi2ENS0_13BinaryFunctorIddbNS0_12_GLOBAL__N_116CompareEqFunctorIdEEEESt5arrayIPcLm3EEEEviT0_T1_.num_named_barrier, 0
	.set _ZN2at6native29vectorized_elementwise_kernelILi2ENS0_13BinaryFunctorIddbNS0_12_GLOBAL__N_116CompareEqFunctorIdEEEESt5arrayIPcLm3EEEEviT0_T1_.private_seg_size, 0
	.set _ZN2at6native29vectorized_elementwise_kernelILi2ENS0_13BinaryFunctorIddbNS0_12_GLOBAL__N_116CompareEqFunctorIdEEEESt5arrayIPcLm3EEEEviT0_T1_.uses_vcc, 1
	.set _ZN2at6native29vectorized_elementwise_kernelILi2ENS0_13BinaryFunctorIddbNS0_12_GLOBAL__N_116CompareEqFunctorIdEEEESt5arrayIPcLm3EEEEviT0_T1_.uses_flat_scratch, 0
	.set _ZN2at6native29vectorized_elementwise_kernelILi2ENS0_13BinaryFunctorIddbNS0_12_GLOBAL__N_116CompareEqFunctorIdEEEESt5arrayIPcLm3EEEEviT0_T1_.has_dyn_sized_stack, 0
	.set _ZN2at6native29vectorized_elementwise_kernelILi2ENS0_13BinaryFunctorIddbNS0_12_GLOBAL__N_116CompareEqFunctorIdEEEESt5arrayIPcLm3EEEEviT0_T1_.has_recursion, 0
	.set _ZN2at6native29vectorized_elementwise_kernelILi2ENS0_13BinaryFunctorIddbNS0_12_GLOBAL__N_116CompareEqFunctorIdEEEESt5arrayIPcLm3EEEEviT0_T1_.has_indirect_call, 0
	.section	.AMDGPU.csdata,"",@progbits
; Kernel info:
; codeLenInByte = 4644
; TotalNumSgprs: 27
; NumVgprs: 71
; ScratchSize: 0
; MemoryBound: 0
; FloatMode: 240
; IeeeMode: 1
; LDSByteSize: 0 bytes/workgroup (compile time only)
; SGPRBlocks: 3
; VGPRBlocks: 17
; NumSGPRsForWavesPerEU: 27
; NumVGPRsForWavesPerEU: 71
; Occupancy: 3
; WaveLimiterHint : 1
; COMPUTE_PGM_RSRC2:SCRATCH_EN: 0
; COMPUTE_PGM_RSRC2:USER_SGPR: 6
; COMPUTE_PGM_RSRC2:TRAP_HANDLER: 0
; COMPUTE_PGM_RSRC2:TGID_X_EN: 1
; COMPUTE_PGM_RSRC2:TGID_Y_EN: 0
; COMPUTE_PGM_RSRC2:TGID_Z_EN: 0
; COMPUTE_PGM_RSRC2:TIDIG_COMP_CNT: 0
	.section	.text._ZN2at6native27unrolled_elementwise_kernelINS0_13BinaryFunctorIddbNS0_12_GLOBAL__N_116CompareEqFunctorIdEEEESt5arrayIPcLm3EELi4E23TrivialOffsetCalculatorILi2EjESA_ILi1EjENS0_6memory15LoadWithoutCastENSD_16StoreWithoutCastEEEviT_T0_T2_T3_T4_T5_,"axG",@progbits,_ZN2at6native27unrolled_elementwise_kernelINS0_13BinaryFunctorIddbNS0_12_GLOBAL__N_116CompareEqFunctorIdEEEESt5arrayIPcLm3EELi4E23TrivialOffsetCalculatorILi2EjESA_ILi1EjENS0_6memory15LoadWithoutCastENSD_16StoreWithoutCastEEEviT_T0_T2_T3_T4_T5_,comdat
	.globl	_ZN2at6native27unrolled_elementwise_kernelINS0_13BinaryFunctorIddbNS0_12_GLOBAL__N_116CompareEqFunctorIdEEEESt5arrayIPcLm3EELi4E23TrivialOffsetCalculatorILi2EjESA_ILi1EjENS0_6memory15LoadWithoutCastENSD_16StoreWithoutCastEEEviT_T0_T2_T3_T4_T5_ ; -- Begin function _ZN2at6native27unrolled_elementwise_kernelINS0_13BinaryFunctorIddbNS0_12_GLOBAL__N_116CompareEqFunctorIdEEEESt5arrayIPcLm3EELi4E23TrivialOffsetCalculatorILi2EjESA_ILi1EjENS0_6memory15LoadWithoutCastENSD_16StoreWithoutCastEEEviT_T0_T2_T3_T4_T5_
	.p2align	8
	.type	_ZN2at6native27unrolled_elementwise_kernelINS0_13BinaryFunctorIddbNS0_12_GLOBAL__N_116CompareEqFunctorIdEEEESt5arrayIPcLm3EELi4E23TrivialOffsetCalculatorILi2EjESA_ILi1EjENS0_6memory15LoadWithoutCastENSD_16StoreWithoutCastEEEviT_T0_T2_T3_T4_T5_,@function
_ZN2at6native27unrolled_elementwise_kernelINS0_13BinaryFunctorIddbNS0_12_GLOBAL__N_116CompareEqFunctorIdEEEESt5arrayIPcLm3EELi4E23TrivialOffsetCalculatorILi2EjESA_ILi1EjENS0_6memory15LoadWithoutCastENSD_16StoreWithoutCastEEEviT_T0_T2_T3_T4_T5_: ; @_ZN2at6native27unrolled_elementwise_kernelINS0_13BinaryFunctorIddbNS0_12_GLOBAL__N_116CompareEqFunctorIdEEEESt5arrayIPcLm3EELi4E23TrivialOffsetCalculatorILi2EjESA_ILi1EjENS0_6memory15LoadWithoutCastENSD_16StoreWithoutCastEEEviT_T0_T2_T3_T4_T5_
; %bb.0:
	s_load_dwordx2 s[2:3], s[4:5], 0x0
	s_load_dwordx4 s[8:11], s[4:5], 0x8
	s_load_dwordx2 s[12:13], s[4:5], 0x18
	s_lshl_b32 s6, s6, 10
	v_mov_b32_e32 v3, 0
	s_waitcnt lgkmcnt(0)
	s_sub_i32 s7, s2, s6
	v_mov_b32_e32 v5, 0
	v_mov_b32_e32 v7, 0
	v_cmp_gt_i32_e32 vcc, s7, v0
	v_mov_b32_e32 v4, 0
	v_or_b32_e32 v1, s6, v0
	v_mov_b32_e32 v6, 0
	v_mov_b32_e32 v8, 0
	;; [unrolled: 1-line block ×3, first 2 shown]
	s_and_saveexec_b64 s[4:5], vcc
	s_cbranch_execz .LBB84_2
; %bb.1:
	v_mov_b32_e32 v2, 0
	v_lshlrev_b64 v[5:6], 3, v[1:2]
	v_mov_b32_e32 v2, s11
	v_add_co_u32_e64 v9, s[0:1], s10, v5
	v_addc_co_u32_e64 v10, s[0:1], v2, v6, s[0:1]
	v_mov_b32_e32 v2, s13
	v_add_co_u32_e64 v11, s[0:1], s12, v5
	v_addc_co_u32_e64 v12, s[0:1], v2, v6, s[0:1]
	global_load_dwordx2 v[5:6], v[9:10], off
	global_load_dwordx2 v[7:8], v[11:12], off
	v_or_b32_e32 v2, 0x100, v0
.LBB84_2:
	s_or_b64 exec, exec, s[4:5]
	v_mov_b32_e32 v11, 0
	v_mov_b32_e32 v12, 0
	v_cmp_gt_i32_e64 s[0:1], s7, v2
	s_and_saveexec_b64 s[4:5], s[0:1]
	s_cbranch_execz .LBB84_4
; %bb.3:
	v_add_u32_e32 v3, s6, v2
	v_mov_b32_e32 v4, 0
	v_lshlrev_b64 v[3:4], 3, v[3:4]
	v_mov_b32_e32 v10, s11
	v_add_co_u32_e64 v9, s[0:1], s10, v3
	v_addc_co_u32_e64 v10, s[0:1], v10, v4, s[0:1]
	v_mov_b32_e32 v11, s13
	v_add_co_u32_e64 v13, s[0:1], s12, v3
	v_addc_co_u32_e64 v14, s[0:1], v11, v4, s[0:1]
	global_load_dwordx2 v[3:4], v[9:10], off
	global_load_dwordx2 v[11:12], v[13:14], off
	v_add_u32_e32 v2, 0x100, v2
.LBB84_4:
	s_or_b64 exec, exec, s[4:5]
	v_mov_b32_e32 v9, 0
	v_mov_b32_e32 v13, 0
	;; [unrolled: 1-line block ×6, first 2 shown]
	v_cmp_gt_i32_e64 s[0:1], s7, v2
	s_and_saveexec_b64 s[4:5], s[0:1]
	s_cbranch_execz .LBB84_6
; %bb.5:
	v_add_u32_e32 v13, s6, v2
	v_mov_b32_e32 v14, 0
	v_lshlrev_b64 v[13:14], 3, v[13:14]
	v_mov_b32_e32 v15, s11
	v_add_co_u32_e64 v17, s[0:1], s10, v13
	v_addc_co_u32_e64 v18, s[0:1], v15, v14, s[0:1]
	v_mov_b32_e32 v15, s13
	v_add_co_u32_e64 v19, s[0:1], s12, v13
	v_addc_co_u32_e64 v20, s[0:1], v15, v14, s[0:1]
	global_load_dwordx2 v[13:14], v[17:18], off
	global_load_dwordx2 v[15:16], v[19:20], off
	v_add_u32_e32 v2, 0x100, v2
.LBB84_6:
	s_or_b64 exec, exec, s[4:5]
	v_mov_b32_e32 v17, 0
	v_mov_b32_e32 v18, 0
	v_cmp_gt_i32_e64 s[0:1], s7, v2
	s_and_saveexec_b64 s[4:5], s[0:1]
	s_cbranch_execz .LBB84_8
; %bb.7:
	v_add_u32_e32 v9, s6, v2
	v_mov_b32_e32 v10, 0
	v_lshlrev_b64 v[9:10], 3, v[9:10]
	v_mov_b32_e32 v2, s11
	v_add_co_u32_e64 v19, s[0:1], s10, v9
	v_addc_co_u32_e64 v20, s[0:1], v2, v10, s[0:1]
	v_mov_b32_e32 v2, s13
	v_add_co_u32_e64 v21, s[0:1], s12, v9
	v_addc_co_u32_e64 v22, s[0:1], v2, v10, s[0:1]
	global_load_dwordx2 v[9:10], v[19:20], off
	global_load_dwordx2 v[17:18], v[21:22], off
.LBB84_8:
	s_or_b64 exec, exec, s[4:5]
	s_cmp_eq_u32 s3, 0
	s_cselect_b64 s[0:1], -1, 0
	s_and_saveexec_b64 s[2:3], vcc
	s_cbranch_execnz .LBB84_13
; %bb.9:
	s_or_b64 exec, exec, s[2:3]
	v_cmp_gt_i32_e32 vcc, s7, v0
	s_and_saveexec_b64 s[2:3], vcc
	s_cbranch_execnz .LBB84_14
.LBB84_10:
	s_or_b64 exec, exec, s[2:3]
	v_cmp_gt_i32_e32 vcc, s7, v0
	s_and_saveexec_b64 s[2:3], vcc
	s_cbranch_execnz .LBB84_15
.LBB84_11:
	s_or_b64 exec, exec, s[2:3]
	v_cmp_gt_i32_e32 vcc, s7, v0
	s_and_saveexec_b64 s[2:3], vcc
	s_cbranch_execnz .LBB84_16
.LBB84_12:
	s_endpgm
.LBB84_13:
	s_waitcnt vmcnt(0)
	v_cmp_eq_f64_e32 vcc, v[5:6], v[7:8]
	v_or_b32_e32 v0, 0x100, v0
	v_cndmask_b32_e64 v2, 0, 1, vcc
	v_cmp_neq_f64_e32 vcc, v[5:6], v[7:8]
	v_cndmask_b32_e64 v5, 0, 1, vcc
	v_cndmask_b32_e64 v2, v5, v2, s[0:1]
	v_and_b32_e32 v2, 1, v2
	global_store_byte v1, v2, s[8:9]
	s_or_b64 exec, exec, s[2:3]
	v_cmp_gt_i32_e32 vcc, s7, v0
	s_and_saveexec_b64 s[2:3], vcc
	s_cbranch_execz .LBB84_10
.LBB84_14:
	s_waitcnt vmcnt(0)
	v_cmp_eq_f64_e32 vcc, v[3:4], v[11:12]
	v_cndmask_b32_e64 v1, 0, 1, vcc
	v_cmp_neq_f64_e32 vcc, v[3:4], v[11:12]
	v_cndmask_b32_e64 v2, 0, 1, vcc
	v_cndmask_b32_e64 v1, v2, v1, s[0:1]
	v_and_b32_e32 v1, 1, v1
	v_add_u32_e32 v2, 0x100, v0
	v_add_u32_e32 v0, s6, v0
	global_store_byte v0, v1, s[8:9]
	v_mov_b32_e32 v0, v2
	s_or_b64 exec, exec, s[2:3]
	v_cmp_gt_i32_e32 vcc, s7, v0
	s_and_saveexec_b64 s[2:3], vcc
	s_cbranch_execz .LBB84_11
.LBB84_15:
	s_waitcnt vmcnt(0)
	v_cmp_eq_f64_e32 vcc, v[13:14], v[15:16]
	v_cndmask_b32_e64 v1, 0, 1, vcc
	v_cmp_neq_f64_e32 vcc, v[13:14], v[15:16]
	v_cndmask_b32_e64 v2, 0, 1, vcc
	v_cndmask_b32_e64 v1, v2, v1, s[0:1]
	v_and_b32_e32 v1, 1, v1
	v_add_u32_e32 v2, 0x100, v0
	v_add_u32_e32 v0, s6, v0
	global_store_byte v0, v1, s[8:9]
	v_mov_b32_e32 v0, v2
	s_or_b64 exec, exec, s[2:3]
	v_cmp_gt_i32_e32 vcc, s7, v0
	s_and_saveexec_b64 s[2:3], vcc
	s_cbranch_execz .LBB84_12
.LBB84_16:
	s_waitcnt vmcnt(0)
	v_cmp_eq_f64_e32 vcc, v[9:10], v[17:18]
	v_add_u32_e32 v0, s6, v0
	v_cndmask_b32_e64 v1, 0, 1, vcc
	v_cmp_neq_f64_e32 vcc, v[9:10], v[17:18]
	v_cndmask_b32_e64 v2, 0, 1, vcc
	v_cndmask_b32_e64 v1, v2, v1, s[0:1]
	v_and_b32_e32 v1, 1, v1
	global_store_byte v0, v1, s[8:9]
	s_endpgm
	.section	.rodata,"a",@progbits
	.p2align	6, 0x0
	.amdhsa_kernel _ZN2at6native27unrolled_elementwise_kernelINS0_13BinaryFunctorIddbNS0_12_GLOBAL__N_116CompareEqFunctorIdEEEESt5arrayIPcLm3EELi4E23TrivialOffsetCalculatorILi2EjESA_ILi1EjENS0_6memory15LoadWithoutCastENSD_16StoreWithoutCastEEEviT_T0_T2_T3_T4_T5_
		.amdhsa_group_segment_fixed_size 0
		.amdhsa_private_segment_fixed_size 0
		.amdhsa_kernarg_size 36
		.amdhsa_user_sgpr_count 6
		.amdhsa_user_sgpr_private_segment_buffer 1
		.amdhsa_user_sgpr_dispatch_ptr 0
		.amdhsa_user_sgpr_queue_ptr 0
		.amdhsa_user_sgpr_kernarg_segment_ptr 1
		.amdhsa_user_sgpr_dispatch_id 0
		.amdhsa_user_sgpr_flat_scratch_init 0
		.amdhsa_user_sgpr_private_segment_size 0
		.amdhsa_uses_dynamic_stack 0
		.amdhsa_system_sgpr_private_segment_wavefront_offset 0
		.amdhsa_system_sgpr_workgroup_id_x 1
		.amdhsa_system_sgpr_workgroup_id_y 0
		.amdhsa_system_sgpr_workgroup_id_z 0
		.amdhsa_system_sgpr_workgroup_info 0
		.amdhsa_system_vgpr_workitem_id 0
		.amdhsa_next_free_vgpr 23
		.amdhsa_next_free_sgpr 14
		.amdhsa_reserve_vcc 1
		.amdhsa_reserve_flat_scratch 0
		.amdhsa_float_round_mode_32 0
		.amdhsa_float_round_mode_16_64 0
		.amdhsa_float_denorm_mode_32 3
		.amdhsa_float_denorm_mode_16_64 3
		.amdhsa_dx10_clamp 1
		.amdhsa_ieee_mode 1
		.amdhsa_fp16_overflow 0
		.amdhsa_exception_fp_ieee_invalid_op 0
		.amdhsa_exception_fp_denorm_src 0
		.amdhsa_exception_fp_ieee_div_zero 0
		.amdhsa_exception_fp_ieee_overflow 0
		.amdhsa_exception_fp_ieee_underflow 0
		.amdhsa_exception_fp_ieee_inexact 0
		.amdhsa_exception_int_div_zero 0
	.end_amdhsa_kernel
	.section	.text._ZN2at6native27unrolled_elementwise_kernelINS0_13BinaryFunctorIddbNS0_12_GLOBAL__N_116CompareEqFunctorIdEEEESt5arrayIPcLm3EELi4E23TrivialOffsetCalculatorILi2EjESA_ILi1EjENS0_6memory15LoadWithoutCastENSD_16StoreWithoutCastEEEviT_T0_T2_T3_T4_T5_,"axG",@progbits,_ZN2at6native27unrolled_elementwise_kernelINS0_13BinaryFunctorIddbNS0_12_GLOBAL__N_116CompareEqFunctorIdEEEESt5arrayIPcLm3EELi4E23TrivialOffsetCalculatorILi2EjESA_ILi1EjENS0_6memory15LoadWithoutCastENSD_16StoreWithoutCastEEEviT_T0_T2_T3_T4_T5_,comdat
.Lfunc_end84:
	.size	_ZN2at6native27unrolled_elementwise_kernelINS0_13BinaryFunctorIddbNS0_12_GLOBAL__N_116CompareEqFunctorIdEEEESt5arrayIPcLm3EELi4E23TrivialOffsetCalculatorILi2EjESA_ILi1EjENS0_6memory15LoadWithoutCastENSD_16StoreWithoutCastEEEviT_T0_T2_T3_T4_T5_, .Lfunc_end84-_ZN2at6native27unrolled_elementwise_kernelINS0_13BinaryFunctorIddbNS0_12_GLOBAL__N_116CompareEqFunctorIdEEEESt5arrayIPcLm3EELi4E23TrivialOffsetCalculatorILi2EjESA_ILi1EjENS0_6memory15LoadWithoutCastENSD_16StoreWithoutCastEEEviT_T0_T2_T3_T4_T5_
                                        ; -- End function
	.set _ZN2at6native27unrolled_elementwise_kernelINS0_13BinaryFunctorIddbNS0_12_GLOBAL__N_116CompareEqFunctorIdEEEESt5arrayIPcLm3EELi4E23TrivialOffsetCalculatorILi2EjESA_ILi1EjENS0_6memory15LoadWithoutCastENSD_16StoreWithoutCastEEEviT_T0_T2_T3_T4_T5_.num_vgpr, 23
	.set _ZN2at6native27unrolled_elementwise_kernelINS0_13BinaryFunctorIddbNS0_12_GLOBAL__N_116CompareEqFunctorIdEEEESt5arrayIPcLm3EELi4E23TrivialOffsetCalculatorILi2EjESA_ILi1EjENS0_6memory15LoadWithoutCastENSD_16StoreWithoutCastEEEviT_T0_T2_T3_T4_T5_.num_agpr, 0
	.set _ZN2at6native27unrolled_elementwise_kernelINS0_13BinaryFunctorIddbNS0_12_GLOBAL__N_116CompareEqFunctorIdEEEESt5arrayIPcLm3EELi4E23TrivialOffsetCalculatorILi2EjESA_ILi1EjENS0_6memory15LoadWithoutCastENSD_16StoreWithoutCastEEEviT_T0_T2_T3_T4_T5_.numbered_sgpr, 14
	.set _ZN2at6native27unrolled_elementwise_kernelINS0_13BinaryFunctorIddbNS0_12_GLOBAL__N_116CompareEqFunctorIdEEEESt5arrayIPcLm3EELi4E23TrivialOffsetCalculatorILi2EjESA_ILi1EjENS0_6memory15LoadWithoutCastENSD_16StoreWithoutCastEEEviT_T0_T2_T3_T4_T5_.num_named_barrier, 0
	.set _ZN2at6native27unrolled_elementwise_kernelINS0_13BinaryFunctorIddbNS0_12_GLOBAL__N_116CompareEqFunctorIdEEEESt5arrayIPcLm3EELi4E23TrivialOffsetCalculatorILi2EjESA_ILi1EjENS0_6memory15LoadWithoutCastENSD_16StoreWithoutCastEEEviT_T0_T2_T3_T4_T5_.private_seg_size, 0
	.set _ZN2at6native27unrolled_elementwise_kernelINS0_13BinaryFunctorIddbNS0_12_GLOBAL__N_116CompareEqFunctorIdEEEESt5arrayIPcLm3EELi4E23TrivialOffsetCalculatorILi2EjESA_ILi1EjENS0_6memory15LoadWithoutCastENSD_16StoreWithoutCastEEEviT_T0_T2_T3_T4_T5_.uses_vcc, 1
	.set _ZN2at6native27unrolled_elementwise_kernelINS0_13BinaryFunctorIddbNS0_12_GLOBAL__N_116CompareEqFunctorIdEEEESt5arrayIPcLm3EELi4E23TrivialOffsetCalculatorILi2EjESA_ILi1EjENS0_6memory15LoadWithoutCastENSD_16StoreWithoutCastEEEviT_T0_T2_T3_T4_T5_.uses_flat_scratch, 0
	.set _ZN2at6native27unrolled_elementwise_kernelINS0_13BinaryFunctorIddbNS0_12_GLOBAL__N_116CompareEqFunctorIdEEEESt5arrayIPcLm3EELi4E23TrivialOffsetCalculatorILi2EjESA_ILi1EjENS0_6memory15LoadWithoutCastENSD_16StoreWithoutCastEEEviT_T0_T2_T3_T4_T5_.has_dyn_sized_stack, 0
	.set _ZN2at6native27unrolled_elementwise_kernelINS0_13BinaryFunctorIddbNS0_12_GLOBAL__N_116CompareEqFunctorIdEEEESt5arrayIPcLm3EELi4E23TrivialOffsetCalculatorILi2EjESA_ILi1EjENS0_6memory15LoadWithoutCastENSD_16StoreWithoutCastEEEviT_T0_T2_T3_T4_T5_.has_recursion, 0
	.set _ZN2at6native27unrolled_elementwise_kernelINS0_13BinaryFunctorIddbNS0_12_GLOBAL__N_116CompareEqFunctorIdEEEESt5arrayIPcLm3EELi4E23TrivialOffsetCalculatorILi2EjESA_ILi1EjENS0_6memory15LoadWithoutCastENSD_16StoreWithoutCastEEEviT_T0_T2_T3_T4_T5_.has_indirect_call, 0
	.section	.AMDGPU.csdata,"",@progbits
; Kernel info:
; codeLenInByte = 848
; TotalNumSgprs: 18
; NumVgprs: 23
; ScratchSize: 0
; MemoryBound: 0
; FloatMode: 240
; IeeeMode: 1
; LDSByteSize: 0 bytes/workgroup (compile time only)
; SGPRBlocks: 2
; VGPRBlocks: 5
; NumSGPRsForWavesPerEU: 18
; NumVGPRsForWavesPerEU: 23
; Occupancy: 10
; WaveLimiterHint : 0
; COMPUTE_PGM_RSRC2:SCRATCH_EN: 0
; COMPUTE_PGM_RSRC2:USER_SGPR: 6
; COMPUTE_PGM_RSRC2:TRAP_HANDLER: 0
; COMPUTE_PGM_RSRC2:TGID_X_EN: 1
; COMPUTE_PGM_RSRC2:TGID_Y_EN: 0
; COMPUTE_PGM_RSRC2:TGID_Z_EN: 0
; COMPUTE_PGM_RSRC2:TIDIG_COMP_CNT: 0
	.section	.text._ZN2at6native32elementwise_kernel_manual_unrollILi128ELi8EZNS0_22gpu_kernel_impl_nocastINS0_13BinaryFunctorIddbNS0_12_GLOBAL__N_116CompareEqFunctorIdEEEEEEvRNS_18TensorIteratorBaseERKT_EUlibE_EEviT1_,"axG",@progbits,_ZN2at6native32elementwise_kernel_manual_unrollILi128ELi8EZNS0_22gpu_kernel_impl_nocastINS0_13BinaryFunctorIddbNS0_12_GLOBAL__N_116CompareEqFunctorIdEEEEEEvRNS_18TensorIteratorBaseERKT_EUlibE_EEviT1_,comdat
	.globl	_ZN2at6native32elementwise_kernel_manual_unrollILi128ELi8EZNS0_22gpu_kernel_impl_nocastINS0_13BinaryFunctorIddbNS0_12_GLOBAL__N_116CompareEqFunctorIdEEEEEEvRNS_18TensorIteratorBaseERKT_EUlibE_EEviT1_ ; -- Begin function _ZN2at6native32elementwise_kernel_manual_unrollILi128ELi8EZNS0_22gpu_kernel_impl_nocastINS0_13BinaryFunctorIddbNS0_12_GLOBAL__N_116CompareEqFunctorIdEEEEEEvRNS_18TensorIteratorBaseERKT_EUlibE_EEviT1_
	.p2align	8
	.type	_ZN2at6native32elementwise_kernel_manual_unrollILi128ELi8EZNS0_22gpu_kernel_impl_nocastINS0_13BinaryFunctorIddbNS0_12_GLOBAL__N_116CompareEqFunctorIdEEEEEEvRNS_18TensorIteratorBaseERKT_EUlibE_EEviT1_,@function
_ZN2at6native32elementwise_kernel_manual_unrollILi128ELi8EZNS0_22gpu_kernel_impl_nocastINS0_13BinaryFunctorIddbNS0_12_GLOBAL__N_116CompareEqFunctorIdEEEEEEvRNS_18TensorIteratorBaseERKT_EUlibE_EEviT1_: ; @_ZN2at6native32elementwise_kernel_manual_unrollILi128ELi8EZNS0_22gpu_kernel_impl_nocastINS0_13BinaryFunctorIddbNS0_12_GLOBAL__N_116CompareEqFunctorIdEEEEEEvRNS_18TensorIteratorBaseERKT_EUlibE_EEviT1_
; %bb.0:
	s_load_dword s38, s[4:5], 0x0
	s_load_dword s33, s[4:5], 0x8
	s_add_u32 s16, s4, 8
	s_addc_u32 s17, s5, 0
	v_lshl_or_b32 v31, s6, 10, v0
	v_or_b32_e32 v41, 0x380, v31
	s_waitcnt lgkmcnt(0)
	s_add_i32 s36, s33, -1
	s_cmp_gt_u32 s36, 1
	v_cmp_le_i32_e32 vcc, s38, v41
	s_cselect_b64 s[2:3], -1, 0
	s_and_saveexec_b64 s[0:1], vcc
	s_xor_b64 s[18:19], exec, s[0:1]
	s_cbranch_execz .LBB85_106
; %bb.1:
	s_load_dwordx4 s[12:15], s[16:17], 0x4
	s_load_dwordx2 s[24:25], s[16:17], 0x14
	s_load_dwordx4 s[8:11], s[16:17], 0xc4
	s_load_dwordx2 s[22:23], s[16:17], 0xd4
	s_load_dword s0, s[16:17], 0x1a0
	s_cmp_lg_u32 s33, 0
	s_load_dwordx2 s[20:21], s[16:17], 0x198
	s_load_dwordx4 s[4:7], s[16:17], 0x188
	s_cselect_b64 s[28:29], -1, 0
	s_min_u32 s37, s36, 15
	s_cmp_gt_u32 s33, 1
	s_cselect_b64 s[26:27], -1, 0
	s_waitcnt lgkmcnt(0)
	s_cmp_eq_u32 s0, 0
	s_cselect_b64 s[0:1], -1, 0
	v_cmp_gt_i32_e32 vcc, s38, v31
	s_and_saveexec_b64 s[30:31], vcc
	s_cbranch_execnz .LBB85_9
; %bb.2:
	s_or_b64 exec, exec, s[30:31]
	v_cmp_gt_i32_e32 vcc, s38, v31
	s_and_saveexec_b64 s[30:31], vcc
	s_cbranch_execnz .LBB85_21
.LBB85_3:
	s_or_b64 exec, exec, s[30:31]
	v_cmp_gt_i32_e32 vcc, s38, v31
	s_and_saveexec_b64 s[30:31], vcc
	s_cbranch_execnz .LBB85_33
.LBB85_4:
	s_or_b64 exec, exec, s[30:31]
	v_cmp_gt_i32_e32 vcc, s38, v31
	s_and_saveexec_b64 s[30:31], vcc
	s_cbranch_execnz .LBB85_45
.LBB85_5:
	s_or_b64 exec, exec, s[30:31]
	v_cmp_gt_i32_e32 vcc, s38, v31
	s_and_saveexec_b64 s[30:31], vcc
	s_cbranch_execnz .LBB85_57
.LBB85_6:
	s_or_b64 exec, exec, s[30:31]
	v_cmp_gt_i32_e32 vcc, s38, v31
	s_and_saveexec_b64 s[30:31], vcc
	s_cbranch_execnz .LBB85_69
.LBB85_7:
	s_or_b64 exec, exec, s[30:31]
	v_cmp_gt_i32_e32 vcc, s38, v31
	s_and_saveexec_b64 s[30:31], vcc
	s_cbranch_execnz .LBB85_81
.LBB85_8:
	s_or_b64 exec, exec, s[30:31]
	v_cmp_gt_i32_e32 vcc, s38, v31
	s_and_saveexec_b64 s[30:31], vcc
	s_cbranch_execnz .LBB85_93
	s_branch .LBB85_105
.LBB85_9:
	s_andn2_b64 vcc, exec, s[2:3]
	s_cbranch_vccnz .LBB85_15
; %bb.10:
	s_andn2_b64 vcc, exec, s[28:29]
	s_cbranch_vccnz .LBB85_16
; %bb.11:
	s_add_i32 s34, s37, 1
	s_and_b32 s39, s34, 30
	s_add_u32 s34, s16, 0xffffffe8
	s_addc_u32 s35, s17, -1
	v_mov_b32_e32 v2, 0
	v_mov_b32_e32 v4, 0
	;; [unrolled: 1-line block ×4, first 2 shown]
.LBB85_12:                              ; =>This Inner Loop Header: Depth=1
	s_load_dwordx4 s[40:43], s[34:35], 0x1c
	s_load_dwordx2 s[48:49], s[34:35], 0x2c
	s_load_dwordx2 s[50:51], s[34:35], 0xec
	s_load_dwordx4 s[44:47], s[34:35], 0xdc
	s_add_u32 s34, s34, 24
	s_waitcnt lgkmcnt(0)
	v_mul_hi_u32 v3, s41, v1
	s_addc_u32 s35, s35, 0
	s_add_i32 s39, s39, -2
	s_cmp_lg_u32 s39, 0
	v_add_u32_e32 v3, v1, v3
	v_lshrrev_b32_e32 v3, s42, v3
	v_mul_lo_u32 v5, v3, s40
	v_mul_hi_u32 v6, s48, v3
	v_sub_u32_e32 v5, v1, v5
	v_add_u32_e32 v1, v3, v6
	v_lshrrev_b32_e32 v1, s49, v1
	v_mul_lo_u32 v8, v1, s43
	v_mul_lo_u32 v6, v5, s44
	;; [unrolled: 1-line block ×4, first 2 shown]
	v_sub_u32_e32 v3, v3, v8
	v_mul_lo_u32 v8, v3, s47
	v_mul_lo_u32 v9, v3, s50
	;; [unrolled: 1-line block ×3, first 2 shown]
	v_add3_u32 v0, v6, v0, v8
	v_add3_u32 v4, v7, v4, v9
	;; [unrolled: 1-line block ×3, first 2 shown]
	s_cbranch_scc1 .LBB85_12
; %bb.13:
	s_bitcmp1_b32 s37, 0
	s_cselect_b64 s[40:41], -1, 0
	s_and_b64 vcc, exec, s[40:41]
	s_cbranch_vccnz .LBB85_17
; %bb.14:
	s_load_dwordx2 s[40:41], s[34:35], 0x1c
	s_load_dword s39, s[34:35], 0x24
	s_load_dwordx2 s[42:43], s[34:35], 0xdc
	s_waitcnt lgkmcnt(0)
	v_mul_hi_u32 v3, s41, v1
	v_add_u32_e32 v3, v1, v3
	v_lshrrev_b32_e32 v3, s39, v3
	v_mul_lo_u32 v3, v3, s40
	s_load_dword s39, s[34:35], 0xe4
	v_sub_u32_e32 v3, v1, v3
	v_mad_u64_u32 v[0:1], s[34:35], v3, s42, v[0:1]
	v_mad_u64_u32 v[4:5], s[34:35], v3, s43, v[4:5]
	s_waitcnt lgkmcnt(0)
	v_mad_u64_u32 v[2:3], s[34:35], v3, s39, v[2:3]
	s_cbranch_execz .LBB85_18
	s_branch .LBB85_20
.LBB85_15:
                                        ; implicit-def: $vgpr0
                                        ; implicit-def: $vgpr4
                                        ; implicit-def: $vgpr2
	s_branch .LBB85_18
.LBB85_16:
	v_mov_b32_e32 v0, 0
	v_mov_b32_e32 v4, 0
	;; [unrolled: 1-line block ×3, first 2 shown]
.LBB85_17:
	s_cbranch_execnz .LBB85_20
.LBB85_18:
	v_mul_hi_u32 v0, s13, v31
	s_andn2_b64 vcc, exec, s[26:27]
	v_add_u32_e32 v0, v31, v0
	v_lshrrev_b32_e32 v1, s14, v0
	v_mul_lo_u32 v0, v1, s12
	v_sub_u32_e32 v2, v31, v0
	v_mul_lo_u32 v0, v2, s8
	v_mul_lo_u32 v4, v2, s9
	;; [unrolled: 1-line block ×3, first 2 shown]
	s_cbranch_vccnz .LBB85_20
; %bb.19:
	v_mul_hi_u32 v3, s24, v1
	v_add_u32_e32 v3, v1, v3
	v_lshrrev_b32_e32 v3, s25, v3
	v_mul_lo_u32 v3, v3, s15
	v_sub_u32_e32 v3, v1, v3
	v_mad_u64_u32 v[0:1], s[34:35], v3, s11, v[0:1]
	v_mad_u64_u32 v[4:5], s[34:35], v3, s22, v[4:5]
	;; [unrolled: 1-line block ×3, first 2 shown]
.LBB85_20:
	global_load_dwordx2 v[5:6], v4, s[6:7]
	global_load_dwordx2 v[7:8], v2, s[20:21]
	v_add_u32_e32 v31, 0x80, v31
	s_waitcnt vmcnt(0)
	v_cmp_eq_f64_e32 vcc, v[5:6], v[7:8]
	v_cndmask_b32_e64 v1, 0, 1, vcc
	v_cmp_neq_f64_e32 vcc, v[5:6], v[7:8]
	v_cndmask_b32_e64 v2, 0, 1, vcc
	v_cndmask_b32_e64 v1, v2, v1, s[0:1]
	v_and_b32_e32 v1, 1, v1
	global_store_byte v0, v1, s[4:5]
	s_or_b64 exec, exec, s[30:31]
	v_cmp_gt_i32_e32 vcc, s38, v31
	s_and_saveexec_b64 s[30:31], vcc
	s_cbranch_execz .LBB85_3
.LBB85_21:
	s_andn2_b64 vcc, exec, s[2:3]
	s_cbranch_vccnz .LBB85_27
; %bb.22:
	s_andn2_b64 vcc, exec, s[28:29]
	s_cbranch_vccnz .LBB85_28
; %bb.23:
	s_add_i32 s34, s37, 1
	s_and_b32 s39, s34, 30
	s_add_u32 s34, s16, 0xffffffe8
	s_addc_u32 s35, s17, -1
	v_mov_b32_e32 v2, 0
	v_mov_b32_e32 v4, 0
	;; [unrolled: 1-line block ×4, first 2 shown]
.LBB85_24:                              ; =>This Inner Loop Header: Depth=1
	s_load_dwordx4 s[40:43], s[34:35], 0x1c
	s_load_dwordx2 s[48:49], s[34:35], 0x2c
	s_load_dwordx2 s[50:51], s[34:35], 0xec
	s_load_dwordx4 s[44:47], s[34:35], 0xdc
	s_add_u32 s34, s34, 24
	s_waitcnt lgkmcnt(0)
	v_mul_hi_u32 v3, s41, v1
	s_addc_u32 s35, s35, 0
	s_add_i32 s39, s39, -2
	s_cmp_eq_u32 s39, 0
	v_add_u32_e32 v3, v1, v3
	v_lshrrev_b32_e32 v3, s42, v3
	v_mul_lo_u32 v5, v3, s40
	v_mul_hi_u32 v6, s48, v3
	v_sub_u32_e32 v5, v1, v5
	v_add_u32_e32 v1, v3, v6
	v_lshrrev_b32_e32 v1, s49, v1
	v_mul_lo_u32 v8, v1, s43
	v_mul_lo_u32 v6, v5, s44
	v_mul_lo_u32 v7, v5, s45
	v_mul_lo_u32 v5, v5, s46
	v_sub_u32_e32 v3, v3, v8
	v_mul_lo_u32 v8, v3, s47
	v_mul_lo_u32 v9, v3, s50
	;; [unrolled: 1-line block ×3, first 2 shown]
	v_add3_u32 v0, v6, v0, v8
	v_add3_u32 v4, v7, v4, v9
	;; [unrolled: 1-line block ×3, first 2 shown]
	s_cbranch_scc0 .LBB85_24
; %bb.25:
	s_bitcmp1_b32 s37, 0
	s_cselect_b64 s[40:41], -1, 0
	s_and_b64 vcc, exec, s[40:41]
	s_cbranch_vccnz .LBB85_29
; %bb.26:
	s_load_dwordx2 s[40:41], s[34:35], 0x1c
	s_load_dword s39, s[34:35], 0x24
	s_load_dwordx2 s[42:43], s[34:35], 0xdc
	s_waitcnt lgkmcnt(0)
	v_mul_hi_u32 v3, s41, v1
	v_add_u32_e32 v3, v1, v3
	v_lshrrev_b32_e32 v3, s39, v3
	v_mul_lo_u32 v3, v3, s40
	s_load_dword s39, s[34:35], 0xe4
	v_sub_u32_e32 v3, v1, v3
	v_mad_u64_u32 v[0:1], s[34:35], v3, s42, v[0:1]
	v_mad_u64_u32 v[4:5], s[34:35], v3, s43, v[4:5]
	s_waitcnt lgkmcnt(0)
	v_mad_u64_u32 v[2:3], s[34:35], v3, s39, v[2:3]
	s_branch .LBB85_29
.LBB85_27:
                                        ; implicit-def: $vgpr0
                                        ; implicit-def: $vgpr4
                                        ; implicit-def: $vgpr2
	s_branch .LBB85_30
.LBB85_28:
	v_mov_b32_e32 v0, 0
	v_mov_b32_e32 v4, 0
	;; [unrolled: 1-line block ×3, first 2 shown]
.LBB85_29:
	s_cbranch_execnz .LBB85_32
.LBB85_30:
	v_mul_hi_u32 v0, s13, v31
	s_andn2_b64 vcc, exec, s[26:27]
	v_add_u32_e32 v0, v31, v0
	v_lshrrev_b32_e32 v1, s14, v0
	v_mul_lo_u32 v0, v1, s12
	v_sub_u32_e32 v2, v31, v0
	v_mul_lo_u32 v0, v2, s8
	v_mul_lo_u32 v4, v2, s9
	;; [unrolled: 1-line block ×3, first 2 shown]
	s_cbranch_vccnz .LBB85_32
; %bb.31:
	v_mul_hi_u32 v3, s24, v1
	v_add_u32_e32 v3, v1, v3
	v_lshrrev_b32_e32 v3, s25, v3
	v_mul_lo_u32 v3, v3, s15
	v_sub_u32_e32 v3, v1, v3
	v_mad_u64_u32 v[0:1], s[34:35], v3, s11, v[0:1]
	v_mad_u64_u32 v[4:5], s[34:35], v3, s22, v[4:5]
	;; [unrolled: 1-line block ×3, first 2 shown]
.LBB85_32:
	global_load_dwordx2 v[5:6], v4, s[6:7]
	global_load_dwordx2 v[7:8], v2, s[20:21]
	v_add_u32_e32 v31, 0x80, v31
	s_waitcnt vmcnt(0)
	v_cmp_eq_f64_e32 vcc, v[5:6], v[7:8]
	v_cndmask_b32_e64 v1, 0, 1, vcc
	v_cmp_neq_f64_e32 vcc, v[5:6], v[7:8]
	v_cndmask_b32_e64 v2, 0, 1, vcc
	v_cndmask_b32_e64 v1, v2, v1, s[0:1]
	v_and_b32_e32 v1, 1, v1
	global_store_byte v0, v1, s[4:5]
	s_or_b64 exec, exec, s[30:31]
	v_cmp_gt_i32_e32 vcc, s38, v31
	s_and_saveexec_b64 s[30:31], vcc
	s_cbranch_execz .LBB85_4
.LBB85_33:
	s_andn2_b64 vcc, exec, s[2:3]
	s_cbranch_vccnz .LBB85_39
; %bb.34:
	s_andn2_b64 vcc, exec, s[28:29]
	s_cbranch_vccnz .LBB85_40
; %bb.35:
	s_add_i32 s34, s37, 1
	s_and_b32 s39, s34, 30
	s_add_u32 s34, s16, 0xffffffe8
	s_addc_u32 s35, s17, -1
	v_mov_b32_e32 v2, 0
	v_mov_b32_e32 v4, 0
	;; [unrolled: 1-line block ×4, first 2 shown]
.LBB85_36:                              ; =>This Inner Loop Header: Depth=1
	s_load_dwordx4 s[40:43], s[34:35], 0x1c
	s_load_dwordx2 s[48:49], s[34:35], 0x2c
	s_load_dwordx2 s[50:51], s[34:35], 0xec
	s_load_dwordx4 s[44:47], s[34:35], 0xdc
	s_add_u32 s34, s34, 24
	s_waitcnt lgkmcnt(0)
	v_mul_hi_u32 v3, s41, v1
	s_addc_u32 s35, s35, 0
	s_add_i32 s39, s39, -2
	s_cmp_eq_u32 s39, 0
	v_add_u32_e32 v3, v1, v3
	v_lshrrev_b32_e32 v3, s42, v3
	v_mul_lo_u32 v5, v3, s40
	v_mul_hi_u32 v6, s48, v3
	v_sub_u32_e32 v5, v1, v5
	v_add_u32_e32 v1, v3, v6
	v_lshrrev_b32_e32 v1, s49, v1
	v_mul_lo_u32 v8, v1, s43
	v_mul_lo_u32 v6, v5, s44
	;; [unrolled: 1-line block ×4, first 2 shown]
	v_sub_u32_e32 v3, v3, v8
	v_mul_lo_u32 v8, v3, s47
	v_mul_lo_u32 v9, v3, s50
	;; [unrolled: 1-line block ×3, first 2 shown]
	v_add3_u32 v0, v6, v0, v8
	v_add3_u32 v4, v7, v4, v9
	;; [unrolled: 1-line block ×3, first 2 shown]
	s_cbranch_scc0 .LBB85_36
; %bb.37:
	s_bitcmp1_b32 s37, 0
	s_cselect_b64 s[40:41], -1, 0
	s_and_b64 vcc, exec, s[40:41]
	s_cbranch_vccnz .LBB85_41
; %bb.38:
	s_load_dwordx2 s[40:41], s[34:35], 0x1c
	s_load_dword s39, s[34:35], 0x24
	s_load_dwordx2 s[42:43], s[34:35], 0xdc
	s_waitcnt lgkmcnt(0)
	v_mul_hi_u32 v3, s41, v1
	v_add_u32_e32 v3, v1, v3
	v_lshrrev_b32_e32 v3, s39, v3
	v_mul_lo_u32 v3, v3, s40
	s_load_dword s39, s[34:35], 0xe4
	v_sub_u32_e32 v3, v1, v3
	v_mad_u64_u32 v[0:1], s[34:35], v3, s42, v[0:1]
	v_mad_u64_u32 v[4:5], s[34:35], v3, s43, v[4:5]
	s_waitcnt lgkmcnt(0)
	v_mad_u64_u32 v[2:3], s[34:35], v3, s39, v[2:3]
	s_branch .LBB85_41
.LBB85_39:
                                        ; implicit-def: $vgpr0
                                        ; implicit-def: $vgpr4
                                        ; implicit-def: $vgpr2
	s_branch .LBB85_42
.LBB85_40:
	v_mov_b32_e32 v0, 0
	v_mov_b32_e32 v4, 0
	;; [unrolled: 1-line block ×3, first 2 shown]
.LBB85_41:
	s_cbranch_execnz .LBB85_44
.LBB85_42:
	v_mul_hi_u32 v0, s13, v31
	s_andn2_b64 vcc, exec, s[26:27]
	v_add_u32_e32 v0, v31, v0
	v_lshrrev_b32_e32 v1, s14, v0
	v_mul_lo_u32 v0, v1, s12
	v_sub_u32_e32 v2, v31, v0
	v_mul_lo_u32 v0, v2, s8
	v_mul_lo_u32 v4, v2, s9
	;; [unrolled: 1-line block ×3, first 2 shown]
	s_cbranch_vccnz .LBB85_44
; %bb.43:
	v_mul_hi_u32 v3, s24, v1
	v_add_u32_e32 v3, v1, v3
	v_lshrrev_b32_e32 v3, s25, v3
	v_mul_lo_u32 v3, v3, s15
	v_sub_u32_e32 v3, v1, v3
	v_mad_u64_u32 v[0:1], s[34:35], v3, s11, v[0:1]
	v_mad_u64_u32 v[4:5], s[34:35], v3, s22, v[4:5]
	;; [unrolled: 1-line block ×3, first 2 shown]
.LBB85_44:
	global_load_dwordx2 v[5:6], v4, s[6:7]
	global_load_dwordx2 v[7:8], v2, s[20:21]
	v_add_u32_e32 v31, 0x80, v31
	s_waitcnt vmcnt(0)
	v_cmp_eq_f64_e32 vcc, v[5:6], v[7:8]
	v_cndmask_b32_e64 v1, 0, 1, vcc
	v_cmp_neq_f64_e32 vcc, v[5:6], v[7:8]
	v_cndmask_b32_e64 v2, 0, 1, vcc
	v_cndmask_b32_e64 v1, v2, v1, s[0:1]
	v_and_b32_e32 v1, 1, v1
	global_store_byte v0, v1, s[4:5]
	s_or_b64 exec, exec, s[30:31]
	v_cmp_gt_i32_e32 vcc, s38, v31
	s_and_saveexec_b64 s[30:31], vcc
	s_cbranch_execz .LBB85_5
.LBB85_45:
	s_andn2_b64 vcc, exec, s[2:3]
	s_cbranch_vccnz .LBB85_51
; %bb.46:
	s_andn2_b64 vcc, exec, s[28:29]
	s_cbranch_vccnz .LBB85_52
; %bb.47:
	s_add_i32 s34, s37, 1
	s_and_b32 s39, s34, 30
	s_add_u32 s34, s16, 0xffffffe8
	s_addc_u32 s35, s17, -1
	v_mov_b32_e32 v2, 0
	v_mov_b32_e32 v4, 0
	;; [unrolled: 1-line block ×4, first 2 shown]
.LBB85_48:                              ; =>This Inner Loop Header: Depth=1
	s_load_dwordx4 s[40:43], s[34:35], 0x1c
	s_load_dwordx2 s[48:49], s[34:35], 0x2c
	s_load_dwordx2 s[50:51], s[34:35], 0xec
	s_load_dwordx4 s[44:47], s[34:35], 0xdc
	s_add_u32 s34, s34, 24
	s_waitcnt lgkmcnt(0)
	v_mul_hi_u32 v3, s41, v1
	s_addc_u32 s35, s35, 0
	s_add_i32 s39, s39, -2
	s_cmp_eq_u32 s39, 0
	v_add_u32_e32 v3, v1, v3
	v_lshrrev_b32_e32 v3, s42, v3
	v_mul_lo_u32 v5, v3, s40
	v_mul_hi_u32 v6, s48, v3
	v_sub_u32_e32 v5, v1, v5
	v_add_u32_e32 v1, v3, v6
	v_lshrrev_b32_e32 v1, s49, v1
	v_mul_lo_u32 v8, v1, s43
	v_mul_lo_u32 v6, v5, s44
	;; [unrolled: 1-line block ×4, first 2 shown]
	v_sub_u32_e32 v3, v3, v8
	v_mul_lo_u32 v8, v3, s47
	v_mul_lo_u32 v9, v3, s50
	;; [unrolled: 1-line block ×3, first 2 shown]
	v_add3_u32 v0, v6, v0, v8
	v_add3_u32 v4, v7, v4, v9
	;; [unrolled: 1-line block ×3, first 2 shown]
	s_cbranch_scc0 .LBB85_48
; %bb.49:
	s_bitcmp1_b32 s37, 0
	s_cselect_b64 s[40:41], -1, 0
	s_and_b64 vcc, exec, s[40:41]
	s_cbranch_vccnz .LBB85_53
; %bb.50:
	s_load_dwordx2 s[40:41], s[34:35], 0x1c
	s_load_dword s39, s[34:35], 0x24
	s_load_dwordx2 s[42:43], s[34:35], 0xdc
	s_waitcnt lgkmcnt(0)
	v_mul_hi_u32 v3, s41, v1
	v_add_u32_e32 v3, v1, v3
	v_lshrrev_b32_e32 v3, s39, v3
	v_mul_lo_u32 v3, v3, s40
	s_load_dword s39, s[34:35], 0xe4
	v_sub_u32_e32 v3, v1, v3
	v_mad_u64_u32 v[0:1], s[34:35], v3, s42, v[0:1]
	v_mad_u64_u32 v[4:5], s[34:35], v3, s43, v[4:5]
	s_waitcnt lgkmcnt(0)
	v_mad_u64_u32 v[2:3], s[34:35], v3, s39, v[2:3]
	s_branch .LBB85_53
.LBB85_51:
                                        ; implicit-def: $vgpr0
                                        ; implicit-def: $vgpr4
                                        ; implicit-def: $vgpr2
	s_branch .LBB85_54
.LBB85_52:
	v_mov_b32_e32 v0, 0
	v_mov_b32_e32 v4, 0
	;; [unrolled: 1-line block ×3, first 2 shown]
.LBB85_53:
	s_cbranch_execnz .LBB85_56
.LBB85_54:
	v_mul_hi_u32 v0, s13, v31
	s_andn2_b64 vcc, exec, s[26:27]
	v_add_u32_e32 v0, v31, v0
	v_lshrrev_b32_e32 v1, s14, v0
	v_mul_lo_u32 v0, v1, s12
	v_sub_u32_e32 v2, v31, v0
	v_mul_lo_u32 v0, v2, s8
	v_mul_lo_u32 v4, v2, s9
	;; [unrolled: 1-line block ×3, first 2 shown]
	s_cbranch_vccnz .LBB85_56
; %bb.55:
	v_mul_hi_u32 v3, s24, v1
	v_add_u32_e32 v3, v1, v3
	v_lshrrev_b32_e32 v3, s25, v3
	v_mul_lo_u32 v3, v3, s15
	v_sub_u32_e32 v3, v1, v3
	v_mad_u64_u32 v[0:1], s[34:35], v3, s11, v[0:1]
	v_mad_u64_u32 v[4:5], s[34:35], v3, s22, v[4:5]
	;; [unrolled: 1-line block ×3, first 2 shown]
.LBB85_56:
	global_load_dwordx2 v[5:6], v4, s[6:7]
	global_load_dwordx2 v[7:8], v2, s[20:21]
	v_add_u32_e32 v31, 0x80, v31
	s_waitcnt vmcnt(0)
	v_cmp_eq_f64_e32 vcc, v[5:6], v[7:8]
	v_cndmask_b32_e64 v1, 0, 1, vcc
	v_cmp_neq_f64_e32 vcc, v[5:6], v[7:8]
	v_cndmask_b32_e64 v2, 0, 1, vcc
	v_cndmask_b32_e64 v1, v2, v1, s[0:1]
	v_and_b32_e32 v1, 1, v1
	global_store_byte v0, v1, s[4:5]
	s_or_b64 exec, exec, s[30:31]
	v_cmp_gt_i32_e32 vcc, s38, v31
	s_and_saveexec_b64 s[30:31], vcc
	s_cbranch_execz .LBB85_6
.LBB85_57:
	s_andn2_b64 vcc, exec, s[2:3]
	s_cbranch_vccnz .LBB85_63
; %bb.58:
	s_andn2_b64 vcc, exec, s[28:29]
	s_cbranch_vccnz .LBB85_64
; %bb.59:
	s_add_i32 s34, s37, 1
	s_and_b32 s39, s34, 30
	s_add_u32 s34, s16, 0xffffffe8
	s_addc_u32 s35, s17, -1
	v_mov_b32_e32 v2, 0
	v_mov_b32_e32 v4, 0
	;; [unrolled: 1-line block ×4, first 2 shown]
.LBB85_60:                              ; =>This Inner Loop Header: Depth=1
	s_load_dwordx4 s[40:43], s[34:35], 0x1c
	s_load_dwordx2 s[48:49], s[34:35], 0x2c
	s_load_dwordx2 s[50:51], s[34:35], 0xec
	s_load_dwordx4 s[44:47], s[34:35], 0xdc
	s_add_u32 s34, s34, 24
	s_waitcnt lgkmcnt(0)
	v_mul_hi_u32 v3, s41, v1
	s_addc_u32 s35, s35, 0
	s_add_i32 s39, s39, -2
	s_cmp_eq_u32 s39, 0
	v_add_u32_e32 v3, v1, v3
	v_lshrrev_b32_e32 v3, s42, v3
	v_mul_lo_u32 v5, v3, s40
	v_mul_hi_u32 v6, s48, v3
	v_sub_u32_e32 v5, v1, v5
	v_add_u32_e32 v1, v3, v6
	v_lshrrev_b32_e32 v1, s49, v1
	v_mul_lo_u32 v8, v1, s43
	v_mul_lo_u32 v6, v5, s44
	;; [unrolled: 1-line block ×4, first 2 shown]
	v_sub_u32_e32 v3, v3, v8
	v_mul_lo_u32 v8, v3, s47
	v_mul_lo_u32 v9, v3, s50
	;; [unrolled: 1-line block ×3, first 2 shown]
	v_add3_u32 v0, v6, v0, v8
	v_add3_u32 v4, v7, v4, v9
	;; [unrolled: 1-line block ×3, first 2 shown]
	s_cbranch_scc0 .LBB85_60
; %bb.61:
	s_bitcmp1_b32 s37, 0
	s_cselect_b64 s[40:41], -1, 0
	s_and_b64 vcc, exec, s[40:41]
	s_cbranch_vccnz .LBB85_65
; %bb.62:
	s_load_dwordx2 s[40:41], s[34:35], 0x1c
	s_load_dword s39, s[34:35], 0x24
	s_load_dwordx2 s[42:43], s[34:35], 0xdc
	s_waitcnt lgkmcnt(0)
	v_mul_hi_u32 v3, s41, v1
	v_add_u32_e32 v3, v1, v3
	v_lshrrev_b32_e32 v3, s39, v3
	v_mul_lo_u32 v3, v3, s40
	s_load_dword s39, s[34:35], 0xe4
	v_sub_u32_e32 v3, v1, v3
	v_mad_u64_u32 v[0:1], s[34:35], v3, s42, v[0:1]
	v_mad_u64_u32 v[4:5], s[34:35], v3, s43, v[4:5]
	s_waitcnt lgkmcnt(0)
	v_mad_u64_u32 v[2:3], s[34:35], v3, s39, v[2:3]
	s_branch .LBB85_65
.LBB85_63:
                                        ; implicit-def: $vgpr0
                                        ; implicit-def: $vgpr4
                                        ; implicit-def: $vgpr2
	s_branch .LBB85_66
.LBB85_64:
	v_mov_b32_e32 v0, 0
	v_mov_b32_e32 v4, 0
	;; [unrolled: 1-line block ×3, first 2 shown]
.LBB85_65:
	s_cbranch_execnz .LBB85_68
.LBB85_66:
	v_mul_hi_u32 v0, s13, v31
	s_andn2_b64 vcc, exec, s[26:27]
	v_add_u32_e32 v0, v31, v0
	v_lshrrev_b32_e32 v1, s14, v0
	v_mul_lo_u32 v0, v1, s12
	v_sub_u32_e32 v2, v31, v0
	v_mul_lo_u32 v0, v2, s8
	v_mul_lo_u32 v4, v2, s9
	;; [unrolled: 1-line block ×3, first 2 shown]
	s_cbranch_vccnz .LBB85_68
; %bb.67:
	v_mul_hi_u32 v3, s24, v1
	v_add_u32_e32 v3, v1, v3
	v_lshrrev_b32_e32 v3, s25, v3
	v_mul_lo_u32 v3, v3, s15
	v_sub_u32_e32 v3, v1, v3
	v_mad_u64_u32 v[0:1], s[34:35], v3, s11, v[0:1]
	v_mad_u64_u32 v[4:5], s[34:35], v3, s22, v[4:5]
	;; [unrolled: 1-line block ×3, first 2 shown]
.LBB85_68:
	global_load_dwordx2 v[5:6], v4, s[6:7]
	global_load_dwordx2 v[7:8], v2, s[20:21]
	v_add_u32_e32 v31, 0x80, v31
	s_waitcnt vmcnt(0)
	v_cmp_eq_f64_e32 vcc, v[5:6], v[7:8]
	v_cndmask_b32_e64 v1, 0, 1, vcc
	v_cmp_neq_f64_e32 vcc, v[5:6], v[7:8]
	v_cndmask_b32_e64 v2, 0, 1, vcc
	v_cndmask_b32_e64 v1, v2, v1, s[0:1]
	v_and_b32_e32 v1, 1, v1
	global_store_byte v0, v1, s[4:5]
	s_or_b64 exec, exec, s[30:31]
	v_cmp_gt_i32_e32 vcc, s38, v31
	s_and_saveexec_b64 s[30:31], vcc
	s_cbranch_execz .LBB85_7
.LBB85_69:
	s_andn2_b64 vcc, exec, s[2:3]
	s_cbranch_vccnz .LBB85_75
; %bb.70:
	s_andn2_b64 vcc, exec, s[28:29]
	s_cbranch_vccnz .LBB85_76
; %bb.71:
	s_add_i32 s34, s37, 1
	s_and_b32 s39, s34, 30
	s_add_u32 s34, s16, 0xffffffe8
	s_addc_u32 s35, s17, -1
	v_mov_b32_e32 v2, 0
	v_mov_b32_e32 v4, 0
	;; [unrolled: 1-line block ×4, first 2 shown]
.LBB85_72:                              ; =>This Inner Loop Header: Depth=1
	s_load_dwordx4 s[40:43], s[34:35], 0x1c
	s_load_dwordx2 s[48:49], s[34:35], 0x2c
	s_load_dwordx2 s[50:51], s[34:35], 0xec
	s_load_dwordx4 s[44:47], s[34:35], 0xdc
	s_add_u32 s34, s34, 24
	s_waitcnt lgkmcnt(0)
	v_mul_hi_u32 v3, s41, v1
	s_addc_u32 s35, s35, 0
	s_add_i32 s39, s39, -2
	s_cmp_eq_u32 s39, 0
	v_add_u32_e32 v3, v1, v3
	v_lshrrev_b32_e32 v3, s42, v3
	v_mul_lo_u32 v5, v3, s40
	v_mul_hi_u32 v6, s48, v3
	v_sub_u32_e32 v5, v1, v5
	v_add_u32_e32 v1, v3, v6
	v_lshrrev_b32_e32 v1, s49, v1
	v_mul_lo_u32 v8, v1, s43
	v_mul_lo_u32 v6, v5, s44
	;; [unrolled: 1-line block ×4, first 2 shown]
	v_sub_u32_e32 v3, v3, v8
	v_mul_lo_u32 v8, v3, s47
	v_mul_lo_u32 v9, v3, s50
	;; [unrolled: 1-line block ×3, first 2 shown]
	v_add3_u32 v0, v6, v0, v8
	v_add3_u32 v4, v7, v4, v9
	;; [unrolled: 1-line block ×3, first 2 shown]
	s_cbranch_scc0 .LBB85_72
; %bb.73:
	s_bitcmp1_b32 s37, 0
	s_cselect_b64 s[40:41], -1, 0
	s_and_b64 vcc, exec, s[40:41]
	s_cbranch_vccnz .LBB85_77
; %bb.74:
	s_load_dwordx2 s[40:41], s[34:35], 0x1c
	s_load_dword s39, s[34:35], 0x24
	s_load_dwordx2 s[42:43], s[34:35], 0xdc
	s_waitcnt lgkmcnt(0)
	v_mul_hi_u32 v3, s41, v1
	v_add_u32_e32 v3, v1, v3
	v_lshrrev_b32_e32 v3, s39, v3
	v_mul_lo_u32 v3, v3, s40
	s_load_dword s39, s[34:35], 0xe4
	v_sub_u32_e32 v3, v1, v3
	v_mad_u64_u32 v[0:1], s[34:35], v3, s42, v[0:1]
	v_mad_u64_u32 v[4:5], s[34:35], v3, s43, v[4:5]
	s_waitcnt lgkmcnt(0)
	v_mad_u64_u32 v[2:3], s[34:35], v3, s39, v[2:3]
	s_branch .LBB85_77
.LBB85_75:
                                        ; implicit-def: $vgpr0
                                        ; implicit-def: $vgpr4
                                        ; implicit-def: $vgpr2
	s_branch .LBB85_78
.LBB85_76:
	v_mov_b32_e32 v0, 0
	v_mov_b32_e32 v4, 0
	;; [unrolled: 1-line block ×3, first 2 shown]
.LBB85_77:
	s_cbranch_execnz .LBB85_80
.LBB85_78:
	v_mul_hi_u32 v0, s13, v31
	s_andn2_b64 vcc, exec, s[26:27]
	v_add_u32_e32 v0, v31, v0
	v_lshrrev_b32_e32 v1, s14, v0
	v_mul_lo_u32 v0, v1, s12
	v_sub_u32_e32 v2, v31, v0
	v_mul_lo_u32 v0, v2, s8
	v_mul_lo_u32 v4, v2, s9
	;; [unrolled: 1-line block ×3, first 2 shown]
	s_cbranch_vccnz .LBB85_80
; %bb.79:
	v_mul_hi_u32 v3, s24, v1
	v_add_u32_e32 v3, v1, v3
	v_lshrrev_b32_e32 v3, s25, v3
	v_mul_lo_u32 v3, v3, s15
	v_sub_u32_e32 v3, v1, v3
	v_mad_u64_u32 v[0:1], s[34:35], v3, s11, v[0:1]
	v_mad_u64_u32 v[4:5], s[34:35], v3, s22, v[4:5]
	;; [unrolled: 1-line block ×3, first 2 shown]
.LBB85_80:
	global_load_dwordx2 v[5:6], v4, s[6:7]
	global_load_dwordx2 v[7:8], v2, s[20:21]
	v_add_u32_e32 v31, 0x80, v31
	s_waitcnt vmcnt(0)
	v_cmp_eq_f64_e32 vcc, v[5:6], v[7:8]
	v_cndmask_b32_e64 v1, 0, 1, vcc
	v_cmp_neq_f64_e32 vcc, v[5:6], v[7:8]
	v_cndmask_b32_e64 v2, 0, 1, vcc
	v_cndmask_b32_e64 v1, v2, v1, s[0:1]
	v_and_b32_e32 v1, 1, v1
	global_store_byte v0, v1, s[4:5]
	s_or_b64 exec, exec, s[30:31]
	v_cmp_gt_i32_e32 vcc, s38, v31
	s_and_saveexec_b64 s[30:31], vcc
	s_cbranch_execz .LBB85_8
.LBB85_81:
	s_andn2_b64 vcc, exec, s[2:3]
	s_cbranch_vccnz .LBB85_87
; %bb.82:
	s_andn2_b64 vcc, exec, s[28:29]
	s_cbranch_vccnz .LBB85_88
; %bb.83:
	s_add_i32 s34, s37, 1
	s_and_b32 s39, s34, 30
	s_add_u32 s34, s16, 0xffffffe8
	s_addc_u32 s35, s17, -1
	v_mov_b32_e32 v2, 0
	v_mov_b32_e32 v4, 0
	;; [unrolled: 1-line block ×4, first 2 shown]
.LBB85_84:                              ; =>This Inner Loop Header: Depth=1
	s_load_dwordx4 s[40:43], s[34:35], 0x1c
	s_load_dwordx2 s[48:49], s[34:35], 0x2c
	s_load_dwordx2 s[50:51], s[34:35], 0xec
	s_load_dwordx4 s[44:47], s[34:35], 0xdc
	s_add_u32 s34, s34, 24
	s_waitcnt lgkmcnt(0)
	v_mul_hi_u32 v3, s41, v1
	s_addc_u32 s35, s35, 0
	s_add_i32 s39, s39, -2
	s_cmp_eq_u32 s39, 0
	v_add_u32_e32 v3, v1, v3
	v_lshrrev_b32_e32 v3, s42, v3
	v_mul_lo_u32 v5, v3, s40
	v_mul_hi_u32 v6, s48, v3
	v_sub_u32_e32 v5, v1, v5
	v_add_u32_e32 v1, v3, v6
	v_lshrrev_b32_e32 v1, s49, v1
	v_mul_lo_u32 v8, v1, s43
	v_mul_lo_u32 v6, v5, s44
	;; [unrolled: 1-line block ×4, first 2 shown]
	v_sub_u32_e32 v3, v3, v8
	v_mul_lo_u32 v8, v3, s47
	v_mul_lo_u32 v9, v3, s50
	;; [unrolled: 1-line block ×3, first 2 shown]
	v_add3_u32 v0, v6, v0, v8
	v_add3_u32 v4, v7, v4, v9
	;; [unrolled: 1-line block ×3, first 2 shown]
	s_cbranch_scc0 .LBB85_84
; %bb.85:
	s_bitcmp1_b32 s37, 0
	s_cselect_b64 s[40:41], -1, 0
	s_and_b64 vcc, exec, s[40:41]
	s_cbranch_vccnz .LBB85_89
; %bb.86:
	s_load_dwordx2 s[40:41], s[34:35], 0x1c
	s_load_dword s39, s[34:35], 0x24
	s_load_dwordx2 s[42:43], s[34:35], 0xdc
	s_waitcnt lgkmcnt(0)
	v_mul_hi_u32 v3, s41, v1
	v_add_u32_e32 v3, v1, v3
	v_lshrrev_b32_e32 v3, s39, v3
	v_mul_lo_u32 v3, v3, s40
	s_load_dword s39, s[34:35], 0xe4
	v_sub_u32_e32 v3, v1, v3
	v_mad_u64_u32 v[0:1], s[34:35], v3, s42, v[0:1]
	v_mad_u64_u32 v[4:5], s[34:35], v3, s43, v[4:5]
	s_waitcnt lgkmcnt(0)
	v_mad_u64_u32 v[2:3], s[34:35], v3, s39, v[2:3]
	s_branch .LBB85_89
.LBB85_87:
                                        ; implicit-def: $vgpr0
                                        ; implicit-def: $vgpr4
                                        ; implicit-def: $vgpr2
	s_branch .LBB85_90
.LBB85_88:
	v_mov_b32_e32 v0, 0
	v_mov_b32_e32 v4, 0
	;; [unrolled: 1-line block ×3, first 2 shown]
.LBB85_89:
	s_cbranch_execnz .LBB85_92
.LBB85_90:
	v_mul_hi_u32 v0, s13, v31
	s_andn2_b64 vcc, exec, s[26:27]
	v_add_u32_e32 v0, v31, v0
	v_lshrrev_b32_e32 v1, s14, v0
	v_mul_lo_u32 v0, v1, s12
	v_sub_u32_e32 v2, v31, v0
	v_mul_lo_u32 v0, v2, s8
	v_mul_lo_u32 v4, v2, s9
	;; [unrolled: 1-line block ×3, first 2 shown]
	s_cbranch_vccnz .LBB85_92
; %bb.91:
	v_mul_hi_u32 v3, s24, v1
	v_add_u32_e32 v3, v1, v3
	v_lshrrev_b32_e32 v3, s25, v3
	v_mul_lo_u32 v3, v3, s15
	v_sub_u32_e32 v3, v1, v3
	v_mad_u64_u32 v[0:1], s[34:35], v3, s11, v[0:1]
	v_mad_u64_u32 v[4:5], s[34:35], v3, s22, v[4:5]
	v_mad_u64_u32 v[2:3], s[34:35], v3, s23, v[2:3]
.LBB85_92:
	global_load_dwordx2 v[5:6], v4, s[6:7]
	global_load_dwordx2 v[7:8], v2, s[20:21]
	v_add_u32_e32 v31, 0x80, v31
	s_waitcnt vmcnt(0)
	v_cmp_eq_f64_e32 vcc, v[5:6], v[7:8]
	v_cndmask_b32_e64 v1, 0, 1, vcc
	v_cmp_neq_f64_e32 vcc, v[5:6], v[7:8]
	v_cndmask_b32_e64 v2, 0, 1, vcc
	v_cndmask_b32_e64 v1, v2, v1, s[0:1]
	v_and_b32_e32 v1, 1, v1
	global_store_byte v0, v1, s[4:5]
	s_or_b64 exec, exec, s[30:31]
	v_cmp_gt_i32_e32 vcc, s38, v31
	s_and_saveexec_b64 s[30:31], vcc
	s_cbranch_execz .LBB85_105
.LBB85_93:
	s_andn2_b64 vcc, exec, s[2:3]
	s_cbranch_vccnz .LBB85_99
; %bb.94:
	s_andn2_b64 vcc, exec, s[28:29]
	s_cbranch_vccnz .LBB85_100
; %bb.95:
	s_add_i32 s28, s37, 1
	s_and_b32 s34, s28, 30
	s_add_u32 s28, s16, 0xffffffe8
	s_addc_u32 s29, s17, -1
	v_mov_b32_e32 v4, 0
	v_mov_b32_e32 v2, 0
	;; [unrolled: 1-line block ×4, first 2 shown]
.LBB85_96:                              ; =>This Inner Loop Header: Depth=1
	s_load_dwordx4 s[40:43], s[28:29], 0x1c
	s_load_dwordx2 s[38:39], s[28:29], 0x2c
	s_load_dwordx2 s[48:49], s[28:29], 0xec
	s_load_dwordx4 s[44:47], s[28:29], 0xdc
	s_add_u32 s28, s28, 24
	s_waitcnt lgkmcnt(0)
	v_mul_hi_u32 v3, s41, v1
	s_addc_u32 s29, s29, 0
	s_add_i32 s34, s34, -2
	s_cmp_eq_u32 s34, 0
	v_add_u32_e32 v3, v1, v3
	v_lshrrev_b32_e32 v3, s42, v3
	v_mul_lo_u32 v5, v3, s40
	v_mul_hi_u32 v6, s38, v3
	v_sub_u32_e32 v5, v1, v5
	v_add_u32_e32 v1, v3, v6
	v_lshrrev_b32_e32 v1, s39, v1
	v_mul_lo_u32 v8, v1, s43
	v_mul_lo_u32 v6, v5, s44
	;; [unrolled: 1-line block ×4, first 2 shown]
	v_sub_u32_e32 v3, v3, v8
	v_mul_lo_u32 v8, v3, s47
	v_mul_lo_u32 v9, v3, s48
	v_mul_lo_u32 v3, v3, s49
	v_add3_u32 v0, v6, v0, v8
	v_add3_u32 v2, v7, v2, v9
	;; [unrolled: 1-line block ×3, first 2 shown]
	s_cbranch_scc0 .LBB85_96
; %bb.97:
	s_bitcmp1_b32 s37, 0
	s_cselect_b64 s[34:35], -1, 0
	s_and_b64 vcc, exec, s[34:35]
	s_cbranch_vccnz .LBB85_101
; %bb.98:
	s_load_dwordx2 s[34:35], s[28:29], 0x1c
	s_load_dword s37, s[28:29], 0x24
	s_load_dwordx2 s[38:39], s[28:29], 0xdc
	s_waitcnt lgkmcnt(0)
	v_mul_hi_u32 v3, s35, v1
	v_add_u32_e32 v3, v1, v3
	v_lshrrev_b32_e32 v3, s37, v3
	v_mul_lo_u32 v3, v3, s34
	s_load_dword s34, s[28:29], 0xe4
	v_sub_u32_e32 v5, v1, v3
	v_mad_u64_u32 v[0:1], s[28:29], v5, s38, v[0:1]
	v_mad_u64_u32 v[2:3], s[28:29], v5, s39, v[2:3]
	s_waitcnt lgkmcnt(0)
	v_mad_u64_u32 v[4:5], s[28:29], v5, s34, v[4:5]
	s_branch .LBB85_101
.LBB85_99:
                                        ; implicit-def: $vgpr0
                                        ; implicit-def: $vgpr2
                                        ; implicit-def: $vgpr4
	s_branch .LBB85_102
.LBB85_100:
	v_mov_b32_e32 v0, 0
	v_mov_b32_e32 v2, 0
	;; [unrolled: 1-line block ×3, first 2 shown]
.LBB85_101:
	s_cbranch_execnz .LBB85_104
.LBB85_102:
	v_mul_hi_u32 v0, s13, v31
	s_andn2_b64 vcc, exec, s[26:27]
	v_add_u32_e32 v0, v31, v0
	v_lshrrev_b32_e32 v1, s14, v0
	v_mul_lo_u32 v0, v1, s12
	v_sub_u32_e32 v3, v31, v0
	v_mul_lo_u32 v0, v3, s8
	v_mul_lo_u32 v2, v3, s9
	;; [unrolled: 1-line block ×3, first 2 shown]
	s_cbranch_vccnz .LBB85_104
; %bb.103:
	v_mul_hi_u32 v3, s24, v1
	v_add_u32_e32 v3, v1, v3
	v_lshrrev_b32_e32 v3, s25, v3
	v_mul_lo_u32 v3, v3, s15
	v_sub_u32_e32 v5, v1, v3
	v_mad_u64_u32 v[0:1], s[8:9], v5, s11, v[0:1]
	v_mad_u64_u32 v[2:3], s[8:9], v5, s22, v[2:3]
	;; [unrolled: 1-line block ×3, first 2 shown]
.LBB85_104:
	global_load_dwordx2 v[5:6], v2, s[6:7]
	global_load_dwordx2 v[7:8], v4, s[20:21]
	s_waitcnt vmcnt(0)
	v_cmp_eq_f64_e32 vcc, v[5:6], v[7:8]
	v_cndmask_b32_e64 v1, 0, 1, vcc
	v_cmp_neq_f64_e32 vcc, v[5:6], v[7:8]
	v_cndmask_b32_e64 v2, 0, 1, vcc
	v_cndmask_b32_e64 v1, v2, v1, s[0:1]
	v_and_b32_e32 v1, 1, v1
	global_store_byte v0, v1, s[4:5]
.LBB85_105:
	s_or_b64 exec, exec, s[30:31]
                                        ; implicit-def: $vgpr41
                                        ; implicit-def: $vgpr31
.LBB85_106:
	s_andn2_saveexec_b64 s[0:1], s[18:19]
	s_cbranch_execz .LBB85_113
; %bb.107:
	v_cndmask_b32_e64 v0, 0, 1, s[2:3]
	v_cmp_ne_u32_e64 s[0:1], 1, v0
	s_andn2_b64 vcc, exec, s[2:3]
	s_cbranch_vccnz .LBB85_114
; %bb.108:
	s_cmp_lg_u32 s33, 0
	s_cbranch_scc0 .LBB85_115
; %bb.109:
	s_min_u32 s4, s36, 15
	s_add_i32 s2, s4, 1
	s_and_b32 s5, s2, 30
	s_add_u32 s2, s16, 0xffffffe8
	s_addc_u32 s3, s17, -1
	v_mov_b32_e32 v2, 0
	v_mov_b32_e32 v4, 0
	;; [unrolled: 1-line block ×4, first 2 shown]
.LBB85_110:                             ; =>This Inner Loop Header: Depth=1
	s_load_dwordx4 s[8:11], s[2:3], 0x1c
	s_load_dwordx2 s[6:7], s[2:3], 0x2c
	s_load_dwordx2 s[18:19], s[2:3], 0xec
	s_load_dwordx4 s[12:15], s[2:3], 0xdc
	s_add_u32 s2, s2, 24
	s_waitcnt lgkmcnt(0)
	v_mul_hi_u32 v3, s9, v1
	s_addc_u32 s3, s3, 0
	s_add_i32 s5, s5, -2
	s_cmp_lg_u32 s5, 0
	v_add_u32_e32 v3, v1, v3
	v_lshrrev_b32_e32 v3, s10, v3
	v_mul_lo_u32 v5, v3, s8
	v_mul_hi_u32 v6, s6, v3
	v_sub_u32_e32 v5, v1, v5
	v_add_u32_e32 v1, v3, v6
	v_lshrrev_b32_e32 v1, s7, v1
	v_mul_lo_u32 v8, v1, s11
	v_mul_lo_u32 v6, v5, s12
	;; [unrolled: 1-line block ×4, first 2 shown]
	v_sub_u32_e32 v3, v3, v8
	v_mul_lo_u32 v8, v3, s15
	v_mul_lo_u32 v9, v3, s18
	;; [unrolled: 1-line block ×3, first 2 shown]
	v_add3_u32 v0, v6, v0, v8
	v_add3_u32 v4, v7, v4, v9
	;; [unrolled: 1-line block ×3, first 2 shown]
	s_cbranch_scc1 .LBB85_110
; %bb.111:
	s_bitcmp1_b32 s4, 0
	s_cselect_b64 s[4:5], -1, 0
	s_and_b64 vcc, exec, s[4:5]
	s_cbranch_vccnz .LBB85_116
; %bb.112:
	s_load_dwordx2 s[4:5], s[2:3], 0x1c
	s_load_dword s8, s[2:3], 0x24
	s_load_dwordx2 s[6:7], s[2:3], 0xdc
	s_waitcnt lgkmcnt(0)
	v_mul_hi_u32 v3, s5, v1
	v_add_u32_e32 v3, v1, v3
	v_lshrrev_b32_e32 v3, s8, v3
	v_mul_lo_u32 v3, v3, s4
	s_load_dword s4, s[2:3], 0xe4
	v_sub_u32_e32 v3, v1, v3
	v_mad_u64_u32 v[0:1], s[2:3], v3, s6, v[0:1]
	v_mad_u64_u32 v[4:5], s[2:3], v3, s7, v[4:5]
	s_waitcnt lgkmcnt(0)
	v_mad_u64_u32 v[2:3], s[2:3], v3, s4, v[2:3]
	s_cbranch_execz .LBB85_117
	s_branch .LBB85_119
.LBB85_113:
	s_endpgm
.LBB85_114:
                                        ; implicit-def: $vgpr0
                                        ; implicit-def: $vgpr4
                                        ; implicit-def: $vgpr2
	s_branch .LBB85_117
.LBB85_115:
	v_mov_b32_e32 v0, 0
	v_mov_b32_e32 v4, 0
	;; [unrolled: 1-line block ×3, first 2 shown]
.LBB85_116:
	s_cbranch_execnz .LBB85_119
.LBB85_117:
	s_load_dwordx4 s[4:7], s[16:17], 0x4
	s_load_dwordx4 s[8:11], s[16:17], 0xc4
	s_cmp_lt_u32 s33, 2
	s_waitcnt lgkmcnt(0)
	v_mul_hi_u32 v0, s5, v31
	v_add_u32_e32 v0, v31, v0
	v_lshrrev_b32_e32 v1, s6, v0
	v_mul_lo_u32 v0, v1, s4
	v_sub_u32_e32 v2, v31, v0
	v_mul_lo_u32 v0, v2, s8
	v_mul_lo_u32 v4, v2, s9
	;; [unrolled: 1-line block ×3, first 2 shown]
	s_cbranch_scc1 .LBB85_119
; %bb.118:
	s_load_dwordx4 s[4:7], s[16:17], 0x10
	s_load_dwordx4 s[8:11], s[16:17], 0xd0
	s_waitcnt lgkmcnt(0)
	v_mul_hi_u32 v3, s5, v1
	v_add_u32_e32 v3, v1, v3
	v_lshrrev_b32_e32 v3, s6, v3
	v_mul_lo_u32 v3, v3, s4
	v_sub_u32_e32 v3, v1, v3
	v_mad_u64_u32 v[0:1], s[2:3], v3, s8, v[0:1]
	v_mad_u64_u32 v[4:5], s[2:3], v3, s9, v[4:5]
	;; [unrolled: 1-line block ×3, first 2 shown]
.LBB85_119:
	s_and_b64 vcc, exec, s[0:1]
	v_add_u32_e32 v1, 0x80, v31
	s_cbranch_vccnz .LBB85_125
; %bb.120:
	s_cmp_lg_u32 s33, 0
	s_cbranch_scc0 .LBB85_126
; %bb.121:
	s_min_u32 s4, s36, 15
	s_add_i32 s2, s4, 1
	s_and_b32 s5, s2, 30
	s_add_u32 s2, s16, 0xffffffe8
	s_addc_u32 s3, s17, -1
	v_mov_b32_e32 v7, 0
	v_mov_b32_e32 v9, 0
	;; [unrolled: 1-line block ×4, first 2 shown]
.LBB85_122:                             ; =>This Inner Loop Header: Depth=1
	s_load_dwordx4 s[8:11], s[2:3], 0x1c
	s_load_dwordx2 s[6:7], s[2:3], 0x2c
	s_load_dwordx2 s[18:19], s[2:3], 0xec
	s_load_dwordx4 s[12:15], s[2:3], 0xdc
	s_add_u32 s2, s2, 24
	s_waitcnt lgkmcnt(0)
	v_mul_hi_u32 v6, s9, v3
	s_addc_u32 s3, s3, 0
	s_add_i32 s5, s5, -2
	s_cmp_lg_u32 s5, 0
	v_add_u32_e32 v6, v3, v6
	v_lshrrev_b32_e32 v6, s10, v6
	v_mul_lo_u32 v8, v6, s8
	v_mul_hi_u32 v10, s6, v6
	v_sub_u32_e32 v8, v3, v8
	v_add_u32_e32 v3, v6, v10
	v_lshrrev_b32_e32 v3, s7, v3
	v_mul_lo_u32 v12, v3, s11
	v_mul_lo_u32 v10, v8, s12
	v_mul_lo_u32 v11, v8, s13
	v_mul_lo_u32 v8, v8, s14
	v_sub_u32_e32 v6, v6, v12
	v_mul_lo_u32 v12, v6, s15
	v_mul_lo_u32 v13, v6, s18
	v_mul_lo_u32 v6, v6, s19
	v_add3_u32 v5, v10, v5, v12
	v_add3_u32 v9, v11, v9, v13
	;; [unrolled: 1-line block ×3, first 2 shown]
	s_cbranch_scc1 .LBB85_122
; %bb.123:
	s_bitcmp1_b32 s4, 0
	s_cselect_b64 s[4:5], -1, 0
	s_and_b64 vcc, exec, s[4:5]
	s_cbranch_vccnz .LBB85_127
; %bb.124:
	s_load_dwordx2 s[4:5], s[2:3], 0x1c
	s_load_dword s8, s[2:3], 0x24
	s_load_dwordx2 s[6:7], s[2:3], 0xdc
	s_waitcnt lgkmcnt(0)
	v_mul_hi_u32 v6, s5, v3
	v_add_u32_e32 v6, v3, v6
	v_lshrrev_b32_e32 v6, s8, v6
	v_mul_lo_u32 v6, v6, s4
	s_load_dword s4, s[2:3], 0xe4
	v_sub_u32_e32 v3, v3, v6
	v_mad_u64_u32 v[5:6], s[2:3], v3, s6, v[5:6]
	v_mad_u64_u32 v[9:10], s[2:3], v3, s7, v[9:10]
	s_waitcnt lgkmcnt(0)
	v_mad_u64_u32 v[7:8], s[2:3], v3, s4, v[7:8]
	s_cbranch_execz .LBB85_128
	s_branch .LBB85_130
.LBB85_125:
                                        ; implicit-def: $vgpr5
                                        ; implicit-def: $vgpr9
                                        ; implicit-def: $vgpr7
	s_branch .LBB85_128
.LBB85_126:
	v_mov_b32_e32 v5, 0
	v_mov_b32_e32 v9, 0
	;; [unrolled: 1-line block ×3, first 2 shown]
.LBB85_127:
	s_cbranch_execnz .LBB85_130
.LBB85_128:
	s_load_dwordx4 s[4:7], s[16:17], 0x4
	s_load_dwordx4 s[8:11], s[16:17], 0xc4
	s_cmp_lt_u32 s33, 2
	s_waitcnt lgkmcnt(0)
	v_mul_hi_u32 v3, s5, v1
	v_add_u32_e32 v3, v1, v3
	v_lshrrev_b32_e32 v3, s6, v3
	v_mul_lo_u32 v5, v3, s4
	v_sub_u32_e32 v1, v1, v5
	v_mul_lo_u32 v5, v1, s8
	v_mul_lo_u32 v9, v1, s9
	v_mul_lo_u32 v7, v1, s10
	s_cbranch_scc1 .LBB85_130
; %bb.129:
	s_load_dwordx4 s[4:7], s[16:17], 0x10
	s_load_dwordx4 s[8:11], s[16:17], 0xd0
	s_waitcnt lgkmcnt(0)
	v_mul_hi_u32 v1, s5, v3
	v_add_u32_e32 v1, v3, v1
	v_lshrrev_b32_e32 v1, s6, v1
	v_mul_lo_u32 v1, v1, s4
	v_sub_u32_e32 v1, v3, v1
	v_mad_u64_u32 v[5:6], s[2:3], v1, s8, v[5:6]
	v_mad_u64_u32 v[9:10], s[2:3], v1, s9, v[9:10]
	;; [unrolled: 1-line block ×3, first 2 shown]
.LBB85_130:
	s_and_b64 vcc, exec, s[0:1]
	v_add_u32_e32 v1, 0x100, v31
	s_cbranch_vccnz .LBB85_136
; %bb.131:
	s_cmp_lg_u32 s33, 0
	s_cbranch_scc0 .LBB85_137
; %bb.132:
	s_min_u32 s4, s36, 15
	s_add_i32 s2, s4, 1
	s_and_b32 s5, s2, 30
	s_add_u32 s2, s16, 0xffffffe8
	s_addc_u32 s3, s17, -1
	v_mov_b32_e32 v12, 0
	v_mov_b32_e32 v14, 0
	;; [unrolled: 1-line block ×4, first 2 shown]
.LBB85_133:                             ; =>This Inner Loop Header: Depth=1
	s_load_dwordx4 s[8:11], s[2:3], 0x1c
	s_load_dwordx2 s[6:7], s[2:3], 0x2c
	s_load_dwordx2 s[18:19], s[2:3], 0xec
	s_load_dwordx4 s[12:15], s[2:3], 0xdc
	s_add_u32 s2, s2, 24
	s_waitcnt lgkmcnt(0)
	v_mul_hi_u32 v6, s9, v3
	s_addc_u32 s3, s3, 0
	s_add_i32 s5, s5, -2
	s_cmp_lg_u32 s5, 0
	v_add_u32_e32 v6, v3, v6
	v_lshrrev_b32_e32 v6, s10, v6
	v_mul_lo_u32 v8, v6, s8
	v_mul_hi_u32 v11, s6, v6
	v_sub_u32_e32 v8, v3, v8
	v_add_u32_e32 v3, v6, v11
	v_lshrrev_b32_e32 v3, s7, v3
	v_mul_lo_u32 v15, v3, s11
	v_mul_lo_u32 v11, v8, s12
	;; [unrolled: 1-line block ×4, first 2 shown]
	v_sub_u32_e32 v6, v6, v15
	v_mul_lo_u32 v15, v6, s15
	v_mul_lo_u32 v16, v6, s18
	;; [unrolled: 1-line block ×3, first 2 shown]
	v_add3_u32 v10, v11, v10, v15
	v_add3_u32 v14, v13, v14, v16
	;; [unrolled: 1-line block ×3, first 2 shown]
	s_cbranch_scc1 .LBB85_133
; %bb.134:
	s_bitcmp1_b32 s4, 0
	s_cselect_b64 s[4:5], -1, 0
	s_and_b64 vcc, exec, s[4:5]
	s_cbranch_vccnz .LBB85_138
; %bb.135:
	s_load_dwordx2 s[4:5], s[2:3], 0x1c
	s_load_dword s8, s[2:3], 0x24
	s_load_dwordx2 s[6:7], s[2:3], 0xdc
	s_waitcnt lgkmcnt(0)
	v_mul_hi_u32 v6, s5, v3
	v_add_u32_e32 v6, v3, v6
	v_lshrrev_b32_e32 v6, s8, v6
	v_mul_lo_u32 v6, v6, s4
	s_load_dword s4, s[2:3], 0xe4
	v_sub_u32_e32 v3, v3, v6
	v_mad_u64_u32 v[10:11], s[2:3], v3, s6, v[10:11]
	v_mad_u64_u32 v[14:15], s[2:3], v3, s7, v[14:15]
	s_waitcnt lgkmcnt(0)
	v_mad_u64_u32 v[12:13], s[2:3], v3, s4, v[12:13]
	s_cbranch_execz .LBB85_139
	s_branch .LBB85_141
.LBB85_136:
                                        ; implicit-def: $vgpr10
                                        ; implicit-def: $vgpr14
                                        ; implicit-def: $vgpr12
	s_branch .LBB85_139
.LBB85_137:
	v_mov_b32_e32 v10, 0
	v_mov_b32_e32 v14, 0
	;; [unrolled: 1-line block ×3, first 2 shown]
.LBB85_138:
	s_cbranch_execnz .LBB85_141
.LBB85_139:
	s_load_dwordx4 s[4:7], s[16:17], 0x4
	s_load_dwordx4 s[8:11], s[16:17], 0xc4
	s_cmp_lt_u32 s33, 2
	s_waitcnt lgkmcnt(0)
	v_mul_hi_u32 v3, s5, v1
	v_add_u32_e32 v3, v1, v3
	v_lshrrev_b32_e32 v3, s6, v3
	v_mul_lo_u32 v6, v3, s4
	v_sub_u32_e32 v1, v1, v6
	v_mul_lo_u32 v10, v1, s8
	v_mul_lo_u32 v14, v1, s9
	;; [unrolled: 1-line block ×3, first 2 shown]
	s_cbranch_scc1 .LBB85_141
; %bb.140:
	s_load_dwordx4 s[4:7], s[16:17], 0x10
	s_load_dwordx4 s[8:11], s[16:17], 0xd0
	s_waitcnt lgkmcnt(0)
	v_mul_hi_u32 v1, s5, v3
	v_add_u32_e32 v1, v3, v1
	v_lshrrev_b32_e32 v1, s6, v1
	v_mul_lo_u32 v1, v1, s4
	v_sub_u32_e32 v1, v3, v1
	v_mad_u64_u32 v[10:11], s[2:3], v1, s8, v[10:11]
	v_mad_u64_u32 v[14:15], s[2:3], v1, s9, v[14:15]
	;; [unrolled: 1-line block ×3, first 2 shown]
.LBB85_141:
	s_and_b64 vcc, exec, s[0:1]
	v_add_u32_e32 v1, 0x180, v31
	s_cbranch_vccnz .LBB85_147
; %bb.142:
	s_cmp_lg_u32 s33, 0
	s_cbranch_scc0 .LBB85_148
; %bb.143:
	s_min_u32 s4, s36, 15
	s_add_i32 s2, s4, 1
	s_and_b32 s5, s2, 30
	s_add_u32 s2, s16, 0xffffffe8
	s_addc_u32 s3, s17, -1
	v_mov_b32_e32 v17, 0
	v_mov_b32_e32 v19, 0
	;; [unrolled: 1-line block ×4, first 2 shown]
.LBB85_144:                             ; =>This Inner Loop Header: Depth=1
	s_load_dwordx4 s[8:11], s[2:3], 0x1c
	s_load_dwordx2 s[6:7], s[2:3], 0x2c
	s_load_dwordx2 s[18:19], s[2:3], 0xec
	s_load_dwordx4 s[12:15], s[2:3], 0xdc
	s_add_u32 s2, s2, 24
	s_waitcnt lgkmcnt(0)
	v_mul_hi_u32 v6, s9, v3
	s_addc_u32 s3, s3, 0
	s_add_i32 s5, s5, -2
	s_cmp_lg_u32 s5, 0
	v_add_u32_e32 v6, v3, v6
	v_lshrrev_b32_e32 v6, s10, v6
	v_mul_lo_u32 v8, v6, s8
	v_mul_hi_u32 v11, s6, v6
	v_sub_u32_e32 v8, v3, v8
	v_add_u32_e32 v3, v6, v11
	v_lshrrev_b32_e32 v3, s7, v3
	v_mul_lo_u32 v16, v3, s11
	v_mul_lo_u32 v11, v8, s12
	;; [unrolled: 1-line block ×4, first 2 shown]
	v_sub_u32_e32 v6, v6, v16
	v_mul_lo_u32 v16, v6, s15
	v_mul_lo_u32 v18, v6, s18
	;; [unrolled: 1-line block ×3, first 2 shown]
	v_add3_u32 v15, v11, v15, v16
	v_add3_u32 v19, v13, v19, v18
	;; [unrolled: 1-line block ×3, first 2 shown]
	s_cbranch_scc1 .LBB85_144
; %bb.145:
	s_bitcmp1_b32 s4, 0
	s_cselect_b64 s[4:5], -1, 0
	s_and_b64 vcc, exec, s[4:5]
	s_cbranch_vccnz .LBB85_149
; %bb.146:
	s_load_dwordx2 s[4:5], s[2:3], 0x1c
	s_load_dword s8, s[2:3], 0x24
	s_load_dwordx2 s[6:7], s[2:3], 0xdc
	s_waitcnt lgkmcnt(0)
	v_mul_hi_u32 v6, s5, v3
	v_add_u32_e32 v6, v3, v6
	v_lshrrev_b32_e32 v6, s8, v6
	v_mul_lo_u32 v6, v6, s4
	s_load_dword s4, s[2:3], 0xe4
	v_sub_u32_e32 v3, v3, v6
	v_mad_u64_u32 v[15:16], s[2:3], v3, s6, v[15:16]
	v_mad_u64_u32 v[19:20], s[2:3], v3, s7, v[19:20]
	s_waitcnt lgkmcnt(0)
	v_mad_u64_u32 v[17:18], s[2:3], v3, s4, v[17:18]
	s_cbranch_execz .LBB85_150
	s_branch .LBB85_152
.LBB85_147:
                                        ; implicit-def: $vgpr15
                                        ; implicit-def: $vgpr19
                                        ; implicit-def: $vgpr17
	s_branch .LBB85_150
.LBB85_148:
	v_mov_b32_e32 v15, 0
	v_mov_b32_e32 v19, 0
	;; [unrolled: 1-line block ×3, first 2 shown]
.LBB85_149:
	s_cbranch_execnz .LBB85_152
.LBB85_150:
	s_load_dwordx4 s[4:7], s[16:17], 0x4
	s_load_dwordx4 s[8:11], s[16:17], 0xc4
	s_cmp_lt_u32 s33, 2
	s_waitcnt lgkmcnt(0)
	v_mul_hi_u32 v3, s5, v1
	v_add_u32_e32 v3, v1, v3
	v_lshrrev_b32_e32 v3, s6, v3
	v_mul_lo_u32 v6, v3, s4
	v_sub_u32_e32 v1, v1, v6
	v_mul_lo_u32 v15, v1, s8
	v_mul_lo_u32 v19, v1, s9
	;; [unrolled: 1-line block ×3, first 2 shown]
	s_cbranch_scc1 .LBB85_152
; %bb.151:
	s_load_dwordx4 s[4:7], s[16:17], 0x10
	s_load_dwordx4 s[8:11], s[16:17], 0xd0
	s_waitcnt lgkmcnt(0)
	v_mul_hi_u32 v1, s5, v3
	v_add_u32_e32 v1, v3, v1
	v_lshrrev_b32_e32 v1, s6, v1
	v_mul_lo_u32 v1, v1, s4
	v_sub_u32_e32 v1, v3, v1
	v_mad_u64_u32 v[15:16], s[2:3], v1, s8, v[15:16]
	v_mad_u64_u32 v[19:20], s[2:3], v1, s9, v[19:20]
	v_mad_u64_u32 v[17:18], s[2:3], v1, s10, v[17:18]
.LBB85_152:
	s_and_b64 vcc, exec, s[0:1]
	v_add_u32_e32 v1, 0x200, v31
	s_cbranch_vccnz .LBB85_158
; %bb.153:
	s_cmp_lg_u32 s33, 0
	s_cbranch_scc0 .LBB85_159
; %bb.154:
	s_min_u32 s4, s36, 15
	s_add_i32 s2, s4, 1
	s_and_b32 s5, s2, 30
	s_add_u32 s2, s16, 0xffffffe8
	s_addc_u32 s3, s17, -1
	v_mov_b32_e32 v22, 0
	v_mov_b32_e32 v24, 0
	;; [unrolled: 1-line block ×4, first 2 shown]
.LBB85_155:                             ; =>This Inner Loop Header: Depth=1
	s_load_dwordx4 s[8:11], s[2:3], 0x1c
	s_load_dwordx2 s[6:7], s[2:3], 0x2c
	s_load_dwordx2 s[18:19], s[2:3], 0xec
	s_load_dwordx4 s[12:15], s[2:3], 0xdc
	s_add_u32 s2, s2, 24
	s_waitcnt lgkmcnt(0)
	v_mul_hi_u32 v6, s9, v3
	s_addc_u32 s3, s3, 0
	s_add_i32 s5, s5, -2
	s_cmp_lg_u32 s5, 0
	v_add_u32_e32 v6, v3, v6
	v_lshrrev_b32_e32 v6, s10, v6
	v_mul_lo_u32 v8, v6, s8
	v_mul_hi_u32 v11, s6, v6
	v_sub_u32_e32 v8, v3, v8
	v_add_u32_e32 v3, v6, v11
	v_lshrrev_b32_e32 v3, s7, v3
	v_mul_lo_u32 v16, v3, s11
	v_mul_lo_u32 v11, v8, s12
	;; [unrolled: 1-line block ×4, first 2 shown]
	v_sub_u32_e32 v6, v6, v16
	v_mul_lo_u32 v16, v6, s15
	v_mul_lo_u32 v18, v6, s18
	;; [unrolled: 1-line block ×3, first 2 shown]
	v_add3_u32 v20, v11, v20, v16
	v_add3_u32 v24, v13, v24, v18
	;; [unrolled: 1-line block ×3, first 2 shown]
	s_cbranch_scc1 .LBB85_155
; %bb.156:
	s_bitcmp1_b32 s4, 0
	s_cselect_b64 s[4:5], -1, 0
	s_and_b64 vcc, exec, s[4:5]
	s_cbranch_vccnz .LBB85_160
; %bb.157:
	s_load_dwordx2 s[4:5], s[2:3], 0x1c
	s_load_dword s8, s[2:3], 0x24
	s_load_dwordx2 s[6:7], s[2:3], 0xdc
	s_waitcnt lgkmcnt(0)
	v_mul_hi_u32 v6, s5, v3
	v_add_u32_e32 v6, v3, v6
	v_lshrrev_b32_e32 v6, s8, v6
	v_mul_lo_u32 v6, v6, s4
	s_load_dword s4, s[2:3], 0xe4
	v_sub_u32_e32 v3, v3, v6
	v_mad_u64_u32 v[20:21], s[2:3], v3, s6, v[20:21]
	v_mad_u64_u32 v[24:25], s[2:3], v3, s7, v[24:25]
	s_waitcnt lgkmcnt(0)
	v_mad_u64_u32 v[22:23], s[2:3], v3, s4, v[22:23]
	s_cbranch_execz .LBB85_161
	s_branch .LBB85_163
.LBB85_158:
                                        ; implicit-def: $vgpr20
                                        ; implicit-def: $vgpr24
                                        ; implicit-def: $vgpr22
	s_branch .LBB85_161
.LBB85_159:
	v_mov_b32_e32 v20, 0
	v_mov_b32_e32 v24, 0
	;; [unrolled: 1-line block ×3, first 2 shown]
.LBB85_160:
	s_cbranch_execnz .LBB85_163
.LBB85_161:
	s_load_dwordx4 s[4:7], s[16:17], 0x4
	s_load_dwordx4 s[8:11], s[16:17], 0xc4
	s_cmp_lt_u32 s33, 2
	s_waitcnt lgkmcnt(0)
	v_mul_hi_u32 v3, s5, v1
	v_add_u32_e32 v3, v1, v3
	v_lshrrev_b32_e32 v3, s6, v3
	v_mul_lo_u32 v6, v3, s4
	v_sub_u32_e32 v1, v1, v6
	v_mul_lo_u32 v20, v1, s8
	v_mul_lo_u32 v24, v1, s9
	;; [unrolled: 1-line block ×3, first 2 shown]
	s_cbranch_scc1 .LBB85_163
; %bb.162:
	s_load_dwordx4 s[4:7], s[16:17], 0x10
	s_load_dwordx4 s[8:11], s[16:17], 0xd0
	s_waitcnt lgkmcnt(0)
	v_mul_hi_u32 v1, s5, v3
	v_add_u32_e32 v1, v3, v1
	v_lshrrev_b32_e32 v1, s6, v1
	v_mul_lo_u32 v1, v1, s4
	v_sub_u32_e32 v1, v3, v1
	v_mad_u64_u32 v[20:21], s[2:3], v1, s8, v[20:21]
	v_mad_u64_u32 v[24:25], s[2:3], v1, s9, v[24:25]
	v_mad_u64_u32 v[22:23], s[2:3], v1, s10, v[22:23]
.LBB85_163:
	s_and_b64 vcc, exec, s[0:1]
	v_add_u32_e32 v1, 0x280, v31
	s_cbranch_vccnz .LBB85_169
; %bb.164:
	s_cmp_lg_u32 s33, 0
	s_cbranch_scc0 .LBB85_170
; %bb.165:
	s_min_u32 s4, s36, 15
	s_add_i32 s2, s4, 1
	s_and_b32 s5, s2, 30
	s_add_u32 s2, s16, 0xffffffe8
	s_addc_u32 s3, s17, -1
	v_mov_b32_e32 v27, 0
	v_mov_b32_e32 v29, 0
	;; [unrolled: 1-line block ×4, first 2 shown]
.LBB85_166:                             ; =>This Inner Loop Header: Depth=1
	s_load_dwordx4 s[8:11], s[2:3], 0x1c
	s_load_dwordx2 s[6:7], s[2:3], 0x2c
	s_load_dwordx2 s[18:19], s[2:3], 0xec
	s_load_dwordx4 s[12:15], s[2:3], 0xdc
	s_add_u32 s2, s2, 24
	s_waitcnt lgkmcnt(0)
	v_mul_hi_u32 v6, s9, v3
	s_addc_u32 s3, s3, 0
	s_add_i32 s5, s5, -2
	s_cmp_lg_u32 s5, 0
	v_add_u32_e32 v6, v3, v6
	v_lshrrev_b32_e32 v6, s10, v6
	v_mul_lo_u32 v8, v6, s8
	v_mul_hi_u32 v11, s6, v6
	v_sub_u32_e32 v8, v3, v8
	v_add_u32_e32 v3, v6, v11
	v_lshrrev_b32_e32 v3, s7, v3
	v_mul_lo_u32 v16, v3, s11
	v_mul_lo_u32 v11, v8, s12
	;; [unrolled: 1-line block ×4, first 2 shown]
	v_sub_u32_e32 v6, v6, v16
	v_mul_lo_u32 v16, v6, s15
	v_mul_lo_u32 v18, v6, s18
	;; [unrolled: 1-line block ×3, first 2 shown]
	v_add3_u32 v25, v11, v25, v16
	v_add3_u32 v29, v13, v29, v18
	;; [unrolled: 1-line block ×3, first 2 shown]
	s_cbranch_scc1 .LBB85_166
; %bb.167:
	s_bitcmp1_b32 s4, 0
	s_cselect_b64 s[4:5], -1, 0
	s_and_b64 vcc, exec, s[4:5]
	s_cbranch_vccnz .LBB85_171
; %bb.168:
	s_load_dwordx2 s[4:5], s[2:3], 0x1c
	s_load_dword s8, s[2:3], 0x24
	s_load_dwordx2 s[6:7], s[2:3], 0xdc
	s_waitcnt lgkmcnt(0)
	v_mul_hi_u32 v6, s5, v3
	v_add_u32_e32 v6, v3, v6
	v_lshrrev_b32_e32 v6, s8, v6
	v_mul_lo_u32 v6, v6, s4
	s_load_dword s4, s[2:3], 0xe4
	v_sub_u32_e32 v3, v3, v6
	v_mad_u64_u32 v[25:26], s[2:3], v3, s6, v[25:26]
	v_mad_u64_u32 v[29:30], s[2:3], v3, s7, v[29:30]
	s_waitcnt lgkmcnt(0)
	v_mad_u64_u32 v[27:28], s[2:3], v3, s4, v[27:28]
	s_cbranch_execz .LBB85_172
	s_branch .LBB85_174
.LBB85_169:
                                        ; implicit-def: $vgpr25
                                        ; implicit-def: $vgpr29
                                        ; implicit-def: $vgpr27
	s_branch .LBB85_172
.LBB85_170:
	v_mov_b32_e32 v25, 0
	v_mov_b32_e32 v29, 0
	;; [unrolled: 1-line block ×3, first 2 shown]
.LBB85_171:
	s_cbranch_execnz .LBB85_174
.LBB85_172:
	s_load_dwordx4 s[4:7], s[16:17], 0x4
	s_load_dwordx4 s[8:11], s[16:17], 0xc4
	s_cmp_lt_u32 s33, 2
	s_waitcnt lgkmcnt(0)
	v_mul_hi_u32 v3, s5, v1
	v_add_u32_e32 v3, v1, v3
	v_lshrrev_b32_e32 v3, s6, v3
	v_mul_lo_u32 v6, v3, s4
	v_sub_u32_e32 v1, v1, v6
	v_mul_lo_u32 v25, v1, s8
	v_mul_lo_u32 v29, v1, s9
	;; [unrolled: 1-line block ×3, first 2 shown]
	s_cbranch_scc1 .LBB85_174
; %bb.173:
	s_load_dwordx4 s[4:7], s[16:17], 0x10
	s_load_dwordx4 s[8:11], s[16:17], 0xd0
	s_waitcnt lgkmcnt(0)
	v_mul_hi_u32 v1, s5, v3
	v_add_u32_e32 v1, v3, v1
	v_lshrrev_b32_e32 v1, s6, v1
	v_mul_lo_u32 v1, v1, s4
	v_sub_u32_e32 v1, v3, v1
	v_mad_u64_u32 v[25:26], s[2:3], v1, s8, v[25:26]
	v_mad_u64_u32 v[29:30], s[2:3], v1, s9, v[29:30]
	v_mad_u64_u32 v[27:28], s[2:3], v1, s10, v[27:28]
.LBB85_174:
	s_and_b64 vcc, exec, s[0:1]
	v_add_u32_e32 v1, 0x300, v31
	s_cbranch_vccnz .LBB85_180
; %bb.175:
	s_cmp_lg_u32 s33, 0
	s_cbranch_scc0 .LBB85_181
; %bb.176:
	s_min_u32 s4, s36, 15
	s_add_i32 s2, s4, 1
	s_and_b32 s5, s2, 30
	s_add_u32 s2, s16, 0xffffffe8
	s_addc_u32 s3, s17, -1
	v_mov_b32_e32 v34, 0
	v_mov_b32_e32 v32, 0
	;; [unrolled: 1-line block ×4, first 2 shown]
.LBB85_177:                             ; =>This Inner Loop Header: Depth=1
	s_load_dwordx4 s[8:11], s[2:3], 0x1c
	s_load_dwordx2 s[6:7], s[2:3], 0x2c
	s_load_dwordx2 s[18:19], s[2:3], 0xec
	s_load_dwordx4 s[12:15], s[2:3], 0xdc
	s_add_u32 s2, s2, 24
	s_waitcnt lgkmcnt(0)
	v_mul_hi_u32 v6, s9, v3
	s_addc_u32 s3, s3, 0
	s_add_i32 s5, s5, -2
	s_cmp_lg_u32 s5, 0
	v_add_u32_e32 v6, v3, v6
	v_lshrrev_b32_e32 v6, s10, v6
	v_mul_lo_u32 v8, v6, s8
	v_mul_hi_u32 v11, s6, v6
	v_sub_u32_e32 v8, v3, v8
	v_add_u32_e32 v3, v6, v11
	v_lshrrev_b32_e32 v3, s7, v3
	v_mul_lo_u32 v16, v3, s11
	v_mul_lo_u32 v11, v8, s12
	;; [unrolled: 1-line block ×4, first 2 shown]
	v_sub_u32_e32 v6, v6, v16
	v_mul_lo_u32 v16, v6, s15
	v_mul_lo_u32 v18, v6, s18
	;; [unrolled: 1-line block ×3, first 2 shown]
	v_add3_u32 v30, v11, v30, v16
	v_add3_u32 v32, v13, v32, v18
	;; [unrolled: 1-line block ×3, first 2 shown]
	s_cbranch_scc1 .LBB85_177
; %bb.178:
	s_bitcmp1_b32 s4, 0
	s_cselect_b64 s[4:5], -1, 0
	s_and_b64 vcc, exec, s[4:5]
	s_cbranch_vccnz .LBB85_182
; %bb.179:
	s_load_dwordx2 s[4:5], s[2:3], 0x1c
	s_load_dword s8, s[2:3], 0x24
	s_load_dwordx2 s[6:7], s[2:3], 0xdc
	s_waitcnt lgkmcnt(0)
	v_mul_hi_u32 v6, s5, v3
	v_add_u32_e32 v6, v3, v6
	v_lshrrev_b32_e32 v6, s8, v6
	v_mul_lo_u32 v6, v6, s4
	s_load_dword s4, s[2:3], 0xe4
	v_sub_u32_e32 v3, v3, v6
	v_mad_u64_u32 v[30:31], s[2:3], v3, s6, v[30:31]
	v_mad_u64_u32 v[32:33], s[2:3], v3, s7, v[32:33]
	s_waitcnt lgkmcnt(0)
	v_mad_u64_u32 v[34:35], s[2:3], v3, s4, v[34:35]
	s_cbranch_execz .LBB85_183
	s_branch .LBB85_185
.LBB85_180:
                                        ; implicit-def: $vgpr30
                                        ; implicit-def: $vgpr32
                                        ; implicit-def: $vgpr34
	s_branch .LBB85_183
.LBB85_181:
	v_mov_b32_e32 v30, 0
	v_mov_b32_e32 v32, 0
	;; [unrolled: 1-line block ×3, first 2 shown]
.LBB85_182:
	s_cbranch_execnz .LBB85_185
.LBB85_183:
	s_load_dwordx4 s[4:7], s[16:17], 0x4
	s_load_dwordx4 s[8:11], s[16:17], 0xc4
	s_cmp_lt_u32 s33, 2
	s_waitcnt lgkmcnt(0)
	v_mul_hi_u32 v3, s5, v1
	v_add_u32_e32 v3, v1, v3
	v_lshrrev_b32_e32 v3, s6, v3
	v_mul_lo_u32 v6, v3, s4
	v_sub_u32_e32 v1, v1, v6
	v_mul_lo_u32 v30, v1, s8
	v_mul_lo_u32 v32, v1, s9
	;; [unrolled: 1-line block ×3, first 2 shown]
	s_cbranch_scc1 .LBB85_185
; %bb.184:
	s_load_dwordx4 s[4:7], s[16:17], 0x10
	s_load_dwordx4 s[8:11], s[16:17], 0xd0
	s_waitcnt lgkmcnt(0)
	v_mul_hi_u32 v1, s5, v3
	v_add_u32_e32 v1, v3, v1
	v_lshrrev_b32_e32 v1, s6, v1
	v_mul_lo_u32 v1, v1, s4
	v_sub_u32_e32 v1, v3, v1
	v_mad_u64_u32 v[30:31], s[2:3], v1, s8, v[30:31]
	v_mad_u64_u32 v[32:33], s[2:3], v1, s9, v[32:33]
	;; [unrolled: 1-line block ×3, first 2 shown]
.LBB85_185:
	s_and_b64 vcc, exec, s[0:1]
	s_cbranch_vccnz .LBB85_191
; %bb.186:
	s_cmp_lg_u32 s33, 0
	s_cbranch_scc0 .LBB85_192
; %bb.187:
	s_min_u32 s2, s36, 15
	s_add_i32 s0, s2, 1
	s_and_b32 s3, s0, 30
	s_add_u32 s0, s16, 0xffffffe8
	s_addc_u32 s1, s17, -1
	v_mov_b32_e32 v37, 0
	v_mov_b32_e32 v39, 0
	v_mov_b32_e32 v35, 0
	v_mov_b32_e32 v1, v41
.LBB85_188:                             ; =>This Inner Loop Header: Depth=1
	s_load_dwordx4 s[4:7], s[0:1], 0x1c
	s_load_dwordx2 s[12:13], s[0:1], 0x2c
	s_load_dwordx2 s[14:15], s[0:1], 0xec
	s_load_dwordx4 s[8:11], s[0:1], 0xdc
	s_add_u32 s0, s0, 24
	s_waitcnt lgkmcnt(0)
	v_mul_hi_u32 v3, s5, v1
	s_addc_u32 s1, s1, 0
	s_add_i32 s3, s3, -2
	s_cmp_lg_u32 s3, 0
	v_add_u32_e32 v3, v1, v3
	v_lshrrev_b32_e32 v3, s6, v3
	v_mul_lo_u32 v6, v3, s4
	v_mul_hi_u32 v8, s12, v3
	v_sub_u32_e32 v6, v1, v6
	v_add_u32_e32 v1, v3, v8
	v_lshrrev_b32_e32 v1, s13, v1
	v_mul_lo_u32 v13, v1, s7
	v_mul_lo_u32 v8, v6, s8
	;; [unrolled: 1-line block ×4, first 2 shown]
	v_sub_u32_e32 v3, v3, v13
	v_mul_lo_u32 v13, v3, s11
	v_mul_lo_u32 v16, v3, s14
	;; [unrolled: 1-line block ×3, first 2 shown]
	v_add3_u32 v35, v8, v35, v13
	v_add3_u32 v39, v11, v39, v16
	;; [unrolled: 1-line block ×3, first 2 shown]
	s_cbranch_scc1 .LBB85_188
; %bb.189:
	s_bitcmp1_b32 s2, 0
	s_cselect_b64 s[2:3], -1, 0
	s_and_b64 vcc, exec, s[2:3]
	s_cbranch_vccnz .LBB85_193
; %bb.190:
	s_load_dwordx2 s[2:3], s[0:1], 0x1c
	s_load_dword s6, s[0:1], 0x24
	s_load_dwordx2 s[4:5], s[0:1], 0xdc
	s_waitcnt lgkmcnt(0)
	v_mul_hi_u32 v3, s3, v1
	v_add_u32_e32 v3, v1, v3
	v_lshrrev_b32_e32 v3, s6, v3
	v_mul_lo_u32 v3, v3, s2
	s_load_dword s2, s[0:1], 0xe4
	v_sub_u32_e32 v1, v1, v3
	v_mad_u64_u32 v[35:36], s[0:1], v1, s4, v[35:36]
	v_mad_u64_u32 v[39:40], s[0:1], v1, s5, v[39:40]
	s_waitcnt lgkmcnt(0)
	v_mad_u64_u32 v[37:38], s[0:1], v1, s2, v[37:38]
	s_cbranch_execz .LBB85_194
	s_branch .LBB85_196
.LBB85_191:
                                        ; implicit-def: $vgpr35
                                        ; implicit-def: $vgpr39
                                        ; implicit-def: $vgpr37
	s_branch .LBB85_194
.LBB85_192:
	v_mov_b32_e32 v35, 0
	v_mov_b32_e32 v39, 0
	v_mov_b32_e32 v37, 0
.LBB85_193:
	s_cbranch_execnz .LBB85_196
.LBB85_194:
	s_load_dwordx4 s[0:3], s[16:17], 0x4
	s_load_dwordx4 s[4:7], s[16:17], 0xc4
	s_cmp_lt_u32 s33, 2
	s_waitcnt lgkmcnt(0)
	v_mul_hi_u32 v1, s1, v41
	v_add_u32_e32 v1, v41, v1
	v_lshrrev_b32_e32 v1, s2, v1
	v_mul_lo_u32 v3, v1, s0
	v_sub_u32_e32 v3, v41, v3
	v_mul_lo_u32 v35, v3, s4
	v_mul_lo_u32 v39, v3, s5
	;; [unrolled: 1-line block ×3, first 2 shown]
	s_cbranch_scc1 .LBB85_196
; %bb.195:
	s_load_dwordx4 s[0:3], s[16:17], 0x10
	s_load_dwordx4 s[4:7], s[16:17], 0xd0
	s_waitcnt lgkmcnt(0)
	v_mul_hi_u32 v3, s1, v1
	v_add_u32_e32 v3, v1, v3
	v_lshrrev_b32_e32 v3, s2, v3
	v_mul_lo_u32 v3, v3, s0
	v_sub_u32_e32 v1, v1, v3
	v_mad_u64_u32 v[35:36], s[0:1], v1, s4, v[35:36]
	v_mad_u64_u32 v[39:40], s[0:1], v1, s5, v[39:40]
	;; [unrolled: 1-line block ×3, first 2 shown]
.LBB85_196:
	s_load_dwordx4 s[20:23], s[16:17], 0x188
	s_load_dwordx2 s[14:15], s[16:17], 0x198
	s_waitcnt lgkmcnt(0)
	global_load_dwordx2 v[40:41], v9, s[22:23]
	global_load_dwordx2 v[42:43], v7, s[14:15]
	s_nop 0
	global_load_dwordx2 v[6:7], v19, s[22:23]
	global_load_dwordx2 v[8:9], v17, s[14:15]
	s_waitcnt vmcnt(2)
	v_cmp_eq_f64_e32 vcc, v[40:41], v[42:43]
	s_waitcnt vmcnt(0)
	v_cmp_eq_f64_e64 s[2:3], v[6:7], v[8:9]
	v_cmp_neq_f64_e64 s[4:5], v[6:7], v[8:9]
	global_load_dwordx2 v[6:7], v29, s[22:23]
	global_load_dwordx2 v[8:9], v27, s[14:15]
	v_cmp_neq_f64_e64 s[0:1], v[40:41], v[42:43]
	v_cndmask_b32_e64 v3, 0, 1, vcc
	s_waitcnt vmcnt(0)
	v_cmp_eq_f64_e64 s[6:7], v[6:7], v[8:9]
	v_cmp_neq_f64_e64 s[8:9], v[6:7], v[8:9]
	global_load_dwordx2 v[6:7], v39, s[22:23]
	global_load_dwordx2 v[8:9], v37, s[14:15]
	v_cndmask_b32_e64 v13, 0, 1, s[6:7]
	s_waitcnt vmcnt(0)
	v_cmp_eq_f64_e64 s[10:11], v[6:7], v[8:9]
	v_cmp_neq_f64_e64 s[12:13], v[6:7], v[8:9]
	global_load_dwordx2 v[6:7], v4, s[22:23]
	global_load_dwordx2 v[8:9], v2, s[14:15]
	;; [unrolled: 1-line block ×8, first 2 shown]
	v_cndmask_b32_e64 v4, 0, 1, s[0:1]
	s_load_dword s14, s[16:17], 0x1a0
	v_cndmask_b32_e64 v14, 0, 1, s[8:9]
	s_waitcnt lgkmcnt(0)
	s_cmp_eq_u32 s14, 0
	s_waitcnt vmcnt(6)
	v_cmp_neq_f64_e64 s[14:15], v[6:7], v[8:9]
	v_cmp_eq_f64_e64 s[16:17], v[6:7], v[8:9]
	s_waitcnt vmcnt(4)
	v_cmp_neq_f64_e32 vcc, v[16:17], v[18:19]
	v_cmp_eq_f64_e64 s[0:1], v[16:17], v[18:19]
	v_cndmask_b32_e64 v8, 0, 1, s[2:3]
	v_cndmask_b32_e64 v9, 0, 1, s[4:5]
	;; [unrolled: 1-line block ×6, first 2 shown]
	v_cndmask_b32_e64 v7, 0, 1, vcc
	s_waitcnt vmcnt(2)
	v_cmp_neq_f64_e32 vcc, v[26:27], v[28:29]
	v_cndmask_b32_e64 v6, 0, 1, s[0:1]
	v_cmp_eq_f64_e64 s[0:1], v[26:27], v[28:29]
	v_cndmask_b32_e64 v12, 0, 1, vcc
	s_waitcnt vmcnt(0)
	v_cmp_neq_f64_e32 vcc, v[36:37], v[38:39]
	v_cndmask_b32_e64 v11, 0, 1, s[0:1]
	v_cmp_eq_f64_e64 s[0:1], v[36:37], v[38:39]
	v_cndmask_b32_e64 v17, 0, 1, vcc
	s_cselect_b64 vcc, -1, 0
	v_cndmask_b32_e64 v16, 0, 1, s[0:1]
	v_cndmask_b32_e32 v1, v2, v1, vcc
	v_cndmask_b32_e32 v2, v4, v3, vcc
	;; [unrolled: 1-line block ×8, first 2 shown]
	v_and_b32_e32 v1, 1, v1
	v_and_b32_e32 v2, 1, v2
	;; [unrolled: 1-line block ×8, first 2 shown]
	global_store_byte v0, v1, s[20:21]
	global_store_byte v5, v2, s[20:21]
	;; [unrolled: 1-line block ×8, first 2 shown]
	s_endpgm
	.section	.rodata,"a",@progbits
	.p2align	6, 0x0
	.amdhsa_kernel _ZN2at6native32elementwise_kernel_manual_unrollILi128ELi8EZNS0_22gpu_kernel_impl_nocastINS0_13BinaryFunctorIddbNS0_12_GLOBAL__N_116CompareEqFunctorIdEEEEEEvRNS_18TensorIteratorBaseERKT_EUlibE_EEviT1_
		.amdhsa_group_segment_fixed_size 0
		.amdhsa_private_segment_fixed_size 0
		.amdhsa_kernarg_size 432
		.amdhsa_user_sgpr_count 6
		.amdhsa_user_sgpr_private_segment_buffer 1
		.amdhsa_user_sgpr_dispatch_ptr 0
		.amdhsa_user_sgpr_queue_ptr 0
		.amdhsa_user_sgpr_kernarg_segment_ptr 1
		.amdhsa_user_sgpr_dispatch_id 0
		.amdhsa_user_sgpr_flat_scratch_init 0
		.amdhsa_user_sgpr_private_segment_size 0
		.amdhsa_uses_dynamic_stack 0
		.amdhsa_system_sgpr_private_segment_wavefront_offset 0
		.amdhsa_system_sgpr_workgroup_id_x 1
		.amdhsa_system_sgpr_workgroup_id_y 0
		.amdhsa_system_sgpr_workgroup_id_z 0
		.amdhsa_system_sgpr_workgroup_info 0
		.amdhsa_system_vgpr_workitem_id 0
		.amdhsa_next_free_vgpr 44
		.amdhsa_next_free_sgpr 52
		.amdhsa_reserve_vcc 1
		.amdhsa_reserve_flat_scratch 0
		.amdhsa_float_round_mode_32 0
		.amdhsa_float_round_mode_16_64 0
		.amdhsa_float_denorm_mode_32 3
		.amdhsa_float_denorm_mode_16_64 3
		.amdhsa_dx10_clamp 1
		.amdhsa_ieee_mode 1
		.amdhsa_fp16_overflow 0
		.amdhsa_exception_fp_ieee_invalid_op 0
		.amdhsa_exception_fp_denorm_src 0
		.amdhsa_exception_fp_ieee_div_zero 0
		.amdhsa_exception_fp_ieee_overflow 0
		.amdhsa_exception_fp_ieee_underflow 0
		.amdhsa_exception_fp_ieee_inexact 0
		.amdhsa_exception_int_div_zero 0
	.end_amdhsa_kernel
	.section	.text._ZN2at6native32elementwise_kernel_manual_unrollILi128ELi8EZNS0_22gpu_kernel_impl_nocastINS0_13BinaryFunctorIddbNS0_12_GLOBAL__N_116CompareEqFunctorIdEEEEEEvRNS_18TensorIteratorBaseERKT_EUlibE_EEviT1_,"axG",@progbits,_ZN2at6native32elementwise_kernel_manual_unrollILi128ELi8EZNS0_22gpu_kernel_impl_nocastINS0_13BinaryFunctorIddbNS0_12_GLOBAL__N_116CompareEqFunctorIdEEEEEEvRNS_18TensorIteratorBaseERKT_EUlibE_EEviT1_,comdat
.Lfunc_end85:
	.size	_ZN2at6native32elementwise_kernel_manual_unrollILi128ELi8EZNS0_22gpu_kernel_impl_nocastINS0_13BinaryFunctorIddbNS0_12_GLOBAL__N_116CompareEqFunctorIdEEEEEEvRNS_18TensorIteratorBaseERKT_EUlibE_EEviT1_, .Lfunc_end85-_ZN2at6native32elementwise_kernel_manual_unrollILi128ELi8EZNS0_22gpu_kernel_impl_nocastINS0_13BinaryFunctorIddbNS0_12_GLOBAL__N_116CompareEqFunctorIdEEEEEEvRNS_18TensorIteratorBaseERKT_EUlibE_EEviT1_
                                        ; -- End function
	.set _ZN2at6native32elementwise_kernel_manual_unrollILi128ELi8EZNS0_22gpu_kernel_impl_nocastINS0_13BinaryFunctorIddbNS0_12_GLOBAL__N_116CompareEqFunctorIdEEEEEEvRNS_18TensorIteratorBaseERKT_EUlibE_EEviT1_.num_vgpr, 44
	.set _ZN2at6native32elementwise_kernel_manual_unrollILi128ELi8EZNS0_22gpu_kernel_impl_nocastINS0_13BinaryFunctorIddbNS0_12_GLOBAL__N_116CompareEqFunctorIdEEEEEEvRNS_18TensorIteratorBaseERKT_EUlibE_EEviT1_.num_agpr, 0
	.set _ZN2at6native32elementwise_kernel_manual_unrollILi128ELi8EZNS0_22gpu_kernel_impl_nocastINS0_13BinaryFunctorIddbNS0_12_GLOBAL__N_116CompareEqFunctorIdEEEEEEvRNS_18TensorIteratorBaseERKT_EUlibE_EEviT1_.numbered_sgpr, 52
	.set _ZN2at6native32elementwise_kernel_manual_unrollILi128ELi8EZNS0_22gpu_kernel_impl_nocastINS0_13BinaryFunctorIddbNS0_12_GLOBAL__N_116CompareEqFunctorIdEEEEEEvRNS_18TensorIteratorBaseERKT_EUlibE_EEviT1_.num_named_barrier, 0
	.set _ZN2at6native32elementwise_kernel_manual_unrollILi128ELi8EZNS0_22gpu_kernel_impl_nocastINS0_13BinaryFunctorIddbNS0_12_GLOBAL__N_116CompareEqFunctorIdEEEEEEvRNS_18TensorIteratorBaseERKT_EUlibE_EEviT1_.private_seg_size, 0
	.set _ZN2at6native32elementwise_kernel_manual_unrollILi128ELi8EZNS0_22gpu_kernel_impl_nocastINS0_13BinaryFunctorIddbNS0_12_GLOBAL__N_116CompareEqFunctorIdEEEEEEvRNS_18TensorIteratorBaseERKT_EUlibE_EEviT1_.uses_vcc, 1
	.set _ZN2at6native32elementwise_kernel_manual_unrollILi128ELi8EZNS0_22gpu_kernel_impl_nocastINS0_13BinaryFunctorIddbNS0_12_GLOBAL__N_116CompareEqFunctorIdEEEEEEvRNS_18TensorIteratorBaseERKT_EUlibE_EEviT1_.uses_flat_scratch, 0
	.set _ZN2at6native32elementwise_kernel_manual_unrollILi128ELi8EZNS0_22gpu_kernel_impl_nocastINS0_13BinaryFunctorIddbNS0_12_GLOBAL__N_116CompareEqFunctorIdEEEEEEvRNS_18TensorIteratorBaseERKT_EUlibE_EEviT1_.has_dyn_sized_stack, 0
	.set _ZN2at6native32elementwise_kernel_manual_unrollILi128ELi8EZNS0_22gpu_kernel_impl_nocastINS0_13BinaryFunctorIddbNS0_12_GLOBAL__N_116CompareEqFunctorIdEEEEEEvRNS_18TensorIteratorBaseERKT_EUlibE_EEviT1_.has_recursion, 0
	.set _ZN2at6native32elementwise_kernel_manual_unrollILi128ELi8EZNS0_22gpu_kernel_impl_nocastINS0_13BinaryFunctorIddbNS0_12_GLOBAL__N_116CompareEqFunctorIdEEEEEEvRNS_18TensorIteratorBaseERKT_EUlibE_EEviT1_.has_indirect_call, 0
	.section	.AMDGPU.csdata,"",@progbits
; Kernel info:
; codeLenInByte = 9692
; TotalNumSgprs: 56
; NumVgprs: 44
; ScratchSize: 0
; MemoryBound: 0
; FloatMode: 240
; IeeeMode: 1
; LDSByteSize: 0 bytes/workgroup (compile time only)
; SGPRBlocks: 6
; VGPRBlocks: 10
; NumSGPRsForWavesPerEU: 56
; NumVGPRsForWavesPerEU: 44
; Occupancy: 5
; WaveLimiterHint : 1
; COMPUTE_PGM_RSRC2:SCRATCH_EN: 0
; COMPUTE_PGM_RSRC2:USER_SGPR: 6
; COMPUTE_PGM_RSRC2:TRAP_HANDLER: 0
; COMPUTE_PGM_RSRC2:TGID_X_EN: 1
; COMPUTE_PGM_RSRC2:TGID_Y_EN: 0
; COMPUTE_PGM_RSRC2:TGID_Z_EN: 0
; COMPUTE_PGM_RSRC2:TIDIG_COMP_CNT: 0
	.section	.text._ZN2at6native32elementwise_kernel_manual_unrollILi128ELi4EZNS0_15gpu_kernel_implINS0_13BinaryFunctorIddbNS0_12_GLOBAL__N_116CompareEqFunctorIdEEEEEEvRNS_18TensorIteratorBaseERKT_EUlibE_EEviT1_,"axG",@progbits,_ZN2at6native32elementwise_kernel_manual_unrollILi128ELi4EZNS0_15gpu_kernel_implINS0_13BinaryFunctorIddbNS0_12_GLOBAL__N_116CompareEqFunctorIdEEEEEEvRNS_18TensorIteratorBaseERKT_EUlibE_EEviT1_,comdat
	.globl	_ZN2at6native32elementwise_kernel_manual_unrollILi128ELi4EZNS0_15gpu_kernel_implINS0_13BinaryFunctorIddbNS0_12_GLOBAL__N_116CompareEqFunctorIdEEEEEEvRNS_18TensorIteratorBaseERKT_EUlibE_EEviT1_ ; -- Begin function _ZN2at6native32elementwise_kernel_manual_unrollILi128ELi4EZNS0_15gpu_kernel_implINS0_13BinaryFunctorIddbNS0_12_GLOBAL__N_116CompareEqFunctorIdEEEEEEvRNS_18TensorIteratorBaseERKT_EUlibE_EEviT1_
	.p2align	8
	.type	_ZN2at6native32elementwise_kernel_manual_unrollILi128ELi4EZNS0_15gpu_kernel_implINS0_13BinaryFunctorIddbNS0_12_GLOBAL__N_116CompareEqFunctorIdEEEEEEvRNS_18TensorIteratorBaseERKT_EUlibE_EEviT1_,@function
_ZN2at6native32elementwise_kernel_manual_unrollILi128ELi4EZNS0_15gpu_kernel_implINS0_13BinaryFunctorIddbNS0_12_GLOBAL__N_116CompareEqFunctorIdEEEEEEvRNS_18TensorIteratorBaseERKT_EUlibE_EEviT1_: ; @_ZN2at6native32elementwise_kernel_manual_unrollILi128ELi4EZNS0_15gpu_kernel_implINS0_13BinaryFunctorIddbNS0_12_GLOBAL__N_116CompareEqFunctorIdEEEEEEvRNS_18TensorIteratorBaseERKT_EUlibE_EEviT1_
; %bb.0:
	s_load_dword s33, s[4:5], 0x30
	s_load_dword s50, s[4:5], 0x0
	s_load_dwordx4 s[8:11], s[4:5], 0x8
	s_load_dwordx2 s[16:17], s[4:5], 0x18
	s_load_dwordx4 s[12:15], s[4:5], 0x20
	v_lshl_or_b32 v18, s6, 9, v0
	v_or_b32_e32 v0, 0x180, v18
	s_waitcnt lgkmcnt(0)
	s_lshr_b32 s57, s33, 8
	s_lshr_b32 s56, s33, 16
	v_cmp_le_i32_e32 vcc, s50, v0
	s_mov_b64 s[6:7], 0
	s_mov_b64 s[20:21], 0
	s_and_saveexec_b64 s[0:1], vcc
	s_xor_b64 s[18:19], exec, s[0:1]
	s_cbranch_execz .LBB86_1544
; %bb.1:
	s_cmp_eq_u32 s15, 0
	s_cselect_b64 s[0:1], -1, 0
	v_cmp_gt_i32_e32 vcc, s50, v18
	s_mov_b64 s[2:3], -1
	s_mov_b64 s[30:31], 0
	s_mov_b64 s[24:25], 0
	;; [unrolled: 1-line block ×3, first 2 shown]
	s_and_saveexec_b64 s[26:27], vcc
	s_cbranch_execz .LBB86_383
; %bb.2:
	v_mul_lo_u32 v0, v18, s13
	v_mov_b32_e32 v1, s11
	s_and_b32 s22, s57, 0xff
	s_cmp_lt_i32 s22, 11
	v_ashrrev_i32_e32 v3, 31, v0
	v_add_co_u32_e32 v2, vcc, s10, v0
	v_addc_co_u32_e32 v3, vcc, v1, v3, vcc
	s_cbranch_scc1 .LBB86_9
; %bb.3:
	s_and_b32 s23, 0xffff, s22
	s_cmp_gt_i32 s23, 25
	s_cbranch_scc0 .LBB86_18
; %bb.4:
	s_cmp_gt_i32 s23, 28
	s_cbranch_scc0 .LBB86_28
; %bb.5:
	;; [unrolled: 3-line block ×4, first 2 shown]
	s_cmp_eq_u32 s23, 46
	s_mov_b64 s[4:5], 0
	s_cbranch_scc0 .LBB86_37
; %bb.8:
	global_load_dword v0, v[2:3], off
	s_waitcnt vmcnt(0)
	v_lshlrev_b32_e32 v0, 16, v0
	v_cvt_f64_f32_e32 v[0:1], v0
	s_branch .LBB86_39
.LBB86_9:
                                        ; implicit-def: $vgpr0_vgpr1
	s_mov_b64 s[2:3], 0
	s_cbranch_execnz .LBB86_105
.LBB86_10:
	s_andn2_b64 vcc, exec, s[2:3]
	s_cbranch_vccnz .LBB86_152
.LBB86_11:
	v_mul_lo_u32 v2, v18, s14
	v_mov_b32_e32 v3, s17
	s_and_b32 s28, s56, 0xff
	s_cmp_lt_i32 s28, 11
	v_ashrrev_i32_e32 v4, 31, v2
	v_add_co_u32_e32 v2, vcc, s16, v2
	v_addc_co_u32_e32 v3, vcc, v3, v4, vcc
	s_cbranch_scc1 .LBB86_19
; %bb.12:
	s_and_b32 s29, 0xffff, s28
	s_cmp_gt_i32 s29, 25
	s_cbranch_scc0 .LBB86_29
; %bb.13:
	s_cmp_gt_i32 s29, 28
	s_cbranch_scc0 .LBB86_32
; %bb.14:
	;; [unrolled: 3-line block ×4, first 2 shown]
	s_cmp_eq_u32 s29, 46
	s_mov_b64 s[4:5], 0
	s_cbranch_scc0 .LBB86_153
; %bb.17:
	global_load_dword v4, v[2:3], off
	s_mov_b64 s[2:3], -1
	s_mov_b64 s[22:23], 0
	s_waitcnt vmcnt(0)
	v_lshlrev_b32_e32 v4, 16, v4
	v_cvt_f64_f32_e32 v[4:5], v4
	s_branch .LBB86_155
.LBB86_18:
	s_mov_b64 s[2:3], 0
                                        ; implicit-def: $vgpr0_vgpr1
	s_cbranch_execnz .LBB86_72
	s_branch .LBB86_104
.LBB86_19:
	s_mov_b64 s[22:23], 0
                                        ; implicit-def: $vgpr4_vgpr5
	s_mov_b64 s[2:3], 0
	s_cbranch_execnz .LBB86_332
.LBB86_20:
	s_andn2_b64 vcc, exec, s[2:3]
	s_cbranch_vccnz .LBB86_380
.LBB86_21:
	s_waitcnt vmcnt(0)
	v_cmp_eq_f64_e32 vcc, v[0:1], v[4:5]
	v_mov_b32_e32 v3, s9
	s_and_b32 s36, s33, 0xff
	s_cmp_lt_i32 s36, 11
	v_cndmask_b32_e64 v2, 0, 1, vcc
	v_cmp_neq_f64_e32 vcc, v[0:1], v[4:5]
	v_mul_lo_u32 v1, v18, s12
	v_cndmask_b32_e64 v0, 0, 1, vcc
	v_cndmask_b32_e64 v0, v0, v2, s[0:1]
	v_and_b32_e32 v0, 1, v0
	v_cmp_eq_u32_e64 s[2:3], 1, v0
	v_ashrrev_i32_e32 v2, 31, v1
	v_add_co_u32_e32 v0, vcc, s8, v1
	v_addc_co_u32_e32 v1, vcc, v3, v2, vcc
	s_cbranch_scc1 .LBB86_30
; %bb.22:
	s_and_b32 s37, 0xffff, s36
	s_cmp_gt_i32 s37, 25
	s_cbranch_scc0 .LBB86_33
; %bb.23:
	s_cmp_gt_i32 s37, 28
	s_cbranch_scc0 .LBB86_36
; %bb.24:
	;; [unrolled: 3-line block ×4, first 2 shown]
	s_mov_b64 s[28:29], 0
	s_mov_b64 s[4:5], -1
	s_cmp_eq_u32 s37, 46
	s_mov_b64 s[20:21], 0
	s_cbranch_scc0 .LBB86_159
; %bb.27:
	v_cndmask_b32_e64 v2, 0, 1.0, s[2:3]
	v_bfe_u32 v3, v2, 16, 1
	s_movk_i32 s4, 0x7fff
	v_add3_u32 v2, v2, v3, s4
	v_lshrrev_b32_e32 v2, 16, v2
	global_store_dword v[0:1], v2, off
	s_mov_b64 s[20:21], -1
	s_mov_b64 s[4:5], 0
	s_branch .LBB86_159
.LBB86_28:
	s_mov_b64 s[4:5], -1
	s_mov_b64 s[2:3], 0
                                        ; implicit-def: $vgpr0_vgpr1
	s_branch .LBB86_51
.LBB86_29:
	s_mov_b64 s[4:5], -1
	s_mov_b64 s[22:23], 0
	s_mov_b64 s[2:3], 0
                                        ; implicit-def: $vgpr4_vgpr5
	s_branch .LBB86_298
.LBB86_30:
	s_mov_b64 s[28:29], -1
	s_mov_b64 s[4:5], 0
	s_mov_b64 s[20:21], 0
	s_branch .LBB86_228
.LBB86_31:
	s_mov_b64 s[4:5], -1
	s_mov_b64 s[2:3], 0
                                        ; implicit-def: $vgpr0_vgpr1
	s_branch .LBB86_46
.LBB86_32:
	s_mov_b64 s[4:5], -1
	s_mov_b64 s[22:23], 0
	s_mov_b64 s[2:3], 0
                                        ; implicit-def: $vgpr4_vgpr5
	s_branch .LBB86_277
.LBB86_33:
	s_mov_b64 s[28:29], -1
	s_mov_b64 s[4:5], 0
	s_mov_b64 s[20:21], 0
	s_branch .LBB86_186
.LBB86_34:
	s_mov_b64 s[4:5], -1
	s_branch .LBB86_38
.LBB86_35:
	s_mov_b64 s[4:5], -1
	s_mov_b64 s[22:23], 0
	s_mov_b64 s[2:3], 0
                                        ; implicit-def: $vgpr4_vgpr5
	s_branch .LBB86_272
.LBB86_36:
	s_mov_b64 s[28:29], -1
	s_mov_b64 s[4:5], 0
	s_mov_b64 s[20:21], 0
	s_branch .LBB86_169
.LBB86_37:
	s_mov_b64 s[24:25], -1
.LBB86_38:
	s_mov_b64 s[2:3], 0
                                        ; implicit-def: $vgpr0_vgpr1
.LBB86_39:
	s_and_b64 vcc, exec, s[4:5]
	s_cbranch_vccz .LBB86_45
; %bb.40:
	s_cmp_eq_u32 s23, 44
	s_cbranch_scc0 .LBB86_44
; %bb.41:
	global_load_ubyte v4, v[2:3], off
	s_movk_i32 s4, 0xff
	v_bfrev_b32_e32 v5, 4
	v_mov_b32_e32 v6, 0x7ff80000
	v_bfrev_b32_e32 v7, 28
	s_mov_b64 s[2:3], -1
	s_mov_b64 s[24:25], 0
	s_waitcnt vmcnt(0)
	v_lshlrev_b32_e32 v0, 23, v4
	v_cvt_f64_f32_e32 v[0:1], v0
	v_cmp_ne_u32_e32 vcc, s4, v4
	v_cndmask_b32_e32 v0, v5, v0, vcc
	v_cndmask_b32_e32 v1, v6, v1, vcc
	v_cmp_ne_u32_e32 vcc, 0, v4
	v_cndmask_b32_e32 v1, v7, v1, vcc
	v_cndmask_b32_e32 v0, 0, v0, vcc
	s_branch .LBB86_45
.LBB86_42:
	s_mov_b64 s[4:5], -1
	s_mov_b64 s[22:23], 0
	s_branch .LBB86_154
.LBB86_43:
	s_mov_b64 s[28:29], -1
	s_mov_b64 s[4:5], 0
	s_mov_b64 s[20:21], 0
	s_branch .LBB86_165
.LBB86_44:
	s_mov_b64 s[24:25], -1
                                        ; implicit-def: $vgpr0_vgpr1
.LBB86_45:
	s_mov_b64 s[4:5], 0
.LBB86_46:
	s_and_b64 vcc, exec, s[4:5]
	s_cbranch_vccz .LBB86_50
; %bb.47:
	s_cmp_eq_u32 s23, 29
	s_cbranch_scc0 .LBB86_49
; %bb.48:
	global_load_dwordx2 v[0:1], v[2:3], off
	s_mov_b64 s[2:3], -1
	s_mov_b64 s[24:25], 0
	s_mov_b64 s[4:5], 0
	s_waitcnt vmcnt(0)
	v_cvt_f64_u32_e32 v[4:5], v1
	v_cvt_f64_u32_e32 v[0:1], v0
	v_ldexp_f64 v[4:5], v[4:5], 32
	v_add_f64 v[0:1], v[4:5], v[0:1]
	s_branch .LBB86_51
.LBB86_49:
	s_mov_b64 s[24:25], -1
                                        ; implicit-def: $vgpr0_vgpr1
.LBB86_50:
	s_mov_b64 s[4:5], 0
.LBB86_51:
	s_and_b64 vcc, exec, s[4:5]
	s_cbranch_vccz .LBB86_71
; %bb.52:
	s_cmp_lt_i32 s23, 27
	s_cbranch_scc1 .LBB86_55
; %bb.53:
	s_cmp_gt_i32 s23, 27
	s_cbranch_scc0 .LBB86_56
; %bb.54:
	global_load_dword v0, v[2:3], off
	s_mov_b64 s[2:3], 0
	s_waitcnt vmcnt(0)
	v_cvt_f64_u32_e32 v[0:1], v0
	s_branch .LBB86_57
.LBB86_55:
	s_mov_b64 s[2:3], -1
                                        ; implicit-def: $vgpr0_vgpr1
	s_branch .LBB86_60
.LBB86_56:
	s_mov_b64 s[2:3], -1
                                        ; implicit-def: $vgpr0_vgpr1
.LBB86_57:
	s_andn2_b64 vcc, exec, s[2:3]
	s_cbranch_vccnz .LBB86_59
; %bb.58:
	global_load_ushort v0, v[2:3], off
	s_waitcnt vmcnt(0)
	v_cvt_f64_u32_e32 v[0:1], v0
.LBB86_59:
	s_mov_b64 s[2:3], 0
.LBB86_60:
	s_andn2_b64 vcc, exec, s[2:3]
	s_cbranch_vccnz .LBB86_70
; %bb.61:
	global_load_ubyte v4, v[2:3], off
	s_movk_i32 s2, 0x7f
	s_waitcnt vmcnt(0)
	v_cmp_lt_i16_e32 vcc, s2, v4
	s_mov_b64 s[2:3], 0
	s_and_saveexec_b64 s[4:5], vcc
	s_xor_b64 s[4:5], exec, s[4:5]
	s_cbranch_execz .LBB86_65
; %bb.62:
	s_movk_i32 s2, 0x80
	v_cmp_eq_u16_e32 vcc, s2, v4
	s_mov_b64 s[2:3], -1
	s_and_saveexec_b64 s[20:21], vcc
; %bb.63:
	s_xor_b64 s[2:3], exec, -1
; %bb.64:
	s_or_b64 exec, exec, s[20:21]
	s_and_b64 s[2:3], s[2:3], exec
.LBB86_65:
	s_or_saveexec_b64 s[4:5], s[4:5]
	v_bfrev_b32_e32 v0, 4
	v_mov_b32_e32 v1, 0x7ff80000
	s_xor_b64 exec, exec, s[4:5]
; %bb.66:
	v_cmp_ne_u16_e32 vcc, 0, v4
	v_mov_b32_e32 v0, 0
	s_andn2_b64 s[2:3], s[2:3], exec
	s_and_b64 s[20:21], vcc, exec
	v_mov_b32_e32 v1, 0
	s_or_b64 s[2:3], s[2:3], s[20:21]
; %bb.67:
	s_or_b64 exec, exec, s[4:5]
	s_and_saveexec_b64 s[4:5], s[2:3]
	s_cbranch_execz .LBB86_69
; %bb.68:
	v_and_b32_e32 v1, 0xffff, v4
	v_lshlrev_b32_e32 v0, 24, v4
	v_and_b32_e32 v4, 7, v1
	v_ffbh_u32_e32 v6, v4
	v_min_u32_e32 v6, 32, v6
	v_subrev_u32_e32 v7, 28, v6
	v_bfe_u32 v5, v1, 3, 4
	v_lshlrev_b32_e32 v1, v7, v1
	v_sub_u32_e32 v6, 29, v6
	v_and_b32_e32 v1, 7, v1
	v_cmp_eq_u32_e32 vcc, 0, v5
	v_cndmask_b32_e32 v5, v5, v6, vcc
	v_cndmask_b32_e32 v1, v4, v1, vcc
	v_mov_b32_e32 v4, 0x3b800000
	v_lshlrev_b32_e32 v1, 20, v1
	v_and_b32_e32 v0, 0x80000000, v0
	v_lshl_add_u32 v4, v5, 23, v4
	v_or3_b32 v0, v0, v4, v1
	v_cvt_f64_f32_e32 v[0:1], v0
.LBB86_69:
	s_or_b64 exec, exec, s[4:5]
.LBB86_70:
	s_mov_b64 s[2:3], -1
.LBB86_71:
	s_branch .LBB86_104
.LBB86_72:
	s_cmp_gt_i32 s23, 22
	s_cbranch_scc0 .LBB86_84
; %bb.73:
	s_cmp_lt_i32 s23, 24
	s_cbranch_scc1 .LBB86_85
; %bb.74:
	s_cmp_gt_i32 s23, 24
	s_cbranch_scc0 .LBB86_86
; %bb.75:
	global_load_ubyte v4, v[2:3], off
	s_movk_i32 s2, 0x7f
	s_waitcnt vmcnt(0)
	v_cmp_lt_i16_e32 vcc, s2, v4
	s_mov_b64 s[2:3], 0
	s_and_saveexec_b64 s[4:5], vcc
	s_xor_b64 s[4:5], exec, s[4:5]
	s_cbranch_execz .LBB86_79
; %bb.76:
	s_movk_i32 s2, 0x80
	v_cmp_eq_u16_e32 vcc, s2, v4
	s_mov_b64 s[2:3], -1
	s_and_saveexec_b64 s[20:21], vcc
; %bb.77:
	s_xor_b64 s[2:3], exec, -1
; %bb.78:
	s_or_b64 exec, exec, s[20:21]
	s_and_b64 s[2:3], s[2:3], exec
.LBB86_79:
	s_or_saveexec_b64 s[4:5], s[4:5]
	v_bfrev_b32_e32 v0, 4
	v_mov_b32_e32 v1, 0x7ff80000
	s_xor_b64 exec, exec, s[4:5]
; %bb.80:
	v_cmp_ne_u16_e32 vcc, 0, v4
	v_mov_b32_e32 v0, 0
	s_andn2_b64 s[2:3], s[2:3], exec
	s_and_b64 s[20:21], vcc, exec
	v_mov_b32_e32 v1, 0
	s_or_b64 s[2:3], s[2:3], s[20:21]
; %bb.81:
	s_or_b64 exec, exec, s[4:5]
	s_and_saveexec_b64 s[4:5], s[2:3]
	s_cbranch_execz .LBB86_83
; %bb.82:
	v_and_b32_e32 v1, 0xffff, v4
	v_lshlrev_b32_e32 v0, 24, v4
	v_and_b32_e32 v4, 3, v1
	v_ffbh_u32_e32 v6, v4
	v_min_u32_e32 v6, 32, v6
	v_subrev_u32_e32 v7, 29, v6
	v_bfe_u32 v5, v1, 2, 5
	v_lshlrev_b32_e32 v1, v7, v1
	v_sub_u32_e32 v6, 30, v6
	v_and_b32_e32 v1, 3, v1
	v_cmp_eq_u32_e32 vcc, 0, v5
	v_cndmask_b32_e32 v5, v5, v6, vcc
	v_cndmask_b32_e32 v1, v4, v1, vcc
	v_mov_b32_e32 v4, 0x37800000
	v_lshlrev_b32_e32 v1, 21, v1
	v_and_b32_e32 v0, 0x80000000, v0
	v_lshl_add_u32 v4, v5, 23, v4
	v_or3_b32 v0, v0, v4, v1
	v_cvt_f64_f32_e32 v[0:1], v0
.LBB86_83:
	s_or_b64 exec, exec, s[4:5]
	s_mov_b64 s[2:3], 0
	s_branch .LBB86_87
.LBB86_84:
	s_mov_b64 s[4:5], -1
                                        ; implicit-def: $vgpr0_vgpr1
	s_branch .LBB86_93
.LBB86_85:
	s_mov_b64 s[2:3], -1
                                        ; implicit-def: $vgpr0_vgpr1
	s_branch .LBB86_90
.LBB86_86:
	s_mov_b64 s[2:3], -1
                                        ; implicit-def: $vgpr0_vgpr1
.LBB86_87:
	s_and_b64 vcc, exec, s[2:3]
	s_cbranch_vccz .LBB86_89
; %bb.88:
	global_load_ubyte v0, v[2:3], off
	s_mov_b32 s2, 0x7f800000
	s_waitcnt vmcnt(0)
	v_lshlrev_b32_e32 v0, 24, v0
	v_and_b32_e32 v1, 0x7f000000, v0
	v_ffbh_u32_e32 v4, v1
	v_min_u32_e32 v4, 32, v4
	v_sub_u32_e64 v4, v4, 4 clamp
	v_lshlrev_b32_e32 v6, v4, v1
	v_lshlrev_b32_e32 v4, 23, v4
	v_lshrrev_b32_e32 v6, 4, v6
	v_add_u32_e32 v5, 0x1000000, v1
	v_sub_u32_e32 v4, v6, v4
	v_ashrrev_i32_e32 v5, 8, v5
	v_add_u32_e32 v4, 0x3c000000, v4
	v_and_or_b32 v4, v5, s2, v4
	v_cmp_ne_u32_e32 vcc, 0, v1
	v_cndmask_b32_e32 v1, 0, v4, vcc
	s_brev_b32 s2, 1
	v_and_or_b32 v0, v0, s2, v1
	v_cvt_f64_f32_e32 v[0:1], v0
.LBB86_89:
	s_mov_b64 s[2:3], 0
.LBB86_90:
	s_andn2_b64 vcc, exec, s[2:3]
	s_cbranch_vccnz .LBB86_92
; %bb.91:
	global_load_ubyte v0, v[2:3], off
	s_movk_i32 s2, 0x7f00
	s_brev_b32 s3, 16
	s_waitcnt vmcnt(0)
	v_lshlrev_b16_e32 v1, 8, v0
	v_lshlrev_b32_e32 v0, 25, v0
	v_lshrrev_b32_e32 v4, 4, v0
	v_and_or_b32 v5, v1, s2, 0.5
	v_or_b32_e32 v4, 0x70000000, v4
	v_add_f32_e32 v5, -0.5, v5
	v_mul_f32_e32 v4, 0x7800000, v4
	v_cmp_gt_u32_e32 vcc, s3, v0
	v_bfe_i32 v1, v1, 0, 16
	v_cndmask_b32_e32 v0, v4, v5, vcc
	s_brev_b32 s2, 1
	v_and_or_b32 v0, v1, s2, v0
	v_cvt_f64_f32_e32 v[0:1], v0
.LBB86_92:
	s_mov_b64 s[4:5], 0
	s_mov_b64 s[2:3], -1
.LBB86_93:
	s_andn2_b64 vcc, exec, s[4:5]
	s_cbranch_vccnz .LBB86_104
; %bb.94:
	s_cmp_gt_i32 s23, 14
	s_cbranch_scc0 .LBB86_97
; %bb.95:
	s_cmp_eq_u32 s23, 15
	s_cbranch_scc0 .LBB86_98
; %bb.96:
	global_load_ushort v0, v[2:3], off
	s_mov_b64 s[2:3], -1
	s_mov_b64 s[24:25], 0
	s_waitcnt vmcnt(0)
	v_lshlrev_b32_e32 v0, 16, v0
	v_cvt_f64_f32_e32 v[0:1], v0
	s_branch .LBB86_99
.LBB86_97:
	s_mov_b64 s[4:5], -1
                                        ; implicit-def: $vgpr0_vgpr1
	s_branch .LBB86_100
.LBB86_98:
	s_mov_b64 s[24:25], -1
                                        ; implicit-def: $vgpr0_vgpr1
.LBB86_99:
	s_mov_b64 s[4:5], 0
.LBB86_100:
	s_and_b64 vcc, exec, s[4:5]
	s_cbranch_vccz .LBB86_104
; %bb.101:
	s_cmp_eq_u32 s23, 11
	s_cbranch_scc0 .LBB86_103
; %bb.102:
	global_load_ubyte v1, v[2:3], off
	v_mov_b32_e32 v4, 0x3ff00000
	v_mov_b32_e32 v0, 0
	s_mov_b64 s[2:3], -1
	s_mov_b64 s[24:25], 0
	s_waitcnt vmcnt(0)
	v_cmp_ne_u16_e32 vcc, 0, v1
	v_cndmask_b32_e32 v1, 0, v4, vcc
	s_branch .LBB86_104
.LBB86_103:
	s_mov_b64 s[24:25], -1
                                        ; implicit-def: $vgpr0_vgpr1
.LBB86_104:
	s_branch .LBB86_10
.LBB86_105:
	s_and_b32 s4, 0xffff, s22
	s_cmp_lt_i32 s4, 5
	s_cbranch_scc1 .LBB86_110
; %bb.106:
	s_cmp_lt_i32 s4, 8
	s_cbranch_scc1 .LBB86_111
; %bb.107:
	;; [unrolled: 3-line block ×3, first 2 shown]
	s_cmp_gt_i32 s4, 9
	s_cbranch_scc0 .LBB86_113
; %bb.109:
	global_load_dwordx2 v[0:1], v[2:3], off
	s_mov_b64 s[2:3], 0
	s_branch .LBB86_114
.LBB86_110:
                                        ; implicit-def: $vgpr0_vgpr1
	s_branch .LBB86_132
.LBB86_111:
	s_mov_b64 s[2:3], -1
                                        ; implicit-def: $vgpr0_vgpr1
	s_branch .LBB86_120
.LBB86_112:
	s_mov_b64 s[2:3], -1
                                        ; implicit-def: $vgpr0_vgpr1
	s_branch .LBB86_117
.LBB86_113:
	s_mov_b64 s[2:3], -1
                                        ; implicit-def: $vgpr0_vgpr1
.LBB86_114:
	s_andn2_b64 vcc, exec, s[2:3]
	s_cbranch_vccnz .LBB86_116
; %bb.115:
	global_load_dword v0, v[2:3], off
	s_waitcnt vmcnt(0)
	v_cvt_f64_f32_e32 v[0:1], v0
.LBB86_116:
	s_mov_b64 s[2:3], 0
.LBB86_117:
	s_andn2_b64 vcc, exec, s[2:3]
	s_cbranch_vccnz .LBB86_119
; %bb.118:
	global_load_dword v0, v[2:3], off
	s_waitcnt vmcnt(0)
	v_cvt_f32_f16_e32 v0, v0
	v_cvt_f64_f32_e32 v[0:1], v0
.LBB86_119:
	s_mov_b64 s[2:3], 0
.LBB86_120:
	s_andn2_b64 vcc, exec, s[2:3]
	s_cbranch_vccnz .LBB86_131
; %bb.121:
	s_cmp_lt_i32 s4, 6
	s_cbranch_scc1 .LBB86_124
; %bb.122:
	s_cmp_gt_i32 s4, 6
	s_cbranch_scc0 .LBB86_125
; %bb.123:
	global_load_dwordx2 v[0:1], v[2:3], off
	s_mov_b64 s[2:3], 0
	s_branch .LBB86_126
.LBB86_124:
	s_mov_b64 s[2:3], -1
                                        ; implicit-def: $vgpr0_vgpr1
	s_branch .LBB86_129
.LBB86_125:
	s_mov_b64 s[2:3], -1
                                        ; implicit-def: $vgpr0_vgpr1
.LBB86_126:
	s_andn2_b64 vcc, exec, s[2:3]
	s_cbranch_vccnz .LBB86_128
; %bb.127:
	global_load_dword v0, v[2:3], off
	s_waitcnt vmcnt(0)
	v_cvt_f64_f32_e32 v[0:1], v0
.LBB86_128:
	s_mov_b64 s[2:3], 0
.LBB86_129:
	s_andn2_b64 vcc, exec, s[2:3]
	s_cbranch_vccnz .LBB86_131
; %bb.130:
	global_load_ushort v0, v[2:3], off
	s_waitcnt vmcnt(0)
	v_cvt_f32_f16_e32 v0, v0
	v_cvt_f64_f32_e32 v[0:1], v0
.LBB86_131:
	s_cbranch_execnz .LBB86_151
.LBB86_132:
	s_cmp_lt_i32 s4, 2
	s_cbranch_scc1 .LBB86_136
; %bb.133:
	s_cmp_lt_i32 s4, 3
	s_cbranch_scc1 .LBB86_137
; %bb.134:
	s_cmp_gt_i32 s4, 3
	s_cbranch_scc0 .LBB86_138
; %bb.135:
	global_load_dwordx2 v[0:1], v[2:3], off
	s_mov_b64 s[2:3], 0
	s_waitcnt vmcnt(0)
	v_cvt_f64_i32_e32 v[4:5], v1
	v_cvt_f64_u32_e32 v[0:1], v0
	v_ldexp_f64 v[4:5], v[4:5], 32
	v_add_f64 v[0:1], v[4:5], v[0:1]
	s_branch .LBB86_139
.LBB86_136:
	s_mov_b64 s[2:3], -1
                                        ; implicit-def: $vgpr0_vgpr1
	s_branch .LBB86_145
.LBB86_137:
	s_mov_b64 s[2:3], -1
                                        ; implicit-def: $vgpr0_vgpr1
	s_branch .LBB86_142
.LBB86_138:
	s_mov_b64 s[2:3], -1
                                        ; implicit-def: $vgpr0_vgpr1
.LBB86_139:
	s_andn2_b64 vcc, exec, s[2:3]
	s_cbranch_vccnz .LBB86_141
; %bb.140:
	global_load_dword v0, v[2:3], off
	s_waitcnt vmcnt(0)
	v_cvt_f64_i32_e32 v[0:1], v0
.LBB86_141:
	s_mov_b64 s[2:3], 0
.LBB86_142:
	s_andn2_b64 vcc, exec, s[2:3]
	s_cbranch_vccnz .LBB86_144
; %bb.143:
	global_load_sshort v0, v[2:3], off
	s_waitcnt vmcnt(0)
	v_cvt_f64_i32_e32 v[0:1], v0
.LBB86_144:
	s_mov_b64 s[2:3], 0
.LBB86_145:
	s_andn2_b64 vcc, exec, s[2:3]
	s_cbranch_vccnz .LBB86_151
; %bb.146:
	s_cmp_gt_i32 s4, 0
	s_cbranch_scc0 .LBB86_148
; %bb.147:
	global_load_sbyte v0, v[2:3], off
	s_mov_b64 s[2:3], 0
	s_waitcnt vmcnt(0)
	v_cvt_f64_i32_e32 v[0:1], v0
	s_branch .LBB86_149
.LBB86_148:
	s_mov_b64 s[2:3], -1
                                        ; implicit-def: $vgpr0_vgpr1
.LBB86_149:
	s_andn2_b64 vcc, exec, s[2:3]
	s_cbranch_vccnz .LBB86_151
; %bb.150:
	global_load_ubyte v0, v[2:3], off
	s_waitcnt vmcnt(0)
	v_cvt_f64_u32_e32 v[0:1], v0
.LBB86_151:
	s_branch .LBB86_11
.LBB86_152:
	s_mov_b64 s[4:5], 0
	s_mov_b64 s[22:23], 0
	s_branch .LBB86_381
.LBB86_153:
	s_mov_b64 s[22:23], -1
.LBB86_154:
	s_mov_b64 s[2:3], 0
                                        ; implicit-def: $vgpr4_vgpr5
.LBB86_155:
	s_and_b64 vcc, exec, s[4:5]
	s_cbranch_vccz .LBB86_271
; %bb.156:
	s_cmp_eq_u32 s29, 44
	s_cbranch_scc0 .LBB86_270
; %bb.157:
	global_load_ubyte v6, v[2:3], off
	s_movk_i32 s4, 0xff
	v_bfrev_b32_e32 v7, 4
	v_mov_b32_e32 v8, 0x7ff80000
	v_bfrev_b32_e32 v9, 28
	s_mov_b64 s[2:3], -1
	s_mov_b64 s[22:23], 0
	s_waitcnt vmcnt(0)
	v_lshlrev_b32_e32 v4, 23, v6
	v_cvt_f64_f32_e32 v[4:5], v4
	v_cmp_ne_u32_e32 vcc, s4, v6
	v_cndmask_b32_e32 v4, v7, v4, vcc
	v_cndmask_b32_e32 v5, v8, v5, vcc
	v_cmp_ne_u32_e32 vcc, 0, v6
	v_cndmask_b32_e32 v5, v9, v5, vcc
	v_cndmask_b32_e32 v4, 0, v4, vcc
	s_branch .LBB86_271
.LBB86_158:
	s_mov_b64 s[28:29], -1
	s_mov_b64 s[4:5], 0
	s_mov_b64 s[20:21], 0
.LBB86_159:
	s_and_b64 vcc, exec, s[28:29]
	s_cbranch_vccz .LBB86_164
; %bb.160:
	s_cmp_eq_u32 s37, 44
	s_mov_b64 s[4:5], -1
	s_cbranch_scc0 .LBB86_164
; %bb.161:
	v_cndmask_b32_e64 v3, 0, 1.0, s[2:3]
	v_lshrrev_b32_e32 v2, 23, v3
	s_movk_i32 s4, 0xff
	v_cmp_ne_u32_e32 vcc, s4, v2
	v_mov_b32_e32 v4, 0xff
	s_and_saveexec_b64 s[20:21], vcc
; %bb.162:
	s_mov_b32 s4, 0x3fffff
	v_and_b32_e32 v4, 0x400000, v3
	v_and_or_b32 v3, v3, s4, v2
	v_cmp_ne_u32_e32 vcc, 0, v4
	v_cmp_ne_u32_e64 s[4:5], 0, v3
	s_and_b64 s[4:5], vcc, s[4:5]
	v_cndmask_b32_e64 v3, 0, 1, s[4:5]
	v_add_u32_e32 v4, v2, v3
; %bb.163:
	s_or_b64 exec, exec, s[20:21]
	s_mov_b64 s[20:21], -1
	s_mov_b64 s[4:5], 0
	global_store_byte v[0:1], v4, off
.LBB86_164:
	s_mov_b64 s[28:29], 0
.LBB86_165:
	s_and_b64 vcc, exec, s[28:29]
	s_cbranch_vccz .LBB86_168
; %bb.166:
	s_cmp_eq_u32 s37, 29
	s_mov_b64 s[4:5], -1
	s_cbranch_scc0 .LBB86_168
; %bb.167:
	s_mov_b32 s4, 0
	v_cndmask_b32_e64 v2, 0, 1, s[2:3]
	v_mov_b32_e32 v3, s4
	global_store_dwordx2 v[0:1], v[2:3], off
	s_mov_b64 s[20:21], -1
	s_mov_b64 s[4:5], 0
.LBB86_168:
	s_mov_b64 s[28:29], 0
.LBB86_169:
	s_and_b64 vcc, exec, s[28:29]
	s_cbranch_vccz .LBB86_185
; %bb.170:
	s_cmp_lt_i32 s37, 27
	s_mov_b64 s[20:21], -1
	s_cbranch_scc1 .LBB86_176
; %bb.171:
	s_cmp_gt_i32 s37, 27
	s_cbranch_scc0 .LBB86_173
; %bb.172:
	v_cndmask_b32_e64 v2, 0, 1, s[2:3]
	s_mov_b64 s[20:21], 0
	global_store_dword v[0:1], v2, off
.LBB86_173:
	s_andn2_b64 vcc, exec, s[20:21]
	s_cbranch_vccnz .LBB86_175
; %bb.174:
	v_cndmask_b32_e64 v2, 0, 1, s[2:3]
	global_store_short v[0:1], v2, off
.LBB86_175:
	s_mov_b64 s[20:21], 0
.LBB86_176:
	s_andn2_b64 vcc, exec, s[20:21]
	s_cbranch_vccnz .LBB86_184
; %bb.177:
	v_cndmask_b32_e64 v3, 0, 1.0, s[2:3]
	s_mov_b32 s20, 0x43800000
	v_cmp_gt_u32_e32 vcc, s20, v3
	v_mov_b32_e32 v4, 0x80
	s_and_saveexec_b64 s[20:21], vcc
	s_cbranch_execz .LBB86_183
; %bb.178:
	s_mov_b32 s28, 0x3bffffff
	v_cmp_lt_u32_e32 vcc, s28, v3
	s_mov_b64 s[28:29], 0
                                        ; implicit-def: $vgpr2
	s_and_saveexec_b64 s[34:35], vcc
	s_xor_b64 s[34:35], exec, s[34:35]
	s_cbranch_execz .LBB86_412
; %bb.179:
	v_bfe_u32 v2, v3, 20, 1
	s_mov_b32 s38, 0x487ffff
	v_add3_u32 v2, v3, v2, s38
	s_mov_b64 s[28:29], exec
	v_lshrrev_b32_e32 v2, 20, v2
                                        ; implicit-def: $vgpr3
	s_andn2_saveexec_b64 s[34:35], s[34:35]
	s_cbranch_execnz .LBB86_413
.LBB86_180:
	s_or_b64 exec, exec, s[34:35]
	v_mov_b32_e32 v4, 0
	s_and_saveexec_b64 s[34:35], s[28:29]
.LBB86_181:
	v_mov_b32_e32 v4, v2
.LBB86_182:
	s_or_b64 exec, exec, s[34:35]
.LBB86_183:
	s_or_b64 exec, exec, s[20:21]
	global_store_byte v[0:1], v4, off
.LBB86_184:
	s_mov_b64 s[20:21], -1
.LBB86_185:
	s_mov_b64 s[28:29], 0
.LBB86_186:
	s_and_b64 vcc, exec, s[28:29]
	s_cbranch_vccz .LBB86_227
; %bb.187:
	s_cmp_gt_i32 s37, 22
	s_mov_b64 s[28:29], -1
	s_cbranch_scc0 .LBB86_219
; %bb.188:
	s_cmp_lt_i32 s37, 24
	s_mov_b64 s[20:21], -1
	s_cbranch_scc1 .LBB86_208
; %bb.189:
	s_cmp_gt_i32 s37, 24
	s_cbranch_scc0 .LBB86_197
; %bb.190:
	v_cndmask_b32_e64 v3, 0, 1.0, s[2:3]
	s_mov_b32 s20, 0x47800000
	v_cmp_gt_u32_e32 vcc, s20, v3
	v_mov_b32_e32 v4, 0x80
	s_and_saveexec_b64 s[20:21], vcc
	s_cbranch_execz .LBB86_196
; %bb.191:
	s_mov_b32 s28, 0x37ffffff
	v_cmp_lt_u32_e32 vcc, s28, v3
	s_mov_b64 s[28:29], 0
                                        ; implicit-def: $vgpr2
	s_and_saveexec_b64 s[34:35], vcc
	s_xor_b64 s[34:35], exec, s[34:35]
	s_cbranch_execz .LBB86_531
; %bb.192:
	v_bfe_u32 v2, v3, 21, 1
	s_mov_b32 s38, 0x88fffff
	v_add3_u32 v2, v3, v2, s38
	s_mov_b64 s[28:29], exec
	v_lshrrev_b32_e32 v2, 21, v2
                                        ; implicit-def: $vgpr3
	s_andn2_saveexec_b64 s[34:35], s[34:35]
	s_cbranch_execnz .LBB86_532
.LBB86_193:
	s_or_b64 exec, exec, s[34:35]
	v_mov_b32_e32 v4, 0
	s_and_saveexec_b64 s[34:35], s[28:29]
.LBB86_194:
	v_mov_b32_e32 v4, v2
.LBB86_195:
	s_or_b64 exec, exec, s[34:35]
.LBB86_196:
	s_or_b64 exec, exec, s[20:21]
	s_mov_b64 s[20:21], 0
	global_store_byte v[0:1], v4, off
.LBB86_197:
	s_and_b64 vcc, exec, s[20:21]
	s_cbranch_vccz .LBB86_207
; %bb.198:
	v_cndmask_b32_e64 v2, 0, 1.0, s[2:3]
	s_mov_b32 s20, 0x43f00000
	v_cmp_gt_u32_e32 vcc, s20, v2
                                        ; implicit-def: $vgpr3
	s_and_saveexec_b64 s[20:21], vcc
	s_xor_b64 s[20:21], exec, s[20:21]
	s_cbranch_execz .LBB86_204
; %bb.199:
	s_mov_b32 s28, 0x3c7fffff
	v_cmp_lt_u32_e32 vcc, s28, v2
                                        ; implicit-def: $vgpr3
	s_and_saveexec_b64 s[28:29], vcc
	s_xor_b64 s[28:29], exec, s[28:29]
; %bb.200:
	v_bfe_u32 v3, v2, 20, 1
	s_mov_b32 s34, 0x407ffff
	v_add3_u32 v2, v2, v3, s34
	v_lshrrev_b32_e32 v3, 20, v2
	v_and_b32_e32 v2, 0xff00000, v2
	s_mov_b32 s34, 0x7f00000
	v_mov_b32_e32 v4, 0x7e
	v_cmp_ne_u32_e32 vcc, s34, v2
	v_cndmask_b32_e32 v3, v4, v3, vcc
                                        ; implicit-def: $vgpr2
; %bb.201:
	s_andn2_saveexec_b64 s[28:29], s[28:29]
; %bb.202:
	v_add_f32_e32 v3, 0x46800000, v2
; %bb.203:
	s_or_b64 exec, exec, s[28:29]
                                        ; implicit-def: $vgpr2
.LBB86_204:
	s_andn2_saveexec_b64 s[20:21], s[20:21]
; %bb.205:
	s_mov_b32 s28, 0x7f800000
	v_mov_b32_e32 v3, 0x7e
	v_mov_b32_e32 v4, 0x7f
	v_cmp_lt_u32_e32 vcc, s28, v2
	v_cndmask_b32_e32 v3, v3, v4, vcc
; %bb.206:
	s_or_b64 exec, exec, s[20:21]
	global_store_byte v[0:1], v3, off
.LBB86_207:
	s_mov_b64 s[20:21], 0
.LBB86_208:
	s_andn2_b64 vcc, exec, s[20:21]
	s_cbranch_vccnz .LBB86_218
; %bb.209:
	v_cndmask_b32_e64 v2, 0, 1.0, s[2:3]
	s_mov_b32 s20, 0x47800000
	v_cmp_gt_u32_e32 vcc, s20, v2
                                        ; implicit-def: $vgpr3
	s_and_saveexec_b64 s[20:21], vcc
	s_xor_b64 s[20:21], exec, s[20:21]
	s_cbranch_execz .LBB86_215
; %bb.210:
	s_mov_b32 s28, 0x387fffff
	v_cmp_lt_u32_e32 vcc, s28, v2
                                        ; implicit-def: $vgpr3
	s_and_saveexec_b64 s[28:29], vcc
	s_xor_b64 s[28:29], exec, s[28:29]
; %bb.211:
	v_bfe_u32 v3, v2, 21, 1
	s_mov_b32 s34, 0x80fffff
	v_add3_u32 v2, v2, v3, s34
	v_lshrrev_b32_e32 v3, 21, v2
                                        ; implicit-def: $vgpr2
; %bb.212:
	s_andn2_saveexec_b64 s[28:29], s[28:29]
; %bb.213:
	v_add_f32_e32 v3, 0x43000000, v2
; %bb.214:
	s_or_b64 exec, exec, s[28:29]
                                        ; implicit-def: $vgpr2
.LBB86_215:
	s_andn2_saveexec_b64 s[20:21], s[20:21]
; %bb.216:
	s_mov_b32 s28, 0x7f800000
	v_mov_b32_e32 v3, 0x7c
	v_mov_b32_e32 v4, 0x7f
	v_cmp_lt_u32_e32 vcc, s28, v2
	v_cndmask_b32_e32 v3, v3, v4, vcc
; %bb.217:
	s_or_b64 exec, exec, s[20:21]
	global_store_byte v[0:1], v3, off
.LBB86_218:
	s_mov_b64 s[28:29], 0
	s_mov_b64 s[20:21], -1
.LBB86_219:
	s_andn2_b64 vcc, exec, s[28:29]
	s_cbranch_vccnz .LBB86_227
; %bb.220:
	s_cmp_gt_i32 s37, 14
	s_mov_b64 s[28:29], -1
	s_cbranch_scc0 .LBB86_224
; %bb.221:
	s_cmp_eq_u32 s37, 15
	s_mov_b64 s[4:5], -1
	s_cbranch_scc0 .LBB86_223
; %bb.222:
	v_cndmask_b32_e64 v2, 0, 1.0, s[2:3]
	v_bfe_u32 v3, v2, 16, 1
	s_movk_i32 s4, 0x7fff
	v_add3_u32 v2, v2, v3, s4
	global_store_short_d16_hi v[0:1], v2, off
	s_mov_b64 s[20:21], -1
	s_mov_b64 s[4:5], 0
.LBB86_223:
	s_mov_b64 s[28:29], 0
.LBB86_224:
	s_and_b64 vcc, exec, s[28:29]
	s_cbranch_vccz .LBB86_227
; %bb.225:
	s_cmp_eq_u32 s37, 11
	s_mov_b64 s[4:5], -1
	s_cbranch_scc0 .LBB86_227
; %bb.226:
	v_cndmask_b32_e64 v2, 0, 1, s[2:3]
	s_mov_b64 s[20:21], -1
	s_mov_b64 s[4:5], 0
	global_store_byte v[0:1], v2, off
.LBB86_227:
	s_mov_b64 s[28:29], 0
.LBB86_228:
	s_and_b64 vcc, exec, s[28:29]
	s_cbranch_vccz .LBB86_267
; %bb.229:
	s_and_b32 s28, 0xffff, s36
	s_cmp_lt_i32 s28, 5
	s_mov_b64 s[20:21], -1
	s_cbranch_scc1 .LBB86_250
; %bb.230:
	s_cmp_lt_i32 s28, 8
	s_cbranch_scc1 .LBB86_240
; %bb.231:
	s_cmp_lt_i32 s28, 9
	s_cbranch_scc1 .LBB86_237
; %bb.232:
	s_cmp_gt_i32 s28, 9
	s_cbranch_scc0 .LBB86_234
; %bb.233:
	v_cndmask_b32_e64 v2, 0, 1, s[2:3]
	v_cvt_f64_u32_e32 v[2:3], v2
	v_mov_b32_e32 v4, 0
	v_mov_b32_e32 v5, v4
	s_mov_b64 s[20:21], 0
	global_store_dwordx4 v[0:1], v[2:5], off
.LBB86_234:
	s_andn2_b64 vcc, exec, s[20:21]
	s_cbranch_vccnz .LBB86_236
; %bb.235:
	v_cndmask_b32_e64 v2, 0, 1.0, s[2:3]
	v_mov_b32_e32 v3, 0
	global_store_dwordx2 v[0:1], v[2:3], off
.LBB86_236:
	s_mov_b64 s[20:21], 0
.LBB86_237:
	s_andn2_b64 vcc, exec, s[20:21]
	s_cbranch_vccnz .LBB86_239
; %bb.238:
	v_cndmask_b32_e64 v2, 0, 1.0, s[2:3]
	v_cvt_f16_f32_e32 v2, v2
	global_store_dword v[0:1], v2, off
.LBB86_239:
	s_mov_b64 s[20:21], 0
.LBB86_240:
	s_andn2_b64 vcc, exec, s[20:21]
	s_cbranch_vccnz .LBB86_249
; %bb.241:
	s_cmp_lt_i32 s28, 6
	s_mov_b64 s[20:21], -1
	s_cbranch_scc1 .LBB86_247
; %bb.242:
	s_cmp_gt_i32 s28, 6
	s_cbranch_scc0 .LBB86_244
; %bb.243:
	v_cndmask_b32_e64 v2, 0, 1, s[2:3]
	v_cvt_f64_u32_e32 v[2:3], v2
	s_mov_b64 s[20:21], 0
	global_store_dwordx2 v[0:1], v[2:3], off
.LBB86_244:
	s_andn2_b64 vcc, exec, s[20:21]
	s_cbranch_vccnz .LBB86_246
; %bb.245:
	v_cndmask_b32_e64 v2, 0, 1.0, s[2:3]
	global_store_dword v[0:1], v2, off
.LBB86_246:
	s_mov_b64 s[20:21], 0
.LBB86_247:
	s_andn2_b64 vcc, exec, s[20:21]
	s_cbranch_vccnz .LBB86_249
; %bb.248:
	v_cndmask_b32_e64 v2, 0, 1.0, s[2:3]
	v_cvt_f16_f32_e32 v2, v2
	global_store_short v[0:1], v2, off
.LBB86_249:
	s_mov_b64 s[20:21], 0
.LBB86_250:
	s_andn2_b64 vcc, exec, s[20:21]
	s_cbranch_vccnz .LBB86_266
; %bb.251:
	s_cmp_lt_i32 s28, 2
	s_mov_b64 s[20:21], -1
	s_cbranch_scc1 .LBB86_261
; %bb.252:
	s_cmp_lt_i32 s28, 3
	s_cbranch_scc1 .LBB86_258
; %bb.253:
	s_cmp_gt_i32 s28, 3
	s_cbranch_scc0 .LBB86_255
; %bb.254:
	s_mov_b32 s20, 0
	v_cndmask_b32_e64 v2, 0, 1, s[2:3]
	v_mov_b32_e32 v3, s20
	global_store_dwordx2 v[0:1], v[2:3], off
	s_mov_b64 s[20:21], 0
.LBB86_255:
	s_andn2_b64 vcc, exec, s[20:21]
	s_cbranch_vccnz .LBB86_257
; %bb.256:
	v_cndmask_b32_e64 v2, 0, 1, s[2:3]
	global_store_dword v[0:1], v2, off
.LBB86_257:
	s_mov_b64 s[20:21], 0
.LBB86_258:
	s_andn2_b64 vcc, exec, s[20:21]
	s_cbranch_vccnz .LBB86_260
; %bb.259:
	v_cndmask_b32_e64 v2, 0, 1, s[2:3]
	global_store_short v[0:1], v2, off
.LBB86_260:
	s_mov_b64 s[20:21], 0
.LBB86_261:
	s_andn2_b64 vcc, exec, s[20:21]
	s_cbranch_vccnz .LBB86_266
; %bb.262:
	s_mov_b64 s[20:21], -1
	s_cmp_gt_i32 s28, 0
	v_cndmask_b32_e64 v2, 0, 1, s[2:3]
	s_cbranch_scc0 .LBB86_264
; %bb.263:
	global_store_byte v[0:1], v2, off
	s_mov_b64 s[20:21], 0
.LBB86_264:
	s_andn2_b64 vcc, exec, s[20:21]
	s_cbranch_vccnz .LBB86_266
; %bb.265:
	global_store_byte v[0:1], v2, off
.LBB86_266:
	s_mov_b64 s[20:21], -1
.LBB86_267:
	s_andn2_b64 vcc, exec, s[20:21]
	s_cbranch_vccnz .LBB86_269
; %bb.268:
	v_add_u32_e32 v18, 0x80, v18
	s_mov_b64 s[2:3], -1
	s_branch .LBB86_382
.LBB86_269:
	s_mov_b64 s[2:3], 0
                                        ; implicit-def: $vgpr18
	s_branch .LBB86_382
.LBB86_270:
	s_mov_b64 s[22:23], -1
                                        ; implicit-def: $vgpr4_vgpr5
.LBB86_271:
	s_mov_b64 s[4:5], 0
.LBB86_272:
	s_and_b64 vcc, exec, s[4:5]
	s_cbranch_vccz .LBB86_276
; %bb.273:
	s_cmp_eq_u32 s29, 29
	s_cbranch_scc0 .LBB86_275
; %bb.274:
	global_load_dwordx2 v[4:5], v[2:3], off
	s_mov_b64 s[2:3], -1
	s_mov_b64 s[22:23], 0
	s_mov_b64 s[4:5], 0
	s_waitcnt vmcnt(0)
	v_cvt_f64_u32_e32 v[5:6], v5
	v_cvt_f64_u32_e32 v[7:8], v4
	v_ldexp_f64 v[5:6], v[5:6], 32
	v_add_f64 v[4:5], v[5:6], v[7:8]
	s_branch .LBB86_277
.LBB86_275:
	s_mov_b64 s[22:23], -1
                                        ; implicit-def: $vgpr4_vgpr5
.LBB86_276:
	s_mov_b64 s[4:5], 0
.LBB86_277:
	s_and_b64 vcc, exec, s[4:5]
	s_cbranch_vccz .LBB86_297
; %bb.278:
	s_cmp_lt_i32 s29, 27
	s_cbranch_scc1 .LBB86_281
; %bb.279:
	s_cmp_gt_i32 s29, 27
	s_cbranch_scc0 .LBB86_282
; %bb.280:
	global_load_dword v4, v[2:3], off
	s_mov_b64 s[2:3], 0
	s_waitcnt vmcnt(0)
	v_cvt_f64_u32_e32 v[4:5], v4
	s_branch .LBB86_283
.LBB86_281:
	s_mov_b64 s[2:3], -1
                                        ; implicit-def: $vgpr4_vgpr5
	s_branch .LBB86_286
.LBB86_282:
	s_mov_b64 s[2:3], -1
                                        ; implicit-def: $vgpr4_vgpr5
.LBB86_283:
	s_andn2_b64 vcc, exec, s[2:3]
	s_cbranch_vccnz .LBB86_285
; %bb.284:
	global_load_ushort v4, v[2:3], off
	s_waitcnt vmcnt(0)
	v_cvt_f64_u32_e32 v[4:5], v4
.LBB86_285:
	s_mov_b64 s[2:3], 0
.LBB86_286:
	s_andn2_b64 vcc, exec, s[2:3]
	s_cbranch_vccnz .LBB86_296
; %bb.287:
	global_load_ubyte v6, v[2:3], off
	s_movk_i32 s2, 0x7f
	s_waitcnt vmcnt(0)
	v_cmp_lt_i16_e32 vcc, s2, v6
	s_mov_b64 s[2:3], 0
	s_and_saveexec_b64 s[4:5], vcc
	s_xor_b64 s[4:5], exec, s[4:5]
	s_cbranch_execz .LBB86_291
; %bb.288:
	s_movk_i32 s2, 0x80
	v_cmp_eq_u16_e32 vcc, s2, v6
	s_mov_b64 s[2:3], -1
	s_and_saveexec_b64 s[20:21], vcc
; %bb.289:
	s_xor_b64 s[2:3], exec, -1
; %bb.290:
	s_or_b64 exec, exec, s[20:21]
	s_and_b64 s[2:3], s[2:3], exec
.LBB86_291:
	s_or_saveexec_b64 s[4:5], s[4:5]
	v_bfrev_b32_e32 v4, 4
	v_mov_b32_e32 v5, 0x7ff80000
	s_xor_b64 exec, exec, s[4:5]
; %bb.292:
	v_cmp_ne_u16_e32 vcc, 0, v6
	v_mov_b32_e32 v4, 0
	s_andn2_b64 s[2:3], s[2:3], exec
	s_and_b64 s[20:21], vcc, exec
	v_mov_b32_e32 v5, 0
	s_or_b64 s[2:3], s[2:3], s[20:21]
; %bb.293:
	s_or_b64 exec, exec, s[4:5]
	s_and_saveexec_b64 s[4:5], s[2:3]
	s_cbranch_execz .LBB86_295
; %bb.294:
	v_and_b32_e32 v5, 0xffff, v6
	v_lshlrev_b32_e32 v4, 24, v6
	v_and_b32_e32 v6, 7, v5
	v_ffbh_u32_e32 v8, v6
	v_min_u32_e32 v8, 32, v8
	v_subrev_u32_e32 v9, 28, v8
	v_bfe_u32 v7, v5, 3, 4
	v_lshlrev_b32_e32 v5, v9, v5
	v_sub_u32_e32 v8, 29, v8
	v_and_b32_e32 v5, 7, v5
	v_cmp_eq_u32_e32 vcc, 0, v7
	v_cndmask_b32_e32 v7, v7, v8, vcc
	v_cndmask_b32_e32 v5, v6, v5, vcc
	v_mov_b32_e32 v6, 0x3b800000
	v_lshlrev_b32_e32 v5, 20, v5
	v_and_b32_e32 v4, 0x80000000, v4
	v_lshl_add_u32 v6, v7, 23, v6
	v_or3_b32 v4, v4, v6, v5
	v_cvt_f64_f32_e32 v[4:5], v4
.LBB86_295:
	s_or_b64 exec, exec, s[4:5]
.LBB86_296:
	s_mov_b64 s[2:3], -1
.LBB86_297:
	s_mov_b64 s[4:5], 0
.LBB86_298:
	s_and_b64 vcc, exec, s[4:5]
	s_cbranch_vccz .LBB86_331
; %bb.299:
	s_cmp_gt_i32 s29, 22
	s_cbranch_scc0 .LBB86_311
; %bb.300:
	s_cmp_lt_i32 s29, 24
	s_cbranch_scc1 .LBB86_312
; %bb.301:
	s_cmp_gt_i32 s29, 24
	s_cbranch_scc0 .LBB86_313
; %bb.302:
	global_load_ubyte v6, v[2:3], off
	s_movk_i32 s2, 0x7f
	s_waitcnt vmcnt(0)
	v_cmp_lt_i16_e32 vcc, s2, v6
	s_mov_b64 s[2:3], 0
	s_and_saveexec_b64 s[4:5], vcc
	s_xor_b64 s[4:5], exec, s[4:5]
	s_cbranch_execz .LBB86_306
; %bb.303:
	s_movk_i32 s2, 0x80
	v_cmp_eq_u16_e32 vcc, s2, v6
	s_mov_b64 s[2:3], -1
	s_and_saveexec_b64 s[20:21], vcc
; %bb.304:
	s_xor_b64 s[2:3], exec, -1
; %bb.305:
	s_or_b64 exec, exec, s[20:21]
	s_and_b64 s[2:3], s[2:3], exec
.LBB86_306:
	s_or_saveexec_b64 s[4:5], s[4:5]
	v_bfrev_b32_e32 v4, 4
	v_mov_b32_e32 v5, 0x7ff80000
	s_xor_b64 exec, exec, s[4:5]
; %bb.307:
	v_cmp_ne_u16_e32 vcc, 0, v6
	v_mov_b32_e32 v4, 0
	s_andn2_b64 s[2:3], s[2:3], exec
	s_and_b64 s[20:21], vcc, exec
	v_mov_b32_e32 v5, 0
	s_or_b64 s[2:3], s[2:3], s[20:21]
; %bb.308:
	s_or_b64 exec, exec, s[4:5]
	s_and_saveexec_b64 s[4:5], s[2:3]
	s_cbranch_execz .LBB86_310
; %bb.309:
	v_and_b32_e32 v5, 0xffff, v6
	v_lshlrev_b32_e32 v4, 24, v6
	v_and_b32_e32 v6, 3, v5
	v_ffbh_u32_e32 v8, v6
	v_min_u32_e32 v8, 32, v8
	v_subrev_u32_e32 v9, 29, v8
	v_bfe_u32 v7, v5, 2, 5
	v_lshlrev_b32_e32 v5, v9, v5
	v_sub_u32_e32 v8, 30, v8
	v_and_b32_e32 v5, 3, v5
	v_cmp_eq_u32_e32 vcc, 0, v7
	v_cndmask_b32_e32 v7, v7, v8, vcc
	v_cndmask_b32_e32 v5, v6, v5, vcc
	v_mov_b32_e32 v6, 0x37800000
	v_lshlrev_b32_e32 v5, 21, v5
	v_and_b32_e32 v4, 0x80000000, v4
	v_lshl_add_u32 v6, v7, 23, v6
	v_or3_b32 v4, v4, v6, v5
	v_cvt_f64_f32_e32 v[4:5], v4
.LBB86_310:
	s_or_b64 exec, exec, s[4:5]
	s_mov_b64 s[2:3], 0
	s_branch .LBB86_314
.LBB86_311:
	s_mov_b64 s[4:5], -1
                                        ; implicit-def: $vgpr4_vgpr5
	s_branch .LBB86_320
.LBB86_312:
	s_mov_b64 s[2:3], -1
                                        ; implicit-def: $vgpr4_vgpr5
	s_branch .LBB86_317
.LBB86_313:
	s_mov_b64 s[2:3], -1
                                        ; implicit-def: $vgpr4_vgpr5
.LBB86_314:
	s_and_b64 vcc, exec, s[2:3]
	s_cbranch_vccz .LBB86_316
; %bb.315:
	global_load_ubyte v4, v[2:3], off
	s_mov_b32 s2, 0x7f800000
	s_waitcnt vmcnt(0)
	v_lshlrev_b32_e32 v4, 24, v4
	v_and_b32_e32 v5, 0x7f000000, v4
	v_ffbh_u32_e32 v6, v5
	v_min_u32_e32 v6, 32, v6
	v_sub_u32_e64 v6, v6, 4 clamp
	v_lshlrev_b32_e32 v8, v6, v5
	v_lshlrev_b32_e32 v6, 23, v6
	v_lshrrev_b32_e32 v8, 4, v8
	v_add_u32_e32 v7, 0x1000000, v5
	v_sub_u32_e32 v6, v8, v6
	v_ashrrev_i32_e32 v7, 8, v7
	v_add_u32_e32 v6, 0x3c000000, v6
	v_and_or_b32 v6, v7, s2, v6
	v_cmp_ne_u32_e32 vcc, 0, v5
	v_cndmask_b32_e32 v5, 0, v6, vcc
	s_brev_b32 s2, 1
	v_and_or_b32 v4, v4, s2, v5
	v_cvt_f64_f32_e32 v[4:5], v4
.LBB86_316:
	s_mov_b64 s[2:3], 0
.LBB86_317:
	s_andn2_b64 vcc, exec, s[2:3]
	s_cbranch_vccnz .LBB86_319
; %bb.318:
	global_load_ubyte v4, v[2:3], off
	s_movk_i32 s2, 0x7f00
	s_brev_b32 s3, 16
	s_waitcnt vmcnt(0)
	v_lshlrev_b16_e32 v5, 8, v4
	v_lshlrev_b32_e32 v4, 25, v4
	v_lshrrev_b32_e32 v6, 4, v4
	v_and_or_b32 v7, v5, s2, 0.5
	v_or_b32_e32 v6, 0x70000000, v6
	v_add_f32_e32 v7, -0.5, v7
	v_mul_f32_e32 v6, 0x7800000, v6
	v_cmp_gt_u32_e32 vcc, s3, v4
	v_bfe_i32 v5, v5, 0, 16
	v_cndmask_b32_e32 v4, v6, v7, vcc
	s_brev_b32 s2, 1
	v_and_or_b32 v4, v5, s2, v4
	v_cvt_f64_f32_e32 v[4:5], v4
.LBB86_319:
	s_mov_b64 s[4:5], 0
	s_mov_b64 s[2:3], -1
.LBB86_320:
	s_andn2_b64 vcc, exec, s[4:5]
	s_cbranch_vccnz .LBB86_331
; %bb.321:
	s_cmp_gt_i32 s29, 14
	s_cbranch_scc0 .LBB86_324
; %bb.322:
	s_cmp_eq_u32 s29, 15
	s_cbranch_scc0 .LBB86_325
; %bb.323:
	global_load_ushort v4, v[2:3], off
	s_mov_b64 s[2:3], -1
	s_mov_b64 s[22:23], 0
	s_waitcnt vmcnt(0)
	v_lshlrev_b32_e32 v4, 16, v4
	v_cvt_f64_f32_e32 v[4:5], v4
	s_branch .LBB86_326
.LBB86_324:
	s_mov_b64 s[4:5], -1
                                        ; implicit-def: $vgpr4_vgpr5
	s_branch .LBB86_327
.LBB86_325:
	s_mov_b64 s[22:23], -1
                                        ; implicit-def: $vgpr4_vgpr5
.LBB86_326:
	s_mov_b64 s[4:5], 0
.LBB86_327:
	s_and_b64 vcc, exec, s[4:5]
	s_cbranch_vccz .LBB86_331
; %bb.328:
	s_cmp_eq_u32 s29, 11
	s_cbranch_scc0 .LBB86_330
; %bb.329:
	global_load_ubyte v5, v[2:3], off
	v_mov_b32_e32 v6, 0x3ff00000
	v_mov_b32_e32 v4, 0
	s_mov_b64 s[2:3], -1
	s_mov_b64 s[22:23], 0
	s_waitcnt vmcnt(0)
	v_cmp_ne_u16_e32 vcc, 0, v5
	v_cndmask_b32_e32 v5, 0, v6, vcc
	s_branch .LBB86_331
.LBB86_330:
	s_mov_b64 s[22:23], -1
                                        ; implicit-def: $vgpr4_vgpr5
.LBB86_331:
	s_branch .LBB86_20
.LBB86_332:
	s_and_b32 s4, 0xffff, s28
	s_cmp_lt_i32 s4, 5
	s_cbranch_scc1 .LBB86_337
; %bb.333:
	s_cmp_lt_i32 s4, 8
	s_cbranch_scc1 .LBB86_338
; %bb.334:
	;; [unrolled: 3-line block ×3, first 2 shown]
	s_cmp_gt_i32 s4, 9
	s_cbranch_scc0 .LBB86_340
; %bb.336:
	global_load_dwordx2 v[4:5], v[2:3], off
	s_mov_b64 s[2:3], 0
	s_branch .LBB86_341
.LBB86_337:
	s_mov_b64 s[2:3], -1
                                        ; implicit-def: $vgpr4_vgpr5
	s_branch .LBB86_359
.LBB86_338:
	s_mov_b64 s[2:3], -1
                                        ; implicit-def: $vgpr4_vgpr5
	s_branch .LBB86_347
.LBB86_339:
	s_mov_b64 s[2:3], -1
                                        ; implicit-def: $vgpr4_vgpr5
	s_branch .LBB86_344
.LBB86_340:
	s_mov_b64 s[2:3], -1
                                        ; implicit-def: $vgpr4_vgpr5
.LBB86_341:
	s_andn2_b64 vcc, exec, s[2:3]
	s_cbranch_vccnz .LBB86_343
; %bb.342:
	global_load_dword v4, v[2:3], off
	s_waitcnt vmcnt(0)
	v_cvt_f64_f32_e32 v[4:5], v4
.LBB86_343:
	s_mov_b64 s[2:3], 0
.LBB86_344:
	s_andn2_b64 vcc, exec, s[2:3]
	s_cbranch_vccnz .LBB86_346
; %bb.345:
	global_load_dword v4, v[2:3], off
	s_waitcnt vmcnt(0)
	v_cvt_f32_f16_e32 v4, v4
	v_cvt_f64_f32_e32 v[4:5], v4
.LBB86_346:
	s_mov_b64 s[2:3], 0
.LBB86_347:
	s_andn2_b64 vcc, exec, s[2:3]
	s_cbranch_vccnz .LBB86_358
; %bb.348:
	s_cmp_lt_i32 s4, 6
	s_cbranch_scc1 .LBB86_351
; %bb.349:
	s_cmp_gt_i32 s4, 6
	s_cbranch_scc0 .LBB86_352
; %bb.350:
	global_load_dwordx2 v[4:5], v[2:3], off
	s_mov_b64 s[2:3], 0
	s_branch .LBB86_353
.LBB86_351:
	s_mov_b64 s[2:3], -1
                                        ; implicit-def: $vgpr4_vgpr5
	s_branch .LBB86_356
.LBB86_352:
	s_mov_b64 s[2:3], -1
                                        ; implicit-def: $vgpr4_vgpr5
.LBB86_353:
	s_andn2_b64 vcc, exec, s[2:3]
	s_cbranch_vccnz .LBB86_355
; %bb.354:
	global_load_dword v4, v[2:3], off
	s_waitcnt vmcnt(0)
	v_cvt_f64_f32_e32 v[4:5], v4
.LBB86_355:
	s_mov_b64 s[2:3], 0
.LBB86_356:
	s_andn2_b64 vcc, exec, s[2:3]
	s_cbranch_vccnz .LBB86_358
; %bb.357:
	global_load_ushort v4, v[2:3], off
	s_waitcnt vmcnt(0)
	v_cvt_f32_f16_e32 v4, v4
	v_cvt_f64_f32_e32 v[4:5], v4
.LBB86_358:
	s_mov_b64 s[2:3], 0
.LBB86_359:
	s_andn2_b64 vcc, exec, s[2:3]
	s_cbranch_vccnz .LBB86_379
; %bb.360:
	s_cmp_lt_i32 s4, 2
	s_cbranch_scc1 .LBB86_364
; %bb.361:
	s_cmp_lt_i32 s4, 3
	s_cbranch_scc1 .LBB86_365
; %bb.362:
	s_cmp_gt_i32 s4, 3
	s_cbranch_scc0 .LBB86_366
; %bb.363:
	global_load_dwordx2 v[4:5], v[2:3], off
	s_mov_b64 s[2:3], 0
	s_waitcnt vmcnt(0)
	v_cvt_f64_i32_e32 v[5:6], v5
	v_cvt_f64_u32_e32 v[7:8], v4
	v_ldexp_f64 v[5:6], v[5:6], 32
	v_add_f64 v[4:5], v[5:6], v[7:8]
	s_branch .LBB86_367
.LBB86_364:
	s_mov_b64 s[2:3], -1
                                        ; implicit-def: $vgpr4_vgpr5
	s_branch .LBB86_373
.LBB86_365:
	s_mov_b64 s[2:3], -1
                                        ; implicit-def: $vgpr4_vgpr5
	s_branch .LBB86_370
.LBB86_366:
	s_mov_b64 s[2:3], -1
                                        ; implicit-def: $vgpr4_vgpr5
.LBB86_367:
	s_andn2_b64 vcc, exec, s[2:3]
	s_cbranch_vccnz .LBB86_369
; %bb.368:
	global_load_dword v4, v[2:3], off
	s_waitcnt vmcnt(0)
	v_cvt_f64_i32_e32 v[4:5], v4
.LBB86_369:
	s_mov_b64 s[2:3], 0
.LBB86_370:
	s_andn2_b64 vcc, exec, s[2:3]
	s_cbranch_vccnz .LBB86_372
; %bb.371:
	global_load_sshort v4, v[2:3], off
	s_waitcnt vmcnt(0)
	v_cvt_f64_i32_e32 v[4:5], v4
.LBB86_372:
	s_mov_b64 s[2:3], 0
.LBB86_373:
	s_andn2_b64 vcc, exec, s[2:3]
	s_cbranch_vccnz .LBB86_379
; %bb.374:
	s_cmp_gt_i32 s4, 0
	s_cbranch_scc0 .LBB86_376
; %bb.375:
	global_load_sbyte v4, v[2:3], off
	s_mov_b64 s[2:3], 0
	s_waitcnt vmcnt(0)
	v_cvt_f64_i32_e32 v[4:5], v4
	s_branch .LBB86_377
.LBB86_376:
	s_mov_b64 s[2:3], -1
                                        ; implicit-def: $vgpr4_vgpr5
.LBB86_377:
	s_andn2_b64 vcc, exec, s[2:3]
	s_cbranch_vccnz .LBB86_379
; %bb.378:
	global_load_ubyte v2, v[2:3], off
	s_waitcnt vmcnt(0)
	v_cvt_f64_u32_e32 v[4:5], v2
.LBB86_379:
	s_branch .LBB86_21
.LBB86_380:
	s_mov_b64 s[4:5], 0
.LBB86_381:
                                        ; implicit-def: $vgpr18
	s_mov_b64 s[2:3], 0
.LBB86_382:
	s_and_b64 s[20:21], s[4:5], exec
	s_and_b64 s[22:23], s[22:23], exec
	;; [unrolled: 1-line block ×3, first 2 shown]
	s_orn2_b64 s[2:3], s[2:3], exec
.LBB86_383:
	s_or_b64 exec, exec, s[26:27]
	s_mov_b64 s[36:37], 0
	s_mov_b64 s[34:35], 0
                                        ; implicit-def: $sgpr58
                                        ; implicit-def: $vgpr2_vgpr3
                                        ; implicit-def: $vgpr0_vgpr1
	s_and_saveexec_b64 s[26:27], s[2:3]
	s_cbranch_execz .LBB86_392
; %bb.384:
	v_cmp_gt_i32_e32 vcc, s50, v18
	s_mov_b64 s[2:3], -1
	s_mov_b64 s[28:29], s[24:25]
	s_mov_b64 s[30:31], s[22:23]
	;; [unrolled: 1-line block ×3, first 2 shown]
	s_and_saveexec_b64 s[36:37], vcc
	s_cbranch_execz .LBB86_773
; %bb.385:
	s_waitcnt vmcnt(0)
	v_mul_lo_u32 v0, v18, s13
	v_mov_b32_e32 v1, s11
	s_and_b32 s34, s57, 0xff
	s_cmp_lt_i32 s34, 11
	v_ashrrev_i32_e32 v3, 31, v0
	v_add_co_u32_e32 v2, vcc, s10, v0
	v_addc_co_u32_e32 v3, vcc, v1, v3, vcc
	s_cbranch_scc1 .LBB86_395
; %bb.386:
	s_and_b32 s35, 0xffff, s34
	s_cmp_gt_i32 s35, 25
	s_cbranch_scc0 .LBB86_404
; %bb.387:
	s_cmp_gt_i32 s35, 28
	s_cbranch_scc0 .LBB86_406
; %bb.388:
	;; [unrolled: 3-line block ×4, first 2 shown]
	s_cmp_eq_u32 s35, 46
	s_mov_b64 s[4:5], 0
	s_cbranch_scc0 .LBB86_414
; %bb.391:
	global_load_dword v0, v[2:3], off
	s_mov_b64 s[28:29], 0
	s_waitcnt vmcnt(0)
	v_lshlrev_b32_e32 v0, 16, v0
	v_cvt_f64_f32_e32 v[0:1], v0
	s_branch .LBB86_415
.LBB86_392:
	s_or_b64 exec, exec, s[26:27]
	s_mov_b64 s[2:3], 0
	s_and_saveexec_b64 s[4:5], s[24:25]
	s_cbranch_execnz .LBB86_1248
.LBB86_393:
	s_or_b64 exec, exec, s[4:5]
	s_and_saveexec_b64 s[4:5], s[30:31]
	s_xor_b64 s[4:5], exec, s[4:5]
	s_cbranch_execz .LBB86_1249
.LBB86_394:
	global_load_ubyte v1, v[2:3], off
	s_waitcnt vmcnt(1)
	v_mov_b32_e32 v4, 0x3ff00000
	v_mov_b32_e32 v0, 0
	s_or_b64 s[34:35], s[34:35], exec
	s_waitcnt vmcnt(0)
	v_cmp_ne_u16_e32 vcc, 0, v1
	v_cndmask_b32_e32 v1, 0, v4, vcc
	s_or_b64 exec, exec, s[4:5]
	s_and_saveexec_b64 s[4:5], s[36:37]
	s_cbranch_execz .LBB86_1295
	s_branch .LBB86_1250
.LBB86_395:
	s_mov_b64 s[2:3], 0
                                        ; implicit-def: $vgpr0_vgpr1
	s_mov_b64 s[28:29], s[24:25]
	s_cbranch_execnz .LBB86_481
.LBB86_396:
	s_andn2_b64 vcc, exec, s[2:3]
	s_cbranch_vccnz .LBB86_529
.LBB86_397:
	v_mul_lo_u32 v2, v18, s14
	v_mov_b32_e32 v3, s17
	s_and_b32 s38, s56, 0xff
	s_cmp_lt_i32 s38, 11
	v_ashrrev_i32_e32 v4, 31, v2
	v_add_co_u32_e32 v2, vcc, s16, v2
	v_addc_co_u32_e32 v3, vcc, v3, v4, vcc
	s_cbranch_scc1 .LBB86_405
; %bb.398:
	s_and_b32 s39, 0xffff, s38
	s_cmp_gt_i32 s39, 25
	s_cbranch_scc0 .LBB86_407
; %bb.399:
	s_cmp_gt_i32 s39, 28
	s_cbranch_scc0 .LBB86_409
; %bb.400:
	;; [unrolled: 3-line block ×4, first 2 shown]
	s_cmp_eq_u32 s39, 46
	s_mov_b64 s[4:5], 0
	s_cbranch_scc0 .LBB86_533
; %bb.403:
	global_load_dword v4, v[2:3], off
	s_mov_b64 s[2:3], -1
	s_mov_b64 s[30:31], 0
	s_waitcnt vmcnt(0)
	v_lshlrev_b32_e32 v4, 16, v4
	v_cvt_f64_f32_e32 v[4:5], v4
	s_branch .LBB86_534
.LBB86_404:
	s_mov_b64 s[4:5], -1
	s_mov_b64 s[2:3], 0
	s_mov_b64 s[28:29], s[24:25]
                                        ; implicit-def: $vgpr0_vgpr1
	s_branch .LBB86_447
.LBB86_405:
	s_mov_b64 s[4:5], -1
	s_mov_b64 s[2:3], 0
                                        ; implicit-def: $vgpr4_vgpr5
	s_mov_b64 s[30:31], s[22:23]
	s_branch .LBB86_599
.LBB86_406:
	s_mov_b64 s[4:5], -1
	s_mov_b64 s[2:3], 0
	s_mov_b64 s[28:29], s[24:25]
                                        ; implicit-def: $vgpr0_vgpr1
	s_branch .LBB86_426
.LBB86_407:
	s_mov_b64 s[4:5], -1
	s_mov_b64 s[2:3], 0
	s_mov_b64 s[30:31], s[22:23]
                                        ; implicit-def: $vgpr4_vgpr5
	s_branch .LBB86_565
.LBB86_408:
	s_mov_b64 s[4:5], -1
	s_mov_b64 s[2:3], 0
	s_mov_b64 s[28:29], s[24:25]
                                        ; implicit-def: $vgpr0_vgpr1
	s_branch .LBB86_421
.LBB86_409:
	s_mov_b64 s[4:5], -1
	s_mov_b64 s[2:3], 0
	s_mov_b64 s[30:31], s[22:23]
                                        ; implicit-def: $vgpr4_vgpr5
	s_branch .LBB86_544
.LBB86_410:
	s_mov_b64 s[4:5], -1
	s_mov_b64 s[2:3], 0
	s_mov_b64 s[28:29], s[24:25]
                                        ; implicit-def: $vgpr0_vgpr1
	s_branch .LBB86_415
.LBB86_411:
	s_mov_b64 s[4:5], -1
	s_mov_b64 s[2:3], 0
	s_mov_b64 s[30:31], s[22:23]
                                        ; implicit-def: $vgpr4_vgpr5
	s_branch .LBB86_539
.LBB86_412:
	s_andn2_saveexec_b64 s[34:35], s[34:35]
	s_cbranch_execz .LBB86_180
.LBB86_413:
	v_add_f32_e32 v2, 0x46000000, v3
	v_and_b32_e32 v2, 0xff, v2
	v_cmp_ne_u32_e32 vcc, 0, v2
	s_andn2_b64 s[28:29], s[28:29], exec
	s_and_b64 s[38:39], vcc, exec
	s_or_b64 s[28:29], s[28:29], s[38:39]
	s_or_b64 exec, exec, s[34:35]
	v_mov_b32_e32 v4, 0
	s_and_saveexec_b64 s[34:35], s[28:29]
	s_cbranch_execnz .LBB86_181
	s_branch .LBB86_182
.LBB86_414:
	s_mov_b64 s[28:29], -1
                                        ; implicit-def: $vgpr0_vgpr1
	s_mov_b64 s[2:3], 0
.LBB86_415:
	s_and_b64 vcc, exec, s[4:5]
	s_cbranch_vccz .LBB86_420
; %bb.416:
	s_cmp_eq_u32 s35, 44
	s_cbranch_scc0 .LBB86_419
; %bb.417:
	global_load_ubyte v4, v[2:3], off
	s_movk_i32 s4, 0xff
	v_bfrev_b32_e32 v5, 4
	v_mov_b32_e32 v6, 0x7ff80000
	v_bfrev_b32_e32 v7, 28
	s_mov_b64 s[2:3], -1
	s_mov_b64 s[28:29], 0
	s_waitcnt vmcnt(0)
	v_lshlrev_b32_e32 v0, 23, v4
	v_cvt_f64_f32_e32 v[0:1], v0
	v_cmp_ne_u32_e32 vcc, s4, v4
	v_cndmask_b32_e32 v0, v5, v0, vcc
	v_cndmask_b32_e32 v1, v6, v1, vcc
	v_cmp_ne_u32_e32 vcc, 0, v4
	v_cndmask_b32_e32 v1, v7, v1, vcc
	v_cndmask_b32_e32 v0, 0, v0, vcc
	s_branch .LBB86_420
.LBB86_418:
	s_mov_b64 s[4:5], -1
	s_mov_b64 s[2:3], 0
	s_mov_b64 s[30:31], s[22:23]
                                        ; implicit-def: $vgpr4_vgpr5
	s_branch .LBB86_534
.LBB86_419:
	s_mov_b64 s[28:29], -1
                                        ; implicit-def: $vgpr0_vgpr1
.LBB86_420:
	s_mov_b64 s[4:5], 0
.LBB86_421:
	s_and_b64 vcc, exec, s[4:5]
	s_cbranch_vccz .LBB86_425
; %bb.422:
	s_cmp_eq_u32 s35, 29
	s_cbranch_scc0 .LBB86_424
; %bb.423:
	global_load_dwordx2 v[0:1], v[2:3], off
	s_mov_b64 s[2:3], -1
	s_mov_b64 s[28:29], 0
	s_mov_b64 s[4:5], 0
	s_waitcnt vmcnt(0)
	v_cvt_f64_u32_e32 v[4:5], v1
	v_cvt_f64_u32_e32 v[0:1], v0
	v_ldexp_f64 v[4:5], v[4:5], 32
	v_add_f64 v[0:1], v[4:5], v[0:1]
	s_branch .LBB86_426
.LBB86_424:
	s_mov_b64 s[28:29], -1
                                        ; implicit-def: $vgpr0_vgpr1
.LBB86_425:
	s_mov_b64 s[4:5], 0
.LBB86_426:
	s_and_b64 vcc, exec, s[4:5]
	s_cbranch_vccz .LBB86_446
; %bb.427:
	s_cmp_lt_i32 s35, 27
	s_cbranch_scc1 .LBB86_430
; %bb.428:
	s_cmp_gt_i32 s35, 27
	s_cbranch_scc0 .LBB86_431
; %bb.429:
	global_load_dword v0, v[2:3], off
	s_mov_b64 s[2:3], 0
	s_waitcnt vmcnt(0)
	v_cvt_f64_u32_e32 v[0:1], v0
	s_branch .LBB86_432
.LBB86_430:
	s_mov_b64 s[2:3], -1
                                        ; implicit-def: $vgpr0_vgpr1
	s_branch .LBB86_435
.LBB86_431:
	s_mov_b64 s[2:3], -1
                                        ; implicit-def: $vgpr0_vgpr1
.LBB86_432:
	s_andn2_b64 vcc, exec, s[2:3]
	s_cbranch_vccnz .LBB86_434
; %bb.433:
	global_load_ushort v0, v[2:3], off
	s_waitcnt vmcnt(0)
	v_cvt_f64_u32_e32 v[0:1], v0
.LBB86_434:
	s_mov_b64 s[2:3], 0
.LBB86_435:
	s_andn2_b64 vcc, exec, s[2:3]
	s_cbranch_vccnz .LBB86_445
; %bb.436:
	global_load_ubyte v4, v[2:3], off
	s_movk_i32 s2, 0x7f
	s_waitcnt vmcnt(0)
	v_cmp_lt_i16_e32 vcc, s2, v4
	s_mov_b64 s[2:3], 0
	s_and_saveexec_b64 s[4:5], vcc
	s_xor_b64 s[4:5], exec, s[4:5]
	s_cbranch_execz .LBB86_440
; %bb.437:
	s_movk_i32 s2, 0x80
	v_cmp_eq_u16_e32 vcc, s2, v4
	s_mov_b64 s[2:3], -1
	s_and_saveexec_b64 s[30:31], vcc
; %bb.438:
	s_xor_b64 s[2:3], exec, -1
; %bb.439:
	s_or_b64 exec, exec, s[30:31]
	s_and_b64 s[2:3], s[2:3], exec
.LBB86_440:
	s_or_saveexec_b64 s[4:5], s[4:5]
	v_bfrev_b32_e32 v0, 4
	v_mov_b32_e32 v1, 0x7ff80000
	s_xor_b64 exec, exec, s[4:5]
; %bb.441:
	v_cmp_ne_u16_e32 vcc, 0, v4
	v_mov_b32_e32 v0, 0
	s_andn2_b64 s[2:3], s[2:3], exec
	s_and_b64 s[30:31], vcc, exec
	v_mov_b32_e32 v1, 0
	s_or_b64 s[2:3], s[2:3], s[30:31]
; %bb.442:
	s_or_b64 exec, exec, s[4:5]
	s_and_saveexec_b64 s[4:5], s[2:3]
	s_cbranch_execz .LBB86_444
; %bb.443:
	v_and_b32_e32 v1, 0xffff, v4
	v_lshlrev_b32_e32 v0, 24, v4
	v_and_b32_e32 v4, 7, v1
	v_ffbh_u32_e32 v6, v4
	v_min_u32_e32 v6, 32, v6
	v_subrev_u32_e32 v7, 28, v6
	v_bfe_u32 v5, v1, 3, 4
	v_lshlrev_b32_e32 v1, v7, v1
	v_sub_u32_e32 v6, 29, v6
	v_and_b32_e32 v1, 7, v1
	v_cmp_eq_u32_e32 vcc, 0, v5
	v_cndmask_b32_e32 v5, v5, v6, vcc
	v_cndmask_b32_e32 v1, v4, v1, vcc
	v_mov_b32_e32 v4, 0x3b800000
	v_lshlrev_b32_e32 v1, 20, v1
	v_and_b32_e32 v0, 0x80000000, v0
	v_lshl_add_u32 v4, v5, 23, v4
	v_or3_b32 v0, v0, v4, v1
	v_cvt_f64_f32_e32 v[0:1], v0
.LBB86_444:
	s_or_b64 exec, exec, s[4:5]
.LBB86_445:
	s_mov_b64 s[2:3], -1
.LBB86_446:
	s_mov_b64 s[4:5], 0
.LBB86_447:
	s_and_b64 vcc, exec, s[4:5]
	s_cbranch_vccz .LBB86_480
; %bb.448:
	s_cmp_gt_i32 s35, 22
	s_cbranch_scc0 .LBB86_460
; %bb.449:
	s_cmp_lt_i32 s35, 24
	s_cbranch_scc1 .LBB86_461
; %bb.450:
	s_cmp_gt_i32 s35, 24
	s_cbranch_scc0 .LBB86_462
; %bb.451:
	global_load_ubyte v4, v[2:3], off
	s_movk_i32 s2, 0x7f
	s_waitcnt vmcnt(0)
	v_cmp_lt_i16_e32 vcc, s2, v4
	s_mov_b64 s[2:3], 0
	s_and_saveexec_b64 s[4:5], vcc
	s_xor_b64 s[4:5], exec, s[4:5]
	s_cbranch_execz .LBB86_455
; %bb.452:
	s_movk_i32 s2, 0x80
	v_cmp_eq_u16_e32 vcc, s2, v4
	s_mov_b64 s[2:3], -1
	s_and_saveexec_b64 s[30:31], vcc
; %bb.453:
	s_xor_b64 s[2:3], exec, -1
; %bb.454:
	s_or_b64 exec, exec, s[30:31]
	s_and_b64 s[2:3], s[2:3], exec
.LBB86_455:
	s_or_saveexec_b64 s[4:5], s[4:5]
	v_bfrev_b32_e32 v0, 4
	v_mov_b32_e32 v1, 0x7ff80000
	s_xor_b64 exec, exec, s[4:5]
; %bb.456:
	v_cmp_ne_u16_e32 vcc, 0, v4
	v_mov_b32_e32 v0, 0
	s_andn2_b64 s[2:3], s[2:3], exec
	s_and_b64 s[30:31], vcc, exec
	v_mov_b32_e32 v1, 0
	s_or_b64 s[2:3], s[2:3], s[30:31]
; %bb.457:
	s_or_b64 exec, exec, s[4:5]
	s_and_saveexec_b64 s[4:5], s[2:3]
	s_cbranch_execz .LBB86_459
; %bb.458:
	v_and_b32_e32 v1, 0xffff, v4
	v_lshlrev_b32_e32 v0, 24, v4
	v_and_b32_e32 v4, 3, v1
	v_ffbh_u32_e32 v6, v4
	v_min_u32_e32 v6, 32, v6
	v_subrev_u32_e32 v7, 29, v6
	v_bfe_u32 v5, v1, 2, 5
	v_lshlrev_b32_e32 v1, v7, v1
	v_sub_u32_e32 v6, 30, v6
	v_and_b32_e32 v1, 3, v1
	v_cmp_eq_u32_e32 vcc, 0, v5
	v_cndmask_b32_e32 v5, v5, v6, vcc
	v_cndmask_b32_e32 v1, v4, v1, vcc
	v_mov_b32_e32 v4, 0x37800000
	v_lshlrev_b32_e32 v1, 21, v1
	v_and_b32_e32 v0, 0x80000000, v0
	v_lshl_add_u32 v4, v5, 23, v4
	v_or3_b32 v0, v0, v4, v1
	v_cvt_f64_f32_e32 v[0:1], v0
.LBB86_459:
	s_or_b64 exec, exec, s[4:5]
	s_mov_b64 s[2:3], 0
	s_branch .LBB86_463
.LBB86_460:
	s_mov_b64 s[4:5], -1
                                        ; implicit-def: $vgpr0_vgpr1
	s_branch .LBB86_469
.LBB86_461:
	s_mov_b64 s[2:3], -1
                                        ; implicit-def: $vgpr0_vgpr1
	s_branch .LBB86_466
.LBB86_462:
	s_mov_b64 s[2:3], -1
                                        ; implicit-def: $vgpr0_vgpr1
.LBB86_463:
	s_and_b64 vcc, exec, s[2:3]
	s_cbranch_vccz .LBB86_465
; %bb.464:
	global_load_ubyte v0, v[2:3], off
	s_mov_b32 s2, 0x7f800000
	s_waitcnt vmcnt(0)
	v_lshlrev_b32_e32 v0, 24, v0
	v_and_b32_e32 v1, 0x7f000000, v0
	v_ffbh_u32_e32 v4, v1
	v_min_u32_e32 v4, 32, v4
	v_sub_u32_e64 v4, v4, 4 clamp
	v_lshlrev_b32_e32 v6, v4, v1
	v_lshlrev_b32_e32 v4, 23, v4
	v_lshrrev_b32_e32 v6, 4, v6
	v_add_u32_e32 v5, 0x1000000, v1
	v_sub_u32_e32 v4, v6, v4
	v_ashrrev_i32_e32 v5, 8, v5
	v_add_u32_e32 v4, 0x3c000000, v4
	v_and_or_b32 v4, v5, s2, v4
	v_cmp_ne_u32_e32 vcc, 0, v1
	v_cndmask_b32_e32 v1, 0, v4, vcc
	s_brev_b32 s2, 1
	v_and_or_b32 v0, v0, s2, v1
	v_cvt_f64_f32_e32 v[0:1], v0
.LBB86_465:
	s_mov_b64 s[2:3], 0
.LBB86_466:
	s_andn2_b64 vcc, exec, s[2:3]
	s_cbranch_vccnz .LBB86_468
; %bb.467:
	global_load_ubyte v0, v[2:3], off
	s_movk_i32 s2, 0x7f00
	s_brev_b32 s3, 16
	s_waitcnt vmcnt(0)
	v_lshlrev_b16_e32 v1, 8, v0
	v_lshlrev_b32_e32 v0, 25, v0
	v_lshrrev_b32_e32 v4, 4, v0
	v_and_or_b32 v5, v1, s2, 0.5
	v_or_b32_e32 v4, 0x70000000, v4
	v_add_f32_e32 v5, -0.5, v5
	v_mul_f32_e32 v4, 0x7800000, v4
	v_cmp_gt_u32_e32 vcc, s3, v0
	v_bfe_i32 v1, v1, 0, 16
	v_cndmask_b32_e32 v0, v4, v5, vcc
	s_brev_b32 s2, 1
	v_and_or_b32 v0, v1, s2, v0
	v_cvt_f64_f32_e32 v[0:1], v0
.LBB86_468:
	s_mov_b64 s[4:5], 0
	s_mov_b64 s[2:3], -1
.LBB86_469:
	s_andn2_b64 vcc, exec, s[4:5]
	s_cbranch_vccnz .LBB86_480
; %bb.470:
	s_cmp_gt_i32 s35, 14
	s_cbranch_scc0 .LBB86_473
; %bb.471:
	s_cmp_eq_u32 s35, 15
	s_cbranch_scc0 .LBB86_474
; %bb.472:
	global_load_ushort v0, v[2:3], off
	s_mov_b64 s[2:3], -1
	s_mov_b64 s[28:29], 0
	s_waitcnt vmcnt(0)
	v_lshlrev_b32_e32 v0, 16, v0
	v_cvt_f64_f32_e32 v[0:1], v0
	s_branch .LBB86_475
.LBB86_473:
	s_mov_b64 s[4:5], -1
                                        ; implicit-def: $vgpr0_vgpr1
	s_branch .LBB86_476
.LBB86_474:
	s_mov_b64 s[28:29], -1
                                        ; implicit-def: $vgpr0_vgpr1
.LBB86_475:
	s_mov_b64 s[4:5], 0
.LBB86_476:
	s_and_b64 vcc, exec, s[4:5]
	s_cbranch_vccz .LBB86_480
; %bb.477:
	s_cmp_eq_u32 s35, 11
	s_cbranch_scc0 .LBB86_479
; %bb.478:
	global_load_ubyte v1, v[2:3], off
	v_mov_b32_e32 v4, 0x3ff00000
	v_mov_b32_e32 v0, 0
	s_mov_b64 s[2:3], -1
	s_mov_b64 s[28:29], 0
	s_waitcnt vmcnt(0)
	v_cmp_ne_u16_e32 vcc, 0, v1
	v_cndmask_b32_e32 v1, 0, v4, vcc
	s_branch .LBB86_480
.LBB86_479:
	s_mov_b64 s[28:29], -1
                                        ; implicit-def: $vgpr0_vgpr1
.LBB86_480:
	s_branch .LBB86_396
.LBB86_481:
	s_and_b32 s4, 0xffff, s34
	s_cmp_lt_i32 s4, 5
	s_cbranch_scc1 .LBB86_486
; %bb.482:
	s_cmp_lt_i32 s4, 8
	s_cbranch_scc1 .LBB86_487
; %bb.483:
	;; [unrolled: 3-line block ×3, first 2 shown]
	s_cmp_gt_i32 s4, 9
	s_cbranch_scc0 .LBB86_489
; %bb.485:
	global_load_dwordx2 v[0:1], v[2:3], off
	s_mov_b64 s[2:3], 0
	s_branch .LBB86_490
.LBB86_486:
	s_mov_b64 s[2:3], -1
                                        ; implicit-def: $vgpr0_vgpr1
	s_branch .LBB86_508
.LBB86_487:
	s_mov_b64 s[2:3], -1
                                        ; implicit-def: $vgpr0_vgpr1
	s_branch .LBB86_496
.LBB86_488:
	s_mov_b64 s[2:3], -1
                                        ; implicit-def: $vgpr0_vgpr1
	s_branch .LBB86_493
.LBB86_489:
	s_mov_b64 s[2:3], -1
                                        ; implicit-def: $vgpr0_vgpr1
.LBB86_490:
	s_andn2_b64 vcc, exec, s[2:3]
	s_cbranch_vccnz .LBB86_492
; %bb.491:
	global_load_dword v0, v[2:3], off
	s_waitcnt vmcnt(0)
	v_cvt_f64_f32_e32 v[0:1], v0
.LBB86_492:
	s_mov_b64 s[2:3], 0
.LBB86_493:
	s_andn2_b64 vcc, exec, s[2:3]
	s_cbranch_vccnz .LBB86_495
; %bb.494:
	global_load_dword v0, v[2:3], off
	s_waitcnt vmcnt(0)
	v_cvt_f32_f16_e32 v0, v0
	v_cvt_f64_f32_e32 v[0:1], v0
.LBB86_495:
	s_mov_b64 s[2:3], 0
.LBB86_496:
	s_andn2_b64 vcc, exec, s[2:3]
	s_cbranch_vccnz .LBB86_507
; %bb.497:
	s_cmp_lt_i32 s4, 6
	s_cbranch_scc1 .LBB86_500
; %bb.498:
	s_cmp_gt_i32 s4, 6
	s_cbranch_scc0 .LBB86_501
; %bb.499:
	global_load_dwordx2 v[0:1], v[2:3], off
	s_mov_b64 s[2:3], 0
	s_branch .LBB86_502
.LBB86_500:
	s_mov_b64 s[2:3], -1
                                        ; implicit-def: $vgpr0_vgpr1
	s_branch .LBB86_505
.LBB86_501:
	s_mov_b64 s[2:3], -1
                                        ; implicit-def: $vgpr0_vgpr1
.LBB86_502:
	s_andn2_b64 vcc, exec, s[2:3]
	s_cbranch_vccnz .LBB86_504
; %bb.503:
	global_load_dword v0, v[2:3], off
	s_waitcnt vmcnt(0)
	v_cvt_f64_f32_e32 v[0:1], v0
.LBB86_504:
	s_mov_b64 s[2:3], 0
.LBB86_505:
	s_andn2_b64 vcc, exec, s[2:3]
	s_cbranch_vccnz .LBB86_507
; %bb.506:
	global_load_ushort v0, v[2:3], off
	s_waitcnt vmcnt(0)
	v_cvt_f32_f16_e32 v0, v0
	v_cvt_f64_f32_e32 v[0:1], v0
.LBB86_507:
	s_mov_b64 s[2:3], 0
.LBB86_508:
	s_andn2_b64 vcc, exec, s[2:3]
	s_cbranch_vccnz .LBB86_528
; %bb.509:
	s_cmp_lt_i32 s4, 2
	s_cbranch_scc1 .LBB86_513
; %bb.510:
	s_cmp_lt_i32 s4, 3
	s_cbranch_scc1 .LBB86_514
; %bb.511:
	s_cmp_gt_i32 s4, 3
	s_cbranch_scc0 .LBB86_515
; %bb.512:
	global_load_dwordx2 v[0:1], v[2:3], off
	s_mov_b64 s[2:3], 0
	s_waitcnt vmcnt(0)
	v_cvt_f64_i32_e32 v[4:5], v1
	v_cvt_f64_u32_e32 v[0:1], v0
	v_ldexp_f64 v[4:5], v[4:5], 32
	v_add_f64 v[0:1], v[4:5], v[0:1]
	s_branch .LBB86_516
.LBB86_513:
	s_mov_b64 s[2:3], -1
                                        ; implicit-def: $vgpr0_vgpr1
	s_branch .LBB86_522
.LBB86_514:
	s_mov_b64 s[2:3], -1
                                        ; implicit-def: $vgpr0_vgpr1
	s_branch .LBB86_519
.LBB86_515:
	s_mov_b64 s[2:3], -1
                                        ; implicit-def: $vgpr0_vgpr1
.LBB86_516:
	s_andn2_b64 vcc, exec, s[2:3]
	s_cbranch_vccnz .LBB86_518
; %bb.517:
	global_load_dword v0, v[2:3], off
	s_waitcnt vmcnt(0)
	v_cvt_f64_i32_e32 v[0:1], v0
.LBB86_518:
	s_mov_b64 s[2:3], 0
.LBB86_519:
	s_andn2_b64 vcc, exec, s[2:3]
	s_cbranch_vccnz .LBB86_521
; %bb.520:
	global_load_sshort v0, v[2:3], off
	s_waitcnt vmcnt(0)
	v_cvt_f64_i32_e32 v[0:1], v0
.LBB86_521:
	s_mov_b64 s[2:3], 0
.LBB86_522:
	s_andn2_b64 vcc, exec, s[2:3]
	s_cbranch_vccnz .LBB86_528
; %bb.523:
	s_cmp_gt_i32 s4, 0
	s_cbranch_scc0 .LBB86_525
; %bb.524:
	global_load_sbyte v0, v[2:3], off
	s_mov_b64 s[2:3], 0
	s_waitcnt vmcnt(0)
	v_cvt_f64_i32_e32 v[0:1], v0
	s_branch .LBB86_526
.LBB86_525:
	s_mov_b64 s[2:3], -1
                                        ; implicit-def: $vgpr0_vgpr1
.LBB86_526:
	s_andn2_b64 vcc, exec, s[2:3]
	s_cbranch_vccnz .LBB86_528
; %bb.527:
	global_load_ubyte v0, v[2:3], off
	s_waitcnt vmcnt(0)
	v_cvt_f64_u32_e32 v[0:1], v0
.LBB86_528:
	s_branch .LBB86_397
.LBB86_529:
	s_mov_b64 s[2:3], 0
	s_mov_b64 s[4:5], s[20:21]
	;; [unrolled: 1-line block ×3, first 2 shown]
.LBB86_530:
                                        ; implicit-def: $vgpr18
	s_branch .LBB86_772
.LBB86_531:
	s_andn2_saveexec_b64 s[34:35], s[34:35]
	s_cbranch_execz .LBB86_193
.LBB86_532:
	v_add_f32_e32 v2, 0x42800000, v3
	v_and_b32_e32 v2, 0xff, v2
	v_cmp_ne_u32_e32 vcc, 0, v2
	s_andn2_b64 s[28:29], s[28:29], exec
	s_and_b64 s[38:39], vcc, exec
	s_or_b64 s[28:29], s[28:29], s[38:39]
	s_or_b64 exec, exec, s[34:35]
	v_mov_b32_e32 v4, 0
	s_and_saveexec_b64 s[34:35], s[28:29]
	s_cbranch_execnz .LBB86_194
	s_branch .LBB86_195
.LBB86_533:
	s_mov_b64 s[30:31], -1
                                        ; implicit-def: $vgpr4_vgpr5
	s_mov_b64 s[2:3], 0
.LBB86_534:
	s_and_b64 vcc, exec, s[4:5]
	s_cbranch_vccz .LBB86_538
; %bb.535:
	s_cmp_eq_u32 s39, 44
	s_cbranch_scc0 .LBB86_537
; %bb.536:
	global_load_ubyte v6, v[2:3], off
	s_movk_i32 s4, 0xff
	v_bfrev_b32_e32 v7, 4
	v_mov_b32_e32 v8, 0x7ff80000
	v_bfrev_b32_e32 v9, 28
	s_mov_b64 s[2:3], -1
	s_mov_b64 s[30:31], 0
	s_waitcnt vmcnt(0)
	v_lshlrev_b32_e32 v4, 23, v6
	v_cvt_f64_f32_e32 v[4:5], v4
	v_cmp_ne_u32_e32 vcc, s4, v6
	v_cndmask_b32_e32 v4, v7, v4, vcc
	v_cndmask_b32_e32 v5, v8, v5, vcc
	v_cmp_ne_u32_e32 vcc, 0, v6
	v_cndmask_b32_e32 v5, v9, v5, vcc
	v_cndmask_b32_e32 v4, 0, v4, vcc
	s_branch .LBB86_538
.LBB86_537:
	s_mov_b64 s[30:31], -1
                                        ; implicit-def: $vgpr4_vgpr5
.LBB86_538:
	s_mov_b64 s[4:5], 0
.LBB86_539:
	s_and_b64 vcc, exec, s[4:5]
	s_cbranch_vccz .LBB86_543
; %bb.540:
	s_cmp_eq_u32 s39, 29
	s_cbranch_scc0 .LBB86_542
; %bb.541:
	global_load_dwordx2 v[4:5], v[2:3], off
	s_mov_b64 s[2:3], -1
	s_mov_b64 s[30:31], 0
	s_mov_b64 s[4:5], 0
	s_waitcnt vmcnt(0)
	v_cvt_f64_u32_e32 v[5:6], v5
	v_cvt_f64_u32_e32 v[7:8], v4
	v_ldexp_f64 v[5:6], v[5:6], 32
	v_add_f64 v[4:5], v[5:6], v[7:8]
	s_branch .LBB86_544
.LBB86_542:
	s_mov_b64 s[30:31], -1
                                        ; implicit-def: $vgpr4_vgpr5
.LBB86_543:
	s_mov_b64 s[4:5], 0
.LBB86_544:
	s_and_b64 vcc, exec, s[4:5]
	s_cbranch_vccz .LBB86_564
; %bb.545:
	s_cmp_lt_i32 s39, 27
	s_cbranch_scc1 .LBB86_548
; %bb.546:
	s_cmp_gt_i32 s39, 27
	s_cbranch_scc0 .LBB86_549
; %bb.547:
	global_load_dword v4, v[2:3], off
	s_mov_b64 s[2:3], 0
	s_waitcnt vmcnt(0)
	v_cvt_f64_u32_e32 v[4:5], v4
	s_branch .LBB86_550
.LBB86_548:
	s_mov_b64 s[2:3], -1
                                        ; implicit-def: $vgpr4_vgpr5
	s_branch .LBB86_553
.LBB86_549:
	s_mov_b64 s[2:3], -1
                                        ; implicit-def: $vgpr4_vgpr5
.LBB86_550:
	s_andn2_b64 vcc, exec, s[2:3]
	s_cbranch_vccnz .LBB86_552
; %bb.551:
	global_load_ushort v4, v[2:3], off
	s_waitcnt vmcnt(0)
	v_cvt_f64_u32_e32 v[4:5], v4
.LBB86_552:
	s_mov_b64 s[2:3], 0
.LBB86_553:
	s_andn2_b64 vcc, exec, s[2:3]
	s_cbranch_vccnz .LBB86_563
; %bb.554:
	global_load_ubyte v6, v[2:3], off
	s_movk_i32 s2, 0x7f
	s_waitcnt vmcnt(0)
	v_cmp_lt_i16_e32 vcc, s2, v6
	s_mov_b64 s[2:3], 0
	s_and_saveexec_b64 s[4:5], vcc
	s_xor_b64 s[4:5], exec, s[4:5]
	s_cbranch_execz .LBB86_558
; %bb.555:
	s_movk_i32 s2, 0x80
	v_cmp_eq_u16_e32 vcc, s2, v6
	s_mov_b64 s[2:3], -1
	s_and_saveexec_b64 s[34:35], vcc
; %bb.556:
	s_xor_b64 s[2:3], exec, -1
; %bb.557:
	s_or_b64 exec, exec, s[34:35]
	s_and_b64 s[2:3], s[2:3], exec
.LBB86_558:
	s_or_saveexec_b64 s[4:5], s[4:5]
	v_bfrev_b32_e32 v4, 4
	v_mov_b32_e32 v5, 0x7ff80000
	s_xor_b64 exec, exec, s[4:5]
; %bb.559:
	v_cmp_ne_u16_e32 vcc, 0, v6
	v_mov_b32_e32 v4, 0
	s_andn2_b64 s[2:3], s[2:3], exec
	s_and_b64 s[34:35], vcc, exec
	v_mov_b32_e32 v5, 0
	s_or_b64 s[2:3], s[2:3], s[34:35]
; %bb.560:
	s_or_b64 exec, exec, s[4:5]
	s_and_saveexec_b64 s[4:5], s[2:3]
	s_cbranch_execz .LBB86_562
; %bb.561:
	v_and_b32_e32 v5, 0xffff, v6
	v_lshlrev_b32_e32 v4, 24, v6
	v_and_b32_e32 v6, 7, v5
	v_ffbh_u32_e32 v8, v6
	v_min_u32_e32 v8, 32, v8
	v_subrev_u32_e32 v9, 28, v8
	v_bfe_u32 v7, v5, 3, 4
	v_lshlrev_b32_e32 v5, v9, v5
	v_sub_u32_e32 v8, 29, v8
	v_and_b32_e32 v5, 7, v5
	v_cmp_eq_u32_e32 vcc, 0, v7
	v_cndmask_b32_e32 v7, v7, v8, vcc
	v_cndmask_b32_e32 v5, v6, v5, vcc
	v_mov_b32_e32 v6, 0x3b800000
	v_lshlrev_b32_e32 v5, 20, v5
	v_and_b32_e32 v4, 0x80000000, v4
	v_lshl_add_u32 v6, v7, 23, v6
	v_or3_b32 v4, v4, v6, v5
	v_cvt_f64_f32_e32 v[4:5], v4
.LBB86_562:
	s_or_b64 exec, exec, s[4:5]
.LBB86_563:
	s_mov_b64 s[2:3], -1
.LBB86_564:
	s_mov_b64 s[4:5], 0
.LBB86_565:
	s_and_b64 vcc, exec, s[4:5]
	s_cbranch_vccz .LBB86_598
; %bb.566:
	s_cmp_gt_i32 s39, 22
	s_cbranch_scc0 .LBB86_578
; %bb.567:
	s_cmp_lt_i32 s39, 24
	s_cbranch_scc1 .LBB86_579
; %bb.568:
	s_cmp_gt_i32 s39, 24
	s_cbranch_scc0 .LBB86_580
; %bb.569:
	global_load_ubyte v6, v[2:3], off
	s_movk_i32 s2, 0x7f
	s_waitcnt vmcnt(0)
	v_cmp_lt_i16_e32 vcc, s2, v6
	s_mov_b64 s[2:3], 0
	s_and_saveexec_b64 s[4:5], vcc
	s_xor_b64 s[4:5], exec, s[4:5]
	s_cbranch_execz .LBB86_573
; %bb.570:
	s_movk_i32 s2, 0x80
	v_cmp_eq_u16_e32 vcc, s2, v6
	s_mov_b64 s[2:3], -1
	s_and_saveexec_b64 s[34:35], vcc
; %bb.571:
	s_xor_b64 s[2:3], exec, -1
; %bb.572:
	s_or_b64 exec, exec, s[34:35]
	s_and_b64 s[2:3], s[2:3], exec
.LBB86_573:
	s_or_saveexec_b64 s[4:5], s[4:5]
	v_bfrev_b32_e32 v4, 4
	v_mov_b32_e32 v5, 0x7ff80000
	s_xor_b64 exec, exec, s[4:5]
; %bb.574:
	v_cmp_ne_u16_e32 vcc, 0, v6
	v_mov_b32_e32 v4, 0
	s_andn2_b64 s[2:3], s[2:3], exec
	s_and_b64 s[34:35], vcc, exec
	v_mov_b32_e32 v5, 0
	s_or_b64 s[2:3], s[2:3], s[34:35]
; %bb.575:
	s_or_b64 exec, exec, s[4:5]
	s_and_saveexec_b64 s[4:5], s[2:3]
	s_cbranch_execz .LBB86_577
; %bb.576:
	v_and_b32_e32 v5, 0xffff, v6
	v_lshlrev_b32_e32 v4, 24, v6
	v_and_b32_e32 v6, 3, v5
	v_ffbh_u32_e32 v8, v6
	v_min_u32_e32 v8, 32, v8
	v_subrev_u32_e32 v9, 29, v8
	v_bfe_u32 v7, v5, 2, 5
	v_lshlrev_b32_e32 v5, v9, v5
	v_sub_u32_e32 v8, 30, v8
	v_and_b32_e32 v5, 3, v5
	v_cmp_eq_u32_e32 vcc, 0, v7
	v_cndmask_b32_e32 v7, v7, v8, vcc
	v_cndmask_b32_e32 v5, v6, v5, vcc
	v_mov_b32_e32 v6, 0x37800000
	v_lshlrev_b32_e32 v5, 21, v5
	v_and_b32_e32 v4, 0x80000000, v4
	v_lshl_add_u32 v6, v7, 23, v6
	v_or3_b32 v4, v4, v6, v5
	v_cvt_f64_f32_e32 v[4:5], v4
.LBB86_577:
	s_or_b64 exec, exec, s[4:5]
	s_mov_b64 s[2:3], 0
	s_branch .LBB86_581
.LBB86_578:
	s_mov_b64 s[4:5], -1
                                        ; implicit-def: $vgpr4_vgpr5
	s_branch .LBB86_587
.LBB86_579:
	s_mov_b64 s[2:3], -1
                                        ; implicit-def: $vgpr4_vgpr5
	s_branch .LBB86_584
.LBB86_580:
	s_mov_b64 s[2:3], -1
                                        ; implicit-def: $vgpr4_vgpr5
.LBB86_581:
	s_and_b64 vcc, exec, s[2:3]
	s_cbranch_vccz .LBB86_583
; %bb.582:
	global_load_ubyte v4, v[2:3], off
	s_mov_b32 s2, 0x7f800000
	s_waitcnt vmcnt(0)
	v_lshlrev_b32_e32 v4, 24, v4
	v_and_b32_e32 v5, 0x7f000000, v4
	v_ffbh_u32_e32 v6, v5
	v_min_u32_e32 v6, 32, v6
	v_sub_u32_e64 v6, v6, 4 clamp
	v_lshlrev_b32_e32 v8, v6, v5
	v_lshlrev_b32_e32 v6, 23, v6
	v_lshrrev_b32_e32 v8, 4, v8
	v_add_u32_e32 v7, 0x1000000, v5
	v_sub_u32_e32 v6, v8, v6
	v_ashrrev_i32_e32 v7, 8, v7
	v_add_u32_e32 v6, 0x3c000000, v6
	v_and_or_b32 v6, v7, s2, v6
	v_cmp_ne_u32_e32 vcc, 0, v5
	v_cndmask_b32_e32 v5, 0, v6, vcc
	s_brev_b32 s2, 1
	v_and_or_b32 v4, v4, s2, v5
	v_cvt_f64_f32_e32 v[4:5], v4
.LBB86_583:
	s_mov_b64 s[2:3], 0
.LBB86_584:
	s_andn2_b64 vcc, exec, s[2:3]
	s_cbranch_vccnz .LBB86_586
; %bb.585:
	global_load_ubyte v4, v[2:3], off
	s_movk_i32 s2, 0x7f00
	s_brev_b32 s3, 16
	s_waitcnt vmcnt(0)
	v_lshlrev_b16_e32 v5, 8, v4
	v_lshlrev_b32_e32 v4, 25, v4
	v_lshrrev_b32_e32 v6, 4, v4
	v_and_or_b32 v7, v5, s2, 0.5
	v_or_b32_e32 v6, 0x70000000, v6
	v_add_f32_e32 v7, -0.5, v7
	v_mul_f32_e32 v6, 0x7800000, v6
	v_cmp_gt_u32_e32 vcc, s3, v4
	v_bfe_i32 v5, v5, 0, 16
	v_cndmask_b32_e32 v4, v6, v7, vcc
	s_brev_b32 s2, 1
	v_and_or_b32 v4, v5, s2, v4
	v_cvt_f64_f32_e32 v[4:5], v4
.LBB86_586:
	s_mov_b64 s[4:5], 0
	s_mov_b64 s[2:3], -1
.LBB86_587:
	s_andn2_b64 vcc, exec, s[4:5]
	s_cbranch_vccnz .LBB86_598
; %bb.588:
	s_cmp_gt_i32 s39, 14
	s_cbranch_scc0 .LBB86_591
; %bb.589:
	s_cmp_eq_u32 s39, 15
	s_cbranch_scc0 .LBB86_592
; %bb.590:
	global_load_ushort v4, v[2:3], off
	s_mov_b64 s[2:3], -1
	s_mov_b64 s[30:31], 0
	s_waitcnt vmcnt(0)
	v_lshlrev_b32_e32 v4, 16, v4
	v_cvt_f64_f32_e32 v[4:5], v4
	s_branch .LBB86_593
.LBB86_591:
	s_mov_b64 s[4:5], -1
                                        ; implicit-def: $vgpr4_vgpr5
	s_branch .LBB86_594
.LBB86_592:
	s_mov_b64 s[30:31], -1
                                        ; implicit-def: $vgpr4_vgpr5
.LBB86_593:
	s_mov_b64 s[4:5], 0
.LBB86_594:
	s_and_b64 vcc, exec, s[4:5]
	s_cbranch_vccz .LBB86_598
; %bb.595:
	s_cmp_eq_u32 s39, 11
	s_cbranch_scc0 .LBB86_597
; %bb.596:
	global_load_ubyte v5, v[2:3], off
	v_mov_b32_e32 v6, 0x3ff00000
	v_mov_b32_e32 v4, 0
	s_mov_b64 s[2:3], -1
	s_mov_b64 s[30:31], 0
	s_waitcnt vmcnt(0)
	v_cmp_ne_u16_e32 vcc, 0, v5
	v_cndmask_b32_e32 v5, 0, v6, vcc
	s_branch .LBB86_598
.LBB86_597:
	s_mov_b64 s[30:31], -1
                                        ; implicit-def: $vgpr4_vgpr5
.LBB86_598:
	s_mov_b64 s[4:5], 0
.LBB86_599:
	s_and_b64 vcc, exec, s[4:5]
	s_cbranch_vccz .LBB86_648
; %bb.600:
	s_and_b32 s4, 0xffff, s38
	s_cmp_lt_i32 s4, 5
	s_cbranch_scc1 .LBB86_605
; %bb.601:
	s_cmp_lt_i32 s4, 8
	s_cbranch_scc1 .LBB86_606
; %bb.602:
	;; [unrolled: 3-line block ×3, first 2 shown]
	s_cmp_gt_i32 s4, 9
	s_cbranch_scc0 .LBB86_608
; %bb.604:
	global_load_dwordx2 v[4:5], v[2:3], off
	s_mov_b64 s[2:3], 0
	s_branch .LBB86_609
.LBB86_605:
	s_mov_b64 s[2:3], -1
                                        ; implicit-def: $vgpr4_vgpr5
	s_branch .LBB86_627
.LBB86_606:
	s_mov_b64 s[2:3], -1
                                        ; implicit-def: $vgpr4_vgpr5
	s_branch .LBB86_615
.LBB86_607:
	s_mov_b64 s[2:3], -1
                                        ; implicit-def: $vgpr4_vgpr5
	s_branch .LBB86_612
.LBB86_608:
	s_mov_b64 s[2:3], -1
                                        ; implicit-def: $vgpr4_vgpr5
.LBB86_609:
	s_andn2_b64 vcc, exec, s[2:3]
	s_cbranch_vccnz .LBB86_611
; %bb.610:
	global_load_dword v4, v[2:3], off
	s_waitcnt vmcnt(0)
	v_cvt_f64_f32_e32 v[4:5], v4
.LBB86_611:
	s_mov_b64 s[2:3], 0
.LBB86_612:
	s_andn2_b64 vcc, exec, s[2:3]
	s_cbranch_vccnz .LBB86_614
; %bb.613:
	global_load_dword v4, v[2:3], off
	s_waitcnt vmcnt(0)
	v_cvt_f32_f16_e32 v4, v4
	v_cvt_f64_f32_e32 v[4:5], v4
.LBB86_614:
	s_mov_b64 s[2:3], 0
.LBB86_615:
	s_andn2_b64 vcc, exec, s[2:3]
	s_cbranch_vccnz .LBB86_626
; %bb.616:
	s_cmp_lt_i32 s4, 6
	s_cbranch_scc1 .LBB86_619
; %bb.617:
	s_cmp_gt_i32 s4, 6
	s_cbranch_scc0 .LBB86_620
; %bb.618:
	global_load_dwordx2 v[4:5], v[2:3], off
	s_mov_b64 s[2:3], 0
	s_branch .LBB86_621
.LBB86_619:
	s_mov_b64 s[2:3], -1
                                        ; implicit-def: $vgpr4_vgpr5
	s_branch .LBB86_624
.LBB86_620:
	s_mov_b64 s[2:3], -1
                                        ; implicit-def: $vgpr4_vgpr5
.LBB86_621:
	s_andn2_b64 vcc, exec, s[2:3]
	s_cbranch_vccnz .LBB86_623
; %bb.622:
	global_load_dword v4, v[2:3], off
	s_waitcnt vmcnt(0)
	v_cvt_f64_f32_e32 v[4:5], v4
.LBB86_623:
	s_mov_b64 s[2:3], 0
.LBB86_624:
	s_andn2_b64 vcc, exec, s[2:3]
	s_cbranch_vccnz .LBB86_626
; %bb.625:
	global_load_ushort v4, v[2:3], off
	s_waitcnt vmcnt(0)
	v_cvt_f32_f16_e32 v4, v4
	v_cvt_f64_f32_e32 v[4:5], v4
.LBB86_626:
	s_mov_b64 s[2:3], 0
.LBB86_627:
	s_andn2_b64 vcc, exec, s[2:3]
	s_cbranch_vccnz .LBB86_647
; %bb.628:
	s_cmp_lt_i32 s4, 2
	s_cbranch_scc1 .LBB86_632
; %bb.629:
	s_cmp_lt_i32 s4, 3
	s_cbranch_scc1 .LBB86_633
; %bb.630:
	s_cmp_gt_i32 s4, 3
	s_cbranch_scc0 .LBB86_634
; %bb.631:
	global_load_dwordx2 v[4:5], v[2:3], off
	s_mov_b64 s[2:3], 0
	s_waitcnt vmcnt(0)
	v_cvt_f64_i32_e32 v[5:6], v5
	v_cvt_f64_u32_e32 v[7:8], v4
	v_ldexp_f64 v[5:6], v[5:6], 32
	v_add_f64 v[4:5], v[5:6], v[7:8]
	s_branch .LBB86_635
.LBB86_632:
	s_mov_b64 s[2:3], -1
                                        ; implicit-def: $vgpr4_vgpr5
	s_branch .LBB86_641
.LBB86_633:
	s_mov_b64 s[2:3], -1
                                        ; implicit-def: $vgpr4_vgpr5
	s_branch .LBB86_638
.LBB86_634:
	s_mov_b64 s[2:3], -1
                                        ; implicit-def: $vgpr4_vgpr5
.LBB86_635:
	s_andn2_b64 vcc, exec, s[2:3]
	s_cbranch_vccnz .LBB86_637
; %bb.636:
	global_load_dword v4, v[2:3], off
	s_waitcnt vmcnt(0)
	v_cvt_f64_i32_e32 v[4:5], v4
.LBB86_637:
	s_mov_b64 s[2:3], 0
.LBB86_638:
	s_andn2_b64 vcc, exec, s[2:3]
	s_cbranch_vccnz .LBB86_640
; %bb.639:
	global_load_sshort v4, v[2:3], off
	s_waitcnt vmcnt(0)
	v_cvt_f64_i32_e32 v[4:5], v4
.LBB86_640:
	s_mov_b64 s[2:3], 0
.LBB86_641:
	s_andn2_b64 vcc, exec, s[2:3]
	s_cbranch_vccnz .LBB86_647
; %bb.642:
	s_cmp_gt_i32 s4, 0
	s_cbranch_scc0 .LBB86_644
; %bb.643:
	global_load_sbyte v4, v[2:3], off
	s_mov_b64 s[2:3], 0
	s_waitcnt vmcnt(0)
	v_cvt_f64_i32_e32 v[4:5], v4
	s_branch .LBB86_645
.LBB86_644:
	s_mov_b64 s[2:3], -1
                                        ; implicit-def: $vgpr4_vgpr5
.LBB86_645:
	s_andn2_b64 vcc, exec, s[2:3]
	s_cbranch_vccnz .LBB86_647
; %bb.646:
	global_load_ubyte v2, v[2:3], off
	s_waitcnt vmcnt(0)
	v_cvt_f64_u32_e32 v[4:5], v2
.LBB86_647:
	s_mov_b64 s[2:3], -1
.LBB86_648:
	s_andn2_b64 vcc, exec, s[2:3]
	s_cbranch_vccnz .LBB86_656
; %bb.649:
	s_waitcnt vmcnt(0)
	v_cmp_eq_f64_e32 vcc, v[0:1], v[4:5]
	v_mov_b32_e32 v3, s9
	s_and_b32 s42, s33, 0xff
	s_cmp_lt_i32 s42, 11
	v_cndmask_b32_e64 v2, 0, 1, vcc
	v_cmp_neq_f64_e32 vcc, v[0:1], v[4:5]
	v_mul_lo_u32 v1, v18, s12
	v_cndmask_b32_e64 v0, 0, 1, vcc
	v_cndmask_b32_e64 v0, v0, v2, s[0:1]
	v_and_b32_e32 v0, 1, v0
	v_cmp_eq_u32_e64 s[2:3], 1, v0
	v_ashrrev_i32_e32 v2, 31, v1
	v_add_co_u32_e32 v0, vcc, s8, v1
	v_addc_co_u32_e32 v1, vcc, v3, v2, vcc
	s_cbranch_scc1 .LBB86_657
; %bb.650:
	s_and_b32 s43, 0xffff, s42
	s_cmp_gt_i32 s43, 25
	s_cbranch_scc0 .LBB86_658
; %bb.651:
	s_cmp_gt_i32 s43, 28
	s_cbranch_scc0 .LBB86_659
; %bb.652:
	;; [unrolled: 3-line block ×4, first 2 shown]
	s_mov_b64 s[38:39], 0
	s_mov_b64 s[4:5], -1
	s_cmp_eq_u32 s43, 46
	s_mov_b64 s[34:35], 0
	s_cbranch_scc0 .LBB86_662
; %bb.655:
	v_cndmask_b32_e64 v2, 0, 1.0, s[2:3]
	v_bfe_u32 v3, v2, 16, 1
	s_movk_i32 s4, 0x7fff
	v_add3_u32 v2, v2, v3, s4
	v_lshrrev_b32_e32 v2, 16, v2
	global_store_dword v[0:1], v2, off
	s_mov_b64 s[34:35], -1
	s_mov_b64 s[4:5], 0
	s_branch .LBB86_662
.LBB86_656:
	s_mov_b64 s[2:3], 0
                                        ; implicit-def: $vgpr18
	s_mov_b64 s[4:5], s[20:21]
	s_branch .LBB86_772
.LBB86_657:
	s_mov_b64 s[38:39], -1
	s_mov_b64 s[34:35], 0
	s_mov_b64 s[4:5], s[20:21]
	s_branch .LBB86_731
.LBB86_658:
	s_mov_b64 s[38:39], -1
	s_mov_b64 s[34:35], 0
	s_mov_b64 s[4:5], s[20:21]
	s_branch .LBB86_689
.LBB86_659:
	s_mov_b64 s[38:39], -1
	s_mov_b64 s[34:35], 0
	s_mov_b64 s[4:5], s[20:21]
	s_branch .LBB86_672
.LBB86_660:
	s_mov_b64 s[38:39], -1
	s_mov_b64 s[34:35], 0
	s_mov_b64 s[4:5], s[20:21]
	s_branch .LBB86_668
.LBB86_661:
	s_mov_b64 s[38:39], -1
	s_mov_b64 s[34:35], 0
	s_mov_b64 s[4:5], s[20:21]
.LBB86_662:
	s_and_b64 vcc, exec, s[38:39]
	s_cbranch_vccz .LBB86_667
; %bb.663:
	s_cmp_eq_u32 s43, 44
	s_mov_b64 s[4:5], -1
	s_cbranch_scc0 .LBB86_667
; %bb.664:
	v_cndmask_b32_e64 v3, 0, 1.0, s[2:3]
	v_lshrrev_b32_e32 v2, 23, v3
	s_movk_i32 s4, 0xff
	v_cmp_ne_u32_e32 vcc, s4, v2
	v_mov_b32_e32 v4, 0xff
	s_and_saveexec_b64 s[34:35], vcc
; %bb.665:
	s_mov_b32 s4, 0x3fffff
	v_and_b32_e32 v4, 0x400000, v3
	v_and_or_b32 v3, v3, s4, v2
	v_cmp_ne_u32_e32 vcc, 0, v4
	v_cmp_ne_u32_e64 s[4:5], 0, v3
	s_and_b64 s[4:5], vcc, s[4:5]
	v_cndmask_b32_e64 v3, 0, 1, s[4:5]
	v_add_u32_e32 v4, v2, v3
; %bb.666:
	s_or_b64 exec, exec, s[34:35]
	s_mov_b64 s[34:35], -1
	s_mov_b64 s[4:5], 0
	global_store_byte v[0:1], v4, off
.LBB86_667:
	s_mov_b64 s[38:39], 0
.LBB86_668:
	s_and_b64 vcc, exec, s[38:39]
	s_cbranch_vccz .LBB86_671
; %bb.669:
	s_cmp_eq_u32 s43, 29
	s_mov_b64 s[4:5], -1
	s_cbranch_scc0 .LBB86_671
; %bb.670:
	s_mov_b32 s4, 0
	v_cndmask_b32_e64 v2, 0, 1, s[2:3]
	v_mov_b32_e32 v3, s4
	global_store_dwordx2 v[0:1], v[2:3], off
	s_mov_b64 s[34:35], -1
	s_mov_b64 s[4:5], 0
.LBB86_671:
	s_mov_b64 s[38:39], 0
.LBB86_672:
	s_and_b64 vcc, exec, s[38:39]
	s_cbranch_vccz .LBB86_688
; %bb.673:
	s_cmp_lt_i32 s43, 27
	s_mov_b64 s[34:35], -1
	s_cbranch_scc1 .LBB86_679
; %bb.674:
	s_cmp_gt_i32 s43, 27
	s_cbranch_scc0 .LBB86_676
; %bb.675:
	v_cndmask_b32_e64 v2, 0, 1, s[2:3]
	s_mov_b64 s[34:35], 0
	global_store_dword v[0:1], v2, off
.LBB86_676:
	s_andn2_b64 vcc, exec, s[34:35]
	s_cbranch_vccnz .LBB86_678
; %bb.677:
	v_cndmask_b32_e64 v2, 0, 1, s[2:3]
	global_store_short v[0:1], v2, off
.LBB86_678:
	s_mov_b64 s[34:35], 0
.LBB86_679:
	s_andn2_b64 vcc, exec, s[34:35]
	s_cbranch_vccnz .LBB86_687
; %bb.680:
	v_cndmask_b32_e64 v3, 0, 1.0, s[2:3]
	s_mov_b32 s34, 0x43800000
	v_cmp_gt_u32_e32 vcc, s34, v3
	v_mov_b32_e32 v4, 0x80
	s_and_saveexec_b64 s[34:35], vcc
	s_cbranch_execz .LBB86_686
; %bb.681:
	s_mov_b32 s38, 0x3bffffff
	v_cmp_lt_u32_e32 vcc, s38, v3
	s_mov_b64 s[38:39], 0
                                        ; implicit-def: $vgpr2
	s_and_saveexec_b64 s[40:41], vcc
	s_xor_b64 s[40:41], exec, s[40:41]
	s_cbranch_execz .LBB86_788
; %bb.682:
	v_bfe_u32 v2, v3, 20, 1
	s_mov_b32 s44, 0x487ffff
	v_add3_u32 v2, v3, v2, s44
	s_mov_b64 s[38:39], exec
	v_lshrrev_b32_e32 v2, 20, v2
                                        ; implicit-def: $vgpr3
	s_andn2_saveexec_b64 s[40:41], s[40:41]
	s_cbranch_execnz .LBB86_789
.LBB86_683:
	s_or_b64 exec, exec, s[40:41]
	v_mov_b32_e32 v4, 0
	s_and_saveexec_b64 s[40:41], s[38:39]
.LBB86_684:
	v_mov_b32_e32 v4, v2
.LBB86_685:
	s_or_b64 exec, exec, s[40:41]
.LBB86_686:
	s_or_b64 exec, exec, s[34:35]
	global_store_byte v[0:1], v4, off
.LBB86_687:
	s_mov_b64 s[34:35], -1
.LBB86_688:
	s_mov_b64 s[38:39], 0
.LBB86_689:
	s_and_b64 vcc, exec, s[38:39]
	s_cbranch_vccz .LBB86_730
; %bb.690:
	s_cmp_gt_i32 s43, 22
	s_mov_b64 s[38:39], -1
	s_cbranch_scc0 .LBB86_722
; %bb.691:
	s_cmp_lt_i32 s43, 24
	s_mov_b64 s[34:35], -1
	s_cbranch_scc1 .LBB86_711
; %bb.692:
	s_cmp_gt_i32 s43, 24
	s_cbranch_scc0 .LBB86_700
; %bb.693:
	v_cndmask_b32_e64 v3, 0, 1.0, s[2:3]
	s_mov_b32 s34, 0x47800000
	v_cmp_gt_u32_e32 vcc, s34, v3
	v_mov_b32_e32 v4, 0x80
	s_and_saveexec_b64 s[34:35], vcc
	s_cbranch_execz .LBB86_699
; %bb.694:
	s_mov_b32 s38, 0x37ffffff
	v_cmp_lt_u32_e32 vcc, s38, v3
	s_mov_b64 s[38:39], 0
                                        ; implicit-def: $vgpr2
	s_and_saveexec_b64 s[40:41], vcc
	s_xor_b64 s[40:41], exec, s[40:41]
	s_cbranch_execz .LBB86_920
; %bb.695:
	v_bfe_u32 v2, v3, 21, 1
	s_mov_b32 s44, 0x88fffff
	v_add3_u32 v2, v3, v2, s44
	s_mov_b64 s[38:39], exec
	v_lshrrev_b32_e32 v2, 21, v2
                                        ; implicit-def: $vgpr3
	s_andn2_saveexec_b64 s[40:41], s[40:41]
	s_cbranch_execnz .LBB86_921
.LBB86_696:
	s_or_b64 exec, exec, s[40:41]
	v_mov_b32_e32 v4, 0
	s_and_saveexec_b64 s[40:41], s[38:39]
.LBB86_697:
	v_mov_b32_e32 v4, v2
.LBB86_698:
	s_or_b64 exec, exec, s[40:41]
.LBB86_699:
	s_or_b64 exec, exec, s[34:35]
	s_mov_b64 s[34:35], 0
	global_store_byte v[0:1], v4, off
.LBB86_700:
	s_and_b64 vcc, exec, s[34:35]
	s_cbranch_vccz .LBB86_710
; %bb.701:
	v_cndmask_b32_e64 v2, 0, 1.0, s[2:3]
	s_mov_b32 s34, 0x43f00000
	v_cmp_gt_u32_e32 vcc, s34, v2
                                        ; implicit-def: $vgpr3
	s_and_saveexec_b64 s[34:35], vcc
	s_xor_b64 s[34:35], exec, s[34:35]
	s_cbranch_execz .LBB86_707
; %bb.702:
	s_mov_b32 s38, 0x3c7fffff
	v_cmp_lt_u32_e32 vcc, s38, v2
                                        ; implicit-def: $vgpr3
	s_and_saveexec_b64 s[38:39], vcc
	s_xor_b64 s[38:39], exec, s[38:39]
; %bb.703:
	v_bfe_u32 v3, v2, 20, 1
	s_mov_b32 s40, 0x407ffff
	v_add3_u32 v2, v2, v3, s40
	v_lshrrev_b32_e32 v3, 20, v2
	v_and_b32_e32 v2, 0xff00000, v2
	s_mov_b32 s40, 0x7f00000
	v_mov_b32_e32 v4, 0x7e
	v_cmp_ne_u32_e32 vcc, s40, v2
	v_cndmask_b32_e32 v3, v4, v3, vcc
                                        ; implicit-def: $vgpr2
; %bb.704:
	s_andn2_saveexec_b64 s[38:39], s[38:39]
; %bb.705:
	v_add_f32_e32 v3, 0x46800000, v2
; %bb.706:
	s_or_b64 exec, exec, s[38:39]
                                        ; implicit-def: $vgpr2
.LBB86_707:
	s_andn2_saveexec_b64 s[34:35], s[34:35]
; %bb.708:
	s_mov_b32 s38, 0x7f800000
	v_mov_b32_e32 v3, 0x7e
	v_mov_b32_e32 v4, 0x7f
	v_cmp_lt_u32_e32 vcc, s38, v2
	v_cndmask_b32_e32 v3, v3, v4, vcc
; %bb.709:
	s_or_b64 exec, exec, s[34:35]
	global_store_byte v[0:1], v3, off
.LBB86_710:
	s_mov_b64 s[34:35], 0
.LBB86_711:
	s_andn2_b64 vcc, exec, s[34:35]
	s_cbranch_vccnz .LBB86_721
; %bb.712:
	v_cndmask_b32_e64 v2, 0, 1.0, s[2:3]
	s_mov_b32 s34, 0x47800000
	v_cmp_gt_u32_e32 vcc, s34, v2
                                        ; implicit-def: $vgpr3
	s_and_saveexec_b64 s[34:35], vcc
	s_xor_b64 s[34:35], exec, s[34:35]
	s_cbranch_execz .LBB86_718
; %bb.713:
	s_mov_b32 s38, 0x387fffff
	v_cmp_lt_u32_e32 vcc, s38, v2
                                        ; implicit-def: $vgpr3
	s_and_saveexec_b64 s[38:39], vcc
	s_xor_b64 s[38:39], exec, s[38:39]
; %bb.714:
	v_bfe_u32 v3, v2, 21, 1
	s_mov_b32 s40, 0x80fffff
	v_add3_u32 v2, v2, v3, s40
	v_lshrrev_b32_e32 v3, 21, v2
                                        ; implicit-def: $vgpr2
; %bb.715:
	s_andn2_saveexec_b64 s[38:39], s[38:39]
; %bb.716:
	v_add_f32_e32 v3, 0x43000000, v2
; %bb.717:
	s_or_b64 exec, exec, s[38:39]
                                        ; implicit-def: $vgpr2
.LBB86_718:
	s_andn2_saveexec_b64 s[34:35], s[34:35]
; %bb.719:
	s_mov_b32 s38, 0x7f800000
	v_mov_b32_e32 v3, 0x7c
	v_mov_b32_e32 v4, 0x7f
	v_cmp_lt_u32_e32 vcc, s38, v2
	v_cndmask_b32_e32 v3, v3, v4, vcc
; %bb.720:
	s_or_b64 exec, exec, s[34:35]
	global_store_byte v[0:1], v3, off
.LBB86_721:
	s_mov_b64 s[38:39], 0
	s_mov_b64 s[34:35], -1
.LBB86_722:
	s_andn2_b64 vcc, exec, s[38:39]
	s_cbranch_vccnz .LBB86_730
; %bb.723:
	s_cmp_gt_i32 s43, 14
	s_mov_b64 s[38:39], -1
	s_cbranch_scc0 .LBB86_727
; %bb.724:
	s_cmp_eq_u32 s43, 15
	s_mov_b64 s[4:5], -1
	s_cbranch_scc0 .LBB86_726
; %bb.725:
	v_cndmask_b32_e64 v2, 0, 1.0, s[2:3]
	v_bfe_u32 v3, v2, 16, 1
	s_movk_i32 s4, 0x7fff
	v_add3_u32 v2, v2, v3, s4
	global_store_short_d16_hi v[0:1], v2, off
	s_mov_b64 s[34:35], -1
	s_mov_b64 s[4:5], 0
.LBB86_726:
	s_mov_b64 s[38:39], 0
.LBB86_727:
	s_and_b64 vcc, exec, s[38:39]
	s_cbranch_vccz .LBB86_730
; %bb.728:
	s_cmp_eq_u32 s43, 11
	s_mov_b64 s[4:5], -1
	s_cbranch_scc0 .LBB86_730
; %bb.729:
	v_cndmask_b32_e64 v2, 0, 1, s[2:3]
	s_mov_b64 s[34:35], -1
	s_mov_b64 s[4:5], 0
	global_store_byte v[0:1], v2, off
.LBB86_730:
	s_mov_b64 s[38:39], 0
.LBB86_731:
	s_and_b64 vcc, exec, s[38:39]
	s_cbranch_vccz .LBB86_770
; %bb.732:
	s_and_b32 s38, 0xffff, s42
	s_cmp_lt_i32 s38, 5
	s_mov_b64 s[34:35], -1
	s_cbranch_scc1 .LBB86_753
; %bb.733:
	s_cmp_lt_i32 s38, 8
	s_cbranch_scc1 .LBB86_743
; %bb.734:
	s_cmp_lt_i32 s38, 9
	s_cbranch_scc1 .LBB86_740
; %bb.735:
	s_cmp_gt_i32 s38, 9
	s_cbranch_scc0 .LBB86_737
; %bb.736:
	v_cndmask_b32_e64 v2, 0, 1, s[2:3]
	v_cvt_f64_u32_e32 v[2:3], v2
	v_mov_b32_e32 v4, 0
	v_mov_b32_e32 v5, v4
	s_mov_b64 s[34:35], 0
	global_store_dwordx4 v[0:1], v[2:5], off
.LBB86_737:
	s_andn2_b64 vcc, exec, s[34:35]
	s_cbranch_vccnz .LBB86_739
; %bb.738:
	v_cndmask_b32_e64 v2, 0, 1.0, s[2:3]
	v_mov_b32_e32 v3, 0
	global_store_dwordx2 v[0:1], v[2:3], off
.LBB86_739:
	s_mov_b64 s[34:35], 0
.LBB86_740:
	s_andn2_b64 vcc, exec, s[34:35]
	s_cbranch_vccnz .LBB86_742
; %bb.741:
	v_cndmask_b32_e64 v2, 0, 1.0, s[2:3]
	v_cvt_f16_f32_e32 v2, v2
	global_store_dword v[0:1], v2, off
.LBB86_742:
	s_mov_b64 s[34:35], 0
.LBB86_743:
	s_andn2_b64 vcc, exec, s[34:35]
	s_cbranch_vccnz .LBB86_752
; %bb.744:
	s_cmp_lt_i32 s38, 6
	s_mov_b64 s[34:35], -1
	s_cbranch_scc1 .LBB86_750
; %bb.745:
	s_cmp_gt_i32 s38, 6
	s_cbranch_scc0 .LBB86_747
; %bb.746:
	v_cndmask_b32_e64 v2, 0, 1, s[2:3]
	v_cvt_f64_u32_e32 v[2:3], v2
	s_mov_b64 s[34:35], 0
	global_store_dwordx2 v[0:1], v[2:3], off
.LBB86_747:
	s_andn2_b64 vcc, exec, s[34:35]
	s_cbranch_vccnz .LBB86_749
; %bb.748:
	v_cndmask_b32_e64 v2, 0, 1.0, s[2:3]
	global_store_dword v[0:1], v2, off
.LBB86_749:
	s_mov_b64 s[34:35], 0
.LBB86_750:
	s_andn2_b64 vcc, exec, s[34:35]
	s_cbranch_vccnz .LBB86_752
; %bb.751:
	v_cndmask_b32_e64 v2, 0, 1.0, s[2:3]
	v_cvt_f16_f32_e32 v2, v2
	global_store_short v[0:1], v2, off
.LBB86_752:
	s_mov_b64 s[34:35], 0
.LBB86_753:
	s_andn2_b64 vcc, exec, s[34:35]
	s_cbranch_vccnz .LBB86_769
; %bb.754:
	s_cmp_lt_i32 s38, 2
	s_mov_b64 s[34:35], -1
	s_cbranch_scc1 .LBB86_764
; %bb.755:
	s_cmp_lt_i32 s38, 3
	s_cbranch_scc1 .LBB86_761
; %bb.756:
	s_cmp_gt_i32 s38, 3
	s_cbranch_scc0 .LBB86_758
; %bb.757:
	s_mov_b32 s34, 0
	v_cndmask_b32_e64 v2, 0, 1, s[2:3]
	v_mov_b32_e32 v3, s34
	s_mov_b64 s[34:35], 0
	global_store_dwordx2 v[0:1], v[2:3], off
.LBB86_758:
	s_andn2_b64 vcc, exec, s[34:35]
	s_cbranch_vccnz .LBB86_760
; %bb.759:
	v_cndmask_b32_e64 v2, 0, 1, s[2:3]
	global_store_dword v[0:1], v2, off
.LBB86_760:
	s_mov_b64 s[34:35], 0
.LBB86_761:
	s_andn2_b64 vcc, exec, s[34:35]
	s_cbranch_vccnz .LBB86_763
; %bb.762:
	v_cndmask_b32_e64 v2, 0, 1, s[2:3]
	global_store_short v[0:1], v2, off
.LBB86_763:
	s_mov_b64 s[34:35], 0
.LBB86_764:
	s_andn2_b64 vcc, exec, s[34:35]
	s_cbranch_vccnz .LBB86_769
; %bb.765:
	s_mov_b64 s[34:35], -1
	s_cmp_gt_i32 s38, 0
	v_cndmask_b32_e64 v2, 0, 1, s[2:3]
	s_cbranch_scc0 .LBB86_767
; %bb.766:
	s_mov_b64 s[34:35], 0
	global_store_byte v[0:1], v2, off
.LBB86_767:
	s_andn2_b64 vcc, exec, s[34:35]
	s_cbranch_vccnz .LBB86_769
; %bb.768:
	global_store_byte v[0:1], v2, off
.LBB86_769:
	s_mov_b64 s[34:35], -1
.LBB86_770:
	s_andn2_b64 vcc, exec, s[34:35]
	s_cbranch_vccnz .LBB86_783
; %bb.771:
	v_add_u32_e32 v18, 0x80, v18
	s_mov_b64 s[2:3], -1
.LBB86_772:
	s_andn2_b64 s[34:35], s[20:21], exec
	s_and_b64 s[4:5], s[4:5], exec
	s_or_b64 s[34:35], s[34:35], s[4:5]
	s_andn2_b64 s[4:5], s[22:23], exec
	s_and_b64 s[30:31], s[30:31], exec
	s_or_b64 s[30:31], s[4:5], s[30:31]
	;; [unrolled: 3-line block ×3, first 2 shown]
	s_orn2_b64 s[2:3], s[2:3], exec
.LBB86_773:
	s_or_b64 exec, exec, s[36:37]
	s_mov_b64 s[4:5], 0
	s_mov_b64 s[38:39], 0
	;; [unrolled: 1-line block ×3, first 2 shown]
                                        ; implicit-def: $sgpr58
                                        ; implicit-def: $vgpr2_vgpr3
                                        ; implicit-def: $vgpr0_vgpr1
	s_and_saveexec_b64 s[36:37], s[2:3]
	s_cbranch_execz .LBB86_1247
; %bb.774:
	v_cmp_gt_i32_e32 vcc, s50, v18
	s_mov_b64 s[48:49], -1
	s_mov_b64 s[2:3], s[28:29]
	s_mov_b64 s[4:5], s[30:31]
	;; [unrolled: 1-line block ×3, first 2 shown]
	s_and_saveexec_b64 s[38:39], vcc
	s_cbranch_execz .LBB86_1162
; %bb.775:
	s_waitcnt vmcnt(0)
	v_mul_lo_u32 v0, v18, s13
	v_mov_b32_e32 v1, s11
	s_and_b32 s44, s57, 0xff
	s_cmp_lt_i32 s44, 11
	v_ashrrev_i32_e32 v3, 31, v0
	v_add_co_u32_e32 v2, vcc, s10, v0
	v_addc_co_u32_e32 v3, vcc, v1, v3, vcc
	s_cbranch_scc1 .LBB86_782
; %bb.776:
	s_and_b32 s45, 0xffff, s44
	s_cmp_gt_i32 s45, 25
	s_cbranch_scc0 .LBB86_784
; %bb.777:
	s_cmp_gt_i32 s45, 28
	s_cbranch_scc0 .LBB86_785
; %bb.778:
	;; [unrolled: 3-line block ×4, first 2 shown]
	s_cmp_eq_u32 s45, 46
	s_mov_b64 s[4:5], 0
	s_cbranch_scc0 .LBB86_790
; %bb.781:
	global_load_dword v0, v[2:3], off
	s_mov_b64 s[2:3], -1
	s_waitcnt vmcnt(0)
	v_lshlrev_b32_e32 v0, 16, v0
	v_cvt_f64_f32_e32 v[0:1], v0
	s_branch .LBB86_791
.LBB86_782:
	s_mov_b64 s[4:5], -1
	s_mov_b64 s[2:3], 0
                                        ; implicit-def: $vgpr0_vgpr1
	s_mov_b64 s[40:41], s[28:29]
	s_branch .LBB86_856
.LBB86_783:
	s_mov_b64 s[2:3], 0
	s_branch .LBB86_530
.LBB86_784:
	s_mov_b64 s[4:5], -1
	s_mov_b64 s[2:3], 0
	s_mov_b64 s[40:41], s[28:29]
                                        ; implicit-def: $vgpr0_vgpr1
	s_branch .LBB86_822
.LBB86_785:
	s_mov_b64 s[4:5], -1
	s_mov_b64 s[2:3], 0
	s_mov_b64 s[40:41], s[28:29]
                                        ; implicit-def: $vgpr0_vgpr1
	s_branch .LBB86_801
.LBB86_786:
	s_mov_b64 s[4:5], -1
	s_mov_b64 s[2:3], 0
	s_mov_b64 s[40:41], s[28:29]
                                        ; implicit-def: $vgpr0_vgpr1
	s_branch .LBB86_796
.LBB86_787:
	s_mov_b64 s[4:5], -1
	s_mov_b64 s[2:3], 0
	s_mov_b64 s[40:41], s[28:29]
                                        ; implicit-def: $vgpr0_vgpr1
	s_branch .LBB86_791
.LBB86_788:
	s_andn2_saveexec_b64 s[40:41], s[40:41]
	s_cbranch_execz .LBB86_683
.LBB86_789:
	v_add_f32_e32 v2, 0x46000000, v3
	v_and_b32_e32 v2, 0xff, v2
	v_cmp_ne_u32_e32 vcc, 0, v2
	s_andn2_b64 s[38:39], s[38:39], exec
	s_and_b64 s[44:45], vcc, exec
	s_or_b64 s[38:39], s[38:39], s[44:45]
	s_or_b64 exec, exec, s[40:41]
	v_mov_b32_e32 v4, 0
	s_and_saveexec_b64 s[40:41], s[38:39]
	s_cbranch_execnz .LBB86_684
	s_branch .LBB86_685
.LBB86_790:
	s_mov_b64 s[40:41], -1
                                        ; implicit-def: $vgpr0_vgpr1
	s_mov_b64 s[2:3], 0
.LBB86_791:
	s_and_b64 vcc, exec, s[4:5]
	s_cbranch_vccz .LBB86_795
; %bb.792:
	s_cmp_eq_u32 s45, 44
	s_cbranch_scc0 .LBB86_794
; %bb.793:
	global_load_ubyte v4, v[2:3], off
	s_movk_i32 s4, 0xff
	v_bfrev_b32_e32 v5, 4
	v_mov_b32_e32 v6, 0x7ff80000
	v_bfrev_b32_e32 v7, 28
	s_mov_b64 s[2:3], -1
	s_mov_b64 s[40:41], 0
	s_waitcnt vmcnt(0)
	v_lshlrev_b32_e32 v0, 23, v4
	v_cvt_f64_f32_e32 v[0:1], v0
	v_cmp_ne_u32_e32 vcc, s4, v4
	v_cndmask_b32_e32 v0, v5, v0, vcc
	v_cndmask_b32_e32 v1, v6, v1, vcc
	v_cmp_ne_u32_e32 vcc, 0, v4
	v_cndmask_b32_e32 v1, v7, v1, vcc
	v_cndmask_b32_e32 v0, 0, v0, vcc
	s_branch .LBB86_795
.LBB86_794:
	s_mov_b64 s[40:41], -1
                                        ; implicit-def: $vgpr0_vgpr1
.LBB86_795:
	s_mov_b64 s[4:5], 0
.LBB86_796:
	s_and_b64 vcc, exec, s[4:5]
	s_cbranch_vccz .LBB86_800
; %bb.797:
	s_cmp_eq_u32 s45, 29
	s_cbranch_scc0 .LBB86_799
; %bb.798:
	global_load_dwordx2 v[0:1], v[2:3], off
	s_mov_b64 s[2:3], -1
	s_mov_b64 s[40:41], 0
	s_mov_b64 s[4:5], 0
	s_waitcnt vmcnt(0)
	v_cvt_f64_u32_e32 v[4:5], v1
	v_cvt_f64_u32_e32 v[0:1], v0
	v_ldexp_f64 v[4:5], v[4:5], 32
	v_add_f64 v[0:1], v[4:5], v[0:1]
	s_branch .LBB86_801
.LBB86_799:
	s_mov_b64 s[40:41], -1
                                        ; implicit-def: $vgpr0_vgpr1
.LBB86_800:
	s_mov_b64 s[4:5], 0
.LBB86_801:
	s_and_b64 vcc, exec, s[4:5]
	s_cbranch_vccz .LBB86_821
; %bb.802:
	s_cmp_lt_i32 s45, 27
	s_cbranch_scc1 .LBB86_805
; %bb.803:
	s_cmp_gt_i32 s45, 27
	s_cbranch_scc0 .LBB86_806
; %bb.804:
	global_load_dword v0, v[2:3], off
	s_mov_b64 s[2:3], 0
	s_waitcnt vmcnt(0)
	v_cvt_f64_u32_e32 v[0:1], v0
	s_branch .LBB86_807
.LBB86_805:
	s_mov_b64 s[2:3], -1
                                        ; implicit-def: $vgpr0_vgpr1
	s_branch .LBB86_810
.LBB86_806:
	s_mov_b64 s[2:3], -1
                                        ; implicit-def: $vgpr0_vgpr1
.LBB86_807:
	s_andn2_b64 vcc, exec, s[2:3]
	s_cbranch_vccnz .LBB86_809
; %bb.808:
	global_load_ushort v0, v[2:3], off
	s_waitcnt vmcnt(0)
	v_cvt_f64_u32_e32 v[0:1], v0
.LBB86_809:
	s_mov_b64 s[2:3], 0
.LBB86_810:
	s_andn2_b64 vcc, exec, s[2:3]
	s_cbranch_vccnz .LBB86_820
; %bb.811:
	global_load_ubyte v4, v[2:3], off
	s_movk_i32 s2, 0x7f
	s_waitcnt vmcnt(0)
	v_cmp_lt_i16_e32 vcc, s2, v4
	s_mov_b64 s[2:3], 0
	s_and_saveexec_b64 s[4:5], vcc
	s_xor_b64 s[4:5], exec, s[4:5]
	s_cbranch_execz .LBB86_815
; %bb.812:
	s_movk_i32 s2, 0x80
	v_cmp_eq_u16_e32 vcc, s2, v4
	s_mov_b64 s[2:3], -1
	s_and_saveexec_b64 s[42:43], vcc
; %bb.813:
	s_xor_b64 s[2:3], exec, -1
; %bb.814:
	s_or_b64 exec, exec, s[42:43]
	s_and_b64 s[2:3], s[2:3], exec
.LBB86_815:
	s_or_saveexec_b64 s[4:5], s[4:5]
	v_bfrev_b32_e32 v0, 4
	v_mov_b32_e32 v1, 0x7ff80000
	s_xor_b64 exec, exec, s[4:5]
; %bb.816:
	v_cmp_ne_u16_e32 vcc, 0, v4
	v_mov_b32_e32 v0, 0
	s_andn2_b64 s[2:3], s[2:3], exec
	s_and_b64 s[42:43], vcc, exec
	v_mov_b32_e32 v1, 0
	s_or_b64 s[2:3], s[2:3], s[42:43]
; %bb.817:
	s_or_b64 exec, exec, s[4:5]
	s_and_saveexec_b64 s[4:5], s[2:3]
	s_cbranch_execz .LBB86_819
; %bb.818:
	v_and_b32_e32 v1, 0xffff, v4
	v_lshlrev_b32_e32 v0, 24, v4
	v_and_b32_e32 v4, 7, v1
	v_ffbh_u32_e32 v6, v4
	v_min_u32_e32 v6, 32, v6
	v_subrev_u32_e32 v7, 28, v6
	v_bfe_u32 v5, v1, 3, 4
	v_lshlrev_b32_e32 v1, v7, v1
	v_sub_u32_e32 v6, 29, v6
	v_and_b32_e32 v1, 7, v1
	v_cmp_eq_u32_e32 vcc, 0, v5
	v_cndmask_b32_e32 v5, v5, v6, vcc
	v_cndmask_b32_e32 v1, v4, v1, vcc
	v_mov_b32_e32 v4, 0x3b800000
	v_lshlrev_b32_e32 v1, 20, v1
	v_and_b32_e32 v0, 0x80000000, v0
	v_lshl_add_u32 v4, v5, 23, v4
	v_or3_b32 v0, v0, v4, v1
	v_cvt_f64_f32_e32 v[0:1], v0
.LBB86_819:
	s_or_b64 exec, exec, s[4:5]
.LBB86_820:
	s_mov_b64 s[2:3], -1
.LBB86_821:
	s_mov_b64 s[4:5], 0
.LBB86_822:
	s_and_b64 vcc, exec, s[4:5]
	s_cbranch_vccz .LBB86_855
; %bb.823:
	s_cmp_gt_i32 s45, 22
	s_cbranch_scc0 .LBB86_835
; %bb.824:
	s_cmp_lt_i32 s45, 24
	s_cbranch_scc1 .LBB86_836
; %bb.825:
	s_cmp_gt_i32 s45, 24
	s_cbranch_scc0 .LBB86_837
; %bb.826:
	global_load_ubyte v4, v[2:3], off
	s_movk_i32 s2, 0x7f
	s_waitcnt vmcnt(0)
	v_cmp_lt_i16_e32 vcc, s2, v4
	s_mov_b64 s[2:3], 0
	s_and_saveexec_b64 s[4:5], vcc
	s_xor_b64 s[4:5], exec, s[4:5]
	s_cbranch_execz .LBB86_830
; %bb.827:
	s_movk_i32 s2, 0x80
	v_cmp_eq_u16_e32 vcc, s2, v4
	s_mov_b64 s[2:3], -1
	s_and_saveexec_b64 s[42:43], vcc
; %bb.828:
	s_xor_b64 s[2:3], exec, -1
; %bb.829:
	s_or_b64 exec, exec, s[42:43]
	s_and_b64 s[2:3], s[2:3], exec
.LBB86_830:
	s_or_saveexec_b64 s[4:5], s[4:5]
	v_bfrev_b32_e32 v0, 4
	v_mov_b32_e32 v1, 0x7ff80000
	s_xor_b64 exec, exec, s[4:5]
; %bb.831:
	v_cmp_ne_u16_e32 vcc, 0, v4
	v_mov_b32_e32 v0, 0
	s_andn2_b64 s[2:3], s[2:3], exec
	s_and_b64 s[42:43], vcc, exec
	v_mov_b32_e32 v1, 0
	s_or_b64 s[2:3], s[2:3], s[42:43]
; %bb.832:
	s_or_b64 exec, exec, s[4:5]
	s_and_saveexec_b64 s[4:5], s[2:3]
	s_cbranch_execz .LBB86_834
; %bb.833:
	v_and_b32_e32 v1, 0xffff, v4
	v_lshlrev_b32_e32 v0, 24, v4
	v_and_b32_e32 v4, 3, v1
	v_ffbh_u32_e32 v6, v4
	v_min_u32_e32 v6, 32, v6
	v_subrev_u32_e32 v7, 29, v6
	v_bfe_u32 v5, v1, 2, 5
	v_lshlrev_b32_e32 v1, v7, v1
	v_sub_u32_e32 v6, 30, v6
	v_and_b32_e32 v1, 3, v1
	v_cmp_eq_u32_e32 vcc, 0, v5
	v_cndmask_b32_e32 v5, v5, v6, vcc
	v_cndmask_b32_e32 v1, v4, v1, vcc
	v_mov_b32_e32 v4, 0x37800000
	v_lshlrev_b32_e32 v1, 21, v1
	v_and_b32_e32 v0, 0x80000000, v0
	v_lshl_add_u32 v4, v5, 23, v4
	v_or3_b32 v0, v0, v4, v1
	v_cvt_f64_f32_e32 v[0:1], v0
.LBB86_834:
	s_or_b64 exec, exec, s[4:5]
	s_mov_b64 s[2:3], 0
	s_branch .LBB86_838
.LBB86_835:
	s_mov_b64 s[4:5], -1
                                        ; implicit-def: $vgpr0_vgpr1
	s_branch .LBB86_844
.LBB86_836:
	s_mov_b64 s[2:3], -1
                                        ; implicit-def: $vgpr0_vgpr1
	s_branch .LBB86_841
.LBB86_837:
	s_mov_b64 s[2:3], -1
                                        ; implicit-def: $vgpr0_vgpr1
.LBB86_838:
	s_and_b64 vcc, exec, s[2:3]
	s_cbranch_vccz .LBB86_840
; %bb.839:
	global_load_ubyte v0, v[2:3], off
	s_mov_b32 s2, 0x7f800000
	s_waitcnt vmcnt(0)
	v_lshlrev_b32_e32 v0, 24, v0
	v_and_b32_e32 v1, 0x7f000000, v0
	v_ffbh_u32_e32 v4, v1
	v_min_u32_e32 v4, 32, v4
	v_sub_u32_e64 v4, v4, 4 clamp
	v_lshlrev_b32_e32 v6, v4, v1
	v_lshlrev_b32_e32 v4, 23, v4
	v_lshrrev_b32_e32 v6, 4, v6
	v_add_u32_e32 v5, 0x1000000, v1
	v_sub_u32_e32 v4, v6, v4
	v_ashrrev_i32_e32 v5, 8, v5
	v_add_u32_e32 v4, 0x3c000000, v4
	v_and_or_b32 v4, v5, s2, v4
	v_cmp_ne_u32_e32 vcc, 0, v1
	v_cndmask_b32_e32 v1, 0, v4, vcc
	s_brev_b32 s2, 1
	v_and_or_b32 v0, v0, s2, v1
	v_cvt_f64_f32_e32 v[0:1], v0
.LBB86_840:
	s_mov_b64 s[2:3], 0
.LBB86_841:
	s_andn2_b64 vcc, exec, s[2:3]
	s_cbranch_vccnz .LBB86_843
; %bb.842:
	global_load_ubyte v0, v[2:3], off
	s_movk_i32 s2, 0x7f00
	s_brev_b32 s3, 16
	s_waitcnt vmcnt(0)
	v_lshlrev_b16_e32 v1, 8, v0
	v_lshlrev_b32_e32 v0, 25, v0
	v_lshrrev_b32_e32 v4, 4, v0
	v_and_or_b32 v5, v1, s2, 0.5
	v_or_b32_e32 v4, 0x70000000, v4
	v_add_f32_e32 v5, -0.5, v5
	v_mul_f32_e32 v4, 0x7800000, v4
	v_cmp_gt_u32_e32 vcc, s3, v0
	v_bfe_i32 v1, v1, 0, 16
	v_cndmask_b32_e32 v0, v4, v5, vcc
	s_brev_b32 s2, 1
	v_and_or_b32 v0, v1, s2, v0
	v_cvt_f64_f32_e32 v[0:1], v0
.LBB86_843:
	s_mov_b64 s[4:5], 0
	s_mov_b64 s[2:3], -1
.LBB86_844:
	s_andn2_b64 vcc, exec, s[4:5]
	s_cbranch_vccnz .LBB86_855
; %bb.845:
	s_cmp_gt_i32 s45, 14
	s_cbranch_scc0 .LBB86_848
; %bb.846:
	s_cmp_eq_u32 s45, 15
	s_cbranch_scc0 .LBB86_849
; %bb.847:
	global_load_ushort v0, v[2:3], off
	s_mov_b64 s[2:3], -1
	s_mov_b64 s[40:41], 0
	s_waitcnt vmcnt(0)
	v_lshlrev_b32_e32 v0, 16, v0
	v_cvt_f64_f32_e32 v[0:1], v0
	s_branch .LBB86_850
.LBB86_848:
	s_mov_b64 s[4:5], -1
                                        ; implicit-def: $vgpr0_vgpr1
	s_branch .LBB86_851
.LBB86_849:
	s_mov_b64 s[40:41], -1
                                        ; implicit-def: $vgpr0_vgpr1
.LBB86_850:
	s_mov_b64 s[4:5], 0
.LBB86_851:
	s_and_b64 vcc, exec, s[4:5]
	s_cbranch_vccz .LBB86_855
; %bb.852:
	s_cmp_eq_u32 s45, 11
	s_cbranch_scc0 .LBB86_854
; %bb.853:
	global_load_ubyte v1, v[2:3], off
	v_mov_b32_e32 v4, 0x3ff00000
	v_mov_b32_e32 v0, 0
	s_mov_b64 s[2:3], -1
	s_mov_b64 s[40:41], 0
	s_waitcnt vmcnt(0)
	v_cmp_ne_u16_e32 vcc, 0, v1
	v_cndmask_b32_e32 v1, 0, v4, vcc
	s_branch .LBB86_855
.LBB86_854:
	s_mov_b64 s[40:41], -1
                                        ; implicit-def: $vgpr0_vgpr1
.LBB86_855:
	s_mov_b64 s[4:5], 0
.LBB86_856:
	s_and_b64 vcc, exec, s[4:5]
	s_cbranch_vccz .LBB86_905
; %bb.857:
	s_and_b32 s4, 0xffff, s44
	s_cmp_lt_i32 s4, 5
	s_cbranch_scc1 .LBB86_862
; %bb.858:
	s_cmp_lt_i32 s4, 8
	s_cbranch_scc1 .LBB86_863
; %bb.859:
	;; [unrolled: 3-line block ×3, first 2 shown]
	s_cmp_gt_i32 s4, 9
	s_cbranch_scc0 .LBB86_865
; %bb.861:
	global_load_dwordx2 v[0:1], v[2:3], off
	s_mov_b64 s[2:3], 0
	s_branch .LBB86_866
.LBB86_862:
	s_mov_b64 s[2:3], -1
                                        ; implicit-def: $vgpr0_vgpr1
	s_branch .LBB86_884
.LBB86_863:
	s_mov_b64 s[2:3], -1
                                        ; implicit-def: $vgpr0_vgpr1
	s_branch .LBB86_872
.LBB86_864:
	s_mov_b64 s[2:3], -1
                                        ; implicit-def: $vgpr0_vgpr1
	s_branch .LBB86_869
.LBB86_865:
	s_mov_b64 s[2:3], -1
                                        ; implicit-def: $vgpr0_vgpr1
.LBB86_866:
	s_andn2_b64 vcc, exec, s[2:3]
	s_cbranch_vccnz .LBB86_868
; %bb.867:
	global_load_dword v0, v[2:3], off
	s_waitcnt vmcnt(0)
	v_cvt_f64_f32_e32 v[0:1], v0
.LBB86_868:
	s_mov_b64 s[2:3], 0
.LBB86_869:
	s_andn2_b64 vcc, exec, s[2:3]
	s_cbranch_vccnz .LBB86_871
; %bb.870:
	global_load_dword v0, v[2:3], off
	s_waitcnt vmcnt(0)
	v_cvt_f32_f16_e32 v0, v0
	v_cvt_f64_f32_e32 v[0:1], v0
.LBB86_871:
	s_mov_b64 s[2:3], 0
.LBB86_872:
	s_andn2_b64 vcc, exec, s[2:3]
	s_cbranch_vccnz .LBB86_883
; %bb.873:
	s_cmp_lt_i32 s4, 6
	s_cbranch_scc1 .LBB86_876
; %bb.874:
	s_cmp_gt_i32 s4, 6
	s_cbranch_scc0 .LBB86_877
; %bb.875:
	global_load_dwordx2 v[0:1], v[2:3], off
	s_mov_b64 s[2:3], 0
	s_branch .LBB86_878
.LBB86_876:
	s_mov_b64 s[2:3], -1
                                        ; implicit-def: $vgpr0_vgpr1
	s_branch .LBB86_881
.LBB86_877:
	s_mov_b64 s[2:3], -1
                                        ; implicit-def: $vgpr0_vgpr1
.LBB86_878:
	s_andn2_b64 vcc, exec, s[2:3]
	s_cbranch_vccnz .LBB86_880
; %bb.879:
	global_load_dword v0, v[2:3], off
	s_waitcnt vmcnt(0)
	v_cvt_f64_f32_e32 v[0:1], v0
.LBB86_880:
	s_mov_b64 s[2:3], 0
.LBB86_881:
	s_andn2_b64 vcc, exec, s[2:3]
	s_cbranch_vccnz .LBB86_883
; %bb.882:
	global_load_ushort v0, v[2:3], off
	s_waitcnt vmcnt(0)
	v_cvt_f32_f16_e32 v0, v0
	v_cvt_f64_f32_e32 v[0:1], v0
.LBB86_883:
	s_mov_b64 s[2:3], 0
.LBB86_884:
	s_andn2_b64 vcc, exec, s[2:3]
	s_cbranch_vccnz .LBB86_904
; %bb.885:
	s_cmp_lt_i32 s4, 2
	s_cbranch_scc1 .LBB86_889
; %bb.886:
	s_cmp_lt_i32 s4, 3
	s_cbranch_scc1 .LBB86_890
; %bb.887:
	s_cmp_gt_i32 s4, 3
	s_cbranch_scc0 .LBB86_891
; %bb.888:
	global_load_dwordx2 v[0:1], v[2:3], off
	s_mov_b64 s[2:3], 0
	s_waitcnt vmcnt(0)
	v_cvt_f64_i32_e32 v[4:5], v1
	v_cvt_f64_u32_e32 v[0:1], v0
	v_ldexp_f64 v[4:5], v[4:5], 32
	v_add_f64 v[0:1], v[4:5], v[0:1]
	s_branch .LBB86_892
.LBB86_889:
	s_mov_b64 s[2:3], -1
                                        ; implicit-def: $vgpr0_vgpr1
	s_branch .LBB86_898
.LBB86_890:
	s_mov_b64 s[2:3], -1
                                        ; implicit-def: $vgpr0_vgpr1
	s_branch .LBB86_895
.LBB86_891:
	s_mov_b64 s[2:3], -1
                                        ; implicit-def: $vgpr0_vgpr1
.LBB86_892:
	s_andn2_b64 vcc, exec, s[2:3]
	s_cbranch_vccnz .LBB86_894
; %bb.893:
	global_load_dword v0, v[2:3], off
	s_waitcnt vmcnt(0)
	v_cvt_f64_i32_e32 v[0:1], v0
.LBB86_894:
	s_mov_b64 s[2:3], 0
.LBB86_895:
	s_andn2_b64 vcc, exec, s[2:3]
	s_cbranch_vccnz .LBB86_897
; %bb.896:
	global_load_sshort v0, v[2:3], off
	s_waitcnt vmcnt(0)
	v_cvt_f64_i32_e32 v[0:1], v0
.LBB86_897:
	s_mov_b64 s[2:3], 0
.LBB86_898:
	s_andn2_b64 vcc, exec, s[2:3]
	s_cbranch_vccnz .LBB86_904
; %bb.899:
	s_cmp_gt_i32 s4, 0
	s_cbranch_scc0 .LBB86_901
; %bb.900:
	global_load_sbyte v0, v[2:3], off
	s_mov_b64 s[2:3], 0
	s_waitcnt vmcnt(0)
	v_cvt_f64_i32_e32 v[0:1], v0
	s_branch .LBB86_902
.LBB86_901:
	s_mov_b64 s[2:3], -1
                                        ; implicit-def: $vgpr0_vgpr1
.LBB86_902:
	s_andn2_b64 vcc, exec, s[2:3]
	s_cbranch_vccnz .LBB86_904
; %bb.903:
	global_load_ubyte v0, v[2:3], off
	s_waitcnt vmcnt(0)
	v_cvt_f64_u32_e32 v[0:1], v0
.LBB86_904:
	s_mov_b64 s[2:3], -1
.LBB86_905:
	s_andn2_b64 vcc, exec, s[2:3]
	s_cbranch_vccnz .LBB86_913
; %bb.906:
	v_mul_lo_u32 v2, v18, s14
	v_mov_b32_e32 v3, s17
	s_and_b32 s46, s56, 0xff
	s_cmp_lt_i32 s46, 11
	v_ashrrev_i32_e32 v4, 31, v2
	v_add_co_u32_e32 v2, vcc, s16, v2
	v_addc_co_u32_e32 v3, vcc, v3, v4, vcc
	s_cbranch_scc1 .LBB86_915
; %bb.907:
	s_and_b32 s47, 0xffff, s46
	s_cmp_gt_i32 s47, 25
	s_cbranch_scc0 .LBB86_916
; %bb.908:
	s_cmp_gt_i32 s47, 28
	s_cbranch_scc0 .LBB86_917
; %bb.909:
	;; [unrolled: 3-line block ×4, first 2 shown]
	s_cmp_eq_u32 s47, 46
	s_mov_b64 s[4:5], 0
	s_cbranch_scc0 .LBB86_922
; %bb.912:
	global_load_dword v4, v[2:3], off
	s_mov_b64 s[2:3], -1
	s_mov_b64 s[42:43], 0
	s_waitcnt vmcnt(0)
	v_lshlrev_b32_e32 v4, 16, v4
	v_cvt_f64_f32_e32 v[4:5], v4
	s_branch .LBB86_923
.LBB86_913:
	s_mov_b64 s[46:47], 0
	s_mov_b64 s[4:5], s[34:35]
	;; [unrolled: 1-line block ×3, first 2 shown]
.LBB86_914:
                                        ; implicit-def: $vgpr18
	s_branch .LBB86_1161
.LBB86_915:
	s_mov_b64 s[4:5], -1
	s_mov_b64 s[2:3], 0
                                        ; implicit-def: $vgpr4_vgpr5
	s_mov_b64 s[42:43], s[30:31]
	s_branch .LBB86_988
.LBB86_916:
	s_mov_b64 s[4:5], -1
	s_mov_b64 s[2:3], 0
	s_mov_b64 s[42:43], s[30:31]
                                        ; implicit-def: $vgpr4_vgpr5
	s_branch .LBB86_954
.LBB86_917:
	s_mov_b64 s[4:5], -1
	s_mov_b64 s[2:3], 0
	s_mov_b64 s[42:43], s[30:31]
                                        ; implicit-def: $vgpr4_vgpr5
	s_branch .LBB86_933
.LBB86_918:
	s_mov_b64 s[4:5], -1
	s_mov_b64 s[2:3], 0
	s_mov_b64 s[42:43], s[30:31]
                                        ; implicit-def: $vgpr4_vgpr5
	s_branch .LBB86_928
.LBB86_919:
	s_mov_b64 s[4:5], -1
	s_mov_b64 s[2:3], 0
	s_mov_b64 s[42:43], s[30:31]
                                        ; implicit-def: $vgpr4_vgpr5
	s_branch .LBB86_923
.LBB86_920:
	s_andn2_saveexec_b64 s[40:41], s[40:41]
	s_cbranch_execz .LBB86_696
.LBB86_921:
	v_add_f32_e32 v2, 0x42800000, v3
	v_and_b32_e32 v2, 0xff, v2
	v_cmp_ne_u32_e32 vcc, 0, v2
	s_andn2_b64 s[38:39], s[38:39], exec
	s_and_b64 s[44:45], vcc, exec
	s_or_b64 s[38:39], s[38:39], s[44:45]
	s_or_b64 exec, exec, s[40:41]
	v_mov_b32_e32 v4, 0
	s_and_saveexec_b64 s[40:41], s[38:39]
	s_cbranch_execnz .LBB86_697
	s_branch .LBB86_698
.LBB86_922:
	s_mov_b64 s[42:43], -1
                                        ; implicit-def: $vgpr4_vgpr5
	s_mov_b64 s[2:3], 0
.LBB86_923:
	s_and_b64 vcc, exec, s[4:5]
	s_cbranch_vccz .LBB86_927
; %bb.924:
	s_cmp_eq_u32 s47, 44
	s_cbranch_scc0 .LBB86_926
; %bb.925:
	global_load_ubyte v6, v[2:3], off
	s_movk_i32 s4, 0xff
	v_bfrev_b32_e32 v7, 4
	v_mov_b32_e32 v8, 0x7ff80000
	v_bfrev_b32_e32 v9, 28
	s_mov_b64 s[2:3], -1
	s_mov_b64 s[42:43], 0
	s_waitcnt vmcnt(0)
	v_lshlrev_b32_e32 v4, 23, v6
	v_cvt_f64_f32_e32 v[4:5], v4
	v_cmp_ne_u32_e32 vcc, s4, v6
	v_cndmask_b32_e32 v4, v7, v4, vcc
	v_cndmask_b32_e32 v5, v8, v5, vcc
	v_cmp_ne_u32_e32 vcc, 0, v6
	v_cndmask_b32_e32 v5, v9, v5, vcc
	v_cndmask_b32_e32 v4, 0, v4, vcc
	s_branch .LBB86_927
.LBB86_926:
	s_mov_b64 s[42:43], -1
                                        ; implicit-def: $vgpr4_vgpr5
.LBB86_927:
	s_mov_b64 s[4:5], 0
.LBB86_928:
	s_and_b64 vcc, exec, s[4:5]
	s_cbranch_vccz .LBB86_932
; %bb.929:
	s_cmp_eq_u32 s47, 29
	s_cbranch_scc0 .LBB86_931
; %bb.930:
	global_load_dwordx2 v[4:5], v[2:3], off
	s_mov_b64 s[2:3], -1
	s_mov_b64 s[42:43], 0
	s_mov_b64 s[4:5], 0
	s_waitcnt vmcnt(0)
	v_cvt_f64_u32_e32 v[5:6], v5
	v_cvt_f64_u32_e32 v[7:8], v4
	v_ldexp_f64 v[5:6], v[5:6], 32
	v_add_f64 v[4:5], v[5:6], v[7:8]
	s_branch .LBB86_933
.LBB86_931:
	s_mov_b64 s[42:43], -1
                                        ; implicit-def: $vgpr4_vgpr5
.LBB86_932:
	s_mov_b64 s[4:5], 0
.LBB86_933:
	s_and_b64 vcc, exec, s[4:5]
	s_cbranch_vccz .LBB86_953
; %bb.934:
	s_cmp_lt_i32 s47, 27
	s_cbranch_scc1 .LBB86_937
; %bb.935:
	s_cmp_gt_i32 s47, 27
	s_cbranch_scc0 .LBB86_938
; %bb.936:
	global_load_dword v4, v[2:3], off
	s_mov_b64 s[2:3], 0
	s_waitcnt vmcnt(0)
	v_cvt_f64_u32_e32 v[4:5], v4
	s_branch .LBB86_939
.LBB86_937:
	s_mov_b64 s[2:3], -1
                                        ; implicit-def: $vgpr4_vgpr5
	s_branch .LBB86_942
.LBB86_938:
	s_mov_b64 s[2:3], -1
                                        ; implicit-def: $vgpr4_vgpr5
.LBB86_939:
	s_andn2_b64 vcc, exec, s[2:3]
	s_cbranch_vccnz .LBB86_941
; %bb.940:
	global_load_ushort v4, v[2:3], off
	s_waitcnt vmcnt(0)
	v_cvt_f64_u32_e32 v[4:5], v4
.LBB86_941:
	s_mov_b64 s[2:3], 0
.LBB86_942:
	s_andn2_b64 vcc, exec, s[2:3]
	s_cbranch_vccnz .LBB86_952
; %bb.943:
	global_load_ubyte v6, v[2:3], off
	s_movk_i32 s2, 0x7f
	s_waitcnt vmcnt(0)
	v_cmp_lt_i16_e32 vcc, s2, v6
	s_mov_b64 s[2:3], 0
	s_and_saveexec_b64 s[4:5], vcc
	s_xor_b64 s[4:5], exec, s[4:5]
	s_cbranch_execz .LBB86_947
; %bb.944:
	s_movk_i32 s2, 0x80
	v_cmp_eq_u16_e32 vcc, s2, v6
	s_mov_b64 s[2:3], -1
	s_and_saveexec_b64 s[44:45], vcc
; %bb.945:
	s_xor_b64 s[2:3], exec, -1
; %bb.946:
	s_or_b64 exec, exec, s[44:45]
	s_and_b64 s[2:3], s[2:3], exec
.LBB86_947:
	s_or_saveexec_b64 s[4:5], s[4:5]
	v_bfrev_b32_e32 v4, 4
	v_mov_b32_e32 v5, 0x7ff80000
	s_xor_b64 exec, exec, s[4:5]
; %bb.948:
	v_cmp_ne_u16_e32 vcc, 0, v6
	v_mov_b32_e32 v4, 0
	s_andn2_b64 s[2:3], s[2:3], exec
	s_and_b64 s[44:45], vcc, exec
	v_mov_b32_e32 v5, 0
	s_or_b64 s[2:3], s[2:3], s[44:45]
; %bb.949:
	s_or_b64 exec, exec, s[4:5]
	s_and_saveexec_b64 s[4:5], s[2:3]
	s_cbranch_execz .LBB86_951
; %bb.950:
	v_and_b32_e32 v5, 0xffff, v6
	v_lshlrev_b32_e32 v4, 24, v6
	v_and_b32_e32 v6, 7, v5
	v_ffbh_u32_e32 v8, v6
	v_min_u32_e32 v8, 32, v8
	v_subrev_u32_e32 v9, 28, v8
	v_bfe_u32 v7, v5, 3, 4
	v_lshlrev_b32_e32 v5, v9, v5
	v_sub_u32_e32 v8, 29, v8
	v_and_b32_e32 v5, 7, v5
	v_cmp_eq_u32_e32 vcc, 0, v7
	v_cndmask_b32_e32 v7, v7, v8, vcc
	v_cndmask_b32_e32 v5, v6, v5, vcc
	v_mov_b32_e32 v6, 0x3b800000
	v_lshlrev_b32_e32 v5, 20, v5
	v_and_b32_e32 v4, 0x80000000, v4
	v_lshl_add_u32 v6, v7, 23, v6
	v_or3_b32 v4, v4, v6, v5
	v_cvt_f64_f32_e32 v[4:5], v4
.LBB86_951:
	s_or_b64 exec, exec, s[4:5]
.LBB86_952:
	s_mov_b64 s[2:3], -1
.LBB86_953:
	s_mov_b64 s[4:5], 0
.LBB86_954:
	s_and_b64 vcc, exec, s[4:5]
	s_cbranch_vccz .LBB86_987
; %bb.955:
	s_cmp_gt_i32 s47, 22
	s_cbranch_scc0 .LBB86_967
; %bb.956:
	s_cmp_lt_i32 s47, 24
	s_cbranch_scc1 .LBB86_968
; %bb.957:
	s_cmp_gt_i32 s47, 24
	s_cbranch_scc0 .LBB86_969
; %bb.958:
	global_load_ubyte v6, v[2:3], off
	s_movk_i32 s2, 0x7f
	s_waitcnt vmcnt(0)
	v_cmp_lt_i16_e32 vcc, s2, v6
	s_mov_b64 s[2:3], 0
	s_and_saveexec_b64 s[4:5], vcc
	s_xor_b64 s[4:5], exec, s[4:5]
	s_cbranch_execz .LBB86_962
; %bb.959:
	s_movk_i32 s2, 0x80
	v_cmp_eq_u16_e32 vcc, s2, v6
	s_mov_b64 s[2:3], -1
	s_and_saveexec_b64 s[44:45], vcc
; %bb.960:
	s_xor_b64 s[2:3], exec, -1
; %bb.961:
	s_or_b64 exec, exec, s[44:45]
	s_and_b64 s[2:3], s[2:3], exec
.LBB86_962:
	s_or_saveexec_b64 s[4:5], s[4:5]
	v_bfrev_b32_e32 v4, 4
	v_mov_b32_e32 v5, 0x7ff80000
	s_xor_b64 exec, exec, s[4:5]
; %bb.963:
	v_cmp_ne_u16_e32 vcc, 0, v6
	v_mov_b32_e32 v4, 0
	s_andn2_b64 s[2:3], s[2:3], exec
	s_and_b64 s[44:45], vcc, exec
	v_mov_b32_e32 v5, 0
	s_or_b64 s[2:3], s[2:3], s[44:45]
; %bb.964:
	s_or_b64 exec, exec, s[4:5]
	s_and_saveexec_b64 s[4:5], s[2:3]
	s_cbranch_execz .LBB86_966
; %bb.965:
	v_and_b32_e32 v5, 0xffff, v6
	v_lshlrev_b32_e32 v4, 24, v6
	v_and_b32_e32 v6, 3, v5
	v_ffbh_u32_e32 v8, v6
	v_min_u32_e32 v8, 32, v8
	v_subrev_u32_e32 v9, 29, v8
	v_bfe_u32 v7, v5, 2, 5
	v_lshlrev_b32_e32 v5, v9, v5
	v_sub_u32_e32 v8, 30, v8
	v_and_b32_e32 v5, 3, v5
	v_cmp_eq_u32_e32 vcc, 0, v7
	v_cndmask_b32_e32 v7, v7, v8, vcc
	v_cndmask_b32_e32 v5, v6, v5, vcc
	v_mov_b32_e32 v6, 0x37800000
	v_lshlrev_b32_e32 v5, 21, v5
	v_and_b32_e32 v4, 0x80000000, v4
	v_lshl_add_u32 v6, v7, 23, v6
	v_or3_b32 v4, v4, v6, v5
	v_cvt_f64_f32_e32 v[4:5], v4
.LBB86_966:
	s_or_b64 exec, exec, s[4:5]
	s_mov_b64 s[2:3], 0
	s_branch .LBB86_970
.LBB86_967:
	s_mov_b64 s[4:5], -1
                                        ; implicit-def: $vgpr4_vgpr5
	s_branch .LBB86_976
.LBB86_968:
	s_mov_b64 s[2:3], -1
                                        ; implicit-def: $vgpr4_vgpr5
	s_branch .LBB86_973
.LBB86_969:
	s_mov_b64 s[2:3], -1
                                        ; implicit-def: $vgpr4_vgpr5
.LBB86_970:
	s_and_b64 vcc, exec, s[2:3]
	s_cbranch_vccz .LBB86_972
; %bb.971:
	global_load_ubyte v4, v[2:3], off
	s_mov_b32 s2, 0x7f800000
	s_waitcnt vmcnt(0)
	v_lshlrev_b32_e32 v4, 24, v4
	v_and_b32_e32 v5, 0x7f000000, v4
	v_ffbh_u32_e32 v6, v5
	v_min_u32_e32 v6, 32, v6
	v_sub_u32_e64 v6, v6, 4 clamp
	v_lshlrev_b32_e32 v8, v6, v5
	v_lshlrev_b32_e32 v6, 23, v6
	v_lshrrev_b32_e32 v8, 4, v8
	v_add_u32_e32 v7, 0x1000000, v5
	v_sub_u32_e32 v6, v8, v6
	v_ashrrev_i32_e32 v7, 8, v7
	v_add_u32_e32 v6, 0x3c000000, v6
	v_and_or_b32 v6, v7, s2, v6
	v_cmp_ne_u32_e32 vcc, 0, v5
	v_cndmask_b32_e32 v5, 0, v6, vcc
	s_brev_b32 s2, 1
	v_and_or_b32 v4, v4, s2, v5
	v_cvt_f64_f32_e32 v[4:5], v4
.LBB86_972:
	s_mov_b64 s[2:3], 0
.LBB86_973:
	s_andn2_b64 vcc, exec, s[2:3]
	s_cbranch_vccnz .LBB86_975
; %bb.974:
	global_load_ubyte v4, v[2:3], off
	s_movk_i32 s2, 0x7f00
	s_brev_b32 s3, 16
	s_waitcnt vmcnt(0)
	v_lshlrev_b16_e32 v5, 8, v4
	v_lshlrev_b32_e32 v4, 25, v4
	v_lshrrev_b32_e32 v6, 4, v4
	v_and_or_b32 v7, v5, s2, 0.5
	v_or_b32_e32 v6, 0x70000000, v6
	v_add_f32_e32 v7, -0.5, v7
	v_mul_f32_e32 v6, 0x7800000, v6
	v_cmp_gt_u32_e32 vcc, s3, v4
	v_bfe_i32 v5, v5, 0, 16
	v_cndmask_b32_e32 v4, v6, v7, vcc
	s_brev_b32 s2, 1
	v_and_or_b32 v4, v5, s2, v4
	v_cvt_f64_f32_e32 v[4:5], v4
.LBB86_975:
	s_mov_b64 s[4:5], 0
	s_mov_b64 s[2:3], -1
.LBB86_976:
	s_andn2_b64 vcc, exec, s[4:5]
	s_cbranch_vccnz .LBB86_987
; %bb.977:
	s_cmp_gt_i32 s47, 14
	s_cbranch_scc0 .LBB86_980
; %bb.978:
	s_cmp_eq_u32 s47, 15
	s_cbranch_scc0 .LBB86_981
; %bb.979:
	global_load_ushort v4, v[2:3], off
	s_mov_b64 s[2:3], -1
	s_mov_b64 s[42:43], 0
	s_waitcnt vmcnt(0)
	v_lshlrev_b32_e32 v4, 16, v4
	v_cvt_f64_f32_e32 v[4:5], v4
	s_branch .LBB86_982
.LBB86_980:
	s_mov_b64 s[4:5], -1
                                        ; implicit-def: $vgpr4_vgpr5
	s_branch .LBB86_983
.LBB86_981:
	s_mov_b64 s[42:43], -1
                                        ; implicit-def: $vgpr4_vgpr5
.LBB86_982:
	s_mov_b64 s[4:5], 0
.LBB86_983:
	s_and_b64 vcc, exec, s[4:5]
	s_cbranch_vccz .LBB86_987
; %bb.984:
	s_cmp_eq_u32 s47, 11
	s_cbranch_scc0 .LBB86_986
; %bb.985:
	global_load_ubyte v5, v[2:3], off
	v_mov_b32_e32 v6, 0x3ff00000
	v_mov_b32_e32 v4, 0
	s_mov_b64 s[2:3], -1
	s_mov_b64 s[42:43], 0
	s_waitcnt vmcnt(0)
	v_cmp_ne_u16_e32 vcc, 0, v5
	v_cndmask_b32_e32 v5, 0, v6, vcc
	s_branch .LBB86_987
.LBB86_986:
	s_mov_b64 s[42:43], -1
                                        ; implicit-def: $vgpr4_vgpr5
.LBB86_987:
	s_mov_b64 s[4:5], 0
.LBB86_988:
	s_and_b64 vcc, exec, s[4:5]
	s_cbranch_vccz .LBB86_1037
; %bb.989:
	s_and_b32 s4, 0xffff, s46
	s_cmp_lt_i32 s4, 5
	s_cbranch_scc1 .LBB86_994
; %bb.990:
	s_cmp_lt_i32 s4, 8
	s_cbranch_scc1 .LBB86_995
; %bb.991:
	;; [unrolled: 3-line block ×3, first 2 shown]
	s_cmp_gt_i32 s4, 9
	s_cbranch_scc0 .LBB86_997
; %bb.993:
	global_load_dwordx2 v[4:5], v[2:3], off
	s_mov_b64 s[2:3], 0
	s_branch .LBB86_998
.LBB86_994:
	s_mov_b64 s[2:3], -1
                                        ; implicit-def: $vgpr4_vgpr5
	s_branch .LBB86_1016
.LBB86_995:
	s_mov_b64 s[2:3], -1
                                        ; implicit-def: $vgpr4_vgpr5
	s_branch .LBB86_1004
.LBB86_996:
	s_mov_b64 s[2:3], -1
                                        ; implicit-def: $vgpr4_vgpr5
	s_branch .LBB86_1001
.LBB86_997:
	s_mov_b64 s[2:3], -1
                                        ; implicit-def: $vgpr4_vgpr5
.LBB86_998:
	s_andn2_b64 vcc, exec, s[2:3]
	s_cbranch_vccnz .LBB86_1000
; %bb.999:
	global_load_dword v4, v[2:3], off
	s_waitcnt vmcnt(0)
	v_cvt_f64_f32_e32 v[4:5], v4
.LBB86_1000:
	s_mov_b64 s[2:3], 0
.LBB86_1001:
	s_andn2_b64 vcc, exec, s[2:3]
	s_cbranch_vccnz .LBB86_1003
; %bb.1002:
	global_load_dword v4, v[2:3], off
	s_waitcnt vmcnt(0)
	v_cvt_f32_f16_e32 v4, v4
	v_cvt_f64_f32_e32 v[4:5], v4
.LBB86_1003:
	s_mov_b64 s[2:3], 0
.LBB86_1004:
	s_andn2_b64 vcc, exec, s[2:3]
	s_cbranch_vccnz .LBB86_1015
; %bb.1005:
	s_cmp_lt_i32 s4, 6
	s_cbranch_scc1 .LBB86_1008
; %bb.1006:
	s_cmp_gt_i32 s4, 6
	s_cbranch_scc0 .LBB86_1009
; %bb.1007:
	global_load_dwordx2 v[4:5], v[2:3], off
	s_mov_b64 s[2:3], 0
	s_branch .LBB86_1010
.LBB86_1008:
	s_mov_b64 s[2:3], -1
                                        ; implicit-def: $vgpr4_vgpr5
	s_branch .LBB86_1013
.LBB86_1009:
	s_mov_b64 s[2:3], -1
                                        ; implicit-def: $vgpr4_vgpr5
.LBB86_1010:
	s_andn2_b64 vcc, exec, s[2:3]
	s_cbranch_vccnz .LBB86_1012
; %bb.1011:
	global_load_dword v4, v[2:3], off
	s_waitcnt vmcnt(0)
	v_cvt_f64_f32_e32 v[4:5], v4
.LBB86_1012:
	s_mov_b64 s[2:3], 0
.LBB86_1013:
	s_andn2_b64 vcc, exec, s[2:3]
	s_cbranch_vccnz .LBB86_1015
; %bb.1014:
	global_load_ushort v4, v[2:3], off
	s_waitcnt vmcnt(0)
	v_cvt_f32_f16_e32 v4, v4
	v_cvt_f64_f32_e32 v[4:5], v4
.LBB86_1015:
	s_mov_b64 s[2:3], 0
.LBB86_1016:
	s_andn2_b64 vcc, exec, s[2:3]
	s_cbranch_vccnz .LBB86_1036
; %bb.1017:
	s_cmp_lt_i32 s4, 2
	s_cbranch_scc1 .LBB86_1021
; %bb.1018:
	s_cmp_lt_i32 s4, 3
	s_cbranch_scc1 .LBB86_1022
; %bb.1019:
	s_cmp_gt_i32 s4, 3
	s_cbranch_scc0 .LBB86_1023
; %bb.1020:
	global_load_dwordx2 v[4:5], v[2:3], off
	s_mov_b64 s[2:3], 0
	s_waitcnt vmcnt(0)
	v_cvt_f64_i32_e32 v[5:6], v5
	v_cvt_f64_u32_e32 v[7:8], v4
	v_ldexp_f64 v[5:6], v[5:6], 32
	v_add_f64 v[4:5], v[5:6], v[7:8]
	s_branch .LBB86_1024
.LBB86_1021:
	s_mov_b64 s[2:3], -1
                                        ; implicit-def: $vgpr4_vgpr5
	s_branch .LBB86_1030
.LBB86_1022:
	s_mov_b64 s[2:3], -1
                                        ; implicit-def: $vgpr4_vgpr5
	s_branch .LBB86_1027
.LBB86_1023:
	s_mov_b64 s[2:3], -1
                                        ; implicit-def: $vgpr4_vgpr5
.LBB86_1024:
	s_andn2_b64 vcc, exec, s[2:3]
	s_cbranch_vccnz .LBB86_1026
; %bb.1025:
	global_load_dword v4, v[2:3], off
	s_waitcnt vmcnt(0)
	v_cvt_f64_i32_e32 v[4:5], v4
.LBB86_1026:
	s_mov_b64 s[2:3], 0
.LBB86_1027:
	s_andn2_b64 vcc, exec, s[2:3]
	s_cbranch_vccnz .LBB86_1029
; %bb.1028:
	global_load_sshort v4, v[2:3], off
	s_waitcnt vmcnt(0)
	v_cvt_f64_i32_e32 v[4:5], v4
.LBB86_1029:
	s_mov_b64 s[2:3], 0
.LBB86_1030:
	s_andn2_b64 vcc, exec, s[2:3]
	s_cbranch_vccnz .LBB86_1036
; %bb.1031:
	s_cmp_gt_i32 s4, 0
	s_cbranch_scc0 .LBB86_1033
; %bb.1032:
	global_load_sbyte v4, v[2:3], off
	s_mov_b64 s[2:3], 0
	s_waitcnt vmcnt(0)
	v_cvt_f64_i32_e32 v[4:5], v4
	s_branch .LBB86_1034
.LBB86_1033:
	s_mov_b64 s[2:3], -1
                                        ; implicit-def: $vgpr4_vgpr5
.LBB86_1034:
	s_andn2_b64 vcc, exec, s[2:3]
	s_cbranch_vccnz .LBB86_1036
; %bb.1035:
	global_load_ubyte v2, v[2:3], off
	s_waitcnt vmcnt(0)
	v_cvt_f64_u32_e32 v[4:5], v2
.LBB86_1036:
	s_mov_b64 s[2:3], -1
.LBB86_1037:
	s_andn2_b64 vcc, exec, s[2:3]
	s_cbranch_vccnz .LBB86_1045
; %bb.1038:
	s_waitcnt vmcnt(0)
	v_cmp_eq_f64_e32 vcc, v[0:1], v[4:5]
	v_mov_b32_e32 v3, s9
	s_and_b32 s51, s33, 0xff
	s_cmp_lt_i32 s51, 11
	v_cndmask_b32_e64 v2, 0, 1, vcc
	v_cmp_neq_f64_e32 vcc, v[0:1], v[4:5]
	v_mul_lo_u32 v1, v18, s12
	v_cndmask_b32_e64 v0, 0, 1, vcc
	v_cndmask_b32_e64 v0, v0, v2, s[0:1]
	v_and_b32_e32 v0, 1, v0
	v_cmp_eq_u32_e64 s[2:3], 1, v0
	v_ashrrev_i32_e32 v2, 31, v1
	v_add_co_u32_e32 v0, vcc, s8, v1
	v_addc_co_u32_e32 v1, vcc, v3, v2, vcc
	s_cbranch_scc1 .LBB86_1046
; %bb.1039:
	s_and_b32 s52, 0xffff, s51
	s_cmp_gt_i32 s52, 25
	s_cbranch_scc0 .LBB86_1047
; %bb.1040:
	s_cmp_gt_i32 s52, 28
	s_cbranch_scc0 .LBB86_1048
; %bb.1041:
	;; [unrolled: 3-line block ×4, first 2 shown]
	s_mov_b64 s[46:47], 0
	s_mov_b64 s[4:5], -1
	s_cmp_eq_u32 s52, 46
	s_mov_b64 s[44:45], 0
	s_cbranch_scc0 .LBB86_1051
; %bb.1044:
	v_cndmask_b32_e64 v2, 0, 1.0, s[2:3]
	v_bfe_u32 v3, v2, 16, 1
	s_movk_i32 s4, 0x7fff
	v_add3_u32 v2, v2, v3, s4
	v_lshrrev_b32_e32 v2, 16, v2
	global_store_dword v[0:1], v2, off
	s_mov_b64 s[44:45], -1
	s_mov_b64 s[4:5], 0
	s_branch .LBB86_1051
.LBB86_1045:
	s_mov_b64 s[46:47], 0
                                        ; implicit-def: $vgpr18
	s_mov_b64 s[4:5], s[34:35]
	s_branch .LBB86_1161
.LBB86_1046:
	s_mov_b64 s[46:47], -1
	s_mov_b64 s[44:45], 0
	s_mov_b64 s[4:5], s[34:35]
	s_branch .LBB86_1120
.LBB86_1047:
	s_mov_b64 s[46:47], -1
	s_mov_b64 s[44:45], 0
	s_mov_b64 s[4:5], s[34:35]
	s_branch .LBB86_1078
.LBB86_1048:
	s_mov_b64 s[46:47], -1
	s_mov_b64 s[44:45], 0
	s_mov_b64 s[4:5], s[34:35]
	s_branch .LBB86_1061
.LBB86_1049:
	s_mov_b64 s[46:47], -1
	s_mov_b64 s[44:45], 0
	s_mov_b64 s[4:5], s[34:35]
	s_branch .LBB86_1057
.LBB86_1050:
	s_mov_b64 s[46:47], -1
	s_mov_b64 s[44:45], 0
	s_mov_b64 s[4:5], s[34:35]
.LBB86_1051:
	s_and_b64 vcc, exec, s[46:47]
	s_cbranch_vccz .LBB86_1056
; %bb.1052:
	s_cmp_eq_u32 s52, 44
	s_mov_b64 s[4:5], -1
	s_cbranch_scc0 .LBB86_1056
; %bb.1053:
	v_cndmask_b32_e64 v3, 0, 1.0, s[2:3]
	v_lshrrev_b32_e32 v2, 23, v3
	s_movk_i32 s4, 0xff
	v_cmp_ne_u32_e32 vcc, s4, v2
	v_mov_b32_e32 v4, 0xff
	s_and_saveexec_b64 s[44:45], vcc
; %bb.1054:
	s_mov_b32 s4, 0x3fffff
	v_and_b32_e32 v4, 0x400000, v3
	v_and_or_b32 v3, v3, s4, v2
	v_cmp_ne_u32_e32 vcc, 0, v4
	v_cmp_ne_u32_e64 s[4:5], 0, v3
	s_and_b64 s[4:5], vcc, s[4:5]
	v_cndmask_b32_e64 v3, 0, 1, s[4:5]
	v_add_u32_e32 v4, v2, v3
; %bb.1055:
	s_or_b64 exec, exec, s[44:45]
	s_mov_b64 s[44:45], -1
	s_mov_b64 s[4:5], 0
	global_store_byte v[0:1], v4, off
.LBB86_1056:
	s_mov_b64 s[46:47], 0
.LBB86_1057:
	s_and_b64 vcc, exec, s[46:47]
	s_cbranch_vccz .LBB86_1060
; %bb.1058:
	s_cmp_eq_u32 s52, 29
	s_mov_b64 s[4:5], -1
	s_cbranch_scc0 .LBB86_1060
; %bb.1059:
	s_mov_b32 s4, 0
	v_cndmask_b32_e64 v2, 0, 1, s[2:3]
	v_mov_b32_e32 v3, s4
	global_store_dwordx2 v[0:1], v[2:3], off
	s_mov_b64 s[44:45], -1
	s_mov_b64 s[4:5], 0
.LBB86_1060:
	s_mov_b64 s[46:47], 0
.LBB86_1061:
	s_and_b64 vcc, exec, s[46:47]
	s_cbranch_vccz .LBB86_1077
; %bb.1062:
	s_cmp_lt_i32 s52, 27
	s_mov_b64 s[44:45], -1
	s_cbranch_scc1 .LBB86_1068
; %bb.1063:
	s_cmp_gt_i32 s52, 27
	s_cbranch_scc0 .LBB86_1065
; %bb.1064:
	v_cndmask_b32_e64 v2, 0, 1, s[2:3]
	s_mov_b64 s[44:45], 0
	global_store_dword v[0:1], v2, off
.LBB86_1065:
	s_andn2_b64 vcc, exec, s[44:45]
	s_cbranch_vccnz .LBB86_1067
; %bb.1066:
	v_cndmask_b32_e64 v2, 0, 1, s[2:3]
	global_store_short v[0:1], v2, off
.LBB86_1067:
	s_mov_b64 s[44:45], 0
.LBB86_1068:
	s_andn2_b64 vcc, exec, s[44:45]
	s_cbranch_vccnz .LBB86_1076
; %bb.1069:
	v_cndmask_b32_e64 v3, 0, 1.0, s[2:3]
	s_mov_b32 s44, 0x43800000
	v_cmp_gt_u32_e32 vcc, s44, v3
	v_mov_b32_e32 v4, 0x80
	s_and_saveexec_b64 s[44:45], vcc
	s_cbranch_execz .LBB86_1075
; %bb.1070:
	s_mov_b32 s46, 0x3bffffff
	v_cmp_lt_u32_e32 vcc, s46, v3
	s_mov_b64 s[46:47], 0
                                        ; implicit-def: $vgpr2
	s_and_saveexec_b64 s[48:49], vcc
	s_xor_b64 s[48:49], exec, s[48:49]
	s_cbranch_execz .LBB86_1177
; %bb.1071:
	v_bfe_u32 v2, v3, 20, 1
	s_mov_b32 s53, 0x487ffff
	v_add3_u32 v2, v3, v2, s53
	s_mov_b64 s[46:47], exec
	v_lshrrev_b32_e32 v2, 20, v2
                                        ; implicit-def: $vgpr3
	s_andn2_saveexec_b64 s[48:49], s[48:49]
	s_cbranch_execnz .LBB86_1178
.LBB86_1072:
	s_or_b64 exec, exec, s[48:49]
	v_mov_b32_e32 v4, 0
	s_and_saveexec_b64 s[48:49], s[46:47]
.LBB86_1073:
	v_mov_b32_e32 v4, v2
.LBB86_1074:
	s_or_b64 exec, exec, s[48:49]
.LBB86_1075:
	s_or_b64 exec, exec, s[44:45]
	global_store_byte v[0:1], v4, off
.LBB86_1076:
	s_mov_b64 s[44:45], -1
.LBB86_1077:
	s_mov_b64 s[46:47], 0
.LBB86_1078:
	s_and_b64 vcc, exec, s[46:47]
	s_cbranch_vccz .LBB86_1119
; %bb.1079:
	s_cmp_gt_i32 s52, 22
	s_mov_b64 s[46:47], -1
	s_cbranch_scc0 .LBB86_1111
; %bb.1080:
	s_cmp_lt_i32 s52, 24
	s_mov_b64 s[44:45], -1
	s_cbranch_scc1 .LBB86_1100
; %bb.1081:
	s_cmp_gt_i32 s52, 24
	s_cbranch_scc0 .LBB86_1089
; %bb.1082:
	v_cndmask_b32_e64 v3, 0, 1.0, s[2:3]
	s_mov_b32 s44, 0x47800000
	v_cmp_gt_u32_e32 vcc, s44, v3
	v_mov_b32_e32 v4, 0x80
	s_and_saveexec_b64 s[44:45], vcc
	s_cbranch_execz .LBB86_1088
; %bb.1083:
	s_mov_b32 s46, 0x37ffffff
	v_cmp_lt_u32_e32 vcc, s46, v3
	s_mov_b64 s[46:47], 0
                                        ; implicit-def: $vgpr2
	s_and_saveexec_b64 s[48:49], vcc
	s_xor_b64 s[48:49], exec, s[48:49]
	s_cbranch_execz .LBB86_2200
; %bb.1084:
	v_bfe_u32 v2, v3, 21, 1
	s_mov_b32 s53, 0x88fffff
	v_add3_u32 v2, v3, v2, s53
	s_mov_b64 s[46:47], exec
	v_lshrrev_b32_e32 v2, 21, v2
                                        ; implicit-def: $vgpr3
	s_andn2_saveexec_b64 s[48:49], s[48:49]
	s_cbranch_execnz .LBB86_2201
.LBB86_1085:
	s_or_b64 exec, exec, s[48:49]
	v_mov_b32_e32 v4, 0
	s_and_saveexec_b64 s[48:49], s[46:47]
.LBB86_1086:
	v_mov_b32_e32 v4, v2
.LBB86_1087:
	s_or_b64 exec, exec, s[48:49]
.LBB86_1088:
	s_or_b64 exec, exec, s[44:45]
	s_mov_b64 s[44:45], 0
	global_store_byte v[0:1], v4, off
.LBB86_1089:
	s_and_b64 vcc, exec, s[44:45]
	s_cbranch_vccz .LBB86_1099
; %bb.1090:
	v_cndmask_b32_e64 v2, 0, 1.0, s[2:3]
	s_mov_b32 s44, 0x43f00000
	v_cmp_gt_u32_e32 vcc, s44, v2
                                        ; implicit-def: $vgpr3
	s_and_saveexec_b64 s[44:45], vcc
	s_xor_b64 s[44:45], exec, s[44:45]
	s_cbranch_execz .LBB86_1096
; %bb.1091:
	s_mov_b32 s46, 0x3c7fffff
	v_cmp_lt_u32_e32 vcc, s46, v2
                                        ; implicit-def: $vgpr3
	s_and_saveexec_b64 s[46:47], vcc
	s_xor_b64 s[46:47], exec, s[46:47]
; %bb.1092:
	v_bfe_u32 v3, v2, 20, 1
	s_mov_b32 s48, 0x407ffff
	v_add3_u32 v2, v2, v3, s48
	v_lshrrev_b32_e32 v3, 20, v2
	v_and_b32_e32 v2, 0xff00000, v2
	s_mov_b32 s48, 0x7f00000
	v_mov_b32_e32 v4, 0x7e
	v_cmp_ne_u32_e32 vcc, s48, v2
	v_cndmask_b32_e32 v3, v4, v3, vcc
                                        ; implicit-def: $vgpr2
; %bb.1093:
	s_andn2_saveexec_b64 s[46:47], s[46:47]
; %bb.1094:
	v_add_f32_e32 v3, 0x46800000, v2
; %bb.1095:
	s_or_b64 exec, exec, s[46:47]
                                        ; implicit-def: $vgpr2
.LBB86_1096:
	s_andn2_saveexec_b64 s[44:45], s[44:45]
; %bb.1097:
	s_mov_b32 s46, 0x7f800000
	v_mov_b32_e32 v3, 0x7e
	v_mov_b32_e32 v4, 0x7f
	v_cmp_lt_u32_e32 vcc, s46, v2
	v_cndmask_b32_e32 v3, v3, v4, vcc
; %bb.1098:
	s_or_b64 exec, exec, s[44:45]
	global_store_byte v[0:1], v3, off
.LBB86_1099:
	s_mov_b64 s[44:45], 0
.LBB86_1100:
	s_andn2_b64 vcc, exec, s[44:45]
	s_cbranch_vccnz .LBB86_1110
; %bb.1101:
	v_cndmask_b32_e64 v2, 0, 1.0, s[2:3]
	s_mov_b32 s44, 0x47800000
	v_cmp_gt_u32_e32 vcc, s44, v2
                                        ; implicit-def: $vgpr3
	s_and_saveexec_b64 s[44:45], vcc
	s_xor_b64 s[44:45], exec, s[44:45]
	s_cbranch_execz .LBB86_1107
; %bb.1102:
	s_mov_b32 s46, 0x387fffff
	v_cmp_lt_u32_e32 vcc, s46, v2
                                        ; implicit-def: $vgpr3
	s_and_saveexec_b64 s[46:47], vcc
	s_xor_b64 s[46:47], exec, s[46:47]
; %bb.1103:
	v_bfe_u32 v3, v2, 21, 1
	s_mov_b32 s48, 0x80fffff
	v_add3_u32 v2, v2, v3, s48
	v_lshrrev_b32_e32 v3, 21, v2
                                        ; implicit-def: $vgpr2
; %bb.1104:
	s_andn2_saveexec_b64 s[46:47], s[46:47]
; %bb.1105:
	v_add_f32_e32 v3, 0x43000000, v2
; %bb.1106:
	s_or_b64 exec, exec, s[46:47]
                                        ; implicit-def: $vgpr2
.LBB86_1107:
	s_andn2_saveexec_b64 s[44:45], s[44:45]
; %bb.1108:
	s_mov_b32 s46, 0x7f800000
	v_mov_b32_e32 v3, 0x7c
	v_mov_b32_e32 v4, 0x7f
	v_cmp_lt_u32_e32 vcc, s46, v2
	v_cndmask_b32_e32 v3, v3, v4, vcc
; %bb.1109:
	s_or_b64 exec, exec, s[44:45]
	global_store_byte v[0:1], v3, off
.LBB86_1110:
	s_mov_b64 s[46:47], 0
	s_mov_b64 s[44:45], -1
.LBB86_1111:
	s_andn2_b64 vcc, exec, s[46:47]
	s_cbranch_vccnz .LBB86_1119
; %bb.1112:
	s_cmp_gt_i32 s52, 14
	s_mov_b64 s[46:47], -1
	s_cbranch_scc0 .LBB86_1116
; %bb.1113:
	s_cmp_eq_u32 s52, 15
	s_mov_b64 s[4:5], -1
	s_cbranch_scc0 .LBB86_1115
; %bb.1114:
	v_cndmask_b32_e64 v2, 0, 1.0, s[2:3]
	v_bfe_u32 v3, v2, 16, 1
	s_movk_i32 s4, 0x7fff
	v_add3_u32 v2, v2, v3, s4
	global_store_short_d16_hi v[0:1], v2, off
	s_mov_b64 s[44:45], -1
	s_mov_b64 s[4:5], 0
.LBB86_1115:
	s_mov_b64 s[46:47], 0
.LBB86_1116:
	s_and_b64 vcc, exec, s[46:47]
	s_cbranch_vccz .LBB86_1119
; %bb.1117:
	s_cmp_eq_u32 s52, 11
	s_mov_b64 s[4:5], -1
	s_cbranch_scc0 .LBB86_1119
; %bb.1118:
	v_cndmask_b32_e64 v2, 0, 1, s[2:3]
	s_mov_b64 s[44:45], -1
	s_mov_b64 s[4:5], 0
	global_store_byte v[0:1], v2, off
.LBB86_1119:
	s_mov_b64 s[46:47], 0
.LBB86_1120:
	s_and_b64 vcc, exec, s[46:47]
	s_cbranch_vccz .LBB86_1159
; %bb.1121:
	s_and_b32 s46, 0xffff, s51
	s_cmp_lt_i32 s46, 5
	s_mov_b64 s[44:45], -1
	s_cbranch_scc1 .LBB86_1142
; %bb.1122:
	s_cmp_lt_i32 s46, 8
	s_cbranch_scc1 .LBB86_1132
; %bb.1123:
	s_cmp_lt_i32 s46, 9
	s_cbranch_scc1 .LBB86_1129
; %bb.1124:
	s_cmp_gt_i32 s46, 9
	s_cbranch_scc0 .LBB86_1126
; %bb.1125:
	v_cndmask_b32_e64 v2, 0, 1, s[2:3]
	v_cvt_f64_u32_e32 v[2:3], v2
	v_mov_b32_e32 v4, 0
	v_mov_b32_e32 v5, v4
	s_mov_b64 s[44:45], 0
	global_store_dwordx4 v[0:1], v[2:5], off
.LBB86_1126:
	s_andn2_b64 vcc, exec, s[44:45]
	s_cbranch_vccnz .LBB86_1128
; %bb.1127:
	v_cndmask_b32_e64 v2, 0, 1.0, s[2:3]
	v_mov_b32_e32 v3, 0
	global_store_dwordx2 v[0:1], v[2:3], off
.LBB86_1128:
	s_mov_b64 s[44:45], 0
.LBB86_1129:
	s_andn2_b64 vcc, exec, s[44:45]
	s_cbranch_vccnz .LBB86_1131
; %bb.1130:
	v_cndmask_b32_e64 v2, 0, 1.0, s[2:3]
	v_cvt_f16_f32_e32 v2, v2
	global_store_dword v[0:1], v2, off
.LBB86_1131:
	s_mov_b64 s[44:45], 0
.LBB86_1132:
	s_andn2_b64 vcc, exec, s[44:45]
	s_cbranch_vccnz .LBB86_1141
; %bb.1133:
	s_cmp_lt_i32 s46, 6
	s_mov_b64 s[44:45], -1
	s_cbranch_scc1 .LBB86_1139
; %bb.1134:
	s_cmp_gt_i32 s46, 6
	s_cbranch_scc0 .LBB86_1136
; %bb.1135:
	v_cndmask_b32_e64 v2, 0, 1, s[2:3]
	v_cvt_f64_u32_e32 v[2:3], v2
	s_mov_b64 s[44:45], 0
	global_store_dwordx2 v[0:1], v[2:3], off
.LBB86_1136:
	s_andn2_b64 vcc, exec, s[44:45]
	s_cbranch_vccnz .LBB86_1138
; %bb.1137:
	v_cndmask_b32_e64 v2, 0, 1.0, s[2:3]
	global_store_dword v[0:1], v2, off
.LBB86_1138:
	s_mov_b64 s[44:45], 0
.LBB86_1139:
	s_andn2_b64 vcc, exec, s[44:45]
	s_cbranch_vccnz .LBB86_1141
; %bb.1140:
	v_cndmask_b32_e64 v2, 0, 1.0, s[2:3]
	v_cvt_f16_f32_e32 v2, v2
	global_store_short v[0:1], v2, off
.LBB86_1141:
	s_mov_b64 s[44:45], 0
.LBB86_1142:
	s_andn2_b64 vcc, exec, s[44:45]
	s_cbranch_vccnz .LBB86_1158
; %bb.1143:
	s_cmp_lt_i32 s46, 2
	s_mov_b64 s[44:45], -1
	s_cbranch_scc1 .LBB86_1153
; %bb.1144:
	s_cmp_lt_i32 s46, 3
	s_cbranch_scc1 .LBB86_1150
; %bb.1145:
	s_cmp_gt_i32 s46, 3
	s_cbranch_scc0 .LBB86_1147
; %bb.1146:
	s_mov_b32 s44, 0
	v_cndmask_b32_e64 v2, 0, 1, s[2:3]
	v_mov_b32_e32 v3, s44
	s_mov_b64 s[44:45], 0
	global_store_dwordx2 v[0:1], v[2:3], off
.LBB86_1147:
	s_andn2_b64 vcc, exec, s[44:45]
	s_cbranch_vccnz .LBB86_1149
; %bb.1148:
	v_cndmask_b32_e64 v2, 0, 1, s[2:3]
	global_store_dword v[0:1], v2, off
.LBB86_1149:
	s_mov_b64 s[44:45], 0
.LBB86_1150:
	s_andn2_b64 vcc, exec, s[44:45]
	s_cbranch_vccnz .LBB86_1152
; %bb.1151:
	v_cndmask_b32_e64 v2, 0, 1, s[2:3]
	global_store_short v[0:1], v2, off
.LBB86_1152:
	s_mov_b64 s[44:45], 0
.LBB86_1153:
	s_andn2_b64 vcc, exec, s[44:45]
	s_cbranch_vccnz .LBB86_1158
; %bb.1154:
	s_mov_b64 s[44:45], -1
	s_cmp_gt_i32 s46, 0
	v_cndmask_b32_e64 v2, 0, 1, s[2:3]
	s_cbranch_scc0 .LBB86_1156
; %bb.1155:
	s_mov_b64 s[44:45], 0
	global_store_byte v[0:1], v2, off
.LBB86_1156:
	s_andn2_b64 vcc, exec, s[44:45]
	s_cbranch_vccnz .LBB86_1158
; %bb.1157:
	global_store_byte v[0:1], v2, off
.LBB86_1158:
	s_mov_b64 s[44:45], -1
.LBB86_1159:
	s_andn2_b64 vcc, exec, s[44:45]
	s_cbranch_vccnz .LBB86_1172
; %bb.1160:
	v_add_u32_e32 v18, 0x80, v18
	s_mov_b64 s[46:47], -1
.LBB86_1161:
	s_andn2_b64 s[2:3], s[34:35], exec
	s_and_b64 s[4:5], s[4:5], exec
	s_or_b64 s[44:45], s[2:3], s[4:5]
	s_andn2_b64 s[2:3], s[30:31], exec
	s_and_b64 s[4:5], s[42:43], exec
	s_or_b64 s[4:5], s[2:3], s[4:5]
	;; [unrolled: 3-line block ×3, first 2 shown]
	s_orn2_b64 s[48:49], s[46:47], exec
.LBB86_1162:
	s_or_b64 exec, exec, s[38:39]
	s_mov_b64 s[42:43], 0
	s_mov_b64 s[46:47], 0
	;; [unrolled: 1-line block ×3, first 2 shown]
                                        ; implicit-def: $sgpr58
                                        ; implicit-def: $vgpr2_vgpr3
                                        ; implicit-def: $vgpr0_vgpr1
	s_and_saveexec_b64 s[38:39], s[48:49]
	s_cbranch_execz .LBB86_1246
; %bb.1163:
	v_cmp_gt_i32_e32 vcc, s50, v18
	s_mov_b64 s[48:49], 0
	s_mov_b64 s[50:51], s[2:3]
	;; [unrolled: 1-line block ×4, first 2 shown]
                                        ; implicit-def: $sgpr58
                                        ; implicit-def: $vgpr2_vgpr3
                                        ; implicit-def: $vgpr0_vgpr1
	s_and_saveexec_b64 s[40:41], vcc
	s_cbranch_execz .LBB86_1245
; %bb.1164:
	s_waitcnt vmcnt(0)
	v_mul_lo_u32 v0, v18, s13
	v_mov_b32_e32 v1, s11
	s_and_b32 s58, s57, 0xff
	s_cmp_lt_i32 s58, 11
	v_ashrrev_i32_e32 v3, 31, v0
	v_add_co_u32_e32 v2, vcc, s10, v0
	v_addc_co_u32_e32 v3, vcc, v1, v3, vcc
	s_cbranch_scc1 .LBB86_1171
; %bb.1165:
	s_and_b32 s54, 0xffff, s58
	s_cmp_gt_i32 s54, 25
	s_cbranch_scc0 .LBB86_1173
; %bb.1166:
	s_cmp_gt_i32 s54, 28
	s_cbranch_scc0 .LBB86_1174
; %bb.1167:
	;; [unrolled: 3-line block ×4, first 2 shown]
	s_cmp_eq_u32 s54, 46
	s_mov_b64 s[50:51], 0
	s_cbranch_scc0 .LBB86_1179
; %bb.1170:
	global_load_dword v0, v[2:3], off
	s_mov_b64 s[48:49], -1
	s_waitcnt vmcnt(0)
	v_lshlrev_b32_e32 v0, 16, v0
	v_cvt_f64_f32_e32 v[0:1], v0
	s_branch .LBB86_1181
.LBB86_1171:
	s_mov_b64 s[50:51], -1
                                        ; implicit-def: $vgpr0_vgpr1
	s_mov_b64 s[42:43], s[2:3]
	s_branch .LBB86_1244
.LBB86_1172:
	s_mov_b64 s[46:47], 0
	s_branch .LBB86_914
.LBB86_1173:
	s_mov_b64 s[50:51], -1
	s_mov_b64 s[42:43], s[2:3]
                                        ; implicit-def: $vgpr0_vgpr1
	s_branch .LBB86_1212
.LBB86_1174:
	s_mov_b64 s[50:51], -1
	s_mov_b64 s[42:43], s[2:3]
                                        ; implicit-def: $vgpr0_vgpr1
	s_branch .LBB86_1191
.LBB86_1175:
	s_mov_b64 s[50:51], -1
	s_mov_b64 s[42:43], s[2:3]
                                        ; implicit-def: $vgpr0_vgpr1
	s_branch .LBB86_1186
.LBB86_1176:
	s_mov_b64 s[50:51], -1
	s_mov_b64 s[42:43], s[2:3]
	s_branch .LBB86_1180
.LBB86_1177:
	s_andn2_saveexec_b64 s[48:49], s[48:49]
	s_cbranch_execz .LBB86_1072
.LBB86_1178:
	v_add_f32_e32 v2, 0x46000000, v3
	v_and_b32_e32 v2, 0xff, v2
	v_cmp_ne_u32_e32 vcc, 0, v2
	s_andn2_b64 s[46:47], s[46:47], exec
	s_and_b64 s[54:55], vcc, exec
	s_or_b64 s[46:47], s[46:47], s[54:55]
	s_or_b64 exec, exec, s[48:49]
	v_mov_b32_e32 v4, 0
	s_and_saveexec_b64 s[48:49], s[46:47]
	s_cbranch_execnz .LBB86_1073
	s_branch .LBB86_1074
.LBB86_1179:
	s_mov_b64 s[42:43], -1
.LBB86_1180:
                                        ; implicit-def: $vgpr0_vgpr1
.LBB86_1181:
	s_and_b64 vcc, exec, s[50:51]
	s_cbranch_vccz .LBB86_1185
; %bb.1182:
	s_cmp_eq_u32 s54, 44
	s_cbranch_scc0 .LBB86_1184
; %bb.1183:
	global_load_ubyte v4, v[2:3], off
	s_movk_i32 s48, 0xff
	v_bfrev_b32_e32 v5, 4
	v_mov_b32_e32 v6, 0x7ff80000
	v_bfrev_b32_e32 v7, 28
	s_mov_b64 s[42:43], 0
	s_waitcnt vmcnt(0)
	v_lshlrev_b32_e32 v0, 23, v4
	v_cvt_f64_f32_e32 v[0:1], v0
	v_cmp_ne_u32_e32 vcc, s48, v4
	s_mov_b64 s[48:49], -1
	v_cndmask_b32_e32 v0, v5, v0, vcc
	v_cndmask_b32_e32 v1, v6, v1, vcc
	v_cmp_ne_u32_e32 vcc, 0, v4
	v_cndmask_b32_e32 v1, v7, v1, vcc
	v_cndmask_b32_e32 v0, 0, v0, vcc
	s_branch .LBB86_1185
.LBB86_1184:
	s_mov_b64 s[42:43], -1
                                        ; implicit-def: $vgpr0_vgpr1
.LBB86_1185:
	s_mov_b64 s[50:51], 0
.LBB86_1186:
	s_and_b64 vcc, exec, s[50:51]
	s_cbranch_vccz .LBB86_1190
; %bb.1187:
	s_cmp_eq_u32 s54, 29
	s_cbranch_scc0 .LBB86_1189
; %bb.1188:
	global_load_dwordx2 v[0:1], v[2:3], off
	s_mov_b64 s[42:43], 0
	s_mov_b64 s[48:49], -1
	s_mov_b64 s[50:51], 0
	s_waitcnt vmcnt(0)
	v_cvt_f64_u32_e32 v[4:5], v1
	v_cvt_f64_u32_e32 v[0:1], v0
	v_ldexp_f64 v[4:5], v[4:5], 32
	v_add_f64 v[0:1], v[4:5], v[0:1]
	s_branch .LBB86_1191
.LBB86_1189:
	s_mov_b64 s[42:43], -1
                                        ; implicit-def: $vgpr0_vgpr1
.LBB86_1190:
	s_mov_b64 s[50:51], 0
.LBB86_1191:
	s_and_b64 vcc, exec, s[50:51]
	s_cbranch_vccz .LBB86_1211
; %bb.1192:
	s_cmp_lt_i32 s54, 27
	s_cbranch_scc1 .LBB86_1195
; %bb.1193:
	s_cmp_gt_i32 s54, 27
	s_cbranch_scc0 .LBB86_1196
; %bb.1194:
	global_load_dword v0, v[2:3], off
	s_mov_b64 s[48:49], 0
	s_waitcnt vmcnt(0)
	v_cvt_f64_u32_e32 v[0:1], v0
	s_branch .LBB86_1197
.LBB86_1195:
	s_mov_b64 s[48:49], -1
                                        ; implicit-def: $vgpr0_vgpr1
	s_branch .LBB86_1200
.LBB86_1196:
	s_mov_b64 s[48:49], -1
                                        ; implicit-def: $vgpr0_vgpr1
.LBB86_1197:
	s_andn2_b64 vcc, exec, s[48:49]
	s_cbranch_vccnz .LBB86_1199
; %bb.1198:
	global_load_ushort v0, v[2:3], off
	s_waitcnt vmcnt(0)
	v_cvt_f64_u32_e32 v[0:1], v0
.LBB86_1199:
	s_mov_b64 s[48:49], 0
.LBB86_1200:
	s_andn2_b64 vcc, exec, s[48:49]
	s_cbranch_vccnz .LBB86_1210
; %bb.1201:
	global_load_ubyte v4, v[2:3], off
	s_movk_i32 s48, 0x7f
	s_waitcnt vmcnt(0)
	v_cmp_lt_i16_e32 vcc, s48, v4
	s_mov_b64 s[48:49], 0
	s_and_saveexec_b64 s[50:51], vcc
	s_xor_b64 s[50:51], exec, s[50:51]
	s_cbranch_execz .LBB86_1205
; %bb.1202:
	s_movk_i32 s48, 0x80
	v_cmp_eq_u16_e32 vcc, s48, v4
	s_mov_b64 s[48:49], -1
	s_and_saveexec_b64 s[52:53], vcc
; %bb.1203:
	s_xor_b64 s[48:49], exec, -1
; %bb.1204:
	s_or_b64 exec, exec, s[52:53]
	s_and_b64 s[48:49], s[48:49], exec
.LBB86_1205:
	s_or_saveexec_b64 s[50:51], s[50:51]
	v_bfrev_b32_e32 v0, 4
	v_mov_b32_e32 v1, 0x7ff80000
	s_xor_b64 exec, exec, s[50:51]
; %bb.1206:
	v_cmp_ne_u16_e32 vcc, 0, v4
	v_mov_b32_e32 v0, 0
	s_andn2_b64 s[48:49], s[48:49], exec
	s_and_b64 s[52:53], vcc, exec
	v_mov_b32_e32 v1, 0
	s_or_b64 s[48:49], s[48:49], s[52:53]
; %bb.1207:
	s_or_b64 exec, exec, s[50:51]
	s_and_saveexec_b64 s[50:51], s[48:49]
	s_cbranch_execz .LBB86_1209
; %bb.1208:
	v_and_b32_e32 v1, 0xffff, v4
	v_lshlrev_b32_e32 v0, 24, v4
	v_and_b32_e32 v4, 7, v1
	v_ffbh_u32_e32 v6, v4
	v_min_u32_e32 v6, 32, v6
	v_subrev_u32_e32 v7, 28, v6
	v_bfe_u32 v5, v1, 3, 4
	v_lshlrev_b32_e32 v1, v7, v1
	v_sub_u32_e32 v6, 29, v6
	v_and_b32_e32 v1, 7, v1
	v_cmp_eq_u32_e32 vcc, 0, v5
	v_cndmask_b32_e32 v5, v5, v6, vcc
	v_cndmask_b32_e32 v1, v4, v1, vcc
	v_mov_b32_e32 v4, 0x3b800000
	v_lshlrev_b32_e32 v1, 20, v1
	v_and_b32_e32 v0, 0x80000000, v0
	v_lshl_add_u32 v4, v5, 23, v4
	v_or3_b32 v0, v0, v4, v1
	v_cvt_f64_f32_e32 v[0:1], v0
.LBB86_1209:
	s_or_b64 exec, exec, s[50:51]
.LBB86_1210:
	s_mov_b64 s[48:49], -1
.LBB86_1211:
	s_mov_b64 s[50:51], 0
.LBB86_1212:
	s_and_b64 vcc, exec, s[50:51]
	s_cbranch_vccz .LBB86_1243
; %bb.1213:
	s_cmp_gt_i32 s54, 22
	s_cbranch_scc0 .LBB86_1225
; %bb.1214:
	s_cmp_lt_i32 s54, 24
	s_cbranch_scc1 .LBB86_1226
; %bb.1215:
	s_cmp_gt_i32 s54, 24
	s_cbranch_scc0 .LBB86_1227
; %bb.1216:
	global_load_ubyte v4, v[2:3], off
	s_movk_i32 s46, 0x7f
	s_waitcnt vmcnt(0)
	v_cmp_lt_i16_e32 vcc, s46, v4
	s_mov_b64 s[46:47], 0
	s_and_saveexec_b64 s[48:49], vcc
	s_xor_b64 s[48:49], exec, s[48:49]
	s_cbranch_execz .LBB86_1220
; %bb.1217:
	s_movk_i32 s46, 0x80
	v_cmp_eq_u16_e32 vcc, s46, v4
	s_mov_b64 s[46:47], -1
	s_and_saveexec_b64 s[50:51], vcc
; %bb.1218:
	s_xor_b64 s[46:47], exec, -1
; %bb.1219:
	s_or_b64 exec, exec, s[50:51]
	s_and_b64 s[46:47], s[46:47], exec
.LBB86_1220:
	s_or_saveexec_b64 s[48:49], s[48:49]
	v_bfrev_b32_e32 v0, 4
	v_mov_b32_e32 v1, 0x7ff80000
	s_xor_b64 exec, exec, s[48:49]
; %bb.1221:
	v_cmp_ne_u16_e32 vcc, 0, v4
	v_mov_b32_e32 v0, 0
	s_andn2_b64 s[46:47], s[46:47], exec
	s_and_b64 s[50:51], vcc, exec
	v_mov_b32_e32 v1, 0
	s_or_b64 s[46:47], s[46:47], s[50:51]
; %bb.1222:
	s_or_b64 exec, exec, s[48:49]
	s_and_saveexec_b64 s[48:49], s[46:47]
	s_cbranch_execz .LBB86_1224
; %bb.1223:
	v_and_b32_e32 v1, 0xffff, v4
	v_lshlrev_b32_e32 v0, 24, v4
	v_and_b32_e32 v4, 3, v1
	v_ffbh_u32_e32 v6, v4
	v_min_u32_e32 v6, 32, v6
	v_subrev_u32_e32 v7, 29, v6
	v_bfe_u32 v5, v1, 2, 5
	v_lshlrev_b32_e32 v1, v7, v1
	v_sub_u32_e32 v6, 30, v6
	v_and_b32_e32 v1, 3, v1
	v_cmp_eq_u32_e32 vcc, 0, v5
	v_cndmask_b32_e32 v5, v5, v6, vcc
	v_cndmask_b32_e32 v1, v4, v1, vcc
	v_mov_b32_e32 v4, 0x37800000
	v_lshlrev_b32_e32 v1, 21, v1
	v_and_b32_e32 v0, 0x80000000, v0
	v_lshl_add_u32 v4, v5, 23, v4
	v_or3_b32 v0, v0, v4, v1
	v_cvt_f64_f32_e32 v[0:1], v0
.LBB86_1224:
	s_or_b64 exec, exec, s[48:49]
	s_mov_b64 s[46:47], 0
	s_branch .LBB86_1228
.LBB86_1225:
	s_mov_b64 s[46:47], -1
                                        ; implicit-def: $vgpr0_vgpr1
	s_branch .LBB86_1234
.LBB86_1226:
	s_mov_b64 s[46:47], -1
                                        ; implicit-def: $vgpr0_vgpr1
	s_branch .LBB86_1231
.LBB86_1227:
	s_mov_b64 s[46:47], -1
                                        ; implicit-def: $vgpr0_vgpr1
.LBB86_1228:
	s_and_b64 vcc, exec, s[46:47]
	s_cbranch_vccz .LBB86_1230
; %bb.1229:
	global_load_ubyte v0, v[2:3], off
	s_mov_b32 s46, 0x7f800000
	s_waitcnt vmcnt(0)
	v_lshlrev_b32_e32 v0, 24, v0
	v_and_b32_e32 v1, 0x7f000000, v0
	v_ffbh_u32_e32 v4, v1
	v_min_u32_e32 v4, 32, v4
	v_sub_u32_e64 v4, v4, 4 clamp
	v_lshlrev_b32_e32 v6, v4, v1
	v_lshlrev_b32_e32 v4, 23, v4
	v_lshrrev_b32_e32 v6, 4, v6
	v_add_u32_e32 v5, 0x1000000, v1
	v_sub_u32_e32 v4, v6, v4
	v_ashrrev_i32_e32 v5, 8, v5
	v_add_u32_e32 v4, 0x3c000000, v4
	v_and_or_b32 v4, v5, s46, v4
	v_cmp_ne_u32_e32 vcc, 0, v1
	v_cndmask_b32_e32 v1, 0, v4, vcc
	s_brev_b32 s46, 1
	v_and_or_b32 v0, v0, s46, v1
	v_cvt_f64_f32_e32 v[0:1], v0
.LBB86_1230:
	s_mov_b64 s[46:47], 0
.LBB86_1231:
	s_andn2_b64 vcc, exec, s[46:47]
	s_cbranch_vccnz .LBB86_1233
; %bb.1232:
	global_load_ubyte v0, v[2:3], off
	s_movk_i32 s46, 0x7f00
	s_brev_b32 s47, 16
	s_waitcnt vmcnt(0)
	v_lshlrev_b16_e32 v1, 8, v0
	v_lshlrev_b32_e32 v0, 25, v0
	v_lshrrev_b32_e32 v4, 4, v0
	v_and_or_b32 v5, v1, s46, 0.5
	v_or_b32_e32 v4, 0x70000000, v4
	v_add_f32_e32 v5, -0.5, v5
	v_mul_f32_e32 v4, 0x7800000, v4
	v_cmp_gt_u32_e32 vcc, s47, v0
	v_bfe_i32 v1, v1, 0, 16
	v_cndmask_b32_e32 v0, v4, v5, vcc
	s_brev_b32 s46, 1
	v_and_or_b32 v0, v1, s46, v0
	v_cvt_f64_f32_e32 v[0:1], v0
.LBB86_1233:
	s_mov_b64 s[46:47], 0
	s_mov_b64 s[48:49], -1
.LBB86_1234:
	s_andn2_b64 vcc, exec, s[46:47]
	s_mov_b64 s[46:47], 0
	s_cbranch_vccnz .LBB86_1243
; %bb.1235:
	s_cmp_gt_i32 s54, 14
	s_cbranch_scc0 .LBB86_1238
; %bb.1236:
	s_cmp_eq_u32 s54, 15
	s_cbranch_scc0 .LBB86_1239
; %bb.1237:
	global_load_ushort v0, v[2:3], off
	s_mov_b64 s[42:43], 0
	s_mov_b64 s[48:49], -1
	s_waitcnt vmcnt(0)
	v_lshlrev_b32_e32 v0, 16, v0
	v_cvt_f64_f32_e32 v[0:1], v0
	s_branch .LBB86_1240
.LBB86_1238:
	s_mov_b64 s[50:51], -1
                                        ; implicit-def: $vgpr0_vgpr1
	s_branch .LBB86_1241
.LBB86_1239:
	s_mov_b64 s[42:43], -1
                                        ; implicit-def: $vgpr0_vgpr1
.LBB86_1240:
	s_mov_b64 s[50:51], 0
.LBB86_1241:
	s_and_b64 vcc, exec, s[50:51]
	s_cbranch_vccz .LBB86_1243
; %bb.1242:
	s_cmp_lg_u32 s54, 11
	s_cselect_b64 s[50:51], -1, 0
	s_andn2_b64 s[42:43], s[42:43], exec
	s_and_b64 s[50:51], s[50:51], exec
	s_mov_b64 s[46:47], -1
	s_or_b64 s[42:43], s[42:43], s[50:51]
.LBB86_1243:
	s_mov_b64 s[50:51], 0
.LBB86_1244:
	s_and_b64 s[54:55], s[48:49], exec
	s_and_b64 s[48:49], s[46:47], exec
	s_andn2_b64 s[46:47], s[2:3], exec
	s_and_b64 s[42:43], s[42:43], exec
	s_and_b64 s[52:53], s[50:51], exec
	s_or_b64 s[50:51], s[46:47], s[42:43]
.LBB86_1245:
	s_or_b64 exec, exec, s[40:41]
	s_and_b64 s[42:43], s[48:49], exec
	s_andn2_b64 s[2:3], s[2:3], exec
	s_and_b64 s[48:49], s[50:51], exec
	s_and_b64 s[40:41], s[54:55], exec
	;; [unrolled: 1-line block ×3, first 2 shown]
	s_or_b64 s[2:3], s[2:3], s[48:49]
.LBB86_1246:
	s_or_b64 exec, exec, s[38:39]
	s_andn2_b64 s[34:35], s[34:35], exec
	s_and_b64 s[38:39], s[44:45], exec
	s_andn2_b64 s[30:31], s[30:31], exec
	s_and_b64 s[4:5], s[4:5], exec
	;; [unrolled: 2-line block ×3, first 2 shown]
	s_or_b64 s[34:35], s[34:35], s[38:39]
	s_or_b64 s[30:31], s[30:31], s[4:5]
	s_and_b64 s[40:41], s[40:41], exec
	s_and_b64 s[38:39], s[46:47], exec
	;; [unrolled: 1-line block ×3, first 2 shown]
	s_or_b64 s[28:29], s[28:29], s[2:3]
.LBB86_1247:
	s_or_b64 exec, exec, s[36:37]
	s_andn2_b64 s[2:3], s[20:21], exec
	s_and_b64 s[20:21], s[34:35], exec
	s_or_b64 s[20:21], s[2:3], s[20:21]
	s_andn2_b64 s[2:3], s[22:23], exec
	s_and_b64 s[22:23], s[30:31], exec
	s_or_b64 s[22:23], s[2:3], s[22:23]
	s_and_b64 s[30:31], s[4:5], exec
	s_andn2_b64 s[2:3], s[24:25], exec
	s_and_b64 s[4:5], s[28:29], exec
	s_and_b64 s[34:35], s[40:41], exec
	;; [unrolled: 1-line block ×3, first 2 shown]
	s_or_b64 s[24:25], s[2:3], s[4:5]
	s_or_b64 exec, exec, s[26:27]
	s_mov_b64 s[2:3], 0
	s_and_saveexec_b64 s[4:5], s[24:25]
	s_cbranch_execz .LBB86_393
.LBB86_1248:
	s_mov_b64 s[2:3], exec
	s_andn2_b64 s[30:31], s[30:31], exec
	s_trap 2
	s_or_b64 exec, exec, s[4:5]
	s_and_saveexec_b64 s[4:5], s[30:31]
	s_xor_b64 s[4:5], exec, s[4:5]
	s_cbranch_execnz .LBB86_394
.LBB86_1249:
	s_or_b64 exec, exec, s[4:5]
	s_and_saveexec_b64 s[4:5], s[36:37]
	s_cbranch_execz .LBB86_1295
.LBB86_1250:
	s_sext_i32_i16 s24, s58
	s_cmp_lt_i32 s24, 5
	s_cbranch_scc1 .LBB86_1255
; %bb.1251:
	s_cmp_lt_i32 s24, 8
	s_cbranch_scc1 .LBB86_1256
; %bb.1252:
	;; [unrolled: 3-line block ×3, first 2 shown]
	s_cmp_gt_i32 s24, 9
	s_cbranch_scc0 .LBB86_1258
; %bb.1254:
	global_load_dwordx2 v[0:1], v[2:3], off
	s_mov_b64 s[24:25], 0
	s_branch .LBB86_1259
.LBB86_1255:
                                        ; implicit-def: $vgpr0_vgpr1
	s_branch .LBB86_1276
.LBB86_1256:
                                        ; implicit-def: $vgpr0_vgpr1
	s_branch .LBB86_1265
.LBB86_1257:
	s_mov_b64 s[24:25], -1
                                        ; implicit-def: $vgpr0_vgpr1
	s_branch .LBB86_1262
.LBB86_1258:
	s_mov_b64 s[24:25], -1
                                        ; implicit-def: $vgpr0_vgpr1
.LBB86_1259:
	s_andn2_b64 vcc, exec, s[24:25]
	s_cbranch_vccnz .LBB86_1261
; %bb.1260:
	global_load_dword v0, v[2:3], off
	s_waitcnt vmcnt(0)
	v_cvt_f64_f32_e32 v[0:1], v0
.LBB86_1261:
	s_mov_b64 s[24:25], 0
.LBB86_1262:
	s_andn2_b64 vcc, exec, s[24:25]
	s_cbranch_vccnz .LBB86_1264
; %bb.1263:
	global_load_dword v0, v[2:3], off
	s_waitcnt vmcnt(0)
	v_cvt_f32_f16_e32 v0, v0
	v_cvt_f64_f32_e32 v[0:1], v0
.LBB86_1264:
	s_cbranch_execnz .LBB86_1275
.LBB86_1265:
	s_sext_i32_i16 s24, s58
	s_cmp_lt_i32 s24, 6
	s_cbranch_scc1 .LBB86_1268
; %bb.1266:
	s_cmp_gt_i32 s24, 6
	s_cbranch_scc0 .LBB86_1269
; %bb.1267:
	global_load_dwordx2 v[0:1], v[2:3], off
	s_mov_b64 s[24:25], 0
	s_branch .LBB86_1270
.LBB86_1268:
	s_mov_b64 s[24:25], -1
                                        ; implicit-def: $vgpr0_vgpr1
	s_branch .LBB86_1273
.LBB86_1269:
	s_mov_b64 s[24:25], -1
                                        ; implicit-def: $vgpr0_vgpr1
.LBB86_1270:
	s_andn2_b64 vcc, exec, s[24:25]
	s_cbranch_vccnz .LBB86_1272
; %bb.1271:
	global_load_dword v0, v[2:3], off
	s_waitcnt vmcnt(0)
	v_cvt_f64_f32_e32 v[0:1], v0
.LBB86_1272:
	s_mov_b64 s[24:25], 0
.LBB86_1273:
	s_andn2_b64 vcc, exec, s[24:25]
	s_cbranch_vccnz .LBB86_1275
; %bb.1274:
	global_load_ushort v0, v[2:3], off
	s_waitcnt vmcnt(0)
	v_cvt_f32_f16_e32 v0, v0
	v_cvt_f64_f32_e32 v[0:1], v0
.LBB86_1275:
	s_cbranch_execnz .LBB86_1294
.LBB86_1276:
	s_sext_i32_i16 s24, s58
	s_cmp_lt_i32 s24, 2
	s_cbranch_scc1 .LBB86_1280
; %bb.1277:
	s_cmp_lt_i32 s24, 3
	s_cbranch_scc1 .LBB86_1281
; %bb.1278:
	s_cmp_gt_i32 s24, 3
	s_cbranch_scc0 .LBB86_1282
; %bb.1279:
	global_load_dwordx2 v[0:1], v[2:3], off
	s_mov_b64 s[24:25], 0
	s_waitcnt vmcnt(0)
	v_cvt_f64_i32_e32 v[4:5], v1
	v_cvt_f64_u32_e32 v[0:1], v0
	v_ldexp_f64 v[4:5], v[4:5], 32
	v_add_f64 v[0:1], v[4:5], v[0:1]
	s_branch .LBB86_1283
.LBB86_1280:
                                        ; implicit-def: $vgpr0_vgpr1
	s_branch .LBB86_1289
.LBB86_1281:
	s_mov_b64 s[24:25], -1
                                        ; implicit-def: $vgpr0_vgpr1
	s_branch .LBB86_1286
.LBB86_1282:
	s_mov_b64 s[24:25], -1
                                        ; implicit-def: $vgpr0_vgpr1
.LBB86_1283:
	s_andn2_b64 vcc, exec, s[24:25]
	s_cbranch_vccnz .LBB86_1285
; %bb.1284:
	global_load_dword v0, v[2:3], off
	s_waitcnt vmcnt(0)
	v_cvt_f64_i32_e32 v[0:1], v0
.LBB86_1285:
	s_mov_b64 s[24:25], 0
.LBB86_1286:
	s_andn2_b64 vcc, exec, s[24:25]
	s_cbranch_vccnz .LBB86_1288
; %bb.1287:
	global_load_sshort v0, v[2:3], off
	s_waitcnt vmcnt(0)
	v_cvt_f64_i32_e32 v[0:1], v0
.LBB86_1288:
	s_cbranch_execnz .LBB86_1294
.LBB86_1289:
	s_sext_i32_i16 s24, s58
	s_cmp_gt_i32 s24, 0
	s_cbranch_scc0 .LBB86_1291
; %bb.1290:
	global_load_sbyte v0, v[2:3], off
	s_mov_b64 s[24:25], 0
	s_waitcnt vmcnt(0)
	v_cvt_f64_i32_e32 v[0:1], v0
	s_branch .LBB86_1292
.LBB86_1291:
	s_mov_b64 s[24:25], -1
                                        ; implicit-def: $vgpr0_vgpr1
.LBB86_1292:
	s_andn2_b64 vcc, exec, s[24:25]
	s_cbranch_vccnz .LBB86_1294
; %bb.1293:
	global_load_ubyte v0, v[2:3], off
	s_waitcnt vmcnt(0)
	v_cvt_f64_u32_e32 v[0:1], v0
.LBB86_1294:
	s_or_b64 s[34:35], s[34:35], exec
.LBB86_1295:
	s_or_b64 exec, exec, s[4:5]
	s_mov_b64 s[26:27], 0
	s_mov_b64 s[30:31], 0
	;; [unrolled: 1-line block ×3, first 2 shown]
                                        ; implicit-def: $sgpr36
                                        ; implicit-def: $vgpr2_vgpr3
                                        ; implicit-def: $vgpr4_vgpr5
	s_and_saveexec_b64 s[4:5], s[34:35]
	s_cbranch_execz .LBB86_1303
; %bb.1296:
	v_mul_lo_u32 v2, v18, s14
	v_mov_b32_e32 v3, s17
	s_and_b32 s36, s56, 0xff
	s_cmp_lt_i32 s36, 11
	s_waitcnt vmcnt(0)
	v_ashrrev_i32_e32 v4, 31, v2
	v_add_co_u32_e32 v2, vcc, s16, v2
	v_addc_co_u32_e32 v3, vcc, v3, v4, vcc
	s_cbranch_scc1 .LBB86_1306
; %bb.1297:
	s_and_b32 s37, 0xffff, s36
	s_cmp_gt_i32 s37, 25
	s_cbranch_scc0 .LBB86_1307
; %bb.1298:
	s_cmp_gt_i32 s37, 28
	s_cbranch_scc0 .LBB86_1308
; %bb.1299:
	;; [unrolled: 3-line block ×4, first 2 shown]
	s_cmp_eq_u32 s37, 46
	s_cbranch_scc0 .LBB86_1311
; %bb.1302:
	global_load_dword v4, v[2:3], off
	s_mov_b64 s[24:25], 0
	s_mov_b64 s[28:29], -1
	s_waitcnt vmcnt(0)
	v_lshlrev_b32_e32 v4, 16, v4
	v_cvt_f64_f32_e32 v[4:5], v4
	s_branch .LBB86_1313
.LBB86_1303:
	s_or_b64 exec, exec, s[4:5]
	s_and_saveexec_b64 s[4:5], s[22:23]
	s_cbranch_execnz .LBB86_1376
.LBB86_1304:
	s_or_b64 exec, exec, s[4:5]
	s_and_saveexec_b64 s[4:5], s[26:27]
	s_xor_b64 s[4:5], exec, s[4:5]
	s_cbranch_execz .LBB86_1377
.LBB86_1305:
	global_load_ubyte v5, v[2:3], off
	v_mov_b32_e32 v6, 0x3ff00000
	s_waitcnt vmcnt(1)
	v_mov_b32_e32 v4, 0
	s_or_b64 s[28:29], s[28:29], exec
	s_waitcnt vmcnt(0)
	v_cmp_ne_u16_e32 vcc, 0, v5
	v_cndmask_b32_e32 v5, 0, v6, vcc
	s_or_b64 exec, exec, s[4:5]
	s_and_saveexec_b64 s[4:5], s[30:31]
	s_cbranch_execz .LBB86_1423
	s_branch .LBB86_1378
.LBB86_1306:
	s_mov_b64 s[30:31], -1
                                        ; implicit-def: $vgpr4_vgpr5
	s_mov_b64 s[24:25], s[22:23]
	s_branch .LBB86_1375
.LBB86_1307:
	s_mov_b64 s[24:25], s[22:23]
                                        ; implicit-def: $vgpr4_vgpr5
	s_cbranch_execnz .LBB86_1344
	s_branch .LBB86_1374
.LBB86_1308:
	s_mov_b64 s[30:31], -1
	s_mov_b64 s[24:25], s[22:23]
                                        ; implicit-def: $vgpr4_vgpr5
	s_branch .LBB86_1323
.LBB86_1309:
	s_mov_b64 s[30:31], -1
	s_mov_b64 s[24:25], s[22:23]
                                        ; implicit-def: $vgpr4_vgpr5
	s_branch .LBB86_1318
.LBB86_1310:
	s_mov_b64 s[30:31], -1
	s_mov_b64 s[24:25], s[22:23]
	s_branch .LBB86_1312
.LBB86_1311:
	s_mov_b64 s[24:25], -1
.LBB86_1312:
                                        ; implicit-def: $vgpr4_vgpr5
.LBB86_1313:
	s_and_b64 vcc, exec, s[30:31]
	s_cbranch_vccz .LBB86_1317
; %bb.1314:
	s_cmp_eq_u32 s37, 44
	s_cbranch_scc0 .LBB86_1316
; %bb.1315:
	global_load_ubyte v6, v[2:3], off
	s_movk_i32 s28, 0xff
	v_bfrev_b32_e32 v7, 4
	v_mov_b32_e32 v8, 0x7ff80000
	v_bfrev_b32_e32 v9, 28
	s_mov_b64 s[24:25], 0
	s_waitcnt vmcnt(0)
	v_lshlrev_b32_e32 v4, 23, v6
	v_cvt_f64_f32_e32 v[4:5], v4
	v_cmp_ne_u32_e32 vcc, s28, v6
	s_mov_b64 s[28:29], -1
	v_cndmask_b32_e32 v4, v7, v4, vcc
	v_cndmask_b32_e32 v5, v8, v5, vcc
	v_cmp_ne_u32_e32 vcc, 0, v6
	v_cndmask_b32_e32 v5, v9, v5, vcc
	v_cndmask_b32_e32 v4, 0, v4, vcc
	s_branch .LBB86_1317
.LBB86_1316:
	s_mov_b64 s[24:25], -1
                                        ; implicit-def: $vgpr4_vgpr5
.LBB86_1317:
	s_mov_b64 s[30:31], 0
.LBB86_1318:
	s_and_b64 vcc, exec, s[30:31]
	s_cbranch_vccz .LBB86_1322
; %bb.1319:
	s_cmp_eq_u32 s37, 29
	s_cbranch_scc0 .LBB86_1321
; %bb.1320:
	global_load_dwordx2 v[4:5], v[2:3], off
	s_mov_b64 s[24:25], 0
	s_mov_b64 s[28:29], -1
	s_mov_b64 s[30:31], 0
	s_waitcnt vmcnt(0)
	v_cvt_f64_u32_e32 v[5:6], v5
	v_cvt_f64_u32_e32 v[7:8], v4
	v_ldexp_f64 v[5:6], v[5:6], 32
	v_add_f64 v[4:5], v[5:6], v[7:8]
	s_branch .LBB86_1323
.LBB86_1321:
	s_mov_b64 s[24:25], -1
                                        ; implicit-def: $vgpr4_vgpr5
.LBB86_1322:
	s_mov_b64 s[30:31], 0
.LBB86_1323:
	s_and_b64 vcc, exec, s[30:31]
	s_cbranch_vccz .LBB86_1343
; %bb.1324:
	s_cmp_lt_i32 s37, 27
	s_cbranch_scc1 .LBB86_1327
; %bb.1325:
	s_cmp_gt_i32 s37, 27
	s_cbranch_scc0 .LBB86_1328
; %bb.1326:
	global_load_dword v4, v[2:3], off
	s_mov_b64 s[28:29], 0
	s_waitcnt vmcnt(0)
	v_cvt_f64_u32_e32 v[4:5], v4
	s_branch .LBB86_1329
.LBB86_1327:
	s_mov_b64 s[28:29], -1
                                        ; implicit-def: $vgpr4_vgpr5
	s_branch .LBB86_1332
.LBB86_1328:
	s_mov_b64 s[28:29], -1
                                        ; implicit-def: $vgpr4_vgpr5
.LBB86_1329:
	s_andn2_b64 vcc, exec, s[28:29]
	s_cbranch_vccnz .LBB86_1331
; %bb.1330:
	global_load_ushort v4, v[2:3], off
	s_waitcnt vmcnt(0)
	v_cvt_f64_u32_e32 v[4:5], v4
.LBB86_1331:
	s_mov_b64 s[28:29], 0
.LBB86_1332:
	s_andn2_b64 vcc, exec, s[28:29]
	s_cbranch_vccnz .LBB86_1342
; %bb.1333:
	global_load_ubyte v6, v[2:3], off
	s_movk_i32 s28, 0x7f
	s_waitcnt vmcnt(0)
	v_cmp_lt_i16_e32 vcc, s28, v6
	s_mov_b64 s[28:29], 0
	s_and_saveexec_b64 s[30:31], vcc
	s_xor_b64 s[30:31], exec, s[30:31]
	s_cbranch_execz .LBB86_1337
; %bb.1334:
	s_movk_i32 s28, 0x80
	v_cmp_eq_u16_e32 vcc, s28, v6
	s_mov_b64 s[28:29], -1
	s_and_saveexec_b64 s[34:35], vcc
; %bb.1335:
	s_xor_b64 s[28:29], exec, -1
; %bb.1336:
	s_or_b64 exec, exec, s[34:35]
	s_and_b64 s[28:29], s[28:29], exec
.LBB86_1337:
	s_or_saveexec_b64 s[30:31], s[30:31]
	v_bfrev_b32_e32 v4, 4
	v_mov_b32_e32 v5, 0x7ff80000
	s_xor_b64 exec, exec, s[30:31]
; %bb.1338:
	v_cmp_ne_u16_e32 vcc, 0, v6
	v_mov_b32_e32 v4, 0
	s_andn2_b64 s[28:29], s[28:29], exec
	s_and_b64 s[34:35], vcc, exec
	v_mov_b32_e32 v5, 0
	s_or_b64 s[28:29], s[28:29], s[34:35]
; %bb.1339:
	s_or_b64 exec, exec, s[30:31]
	s_and_saveexec_b64 s[30:31], s[28:29]
	s_cbranch_execz .LBB86_1341
; %bb.1340:
	v_and_b32_e32 v5, 0xffff, v6
	v_lshlrev_b32_e32 v4, 24, v6
	v_and_b32_e32 v6, 7, v5
	v_ffbh_u32_e32 v8, v6
	v_min_u32_e32 v8, 32, v8
	v_subrev_u32_e32 v9, 28, v8
	v_bfe_u32 v7, v5, 3, 4
	v_lshlrev_b32_e32 v5, v9, v5
	v_sub_u32_e32 v8, 29, v8
	v_and_b32_e32 v5, 7, v5
	v_cmp_eq_u32_e32 vcc, 0, v7
	v_cndmask_b32_e32 v7, v7, v8, vcc
	v_cndmask_b32_e32 v5, v6, v5, vcc
	v_mov_b32_e32 v6, 0x3b800000
	v_lshlrev_b32_e32 v5, 20, v5
	v_and_b32_e32 v4, 0x80000000, v4
	v_lshl_add_u32 v6, v7, 23, v6
	v_or3_b32 v4, v4, v6, v5
	v_cvt_f64_f32_e32 v[4:5], v4
.LBB86_1341:
	s_or_b64 exec, exec, s[30:31]
.LBB86_1342:
	s_mov_b64 s[28:29], -1
.LBB86_1343:
	s_branch .LBB86_1374
.LBB86_1344:
	s_cmp_gt_i32 s37, 22
	s_cbranch_scc0 .LBB86_1356
; %bb.1345:
	s_cmp_lt_i32 s37, 24
	s_cbranch_scc1 .LBB86_1357
; %bb.1346:
	s_cmp_gt_i32 s37, 24
	s_cbranch_scc0 .LBB86_1358
; %bb.1347:
	global_load_ubyte v6, v[2:3], off
	s_movk_i32 s26, 0x7f
	s_waitcnt vmcnt(0)
	v_cmp_lt_i16_e32 vcc, s26, v6
	s_mov_b64 s[26:27], 0
	s_and_saveexec_b64 s[28:29], vcc
	s_xor_b64 s[28:29], exec, s[28:29]
	s_cbranch_execz .LBB86_1351
; %bb.1348:
	s_movk_i32 s26, 0x80
	v_cmp_eq_u16_e32 vcc, s26, v6
	s_mov_b64 s[26:27], -1
	s_and_saveexec_b64 s[30:31], vcc
; %bb.1349:
	s_xor_b64 s[26:27], exec, -1
; %bb.1350:
	s_or_b64 exec, exec, s[30:31]
	s_and_b64 s[26:27], s[26:27], exec
.LBB86_1351:
	s_or_saveexec_b64 s[28:29], s[28:29]
	v_bfrev_b32_e32 v4, 4
	v_mov_b32_e32 v5, 0x7ff80000
	s_xor_b64 exec, exec, s[28:29]
; %bb.1352:
	v_cmp_ne_u16_e32 vcc, 0, v6
	v_mov_b32_e32 v4, 0
	s_andn2_b64 s[26:27], s[26:27], exec
	s_and_b64 s[30:31], vcc, exec
	v_mov_b32_e32 v5, 0
	s_or_b64 s[26:27], s[26:27], s[30:31]
; %bb.1353:
	s_or_b64 exec, exec, s[28:29]
	s_and_saveexec_b64 s[28:29], s[26:27]
	s_cbranch_execz .LBB86_1355
; %bb.1354:
	v_and_b32_e32 v5, 0xffff, v6
	v_lshlrev_b32_e32 v4, 24, v6
	v_and_b32_e32 v6, 3, v5
	v_ffbh_u32_e32 v8, v6
	v_min_u32_e32 v8, 32, v8
	v_subrev_u32_e32 v9, 29, v8
	v_bfe_u32 v7, v5, 2, 5
	v_lshlrev_b32_e32 v5, v9, v5
	v_sub_u32_e32 v8, 30, v8
	v_and_b32_e32 v5, 3, v5
	v_cmp_eq_u32_e32 vcc, 0, v7
	v_cndmask_b32_e32 v7, v7, v8, vcc
	v_cndmask_b32_e32 v5, v6, v5, vcc
	v_mov_b32_e32 v6, 0x37800000
	v_lshlrev_b32_e32 v5, 21, v5
	v_and_b32_e32 v4, 0x80000000, v4
	v_lshl_add_u32 v6, v7, 23, v6
	v_or3_b32 v4, v4, v6, v5
	v_cvt_f64_f32_e32 v[4:5], v4
.LBB86_1355:
	s_or_b64 exec, exec, s[28:29]
	s_mov_b64 s[26:27], 0
	s_branch .LBB86_1359
.LBB86_1356:
	s_mov_b64 s[26:27], -1
                                        ; implicit-def: $vgpr4_vgpr5
	s_branch .LBB86_1365
.LBB86_1357:
	s_mov_b64 s[26:27], -1
                                        ; implicit-def: $vgpr4_vgpr5
	s_branch .LBB86_1362
.LBB86_1358:
	s_mov_b64 s[26:27], -1
                                        ; implicit-def: $vgpr4_vgpr5
.LBB86_1359:
	s_and_b64 vcc, exec, s[26:27]
	s_cbranch_vccz .LBB86_1361
; %bb.1360:
	global_load_ubyte v4, v[2:3], off
	s_mov_b32 s26, 0x7f800000
	s_waitcnt vmcnt(0)
	v_lshlrev_b32_e32 v4, 24, v4
	v_and_b32_e32 v5, 0x7f000000, v4
	v_ffbh_u32_e32 v6, v5
	v_min_u32_e32 v6, 32, v6
	v_sub_u32_e64 v6, v6, 4 clamp
	v_lshlrev_b32_e32 v8, v6, v5
	v_lshlrev_b32_e32 v6, 23, v6
	v_lshrrev_b32_e32 v8, 4, v8
	v_add_u32_e32 v7, 0x1000000, v5
	v_sub_u32_e32 v6, v8, v6
	v_ashrrev_i32_e32 v7, 8, v7
	v_add_u32_e32 v6, 0x3c000000, v6
	v_and_or_b32 v6, v7, s26, v6
	v_cmp_ne_u32_e32 vcc, 0, v5
	v_cndmask_b32_e32 v5, 0, v6, vcc
	s_brev_b32 s26, 1
	v_and_or_b32 v4, v4, s26, v5
	v_cvt_f64_f32_e32 v[4:5], v4
.LBB86_1361:
	s_mov_b64 s[26:27], 0
.LBB86_1362:
	s_andn2_b64 vcc, exec, s[26:27]
	s_cbranch_vccnz .LBB86_1364
; %bb.1363:
	global_load_ubyte v4, v[2:3], off
	s_movk_i32 s26, 0x7f00
	s_brev_b32 s27, 16
	s_waitcnt vmcnt(0)
	v_lshlrev_b16_e32 v5, 8, v4
	v_lshlrev_b32_e32 v4, 25, v4
	v_lshrrev_b32_e32 v6, 4, v4
	v_and_or_b32 v7, v5, s26, 0.5
	v_or_b32_e32 v6, 0x70000000, v6
	v_add_f32_e32 v7, -0.5, v7
	v_mul_f32_e32 v6, 0x7800000, v6
	v_cmp_gt_u32_e32 vcc, s27, v4
	v_bfe_i32 v5, v5, 0, 16
	v_cndmask_b32_e32 v4, v6, v7, vcc
	s_brev_b32 s26, 1
	v_and_or_b32 v4, v5, s26, v4
	v_cvt_f64_f32_e32 v[4:5], v4
.LBB86_1364:
	s_mov_b64 s[26:27], 0
	s_mov_b64 s[28:29], -1
.LBB86_1365:
	s_andn2_b64 vcc, exec, s[26:27]
	s_mov_b64 s[26:27], 0
	s_cbranch_vccnz .LBB86_1374
; %bb.1366:
	s_cmp_gt_i32 s37, 14
	s_cbranch_scc0 .LBB86_1369
; %bb.1367:
	s_cmp_eq_u32 s37, 15
	s_cbranch_scc0 .LBB86_1370
; %bb.1368:
	global_load_ushort v4, v[2:3], off
	s_mov_b64 s[24:25], 0
	s_mov_b64 s[28:29], -1
	s_waitcnt vmcnt(0)
	v_lshlrev_b32_e32 v4, 16, v4
	v_cvt_f64_f32_e32 v[4:5], v4
	s_branch .LBB86_1371
.LBB86_1369:
	s_mov_b64 s[30:31], -1
                                        ; implicit-def: $vgpr4_vgpr5
	s_branch .LBB86_1372
.LBB86_1370:
	s_mov_b64 s[24:25], -1
                                        ; implicit-def: $vgpr4_vgpr5
.LBB86_1371:
	s_mov_b64 s[30:31], 0
.LBB86_1372:
	s_and_b64 vcc, exec, s[30:31]
	s_cbranch_vccz .LBB86_1374
; %bb.1373:
	s_cmp_lg_u32 s37, 11
	s_cselect_b64 s[30:31], -1, 0
	s_andn2_b64 s[24:25], s[24:25], exec
	s_and_b64 s[30:31], s[30:31], exec
	s_mov_b64 s[26:27], -1
	s_or_b64 s[24:25], s[24:25], s[30:31]
.LBB86_1374:
	s_mov_b64 s[30:31], 0
.LBB86_1375:
	s_andn2_b64 s[22:23], s[22:23], exec
	s_and_b64 s[24:25], s[24:25], exec
	s_and_b64 s[28:29], s[28:29], exec
	s_and_b64 s[30:31], s[30:31], exec
	s_and_b64 s[26:27], s[26:27], exec
	s_or_b64 s[22:23], s[22:23], s[24:25]
	s_or_b64 exec, exec, s[4:5]
	s_and_saveexec_b64 s[4:5], s[22:23]
	s_cbranch_execz .LBB86_1304
.LBB86_1376:
	s_or_b64 s[2:3], s[2:3], exec
	s_andn2_b64 s[26:27], s[26:27], exec
	s_trap 2
	s_or_b64 exec, exec, s[4:5]
	s_and_saveexec_b64 s[4:5], s[26:27]
	s_xor_b64 s[4:5], exec, s[4:5]
	s_cbranch_execnz .LBB86_1305
.LBB86_1377:
	s_or_b64 exec, exec, s[4:5]
	s_and_saveexec_b64 s[4:5], s[30:31]
	s_cbranch_execz .LBB86_1423
.LBB86_1378:
	s_sext_i32_i16 s22, s36
	s_cmp_lt_i32 s22, 5
	s_cbranch_scc1 .LBB86_1383
; %bb.1379:
	s_cmp_lt_i32 s22, 8
	s_cbranch_scc1 .LBB86_1384
; %bb.1380:
	s_cmp_lt_i32 s22, 9
	s_cbranch_scc1 .LBB86_1385
; %bb.1381:
	s_cmp_gt_i32 s22, 9
	s_cbranch_scc0 .LBB86_1386
; %bb.1382:
	global_load_dwordx2 v[4:5], v[2:3], off
	s_mov_b64 s[22:23], 0
	s_branch .LBB86_1387
.LBB86_1383:
                                        ; implicit-def: $vgpr4_vgpr5
	s_branch .LBB86_1404
.LBB86_1384:
                                        ; implicit-def: $vgpr4_vgpr5
	s_branch .LBB86_1393
.LBB86_1385:
	s_mov_b64 s[22:23], -1
                                        ; implicit-def: $vgpr4_vgpr5
	s_branch .LBB86_1390
.LBB86_1386:
	s_mov_b64 s[22:23], -1
                                        ; implicit-def: $vgpr4_vgpr5
.LBB86_1387:
	s_andn2_b64 vcc, exec, s[22:23]
	s_cbranch_vccnz .LBB86_1389
; %bb.1388:
	global_load_dword v4, v[2:3], off
	s_waitcnt vmcnt(0)
	v_cvt_f64_f32_e32 v[4:5], v4
.LBB86_1389:
	s_mov_b64 s[22:23], 0
.LBB86_1390:
	s_andn2_b64 vcc, exec, s[22:23]
	s_cbranch_vccnz .LBB86_1392
; %bb.1391:
	global_load_dword v4, v[2:3], off
	s_waitcnt vmcnt(0)
	v_cvt_f32_f16_e32 v4, v4
	v_cvt_f64_f32_e32 v[4:5], v4
.LBB86_1392:
	s_cbranch_execnz .LBB86_1403
.LBB86_1393:
	s_sext_i32_i16 s22, s36
	s_cmp_lt_i32 s22, 6
	s_cbranch_scc1 .LBB86_1396
; %bb.1394:
	s_cmp_gt_i32 s22, 6
	s_cbranch_scc0 .LBB86_1397
; %bb.1395:
	global_load_dwordx2 v[4:5], v[2:3], off
	s_mov_b64 s[22:23], 0
	s_branch .LBB86_1398
.LBB86_1396:
	s_mov_b64 s[22:23], -1
                                        ; implicit-def: $vgpr4_vgpr5
	s_branch .LBB86_1401
.LBB86_1397:
	s_mov_b64 s[22:23], -1
                                        ; implicit-def: $vgpr4_vgpr5
.LBB86_1398:
	s_andn2_b64 vcc, exec, s[22:23]
	s_cbranch_vccnz .LBB86_1400
; %bb.1399:
	global_load_dword v4, v[2:3], off
	s_waitcnt vmcnt(0)
	v_cvt_f64_f32_e32 v[4:5], v4
.LBB86_1400:
	s_mov_b64 s[22:23], 0
.LBB86_1401:
	s_andn2_b64 vcc, exec, s[22:23]
	s_cbranch_vccnz .LBB86_1403
; %bb.1402:
	global_load_ushort v4, v[2:3], off
	s_waitcnt vmcnt(0)
	v_cvt_f32_f16_e32 v4, v4
	v_cvt_f64_f32_e32 v[4:5], v4
.LBB86_1403:
	s_cbranch_execnz .LBB86_1422
.LBB86_1404:
	s_sext_i32_i16 s22, s36
	s_cmp_lt_i32 s22, 2
	s_cbranch_scc1 .LBB86_1408
; %bb.1405:
	s_cmp_lt_i32 s22, 3
	s_cbranch_scc1 .LBB86_1409
; %bb.1406:
	s_cmp_gt_i32 s22, 3
	s_cbranch_scc0 .LBB86_1410
; %bb.1407:
	global_load_dwordx2 v[4:5], v[2:3], off
	s_mov_b64 s[22:23], 0
	s_waitcnt vmcnt(0)
	v_cvt_f64_i32_e32 v[5:6], v5
	v_cvt_f64_u32_e32 v[7:8], v4
	v_ldexp_f64 v[5:6], v[5:6], 32
	v_add_f64 v[4:5], v[5:6], v[7:8]
	s_branch .LBB86_1411
.LBB86_1408:
                                        ; implicit-def: $vgpr4_vgpr5
	s_branch .LBB86_1417
.LBB86_1409:
	s_mov_b64 s[22:23], -1
                                        ; implicit-def: $vgpr4_vgpr5
	s_branch .LBB86_1414
.LBB86_1410:
	s_mov_b64 s[22:23], -1
                                        ; implicit-def: $vgpr4_vgpr5
.LBB86_1411:
	s_andn2_b64 vcc, exec, s[22:23]
	s_cbranch_vccnz .LBB86_1413
; %bb.1412:
	global_load_dword v4, v[2:3], off
	s_waitcnt vmcnt(0)
	v_cvt_f64_i32_e32 v[4:5], v4
.LBB86_1413:
	s_mov_b64 s[22:23], 0
.LBB86_1414:
	s_andn2_b64 vcc, exec, s[22:23]
	s_cbranch_vccnz .LBB86_1416
; %bb.1415:
	global_load_sshort v4, v[2:3], off
	s_waitcnt vmcnt(0)
	v_cvt_f64_i32_e32 v[4:5], v4
.LBB86_1416:
	s_cbranch_execnz .LBB86_1422
.LBB86_1417:
	s_sext_i32_i16 s22, s36
	s_cmp_gt_i32 s22, 0
	s_cbranch_scc0 .LBB86_1419
; %bb.1418:
	global_load_sbyte v4, v[2:3], off
	s_mov_b64 s[22:23], 0
	s_waitcnt vmcnt(0)
	v_cvt_f64_i32_e32 v[4:5], v4
	s_branch .LBB86_1420
.LBB86_1419:
	s_mov_b64 s[22:23], -1
                                        ; implicit-def: $vgpr4_vgpr5
.LBB86_1420:
	s_andn2_b64 vcc, exec, s[22:23]
	s_cbranch_vccnz .LBB86_1422
; %bb.1421:
	global_load_ubyte v2, v[2:3], off
	s_waitcnt vmcnt(0)
	v_cvt_f64_u32_e32 v[4:5], v2
.LBB86_1422:
	s_or_b64 s[28:29], s[28:29], exec
.LBB86_1423:
	s_or_b64 exec, exec, s[4:5]
	s_mov_b64 s[26:27], 0
	s_mov_b64 s[24:25], 0
                                        ; implicit-def: $sgpr4_sgpr5
                                        ; implicit-def: $sgpr34
                                        ; implicit-def: $vgpr2_vgpr3
	s_and_saveexec_b64 s[22:23], s[28:29]
	s_cbranch_execz .LBB86_1498
; %bb.1424:
	s_waitcnt vmcnt(0)
	v_cmp_eq_f64_e32 vcc, v[0:1], v[4:5]
	v_mov_b32_e32 v3, s9
	s_and_b32 s34, s33, 0xff
	s_cmp_lt_i32 s34, 11
	v_cndmask_b32_e64 v2, 0, 1, vcc
	v_cmp_neq_f64_e32 vcc, v[0:1], v[4:5]
	v_mul_lo_u32 v1, v18, s12
	v_cndmask_b32_e64 v0, 0, 1, vcc
	v_cndmask_b32_e64 v0, v0, v2, s[0:1]
	v_and_b32_e32 v0, 1, v0
	v_cmp_eq_u32_e64 s[4:5], 1, v0
	v_ashrrev_i32_e32 v0, 31, v1
	v_add_co_u32_e32 v2, vcc, s8, v1
	v_addc_co_u32_e32 v3, vcc, v3, v0, vcc
	s_cbranch_scc1 .LBB86_1501
; %bb.1425:
	s_and_b32 s35, 0xffff, s34
	s_mov_b64 s[26:27], -1
	s_cmp_gt_i32 s35, 25
	s_mov_b64 s[0:1], s[20:21]
	s_cbranch_scc0 .LBB86_1458
; %bb.1426:
	s_mov_b64 s[24:25], -1
	s_cmp_gt_i32 s35, 28
	s_mov_b64 s[0:1], s[20:21]
	s_cbranch_scc0 .LBB86_1442
; %bb.1427:
	s_cmp_gt_i32 s35, 43
	s_mov_b64 s[0:1], s[20:21]
	s_cbranch_scc0 .LBB86_1438
; %bb.1428:
	;; [unrolled: 4-line block ×3, first 2 shown]
	s_cmp_eq_u32 s35, 46
	s_mov_b64 s[0:1], -1
	s_cbranch_scc0 .LBB86_1431
; %bb.1430:
	v_cndmask_b32_e64 v0, 0, 1.0, s[4:5]
	v_bfe_u32 v1, v0, 16, 1
	s_movk_i32 s0, 0x7fff
	v_add3_u32 v0, v0, v1, s0
	v_lshrrev_b32_e32 v0, 16, v0
	global_store_dword v[2:3], v0, off
	s_mov_b64 s[0:1], 0
.LBB86_1431:
	s_mov_b64 s[24:25], 0
.LBB86_1432:
	s_and_b64 vcc, exec, s[24:25]
	s_cbranch_vccz .LBB86_1437
; %bb.1433:
	s_cmp_eq_u32 s35, 44
	s_mov_b64 s[0:1], -1
	s_cbranch_scc0 .LBB86_1437
; %bb.1434:
	v_cndmask_b32_e64 v1, 0, 1.0, s[4:5]
	v_lshrrev_b32_e32 v0, 23, v1
	s_movk_i32 s0, 0xff
	v_cmp_ne_u32_e32 vcc, s0, v0
	v_mov_b32_e32 v4, 0xff
	s_and_saveexec_b64 s[24:25], vcc
; %bb.1435:
	s_mov_b32 s0, 0x3fffff
	v_and_b32_e32 v4, 0x400000, v1
	v_and_or_b32 v1, v1, s0, v0
	v_cmp_ne_u32_e32 vcc, 0, v4
	v_cmp_ne_u32_e64 s[0:1], 0, v1
	s_and_b64 s[0:1], vcc, s[0:1]
	v_cndmask_b32_e64 v1, 0, 1, s[0:1]
	v_add_u32_e32 v4, v0, v1
; %bb.1436:
	s_or_b64 exec, exec, s[24:25]
	s_mov_b64 s[0:1], 0
	global_store_byte v[2:3], v4, off
.LBB86_1437:
	s_mov_b64 s[24:25], 0
.LBB86_1438:
	s_and_b64 vcc, exec, s[24:25]
	s_cbranch_vccz .LBB86_1441
; %bb.1439:
	s_cmp_eq_u32 s35, 29
	s_mov_b64 s[0:1], -1
	s_cbranch_scc0 .LBB86_1441
; %bb.1440:
	s_mov_b32 s0, 0
	v_cndmask_b32_e64 v0, 0, 1, s[4:5]
	v_mov_b32_e32 v1, s0
	global_store_dwordx2 v[2:3], v[0:1], off
	s_mov_b64 s[0:1], 0
.LBB86_1441:
	s_mov_b64 s[24:25], 0
.LBB86_1442:
	s_and_b64 vcc, exec, s[24:25]
	s_cbranch_vccz .LBB86_1457
; %bb.1443:
	s_cmp_lt_i32 s35, 27
	s_mov_b64 s[24:25], -1
	s_cbranch_scc1 .LBB86_1449
; %bb.1444:
	s_cmp_gt_i32 s35, 27
	v_cndmask_b32_e64 v0, 0, 1, s[4:5]
	s_cbranch_scc0 .LBB86_1446
; %bb.1445:
	s_mov_b64 s[24:25], 0
	global_store_dword v[2:3], v0, off
.LBB86_1446:
	s_andn2_b64 vcc, exec, s[24:25]
	s_cbranch_vccnz .LBB86_1448
; %bb.1447:
	global_store_short v[2:3], v0, off
.LBB86_1448:
	s_mov_b64 s[24:25], 0
.LBB86_1449:
	s_andn2_b64 vcc, exec, s[24:25]
	s_cbranch_vccnz .LBB86_1457
; %bb.1450:
	v_cndmask_b32_e64 v1, 0, 1.0, s[4:5]
	s_mov_b32 s24, 0x43800000
	v_cmp_gt_u32_e32 vcc, s24, v1
	v_mov_b32_e32 v4, 0x80
	s_and_saveexec_b64 s[24:25], vcc
	s_cbranch_execz .LBB86_1456
; %bb.1451:
	s_mov_b32 s26, 0x3bffffff
	v_cmp_lt_u32_e32 vcc, s26, v1
	s_mov_b64 s[26:27], 0
                                        ; implicit-def: $vgpr0
	s_and_saveexec_b64 s[28:29], vcc
	s_xor_b64 s[28:29], exec, s[28:29]
	s_cbranch_execz .LBB86_1558
; %bb.1452:
	v_bfe_u32 v0, v1, 20, 1
	s_mov_b32 s30, 0x487ffff
	v_add3_u32 v0, v1, v0, s30
	s_mov_b64 s[26:27], exec
	v_lshrrev_b32_e32 v0, 20, v0
                                        ; implicit-def: $vgpr1
	s_andn2_saveexec_b64 s[28:29], s[28:29]
	s_cbranch_execnz .LBB86_1559
.LBB86_1453:
	s_or_b64 exec, exec, s[28:29]
	v_mov_b32_e32 v4, 0
	s_and_saveexec_b64 s[28:29], s[26:27]
.LBB86_1454:
	v_mov_b32_e32 v4, v0
.LBB86_1455:
	s_or_b64 exec, exec, s[28:29]
.LBB86_1456:
	s_or_b64 exec, exec, s[24:25]
	global_store_byte v[2:3], v4, off
.LBB86_1457:
	s_mov_b64 s[26:27], 0
.LBB86_1458:
	s_mov_b64 s[24:25], 0
	s_and_b64 vcc, exec, s[26:27]
	s_cbranch_vccz .LBB86_1502
; %bb.1459:
	s_cmp_gt_i32 s35, 22
	s_mov_b64 s[26:27], -1
	s_cbranch_scc0 .LBB86_1491
; %bb.1460:
	s_cmp_lt_i32 s35, 24
	s_cbranch_scc1 .LBB86_1480
; %bb.1461:
	s_cmp_gt_i32 s35, 24
	s_cbranch_scc0 .LBB86_1469
; %bb.1462:
	v_cndmask_b32_e64 v1, 0, 1.0, s[4:5]
	s_mov_b32 s26, 0x47800000
	v_cmp_gt_u32_e32 vcc, s26, v1
	v_mov_b32_e32 v4, 0x80
	s_and_saveexec_b64 s[26:27], vcc
	s_cbranch_execz .LBB86_1468
; %bb.1463:
	s_mov_b32 s28, 0x37ffffff
	v_cmp_lt_u32_e32 vcc, s28, v1
	s_mov_b64 s[28:29], 0
                                        ; implicit-def: $vgpr0
	s_and_saveexec_b64 s[30:31], vcc
	s_xor_b64 s[30:31], exec, s[30:31]
	s_cbranch_execz .LBB86_1683
; %bb.1464:
	v_bfe_u32 v0, v1, 21, 1
	s_mov_b32 s36, 0x88fffff
	v_add3_u32 v0, v1, v0, s36
	s_mov_b64 s[28:29], exec
	v_lshrrev_b32_e32 v0, 21, v0
                                        ; implicit-def: $vgpr1
	s_andn2_saveexec_b64 s[30:31], s[30:31]
	s_cbranch_execnz .LBB86_1684
.LBB86_1465:
	s_or_b64 exec, exec, s[30:31]
	v_mov_b32_e32 v4, 0
	s_and_saveexec_b64 s[30:31], s[28:29]
.LBB86_1466:
	v_mov_b32_e32 v4, v0
.LBB86_1467:
	s_or_b64 exec, exec, s[30:31]
.LBB86_1468:
	s_or_b64 exec, exec, s[26:27]
	s_mov_b64 s[26:27], 0
	global_store_byte v[2:3], v4, off
.LBB86_1469:
	s_and_b64 vcc, exec, s[26:27]
	s_cbranch_vccz .LBB86_1479
; %bb.1470:
	v_cndmask_b32_e64 v0, 0, 1.0, s[4:5]
	s_mov_b32 s26, 0x43f00000
	v_cmp_gt_u32_e32 vcc, s26, v0
                                        ; implicit-def: $vgpr1
	s_and_saveexec_b64 s[26:27], vcc
	s_xor_b64 s[26:27], exec, s[26:27]
	s_cbranch_execz .LBB86_1476
; %bb.1471:
	s_mov_b32 s28, 0x3c7fffff
	v_cmp_lt_u32_e32 vcc, s28, v0
                                        ; implicit-def: $vgpr1
	s_and_saveexec_b64 s[28:29], vcc
	s_xor_b64 s[28:29], exec, s[28:29]
; %bb.1472:
	v_bfe_u32 v1, v0, 20, 1
	s_mov_b32 s30, 0x407ffff
	v_add3_u32 v0, v0, v1, s30
	v_lshrrev_b32_e32 v1, 20, v0
	v_and_b32_e32 v0, 0xff00000, v0
	s_mov_b32 s30, 0x7f00000
	v_mov_b32_e32 v4, 0x7e
	v_cmp_ne_u32_e32 vcc, s30, v0
	v_cndmask_b32_e32 v1, v4, v1, vcc
                                        ; implicit-def: $vgpr0
; %bb.1473:
	s_andn2_saveexec_b64 s[28:29], s[28:29]
; %bb.1474:
	v_add_f32_e32 v1, 0x46800000, v0
; %bb.1475:
	s_or_b64 exec, exec, s[28:29]
                                        ; implicit-def: $vgpr0
.LBB86_1476:
	s_andn2_saveexec_b64 s[26:27], s[26:27]
; %bb.1477:
	s_mov_b32 s28, 0x7f800000
	v_mov_b32_e32 v1, 0x7e
	v_mov_b32_e32 v4, 0x7f
	v_cmp_lt_u32_e32 vcc, s28, v0
	v_cndmask_b32_e32 v1, v1, v4, vcc
; %bb.1478:
	s_or_b64 exec, exec, s[26:27]
	global_store_byte v[2:3], v1, off
.LBB86_1479:
	s_mov_b64 s[26:27], 0
.LBB86_1480:
	s_andn2_b64 vcc, exec, s[26:27]
	s_cbranch_vccnz .LBB86_1490
; %bb.1481:
	v_cndmask_b32_e64 v0, 0, 1.0, s[4:5]
	s_mov_b32 s26, 0x47800000
	v_cmp_gt_u32_e32 vcc, s26, v0
                                        ; implicit-def: $vgpr1
	s_and_saveexec_b64 s[26:27], vcc
	s_xor_b64 s[26:27], exec, s[26:27]
	s_cbranch_execz .LBB86_1487
; %bb.1482:
	s_mov_b32 s28, 0x387fffff
	v_cmp_lt_u32_e32 vcc, s28, v0
                                        ; implicit-def: $vgpr1
	s_and_saveexec_b64 s[28:29], vcc
	s_xor_b64 s[28:29], exec, s[28:29]
; %bb.1483:
	v_bfe_u32 v1, v0, 21, 1
	s_mov_b32 s30, 0x80fffff
	v_add3_u32 v0, v0, v1, s30
	v_lshrrev_b32_e32 v1, 21, v0
                                        ; implicit-def: $vgpr0
; %bb.1484:
	s_andn2_saveexec_b64 s[28:29], s[28:29]
; %bb.1485:
	v_add_f32_e32 v1, 0x43000000, v0
; %bb.1486:
	s_or_b64 exec, exec, s[28:29]
                                        ; implicit-def: $vgpr0
.LBB86_1487:
	s_andn2_saveexec_b64 s[26:27], s[26:27]
; %bb.1488:
	s_mov_b32 s28, 0x7f800000
	v_mov_b32_e32 v1, 0x7c
	v_mov_b32_e32 v4, 0x7f
	v_cmp_lt_u32_e32 vcc, s28, v0
	v_cndmask_b32_e32 v1, v1, v4, vcc
; %bb.1489:
	s_or_b64 exec, exec, s[26:27]
	global_store_byte v[2:3], v1, off
.LBB86_1490:
	s_mov_b64 s[26:27], 0
.LBB86_1491:
	s_andn2_b64 vcc, exec, s[26:27]
	s_mov_b64 s[26:27], 0
	s_cbranch_vccnz .LBB86_1503
; %bb.1492:
	s_cmp_gt_i32 s35, 14
	s_mov_b64 s[28:29], -1
	s_cbranch_scc0 .LBB86_1496
; %bb.1493:
	s_cmp_eq_u32 s35, 15
	s_mov_b64 s[0:1], -1
	s_cbranch_scc0 .LBB86_1495
; %bb.1494:
	v_cndmask_b32_e64 v0, 0, 1.0, s[4:5]
	v_bfe_u32 v1, v0, 16, 1
	s_movk_i32 s0, 0x7fff
	v_add3_u32 v0, v0, v1, s0
	global_store_short_d16_hi v[2:3], v0, off
	s_mov_b64 s[0:1], 0
.LBB86_1495:
	s_mov_b64 s[28:29], 0
.LBB86_1496:
	s_and_b64 vcc, exec, s[28:29]
	s_cbranch_vccz .LBB86_1503
; %bb.1497:
	s_cmp_lg_u32 s35, 11
	s_cselect_b64 s[28:29], -1, 0
	s_andn2_b64 s[0:1], s[0:1], exec
	s_and_b64 s[28:29], s[28:29], exec
	s_mov_b64 s[26:27], -1
	s_or_b64 s[0:1], s[0:1], s[28:29]
	s_branch .LBB86_1503
.LBB86_1498:
	s_or_b64 exec, exec, s[22:23]
	s_and_saveexec_b64 s[0:1], s[20:21]
	s_cbranch_execnz .LBB86_1504
.LBB86_1499:
	s_or_b64 exec, exec, s[0:1]
	s_and_saveexec_b64 s[0:1], s[26:27]
	s_xor_b64 s[0:1], exec, s[0:1]
	s_cbranch_execz .LBB86_1505
.LBB86_1500:
	s_waitcnt vmcnt(0)
	v_cndmask_b32_e64 v0, 0, 1, s[4:5]
	global_store_byte v[2:3], v0, off
	s_or_b64 exec, exec, s[0:1]
	s_and_saveexec_b64 s[0:1], s[24:25]
	s_xor_b64 s[0:1], exec, s[0:1]
	s_cbranch_execz .LBB86_1543
	s_branch .LBB86_1506
.LBB86_1501:
	s_mov_b64 s[24:25], -1
	s_mov_b64 s[0:1], s[20:21]
	s_branch .LBB86_1503
.LBB86_1502:
	s_mov_b64 s[26:27], 0
.LBB86_1503:
	s_andn2_b64 s[20:21], s[20:21], exec
	s_and_b64 s[0:1], s[0:1], exec
	s_and_b64 s[24:25], s[24:25], exec
	;; [unrolled: 1-line block ×3, first 2 shown]
	s_or_b64 s[20:21], s[20:21], s[0:1]
	s_or_b64 exec, exec, s[22:23]
	s_and_saveexec_b64 s[0:1], s[20:21]
	s_cbranch_execz .LBB86_1499
.LBB86_1504:
	s_or_b64 s[2:3], s[2:3], exec
	s_andn2_b64 s[26:27], s[26:27], exec
	s_trap 2
	s_or_b64 exec, exec, s[0:1]
	s_and_saveexec_b64 s[0:1], s[26:27]
	s_xor_b64 s[0:1], exec, s[0:1]
	s_cbranch_execnz .LBB86_1500
.LBB86_1505:
	s_or_b64 exec, exec, s[0:1]
	s_and_saveexec_b64 s[0:1], s[24:25]
	s_xor_b64 s[0:1], exec, s[0:1]
	s_cbranch_execz .LBB86_1543
.LBB86_1506:
	s_sext_i32_i16 s22, s34
	s_cmp_lt_i32 s22, 5
	s_mov_b64 s[20:21], -1
	s_cbranch_scc1 .LBB86_1527
; %bb.1507:
	s_cmp_lt_i32 s22, 8
	s_cbranch_scc1 .LBB86_1517
; %bb.1508:
	s_cmp_lt_i32 s22, 9
	s_cbranch_scc1 .LBB86_1514
; %bb.1509:
	s_cmp_gt_i32 s22, 9
	s_cbranch_scc0 .LBB86_1511
; %bb.1510:
	s_waitcnt vmcnt(0)
	v_cndmask_b32_e64 v0, 0, 1, s[4:5]
	v_cvt_f64_u32_e32 v[4:5], v0
	v_mov_b32_e32 v6, 0
	v_mov_b32_e32 v7, v6
	s_mov_b64 s[20:21], 0
	global_store_dwordx4 v[2:3], v[4:7], off
.LBB86_1511:
	s_andn2_b64 vcc, exec, s[20:21]
	s_cbranch_vccnz .LBB86_1513
; %bb.1512:
	s_waitcnt vmcnt(0)
	v_cndmask_b32_e64 v0, 0, 1.0, s[4:5]
	v_mov_b32_e32 v1, 0
	global_store_dwordx2 v[2:3], v[0:1], off
.LBB86_1513:
	s_mov_b64 s[20:21], 0
.LBB86_1514:
	s_andn2_b64 vcc, exec, s[20:21]
	s_cbranch_vccnz .LBB86_1516
; %bb.1515:
	s_waitcnt vmcnt(0)
	v_cndmask_b32_e64 v0, 0, 1.0, s[4:5]
	v_cvt_f16_f32_e32 v0, v0
	global_store_dword v[2:3], v0, off
.LBB86_1516:
	s_mov_b64 s[20:21], 0
.LBB86_1517:
	s_andn2_b64 vcc, exec, s[20:21]
	s_cbranch_vccnz .LBB86_1526
; %bb.1518:
	s_sext_i32_i16 s22, s34
	s_cmp_lt_i32 s22, 6
	s_mov_b64 s[20:21], -1
	s_cbranch_scc1 .LBB86_1524
; %bb.1519:
	s_cmp_gt_i32 s22, 6
	s_cbranch_scc0 .LBB86_1521
; %bb.1520:
	s_waitcnt vmcnt(0)
	v_cndmask_b32_e64 v0, 0, 1, s[4:5]
	v_cvt_f64_u32_e32 v[0:1], v0
	s_mov_b64 s[20:21], 0
	global_store_dwordx2 v[2:3], v[0:1], off
.LBB86_1521:
	s_andn2_b64 vcc, exec, s[20:21]
	s_cbranch_vccnz .LBB86_1523
; %bb.1522:
	s_waitcnt vmcnt(0)
	v_cndmask_b32_e64 v0, 0, 1.0, s[4:5]
	global_store_dword v[2:3], v0, off
.LBB86_1523:
	s_mov_b64 s[20:21], 0
.LBB86_1524:
	s_andn2_b64 vcc, exec, s[20:21]
	s_cbranch_vccnz .LBB86_1526
; %bb.1525:
	s_waitcnt vmcnt(0)
	v_cndmask_b32_e64 v0, 0, 1.0, s[4:5]
	v_cvt_f16_f32_e32 v0, v0
	global_store_short v[2:3], v0, off
.LBB86_1526:
	s_mov_b64 s[20:21], 0
.LBB86_1527:
	s_andn2_b64 vcc, exec, s[20:21]
	s_cbranch_vccnz .LBB86_1543
; %bb.1528:
	s_sext_i32_i16 s22, s34
	s_cmp_lt_i32 s22, 2
	s_mov_b64 s[20:21], -1
	s_cbranch_scc1 .LBB86_1538
; %bb.1529:
	s_cmp_lt_i32 s22, 3
	s_cbranch_scc1 .LBB86_1535
; %bb.1530:
	s_cmp_gt_i32 s22, 3
	s_cbranch_scc0 .LBB86_1532
; %bb.1531:
	s_mov_b32 s20, 0
	s_waitcnt vmcnt(0)
	v_cndmask_b32_e64 v0, 0, 1, s[4:5]
	v_mov_b32_e32 v1, s20
	s_mov_b64 s[20:21], 0
	global_store_dwordx2 v[2:3], v[0:1], off
.LBB86_1532:
	s_andn2_b64 vcc, exec, s[20:21]
	s_cbranch_vccnz .LBB86_1534
; %bb.1533:
	s_waitcnt vmcnt(0)
	v_cndmask_b32_e64 v0, 0, 1, s[4:5]
	global_store_dword v[2:3], v0, off
.LBB86_1534:
	s_mov_b64 s[20:21], 0
.LBB86_1535:
	s_andn2_b64 vcc, exec, s[20:21]
	s_cbranch_vccnz .LBB86_1537
; %bb.1536:
	s_waitcnt vmcnt(0)
	v_cndmask_b32_e64 v0, 0, 1, s[4:5]
	global_store_short v[2:3], v0, off
.LBB86_1537:
	s_mov_b64 s[20:21], 0
.LBB86_1538:
	s_andn2_b64 vcc, exec, s[20:21]
	s_cbranch_vccnz .LBB86_1543
; %bb.1539:
	s_sext_i32_i16 s22, s34
	s_mov_b64 s[20:21], -1
	s_cmp_gt_i32 s22, 0
	s_waitcnt vmcnt(0)
	v_cndmask_b32_e64 v0, 0, 1, s[4:5]
	s_cbranch_scc0 .LBB86_1541
; %bb.1540:
	s_mov_b64 s[20:21], 0
	global_store_byte v[2:3], v0, off
.LBB86_1541:
	s_andn2_b64 vcc, exec, s[20:21]
	s_cbranch_vccnz .LBB86_1543
; %bb.1542:
	global_store_byte v[2:3], v0, off
.LBB86_1543:
	s_or_b64 exec, exec, s[0:1]
	s_and_b64 s[20:21], s[2:3], exec
                                        ; implicit-def: $vgpr18
.LBB86_1544:
	s_or_saveexec_b64 s[18:19], s[18:19]
	s_mov_b64 s[0:1], 0
                                        ; implicit-def: $sgpr2_sgpr3
                                        ; implicit-def: $sgpr24
                                        ; implicit-def: $vgpr0_vgpr1
	s_xor_b64 exec, exec, s[18:19]
	s_cbranch_execz .LBB86_3014
; %bb.1545:
	v_mul_lo_u32 v6, s13, v18
	s_waitcnt vmcnt(0)
	v_mov_b32_e32 v0, s11
	s_and_b32 s26, s57, 0xff
	s_cmp_lt_i32 s26, 11
	v_ashrrev_i32_e32 v1, 31, v6
	v_add_co_u32_e32 v2, vcc, s10, v6
	v_addc_co_u32_e32 v3, vcc, v0, v1, vcc
	s_cbranch_scc1 .LBB86_1552
; %bb.1546:
	s_and_b32 s24, 0xffff, s26
	s_cmp_gt_i32 s24, 25
	s_mov_b64 s[2:3], 0
	s_cbranch_scc0 .LBB86_1554
; %bb.1547:
	s_cmp_gt_i32 s24, 28
	s_cbranch_scc0 .LBB86_1555
; %bb.1548:
	s_cmp_gt_i32 s24, 43
	;; [unrolled: 3-line block ×3, first 2 shown]
	s_cbranch_scc0 .LBB86_1557
; %bb.1550:
	s_cmp_eq_u32 s24, 46
	s_cbranch_scc0 .LBB86_1560
; %bb.1551:
	global_load_dword v0, v[2:3], off
	s_mov_b64 s[4:5], -1
	s_waitcnt vmcnt(0)
	v_lshlrev_b32_e32 v0, 16, v0
	v_cvt_f64_f32_e32 v[0:1], v0
	s_branch .LBB86_1561
.LBB86_1552:
	s_mov_b64 s[4:5], 0
                                        ; implicit-def: $vgpr0_vgpr1
	s_mov_b64 s[22:23], s[20:21]
	s_cbranch_execnz .LBB86_1624
.LBB86_1553:
	s_andn2_b64 vcc, exec, s[4:5]
	s_cbranch_vccz .LBB86_1669
	s_branch .LBB86_3012
.LBB86_1554:
	s_mov_b64 s[4:5], 0
                                        ; implicit-def: $vgpr0_vgpr1
	s_cbranch_execnz .LBB86_1591
	s_branch .LBB86_1620
.LBB86_1555:
	s_mov_b64 s[6:7], -1
	s_mov_b64 s[4:5], 0
                                        ; implicit-def: $vgpr0_vgpr1
	s_branch .LBB86_1570
.LBB86_1556:
	s_mov_b64 s[4:5], 0
                                        ; implicit-def: $vgpr0_vgpr1
	s_cbranch_execnz .LBB86_1566
	s_branch .LBB86_1569
.LBB86_1557:
	s_mov_b64 s[6:7], -1
	s_mov_b64 s[4:5], 0
                                        ; implicit-def: $vgpr0_vgpr1
	s_branch .LBB86_1561
.LBB86_1558:
	s_andn2_saveexec_b64 s[28:29], s[28:29]
	s_cbranch_execz .LBB86_1453
.LBB86_1559:
	v_add_f32_e32 v0, 0x46000000, v1
	v_and_b32_e32 v0, 0xff, v0
	v_cmp_ne_u32_e32 vcc, 0, v0
	s_andn2_b64 s[26:27], s[26:27], exec
	s_and_b64 s[30:31], vcc, exec
	s_or_b64 s[26:27], s[26:27], s[30:31]
	s_or_b64 exec, exec, s[28:29]
	v_mov_b32_e32 v4, 0
	s_and_saveexec_b64 s[28:29], s[26:27]
	s_cbranch_execnz .LBB86_1454
	s_branch .LBB86_1455
.LBB86_1560:
	s_mov_b64 s[0:1], -1
                                        ; implicit-def: $vgpr0_vgpr1
	s_mov_b64 s[4:5], 0
.LBB86_1561:
	s_and_b64 vcc, exec, s[6:7]
	s_cbranch_vccz .LBB86_1564
; %bb.1562:
	s_cmp_eq_u32 s24, 44
	s_cbranch_scc0 .LBB86_1565
; %bb.1563:
	global_load_ubyte v4, v[2:3], off
	s_movk_i32 s4, 0xff
	v_bfrev_b32_e32 v5, 4
	v_mov_b32_e32 v7, 0x7ff80000
	v_bfrev_b32_e32 v8, 28
	s_mov_b64 s[0:1], 0
	s_waitcnt vmcnt(0)
	v_lshlrev_b32_e32 v0, 23, v4
	v_cvt_f64_f32_e32 v[0:1], v0
	v_cmp_ne_u32_e32 vcc, s4, v4
	s_mov_b64 s[4:5], -1
	v_cndmask_b32_e32 v0, v5, v0, vcc
	v_cndmask_b32_e32 v1, v7, v1, vcc
	v_cmp_ne_u32_e32 vcc, 0, v4
	v_cndmask_b32_e32 v1, v8, v1, vcc
	v_cndmask_b32_e32 v0, 0, v0, vcc
.LBB86_1564:
	s_branch .LBB86_1569
.LBB86_1565:
	s_mov_b64 s[0:1], -1
                                        ; implicit-def: $vgpr0_vgpr1
	s_branch .LBB86_1569
.LBB86_1566:
	s_cmp_eq_u32 s24, 29
	s_cbranch_scc0 .LBB86_1568
; %bb.1567:
	global_load_dwordx2 v[0:1], v[2:3], off
	s_mov_b64 s[0:1], 0
	s_mov_b64 s[4:5], -1
	s_mov_b64 s[6:7], 0
	s_waitcnt vmcnt(0)
	v_cvt_f64_u32_e32 v[4:5], v1
	v_cvt_f64_u32_e32 v[0:1], v0
	v_ldexp_f64 v[4:5], v[4:5], 32
	v_add_f64 v[0:1], v[4:5], v[0:1]
	s_branch .LBB86_1570
.LBB86_1568:
	s_mov_b64 s[0:1], -1
                                        ; implicit-def: $vgpr0_vgpr1
.LBB86_1569:
	s_mov_b64 s[6:7], 0
.LBB86_1570:
	s_and_b64 vcc, exec, s[6:7]
	s_cbranch_vccz .LBB86_1590
; %bb.1571:
	s_cmp_lt_i32 s24, 27
	s_cbranch_scc1 .LBB86_1574
; %bb.1572:
	s_cmp_gt_i32 s24, 27
	s_cbranch_scc0 .LBB86_1575
; %bb.1573:
	global_load_dword v0, v[2:3], off
	s_mov_b64 s[4:5], 0
	s_waitcnt vmcnt(0)
	v_cvt_f64_u32_e32 v[0:1], v0
	s_branch .LBB86_1576
.LBB86_1574:
	s_mov_b64 s[4:5], -1
                                        ; implicit-def: $vgpr0_vgpr1
	s_branch .LBB86_1579
.LBB86_1575:
	s_mov_b64 s[4:5], -1
                                        ; implicit-def: $vgpr0_vgpr1
.LBB86_1576:
	s_andn2_b64 vcc, exec, s[4:5]
	s_cbranch_vccnz .LBB86_1578
; %bb.1577:
	global_load_ushort v0, v[2:3], off
	s_waitcnt vmcnt(0)
	v_cvt_f64_u32_e32 v[0:1], v0
.LBB86_1578:
	s_mov_b64 s[4:5], 0
.LBB86_1579:
	s_andn2_b64 vcc, exec, s[4:5]
	s_cbranch_vccnz .LBB86_1589
; %bb.1580:
	global_load_ubyte v4, v[2:3], off
	s_movk_i32 s4, 0x7f
	s_waitcnt vmcnt(0)
	v_cmp_lt_i16_e32 vcc, s4, v4
	s_mov_b64 s[4:5], 0
	s_and_saveexec_b64 s[6:7], vcc
	s_xor_b64 s[6:7], exec, s[6:7]
	s_cbranch_execz .LBB86_1584
; %bb.1581:
	s_movk_i32 s4, 0x80
	v_cmp_eq_u16_e32 vcc, s4, v4
	s_mov_b64 s[4:5], -1
	s_and_saveexec_b64 s[22:23], vcc
; %bb.1582:
	s_xor_b64 s[4:5], exec, -1
; %bb.1583:
	s_or_b64 exec, exec, s[22:23]
	s_and_b64 s[4:5], s[4:5], exec
.LBB86_1584:
	s_or_saveexec_b64 s[6:7], s[6:7]
	v_bfrev_b32_e32 v0, 4
	v_mov_b32_e32 v1, 0x7ff80000
	s_xor_b64 exec, exec, s[6:7]
; %bb.1585:
	v_cmp_ne_u16_e32 vcc, 0, v4
	v_mov_b32_e32 v0, 0
	s_andn2_b64 s[4:5], s[4:5], exec
	s_and_b64 s[22:23], vcc, exec
	v_mov_b32_e32 v1, 0
	s_or_b64 s[4:5], s[4:5], s[22:23]
; %bb.1586:
	s_or_b64 exec, exec, s[6:7]
	s_and_saveexec_b64 s[6:7], s[4:5]
	s_cbranch_execz .LBB86_1588
; %bb.1587:
	v_and_b32_e32 v1, 0xffff, v4
	v_lshlrev_b32_e32 v0, 24, v4
	v_and_b32_e32 v4, 7, v1
	v_ffbh_u32_e32 v7, v4
	v_min_u32_e32 v7, 32, v7
	v_subrev_u32_e32 v8, 28, v7
	v_bfe_u32 v5, v1, 3, 4
	v_lshlrev_b32_e32 v1, v8, v1
	v_sub_u32_e32 v7, 29, v7
	v_and_b32_e32 v1, 7, v1
	v_cmp_eq_u32_e32 vcc, 0, v5
	v_cndmask_b32_e32 v5, v5, v7, vcc
	v_cndmask_b32_e32 v1, v4, v1, vcc
	v_mov_b32_e32 v4, 0x3b800000
	v_lshlrev_b32_e32 v1, 20, v1
	v_and_b32_e32 v0, 0x80000000, v0
	v_lshl_add_u32 v4, v5, 23, v4
	v_or3_b32 v0, v0, v4, v1
	v_cvt_f64_f32_e32 v[0:1], v0
.LBB86_1588:
	s_or_b64 exec, exec, s[6:7]
.LBB86_1589:
	s_mov_b64 s[4:5], -1
.LBB86_1590:
	s_branch .LBB86_1620
.LBB86_1591:
	s_cmp_gt_i32 s24, 22
	s_cbranch_scc0 .LBB86_1603
; %bb.1592:
	s_cmp_lt_i32 s24, 24
	s_cbranch_scc1 .LBB86_1604
; %bb.1593:
	s_cmp_gt_i32 s24, 24
	s_cbranch_scc0 .LBB86_1605
; %bb.1594:
	global_load_ubyte v4, v[2:3], off
	s_movk_i32 s2, 0x7f
	s_waitcnt vmcnt(0)
	v_cmp_lt_i16_e32 vcc, s2, v4
	s_mov_b64 s[2:3], 0
	s_and_saveexec_b64 s[4:5], vcc
	s_xor_b64 s[4:5], exec, s[4:5]
	s_cbranch_execz .LBB86_1598
; %bb.1595:
	s_movk_i32 s2, 0x80
	v_cmp_eq_u16_e32 vcc, s2, v4
	s_mov_b64 s[2:3], -1
	s_and_saveexec_b64 s[6:7], vcc
; %bb.1596:
	s_xor_b64 s[2:3], exec, -1
; %bb.1597:
	s_or_b64 exec, exec, s[6:7]
	s_and_b64 s[2:3], s[2:3], exec
.LBB86_1598:
	s_or_saveexec_b64 s[4:5], s[4:5]
	v_bfrev_b32_e32 v0, 4
	v_mov_b32_e32 v1, 0x7ff80000
	s_xor_b64 exec, exec, s[4:5]
; %bb.1599:
	v_cmp_ne_u16_e32 vcc, 0, v4
	v_mov_b32_e32 v0, 0
	s_andn2_b64 s[2:3], s[2:3], exec
	s_and_b64 s[6:7], vcc, exec
	v_mov_b32_e32 v1, 0
	s_or_b64 s[2:3], s[2:3], s[6:7]
; %bb.1600:
	s_or_b64 exec, exec, s[4:5]
	s_and_saveexec_b64 s[4:5], s[2:3]
	s_cbranch_execz .LBB86_1602
; %bb.1601:
	v_and_b32_e32 v1, 0xffff, v4
	v_lshlrev_b32_e32 v0, 24, v4
	v_and_b32_e32 v4, 3, v1
	v_ffbh_u32_e32 v7, v4
	v_min_u32_e32 v7, 32, v7
	v_subrev_u32_e32 v8, 29, v7
	v_bfe_u32 v5, v1, 2, 5
	v_lshlrev_b32_e32 v1, v8, v1
	v_sub_u32_e32 v7, 30, v7
	v_and_b32_e32 v1, 3, v1
	v_cmp_eq_u32_e32 vcc, 0, v5
	v_cndmask_b32_e32 v5, v5, v7, vcc
	v_cndmask_b32_e32 v1, v4, v1, vcc
	v_mov_b32_e32 v4, 0x37800000
	v_lshlrev_b32_e32 v1, 21, v1
	v_and_b32_e32 v0, 0x80000000, v0
	v_lshl_add_u32 v4, v5, 23, v4
	v_or3_b32 v0, v0, v4, v1
	v_cvt_f64_f32_e32 v[0:1], v0
.LBB86_1602:
	s_or_b64 exec, exec, s[4:5]
	s_mov_b64 s[2:3], 0
	s_branch .LBB86_1606
.LBB86_1603:
                                        ; implicit-def: $vgpr0_vgpr1
	s_mov_b64 s[2:3], 0
	s_branch .LBB86_1612
.LBB86_1604:
	s_mov_b64 s[2:3], -1
                                        ; implicit-def: $vgpr0_vgpr1
	s_branch .LBB86_1609
.LBB86_1605:
	s_mov_b64 s[2:3], -1
                                        ; implicit-def: $vgpr0_vgpr1
.LBB86_1606:
	s_and_b64 vcc, exec, s[2:3]
	s_cbranch_vccz .LBB86_1608
; %bb.1607:
	global_load_ubyte v0, v[2:3], off
	s_mov_b32 s2, 0x7f800000
	s_waitcnt vmcnt(0)
	v_lshlrev_b32_e32 v0, 24, v0
	v_and_b32_e32 v1, 0x7f000000, v0
	v_ffbh_u32_e32 v4, v1
	v_min_u32_e32 v4, 32, v4
	v_sub_u32_e64 v4, v4, 4 clamp
	v_lshlrev_b32_e32 v7, v4, v1
	v_lshlrev_b32_e32 v4, 23, v4
	v_lshrrev_b32_e32 v7, 4, v7
	v_add_u32_e32 v5, 0x1000000, v1
	v_sub_u32_e32 v4, v7, v4
	v_ashrrev_i32_e32 v5, 8, v5
	v_add_u32_e32 v4, 0x3c000000, v4
	v_and_or_b32 v4, v5, s2, v4
	v_cmp_ne_u32_e32 vcc, 0, v1
	v_cndmask_b32_e32 v1, 0, v4, vcc
	s_brev_b32 s2, 1
	v_and_or_b32 v0, v0, s2, v1
	v_cvt_f64_f32_e32 v[0:1], v0
.LBB86_1608:
	s_mov_b64 s[2:3], 0
.LBB86_1609:
	s_andn2_b64 vcc, exec, s[2:3]
	s_cbranch_vccnz .LBB86_1611
; %bb.1610:
	global_load_ubyte v0, v[2:3], off
	s_movk_i32 s2, 0x7f00
	s_brev_b32 s3, 16
	s_waitcnt vmcnt(0)
	v_lshlrev_b16_e32 v1, 8, v0
	v_lshlrev_b32_e32 v0, 25, v0
	v_lshrrev_b32_e32 v4, 4, v0
	v_and_or_b32 v5, v1, s2, 0.5
	v_or_b32_e32 v4, 0x70000000, v4
	v_add_f32_e32 v5, -0.5, v5
	v_mul_f32_e32 v4, 0x7800000, v4
	v_cmp_gt_u32_e32 vcc, s3, v0
	v_bfe_i32 v1, v1, 0, 16
	v_cndmask_b32_e32 v0, v4, v5, vcc
	s_brev_b32 s2, 1
	v_and_or_b32 v0, v1, s2, v0
	v_cvt_f64_f32_e32 v[0:1], v0
.LBB86_1611:
	s_mov_b64 s[4:5], -1
	s_mov_b64 s[2:3], 0
	s_cbranch_execnz .LBB86_1620
.LBB86_1612:
	s_cmp_gt_i32 s24, 14
	s_cbranch_scc0 .LBB86_1615
; %bb.1613:
	s_cmp_eq_u32 s24, 15
	s_cbranch_scc0 .LBB86_1616
; %bb.1614:
	global_load_ushort v0, v[2:3], off
	s_mov_b64 s[0:1], 0
	s_mov_b64 s[4:5], -1
	s_waitcnt vmcnt(0)
	v_lshlrev_b32_e32 v0, 16, v0
	v_cvt_f64_f32_e32 v[0:1], v0
	s_branch .LBB86_1617
.LBB86_1615:
	s_mov_b64 s[6:7], -1
                                        ; implicit-def: $vgpr0_vgpr1
	s_branch .LBB86_1618
.LBB86_1616:
	s_mov_b64 s[0:1], -1
                                        ; implicit-def: $vgpr0_vgpr1
.LBB86_1617:
	s_mov_b64 s[6:7], 0
.LBB86_1618:
	s_and_b64 vcc, exec, s[6:7]
	s_cbranch_vccz .LBB86_1620
; %bb.1619:
	s_cmp_lg_u32 s24, 11
	s_mov_b64 s[2:3], -1
	s_cselect_b64 s[0:1], -1, 0
.LBB86_1620:
	s_and_b64 vcc, exec, s[0:1]
	s_mov_b64 s[22:23], s[20:21]
	s_cbranch_vccnz .LBB86_1681
; %bb.1621:
	s_andn2_b64 vcc, exec, s[2:3]
	s_cbranch_vccnz .LBB86_1623
.LBB86_1622:
	global_load_ubyte v1, v[2:3], off
	v_mov_b32_e32 v4, 0x3ff00000
	v_mov_b32_e32 v0, 0
	s_mov_b64 s[4:5], -1
	s_waitcnt vmcnt(0)
	v_cmp_ne_u16_e32 vcc, 0, v1
	v_cndmask_b32_e32 v1, 0, v4, vcc
.LBB86_1623:
	s_branch .LBB86_1553
.LBB86_1624:
	s_and_b32 s2, 0xffff, s26
	s_cmp_lt_i32 s2, 5
	s_cbranch_scc1 .LBB86_1629
; %bb.1625:
	s_cmp_lt_i32 s2, 8
	s_cbranch_scc1 .LBB86_1630
; %bb.1626:
	;; [unrolled: 3-line block ×3, first 2 shown]
	s_cmp_gt_i32 s2, 9
	s_cbranch_scc0 .LBB86_1632
; %bb.1628:
	global_load_dwordx2 v[0:1], v[2:3], off
	s_mov_b64 s[0:1], 0
	s_branch .LBB86_1633
.LBB86_1629:
                                        ; implicit-def: $vgpr0_vgpr1
	s_branch .LBB86_1650
.LBB86_1630:
                                        ; implicit-def: $vgpr0_vgpr1
	s_branch .LBB86_1639
.LBB86_1631:
	s_mov_b64 s[0:1], -1
                                        ; implicit-def: $vgpr0_vgpr1
	s_branch .LBB86_1636
.LBB86_1632:
	s_mov_b64 s[0:1], -1
                                        ; implicit-def: $vgpr0_vgpr1
.LBB86_1633:
	s_andn2_b64 vcc, exec, s[0:1]
	s_cbranch_vccnz .LBB86_1635
; %bb.1634:
	global_load_dword v0, v[2:3], off
	s_waitcnt vmcnt(0)
	v_cvt_f64_f32_e32 v[0:1], v0
.LBB86_1635:
	s_mov_b64 s[0:1], 0
.LBB86_1636:
	s_andn2_b64 vcc, exec, s[0:1]
	s_cbranch_vccnz .LBB86_1638
; %bb.1637:
	global_load_dword v0, v[2:3], off
	s_waitcnt vmcnt(0)
	v_cvt_f32_f16_e32 v0, v0
	v_cvt_f64_f32_e32 v[0:1], v0
.LBB86_1638:
	s_cbranch_execnz .LBB86_1649
.LBB86_1639:
	s_cmp_lt_i32 s2, 6
	s_cbranch_scc1 .LBB86_1642
; %bb.1640:
	s_cmp_gt_i32 s2, 6
	s_cbranch_scc0 .LBB86_1643
; %bb.1641:
	global_load_dwordx2 v[0:1], v[2:3], off
	s_mov_b64 s[0:1], 0
	s_branch .LBB86_1644
.LBB86_1642:
	s_mov_b64 s[0:1], -1
                                        ; implicit-def: $vgpr0_vgpr1
	s_branch .LBB86_1647
.LBB86_1643:
	s_mov_b64 s[0:1], -1
                                        ; implicit-def: $vgpr0_vgpr1
.LBB86_1644:
	s_andn2_b64 vcc, exec, s[0:1]
	s_cbranch_vccnz .LBB86_1646
; %bb.1645:
	global_load_dword v0, v[2:3], off
	s_waitcnt vmcnt(0)
	v_cvt_f64_f32_e32 v[0:1], v0
.LBB86_1646:
	s_mov_b64 s[0:1], 0
.LBB86_1647:
	s_andn2_b64 vcc, exec, s[0:1]
	s_cbranch_vccnz .LBB86_1649
; %bb.1648:
	global_load_ushort v0, v[2:3], off
	s_waitcnt vmcnt(0)
	v_cvt_f32_f16_e32 v0, v0
	v_cvt_f64_f32_e32 v[0:1], v0
.LBB86_1649:
	s_cbranch_execnz .LBB86_1668
.LBB86_1650:
	s_cmp_lt_i32 s2, 2
	s_cbranch_scc1 .LBB86_1654
; %bb.1651:
	s_cmp_lt_i32 s2, 3
	s_cbranch_scc1 .LBB86_1655
; %bb.1652:
	s_cmp_gt_i32 s2, 3
	s_cbranch_scc0 .LBB86_1656
; %bb.1653:
	global_load_dwordx2 v[0:1], v[2:3], off
	s_mov_b64 s[0:1], 0
	s_waitcnt vmcnt(0)
	v_cvt_f64_i32_e32 v[4:5], v1
	v_cvt_f64_u32_e32 v[0:1], v0
	v_ldexp_f64 v[4:5], v[4:5], 32
	v_add_f64 v[0:1], v[4:5], v[0:1]
	s_branch .LBB86_1657
.LBB86_1654:
                                        ; implicit-def: $vgpr0_vgpr1
	s_branch .LBB86_1663
.LBB86_1655:
	s_mov_b64 s[0:1], -1
                                        ; implicit-def: $vgpr0_vgpr1
	s_branch .LBB86_1660
.LBB86_1656:
	s_mov_b64 s[0:1], -1
                                        ; implicit-def: $vgpr0_vgpr1
.LBB86_1657:
	s_andn2_b64 vcc, exec, s[0:1]
	s_cbranch_vccnz .LBB86_1659
; %bb.1658:
	global_load_dword v0, v[2:3], off
	s_waitcnt vmcnt(0)
	v_cvt_f64_i32_e32 v[0:1], v0
.LBB86_1659:
	s_mov_b64 s[0:1], 0
.LBB86_1660:
	s_andn2_b64 vcc, exec, s[0:1]
	s_cbranch_vccnz .LBB86_1662
; %bb.1661:
	global_load_sshort v0, v[2:3], off
	s_waitcnt vmcnt(0)
	v_cvt_f64_i32_e32 v[0:1], v0
.LBB86_1662:
	s_cbranch_execnz .LBB86_1668
.LBB86_1663:
	s_cmp_gt_i32 s2, 0
	s_cbranch_scc0 .LBB86_1665
; %bb.1664:
	global_load_sbyte v0, v[2:3], off
	s_mov_b64 s[0:1], 0
	s_waitcnt vmcnt(0)
	v_cvt_f64_i32_e32 v[0:1], v0
	s_branch .LBB86_1666
.LBB86_1665:
	s_mov_b64 s[0:1], -1
                                        ; implicit-def: $vgpr0_vgpr1
.LBB86_1666:
	s_andn2_b64 vcc, exec, s[0:1]
	s_cbranch_vccnz .LBB86_1668
; %bb.1667:
	global_load_ubyte v0, v[2:3], off
	s_waitcnt vmcnt(0)
	v_cvt_f64_u32_e32 v[0:1], v0
.LBB86_1668:
.LBB86_1669:
	v_mul_lo_u32 v8, s14, v18
	v_mov_b32_e32 v2, s17
	s_and_b32 s27, s56, 0xff
	s_cmp_lt_i32 s27, 11
	v_ashrrev_i32_e32 v3, 31, v8
	v_add_co_u32_e32 v4, vcc, s16, v8
	v_addc_co_u32_e32 v5, vcc, v2, v3, vcc
	s_cbranch_scc1 .LBB86_1676
; %bb.1670:
	s_and_b32 s28, 0xffff, s27
	s_cmp_gt_i32 s28, 25
	s_mov_b64 s[2:3], 0
	s_cbranch_scc0 .LBB86_1678
; %bb.1671:
	s_cmp_gt_i32 s28, 28
	s_cbranch_scc0 .LBB86_1679
; %bb.1672:
	s_cmp_gt_i32 s28, 43
	;; [unrolled: 3-line block ×3, first 2 shown]
	s_cbranch_scc0 .LBB86_1682
; %bb.1674:
	s_cmp_eq_u32 s28, 46
	s_mov_b64 s[6:7], 0
	s_cbranch_scc0 .LBB86_1685
; %bb.1675:
	global_load_dword v2, v[4:5], off
	s_mov_b64 s[0:1], 0
	s_mov_b64 s[4:5], -1
	s_waitcnt vmcnt(0)
	v_lshlrev_b32_e32 v2, 16, v2
	v_cvt_f64_f32_e32 v[2:3], v2
	s_branch .LBB86_1686
.LBB86_1676:
	s_mov_b64 s[4:5], 0
                                        ; implicit-def: $vgpr2_vgpr3
	s_cbranch_execnz .LBB86_1751
.LBB86_1677:
	s_andn2_b64 vcc, exec, s[4:5]
	s_cbranch_vccnz .LBB86_3012
	s_branch .LBB86_1798
.LBB86_1678:
	s_mov_b64 s[4:5], 0
	s_mov_b64 s[0:1], 0
                                        ; implicit-def: $vgpr2_vgpr3
	s_cbranch_execnz .LBB86_1717
	s_branch .LBB86_1747
.LBB86_1679:
	s_mov_b64 s[6:7], -1
	s_mov_b64 s[4:5], 0
	s_mov_b64 s[0:1], 0
                                        ; implicit-def: $vgpr2_vgpr3
	s_branch .LBB86_1696
.LBB86_1680:
	s_mov_b64 s[6:7], -1
	s_mov_b64 s[4:5], 0
	s_mov_b64 s[0:1], 0
                                        ; implicit-def: $vgpr2_vgpr3
	s_branch .LBB86_1691
.LBB86_1681:
	s_or_b64 s[22:23], s[20:21], exec
	s_trap 2
	s_cbranch_execz .LBB86_1622
	s_branch .LBB86_1623
.LBB86_1682:
	s_mov_b64 s[6:7], -1
	s_mov_b64 s[4:5], 0
	s_mov_b64 s[0:1], 0
                                        ; implicit-def: $vgpr2_vgpr3
	s_branch .LBB86_1686
.LBB86_1683:
	s_andn2_saveexec_b64 s[30:31], s[30:31]
	s_cbranch_execz .LBB86_1465
.LBB86_1684:
	v_add_f32_e32 v0, 0x42800000, v1
	v_and_b32_e32 v0, 0xff, v0
	v_cmp_ne_u32_e32 vcc, 0, v0
	s_andn2_b64 s[28:29], s[28:29], exec
	s_and_b64 s[36:37], vcc, exec
	s_or_b64 s[28:29], s[28:29], s[36:37]
	s_or_b64 exec, exec, s[30:31]
	v_mov_b32_e32 v4, 0
	s_and_saveexec_b64 s[30:31], s[28:29]
	s_cbranch_execnz .LBB86_1466
	s_branch .LBB86_1467
.LBB86_1685:
	s_mov_b64 s[0:1], -1
                                        ; implicit-def: $vgpr2_vgpr3
	s_mov_b64 s[4:5], 0
.LBB86_1686:
	s_and_b64 vcc, exec, s[6:7]
	s_cbranch_vccz .LBB86_1690
; %bb.1687:
	s_cmp_eq_u32 s28, 44
	s_cbranch_scc0 .LBB86_1689
; %bb.1688:
	global_load_ubyte v7, v[4:5], off
	s_movk_i32 s4, 0xff
	v_bfrev_b32_e32 v9, 4
	v_mov_b32_e32 v10, 0x7ff80000
	v_bfrev_b32_e32 v11, 28
	s_mov_b64 s[0:1], 0
	s_waitcnt vmcnt(0)
	v_lshlrev_b32_e32 v2, 23, v7
	v_cvt_f64_f32_e32 v[2:3], v2
	v_cmp_ne_u32_e32 vcc, s4, v7
	s_mov_b64 s[4:5], -1
	v_cndmask_b32_e32 v2, v9, v2, vcc
	v_cndmask_b32_e32 v3, v10, v3, vcc
	v_cmp_ne_u32_e32 vcc, 0, v7
	v_cndmask_b32_e32 v3, v11, v3, vcc
	v_cndmask_b32_e32 v2, 0, v2, vcc
	s_branch .LBB86_1690
.LBB86_1689:
	s_mov_b64 s[0:1], -1
                                        ; implicit-def: $vgpr2_vgpr3
.LBB86_1690:
	s_mov_b64 s[6:7], 0
.LBB86_1691:
	s_and_b64 vcc, exec, s[6:7]
	s_cbranch_vccz .LBB86_1695
; %bb.1692:
	s_cmp_eq_u32 s28, 29
	s_cbranch_scc0 .LBB86_1694
; %bb.1693:
	global_load_dwordx2 v[2:3], v[4:5], off
	s_mov_b64 s[0:1], 0
	s_mov_b64 s[4:5], -1
	s_mov_b64 s[6:7], 0
	s_waitcnt vmcnt(0)
	v_cvt_f64_u32_e32 v[9:10], v3
	v_cvt_f64_u32_e32 v[2:3], v2
	v_ldexp_f64 v[9:10], v[9:10], 32
	v_add_f64 v[2:3], v[9:10], v[2:3]
	s_branch .LBB86_1696
.LBB86_1694:
	s_mov_b64 s[0:1], -1
                                        ; implicit-def: $vgpr2_vgpr3
.LBB86_1695:
	s_mov_b64 s[6:7], 0
.LBB86_1696:
	s_and_b64 vcc, exec, s[6:7]
	s_cbranch_vccz .LBB86_1716
; %bb.1697:
	s_cmp_lt_i32 s28, 27
	s_cbranch_scc1 .LBB86_1700
; %bb.1698:
	s_cmp_gt_i32 s28, 27
	s_cbranch_scc0 .LBB86_1701
; %bb.1699:
	global_load_dword v2, v[4:5], off
	s_mov_b64 s[4:5], 0
	s_waitcnt vmcnt(0)
	v_cvt_f64_u32_e32 v[2:3], v2
	s_branch .LBB86_1702
.LBB86_1700:
	s_mov_b64 s[4:5], -1
                                        ; implicit-def: $vgpr2_vgpr3
	s_branch .LBB86_1705
.LBB86_1701:
	s_mov_b64 s[4:5], -1
                                        ; implicit-def: $vgpr2_vgpr3
.LBB86_1702:
	s_andn2_b64 vcc, exec, s[4:5]
	s_cbranch_vccnz .LBB86_1704
; %bb.1703:
	global_load_ushort v2, v[4:5], off
	s_waitcnt vmcnt(0)
	v_cvt_f64_u32_e32 v[2:3], v2
.LBB86_1704:
	s_mov_b64 s[4:5], 0
.LBB86_1705:
	s_andn2_b64 vcc, exec, s[4:5]
	s_cbranch_vccnz .LBB86_1715
; %bb.1706:
	global_load_ubyte v7, v[4:5], off
	s_movk_i32 s4, 0x7f
	s_waitcnt vmcnt(0)
	v_cmp_lt_i16_e32 vcc, s4, v7
	s_mov_b64 s[4:5], 0
	s_and_saveexec_b64 s[6:7], vcc
	s_xor_b64 s[6:7], exec, s[6:7]
	s_cbranch_execz .LBB86_1710
; %bb.1707:
	s_movk_i32 s4, 0x80
	v_cmp_eq_u16_e32 vcc, s4, v7
	s_mov_b64 s[4:5], -1
	s_and_saveexec_b64 s[24:25], vcc
; %bb.1708:
	s_xor_b64 s[4:5], exec, -1
; %bb.1709:
	s_or_b64 exec, exec, s[24:25]
	s_and_b64 s[4:5], s[4:5], exec
.LBB86_1710:
	s_or_saveexec_b64 s[6:7], s[6:7]
	v_bfrev_b32_e32 v2, 4
	v_mov_b32_e32 v3, 0x7ff80000
	s_xor_b64 exec, exec, s[6:7]
; %bb.1711:
	v_cmp_ne_u16_e32 vcc, 0, v7
	v_mov_b32_e32 v2, 0
	s_andn2_b64 s[4:5], s[4:5], exec
	s_and_b64 s[24:25], vcc, exec
	v_mov_b32_e32 v3, 0
	s_or_b64 s[4:5], s[4:5], s[24:25]
; %bb.1712:
	s_or_b64 exec, exec, s[6:7]
	s_and_saveexec_b64 s[6:7], s[4:5]
	s_cbranch_execz .LBB86_1714
; %bb.1713:
	v_and_b32_e32 v3, 0xffff, v7
	v_lshlrev_b32_e32 v2, 24, v7
	v_and_b32_e32 v7, 7, v3
	v_ffbh_u32_e32 v10, v7
	v_min_u32_e32 v10, 32, v10
	v_subrev_u32_e32 v11, 28, v10
	v_bfe_u32 v9, v3, 3, 4
	v_lshlrev_b32_e32 v3, v11, v3
	v_sub_u32_e32 v10, 29, v10
	v_and_b32_e32 v3, 7, v3
	v_cmp_eq_u32_e32 vcc, 0, v9
	v_cndmask_b32_e32 v9, v9, v10, vcc
	v_cndmask_b32_e32 v3, v7, v3, vcc
	v_mov_b32_e32 v7, 0x3b800000
	v_lshlrev_b32_e32 v3, 20, v3
	v_and_b32_e32 v2, 0x80000000, v2
	v_lshl_add_u32 v7, v9, 23, v7
	v_or3_b32 v2, v2, v7, v3
	v_cvt_f64_f32_e32 v[2:3], v2
.LBB86_1714:
	s_or_b64 exec, exec, s[6:7]
.LBB86_1715:
	s_mov_b64 s[4:5], -1
.LBB86_1716:
	s_branch .LBB86_1747
.LBB86_1717:
	s_cmp_gt_i32 s28, 22
	s_cbranch_scc0 .LBB86_1729
; %bb.1718:
	s_cmp_lt_i32 s28, 24
	s_cbranch_scc1 .LBB86_1730
; %bb.1719:
	s_cmp_gt_i32 s28, 24
	s_cbranch_scc0 .LBB86_1731
; %bb.1720:
	global_load_ubyte v7, v[4:5], off
	s_movk_i32 s2, 0x7f
	s_waitcnt vmcnt(0)
	v_cmp_lt_i16_e32 vcc, s2, v7
	s_mov_b64 s[2:3], 0
	s_and_saveexec_b64 s[4:5], vcc
	s_xor_b64 s[4:5], exec, s[4:5]
	s_cbranch_execz .LBB86_1724
; %bb.1721:
	s_movk_i32 s2, 0x80
	v_cmp_eq_u16_e32 vcc, s2, v7
	s_mov_b64 s[2:3], -1
	s_and_saveexec_b64 s[6:7], vcc
; %bb.1722:
	s_xor_b64 s[2:3], exec, -1
; %bb.1723:
	s_or_b64 exec, exec, s[6:7]
	s_and_b64 s[2:3], s[2:3], exec
.LBB86_1724:
	s_or_saveexec_b64 s[4:5], s[4:5]
	v_bfrev_b32_e32 v2, 4
	v_mov_b32_e32 v3, 0x7ff80000
	s_xor_b64 exec, exec, s[4:5]
; %bb.1725:
	v_cmp_ne_u16_e32 vcc, 0, v7
	v_mov_b32_e32 v2, 0
	s_andn2_b64 s[2:3], s[2:3], exec
	s_and_b64 s[6:7], vcc, exec
	v_mov_b32_e32 v3, 0
	s_or_b64 s[2:3], s[2:3], s[6:7]
; %bb.1726:
	s_or_b64 exec, exec, s[4:5]
	s_and_saveexec_b64 s[4:5], s[2:3]
	s_cbranch_execz .LBB86_1728
; %bb.1727:
	v_and_b32_e32 v3, 0xffff, v7
	v_lshlrev_b32_e32 v2, 24, v7
	v_and_b32_e32 v7, 3, v3
	v_ffbh_u32_e32 v10, v7
	v_min_u32_e32 v10, 32, v10
	v_subrev_u32_e32 v11, 29, v10
	v_bfe_u32 v9, v3, 2, 5
	v_lshlrev_b32_e32 v3, v11, v3
	v_sub_u32_e32 v10, 30, v10
	v_and_b32_e32 v3, 3, v3
	v_cmp_eq_u32_e32 vcc, 0, v9
	v_cndmask_b32_e32 v9, v9, v10, vcc
	v_cndmask_b32_e32 v3, v7, v3, vcc
	v_mov_b32_e32 v7, 0x37800000
	v_lshlrev_b32_e32 v3, 21, v3
	v_and_b32_e32 v2, 0x80000000, v2
	v_lshl_add_u32 v7, v9, 23, v7
	v_or3_b32 v2, v2, v7, v3
	v_cvt_f64_f32_e32 v[2:3], v2
.LBB86_1728:
	s_or_b64 exec, exec, s[4:5]
	s_mov_b64 s[2:3], 0
	s_branch .LBB86_1732
.LBB86_1729:
	s_mov_b64 s[2:3], -1
                                        ; implicit-def: $vgpr2_vgpr3
	s_branch .LBB86_1738
.LBB86_1730:
	s_mov_b64 s[2:3], -1
                                        ; implicit-def: $vgpr2_vgpr3
	s_branch .LBB86_1735
.LBB86_1731:
	s_mov_b64 s[2:3], -1
                                        ; implicit-def: $vgpr2_vgpr3
.LBB86_1732:
	s_and_b64 vcc, exec, s[2:3]
	s_cbranch_vccz .LBB86_1734
; %bb.1733:
	global_load_ubyte v2, v[4:5], off
	s_mov_b32 s2, 0x7f800000
	s_waitcnt vmcnt(0)
	v_lshlrev_b32_e32 v2, 24, v2
	v_and_b32_e32 v3, 0x7f000000, v2
	v_ffbh_u32_e32 v7, v3
	v_min_u32_e32 v7, 32, v7
	v_sub_u32_e64 v7, v7, 4 clamp
	v_lshlrev_b32_e32 v10, v7, v3
	v_lshlrev_b32_e32 v7, 23, v7
	v_lshrrev_b32_e32 v10, 4, v10
	v_add_u32_e32 v9, 0x1000000, v3
	v_sub_u32_e32 v7, v10, v7
	v_ashrrev_i32_e32 v9, 8, v9
	v_add_u32_e32 v7, 0x3c000000, v7
	v_and_or_b32 v7, v9, s2, v7
	v_cmp_ne_u32_e32 vcc, 0, v3
	v_cndmask_b32_e32 v3, 0, v7, vcc
	s_brev_b32 s2, 1
	v_and_or_b32 v2, v2, s2, v3
	v_cvt_f64_f32_e32 v[2:3], v2
.LBB86_1734:
	s_mov_b64 s[2:3], 0
.LBB86_1735:
	s_andn2_b64 vcc, exec, s[2:3]
	s_cbranch_vccnz .LBB86_1737
; %bb.1736:
	global_load_ubyte v2, v[4:5], off
	s_movk_i32 s2, 0x7f00
	s_brev_b32 s3, 16
	s_waitcnt vmcnt(0)
	v_lshlrev_b16_e32 v3, 8, v2
	v_lshlrev_b32_e32 v2, 25, v2
	v_lshrrev_b32_e32 v7, 4, v2
	v_and_or_b32 v9, v3, s2, 0.5
	v_or_b32_e32 v7, 0x70000000, v7
	v_add_f32_e32 v9, -0.5, v9
	v_mul_f32_e32 v7, 0x7800000, v7
	v_cmp_gt_u32_e32 vcc, s3, v2
	v_bfe_i32 v3, v3, 0, 16
	v_cndmask_b32_e32 v2, v7, v9, vcc
	s_brev_b32 s2, 1
	v_and_or_b32 v2, v3, s2, v2
	v_cvt_f64_f32_e32 v[2:3], v2
.LBB86_1737:
	s_mov_b64 s[2:3], 0
	s_mov_b64 s[4:5], -1
.LBB86_1738:
	s_andn2_b64 vcc, exec, s[2:3]
	s_mov_b64 s[2:3], 0
	s_cbranch_vccnz .LBB86_1747
; %bb.1739:
	s_cmp_gt_i32 s28, 14
	s_cbranch_scc0 .LBB86_1742
; %bb.1740:
	s_cmp_eq_u32 s28, 15
	s_cbranch_scc0 .LBB86_1743
; %bb.1741:
	global_load_ushort v2, v[4:5], off
	s_mov_b64 s[0:1], 0
	s_mov_b64 s[4:5], -1
	s_waitcnt vmcnt(0)
	v_lshlrev_b32_e32 v2, 16, v2
	v_cvt_f64_f32_e32 v[2:3], v2
	s_branch .LBB86_1744
.LBB86_1742:
	s_mov_b64 s[6:7], -1
                                        ; implicit-def: $vgpr2_vgpr3
	s_branch .LBB86_1745
.LBB86_1743:
	s_mov_b64 s[0:1], -1
                                        ; implicit-def: $vgpr2_vgpr3
.LBB86_1744:
	s_mov_b64 s[6:7], 0
.LBB86_1745:
	s_and_b64 vcc, exec, s[6:7]
	s_cbranch_vccz .LBB86_1747
; %bb.1746:
	s_cmp_lg_u32 s28, 11
	s_mov_b64 s[2:3], -1
	s_cselect_b64 s[0:1], -1, 0
.LBB86_1747:
	s_and_b64 vcc, exec, s[0:1]
	s_cbranch_vccnz .LBB86_1810
; %bb.1748:
	s_andn2_b64 vcc, exec, s[2:3]
	s_cbranch_vccnz .LBB86_1750
.LBB86_1749:
	global_load_ubyte v3, v[4:5], off
	v_mov_b32_e32 v7, 0x3ff00000
	v_mov_b32_e32 v2, 0
	s_mov_b64 s[4:5], -1
	s_waitcnt vmcnt(0)
	v_cmp_ne_u16_e32 vcc, 0, v3
	v_cndmask_b32_e32 v3, 0, v7, vcc
.LBB86_1750:
	s_branch .LBB86_1677
.LBB86_1751:
	s_and_b32 s2, 0xffff, s27
	s_cmp_lt_i32 s2, 5
	s_cbranch_scc1 .LBB86_1756
; %bb.1752:
	s_cmp_lt_i32 s2, 8
	s_cbranch_scc1 .LBB86_1757
; %bb.1753:
	;; [unrolled: 3-line block ×3, first 2 shown]
	s_cmp_gt_i32 s2, 9
	s_cbranch_scc0 .LBB86_1759
; %bb.1755:
	global_load_dwordx2 v[2:3], v[4:5], off
	s_mov_b64 s[0:1], 0
	s_branch .LBB86_1760
.LBB86_1756:
                                        ; implicit-def: $vgpr2_vgpr3
	s_branch .LBB86_1778
.LBB86_1757:
	s_mov_b64 s[0:1], -1
                                        ; implicit-def: $vgpr2_vgpr3
	s_branch .LBB86_1766
.LBB86_1758:
	s_mov_b64 s[0:1], -1
                                        ; implicit-def: $vgpr2_vgpr3
	s_branch .LBB86_1763
.LBB86_1759:
	s_mov_b64 s[0:1], -1
                                        ; implicit-def: $vgpr2_vgpr3
.LBB86_1760:
	s_andn2_b64 vcc, exec, s[0:1]
	s_cbranch_vccnz .LBB86_1762
; %bb.1761:
	global_load_dword v2, v[4:5], off
	s_waitcnt vmcnt(0)
	v_cvt_f64_f32_e32 v[2:3], v2
.LBB86_1762:
	s_mov_b64 s[0:1], 0
.LBB86_1763:
	s_andn2_b64 vcc, exec, s[0:1]
	s_cbranch_vccnz .LBB86_1765
; %bb.1764:
	global_load_dword v2, v[4:5], off
	s_waitcnt vmcnt(0)
	v_cvt_f32_f16_e32 v2, v2
	v_cvt_f64_f32_e32 v[2:3], v2
.LBB86_1765:
	s_mov_b64 s[0:1], 0
.LBB86_1766:
	s_andn2_b64 vcc, exec, s[0:1]
	s_cbranch_vccnz .LBB86_1777
; %bb.1767:
	s_cmp_lt_i32 s2, 6
	s_cbranch_scc1 .LBB86_1770
; %bb.1768:
	s_cmp_gt_i32 s2, 6
	s_cbranch_scc0 .LBB86_1771
; %bb.1769:
	global_load_dwordx2 v[2:3], v[4:5], off
	s_mov_b64 s[0:1], 0
	s_branch .LBB86_1772
.LBB86_1770:
	s_mov_b64 s[0:1], -1
                                        ; implicit-def: $vgpr2_vgpr3
	s_branch .LBB86_1775
.LBB86_1771:
	s_mov_b64 s[0:1], -1
                                        ; implicit-def: $vgpr2_vgpr3
.LBB86_1772:
	s_andn2_b64 vcc, exec, s[0:1]
	s_cbranch_vccnz .LBB86_1774
; %bb.1773:
	global_load_dword v2, v[4:5], off
	s_waitcnt vmcnt(0)
	v_cvt_f64_f32_e32 v[2:3], v2
.LBB86_1774:
	s_mov_b64 s[0:1], 0
.LBB86_1775:
	s_andn2_b64 vcc, exec, s[0:1]
	s_cbranch_vccnz .LBB86_1777
; %bb.1776:
	global_load_ushort v2, v[4:5], off
	s_waitcnt vmcnt(0)
	v_cvt_f32_f16_e32 v2, v2
	v_cvt_f64_f32_e32 v[2:3], v2
.LBB86_1777:
	s_cbranch_execnz .LBB86_1797
.LBB86_1778:
	s_cmp_lt_i32 s2, 2
	s_cbranch_scc1 .LBB86_1782
; %bb.1779:
	s_cmp_lt_i32 s2, 3
	s_cbranch_scc1 .LBB86_1783
; %bb.1780:
	s_cmp_gt_i32 s2, 3
	s_cbranch_scc0 .LBB86_1784
; %bb.1781:
	global_load_dwordx2 v[2:3], v[4:5], off
	s_mov_b64 s[0:1], 0
	s_waitcnt vmcnt(0)
	v_cvt_f64_i32_e32 v[9:10], v3
	v_cvt_f64_u32_e32 v[2:3], v2
	v_ldexp_f64 v[9:10], v[9:10], 32
	v_add_f64 v[2:3], v[9:10], v[2:3]
	s_branch .LBB86_1785
.LBB86_1782:
	s_mov_b64 s[0:1], -1
                                        ; implicit-def: $vgpr2_vgpr3
	s_branch .LBB86_1791
.LBB86_1783:
	s_mov_b64 s[0:1], -1
                                        ; implicit-def: $vgpr2_vgpr3
	s_branch .LBB86_1788
.LBB86_1784:
	s_mov_b64 s[0:1], -1
                                        ; implicit-def: $vgpr2_vgpr3
.LBB86_1785:
	s_andn2_b64 vcc, exec, s[0:1]
	s_cbranch_vccnz .LBB86_1787
; %bb.1786:
	global_load_dword v2, v[4:5], off
	s_waitcnt vmcnt(0)
	v_cvt_f64_i32_e32 v[2:3], v2
.LBB86_1787:
	s_mov_b64 s[0:1], 0
.LBB86_1788:
	s_andn2_b64 vcc, exec, s[0:1]
	s_cbranch_vccnz .LBB86_1790
; %bb.1789:
	global_load_sshort v2, v[4:5], off
	s_waitcnt vmcnt(0)
	v_cvt_f64_i32_e32 v[2:3], v2
.LBB86_1790:
	s_mov_b64 s[0:1], 0
.LBB86_1791:
	s_andn2_b64 vcc, exec, s[0:1]
	s_cbranch_vccnz .LBB86_1797
; %bb.1792:
	s_cmp_gt_i32 s2, 0
	s_cbranch_scc0 .LBB86_1794
; %bb.1793:
	global_load_sbyte v2, v[4:5], off
	s_mov_b64 s[0:1], 0
	s_waitcnt vmcnt(0)
	v_cvt_f64_i32_e32 v[2:3], v2
	s_branch .LBB86_1795
.LBB86_1794:
	s_mov_b64 s[0:1], -1
                                        ; implicit-def: $vgpr2_vgpr3
.LBB86_1795:
	s_andn2_b64 vcc, exec, s[0:1]
	s_cbranch_vccnz .LBB86_1797
; %bb.1796:
	global_load_ubyte v2, v[4:5], off
	s_waitcnt vmcnt(0)
	v_cvt_f64_u32_e32 v[2:3], v2
.LBB86_1797:
.LBB86_1798:
	s_lshl_b32 s13, s13, 7
	v_add_u32_e32 v10, s13, v6
	v_ashrrev_i32_e32 v4, 31, v10
	v_mov_b32_e32 v5, s11
	v_add_co_u32_e32 v6, vcc, s10, v10
	s_cmp_lt_i32 s26, 11
	v_addc_co_u32_e32 v7, vcc, v5, v4, vcc
	s_cbranch_scc1 .LBB86_1805
; %bb.1799:
	s_and_b32 s28, 0xffff, s26
	s_cmp_gt_i32 s28, 25
	s_mov_b64 s[2:3], 0
	s_cbranch_scc0 .LBB86_1807
; %bb.1800:
	s_cmp_gt_i32 s28, 28
	s_cbranch_scc0 .LBB86_1808
; %bb.1801:
	s_cmp_gt_i32 s28, 43
	;; [unrolled: 3-line block ×3, first 2 shown]
	s_cbranch_scc0 .LBB86_1811
; %bb.1803:
	s_cmp_eq_u32 s28, 46
	s_mov_b64 s[6:7], 0
	s_cbranch_scc0 .LBB86_1812
; %bb.1804:
	global_load_dword v4, v[6:7], off
	s_mov_b64 s[0:1], 0
	s_mov_b64 s[4:5], -1
	s_waitcnt vmcnt(0)
	v_lshlrev_b32_e32 v4, 16, v4
	v_cvt_f64_f32_e32 v[4:5], v4
	s_branch .LBB86_1813
.LBB86_1805:
	s_mov_b64 s[4:5], 0
                                        ; implicit-def: $vgpr4_vgpr5
	s_cbranch_execnz .LBB86_1879
.LBB86_1806:
	s_andn2_b64 vcc, exec, s[4:5]
	s_cbranch_vccnz .LBB86_3012
	s_branch .LBB86_1927
.LBB86_1807:
	s_mov_b64 s[6:7], -1
	s_mov_b64 s[4:5], 0
	s_mov_b64 s[0:1], 0
                                        ; implicit-def: $vgpr4_vgpr5
	s_branch .LBB86_1844
.LBB86_1808:
	s_mov_b64 s[6:7], -1
	s_mov_b64 s[4:5], 0
	s_mov_b64 s[0:1], 0
                                        ; implicit-def: $vgpr4_vgpr5
	s_branch .LBB86_1823
.LBB86_1809:
	s_mov_b64 s[6:7], -1
	s_mov_b64 s[4:5], 0
	s_mov_b64 s[0:1], 0
                                        ; implicit-def: $vgpr4_vgpr5
	s_branch .LBB86_1818
.LBB86_1810:
	s_trap 2
	s_or_b64 s[22:23], s[22:23], exec
	s_cbranch_execz .LBB86_1749
	s_branch .LBB86_1750
.LBB86_1811:
	s_mov_b64 s[6:7], -1
	s_mov_b64 s[4:5], 0
	s_mov_b64 s[0:1], 0
                                        ; implicit-def: $vgpr4_vgpr5
	s_branch .LBB86_1813
.LBB86_1812:
	s_mov_b64 s[0:1], -1
                                        ; implicit-def: $vgpr4_vgpr5
	s_mov_b64 s[4:5], 0
.LBB86_1813:
	s_and_b64 vcc, exec, s[6:7]
	s_cbranch_vccz .LBB86_1817
; %bb.1814:
	s_cmp_eq_u32 s28, 44
	s_cbranch_scc0 .LBB86_1816
; %bb.1815:
	global_load_ubyte v9, v[6:7], off
	s_movk_i32 s4, 0xff
	v_bfrev_b32_e32 v11, 4
	v_mov_b32_e32 v12, 0x7ff80000
	v_bfrev_b32_e32 v13, 28
	s_mov_b64 s[0:1], 0
	s_waitcnt vmcnt(0)
	v_lshlrev_b32_e32 v4, 23, v9
	v_cvt_f64_f32_e32 v[4:5], v4
	v_cmp_ne_u32_e32 vcc, s4, v9
	s_mov_b64 s[4:5], -1
	v_cndmask_b32_e32 v4, v11, v4, vcc
	v_cndmask_b32_e32 v5, v12, v5, vcc
	v_cmp_ne_u32_e32 vcc, 0, v9
	v_cndmask_b32_e32 v5, v13, v5, vcc
	v_cndmask_b32_e32 v4, 0, v4, vcc
	s_branch .LBB86_1817
.LBB86_1816:
	s_mov_b64 s[0:1], -1
                                        ; implicit-def: $vgpr4_vgpr5
.LBB86_1817:
	s_mov_b64 s[6:7], 0
.LBB86_1818:
	s_and_b64 vcc, exec, s[6:7]
	s_cbranch_vccz .LBB86_1822
; %bb.1819:
	s_cmp_eq_u32 s28, 29
	s_cbranch_scc0 .LBB86_1821
; %bb.1820:
	global_load_dwordx2 v[4:5], v[6:7], off
	s_mov_b64 s[0:1], 0
	s_mov_b64 s[4:5], -1
	s_mov_b64 s[6:7], 0
	s_waitcnt vmcnt(0)
	v_cvt_f64_u32_e32 v[11:12], v5
	v_cvt_f64_u32_e32 v[4:5], v4
	v_ldexp_f64 v[11:12], v[11:12], 32
	v_add_f64 v[4:5], v[11:12], v[4:5]
	s_branch .LBB86_1823
.LBB86_1821:
	s_mov_b64 s[0:1], -1
                                        ; implicit-def: $vgpr4_vgpr5
.LBB86_1822:
	s_mov_b64 s[6:7], 0
.LBB86_1823:
	s_and_b64 vcc, exec, s[6:7]
	s_cbranch_vccz .LBB86_1843
; %bb.1824:
	s_cmp_lt_i32 s28, 27
	s_cbranch_scc1 .LBB86_1827
; %bb.1825:
	s_cmp_gt_i32 s28, 27
	s_cbranch_scc0 .LBB86_1828
; %bb.1826:
	global_load_dword v4, v[6:7], off
	s_mov_b64 s[4:5], 0
	s_waitcnt vmcnt(0)
	v_cvt_f64_u32_e32 v[4:5], v4
	s_branch .LBB86_1829
.LBB86_1827:
	s_mov_b64 s[4:5], -1
                                        ; implicit-def: $vgpr4_vgpr5
	s_branch .LBB86_1832
.LBB86_1828:
	s_mov_b64 s[4:5], -1
                                        ; implicit-def: $vgpr4_vgpr5
.LBB86_1829:
	s_andn2_b64 vcc, exec, s[4:5]
	s_cbranch_vccnz .LBB86_1831
; %bb.1830:
	global_load_ushort v4, v[6:7], off
	s_waitcnt vmcnt(0)
	v_cvt_f64_u32_e32 v[4:5], v4
.LBB86_1831:
	s_mov_b64 s[4:5], 0
.LBB86_1832:
	s_andn2_b64 vcc, exec, s[4:5]
	s_cbranch_vccnz .LBB86_1842
; %bb.1833:
	global_load_ubyte v9, v[6:7], off
	s_movk_i32 s4, 0x7f
	s_waitcnt vmcnt(0)
	v_cmp_lt_i16_e32 vcc, s4, v9
	s_mov_b64 s[4:5], 0
	s_and_saveexec_b64 s[6:7], vcc
	s_xor_b64 s[6:7], exec, s[6:7]
	s_cbranch_execz .LBB86_1837
; %bb.1834:
	s_movk_i32 s4, 0x80
	v_cmp_eq_u16_e32 vcc, s4, v9
	s_mov_b64 s[4:5], -1
	s_and_saveexec_b64 s[24:25], vcc
; %bb.1835:
	s_xor_b64 s[4:5], exec, -1
; %bb.1836:
	s_or_b64 exec, exec, s[24:25]
	s_and_b64 s[4:5], s[4:5], exec
.LBB86_1837:
	s_or_saveexec_b64 s[6:7], s[6:7]
	v_bfrev_b32_e32 v4, 4
	v_mov_b32_e32 v5, 0x7ff80000
	s_xor_b64 exec, exec, s[6:7]
; %bb.1838:
	v_cmp_ne_u16_e32 vcc, 0, v9
	v_mov_b32_e32 v4, 0
	s_andn2_b64 s[4:5], s[4:5], exec
	s_and_b64 s[24:25], vcc, exec
	v_mov_b32_e32 v5, 0
	s_or_b64 s[4:5], s[4:5], s[24:25]
; %bb.1839:
	s_or_b64 exec, exec, s[6:7]
	s_and_saveexec_b64 s[6:7], s[4:5]
	s_cbranch_execz .LBB86_1841
; %bb.1840:
	v_and_b32_e32 v5, 0xffff, v9
	v_lshlrev_b32_e32 v4, 24, v9
	v_and_b32_e32 v9, 7, v5
	v_ffbh_u32_e32 v12, v9
	v_min_u32_e32 v12, 32, v12
	v_subrev_u32_e32 v13, 28, v12
	v_bfe_u32 v11, v5, 3, 4
	v_lshlrev_b32_e32 v5, v13, v5
	v_sub_u32_e32 v12, 29, v12
	v_and_b32_e32 v5, 7, v5
	v_cmp_eq_u32_e32 vcc, 0, v11
	v_cndmask_b32_e32 v11, v11, v12, vcc
	v_cndmask_b32_e32 v5, v9, v5, vcc
	v_mov_b32_e32 v9, 0x3b800000
	v_lshlrev_b32_e32 v5, 20, v5
	v_and_b32_e32 v4, 0x80000000, v4
	v_lshl_add_u32 v9, v11, 23, v9
	v_or3_b32 v4, v4, v9, v5
	v_cvt_f64_f32_e32 v[4:5], v4
.LBB86_1841:
	s_or_b64 exec, exec, s[6:7]
.LBB86_1842:
	s_mov_b64 s[4:5], -1
.LBB86_1843:
	s_mov_b64 s[6:7], 0
.LBB86_1844:
	s_and_b64 vcc, exec, s[6:7]
	s_cbranch_vccz .LBB86_1875
; %bb.1845:
	s_cmp_gt_i32 s28, 22
	s_cbranch_scc0 .LBB86_1857
; %bb.1846:
	s_cmp_lt_i32 s28, 24
	s_cbranch_scc1 .LBB86_1858
; %bb.1847:
	s_cmp_gt_i32 s28, 24
	s_cbranch_scc0 .LBB86_1859
; %bb.1848:
	global_load_ubyte v9, v[6:7], off
	s_movk_i32 s2, 0x7f
	s_waitcnt vmcnt(0)
	v_cmp_lt_i16_e32 vcc, s2, v9
	s_mov_b64 s[2:3], 0
	s_and_saveexec_b64 s[4:5], vcc
	s_xor_b64 s[4:5], exec, s[4:5]
	s_cbranch_execz .LBB86_1852
; %bb.1849:
	s_movk_i32 s2, 0x80
	v_cmp_eq_u16_e32 vcc, s2, v9
	s_mov_b64 s[2:3], -1
	s_and_saveexec_b64 s[6:7], vcc
; %bb.1850:
	s_xor_b64 s[2:3], exec, -1
; %bb.1851:
	s_or_b64 exec, exec, s[6:7]
	s_and_b64 s[2:3], s[2:3], exec
.LBB86_1852:
	s_or_saveexec_b64 s[4:5], s[4:5]
	v_bfrev_b32_e32 v4, 4
	v_mov_b32_e32 v5, 0x7ff80000
	s_xor_b64 exec, exec, s[4:5]
; %bb.1853:
	v_cmp_ne_u16_e32 vcc, 0, v9
	v_mov_b32_e32 v4, 0
	s_andn2_b64 s[2:3], s[2:3], exec
	s_and_b64 s[6:7], vcc, exec
	v_mov_b32_e32 v5, 0
	s_or_b64 s[2:3], s[2:3], s[6:7]
; %bb.1854:
	s_or_b64 exec, exec, s[4:5]
	s_and_saveexec_b64 s[4:5], s[2:3]
	s_cbranch_execz .LBB86_1856
; %bb.1855:
	v_and_b32_e32 v5, 0xffff, v9
	v_lshlrev_b32_e32 v4, 24, v9
	v_and_b32_e32 v9, 3, v5
	v_ffbh_u32_e32 v12, v9
	v_min_u32_e32 v12, 32, v12
	v_subrev_u32_e32 v13, 29, v12
	v_bfe_u32 v11, v5, 2, 5
	v_lshlrev_b32_e32 v5, v13, v5
	v_sub_u32_e32 v12, 30, v12
	v_and_b32_e32 v5, 3, v5
	v_cmp_eq_u32_e32 vcc, 0, v11
	v_cndmask_b32_e32 v11, v11, v12, vcc
	v_cndmask_b32_e32 v5, v9, v5, vcc
	v_mov_b32_e32 v9, 0x37800000
	v_lshlrev_b32_e32 v5, 21, v5
	v_and_b32_e32 v4, 0x80000000, v4
	v_lshl_add_u32 v9, v11, 23, v9
	v_or3_b32 v4, v4, v9, v5
	v_cvt_f64_f32_e32 v[4:5], v4
.LBB86_1856:
	s_or_b64 exec, exec, s[4:5]
	s_mov_b64 s[2:3], 0
	s_branch .LBB86_1860
.LBB86_1857:
	s_mov_b64 s[2:3], -1
                                        ; implicit-def: $vgpr4_vgpr5
	s_branch .LBB86_1866
.LBB86_1858:
	s_mov_b64 s[2:3], -1
                                        ; implicit-def: $vgpr4_vgpr5
	s_branch .LBB86_1863
.LBB86_1859:
	s_mov_b64 s[2:3], -1
                                        ; implicit-def: $vgpr4_vgpr5
.LBB86_1860:
	s_and_b64 vcc, exec, s[2:3]
	s_cbranch_vccz .LBB86_1862
; %bb.1861:
	global_load_ubyte v4, v[6:7], off
	s_mov_b32 s2, 0x7f800000
	s_waitcnt vmcnt(0)
	v_lshlrev_b32_e32 v4, 24, v4
	v_and_b32_e32 v5, 0x7f000000, v4
	v_ffbh_u32_e32 v9, v5
	v_min_u32_e32 v9, 32, v9
	v_sub_u32_e64 v9, v9, 4 clamp
	v_lshlrev_b32_e32 v12, v9, v5
	v_lshlrev_b32_e32 v9, 23, v9
	v_lshrrev_b32_e32 v12, 4, v12
	v_add_u32_e32 v11, 0x1000000, v5
	v_sub_u32_e32 v9, v12, v9
	v_ashrrev_i32_e32 v11, 8, v11
	v_add_u32_e32 v9, 0x3c000000, v9
	v_and_or_b32 v9, v11, s2, v9
	v_cmp_ne_u32_e32 vcc, 0, v5
	v_cndmask_b32_e32 v5, 0, v9, vcc
	s_brev_b32 s2, 1
	v_and_or_b32 v4, v4, s2, v5
	v_cvt_f64_f32_e32 v[4:5], v4
.LBB86_1862:
	s_mov_b64 s[2:3], 0
.LBB86_1863:
	s_andn2_b64 vcc, exec, s[2:3]
	s_cbranch_vccnz .LBB86_1865
; %bb.1864:
	global_load_ubyte v4, v[6:7], off
	s_movk_i32 s2, 0x7f00
	s_brev_b32 s3, 16
	s_waitcnt vmcnt(0)
	v_lshlrev_b16_e32 v5, 8, v4
	v_lshlrev_b32_e32 v4, 25, v4
	v_lshrrev_b32_e32 v9, 4, v4
	v_and_or_b32 v11, v5, s2, 0.5
	v_or_b32_e32 v9, 0x70000000, v9
	v_add_f32_e32 v11, -0.5, v11
	v_mul_f32_e32 v9, 0x7800000, v9
	v_cmp_gt_u32_e32 vcc, s3, v4
	v_bfe_i32 v5, v5, 0, 16
	v_cndmask_b32_e32 v4, v9, v11, vcc
	s_brev_b32 s2, 1
	v_and_or_b32 v4, v5, s2, v4
	v_cvt_f64_f32_e32 v[4:5], v4
.LBB86_1865:
	s_mov_b64 s[2:3], 0
	s_mov_b64 s[4:5], -1
.LBB86_1866:
	s_andn2_b64 vcc, exec, s[2:3]
	s_mov_b64 s[2:3], 0
	s_cbranch_vccnz .LBB86_1875
; %bb.1867:
	s_cmp_gt_i32 s28, 14
	s_cbranch_scc0 .LBB86_1870
; %bb.1868:
	s_cmp_eq_u32 s28, 15
	s_cbranch_scc0 .LBB86_1871
; %bb.1869:
	global_load_ushort v4, v[6:7], off
	s_mov_b64 s[0:1], 0
	s_mov_b64 s[4:5], -1
	s_waitcnt vmcnt(0)
	v_lshlrev_b32_e32 v4, 16, v4
	v_cvt_f64_f32_e32 v[4:5], v4
	s_branch .LBB86_1872
.LBB86_1870:
	s_mov_b64 s[6:7], -1
                                        ; implicit-def: $vgpr4_vgpr5
	s_branch .LBB86_1873
.LBB86_1871:
	s_mov_b64 s[0:1], -1
                                        ; implicit-def: $vgpr4_vgpr5
.LBB86_1872:
	s_mov_b64 s[6:7], 0
.LBB86_1873:
	s_and_b64 vcc, exec, s[6:7]
	s_cbranch_vccz .LBB86_1875
; %bb.1874:
	s_cmp_lg_u32 s28, 11
	s_mov_b64 s[2:3], -1
	s_cselect_b64 s[0:1], -1, 0
.LBB86_1875:
	s_and_b64 vcc, exec, s[0:1]
	s_cbranch_vccnz .LBB86_1938
; %bb.1876:
	s_andn2_b64 vcc, exec, s[2:3]
	s_cbranch_vccnz .LBB86_1878
.LBB86_1877:
	global_load_ubyte v5, v[6:7], off
	v_mov_b32_e32 v9, 0x3ff00000
	v_mov_b32_e32 v4, 0
	s_mov_b64 s[4:5], -1
	s_waitcnt vmcnt(0)
	v_cmp_ne_u16_e32 vcc, 0, v5
	v_cndmask_b32_e32 v5, 0, v9, vcc
.LBB86_1878:
	s_branch .LBB86_1806
.LBB86_1879:
	s_and_b32 s2, 0xffff, s26
	s_cmp_lt_i32 s2, 5
	s_cbranch_scc1 .LBB86_1884
; %bb.1880:
	s_cmp_lt_i32 s2, 8
	s_cbranch_scc1 .LBB86_1885
; %bb.1881:
	;; [unrolled: 3-line block ×3, first 2 shown]
	s_cmp_gt_i32 s2, 9
	s_cbranch_scc0 .LBB86_1887
; %bb.1883:
	global_load_dwordx2 v[4:5], v[6:7], off
	s_mov_b64 s[0:1], 0
	s_branch .LBB86_1888
.LBB86_1884:
	s_mov_b64 s[0:1], -1
                                        ; implicit-def: $vgpr4_vgpr5
	s_branch .LBB86_1906
.LBB86_1885:
	s_mov_b64 s[0:1], -1
                                        ; implicit-def: $vgpr4_vgpr5
	s_branch .LBB86_1894
.LBB86_1886:
	s_mov_b64 s[0:1], -1
                                        ; implicit-def: $vgpr4_vgpr5
	s_branch .LBB86_1891
.LBB86_1887:
	s_mov_b64 s[0:1], -1
                                        ; implicit-def: $vgpr4_vgpr5
.LBB86_1888:
	s_andn2_b64 vcc, exec, s[0:1]
	s_cbranch_vccnz .LBB86_1890
; %bb.1889:
	global_load_dword v4, v[6:7], off
	s_waitcnt vmcnt(0)
	v_cvt_f64_f32_e32 v[4:5], v4
.LBB86_1890:
	s_mov_b64 s[0:1], 0
.LBB86_1891:
	s_andn2_b64 vcc, exec, s[0:1]
	s_cbranch_vccnz .LBB86_1893
; %bb.1892:
	global_load_dword v4, v[6:7], off
	s_waitcnt vmcnt(0)
	v_cvt_f32_f16_e32 v4, v4
	v_cvt_f64_f32_e32 v[4:5], v4
.LBB86_1893:
	s_mov_b64 s[0:1], 0
.LBB86_1894:
	s_andn2_b64 vcc, exec, s[0:1]
	s_cbranch_vccnz .LBB86_1905
; %bb.1895:
	s_cmp_lt_i32 s2, 6
	s_cbranch_scc1 .LBB86_1898
; %bb.1896:
	s_cmp_gt_i32 s2, 6
	s_cbranch_scc0 .LBB86_1899
; %bb.1897:
	global_load_dwordx2 v[4:5], v[6:7], off
	s_mov_b64 s[0:1], 0
	s_branch .LBB86_1900
.LBB86_1898:
	s_mov_b64 s[0:1], -1
                                        ; implicit-def: $vgpr4_vgpr5
	s_branch .LBB86_1903
.LBB86_1899:
	s_mov_b64 s[0:1], -1
                                        ; implicit-def: $vgpr4_vgpr5
.LBB86_1900:
	s_andn2_b64 vcc, exec, s[0:1]
	s_cbranch_vccnz .LBB86_1902
; %bb.1901:
	global_load_dword v4, v[6:7], off
	s_waitcnt vmcnt(0)
	v_cvt_f64_f32_e32 v[4:5], v4
.LBB86_1902:
	s_mov_b64 s[0:1], 0
.LBB86_1903:
	s_andn2_b64 vcc, exec, s[0:1]
	s_cbranch_vccnz .LBB86_1905
; %bb.1904:
	global_load_ushort v4, v[6:7], off
	s_waitcnt vmcnt(0)
	v_cvt_f32_f16_e32 v4, v4
	v_cvt_f64_f32_e32 v[4:5], v4
.LBB86_1905:
	s_mov_b64 s[0:1], 0
.LBB86_1906:
	s_andn2_b64 vcc, exec, s[0:1]
	s_cbranch_vccnz .LBB86_1926
; %bb.1907:
	s_cmp_lt_i32 s2, 2
	s_cbranch_scc1 .LBB86_1911
; %bb.1908:
	s_cmp_lt_i32 s2, 3
	s_cbranch_scc1 .LBB86_1912
; %bb.1909:
	s_cmp_gt_i32 s2, 3
	s_cbranch_scc0 .LBB86_1913
; %bb.1910:
	global_load_dwordx2 v[4:5], v[6:7], off
	s_mov_b64 s[0:1], 0
	s_waitcnt vmcnt(0)
	v_cvt_f64_i32_e32 v[11:12], v5
	v_cvt_f64_u32_e32 v[4:5], v4
	v_ldexp_f64 v[11:12], v[11:12], 32
	v_add_f64 v[4:5], v[11:12], v[4:5]
	s_branch .LBB86_1914
.LBB86_1911:
	s_mov_b64 s[0:1], -1
                                        ; implicit-def: $vgpr4_vgpr5
	s_branch .LBB86_1920
.LBB86_1912:
	s_mov_b64 s[0:1], -1
                                        ; implicit-def: $vgpr4_vgpr5
	s_branch .LBB86_1917
.LBB86_1913:
	s_mov_b64 s[0:1], -1
                                        ; implicit-def: $vgpr4_vgpr5
.LBB86_1914:
	s_andn2_b64 vcc, exec, s[0:1]
	s_cbranch_vccnz .LBB86_1916
; %bb.1915:
	global_load_dword v4, v[6:7], off
	s_waitcnt vmcnt(0)
	v_cvt_f64_i32_e32 v[4:5], v4
.LBB86_1916:
	s_mov_b64 s[0:1], 0
.LBB86_1917:
	s_andn2_b64 vcc, exec, s[0:1]
	s_cbranch_vccnz .LBB86_1919
; %bb.1918:
	global_load_sshort v4, v[6:7], off
	s_waitcnt vmcnt(0)
	v_cvt_f64_i32_e32 v[4:5], v4
.LBB86_1919:
	s_mov_b64 s[0:1], 0
.LBB86_1920:
	s_andn2_b64 vcc, exec, s[0:1]
	s_cbranch_vccnz .LBB86_1926
; %bb.1921:
	s_cmp_gt_i32 s2, 0
	s_cbranch_scc0 .LBB86_1923
; %bb.1922:
	global_load_sbyte v4, v[6:7], off
	s_mov_b64 s[0:1], 0
	s_waitcnt vmcnt(0)
	v_cvt_f64_i32_e32 v[4:5], v4
	s_branch .LBB86_1924
.LBB86_1923:
	s_mov_b64 s[0:1], -1
                                        ; implicit-def: $vgpr4_vgpr5
.LBB86_1924:
	s_andn2_b64 vcc, exec, s[0:1]
	s_cbranch_vccnz .LBB86_1926
; %bb.1925:
	global_load_ubyte v4, v[6:7], off
	s_waitcnt vmcnt(0)
	v_cvt_f64_u32_e32 v[4:5], v4
.LBB86_1926:
.LBB86_1927:
	s_lshl_b32 s14, s14, 7
	v_add_u32_e32 v12, s14, v8
	v_ashrrev_i32_e32 v6, 31, v12
	v_mov_b32_e32 v7, s17
	v_add_co_u32_e32 v8, vcc, s16, v12
	s_cmp_lt_i32 s27, 11
	v_addc_co_u32_e32 v9, vcc, v7, v6, vcc
	s_cbranch_scc1 .LBB86_1934
; %bb.1928:
	s_and_b32 s28, 0xffff, s27
	s_cmp_gt_i32 s28, 25
	s_mov_b64 s[2:3], 0
	s_cbranch_scc0 .LBB86_1935
; %bb.1929:
	s_cmp_gt_i32 s28, 28
	s_cbranch_scc0 .LBB86_1936
; %bb.1930:
	s_cmp_gt_i32 s28, 43
	;; [unrolled: 3-line block ×3, first 2 shown]
	s_cbranch_scc0 .LBB86_1939
; %bb.1932:
	s_cmp_eq_u32 s28, 46
	s_mov_b64 s[6:7], 0
	s_cbranch_scc0 .LBB86_1940
; %bb.1933:
	global_load_dword v6, v[8:9], off
	s_mov_b64 s[0:1], 0
	s_mov_b64 s[4:5], -1
	s_waitcnt vmcnt(0)
	v_lshlrev_b32_e32 v6, 16, v6
	v_cvt_f64_f32_e32 v[6:7], v6
	s_branch .LBB86_1941
.LBB86_1934:
	s_mov_b64 s[0:1], -1
	s_mov_b64 s[4:5], 0
                                        ; implicit-def: $vgpr6_vgpr7
	s_branch .LBB86_2007
.LBB86_1935:
	s_mov_b64 s[6:7], -1
	s_mov_b64 s[4:5], 0
	s_mov_b64 s[0:1], 0
                                        ; implicit-def: $vgpr6_vgpr7
	s_branch .LBB86_1972
.LBB86_1936:
	s_mov_b64 s[6:7], -1
	s_mov_b64 s[4:5], 0
	s_mov_b64 s[0:1], 0
                                        ; implicit-def: $vgpr6_vgpr7
	s_branch .LBB86_1951
.LBB86_1937:
	s_mov_b64 s[6:7], -1
	s_mov_b64 s[4:5], 0
	s_mov_b64 s[0:1], 0
                                        ; implicit-def: $vgpr6_vgpr7
	s_branch .LBB86_1946
.LBB86_1938:
	s_trap 2
	s_or_b64 s[22:23], s[22:23], exec
	s_cbranch_execz .LBB86_1877
	s_branch .LBB86_1878
.LBB86_1939:
	s_mov_b64 s[6:7], -1
	s_mov_b64 s[4:5], 0
	s_mov_b64 s[0:1], 0
                                        ; implicit-def: $vgpr6_vgpr7
	s_branch .LBB86_1941
.LBB86_1940:
	s_mov_b64 s[0:1], -1
                                        ; implicit-def: $vgpr6_vgpr7
	s_mov_b64 s[4:5], 0
.LBB86_1941:
	s_and_b64 vcc, exec, s[6:7]
	s_cbranch_vccz .LBB86_1945
; %bb.1942:
	s_cmp_eq_u32 s28, 44
	s_cbranch_scc0 .LBB86_1944
; %bb.1943:
	global_load_ubyte v11, v[8:9], off
	s_movk_i32 s4, 0xff
	v_bfrev_b32_e32 v13, 4
	v_mov_b32_e32 v14, 0x7ff80000
	v_bfrev_b32_e32 v15, 28
	s_mov_b64 s[0:1], 0
	s_waitcnt vmcnt(0)
	v_lshlrev_b32_e32 v6, 23, v11
	v_cvt_f64_f32_e32 v[6:7], v6
	v_cmp_ne_u32_e32 vcc, s4, v11
	s_mov_b64 s[4:5], -1
	v_cndmask_b32_e32 v6, v13, v6, vcc
	v_cndmask_b32_e32 v7, v14, v7, vcc
	v_cmp_ne_u32_e32 vcc, 0, v11
	v_cndmask_b32_e32 v7, v15, v7, vcc
	v_cndmask_b32_e32 v6, 0, v6, vcc
	s_branch .LBB86_1945
.LBB86_1944:
	s_mov_b64 s[0:1], -1
                                        ; implicit-def: $vgpr6_vgpr7
.LBB86_1945:
	s_mov_b64 s[6:7], 0
.LBB86_1946:
	s_and_b64 vcc, exec, s[6:7]
	s_cbranch_vccz .LBB86_1950
; %bb.1947:
	s_cmp_eq_u32 s28, 29
	s_cbranch_scc0 .LBB86_1949
; %bb.1948:
	global_load_dwordx2 v[6:7], v[8:9], off
	s_mov_b64 s[0:1], 0
	s_mov_b64 s[4:5], -1
	s_mov_b64 s[6:7], 0
	s_waitcnt vmcnt(0)
	v_cvt_f64_u32_e32 v[13:14], v7
	v_cvt_f64_u32_e32 v[6:7], v6
	v_ldexp_f64 v[13:14], v[13:14], 32
	v_add_f64 v[6:7], v[13:14], v[6:7]
	s_branch .LBB86_1951
.LBB86_1949:
	s_mov_b64 s[0:1], -1
                                        ; implicit-def: $vgpr6_vgpr7
.LBB86_1950:
	s_mov_b64 s[6:7], 0
.LBB86_1951:
	s_and_b64 vcc, exec, s[6:7]
	s_cbranch_vccz .LBB86_1971
; %bb.1952:
	s_cmp_lt_i32 s28, 27
	s_cbranch_scc1 .LBB86_1955
; %bb.1953:
	s_cmp_gt_i32 s28, 27
	s_cbranch_scc0 .LBB86_1956
; %bb.1954:
	global_load_dword v6, v[8:9], off
	s_mov_b64 s[4:5], 0
	s_waitcnt vmcnt(0)
	v_cvt_f64_u32_e32 v[6:7], v6
	s_branch .LBB86_1957
.LBB86_1955:
	s_mov_b64 s[4:5], -1
                                        ; implicit-def: $vgpr6_vgpr7
	s_branch .LBB86_1960
.LBB86_1956:
	s_mov_b64 s[4:5], -1
                                        ; implicit-def: $vgpr6_vgpr7
.LBB86_1957:
	s_andn2_b64 vcc, exec, s[4:5]
	s_cbranch_vccnz .LBB86_1959
; %bb.1958:
	global_load_ushort v6, v[8:9], off
	s_waitcnt vmcnt(0)
	v_cvt_f64_u32_e32 v[6:7], v6
.LBB86_1959:
	s_mov_b64 s[4:5], 0
.LBB86_1960:
	s_andn2_b64 vcc, exec, s[4:5]
	s_cbranch_vccnz .LBB86_1970
; %bb.1961:
	global_load_ubyte v11, v[8:9], off
	s_movk_i32 s4, 0x7f
	s_waitcnt vmcnt(0)
	v_cmp_lt_i16_e32 vcc, s4, v11
	s_mov_b64 s[4:5], 0
	s_and_saveexec_b64 s[6:7], vcc
	s_xor_b64 s[6:7], exec, s[6:7]
	s_cbranch_execz .LBB86_1965
; %bb.1962:
	s_movk_i32 s4, 0x80
	v_cmp_eq_u16_e32 vcc, s4, v11
	s_mov_b64 s[4:5], -1
	s_and_saveexec_b64 s[24:25], vcc
; %bb.1963:
	s_xor_b64 s[4:5], exec, -1
; %bb.1964:
	s_or_b64 exec, exec, s[24:25]
	s_and_b64 s[4:5], s[4:5], exec
.LBB86_1965:
	s_or_saveexec_b64 s[6:7], s[6:7]
	v_bfrev_b32_e32 v6, 4
	v_mov_b32_e32 v7, 0x7ff80000
	s_xor_b64 exec, exec, s[6:7]
; %bb.1966:
	v_cmp_ne_u16_e32 vcc, 0, v11
	v_mov_b32_e32 v6, 0
	s_andn2_b64 s[4:5], s[4:5], exec
	s_and_b64 s[24:25], vcc, exec
	v_mov_b32_e32 v7, 0
	s_or_b64 s[4:5], s[4:5], s[24:25]
; %bb.1967:
	s_or_b64 exec, exec, s[6:7]
	s_and_saveexec_b64 s[6:7], s[4:5]
	s_cbranch_execz .LBB86_1969
; %bb.1968:
	v_and_b32_e32 v7, 0xffff, v11
	v_lshlrev_b32_e32 v6, 24, v11
	v_and_b32_e32 v11, 7, v7
	v_ffbh_u32_e32 v14, v11
	v_min_u32_e32 v14, 32, v14
	v_subrev_u32_e32 v15, 28, v14
	v_bfe_u32 v13, v7, 3, 4
	v_lshlrev_b32_e32 v7, v15, v7
	v_sub_u32_e32 v14, 29, v14
	v_and_b32_e32 v7, 7, v7
	v_cmp_eq_u32_e32 vcc, 0, v13
	v_cndmask_b32_e32 v13, v13, v14, vcc
	v_cndmask_b32_e32 v7, v11, v7, vcc
	v_mov_b32_e32 v11, 0x3b800000
	v_lshlrev_b32_e32 v7, 20, v7
	v_and_b32_e32 v6, 0x80000000, v6
	v_lshl_add_u32 v11, v13, 23, v11
	v_or3_b32 v6, v6, v11, v7
	v_cvt_f64_f32_e32 v[6:7], v6
.LBB86_1969:
	s_or_b64 exec, exec, s[6:7]
.LBB86_1970:
	s_mov_b64 s[4:5], -1
.LBB86_1971:
	s_mov_b64 s[6:7], 0
.LBB86_1972:
	s_and_b64 vcc, exec, s[6:7]
	s_cbranch_vccz .LBB86_2003
; %bb.1973:
	s_cmp_gt_i32 s28, 22
	s_cbranch_scc0 .LBB86_1985
; %bb.1974:
	s_cmp_lt_i32 s28, 24
	s_cbranch_scc1 .LBB86_1986
; %bb.1975:
	s_cmp_gt_i32 s28, 24
	s_cbranch_scc0 .LBB86_1987
; %bb.1976:
	global_load_ubyte v11, v[8:9], off
	s_movk_i32 s2, 0x7f
	s_waitcnt vmcnt(0)
	v_cmp_lt_i16_e32 vcc, s2, v11
	s_mov_b64 s[2:3], 0
	s_and_saveexec_b64 s[4:5], vcc
	s_xor_b64 s[4:5], exec, s[4:5]
	s_cbranch_execz .LBB86_1980
; %bb.1977:
	s_movk_i32 s2, 0x80
	v_cmp_eq_u16_e32 vcc, s2, v11
	s_mov_b64 s[2:3], -1
	s_and_saveexec_b64 s[6:7], vcc
; %bb.1978:
	s_xor_b64 s[2:3], exec, -1
; %bb.1979:
	s_or_b64 exec, exec, s[6:7]
	s_and_b64 s[2:3], s[2:3], exec
.LBB86_1980:
	s_or_saveexec_b64 s[4:5], s[4:5]
	v_bfrev_b32_e32 v6, 4
	v_mov_b32_e32 v7, 0x7ff80000
	s_xor_b64 exec, exec, s[4:5]
; %bb.1981:
	v_cmp_ne_u16_e32 vcc, 0, v11
	v_mov_b32_e32 v6, 0
	s_andn2_b64 s[2:3], s[2:3], exec
	s_and_b64 s[6:7], vcc, exec
	v_mov_b32_e32 v7, 0
	s_or_b64 s[2:3], s[2:3], s[6:7]
; %bb.1982:
	s_or_b64 exec, exec, s[4:5]
	s_and_saveexec_b64 s[4:5], s[2:3]
	s_cbranch_execz .LBB86_1984
; %bb.1983:
	v_and_b32_e32 v7, 0xffff, v11
	v_lshlrev_b32_e32 v6, 24, v11
	v_and_b32_e32 v11, 3, v7
	v_ffbh_u32_e32 v14, v11
	v_min_u32_e32 v14, 32, v14
	v_subrev_u32_e32 v15, 29, v14
	v_bfe_u32 v13, v7, 2, 5
	v_lshlrev_b32_e32 v7, v15, v7
	v_sub_u32_e32 v14, 30, v14
	v_and_b32_e32 v7, 3, v7
	v_cmp_eq_u32_e32 vcc, 0, v13
	v_cndmask_b32_e32 v13, v13, v14, vcc
	v_cndmask_b32_e32 v7, v11, v7, vcc
	v_mov_b32_e32 v11, 0x37800000
	v_lshlrev_b32_e32 v7, 21, v7
	v_and_b32_e32 v6, 0x80000000, v6
	v_lshl_add_u32 v11, v13, 23, v11
	v_or3_b32 v6, v6, v11, v7
	v_cvt_f64_f32_e32 v[6:7], v6
.LBB86_1984:
	s_or_b64 exec, exec, s[4:5]
	s_mov_b64 s[2:3], 0
	s_branch .LBB86_1988
.LBB86_1985:
	s_mov_b64 s[2:3], -1
                                        ; implicit-def: $vgpr6_vgpr7
	s_branch .LBB86_1994
.LBB86_1986:
	s_mov_b64 s[2:3], -1
                                        ; implicit-def: $vgpr6_vgpr7
	s_branch .LBB86_1991
.LBB86_1987:
	s_mov_b64 s[2:3], -1
                                        ; implicit-def: $vgpr6_vgpr7
.LBB86_1988:
	s_and_b64 vcc, exec, s[2:3]
	s_cbranch_vccz .LBB86_1990
; %bb.1989:
	global_load_ubyte v6, v[8:9], off
	s_mov_b32 s2, 0x7f800000
	s_waitcnt vmcnt(0)
	v_lshlrev_b32_e32 v6, 24, v6
	v_and_b32_e32 v7, 0x7f000000, v6
	v_ffbh_u32_e32 v11, v7
	v_min_u32_e32 v11, 32, v11
	v_sub_u32_e64 v11, v11, 4 clamp
	v_lshlrev_b32_e32 v14, v11, v7
	v_lshlrev_b32_e32 v11, 23, v11
	v_lshrrev_b32_e32 v14, 4, v14
	v_add_u32_e32 v13, 0x1000000, v7
	v_sub_u32_e32 v11, v14, v11
	v_ashrrev_i32_e32 v13, 8, v13
	v_add_u32_e32 v11, 0x3c000000, v11
	v_and_or_b32 v11, v13, s2, v11
	v_cmp_ne_u32_e32 vcc, 0, v7
	v_cndmask_b32_e32 v7, 0, v11, vcc
	s_brev_b32 s2, 1
	v_and_or_b32 v6, v6, s2, v7
	v_cvt_f64_f32_e32 v[6:7], v6
.LBB86_1990:
	s_mov_b64 s[2:3], 0
.LBB86_1991:
	s_andn2_b64 vcc, exec, s[2:3]
	s_cbranch_vccnz .LBB86_1993
; %bb.1992:
	global_load_ubyte v6, v[8:9], off
	s_movk_i32 s2, 0x7f00
	s_brev_b32 s3, 16
	s_waitcnt vmcnt(0)
	v_lshlrev_b16_e32 v7, 8, v6
	v_lshlrev_b32_e32 v6, 25, v6
	v_lshrrev_b32_e32 v11, 4, v6
	v_and_or_b32 v13, v7, s2, 0.5
	v_or_b32_e32 v11, 0x70000000, v11
	v_add_f32_e32 v13, -0.5, v13
	v_mul_f32_e32 v11, 0x7800000, v11
	v_cmp_gt_u32_e32 vcc, s3, v6
	v_bfe_i32 v7, v7, 0, 16
	v_cndmask_b32_e32 v6, v11, v13, vcc
	s_brev_b32 s2, 1
	v_and_or_b32 v6, v7, s2, v6
	v_cvt_f64_f32_e32 v[6:7], v6
.LBB86_1993:
	s_mov_b64 s[2:3], 0
	s_mov_b64 s[4:5], -1
.LBB86_1994:
	s_andn2_b64 vcc, exec, s[2:3]
	s_mov_b64 s[2:3], 0
	s_cbranch_vccnz .LBB86_2003
; %bb.1995:
	s_cmp_gt_i32 s28, 14
	s_cbranch_scc0 .LBB86_1998
; %bb.1996:
	s_cmp_eq_u32 s28, 15
	s_cbranch_scc0 .LBB86_1999
; %bb.1997:
	global_load_ushort v6, v[8:9], off
	s_mov_b64 s[0:1], 0
	s_mov_b64 s[4:5], -1
	s_waitcnt vmcnt(0)
	v_lshlrev_b32_e32 v6, 16, v6
	v_cvt_f64_f32_e32 v[6:7], v6
	s_branch .LBB86_2000
.LBB86_1998:
	s_mov_b64 s[6:7], -1
                                        ; implicit-def: $vgpr6_vgpr7
	s_branch .LBB86_2001
.LBB86_1999:
	s_mov_b64 s[0:1], -1
                                        ; implicit-def: $vgpr6_vgpr7
.LBB86_2000:
	s_mov_b64 s[6:7], 0
.LBB86_2001:
	s_and_b64 vcc, exec, s[6:7]
	s_cbranch_vccz .LBB86_2003
; %bb.2002:
	s_cmp_lg_u32 s28, 11
	s_mov_b64 s[2:3], -1
	s_cselect_b64 s[0:1], -1, 0
.LBB86_2003:
	s_and_b64 vcc, exec, s[0:1]
	s_cbranch_vccnz .LBB86_2068
; %bb.2004:
	s_andn2_b64 vcc, exec, s[2:3]
	s_cbranch_vccnz .LBB86_2006
.LBB86_2005:
	global_load_ubyte v7, v[8:9], off
	v_mov_b32_e32 v11, 0x3ff00000
	v_mov_b32_e32 v6, 0
	s_mov_b64 s[4:5], -1
	s_waitcnt vmcnt(0)
	v_cmp_ne_u16_e32 vcc, 0, v7
	v_cndmask_b32_e32 v7, 0, v11, vcc
.LBB86_2006:
	s_mov_b64 s[0:1], 0
.LBB86_2007:
	s_and_b64 vcc, exec, s[0:1]
	s_cbranch_vccz .LBB86_2056
; %bb.2008:
	s_and_b32 s2, 0xffff, s27
	s_cmp_lt_i32 s2, 5
	s_cbranch_scc1 .LBB86_2013
; %bb.2009:
	s_cmp_lt_i32 s2, 8
	s_cbranch_scc1 .LBB86_2014
; %bb.2010:
	;; [unrolled: 3-line block ×3, first 2 shown]
	s_cmp_gt_i32 s2, 9
	s_cbranch_scc0 .LBB86_2016
; %bb.2012:
	global_load_dwordx2 v[6:7], v[8:9], off
	s_mov_b64 s[0:1], 0
	s_branch .LBB86_2017
.LBB86_2013:
	s_mov_b64 s[0:1], -1
                                        ; implicit-def: $vgpr6_vgpr7
	s_branch .LBB86_2035
.LBB86_2014:
	s_mov_b64 s[0:1], -1
                                        ; implicit-def: $vgpr6_vgpr7
	s_branch .LBB86_2023
.LBB86_2015:
	s_mov_b64 s[0:1], -1
                                        ; implicit-def: $vgpr6_vgpr7
	s_branch .LBB86_2020
.LBB86_2016:
	s_mov_b64 s[0:1], -1
                                        ; implicit-def: $vgpr6_vgpr7
.LBB86_2017:
	s_andn2_b64 vcc, exec, s[0:1]
	s_cbranch_vccnz .LBB86_2019
; %bb.2018:
	global_load_dword v6, v[8:9], off
	s_waitcnt vmcnt(0)
	v_cvt_f64_f32_e32 v[6:7], v6
.LBB86_2019:
	s_mov_b64 s[0:1], 0
.LBB86_2020:
	s_andn2_b64 vcc, exec, s[0:1]
	s_cbranch_vccnz .LBB86_2022
; %bb.2021:
	global_load_dword v6, v[8:9], off
	s_waitcnt vmcnt(0)
	v_cvt_f32_f16_e32 v6, v6
	v_cvt_f64_f32_e32 v[6:7], v6
.LBB86_2022:
	s_mov_b64 s[0:1], 0
.LBB86_2023:
	s_andn2_b64 vcc, exec, s[0:1]
	s_cbranch_vccnz .LBB86_2034
; %bb.2024:
	s_cmp_lt_i32 s2, 6
	s_cbranch_scc1 .LBB86_2027
; %bb.2025:
	s_cmp_gt_i32 s2, 6
	s_cbranch_scc0 .LBB86_2028
; %bb.2026:
	global_load_dwordx2 v[6:7], v[8:9], off
	s_mov_b64 s[0:1], 0
	s_branch .LBB86_2029
.LBB86_2027:
	s_mov_b64 s[0:1], -1
                                        ; implicit-def: $vgpr6_vgpr7
	s_branch .LBB86_2032
.LBB86_2028:
	s_mov_b64 s[0:1], -1
                                        ; implicit-def: $vgpr6_vgpr7
.LBB86_2029:
	s_andn2_b64 vcc, exec, s[0:1]
	s_cbranch_vccnz .LBB86_2031
; %bb.2030:
	global_load_dword v6, v[8:9], off
	s_waitcnt vmcnt(0)
	v_cvt_f64_f32_e32 v[6:7], v6
.LBB86_2031:
	s_mov_b64 s[0:1], 0
.LBB86_2032:
	s_andn2_b64 vcc, exec, s[0:1]
	s_cbranch_vccnz .LBB86_2034
; %bb.2033:
	global_load_ushort v6, v[8:9], off
	s_waitcnt vmcnt(0)
	v_cvt_f32_f16_e32 v6, v6
	v_cvt_f64_f32_e32 v[6:7], v6
.LBB86_2034:
	s_mov_b64 s[0:1], 0
.LBB86_2035:
	s_andn2_b64 vcc, exec, s[0:1]
	s_cbranch_vccnz .LBB86_2055
; %bb.2036:
	s_cmp_lt_i32 s2, 2
	s_cbranch_scc1 .LBB86_2040
; %bb.2037:
	s_cmp_lt_i32 s2, 3
	s_cbranch_scc1 .LBB86_2041
; %bb.2038:
	s_cmp_gt_i32 s2, 3
	s_cbranch_scc0 .LBB86_2042
; %bb.2039:
	global_load_dwordx2 v[6:7], v[8:9], off
	s_mov_b64 s[0:1], 0
	s_waitcnt vmcnt(0)
	v_cvt_f64_i32_e32 v[13:14], v7
	v_cvt_f64_u32_e32 v[6:7], v6
	v_ldexp_f64 v[13:14], v[13:14], 32
	v_add_f64 v[6:7], v[13:14], v[6:7]
	s_branch .LBB86_2043
.LBB86_2040:
	s_mov_b64 s[0:1], -1
                                        ; implicit-def: $vgpr6_vgpr7
	s_branch .LBB86_2049
.LBB86_2041:
	s_mov_b64 s[0:1], -1
                                        ; implicit-def: $vgpr6_vgpr7
	s_branch .LBB86_2046
.LBB86_2042:
	s_mov_b64 s[0:1], -1
                                        ; implicit-def: $vgpr6_vgpr7
.LBB86_2043:
	s_andn2_b64 vcc, exec, s[0:1]
	s_cbranch_vccnz .LBB86_2045
; %bb.2044:
	global_load_dword v6, v[8:9], off
	s_waitcnt vmcnt(0)
	v_cvt_f64_i32_e32 v[6:7], v6
.LBB86_2045:
	s_mov_b64 s[0:1], 0
.LBB86_2046:
	s_andn2_b64 vcc, exec, s[0:1]
	s_cbranch_vccnz .LBB86_2048
; %bb.2047:
	global_load_sshort v6, v[8:9], off
	s_waitcnt vmcnt(0)
	v_cvt_f64_i32_e32 v[6:7], v6
.LBB86_2048:
	s_mov_b64 s[0:1], 0
.LBB86_2049:
	s_andn2_b64 vcc, exec, s[0:1]
	s_cbranch_vccnz .LBB86_2055
; %bb.2050:
	s_cmp_gt_i32 s2, 0
	s_cbranch_scc0 .LBB86_2052
; %bb.2051:
	global_load_sbyte v6, v[8:9], off
	s_mov_b64 s[0:1], 0
	s_waitcnt vmcnt(0)
	v_cvt_f64_i32_e32 v[6:7], v6
	s_branch .LBB86_2053
.LBB86_2052:
	s_mov_b64 s[0:1], -1
                                        ; implicit-def: $vgpr6_vgpr7
.LBB86_2053:
	s_andn2_b64 vcc, exec, s[0:1]
	s_cbranch_vccnz .LBB86_2055
; %bb.2054:
	global_load_ubyte v6, v[8:9], off
	s_waitcnt vmcnt(0)
	v_cvt_f64_u32_e32 v[6:7], v6
.LBB86_2055:
	s_mov_b64 s[4:5], -1
.LBB86_2056:
	s_andn2_b64 vcc, exec, s[4:5]
	s_cbranch_vccnz .LBB86_3012
; %bb.2057:
	v_add_u32_e32 v14, s13, v10
	v_ashrrev_i32_e32 v8, 31, v14
	v_mov_b32_e32 v9, s11
	v_add_co_u32_e32 v10, vcc, s10, v14
	s_cmp_lt_i32 s26, 11
	v_addc_co_u32_e32 v11, vcc, v9, v8, vcc
	s_cbranch_scc1 .LBB86_2064
; %bb.2058:
	s_and_b32 s28, 0xffff, s26
	s_cmp_gt_i32 s28, 25
	s_mov_b64 s[2:3], 0
	s_cbranch_scc0 .LBB86_2065
; %bb.2059:
	s_cmp_gt_i32 s28, 28
	s_cbranch_scc0 .LBB86_2066
; %bb.2060:
	s_cmp_gt_i32 s28, 43
	;; [unrolled: 3-line block ×3, first 2 shown]
	s_cbranch_scc0 .LBB86_2069
; %bb.2062:
	s_cmp_eq_u32 s28, 46
	s_mov_b64 s[6:7], 0
	s_cbranch_scc0 .LBB86_2070
; %bb.2063:
	global_load_dword v8, v[10:11], off
	s_mov_b64 s[0:1], 0
	s_mov_b64 s[4:5], -1
	s_waitcnt vmcnt(0)
	v_lshlrev_b32_e32 v8, 16, v8
	v_cvt_f64_f32_e32 v[8:9], v8
	s_branch .LBB86_2071
.LBB86_2064:
	s_mov_b64 s[0:1], -1
	s_mov_b64 s[4:5], 0
                                        ; implicit-def: $vgpr8_vgpr9
	s_branch .LBB86_2137
.LBB86_2065:
	s_mov_b64 s[6:7], -1
	s_mov_b64 s[4:5], 0
	s_mov_b64 s[0:1], 0
                                        ; implicit-def: $vgpr8_vgpr9
	s_branch .LBB86_2102
.LBB86_2066:
	s_mov_b64 s[6:7], -1
	s_mov_b64 s[4:5], 0
	s_mov_b64 s[0:1], 0
                                        ; implicit-def: $vgpr8_vgpr9
	s_branch .LBB86_2081
.LBB86_2067:
	s_mov_b64 s[6:7], -1
	s_mov_b64 s[4:5], 0
	s_mov_b64 s[0:1], 0
                                        ; implicit-def: $vgpr8_vgpr9
	s_branch .LBB86_2076
.LBB86_2068:
	s_trap 2
	s_or_b64 s[22:23], s[22:23], exec
	s_cbranch_execz .LBB86_2005
	s_branch .LBB86_2006
.LBB86_2069:
	s_mov_b64 s[6:7], -1
	s_mov_b64 s[4:5], 0
	s_mov_b64 s[0:1], 0
                                        ; implicit-def: $vgpr8_vgpr9
	s_branch .LBB86_2071
.LBB86_2070:
	s_mov_b64 s[0:1], -1
                                        ; implicit-def: $vgpr8_vgpr9
	s_mov_b64 s[4:5], 0
.LBB86_2071:
	s_and_b64 vcc, exec, s[6:7]
	s_cbranch_vccz .LBB86_2075
; %bb.2072:
	s_cmp_eq_u32 s28, 44
	s_cbranch_scc0 .LBB86_2074
; %bb.2073:
	global_load_ubyte v13, v[10:11], off
	s_movk_i32 s4, 0xff
	v_bfrev_b32_e32 v15, 4
	v_mov_b32_e32 v16, 0x7ff80000
	v_bfrev_b32_e32 v17, 28
	s_mov_b64 s[0:1], 0
	s_waitcnt vmcnt(0)
	v_lshlrev_b32_e32 v8, 23, v13
	v_cvt_f64_f32_e32 v[8:9], v8
	v_cmp_ne_u32_e32 vcc, s4, v13
	s_mov_b64 s[4:5], -1
	v_cndmask_b32_e32 v8, v15, v8, vcc
	v_cndmask_b32_e32 v9, v16, v9, vcc
	v_cmp_ne_u32_e32 vcc, 0, v13
	v_cndmask_b32_e32 v9, v17, v9, vcc
	v_cndmask_b32_e32 v8, 0, v8, vcc
	s_branch .LBB86_2075
.LBB86_2074:
	s_mov_b64 s[0:1], -1
                                        ; implicit-def: $vgpr8_vgpr9
.LBB86_2075:
	s_mov_b64 s[6:7], 0
.LBB86_2076:
	s_and_b64 vcc, exec, s[6:7]
	s_cbranch_vccz .LBB86_2080
; %bb.2077:
	s_cmp_eq_u32 s28, 29
	s_cbranch_scc0 .LBB86_2079
; %bb.2078:
	global_load_dwordx2 v[8:9], v[10:11], off
	s_mov_b64 s[0:1], 0
	s_mov_b64 s[4:5], -1
	s_mov_b64 s[6:7], 0
	s_waitcnt vmcnt(0)
	v_cvt_f64_u32_e32 v[15:16], v9
	v_cvt_f64_u32_e32 v[8:9], v8
	v_ldexp_f64 v[15:16], v[15:16], 32
	v_add_f64 v[8:9], v[15:16], v[8:9]
	s_branch .LBB86_2081
.LBB86_2079:
	s_mov_b64 s[0:1], -1
                                        ; implicit-def: $vgpr8_vgpr9
.LBB86_2080:
	s_mov_b64 s[6:7], 0
.LBB86_2081:
	s_and_b64 vcc, exec, s[6:7]
	s_cbranch_vccz .LBB86_2101
; %bb.2082:
	s_cmp_lt_i32 s28, 27
	s_cbranch_scc1 .LBB86_2085
; %bb.2083:
	s_cmp_gt_i32 s28, 27
	s_cbranch_scc0 .LBB86_2086
; %bb.2084:
	global_load_dword v8, v[10:11], off
	s_mov_b64 s[4:5], 0
	s_waitcnt vmcnt(0)
	v_cvt_f64_u32_e32 v[8:9], v8
	s_branch .LBB86_2087
.LBB86_2085:
	s_mov_b64 s[4:5], -1
                                        ; implicit-def: $vgpr8_vgpr9
	s_branch .LBB86_2090
.LBB86_2086:
	s_mov_b64 s[4:5], -1
                                        ; implicit-def: $vgpr8_vgpr9
.LBB86_2087:
	s_andn2_b64 vcc, exec, s[4:5]
	s_cbranch_vccnz .LBB86_2089
; %bb.2088:
	global_load_ushort v8, v[10:11], off
	s_waitcnt vmcnt(0)
	v_cvt_f64_u32_e32 v[8:9], v8
.LBB86_2089:
	s_mov_b64 s[4:5], 0
.LBB86_2090:
	s_andn2_b64 vcc, exec, s[4:5]
	s_cbranch_vccnz .LBB86_2100
; %bb.2091:
	global_load_ubyte v13, v[10:11], off
	s_movk_i32 s4, 0x7f
	s_waitcnt vmcnt(0)
	v_cmp_lt_i16_e32 vcc, s4, v13
	s_mov_b64 s[4:5], 0
	s_and_saveexec_b64 s[6:7], vcc
	s_xor_b64 s[6:7], exec, s[6:7]
	s_cbranch_execz .LBB86_2095
; %bb.2092:
	s_movk_i32 s4, 0x80
	v_cmp_eq_u16_e32 vcc, s4, v13
	s_mov_b64 s[4:5], -1
	s_and_saveexec_b64 s[24:25], vcc
; %bb.2093:
	s_xor_b64 s[4:5], exec, -1
; %bb.2094:
	s_or_b64 exec, exec, s[24:25]
	s_and_b64 s[4:5], s[4:5], exec
.LBB86_2095:
	s_or_saveexec_b64 s[6:7], s[6:7]
	v_bfrev_b32_e32 v8, 4
	v_mov_b32_e32 v9, 0x7ff80000
	s_xor_b64 exec, exec, s[6:7]
; %bb.2096:
	v_cmp_ne_u16_e32 vcc, 0, v13
	v_mov_b32_e32 v8, 0
	s_andn2_b64 s[4:5], s[4:5], exec
	s_and_b64 s[24:25], vcc, exec
	v_mov_b32_e32 v9, 0
	s_or_b64 s[4:5], s[4:5], s[24:25]
; %bb.2097:
	s_or_b64 exec, exec, s[6:7]
	s_and_saveexec_b64 s[6:7], s[4:5]
	s_cbranch_execz .LBB86_2099
; %bb.2098:
	v_and_b32_e32 v9, 0xffff, v13
	v_lshlrev_b32_e32 v8, 24, v13
	v_and_b32_e32 v13, 7, v9
	v_ffbh_u32_e32 v16, v13
	v_min_u32_e32 v16, 32, v16
	v_subrev_u32_e32 v17, 28, v16
	v_bfe_u32 v15, v9, 3, 4
	v_lshlrev_b32_e32 v9, v17, v9
	v_sub_u32_e32 v16, 29, v16
	v_and_b32_e32 v9, 7, v9
	v_cmp_eq_u32_e32 vcc, 0, v15
	v_cndmask_b32_e32 v15, v15, v16, vcc
	v_cndmask_b32_e32 v9, v13, v9, vcc
	v_mov_b32_e32 v13, 0x3b800000
	v_lshlrev_b32_e32 v9, 20, v9
	v_and_b32_e32 v8, 0x80000000, v8
	v_lshl_add_u32 v13, v15, 23, v13
	v_or3_b32 v8, v8, v13, v9
	v_cvt_f64_f32_e32 v[8:9], v8
.LBB86_2099:
	s_or_b64 exec, exec, s[6:7]
.LBB86_2100:
	s_mov_b64 s[4:5], -1
.LBB86_2101:
	s_mov_b64 s[6:7], 0
.LBB86_2102:
	s_and_b64 vcc, exec, s[6:7]
	s_cbranch_vccz .LBB86_2133
; %bb.2103:
	s_cmp_gt_i32 s28, 22
	s_cbranch_scc0 .LBB86_2115
; %bb.2104:
	s_cmp_lt_i32 s28, 24
	s_cbranch_scc1 .LBB86_2116
; %bb.2105:
	s_cmp_gt_i32 s28, 24
	s_cbranch_scc0 .LBB86_2117
; %bb.2106:
	global_load_ubyte v13, v[10:11], off
	s_movk_i32 s2, 0x7f
	s_waitcnt vmcnt(0)
	v_cmp_lt_i16_e32 vcc, s2, v13
	s_mov_b64 s[2:3], 0
	s_and_saveexec_b64 s[4:5], vcc
	s_xor_b64 s[4:5], exec, s[4:5]
	s_cbranch_execz .LBB86_2110
; %bb.2107:
	s_movk_i32 s2, 0x80
	v_cmp_eq_u16_e32 vcc, s2, v13
	s_mov_b64 s[2:3], -1
	s_and_saveexec_b64 s[6:7], vcc
; %bb.2108:
	s_xor_b64 s[2:3], exec, -1
; %bb.2109:
	s_or_b64 exec, exec, s[6:7]
	s_and_b64 s[2:3], s[2:3], exec
.LBB86_2110:
	s_or_saveexec_b64 s[4:5], s[4:5]
	v_bfrev_b32_e32 v8, 4
	v_mov_b32_e32 v9, 0x7ff80000
	s_xor_b64 exec, exec, s[4:5]
; %bb.2111:
	v_cmp_ne_u16_e32 vcc, 0, v13
	v_mov_b32_e32 v8, 0
	s_andn2_b64 s[2:3], s[2:3], exec
	s_and_b64 s[6:7], vcc, exec
	v_mov_b32_e32 v9, 0
	s_or_b64 s[2:3], s[2:3], s[6:7]
; %bb.2112:
	s_or_b64 exec, exec, s[4:5]
	s_and_saveexec_b64 s[4:5], s[2:3]
	s_cbranch_execz .LBB86_2114
; %bb.2113:
	v_and_b32_e32 v9, 0xffff, v13
	v_lshlrev_b32_e32 v8, 24, v13
	v_and_b32_e32 v13, 3, v9
	v_ffbh_u32_e32 v16, v13
	v_min_u32_e32 v16, 32, v16
	v_subrev_u32_e32 v17, 29, v16
	v_bfe_u32 v15, v9, 2, 5
	v_lshlrev_b32_e32 v9, v17, v9
	v_sub_u32_e32 v16, 30, v16
	v_and_b32_e32 v9, 3, v9
	v_cmp_eq_u32_e32 vcc, 0, v15
	v_cndmask_b32_e32 v15, v15, v16, vcc
	v_cndmask_b32_e32 v9, v13, v9, vcc
	v_mov_b32_e32 v13, 0x37800000
	v_lshlrev_b32_e32 v9, 21, v9
	v_and_b32_e32 v8, 0x80000000, v8
	v_lshl_add_u32 v13, v15, 23, v13
	v_or3_b32 v8, v8, v13, v9
	v_cvt_f64_f32_e32 v[8:9], v8
.LBB86_2114:
	s_or_b64 exec, exec, s[4:5]
	s_mov_b64 s[2:3], 0
	s_branch .LBB86_2118
.LBB86_2115:
	s_mov_b64 s[2:3], -1
                                        ; implicit-def: $vgpr8_vgpr9
	s_branch .LBB86_2124
.LBB86_2116:
	s_mov_b64 s[2:3], -1
                                        ; implicit-def: $vgpr8_vgpr9
	s_branch .LBB86_2121
.LBB86_2117:
	s_mov_b64 s[2:3], -1
                                        ; implicit-def: $vgpr8_vgpr9
.LBB86_2118:
	s_and_b64 vcc, exec, s[2:3]
	s_cbranch_vccz .LBB86_2120
; %bb.2119:
	global_load_ubyte v8, v[10:11], off
	s_mov_b32 s2, 0x7f800000
	s_waitcnt vmcnt(0)
	v_lshlrev_b32_e32 v8, 24, v8
	v_and_b32_e32 v9, 0x7f000000, v8
	v_ffbh_u32_e32 v13, v9
	v_min_u32_e32 v13, 32, v13
	v_sub_u32_e64 v13, v13, 4 clamp
	v_lshlrev_b32_e32 v16, v13, v9
	v_lshlrev_b32_e32 v13, 23, v13
	v_lshrrev_b32_e32 v16, 4, v16
	v_add_u32_e32 v15, 0x1000000, v9
	v_sub_u32_e32 v13, v16, v13
	v_ashrrev_i32_e32 v15, 8, v15
	v_add_u32_e32 v13, 0x3c000000, v13
	v_and_or_b32 v13, v15, s2, v13
	v_cmp_ne_u32_e32 vcc, 0, v9
	v_cndmask_b32_e32 v9, 0, v13, vcc
	s_brev_b32 s2, 1
	v_and_or_b32 v8, v8, s2, v9
	v_cvt_f64_f32_e32 v[8:9], v8
.LBB86_2120:
	s_mov_b64 s[2:3], 0
.LBB86_2121:
	s_andn2_b64 vcc, exec, s[2:3]
	s_cbranch_vccnz .LBB86_2123
; %bb.2122:
	global_load_ubyte v8, v[10:11], off
	s_movk_i32 s2, 0x7f00
	s_brev_b32 s3, 16
	s_waitcnt vmcnt(0)
	v_lshlrev_b16_e32 v9, 8, v8
	v_lshlrev_b32_e32 v8, 25, v8
	v_lshrrev_b32_e32 v13, 4, v8
	v_and_or_b32 v15, v9, s2, 0.5
	v_or_b32_e32 v13, 0x70000000, v13
	v_add_f32_e32 v15, -0.5, v15
	v_mul_f32_e32 v13, 0x7800000, v13
	v_cmp_gt_u32_e32 vcc, s3, v8
	v_bfe_i32 v9, v9, 0, 16
	v_cndmask_b32_e32 v8, v13, v15, vcc
	s_brev_b32 s2, 1
	v_and_or_b32 v8, v9, s2, v8
	v_cvt_f64_f32_e32 v[8:9], v8
.LBB86_2123:
	s_mov_b64 s[2:3], 0
	s_mov_b64 s[4:5], -1
.LBB86_2124:
	s_andn2_b64 vcc, exec, s[2:3]
	s_mov_b64 s[2:3], 0
	s_cbranch_vccnz .LBB86_2133
; %bb.2125:
	s_cmp_gt_i32 s28, 14
	s_cbranch_scc0 .LBB86_2128
; %bb.2126:
	s_cmp_eq_u32 s28, 15
	s_cbranch_scc0 .LBB86_2129
; %bb.2127:
	global_load_ushort v8, v[10:11], off
	s_mov_b64 s[0:1], 0
	s_mov_b64 s[4:5], -1
	s_waitcnt vmcnt(0)
	v_lshlrev_b32_e32 v8, 16, v8
	v_cvt_f64_f32_e32 v[8:9], v8
	s_branch .LBB86_2130
.LBB86_2128:
	s_mov_b64 s[6:7], -1
                                        ; implicit-def: $vgpr8_vgpr9
	s_branch .LBB86_2131
.LBB86_2129:
	s_mov_b64 s[0:1], -1
                                        ; implicit-def: $vgpr8_vgpr9
.LBB86_2130:
	s_mov_b64 s[6:7], 0
.LBB86_2131:
	s_and_b64 vcc, exec, s[6:7]
	s_cbranch_vccz .LBB86_2133
; %bb.2132:
	s_cmp_lg_u32 s28, 11
	s_mov_b64 s[2:3], -1
	s_cselect_b64 s[0:1], -1, 0
.LBB86_2133:
	s_and_b64 vcc, exec, s[0:1]
	s_cbranch_vccnz .LBB86_2198
; %bb.2134:
	s_andn2_b64 vcc, exec, s[2:3]
	s_cbranch_vccnz .LBB86_2136
.LBB86_2135:
	global_load_ubyte v9, v[10:11], off
	v_mov_b32_e32 v13, 0x3ff00000
	v_mov_b32_e32 v8, 0
	s_mov_b64 s[4:5], -1
	s_waitcnt vmcnt(0)
	v_cmp_ne_u16_e32 vcc, 0, v9
	v_cndmask_b32_e32 v9, 0, v13, vcc
.LBB86_2136:
	s_mov_b64 s[0:1], 0
.LBB86_2137:
	s_and_b64 vcc, exec, s[0:1]
	s_cbranch_vccz .LBB86_2186
; %bb.2138:
	s_and_b32 s2, 0xffff, s26
	s_cmp_lt_i32 s2, 5
	s_cbranch_scc1 .LBB86_2143
; %bb.2139:
	s_cmp_lt_i32 s2, 8
	s_cbranch_scc1 .LBB86_2144
; %bb.2140:
	;; [unrolled: 3-line block ×3, first 2 shown]
	s_cmp_gt_i32 s2, 9
	s_cbranch_scc0 .LBB86_2146
; %bb.2142:
	global_load_dwordx2 v[8:9], v[10:11], off
	s_mov_b64 s[0:1], 0
	s_branch .LBB86_2147
.LBB86_2143:
	s_mov_b64 s[0:1], -1
                                        ; implicit-def: $vgpr8_vgpr9
	s_branch .LBB86_2165
.LBB86_2144:
	s_mov_b64 s[0:1], -1
                                        ; implicit-def: $vgpr8_vgpr9
	s_branch .LBB86_2153
.LBB86_2145:
	s_mov_b64 s[0:1], -1
                                        ; implicit-def: $vgpr8_vgpr9
	s_branch .LBB86_2150
.LBB86_2146:
	s_mov_b64 s[0:1], -1
                                        ; implicit-def: $vgpr8_vgpr9
.LBB86_2147:
	s_andn2_b64 vcc, exec, s[0:1]
	s_cbranch_vccnz .LBB86_2149
; %bb.2148:
	global_load_dword v8, v[10:11], off
	s_waitcnt vmcnt(0)
	v_cvt_f64_f32_e32 v[8:9], v8
.LBB86_2149:
	s_mov_b64 s[0:1], 0
.LBB86_2150:
	s_andn2_b64 vcc, exec, s[0:1]
	s_cbranch_vccnz .LBB86_2152
; %bb.2151:
	global_load_dword v8, v[10:11], off
	s_waitcnt vmcnt(0)
	v_cvt_f32_f16_e32 v8, v8
	v_cvt_f64_f32_e32 v[8:9], v8
.LBB86_2152:
	s_mov_b64 s[0:1], 0
.LBB86_2153:
	s_andn2_b64 vcc, exec, s[0:1]
	s_cbranch_vccnz .LBB86_2164
; %bb.2154:
	s_cmp_lt_i32 s2, 6
	s_cbranch_scc1 .LBB86_2157
; %bb.2155:
	s_cmp_gt_i32 s2, 6
	s_cbranch_scc0 .LBB86_2158
; %bb.2156:
	global_load_dwordx2 v[8:9], v[10:11], off
	s_mov_b64 s[0:1], 0
	s_branch .LBB86_2159
.LBB86_2157:
	s_mov_b64 s[0:1], -1
                                        ; implicit-def: $vgpr8_vgpr9
	s_branch .LBB86_2162
.LBB86_2158:
	s_mov_b64 s[0:1], -1
                                        ; implicit-def: $vgpr8_vgpr9
.LBB86_2159:
	s_andn2_b64 vcc, exec, s[0:1]
	s_cbranch_vccnz .LBB86_2161
; %bb.2160:
	global_load_dword v8, v[10:11], off
	s_waitcnt vmcnt(0)
	v_cvt_f64_f32_e32 v[8:9], v8
.LBB86_2161:
	s_mov_b64 s[0:1], 0
.LBB86_2162:
	s_andn2_b64 vcc, exec, s[0:1]
	s_cbranch_vccnz .LBB86_2164
; %bb.2163:
	global_load_ushort v8, v[10:11], off
	s_waitcnt vmcnt(0)
	v_cvt_f32_f16_e32 v8, v8
	v_cvt_f64_f32_e32 v[8:9], v8
.LBB86_2164:
	s_mov_b64 s[0:1], 0
.LBB86_2165:
	s_andn2_b64 vcc, exec, s[0:1]
	s_cbranch_vccnz .LBB86_2185
; %bb.2166:
	s_cmp_lt_i32 s2, 2
	s_cbranch_scc1 .LBB86_2170
; %bb.2167:
	s_cmp_lt_i32 s2, 3
	s_cbranch_scc1 .LBB86_2171
; %bb.2168:
	s_cmp_gt_i32 s2, 3
	s_cbranch_scc0 .LBB86_2172
; %bb.2169:
	global_load_dwordx2 v[8:9], v[10:11], off
	s_mov_b64 s[0:1], 0
	s_waitcnt vmcnt(0)
	v_cvt_f64_i32_e32 v[15:16], v9
	v_cvt_f64_u32_e32 v[8:9], v8
	v_ldexp_f64 v[15:16], v[15:16], 32
	v_add_f64 v[8:9], v[15:16], v[8:9]
	s_branch .LBB86_2173
.LBB86_2170:
	s_mov_b64 s[0:1], -1
                                        ; implicit-def: $vgpr8_vgpr9
	s_branch .LBB86_2179
.LBB86_2171:
	s_mov_b64 s[0:1], -1
                                        ; implicit-def: $vgpr8_vgpr9
	s_branch .LBB86_2176
.LBB86_2172:
	s_mov_b64 s[0:1], -1
                                        ; implicit-def: $vgpr8_vgpr9
.LBB86_2173:
	s_andn2_b64 vcc, exec, s[0:1]
	s_cbranch_vccnz .LBB86_2175
; %bb.2174:
	global_load_dword v8, v[10:11], off
	s_waitcnt vmcnt(0)
	v_cvt_f64_i32_e32 v[8:9], v8
.LBB86_2175:
	s_mov_b64 s[0:1], 0
.LBB86_2176:
	s_andn2_b64 vcc, exec, s[0:1]
	s_cbranch_vccnz .LBB86_2178
; %bb.2177:
	global_load_sshort v8, v[10:11], off
	s_waitcnt vmcnt(0)
	v_cvt_f64_i32_e32 v[8:9], v8
.LBB86_2178:
	s_mov_b64 s[0:1], 0
.LBB86_2179:
	s_andn2_b64 vcc, exec, s[0:1]
	s_cbranch_vccnz .LBB86_2185
; %bb.2180:
	s_cmp_gt_i32 s2, 0
	s_cbranch_scc0 .LBB86_2182
; %bb.2181:
	global_load_sbyte v8, v[10:11], off
	s_mov_b64 s[0:1], 0
	s_waitcnt vmcnt(0)
	v_cvt_f64_i32_e32 v[8:9], v8
	s_branch .LBB86_2183
.LBB86_2182:
	s_mov_b64 s[0:1], -1
                                        ; implicit-def: $vgpr8_vgpr9
.LBB86_2183:
	s_andn2_b64 vcc, exec, s[0:1]
	s_cbranch_vccnz .LBB86_2185
; %bb.2184:
	global_load_ubyte v8, v[10:11], off
	s_waitcnt vmcnt(0)
	v_cvt_f64_u32_e32 v[8:9], v8
.LBB86_2185:
	s_mov_b64 s[4:5], -1
.LBB86_2186:
	s_andn2_b64 vcc, exec, s[4:5]
	s_cbranch_vccnz .LBB86_3012
; %bb.2187:
	v_add_u32_e32 v16, s14, v12
	v_ashrrev_i32_e32 v10, 31, v16
	v_mov_b32_e32 v11, s17
	v_add_co_u32_e32 v12, vcc, s16, v16
	s_cmp_lt_i32 s27, 11
	v_addc_co_u32_e32 v13, vcc, v11, v10, vcc
	s_cbranch_scc1 .LBB86_2194
; %bb.2188:
	s_and_b32 s28, 0xffff, s27
	s_cmp_gt_i32 s28, 25
	s_mov_b64 s[2:3], 0
	s_cbranch_scc0 .LBB86_2195
; %bb.2189:
	s_cmp_gt_i32 s28, 28
	s_cbranch_scc0 .LBB86_2196
; %bb.2190:
	s_cmp_gt_i32 s28, 43
	;; [unrolled: 3-line block ×3, first 2 shown]
	s_cbranch_scc0 .LBB86_2199
; %bb.2192:
	s_cmp_eq_u32 s28, 46
	s_mov_b64 s[6:7], 0
	s_cbranch_scc0 .LBB86_2202
; %bb.2193:
	global_load_dword v10, v[12:13], off
	s_mov_b64 s[0:1], 0
	s_mov_b64 s[4:5], -1
	s_waitcnt vmcnt(0)
	v_lshlrev_b32_e32 v10, 16, v10
	v_cvt_f64_f32_e32 v[10:11], v10
	s_branch .LBB86_2203
.LBB86_2194:
	s_mov_b64 s[0:1], -1
	s_mov_b64 s[4:5], 0
                                        ; implicit-def: $vgpr10_vgpr11
	s_branch .LBB86_2269
.LBB86_2195:
	s_mov_b64 s[6:7], -1
	s_mov_b64 s[4:5], 0
	s_mov_b64 s[0:1], 0
                                        ; implicit-def: $vgpr10_vgpr11
	s_branch .LBB86_2234
.LBB86_2196:
	s_mov_b64 s[6:7], -1
	s_mov_b64 s[4:5], 0
	s_mov_b64 s[0:1], 0
                                        ; implicit-def: $vgpr10_vgpr11
	s_branch .LBB86_2213
.LBB86_2197:
	s_mov_b64 s[6:7], -1
	s_mov_b64 s[4:5], 0
	s_mov_b64 s[0:1], 0
                                        ; implicit-def: $vgpr10_vgpr11
	s_branch .LBB86_2208
.LBB86_2198:
	s_trap 2
	s_or_b64 s[22:23], s[22:23], exec
	s_cbranch_execz .LBB86_2135
	s_branch .LBB86_2136
.LBB86_2199:
	s_mov_b64 s[6:7], -1
	s_mov_b64 s[4:5], 0
	s_mov_b64 s[0:1], 0
                                        ; implicit-def: $vgpr10_vgpr11
	s_branch .LBB86_2203
.LBB86_2200:
	s_andn2_saveexec_b64 s[48:49], s[48:49]
	s_cbranch_execz .LBB86_1085
.LBB86_2201:
	v_add_f32_e32 v2, 0x42800000, v3
	v_and_b32_e32 v2, 0xff, v2
	v_cmp_ne_u32_e32 vcc, 0, v2
	s_andn2_b64 s[46:47], s[46:47], exec
	s_and_b64 s[54:55], vcc, exec
	s_or_b64 s[46:47], s[46:47], s[54:55]
	s_or_b64 exec, exec, s[48:49]
	v_mov_b32_e32 v4, 0
	s_and_saveexec_b64 s[48:49], s[46:47]
	s_cbranch_execnz .LBB86_1086
	s_branch .LBB86_1087
.LBB86_2202:
	s_mov_b64 s[0:1], -1
                                        ; implicit-def: $vgpr10_vgpr11
	s_mov_b64 s[4:5], 0
.LBB86_2203:
	s_and_b64 vcc, exec, s[6:7]
	s_cbranch_vccz .LBB86_2207
; %bb.2204:
	s_cmp_eq_u32 s28, 44
	s_cbranch_scc0 .LBB86_2206
; %bb.2205:
	global_load_ubyte v15, v[12:13], off
	s_movk_i32 s4, 0xff
	v_bfrev_b32_e32 v17, 4
	v_mov_b32_e32 v19, 0x7ff80000
	v_bfrev_b32_e32 v20, 28
	s_mov_b64 s[0:1], 0
	s_waitcnt vmcnt(0)
	v_lshlrev_b32_e32 v10, 23, v15
	v_cvt_f64_f32_e32 v[10:11], v10
	v_cmp_ne_u32_e32 vcc, s4, v15
	s_mov_b64 s[4:5], -1
	v_cndmask_b32_e32 v10, v17, v10, vcc
	v_cndmask_b32_e32 v11, v19, v11, vcc
	v_cmp_ne_u32_e32 vcc, 0, v15
	v_cndmask_b32_e32 v11, v20, v11, vcc
	v_cndmask_b32_e32 v10, 0, v10, vcc
	s_branch .LBB86_2207
.LBB86_2206:
	s_mov_b64 s[0:1], -1
                                        ; implicit-def: $vgpr10_vgpr11
.LBB86_2207:
	s_mov_b64 s[6:7], 0
.LBB86_2208:
	s_and_b64 vcc, exec, s[6:7]
	s_cbranch_vccz .LBB86_2212
; %bb.2209:
	s_cmp_eq_u32 s28, 29
	s_cbranch_scc0 .LBB86_2211
; %bb.2210:
	global_load_dwordx2 v[10:11], v[12:13], off
	s_mov_b64 s[0:1], 0
	s_mov_b64 s[4:5], -1
	s_mov_b64 s[6:7], 0
	s_waitcnt vmcnt(0)
	v_cvt_f64_u32_e32 v[19:20], v11
	v_cvt_f64_u32_e32 v[10:11], v10
	v_ldexp_f64 v[19:20], v[19:20], 32
	v_add_f64 v[10:11], v[19:20], v[10:11]
	s_branch .LBB86_2213
.LBB86_2211:
	s_mov_b64 s[0:1], -1
                                        ; implicit-def: $vgpr10_vgpr11
.LBB86_2212:
	s_mov_b64 s[6:7], 0
.LBB86_2213:
	s_and_b64 vcc, exec, s[6:7]
	s_cbranch_vccz .LBB86_2233
; %bb.2214:
	s_cmp_lt_i32 s28, 27
	s_cbranch_scc1 .LBB86_2217
; %bb.2215:
	s_cmp_gt_i32 s28, 27
	s_cbranch_scc0 .LBB86_2218
; %bb.2216:
	global_load_dword v10, v[12:13], off
	s_mov_b64 s[4:5], 0
	s_waitcnt vmcnt(0)
	v_cvt_f64_u32_e32 v[10:11], v10
	s_branch .LBB86_2219
.LBB86_2217:
	s_mov_b64 s[4:5], -1
                                        ; implicit-def: $vgpr10_vgpr11
	s_branch .LBB86_2222
.LBB86_2218:
	s_mov_b64 s[4:5], -1
                                        ; implicit-def: $vgpr10_vgpr11
.LBB86_2219:
	s_andn2_b64 vcc, exec, s[4:5]
	s_cbranch_vccnz .LBB86_2221
; %bb.2220:
	global_load_ushort v10, v[12:13], off
	s_waitcnt vmcnt(0)
	v_cvt_f64_u32_e32 v[10:11], v10
.LBB86_2221:
	s_mov_b64 s[4:5], 0
.LBB86_2222:
	s_andn2_b64 vcc, exec, s[4:5]
	s_cbranch_vccnz .LBB86_2232
; %bb.2223:
	global_load_ubyte v15, v[12:13], off
	s_movk_i32 s4, 0x7f
	s_waitcnt vmcnt(0)
	v_cmp_lt_i16_e32 vcc, s4, v15
	s_mov_b64 s[4:5], 0
	s_and_saveexec_b64 s[6:7], vcc
	s_xor_b64 s[6:7], exec, s[6:7]
	s_cbranch_execz .LBB86_2227
; %bb.2224:
	s_movk_i32 s4, 0x80
	v_cmp_eq_u16_e32 vcc, s4, v15
	s_mov_b64 s[4:5], -1
	s_and_saveexec_b64 s[24:25], vcc
; %bb.2225:
	s_xor_b64 s[4:5], exec, -1
; %bb.2226:
	s_or_b64 exec, exec, s[24:25]
	s_and_b64 s[4:5], s[4:5], exec
.LBB86_2227:
	s_or_saveexec_b64 s[6:7], s[6:7]
	v_bfrev_b32_e32 v10, 4
	v_mov_b32_e32 v11, 0x7ff80000
	s_xor_b64 exec, exec, s[6:7]
; %bb.2228:
	v_cmp_ne_u16_e32 vcc, 0, v15
	v_mov_b32_e32 v10, 0
	s_andn2_b64 s[4:5], s[4:5], exec
	s_and_b64 s[24:25], vcc, exec
	v_mov_b32_e32 v11, 0
	s_or_b64 s[4:5], s[4:5], s[24:25]
; %bb.2229:
	s_or_b64 exec, exec, s[6:7]
	s_and_saveexec_b64 s[6:7], s[4:5]
	s_cbranch_execz .LBB86_2231
; %bb.2230:
	v_and_b32_e32 v11, 0xffff, v15
	v_lshlrev_b32_e32 v10, 24, v15
	v_and_b32_e32 v15, 7, v11
	v_ffbh_u32_e32 v19, v15
	v_min_u32_e32 v19, 32, v19
	v_subrev_u32_e32 v20, 28, v19
	v_bfe_u32 v17, v11, 3, 4
	v_lshlrev_b32_e32 v11, v20, v11
	v_sub_u32_e32 v19, 29, v19
	v_and_b32_e32 v11, 7, v11
	v_cmp_eq_u32_e32 vcc, 0, v17
	v_cndmask_b32_e32 v17, v17, v19, vcc
	v_cndmask_b32_e32 v11, v15, v11, vcc
	v_mov_b32_e32 v15, 0x3b800000
	v_lshlrev_b32_e32 v11, 20, v11
	v_and_b32_e32 v10, 0x80000000, v10
	v_lshl_add_u32 v15, v17, 23, v15
	v_or3_b32 v10, v10, v15, v11
	v_cvt_f64_f32_e32 v[10:11], v10
.LBB86_2231:
	s_or_b64 exec, exec, s[6:7]
.LBB86_2232:
	s_mov_b64 s[4:5], -1
.LBB86_2233:
	s_mov_b64 s[6:7], 0
.LBB86_2234:
	s_and_b64 vcc, exec, s[6:7]
	s_cbranch_vccz .LBB86_2265
; %bb.2235:
	s_cmp_gt_i32 s28, 22
	s_cbranch_scc0 .LBB86_2247
; %bb.2236:
	s_cmp_lt_i32 s28, 24
	s_cbranch_scc1 .LBB86_2248
; %bb.2237:
	s_cmp_gt_i32 s28, 24
	s_cbranch_scc0 .LBB86_2249
; %bb.2238:
	global_load_ubyte v15, v[12:13], off
	s_movk_i32 s2, 0x7f
	s_waitcnt vmcnt(0)
	v_cmp_lt_i16_e32 vcc, s2, v15
	s_mov_b64 s[2:3], 0
	s_and_saveexec_b64 s[4:5], vcc
	s_xor_b64 s[4:5], exec, s[4:5]
	s_cbranch_execz .LBB86_2242
; %bb.2239:
	s_movk_i32 s2, 0x80
	v_cmp_eq_u16_e32 vcc, s2, v15
	s_mov_b64 s[2:3], -1
	s_and_saveexec_b64 s[6:7], vcc
; %bb.2240:
	s_xor_b64 s[2:3], exec, -1
; %bb.2241:
	s_or_b64 exec, exec, s[6:7]
	s_and_b64 s[2:3], s[2:3], exec
.LBB86_2242:
	s_or_saveexec_b64 s[4:5], s[4:5]
	v_bfrev_b32_e32 v10, 4
	v_mov_b32_e32 v11, 0x7ff80000
	s_xor_b64 exec, exec, s[4:5]
; %bb.2243:
	v_cmp_ne_u16_e32 vcc, 0, v15
	v_mov_b32_e32 v10, 0
	s_andn2_b64 s[2:3], s[2:3], exec
	s_and_b64 s[6:7], vcc, exec
	v_mov_b32_e32 v11, 0
	s_or_b64 s[2:3], s[2:3], s[6:7]
; %bb.2244:
	s_or_b64 exec, exec, s[4:5]
	s_and_saveexec_b64 s[4:5], s[2:3]
	s_cbranch_execz .LBB86_2246
; %bb.2245:
	v_and_b32_e32 v11, 0xffff, v15
	v_lshlrev_b32_e32 v10, 24, v15
	v_and_b32_e32 v15, 3, v11
	v_ffbh_u32_e32 v19, v15
	v_min_u32_e32 v19, 32, v19
	v_subrev_u32_e32 v20, 29, v19
	v_bfe_u32 v17, v11, 2, 5
	v_lshlrev_b32_e32 v11, v20, v11
	v_sub_u32_e32 v19, 30, v19
	v_and_b32_e32 v11, 3, v11
	v_cmp_eq_u32_e32 vcc, 0, v17
	v_cndmask_b32_e32 v17, v17, v19, vcc
	v_cndmask_b32_e32 v11, v15, v11, vcc
	v_mov_b32_e32 v15, 0x37800000
	v_lshlrev_b32_e32 v11, 21, v11
	v_and_b32_e32 v10, 0x80000000, v10
	v_lshl_add_u32 v15, v17, 23, v15
	v_or3_b32 v10, v10, v15, v11
	v_cvt_f64_f32_e32 v[10:11], v10
.LBB86_2246:
	s_or_b64 exec, exec, s[4:5]
	s_mov_b64 s[2:3], 0
	s_branch .LBB86_2250
.LBB86_2247:
	s_mov_b64 s[2:3], -1
                                        ; implicit-def: $vgpr10_vgpr11
	s_branch .LBB86_2256
.LBB86_2248:
	s_mov_b64 s[2:3], -1
                                        ; implicit-def: $vgpr10_vgpr11
	s_branch .LBB86_2253
.LBB86_2249:
	s_mov_b64 s[2:3], -1
                                        ; implicit-def: $vgpr10_vgpr11
.LBB86_2250:
	s_and_b64 vcc, exec, s[2:3]
	s_cbranch_vccz .LBB86_2252
; %bb.2251:
	global_load_ubyte v10, v[12:13], off
	s_mov_b32 s2, 0x7f800000
	s_waitcnt vmcnt(0)
	v_lshlrev_b32_e32 v10, 24, v10
	v_and_b32_e32 v11, 0x7f000000, v10
	v_ffbh_u32_e32 v15, v11
	v_min_u32_e32 v15, 32, v15
	v_sub_u32_e64 v15, v15, 4 clamp
	v_lshlrev_b32_e32 v19, v15, v11
	v_lshlrev_b32_e32 v15, 23, v15
	v_lshrrev_b32_e32 v19, 4, v19
	v_add_u32_e32 v17, 0x1000000, v11
	v_sub_u32_e32 v15, v19, v15
	v_ashrrev_i32_e32 v17, 8, v17
	v_add_u32_e32 v15, 0x3c000000, v15
	v_and_or_b32 v15, v17, s2, v15
	v_cmp_ne_u32_e32 vcc, 0, v11
	v_cndmask_b32_e32 v11, 0, v15, vcc
	s_brev_b32 s2, 1
	v_and_or_b32 v10, v10, s2, v11
	v_cvt_f64_f32_e32 v[10:11], v10
.LBB86_2252:
	s_mov_b64 s[2:3], 0
.LBB86_2253:
	s_andn2_b64 vcc, exec, s[2:3]
	s_cbranch_vccnz .LBB86_2255
; %bb.2254:
	global_load_ubyte v10, v[12:13], off
	s_movk_i32 s2, 0x7f00
	s_brev_b32 s3, 16
	s_waitcnt vmcnt(0)
	v_lshlrev_b16_e32 v11, 8, v10
	v_lshlrev_b32_e32 v10, 25, v10
	v_lshrrev_b32_e32 v15, 4, v10
	v_and_or_b32 v17, v11, s2, 0.5
	v_or_b32_e32 v15, 0x70000000, v15
	v_add_f32_e32 v17, -0.5, v17
	v_mul_f32_e32 v15, 0x7800000, v15
	v_cmp_gt_u32_e32 vcc, s3, v10
	v_bfe_i32 v11, v11, 0, 16
	v_cndmask_b32_e32 v10, v15, v17, vcc
	s_brev_b32 s2, 1
	v_and_or_b32 v10, v11, s2, v10
	v_cvt_f64_f32_e32 v[10:11], v10
.LBB86_2255:
	s_mov_b64 s[2:3], 0
	s_mov_b64 s[4:5], -1
.LBB86_2256:
	s_andn2_b64 vcc, exec, s[2:3]
	s_mov_b64 s[2:3], 0
	s_cbranch_vccnz .LBB86_2265
; %bb.2257:
	s_cmp_gt_i32 s28, 14
	s_cbranch_scc0 .LBB86_2260
; %bb.2258:
	s_cmp_eq_u32 s28, 15
	s_cbranch_scc0 .LBB86_2261
; %bb.2259:
	global_load_ushort v10, v[12:13], off
	s_mov_b64 s[0:1], 0
	s_mov_b64 s[4:5], -1
	s_waitcnt vmcnt(0)
	v_lshlrev_b32_e32 v10, 16, v10
	v_cvt_f64_f32_e32 v[10:11], v10
	s_branch .LBB86_2262
.LBB86_2260:
	s_mov_b64 s[6:7], -1
                                        ; implicit-def: $vgpr10_vgpr11
	s_branch .LBB86_2263
.LBB86_2261:
	s_mov_b64 s[0:1], -1
                                        ; implicit-def: $vgpr10_vgpr11
.LBB86_2262:
	s_mov_b64 s[6:7], 0
.LBB86_2263:
	s_and_b64 vcc, exec, s[6:7]
	s_cbranch_vccz .LBB86_2265
; %bb.2264:
	s_cmp_lg_u32 s28, 11
	s_mov_b64 s[2:3], -1
	s_cselect_b64 s[0:1], -1, 0
.LBB86_2265:
	s_and_b64 vcc, exec, s[0:1]
	s_cbranch_vccnz .LBB86_2330
; %bb.2266:
	s_andn2_b64 vcc, exec, s[2:3]
	s_cbranch_vccnz .LBB86_2268
.LBB86_2267:
	global_load_ubyte v11, v[12:13], off
	v_mov_b32_e32 v15, 0x3ff00000
	v_mov_b32_e32 v10, 0
	s_mov_b64 s[4:5], -1
	s_waitcnt vmcnt(0)
	v_cmp_ne_u16_e32 vcc, 0, v11
	v_cndmask_b32_e32 v11, 0, v15, vcc
.LBB86_2268:
	s_mov_b64 s[0:1], 0
.LBB86_2269:
	s_and_b64 vcc, exec, s[0:1]
	s_cbranch_vccz .LBB86_2318
; %bb.2270:
	s_and_b32 s2, 0xffff, s27
	s_cmp_lt_i32 s2, 5
	s_cbranch_scc1 .LBB86_2275
; %bb.2271:
	s_cmp_lt_i32 s2, 8
	s_cbranch_scc1 .LBB86_2276
; %bb.2272:
	;; [unrolled: 3-line block ×3, first 2 shown]
	s_cmp_gt_i32 s2, 9
	s_cbranch_scc0 .LBB86_2278
; %bb.2274:
	global_load_dwordx2 v[10:11], v[12:13], off
	s_mov_b64 s[0:1], 0
	s_branch .LBB86_2279
.LBB86_2275:
	s_mov_b64 s[0:1], -1
                                        ; implicit-def: $vgpr10_vgpr11
	s_branch .LBB86_2297
.LBB86_2276:
	s_mov_b64 s[0:1], -1
                                        ; implicit-def: $vgpr10_vgpr11
	s_branch .LBB86_2285
.LBB86_2277:
	s_mov_b64 s[0:1], -1
                                        ; implicit-def: $vgpr10_vgpr11
	s_branch .LBB86_2282
.LBB86_2278:
	s_mov_b64 s[0:1], -1
                                        ; implicit-def: $vgpr10_vgpr11
.LBB86_2279:
	s_andn2_b64 vcc, exec, s[0:1]
	s_cbranch_vccnz .LBB86_2281
; %bb.2280:
	global_load_dword v10, v[12:13], off
	s_waitcnt vmcnt(0)
	v_cvt_f64_f32_e32 v[10:11], v10
.LBB86_2281:
	s_mov_b64 s[0:1], 0
.LBB86_2282:
	s_andn2_b64 vcc, exec, s[0:1]
	s_cbranch_vccnz .LBB86_2284
; %bb.2283:
	global_load_dword v10, v[12:13], off
	s_waitcnt vmcnt(0)
	v_cvt_f32_f16_e32 v10, v10
	v_cvt_f64_f32_e32 v[10:11], v10
.LBB86_2284:
	s_mov_b64 s[0:1], 0
.LBB86_2285:
	s_andn2_b64 vcc, exec, s[0:1]
	s_cbranch_vccnz .LBB86_2296
; %bb.2286:
	s_cmp_lt_i32 s2, 6
	s_cbranch_scc1 .LBB86_2289
; %bb.2287:
	s_cmp_gt_i32 s2, 6
	s_cbranch_scc0 .LBB86_2290
; %bb.2288:
	global_load_dwordx2 v[10:11], v[12:13], off
	s_mov_b64 s[0:1], 0
	s_branch .LBB86_2291
.LBB86_2289:
	s_mov_b64 s[0:1], -1
                                        ; implicit-def: $vgpr10_vgpr11
	s_branch .LBB86_2294
.LBB86_2290:
	s_mov_b64 s[0:1], -1
                                        ; implicit-def: $vgpr10_vgpr11
.LBB86_2291:
	s_andn2_b64 vcc, exec, s[0:1]
	s_cbranch_vccnz .LBB86_2293
; %bb.2292:
	global_load_dword v10, v[12:13], off
	s_waitcnt vmcnt(0)
	v_cvt_f64_f32_e32 v[10:11], v10
.LBB86_2293:
	s_mov_b64 s[0:1], 0
.LBB86_2294:
	s_andn2_b64 vcc, exec, s[0:1]
	s_cbranch_vccnz .LBB86_2296
; %bb.2295:
	global_load_ushort v10, v[12:13], off
	s_waitcnt vmcnt(0)
	v_cvt_f32_f16_e32 v10, v10
	v_cvt_f64_f32_e32 v[10:11], v10
.LBB86_2296:
	s_mov_b64 s[0:1], 0
.LBB86_2297:
	s_andn2_b64 vcc, exec, s[0:1]
	s_cbranch_vccnz .LBB86_2317
; %bb.2298:
	s_cmp_lt_i32 s2, 2
	s_cbranch_scc1 .LBB86_2302
; %bb.2299:
	s_cmp_lt_i32 s2, 3
	s_cbranch_scc1 .LBB86_2303
; %bb.2300:
	s_cmp_gt_i32 s2, 3
	s_cbranch_scc0 .LBB86_2304
; %bb.2301:
	global_load_dwordx2 v[10:11], v[12:13], off
	s_mov_b64 s[0:1], 0
	s_waitcnt vmcnt(0)
	v_cvt_f64_i32_e32 v[19:20], v11
	v_cvt_f64_u32_e32 v[10:11], v10
	v_ldexp_f64 v[19:20], v[19:20], 32
	v_add_f64 v[10:11], v[19:20], v[10:11]
	s_branch .LBB86_2305
.LBB86_2302:
	s_mov_b64 s[0:1], -1
                                        ; implicit-def: $vgpr10_vgpr11
	s_branch .LBB86_2311
.LBB86_2303:
	s_mov_b64 s[0:1], -1
                                        ; implicit-def: $vgpr10_vgpr11
	s_branch .LBB86_2308
.LBB86_2304:
	s_mov_b64 s[0:1], -1
                                        ; implicit-def: $vgpr10_vgpr11
.LBB86_2305:
	s_andn2_b64 vcc, exec, s[0:1]
	s_cbranch_vccnz .LBB86_2307
; %bb.2306:
	global_load_dword v10, v[12:13], off
	s_waitcnt vmcnt(0)
	v_cvt_f64_i32_e32 v[10:11], v10
.LBB86_2307:
	s_mov_b64 s[0:1], 0
.LBB86_2308:
	s_andn2_b64 vcc, exec, s[0:1]
	s_cbranch_vccnz .LBB86_2310
; %bb.2309:
	global_load_sshort v10, v[12:13], off
	s_waitcnt vmcnt(0)
	v_cvt_f64_i32_e32 v[10:11], v10
.LBB86_2310:
	s_mov_b64 s[0:1], 0
.LBB86_2311:
	s_andn2_b64 vcc, exec, s[0:1]
	s_cbranch_vccnz .LBB86_2317
; %bb.2312:
	s_cmp_gt_i32 s2, 0
	s_cbranch_scc0 .LBB86_2314
; %bb.2313:
	global_load_sbyte v10, v[12:13], off
	s_mov_b64 s[0:1], 0
	s_waitcnt vmcnt(0)
	v_cvt_f64_i32_e32 v[10:11], v10
	s_branch .LBB86_2315
.LBB86_2314:
	s_mov_b64 s[0:1], -1
                                        ; implicit-def: $vgpr10_vgpr11
.LBB86_2315:
	s_andn2_b64 vcc, exec, s[0:1]
	s_cbranch_vccnz .LBB86_2317
; %bb.2316:
	global_load_ubyte v10, v[12:13], off
	s_waitcnt vmcnt(0)
	v_cvt_f64_u32_e32 v[10:11], v10
.LBB86_2317:
	s_mov_b64 s[4:5], -1
.LBB86_2318:
	s_andn2_b64 vcc, exec, s[4:5]
	s_cbranch_vccnz .LBB86_3012
; %bb.2319:
	v_add_u32_e32 v12, s13, v14
	v_ashrrev_i32_e32 v13, 31, v12
	v_mov_b32_e32 v15, s11
	v_add_co_u32_e32 v14, vcc, s10, v12
	s_cmp_lt_i32 s26, 11
	v_addc_co_u32_e32 v15, vcc, v15, v13, vcc
	s_cbranch_scc1 .LBB86_2326
; %bb.2320:
	s_and_b32 s13, 0xffff, s26
	s_cmp_gt_i32 s13, 25
	s_mov_b64 s[2:3], 0
	s_cbranch_scc0 .LBB86_2327
; %bb.2321:
	s_cmp_gt_i32 s13, 28
	s_cbranch_scc0 .LBB86_2328
; %bb.2322:
	s_cmp_gt_i32 s13, 43
	;; [unrolled: 3-line block ×3, first 2 shown]
	s_cbranch_scc0 .LBB86_2331
; %bb.2324:
	s_cmp_eq_u32 s13, 46
	s_mov_b64 s[6:7], 0
	s_cbranch_scc0 .LBB86_2332
; %bb.2325:
	global_load_dword v12, v[14:15], off
	s_mov_b64 s[0:1], 0
	s_mov_b64 s[4:5], -1
	s_waitcnt vmcnt(0)
	v_lshlrev_b32_e32 v12, 16, v12
	v_cvt_f64_f32_e32 v[12:13], v12
	s_branch .LBB86_2333
.LBB86_2326:
	s_mov_b64 s[0:1], -1
	s_mov_b64 s[4:5], 0
                                        ; implicit-def: $vgpr12_vgpr13
	s_branch .LBB86_2399
.LBB86_2327:
	s_mov_b64 s[6:7], -1
	s_mov_b64 s[4:5], 0
	s_mov_b64 s[0:1], 0
                                        ; implicit-def: $vgpr12_vgpr13
	s_branch .LBB86_2364
.LBB86_2328:
	s_mov_b64 s[6:7], -1
	s_mov_b64 s[4:5], 0
	s_mov_b64 s[0:1], 0
                                        ; implicit-def: $vgpr12_vgpr13
	s_branch .LBB86_2343
.LBB86_2329:
	s_mov_b64 s[6:7], -1
	s_mov_b64 s[4:5], 0
	s_mov_b64 s[0:1], 0
                                        ; implicit-def: $vgpr12_vgpr13
	s_branch .LBB86_2338
.LBB86_2330:
	s_trap 2
	s_or_b64 s[22:23], s[22:23], exec
	s_cbranch_execz .LBB86_2267
	s_branch .LBB86_2268
.LBB86_2331:
	s_mov_b64 s[6:7], -1
	s_mov_b64 s[4:5], 0
	s_mov_b64 s[0:1], 0
                                        ; implicit-def: $vgpr12_vgpr13
	s_branch .LBB86_2333
.LBB86_2332:
	s_mov_b64 s[0:1], -1
                                        ; implicit-def: $vgpr12_vgpr13
	s_mov_b64 s[4:5], 0
.LBB86_2333:
	s_and_b64 vcc, exec, s[6:7]
	s_cbranch_vccz .LBB86_2337
; %bb.2334:
	s_cmp_eq_u32 s13, 44
	s_cbranch_scc0 .LBB86_2336
; %bb.2335:
	global_load_ubyte v17, v[14:15], off
	s_movk_i32 s4, 0xff
	v_bfrev_b32_e32 v19, 4
	v_mov_b32_e32 v20, 0x7ff80000
	v_bfrev_b32_e32 v21, 28
	s_mov_b64 s[0:1], 0
	s_waitcnt vmcnt(0)
	v_lshlrev_b32_e32 v12, 23, v17
	v_cvt_f64_f32_e32 v[12:13], v12
	v_cmp_ne_u32_e32 vcc, s4, v17
	s_mov_b64 s[4:5], -1
	v_cndmask_b32_e32 v12, v19, v12, vcc
	v_cndmask_b32_e32 v13, v20, v13, vcc
	v_cmp_ne_u32_e32 vcc, 0, v17
	v_cndmask_b32_e32 v13, v21, v13, vcc
	v_cndmask_b32_e32 v12, 0, v12, vcc
	s_branch .LBB86_2337
.LBB86_2336:
	s_mov_b64 s[0:1], -1
                                        ; implicit-def: $vgpr12_vgpr13
.LBB86_2337:
	s_mov_b64 s[6:7], 0
.LBB86_2338:
	s_and_b64 vcc, exec, s[6:7]
	s_cbranch_vccz .LBB86_2342
; %bb.2339:
	s_cmp_eq_u32 s13, 29
	s_cbranch_scc0 .LBB86_2341
; %bb.2340:
	global_load_dwordx2 v[12:13], v[14:15], off
	s_mov_b64 s[0:1], 0
	s_mov_b64 s[4:5], -1
	s_mov_b64 s[6:7], 0
	s_waitcnt vmcnt(0)
	v_cvt_f64_u32_e32 v[19:20], v13
	v_cvt_f64_u32_e32 v[12:13], v12
	v_ldexp_f64 v[19:20], v[19:20], 32
	v_add_f64 v[12:13], v[19:20], v[12:13]
	s_branch .LBB86_2343
.LBB86_2341:
	s_mov_b64 s[0:1], -1
                                        ; implicit-def: $vgpr12_vgpr13
.LBB86_2342:
	s_mov_b64 s[6:7], 0
.LBB86_2343:
	s_and_b64 vcc, exec, s[6:7]
	s_cbranch_vccz .LBB86_2363
; %bb.2344:
	s_cmp_lt_i32 s13, 27
	s_cbranch_scc1 .LBB86_2347
; %bb.2345:
	s_cmp_gt_i32 s13, 27
	s_cbranch_scc0 .LBB86_2348
; %bb.2346:
	global_load_dword v12, v[14:15], off
	s_mov_b64 s[4:5], 0
	s_waitcnt vmcnt(0)
	v_cvt_f64_u32_e32 v[12:13], v12
	s_branch .LBB86_2349
.LBB86_2347:
	s_mov_b64 s[4:5], -1
                                        ; implicit-def: $vgpr12_vgpr13
	s_branch .LBB86_2352
.LBB86_2348:
	s_mov_b64 s[4:5], -1
                                        ; implicit-def: $vgpr12_vgpr13
.LBB86_2349:
	s_andn2_b64 vcc, exec, s[4:5]
	s_cbranch_vccnz .LBB86_2351
; %bb.2350:
	global_load_ushort v12, v[14:15], off
	s_waitcnt vmcnt(0)
	v_cvt_f64_u32_e32 v[12:13], v12
.LBB86_2351:
	s_mov_b64 s[4:5], 0
.LBB86_2352:
	s_andn2_b64 vcc, exec, s[4:5]
	s_cbranch_vccnz .LBB86_2362
; %bb.2353:
	global_load_ubyte v17, v[14:15], off
	s_movk_i32 s4, 0x7f
	s_waitcnt vmcnt(0)
	v_cmp_lt_i16_e32 vcc, s4, v17
	s_mov_b64 s[4:5], 0
	s_and_saveexec_b64 s[6:7], vcc
	s_xor_b64 s[6:7], exec, s[6:7]
	s_cbranch_execz .LBB86_2357
; %bb.2354:
	s_movk_i32 s4, 0x80
	v_cmp_eq_u16_e32 vcc, s4, v17
	s_mov_b64 s[4:5], -1
	s_and_saveexec_b64 s[10:11], vcc
; %bb.2355:
	s_xor_b64 s[4:5], exec, -1
; %bb.2356:
	s_or_b64 exec, exec, s[10:11]
	s_and_b64 s[4:5], s[4:5], exec
.LBB86_2357:
	s_or_saveexec_b64 s[6:7], s[6:7]
	v_bfrev_b32_e32 v12, 4
	v_mov_b32_e32 v13, 0x7ff80000
	s_xor_b64 exec, exec, s[6:7]
; %bb.2358:
	v_cmp_ne_u16_e32 vcc, 0, v17
	v_mov_b32_e32 v12, 0
	s_andn2_b64 s[4:5], s[4:5], exec
	s_and_b64 s[10:11], vcc, exec
	v_mov_b32_e32 v13, 0
	s_or_b64 s[4:5], s[4:5], s[10:11]
; %bb.2359:
	s_or_b64 exec, exec, s[6:7]
	s_and_saveexec_b64 s[6:7], s[4:5]
	s_cbranch_execz .LBB86_2361
; %bb.2360:
	v_and_b32_e32 v13, 0xffff, v17
	v_lshlrev_b32_e32 v12, 24, v17
	v_and_b32_e32 v17, 7, v13
	v_ffbh_u32_e32 v20, v17
	v_min_u32_e32 v20, 32, v20
	v_subrev_u32_e32 v21, 28, v20
	v_bfe_u32 v19, v13, 3, 4
	v_lshlrev_b32_e32 v13, v21, v13
	v_sub_u32_e32 v20, 29, v20
	v_and_b32_e32 v13, 7, v13
	v_cmp_eq_u32_e32 vcc, 0, v19
	v_cndmask_b32_e32 v19, v19, v20, vcc
	v_cndmask_b32_e32 v13, v17, v13, vcc
	v_mov_b32_e32 v17, 0x3b800000
	v_lshlrev_b32_e32 v13, 20, v13
	v_and_b32_e32 v12, 0x80000000, v12
	v_lshl_add_u32 v17, v19, 23, v17
	v_or3_b32 v12, v12, v17, v13
	v_cvt_f64_f32_e32 v[12:13], v12
.LBB86_2361:
	s_or_b64 exec, exec, s[6:7]
.LBB86_2362:
	s_mov_b64 s[4:5], -1
.LBB86_2363:
	s_mov_b64 s[6:7], 0
.LBB86_2364:
	s_and_b64 vcc, exec, s[6:7]
	s_cbranch_vccz .LBB86_2395
; %bb.2365:
	s_cmp_gt_i32 s13, 22
	s_cbranch_scc0 .LBB86_2377
; %bb.2366:
	s_cmp_lt_i32 s13, 24
	s_cbranch_scc1 .LBB86_2378
; %bb.2367:
	s_cmp_gt_i32 s13, 24
	s_cbranch_scc0 .LBB86_2379
; %bb.2368:
	global_load_ubyte v17, v[14:15], off
	s_movk_i32 s2, 0x7f
	s_waitcnt vmcnt(0)
	v_cmp_lt_i16_e32 vcc, s2, v17
	s_mov_b64 s[2:3], 0
	s_and_saveexec_b64 s[4:5], vcc
	s_xor_b64 s[4:5], exec, s[4:5]
	s_cbranch_execz .LBB86_2372
; %bb.2369:
	s_movk_i32 s2, 0x80
	v_cmp_eq_u16_e32 vcc, s2, v17
	s_mov_b64 s[2:3], -1
	s_and_saveexec_b64 s[6:7], vcc
; %bb.2370:
	s_xor_b64 s[2:3], exec, -1
; %bb.2371:
	s_or_b64 exec, exec, s[6:7]
	s_and_b64 s[2:3], s[2:3], exec
.LBB86_2372:
	s_or_saveexec_b64 s[4:5], s[4:5]
	v_bfrev_b32_e32 v12, 4
	v_mov_b32_e32 v13, 0x7ff80000
	s_xor_b64 exec, exec, s[4:5]
; %bb.2373:
	v_cmp_ne_u16_e32 vcc, 0, v17
	v_mov_b32_e32 v12, 0
	s_andn2_b64 s[2:3], s[2:3], exec
	s_and_b64 s[6:7], vcc, exec
	v_mov_b32_e32 v13, 0
	s_or_b64 s[2:3], s[2:3], s[6:7]
; %bb.2374:
	s_or_b64 exec, exec, s[4:5]
	s_and_saveexec_b64 s[4:5], s[2:3]
	s_cbranch_execz .LBB86_2376
; %bb.2375:
	v_and_b32_e32 v13, 0xffff, v17
	v_lshlrev_b32_e32 v12, 24, v17
	v_and_b32_e32 v17, 3, v13
	v_ffbh_u32_e32 v20, v17
	v_min_u32_e32 v20, 32, v20
	v_subrev_u32_e32 v21, 29, v20
	v_bfe_u32 v19, v13, 2, 5
	v_lshlrev_b32_e32 v13, v21, v13
	v_sub_u32_e32 v20, 30, v20
	v_and_b32_e32 v13, 3, v13
	v_cmp_eq_u32_e32 vcc, 0, v19
	v_cndmask_b32_e32 v19, v19, v20, vcc
	v_cndmask_b32_e32 v13, v17, v13, vcc
	v_mov_b32_e32 v17, 0x37800000
	v_lshlrev_b32_e32 v13, 21, v13
	v_and_b32_e32 v12, 0x80000000, v12
	v_lshl_add_u32 v17, v19, 23, v17
	v_or3_b32 v12, v12, v17, v13
	v_cvt_f64_f32_e32 v[12:13], v12
.LBB86_2376:
	s_or_b64 exec, exec, s[4:5]
	s_mov_b64 s[2:3], 0
	s_branch .LBB86_2380
.LBB86_2377:
	s_mov_b64 s[2:3], -1
                                        ; implicit-def: $vgpr12_vgpr13
	s_branch .LBB86_2386
.LBB86_2378:
	s_mov_b64 s[2:3], -1
                                        ; implicit-def: $vgpr12_vgpr13
	s_branch .LBB86_2383
.LBB86_2379:
	s_mov_b64 s[2:3], -1
                                        ; implicit-def: $vgpr12_vgpr13
.LBB86_2380:
	s_and_b64 vcc, exec, s[2:3]
	s_cbranch_vccz .LBB86_2382
; %bb.2381:
	global_load_ubyte v12, v[14:15], off
	s_mov_b32 s2, 0x7f800000
	s_waitcnt vmcnt(0)
	v_lshlrev_b32_e32 v12, 24, v12
	v_and_b32_e32 v13, 0x7f000000, v12
	v_ffbh_u32_e32 v17, v13
	v_min_u32_e32 v17, 32, v17
	v_sub_u32_e64 v17, v17, 4 clamp
	v_lshlrev_b32_e32 v20, v17, v13
	v_lshlrev_b32_e32 v17, 23, v17
	v_lshrrev_b32_e32 v20, 4, v20
	v_add_u32_e32 v19, 0x1000000, v13
	v_sub_u32_e32 v17, v20, v17
	v_ashrrev_i32_e32 v19, 8, v19
	v_add_u32_e32 v17, 0x3c000000, v17
	v_and_or_b32 v17, v19, s2, v17
	v_cmp_ne_u32_e32 vcc, 0, v13
	v_cndmask_b32_e32 v13, 0, v17, vcc
	s_brev_b32 s2, 1
	v_and_or_b32 v12, v12, s2, v13
	v_cvt_f64_f32_e32 v[12:13], v12
.LBB86_2382:
	s_mov_b64 s[2:3], 0
.LBB86_2383:
	s_andn2_b64 vcc, exec, s[2:3]
	s_cbranch_vccnz .LBB86_2385
; %bb.2384:
	global_load_ubyte v12, v[14:15], off
	s_movk_i32 s2, 0x7f00
	s_brev_b32 s3, 16
	s_waitcnt vmcnt(0)
	v_lshlrev_b16_e32 v13, 8, v12
	v_lshlrev_b32_e32 v12, 25, v12
	v_lshrrev_b32_e32 v17, 4, v12
	v_and_or_b32 v19, v13, s2, 0.5
	v_or_b32_e32 v17, 0x70000000, v17
	v_add_f32_e32 v19, -0.5, v19
	v_mul_f32_e32 v17, 0x7800000, v17
	v_cmp_gt_u32_e32 vcc, s3, v12
	v_bfe_i32 v13, v13, 0, 16
	v_cndmask_b32_e32 v12, v17, v19, vcc
	s_brev_b32 s2, 1
	v_and_or_b32 v12, v13, s2, v12
	v_cvt_f64_f32_e32 v[12:13], v12
.LBB86_2385:
	s_mov_b64 s[2:3], 0
	s_mov_b64 s[4:5], -1
.LBB86_2386:
	s_andn2_b64 vcc, exec, s[2:3]
	s_mov_b64 s[2:3], 0
	s_cbranch_vccnz .LBB86_2395
; %bb.2387:
	s_cmp_gt_i32 s13, 14
	s_cbranch_scc0 .LBB86_2390
; %bb.2388:
	s_cmp_eq_u32 s13, 15
	s_cbranch_scc0 .LBB86_2391
; %bb.2389:
	global_load_ushort v12, v[14:15], off
	s_mov_b64 s[0:1], 0
	s_mov_b64 s[4:5], -1
	s_waitcnt vmcnt(0)
	v_lshlrev_b32_e32 v12, 16, v12
	v_cvt_f64_f32_e32 v[12:13], v12
	s_branch .LBB86_2392
.LBB86_2390:
	s_mov_b64 s[6:7], -1
                                        ; implicit-def: $vgpr12_vgpr13
	s_branch .LBB86_2393
.LBB86_2391:
	s_mov_b64 s[0:1], -1
                                        ; implicit-def: $vgpr12_vgpr13
.LBB86_2392:
	s_mov_b64 s[6:7], 0
.LBB86_2393:
	s_and_b64 vcc, exec, s[6:7]
	s_cbranch_vccz .LBB86_2395
; %bb.2394:
	s_cmp_lg_u32 s13, 11
	s_mov_b64 s[2:3], -1
	s_cselect_b64 s[0:1], -1, 0
.LBB86_2395:
	s_and_b64 vcc, exec, s[0:1]
	s_cbranch_vccnz .LBB86_2460
; %bb.2396:
	s_andn2_b64 vcc, exec, s[2:3]
	s_cbranch_vccnz .LBB86_2398
.LBB86_2397:
	global_load_ubyte v13, v[14:15], off
	v_mov_b32_e32 v17, 0x3ff00000
	v_mov_b32_e32 v12, 0
	s_mov_b64 s[4:5], -1
	s_waitcnt vmcnt(0)
	v_cmp_ne_u16_e32 vcc, 0, v13
	v_cndmask_b32_e32 v13, 0, v17, vcc
.LBB86_2398:
	s_mov_b64 s[0:1], 0
.LBB86_2399:
	s_and_b64 vcc, exec, s[0:1]
	s_cbranch_vccz .LBB86_2448
; %bb.2400:
	s_and_b32 s2, 0xffff, s26
	s_cmp_lt_i32 s2, 5
	s_cbranch_scc1 .LBB86_2405
; %bb.2401:
	s_cmp_lt_i32 s2, 8
	s_cbranch_scc1 .LBB86_2406
; %bb.2402:
	;; [unrolled: 3-line block ×3, first 2 shown]
	s_cmp_gt_i32 s2, 9
	s_cbranch_scc0 .LBB86_2408
; %bb.2404:
	global_load_dwordx2 v[12:13], v[14:15], off
	s_mov_b64 s[0:1], 0
	s_branch .LBB86_2409
.LBB86_2405:
	s_mov_b64 s[0:1], -1
                                        ; implicit-def: $vgpr12_vgpr13
	s_branch .LBB86_2427
.LBB86_2406:
	s_mov_b64 s[0:1], -1
                                        ; implicit-def: $vgpr12_vgpr13
	s_branch .LBB86_2415
.LBB86_2407:
	s_mov_b64 s[0:1], -1
                                        ; implicit-def: $vgpr12_vgpr13
	s_branch .LBB86_2412
.LBB86_2408:
	s_mov_b64 s[0:1], -1
                                        ; implicit-def: $vgpr12_vgpr13
.LBB86_2409:
	s_andn2_b64 vcc, exec, s[0:1]
	s_cbranch_vccnz .LBB86_2411
; %bb.2410:
	global_load_dword v12, v[14:15], off
	s_waitcnt vmcnt(0)
	v_cvt_f64_f32_e32 v[12:13], v12
.LBB86_2411:
	s_mov_b64 s[0:1], 0
.LBB86_2412:
	s_andn2_b64 vcc, exec, s[0:1]
	s_cbranch_vccnz .LBB86_2414
; %bb.2413:
	global_load_dword v12, v[14:15], off
	s_waitcnt vmcnt(0)
	v_cvt_f32_f16_e32 v12, v12
	v_cvt_f64_f32_e32 v[12:13], v12
.LBB86_2414:
	s_mov_b64 s[0:1], 0
.LBB86_2415:
	s_andn2_b64 vcc, exec, s[0:1]
	s_cbranch_vccnz .LBB86_2426
; %bb.2416:
	s_cmp_lt_i32 s2, 6
	s_cbranch_scc1 .LBB86_2419
; %bb.2417:
	s_cmp_gt_i32 s2, 6
	s_cbranch_scc0 .LBB86_2420
; %bb.2418:
	global_load_dwordx2 v[12:13], v[14:15], off
	s_mov_b64 s[0:1], 0
	s_branch .LBB86_2421
.LBB86_2419:
	s_mov_b64 s[0:1], -1
                                        ; implicit-def: $vgpr12_vgpr13
	s_branch .LBB86_2424
.LBB86_2420:
	s_mov_b64 s[0:1], -1
                                        ; implicit-def: $vgpr12_vgpr13
.LBB86_2421:
	s_andn2_b64 vcc, exec, s[0:1]
	s_cbranch_vccnz .LBB86_2423
; %bb.2422:
	global_load_dword v12, v[14:15], off
	s_waitcnt vmcnt(0)
	v_cvt_f64_f32_e32 v[12:13], v12
.LBB86_2423:
	s_mov_b64 s[0:1], 0
.LBB86_2424:
	s_andn2_b64 vcc, exec, s[0:1]
	s_cbranch_vccnz .LBB86_2426
; %bb.2425:
	global_load_ushort v12, v[14:15], off
	s_waitcnt vmcnt(0)
	v_cvt_f32_f16_e32 v12, v12
	v_cvt_f64_f32_e32 v[12:13], v12
.LBB86_2426:
	s_mov_b64 s[0:1], 0
.LBB86_2427:
	s_andn2_b64 vcc, exec, s[0:1]
	s_cbranch_vccnz .LBB86_2447
; %bb.2428:
	s_cmp_lt_i32 s2, 2
	s_cbranch_scc1 .LBB86_2432
; %bb.2429:
	s_cmp_lt_i32 s2, 3
	s_cbranch_scc1 .LBB86_2433
; %bb.2430:
	s_cmp_gt_i32 s2, 3
	s_cbranch_scc0 .LBB86_2434
; %bb.2431:
	global_load_dwordx2 v[12:13], v[14:15], off
	s_mov_b64 s[0:1], 0
	s_waitcnt vmcnt(0)
	v_cvt_f64_i32_e32 v[19:20], v13
	v_cvt_f64_u32_e32 v[12:13], v12
	v_ldexp_f64 v[19:20], v[19:20], 32
	v_add_f64 v[12:13], v[19:20], v[12:13]
	s_branch .LBB86_2435
.LBB86_2432:
	s_mov_b64 s[0:1], -1
                                        ; implicit-def: $vgpr12_vgpr13
	s_branch .LBB86_2441
.LBB86_2433:
	s_mov_b64 s[0:1], -1
                                        ; implicit-def: $vgpr12_vgpr13
	s_branch .LBB86_2438
.LBB86_2434:
	s_mov_b64 s[0:1], -1
                                        ; implicit-def: $vgpr12_vgpr13
.LBB86_2435:
	s_andn2_b64 vcc, exec, s[0:1]
	s_cbranch_vccnz .LBB86_2437
; %bb.2436:
	global_load_dword v12, v[14:15], off
	s_waitcnt vmcnt(0)
	v_cvt_f64_i32_e32 v[12:13], v12
.LBB86_2437:
	s_mov_b64 s[0:1], 0
.LBB86_2438:
	s_andn2_b64 vcc, exec, s[0:1]
	s_cbranch_vccnz .LBB86_2440
; %bb.2439:
	global_load_sshort v12, v[14:15], off
	s_waitcnt vmcnt(0)
	v_cvt_f64_i32_e32 v[12:13], v12
.LBB86_2440:
	s_mov_b64 s[0:1], 0
.LBB86_2441:
	s_andn2_b64 vcc, exec, s[0:1]
	s_cbranch_vccnz .LBB86_2447
; %bb.2442:
	s_cmp_gt_i32 s2, 0
	s_cbranch_scc0 .LBB86_2444
; %bb.2443:
	global_load_sbyte v12, v[14:15], off
	s_mov_b64 s[0:1], 0
	s_waitcnt vmcnt(0)
	v_cvt_f64_i32_e32 v[12:13], v12
	s_branch .LBB86_2445
.LBB86_2444:
	s_mov_b64 s[0:1], -1
                                        ; implicit-def: $vgpr12_vgpr13
.LBB86_2445:
	s_andn2_b64 vcc, exec, s[0:1]
	s_cbranch_vccnz .LBB86_2447
; %bb.2446:
	global_load_ubyte v12, v[14:15], off
	s_waitcnt vmcnt(0)
	v_cvt_f64_u32_e32 v[12:13], v12
.LBB86_2447:
	s_mov_b64 s[4:5], -1
.LBB86_2448:
	s_andn2_b64 vcc, exec, s[4:5]
	s_cbranch_vccnz .LBB86_3012
; %bb.2449:
	v_add_u32_e32 v14, s14, v16
	v_ashrrev_i32_e32 v15, 31, v14
	v_mov_b32_e32 v17, s17
	v_add_co_u32_e32 v16, vcc, s16, v14
	s_cmp_lt_i32 s27, 11
	v_addc_co_u32_e32 v17, vcc, v17, v15, vcc
	s_cbranch_scc1 .LBB86_2456
; %bb.2450:
	s_and_b32 s13, 0xffff, s27
	s_cmp_gt_i32 s13, 25
	s_mov_b64 s[2:3], 0
	s_cbranch_scc0 .LBB86_2457
; %bb.2451:
	s_cmp_gt_i32 s13, 28
	s_cbranch_scc0 .LBB86_2458
; %bb.2452:
	s_cmp_gt_i32 s13, 43
	s_cbranch_scc0 .LBB86_2459
; %bb.2453:
	s_cmp_gt_i32 s13, 45
	s_cbranch_scc0 .LBB86_2461
; %bb.2454:
	s_cmp_eq_u32 s13, 46
	s_mov_b64 s[6:7], 0
	s_cbranch_scc0 .LBB86_2462
; %bb.2455:
	global_load_dword v14, v[16:17], off
	s_mov_b64 s[0:1], 0
	s_mov_b64 s[4:5], -1
	s_waitcnt vmcnt(0)
	v_lshlrev_b32_e32 v14, 16, v14
	v_cvt_f64_f32_e32 v[14:15], v14
	s_branch .LBB86_2463
.LBB86_2456:
	s_mov_b64 s[0:1], -1
	s_mov_b64 s[4:5], 0
                                        ; implicit-def: $vgpr14_vgpr15
	s_branch .LBB86_2529
.LBB86_2457:
	s_mov_b64 s[6:7], -1
	s_mov_b64 s[4:5], 0
	s_mov_b64 s[0:1], 0
                                        ; implicit-def: $vgpr14_vgpr15
	s_branch .LBB86_2494
.LBB86_2458:
	s_mov_b64 s[6:7], -1
	s_mov_b64 s[4:5], 0
	s_mov_b64 s[0:1], 0
                                        ; implicit-def: $vgpr14_vgpr15
	s_branch .LBB86_2473
.LBB86_2459:
	s_mov_b64 s[6:7], -1
	s_mov_b64 s[4:5], 0
	s_mov_b64 s[0:1], 0
                                        ; implicit-def: $vgpr14_vgpr15
	s_branch .LBB86_2468
.LBB86_2460:
	s_trap 2
	s_or_b64 s[22:23], s[22:23], exec
	s_cbranch_execz .LBB86_2397
	s_branch .LBB86_2398
.LBB86_2461:
	s_mov_b64 s[6:7], -1
	s_mov_b64 s[4:5], 0
	s_mov_b64 s[0:1], 0
                                        ; implicit-def: $vgpr14_vgpr15
	s_branch .LBB86_2463
.LBB86_2462:
	s_mov_b64 s[0:1], -1
                                        ; implicit-def: $vgpr14_vgpr15
	s_mov_b64 s[4:5], 0
.LBB86_2463:
	s_and_b64 vcc, exec, s[6:7]
	s_cbranch_vccz .LBB86_2467
; %bb.2464:
	s_cmp_eq_u32 s13, 44
	s_cbranch_scc0 .LBB86_2466
; %bb.2465:
	global_load_ubyte v19, v[16:17], off
	s_movk_i32 s4, 0xff
	v_bfrev_b32_e32 v20, 4
	v_mov_b32_e32 v21, 0x7ff80000
	v_bfrev_b32_e32 v22, 28
	s_mov_b64 s[0:1], 0
	s_waitcnt vmcnt(0)
	v_lshlrev_b32_e32 v14, 23, v19
	v_cvt_f64_f32_e32 v[14:15], v14
	v_cmp_ne_u32_e32 vcc, s4, v19
	s_mov_b64 s[4:5], -1
	v_cndmask_b32_e32 v14, v20, v14, vcc
	v_cndmask_b32_e32 v15, v21, v15, vcc
	v_cmp_ne_u32_e32 vcc, 0, v19
	v_cndmask_b32_e32 v15, v22, v15, vcc
	v_cndmask_b32_e32 v14, 0, v14, vcc
	s_branch .LBB86_2467
.LBB86_2466:
	s_mov_b64 s[0:1], -1
                                        ; implicit-def: $vgpr14_vgpr15
.LBB86_2467:
	s_mov_b64 s[6:7], 0
.LBB86_2468:
	s_and_b64 vcc, exec, s[6:7]
	s_cbranch_vccz .LBB86_2472
; %bb.2469:
	s_cmp_eq_u32 s13, 29
	s_cbranch_scc0 .LBB86_2471
; %bb.2470:
	global_load_dwordx2 v[14:15], v[16:17], off
	s_mov_b64 s[0:1], 0
	s_mov_b64 s[4:5], -1
	s_mov_b64 s[6:7], 0
	s_waitcnt vmcnt(0)
	v_cvt_f64_u32_e32 v[19:20], v15
	v_cvt_f64_u32_e32 v[14:15], v14
	v_ldexp_f64 v[19:20], v[19:20], 32
	v_add_f64 v[14:15], v[19:20], v[14:15]
	s_branch .LBB86_2473
.LBB86_2471:
	s_mov_b64 s[0:1], -1
                                        ; implicit-def: $vgpr14_vgpr15
.LBB86_2472:
	s_mov_b64 s[6:7], 0
.LBB86_2473:
	s_and_b64 vcc, exec, s[6:7]
	s_cbranch_vccz .LBB86_2493
; %bb.2474:
	s_cmp_lt_i32 s13, 27
	s_cbranch_scc1 .LBB86_2477
; %bb.2475:
	s_cmp_gt_i32 s13, 27
	s_cbranch_scc0 .LBB86_2478
; %bb.2476:
	global_load_dword v14, v[16:17], off
	s_mov_b64 s[4:5], 0
	s_waitcnt vmcnt(0)
	v_cvt_f64_u32_e32 v[14:15], v14
	s_branch .LBB86_2479
.LBB86_2477:
	s_mov_b64 s[4:5], -1
                                        ; implicit-def: $vgpr14_vgpr15
	s_branch .LBB86_2482
.LBB86_2478:
	s_mov_b64 s[4:5], -1
                                        ; implicit-def: $vgpr14_vgpr15
.LBB86_2479:
	s_andn2_b64 vcc, exec, s[4:5]
	s_cbranch_vccnz .LBB86_2481
; %bb.2480:
	global_load_ushort v14, v[16:17], off
	s_waitcnt vmcnt(0)
	v_cvt_f64_u32_e32 v[14:15], v14
.LBB86_2481:
	s_mov_b64 s[4:5], 0
.LBB86_2482:
	s_andn2_b64 vcc, exec, s[4:5]
	s_cbranch_vccnz .LBB86_2492
; %bb.2483:
	global_load_ubyte v19, v[16:17], off
	s_movk_i32 s4, 0x7f
	s_waitcnt vmcnt(0)
	v_cmp_lt_i16_e32 vcc, s4, v19
	s_mov_b64 s[4:5], 0
	s_and_saveexec_b64 s[6:7], vcc
	s_xor_b64 s[6:7], exec, s[6:7]
	s_cbranch_execz .LBB86_2487
; %bb.2484:
	s_movk_i32 s4, 0x80
	v_cmp_eq_u16_e32 vcc, s4, v19
	s_mov_b64 s[4:5], -1
	s_and_saveexec_b64 s[10:11], vcc
; %bb.2485:
	s_xor_b64 s[4:5], exec, -1
; %bb.2486:
	s_or_b64 exec, exec, s[10:11]
	s_and_b64 s[4:5], s[4:5], exec
.LBB86_2487:
	s_or_saveexec_b64 s[6:7], s[6:7]
	v_bfrev_b32_e32 v14, 4
	v_mov_b32_e32 v15, 0x7ff80000
	s_xor_b64 exec, exec, s[6:7]
; %bb.2488:
	v_cmp_ne_u16_e32 vcc, 0, v19
	v_mov_b32_e32 v14, 0
	s_andn2_b64 s[4:5], s[4:5], exec
	s_and_b64 s[10:11], vcc, exec
	v_mov_b32_e32 v15, 0
	s_or_b64 s[4:5], s[4:5], s[10:11]
; %bb.2489:
	s_or_b64 exec, exec, s[6:7]
	s_and_saveexec_b64 s[6:7], s[4:5]
	s_cbranch_execz .LBB86_2491
; %bb.2490:
	v_and_b32_e32 v15, 0xffff, v19
	v_lshlrev_b32_e32 v14, 24, v19
	v_and_b32_e32 v19, 7, v15
	v_ffbh_u32_e32 v21, v19
	v_min_u32_e32 v21, 32, v21
	v_subrev_u32_e32 v22, 28, v21
	v_bfe_u32 v20, v15, 3, 4
	v_lshlrev_b32_e32 v15, v22, v15
	v_sub_u32_e32 v21, 29, v21
	v_and_b32_e32 v15, 7, v15
	v_cmp_eq_u32_e32 vcc, 0, v20
	v_cndmask_b32_e32 v20, v20, v21, vcc
	v_cndmask_b32_e32 v15, v19, v15, vcc
	v_mov_b32_e32 v19, 0x3b800000
	v_lshlrev_b32_e32 v15, 20, v15
	v_and_b32_e32 v14, 0x80000000, v14
	v_lshl_add_u32 v19, v20, 23, v19
	v_or3_b32 v14, v14, v19, v15
	v_cvt_f64_f32_e32 v[14:15], v14
.LBB86_2491:
	s_or_b64 exec, exec, s[6:7]
.LBB86_2492:
	s_mov_b64 s[4:5], -1
.LBB86_2493:
	s_mov_b64 s[6:7], 0
.LBB86_2494:
	s_and_b64 vcc, exec, s[6:7]
	s_cbranch_vccz .LBB86_2525
; %bb.2495:
	s_cmp_gt_i32 s13, 22
	s_cbranch_scc0 .LBB86_2507
; %bb.2496:
	s_cmp_lt_i32 s13, 24
	s_cbranch_scc1 .LBB86_2508
; %bb.2497:
	s_cmp_gt_i32 s13, 24
	s_cbranch_scc0 .LBB86_2509
; %bb.2498:
	global_load_ubyte v19, v[16:17], off
	s_movk_i32 s2, 0x7f
	s_waitcnt vmcnt(0)
	v_cmp_lt_i16_e32 vcc, s2, v19
	s_mov_b64 s[2:3], 0
	s_and_saveexec_b64 s[4:5], vcc
	s_xor_b64 s[4:5], exec, s[4:5]
	s_cbranch_execz .LBB86_2502
; %bb.2499:
	s_movk_i32 s2, 0x80
	v_cmp_eq_u16_e32 vcc, s2, v19
	s_mov_b64 s[2:3], -1
	s_and_saveexec_b64 s[6:7], vcc
; %bb.2500:
	s_xor_b64 s[2:3], exec, -1
; %bb.2501:
	s_or_b64 exec, exec, s[6:7]
	s_and_b64 s[2:3], s[2:3], exec
.LBB86_2502:
	s_or_saveexec_b64 s[4:5], s[4:5]
	v_bfrev_b32_e32 v14, 4
	v_mov_b32_e32 v15, 0x7ff80000
	s_xor_b64 exec, exec, s[4:5]
; %bb.2503:
	v_cmp_ne_u16_e32 vcc, 0, v19
	v_mov_b32_e32 v14, 0
	s_andn2_b64 s[2:3], s[2:3], exec
	s_and_b64 s[6:7], vcc, exec
	v_mov_b32_e32 v15, 0
	s_or_b64 s[2:3], s[2:3], s[6:7]
; %bb.2504:
	s_or_b64 exec, exec, s[4:5]
	s_and_saveexec_b64 s[4:5], s[2:3]
	s_cbranch_execz .LBB86_2506
; %bb.2505:
	v_and_b32_e32 v15, 0xffff, v19
	v_lshlrev_b32_e32 v14, 24, v19
	v_and_b32_e32 v19, 3, v15
	v_ffbh_u32_e32 v21, v19
	v_min_u32_e32 v21, 32, v21
	v_subrev_u32_e32 v22, 29, v21
	v_bfe_u32 v20, v15, 2, 5
	v_lshlrev_b32_e32 v15, v22, v15
	v_sub_u32_e32 v21, 30, v21
	v_and_b32_e32 v15, 3, v15
	v_cmp_eq_u32_e32 vcc, 0, v20
	v_cndmask_b32_e32 v20, v20, v21, vcc
	v_cndmask_b32_e32 v15, v19, v15, vcc
	v_mov_b32_e32 v19, 0x37800000
	v_lshlrev_b32_e32 v15, 21, v15
	v_and_b32_e32 v14, 0x80000000, v14
	v_lshl_add_u32 v19, v20, 23, v19
	v_or3_b32 v14, v14, v19, v15
	v_cvt_f64_f32_e32 v[14:15], v14
.LBB86_2506:
	s_or_b64 exec, exec, s[4:5]
	s_mov_b64 s[2:3], 0
	s_branch .LBB86_2510
.LBB86_2507:
	s_mov_b64 s[2:3], -1
                                        ; implicit-def: $vgpr14_vgpr15
	s_branch .LBB86_2516
.LBB86_2508:
	s_mov_b64 s[2:3], -1
                                        ; implicit-def: $vgpr14_vgpr15
	s_branch .LBB86_2513
.LBB86_2509:
	s_mov_b64 s[2:3], -1
                                        ; implicit-def: $vgpr14_vgpr15
.LBB86_2510:
	s_and_b64 vcc, exec, s[2:3]
	s_cbranch_vccz .LBB86_2512
; %bb.2511:
	global_load_ubyte v14, v[16:17], off
	s_mov_b32 s2, 0x7f800000
	s_waitcnt vmcnt(0)
	v_lshlrev_b32_e32 v14, 24, v14
	v_and_b32_e32 v15, 0x7f000000, v14
	v_ffbh_u32_e32 v19, v15
	v_min_u32_e32 v19, 32, v19
	v_sub_u32_e64 v19, v19, 4 clamp
	v_lshlrev_b32_e32 v21, v19, v15
	v_lshlrev_b32_e32 v19, 23, v19
	v_lshrrev_b32_e32 v21, 4, v21
	v_add_u32_e32 v20, 0x1000000, v15
	v_sub_u32_e32 v19, v21, v19
	v_ashrrev_i32_e32 v20, 8, v20
	v_add_u32_e32 v19, 0x3c000000, v19
	v_and_or_b32 v19, v20, s2, v19
	v_cmp_ne_u32_e32 vcc, 0, v15
	v_cndmask_b32_e32 v15, 0, v19, vcc
	s_brev_b32 s2, 1
	v_and_or_b32 v14, v14, s2, v15
	v_cvt_f64_f32_e32 v[14:15], v14
.LBB86_2512:
	s_mov_b64 s[2:3], 0
.LBB86_2513:
	s_andn2_b64 vcc, exec, s[2:3]
	s_cbranch_vccnz .LBB86_2515
; %bb.2514:
	global_load_ubyte v14, v[16:17], off
	s_movk_i32 s2, 0x7f00
	s_brev_b32 s3, 16
	s_waitcnt vmcnt(0)
	v_lshlrev_b16_e32 v15, 8, v14
	v_lshlrev_b32_e32 v14, 25, v14
	v_lshrrev_b32_e32 v19, 4, v14
	v_and_or_b32 v20, v15, s2, 0.5
	v_or_b32_e32 v19, 0x70000000, v19
	v_add_f32_e32 v20, -0.5, v20
	v_mul_f32_e32 v19, 0x7800000, v19
	v_cmp_gt_u32_e32 vcc, s3, v14
	v_bfe_i32 v15, v15, 0, 16
	v_cndmask_b32_e32 v14, v19, v20, vcc
	s_brev_b32 s2, 1
	v_and_or_b32 v14, v15, s2, v14
	v_cvt_f64_f32_e32 v[14:15], v14
.LBB86_2515:
	s_mov_b64 s[2:3], 0
	s_mov_b64 s[4:5], -1
.LBB86_2516:
	s_andn2_b64 vcc, exec, s[2:3]
	s_mov_b64 s[2:3], 0
	s_cbranch_vccnz .LBB86_2525
; %bb.2517:
	s_cmp_gt_i32 s13, 14
	s_cbranch_scc0 .LBB86_2520
; %bb.2518:
	s_cmp_eq_u32 s13, 15
	s_cbranch_scc0 .LBB86_2521
; %bb.2519:
	global_load_ushort v14, v[16:17], off
	s_mov_b64 s[0:1], 0
	s_mov_b64 s[4:5], -1
	s_waitcnt vmcnt(0)
	v_lshlrev_b32_e32 v14, 16, v14
	v_cvt_f64_f32_e32 v[14:15], v14
	s_branch .LBB86_2522
.LBB86_2520:
	s_mov_b64 s[6:7], -1
                                        ; implicit-def: $vgpr14_vgpr15
	s_branch .LBB86_2523
.LBB86_2521:
	s_mov_b64 s[0:1], -1
                                        ; implicit-def: $vgpr14_vgpr15
.LBB86_2522:
	s_mov_b64 s[6:7], 0
.LBB86_2523:
	s_and_b64 vcc, exec, s[6:7]
	s_cbranch_vccz .LBB86_2525
; %bb.2524:
	s_cmp_lg_u32 s13, 11
	s_mov_b64 s[2:3], -1
	s_cselect_b64 s[0:1], -1, 0
.LBB86_2525:
	s_and_b64 vcc, exec, s[0:1]
	s_cbranch_vccnz .LBB86_3058
; %bb.2526:
	s_andn2_b64 vcc, exec, s[2:3]
	s_cbranch_vccnz .LBB86_2528
.LBB86_2527:
	global_load_ubyte v15, v[16:17], off
	v_mov_b32_e32 v19, 0x3ff00000
	v_mov_b32_e32 v14, 0
	s_mov_b64 s[4:5], -1
	s_waitcnt vmcnt(0)
	v_cmp_ne_u16_e32 vcc, 0, v15
	v_cndmask_b32_e32 v15, 0, v19, vcc
.LBB86_2528:
	s_mov_b64 s[0:1], 0
.LBB86_2529:
	s_and_b64 vcc, exec, s[0:1]
	s_cbranch_vccz .LBB86_2578
; %bb.2530:
	s_and_b32 s2, 0xffff, s27
	s_cmp_lt_i32 s2, 5
	s_cbranch_scc1 .LBB86_2535
; %bb.2531:
	s_cmp_lt_i32 s2, 8
	s_cbranch_scc1 .LBB86_2536
; %bb.2532:
	;; [unrolled: 3-line block ×3, first 2 shown]
	s_cmp_gt_i32 s2, 9
	s_cbranch_scc0 .LBB86_2538
; %bb.2534:
	global_load_dwordx2 v[14:15], v[16:17], off
	s_mov_b64 s[0:1], 0
	s_branch .LBB86_2539
.LBB86_2535:
	s_mov_b64 s[0:1], -1
                                        ; implicit-def: $vgpr14_vgpr15
	s_branch .LBB86_2557
.LBB86_2536:
	s_mov_b64 s[0:1], -1
                                        ; implicit-def: $vgpr14_vgpr15
	s_branch .LBB86_2545
.LBB86_2537:
	s_mov_b64 s[0:1], -1
                                        ; implicit-def: $vgpr14_vgpr15
	s_branch .LBB86_2542
.LBB86_2538:
	s_mov_b64 s[0:1], -1
                                        ; implicit-def: $vgpr14_vgpr15
.LBB86_2539:
	s_andn2_b64 vcc, exec, s[0:1]
	s_cbranch_vccnz .LBB86_2541
; %bb.2540:
	global_load_dword v14, v[16:17], off
	s_waitcnt vmcnt(0)
	v_cvt_f64_f32_e32 v[14:15], v14
.LBB86_2541:
	s_mov_b64 s[0:1], 0
.LBB86_2542:
	s_andn2_b64 vcc, exec, s[0:1]
	s_cbranch_vccnz .LBB86_2544
; %bb.2543:
	global_load_dword v14, v[16:17], off
	s_waitcnt vmcnt(0)
	v_cvt_f32_f16_e32 v14, v14
	v_cvt_f64_f32_e32 v[14:15], v14
.LBB86_2544:
	s_mov_b64 s[0:1], 0
.LBB86_2545:
	s_andn2_b64 vcc, exec, s[0:1]
	s_cbranch_vccnz .LBB86_2556
; %bb.2546:
	s_cmp_lt_i32 s2, 6
	s_cbranch_scc1 .LBB86_2549
; %bb.2547:
	s_cmp_gt_i32 s2, 6
	s_cbranch_scc0 .LBB86_2550
; %bb.2548:
	global_load_dwordx2 v[14:15], v[16:17], off
	s_mov_b64 s[0:1], 0
	s_branch .LBB86_2551
.LBB86_2549:
	s_mov_b64 s[0:1], -1
                                        ; implicit-def: $vgpr14_vgpr15
	s_branch .LBB86_2554
.LBB86_2550:
	s_mov_b64 s[0:1], -1
                                        ; implicit-def: $vgpr14_vgpr15
.LBB86_2551:
	s_andn2_b64 vcc, exec, s[0:1]
	s_cbranch_vccnz .LBB86_2553
; %bb.2552:
	global_load_dword v14, v[16:17], off
	s_waitcnt vmcnt(0)
	v_cvt_f64_f32_e32 v[14:15], v14
.LBB86_2553:
	s_mov_b64 s[0:1], 0
.LBB86_2554:
	s_andn2_b64 vcc, exec, s[0:1]
	s_cbranch_vccnz .LBB86_2556
; %bb.2555:
	global_load_ushort v14, v[16:17], off
	s_waitcnt vmcnt(0)
	v_cvt_f32_f16_e32 v14, v14
	v_cvt_f64_f32_e32 v[14:15], v14
.LBB86_2556:
	s_mov_b64 s[0:1], 0
.LBB86_2557:
	s_andn2_b64 vcc, exec, s[0:1]
	s_cbranch_vccnz .LBB86_2577
; %bb.2558:
	s_cmp_lt_i32 s2, 2
	s_cbranch_scc1 .LBB86_2562
; %bb.2559:
	s_cmp_lt_i32 s2, 3
	s_cbranch_scc1 .LBB86_2563
; %bb.2560:
	s_cmp_gt_i32 s2, 3
	s_cbranch_scc0 .LBB86_2564
; %bb.2561:
	global_load_dwordx2 v[14:15], v[16:17], off
	s_mov_b64 s[0:1], 0
	s_waitcnt vmcnt(0)
	v_cvt_f64_i32_e32 v[19:20], v15
	v_cvt_f64_u32_e32 v[14:15], v14
	v_ldexp_f64 v[19:20], v[19:20], 32
	v_add_f64 v[14:15], v[19:20], v[14:15]
	s_branch .LBB86_2565
.LBB86_2562:
	s_mov_b64 s[0:1], -1
                                        ; implicit-def: $vgpr14_vgpr15
	s_branch .LBB86_2571
.LBB86_2563:
	s_mov_b64 s[0:1], -1
                                        ; implicit-def: $vgpr14_vgpr15
	s_branch .LBB86_2568
.LBB86_2564:
	s_mov_b64 s[0:1], -1
                                        ; implicit-def: $vgpr14_vgpr15
.LBB86_2565:
	s_andn2_b64 vcc, exec, s[0:1]
	s_cbranch_vccnz .LBB86_2567
; %bb.2566:
	global_load_dword v14, v[16:17], off
	s_waitcnt vmcnt(0)
	v_cvt_f64_i32_e32 v[14:15], v14
.LBB86_2567:
	s_mov_b64 s[0:1], 0
.LBB86_2568:
	s_andn2_b64 vcc, exec, s[0:1]
	s_cbranch_vccnz .LBB86_2570
; %bb.2569:
	global_load_sshort v14, v[16:17], off
	s_waitcnt vmcnt(0)
	v_cvt_f64_i32_e32 v[14:15], v14
.LBB86_2570:
	s_mov_b64 s[0:1], 0
.LBB86_2571:
	s_andn2_b64 vcc, exec, s[0:1]
	s_cbranch_vccnz .LBB86_2577
; %bb.2572:
	s_cmp_gt_i32 s2, 0
	s_cbranch_scc0 .LBB86_2574
; %bb.2573:
	global_load_sbyte v14, v[16:17], off
	s_mov_b64 s[0:1], 0
	s_waitcnt vmcnt(0)
	v_cvt_f64_i32_e32 v[14:15], v14
	s_branch .LBB86_2575
.LBB86_2574:
	s_mov_b64 s[0:1], -1
                                        ; implicit-def: $vgpr14_vgpr15
.LBB86_2575:
	s_andn2_b64 vcc, exec, s[0:1]
	s_cbranch_vccnz .LBB86_2577
; %bb.2576:
	global_load_ubyte v14, v[16:17], off
	s_waitcnt vmcnt(0)
	v_cvt_f64_u32_e32 v[14:15], v14
.LBB86_2577:
	s_mov_b64 s[4:5], -1
.LBB86_2578:
	s_andn2_b64 vcc, exec, s[4:5]
	s_cbranch_vccnz .LBB86_3012
; %bb.2579:
	s_waitcnt vmcnt(0)
	v_cmp_eq_f64_e32 vcc, v[0:1], v[2:3]
	s_cmp_eq_u32 s15, 0
	s_cselect_b64 s[0:1], -1, 0
	s_and_b32 s24, s33, 0xff
	s_cmp_lt_i32 s24, 11
	v_cndmask_b32_e64 v16, 0, 1, vcc
	v_cmp_neq_f64_e32 vcc, v[0:1], v[2:3]
	v_mul_lo_u32 v2, s12, v18
	v_mov_b32_e32 v3, s9
	v_ashrrev_i32_e32 v1, 31, v2
	v_cndmask_b32_e64 v0, 0, 1, vcc
	v_cndmask_b32_e64 v0, v0, v16, s[0:1]
	v_and_b32_e32 v0, 1, v0
	v_cmp_eq_u32_e64 s[2:3], 1, v0
	v_add_co_u32_e32 v0, vcc, s8, v2
	v_addc_co_u32_e32 v1, vcc, v3, v1, vcc
	s_cbranch_scc1 .LBB86_2657
; %bb.2580:
	s_and_b32 s13, 0xffff, s24
	s_mov_b64 s[14:15], -1
	s_mov_b64 s[6:7], 0
	s_cmp_gt_i32 s13, 25
	s_mov_b64 s[10:11], 0
	s_mov_b64 s[4:5], 0
	s_cbranch_scc0 .LBB86_2613
; %bb.2581:
	s_cmp_gt_i32 s13, 28
	s_cbranch_scc0 .LBB86_2596
; %bb.2582:
	s_cmp_gt_i32 s13, 43
	;; [unrolled: 3-line block ×3, first 2 shown]
	s_cbranch_scc0 .LBB86_2586
; %bb.2584:
	s_mov_b64 s[4:5], -1
	s_mov_b64 s[14:15], 0
	s_cmp_eq_u32 s13, 46
	s_cbranch_scc0 .LBB86_2586
; %bb.2585:
	v_cndmask_b32_e64 v3, 0, 1.0, s[2:3]
	v_bfe_u32 v16, v3, 16, 1
	s_movk_i32 s4, 0x7fff
	v_add3_u32 v3, v3, v16, s4
	v_lshrrev_b32_e32 v3, 16, v3
	global_store_dword v[0:1], v3, off
	s_mov_b64 s[4:5], 0
	s_mov_b64 s[10:11], -1
.LBB86_2586:
	s_and_b64 vcc, exec, s[14:15]
	s_cbranch_vccz .LBB86_2591
; %bb.2587:
	s_cmp_eq_u32 s13, 44
	s_mov_b64 s[4:5], -1
	s_cbranch_scc0 .LBB86_2591
; %bb.2588:
	v_cndmask_b32_e64 v16, 0, 1.0, s[2:3]
	v_lshrrev_b32_e32 v3, 23, v16
	s_movk_i32 s4, 0xff
	v_cmp_ne_u32_e32 vcc, s4, v3
	v_mov_b32_e32 v17, 0xff
	s_and_saveexec_b64 s[10:11], vcc
; %bb.2589:
	s_mov_b32 s4, 0x3fffff
	v_and_b32_e32 v17, 0x400000, v16
	v_and_or_b32 v16, v16, s4, v3
	v_cmp_ne_u32_e32 vcc, 0, v17
	v_cmp_ne_u32_e64 s[4:5], 0, v16
	s_and_b64 s[4:5], vcc, s[4:5]
	v_cndmask_b32_e64 v16, 0, 1, s[4:5]
	v_add_u32_e32 v17, v3, v16
; %bb.2590:
	s_or_b64 exec, exec, s[10:11]
	s_mov_b64 s[4:5], 0
	s_mov_b64 s[10:11], -1
	global_store_byte v[0:1], v17, off
.LBB86_2591:
	s_mov_b64 s[14:15], 0
.LBB86_2592:
	s_and_b64 vcc, exec, s[14:15]
	s_cbranch_vccz .LBB86_2595
; %bb.2593:
	s_cmp_eq_u32 s13, 29
	s_mov_b64 s[4:5], -1
	s_cbranch_scc0 .LBB86_2595
; %bb.2594:
	s_mov_b32 s4, 0
	v_cndmask_b32_e64 v16, 0, 1, s[2:3]
	v_mov_b32_e32 v17, s4
	global_store_dwordx2 v[0:1], v[16:17], off
	s_mov_b64 s[4:5], 0
	s_mov_b64 s[10:11], -1
.LBB86_2595:
	s_mov_b64 s[14:15], 0
.LBB86_2596:
	s_and_b64 vcc, exec, s[14:15]
	s_cbranch_vccz .LBB86_2612
; %bb.2597:
	s_cmp_lt_i32 s13, 27
	s_mov_b64 s[10:11], -1
	s_cbranch_scc1 .LBB86_2603
; %bb.2598:
	s_cmp_gt_i32 s13, 27
	s_cbranch_scc0 .LBB86_2600
; %bb.2599:
	v_cndmask_b32_e64 v3, 0, 1, s[2:3]
	s_mov_b64 s[10:11], 0
	global_store_dword v[0:1], v3, off
.LBB86_2600:
	s_andn2_b64 vcc, exec, s[10:11]
	s_cbranch_vccnz .LBB86_2602
; %bb.2601:
	v_cndmask_b32_e64 v3, 0, 1, s[2:3]
	global_store_short v[0:1], v3, off
.LBB86_2602:
	s_mov_b64 s[10:11], 0
.LBB86_2603:
	s_andn2_b64 vcc, exec, s[10:11]
	s_cbranch_vccnz .LBB86_2611
; %bb.2604:
	v_cndmask_b32_e64 v16, 0, 1.0, s[2:3]
	s_mov_b32 s10, 0x43800000
	v_cmp_gt_u32_e32 vcc, s10, v16
	v_mov_b32_e32 v17, 0x80
	s_and_saveexec_b64 s[10:11], vcc
	s_cbranch_execz .LBB86_2610
; %bb.2605:
	s_mov_b32 s14, 0x3bffffff
	v_cmp_lt_u32_e32 vcc, s14, v16
	s_mov_b64 s[14:15], 0
                                        ; implicit-def: $vgpr3
	s_and_saveexec_b64 s[16:17], vcc
	s_xor_b64 s[16:17], exec, s[16:17]
	s_cbranch_execz .LBB86_3059
; %bb.2606:
	v_bfe_u32 v3, v16, 20, 1
	s_mov_b32 s25, 0x487ffff
	v_add3_u32 v3, v16, v3, s25
	s_mov_b64 s[14:15], exec
	v_lshrrev_b32_e32 v3, 20, v3
                                        ; implicit-def: $vgpr16
	s_andn2_saveexec_b64 s[16:17], s[16:17]
	s_cbranch_execnz .LBB86_3060
.LBB86_2607:
	s_or_b64 exec, exec, s[16:17]
	v_mov_b32_e32 v17, 0
	s_and_saveexec_b64 s[16:17], s[14:15]
.LBB86_2608:
	v_mov_b32_e32 v17, v3
.LBB86_2609:
	s_or_b64 exec, exec, s[16:17]
.LBB86_2610:
	s_or_b64 exec, exec, s[10:11]
	global_store_byte v[0:1], v17, off
.LBB86_2611:
	s_mov_b64 s[10:11], -1
.LBB86_2612:
	s_mov_b64 s[14:15], 0
.LBB86_2613:
	s_and_b64 vcc, exec, s[14:15]
	s_cbranch_vccz .LBB86_2653
; %bb.2614:
	s_cmp_gt_i32 s13, 22
	s_mov_b64 s[6:7], -1
	s_cbranch_scc0 .LBB86_2646
; %bb.2615:
	s_cmp_lt_i32 s13, 24
	s_cbranch_scc1 .LBB86_2635
; %bb.2616:
	s_cmp_gt_i32 s13, 24
	s_cbranch_scc0 .LBB86_2624
; %bb.2617:
	v_cndmask_b32_e64 v16, 0, 1.0, s[2:3]
	s_mov_b32 s6, 0x47800000
	v_cmp_gt_u32_e32 vcc, s6, v16
	v_mov_b32_e32 v17, 0x80
	s_and_saveexec_b64 s[6:7], vcc
	s_cbranch_execz .LBB86_2623
; %bb.2618:
	s_mov_b32 s10, 0x37ffffff
	v_cmp_lt_u32_e32 vcc, s10, v16
	s_mov_b64 s[10:11], 0
                                        ; implicit-def: $vgpr3
	s_and_saveexec_b64 s[14:15], vcc
	s_xor_b64 s[14:15], exec, s[14:15]
	s_cbranch_execz .LBB86_3062
; %bb.2619:
	v_bfe_u32 v3, v16, 21, 1
	s_mov_b32 s16, 0x88fffff
	v_add3_u32 v3, v16, v3, s16
	s_mov_b64 s[10:11], exec
	v_lshrrev_b32_e32 v3, 21, v3
                                        ; implicit-def: $vgpr16
	s_andn2_saveexec_b64 s[14:15], s[14:15]
	s_cbranch_execnz .LBB86_3063
.LBB86_2620:
	s_or_b64 exec, exec, s[14:15]
	v_mov_b32_e32 v17, 0
	s_and_saveexec_b64 s[14:15], s[10:11]
.LBB86_2621:
	v_mov_b32_e32 v17, v3
.LBB86_2622:
	s_or_b64 exec, exec, s[14:15]
.LBB86_2623:
	s_or_b64 exec, exec, s[6:7]
	s_mov_b64 s[6:7], 0
	global_store_byte v[0:1], v17, off
.LBB86_2624:
	s_and_b64 vcc, exec, s[6:7]
	s_cbranch_vccz .LBB86_2634
; %bb.2625:
	v_cndmask_b32_e64 v3, 0, 1.0, s[2:3]
	s_mov_b32 s6, 0x43f00000
	v_cmp_gt_u32_e32 vcc, s6, v3
                                        ; implicit-def: $vgpr16
	s_and_saveexec_b64 s[6:7], vcc
	s_xor_b64 s[6:7], exec, s[6:7]
	s_cbranch_execz .LBB86_2631
; %bb.2626:
	s_mov_b32 s10, 0x3c7fffff
	v_cmp_lt_u32_e32 vcc, s10, v3
                                        ; implicit-def: $vgpr16
	s_and_saveexec_b64 s[10:11], vcc
	s_xor_b64 s[10:11], exec, s[10:11]
; %bb.2627:
	v_bfe_u32 v16, v3, 20, 1
	s_mov_b32 s14, 0x407ffff
	v_add3_u32 v3, v3, v16, s14
	v_lshrrev_b32_e32 v16, 20, v3
	v_and_b32_e32 v3, 0xff00000, v3
	s_mov_b32 s14, 0x7f00000
	v_mov_b32_e32 v17, 0x7e
	v_cmp_ne_u32_e32 vcc, s14, v3
	v_cndmask_b32_e32 v16, v17, v16, vcc
                                        ; implicit-def: $vgpr3
; %bb.2628:
	s_andn2_saveexec_b64 s[10:11], s[10:11]
; %bb.2629:
	v_add_f32_e32 v16, 0x46800000, v3
; %bb.2630:
	s_or_b64 exec, exec, s[10:11]
                                        ; implicit-def: $vgpr3
.LBB86_2631:
	s_andn2_saveexec_b64 s[6:7], s[6:7]
; %bb.2632:
	s_mov_b32 s10, 0x7f800000
	v_mov_b32_e32 v16, 0x7e
	v_mov_b32_e32 v17, 0x7f
	v_cmp_lt_u32_e32 vcc, s10, v3
	v_cndmask_b32_e32 v16, v16, v17, vcc
; %bb.2633:
	s_or_b64 exec, exec, s[6:7]
	global_store_byte v[0:1], v16, off
.LBB86_2634:
	s_mov_b64 s[6:7], 0
.LBB86_2635:
	s_andn2_b64 vcc, exec, s[6:7]
	s_cbranch_vccnz .LBB86_2645
; %bb.2636:
	v_cndmask_b32_e64 v3, 0, 1.0, s[2:3]
	s_mov_b32 s6, 0x47800000
	v_cmp_gt_u32_e32 vcc, s6, v3
                                        ; implicit-def: $vgpr16
	s_and_saveexec_b64 s[6:7], vcc
	s_xor_b64 s[6:7], exec, s[6:7]
	s_cbranch_execz .LBB86_2642
; %bb.2637:
	s_mov_b32 s10, 0x387fffff
	v_cmp_lt_u32_e32 vcc, s10, v3
                                        ; implicit-def: $vgpr16
	s_and_saveexec_b64 s[10:11], vcc
	s_xor_b64 s[10:11], exec, s[10:11]
; %bb.2638:
	v_bfe_u32 v16, v3, 21, 1
	s_mov_b32 s14, 0x80fffff
	v_add3_u32 v3, v3, v16, s14
	v_lshrrev_b32_e32 v16, 21, v3
                                        ; implicit-def: $vgpr3
; %bb.2639:
	s_andn2_saveexec_b64 s[10:11], s[10:11]
; %bb.2640:
	v_add_f32_e32 v16, 0x43000000, v3
; %bb.2641:
	s_or_b64 exec, exec, s[10:11]
                                        ; implicit-def: $vgpr3
.LBB86_2642:
	s_andn2_saveexec_b64 s[6:7], s[6:7]
; %bb.2643:
	s_mov_b32 s10, 0x7f800000
	v_mov_b32_e32 v16, 0x7c
	v_mov_b32_e32 v17, 0x7f
	v_cmp_lt_u32_e32 vcc, s10, v3
	v_cndmask_b32_e32 v16, v16, v17, vcc
; %bb.2644:
	s_or_b64 exec, exec, s[6:7]
	global_store_byte v[0:1], v16, off
.LBB86_2645:
	s_mov_b64 s[6:7], 0
	s_mov_b64 s[10:11], -1
.LBB86_2646:
	s_andn2_b64 vcc, exec, s[6:7]
	s_mov_b64 s[6:7], 0
	s_cbranch_vccnz .LBB86_2653
; %bb.2647:
	s_cmp_gt_i32 s13, 14
	s_mov_b64 s[14:15], -1
	s_cbranch_scc0 .LBB86_2651
; %bb.2648:
	s_cmp_eq_u32 s13, 15
	s_mov_b64 s[4:5], -1
	s_cbranch_scc0 .LBB86_2650
; %bb.2649:
	v_cndmask_b32_e64 v3, 0, 1.0, s[2:3]
	v_bfe_u32 v16, v3, 16, 1
	s_movk_i32 s4, 0x7fff
	v_add3_u32 v3, v3, v16, s4
	global_store_short_d16_hi v[0:1], v3, off
	s_mov_b64 s[4:5], 0
	s_mov_b64 s[10:11], -1
.LBB86_2650:
	s_mov_b64 s[14:15], 0
.LBB86_2651:
	s_and_b64 vcc, exec, s[14:15]
	s_cbranch_vccz .LBB86_2653
; %bb.2652:
	s_cmp_lg_u32 s13, 11
	s_mov_b64 s[6:7], -1
	s_cselect_b64 s[4:5], -1, 0
.LBB86_2653:
	s_and_b64 vcc, exec, s[4:5]
	s_cbranch_vccnz .LBB86_3061
; %bb.2654:
	s_andn2_b64 vcc, exec, s[6:7]
	s_cbranch_vccnz .LBB86_2656
.LBB86_2655:
	v_cndmask_b32_e64 v3, 0, 1, s[2:3]
	s_mov_b64 s[10:11], -1
	global_store_byte v[0:1], v3, off
.LBB86_2656:
	s_mov_b64 s[4:5], 0
	s_branch .LBB86_2658
.LBB86_2657:
	s_mov_b64 s[4:5], -1
	s_mov_b64 s[10:11], 0
.LBB86_2658:
	s_and_b64 vcc, exec, s[4:5]
	s_cbranch_vccz .LBB86_2697
; %bb.2659:
	s_and_b32 s6, 0xffff, s24
	s_cmp_lt_i32 s6, 5
	s_mov_b64 s[4:5], -1
	s_cbranch_scc1 .LBB86_2680
; %bb.2660:
	s_cmp_lt_i32 s6, 8
	s_cbranch_scc1 .LBB86_2670
; %bb.2661:
	s_cmp_lt_i32 s6, 9
	s_cbranch_scc1 .LBB86_2667
; %bb.2662:
	s_cmp_gt_i32 s6, 9
	s_cbranch_scc0 .LBB86_2664
; %bb.2663:
	v_cndmask_b32_e64 v3, 0, 1, s[2:3]
	v_cvt_f64_u32_e32 v[16:17], v3
	v_mov_b32_e32 v18, 0
	v_mov_b32_e32 v19, v18
	s_mov_b64 s[4:5], 0
	global_store_dwordx4 v[0:1], v[16:19], off
.LBB86_2664:
	s_andn2_b64 vcc, exec, s[4:5]
	s_cbranch_vccnz .LBB86_2666
; %bb.2665:
	v_cndmask_b32_e64 v16, 0, 1.0, s[2:3]
	v_mov_b32_e32 v17, 0
	global_store_dwordx2 v[0:1], v[16:17], off
.LBB86_2666:
	s_mov_b64 s[4:5], 0
.LBB86_2667:
	s_andn2_b64 vcc, exec, s[4:5]
	s_cbranch_vccnz .LBB86_2669
; %bb.2668:
	v_cndmask_b32_e64 v3, 0, 1.0, s[2:3]
	v_cvt_f16_f32_e32 v3, v3
	global_store_dword v[0:1], v3, off
.LBB86_2669:
	s_mov_b64 s[4:5], 0
.LBB86_2670:
	s_andn2_b64 vcc, exec, s[4:5]
	s_cbranch_vccnz .LBB86_2679
; %bb.2671:
	s_cmp_lt_i32 s6, 6
	s_mov_b64 s[4:5], -1
	s_cbranch_scc1 .LBB86_2677
; %bb.2672:
	s_cmp_gt_i32 s6, 6
	s_cbranch_scc0 .LBB86_2674
; %bb.2673:
	v_cndmask_b32_e64 v3, 0, 1, s[2:3]
	v_cvt_f64_u32_e32 v[16:17], v3
	s_mov_b64 s[4:5], 0
	global_store_dwordx2 v[0:1], v[16:17], off
.LBB86_2674:
	s_andn2_b64 vcc, exec, s[4:5]
	s_cbranch_vccnz .LBB86_2676
; %bb.2675:
	v_cndmask_b32_e64 v3, 0, 1.0, s[2:3]
	global_store_dword v[0:1], v3, off
.LBB86_2676:
	s_mov_b64 s[4:5], 0
.LBB86_2677:
	s_andn2_b64 vcc, exec, s[4:5]
	s_cbranch_vccnz .LBB86_2679
; %bb.2678:
	v_cndmask_b32_e64 v3, 0, 1.0, s[2:3]
	v_cvt_f16_f32_e32 v3, v3
	global_store_short v[0:1], v3, off
.LBB86_2679:
	s_mov_b64 s[4:5], 0
.LBB86_2680:
	s_andn2_b64 vcc, exec, s[4:5]
	s_cbranch_vccnz .LBB86_2696
; %bb.2681:
	s_cmp_lt_i32 s6, 2
	s_mov_b64 s[4:5], -1
	s_cbranch_scc1 .LBB86_2691
; %bb.2682:
	s_cmp_lt_i32 s6, 3
	s_cbranch_scc1 .LBB86_2688
; %bb.2683:
	s_cmp_gt_i32 s6, 3
	s_cbranch_scc0 .LBB86_2685
; %bb.2684:
	s_mov_b32 s4, 0
	v_cndmask_b32_e64 v16, 0, 1, s[2:3]
	v_mov_b32_e32 v17, s4
	global_store_dwordx2 v[0:1], v[16:17], off
	s_mov_b64 s[4:5], 0
.LBB86_2685:
	s_andn2_b64 vcc, exec, s[4:5]
	s_cbranch_vccnz .LBB86_2687
; %bb.2686:
	v_cndmask_b32_e64 v3, 0, 1, s[2:3]
	global_store_dword v[0:1], v3, off
.LBB86_2687:
	s_mov_b64 s[4:5], 0
.LBB86_2688:
	s_andn2_b64 vcc, exec, s[4:5]
	s_cbranch_vccnz .LBB86_2690
; %bb.2689:
	v_cndmask_b32_e64 v3, 0, 1, s[2:3]
	global_store_short v[0:1], v3, off
.LBB86_2690:
	s_mov_b64 s[4:5], 0
.LBB86_2691:
	s_andn2_b64 vcc, exec, s[4:5]
	s_cbranch_vccnz .LBB86_2696
; %bb.2692:
	s_mov_b64 s[4:5], -1
	s_cmp_gt_i32 s6, 0
	v_cndmask_b32_e64 v3, 0, 1, s[2:3]
	s_cbranch_scc0 .LBB86_2694
; %bb.2693:
	global_store_byte v[0:1], v3, off
	s_mov_b64 s[4:5], 0
.LBB86_2694:
	s_andn2_b64 vcc, exec, s[4:5]
	s_cbranch_vccnz .LBB86_2696
; %bb.2695:
	global_store_byte v[0:1], v3, off
.LBB86_2696:
	s_mov_b64 s[10:11], -1
.LBB86_2697:
	s_andn2_b64 vcc, exec, s[10:11]
	s_cbranch_vccnz .LBB86_3012
; %bb.2698:
	v_cmp_eq_f64_e32 vcc, v[4:5], v[6:7]
	s_lshl_b32 s16, s12, 7
	v_add_u32_e32 v2, s16, v2
	v_mov_b32_e32 v3, s9
	s_cmp_lt_i32 s24, 11
	v_cndmask_b32_e64 v0, 0, 1, vcc
	v_cmp_neq_f64_e32 vcc, v[4:5], v[6:7]
	v_cndmask_b32_e64 v1, 0, 1, vcc
	v_cndmask_b32_e64 v0, v1, v0, s[0:1]
	v_and_b32_e32 v0, 1, v0
	v_cmp_eq_u32_e64 s[2:3], 1, v0
	v_ashrrev_i32_e32 v1, 31, v2
	v_add_co_u32_e32 v0, vcc, s8, v2
	v_addc_co_u32_e32 v1, vcc, v3, v1, vcc
	s_cbranch_scc1 .LBB86_2776
; %bb.2699:
	s_and_b32 s17, 0xffff, s24
	s_mov_b64 s[12:13], -1
	s_mov_b64 s[6:7], 0
	s_cmp_gt_i32 s17, 25
	s_mov_b64 s[10:11], 0
	s_mov_b64 s[4:5], 0
	s_cbranch_scc0 .LBB86_2732
; %bb.2700:
	s_cmp_gt_i32 s17, 28
	s_cbranch_scc0 .LBB86_2715
; %bb.2701:
	s_cmp_gt_i32 s17, 43
	;; [unrolled: 3-line block ×3, first 2 shown]
	s_cbranch_scc0 .LBB86_2705
; %bb.2703:
	s_mov_b64 s[4:5], -1
	s_mov_b64 s[12:13], 0
	s_cmp_eq_u32 s17, 46
	s_cbranch_scc0 .LBB86_2705
; %bb.2704:
	v_cndmask_b32_e64 v3, 0, 1.0, s[2:3]
	v_bfe_u32 v4, v3, 16, 1
	s_movk_i32 s4, 0x7fff
	v_add3_u32 v3, v3, v4, s4
	v_lshrrev_b32_e32 v3, 16, v3
	global_store_dword v[0:1], v3, off
	s_mov_b64 s[4:5], 0
	s_mov_b64 s[10:11], -1
.LBB86_2705:
	s_and_b64 vcc, exec, s[12:13]
	s_cbranch_vccz .LBB86_2710
; %bb.2706:
	s_cmp_eq_u32 s17, 44
	s_mov_b64 s[4:5], -1
	s_cbranch_scc0 .LBB86_2710
; %bb.2707:
	v_cndmask_b32_e64 v4, 0, 1.0, s[2:3]
	v_lshrrev_b32_e32 v3, 23, v4
	s_movk_i32 s4, 0xff
	v_cmp_ne_u32_e32 vcc, s4, v3
	v_mov_b32_e32 v5, 0xff
	s_and_saveexec_b64 s[10:11], vcc
; %bb.2708:
	s_mov_b32 s4, 0x3fffff
	v_and_b32_e32 v5, 0x400000, v4
	v_and_or_b32 v4, v4, s4, v3
	v_cmp_ne_u32_e32 vcc, 0, v5
	v_cmp_ne_u32_e64 s[4:5], 0, v4
	s_and_b64 s[4:5], vcc, s[4:5]
	v_cndmask_b32_e64 v4, 0, 1, s[4:5]
	v_add_u32_e32 v5, v3, v4
; %bb.2709:
	s_or_b64 exec, exec, s[10:11]
	s_mov_b64 s[4:5], 0
	s_mov_b64 s[10:11], -1
	global_store_byte v[0:1], v5, off
.LBB86_2710:
	s_mov_b64 s[12:13], 0
.LBB86_2711:
	s_and_b64 vcc, exec, s[12:13]
	s_cbranch_vccz .LBB86_2714
; %bb.2712:
	s_cmp_eq_u32 s17, 29
	s_mov_b64 s[4:5], -1
	s_cbranch_scc0 .LBB86_2714
; %bb.2713:
	s_mov_b32 s4, 0
	v_cndmask_b32_e64 v3, 0, 1, s[2:3]
	v_mov_b32_e32 v4, s4
	global_store_dwordx2 v[0:1], v[3:4], off
	s_mov_b64 s[4:5], 0
	s_mov_b64 s[10:11], -1
.LBB86_2714:
	s_mov_b64 s[12:13], 0
.LBB86_2715:
	s_and_b64 vcc, exec, s[12:13]
	s_cbranch_vccz .LBB86_2731
; %bb.2716:
	s_cmp_lt_i32 s17, 27
	s_mov_b64 s[10:11], -1
	s_cbranch_scc1 .LBB86_2722
; %bb.2717:
	s_cmp_gt_i32 s17, 27
	s_cbranch_scc0 .LBB86_2719
; %bb.2718:
	v_cndmask_b32_e64 v3, 0, 1, s[2:3]
	s_mov_b64 s[10:11], 0
	global_store_dword v[0:1], v3, off
.LBB86_2719:
	s_andn2_b64 vcc, exec, s[10:11]
	s_cbranch_vccnz .LBB86_2721
; %bb.2720:
	v_cndmask_b32_e64 v3, 0, 1, s[2:3]
	global_store_short v[0:1], v3, off
.LBB86_2721:
	s_mov_b64 s[10:11], 0
.LBB86_2722:
	s_andn2_b64 vcc, exec, s[10:11]
	s_cbranch_vccnz .LBB86_2730
; %bb.2723:
	v_cndmask_b32_e64 v4, 0, 1.0, s[2:3]
	s_mov_b32 s10, 0x43800000
	v_cmp_gt_u32_e32 vcc, s10, v4
	v_mov_b32_e32 v5, 0x80
	s_and_saveexec_b64 s[10:11], vcc
	s_cbranch_execz .LBB86_2729
; %bb.2724:
	s_mov_b32 s12, 0x3bffffff
	v_cmp_lt_u32_e32 vcc, s12, v4
	s_mov_b64 s[12:13], 0
                                        ; implicit-def: $vgpr3
	s_and_saveexec_b64 s[14:15], vcc
	s_xor_b64 s[14:15], exec, s[14:15]
	s_cbranch_execz .LBB86_3064
; %bb.2725:
	v_bfe_u32 v3, v4, 20, 1
	s_mov_b32 s25, 0x487ffff
	v_add3_u32 v3, v4, v3, s25
	s_mov_b64 s[12:13], exec
	v_lshrrev_b32_e32 v3, 20, v3
                                        ; implicit-def: $vgpr4
	s_andn2_saveexec_b64 s[14:15], s[14:15]
	s_cbranch_execnz .LBB86_3065
.LBB86_2726:
	s_or_b64 exec, exec, s[14:15]
	v_mov_b32_e32 v5, 0
	s_and_saveexec_b64 s[14:15], s[12:13]
.LBB86_2727:
	v_mov_b32_e32 v5, v3
.LBB86_2728:
	s_or_b64 exec, exec, s[14:15]
.LBB86_2729:
	s_or_b64 exec, exec, s[10:11]
	global_store_byte v[0:1], v5, off
.LBB86_2730:
	s_mov_b64 s[10:11], -1
.LBB86_2731:
	s_mov_b64 s[12:13], 0
.LBB86_2732:
	s_and_b64 vcc, exec, s[12:13]
	s_cbranch_vccz .LBB86_2772
; %bb.2733:
	s_cmp_gt_i32 s17, 22
	s_mov_b64 s[6:7], -1
	s_cbranch_scc0 .LBB86_2765
; %bb.2734:
	s_cmp_lt_i32 s17, 24
	s_cbranch_scc1 .LBB86_2754
; %bb.2735:
	s_cmp_gt_i32 s17, 24
	s_cbranch_scc0 .LBB86_2743
; %bb.2736:
	v_cndmask_b32_e64 v4, 0, 1.0, s[2:3]
	s_mov_b32 s6, 0x47800000
	v_cmp_gt_u32_e32 vcc, s6, v4
	v_mov_b32_e32 v5, 0x80
	s_and_saveexec_b64 s[6:7], vcc
	s_cbranch_execz .LBB86_2742
; %bb.2737:
	s_mov_b32 s10, 0x37ffffff
	v_cmp_lt_u32_e32 vcc, s10, v4
	s_mov_b64 s[10:11], 0
                                        ; implicit-def: $vgpr3
	s_and_saveexec_b64 s[12:13], vcc
	s_xor_b64 s[12:13], exec, s[12:13]
	s_cbranch_execz .LBB86_3067
; %bb.2738:
	v_bfe_u32 v3, v4, 21, 1
	s_mov_b32 s14, 0x88fffff
	v_add3_u32 v3, v4, v3, s14
	s_mov_b64 s[10:11], exec
	v_lshrrev_b32_e32 v3, 21, v3
                                        ; implicit-def: $vgpr4
	s_andn2_saveexec_b64 s[12:13], s[12:13]
	s_cbranch_execnz .LBB86_3068
.LBB86_2739:
	s_or_b64 exec, exec, s[12:13]
	v_mov_b32_e32 v5, 0
	s_and_saveexec_b64 s[12:13], s[10:11]
.LBB86_2740:
	v_mov_b32_e32 v5, v3
.LBB86_2741:
	s_or_b64 exec, exec, s[12:13]
.LBB86_2742:
	s_or_b64 exec, exec, s[6:7]
	s_mov_b64 s[6:7], 0
	global_store_byte v[0:1], v5, off
.LBB86_2743:
	s_and_b64 vcc, exec, s[6:7]
	s_cbranch_vccz .LBB86_2753
; %bb.2744:
	v_cndmask_b32_e64 v3, 0, 1.0, s[2:3]
	s_mov_b32 s6, 0x43f00000
	v_cmp_gt_u32_e32 vcc, s6, v3
                                        ; implicit-def: $vgpr4
	s_and_saveexec_b64 s[6:7], vcc
	s_xor_b64 s[6:7], exec, s[6:7]
	s_cbranch_execz .LBB86_2750
; %bb.2745:
	s_mov_b32 s10, 0x3c7fffff
	v_cmp_lt_u32_e32 vcc, s10, v3
                                        ; implicit-def: $vgpr4
	s_and_saveexec_b64 s[10:11], vcc
	s_xor_b64 s[10:11], exec, s[10:11]
; %bb.2746:
	v_bfe_u32 v4, v3, 20, 1
	s_mov_b32 s12, 0x407ffff
	v_add3_u32 v3, v3, v4, s12
	v_lshrrev_b32_e32 v4, 20, v3
	v_and_b32_e32 v3, 0xff00000, v3
	s_mov_b32 s12, 0x7f00000
	v_mov_b32_e32 v5, 0x7e
	v_cmp_ne_u32_e32 vcc, s12, v3
	v_cndmask_b32_e32 v4, v5, v4, vcc
                                        ; implicit-def: $vgpr3
; %bb.2747:
	s_andn2_saveexec_b64 s[10:11], s[10:11]
; %bb.2748:
	v_add_f32_e32 v4, 0x46800000, v3
; %bb.2749:
	s_or_b64 exec, exec, s[10:11]
                                        ; implicit-def: $vgpr3
.LBB86_2750:
	s_andn2_saveexec_b64 s[6:7], s[6:7]
; %bb.2751:
	s_mov_b32 s10, 0x7f800000
	v_mov_b32_e32 v4, 0x7e
	v_mov_b32_e32 v5, 0x7f
	v_cmp_lt_u32_e32 vcc, s10, v3
	v_cndmask_b32_e32 v4, v4, v5, vcc
; %bb.2752:
	s_or_b64 exec, exec, s[6:7]
	global_store_byte v[0:1], v4, off
.LBB86_2753:
	s_mov_b64 s[6:7], 0
.LBB86_2754:
	s_andn2_b64 vcc, exec, s[6:7]
	s_cbranch_vccnz .LBB86_2764
; %bb.2755:
	v_cndmask_b32_e64 v3, 0, 1.0, s[2:3]
	s_mov_b32 s6, 0x47800000
	v_cmp_gt_u32_e32 vcc, s6, v3
                                        ; implicit-def: $vgpr4
	s_and_saveexec_b64 s[6:7], vcc
	s_xor_b64 s[6:7], exec, s[6:7]
	s_cbranch_execz .LBB86_2761
; %bb.2756:
	s_mov_b32 s10, 0x387fffff
	v_cmp_lt_u32_e32 vcc, s10, v3
                                        ; implicit-def: $vgpr4
	s_and_saveexec_b64 s[10:11], vcc
	s_xor_b64 s[10:11], exec, s[10:11]
; %bb.2757:
	v_bfe_u32 v4, v3, 21, 1
	s_mov_b32 s12, 0x80fffff
	v_add3_u32 v3, v3, v4, s12
	v_lshrrev_b32_e32 v4, 21, v3
                                        ; implicit-def: $vgpr3
; %bb.2758:
	s_andn2_saveexec_b64 s[10:11], s[10:11]
; %bb.2759:
	v_add_f32_e32 v4, 0x43000000, v3
; %bb.2760:
	s_or_b64 exec, exec, s[10:11]
                                        ; implicit-def: $vgpr3
.LBB86_2761:
	s_andn2_saveexec_b64 s[6:7], s[6:7]
; %bb.2762:
	s_mov_b32 s10, 0x7f800000
	v_mov_b32_e32 v4, 0x7c
	v_mov_b32_e32 v5, 0x7f
	v_cmp_lt_u32_e32 vcc, s10, v3
	v_cndmask_b32_e32 v4, v4, v5, vcc
; %bb.2763:
	s_or_b64 exec, exec, s[6:7]
	global_store_byte v[0:1], v4, off
.LBB86_2764:
	s_mov_b64 s[6:7], 0
	s_mov_b64 s[10:11], -1
.LBB86_2765:
	s_andn2_b64 vcc, exec, s[6:7]
	s_mov_b64 s[6:7], 0
	s_cbranch_vccnz .LBB86_2772
; %bb.2766:
	s_cmp_gt_i32 s17, 14
	s_mov_b64 s[12:13], -1
	s_cbranch_scc0 .LBB86_2770
; %bb.2767:
	s_cmp_eq_u32 s17, 15
	s_mov_b64 s[4:5], -1
	s_cbranch_scc0 .LBB86_2769
; %bb.2768:
	v_cndmask_b32_e64 v3, 0, 1.0, s[2:3]
	v_bfe_u32 v4, v3, 16, 1
	s_movk_i32 s4, 0x7fff
	v_add3_u32 v3, v3, v4, s4
	global_store_short_d16_hi v[0:1], v3, off
	s_mov_b64 s[4:5], 0
	s_mov_b64 s[10:11], -1
.LBB86_2769:
	s_mov_b64 s[12:13], 0
.LBB86_2770:
	s_and_b64 vcc, exec, s[12:13]
	s_cbranch_vccz .LBB86_2772
; %bb.2771:
	s_cmp_lg_u32 s17, 11
	s_mov_b64 s[6:7], -1
	s_cselect_b64 s[4:5], -1, 0
.LBB86_2772:
	s_and_b64 vcc, exec, s[4:5]
	s_cbranch_vccnz .LBB86_3066
; %bb.2773:
	s_andn2_b64 vcc, exec, s[6:7]
	s_cbranch_vccnz .LBB86_2775
.LBB86_2774:
	v_cndmask_b32_e64 v3, 0, 1, s[2:3]
	s_mov_b64 s[10:11], -1
	global_store_byte v[0:1], v3, off
.LBB86_2775:
	s_mov_b64 s[4:5], 0
	s_branch .LBB86_2777
.LBB86_2776:
	s_mov_b64 s[4:5], -1
	s_mov_b64 s[10:11], 0
.LBB86_2777:
	s_and_b64 vcc, exec, s[4:5]
	s_cbranch_vccz .LBB86_2816
; %bb.2778:
	s_and_b32 s6, 0xffff, s24
	s_cmp_lt_i32 s6, 5
	s_mov_b64 s[4:5], -1
	s_cbranch_scc1 .LBB86_2799
; %bb.2779:
	s_cmp_lt_i32 s6, 8
	s_cbranch_scc1 .LBB86_2789
; %bb.2780:
	s_cmp_lt_i32 s6, 9
	s_cbranch_scc1 .LBB86_2786
; %bb.2781:
	s_cmp_gt_i32 s6, 9
	s_cbranch_scc0 .LBB86_2783
; %bb.2782:
	v_cndmask_b32_e64 v3, 0, 1, s[2:3]
	v_cvt_f64_u32_e32 v[3:4], v3
	v_mov_b32_e32 v5, 0
	v_mov_b32_e32 v6, v5
	s_mov_b64 s[4:5], 0
	global_store_dwordx4 v[0:1], v[3:6], off
.LBB86_2783:
	s_andn2_b64 vcc, exec, s[4:5]
	s_cbranch_vccnz .LBB86_2785
; %bb.2784:
	v_cndmask_b32_e64 v3, 0, 1.0, s[2:3]
	v_mov_b32_e32 v4, 0
	global_store_dwordx2 v[0:1], v[3:4], off
.LBB86_2785:
	s_mov_b64 s[4:5], 0
.LBB86_2786:
	s_andn2_b64 vcc, exec, s[4:5]
	s_cbranch_vccnz .LBB86_2788
; %bb.2787:
	v_cndmask_b32_e64 v3, 0, 1.0, s[2:3]
	v_cvt_f16_f32_e32 v3, v3
	global_store_dword v[0:1], v3, off
.LBB86_2788:
	s_mov_b64 s[4:5], 0
.LBB86_2789:
	s_andn2_b64 vcc, exec, s[4:5]
	s_cbranch_vccnz .LBB86_2798
; %bb.2790:
	s_cmp_lt_i32 s6, 6
	s_mov_b64 s[4:5], -1
	s_cbranch_scc1 .LBB86_2796
; %bb.2791:
	s_cmp_gt_i32 s6, 6
	s_cbranch_scc0 .LBB86_2793
; %bb.2792:
	v_cndmask_b32_e64 v3, 0, 1, s[2:3]
	v_cvt_f64_u32_e32 v[3:4], v3
	s_mov_b64 s[4:5], 0
	global_store_dwordx2 v[0:1], v[3:4], off
.LBB86_2793:
	s_andn2_b64 vcc, exec, s[4:5]
	s_cbranch_vccnz .LBB86_2795
; %bb.2794:
	v_cndmask_b32_e64 v3, 0, 1.0, s[2:3]
	global_store_dword v[0:1], v3, off
.LBB86_2795:
	s_mov_b64 s[4:5], 0
.LBB86_2796:
	s_andn2_b64 vcc, exec, s[4:5]
	s_cbranch_vccnz .LBB86_2798
; %bb.2797:
	v_cndmask_b32_e64 v3, 0, 1.0, s[2:3]
	v_cvt_f16_f32_e32 v3, v3
	global_store_short v[0:1], v3, off
.LBB86_2798:
	s_mov_b64 s[4:5], 0
.LBB86_2799:
	s_andn2_b64 vcc, exec, s[4:5]
	s_cbranch_vccnz .LBB86_2815
; %bb.2800:
	s_cmp_lt_i32 s6, 2
	s_mov_b64 s[4:5], -1
	s_cbranch_scc1 .LBB86_2810
; %bb.2801:
	s_cmp_lt_i32 s6, 3
	s_cbranch_scc1 .LBB86_2807
; %bb.2802:
	s_cmp_gt_i32 s6, 3
	s_cbranch_scc0 .LBB86_2804
; %bb.2803:
	s_mov_b32 s4, 0
	v_cndmask_b32_e64 v3, 0, 1, s[2:3]
	v_mov_b32_e32 v4, s4
	global_store_dwordx2 v[0:1], v[3:4], off
	s_mov_b64 s[4:5], 0
.LBB86_2804:
	s_andn2_b64 vcc, exec, s[4:5]
	s_cbranch_vccnz .LBB86_2806
; %bb.2805:
	v_cndmask_b32_e64 v3, 0, 1, s[2:3]
	global_store_dword v[0:1], v3, off
.LBB86_2806:
	s_mov_b64 s[4:5], 0
.LBB86_2807:
	s_andn2_b64 vcc, exec, s[4:5]
	s_cbranch_vccnz .LBB86_2809
; %bb.2808:
	v_cndmask_b32_e64 v3, 0, 1, s[2:3]
	global_store_short v[0:1], v3, off
.LBB86_2809:
	s_mov_b64 s[4:5], 0
.LBB86_2810:
	s_andn2_b64 vcc, exec, s[4:5]
	s_cbranch_vccnz .LBB86_2815
; %bb.2811:
	s_mov_b64 s[4:5], -1
	s_cmp_gt_i32 s6, 0
	v_cndmask_b32_e64 v3, 0, 1, s[2:3]
	s_cbranch_scc0 .LBB86_2813
; %bb.2812:
	global_store_byte v[0:1], v3, off
	s_mov_b64 s[4:5], 0
.LBB86_2813:
	s_andn2_b64 vcc, exec, s[4:5]
	s_cbranch_vccnz .LBB86_2815
; %bb.2814:
	global_store_byte v[0:1], v3, off
.LBB86_2815:
	s_mov_b64 s[10:11], -1
.LBB86_2816:
	s_andn2_b64 vcc, exec, s[10:11]
	s_cbranch_vccnz .LBB86_3012
; %bb.2817:
	v_cmp_eq_f64_e32 vcc, v[8:9], v[10:11]
	v_add_u32_e32 v2, s16, v2
	v_mov_b32_e32 v3, s9
	s_cmp_lt_i32 s24, 11
	v_cndmask_b32_e64 v0, 0, 1, vcc
	v_cmp_neq_f64_e32 vcc, v[8:9], v[10:11]
	v_cndmask_b32_e64 v1, 0, 1, vcc
	v_cndmask_b32_e64 v0, v1, v0, s[0:1]
	v_and_b32_e32 v0, 1, v0
	v_cmp_eq_u32_e64 s[2:3], 1, v0
	v_ashrrev_i32_e32 v1, 31, v2
	v_add_co_u32_e32 v0, vcc, s8, v2
	v_addc_co_u32_e32 v1, vcc, v3, v1, vcc
	s_cbranch_scc1 .LBB86_2895
; %bb.2818:
	s_and_b32 s17, 0xffff, s24
	s_mov_b64 s[12:13], -1
	s_mov_b64 s[6:7], 0
	s_cmp_gt_i32 s17, 25
	s_mov_b64 s[10:11], 0
	s_mov_b64 s[4:5], 0
	s_cbranch_scc0 .LBB86_2851
; %bb.2819:
	s_cmp_gt_i32 s17, 28
	s_cbranch_scc0 .LBB86_2834
; %bb.2820:
	s_cmp_gt_i32 s17, 43
	;; [unrolled: 3-line block ×3, first 2 shown]
	s_cbranch_scc0 .LBB86_2824
; %bb.2822:
	s_mov_b64 s[4:5], -1
	s_mov_b64 s[12:13], 0
	s_cmp_eq_u32 s17, 46
	s_cbranch_scc0 .LBB86_2824
; %bb.2823:
	v_cndmask_b32_e64 v3, 0, 1.0, s[2:3]
	v_bfe_u32 v4, v3, 16, 1
	s_movk_i32 s4, 0x7fff
	v_add3_u32 v3, v3, v4, s4
	v_lshrrev_b32_e32 v3, 16, v3
	global_store_dword v[0:1], v3, off
	s_mov_b64 s[4:5], 0
	s_mov_b64 s[10:11], -1
.LBB86_2824:
	s_and_b64 vcc, exec, s[12:13]
	s_cbranch_vccz .LBB86_2829
; %bb.2825:
	s_cmp_eq_u32 s17, 44
	s_mov_b64 s[4:5], -1
	s_cbranch_scc0 .LBB86_2829
; %bb.2826:
	v_cndmask_b32_e64 v4, 0, 1.0, s[2:3]
	v_lshrrev_b32_e32 v3, 23, v4
	s_movk_i32 s4, 0xff
	v_cmp_ne_u32_e32 vcc, s4, v3
	v_mov_b32_e32 v5, 0xff
	s_and_saveexec_b64 s[10:11], vcc
; %bb.2827:
	s_mov_b32 s4, 0x3fffff
	v_and_b32_e32 v5, 0x400000, v4
	v_and_or_b32 v4, v4, s4, v3
	v_cmp_ne_u32_e32 vcc, 0, v5
	v_cmp_ne_u32_e64 s[4:5], 0, v4
	s_and_b64 s[4:5], vcc, s[4:5]
	v_cndmask_b32_e64 v4, 0, 1, s[4:5]
	v_add_u32_e32 v5, v3, v4
; %bb.2828:
	s_or_b64 exec, exec, s[10:11]
	s_mov_b64 s[4:5], 0
	s_mov_b64 s[10:11], -1
	global_store_byte v[0:1], v5, off
.LBB86_2829:
	s_mov_b64 s[12:13], 0
.LBB86_2830:
	s_and_b64 vcc, exec, s[12:13]
	s_cbranch_vccz .LBB86_2833
; %bb.2831:
	s_cmp_eq_u32 s17, 29
	s_mov_b64 s[4:5], -1
	s_cbranch_scc0 .LBB86_2833
; %bb.2832:
	s_mov_b32 s4, 0
	v_cndmask_b32_e64 v3, 0, 1, s[2:3]
	v_mov_b32_e32 v4, s4
	global_store_dwordx2 v[0:1], v[3:4], off
	s_mov_b64 s[4:5], 0
	s_mov_b64 s[10:11], -1
.LBB86_2833:
	s_mov_b64 s[12:13], 0
.LBB86_2834:
	s_and_b64 vcc, exec, s[12:13]
	s_cbranch_vccz .LBB86_2850
; %bb.2835:
	s_cmp_lt_i32 s17, 27
	s_mov_b64 s[10:11], -1
	s_cbranch_scc1 .LBB86_2841
; %bb.2836:
	s_cmp_gt_i32 s17, 27
	s_cbranch_scc0 .LBB86_2838
; %bb.2837:
	v_cndmask_b32_e64 v3, 0, 1, s[2:3]
	s_mov_b64 s[10:11], 0
	global_store_dword v[0:1], v3, off
.LBB86_2838:
	s_andn2_b64 vcc, exec, s[10:11]
	s_cbranch_vccnz .LBB86_2840
; %bb.2839:
	v_cndmask_b32_e64 v3, 0, 1, s[2:3]
	global_store_short v[0:1], v3, off
.LBB86_2840:
	s_mov_b64 s[10:11], 0
.LBB86_2841:
	s_andn2_b64 vcc, exec, s[10:11]
	s_cbranch_vccnz .LBB86_2849
; %bb.2842:
	v_cndmask_b32_e64 v4, 0, 1.0, s[2:3]
	s_mov_b32 s10, 0x43800000
	v_cmp_gt_u32_e32 vcc, s10, v4
	v_mov_b32_e32 v5, 0x80
	s_and_saveexec_b64 s[10:11], vcc
	s_cbranch_execz .LBB86_2848
; %bb.2843:
	s_mov_b32 s12, 0x3bffffff
	v_cmp_lt_u32_e32 vcc, s12, v4
	s_mov_b64 s[12:13], 0
                                        ; implicit-def: $vgpr3
	s_and_saveexec_b64 s[14:15], vcc
	s_xor_b64 s[14:15], exec, s[14:15]
	s_cbranch_execz .LBB86_3069
; %bb.2844:
	v_bfe_u32 v3, v4, 20, 1
	s_mov_b32 s25, 0x487ffff
	v_add3_u32 v3, v4, v3, s25
	s_mov_b64 s[12:13], exec
	v_lshrrev_b32_e32 v3, 20, v3
                                        ; implicit-def: $vgpr4
	s_andn2_saveexec_b64 s[14:15], s[14:15]
	s_cbranch_execnz .LBB86_3070
.LBB86_2845:
	s_or_b64 exec, exec, s[14:15]
	v_mov_b32_e32 v5, 0
	s_and_saveexec_b64 s[14:15], s[12:13]
.LBB86_2846:
	v_mov_b32_e32 v5, v3
.LBB86_2847:
	s_or_b64 exec, exec, s[14:15]
.LBB86_2848:
	s_or_b64 exec, exec, s[10:11]
	global_store_byte v[0:1], v5, off
.LBB86_2849:
	s_mov_b64 s[10:11], -1
.LBB86_2850:
	s_mov_b64 s[12:13], 0
.LBB86_2851:
	s_and_b64 vcc, exec, s[12:13]
	s_cbranch_vccz .LBB86_2891
; %bb.2852:
	s_cmp_gt_i32 s17, 22
	s_mov_b64 s[6:7], -1
	s_cbranch_scc0 .LBB86_2884
; %bb.2853:
	s_cmp_lt_i32 s17, 24
	s_cbranch_scc1 .LBB86_2873
; %bb.2854:
	s_cmp_gt_i32 s17, 24
	s_cbranch_scc0 .LBB86_2862
; %bb.2855:
	v_cndmask_b32_e64 v4, 0, 1.0, s[2:3]
	s_mov_b32 s6, 0x47800000
	v_cmp_gt_u32_e32 vcc, s6, v4
	v_mov_b32_e32 v5, 0x80
	s_and_saveexec_b64 s[6:7], vcc
	s_cbranch_execz .LBB86_2861
; %bb.2856:
	s_mov_b32 s10, 0x37ffffff
	v_cmp_lt_u32_e32 vcc, s10, v4
	s_mov_b64 s[10:11], 0
                                        ; implicit-def: $vgpr3
	s_and_saveexec_b64 s[12:13], vcc
	s_xor_b64 s[12:13], exec, s[12:13]
	s_cbranch_execz .LBB86_3072
; %bb.2857:
	v_bfe_u32 v3, v4, 21, 1
	s_mov_b32 s14, 0x88fffff
	v_add3_u32 v3, v4, v3, s14
	s_mov_b64 s[10:11], exec
	v_lshrrev_b32_e32 v3, 21, v3
                                        ; implicit-def: $vgpr4
	s_andn2_saveexec_b64 s[12:13], s[12:13]
	s_cbranch_execnz .LBB86_3073
.LBB86_2858:
	s_or_b64 exec, exec, s[12:13]
	v_mov_b32_e32 v5, 0
	s_and_saveexec_b64 s[12:13], s[10:11]
.LBB86_2859:
	v_mov_b32_e32 v5, v3
.LBB86_2860:
	s_or_b64 exec, exec, s[12:13]
.LBB86_2861:
	s_or_b64 exec, exec, s[6:7]
	s_mov_b64 s[6:7], 0
	global_store_byte v[0:1], v5, off
.LBB86_2862:
	s_and_b64 vcc, exec, s[6:7]
	s_cbranch_vccz .LBB86_2872
; %bb.2863:
	v_cndmask_b32_e64 v3, 0, 1.0, s[2:3]
	s_mov_b32 s6, 0x43f00000
	v_cmp_gt_u32_e32 vcc, s6, v3
                                        ; implicit-def: $vgpr4
	s_and_saveexec_b64 s[6:7], vcc
	s_xor_b64 s[6:7], exec, s[6:7]
	s_cbranch_execz .LBB86_2869
; %bb.2864:
	s_mov_b32 s10, 0x3c7fffff
	v_cmp_lt_u32_e32 vcc, s10, v3
                                        ; implicit-def: $vgpr4
	s_and_saveexec_b64 s[10:11], vcc
	s_xor_b64 s[10:11], exec, s[10:11]
; %bb.2865:
	v_bfe_u32 v4, v3, 20, 1
	s_mov_b32 s12, 0x407ffff
	v_add3_u32 v3, v3, v4, s12
	v_lshrrev_b32_e32 v4, 20, v3
	v_and_b32_e32 v3, 0xff00000, v3
	s_mov_b32 s12, 0x7f00000
	v_mov_b32_e32 v5, 0x7e
	v_cmp_ne_u32_e32 vcc, s12, v3
	v_cndmask_b32_e32 v4, v5, v4, vcc
                                        ; implicit-def: $vgpr3
; %bb.2866:
	s_andn2_saveexec_b64 s[10:11], s[10:11]
; %bb.2867:
	v_add_f32_e32 v4, 0x46800000, v3
; %bb.2868:
	s_or_b64 exec, exec, s[10:11]
                                        ; implicit-def: $vgpr3
.LBB86_2869:
	s_andn2_saveexec_b64 s[6:7], s[6:7]
; %bb.2870:
	s_mov_b32 s10, 0x7f800000
	v_mov_b32_e32 v4, 0x7e
	v_mov_b32_e32 v5, 0x7f
	v_cmp_lt_u32_e32 vcc, s10, v3
	v_cndmask_b32_e32 v4, v4, v5, vcc
; %bb.2871:
	s_or_b64 exec, exec, s[6:7]
	global_store_byte v[0:1], v4, off
.LBB86_2872:
	s_mov_b64 s[6:7], 0
.LBB86_2873:
	s_andn2_b64 vcc, exec, s[6:7]
	s_cbranch_vccnz .LBB86_2883
; %bb.2874:
	v_cndmask_b32_e64 v3, 0, 1.0, s[2:3]
	s_mov_b32 s6, 0x47800000
	v_cmp_gt_u32_e32 vcc, s6, v3
                                        ; implicit-def: $vgpr4
	s_and_saveexec_b64 s[6:7], vcc
	s_xor_b64 s[6:7], exec, s[6:7]
	s_cbranch_execz .LBB86_2880
; %bb.2875:
	s_mov_b32 s10, 0x387fffff
	v_cmp_lt_u32_e32 vcc, s10, v3
                                        ; implicit-def: $vgpr4
	s_and_saveexec_b64 s[10:11], vcc
	s_xor_b64 s[10:11], exec, s[10:11]
; %bb.2876:
	v_bfe_u32 v4, v3, 21, 1
	s_mov_b32 s12, 0x80fffff
	v_add3_u32 v3, v3, v4, s12
	v_lshrrev_b32_e32 v4, 21, v3
                                        ; implicit-def: $vgpr3
; %bb.2877:
	s_andn2_saveexec_b64 s[10:11], s[10:11]
; %bb.2878:
	v_add_f32_e32 v4, 0x43000000, v3
; %bb.2879:
	s_or_b64 exec, exec, s[10:11]
                                        ; implicit-def: $vgpr3
.LBB86_2880:
	s_andn2_saveexec_b64 s[6:7], s[6:7]
; %bb.2881:
	s_mov_b32 s10, 0x7f800000
	v_mov_b32_e32 v4, 0x7c
	v_mov_b32_e32 v5, 0x7f
	v_cmp_lt_u32_e32 vcc, s10, v3
	v_cndmask_b32_e32 v4, v4, v5, vcc
; %bb.2882:
	s_or_b64 exec, exec, s[6:7]
	global_store_byte v[0:1], v4, off
.LBB86_2883:
	s_mov_b64 s[6:7], 0
	s_mov_b64 s[10:11], -1
.LBB86_2884:
	s_andn2_b64 vcc, exec, s[6:7]
	s_mov_b64 s[6:7], 0
	s_cbranch_vccnz .LBB86_2891
; %bb.2885:
	s_cmp_gt_i32 s17, 14
	s_mov_b64 s[12:13], -1
	s_cbranch_scc0 .LBB86_2889
; %bb.2886:
	s_cmp_eq_u32 s17, 15
	s_mov_b64 s[4:5], -1
	s_cbranch_scc0 .LBB86_2888
; %bb.2887:
	v_cndmask_b32_e64 v3, 0, 1.0, s[2:3]
	v_bfe_u32 v4, v3, 16, 1
	s_movk_i32 s4, 0x7fff
	v_add3_u32 v3, v3, v4, s4
	global_store_short_d16_hi v[0:1], v3, off
	s_mov_b64 s[4:5], 0
	s_mov_b64 s[10:11], -1
.LBB86_2888:
	s_mov_b64 s[12:13], 0
.LBB86_2889:
	s_and_b64 vcc, exec, s[12:13]
	s_cbranch_vccz .LBB86_2891
; %bb.2890:
	s_cmp_lg_u32 s17, 11
	s_mov_b64 s[6:7], -1
	s_cselect_b64 s[4:5], -1, 0
.LBB86_2891:
	s_and_b64 vcc, exec, s[4:5]
	s_cbranch_vccnz .LBB86_3071
; %bb.2892:
	s_andn2_b64 vcc, exec, s[6:7]
	s_cbranch_vccnz .LBB86_2894
.LBB86_2893:
	v_cndmask_b32_e64 v3, 0, 1, s[2:3]
	s_mov_b64 s[10:11], -1
	global_store_byte v[0:1], v3, off
.LBB86_2894:
	s_mov_b64 s[4:5], 0
	s_branch .LBB86_2896
.LBB86_2895:
	s_mov_b64 s[4:5], -1
	s_mov_b64 s[10:11], 0
.LBB86_2896:
	s_and_b64 vcc, exec, s[4:5]
	s_cbranch_vccz .LBB86_2935
; %bb.2897:
	s_and_b32 s6, 0xffff, s24
	s_cmp_lt_i32 s6, 5
	s_mov_b64 s[4:5], -1
	s_cbranch_scc1 .LBB86_2918
; %bb.2898:
	s_cmp_lt_i32 s6, 8
	s_cbranch_scc1 .LBB86_2908
; %bb.2899:
	s_cmp_lt_i32 s6, 9
	s_cbranch_scc1 .LBB86_2905
; %bb.2900:
	s_cmp_gt_i32 s6, 9
	s_cbranch_scc0 .LBB86_2902
; %bb.2901:
	v_cndmask_b32_e64 v3, 0, 1, s[2:3]
	v_cvt_f64_u32_e32 v[3:4], v3
	v_mov_b32_e32 v5, 0
	v_mov_b32_e32 v6, v5
	s_mov_b64 s[4:5], 0
	global_store_dwordx4 v[0:1], v[3:6], off
.LBB86_2902:
	s_andn2_b64 vcc, exec, s[4:5]
	s_cbranch_vccnz .LBB86_2904
; %bb.2903:
	v_cndmask_b32_e64 v3, 0, 1.0, s[2:3]
	v_mov_b32_e32 v4, 0
	global_store_dwordx2 v[0:1], v[3:4], off
.LBB86_2904:
	s_mov_b64 s[4:5], 0
.LBB86_2905:
	s_andn2_b64 vcc, exec, s[4:5]
	s_cbranch_vccnz .LBB86_2907
; %bb.2906:
	v_cndmask_b32_e64 v3, 0, 1.0, s[2:3]
	v_cvt_f16_f32_e32 v3, v3
	global_store_dword v[0:1], v3, off
.LBB86_2907:
	s_mov_b64 s[4:5], 0
.LBB86_2908:
	s_andn2_b64 vcc, exec, s[4:5]
	s_cbranch_vccnz .LBB86_2917
; %bb.2909:
	s_cmp_lt_i32 s6, 6
	s_mov_b64 s[4:5], -1
	s_cbranch_scc1 .LBB86_2915
; %bb.2910:
	s_cmp_gt_i32 s6, 6
	s_cbranch_scc0 .LBB86_2912
; %bb.2911:
	v_cndmask_b32_e64 v3, 0, 1, s[2:3]
	v_cvt_f64_u32_e32 v[3:4], v3
	s_mov_b64 s[4:5], 0
	global_store_dwordx2 v[0:1], v[3:4], off
.LBB86_2912:
	s_andn2_b64 vcc, exec, s[4:5]
	s_cbranch_vccnz .LBB86_2914
; %bb.2913:
	v_cndmask_b32_e64 v3, 0, 1.0, s[2:3]
	global_store_dword v[0:1], v3, off
.LBB86_2914:
	s_mov_b64 s[4:5], 0
.LBB86_2915:
	s_andn2_b64 vcc, exec, s[4:5]
	s_cbranch_vccnz .LBB86_2917
; %bb.2916:
	v_cndmask_b32_e64 v3, 0, 1.0, s[2:3]
	v_cvt_f16_f32_e32 v3, v3
	global_store_short v[0:1], v3, off
.LBB86_2917:
	s_mov_b64 s[4:5], 0
.LBB86_2918:
	s_andn2_b64 vcc, exec, s[4:5]
	s_cbranch_vccnz .LBB86_2934
; %bb.2919:
	s_cmp_lt_i32 s6, 2
	s_mov_b64 s[4:5], -1
	s_cbranch_scc1 .LBB86_2929
; %bb.2920:
	s_cmp_lt_i32 s6, 3
	s_cbranch_scc1 .LBB86_2926
; %bb.2921:
	s_cmp_gt_i32 s6, 3
	s_cbranch_scc0 .LBB86_2923
; %bb.2922:
	s_mov_b32 s4, 0
	v_cndmask_b32_e64 v3, 0, 1, s[2:3]
	v_mov_b32_e32 v4, s4
	global_store_dwordx2 v[0:1], v[3:4], off
	s_mov_b64 s[4:5], 0
.LBB86_2923:
	s_andn2_b64 vcc, exec, s[4:5]
	s_cbranch_vccnz .LBB86_2925
; %bb.2924:
	v_cndmask_b32_e64 v3, 0, 1, s[2:3]
	global_store_dword v[0:1], v3, off
.LBB86_2925:
	s_mov_b64 s[4:5], 0
.LBB86_2926:
	s_andn2_b64 vcc, exec, s[4:5]
	s_cbranch_vccnz .LBB86_2928
; %bb.2927:
	v_cndmask_b32_e64 v3, 0, 1, s[2:3]
	global_store_short v[0:1], v3, off
.LBB86_2928:
	s_mov_b64 s[4:5], 0
.LBB86_2929:
	s_andn2_b64 vcc, exec, s[4:5]
	s_cbranch_vccnz .LBB86_2934
; %bb.2930:
	s_mov_b64 s[4:5], -1
	s_cmp_gt_i32 s6, 0
	v_cndmask_b32_e64 v3, 0, 1, s[2:3]
	s_cbranch_scc0 .LBB86_2932
; %bb.2931:
	global_store_byte v[0:1], v3, off
	s_mov_b64 s[4:5], 0
.LBB86_2932:
	s_andn2_b64 vcc, exec, s[4:5]
	s_cbranch_vccnz .LBB86_2934
; %bb.2933:
	global_store_byte v[0:1], v3, off
.LBB86_2934:
	s_mov_b64 s[10:11], -1
.LBB86_2935:
	s_andn2_b64 vcc, exec, s[10:11]
	s_cbranch_vccnz .LBB86_3012
; %bb.2936:
	v_cmp_eq_f64_e32 vcc, v[12:13], v[14:15]
	s_cmp_lt_i32 s24, 11
	v_cndmask_b32_e64 v0, 0, 1, vcc
	v_cmp_neq_f64_e32 vcc, v[12:13], v[14:15]
	v_cndmask_b32_e64 v1, 0, 1, vcc
	v_cndmask_b32_e64 v0, v1, v0, s[0:1]
	v_and_b32_e32 v0, 1, v0
	v_cmp_eq_u32_e64 s[2:3], 1, v0
	v_add_u32_e32 v0, s16, v2
	v_ashrrev_i32_e32 v1, 31, v0
	v_mov_b32_e32 v2, s9
	v_add_co_u32_e32 v0, vcc, s8, v0
	v_addc_co_u32_e32 v1, vcc, v2, v1, vcc
	s_cbranch_scc1 .LBB86_3057
; %bb.2937:
	s_and_b32 s12, 0xffff, s24
	s_mov_b64 s[6:7], -1
	s_mov_b64 s[4:5], 0
	s_cmp_gt_i32 s12, 25
	s_mov_b64 s[0:1], 0
	s_cbranch_scc0 .LBB86_2970
; %bb.2938:
	s_cmp_gt_i32 s12, 28
	s_cbranch_scc0 .LBB86_2954
; %bb.2939:
	s_cmp_gt_i32 s12, 43
	;; [unrolled: 3-line block ×3, first 2 shown]
	s_cbranch_scc0 .LBB86_2944
; %bb.2941:
	s_cmp_eq_u32 s12, 46
	s_mov_b64 s[0:1], -1
	s_cbranch_scc0 .LBB86_2943
; %bb.2942:
	v_cndmask_b32_e64 v2, 0, 1.0, s[2:3]
	v_bfe_u32 v3, v2, 16, 1
	s_movk_i32 s0, 0x7fff
	v_add3_u32 v2, v2, v3, s0
	v_lshrrev_b32_e32 v2, 16, v2
	global_store_dword v[0:1], v2, off
	s_mov_b64 s[0:1], 0
.LBB86_2943:
	s_mov_b64 s[6:7], 0
.LBB86_2944:
	s_and_b64 vcc, exec, s[6:7]
	s_cbranch_vccz .LBB86_2949
; %bb.2945:
	s_cmp_eq_u32 s12, 44
	s_mov_b64 s[0:1], -1
	s_cbranch_scc0 .LBB86_2949
; %bb.2946:
	v_cndmask_b32_e64 v3, 0, 1.0, s[2:3]
	v_lshrrev_b32_e32 v2, 23, v3
	s_movk_i32 s0, 0xff
	v_cmp_ne_u32_e32 vcc, s0, v2
	v_mov_b32_e32 v4, 0xff
	s_and_saveexec_b64 s[6:7], vcc
; %bb.2947:
	s_mov_b32 s0, 0x3fffff
	v_and_b32_e32 v4, 0x400000, v3
	v_and_or_b32 v3, v3, s0, v2
	v_cmp_ne_u32_e32 vcc, 0, v4
	v_cmp_ne_u32_e64 s[0:1], 0, v3
	s_and_b64 s[0:1], vcc, s[0:1]
	v_cndmask_b32_e64 v3, 0, 1, s[0:1]
	v_add_u32_e32 v4, v2, v3
; %bb.2948:
	s_or_b64 exec, exec, s[6:7]
	s_mov_b64 s[0:1], 0
	global_store_byte v[0:1], v4, off
.LBB86_2949:
	s_mov_b64 s[6:7], 0
.LBB86_2950:
	s_and_b64 vcc, exec, s[6:7]
	s_cbranch_vccz .LBB86_2953
; %bb.2951:
	s_cmp_eq_u32 s12, 29
	s_mov_b64 s[0:1], -1
	s_cbranch_scc0 .LBB86_2953
; %bb.2952:
	s_mov_b32 s0, 0
	v_cndmask_b32_e64 v2, 0, 1, s[2:3]
	v_mov_b32_e32 v3, s0
	global_store_dwordx2 v[0:1], v[2:3], off
	s_mov_b64 s[0:1], 0
.LBB86_2953:
	s_mov_b64 s[6:7], 0
.LBB86_2954:
	s_and_b64 vcc, exec, s[6:7]
	s_cbranch_vccz .LBB86_2969
; %bb.2955:
	s_cmp_lt_i32 s12, 27
	s_mov_b64 s[6:7], -1
	s_cbranch_scc1 .LBB86_2961
; %bb.2956:
	s_cmp_gt_i32 s12, 27
	v_cndmask_b32_e64 v2, 0, 1, s[2:3]
	s_cbranch_scc0 .LBB86_2958
; %bb.2957:
	global_store_dword v[0:1], v2, off
	s_mov_b64 s[6:7], 0
.LBB86_2958:
	s_andn2_b64 vcc, exec, s[6:7]
	s_cbranch_vccnz .LBB86_2960
; %bb.2959:
	global_store_short v[0:1], v2, off
.LBB86_2960:
	s_mov_b64 s[6:7], 0
.LBB86_2961:
	s_andn2_b64 vcc, exec, s[6:7]
	s_cbranch_vccnz .LBB86_2969
; %bb.2962:
	v_cndmask_b32_e64 v3, 0, 1.0, s[2:3]
	s_mov_b32 s6, 0x43800000
	v_cmp_gt_u32_e32 vcc, s6, v3
	v_mov_b32_e32 v4, 0x80
	s_and_saveexec_b64 s[6:7], vcc
	s_cbranch_execz .LBB86_2968
; %bb.2963:
	s_mov_b32 s8, 0x3bffffff
	v_cmp_lt_u32_e32 vcc, s8, v3
	s_mov_b64 s[8:9], 0
                                        ; implicit-def: $vgpr2
	s_and_saveexec_b64 s[10:11], vcc
	s_xor_b64 s[10:11], exec, s[10:11]
	s_cbranch_execz .LBB86_3074
; %bb.2964:
	v_bfe_u32 v2, v3, 20, 1
	s_mov_b32 s13, 0x487ffff
	v_add3_u32 v2, v3, v2, s13
	s_mov_b64 s[8:9], exec
	v_lshrrev_b32_e32 v2, 20, v2
                                        ; implicit-def: $vgpr3
	s_andn2_saveexec_b64 s[10:11], s[10:11]
	s_cbranch_execnz .LBB86_3075
.LBB86_2965:
	s_or_b64 exec, exec, s[10:11]
	v_mov_b32_e32 v4, 0
	s_and_saveexec_b64 s[10:11], s[8:9]
.LBB86_2966:
	v_mov_b32_e32 v4, v2
.LBB86_2967:
	s_or_b64 exec, exec, s[10:11]
.LBB86_2968:
	s_or_b64 exec, exec, s[6:7]
	global_store_byte v[0:1], v4, off
.LBB86_2969:
	s_mov_b64 s[6:7], 0
.LBB86_2970:
	s_and_b64 vcc, exec, s[6:7]
	s_cbranch_vccz .LBB86_3010
; %bb.2971:
	s_cmp_gt_i32 s12, 22
	s_mov_b64 s[4:5], -1
	s_cbranch_scc0 .LBB86_3003
; %bb.2972:
	s_cmp_lt_i32 s12, 24
	s_cbranch_scc1 .LBB86_2992
; %bb.2973:
	s_cmp_gt_i32 s12, 24
	s_cbranch_scc0 .LBB86_2981
; %bb.2974:
	v_cndmask_b32_e64 v3, 0, 1.0, s[2:3]
	s_mov_b32 s4, 0x47800000
	v_cmp_gt_u32_e32 vcc, s4, v3
	v_mov_b32_e32 v4, 0x80
	s_and_saveexec_b64 s[4:5], vcc
	s_cbranch_execz .LBB86_2980
; %bb.2975:
	s_mov_b32 s6, 0x37ffffff
	v_cmp_lt_u32_e32 vcc, s6, v3
	s_mov_b64 s[6:7], 0
                                        ; implicit-def: $vgpr2
	s_and_saveexec_b64 s[8:9], vcc
	s_xor_b64 s[8:9], exec, s[8:9]
	s_cbranch_execz .LBB86_3077
; %bb.2976:
	v_bfe_u32 v2, v3, 21, 1
	s_mov_b32 s10, 0x88fffff
	v_add3_u32 v2, v3, v2, s10
	s_mov_b64 s[6:7], exec
	v_lshrrev_b32_e32 v2, 21, v2
                                        ; implicit-def: $vgpr3
	s_andn2_saveexec_b64 s[8:9], s[8:9]
	s_cbranch_execnz .LBB86_3078
.LBB86_2977:
	s_or_b64 exec, exec, s[8:9]
	v_mov_b32_e32 v4, 0
	s_and_saveexec_b64 s[8:9], s[6:7]
.LBB86_2978:
	v_mov_b32_e32 v4, v2
.LBB86_2979:
	s_or_b64 exec, exec, s[8:9]
.LBB86_2980:
	s_or_b64 exec, exec, s[4:5]
	s_mov_b64 s[4:5], 0
	global_store_byte v[0:1], v4, off
.LBB86_2981:
	s_and_b64 vcc, exec, s[4:5]
	s_cbranch_vccz .LBB86_2991
; %bb.2982:
	v_cndmask_b32_e64 v2, 0, 1.0, s[2:3]
	s_mov_b32 s4, 0x43f00000
	v_cmp_gt_u32_e32 vcc, s4, v2
                                        ; implicit-def: $vgpr3
	s_and_saveexec_b64 s[4:5], vcc
	s_xor_b64 s[4:5], exec, s[4:5]
	s_cbranch_execz .LBB86_2988
; %bb.2983:
	s_mov_b32 s6, 0x3c7fffff
	v_cmp_lt_u32_e32 vcc, s6, v2
                                        ; implicit-def: $vgpr3
	s_and_saveexec_b64 s[6:7], vcc
	s_xor_b64 s[6:7], exec, s[6:7]
; %bb.2984:
	v_bfe_u32 v3, v2, 20, 1
	s_mov_b32 s8, 0x407ffff
	v_add3_u32 v2, v2, v3, s8
	v_lshrrev_b32_e32 v3, 20, v2
	v_and_b32_e32 v2, 0xff00000, v2
	s_mov_b32 s8, 0x7f00000
	v_mov_b32_e32 v4, 0x7e
	v_cmp_ne_u32_e32 vcc, s8, v2
	v_cndmask_b32_e32 v3, v4, v3, vcc
                                        ; implicit-def: $vgpr2
; %bb.2985:
	s_andn2_saveexec_b64 s[6:7], s[6:7]
; %bb.2986:
	v_add_f32_e32 v3, 0x46800000, v2
; %bb.2987:
	s_or_b64 exec, exec, s[6:7]
                                        ; implicit-def: $vgpr2
.LBB86_2988:
	s_andn2_saveexec_b64 s[4:5], s[4:5]
; %bb.2989:
	s_mov_b32 s6, 0x7f800000
	v_mov_b32_e32 v3, 0x7e
	v_mov_b32_e32 v4, 0x7f
	v_cmp_lt_u32_e32 vcc, s6, v2
	v_cndmask_b32_e32 v3, v3, v4, vcc
; %bb.2990:
	s_or_b64 exec, exec, s[4:5]
	global_store_byte v[0:1], v3, off
.LBB86_2991:
	s_mov_b64 s[4:5], 0
.LBB86_2992:
	s_andn2_b64 vcc, exec, s[4:5]
	s_cbranch_vccnz .LBB86_3002
; %bb.2993:
	v_cndmask_b32_e64 v2, 0, 1.0, s[2:3]
	s_mov_b32 s4, 0x47800000
	v_cmp_gt_u32_e32 vcc, s4, v2
                                        ; implicit-def: $vgpr3
	s_and_saveexec_b64 s[4:5], vcc
	s_xor_b64 s[4:5], exec, s[4:5]
	s_cbranch_execz .LBB86_2999
; %bb.2994:
	s_mov_b32 s6, 0x387fffff
	v_cmp_lt_u32_e32 vcc, s6, v2
                                        ; implicit-def: $vgpr3
	s_and_saveexec_b64 s[6:7], vcc
	s_xor_b64 s[6:7], exec, s[6:7]
; %bb.2995:
	v_bfe_u32 v3, v2, 21, 1
	s_mov_b32 s8, 0x80fffff
	v_add3_u32 v2, v2, v3, s8
	v_lshrrev_b32_e32 v3, 21, v2
                                        ; implicit-def: $vgpr2
; %bb.2996:
	s_andn2_saveexec_b64 s[6:7], s[6:7]
; %bb.2997:
	v_add_f32_e32 v3, 0x43000000, v2
; %bb.2998:
	s_or_b64 exec, exec, s[6:7]
                                        ; implicit-def: $vgpr2
.LBB86_2999:
	s_andn2_saveexec_b64 s[4:5], s[4:5]
; %bb.3000:
	s_mov_b32 s6, 0x7f800000
	v_mov_b32_e32 v3, 0x7c
	v_mov_b32_e32 v4, 0x7f
	v_cmp_lt_u32_e32 vcc, s6, v2
	v_cndmask_b32_e32 v3, v3, v4, vcc
; %bb.3001:
	s_or_b64 exec, exec, s[4:5]
	global_store_byte v[0:1], v3, off
.LBB86_3002:
	s_mov_b64 s[4:5], 0
.LBB86_3003:
	s_andn2_b64 vcc, exec, s[4:5]
	s_mov_b64 s[4:5], 0
	s_cbranch_vccnz .LBB86_3010
; %bb.3004:
	s_cmp_gt_i32 s12, 14
	s_mov_b64 s[6:7], -1
	s_cbranch_scc0 .LBB86_3008
; %bb.3005:
	s_cmp_eq_u32 s12, 15
	s_mov_b64 s[0:1], -1
	s_cbranch_scc0 .LBB86_3007
; %bb.3006:
	v_cndmask_b32_e64 v2, 0, 1.0, s[2:3]
	v_bfe_u32 v3, v2, 16, 1
	s_movk_i32 s0, 0x7fff
	v_add3_u32 v2, v2, v3, s0
	global_store_short_d16_hi v[0:1], v2, off
	s_mov_b64 s[0:1], 0
.LBB86_3007:
	s_mov_b64 s[6:7], 0
.LBB86_3008:
	s_and_b64 vcc, exec, s[6:7]
	s_cbranch_vccz .LBB86_3010
; %bb.3009:
	s_cmp_lg_u32 s12, 11
	s_mov_b64 s[4:5], -1
	s_cselect_b64 s[0:1], -1, 0
.LBB86_3010:
	s_and_b64 vcc, exec, s[0:1]
	s_cbranch_vccnz .LBB86_3076
.LBB86_3011:
	s_mov_b64 s[0:1], 0
	s_branch .LBB86_3013
.LBB86_3012:
	s_mov_b64 s[0:1], 0
	s_mov_b64 s[4:5], 0
                                        ; implicit-def: $sgpr2_sgpr3
                                        ; implicit-def: $sgpr24
                                        ; implicit-def: $vgpr0_vgpr1
.LBB86_3013:
	s_and_b64 s[6:7], s[4:5], exec
	s_andn2_b64 s[4:5], s[20:21], exec
	s_and_b64 s[8:9], s[22:23], exec
	s_and_b64 s[0:1], s[0:1], exec
	s_or_b64 s[20:21], s[4:5], s[8:9]
.LBB86_3014:
	s_or_b64 exec, exec, s[18:19]
	s_and_saveexec_b64 s[4:5], s[20:21]
	s_cbranch_execz .LBB86_3017
; %bb.3015:
	; divergent unreachable
	s_or_b64 exec, exec, s[4:5]
	s_and_saveexec_b64 s[4:5], s[6:7]
	s_xor_b64 s[4:5], exec, s[4:5]
	s_cbranch_execnz .LBB86_3018
.LBB86_3016:
	s_or_b64 exec, exec, s[4:5]
	s_and_saveexec_b64 s[4:5], s[0:1]
	s_cbranch_execnz .LBB86_3019
	s_branch .LBB86_3056
.LBB86_3017:
	s_or_b64 exec, exec, s[4:5]
	s_and_saveexec_b64 s[4:5], s[6:7]
	s_xor_b64 s[4:5], exec, s[4:5]
	s_cbranch_execz .LBB86_3016
.LBB86_3018:
	s_waitcnt vmcnt(0)
	v_cndmask_b32_e64 v2, 0, 1, s[2:3]
	global_store_byte v[0:1], v2, off
	s_or_b64 exec, exec, s[4:5]
	s_and_saveexec_b64 s[4:5], s[0:1]
	s_cbranch_execz .LBB86_3056
.LBB86_3019:
	s_sext_i32_i16 s4, s24
	s_cmp_lt_i32 s4, 5
	s_mov_b64 s[0:1], -1
	s_cbranch_scc1 .LBB86_3040
; %bb.3020:
	s_cmp_lt_i32 s4, 8
	s_cbranch_scc1 .LBB86_3030
; %bb.3021:
	s_cmp_lt_i32 s4, 9
	s_cbranch_scc1 .LBB86_3027
; %bb.3022:
	s_cmp_gt_i32 s4, 9
	s_cbranch_scc0 .LBB86_3024
; %bb.3023:
	s_waitcnt vmcnt(0)
	v_cndmask_b32_e64 v2, 0, 1, s[2:3]
	v_cvt_f64_u32_e32 v[2:3], v2
	v_mov_b32_e32 v4, 0
	v_mov_b32_e32 v5, v4
	s_mov_b64 s[0:1], 0
	global_store_dwordx4 v[0:1], v[2:5], off
.LBB86_3024:
	s_andn2_b64 vcc, exec, s[0:1]
	s_cbranch_vccnz .LBB86_3026
; %bb.3025:
	s_waitcnt vmcnt(0)
	v_cndmask_b32_e64 v2, 0, 1.0, s[2:3]
	v_mov_b32_e32 v3, 0
	global_store_dwordx2 v[0:1], v[2:3], off
.LBB86_3026:
	s_mov_b64 s[0:1], 0
.LBB86_3027:
	s_andn2_b64 vcc, exec, s[0:1]
	s_cbranch_vccnz .LBB86_3029
; %bb.3028:
	s_waitcnt vmcnt(0)
	v_cndmask_b32_e64 v2, 0, 1.0, s[2:3]
	v_cvt_f16_f32_e32 v2, v2
	global_store_dword v[0:1], v2, off
.LBB86_3029:
	s_mov_b64 s[0:1], 0
.LBB86_3030:
	s_andn2_b64 vcc, exec, s[0:1]
	s_cbranch_vccnz .LBB86_3039
; %bb.3031:
	s_sext_i32_i16 s4, s24
	s_cmp_lt_i32 s4, 6
	s_mov_b64 s[0:1], -1
	s_cbranch_scc1 .LBB86_3037
; %bb.3032:
	s_cmp_gt_i32 s4, 6
	s_cbranch_scc0 .LBB86_3034
; %bb.3033:
	s_waitcnt vmcnt(0)
	v_cndmask_b32_e64 v2, 0, 1, s[2:3]
	v_cvt_f64_u32_e32 v[2:3], v2
	s_mov_b64 s[0:1], 0
	global_store_dwordx2 v[0:1], v[2:3], off
.LBB86_3034:
	s_andn2_b64 vcc, exec, s[0:1]
	s_cbranch_vccnz .LBB86_3036
; %bb.3035:
	s_waitcnt vmcnt(0)
	v_cndmask_b32_e64 v2, 0, 1.0, s[2:3]
	global_store_dword v[0:1], v2, off
.LBB86_3036:
	s_mov_b64 s[0:1], 0
.LBB86_3037:
	s_andn2_b64 vcc, exec, s[0:1]
	s_cbranch_vccnz .LBB86_3039
; %bb.3038:
	s_waitcnt vmcnt(0)
	v_cndmask_b32_e64 v2, 0, 1.0, s[2:3]
	v_cvt_f16_f32_e32 v2, v2
	global_store_short v[0:1], v2, off
.LBB86_3039:
	s_mov_b64 s[0:1], 0
.LBB86_3040:
	s_andn2_b64 vcc, exec, s[0:1]
	s_cbranch_vccnz .LBB86_3056
; %bb.3041:
	s_sext_i32_i16 s4, s24
	s_cmp_lt_i32 s4, 2
	s_mov_b64 s[0:1], -1
	s_cbranch_scc1 .LBB86_3051
; %bb.3042:
	s_cmp_lt_i32 s4, 3
	s_cbranch_scc1 .LBB86_3048
; %bb.3043:
	s_cmp_gt_i32 s4, 3
	s_cbranch_scc0 .LBB86_3045
; %bb.3044:
	s_mov_b32 s0, 0
	s_waitcnt vmcnt(0)
	v_cndmask_b32_e64 v2, 0, 1, s[2:3]
	v_mov_b32_e32 v3, s0
	global_store_dwordx2 v[0:1], v[2:3], off
	s_mov_b64 s[0:1], 0
.LBB86_3045:
	s_andn2_b64 vcc, exec, s[0:1]
	s_cbranch_vccnz .LBB86_3047
; %bb.3046:
	s_waitcnt vmcnt(0)
	v_cndmask_b32_e64 v2, 0, 1, s[2:3]
	global_store_dword v[0:1], v2, off
.LBB86_3047:
	s_mov_b64 s[0:1], 0
.LBB86_3048:
	s_andn2_b64 vcc, exec, s[0:1]
	s_cbranch_vccnz .LBB86_3050
; %bb.3049:
	s_waitcnt vmcnt(0)
	v_cndmask_b32_e64 v2, 0, 1, s[2:3]
	global_store_short v[0:1], v2, off
.LBB86_3050:
	s_mov_b64 s[0:1], 0
.LBB86_3051:
	s_andn2_b64 vcc, exec, s[0:1]
	s_cbranch_vccnz .LBB86_3056
; %bb.3052:
	s_sext_i32_i16 s4, s24
	s_mov_b64 s[0:1], -1
	s_cmp_gt_i32 s4, 0
	s_waitcnt vmcnt(0)
	v_cndmask_b32_e64 v2, 0, 1, s[2:3]
	s_cbranch_scc0 .LBB86_3054
; %bb.3053:
	global_store_byte v[0:1], v2, off
	s_mov_b64 s[0:1], 0
.LBB86_3054:
	s_andn2_b64 vcc, exec, s[0:1]
	s_cbranch_vccnz .LBB86_3056
; %bb.3055:
	global_store_byte v[0:1], v2, off
	s_endpgm
.LBB86_3056:
	s_endpgm
.LBB86_3057:
	s_mov_b64 s[4:5], 0
	s_mov_b64 s[0:1], -1
	s_branch .LBB86_3013
.LBB86_3058:
	s_trap 2
	s_or_b64 s[22:23], s[22:23], exec
	s_cbranch_execz .LBB86_2527
	s_branch .LBB86_2528
.LBB86_3059:
	s_andn2_saveexec_b64 s[16:17], s[16:17]
	s_cbranch_execz .LBB86_2607
.LBB86_3060:
	v_add_f32_e32 v3, 0x46000000, v16
	v_and_b32_e32 v3, 0xff, v3
	v_cmp_ne_u32_e32 vcc, 0, v3
	s_andn2_b64 s[14:15], s[14:15], exec
	s_and_b64 s[26:27], vcc, exec
	s_or_b64 s[14:15], s[14:15], s[26:27]
	s_or_b64 exec, exec, s[16:17]
	v_mov_b32_e32 v17, 0
	s_and_saveexec_b64 s[16:17], s[14:15]
	s_cbranch_execnz .LBB86_2608
	s_branch .LBB86_2609
.LBB86_3061:
	s_trap 2
	s_or_b64 s[22:23], s[22:23], exec
	s_cbranch_execz .LBB86_2655
	s_branch .LBB86_2656
.LBB86_3062:
	s_andn2_saveexec_b64 s[14:15], s[14:15]
	s_cbranch_execz .LBB86_2620
.LBB86_3063:
	v_add_f32_e32 v3, 0x42800000, v16
	v_and_b32_e32 v3, 0xff, v3
	v_cmp_ne_u32_e32 vcc, 0, v3
	s_andn2_b64 s[10:11], s[10:11], exec
	s_and_b64 s[16:17], vcc, exec
	s_or_b64 s[10:11], s[10:11], s[16:17]
	s_or_b64 exec, exec, s[14:15]
	v_mov_b32_e32 v17, 0
	s_and_saveexec_b64 s[14:15], s[10:11]
	s_cbranch_execnz .LBB86_2621
	s_branch .LBB86_2622
.LBB86_3064:
	s_andn2_saveexec_b64 s[14:15], s[14:15]
	s_cbranch_execz .LBB86_2726
.LBB86_3065:
	v_add_f32_e32 v3, 0x46000000, v4
	v_and_b32_e32 v3, 0xff, v3
	v_cmp_ne_u32_e32 vcc, 0, v3
	s_andn2_b64 s[12:13], s[12:13], exec
	s_and_b64 s[26:27], vcc, exec
	s_or_b64 s[12:13], s[12:13], s[26:27]
	s_or_b64 exec, exec, s[14:15]
	v_mov_b32_e32 v5, 0
	s_and_saveexec_b64 s[14:15], s[12:13]
	s_cbranch_execnz .LBB86_2727
	s_branch .LBB86_2728
.LBB86_3066:
	s_trap 2
	s_or_b64 s[22:23], s[22:23], exec
	s_cbranch_execz .LBB86_2774
	s_branch .LBB86_2775
.LBB86_3067:
	s_andn2_saveexec_b64 s[12:13], s[12:13]
	s_cbranch_execz .LBB86_2739
.LBB86_3068:
	v_add_f32_e32 v3, 0x42800000, v4
	v_and_b32_e32 v3, 0xff, v3
	v_cmp_ne_u32_e32 vcc, 0, v3
	s_andn2_b64 s[10:11], s[10:11], exec
	s_and_b64 s[14:15], vcc, exec
	s_or_b64 s[10:11], s[10:11], s[14:15]
	s_or_b64 exec, exec, s[12:13]
	v_mov_b32_e32 v5, 0
	s_and_saveexec_b64 s[12:13], s[10:11]
	s_cbranch_execnz .LBB86_2740
	s_branch .LBB86_2741
.LBB86_3069:
	s_andn2_saveexec_b64 s[14:15], s[14:15]
	s_cbranch_execz .LBB86_2845
.LBB86_3070:
	v_add_f32_e32 v3, 0x46000000, v4
	v_and_b32_e32 v3, 0xff, v3
	v_cmp_ne_u32_e32 vcc, 0, v3
	s_andn2_b64 s[12:13], s[12:13], exec
	s_and_b64 s[26:27], vcc, exec
	s_or_b64 s[12:13], s[12:13], s[26:27]
	s_or_b64 exec, exec, s[14:15]
	v_mov_b32_e32 v5, 0
	s_and_saveexec_b64 s[14:15], s[12:13]
	s_cbranch_execnz .LBB86_2846
	s_branch .LBB86_2847
.LBB86_3071:
	s_trap 2
	s_or_b64 s[22:23], s[22:23], exec
	s_cbranch_execz .LBB86_2893
	s_branch .LBB86_2894
.LBB86_3072:
	s_andn2_saveexec_b64 s[12:13], s[12:13]
	s_cbranch_execz .LBB86_2858
.LBB86_3073:
	v_add_f32_e32 v3, 0x42800000, v4
	v_and_b32_e32 v3, 0xff, v3
	v_cmp_ne_u32_e32 vcc, 0, v3
	s_andn2_b64 s[10:11], s[10:11], exec
	s_and_b64 s[14:15], vcc, exec
	s_or_b64 s[10:11], s[10:11], s[14:15]
	s_or_b64 exec, exec, s[12:13]
	v_mov_b32_e32 v5, 0
	s_and_saveexec_b64 s[12:13], s[10:11]
	s_cbranch_execnz .LBB86_2859
	s_branch .LBB86_2860
.LBB86_3074:
	s_andn2_saveexec_b64 s[10:11], s[10:11]
	s_cbranch_execz .LBB86_2965
.LBB86_3075:
	v_add_f32_e32 v2, 0x46000000, v3
	v_and_b32_e32 v2, 0xff, v2
	v_cmp_ne_u32_e32 vcc, 0, v2
	s_andn2_b64 s[8:9], s[8:9], exec
	s_and_b64 s[14:15], vcc, exec
	s_or_b64 s[8:9], s[8:9], s[14:15]
	s_or_b64 exec, exec, s[10:11]
	v_mov_b32_e32 v4, 0
	s_and_saveexec_b64 s[10:11], s[8:9]
	s_cbranch_execnz .LBB86_2966
	s_branch .LBB86_2967
.LBB86_3076:
	s_mov_b64 s[4:5], 0
	s_or_b64 s[22:23], s[22:23], exec
	s_trap 2
	s_branch .LBB86_3011
.LBB86_3077:
	s_andn2_saveexec_b64 s[8:9], s[8:9]
	s_cbranch_execz .LBB86_2977
.LBB86_3078:
	v_add_f32_e32 v2, 0x42800000, v3
	v_and_b32_e32 v2, 0xff, v2
	v_cmp_ne_u32_e32 vcc, 0, v2
	s_andn2_b64 s[6:7], s[6:7], exec
	s_and_b64 s[10:11], vcc, exec
	s_or_b64 s[6:7], s[6:7], s[10:11]
	s_or_b64 exec, exec, s[8:9]
	v_mov_b32_e32 v4, 0
	s_and_saveexec_b64 s[8:9], s[6:7]
	s_cbranch_execnz .LBB86_2978
	s_branch .LBB86_2979
	.section	.rodata,"a",@progbits
	.p2align	6, 0x0
	.amdhsa_kernel _ZN2at6native32elementwise_kernel_manual_unrollILi128ELi4EZNS0_15gpu_kernel_implINS0_13BinaryFunctorIddbNS0_12_GLOBAL__N_116CompareEqFunctorIdEEEEEEvRNS_18TensorIteratorBaseERKT_EUlibE_EEviT1_
		.amdhsa_group_segment_fixed_size 0
		.amdhsa_private_segment_fixed_size 0
		.amdhsa_kernarg_size 56
		.amdhsa_user_sgpr_count 6
		.amdhsa_user_sgpr_private_segment_buffer 1
		.amdhsa_user_sgpr_dispatch_ptr 0
		.amdhsa_user_sgpr_queue_ptr 0
		.amdhsa_user_sgpr_kernarg_segment_ptr 1
		.amdhsa_user_sgpr_dispatch_id 0
		.amdhsa_user_sgpr_flat_scratch_init 0
		.amdhsa_user_sgpr_private_segment_size 0
		.amdhsa_uses_dynamic_stack 0
		.amdhsa_system_sgpr_private_segment_wavefront_offset 0
		.amdhsa_system_sgpr_workgroup_id_x 1
		.amdhsa_system_sgpr_workgroup_id_y 0
		.amdhsa_system_sgpr_workgroup_id_z 0
		.amdhsa_system_sgpr_workgroup_info 0
		.amdhsa_system_vgpr_workitem_id 0
		.amdhsa_next_free_vgpr 23
		.amdhsa_next_free_sgpr 59
		.amdhsa_reserve_vcc 1
		.amdhsa_reserve_flat_scratch 0
		.amdhsa_float_round_mode_32 0
		.amdhsa_float_round_mode_16_64 0
		.amdhsa_float_denorm_mode_32 3
		.amdhsa_float_denorm_mode_16_64 3
		.amdhsa_dx10_clamp 1
		.amdhsa_ieee_mode 1
		.amdhsa_fp16_overflow 0
		.amdhsa_exception_fp_ieee_invalid_op 0
		.amdhsa_exception_fp_denorm_src 0
		.amdhsa_exception_fp_ieee_div_zero 0
		.amdhsa_exception_fp_ieee_overflow 0
		.amdhsa_exception_fp_ieee_underflow 0
		.amdhsa_exception_fp_ieee_inexact 0
		.amdhsa_exception_int_div_zero 0
	.end_amdhsa_kernel
	.section	.text._ZN2at6native32elementwise_kernel_manual_unrollILi128ELi4EZNS0_15gpu_kernel_implINS0_13BinaryFunctorIddbNS0_12_GLOBAL__N_116CompareEqFunctorIdEEEEEEvRNS_18TensorIteratorBaseERKT_EUlibE_EEviT1_,"axG",@progbits,_ZN2at6native32elementwise_kernel_manual_unrollILi128ELi4EZNS0_15gpu_kernel_implINS0_13BinaryFunctorIddbNS0_12_GLOBAL__N_116CompareEqFunctorIdEEEEEEvRNS_18TensorIteratorBaseERKT_EUlibE_EEviT1_,comdat
.Lfunc_end86:
	.size	_ZN2at6native32elementwise_kernel_manual_unrollILi128ELi4EZNS0_15gpu_kernel_implINS0_13BinaryFunctorIddbNS0_12_GLOBAL__N_116CompareEqFunctorIdEEEEEEvRNS_18TensorIteratorBaseERKT_EUlibE_EEviT1_, .Lfunc_end86-_ZN2at6native32elementwise_kernel_manual_unrollILi128ELi4EZNS0_15gpu_kernel_implINS0_13BinaryFunctorIddbNS0_12_GLOBAL__N_116CompareEqFunctorIdEEEEEEvRNS_18TensorIteratorBaseERKT_EUlibE_EEviT1_
                                        ; -- End function
	.set _ZN2at6native32elementwise_kernel_manual_unrollILi128ELi4EZNS0_15gpu_kernel_implINS0_13BinaryFunctorIddbNS0_12_GLOBAL__N_116CompareEqFunctorIdEEEEEEvRNS_18TensorIteratorBaseERKT_EUlibE_EEviT1_.num_vgpr, 23
	.set _ZN2at6native32elementwise_kernel_manual_unrollILi128ELi4EZNS0_15gpu_kernel_implINS0_13BinaryFunctorIddbNS0_12_GLOBAL__N_116CompareEqFunctorIdEEEEEEvRNS_18TensorIteratorBaseERKT_EUlibE_EEviT1_.num_agpr, 0
	.set _ZN2at6native32elementwise_kernel_manual_unrollILi128ELi4EZNS0_15gpu_kernel_implINS0_13BinaryFunctorIddbNS0_12_GLOBAL__N_116CompareEqFunctorIdEEEEEEvRNS_18TensorIteratorBaseERKT_EUlibE_EEviT1_.numbered_sgpr, 59
	.set _ZN2at6native32elementwise_kernel_manual_unrollILi128ELi4EZNS0_15gpu_kernel_implINS0_13BinaryFunctorIddbNS0_12_GLOBAL__N_116CompareEqFunctorIdEEEEEEvRNS_18TensorIteratorBaseERKT_EUlibE_EEviT1_.num_named_barrier, 0
	.set _ZN2at6native32elementwise_kernel_manual_unrollILi128ELi4EZNS0_15gpu_kernel_implINS0_13BinaryFunctorIddbNS0_12_GLOBAL__N_116CompareEqFunctorIdEEEEEEvRNS_18TensorIteratorBaseERKT_EUlibE_EEviT1_.private_seg_size, 0
	.set _ZN2at6native32elementwise_kernel_manual_unrollILi128ELi4EZNS0_15gpu_kernel_implINS0_13BinaryFunctorIddbNS0_12_GLOBAL__N_116CompareEqFunctorIdEEEEEEvRNS_18TensorIteratorBaseERKT_EUlibE_EEviT1_.uses_vcc, 1
	.set _ZN2at6native32elementwise_kernel_manual_unrollILi128ELi4EZNS0_15gpu_kernel_implINS0_13BinaryFunctorIddbNS0_12_GLOBAL__N_116CompareEqFunctorIdEEEEEEvRNS_18TensorIteratorBaseERKT_EUlibE_EEviT1_.uses_flat_scratch, 0
	.set _ZN2at6native32elementwise_kernel_manual_unrollILi128ELi4EZNS0_15gpu_kernel_implINS0_13BinaryFunctorIddbNS0_12_GLOBAL__N_116CompareEqFunctorIdEEEEEEvRNS_18TensorIteratorBaseERKT_EUlibE_EEviT1_.has_dyn_sized_stack, 0
	.set _ZN2at6native32elementwise_kernel_manual_unrollILi128ELi4EZNS0_15gpu_kernel_implINS0_13BinaryFunctorIddbNS0_12_GLOBAL__N_116CompareEqFunctorIdEEEEEEvRNS_18TensorIteratorBaseERKT_EUlibE_EEviT1_.has_recursion, 0
	.set _ZN2at6native32elementwise_kernel_manual_unrollILi128ELi4EZNS0_15gpu_kernel_implINS0_13BinaryFunctorIddbNS0_12_GLOBAL__N_116CompareEqFunctorIdEEEEEEvRNS_18TensorIteratorBaseERKT_EUlibE_EEviT1_.has_indirect_call, 0
	.section	.AMDGPU.csdata,"",@progbits
; Kernel info:
; codeLenInByte = 46068
; TotalNumSgprs: 63
; NumVgprs: 23
; ScratchSize: 0
; MemoryBound: 1
; FloatMode: 240
; IeeeMode: 1
; LDSByteSize: 0 bytes/workgroup (compile time only)
; SGPRBlocks: 7
; VGPRBlocks: 5
; NumSGPRsForWavesPerEU: 63
; NumVGPRsForWavesPerEU: 23
; Occupancy: 10
; WaveLimiterHint : 0
; COMPUTE_PGM_RSRC2:SCRATCH_EN: 0
; COMPUTE_PGM_RSRC2:USER_SGPR: 6
; COMPUTE_PGM_RSRC2:TRAP_HANDLER: 0
; COMPUTE_PGM_RSRC2:TGID_X_EN: 1
; COMPUTE_PGM_RSRC2:TGID_Y_EN: 0
; COMPUTE_PGM_RSRC2:TGID_Z_EN: 0
; COMPUTE_PGM_RSRC2:TIDIG_COMP_CNT: 0
	.section	.text._ZN2at6native32elementwise_kernel_manual_unrollILi128ELi4EZNS0_15gpu_kernel_implINS0_13BinaryFunctorIddbNS0_12_GLOBAL__N_116CompareEqFunctorIdEEEEEEvRNS_18TensorIteratorBaseERKT_EUlibE0_EEviT1_,"axG",@progbits,_ZN2at6native32elementwise_kernel_manual_unrollILi128ELi4EZNS0_15gpu_kernel_implINS0_13BinaryFunctorIddbNS0_12_GLOBAL__N_116CompareEqFunctorIdEEEEEEvRNS_18TensorIteratorBaseERKT_EUlibE0_EEviT1_,comdat
	.globl	_ZN2at6native32elementwise_kernel_manual_unrollILi128ELi4EZNS0_15gpu_kernel_implINS0_13BinaryFunctorIddbNS0_12_GLOBAL__N_116CompareEqFunctorIdEEEEEEvRNS_18TensorIteratorBaseERKT_EUlibE0_EEviT1_ ; -- Begin function _ZN2at6native32elementwise_kernel_manual_unrollILi128ELi4EZNS0_15gpu_kernel_implINS0_13BinaryFunctorIddbNS0_12_GLOBAL__N_116CompareEqFunctorIdEEEEEEvRNS_18TensorIteratorBaseERKT_EUlibE0_EEviT1_
	.p2align	8
	.type	_ZN2at6native32elementwise_kernel_manual_unrollILi128ELi4EZNS0_15gpu_kernel_implINS0_13BinaryFunctorIddbNS0_12_GLOBAL__N_116CompareEqFunctorIdEEEEEEvRNS_18TensorIteratorBaseERKT_EUlibE0_EEviT1_,@function
_ZN2at6native32elementwise_kernel_manual_unrollILi128ELi4EZNS0_15gpu_kernel_implINS0_13BinaryFunctorIddbNS0_12_GLOBAL__N_116CompareEqFunctorIdEEEEEEvRNS_18TensorIteratorBaseERKT_EUlibE0_EEviT1_: ; @_ZN2at6native32elementwise_kernel_manual_unrollILi128ELi4EZNS0_15gpu_kernel_implINS0_13BinaryFunctorIddbNS0_12_GLOBAL__N_116CompareEqFunctorIdEEEEEEvRNS_18TensorIteratorBaseERKT_EUlibE0_EEviT1_
; %bb.0:
	s_load_dword s70, s[4:5], 0x0
	s_load_dword s33, s[4:5], 0x8
	s_add_u32 s24, s4, 8
	s_addc_u32 s25, s5, 0
	v_lshl_or_b32 v10, s6, 9, v0
	v_or_b32_e32 v21, 0x180, v10
	s_waitcnt lgkmcnt(0)
	s_add_i32 s72, s33, -1
	s_cmp_gt_u32 s72, 1
	v_cmp_le_i32_e32 vcc, s70, v21
	s_cselect_b64 s[28:29], -1, 0
	s_mov_b64 s[26:27], 0
	s_mov_b64 s[6:7], 0
	s_and_saveexec_b64 s[0:1], vcc
	s_xor_b64 s[30:31], exec, s[0:1]
	s_cbranch_execz .LBB87_1589
; %bb.1:
	s_cmp_lg_u32 s33, 0
	s_load_dwordx4 s[16:19], s[24:25], 0x4
	s_load_dwordx2 s[36:37], s[24:25], 0x14
	s_load_dwordx8 s[8:15], s[24:25], 0x188
	s_load_dwordx4 s[20:23], s[24:25], 0xc4
	s_load_dwordx2 s[34:35], s[24:25], 0xd4
	s_cselect_b64 s[40:41], -1, 0
	s_min_u32 s75, s72, 15
	s_cmp_gt_u32 s33, 1
	s_cselect_b64 s[38:39], -1, 0
	s_waitcnt lgkmcnt(0)
	s_lshr_b32 s74, s15, 8
	s_lshr_b32 s73, s15, 16
	s_cmp_eq_u32 s14, 0
	s_cselect_b64 s[0:1], -1, 0
	v_cmp_gt_i32_e32 vcc, s70, v10
	s_mov_b64 s[2:3], -1
	s_mov_b64 s[52:53], 0
	s_mov_b64 s[46:47], 0
	;; [unrolled: 1-line block ×4, first 2 shown]
	s_and_saveexec_b64 s[48:49], vcc
	s_cbranch_execz .LBB87_394
; %bb.2:
	s_andn2_b64 vcc, exec, s[28:29]
	s_cbranch_vccnz .LBB87_8
; %bb.3:
	s_andn2_b64 vcc, exec, s[40:41]
	s_cbranch_vccnz .LBB87_9
; %bb.4:
	s_add_i32 s2, s75, 1
	s_and_b32 s6, s2, 30
	s_add_u32 s2, s24, 0xffffffe8
	s_addc_u32 s3, s25, -1
	v_mov_b32_e32 v3, 0
	v_mov_b32_e32 v5, 0
	;; [unrolled: 1-line block ×4, first 2 shown]
.LBB87_5:                               ; =>This Inner Loop Header: Depth=1
	s_load_dwordx4 s[44:47], s[2:3], 0x1c
	s_load_dwordx2 s[42:43], s[2:3], 0x2c
	s_load_dwordx2 s[50:51], s[2:3], 0xec
	s_load_dwordx4 s[56:59], s[2:3], 0xdc
	s_add_u32 s2, s2, 24
	s_waitcnt lgkmcnt(0)
	v_mul_hi_u32 v2, s45, v1
	s_addc_u32 s3, s3, 0
	s_add_i32 s6, s6, -2
	s_cmp_lg_u32 s6, 0
	v_add_u32_e32 v2, v1, v2
	v_lshrrev_b32_e32 v2, s46, v2
	v_mul_lo_u32 v4, v2, s44
	v_mul_hi_u32 v6, s42, v2
	v_sub_u32_e32 v4, v1, v4
	v_add_u32_e32 v1, v2, v6
	v_lshrrev_b32_e32 v1, s43, v1
	v_mul_lo_u32 v8, v1, s47
	v_mul_lo_u32 v6, v4, s56
	;; [unrolled: 1-line block ×4, first 2 shown]
	v_sub_u32_e32 v2, v2, v8
	v_mul_lo_u32 v8, v2, s59
	v_mul_lo_u32 v9, v2, s50
	v_mul_lo_u32 v2, v2, s51
	v_add3_u32 v0, v6, v0, v8
	v_add3_u32 v5, v7, v5, v9
	;; [unrolled: 1-line block ×3, first 2 shown]
	s_cbranch_scc1 .LBB87_5
; %bb.6:
	s_bitcmp1_b32 s75, 0
	s_cselect_b64 s[6:7], -1, 0
	s_and_b64 vcc, exec, s[6:7]
	s_cbranch_vccnz .LBB87_10
; %bb.7:
	s_load_dwordx2 s[6:7], s[2:3], 0x1c
	s_load_dword s14, s[2:3], 0x24
	s_load_dwordx2 s[42:43], s[2:3], 0xdc
	s_waitcnt lgkmcnt(0)
	v_mul_hi_u32 v2, s7, v1
	v_add_u32_e32 v2, v1, v2
	v_lshrrev_b32_e32 v2, s14, v2
	v_mul_lo_u32 v2, v2, s6
	s_load_dword s6, s[2:3], 0xe4
	v_sub_u32_e32 v2, v1, v2
	v_mad_u64_u32 v[0:1], s[2:3], v2, s42, v[0:1]
	v_mad_u64_u32 v[5:6], s[2:3], v2, s43, v[5:6]
	s_waitcnt lgkmcnt(0)
	v_mad_u64_u32 v[3:4], s[2:3], v2, s6, v[3:4]
	s_cbranch_execz .LBB87_11
	s_branch .LBB87_13
.LBB87_8:
                                        ; implicit-def: $vgpr0
                                        ; implicit-def: $vgpr5
                                        ; implicit-def: $vgpr3
	s_andn2_b64 vcc, exec, s[2:3]
	s_cbranch_vccz .LBB87_11
	s_branch .LBB87_13
.LBB87_9:
	v_mov_b32_e32 v0, 0
	v_mov_b32_e32 v5, 0
	;; [unrolled: 1-line block ×3, first 2 shown]
.LBB87_10:
	s_cbranch_execnz .LBB87_13
.LBB87_11:
	v_mul_hi_u32 v0, s17, v10
	s_andn2_b64 vcc, exec, s[38:39]
	v_add_u32_e32 v0, v10, v0
	v_lshrrev_b32_e32 v1, s18, v0
	v_mul_lo_u32 v0, v1, s16
	v_sub_u32_e32 v2, v10, v0
	v_mul_lo_u32 v0, v2, s20
	v_mul_lo_u32 v5, v2, s21
	;; [unrolled: 1-line block ×3, first 2 shown]
	s_cbranch_vccnz .LBB87_13
; %bb.12:
	v_mul_hi_u32 v2, s36, v1
	v_add_u32_e32 v2, v1, v2
	v_lshrrev_b32_e32 v2, s37, v2
	v_mul_lo_u32 v2, v2, s19
	v_sub_u32_e32 v2, v1, v2
	v_mad_u64_u32 v[0:1], s[2:3], v2, s23, v[0:1]
	v_mad_u64_u32 v[5:6], s[2:3], v2, s34, v[5:6]
	;; [unrolled: 1-line block ×3, first 2 shown]
.LBB87_13:
	v_mov_b32_e32 v1, s11
	s_and_b32 s14, s74, 0xff
	v_add_co_u32_e32 v4, vcc, s10, v5
	s_cmp_lt_i32 s14, 11
	v_addc_co_u32_e32 v5, vcc, 0, v1, vcc
	s_cbranch_scc1 .LBB87_20
; %bb.14:
	s_and_b32 s44, 0xffff, s14
	s_cmp_gt_i32 s44, 25
	s_cbranch_scc0 .LBB87_29
; %bb.15:
	s_cmp_gt_i32 s44, 28
	s_cbranch_scc0 .LBB87_39
; %bb.16:
	s_cmp_gt_i32 s44, 43
	s_cbranch_scc0 .LBB87_42
; %bb.17:
	s_cmp_gt_i32 s44, 45
	s_cbranch_scc0 .LBB87_45
; %bb.18:
	s_cmp_eq_u32 s44, 46
	s_mov_b64 s[6:7], 0
	s_cbranch_scc0 .LBB87_48
; %bb.19:
	global_load_dword v1, v[4:5], off
	s_mov_b64 s[2:3], -1
	s_mov_b64 s[46:47], 0
	s_waitcnt vmcnt(0)
	v_lshlrev_b32_e32 v1, 16, v1
	v_cvt_f64_f32_e32 v[1:2], v1
	s_branch .LBB87_50
.LBB87_20:
	s_mov_b64 s[46:47], 0
                                        ; implicit-def: $vgpr1_vgpr2
	s_mov_b64 s[2:3], 0
	s_cbranch_execnz .LBB87_116
.LBB87_21:
	s_andn2_b64 vcc, exec, s[2:3]
	s_cbranch_vccnz .LBB87_163
.LBB87_22:
	v_mov_b32_e32 v4, s13
	s_and_b32 s14, s73, 0xff
	v_add_co_u32_e32 v3, vcc, s12, v3
	s_cmp_lt_i32 s14, 11
	v_addc_co_u32_e32 v4, vcc, 0, v4, vcc
	s_cbranch_scc1 .LBB87_30
; %bb.23:
	s_and_b32 s50, 0xffff, s14
	s_cmp_gt_i32 s50, 25
	s_cbranch_scc0 .LBB87_40
; %bb.24:
	s_cmp_gt_i32 s50, 28
	s_cbranch_scc0 .LBB87_43
; %bb.25:
	;; [unrolled: 3-line block ×4, first 2 shown]
	s_cmp_eq_u32 s50, 46
	s_mov_b64 s[6:7], 0
	s_cbranch_scc0 .LBB87_164
; %bb.28:
	global_load_dword v5, v[3:4], off
	s_mov_b64 s[2:3], -1
	s_mov_b64 s[44:45], 0
	s_waitcnt vmcnt(0)
	v_lshlrev_b32_e32 v5, 16, v5
	v_cvt_f64_f32_e32 v[5:6], v5
	s_branch .LBB87_166
.LBB87_29:
	s_mov_b64 s[46:47], 0
	s_mov_b64 s[2:3], 0
                                        ; implicit-def: $vgpr1_vgpr2
	s_cbranch_execnz .LBB87_83
	s_branch .LBB87_115
.LBB87_30:
	s_mov_b64 s[44:45], 0
                                        ; implicit-def: $vgpr5_vgpr6
	s_mov_b64 s[2:3], 0
	s_cbranch_execnz .LBB87_343
.LBB87_31:
	s_andn2_b64 vcc, exec, s[2:3]
	s_cbranch_vccnz .LBB87_391
.LBB87_32:
	s_waitcnt vmcnt(0)
	v_cmp_eq_f64_e32 vcc, v[1:2], v[5:6]
	s_and_b32 s14, s15, 0xff
	s_cmp_lt_i32 s14, 11
	v_cndmask_b32_e64 v3, 0, 1, vcc
	v_cmp_neq_f64_e32 vcc, v[1:2], v[5:6]
	v_cndmask_b32_e64 v1, 0, 1, vcc
	v_cndmask_b32_e64 v1, v1, v3, s[0:1]
	v_and_b32_e32 v1, 1, v1
	v_cmp_eq_u32_e64 s[2:3], 1, v1
	v_mov_b32_e32 v1, s9
	v_add_co_u32_e32 v0, vcc, s8, v0
	v_addc_co_u32_e32 v1, vcc, 0, v1, vcc
	s_cbranch_scc1 .LBB87_41
; %bb.33:
	s_and_b32 s56, 0xffff, s14
	s_cmp_gt_i32 s56, 25
	s_cbranch_scc0 .LBB87_44
; %bb.34:
	s_cmp_gt_i32 s56, 28
	s_cbranch_scc0 .LBB87_47
; %bb.35:
	s_cmp_gt_i32 s56, 43
	s_cbranch_scc0 .LBB87_54
; %bb.36:
	s_cmp_gt_i32 s56, 45
	s_cbranch_scc0 .LBB87_169
; %bb.37:
	s_mov_b64 s[50:51], 0
	s_mov_b64 s[6:7], -1
	s_cmp_eq_u32 s56, 46
	s_mov_b64 s[42:43], 0
	s_cbranch_scc0 .LBB87_170
; %bb.38:
	v_cndmask_b32_e64 v2, 0, 1.0, s[2:3]
	v_bfe_u32 v3, v2, 16, 1
	s_movk_i32 s6, 0x7fff
	v_add3_u32 v2, v2, v3, s6
	v_lshrrev_b32_e32 v2, 16, v2
	global_store_dword v[0:1], v2, off
	s_mov_b64 s[42:43], -1
	s_mov_b64 s[6:7], 0
	s_branch .LBB87_170
.LBB87_39:
	s_mov_b64 s[6:7], -1
	s_mov_b64 s[46:47], 0
	s_mov_b64 s[2:3], 0
                                        ; implicit-def: $vgpr1_vgpr2
	s_branch .LBB87_62
.LBB87_40:
	s_mov_b64 s[6:7], -1
	s_mov_b64 s[44:45], 0
	s_mov_b64 s[2:3], 0
                                        ; implicit-def: $vgpr5_vgpr6
	s_branch .LBB87_309
.LBB87_41:
	s_mov_b64 s[50:51], -1
	s_mov_b64 s[6:7], 0
	s_mov_b64 s[42:43], 0
	s_branch .LBB87_239
.LBB87_42:
	s_mov_b64 s[6:7], -1
	s_mov_b64 s[46:47], 0
	s_mov_b64 s[2:3], 0
                                        ; implicit-def: $vgpr1_vgpr2
	s_branch .LBB87_57
.LBB87_43:
	s_mov_b64 s[6:7], -1
	s_mov_b64 s[44:45], 0
	s_mov_b64 s[2:3], 0
                                        ; implicit-def: $vgpr5_vgpr6
	s_branch .LBB87_288
.LBB87_44:
	s_mov_b64 s[50:51], -1
	s_mov_b64 s[6:7], 0
	s_mov_b64 s[42:43], 0
	s_branch .LBB87_197
.LBB87_45:
	s_mov_b64 s[6:7], -1
	s_mov_b64 s[46:47], 0
	s_branch .LBB87_49
.LBB87_46:
	s_mov_b64 s[6:7], -1
	s_mov_b64 s[44:45], 0
	s_mov_b64 s[2:3], 0
                                        ; implicit-def: $vgpr5_vgpr6
	s_branch .LBB87_283
.LBB87_47:
	s_mov_b64 s[50:51], -1
	s_mov_b64 s[6:7], 0
	s_mov_b64 s[42:43], 0
	s_branch .LBB87_180
.LBB87_48:
	s_mov_b64 s[46:47], -1
.LBB87_49:
	s_mov_b64 s[2:3], 0
                                        ; implicit-def: $vgpr1_vgpr2
.LBB87_50:
	s_and_b64 vcc, exec, s[6:7]
	s_cbranch_vccz .LBB87_56
; %bb.51:
	s_cmp_eq_u32 s44, 44
	s_cbranch_scc0 .LBB87_55
; %bb.52:
	global_load_ubyte v6, v[4:5], off
	s_movk_i32 s6, 0xff
	v_bfrev_b32_e32 v7, 4
	v_mov_b32_e32 v8, 0x7ff80000
	v_bfrev_b32_e32 v9, 28
	s_mov_b64 s[2:3], -1
	s_mov_b64 s[46:47], 0
	s_waitcnt vmcnt(0)
	v_lshlrev_b32_e32 v1, 23, v6
	v_cvt_f64_f32_e32 v[1:2], v1
	v_cmp_ne_u32_e32 vcc, s6, v6
	v_cndmask_b32_e32 v1, v7, v1, vcc
	v_cndmask_b32_e32 v2, v8, v2, vcc
	v_cmp_ne_u32_e32 vcc, 0, v6
	v_cndmask_b32_e32 v2, v9, v2, vcc
	v_cndmask_b32_e32 v1, 0, v1, vcc
	s_branch .LBB87_56
.LBB87_53:
	s_mov_b64 s[6:7], -1
	s_mov_b64 s[44:45], 0
	s_branch .LBB87_165
.LBB87_54:
	s_mov_b64 s[50:51], -1
	s_mov_b64 s[6:7], 0
	s_mov_b64 s[42:43], 0
	s_branch .LBB87_176
.LBB87_55:
	s_mov_b64 s[46:47], -1
                                        ; implicit-def: $vgpr1_vgpr2
.LBB87_56:
	s_mov_b64 s[6:7], 0
.LBB87_57:
	s_and_b64 vcc, exec, s[6:7]
	s_cbranch_vccz .LBB87_61
; %bb.58:
	s_cmp_eq_u32 s44, 29
	s_cbranch_scc0 .LBB87_60
; %bb.59:
	global_load_dwordx2 v[1:2], v[4:5], off
	s_mov_b64 s[2:3], -1
	s_mov_b64 s[46:47], 0
	s_mov_b64 s[6:7], 0
	s_waitcnt vmcnt(0)
	v_cvt_f64_u32_e32 v[6:7], v2
	v_cvt_f64_u32_e32 v[1:2], v1
	v_ldexp_f64 v[6:7], v[6:7], 32
	v_add_f64 v[1:2], v[6:7], v[1:2]
	s_branch .LBB87_62
.LBB87_60:
	s_mov_b64 s[46:47], -1
                                        ; implicit-def: $vgpr1_vgpr2
.LBB87_61:
	s_mov_b64 s[6:7], 0
.LBB87_62:
	s_and_b64 vcc, exec, s[6:7]
	s_cbranch_vccz .LBB87_82
; %bb.63:
	s_cmp_lt_i32 s44, 27
	s_cbranch_scc1 .LBB87_66
; %bb.64:
	s_cmp_gt_i32 s44, 27
	s_cbranch_scc0 .LBB87_67
; %bb.65:
	global_load_dword v1, v[4:5], off
	s_mov_b64 s[2:3], 0
	s_waitcnt vmcnt(0)
	v_cvt_f64_u32_e32 v[1:2], v1
	s_branch .LBB87_68
.LBB87_66:
	s_mov_b64 s[2:3], -1
                                        ; implicit-def: $vgpr1_vgpr2
	s_branch .LBB87_71
.LBB87_67:
	s_mov_b64 s[2:3], -1
                                        ; implicit-def: $vgpr1_vgpr2
.LBB87_68:
	s_andn2_b64 vcc, exec, s[2:3]
	s_cbranch_vccnz .LBB87_70
; %bb.69:
	global_load_ushort v1, v[4:5], off
	s_waitcnt vmcnt(0)
	v_cvt_f64_u32_e32 v[1:2], v1
.LBB87_70:
	s_mov_b64 s[2:3], 0
.LBB87_71:
	s_andn2_b64 vcc, exec, s[2:3]
	s_cbranch_vccnz .LBB87_81
; %bb.72:
	global_load_ubyte v6, v[4:5], off
	s_movk_i32 s2, 0x7f
	s_waitcnt vmcnt(0)
	v_cmp_lt_i16_e32 vcc, s2, v6
	s_mov_b64 s[2:3], 0
	s_and_saveexec_b64 s[6:7], vcc
	s_xor_b64 s[6:7], exec, s[6:7]
	s_cbranch_execz .LBB87_76
; %bb.73:
	s_movk_i32 s2, 0x80
	v_cmp_eq_u16_e32 vcc, s2, v6
	s_mov_b64 s[2:3], -1
	s_and_saveexec_b64 s[42:43], vcc
; %bb.74:
	s_xor_b64 s[2:3], exec, -1
; %bb.75:
	s_or_b64 exec, exec, s[42:43]
	s_and_b64 s[2:3], s[2:3], exec
.LBB87_76:
	s_or_saveexec_b64 s[6:7], s[6:7]
	v_bfrev_b32_e32 v1, 4
	v_mov_b32_e32 v2, 0x7ff80000
	s_xor_b64 exec, exec, s[6:7]
; %bb.77:
	v_cmp_ne_u16_e32 vcc, 0, v6
	v_mov_b32_e32 v1, 0
	s_andn2_b64 s[2:3], s[2:3], exec
	s_and_b64 s[42:43], vcc, exec
	v_mov_b32_e32 v2, 0
	s_or_b64 s[2:3], s[2:3], s[42:43]
; %bb.78:
	s_or_b64 exec, exec, s[6:7]
	s_and_saveexec_b64 s[6:7], s[2:3]
	s_cbranch_execz .LBB87_80
; %bb.79:
	v_and_b32_e32 v2, 0xffff, v6
	v_lshlrev_b32_e32 v1, 24, v6
	v_and_b32_e32 v6, 7, v2
	v_ffbh_u32_e32 v8, v6
	v_min_u32_e32 v8, 32, v8
	v_subrev_u32_e32 v9, 28, v8
	v_bfe_u32 v7, v2, 3, 4
	v_lshlrev_b32_e32 v2, v9, v2
	v_sub_u32_e32 v8, 29, v8
	v_and_b32_e32 v2, 7, v2
	v_cmp_eq_u32_e32 vcc, 0, v7
	v_cndmask_b32_e32 v7, v7, v8, vcc
	v_cndmask_b32_e32 v2, v6, v2, vcc
	v_mov_b32_e32 v6, 0x3b800000
	v_lshlrev_b32_e32 v2, 20, v2
	v_and_b32_e32 v1, 0x80000000, v1
	v_lshl_add_u32 v6, v7, 23, v6
	v_or3_b32 v1, v1, v6, v2
	v_cvt_f64_f32_e32 v[1:2], v1
.LBB87_80:
	s_or_b64 exec, exec, s[6:7]
.LBB87_81:
	s_mov_b64 s[2:3], -1
.LBB87_82:
	s_branch .LBB87_115
.LBB87_83:
	s_cmp_gt_i32 s44, 22
	s_cbranch_scc0 .LBB87_95
; %bb.84:
	s_cmp_lt_i32 s44, 24
	s_cbranch_scc1 .LBB87_96
; %bb.85:
	s_cmp_gt_i32 s44, 24
	s_cbranch_scc0 .LBB87_97
; %bb.86:
	global_load_ubyte v6, v[4:5], off
	s_movk_i32 s2, 0x7f
	s_waitcnt vmcnt(0)
	v_cmp_lt_i16_e32 vcc, s2, v6
	s_mov_b64 s[2:3], 0
	s_and_saveexec_b64 s[6:7], vcc
	s_xor_b64 s[6:7], exec, s[6:7]
	s_cbranch_execz .LBB87_90
; %bb.87:
	s_movk_i32 s2, 0x80
	v_cmp_eq_u16_e32 vcc, s2, v6
	s_mov_b64 s[2:3], -1
	s_and_saveexec_b64 s[42:43], vcc
; %bb.88:
	s_xor_b64 s[2:3], exec, -1
; %bb.89:
	s_or_b64 exec, exec, s[42:43]
	s_and_b64 s[2:3], s[2:3], exec
.LBB87_90:
	s_or_saveexec_b64 s[6:7], s[6:7]
	v_bfrev_b32_e32 v1, 4
	v_mov_b32_e32 v2, 0x7ff80000
	s_xor_b64 exec, exec, s[6:7]
; %bb.91:
	v_cmp_ne_u16_e32 vcc, 0, v6
	v_mov_b32_e32 v1, 0
	s_andn2_b64 s[2:3], s[2:3], exec
	s_and_b64 s[42:43], vcc, exec
	v_mov_b32_e32 v2, 0
	s_or_b64 s[2:3], s[2:3], s[42:43]
; %bb.92:
	s_or_b64 exec, exec, s[6:7]
	s_and_saveexec_b64 s[6:7], s[2:3]
	s_cbranch_execz .LBB87_94
; %bb.93:
	v_and_b32_e32 v2, 0xffff, v6
	v_lshlrev_b32_e32 v1, 24, v6
	v_and_b32_e32 v6, 3, v2
	v_ffbh_u32_e32 v8, v6
	v_min_u32_e32 v8, 32, v8
	v_subrev_u32_e32 v9, 29, v8
	v_bfe_u32 v7, v2, 2, 5
	v_lshlrev_b32_e32 v2, v9, v2
	v_sub_u32_e32 v8, 30, v8
	v_and_b32_e32 v2, 3, v2
	v_cmp_eq_u32_e32 vcc, 0, v7
	v_cndmask_b32_e32 v7, v7, v8, vcc
	v_cndmask_b32_e32 v2, v6, v2, vcc
	v_mov_b32_e32 v6, 0x37800000
	v_lshlrev_b32_e32 v2, 21, v2
	v_and_b32_e32 v1, 0x80000000, v1
	v_lshl_add_u32 v6, v7, 23, v6
	v_or3_b32 v1, v1, v6, v2
	v_cvt_f64_f32_e32 v[1:2], v1
.LBB87_94:
	s_or_b64 exec, exec, s[6:7]
	s_mov_b64 s[2:3], 0
	s_branch .LBB87_98
.LBB87_95:
	s_mov_b64 s[6:7], -1
                                        ; implicit-def: $vgpr1_vgpr2
	s_branch .LBB87_104
.LBB87_96:
	s_mov_b64 s[2:3], -1
                                        ; implicit-def: $vgpr1_vgpr2
	s_branch .LBB87_101
.LBB87_97:
	s_mov_b64 s[2:3], -1
                                        ; implicit-def: $vgpr1_vgpr2
.LBB87_98:
	s_and_b64 vcc, exec, s[2:3]
	s_cbranch_vccz .LBB87_100
; %bb.99:
	global_load_ubyte v1, v[4:5], off
	s_mov_b32 s2, 0x7f800000
	s_waitcnt vmcnt(0)
	v_lshlrev_b32_e32 v1, 24, v1
	v_and_b32_e32 v2, 0x7f000000, v1
	v_ffbh_u32_e32 v6, v2
	v_min_u32_e32 v6, 32, v6
	v_sub_u32_e64 v6, v6, 4 clamp
	v_lshlrev_b32_e32 v8, v6, v2
	v_lshlrev_b32_e32 v6, 23, v6
	v_lshrrev_b32_e32 v8, 4, v8
	v_add_u32_e32 v7, 0x1000000, v2
	v_sub_u32_e32 v6, v8, v6
	v_ashrrev_i32_e32 v7, 8, v7
	v_add_u32_e32 v6, 0x3c000000, v6
	v_and_or_b32 v6, v7, s2, v6
	v_cmp_ne_u32_e32 vcc, 0, v2
	v_cndmask_b32_e32 v2, 0, v6, vcc
	s_brev_b32 s2, 1
	v_and_or_b32 v1, v1, s2, v2
	v_cvt_f64_f32_e32 v[1:2], v1
.LBB87_100:
	s_mov_b64 s[2:3], 0
.LBB87_101:
	s_andn2_b64 vcc, exec, s[2:3]
	s_cbranch_vccnz .LBB87_103
; %bb.102:
	global_load_ubyte v1, v[4:5], off
	s_movk_i32 s2, 0x7f00
	s_brev_b32 s3, 16
	s_waitcnt vmcnt(0)
	v_lshlrev_b16_e32 v2, 8, v1
	v_lshlrev_b32_e32 v1, 25, v1
	v_lshrrev_b32_e32 v6, 4, v1
	v_and_or_b32 v7, v2, s2, 0.5
	v_or_b32_e32 v6, 0x70000000, v6
	v_add_f32_e32 v7, -0.5, v7
	v_mul_f32_e32 v6, 0x7800000, v6
	v_cmp_gt_u32_e32 vcc, s3, v1
	v_bfe_i32 v2, v2, 0, 16
	v_cndmask_b32_e32 v1, v6, v7, vcc
	s_brev_b32 s2, 1
	v_and_or_b32 v1, v2, s2, v1
	v_cvt_f64_f32_e32 v[1:2], v1
.LBB87_103:
	s_mov_b64 s[6:7], 0
	s_mov_b64 s[2:3], -1
.LBB87_104:
	s_andn2_b64 vcc, exec, s[6:7]
	s_cbranch_vccnz .LBB87_115
; %bb.105:
	s_cmp_gt_i32 s44, 14
	s_cbranch_scc0 .LBB87_108
; %bb.106:
	s_cmp_eq_u32 s44, 15
	s_cbranch_scc0 .LBB87_109
; %bb.107:
	global_load_ushort v1, v[4:5], off
	s_mov_b64 s[2:3], -1
	s_mov_b64 s[46:47], 0
	s_waitcnt vmcnt(0)
	v_lshlrev_b32_e32 v1, 16, v1
	v_cvt_f64_f32_e32 v[1:2], v1
	s_branch .LBB87_110
.LBB87_108:
	s_mov_b64 s[6:7], -1
                                        ; implicit-def: $vgpr1_vgpr2
	s_branch .LBB87_111
.LBB87_109:
	s_mov_b64 s[46:47], -1
                                        ; implicit-def: $vgpr1_vgpr2
.LBB87_110:
	s_mov_b64 s[6:7], 0
.LBB87_111:
	s_and_b64 vcc, exec, s[6:7]
	s_cbranch_vccz .LBB87_115
; %bb.112:
	s_cmp_eq_u32 s44, 11
	s_cbranch_scc0 .LBB87_114
; %bb.113:
	global_load_ubyte v2, v[4:5], off
	v_mov_b32_e32 v6, 0x3ff00000
	v_mov_b32_e32 v1, 0
	s_mov_b64 s[2:3], -1
	s_mov_b64 s[46:47], 0
	s_waitcnt vmcnt(0)
	v_cmp_ne_u16_e32 vcc, 0, v2
	v_cndmask_b32_e32 v2, 0, v6, vcc
	s_branch .LBB87_115
.LBB87_114:
	s_mov_b64 s[46:47], -1
                                        ; implicit-def: $vgpr1_vgpr2
.LBB87_115:
	s_branch .LBB87_21
.LBB87_116:
	s_and_b32 s6, 0xffff, s14
	s_cmp_lt_i32 s6, 5
	s_cbranch_scc1 .LBB87_121
; %bb.117:
	s_cmp_lt_i32 s6, 8
	s_cbranch_scc1 .LBB87_122
; %bb.118:
	;; [unrolled: 3-line block ×3, first 2 shown]
	s_cmp_gt_i32 s6, 9
	s_cbranch_scc0 .LBB87_124
; %bb.120:
	global_load_dwordx2 v[1:2], v[4:5], off
	s_mov_b64 s[2:3], 0
	s_branch .LBB87_125
.LBB87_121:
                                        ; implicit-def: $vgpr1_vgpr2
	s_branch .LBB87_143
.LBB87_122:
	s_mov_b64 s[2:3], -1
                                        ; implicit-def: $vgpr1_vgpr2
	s_branch .LBB87_131
.LBB87_123:
	s_mov_b64 s[2:3], -1
                                        ; implicit-def: $vgpr1_vgpr2
	s_branch .LBB87_128
.LBB87_124:
	s_mov_b64 s[2:3], -1
                                        ; implicit-def: $vgpr1_vgpr2
.LBB87_125:
	s_andn2_b64 vcc, exec, s[2:3]
	s_cbranch_vccnz .LBB87_127
; %bb.126:
	global_load_dword v1, v[4:5], off
	s_waitcnt vmcnt(0)
	v_cvt_f64_f32_e32 v[1:2], v1
.LBB87_127:
	s_mov_b64 s[2:3], 0
.LBB87_128:
	s_andn2_b64 vcc, exec, s[2:3]
	s_cbranch_vccnz .LBB87_130
; %bb.129:
	global_load_dword v1, v[4:5], off
	s_waitcnt vmcnt(0)
	v_cvt_f32_f16_e32 v1, v1
	v_cvt_f64_f32_e32 v[1:2], v1
.LBB87_130:
	s_mov_b64 s[2:3], 0
.LBB87_131:
	s_andn2_b64 vcc, exec, s[2:3]
	s_cbranch_vccnz .LBB87_142
; %bb.132:
	s_cmp_lt_i32 s6, 6
	s_cbranch_scc1 .LBB87_135
; %bb.133:
	s_cmp_gt_i32 s6, 6
	s_cbranch_scc0 .LBB87_136
; %bb.134:
	global_load_dwordx2 v[1:2], v[4:5], off
	s_mov_b64 s[2:3], 0
	s_branch .LBB87_137
.LBB87_135:
	s_mov_b64 s[2:3], -1
                                        ; implicit-def: $vgpr1_vgpr2
	s_branch .LBB87_140
.LBB87_136:
	s_mov_b64 s[2:3], -1
                                        ; implicit-def: $vgpr1_vgpr2
.LBB87_137:
	s_andn2_b64 vcc, exec, s[2:3]
	s_cbranch_vccnz .LBB87_139
; %bb.138:
	global_load_dword v1, v[4:5], off
	s_waitcnt vmcnt(0)
	v_cvt_f64_f32_e32 v[1:2], v1
.LBB87_139:
	s_mov_b64 s[2:3], 0
.LBB87_140:
	s_andn2_b64 vcc, exec, s[2:3]
	s_cbranch_vccnz .LBB87_142
; %bb.141:
	global_load_ushort v1, v[4:5], off
	s_waitcnt vmcnt(0)
	v_cvt_f32_f16_e32 v1, v1
	v_cvt_f64_f32_e32 v[1:2], v1
.LBB87_142:
	s_cbranch_execnz .LBB87_162
.LBB87_143:
	s_cmp_lt_i32 s6, 2
	s_cbranch_scc1 .LBB87_147
; %bb.144:
	s_cmp_lt_i32 s6, 3
	s_cbranch_scc1 .LBB87_148
; %bb.145:
	s_cmp_gt_i32 s6, 3
	s_cbranch_scc0 .LBB87_149
; %bb.146:
	global_load_dwordx2 v[1:2], v[4:5], off
	s_mov_b64 s[2:3], 0
	s_waitcnt vmcnt(0)
	v_cvt_f64_i32_e32 v[6:7], v2
	v_cvt_f64_u32_e32 v[1:2], v1
	v_ldexp_f64 v[6:7], v[6:7], 32
	v_add_f64 v[1:2], v[6:7], v[1:2]
	s_branch .LBB87_150
.LBB87_147:
	s_mov_b64 s[2:3], -1
                                        ; implicit-def: $vgpr1_vgpr2
	s_branch .LBB87_156
.LBB87_148:
	s_mov_b64 s[2:3], -1
                                        ; implicit-def: $vgpr1_vgpr2
	s_branch .LBB87_153
.LBB87_149:
	s_mov_b64 s[2:3], -1
                                        ; implicit-def: $vgpr1_vgpr2
.LBB87_150:
	s_andn2_b64 vcc, exec, s[2:3]
	s_cbranch_vccnz .LBB87_152
; %bb.151:
	global_load_dword v1, v[4:5], off
	s_waitcnt vmcnt(0)
	v_cvt_f64_i32_e32 v[1:2], v1
.LBB87_152:
	s_mov_b64 s[2:3], 0
.LBB87_153:
	s_andn2_b64 vcc, exec, s[2:3]
	s_cbranch_vccnz .LBB87_155
; %bb.154:
	global_load_sshort v1, v[4:5], off
	s_waitcnt vmcnt(0)
	v_cvt_f64_i32_e32 v[1:2], v1
.LBB87_155:
	s_mov_b64 s[2:3], 0
.LBB87_156:
	s_andn2_b64 vcc, exec, s[2:3]
	s_cbranch_vccnz .LBB87_162
; %bb.157:
	s_cmp_gt_i32 s6, 0
	s_cbranch_scc0 .LBB87_159
; %bb.158:
	global_load_sbyte v1, v[4:5], off
	s_mov_b64 s[2:3], 0
	s_waitcnt vmcnt(0)
	v_cvt_f64_i32_e32 v[1:2], v1
	s_branch .LBB87_160
.LBB87_159:
	s_mov_b64 s[2:3], -1
                                        ; implicit-def: $vgpr1_vgpr2
.LBB87_160:
	s_andn2_b64 vcc, exec, s[2:3]
	s_cbranch_vccnz .LBB87_162
; %bb.161:
	global_load_ubyte v1, v[4:5], off
	s_waitcnt vmcnt(0)
	v_cvt_f64_u32_e32 v[1:2], v1
.LBB87_162:
	s_branch .LBB87_22
.LBB87_163:
	s_mov_b64 s[6:7], 0
	s_mov_b64 s[44:45], 0
	s_branch .LBB87_392
.LBB87_164:
	s_mov_b64 s[44:45], -1
.LBB87_165:
	s_mov_b64 s[2:3], 0
                                        ; implicit-def: $vgpr5_vgpr6
.LBB87_166:
	s_and_b64 vcc, exec, s[6:7]
	s_cbranch_vccz .LBB87_282
; %bb.167:
	s_cmp_eq_u32 s50, 44
	s_cbranch_scc0 .LBB87_281
; %bb.168:
	global_load_ubyte v7, v[3:4], off
	s_movk_i32 s6, 0xff
	v_bfrev_b32_e32 v8, 4
	v_mov_b32_e32 v9, 0x7ff80000
	v_bfrev_b32_e32 v11, 28
	s_mov_b64 s[2:3], -1
	s_mov_b64 s[44:45], 0
	s_waitcnt vmcnt(0)
	v_lshlrev_b32_e32 v5, 23, v7
	v_cvt_f64_f32_e32 v[5:6], v5
	v_cmp_ne_u32_e32 vcc, s6, v7
	v_cndmask_b32_e32 v5, v8, v5, vcc
	v_cndmask_b32_e32 v6, v9, v6, vcc
	v_cmp_ne_u32_e32 vcc, 0, v7
	v_cndmask_b32_e32 v6, v11, v6, vcc
	v_cndmask_b32_e32 v5, 0, v5, vcc
	s_branch .LBB87_282
.LBB87_169:
	s_mov_b64 s[50:51], -1
	s_mov_b64 s[6:7], 0
	s_mov_b64 s[42:43], 0
.LBB87_170:
	s_and_b64 vcc, exec, s[50:51]
	s_cbranch_vccz .LBB87_175
; %bb.171:
	s_cmp_eq_u32 s56, 44
	s_mov_b64 s[6:7], -1
	s_cbranch_scc0 .LBB87_175
; %bb.172:
	v_cndmask_b32_e64 v3, 0, 1.0, s[2:3]
	v_lshrrev_b32_e32 v2, 23, v3
	s_movk_i32 s6, 0xff
	v_cmp_ne_u32_e32 vcc, s6, v2
	v_mov_b32_e32 v4, 0xff
	s_and_saveexec_b64 s[42:43], vcc
; %bb.173:
	s_mov_b32 s6, 0x3fffff
	v_and_b32_e32 v4, 0x400000, v3
	v_and_or_b32 v3, v3, s6, v2
	v_cmp_ne_u32_e32 vcc, 0, v4
	v_cmp_ne_u32_e64 s[6:7], 0, v3
	s_and_b64 s[6:7], vcc, s[6:7]
	v_cndmask_b32_e64 v3, 0, 1, s[6:7]
	v_add_u32_e32 v4, v2, v3
; %bb.174:
	s_or_b64 exec, exec, s[42:43]
	s_mov_b64 s[42:43], -1
	s_mov_b64 s[6:7], 0
	global_store_byte v[0:1], v4, off
.LBB87_175:
	s_mov_b64 s[50:51], 0
.LBB87_176:
	s_and_b64 vcc, exec, s[50:51]
	s_cbranch_vccz .LBB87_179
; %bb.177:
	s_cmp_eq_u32 s56, 29
	s_mov_b64 s[6:7], -1
	s_cbranch_scc0 .LBB87_179
; %bb.178:
	s_mov_b32 s6, 0
	v_cndmask_b32_e64 v2, 0, 1, s[2:3]
	v_mov_b32_e32 v3, s6
	global_store_dwordx2 v[0:1], v[2:3], off
	s_mov_b64 s[42:43], -1
	s_mov_b64 s[6:7], 0
.LBB87_179:
	s_mov_b64 s[50:51], 0
.LBB87_180:
	s_and_b64 vcc, exec, s[50:51]
	s_cbranch_vccz .LBB87_196
; %bb.181:
	s_cmp_lt_i32 s56, 27
	s_mov_b64 s[42:43], -1
	s_cbranch_scc1 .LBB87_187
; %bb.182:
	s_cmp_gt_i32 s56, 27
	s_cbranch_scc0 .LBB87_184
; %bb.183:
	v_cndmask_b32_e64 v2, 0, 1, s[2:3]
	s_mov_b64 s[42:43], 0
	global_store_dword v[0:1], v2, off
.LBB87_184:
	s_andn2_b64 vcc, exec, s[42:43]
	s_cbranch_vccnz .LBB87_186
; %bb.185:
	v_cndmask_b32_e64 v2, 0, 1, s[2:3]
	global_store_short v[0:1], v2, off
.LBB87_186:
	s_mov_b64 s[42:43], 0
.LBB87_187:
	s_andn2_b64 vcc, exec, s[42:43]
	s_cbranch_vccnz .LBB87_195
; %bb.188:
	v_cndmask_b32_e64 v3, 0, 1.0, s[2:3]
	s_mov_b32 s42, 0x43800000
	v_cmp_gt_u32_e32 vcc, s42, v3
	v_mov_b32_e32 v4, 0x80
	s_and_saveexec_b64 s[42:43], vcc
	s_cbranch_execz .LBB87_194
; %bb.189:
	s_mov_b32 s50, 0x3bffffff
	v_cmp_lt_u32_e32 vcc, s50, v3
	s_mov_b64 s[50:51], 0
                                        ; implicit-def: $vgpr2
	s_and_saveexec_b64 s[54:55], vcc
	s_xor_b64 s[54:55], exec, s[54:55]
	s_cbranch_execz .LBB87_434
; %bb.190:
	v_bfe_u32 v2, v3, 20, 1
	s_mov_b32 s57, 0x487ffff
	v_add3_u32 v2, v3, v2, s57
	s_mov_b64 s[50:51], exec
	v_lshrrev_b32_e32 v2, 20, v2
                                        ; implicit-def: $vgpr3
	s_andn2_saveexec_b64 s[54:55], s[54:55]
	s_cbranch_execnz .LBB87_435
.LBB87_191:
	s_or_b64 exec, exec, s[54:55]
	v_mov_b32_e32 v4, 0
	s_and_saveexec_b64 s[54:55], s[50:51]
.LBB87_192:
	v_mov_b32_e32 v4, v2
.LBB87_193:
	s_or_b64 exec, exec, s[54:55]
.LBB87_194:
	s_or_b64 exec, exec, s[42:43]
	global_store_byte v[0:1], v4, off
.LBB87_195:
	s_mov_b64 s[42:43], -1
.LBB87_196:
	s_mov_b64 s[50:51], 0
.LBB87_197:
	s_and_b64 vcc, exec, s[50:51]
	s_cbranch_vccz .LBB87_238
; %bb.198:
	s_cmp_gt_i32 s56, 22
	s_mov_b64 s[50:51], -1
	s_cbranch_scc0 .LBB87_230
; %bb.199:
	s_cmp_lt_i32 s56, 24
	s_mov_b64 s[42:43], -1
	s_cbranch_scc1 .LBB87_219
; %bb.200:
	s_cmp_gt_i32 s56, 24
	s_cbranch_scc0 .LBB87_208
; %bb.201:
	v_cndmask_b32_e64 v3, 0, 1.0, s[2:3]
	s_mov_b32 s42, 0x47800000
	v_cmp_gt_u32_e32 vcc, s42, v3
	v_mov_b32_e32 v4, 0x80
	s_and_saveexec_b64 s[42:43], vcc
	s_cbranch_execz .LBB87_207
; %bb.202:
	s_mov_b32 s50, 0x37ffffff
	v_cmp_lt_u32_e32 vcc, s50, v3
	s_mov_b64 s[50:51], 0
                                        ; implicit-def: $vgpr2
	s_and_saveexec_b64 s[54:55], vcc
	s_xor_b64 s[54:55], exec, s[54:55]
	s_cbranch_execz .LBB87_553
; %bb.203:
	v_bfe_u32 v2, v3, 21, 1
	s_mov_b32 s57, 0x88fffff
	v_add3_u32 v2, v3, v2, s57
	s_mov_b64 s[50:51], exec
	v_lshrrev_b32_e32 v2, 21, v2
                                        ; implicit-def: $vgpr3
	s_andn2_saveexec_b64 s[54:55], s[54:55]
	s_cbranch_execnz .LBB87_554
.LBB87_204:
	s_or_b64 exec, exec, s[54:55]
	v_mov_b32_e32 v4, 0
	s_and_saveexec_b64 s[54:55], s[50:51]
.LBB87_205:
	v_mov_b32_e32 v4, v2
.LBB87_206:
	s_or_b64 exec, exec, s[54:55]
.LBB87_207:
	s_or_b64 exec, exec, s[42:43]
	s_mov_b64 s[42:43], 0
	global_store_byte v[0:1], v4, off
.LBB87_208:
	s_and_b64 vcc, exec, s[42:43]
	s_cbranch_vccz .LBB87_218
; %bb.209:
	v_cndmask_b32_e64 v2, 0, 1.0, s[2:3]
	s_mov_b32 s42, 0x43f00000
	v_cmp_gt_u32_e32 vcc, s42, v2
                                        ; implicit-def: $vgpr3
	s_and_saveexec_b64 s[42:43], vcc
	s_xor_b64 s[42:43], exec, s[42:43]
	s_cbranch_execz .LBB87_215
; %bb.210:
	s_mov_b32 s50, 0x3c7fffff
	v_cmp_lt_u32_e32 vcc, s50, v2
                                        ; implicit-def: $vgpr3
	s_and_saveexec_b64 s[50:51], vcc
	s_xor_b64 s[50:51], exec, s[50:51]
; %bb.211:
	v_bfe_u32 v3, v2, 20, 1
	s_mov_b32 s54, 0x407ffff
	v_add3_u32 v2, v2, v3, s54
	v_lshrrev_b32_e32 v3, 20, v2
	v_and_b32_e32 v2, 0xff00000, v2
	s_mov_b32 s54, 0x7f00000
	v_mov_b32_e32 v4, 0x7e
	v_cmp_ne_u32_e32 vcc, s54, v2
	v_cndmask_b32_e32 v3, v4, v3, vcc
                                        ; implicit-def: $vgpr2
; %bb.212:
	s_andn2_saveexec_b64 s[50:51], s[50:51]
; %bb.213:
	v_add_f32_e32 v3, 0x46800000, v2
; %bb.214:
	s_or_b64 exec, exec, s[50:51]
                                        ; implicit-def: $vgpr2
.LBB87_215:
	s_andn2_saveexec_b64 s[42:43], s[42:43]
; %bb.216:
	s_mov_b32 s50, 0x7f800000
	v_mov_b32_e32 v3, 0x7e
	v_mov_b32_e32 v4, 0x7f
	v_cmp_lt_u32_e32 vcc, s50, v2
	v_cndmask_b32_e32 v3, v3, v4, vcc
; %bb.217:
	s_or_b64 exec, exec, s[42:43]
	global_store_byte v[0:1], v3, off
.LBB87_218:
	s_mov_b64 s[42:43], 0
.LBB87_219:
	s_andn2_b64 vcc, exec, s[42:43]
	s_cbranch_vccnz .LBB87_229
; %bb.220:
	v_cndmask_b32_e64 v2, 0, 1.0, s[2:3]
	s_mov_b32 s42, 0x47800000
	v_cmp_gt_u32_e32 vcc, s42, v2
                                        ; implicit-def: $vgpr3
	s_and_saveexec_b64 s[42:43], vcc
	s_xor_b64 s[42:43], exec, s[42:43]
	s_cbranch_execz .LBB87_226
; %bb.221:
	s_mov_b32 s50, 0x387fffff
	v_cmp_lt_u32_e32 vcc, s50, v2
                                        ; implicit-def: $vgpr3
	s_and_saveexec_b64 s[50:51], vcc
	s_xor_b64 s[50:51], exec, s[50:51]
; %bb.222:
	v_bfe_u32 v3, v2, 21, 1
	s_mov_b32 s54, 0x80fffff
	v_add3_u32 v2, v2, v3, s54
	v_lshrrev_b32_e32 v3, 21, v2
                                        ; implicit-def: $vgpr2
; %bb.223:
	s_andn2_saveexec_b64 s[50:51], s[50:51]
; %bb.224:
	v_add_f32_e32 v3, 0x43000000, v2
; %bb.225:
	s_or_b64 exec, exec, s[50:51]
                                        ; implicit-def: $vgpr2
.LBB87_226:
	s_andn2_saveexec_b64 s[42:43], s[42:43]
; %bb.227:
	s_mov_b32 s50, 0x7f800000
	v_mov_b32_e32 v3, 0x7c
	v_mov_b32_e32 v4, 0x7f
	v_cmp_lt_u32_e32 vcc, s50, v2
	v_cndmask_b32_e32 v3, v3, v4, vcc
; %bb.228:
	s_or_b64 exec, exec, s[42:43]
	global_store_byte v[0:1], v3, off
.LBB87_229:
	s_mov_b64 s[50:51], 0
	s_mov_b64 s[42:43], -1
.LBB87_230:
	s_andn2_b64 vcc, exec, s[50:51]
	s_cbranch_vccnz .LBB87_238
; %bb.231:
	s_cmp_gt_i32 s56, 14
	s_mov_b64 s[50:51], -1
	s_cbranch_scc0 .LBB87_235
; %bb.232:
	s_cmp_eq_u32 s56, 15
	s_mov_b64 s[6:7], -1
	s_cbranch_scc0 .LBB87_234
; %bb.233:
	v_cndmask_b32_e64 v2, 0, 1.0, s[2:3]
	v_bfe_u32 v3, v2, 16, 1
	s_movk_i32 s6, 0x7fff
	v_add3_u32 v2, v2, v3, s6
	global_store_short_d16_hi v[0:1], v2, off
	s_mov_b64 s[42:43], -1
	s_mov_b64 s[6:7], 0
.LBB87_234:
	s_mov_b64 s[50:51], 0
.LBB87_235:
	s_and_b64 vcc, exec, s[50:51]
	s_cbranch_vccz .LBB87_238
; %bb.236:
	s_cmp_eq_u32 s56, 11
	s_mov_b64 s[6:7], -1
	s_cbranch_scc0 .LBB87_238
; %bb.237:
	v_cndmask_b32_e64 v2, 0, 1, s[2:3]
	s_mov_b64 s[42:43], -1
	s_mov_b64 s[6:7], 0
	global_store_byte v[0:1], v2, off
.LBB87_238:
	s_mov_b64 s[50:51], 0
.LBB87_239:
	s_and_b64 vcc, exec, s[50:51]
	s_cbranch_vccz .LBB87_278
; %bb.240:
	s_and_b32 s14, 0xffff, s14
	s_cmp_lt_i32 s14, 5
	s_mov_b64 s[42:43], -1
	s_cbranch_scc1 .LBB87_261
; %bb.241:
	s_cmp_lt_i32 s14, 8
	s_cbranch_scc1 .LBB87_251
; %bb.242:
	s_cmp_lt_i32 s14, 9
	s_cbranch_scc1 .LBB87_248
; %bb.243:
	s_cmp_gt_i32 s14, 9
	s_cbranch_scc0 .LBB87_245
; %bb.244:
	v_cndmask_b32_e64 v2, 0, 1, s[2:3]
	v_cvt_f64_u32_e32 v[2:3], v2
	v_mov_b32_e32 v4, 0
	v_mov_b32_e32 v5, v4
	s_mov_b64 s[42:43], 0
	global_store_dwordx4 v[0:1], v[2:5], off
.LBB87_245:
	s_andn2_b64 vcc, exec, s[42:43]
	s_cbranch_vccnz .LBB87_247
; %bb.246:
	v_cndmask_b32_e64 v2, 0, 1.0, s[2:3]
	v_mov_b32_e32 v3, 0
	global_store_dwordx2 v[0:1], v[2:3], off
.LBB87_247:
	s_mov_b64 s[42:43], 0
.LBB87_248:
	s_andn2_b64 vcc, exec, s[42:43]
	s_cbranch_vccnz .LBB87_250
; %bb.249:
	v_cndmask_b32_e64 v2, 0, 1.0, s[2:3]
	v_cvt_f16_f32_e32 v2, v2
	global_store_dword v[0:1], v2, off
.LBB87_250:
	s_mov_b64 s[42:43], 0
.LBB87_251:
	s_andn2_b64 vcc, exec, s[42:43]
	s_cbranch_vccnz .LBB87_260
; %bb.252:
	s_cmp_lt_i32 s14, 6
	s_mov_b64 s[42:43], -1
	s_cbranch_scc1 .LBB87_258
; %bb.253:
	s_cmp_gt_i32 s14, 6
	s_cbranch_scc0 .LBB87_255
; %bb.254:
	v_cndmask_b32_e64 v2, 0, 1, s[2:3]
	v_cvt_f64_u32_e32 v[2:3], v2
	s_mov_b64 s[42:43], 0
	global_store_dwordx2 v[0:1], v[2:3], off
.LBB87_255:
	s_andn2_b64 vcc, exec, s[42:43]
	s_cbranch_vccnz .LBB87_257
; %bb.256:
	v_cndmask_b32_e64 v2, 0, 1.0, s[2:3]
	global_store_dword v[0:1], v2, off
.LBB87_257:
	s_mov_b64 s[42:43], 0
.LBB87_258:
	s_andn2_b64 vcc, exec, s[42:43]
	s_cbranch_vccnz .LBB87_260
; %bb.259:
	v_cndmask_b32_e64 v2, 0, 1.0, s[2:3]
	v_cvt_f16_f32_e32 v2, v2
	global_store_short v[0:1], v2, off
.LBB87_260:
	s_mov_b64 s[42:43], 0
.LBB87_261:
	s_andn2_b64 vcc, exec, s[42:43]
	s_cbranch_vccnz .LBB87_277
; %bb.262:
	s_cmp_lt_i32 s14, 2
	s_mov_b64 s[42:43], -1
	s_cbranch_scc1 .LBB87_272
; %bb.263:
	s_cmp_lt_i32 s14, 3
	s_cbranch_scc1 .LBB87_269
; %bb.264:
	s_cmp_gt_i32 s14, 3
	s_cbranch_scc0 .LBB87_266
; %bb.265:
	s_mov_b32 s42, 0
	v_cndmask_b32_e64 v2, 0, 1, s[2:3]
	v_mov_b32_e32 v3, s42
	global_store_dwordx2 v[0:1], v[2:3], off
	s_mov_b64 s[42:43], 0
.LBB87_266:
	s_andn2_b64 vcc, exec, s[42:43]
	s_cbranch_vccnz .LBB87_268
; %bb.267:
	v_cndmask_b32_e64 v2, 0, 1, s[2:3]
	global_store_dword v[0:1], v2, off
.LBB87_268:
	s_mov_b64 s[42:43], 0
.LBB87_269:
	s_andn2_b64 vcc, exec, s[42:43]
	s_cbranch_vccnz .LBB87_271
; %bb.270:
	v_cndmask_b32_e64 v2, 0, 1, s[2:3]
	global_store_short v[0:1], v2, off
.LBB87_271:
	s_mov_b64 s[42:43], 0
.LBB87_272:
	s_andn2_b64 vcc, exec, s[42:43]
	s_cbranch_vccnz .LBB87_277
; %bb.273:
	s_cmp_gt_i32 s14, 0
	s_mov_b64 s[42:43], -1
	s_cbranch_scc0 .LBB87_275
; %bb.274:
	v_cndmask_b32_e64 v2, 0, 1, s[2:3]
	global_store_byte v[0:1], v2, off
	s_mov_b64 s[42:43], 0
.LBB87_275:
	s_andn2_b64 vcc, exec, s[42:43]
	s_cbranch_vccnz .LBB87_277
; %bb.276:
	v_cndmask_b32_e64 v2, 0, 1, s[2:3]
	global_store_byte v[0:1], v2, off
.LBB87_277:
	s_mov_b64 s[42:43], -1
.LBB87_278:
	s_andn2_b64 vcc, exec, s[42:43]
	s_cbranch_vccnz .LBB87_280
; %bb.279:
	v_add_u32_e32 v10, 0x80, v10
	s_mov_b64 s[2:3], -1
	s_branch .LBB87_393
.LBB87_280:
	s_mov_b64 s[2:3], 0
                                        ; implicit-def: $vgpr10
	s_branch .LBB87_393
.LBB87_281:
	s_mov_b64 s[44:45], -1
                                        ; implicit-def: $vgpr5_vgpr6
.LBB87_282:
	s_mov_b64 s[6:7], 0
.LBB87_283:
	s_and_b64 vcc, exec, s[6:7]
	s_cbranch_vccz .LBB87_287
; %bb.284:
	s_cmp_eq_u32 s50, 29
	s_cbranch_scc0 .LBB87_286
; %bb.285:
	global_load_dwordx2 v[5:6], v[3:4], off
	s_mov_b64 s[2:3], -1
	s_mov_b64 s[44:45], 0
	s_mov_b64 s[6:7], 0
	s_waitcnt vmcnt(0)
	v_cvt_f64_u32_e32 v[6:7], v6
	v_cvt_f64_u32_e32 v[8:9], v5
	v_ldexp_f64 v[6:7], v[6:7], 32
	v_add_f64 v[5:6], v[6:7], v[8:9]
	s_branch .LBB87_288
.LBB87_286:
	s_mov_b64 s[44:45], -1
                                        ; implicit-def: $vgpr5_vgpr6
.LBB87_287:
	s_mov_b64 s[6:7], 0
.LBB87_288:
	s_and_b64 vcc, exec, s[6:7]
	s_cbranch_vccz .LBB87_308
; %bb.289:
	s_cmp_lt_i32 s50, 27
	s_cbranch_scc1 .LBB87_292
; %bb.290:
	s_cmp_gt_i32 s50, 27
	s_cbranch_scc0 .LBB87_293
; %bb.291:
	global_load_dword v5, v[3:4], off
	s_mov_b64 s[2:3], 0
	s_waitcnt vmcnt(0)
	v_cvt_f64_u32_e32 v[5:6], v5
	s_branch .LBB87_294
.LBB87_292:
	s_mov_b64 s[2:3], -1
                                        ; implicit-def: $vgpr5_vgpr6
	s_branch .LBB87_297
.LBB87_293:
	s_mov_b64 s[2:3], -1
                                        ; implicit-def: $vgpr5_vgpr6
.LBB87_294:
	s_andn2_b64 vcc, exec, s[2:3]
	s_cbranch_vccnz .LBB87_296
; %bb.295:
	global_load_ushort v5, v[3:4], off
	s_waitcnt vmcnt(0)
	v_cvt_f64_u32_e32 v[5:6], v5
.LBB87_296:
	s_mov_b64 s[2:3], 0
.LBB87_297:
	s_andn2_b64 vcc, exec, s[2:3]
	s_cbranch_vccnz .LBB87_307
; %bb.298:
	global_load_ubyte v7, v[3:4], off
	s_movk_i32 s2, 0x7f
	s_waitcnt vmcnt(0)
	v_cmp_lt_i16_e32 vcc, s2, v7
	s_mov_b64 s[2:3], 0
	s_and_saveexec_b64 s[6:7], vcc
	s_xor_b64 s[6:7], exec, s[6:7]
	s_cbranch_execz .LBB87_302
; %bb.299:
	s_movk_i32 s2, 0x80
	v_cmp_eq_u16_e32 vcc, s2, v7
	s_mov_b64 s[2:3], -1
	s_and_saveexec_b64 s[42:43], vcc
; %bb.300:
	s_xor_b64 s[2:3], exec, -1
; %bb.301:
	s_or_b64 exec, exec, s[42:43]
	s_and_b64 s[2:3], s[2:3], exec
.LBB87_302:
	s_or_saveexec_b64 s[6:7], s[6:7]
	v_bfrev_b32_e32 v5, 4
	v_mov_b32_e32 v6, 0x7ff80000
	s_xor_b64 exec, exec, s[6:7]
; %bb.303:
	v_cmp_ne_u16_e32 vcc, 0, v7
	v_mov_b32_e32 v5, 0
	s_andn2_b64 s[2:3], s[2:3], exec
	s_and_b64 s[42:43], vcc, exec
	v_mov_b32_e32 v6, 0
	s_or_b64 s[2:3], s[2:3], s[42:43]
; %bb.304:
	s_or_b64 exec, exec, s[6:7]
	s_and_saveexec_b64 s[6:7], s[2:3]
	s_cbranch_execz .LBB87_306
; %bb.305:
	v_and_b32_e32 v6, 0xffff, v7
	v_lshlrev_b32_e32 v5, 24, v7
	v_and_b32_e32 v7, 7, v6
	v_ffbh_u32_e32 v9, v7
	v_min_u32_e32 v9, 32, v9
	v_subrev_u32_e32 v11, 28, v9
	v_bfe_u32 v8, v6, 3, 4
	v_lshlrev_b32_e32 v6, v11, v6
	v_sub_u32_e32 v9, 29, v9
	v_and_b32_e32 v6, 7, v6
	v_cmp_eq_u32_e32 vcc, 0, v8
	v_cndmask_b32_e32 v8, v8, v9, vcc
	v_cndmask_b32_e32 v6, v7, v6, vcc
	v_mov_b32_e32 v7, 0x3b800000
	v_lshlrev_b32_e32 v6, 20, v6
	v_and_b32_e32 v5, 0x80000000, v5
	v_lshl_add_u32 v7, v8, 23, v7
	v_or3_b32 v5, v5, v7, v6
	v_cvt_f64_f32_e32 v[5:6], v5
.LBB87_306:
	s_or_b64 exec, exec, s[6:7]
.LBB87_307:
	s_mov_b64 s[2:3], -1
.LBB87_308:
	s_mov_b64 s[6:7], 0
.LBB87_309:
	s_and_b64 vcc, exec, s[6:7]
	s_cbranch_vccz .LBB87_342
; %bb.310:
	s_cmp_gt_i32 s50, 22
	s_cbranch_scc0 .LBB87_322
; %bb.311:
	s_cmp_lt_i32 s50, 24
	s_cbranch_scc1 .LBB87_323
; %bb.312:
	s_cmp_gt_i32 s50, 24
	s_cbranch_scc0 .LBB87_324
; %bb.313:
	global_load_ubyte v7, v[3:4], off
	s_movk_i32 s2, 0x7f
	s_waitcnt vmcnt(0)
	v_cmp_lt_i16_e32 vcc, s2, v7
	s_mov_b64 s[2:3], 0
	s_and_saveexec_b64 s[6:7], vcc
	s_xor_b64 s[6:7], exec, s[6:7]
	s_cbranch_execz .LBB87_317
; %bb.314:
	s_movk_i32 s2, 0x80
	v_cmp_eq_u16_e32 vcc, s2, v7
	s_mov_b64 s[2:3], -1
	s_and_saveexec_b64 s[42:43], vcc
; %bb.315:
	s_xor_b64 s[2:3], exec, -1
; %bb.316:
	s_or_b64 exec, exec, s[42:43]
	s_and_b64 s[2:3], s[2:3], exec
.LBB87_317:
	s_or_saveexec_b64 s[6:7], s[6:7]
	v_bfrev_b32_e32 v5, 4
	v_mov_b32_e32 v6, 0x7ff80000
	s_xor_b64 exec, exec, s[6:7]
; %bb.318:
	v_cmp_ne_u16_e32 vcc, 0, v7
	v_mov_b32_e32 v5, 0
	s_andn2_b64 s[2:3], s[2:3], exec
	s_and_b64 s[42:43], vcc, exec
	v_mov_b32_e32 v6, 0
	s_or_b64 s[2:3], s[2:3], s[42:43]
; %bb.319:
	s_or_b64 exec, exec, s[6:7]
	s_and_saveexec_b64 s[6:7], s[2:3]
	s_cbranch_execz .LBB87_321
; %bb.320:
	v_and_b32_e32 v6, 0xffff, v7
	v_lshlrev_b32_e32 v5, 24, v7
	v_and_b32_e32 v7, 3, v6
	v_ffbh_u32_e32 v9, v7
	v_min_u32_e32 v9, 32, v9
	v_subrev_u32_e32 v11, 29, v9
	v_bfe_u32 v8, v6, 2, 5
	v_lshlrev_b32_e32 v6, v11, v6
	v_sub_u32_e32 v9, 30, v9
	v_and_b32_e32 v6, 3, v6
	v_cmp_eq_u32_e32 vcc, 0, v8
	v_cndmask_b32_e32 v8, v8, v9, vcc
	v_cndmask_b32_e32 v6, v7, v6, vcc
	v_mov_b32_e32 v7, 0x37800000
	v_lshlrev_b32_e32 v6, 21, v6
	v_and_b32_e32 v5, 0x80000000, v5
	v_lshl_add_u32 v7, v8, 23, v7
	v_or3_b32 v5, v5, v7, v6
	v_cvt_f64_f32_e32 v[5:6], v5
.LBB87_321:
	s_or_b64 exec, exec, s[6:7]
	s_mov_b64 s[2:3], 0
	s_branch .LBB87_325
.LBB87_322:
	s_mov_b64 s[6:7], -1
                                        ; implicit-def: $vgpr5_vgpr6
	s_branch .LBB87_331
.LBB87_323:
	s_mov_b64 s[2:3], -1
                                        ; implicit-def: $vgpr5_vgpr6
	s_branch .LBB87_328
.LBB87_324:
	s_mov_b64 s[2:3], -1
                                        ; implicit-def: $vgpr5_vgpr6
.LBB87_325:
	s_and_b64 vcc, exec, s[2:3]
	s_cbranch_vccz .LBB87_327
; %bb.326:
	global_load_ubyte v5, v[3:4], off
	s_mov_b32 s2, 0x7f800000
	s_waitcnt vmcnt(0)
	v_lshlrev_b32_e32 v5, 24, v5
	v_and_b32_e32 v6, 0x7f000000, v5
	v_ffbh_u32_e32 v7, v6
	v_min_u32_e32 v7, 32, v7
	v_sub_u32_e64 v7, v7, 4 clamp
	v_lshlrev_b32_e32 v9, v7, v6
	v_lshlrev_b32_e32 v7, 23, v7
	v_lshrrev_b32_e32 v9, 4, v9
	v_add_u32_e32 v8, 0x1000000, v6
	v_sub_u32_e32 v7, v9, v7
	v_ashrrev_i32_e32 v8, 8, v8
	v_add_u32_e32 v7, 0x3c000000, v7
	v_and_or_b32 v7, v8, s2, v7
	v_cmp_ne_u32_e32 vcc, 0, v6
	v_cndmask_b32_e32 v6, 0, v7, vcc
	s_brev_b32 s2, 1
	v_and_or_b32 v5, v5, s2, v6
	v_cvt_f64_f32_e32 v[5:6], v5
.LBB87_327:
	s_mov_b64 s[2:3], 0
.LBB87_328:
	s_andn2_b64 vcc, exec, s[2:3]
	s_cbranch_vccnz .LBB87_330
; %bb.329:
	global_load_ubyte v5, v[3:4], off
	s_movk_i32 s2, 0x7f00
	s_brev_b32 s3, 16
	s_waitcnt vmcnt(0)
	v_lshlrev_b16_e32 v6, 8, v5
	v_lshlrev_b32_e32 v5, 25, v5
	v_lshrrev_b32_e32 v7, 4, v5
	v_and_or_b32 v8, v6, s2, 0.5
	v_or_b32_e32 v7, 0x70000000, v7
	v_add_f32_e32 v8, -0.5, v8
	v_mul_f32_e32 v7, 0x7800000, v7
	v_cmp_gt_u32_e32 vcc, s3, v5
	v_bfe_i32 v6, v6, 0, 16
	v_cndmask_b32_e32 v5, v7, v8, vcc
	s_brev_b32 s2, 1
	v_and_or_b32 v5, v6, s2, v5
	v_cvt_f64_f32_e32 v[5:6], v5
.LBB87_330:
	s_mov_b64 s[6:7], 0
	s_mov_b64 s[2:3], -1
.LBB87_331:
	s_andn2_b64 vcc, exec, s[6:7]
	s_cbranch_vccnz .LBB87_342
; %bb.332:
	s_cmp_gt_i32 s50, 14
	s_cbranch_scc0 .LBB87_335
; %bb.333:
	s_cmp_eq_u32 s50, 15
	s_cbranch_scc0 .LBB87_336
; %bb.334:
	global_load_ushort v5, v[3:4], off
	s_mov_b64 s[2:3], -1
	s_mov_b64 s[44:45], 0
	s_waitcnt vmcnt(0)
	v_lshlrev_b32_e32 v5, 16, v5
	v_cvt_f64_f32_e32 v[5:6], v5
	s_branch .LBB87_337
.LBB87_335:
	s_mov_b64 s[6:7], -1
                                        ; implicit-def: $vgpr5_vgpr6
	s_branch .LBB87_338
.LBB87_336:
	s_mov_b64 s[44:45], -1
                                        ; implicit-def: $vgpr5_vgpr6
.LBB87_337:
	s_mov_b64 s[6:7], 0
.LBB87_338:
	s_and_b64 vcc, exec, s[6:7]
	s_cbranch_vccz .LBB87_342
; %bb.339:
	s_cmp_eq_u32 s50, 11
	s_cbranch_scc0 .LBB87_341
; %bb.340:
	global_load_ubyte v6, v[3:4], off
	v_mov_b32_e32 v7, 0x3ff00000
	v_mov_b32_e32 v5, 0
	s_mov_b64 s[2:3], -1
	s_mov_b64 s[44:45], 0
	s_waitcnt vmcnt(0)
	v_cmp_ne_u16_e32 vcc, 0, v6
	v_cndmask_b32_e32 v6, 0, v7, vcc
	s_branch .LBB87_342
.LBB87_341:
	s_mov_b64 s[44:45], -1
                                        ; implicit-def: $vgpr5_vgpr6
.LBB87_342:
	s_branch .LBB87_31
.LBB87_343:
	s_and_b32 s6, 0xffff, s14
	s_cmp_lt_i32 s6, 5
	s_cbranch_scc1 .LBB87_348
; %bb.344:
	s_cmp_lt_i32 s6, 8
	s_cbranch_scc1 .LBB87_349
; %bb.345:
	;; [unrolled: 3-line block ×3, first 2 shown]
	s_cmp_gt_i32 s6, 9
	s_cbranch_scc0 .LBB87_351
; %bb.347:
	global_load_dwordx2 v[5:6], v[3:4], off
	s_mov_b64 s[2:3], 0
	s_branch .LBB87_352
.LBB87_348:
	s_mov_b64 s[2:3], -1
                                        ; implicit-def: $vgpr5_vgpr6
	s_branch .LBB87_370
.LBB87_349:
	s_mov_b64 s[2:3], -1
                                        ; implicit-def: $vgpr5_vgpr6
	s_branch .LBB87_358
.LBB87_350:
	s_mov_b64 s[2:3], -1
                                        ; implicit-def: $vgpr5_vgpr6
	s_branch .LBB87_355
.LBB87_351:
	s_mov_b64 s[2:3], -1
                                        ; implicit-def: $vgpr5_vgpr6
.LBB87_352:
	s_andn2_b64 vcc, exec, s[2:3]
	s_cbranch_vccnz .LBB87_354
; %bb.353:
	global_load_dword v5, v[3:4], off
	s_waitcnt vmcnt(0)
	v_cvt_f64_f32_e32 v[5:6], v5
.LBB87_354:
	s_mov_b64 s[2:3], 0
.LBB87_355:
	s_andn2_b64 vcc, exec, s[2:3]
	s_cbranch_vccnz .LBB87_357
; %bb.356:
	global_load_dword v5, v[3:4], off
	s_waitcnt vmcnt(0)
	v_cvt_f32_f16_e32 v5, v5
	v_cvt_f64_f32_e32 v[5:6], v5
.LBB87_357:
	s_mov_b64 s[2:3], 0
.LBB87_358:
	s_andn2_b64 vcc, exec, s[2:3]
	s_cbranch_vccnz .LBB87_369
; %bb.359:
	s_cmp_lt_i32 s6, 6
	s_cbranch_scc1 .LBB87_362
; %bb.360:
	s_cmp_gt_i32 s6, 6
	s_cbranch_scc0 .LBB87_363
; %bb.361:
	global_load_dwordx2 v[5:6], v[3:4], off
	s_mov_b64 s[2:3], 0
	s_branch .LBB87_364
.LBB87_362:
	s_mov_b64 s[2:3], -1
                                        ; implicit-def: $vgpr5_vgpr6
	s_branch .LBB87_367
.LBB87_363:
	s_mov_b64 s[2:3], -1
                                        ; implicit-def: $vgpr5_vgpr6
.LBB87_364:
	s_andn2_b64 vcc, exec, s[2:3]
	s_cbranch_vccnz .LBB87_366
; %bb.365:
	global_load_dword v5, v[3:4], off
	s_waitcnt vmcnt(0)
	v_cvt_f64_f32_e32 v[5:6], v5
.LBB87_366:
	s_mov_b64 s[2:3], 0
.LBB87_367:
	s_andn2_b64 vcc, exec, s[2:3]
	s_cbranch_vccnz .LBB87_369
; %bb.368:
	global_load_ushort v5, v[3:4], off
	s_waitcnt vmcnt(0)
	v_cvt_f32_f16_e32 v5, v5
	v_cvt_f64_f32_e32 v[5:6], v5
.LBB87_369:
	s_mov_b64 s[2:3], 0
.LBB87_370:
	s_andn2_b64 vcc, exec, s[2:3]
	s_cbranch_vccnz .LBB87_390
; %bb.371:
	s_cmp_lt_i32 s6, 2
	s_cbranch_scc1 .LBB87_375
; %bb.372:
	s_cmp_lt_i32 s6, 3
	s_cbranch_scc1 .LBB87_376
; %bb.373:
	s_cmp_gt_i32 s6, 3
	s_cbranch_scc0 .LBB87_377
; %bb.374:
	global_load_dwordx2 v[5:6], v[3:4], off
	s_mov_b64 s[2:3], 0
	s_waitcnt vmcnt(0)
	v_cvt_f64_i32_e32 v[6:7], v6
	v_cvt_f64_u32_e32 v[8:9], v5
	v_ldexp_f64 v[6:7], v[6:7], 32
	v_add_f64 v[5:6], v[6:7], v[8:9]
	s_branch .LBB87_378
.LBB87_375:
	s_mov_b64 s[2:3], -1
                                        ; implicit-def: $vgpr5_vgpr6
	s_branch .LBB87_384
.LBB87_376:
	s_mov_b64 s[2:3], -1
                                        ; implicit-def: $vgpr5_vgpr6
	s_branch .LBB87_381
.LBB87_377:
	s_mov_b64 s[2:3], -1
                                        ; implicit-def: $vgpr5_vgpr6
.LBB87_378:
	s_andn2_b64 vcc, exec, s[2:3]
	s_cbranch_vccnz .LBB87_380
; %bb.379:
	global_load_dword v5, v[3:4], off
	s_waitcnt vmcnt(0)
	v_cvt_f64_i32_e32 v[5:6], v5
.LBB87_380:
	s_mov_b64 s[2:3], 0
.LBB87_381:
	s_andn2_b64 vcc, exec, s[2:3]
	s_cbranch_vccnz .LBB87_383
; %bb.382:
	global_load_sshort v5, v[3:4], off
	s_waitcnt vmcnt(0)
	v_cvt_f64_i32_e32 v[5:6], v5
.LBB87_383:
	s_mov_b64 s[2:3], 0
.LBB87_384:
	s_andn2_b64 vcc, exec, s[2:3]
	s_cbranch_vccnz .LBB87_390
; %bb.385:
	s_cmp_gt_i32 s6, 0
	s_cbranch_scc0 .LBB87_387
; %bb.386:
	global_load_sbyte v5, v[3:4], off
	s_mov_b64 s[2:3], 0
	s_waitcnt vmcnt(0)
	v_cvt_f64_i32_e32 v[5:6], v5
	s_branch .LBB87_388
.LBB87_387:
	s_mov_b64 s[2:3], -1
                                        ; implicit-def: $vgpr5_vgpr6
.LBB87_388:
	s_andn2_b64 vcc, exec, s[2:3]
	s_cbranch_vccnz .LBB87_390
; %bb.389:
	global_load_ubyte v3, v[3:4], off
	s_waitcnt vmcnt(0)
	v_cvt_f64_u32_e32 v[5:6], v3
.LBB87_390:
	s_branch .LBB87_32
.LBB87_391:
	s_mov_b64 s[6:7], 0
.LBB87_392:
                                        ; implicit-def: $vgpr10
	s_mov_b64 s[2:3], 0
.LBB87_393:
	s_and_b64 s[42:43], s[6:7], exec
	s_and_b64 s[44:45], s[44:45], exec
	;; [unrolled: 1-line block ×3, first 2 shown]
	s_orn2_b64 s[2:3], s[2:3], exec
.LBB87_394:
	s_or_b64 exec, exec, s[48:49]
	s_mov_b64 s[56:57], 0
	s_mov_b64 s[54:55], 0
                                        ; implicit-def: $sgpr14
                                        ; implicit-def: $vgpr4_vgpr5
                                        ; implicit-def: $vgpr0
                                        ; implicit-def: $vgpr3
                                        ; implicit-def: $vgpr1_vgpr2
	s_and_saveexec_b64 s[48:49], s[2:3]
	s_cbranch_execz .LBB87_402
; %bb.395:
	v_cmp_gt_i32_e32 vcc, s70, v10
	s_mov_b64 s[2:3], -1
	s_mov_b64 s[50:51], s[46:47]
	s_mov_b64 s[52:53], s[44:45]
	;; [unrolled: 1-line block ×3, first 2 shown]
	s_and_saveexec_b64 s[56:57], vcc
	s_cbranch_execz .LBB87_795
; %bb.396:
	s_andn2_b64 vcc, exec, s[28:29]
	s_cbranch_vccnz .LBB87_405
; %bb.397:
	s_andn2_b64 vcc, exec, s[40:41]
	s_cbranch_vccnz .LBB87_406
; %bb.398:
	s_add_i32 s2, s75, 1
	s_and_b32 s6, s2, 30
	s_add_u32 s2, s24, 0xffffffe8
	s_addc_u32 s3, s25, -1
	v_mov_b32_e32 v3, 0
	s_waitcnt vmcnt(0)
	v_mov_b32_e32 v5, 0
	v_mov_b32_e32 v0, 0
	;; [unrolled: 1-line block ×3, first 2 shown]
.LBB87_399:                             ; =>This Inner Loop Header: Depth=1
	s_load_dwordx4 s[52:55], s[2:3], 0x1c
	s_load_dwordx2 s[50:51], s[2:3], 0x2c
	s_load_dwordx2 s[58:59], s[2:3], 0xec
	s_load_dwordx4 s[60:63], s[2:3], 0xdc
	s_add_u32 s2, s2, 24
	s_waitcnt lgkmcnt(0)
	v_mul_hi_u32 v2, s53, v1
	s_addc_u32 s3, s3, 0
	s_add_i32 s6, s6, -2
	s_cmp_eq_u32 s6, 0
	v_add_u32_e32 v2, v1, v2
	v_lshrrev_b32_e32 v2, s54, v2
	v_mul_lo_u32 v4, v2, s52
	v_mul_hi_u32 v6, s50, v2
	v_sub_u32_e32 v4, v1, v4
	v_add_u32_e32 v1, v2, v6
	v_lshrrev_b32_e32 v1, s51, v1
	v_mul_lo_u32 v8, v1, s55
	v_mul_lo_u32 v6, v4, s60
	;; [unrolled: 1-line block ×4, first 2 shown]
	v_sub_u32_e32 v2, v2, v8
	v_mul_lo_u32 v8, v2, s63
	v_mul_lo_u32 v9, v2, s58
	;; [unrolled: 1-line block ×3, first 2 shown]
	v_add3_u32 v0, v6, v0, v8
	v_add3_u32 v5, v7, v5, v9
	;; [unrolled: 1-line block ×3, first 2 shown]
	s_cbranch_scc0 .LBB87_399
; %bb.400:
	s_bitcmp1_b32 s75, 0
	s_cselect_b64 s[6:7], -1, 0
	s_and_b64 vcc, exec, s[6:7]
	s_cbranch_vccnz .LBB87_407
; %bb.401:
	s_load_dwordx2 s[6:7], s[2:3], 0x1c
	s_load_dword s14, s[2:3], 0x24
	s_load_dwordx2 s[50:51], s[2:3], 0xdc
	s_waitcnt lgkmcnt(0)
	v_mul_hi_u32 v2, s7, v1
	v_add_u32_e32 v2, v1, v2
	v_lshrrev_b32_e32 v2, s14, v2
	v_mul_lo_u32 v2, v2, s6
	s_load_dword s6, s[2:3], 0xe4
	v_sub_u32_e32 v2, v1, v2
	v_mad_u64_u32 v[0:1], s[2:3], v2, s50, v[0:1]
	v_mad_u64_u32 v[5:6], s[2:3], v2, s51, v[5:6]
	s_waitcnt lgkmcnt(0)
	v_mad_u64_u32 v[3:4], s[2:3], v2, s6, v[3:4]
	s_branch .LBB87_407
.LBB87_402:
	s_or_b64 exec, exec, s[48:49]
	s_mov_b64 s[2:3], 0
	s_and_saveexec_b64 s[6:7], s[46:47]
	s_cbranch_execnz .LBB87_1293
.LBB87_403:
	s_or_b64 exec, exec, s[6:7]
	s_and_saveexec_b64 s[6:7], s[52:53]
	s_xor_b64 s[6:7], exec, s[6:7]
	s_cbranch_execz .LBB87_1294
.LBB87_404:
	s_waitcnt vmcnt(0)
	global_load_ubyte v2, v[4:5], off
	v_mov_b32_e32 v6, 0x3ff00000
	v_mov_b32_e32 v1, 0
	s_or_b64 s[54:55], s[54:55], exec
	s_waitcnt vmcnt(0)
	v_cmp_ne_u16_e32 vcc, 0, v2
	v_cndmask_b32_e32 v2, 0, v6, vcc
	s_or_b64 exec, exec, s[6:7]
	s_and_saveexec_b64 s[6:7], s[56:57]
	s_cbranch_execz .LBB87_1340
	s_branch .LBB87_1295
.LBB87_405:
                                        ; implicit-def: $vgpr0
                                        ; implicit-def: $vgpr5
                                        ; implicit-def: $vgpr3
	s_andn2_b64 vcc, exec, s[2:3]
	s_cbranch_vccz .LBB87_408
	s_branch .LBB87_410
.LBB87_406:
	v_mov_b32_e32 v0, 0
	s_waitcnt vmcnt(0)
	v_mov_b32_e32 v5, 0
	v_mov_b32_e32 v3, 0
.LBB87_407:
	s_cbranch_execnz .LBB87_410
.LBB87_408:
	v_mul_hi_u32 v0, s17, v10
	s_andn2_b64 vcc, exec, s[38:39]
	v_add_u32_e32 v0, v10, v0
	s_waitcnt vmcnt(0)
	v_lshrrev_b32_e32 v1, s18, v0
	v_mul_lo_u32 v0, v1, s16
	v_sub_u32_e32 v2, v10, v0
	v_mul_lo_u32 v0, v2, s20
	v_mul_lo_u32 v5, v2, s21
	;; [unrolled: 1-line block ×3, first 2 shown]
	s_cbranch_vccnz .LBB87_410
; %bb.409:
	v_mul_hi_u32 v2, s36, v1
	v_add_u32_e32 v2, v1, v2
	v_lshrrev_b32_e32 v2, s37, v2
	v_mul_lo_u32 v2, v2, s19
	v_sub_u32_e32 v2, v1, v2
	v_mad_u64_u32 v[0:1], s[2:3], v2, s23, v[0:1]
	v_mad_u64_u32 v[5:6], s[2:3], v2, s34, v[5:6]
	;; [unrolled: 1-line block ×3, first 2 shown]
.LBB87_410:
	s_waitcnt vmcnt(0)
	v_mov_b32_e32 v1, s11
	s_and_b32 s14, s74, 0xff
	v_add_co_u32_e32 v4, vcc, s10, v5
	s_cmp_lt_i32 s14, 11
	v_addc_co_u32_e32 v5, vcc, 0, v1, vcc
	s_cbranch_scc1 .LBB87_417
; %bb.411:
	s_and_b32 s54, 0xffff, s14
	s_cmp_gt_i32 s54, 25
	s_cbranch_scc0 .LBB87_426
; %bb.412:
	s_cmp_gt_i32 s54, 28
	s_cbranch_scc0 .LBB87_428
; %bb.413:
	s_cmp_gt_i32 s54, 43
	s_cbranch_scc0 .LBB87_430
; %bb.414:
	s_cmp_gt_i32 s54, 45
	s_cbranch_scc0 .LBB87_432
; %bb.415:
	s_cmp_eq_u32 s54, 46
	s_mov_b64 s[6:7], 0
	s_cbranch_scc0 .LBB87_436
; %bb.416:
	global_load_dword v1, v[4:5], off
	s_mov_b64 s[2:3], -1
	s_mov_b64 s[50:51], 0
	s_waitcnt vmcnt(0)
	v_lshlrev_b32_e32 v1, 16, v1
	v_cvt_f64_f32_e32 v[1:2], v1
	s_branch .LBB87_437
.LBB87_417:
	s_mov_b64 s[2:3], 0
                                        ; implicit-def: $vgpr1_vgpr2
	s_mov_b64 s[50:51], s[46:47]
	s_cbranch_execnz .LBB87_503
.LBB87_418:
	s_andn2_b64 vcc, exec, s[2:3]
	s_cbranch_vccnz .LBB87_551
.LBB87_419:
	v_mov_b32_e32 v4, s13
	s_and_b32 s14, s73, 0xff
	v_add_co_u32_e32 v3, vcc, s12, v3
	s_cmp_lt_i32 s14, 11
	v_addc_co_u32_e32 v4, vcc, 0, v4, vcc
	s_cbranch_scc1 .LBB87_427
; %bb.420:
	s_and_b32 s58, 0xffff, s14
	s_cmp_gt_i32 s58, 25
	s_cbranch_scc0 .LBB87_429
; %bb.421:
	s_cmp_gt_i32 s58, 28
	s_cbranch_scc0 .LBB87_431
; %bb.422:
	;; [unrolled: 3-line block ×4, first 2 shown]
	s_cmp_eq_u32 s58, 46
	s_mov_b64 s[6:7], 0
	s_cbranch_scc0 .LBB87_555
; %bb.425:
	global_load_dword v5, v[3:4], off
	s_mov_b64 s[2:3], -1
	s_mov_b64 s[52:53], 0
	s_waitcnt vmcnt(0)
	v_lshlrev_b32_e32 v5, 16, v5
	v_cvt_f64_f32_e32 v[5:6], v5
	s_branch .LBB87_556
.LBB87_426:
	s_mov_b64 s[6:7], -1
	s_mov_b64 s[2:3], 0
	s_mov_b64 s[50:51], s[46:47]
                                        ; implicit-def: $vgpr1_vgpr2
	s_branch .LBB87_469
.LBB87_427:
	s_mov_b64 s[6:7], -1
	s_mov_b64 s[2:3], 0
                                        ; implicit-def: $vgpr5_vgpr6
	s_mov_b64 s[52:53], s[44:45]
	s_branch .LBB87_621
.LBB87_428:
	s_mov_b64 s[6:7], -1
	s_mov_b64 s[2:3], 0
	s_mov_b64 s[50:51], s[46:47]
                                        ; implicit-def: $vgpr1_vgpr2
	s_branch .LBB87_448
.LBB87_429:
	s_mov_b64 s[6:7], -1
	s_mov_b64 s[2:3], 0
	s_mov_b64 s[52:53], s[44:45]
                                        ; implicit-def: $vgpr5_vgpr6
	s_branch .LBB87_587
.LBB87_430:
	s_mov_b64 s[6:7], -1
	s_mov_b64 s[2:3], 0
	s_mov_b64 s[50:51], s[46:47]
                                        ; implicit-def: $vgpr1_vgpr2
	s_branch .LBB87_443
.LBB87_431:
	s_mov_b64 s[6:7], -1
	s_mov_b64 s[2:3], 0
	s_mov_b64 s[52:53], s[44:45]
                                        ; implicit-def: $vgpr5_vgpr6
	s_branch .LBB87_566
.LBB87_432:
	s_mov_b64 s[6:7], -1
	s_mov_b64 s[2:3], 0
	s_mov_b64 s[50:51], s[46:47]
                                        ; implicit-def: $vgpr1_vgpr2
	s_branch .LBB87_437
.LBB87_433:
	s_mov_b64 s[6:7], -1
	s_mov_b64 s[2:3], 0
	s_mov_b64 s[52:53], s[44:45]
                                        ; implicit-def: $vgpr5_vgpr6
	s_branch .LBB87_561
.LBB87_434:
	s_andn2_saveexec_b64 s[54:55], s[54:55]
	s_cbranch_execz .LBB87_191
.LBB87_435:
	v_add_f32_e32 v2, 0x46000000, v3
	v_and_b32_e32 v2, 0xff, v2
	v_cmp_ne_u32_e32 vcc, 0, v2
	s_andn2_b64 s[50:51], s[50:51], exec
	s_and_b64 s[58:59], vcc, exec
	s_or_b64 s[50:51], s[50:51], s[58:59]
	s_or_b64 exec, exec, s[54:55]
	v_mov_b32_e32 v4, 0
	s_and_saveexec_b64 s[54:55], s[50:51]
	s_cbranch_execnz .LBB87_192
	s_branch .LBB87_193
.LBB87_436:
	s_mov_b64 s[50:51], -1
                                        ; implicit-def: $vgpr1_vgpr2
	s_mov_b64 s[2:3], 0
.LBB87_437:
	s_and_b64 vcc, exec, s[6:7]
	s_cbranch_vccz .LBB87_442
; %bb.438:
	s_cmp_eq_u32 s54, 44
	s_cbranch_scc0 .LBB87_441
; %bb.439:
	global_load_ubyte v6, v[4:5], off
	s_movk_i32 s6, 0xff
	v_bfrev_b32_e32 v7, 4
	v_mov_b32_e32 v8, 0x7ff80000
	v_bfrev_b32_e32 v9, 28
	s_mov_b64 s[2:3], -1
	s_mov_b64 s[50:51], 0
	s_waitcnt vmcnt(0)
	v_lshlrev_b32_e32 v1, 23, v6
	v_cvt_f64_f32_e32 v[1:2], v1
	v_cmp_ne_u32_e32 vcc, s6, v6
	v_cndmask_b32_e32 v1, v7, v1, vcc
	v_cndmask_b32_e32 v2, v8, v2, vcc
	v_cmp_ne_u32_e32 vcc, 0, v6
	v_cndmask_b32_e32 v2, v9, v2, vcc
	v_cndmask_b32_e32 v1, 0, v1, vcc
	s_branch .LBB87_442
.LBB87_440:
	s_mov_b64 s[6:7], -1
	s_mov_b64 s[2:3], 0
	s_mov_b64 s[52:53], s[44:45]
                                        ; implicit-def: $vgpr5_vgpr6
	s_branch .LBB87_556
.LBB87_441:
	s_mov_b64 s[50:51], -1
                                        ; implicit-def: $vgpr1_vgpr2
.LBB87_442:
	s_mov_b64 s[6:7], 0
.LBB87_443:
	s_and_b64 vcc, exec, s[6:7]
	s_cbranch_vccz .LBB87_447
; %bb.444:
	s_cmp_eq_u32 s54, 29
	s_cbranch_scc0 .LBB87_446
; %bb.445:
	global_load_dwordx2 v[1:2], v[4:5], off
	s_mov_b64 s[2:3], -1
	s_mov_b64 s[50:51], 0
	s_mov_b64 s[6:7], 0
	s_waitcnt vmcnt(0)
	v_cvt_f64_u32_e32 v[6:7], v2
	v_cvt_f64_u32_e32 v[1:2], v1
	v_ldexp_f64 v[6:7], v[6:7], 32
	v_add_f64 v[1:2], v[6:7], v[1:2]
	s_branch .LBB87_448
.LBB87_446:
	s_mov_b64 s[50:51], -1
                                        ; implicit-def: $vgpr1_vgpr2
.LBB87_447:
	s_mov_b64 s[6:7], 0
.LBB87_448:
	s_and_b64 vcc, exec, s[6:7]
	s_cbranch_vccz .LBB87_468
; %bb.449:
	s_cmp_lt_i32 s54, 27
	s_cbranch_scc1 .LBB87_452
; %bb.450:
	s_cmp_gt_i32 s54, 27
	s_cbranch_scc0 .LBB87_453
; %bb.451:
	global_load_dword v1, v[4:5], off
	s_mov_b64 s[2:3], 0
	s_waitcnt vmcnt(0)
	v_cvt_f64_u32_e32 v[1:2], v1
	s_branch .LBB87_454
.LBB87_452:
	s_mov_b64 s[2:3], -1
                                        ; implicit-def: $vgpr1_vgpr2
	s_branch .LBB87_457
.LBB87_453:
	s_mov_b64 s[2:3], -1
                                        ; implicit-def: $vgpr1_vgpr2
.LBB87_454:
	s_andn2_b64 vcc, exec, s[2:3]
	s_cbranch_vccnz .LBB87_456
; %bb.455:
	global_load_ushort v1, v[4:5], off
	s_waitcnt vmcnt(0)
	v_cvt_f64_u32_e32 v[1:2], v1
.LBB87_456:
	s_mov_b64 s[2:3], 0
.LBB87_457:
	s_andn2_b64 vcc, exec, s[2:3]
	s_cbranch_vccnz .LBB87_467
; %bb.458:
	global_load_ubyte v6, v[4:5], off
	s_movk_i32 s2, 0x7f
	s_waitcnt vmcnt(0)
	v_cmp_lt_i16_e32 vcc, s2, v6
	s_mov_b64 s[2:3], 0
	s_and_saveexec_b64 s[6:7], vcc
	s_xor_b64 s[6:7], exec, s[6:7]
	s_cbranch_execz .LBB87_462
; %bb.459:
	s_movk_i32 s2, 0x80
	v_cmp_eq_u16_e32 vcc, s2, v6
	s_mov_b64 s[2:3], -1
	s_and_saveexec_b64 s[52:53], vcc
; %bb.460:
	s_xor_b64 s[2:3], exec, -1
; %bb.461:
	s_or_b64 exec, exec, s[52:53]
	s_and_b64 s[2:3], s[2:3], exec
.LBB87_462:
	s_or_saveexec_b64 s[6:7], s[6:7]
	v_bfrev_b32_e32 v1, 4
	v_mov_b32_e32 v2, 0x7ff80000
	s_xor_b64 exec, exec, s[6:7]
; %bb.463:
	v_cmp_ne_u16_e32 vcc, 0, v6
	v_mov_b32_e32 v1, 0
	s_andn2_b64 s[2:3], s[2:3], exec
	s_and_b64 s[52:53], vcc, exec
	v_mov_b32_e32 v2, 0
	s_or_b64 s[2:3], s[2:3], s[52:53]
; %bb.464:
	s_or_b64 exec, exec, s[6:7]
	s_and_saveexec_b64 s[6:7], s[2:3]
	s_cbranch_execz .LBB87_466
; %bb.465:
	v_and_b32_e32 v2, 0xffff, v6
	v_lshlrev_b32_e32 v1, 24, v6
	v_and_b32_e32 v6, 7, v2
	v_ffbh_u32_e32 v8, v6
	v_min_u32_e32 v8, 32, v8
	v_subrev_u32_e32 v9, 28, v8
	v_bfe_u32 v7, v2, 3, 4
	v_lshlrev_b32_e32 v2, v9, v2
	v_sub_u32_e32 v8, 29, v8
	v_and_b32_e32 v2, 7, v2
	v_cmp_eq_u32_e32 vcc, 0, v7
	v_cndmask_b32_e32 v7, v7, v8, vcc
	v_cndmask_b32_e32 v2, v6, v2, vcc
	v_mov_b32_e32 v6, 0x3b800000
	v_lshlrev_b32_e32 v2, 20, v2
	v_and_b32_e32 v1, 0x80000000, v1
	v_lshl_add_u32 v6, v7, 23, v6
	v_or3_b32 v1, v1, v6, v2
	v_cvt_f64_f32_e32 v[1:2], v1
.LBB87_466:
	s_or_b64 exec, exec, s[6:7]
.LBB87_467:
	s_mov_b64 s[2:3], -1
.LBB87_468:
	s_mov_b64 s[6:7], 0
.LBB87_469:
	s_and_b64 vcc, exec, s[6:7]
	s_cbranch_vccz .LBB87_502
; %bb.470:
	s_cmp_gt_i32 s54, 22
	s_cbranch_scc0 .LBB87_482
; %bb.471:
	s_cmp_lt_i32 s54, 24
	s_cbranch_scc1 .LBB87_483
; %bb.472:
	s_cmp_gt_i32 s54, 24
	s_cbranch_scc0 .LBB87_484
; %bb.473:
	global_load_ubyte v6, v[4:5], off
	s_movk_i32 s2, 0x7f
	s_waitcnt vmcnt(0)
	v_cmp_lt_i16_e32 vcc, s2, v6
	s_mov_b64 s[2:3], 0
	s_and_saveexec_b64 s[6:7], vcc
	s_xor_b64 s[6:7], exec, s[6:7]
	s_cbranch_execz .LBB87_477
; %bb.474:
	s_movk_i32 s2, 0x80
	v_cmp_eq_u16_e32 vcc, s2, v6
	s_mov_b64 s[2:3], -1
	s_and_saveexec_b64 s[52:53], vcc
; %bb.475:
	s_xor_b64 s[2:3], exec, -1
; %bb.476:
	s_or_b64 exec, exec, s[52:53]
	s_and_b64 s[2:3], s[2:3], exec
.LBB87_477:
	s_or_saveexec_b64 s[6:7], s[6:7]
	v_bfrev_b32_e32 v1, 4
	v_mov_b32_e32 v2, 0x7ff80000
	s_xor_b64 exec, exec, s[6:7]
; %bb.478:
	v_cmp_ne_u16_e32 vcc, 0, v6
	v_mov_b32_e32 v1, 0
	s_andn2_b64 s[2:3], s[2:3], exec
	s_and_b64 s[52:53], vcc, exec
	v_mov_b32_e32 v2, 0
	s_or_b64 s[2:3], s[2:3], s[52:53]
; %bb.479:
	s_or_b64 exec, exec, s[6:7]
	s_and_saveexec_b64 s[6:7], s[2:3]
	s_cbranch_execz .LBB87_481
; %bb.480:
	v_and_b32_e32 v2, 0xffff, v6
	v_lshlrev_b32_e32 v1, 24, v6
	v_and_b32_e32 v6, 3, v2
	v_ffbh_u32_e32 v8, v6
	v_min_u32_e32 v8, 32, v8
	v_subrev_u32_e32 v9, 29, v8
	v_bfe_u32 v7, v2, 2, 5
	v_lshlrev_b32_e32 v2, v9, v2
	v_sub_u32_e32 v8, 30, v8
	v_and_b32_e32 v2, 3, v2
	v_cmp_eq_u32_e32 vcc, 0, v7
	v_cndmask_b32_e32 v7, v7, v8, vcc
	v_cndmask_b32_e32 v2, v6, v2, vcc
	v_mov_b32_e32 v6, 0x37800000
	v_lshlrev_b32_e32 v2, 21, v2
	v_and_b32_e32 v1, 0x80000000, v1
	v_lshl_add_u32 v6, v7, 23, v6
	v_or3_b32 v1, v1, v6, v2
	v_cvt_f64_f32_e32 v[1:2], v1
.LBB87_481:
	s_or_b64 exec, exec, s[6:7]
	s_mov_b64 s[2:3], 0
	s_branch .LBB87_485
.LBB87_482:
	s_mov_b64 s[6:7], -1
                                        ; implicit-def: $vgpr1_vgpr2
	s_branch .LBB87_491
.LBB87_483:
	s_mov_b64 s[2:3], -1
                                        ; implicit-def: $vgpr1_vgpr2
	s_branch .LBB87_488
.LBB87_484:
	s_mov_b64 s[2:3], -1
                                        ; implicit-def: $vgpr1_vgpr2
.LBB87_485:
	s_and_b64 vcc, exec, s[2:3]
	s_cbranch_vccz .LBB87_487
; %bb.486:
	global_load_ubyte v1, v[4:5], off
	s_mov_b32 s2, 0x7f800000
	s_waitcnt vmcnt(0)
	v_lshlrev_b32_e32 v1, 24, v1
	v_and_b32_e32 v2, 0x7f000000, v1
	v_ffbh_u32_e32 v6, v2
	v_min_u32_e32 v6, 32, v6
	v_sub_u32_e64 v6, v6, 4 clamp
	v_lshlrev_b32_e32 v8, v6, v2
	v_lshlrev_b32_e32 v6, 23, v6
	v_lshrrev_b32_e32 v8, 4, v8
	v_add_u32_e32 v7, 0x1000000, v2
	v_sub_u32_e32 v6, v8, v6
	v_ashrrev_i32_e32 v7, 8, v7
	v_add_u32_e32 v6, 0x3c000000, v6
	v_and_or_b32 v6, v7, s2, v6
	v_cmp_ne_u32_e32 vcc, 0, v2
	v_cndmask_b32_e32 v2, 0, v6, vcc
	s_brev_b32 s2, 1
	v_and_or_b32 v1, v1, s2, v2
	v_cvt_f64_f32_e32 v[1:2], v1
.LBB87_487:
	s_mov_b64 s[2:3], 0
.LBB87_488:
	s_andn2_b64 vcc, exec, s[2:3]
	s_cbranch_vccnz .LBB87_490
; %bb.489:
	global_load_ubyte v1, v[4:5], off
	s_movk_i32 s2, 0x7f00
	s_brev_b32 s3, 16
	s_waitcnt vmcnt(0)
	v_lshlrev_b16_e32 v2, 8, v1
	v_lshlrev_b32_e32 v1, 25, v1
	v_lshrrev_b32_e32 v6, 4, v1
	v_and_or_b32 v7, v2, s2, 0.5
	v_or_b32_e32 v6, 0x70000000, v6
	v_add_f32_e32 v7, -0.5, v7
	v_mul_f32_e32 v6, 0x7800000, v6
	v_cmp_gt_u32_e32 vcc, s3, v1
	v_bfe_i32 v2, v2, 0, 16
	v_cndmask_b32_e32 v1, v6, v7, vcc
	s_brev_b32 s2, 1
	v_and_or_b32 v1, v2, s2, v1
	v_cvt_f64_f32_e32 v[1:2], v1
.LBB87_490:
	s_mov_b64 s[6:7], 0
	s_mov_b64 s[2:3], -1
.LBB87_491:
	s_andn2_b64 vcc, exec, s[6:7]
	s_cbranch_vccnz .LBB87_502
; %bb.492:
	s_cmp_gt_i32 s54, 14
	s_cbranch_scc0 .LBB87_495
; %bb.493:
	s_cmp_eq_u32 s54, 15
	s_cbranch_scc0 .LBB87_496
; %bb.494:
	global_load_ushort v1, v[4:5], off
	s_mov_b64 s[2:3], -1
	s_mov_b64 s[50:51], 0
	s_waitcnt vmcnt(0)
	v_lshlrev_b32_e32 v1, 16, v1
	v_cvt_f64_f32_e32 v[1:2], v1
	s_branch .LBB87_497
.LBB87_495:
	s_mov_b64 s[6:7], -1
                                        ; implicit-def: $vgpr1_vgpr2
	s_branch .LBB87_498
.LBB87_496:
	s_mov_b64 s[50:51], -1
                                        ; implicit-def: $vgpr1_vgpr2
.LBB87_497:
	s_mov_b64 s[6:7], 0
.LBB87_498:
	s_and_b64 vcc, exec, s[6:7]
	s_cbranch_vccz .LBB87_502
; %bb.499:
	s_cmp_eq_u32 s54, 11
	s_cbranch_scc0 .LBB87_501
; %bb.500:
	global_load_ubyte v2, v[4:5], off
	v_mov_b32_e32 v6, 0x3ff00000
	v_mov_b32_e32 v1, 0
	s_mov_b64 s[2:3], -1
	s_mov_b64 s[50:51], 0
	s_waitcnt vmcnt(0)
	v_cmp_ne_u16_e32 vcc, 0, v2
	v_cndmask_b32_e32 v2, 0, v6, vcc
	s_branch .LBB87_502
.LBB87_501:
	s_mov_b64 s[50:51], -1
                                        ; implicit-def: $vgpr1_vgpr2
.LBB87_502:
	s_branch .LBB87_418
.LBB87_503:
	s_and_b32 s6, 0xffff, s14
	s_cmp_lt_i32 s6, 5
	s_cbranch_scc1 .LBB87_508
; %bb.504:
	s_cmp_lt_i32 s6, 8
	s_cbranch_scc1 .LBB87_509
; %bb.505:
	;; [unrolled: 3-line block ×3, first 2 shown]
	s_cmp_gt_i32 s6, 9
	s_cbranch_scc0 .LBB87_511
; %bb.507:
	global_load_dwordx2 v[1:2], v[4:5], off
	s_mov_b64 s[2:3], 0
	s_branch .LBB87_512
.LBB87_508:
	s_mov_b64 s[2:3], -1
                                        ; implicit-def: $vgpr1_vgpr2
	s_branch .LBB87_530
.LBB87_509:
	s_mov_b64 s[2:3], -1
                                        ; implicit-def: $vgpr1_vgpr2
	s_branch .LBB87_518
.LBB87_510:
	s_mov_b64 s[2:3], -1
                                        ; implicit-def: $vgpr1_vgpr2
	s_branch .LBB87_515
.LBB87_511:
	s_mov_b64 s[2:3], -1
                                        ; implicit-def: $vgpr1_vgpr2
.LBB87_512:
	s_andn2_b64 vcc, exec, s[2:3]
	s_cbranch_vccnz .LBB87_514
; %bb.513:
	global_load_dword v1, v[4:5], off
	s_waitcnt vmcnt(0)
	v_cvt_f64_f32_e32 v[1:2], v1
.LBB87_514:
	s_mov_b64 s[2:3], 0
.LBB87_515:
	s_andn2_b64 vcc, exec, s[2:3]
	s_cbranch_vccnz .LBB87_517
; %bb.516:
	global_load_dword v1, v[4:5], off
	s_waitcnt vmcnt(0)
	v_cvt_f32_f16_e32 v1, v1
	v_cvt_f64_f32_e32 v[1:2], v1
.LBB87_517:
	s_mov_b64 s[2:3], 0
.LBB87_518:
	s_andn2_b64 vcc, exec, s[2:3]
	s_cbranch_vccnz .LBB87_529
; %bb.519:
	s_cmp_lt_i32 s6, 6
	s_cbranch_scc1 .LBB87_522
; %bb.520:
	s_cmp_gt_i32 s6, 6
	s_cbranch_scc0 .LBB87_523
; %bb.521:
	global_load_dwordx2 v[1:2], v[4:5], off
	s_mov_b64 s[2:3], 0
	s_branch .LBB87_524
.LBB87_522:
	s_mov_b64 s[2:3], -1
                                        ; implicit-def: $vgpr1_vgpr2
	s_branch .LBB87_527
.LBB87_523:
	s_mov_b64 s[2:3], -1
                                        ; implicit-def: $vgpr1_vgpr2
.LBB87_524:
	s_andn2_b64 vcc, exec, s[2:3]
	s_cbranch_vccnz .LBB87_526
; %bb.525:
	global_load_dword v1, v[4:5], off
	s_waitcnt vmcnt(0)
	v_cvt_f64_f32_e32 v[1:2], v1
.LBB87_526:
	s_mov_b64 s[2:3], 0
.LBB87_527:
	s_andn2_b64 vcc, exec, s[2:3]
	s_cbranch_vccnz .LBB87_529
; %bb.528:
	global_load_ushort v1, v[4:5], off
	s_waitcnt vmcnt(0)
	v_cvt_f32_f16_e32 v1, v1
	v_cvt_f64_f32_e32 v[1:2], v1
.LBB87_529:
	s_mov_b64 s[2:3], 0
.LBB87_530:
	s_andn2_b64 vcc, exec, s[2:3]
	s_cbranch_vccnz .LBB87_550
; %bb.531:
	s_cmp_lt_i32 s6, 2
	s_cbranch_scc1 .LBB87_535
; %bb.532:
	s_cmp_lt_i32 s6, 3
	s_cbranch_scc1 .LBB87_536
; %bb.533:
	s_cmp_gt_i32 s6, 3
	s_cbranch_scc0 .LBB87_537
; %bb.534:
	global_load_dwordx2 v[1:2], v[4:5], off
	s_mov_b64 s[2:3], 0
	s_waitcnt vmcnt(0)
	v_cvt_f64_i32_e32 v[6:7], v2
	v_cvt_f64_u32_e32 v[1:2], v1
	v_ldexp_f64 v[6:7], v[6:7], 32
	v_add_f64 v[1:2], v[6:7], v[1:2]
	s_branch .LBB87_538
.LBB87_535:
	s_mov_b64 s[2:3], -1
                                        ; implicit-def: $vgpr1_vgpr2
	s_branch .LBB87_544
.LBB87_536:
	s_mov_b64 s[2:3], -1
                                        ; implicit-def: $vgpr1_vgpr2
	s_branch .LBB87_541
.LBB87_537:
	s_mov_b64 s[2:3], -1
                                        ; implicit-def: $vgpr1_vgpr2
.LBB87_538:
	s_andn2_b64 vcc, exec, s[2:3]
	s_cbranch_vccnz .LBB87_540
; %bb.539:
	global_load_dword v1, v[4:5], off
	s_waitcnt vmcnt(0)
	v_cvt_f64_i32_e32 v[1:2], v1
.LBB87_540:
	s_mov_b64 s[2:3], 0
.LBB87_541:
	s_andn2_b64 vcc, exec, s[2:3]
	s_cbranch_vccnz .LBB87_543
; %bb.542:
	global_load_sshort v1, v[4:5], off
	s_waitcnt vmcnt(0)
	v_cvt_f64_i32_e32 v[1:2], v1
.LBB87_543:
	s_mov_b64 s[2:3], 0
.LBB87_544:
	s_andn2_b64 vcc, exec, s[2:3]
	s_cbranch_vccnz .LBB87_550
; %bb.545:
	s_cmp_gt_i32 s6, 0
	s_cbranch_scc0 .LBB87_547
; %bb.546:
	global_load_sbyte v1, v[4:5], off
	s_mov_b64 s[2:3], 0
	s_waitcnt vmcnt(0)
	v_cvt_f64_i32_e32 v[1:2], v1
	s_branch .LBB87_548
.LBB87_547:
	s_mov_b64 s[2:3], -1
                                        ; implicit-def: $vgpr1_vgpr2
.LBB87_548:
	s_andn2_b64 vcc, exec, s[2:3]
	s_cbranch_vccnz .LBB87_550
; %bb.549:
	global_load_ubyte v1, v[4:5], off
	s_waitcnt vmcnt(0)
	v_cvt_f64_u32_e32 v[1:2], v1
.LBB87_550:
	s_branch .LBB87_419
.LBB87_551:
	s_mov_b64 s[2:3], 0
	s_mov_b64 s[6:7], s[42:43]
	;; [unrolled: 1-line block ×3, first 2 shown]
.LBB87_552:
                                        ; implicit-def: $vgpr10
	s_branch .LBB87_794
.LBB87_553:
	s_andn2_saveexec_b64 s[54:55], s[54:55]
	s_cbranch_execz .LBB87_204
.LBB87_554:
	v_add_f32_e32 v2, 0x42800000, v3
	v_and_b32_e32 v2, 0xff, v2
	v_cmp_ne_u32_e32 vcc, 0, v2
	s_andn2_b64 s[50:51], s[50:51], exec
	s_and_b64 s[58:59], vcc, exec
	s_or_b64 s[50:51], s[50:51], s[58:59]
	s_or_b64 exec, exec, s[54:55]
	v_mov_b32_e32 v4, 0
	s_and_saveexec_b64 s[54:55], s[50:51]
	s_cbranch_execnz .LBB87_205
	s_branch .LBB87_206
.LBB87_555:
	s_mov_b64 s[52:53], -1
                                        ; implicit-def: $vgpr5_vgpr6
	s_mov_b64 s[2:3], 0
.LBB87_556:
	s_and_b64 vcc, exec, s[6:7]
	s_cbranch_vccz .LBB87_560
; %bb.557:
	s_cmp_eq_u32 s58, 44
	s_cbranch_scc0 .LBB87_559
; %bb.558:
	global_load_ubyte v7, v[3:4], off
	s_movk_i32 s6, 0xff
	v_bfrev_b32_e32 v8, 4
	v_mov_b32_e32 v9, 0x7ff80000
	v_bfrev_b32_e32 v11, 28
	s_mov_b64 s[2:3], -1
	s_mov_b64 s[52:53], 0
	s_waitcnt vmcnt(0)
	v_lshlrev_b32_e32 v5, 23, v7
	v_cvt_f64_f32_e32 v[5:6], v5
	v_cmp_ne_u32_e32 vcc, s6, v7
	v_cndmask_b32_e32 v5, v8, v5, vcc
	v_cndmask_b32_e32 v6, v9, v6, vcc
	v_cmp_ne_u32_e32 vcc, 0, v7
	v_cndmask_b32_e32 v6, v11, v6, vcc
	v_cndmask_b32_e32 v5, 0, v5, vcc
	s_branch .LBB87_560
.LBB87_559:
	s_mov_b64 s[52:53], -1
                                        ; implicit-def: $vgpr5_vgpr6
.LBB87_560:
	s_mov_b64 s[6:7], 0
.LBB87_561:
	s_and_b64 vcc, exec, s[6:7]
	s_cbranch_vccz .LBB87_565
; %bb.562:
	s_cmp_eq_u32 s58, 29
	s_cbranch_scc0 .LBB87_564
; %bb.563:
	global_load_dwordx2 v[5:6], v[3:4], off
	s_mov_b64 s[2:3], -1
	s_mov_b64 s[52:53], 0
	s_mov_b64 s[6:7], 0
	s_waitcnt vmcnt(0)
	v_cvt_f64_u32_e32 v[6:7], v6
	v_cvt_f64_u32_e32 v[8:9], v5
	v_ldexp_f64 v[6:7], v[6:7], 32
	v_add_f64 v[5:6], v[6:7], v[8:9]
	s_branch .LBB87_566
.LBB87_564:
	s_mov_b64 s[52:53], -1
                                        ; implicit-def: $vgpr5_vgpr6
.LBB87_565:
	s_mov_b64 s[6:7], 0
.LBB87_566:
	s_and_b64 vcc, exec, s[6:7]
	s_cbranch_vccz .LBB87_586
; %bb.567:
	s_cmp_lt_i32 s58, 27
	s_cbranch_scc1 .LBB87_570
; %bb.568:
	s_cmp_gt_i32 s58, 27
	s_cbranch_scc0 .LBB87_571
; %bb.569:
	global_load_dword v5, v[3:4], off
	s_mov_b64 s[2:3], 0
	s_waitcnt vmcnt(0)
	v_cvt_f64_u32_e32 v[5:6], v5
	s_branch .LBB87_572
.LBB87_570:
	s_mov_b64 s[2:3], -1
                                        ; implicit-def: $vgpr5_vgpr6
	s_branch .LBB87_575
.LBB87_571:
	s_mov_b64 s[2:3], -1
                                        ; implicit-def: $vgpr5_vgpr6
.LBB87_572:
	s_andn2_b64 vcc, exec, s[2:3]
	s_cbranch_vccnz .LBB87_574
; %bb.573:
	global_load_ushort v5, v[3:4], off
	s_waitcnt vmcnt(0)
	v_cvt_f64_u32_e32 v[5:6], v5
.LBB87_574:
	s_mov_b64 s[2:3], 0
.LBB87_575:
	s_andn2_b64 vcc, exec, s[2:3]
	s_cbranch_vccnz .LBB87_585
; %bb.576:
	global_load_ubyte v7, v[3:4], off
	s_movk_i32 s2, 0x7f
	s_waitcnt vmcnt(0)
	v_cmp_lt_i16_e32 vcc, s2, v7
	s_mov_b64 s[2:3], 0
	s_and_saveexec_b64 s[6:7], vcc
	s_xor_b64 s[6:7], exec, s[6:7]
	s_cbranch_execz .LBB87_580
; %bb.577:
	s_movk_i32 s2, 0x80
	v_cmp_eq_u16_e32 vcc, s2, v7
	s_mov_b64 s[2:3], -1
	s_and_saveexec_b64 s[54:55], vcc
; %bb.578:
	s_xor_b64 s[2:3], exec, -1
; %bb.579:
	s_or_b64 exec, exec, s[54:55]
	s_and_b64 s[2:3], s[2:3], exec
.LBB87_580:
	s_or_saveexec_b64 s[6:7], s[6:7]
	v_bfrev_b32_e32 v5, 4
	v_mov_b32_e32 v6, 0x7ff80000
	s_xor_b64 exec, exec, s[6:7]
; %bb.581:
	v_cmp_ne_u16_e32 vcc, 0, v7
	v_mov_b32_e32 v5, 0
	s_andn2_b64 s[2:3], s[2:3], exec
	s_and_b64 s[54:55], vcc, exec
	v_mov_b32_e32 v6, 0
	s_or_b64 s[2:3], s[2:3], s[54:55]
; %bb.582:
	s_or_b64 exec, exec, s[6:7]
	s_and_saveexec_b64 s[6:7], s[2:3]
	s_cbranch_execz .LBB87_584
; %bb.583:
	v_and_b32_e32 v6, 0xffff, v7
	v_lshlrev_b32_e32 v5, 24, v7
	v_and_b32_e32 v7, 7, v6
	v_ffbh_u32_e32 v9, v7
	v_min_u32_e32 v9, 32, v9
	v_subrev_u32_e32 v11, 28, v9
	v_bfe_u32 v8, v6, 3, 4
	v_lshlrev_b32_e32 v6, v11, v6
	v_sub_u32_e32 v9, 29, v9
	v_and_b32_e32 v6, 7, v6
	v_cmp_eq_u32_e32 vcc, 0, v8
	v_cndmask_b32_e32 v8, v8, v9, vcc
	v_cndmask_b32_e32 v6, v7, v6, vcc
	v_mov_b32_e32 v7, 0x3b800000
	v_lshlrev_b32_e32 v6, 20, v6
	v_and_b32_e32 v5, 0x80000000, v5
	v_lshl_add_u32 v7, v8, 23, v7
	v_or3_b32 v5, v5, v7, v6
	v_cvt_f64_f32_e32 v[5:6], v5
.LBB87_584:
	s_or_b64 exec, exec, s[6:7]
.LBB87_585:
	s_mov_b64 s[2:3], -1
.LBB87_586:
	s_mov_b64 s[6:7], 0
.LBB87_587:
	s_and_b64 vcc, exec, s[6:7]
	s_cbranch_vccz .LBB87_620
; %bb.588:
	s_cmp_gt_i32 s58, 22
	s_cbranch_scc0 .LBB87_600
; %bb.589:
	s_cmp_lt_i32 s58, 24
	s_cbranch_scc1 .LBB87_601
; %bb.590:
	s_cmp_gt_i32 s58, 24
	s_cbranch_scc0 .LBB87_602
; %bb.591:
	global_load_ubyte v7, v[3:4], off
	s_movk_i32 s2, 0x7f
	s_waitcnt vmcnt(0)
	v_cmp_lt_i16_e32 vcc, s2, v7
	s_mov_b64 s[2:3], 0
	s_and_saveexec_b64 s[6:7], vcc
	s_xor_b64 s[6:7], exec, s[6:7]
	s_cbranch_execz .LBB87_595
; %bb.592:
	s_movk_i32 s2, 0x80
	v_cmp_eq_u16_e32 vcc, s2, v7
	s_mov_b64 s[2:3], -1
	s_and_saveexec_b64 s[54:55], vcc
; %bb.593:
	s_xor_b64 s[2:3], exec, -1
; %bb.594:
	s_or_b64 exec, exec, s[54:55]
	s_and_b64 s[2:3], s[2:3], exec
.LBB87_595:
	s_or_saveexec_b64 s[6:7], s[6:7]
	v_bfrev_b32_e32 v5, 4
	v_mov_b32_e32 v6, 0x7ff80000
	s_xor_b64 exec, exec, s[6:7]
; %bb.596:
	v_cmp_ne_u16_e32 vcc, 0, v7
	v_mov_b32_e32 v5, 0
	s_andn2_b64 s[2:3], s[2:3], exec
	s_and_b64 s[54:55], vcc, exec
	v_mov_b32_e32 v6, 0
	s_or_b64 s[2:3], s[2:3], s[54:55]
; %bb.597:
	s_or_b64 exec, exec, s[6:7]
	s_and_saveexec_b64 s[6:7], s[2:3]
	s_cbranch_execz .LBB87_599
; %bb.598:
	v_and_b32_e32 v6, 0xffff, v7
	v_lshlrev_b32_e32 v5, 24, v7
	v_and_b32_e32 v7, 3, v6
	v_ffbh_u32_e32 v9, v7
	v_min_u32_e32 v9, 32, v9
	v_subrev_u32_e32 v11, 29, v9
	v_bfe_u32 v8, v6, 2, 5
	v_lshlrev_b32_e32 v6, v11, v6
	v_sub_u32_e32 v9, 30, v9
	v_and_b32_e32 v6, 3, v6
	v_cmp_eq_u32_e32 vcc, 0, v8
	v_cndmask_b32_e32 v8, v8, v9, vcc
	v_cndmask_b32_e32 v6, v7, v6, vcc
	v_mov_b32_e32 v7, 0x37800000
	v_lshlrev_b32_e32 v6, 21, v6
	v_and_b32_e32 v5, 0x80000000, v5
	v_lshl_add_u32 v7, v8, 23, v7
	v_or3_b32 v5, v5, v7, v6
	v_cvt_f64_f32_e32 v[5:6], v5
.LBB87_599:
	s_or_b64 exec, exec, s[6:7]
	s_mov_b64 s[2:3], 0
	s_branch .LBB87_603
.LBB87_600:
	s_mov_b64 s[6:7], -1
                                        ; implicit-def: $vgpr5_vgpr6
	s_branch .LBB87_609
.LBB87_601:
	s_mov_b64 s[2:3], -1
                                        ; implicit-def: $vgpr5_vgpr6
	s_branch .LBB87_606
.LBB87_602:
	s_mov_b64 s[2:3], -1
                                        ; implicit-def: $vgpr5_vgpr6
.LBB87_603:
	s_and_b64 vcc, exec, s[2:3]
	s_cbranch_vccz .LBB87_605
; %bb.604:
	global_load_ubyte v5, v[3:4], off
	s_mov_b32 s2, 0x7f800000
	s_waitcnt vmcnt(0)
	v_lshlrev_b32_e32 v5, 24, v5
	v_and_b32_e32 v6, 0x7f000000, v5
	v_ffbh_u32_e32 v7, v6
	v_min_u32_e32 v7, 32, v7
	v_sub_u32_e64 v7, v7, 4 clamp
	v_lshlrev_b32_e32 v9, v7, v6
	v_lshlrev_b32_e32 v7, 23, v7
	v_lshrrev_b32_e32 v9, 4, v9
	v_add_u32_e32 v8, 0x1000000, v6
	v_sub_u32_e32 v7, v9, v7
	v_ashrrev_i32_e32 v8, 8, v8
	v_add_u32_e32 v7, 0x3c000000, v7
	v_and_or_b32 v7, v8, s2, v7
	v_cmp_ne_u32_e32 vcc, 0, v6
	v_cndmask_b32_e32 v6, 0, v7, vcc
	s_brev_b32 s2, 1
	v_and_or_b32 v5, v5, s2, v6
	v_cvt_f64_f32_e32 v[5:6], v5
.LBB87_605:
	s_mov_b64 s[2:3], 0
.LBB87_606:
	s_andn2_b64 vcc, exec, s[2:3]
	s_cbranch_vccnz .LBB87_608
; %bb.607:
	global_load_ubyte v5, v[3:4], off
	s_movk_i32 s2, 0x7f00
	s_brev_b32 s3, 16
	s_waitcnt vmcnt(0)
	v_lshlrev_b16_e32 v6, 8, v5
	v_lshlrev_b32_e32 v5, 25, v5
	v_lshrrev_b32_e32 v7, 4, v5
	v_and_or_b32 v8, v6, s2, 0.5
	v_or_b32_e32 v7, 0x70000000, v7
	v_add_f32_e32 v8, -0.5, v8
	v_mul_f32_e32 v7, 0x7800000, v7
	v_cmp_gt_u32_e32 vcc, s3, v5
	v_bfe_i32 v6, v6, 0, 16
	v_cndmask_b32_e32 v5, v7, v8, vcc
	s_brev_b32 s2, 1
	v_and_or_b32 v5, v6, s2, v5
	v_cvt_f64_f32_e32 v[5:6], v5
.LBB87_608:
	s_mov_b64 s[6:7], 0
	s_mov_b64 s[2:3], -1
.LBB87_609:
	s_andn2_b64 vcc, exec, s[6:7]
	s_cbranch_vccnz .LBB87_620
; %bb.610:
	s_cmp_gt_i32 s58, 14
	s_cbranch_scc0 .LBB87_613
; %bb.611:
	s_cmp_eq_u32 s58, 15
	s_cbranch_scc0 .LBB87_614
; %bb.612:
	global_load_ushort v5, v[3:4], off
	s_mov_b64 s[2:3], -1
	s_mov_b64 s[52:53], 0
	s_waitcnt vmcnt(0)
	v_lshlrev_b32_e32 v5, 16, v5
	v_cvt_f64_f32_e32 v[5:6], v5
	s_branch .LBB87_615
.LBB87_613:
	s_mov_b64 s[6:7], -1
                                        ; implicit-def: $vgpr5_vgpr6
	s_branch .LBB87_616
.LBB87_614:
	s_mov_b64 s[52:53], -1
                                        ; implicit-def: $vgpr5_vgpr6
.LBB87_615:
	s_mov_b64 s[6:7], 0
.LBB87_616:
	s_and_b64 vcc, exec, s[6:7]
	s_cbranch_vccz .LBB87_620
; %bb.617:
	s_cmp_eq_u32 s58, 11
	s_cbranch_scc0 .LBB87_619
; %bb.618:
	global_load_ubyte v6, v[3:4], off
	v_mov_b32_e32 v7, 0x3ff00000
	v_mov_b32_e32 v5, 0
	s_mov_b64 s[2:3], -1
	s_mov_b64 s[52:53], 0
	s_waitcnt vmcnt(0)
	v_cmp_ne_u16_e32 vcc, 0, v6
	v_cndmask_b32_e32 v6, 0, v7, vcc
	s_branch .LBB87_620
.LBB87_619:
	s_mov_b64 s[52:53], -1
                                        ; implicit-def: $vgpr5_vgpr6
.LBB87_620:
	s_mov_b64 s[6:7], 0
.LBB87_621:
	s_and_b64 vcc, exec, s[6:7]
	s_cbranch_vccz .LBB87_670
; %bb.622:
	s_and_b32 s6, 0xffff, s14
	s_cmp_lt_i32 s6, 5
	s_cbranch_scc1 .LBB87_627
; %bb.623:
	s_cmp_lt_i32 s6, 8
	s_cbranch_scc1 .LBB87_628
; %bb.624:
	;; [unrolled: 3-line block ×3, first 2 shown]
	s_cmp_gt_i32 s6, 9
	s_cbranch_scc0 .LBB87_630
; %bb.626:
	global_load_dwordx2 v[5:6], v[3:4], off
	s_mov_b64 s[2:3], 0
	s_branch .LBB87_631
.LBB87_627:
	s_mov_b64 s[2:3], -1
                                        ; implicit-def: $vgpr5_vgpr6
	s_branch .LBB87_649
.LBB87_628:
	s_mov_b64 s[2:3], -1
                                        ; implicit-def: $vgpr5_vgpr6
	s_branch .LBB87_637
.LBB87_629:
	s_mov_b64 s[2:3], -1
                                        ; implicit-def: $vgpr5_vgpr6
	s_branch .LBB87_634
.LBB87_630:
	s_mov_b64 s[2:3], -1
                                        ; implicit-def: $vgpr5_vgpr6
.LBB87_631:
	s_andn2_b64 vcc, exec, s[2:3]
	s_cbranch_vccnz .LBB87_633
; %bb.632:
	global_load_dword v5, v[3:4], off
	s_waitcnt vmcnt(0)
	v_cvt_f64_f32_e32 v[5:6], v5
.LBB87_633:
	s_mov_b64 s[2:3], 0
.LBB87_634:
	s_andn2_b64 vcc, exec, s[2:3]
	s_cbranch_vccnz .LBB87_636
; %bb.635:
	global_load_dword v5, v[3:4], off
	s_waitcnt vmcnt(0)
	v_cvt_f32_f16_e32 v5, v5
	v_cvt_f64_f32_e32 v[5:6], v5
.LBB87_636:
	s_mov_b64 s[2:3], 0
.LBB87_637:
	s_andn2_b64 vcc, exec, s[2:3]
	s_cbranch_vccnz .LBB87_648
; %bb.638:
	s_cmp_lt_i32 s6, 6
	s_cbranch_scc1 .LBB87_641
; %bb.639:
	s_cmp_gt_i32 s6, 6
	s_cbranch_scc0 .LBB87_642
; %bb.640:
	global_load_dwordx2 v[5:6], v[3:4], off
	s_mov_b64 s[2:3], 0
	s_branch .LBB87_643
.LBB87_641:
	s_mov_b64 s[2:3], -1
                                        ; implicit-def: $vgpr5_vgpr6
	s_branch .LBB87_646
.LBB87_642:
	s_mov_b64 s[2:3], -1
                                        ; implicit-def: $vgpr5_vgpr6
.LBB87_643:
	s_andn2_b64 vcc, exec, s[2:3]
	s_cbranch_vccnz .LBB87_645
; %bb.644:
	global_load_dword v5, v[3:4], off
	s_waitcnt vmcnt(0)
	v_cvt_f64_f32_e32 v[5:6], v5
.LBB87_645:
	s_mov_b64 s[2:3], 0
.LBB87_646:
	s_andn2_b64 vcc, exec, s[2:3]
	s_cbranch_vccnz .LBB87_648
; %bb.647:
	global_load_ushort v5, v[3:4], off
	s_waitcnt vmcnt(0)
	v_cvt_f32_f16_e32 v5, v5
	v_cvt_f64_f32_e32 v[5:6], v5
.LBB87_648:
	s_mov_b64 s[2:3], 0
.LBB87_649:
	s_andn2_b64 vcc, exec, s[2:3]
	s_cbranch_vccnz .LBB87_669
; %bb.650:
	s_cmp_lt_i32 s6, 2
	s_cbranch_scc1 .LBB87_654
; %bb.651:
	s_cmp_lt_i32 s6, 3
	s_cbranch_scc1 .LBB87_655
; %bb.652:
	s_cmp_gt_i32 s6, 3
	s_cbranch_scc0 .LBB87_656
; %bb.653:
	global_load_dwordx2 v[5:6], v[3:4], off
	s_mov_b64 s[2:3], 0
	s_waitcnt vmcnt(0)
	v_cvt_f64_i32_e32 v[6:7], v6
	v_cvt_f64_u32_e32 v[8:9], v5
	v_ldexp_f64 v[6:7], v[6:7], 32
	v_add_f64 v[5:6], v[6:7], v[8:9]
	s_branch .LBB87_657
.LBB87_654:
	s_mov_b64 s[2:3], -1
                                        ; implicit-def: $vgpr5_vgpr6
	s_branch .LBB87_663
.LBB87_655:
	s_mov_b64 s[2:3], -1
                                        ; implicit-def: $vgpr5_vgpr6
	s_branch .LBB87_660
.LBB87_656:
	s_mov_b64 s[2:3], -1
                                        ; implicit-def: $vgpr5_vgpr6
.LBB87_657:
	s_andn2_b64 vcc, exec, s[2:3]
	s_cbranch_vccnz .LBB87_659
; %bb.658:
	global_load_dword v5, v[3:4], off
	s_waitcnt vmcnt(0)
	v_cvt_f64_i32_e32 v[5:6], v5
.LBB87_659:
	s_mov_b64 s[2:3], 0
.LBB87_660:
	s_andn2_b64 vcc, exec, s[2:3]
	s_cbranch_vccnz .LBB87_662
; %bb.661:
	global_load_sshort v5, v[3:4], off
	s_waitcnt vmcnt(0)
	v_cvt_f64_i32_e32 v[5:6], v5
.LBB87_662:
	s_mov_b64 s[2:3], 0
.LBB87_663:
	s_andn2_b64 vcc, exec, s[2:3]
	s_cbranch_vccnz .LBB87_669
; %bb.664:
	s_cmp_gt_i32 s6, 0
	s_cbranch_scc0 .LBB87_666
; %bb.665:
	global_load_sbyte v5, v[3:4], off
	s_mov_b64 s[2:3], 0
	s_waitcnt vmcnt(0)
	v_cvt_f64_i32_e32 v[5:6], v5
	s_branch .LBB87_667
.LBB87_666:
	s_mov_b64 s[2:3], -1
                                        ; implicit-def: $vgpr5_vgpr6
.LBB87_667:
	s_andn2_b64 vcc, exec, s[2:3]
	s_cbranch_vccnz .LBB87_669
; %bb.668:
	global_load_ubyte v3, v[3:4], off
	s_waitcnt vmcnt(0)
	v_cvt_f64_u32_e32 v[5:6], v3
.LBB87_669:
	s_mov_b64 s[2:3], -1
.LBB87_670:
	s_andn2_b64 vcc, exec, s[2:3]
	s_cbranch_vccnz .LBB87_678
; %bb.671:
	s_waitcnt vmcnt(0)
	v_cmp_eq_f64_e32 vcc, v[1:2], v[5:6]
	s_and_b32 s14, s15, 0xff
	s_cmp_lt_i32 s14, 11
	v_cndmask_b32_e64 v3, 0, 1, vcc
	v_cmp_neq_f64_e32 vcc, v[1:2], v[5:6]
	v_cndmask_b32_e64 v1, 0, 1, vcc
	v_cndmask_b32_e64 v1, v1, v3, s[0:1]
	v_and_b32_e32 v1, 1, v1
	v_cmp_eq_u32_e64 s[2:3], 1, v1
	v_mov_b32_e32 v1, s9
	v_add_co_u32_e32 v0, vcc, s8, v0
	v_addc_co_u32_e32 v1, vcc, 0, v1, vcc
	s_cbranch_scc1 .LBB87_679
; %bb.672:
	s_and_b32 s62, 0xffff, s14
	s_cmp_gt_i32 s62, 25
	s_cbranch_scc0 .LBB87_680
; %bb.673:
	s_cmp_gt_i32 s62, 28
	s_cbranch_scc0 .LBB87_681
; %bb.674:
	;; [unrolled: 3-line block ×4, first 2 shown]
	s_mov_b64 s[58:59], 0
	s_mov_b64 s[6:7], -1
	s_cmp_eq_u32 s62, 46
	s_mov_b64 s[54:55], 0
	s_cbranch_scc0 .LBB87_684
; %bb.677:
	v_cndmask_b32_e64 v2, 0, 1.0, s[2:3]
	v_bfe_u32 v3, v2, 16, 1
	s_movk_i32 s6, 0x7fff
	v_add3_u32 v2, v2, v3, s6
	v_lshrrev_b32_e32 v2, 16, v2
	global_store_dword v[0:1], v2, off
	s_mov_b64 s[54:55], -1
	s_mov_b64 s[6:7], 0
	s_branch .LBB87_684
.LBB87_678:
	s_mov_b64 s[2:3], 0
                                        ; implicit-def: $vgpr10
	s_mov_b64 s[6:7], s[42:43]
	s_branch .LBB87_794
.LBB87_679:
	s_mov_b64 s[58:59], -1
	s_mov_b64 s[54:55], 0
	s_mov_b64 s[6:7], s[42:43]
	s_branch .LBB87_753
.LBB87_680:
	s_mov_b64 s[58:59], -1
	s_mov_b64 s[54:55], 0
	s_mov_b64 s[6:7], s[42:43]
	s_branch .LBB87_711
.LBB87_681:
	s_mov_b64 s[58:59], -1
	s_mov_b64 s[54:55], 0
	s_mov_b64 s[6:7], s[42:43]
	s_branch .LBB87_694
.LBB87_682:
	s_mov_b64 s[58:59], -1
	s_mov_b64 s[54:55], 0
	s_mov_b64 s[6:7], s[42:43]
	s_branch .LBB87_690
.LBB87_683:
	s_mov_b64 s[58:59], -1
	s_mov_b64 s[54:55], 0
	s_mov_b64 s[6:7], s[42:43]
.LBB87_684:
	s_and_b64 vcc, exec, s[58:59]
	s_cbranch_vccz .LBB87_689
; %bb.685:
	s_cmp_eq_u32 s62, 44
	s_mov_b64 s[6:7], -1
	s_cbranch_scc0 .LBB87_689
; %bb.686:
	v_cndmask_b32_e64 v3, 0, 1.0, s[2:3]
	v_lshrrev_b32_e32 v2, 23, v3
	s_movk_i32 s6, 0xff
	v_cmp_ne_u32_e32 vcc, s6, v2
	v_mov_b32_e32 v4, 0xff
	s_and_saveexec_b64 s[54:55], vcc
; %bb.687:
	s_mov_b32 s6, 0x3fffff
	v_and_b32_e32 v4, 0x400000, v3
	v_and_or_b32 v3, v3, s6, v2
	v_cmp_ne_u32_e32 vcc, 0, v4
	v_cmp_ne_u32_e64 s[6:7], 0, v3
	s_and_b64 s[6:7], vcc, s[6:7]
	v_cndmask_b32_e64 v3, 0, 1, s[6:7]
	v_add_u32_e32 v4, v2, v3
; %bb.688:
	s_or_b64 exec, exec, s[54:55]
	s_mov_b64 s[54:55], -1
	s_mov_b64 s[6:7], 0
	global_store_byte v[0:1], v4, off
.LBB87_689:
	s_mov_b64 s[58:59], 0
.LBB87_690:
	s_and_b64 vcc, exec, s[58:59]
	s_cbranch_vccz .LBB87_693
; %bb.691:
	s_cmp_eq_u32 s62, 29
	s_mov_b64 s[6:7], -1
	s_cbranch_scc0 .LBB87_693
; %bb.692:
	s_mov_b32 s6, 0
	v_cndmask_b32_e64 v2, 0, 1, s[2:3]
	v_mov_b32_e32 v3, s6
	global_store_dwordx2 v[0:1], v[2:3], off
	s_mov_b64 s[54:55], -1
	s_mov_b64 s[6:7], 0
.LBB87_693:
	s_mov_b64 s[58:59], 0
.LBB87_694:
	s_and_b64 vcc, exec, s[58:59]
	s_cbranch_vccz .LBB87_710
; %bb.695:
	s_cmp_lt_i32 s62, 27
	s_mov_b64 s[54:55], -1
	s_cbranch_scc1 .LBB87_701
; %bb.696:
	s_cmp_gt_i32 s62, 27
	s_cbranch_scc0 .LBB87_698
; %bb.697:
	v_cndmask_b32_e64 v2, 0, 1, s[2:3]
	s_mov_b64 s[54:55], 0
	global_store_dword v[0:1], v2, off
.LBB87_698:
	s_andn2_b64 vcc, exec, s[54:55]
	s_cbranch_vccnz .LBB87_700
; %bb.699:
	v_cndmask_b32_e64 v2, 0, 1, s[2:3]
	global_store_short v[0:1], v2, off
.LBB87_700:
	s_mov_b64 s[54:55], 0
.LBB87_701:
	s_andn2_b64 vcc, exec, s[54:55]
	s_cbranch_vccnz .LBB87_709
; %bb.702:
	v_cndmask_b32_e64 v3, 0, 1.0, s[2:3]
	s_mov_b32 s54, 0x43800000
	v_cmp_gt_u32_e32 vcc, s54, v3
	v_mov_b32_e32 v4, 0x80
	s_and_saveexec_b64 s[54:55], vcc
	s_cbranch_execz .LBB87_708
; %bb.703:
	s_mov_b32 s58, 0x3bffffff
	v_cmp_lt_u32_e32 vcc, s58, v3
	s_mov_b64 s[58:59], 0
                                        ; implicit-def: $vgpr2
	s_and_saveexec_b64 s[60:61], vcc
	s_xor_b64 s[60:61], exec, s[60:61]
	s_cbranch_execz .LBB87_822
; %bb.704:
	v_bfe_u32 v2, v3, 20, 1
	s_mov_b32 s63, 0x487ffff
	v_add3_u32 v2, v3, v2, s63
	s_mov_b64 s[58:59], exec
	v_lshrrev_b32_e32 v2, 20, v2
                                        ; implicit-def: $vgpr3
	s_andn2_saveexec_b64 s[60:61], s[60:61]
	s_cbranch_execnz .LBB87_823
.LBB87_705:
	s_or_b64 exec, exec, s[60:61]
	v_mov_b32_e32 v4, 0
	s_and_saveexec_b64 s[60:61], s[58:59]
.LBB87_706:
	v_mov_b32_e32 v4, v2
.LBB87_707:
	s_or_b64 exec, exec, s[60:61]
.LBB87_708:
	s_or_b64 exec, exec, s[54:55]
	global_store_byte v[0:1], v4, off
.LBB87_709:
	s_mov_b64 s[54:55], -1
.LBB87_710:
	s_mov_b64 s[58:59], 0
.LBB87_711:
	s_and_b64 vcc, exec, s[58:59]
	s_cbranch_vccz .LBB87_752
; %bb.712:
	s_cmp_gt_i32 s62, 22
	s_mov_b64 s[58:59], -1
	s_cbranch_scc0 .LBB87_744
; %bb.713:
	s_cmp_lt_i32 s62, 24
	s_mov_b64 s[54:55], -1
	s_cbranch_scc1 .LBB87_733
; %bb.714:
	s_cmp_gt_i32 s62, 24
	s_cbranch_scc0 .LBB87_722
; %bb.715:
	v_cndmask_b32_e64 v3, 0, 1.0, s[2:3]
	s_mov_b32 s54, 0x47800000
	v_cmp_gt_u32_e32 vcc, s54, v3
	v_mov_b32_e32 v4, 0x80
	s_and_saveexec_b64 s[54:55], vcc
	s_cbranch_execz .LBB87_721
; %bb.716:
	s_mov_b32 s58, 0x37ffffff
	v_cmp_lt_u32_e32 vcc, s58, v3
	s_mov_b64 s[58:59], 0
                                        ; implicit-def: $vgpr2
	s_and_saveexec_b64 s[60:61], vcc
	s_xor_b64 s[60:61], exec, s[60:61]
	s_cbranch_execz .LBB87_954
; %bb.717:
	v_bfe_u32 v2, v3, 21, 1
	s_mov_b32 s63, 0x88fffff
	v_add3_u32 v2, v3, v2, s63
	s_mov_b64 s[58:59], exec
	v_lshrrev_b32_e32 v2, 21, v2
                                        ; implicit-def: $vgpr3
	s_andn2_saveexec_b64 s[60:61], s[60:61]
	s_cbranch_execnz .LBB87_955
.LBB87_718:
	s_or_b64 exec, exec, s[60:61]
	v_mov_b32_e32 v4, 0
	s_and_saveexec_b64 s[60:61], s[58:59]
.LBB87_719:
	v_mov_b32_e32 v4, v2
.LBB87_720:
	s_or_b64 exec, exec, s[60:61]
.LBB87_721:
	s_or_b64 exec, exec, s[54:55]
	s_mov_b64 s[54:55], 0
	global_store_byte v[0:1], v4, off
.LBB87_722:
	s_and_b64 vcc, exec, s[54:55]
	s_cbranch_vccz .LBB87_732
; %bb.723:
	v_cndmask_b32_e64 v2, 0, 1.0, s[2:3]
	s_mov_b32 s54, 0x43f00000
	v_cmp_gt_u32_e32 vcc, s54, v2
                                        ; implicit-def: $vgpr3
	s_and_saveexec_b64 s[54:55], vcc
	s_xor_b64 s[54:55], exec, s[54:55]
	s_cbranch_execz .LBB87_729
; %bb.724:
	s_mov_b32 s58, 0x3c7fffff
	v_cmp_lt_u32_e32 vcc, s58, v2
                                        ; implicit-def: $vgpr3
	s_and_saveexec_b64 s[58:59], vcc
	s_xor_b64 s[58:59], exec, s[58:59]
; %bb.725:
	v_bfe_u32 v3, v2, 20, 1
	s_mov_b32 s60, 0x407ffff
	v_add3_u32 v2, v2, v3, s60
	v_lshrrev_b32_e32 v3, 20, v2
	v_and_b32_e32 v2, 0xff00000, v2
	s_mov_b32 s60, 0x7f00000
	v_mov_b32_e32 v4, 0x7e
	v_cmp_ne_u32_e32 vcc, s60, v2
	v_cndmask_b32_e32 v3, v4, v3, vcc
                                        ; implicit-def: $vgpr2
; %bb.726:
	s_andn2_saveexec_b64 s[58:59], s[58:59]
; %bb.727:
	v_add_f32_e32 v3, 0x46800000, v2
; %bb.728:
	s_or_b64 exec, exec, s[58:59]
                                        ; implicit-def: $vgpr2
.LBB87_729:
	s_andn2_saveexec_b64 s[54:55], s[54:55]
; %bb.730:
	s_mov_b32 s58, 0x7f800000
	v_mov_b32_e32 v3, 0x7e
	v_mov_b32_e32 v4, 0x7f
	v_cmp_lt_u32_e32 vcc, s58, v2
	v_cndmask_b32_e32 v3, v3, v4, vcc
; %bb.731:
	s_or_b64 exec, exec, s[54:55]
	global_store_byte v[0:1], v3, off
.LBB87_732:
	s_mov_b64 s[54:55], 0
.LBB87_733:
	s_andn2_b64 vcc, exec, s[54:55]
	s_cbranch_vccnz .LBB87_743
; %bb.734:
	v_cndmask_b32_e64 v2, 0, 1.0, s[2:3]
	s_mov_b32 s54, 0x47800000
	v_cmp_gt_u32_e32 vcc, s54, v2
                                        ; implicit-def: $vgpr3
	s_and_saveexec_b64 s[54:55], vcc
	s_xor_b64 s[54:55], exec, s[54:55]
	s_cbranch_execz .LBB87_740
; %bb.735:
	s_mov_b32 s58, 0x387fffff
	v_cmp_lt_u32_e32 vcc, s58, v2
                                        ; implicit-def: $vgpr3
	s_and_saveexec_b64 s[58:59], vcc
	s_xor_b64 s[58:59], exec, s[58:59]
; %bb.736:
	v_bfe_u32 v3, v2, 21, 1
	s_mov_b32 s60, 0x80fffff
	v_add3_u32 v2, v2, v3, s60
	v_lshrrev_b32_e32 v3, 21, v2
                                        ; implicit-def: $vgpr2
; %bb.737:
	s_andn2_saveexec_b64 s[58:59], s[58:59]
; %bb.738:
	v_add_f32_e32 v3, 0x43000000, v2
; %bb.739:
	s_or_b64 exec, exec, s[58:59]
                                        ; implicit-def: $vgpr2
.LBB87_740:
	s_andn2_saveexec_b64 s[54:55], s[54:55]
; %bb.741:
	s_mov_b32 s58, 0x7f800000
	v_mov_b32_e32 v3, 0x7c
	v_mov_b32_e32 v4, 0x7f
	v_cmp_lt_u32_e32 vcc, s58, v2
	v_cndmask_b32_e32 v3, v3, v4, vcc
; %bb.742:
	s_or_b64 exec, exec, s[54:55]
	global_store_byte v[0:1], v3, off
.LBB87_743:
	s_mov_b64 s[58:59], 0
	s_mov_b64 s[54:55], -1
.LBB87_744:
	s_andn2_b64 vcc, exec, s[58:59]
	s_cbranch_vccnz .LBB87_752
; %bb.745:
	s_cmp_gt_i32 s62, 14
	s_mov_b64 s[58:59], -1
	s_cbranch_scc0 .LBB87_749
; %bb.746:
	s_cmp_eq_u32 s62, 15
	s_mov_b64 s[6:7], -1
	s_cbranch_scc0 .LBB87_748
; %bb.747:
	v_cndmask_b32_e64 v2, 0, 1.0, s[2:3]
	v_bfe_u32 v3, v2, 16, 1
	s_movk_i32 s6, 0x7fff
	v_add3_u32 v2, v2, v3, s6
	global_store_short_d16_hi v[0:1], v2, off
	s_mov_b64 s[54:55], -1
	s_mov_b64 s[6:7], 0
.LBB87_748:
	s_mov_b64 s[58:59], 0
.LBB87_749:
	s_and_b64 vcc, exec, s[58:59]
	s_cbranch_vccz .LBB87_752
; %bb.750:
	s_cmp_eq_u32 s62, 11
	s_mov_b64 s[6:7], -1
	s_cbranch_scc0 .LBB87_752
; %bb.751:
	v_cndmask_b32_e64 v2, 0, 1, s[2:3]
	s_mov_b64 s[54:55], -1
	s_mov_b64 s[6:7], 0
	global_store_byte v[0:1], v2, off
.LBB87_752:
	s_mov_b64 s[58:59], 0
.LBB87_753:
	s_and_b64 vcc, exec, s[58:59]
	s_cbranch_vccz .LBB87_792
; %bb.754:
	s_and_b32 s14, 0xffff, s14
	s_cmp_lt_i32 s14, 5
	s_mov_b64 s[54:55], -1
	s_cbranch_scc1 .LBB87_775
; %bb.755:
	s_cmp_lt_i32 s14, 8
	s_cbranch_scc1 .LBB87_765
; %bb.756:
	s_cmp_lt_i32 s14, 9
	s_cbranch_scc1 .LBB87_762
; %bb.757:
	s_cmp_gt_i32 s14, 9
	s_cbranch_scc0 .LBB87_759
; %bb.758:
	v_cndmask_b32_e64 v2, 0, 1, s[2:3]
	v_cvt_f64_u32_e32 v[2:3], v2
	v_mov_b32_e32 v4, 0
	v_mov_b32_e32 v5, v4
	s_mov_b64 s[54:55], 0
	global_store_dwordx4 v[0:1], v[2:5], off
.LBB87_759:
	s_andn2_b64 vcc, exec, s[54:55]
	s_cbranch_vccnz .LBB87_761
; %bb.760:
	v_cndmask_b32_e64 v2, 0, 1.0, s[2:3]
	v_mov_b32_e32 v3, 0
	global_store_dwordx2 v[0:1], v[2:3], off
.LBB87_761:
	s_mov_b64 s[54:55], 0
.LBB87_762:
	s_andn2_b64 vcc, exec, s[54:55]
	s_cbranch_vccnz .LBB87_764
; %bb.763:
	v_cndmask_b32_e64 v2, 0, 1.0, s[2:3]
	v_cvt_f16_f32_e32 v2, v2
	global_store_dword v[0:1], v2, off
.LBB87_764:
	s_mov_b64 s[54:55], 0
.LBB87_765:
	s_andn2_b64 vcc, exec, s[54:55]
	s_cbranch_vccnz .LBB87_774
; %bb.766:
	s_cmp_lt_i32 s14, 6
	s_mov_b64 s[54:55], -1
	s_cbranch_scc1 .LBB87_772
; %bb.767:
	s_cmp_gt_i32 s14, 6
	s_cbranch_scc0 .LBB87_769
; %bb.768:
	v_cndmask_b32_e64 v2, 0, 1, s[2:3]
	v_cvt_f64_u32_e32 v[2:3], v2
	s_mov_b64 s[54:55], 0
	global_store_dwordx2 v[0:1], v[2:3], off
.LBB87_769:
	s_andn2_b64 vcc, exec, s[54:55]
	s_cbranch_vccnz .LBB87_771
; %bb.770:
	v_cndmask_b32_e64 v2, 0, 1.0, s[2:3]
	global_store_dword v[0:1], v2, off
.LBB87_771:
	s_mov_b64 s[54:55], 0
.LBB87_772:
	s_andn2_b64 vcc, exec, s[54:55]
	s_cbranch_vccnz .LBB87_774
; %bb.773:
	v_cndmask_b32_e64 v2, 0, 1.0, s[2:3]
	v_cvt_f16_f32_e32 v2, v2
	global_store_short v[0:1], v2, off
.LBB87_774:
	s_mov_b64 s[54:55], 0
.LBB87_775:
	s_andn2_b64 vcc, exec, s[54:55]
	s_cbranch_vccnz .LBB87_791
; %bb.776:
	s_cmp_lt_i32 s14, 2
	s_mov_b64 s[54:55], -1
	s_cbranch_scc1 .LBB87_786
; %bb.777:
	s_cmp_lt_i32 s14, 3
	s_cbranch_scc1 .LBB87_783
; %bb.778:
	s_cmp_gt_i32 s14, 3
	s_cbranch_scc0 .LBB87_780
; %bb.779:
	s_mov_b32 s54, 0
	v_cndmask_b32_e64 v2, 0, 1, s[2:3]
	v_mov_b32_e32 v3, s54
	s_mov_b64 s[54:55], 0
	global_store_dwordx2 v[0:1], v[2:3], off
.LBB87_780:
	s_andn2_b64 vcc, exec, s[54:55]
	s_cbranch_vccnz .LBB87_782
; %bb.781:
	v_cndmask_b32_e64 v2, 0, 1, s[2:3]
	global_store_dword v[0:1], v2, off
.LBB87_782:
	s_mov_b64 s[54:55], 0
.LBB87_783:
	s_andn2_b64 vcc, exec, s[54:55]
	s_cbranch_vccnz .LBB87_785
; %bb.784:
	v_cndmask_b32_e64 v2, 0, 1, s[2:3]
	global_store_short v[0:1], v2, off
.LBB87_785:
	s_mov_b64 s[54:55], 0
.LBB87_786:
	s_andn2_b64 vcc, exec, s[54:55]
	s_cbranch_vccnz .LBB87_791
; %bb.787:
	s_mov_b64 s[54:55], -1
	s_cmp_gt_i32 s14, 0
	v_cndmask_b32_e64 v2, 0, 1, s[2:3]
	s_cbranch_scc0 .LBB87_789
; %bb.788:
	s_mov_b64 s[54:55], 0
	global_store_byte v[0:1], v2, off
.LBB87_789:
	s_andn2_b64 vcc, exec, s[54:55]
	s_cbranch_vccnz .LBB87_791
; %bb.790:
	global_store_byte v[0:1], v2, off
.LBB87_791:
	s_mov_b64 s[54:55], -1
.LBB87_792:
	s_andn2_b64 vcc, exec, s[54:55]
	s_cbranch_vccnz .LBB87_804
; %bb.793:
	v_add_u32_e32 v10, 0x80, v10
	s_mov_b64 s[2:3], -1
.LBB87_794:
	s_andn2_b64 s[54:55], s[42:43], exec
	s_and_b64 s[6:7], s[6:7], exec
	s_or_b64 s[54:55], s[54:55], s[6:7]
	s_andn2_b64 s[6:7], s[44:45], exec
	s_and_b64 s[52:53], s[52:53], exec
	s_or_b64 s[52:53], s[6:7], s[52:53]
	;; [unrolled: 3-line block ×3, first 2 shown]
	s_orn2_b64 s[2:3], s[2:3], exec
.LBB87_795:
	s_or_b64 exec, exec, s[56:57]
	s_mov_b64 s[6:7], 0
	s_mov_b64 s[58:59], 0
	;; [unrolled: 1-line block ×3, first 2 shown]
                                        ; implicit-def: $sgpr14
                                        ; implicit-def: $vgpr4_vgpr5
                                        ; implicit-def: $vgpr0
                                        ; implicit-def: $vgpr3
                                        ; implicit-def: $vgpr1_vgpr2
	s_and_saveexec_b64 s[56:57], s[2:3]
	s_cbranch_execz .LBB87_1292
; %bb.796:
	v_cmp_gt_i32_e32 vcc, s70, v10
	s_mov_b64 s[68:69], -1
	s_mov_b64 s[2:3], s[50:51]
	s_mov_b64 s[6:7], s[52:53]
	s_mov_b64 s[64:65], s[54:55]
	s_and_saveexec_b64 s[58:59], vcc
	s_cbranch_execz .LBB87_1196
; %bb.797:
	s_andn2_b64 vcc, exec, s[28:29]
	s_cbranch_vccnz .LBB87_803
; %bb.798:
	s_andn2_b64 vcc, exec, s[40:41]
	s_cbranch_vccnz .LBB87_805
; %bb.799:
	s_add_i32 s2, s75, 1
	s_and_b32 s6, s2, 30
	s_add_u32 s2, s24, 0xffffffe8
	s_addc_u32 s3, s25, -1
	v_mov_b32_e32 v3, 0
	s_waitcnt vmcnt(0)
	v_mov_b32_e32 v5, 0
	v_mov_b32_e32 v0, 0
	;; [unrolled: 1-line block ×3, first 2 shown]
.LBB87_800:                             ; =>This Inner Loop Header: Depth=1
	s_load_dwordx4 s[60:63], s[2:3], 0x1c
	s_load_dwordx2 s[68:69], s[2:3], 0x2c
	s_load_dwordx2 s[76:77], s[2:3], 0xec
	s_load_dwordx4 s[64:67], s[2:3], 0xdc
	s_add_u32 s2, s2, 24
	s_waitcnt lgkmcnt(0)
	v_mul_hi_u32 v2, s61, v1
	s_addc_u32 s3, s3, 0
	s_add_i32 s6, s6, -2
	s_cmp_eq_u32 s6, 0
	v_add_u32_e32 v2, v1, v2
	v_lshrrev_b32_e32 v2, s62, v2
	v_mul_lo_u32 v4, v2, s60
	v_mul_hi_u32 v6, s68, v2
	v_sub_u32_e32 v4, v1, v4
	v_add_u32_e32 v1, v2, v6
	v_lshrrev_b32_e32 v1, s69, v1
	v_mul_lo_u32 v8, v1, s63
	v_mul_lo_u32 v6, v4, s64
	;; [unrolled: 1-line block ×4, first 2 shown]
	v_sub_u32_e32 v2, v2, v8
	v_mul_lo_u32 v8, v2, s67
	v_mul_lo_u32 v9, v2, s76
	;; [unrolled: 1-line block ×3, first 2 shown]
	v_add3_u32 v0, v6, v0, v8
	v_add3_u32 v5, v7, v5, v9
	v_add3_u32 v3, v4, v3, v2
	s_cbranch_scc0 .LBB87_800
; %bb.801:
	s_bitcmp1_b32 s75, 0
	s_cselect_b64 s[6:7], -1, 0
	s_and_b64 vcc, exec, s[6:7]
	s_cbranch_vccnz .LBB87_806
; %bb.802:
	s_load_dwordx2 s[6:7], s[2:3], 0x1c
	s_load_dword s14, s[2:3], 0x24
	s_load_dwordx2 s[60:61], s[2:3], 0xdc
	s_waitcnt lgkmcnt(0)
	v_mul_hi_u32 v2, s7, v1
	v_add_u32_e32 v2, v1, v2
	v_lshrrev_b32_e32 v2, s14, v2
	v_mul_lo_u32 v2, v2, s6
	s_load_dword s6, s[2:3], 0xe4
	v_sub_u32_e32 v2, v1, v2
	v_mad_u64_u32 v[0:1], s[2:3], v2, s60, v[0:1]
	v_mad_u64_u32 v[5:6], s[2:3], v2, s61, v[5:6]
	s_waitcnt lgkmcnt(0)
	v_mad_u64_u32 v[3:4], s[2:3], v2, s6, v[3:4]
	s_branch .LBB87_806
.LBB87_803:
	s_mov_b64 s[2:3], -1
                                        ; implicit-def: $vgpr0
                                        ; implicit-def: $vgpr5
                                        ; implicit-def: $vgpr3
	s_branch .LBB87_807
.LBB87_804:
	s_mov_b64 s[2:3], 0
	s_branch .LBB87_552
.LBB87_805:
	v_mov_b32_e32 v0, 0
	s_waitcnt vmcnt(0)
	v_mov_b32_e32 v5, 0
	v_mov_b32_e32 v3, 0
.LBB87_806:
	s_mov_b64 s[2:3], 0
.LBB87_807:
	s_andn2_b64 vcc, exec, s[2:3]
	s_cbranch_vccnz .LBB87_810
; %bb.808:
	v_mul_hi_u32 v0, s17, v10
	s_andn2_b64 vcc, exec, s[38:39]
	v_add_u32_e32 v0, v10, v0
	s_waitcnt vmcnt(0)
	v_lshrrev_b32_e32 v1, s18, v0
	v_mul_lo_u32 v0, v1, s16
	v_sub_u32_e32 v2, v10, v0
	v_mul_lo_u32 v0, v2, s20
	v_mul_lo_u32 v5, v2, s21
	;; [unrolled: 1-line block ×3, first 2 shown]
	s_cbranch_vccnz .LBB87_810
; %bb.809:
	v_mul_hi_u32 v2, s36, v1
	v_add_u32_e32 v2, v1, v2
	v_lshrrev_b32_e32 v2, s37, v2
	v_mul_lo_u32 v2, v2, s19
	v_sub_u32_e32 v2, v1, v2
	v_mad_u64_u32 v[0:1], s[2:3], v2, s23, v[0:1]
	v_mad_u64_u32 v[5:6], s[2:3], v2, s34, v[5:6]
	;; [unrolled: 1-line block ×3, first 2 shown]
.LBB87_810:
	s_waitcnt vmcnt(0)
	v_mov_b32_e32 v1, s11
	s_and_b32 s14, s74, 0xff
	v_add_co_u32_e32 v4, vcc, s10, v5
	s_cmp_lt_i32 s14, 11
	v_addc_co_u32_e32 v5, vcc, 0, v1, vcc
	s_cbranch_scc1 .LBB87_817
; %bb.811:
	s_and_b32 s64, 0xffff, s14
	s_cmp_gt_i32 s64, 25
	s_cbranch_scc0 .LBB87_818
; %bb.812:
	s_cmp_gt_i32 s64, 28
	s_cbranch_scc0 .LBB87_819
; %bb.813:
	;; [unrolled: 3-line block ×4, first 2 shown]
	s_cmp_eq_u32 s64, 46
	s_mov_b64 s[6:7], 0
	s_cbranch_scc0 .LBB87_824
; %bb.816:
	global_load_dword v1, v[4:5], off
	s_mov_b64 s[2:3], -1
	s_mov_b64 s[60:61], 0
	s_waitcnt vmcnt(0)
	v_lshlrev_b32_e32 v1, 16, v1
	v_cvt_f64_f32_e32 v[1:2], v1
	s_branch .LBB87_825
.LBB87_817:
	s_mov_b64 s[6:7], -1
	s_mov_b64 s[2:3], 0
                                        ; implicit-def: $vgpr1_vgpr2
	s_mov_b64 s[60:61], s[50:51]
	s_branch .LBB87_890
.LBB87_818:
	s_mov_b64 s[6:7], -1
	s_mov_b64 s[2:3], 0
	s_mov_b64 s[60:61], s[50:51]
                                        ; implicit-def: $vgpr1_vgpr2
	s_branch .LBB87_856
.LBB87_819:
	s_mov_b64 s[6:7], -1
	s_mov_b64 s[2:3], 0
	s_mov_b64 s[60:61], s[50:51]
                                        ; implicit-def: $vgpr1_vgpr2
	s_branch .LBB87_835
.LBB87_820:
	s_mov_b64 s[6:7], -1
	s_mov_b64 s[2:3], 0
	s_mov_b64 s[60:61], s[50:51]
                                        ; implicit-def: $vgpr1_vgpr2
	s_branch .LBB87_830
.LBB87_821:
	s_mov_b64 s[6:7], -1
	s_mov_b64 s[2:3], 0
	s_mov_b64 s[60:61], s[50:51]
                                        ; implicit-def: $vgpr1_vgpr2
	s_branch .LBB87_825
.LBB87_822:
	s_andn2_saveexec_b64 s[60:61], s[60:61]
	s_cbranch_execz .LBB87_705
.LBB87_823:
	v_add_f32_e32 v2, 0x46000000, v3
	v_and_b32_e32 v2, 0xff, v2
	v_cmp_ne_u32_e32 vcc, 0, v2
	s_andn2_b64 s[58:59], s[58:59], exec
	s_and_b64 s[64:65], vcc, exec
	s_or_b64 s[58:59], s[58:59], s[64:65]
	s_or_b64 exec, exec, s[60:61]
	v_mov_b32_e32 v4, 0
	s_and_saveexec_b64 s[60:61], s[58:59]
	s_cbranch_execnz .LBB87_706
	s_branch .LBB87_707
.LBB87_824:
	s_mov_b64 s[60:61], -1
                                        ; implicit-def: $vgpr1_vgpr2
	s_mov_b64 s[2:3], 0
.LBB87_825:
	s_and_b64 vcc, exec, s[6:7]
	s_cbranch_vccz .LBB87_829
; %bb.826:
	s_cmp_eq_u32 s64, 44
	s_cbranch_scc0 .LBB87_828
; %bb.827:
	global_load_ubyte v6, v[4:5], off
	s_movk_i32 s6, 0xff
	v_bfrev_b32_e32 v7, 4
	v_mov_b32_e32 v8, 0x7ff80000
	v_bfrev_b32_e32 v9, 28
	s_mov_b64 s[2:3], -1
	s_mov_b64 s[60:61], 0
	s_waitcnt vmcnt(0)
	v_lshlrev_b32_e32 v1, 23, v6
	v_cvt_f64_f32_e32 v[1:2], v1
	v_cmp_ne_u32_e32 vcc, s6, v6
	v_cndmask_b32_e32 v1, v7, v1, vcc
	v_cndmask_b32_e32 v2, v8, v2, vcc
	v_cmp_ne_u32_e32 vcc, 0, v6
	v_cndmask_b32_e32 v2, v9, v2, vcc
	v_cndmask_b32_e32 v1, 0, v1, vcc
	s_branch .LBB87_829
.LBB87_828:
	s_mov_b64 s[60:61], -1
                                        ; implicit-def: $vgpr1_vgpr2
.LBB87_829:
	s_mov_b64 s[6:7], 0
.LBB87_830:
	s_and_b64 vcc, exec, s[6:7]
	s_cbranch_vccz .LBB87_834
; %bb.831:
	s_cmp_eq_u32 s64, 29
	s_cbranch_scc0 .LBB87_833
; %bb.832:
	global_load_dwordx2 v[1:2], v[4:5], off
	s_mov_b64 s[2:3], -1
	s_mov_b64 s[60:61], 0
	s_mov_b64 s[6:7], 0
	s_waitcnt vmcnt(0)
	v_cvt_f64_u32_e32 v[6:7], v2
	v_cvt_f64_u32_e32 v[1:2], v1
	v_ldexp_f64 v[6:7], v[6:7], 32
	v_add_f64 v[1:2], v[6:7], v[1:2]
	s_branch .LBB87_835
.LBB87_833:
	s_mov_b64 s[60:61], -1
                                        ; implicit-def: $vgpr1_vgpr2
.LBB87_834:
	s_mov_b64 s[6:7], 0
.LBB87_835:
	s_and_b64 vcc, exec, s[6:7]
	s_cbranch_vccz .LBB87_855
; %bb.836:
	s_cmp_lt_i32 s64, 27
	s_cbranch_scc1 .LBB87_839
; %bb.837:
	s_cmp_gt_i32 s64, 27
	s_cbranch_scc0 .LBB87_840
; %bb.838:
	global_load_dword v1, v[4:5], off
	s_mov_b64 s[2:3], 0
	s_waitcnt vmcnt(0)
	v_cvt_f64_u32_e32 v[1:2], v1
	s_branch .LBB87_841
.LBB87_839:
	s_mov_b64 s[2:3], -1
                                        ; implicit-def: $vgpr1_vgpr2
	s_branch .LBB87_844
.LBB87_840:
	s_mov_b64 s[2:3], -1
                                        ; implicit-def: $vgpr1_vgpr2
.LBB87_841:
	s_andn2_b64 vcc, exec, s[2:3]
	s_cbranch_vccnz .LBB87_843
; %bb.842:
	global_load_ushort v1, v[4:5], off
	s_waitcnt vmcnt(0)
	v_cvt_f64_u32_e32 v[1:2], v1
.LBB87_843:
	s_mov_b64 s[2:3], 0
.LBB87_844:
	s_andn2_b64 vcc, exec, s[2:3]
	s_cbranch_vccnz .LBB87_854
; %bb.845:
	global_load_ubyte v6, v[4:5], off
	s_movk_i32 s2, 0x7f
	s_waitcnt vmcnt(0)
	v_cmp_lt_i16_e32 vcc, s2, v6
	s_mov_b64 s[2:3], 0
	s_and_saveexec_b64 s[6:7], vcc
	s_xor_b64 s[6:7], exec, s[6:7]
	s_cbranch_execz .LBB87_849
; %bb.846:
	s_movk_i32 s2, 0x80
	v_cmp_eq_u16_e32 vcc, s2, v6
	s_mov_b64 s[2:3], -1
	s_and_saveexec_b64 s[62:63], vcc
; %bb.847:
	s_xor_b64 s[2:3], exec, -1
; %bb.848:
	s_or_b64 exec, exec, s[62:63]
	s_and_b64 s[2:3], s[2:3], exec
.LBB87_849:
	s_or_saveexec_b64 s[6:7], s[6:7]
	v_bfrev_b32_e32 v1, 4
	v_mov_b32_e32 v2, 0x7ff80000
	s_xor_b64 exec, exec, s[6:7]
; %bb.850:
	v_cmp_ne_u16_e32 vcc, 0, v6
	v_mov_b32_e32 v1, 0
	s_andn2_b64 s[2:3], s[2:3], exec
	s_and_b64 s[62:63], vcc, exec
	v_mov_b32_e32 v2, 0
	s_or_b64 s[2:3], s[2:3], s[62:63]
; %bb.851:
	s_or_b64 exec, exec, s[6:7]
	s_and_saveexec_b64 s[6:7], s[2:3]
	s_cbranch_execz .LBB87_853
; %bb.852:
	v_and_b32_e32 v2, 0xffff, v6
	v_lshlrev_b32_e32 v1, 24, v6
	v_and_b32_e32 v6, 7, v2
	v_ffbh_u32_e32 v8, v6
	v_min_u32_e32 v8, 32, v8
	v_subrev_u32_e32 v9, 28, v8
	v_bfe_u32 v7, v2, 3, 4
	v_lshlrev_b32_e32 v2, v9, v2
	v_sub_u32_e32 v8, 29, v8
	v_and_b32_e32 v2, 7, v2
	v_cmp_eq_u32_e32 vcc, 0, v7
	v_cndmask_b32_e32 v7, v7, v8, vcc
	v_cndmask_b32_e32 v2, v6, v2, vcc
	v_mov_b32_e32 v6, 0x3b800000
	v_lshlrev_b32_e32 v2, 20, v2
	v_and_b32_e32 v1, 0x80000000, v1
	v_lshl_add_u32 v6, v7, 23, v6
	v_or3_b32 v1, v1, v6, v2
	v_cvt_f64_f32_e32 v[1:2], v1
.LBB87_853:
	s_or_b64 exec, exec, s[6:7]
.LBB87_854:
	s_mov_b64 s[2:3], -1
.LBB87_855:
	s_mov_b64 s[6:7], 0
.LBB87_856:
	s_and_b64 vcc, exec, s[6:7]
	s_cbranch_vccz .LBB87_889
; %bb.857:
	s_cmp_gt_i32 s64, 22
	s_cbranch_scc0 .LBB87_869
; %bb.858:
	s_cmp_lt_i32 s64, 24
	s_cbranch_scc1 .LBB87_870
; %bb.859:
	s_cmp_gt_i32 s64, 24
	s_cbranch_scc0 .LBB87_871
; %bb.860:
	global_load_ubyte v6, v[4:5], off
	s_movk_i32 s2, 0x7f
	s_waitcnt vmcnt(0)
	v_cmp_lt_i16_e32 vcc, s2, v6
	s_mov_b64 s[2:3], 0
	s_and_saveexec_b64 s[6:7], vcc
	s_xor_b64 s[6:7], exec, s[6:7]
	s_cbranch_execz .LBB87_864
; %bb.861:
	s_movk_i32 s2, 0x80
	v_cmp_eq_u16_e32 vcc, s2, v6
	s_mov_b64 s[2:3], -1
	s_and_saveexec_b64 s[62:63], vcc
; %bb.862:
	s_xor_b64 s[2:3], exec, -1
; %bb.863:
	s_or_b64 exec, exec, s[62:63]
	s_and_b64 s[2:3], s[2:3], exec
.LBB87_864:
	s_or_saveexec_b64 s[6:7], s[6:7]
	v_bfrev_b32_e32 v1, 4
	v_mov_b32_e32 v2, 0x7ff80000
	s_xor_b64 exec, exec, s[6:7]
; %bb.865:
	v_cmp_ne_u16_e32 vcc, 0, v6
	v_mov_b32_e32 v1, 0
	s_andn2_b64 s[2:3], s[2:3], exec
	s_and_b64 s[62:63], vcc, exec
	v_mov_b32_e32 v2, 0
	s_or_b64 s[2:3], s[2:3], s[62:63]
; %bb.866:
	s_or_b64 exec, exec, s[6:7]
	s_and_saveexec_b64 s[6:7], s[2:3]
	s_cbranch_execz .LBB87_868
; %bb.867:
	v_and_b32_e32 v2, 0xffff, v6
	v_lshlrev_b32_e32 v1, 24, v6
	v_and_b32_e32 v6, 3, v2
	v_ffbh_u32_e32 v8, v6
	v_min_u32_e32 v8, 32, v8
	v_subrev_u32_e32 v9, 29, v8
	v_bfe_u32 v7, v2, 2, 5
	v_lshlrev_b32_e32 v2, v9, v2
	v_sub_u32_e32 v8, 30, v8
	v_and_b32_e32 v2, 3, v2
	v_cmp_eq_u32_e32 vcc, 0, v7
	v_cndmask_b32_e32 v7, v7, v8, vcc
	v_cndmask_b32_e32 v2, v6, v2, vcc
	v_mov_b32_e32 v6, 0x37800000
	v_lshlrev_b32_e32 v2, 21, v2
	v_and_b32_e32 v1, 0x80000000, v1
	v_lshl_add_u32 v6, v7, 23, v6
	v_or3_b32 v1, v1, v6, v2
	v_cvt_f64_f32_e32 v[1:2], v1
.LBB87_868:
	s_or_b64 exec, exec, s[6:7]
	s_mov_b64 s[2:3], 0
	s_branch .LBB87_872
.LBB87_869:
	s_mov_b64 s[6:7], -1
                                        ; implicit-def: $vgpr1_vgpr2
	s_branch .LBB87_878
.LBB87_870:
	s_mov_b64 s[2:3], -1
                                        ; implicit-def: $vgpr1_vgpr2
	s_branch .LBB87_875
.LBB87_871:
	s_mov_b64 s[2:3], -1
                                        ; implicit-def: $vgpr1_vgpr2
.LBB87_872:
	s_and_b64 vcc, exec, s[2:3]
	s_cbranch_vccz .LBB87_874
; %bb.873:
	global_load_ubyte v1, v[4:5], off
	s_mov_b32 s2, 0x7f800000
	s_waitcnt vmcnt(0)
	v_lshlrev_b32_e32 v1, 24, v1
	v_and_b32_e32 v2, 0x7f000000, v1
	v_ffbh_u32_e32 v6, v2
	v_min_u32_e32 v6, 32, v6
	v_sub_u32_e64 v6, v6, 4 clamp
	v_lshlrev_b32_e32 v8, v6, v2
	v_lshlrev_b32_e32 v6, 23, v6
	v_lshrrev_b32_e32 v8, 4, v8
	v_add_u32_e32 v7, 0x1000000, v2
	v_sub_u32_e32 v6, v8, v6
	v_ashrrev_i32_e32 v7, 8, v7
	v_add_u32_e32 v6, 0x3c000000, v6
	v_and_or_b32 v6, v7, s2, v6
	v_cmp_ne_u32_e32 vcc, 0, v2
	v_cndmask_b32_e32 v2, 0, v6, vcc
	s_brev_b32 s2, 1
	v_and_or_b32 v1, v1, s2, v2
	v_cvt_f64_f32_e32 v[1:2], v1
.LBB87_874:
	s_mov_b64 s[2:3], 0
.LBB87_875:
	s_andn2_b64 vcc, exec, s[2:3]
	s_cbranch_vccnz .LBB87_877
; %bb.876:
	global_load_ubyte v1, v[4:5], off
	s_movk_i32 s2, 0x7f00
	s_brev_b32 s3, 16
	s_waitcnt vmcnt(0)
	v_lshlrev_b16_e32 v2, 8, v1
	v_lshlrev_b32_e32 v1, 25, v1
	v_lshrrev_b32_e32 v6, 4, v1
	v_and_or_b32 v7, v2, s2, 0.5
	v_or_b32_e32 v6, 0x70000000, v6
	v_add_f32_e32 v7, -0.5, v7
	v_mul_f32_e32 v6, 0x7800000, v6
	v_cmp_gt_u32_e32 vcc, s3, v1
	v_bfe_i32 v2, v2, 0, 16
	v_cndmask_b32_e32 v1, v6, v7, vcc
	s_brev_b32 s2, 1
	v_and_or_b32 v1, v2, s2, v1
	v_cvt_f64_f32_e32 v[1:2], v1
.LBB87_877:
	s_mov_b64 s[6:7], 0
	s_mov_b64 s[2:3], -1
.LBB87_878:
	s_andn2_b64 vcc, exec, s[6:7]
	s_cbranch_vccnz .LBB87_889
; %bb.879:
	s_cmp_gt_i32 s64, 14
	s_cbranch_scc0 .LBB87_882
; %bb.880:
	s_cmp_eq_u32 s64, 15
	s_cbranch_scc0 .LBB87_883
; %bb.881:
	global_load_ushort v1, v[4:5], off
	s_mov_b64 s[2:3], -1
	s_mov_b64 s[60:61], 0
	s_waitcnt vmcnt(0)
	v_lshlrev_b32_e32 v1, 16, v1
	v_cvt_f64_f32_e32 v[1:2], v1
	s_branch .LBB87_884
.LBB87_882:
	s_mov_b64 s[6:7], -1
                                        ; implicit-def: $vgpr1_vgpr2
	s_branch .LBB87_885
.LBB87_883:
	s_mov_b64 s[60:61], -1
                                        ; implicit-def: $vgpr1_vgpr2
.LBB87_884:
	s_mov_b64 s[6:7], 0
.LBB87_885:
	s_and_b64 vcc, exec, s[6:7]
	s_cbranch_vccz .LBB87_889
; %bb.886:
	s_cmp_eq_u32 s64, 11
	s_cbranch_scc0 .LBB87_888
; %bb.887:
	global_load_ubyte v2, v[4:5], off
	v_mov_b32_e32 v6, 0x3ff00000
	v_mov_b32_e32 v1, 0
	s_mov_b64 s[2:3], -1
	s_mov_b64 s[60:61], 0
	s_waitcnt vmcnt(0)
	v_cmp_ne_u16_e32 vcc, 0, v2
	v_cndmask_b32_e32 v2, 0, v6, vcc
	s_branch .LBB87_889
.LBB87_888:
	s_mov_b64 s[60:61], -1
                                        ; implicit-def: $vgpr1_vgpr2
.LBB87_889:
	s_mov_b64 s[6:7], 0
.LBB87_890:
	s_and_b64 vcc, exec, s[6:7]
	s_cbranch_vccz .LBB87_939
; %bb.891:
	s_and_b32 s6, 0xffff, s14
	s_cmp_lt_i32 s6, 5
	s_cbranch_scc1 .LBB87_896
; %bb.892:
	s_cmp_lt_i32 s6, 8
	s_cbranch_scc1 .LBB87_897
; %bb.893:
	;; [unrolled: 3-line block ×3, first 2 shown]
	s_cmp_gt_i32 s6, 9
	s_cbranch_scc0 .LBB87_899
; %bb.895:
	global_load_dwordx2 v[1:2], v[4:5], off
	s_mov_b64 s[2:3], 0
	s_branch .LBB87_900
.LBB87_896:
	s_mov_b64 s[2:3], -1
                                        ; implicit-def: $vgpr1_vgpr2
	s_branch .LBB87_918
.LBB87_897:
	s_mov_b64 s[2:3], -1
                                        ; implicit-def: $vgpr1_vgpr2
	s_branch .LBB87_906
.LBB87_898:
	s_mov_b64 s[2:3], -1
                                        ; implicit-def: $vgpr1_vgpr2
	s_branch .LBB87_903
.LBB87_899:
	s_mov_b64 s[2:3], -1
                                        ; implicit-def: $vgpr1_vgpr2
.LBB87_900:
	s_andn2_b64 vcc, exec, s[2:3]
	s_cbranch_vccnz .LBB87_902
; %bb.901:
	global_load_dword v1, v[4:5], off
	s_waitcnt vmcnt(0)
	v_cvt_f64_f32_e32 v[1:2], v1
.LBB87_902:
	s_mov_b64 s[2:3], 0
.LBB87_903:
	s_andn2_b64 vcc, exec, s[2:3]
	s_cbranch_vccnz .LBB87_905
; %bb.904:
	global_load_dword v1, v[4:5], off
	s_waitcnt vmcnt(0)
	v_cvt_f32_f16_e32 v1, v1
	v_cvt_f64_f32_e32 v[1:2], v1
.LBB87_905:
	s_mov_b64 s[2:3], 0
.LBB87_906:
	s_andn2_b64 vcc, exec, s[2:3]
	s_cbranch_vccnz .LBB87_917
; %bb.907:
	s_cmp_lt_i32 s6, 6
	s_cbranch_scc1 .LBB87_910
; %bb.908:
	s_cmp_gt_i32 s6, 6
	s_cbranch_scc0 .LBB87_911
; %bb.909:
	global_load_dwordx2 v[1:2], v[4:5], off
	s_mov_b64 s[2:3], 0
	s_branch .LBB87_912
.LBB87_910:
	s_mov_b64 s[2:3], -1
                                        ; implicit-def: $vgpr1_vgpr2
	s_branch .LBB87_915
.LBB87_911:
	s_mov_b64 s[2:3], -1
                                        ; implicit-def: $vgpr1_vgpr2
.LBB87_912:
	s_andn2_b64 vcc, exec, s[2:3]
	s_cbranch_vccnz .LBB87_914
; %bb.913:
	global_load_dword v1, v[4:5], off
	s_waitcnt vmcnt(0)
	v_cvt_f64_f32_e32 v[1:2], v1
.LBB87_914:
	s_mov_b64 s[2:3], 0
.LBB87_915:
	s_andn2_b64 vcc, exec, s[2:3]
	s_cbranch_vccnz .LBB87_917
; %bb.916:
	global_load_ushort v1, v[4:5], off
	s_waitcnt vmcnt(0)
	v_cvt_f32_f16_e32 v1, v1
	v_cvt_f64_f32_e32 v[1:2], v1
.LBB87_917:
	s_mov_b64 s[2:3], 0
.LBB87_918:
	s_andn2_b64 vcc, exec, s[2:3]
	s_cbranch_vccnz .LBB87_938
; %bb.919:
	s_cmp_lt_i32 s6, 2
	s_cbranch_scc1 .LBB87_923
; %bb.920:
	s_cmp_lt_i32 s6, 3
	s_cbranch_scc1 .LBB87_924
; %bb.921:
	s_cmp_gt_i32 s6, 3
	s_cbranch_scc0 .LBB87_925
; %bb.922:
	global_load_dwordx2 v[1:2], v[4:5], off
	s_mov_b64 s[2:3], 0
	s_waitcnt vmcnt(0)
	v_cvt_f64_i32_e32 v[6:7], v2
	v_cvt_f64_u32_e32 v[1:2], v1
	v_ldexp_f64 v[6:7], v[6:7], 32
	v_add_f64 v[1:2], v[6:7], v[1:2]
	s_branch .LBB87_926
.LBB87_923:
	s_mov_b64 s[2:3], -1
                                        ; implicit-def: $vgpr1_vgpr2
	s_branch .LBB87_932
.LBB87_924:
	s_mov_b64 s[2:3], -1
                                        ; implicit-def: $vgpr1_vgpr2
	s_branch .LBB87_929
.LBB87_925:
	s_mov_b64 s[2:3], -1
                                        ; implicit-def: $vgpr1_vgpr2
.LBB87_926:
	s_andn2_b64 vcc, exec, s[2:3]
	s_cbranch_vccnz .LBB87_928
; %bb.927:
	global_load_dword v1, v[4:5], off
	s_waitcnt vmcnt(0)
	v_cvt_f64_i32_e32 v[1:2], v1
.LBB87_928:
	s_mov_b64 s[2:3], 0
.LBB87_929:
	s_andn2_b64 vcc, exec, s[2:3]
	s_cbranch_vccnz .LBB87_931
; %bb.930:
	global_load_sshort v1, v[4:5], off
	s_waitcnt vmcnt(0)
	v_cvt_f64_i32_e32 v[1:2], v1
.LBB87_931:
	s_mov_b64 s[2:3], 0
.LBB87_932:
	s_andn2_b64 vcc, exec, s[2:3]
	s_cbranch_vccnz .LBB87_938
; %bb.933:
	s_cmp_gt_i32 s6, 0
	s_cbranch_scc0 .LBB87_935
; %bb.934:
	global_load_sbyte v1, v[4:5], off
	s_mov_b64 s[2:3], 0
	s_waitcnt vmcnt(0)
	v_cvt_f64_i32_e32 v[1:2], v1
	s_branch .LBB87_936
.LBB87_935:
	s_mov_b64 s[2:3], -1
                                        ; implicit-def: $vgpr1_vgpr2
.LBB87_936:
	s_andn2_b64 vcc, exec, s[2:3]
	s_cbranch_vccnz .LBB87_938
; %bb.937:
	global_load_ubyte v1, v[4:5], off
	s_waitcnt vmcnt(0)
	v_cvt_f64_u32_e32 v[1:2], v1
.LBB87_938:
	s_mov_b64 s[2:3], -1
.LBB87_939:
	s_andn2_b64 vcc, exec, s[2:3]
	s_cbranch_vccnz .LBB87_947
; %bb.940:
	v_mov_b32_e32 v4, s13
	s_and_b32 s14, s73, 0xff
	v_add_co_u32_e32 v3, vcc, s12, v3
	s_cmp_lt_i32 s14, 11
	v_addc_co_u32_e32 v4, vcc, 0, v4, vcc
	s_cbranch_scc1 .LBB87_949
; %bb.941:
	s_and_b32 s66, 0xffff, s14
	s_cmp_gt_i32 s66, 25
	s_cbranch_scc0 .LBB87_950
; %bb.942:
	s_cmp_gt_i32 s66, 28
	s_cbranch_scc0 .LBB87_951
; %bb.943:
	;; [unrolled: 3-line block ×4, first 2 shown]
	s_cmp_eq_u32 s66, 46
	s_mov_b64 s[6:7], 0
	s_cbranch_scc0 .LBB87_956
; %bb.946:
	global_load_dword v5, v[3:4], off
	s_mov_b64 s[2:3], -1
	s_mov_b64 s[62:63], 0
	s_waitcnt vmcnt(0)
	v_lshlrev_b32_e32 v5, 16, v5
	v_cvt_f64_f32_e32 v[5:6], v5
	s_branch .LBB87_957
.LBB87_947:
	s_mov_b64 s[66:67], 0
	s_mov_b64 s[6:7], s[54:55]
	;; [unrolled: 1-line block ×3, first 2 shown]
.LBB87_948:
                                        ; implicit-def: $vgpr10
	s_branch .LBB87_1195
.LBB87_949:
	s_mov_b64 s[6:7], -1
	s_mov_b64 s[2:3], 0
                                        ; implicit-def: $vgpr5_vgpr6
	s_mov_b64 s[62:63], s[52:53]
	s_branch .LBB87_1022
.LBB87_950:
	s_mov_b64 s[6:7], -1
	s_mov_b64 s[2:3], 0
	s_mov_b64 s[62:63], s[52:53]
                                        ; implicit-def: $vgpr5_vgpr6
	s_branch .LBB87_988
.LBB87_951:
	s_mov_b64 s[6:7], -1
	s_mov_b64 s[2:3], 0
	s_mov_b64 s[62:63], s[52:53]
                                        ; implicit-def: $vgpr5_vgpr6
	s_branch .LBB87_967
.LBB87_952:
	s_mov_b64 s[6:7], -1
	s_mov_b64 s[2:3], 0
	s_mov_b64 s[62:63], s[52:53]
                                        ; implicit-def: $vgpr5_vgpr6
	s_branch .LBB87_962
.LBB87_953:
	s_mov_b64 s[6:7], -1
	s_mov_b64 s[2:3], 0
	s_mov_b64 s[62:63], s[52:53]
                                        ; implicit-def: $vgpr5_vgpr6
	s_branch .LBB87_957
.LBB87_954:
	s_andn2_saveexec_b64 s[60:61], s[60:61]
	s_cbranch_execz .LBB87_718
.LBB87_955:
	v_add_f32_e32 v2, 0x42800000, v3
	v_and_b32_e32 v2, 0xff, v2
	v_cmp_ne_u32_e32 vcc, 0, v2
	s_andn2_b64 s[58:59], s[58:59], exec
	s_and_b64 s[64:65], vcc, exec
	s_or_b64 s[58:59], s[58:59], s[64:65]
	s_or_b64 exec, exec, s[60:61]
	v_mov_b32_e32 v4, 0
	s_and_saveexec_b64 s[60:61], s[58:59]
	s_cbranch_execnz .LBB87_719
	s_branch .LBB87_720
.LBB87_956:
	s_mov_b64 s[62:63], -1
                                        ; implicit-def: $vgpr5_vgpr6
	s_mov_b64 s[2:3], 0
.LBB87_957:
	s_and_b64 vcc, exec, s[6:7]
	s_cbranch_vccz .LBB87_961
; %bb.958:
	s_cmp_eq_u32 s66, 44
	s_cbranch_scc0 .LBB87_960
; %bb.959:
	global_load_ubyte v7, v[3:4], off
	s_movk_i32 s6, 0xff
	v_bfrev_b32_e32 v8, 4
	v_mov_b32_e32 v9, 0x7ff80000
	v_bfrev_b32_e32 v11, 28
	s_mov_b64 s[2:3], -1
	s_mov_b64 s[62:63], 0
	s_waitcnt vmcnt(0)
	v_lshlrev_b32_e32 v5, 23, v7
	v_cvt_f64_f32_e32 v[5:6], v5
	v_cmp_ne_u32_e32 vcc, s6, v7
	v_cndmask_b32_e32 v5, v8, v5, vcc
	v_cndmask_b32_e32 v6, v9, v6, vcc
	v_cmp_ne_u32_e32 vcc, 0, v7
	v_cndmask_b32_e32 v6, v11, v6, vcc
	v_cndmask_b32_e32 v5, 0, v5, vcc
	s_branch .LBB87_961
.LBB87_960:
	s_mov_b64 s[62:63], -1
                                        ; implicit-def: $vgpr5_vgpr6
.LBB87_961:
	s_mov_b64 s[6:7], 0
.LBB87_962:
	s_and_b64 vcc, exec, s[6:7]
	s_cbranch_vccz .LBB87_966
; %bb.963:
	s_cmp_eq_u32 s66, 29
	s_cbranch_scc0 .LBB87_965
; %bb.964:
	global_load_dwordx2 v[5:6], v[3:4], off
	s_mov_b64 s[2:3], -1
	s_mov_b64 s[62:63], 0
	s_mov_b64 s[6:7], 0
	s_waitcnt vmcnt(0)
	v_cvt_f64_u32_e32 v[6:7], v6
	v_cvt_f64_u32_e32 v[8:9], v5
	v_ldexp_f64 v[6:7], v[6:7], 32
	v_add_f64 v[5:6], v[6:7], v[8:9]
	s_branch .LBB87_967
.LBB87_965:
	s_mov_b64 s[62:63], -1
                                        ; implicit-def: $vgpr5_vgpr6
.LBB87_966:
	s_mov_b64 s[6:7], 0
.LBB87_967:
	s_and_b64 vcc, exec, s[6:7]
	s_cbranch_vccz .LBB87_987
; %bb.968:
	s_cmp_lt_i32 s66, 27
	s_cbranch_scc1 .LBB87_971
; %bb.969:
	s_cmp_gt_i32 s66, 27
	s_cbranch_scc0 .LBB87_972
; %bb.970:
	global_load_dword v5, v[3:4], off
	s_mov_b64 s[2:3], 0
	s_waitcnt vmcnt(0)
	v_cvt_f64_u32_e32 v[5:6], v5
	s_branch .LBB87_973
.LBB87_971:
	s_mov_b64 s[2:3], -1
                                        ; implicit-def: $vgpr5_vgpr6
	s_branch .LBB87_976
.LBB87_972:
	s_mov_b64 s[2:3], -1
                                        ; implicit-def: $vgpr5_vgpr6
.LBB87_973:
	s_andn2_b64 vcc, exec, s[2:3]
	s_cbranch_vccnz .LBB87_975
; %bb.974:
	global_load_ushort v5, v[3:4], off
	s_waitcnt vmcnt(0)
	v_cvt_f64_u32_e32 v[5:6], v5
.LBB87_975:
	s_mov_b64 s[2:3], 0
.LBB87_976:
	s_andn2_b64 vcc, exec, s[2:3]
	s_cbranch_vccnz .LBB87_986
; %bb.977:
	global_load_ubyte v7, v[3:4], off
	s_movk_i32 s2, 0x7f
	s_waitcnt vmcnt(0)
	v_cmp_lt_i16_e32 vcc, s2, v7
	s_mov_b64 s[2:3], 0
	s_and_saveexec_b64 s[6:7], vcc
	s_xor_b64 s[6:7], exec, s[6:7]
	s_cbranch_execz .LBB87_981
; %bb.978:
	s_movk_i32 s2, 0x80
	v_cmp_eq_u16_e32 vcc, s2, v7
	s_mov_b64 s[2:3], -1
	s_and_saveexec_b64 s[64:65], vcc
; %bb.979:
	s_xor_b64 s[2:3], exec, -1
; %bb.980:
	s_or_b64 exec, exec, s[64:65]
	s_and_b64 s[2:3], s[2:3], exec
.LBB87_981:
	s_or_saveexec_b64 s[6:7], s[6:7]
	v_bfrev_b32_e32 v5, 4
	v_mov_b32_e32 v6, 0x7ff80000
	s_xor_b64 exec, exec, s[6:7]
; %bb.982:
	v_cmp_ne_u16_e32 vcc, 0, v7
	v_mov_b32_e32 v5, 0
	s_andn2_b64 s[2:3], s[2:3], exec
	s_and_b64 s[64:65], vcc, exec
	v_mov_b32_e32 v6, 0
	s_or_b64 s[2:3], s[2:3], s[64:65]
; %bb.983:
	s_or_b64 exec, exec, s[6:7]
	s_and_saveexec_b64 s[6:7], s[2:3]
	s_cbranch_execz .LBB87_985
; %bb.984:
	v_and_b32_e32 v6, 0xffff, v7
	v_lshlrev_b32_e32 v5, 24, v7
	v_and_b32_e32 v7, 7, v6
	v_ffbh_u32_e32 v9, v7
	v_min_u32_e32 v9, 32, v9
	v_subrev_u32_e32 v11, 28, v9
	v_bfe_u32 v8, v6, 3, 4
	v_lshlrev_b32_e32 v6, v11, v6
	v_sub_u32_e32 v9, 29, v9
	v_and_b32_e32 v6, 7, v6
	v_cmp_eq_u32_e32 vcc, 0, v8
	v_cndmask_b32_e32 v8, v8, v9, vcc
	v_cndmask_b32_e32 v6, v7, v6, vcc
	v_mov_b32_e32 v7, 0x3b800000
	v_lshlrev_b32_e32 v6, 20, v6
	v_and_b32_e32 v5, 0x80000000, v5
	v_lshl_add_u32 v7, v8, 23, v7
	v_or3_b32 v5, v5, v7, v6
	v_cvt_f64_f32_e32 v[5:6], v5
.LBB87_985:
	s_or_b64 exec, exec, s[6:7]
.LBB87_986:
	s_mov_b64 s[2:3], -1
.LBB87_987:
	s_mov_b64 s[6:7], 0
.LBB87_988:
	s_and_b64 vcc, exec, s[6:7]
	s_cbranch_vccz .LBB87_1021
; %bb.989:
	s_cmp_gt_i32 s66, 22
	s_cbranch_scc0 .LBB87_1001
; %bb.990:
	s_cmp_lt_i32 s66, 24
	s_cbranch_scc1 .LBB87_1002
; %bb.991:
	s_cmp_gt_i32 s66, 24
	s_cbranch_scc0 .LBB87_1003
; %bb.992:
	global_load_ubyte v7, v[3:4], off
	s_movk_i32 s2, 0x7f
	s_waitcnt vmcnt(0)
	v_cmp_lt_i16_e32 vcc, s2, v7
	s_mov_b64 s[2:3], 0
	s_and_saveexec_b64 s[6:7], vcc
	s_xor_b64 s[6:7], exec, s[6:7]
	s_cbranch_execz .LBB87_996
; %bb.993:
	s_movk_i32 s2, 0x80
	v_cmp_eq_u16_e32 vcc, s2, v7
	s_mov_b64 s[2:3], -1
	s_and_saveexec_b64 s[64:65], vcc
; %bb.994:
	s_xor_b64 s[2:3], exec, -1
; %bb.995:
	s_or_b64 exec, exec, s[64:65]
	s_and_b64 s[2:3], s[2:3], exec
.LBB87_996:
	s_or_saveexec_b64 s[6:7], s[6:7]
	v_bfrev_b32_e32 v5, 4
	v_mov_b32_e32 v6, 0x7ff80000
	s_xor_b64 exec, exec, s[6:7]
; %bb.997:
	v_cmp_ne_u16_e32 vcc, 0, v7
	v_mov_b32_e32 v5, 0
	s_andn2_b64 s[2:3], s[2:3], exec
	s_and_b64 s[64:65], vcc, exec
	v_mov_b32_e32 v6, 0
	s_or_b64 s[2:3], s[2:3], s[64:65]
; %bb.998:
	s_or_b64 exec, exec, s[6:7]
	s_and_saveexec_b64 s[6:7], s[2:3]
	s_cbranch_execz .LBB87_1000
; %bb.999:
	v_and_b32_e32 v6, 0xffff, v7
	v_lshlrev_b32_e32 v5, 24, v7
	v_and_b32_e32 v7, 3, v6
	v_ffbh_u32_e32 v9, v7
	v_min_u32_e32 v9, 32, v9
	v_subrev_u32_e32 v11, 29, v9
	v_bfe_u32 v8, v6, 2, 5
	v_lshlrev_b32_e32 v6, v11, v6
	v_sub_u32_e32 v9, 30, v9
	v_and_b32_e32 v6, 3, v6
	v_cmp_eq_u32_e32 vcc, 0, v8
	v_cndmask_b32_e32 v8, v8, v9, vcc
	v_cndmask_b32_e32 v6, v7, v6, vcc
	v_mov_b32_e32 v7, 0x37800000
	v_lshlrev_b32_e32 v6, 21, v6
	v_and_b32_e32 v5, 0x80000000, v5
	v_lshl_add_u32 v7, v8, 23, v7
	v_or3_b32 v5, v5, v7, v6
	v_cvt_f64_f32_e32 v[5:6], v5
.LBB87_1000:
	s_or_b64 exec, exec, s[6:7]
	s_mov_b64 s[2:3], 0
	s_branch .LBB87_1004
.LBB87_1001:
	s_mov_b64 s[6:7], -1
                                        ; implicit-def: $vgpr5_vgpr6
	s_branch .LBB87_1010
.LBB87_1002:
	s_mov_b64 s[2:3], -1
                                        ; implicit-def: $vgpr5_vgpr6
	s_branch .LBB87_1007
.LBB87_1003:
	s_mov_b64 s[2:3], -1
                                        ; implicit-def: $vgpr5_vgpr6
.LBB87_1004:
	s_and_b64 vcc, exec, s[2:3]
	s_cbranch_vccz .LBB87_1006
; %bb.1005:
	global_load_ubyte v5, v[3:4], off
	s_mov_b32 s2, 0x7f800000
	s_waitcnt vmcnt(0)
	v_lshlrev_b32_e32 v5, 24, v5
	v_and_b32_e32 v6, 0x7f000000, v5
	v_ffbh_u32_e32 v7, v6
	v_min_u32_e32 v7, 32, v7
	v_sub_u32_e64 v7, v7, 4 clamp
	v_lshlrev_b32_e32 v9, v7, v6
	v_lshlrev_b32_e32 v7, 23, v7
	v_lshrrev_b32_e32 v9, 4, v9
	v_add_u32_e32 v8, 0x1000000, v6
	v_sub_u32_e32 v7, v9, v7
	v_ashrrev_i32_e32 v8, 8, v8
	v_add_u32_e32 v7, 0x3c000000, v7
	v_and_or_b32 v7, v8, s2, v7
	v_cmp_ne_u32_e32 vcc, 0, v6
	v_cndmask_b32_e32 v6, 0, v7, vcc
	s_brev_b32 s2, 1
	v_and_or_b32 v5, v5, s2, v6
	v_cvt_f64_f32_e32 v[5:6], v5
.LBB87_1006:
	s_mov_b64 s[2:3], 0
.LBB87_1007:
	s_andn2_b64 vcc, exec, s[2:3]
	s_cbranch_vccnz .LBB87_1009
; %bb.1008:
	global_load_ubyte v5, v[3:4], off
	s_movk_i32 s2, 0x7f00
	s_brev_b32 s3, 16
	s_waitcnt vmcnt(0)
	v_lshlrev_b16_e32 v6, 8, v5
	v_lshlrev_b32_e32 v5, 25, v5
	v_lshrrev_b32_e32 v7, 4, v5
	v_and_or_b32 v8, v6, s2, 0.5
	v_or_b32_e32 v7, 0x70000000, v7
	v_add_f32_e32 v8, -0.5, v8
	v_mul_f32_e32 v7, 0x7800000, v7
	v_cmp_gt_u32_e32 vcc, s3, v5
	v_bfe_i32 v6, v6, 0, 16
	v_cndmask_b32_e32 v5, v7, v8, vcc
	s_brev_b32 s2, 1
	v_and_or_b32 v5, v6, s2, v5
	v_cvt_f64_f32_e32 v[5:6], v5
.LBB87_1009:
	s_mov_b64 s[6:7], 0
	s_mov_b64 s[2:3], -1
.LBB87_1010:
	s_andn2_b64 vcc, exec, s[6:7]
	s_cbranch_vccnz .LBB87_1021
; %bb.1011:
	s_cmp_gt_i32 s66, 14
	s_cbranch_scc0 .LBB87_1014
; %bb.1012:
	s_cmp_eq_u32 s66, 15
	s_cbranch_scc0 .LBB87_1015
; %bb.1013:
	global_load_ushort v5, v[3:4], off
	s_mov_b64 s[2:3], -1
	s_mov_b64 s[62:63], 0
	s_waitcnt vmcnt(0)
	v_lshlrev_b32_e32 v5, 16, v5
	v_cvt_f64_f32_e32 v[5:6], v5
	s_branch .LBB87_1016
.LBB87_1014:
	s_mov_b64 s[6:7], -1
                                        ; implicit-def: $vgpr5_vgpr6
	s_branch .LBB87_1017
.LBB87_1015:
	s_mov_b64 s[62:63], -1
                                        ; implicit-def: $vgpr5_vgpr6
.LBB87_1016:
	s_mov_b64 s[6:7], 0
.LBB87_1017:
	s_and_b64 vcc, exec, s[6:7]
	s_cbranch_vccz .LBB87_1021
; %bb.1018:
	s_cmp_eq_u32 s66, 11
	s_cbranch_scc0 .LBB87_1020
; %bb.1019:
	global_load_ubyte v6, v[3:4], off
	v_mov_b32_e32 v7, 0x3ff00000
	v_mov_b32_e32 v5, 0
	s_mov_b64 s[2:3], -1
	s_mov_b64 s[62:63], 0
	s_waitcnt vmcnt(0)
	v_cmp_ne_u16_e32 vcc, 0, v6
	v_cndmask_b32_e32 v6, 0, v7, vcc
	s_branch .LBB87_1021
.LBB87_1020:
	s_mov_b64 s[62:63], -1
                                        ; implicit-def: $vgpr5_vgpr6
.LBB87_1021:
	s_mov_b64 s[6:7], 0
.LBB87_1022:
	s_and_b64 vcc, exec, s[6:7]
	s_cbranch_vccz .LBB87_1071
; %bb.1023:
	s_and_b32 s6, 0xffff, s14
	s_cmp_lt_i32 s6, 5
	s_cbranch_scc1 .LBB87_1028
; %bb.1024:
	s_cmp_lt_i32 s6, 8
	s_cbranch_scc1 .LBB87_1029
; %bb.1025:
	;; [unrolled: 3-line block ×3, first 2 shown]
	s_cmp_gt_i32 s6, 9
	s_cbranch_scc0 .LBB87_1031
; %bb.1027:
	global_load_dwordx2 v[5:6], v[3:4], off
	s_mov_b64 s[2:3], 0
	s_branch .LBB87_1032
.LBB87_1028:
	s_mov_b64 s[2:3], -1
                                        ; implicit-def: $vgpr5_vgpr6
	s_branch .LBB87_1050
.LBB87_1029:
	s_mov_b64 s[2:3], -1
                                        ; implicit-def: $vgpr5_vgpr6
	s_branch .LBB87_1038
.LBB87_1030:
	s_mov_b64 s[2:3], -1
                                        ; implicit-def: $vgpr5_vgpr6
	s_branch .LBB87_1035
.LBB87_1031:
	s_mov_b64 s[2:3], -1
                                        ; implicit-def: $vgpr5_vgpr6
.LBB87_1032:
	s_andn2_b64 vcc, exec, s[2:3]
	s_cbranch_vccnz .LBB87_1034
; %bb.1033:
	global_load_dword v5, v[3:4], off
	s_waitcnt vmcnt(0)
	v_cvt_f64_f32_e32 v[5:6], v5
.LBB87_1034:
	s_mov_b64 s[2:3], 0
.LBB87_1035:
	s_andn2_b64 vcc, exec, s[2:3]
	s_cbranch_vccnz .LBB87_1037
; %bb.1036:
	global_load_dword v5, v[3:4], off
	s_waitcnt vmcnt(0)
	v_cvt_f32_f16_e32 v5, v5
	v_cvt_f64_f32_e32 v[5:6], v5
.LBB87_1037:
	s_mov_b64 s[2:3], 0
.LBB87_1038:
	s_andn2_b64 vcc, exec, s[2:3]
	s_cbranch_vccnz .LBB87_1049
; %bb.1039:
	s_cmp_lt_i32 s6, 6
	s_cbranch_scc1 .LBB87_1042
; %bb.1040:
	s_cmp_gt_i32 s6, 6
	s_cbranch_scc0 .LBB87_1043
; %bb.1041:
	global_load_dwordx2 v[5:6], v[3:4], off
	s_mov_b64 s[2:3], 0
	s_branch .LBB87_1044
.LBB87_1042:
	s_mov_b64 s[2:3], -1
                                        ; implicit-def: $vgpr5_vgpr6
	s_branch .LBB87_1047
.LBB87_1043:
	s_mov_b64 s[2:3], -1
                                        ; implicit-def: $vgpr5_vgpr6
.LBB87_1044:
	s_andn2_b64 vcc, exec, s[2:3]
	s_cbranch_vccnz .LBB87_1046
; %bb.1045:
	global_load_dword v5, v[3:4], off
	s_waitcnt vmcnt(0)
	v_cvt_f64_f32_e32 v[5:6], v5
.LBB87_1046:
	s_mov_b64 s[2:3], 0
.LBB87_1047:
	s_andn2_b64 vcc, exec, s[2:3]
	s_cbranch_vccnz .LBB87_1049
; %bb.1048:
	global_load_ushort v5, v[3:4], off
	s_waitcnt vmcnt(0)
	v_cvt_f32_f16_e32 v5, v5
	v_cvt_f64_f32_e32 v[5:6], v5
.LBB87_1049:
	s_mov_b64 s[2:3], 0
.LBB87_1050:
	s_andn2_b64 vcc, exec, s[2:3]
	s_cbranch_vccnz .LBB87_1070
; %bb.1051:
	s_cmp_lt_i32 s6, 2
	s_cbranch_scc1 .LBB87_1055
; %bb.1052:
	s_cmp_lt_i32 s6, 3
	s_cbranch_scc1 .LBB87_1056
; %bb.1053:
	s_cmp_gt_i32 s6, 3
	s_cbranch_scc0 .LBB87_1057
; %bb.1054:
	global_load_dwordx2 v[5:6], v[3:4], off
	s_mov_b64 s[2:3], 0
	s_waitcnt vmcnt(0)
	v_cvt_f64_i32_e32 v[6:7], v6
	v_cvt_f64_u32_e32 v[8:9], v5
	v_ldexp_f64 v[6:7], v[6:7], 32
	v_add_f64 v[5:6], v[6:7], v[8:9]
	s_branch .LBB87_1058
.LBB87_1055:
	s_mov_b64 s[2:3], -1
                                        ; implicit-def: $vgpr5_vgpr6
	s_branch .LBB87_1064
.LBB87_1056:
	s_mov_b64 s[2:3], -1
                                        ; implicit-def: $vgpr5_vgpr6
	s_branch .LBB87_1061
.LBB87_1057:
	s_mov_b64 s[2:3], -1
                                        ; implicit-def: $vgpr5_vgpr6
.LBB87_1058:
	s_andn2_b64 vcc, exec, s[2:3]
	s_cbranch_vccnz .LBB87_1060
; %bb.1059:
	global_load_dword v5, v[3:4], off
	s_waitcnt vmcnt(0)
	v_cvt_f64_i32_e32 v[5:6], v5
.LBB87_1060:
	s_mov_b64 s[2:3], 0
.LBB87_1061:
	s_andn2_b64 vcc, exec, s[2:3]
	s_cbranch_vccnz .LBB87_1063
; %bb.1062:
	global_load_sshort v5, v[3:4], off
	s_waitcnt vmcnt(0)
	v_cvt_f64_i32_e32 v[5:6], v5
.LBB87_1063:
	s_mov_b64 s[2:3], 0
.LBB87_1064:
	s_andn2_b64 vcc, exec, s[2:3]
	s_cbranch_vccnz .LBB87_1070
; %bb.1065:
	s_cmp_gt_i32 s6, 0
	s_cbranch_scc0 .LBB87_1067
; %bb.1066:
	global_load_sbyte v5, v[3:4], off
	s_mov_b64 s[2:3], 0
	s_waitcnt vmcnt(0)
	v_cvt_f64_i32_e32 v[5:6], v5
	s_branch .LBB87_1068
.LBB87_1067:
	s_mov_b64 s[2:3], -1
                                        ; implicit-def: $vgpr5_vgpr6
.LBB87_1068:
	s_andn2_b64 vcc, exec, s[2:3]
	s_cbranch_vccnz .LBB87_1070
; %bb.1069:
	global_load_ubyte v3, v[3:4], off
	s_waitcnt vmcnt(0)
	v_cvt_f64_u32_e32 v[5:6], v3
.LBB87_1070:
	s_mov_b64 s[2:3], -1
.LBB87_1071:
	s_andn2_b64 vcc, exec, s[2:3]
	s_cbranch_vccnz .LBB87_1079
; %bb.1072:
	s_waitcnt vmcnt(0)
	v_cmp_eq_f64_e32 vcc, v[1:2], v[5:6]
	s_and_b32 s14, s15, 0xff
	s_cmp_lt_i32 s14, 11
	v_cndmask_b32_e64 v3, 0, 1, vcc
	v_cmp_neq_f64_e32 vcc, v[1:2], v[5:6]
	v_cndmask_b32_e64 v1, 0, 1, vcc
	v_cndmask_b32_e64 v1, v1, v3, s[0:1]
	v_and_b32_e32 v1, 1, v1
	v_cmp_eq_u32_e64 s[2:3], 1, v1
	v_mov_b32_e32 v1, s9
	v_add_co_u32_e32 v0, vcc, s8, v0
	v_addc_co_u32_e32 v1, vcc, 0, v1, vcc
	s_cbranch_scc1 .LBB87_1080
; %bb.1073:
	s_and_b32 s71, 0xffff, s14
	s_cmp_gt_i32 s71, 25
	s_cbranch_scc0 .LBB87_1081
; %bb.1074:
	s_cmp_gt_i32 s71, 28
	s_cbranch_scc0 .LBB87_1082
; %bb.1075:
	;; [unrolled: 3-line block ×4, first 2 shown]
	s_mov_b64 s[66:67], 0
	s_mov_b64 s[6:7], -1
	s_cmp_eq_u32 s71, 46
	s_mov_b64 s[64:65], 0
	s_cbranch_scc0 .LBB87_1085
; %bb.1078:
	v_cndmask_b32_e64 v2, 0, 1.0, s[2:3]
	v_bfe_u32 v3, v2, 16, 1
	s_movk_i32 s6, 0x7fff
	v_add3_u32 v2, v2, v3, s6
	v_lshrrev_b32_e32 v2, 16, v2
	global_store_dword v[0:1], v2, off
	s_mov_b64 s[64:65], -1
	s_mov_b64 s[6:7], 0
	s_branch .LBB87_1085
.LBB87_1079:
	s_mov_b64 s[66:67], 0
                                        ; implicit-def: $vgpr10
	s_mov_b64 s[6:7], s[54:55]
	s_branch .LBB87_1195
.LBB87_1080:
	s_mov_b64 s[66:67], -1
	s_mov_b64 s[64:65], 0
	s_mov_b64 s[6:7], s[54:55]
	s_branch .LBB87_1154
.LBB87_1081:
	s_mov_b64 s[66:67], -1
	s_mov_b64 s[64:65], 0
	s_mov_b64 s[6:7], s[54:55]
	s_branch .LBB87_1112
.LBB87_1082:
	s_mov_b64 s[66:67], -1
	s_mov_b64 s[64:65], 0
	s_mov_b64 s[6:7], s[54:55]
	s_branch .LBB87_1095
.LBB87_1083:
	s_mov_b64 s[66:67], -1
	s_mov_b64 s[64:65], 0
	s_mov_b64 s[6:7], s[54:55]
	s_branch .LBB87_1091
.LBB87_1084:
	s_mov_b64 s[66:67], -1
	s_mov_b64 s[64:65], 0
	s_mov_b64 s[6:7], s[54:55]
.LBB87_1085:
	s_and_b64 vcc, exec, s[66:67]
	s_cbranch_vccz .LBB87_1090
; %bb.1086:
	s_cmp_eq_u32 s71, 44
	s_mov_b64 s[6:7], -1
	s_cbranch_scc0 .LBB87_1090
; %bb.1087:
	v_cndmask_b32_e64 v3, 0, 1.0, s[2:3]
	v_lshrrev_b32_e32 v2, 23, v3
	s_movk_i32 s6, 0xff
	v_cmp_ne_u32_e32 vcc, s6, v2
	v_mov_b32_e32 v4, 0xff
	s_and_saveexec_b64 s[64:65], vcc
; %bb.1088:
	s_mov_b32 s6, 0x3fffff
	v_and_b32_e32 v4, 0x400000, v3
	v_and_or_b32 v3, v3, s6, v2
	v_cmp_ne_u32_e32 vcc, 0, v4
	v_cmp_ne_u32_e64 s[6:7], 0, v3
	s_and_b64 s[6:7], vcc, s[6:7]
	v_cndmask_b32_e64 v3, 0, 1, s[6:7]
	v_add_u32_e32 v4, v2, v3
; %bb.1089:
	s_or_b64 exec, exec, s[64:65]
	s_mov_b64 s[64:65], -1
	s_mov_b64 s[6:7], 0
	global_store_byte v[0:1], v4, off
.LBB87_1090:
	s_mov_b64 s[66:67], 0
.LBB87_1091:
	s_and_b64 vcc, exec, s[66:67]
	s_cbranch_vccz .LBB87_1094
; %bb.1092:
	s_cmp_eq_u32 s71, 29
	s_mov_b64 s[6:7], -1
	s_cbranch_scc0 .LBB87_1094
; %bb.1093:
	s_mov_b32 s6, 0
	v_cndmask_b32_e64 v2, 0, 1, s[2:3]
	v_mov_b32_e32 v3, s6
	global_store_dwordx2 v[0:1], v[2:3], off
	s_mov_b64 s[64:65], -1
	s_mov_b64 s[6:7], 0
.LBB87_1094:
	s_mov_b64 s[66:67], 0
.LBB87_1095:
	s_and_b64 vcc, exec, s[66:67]
	s_cbranch_vccz .LBB87_1111
; %bb.1096:
	s_cmp_lt_i32 s71, 27
	s_mov_b64 s[64:65], -1
	s_cbranch_scc1 .LBB87_1102
; %bb.1097:
	s_cmp_gt_i32 s71, 27
	s_cbranch_scc0 .LBB87_1099
; %bb.1098:
	v_cndmask_b32_e64 v2, 0, 1, s[2:3]
	s_mov_b64 s[64:65], 0
	global_store_dword v[0:1], v2, off
.LBB87_1099:
	s_andn2_b64 vcc, exec, s[64:65]
	s_cbranch_vccnz .LBB87_1101
; %bb.1100:
	v_cndmask_b32_e64 v2, 0, 1, s[2:3]
	global_store_short v[0:1], v2, off
.LBB87_1101:
	s_mov_b64 s[64:65], 0
.LBB87_1102:
	s_andn2_b64 vcc, exec, s[64:65]
	s_cbranch_vccnz .LBB87_1110
; %bb.1103:
	v_cndmask_b32_e64 v3, 0, 1.0, s[2:3]
	s_mov_b32 s64, 0x43800000
	v_cmp_gt_u32_e32 vcc, s64, v3
	v_mov_b32_e32 v4, 0x80
	s_and_saveexec_b64 s[64:65], vcc
	s_cbranch_execz .LBB87_1109
; %bb.1104:
	s_mov_b32 s66, 0x3bffffff
	v_cmp_lt_u32_e32 vcc, s66, v3
	s_mov_b64 s[66:67], 0
                                        ; implicit-def: $vgpr2
	s_and_saveexec_b64 s[68:69], vcc
	s_xor_b64 s[68:69], exec, s[68:69]
	s_cbranch_execz .LBB87_1223
; %bb.1105:
	v_bfe_u32 v2, v3, 20, 1
	s_mov_b32 s76, 0x487ffff
	v_add3_u32 v2, v3, v2, s76
	s_mov_b64 s[66:67], exec
	v_lshrrev_b32_e32 v2, 20, v2
                                        ; implicit-def: $vgpr3
	s_andn2_saveexec_b64 s[68:69], s[68:69]
	s_cbranch_execnz .LBB87_1224
.LBB87_1106:
	s_or_b64 exec, exec, s[68:69]
	v_mov_b32_e32 v4, 0
	s_and_saveexec_b64 s[68:69], s[66:67]
.LBB87_1107:
	v_mov_b32_e32 v4, v2
.LBB87_1108:
	s_or_b64 exec, exec, s[68:69]
.LBB87_1109:
	s_or_b64 exec, exec, s[64:65]
	global_store_byte v[0:1], v4, off
.LBB87_1110:
	s_mov_b64 s[64:65], -1
.LBB87_1111:
	s_mov_b64 s[66:67], 0
.LBB87_1112:
	s_and_b64 vcc, exec, s[66:67]
	s_cbranch_vccz .LBB87_1153
; %bb.1113:
	s_cmp_gt_i32 s71, 22
	s_mov_b64 s[66:67], -1
	s_cbranch_scc0 .LBB87_1145
; %bb.1114:
	s_cmp_lt_i32 s71, 24
	s_mov_b64 s[64:65], -1
	s_cbranch_scc1 .LBB87_1134
; %bb.1115:
	s_cmp_gt_i32 s71, 24
	s_cbranch_scc0 .LBB87_1123
; %bb.1116:
	v_cndmask_b32_e64 v3, 0, 1.0, s[2:3]
	s_mov_b32 s64, 0x47800000
	v_cmp_gt_u32_e32 vcc, s64, v3
	v_mov_b32_e32 v4, 0x80
	s_and_saveexec_b64 s[64:65], vcc
	s_cbranch_execz .LBB87_1122
; %bb.1117:
	s_mov_b32 s66, 0x37ffffff
	v_cmp_lt_u32_e32 vcc, s66, v3
	s_mov_b64 s[66:67], 0
                                        ; implicit-def: $vgpr2
	s_and_saveexec_b64 s[68:69], vcc
	s_xor_b64 s[68:69], exec, s[68:69]
	s_cbranch_execz .LBB87_2289
; %bb.1118:
	v_bfe_u32 v2, v3, 21, 1
	s_mov_b32 s76, 0x88fffff
	v_add3_u32 v2, v3, v2, s76
	s_mov_b64 s[66:67], exec
	v_lshrrev_b32_e32 v2, 21, v2
                                        ; implicit-def: $vgpr3
	s_andn2_saveexec_b64 s[68:69], s[68:69]
	s_cbranch_execnz .LBB87_2290
.LBB87_1119:
	s_or_b64 exec, exec, s[68:69]
	v_mov_b32_e32 v4, 0
	s_and_saveexec_b64 s[68:69], s[66:67]
.LBB87_1120:
	v_mov_b32_e32 v4, v2
.LBB87_1121:
	s_or_b64 exec, exec, s[68:69]
.LBB87_1122:
	s_or_b64 exec, exec, s[64:65]
	s_mov_b64 s[64:65], 0
	global_store_byte v[0:1], v4, off
.LBB87_1123:
	s_and_b64 vcc, exec, s[64:65]
	s_cbranch_vccz .LBB87_1133
; %bb.1124:
	v_cndmask_b32_e64 v2, 0, 1.0, s[2:3]
	s_mov_b32 s64, 0x43f00000
	v_cmp_gt_u32_e32 vcc, s64, v2
                                        ; implicit-def: $vgpr3
	s_and_saveexec_b64 s[64:65], vcc
	s_xor_b64 s[64:65], exec, s[64:65]
	s_cbranch_execz .LBB87_1130
; %bb.1125:
	s_mov_b32 s66, 0x3c7fffff
	v_cmp_lt_u32_e32 vcc, s66, v2
                                        ; implicit-def: $vgpr3
	s_and_saveexec_b64 s[66:67], vcc
	s_xor_b64 s[66:67], exec, s[66:67]
; %bb.1126:
	v_bfe_u32 v3, v2, 20, 1
	s_mov_b32 s68, 0x407ffff
	v_add3_u32 v2, v2, v3, s68
	v_lshrrev_b32_e32 v3, 20, v2
	v_and_b32_e32 v2, 0xff00000, v2
	s_mov_b32 s68, 0x7f00000
	v_mov_b32_e32 v4, 0x7e
	v_cmp_ne_u32_e32 vcc, s68, v2
	v_cndmask_b32_e32 v3, v4, v3, vcc
                                        ; implicit-def: $vgpr2
; %bb.1127:
	s_andn2_saveexec_b64 s[66:67], s[66:67]
; %bb.1128:
	v_add_f32_e32 v3, 0x46800000, v2
; %bb.1129:
	s_or_b64 exec, exec, s[66:67]
                                        ; implicit-def: $vgpr2
.LBB87_1130:
	s_andn2_saveexec_b64 s[64:65], s[64:65]
; %bb.1131:
	s_mov_b32 s66, 0x7f800000
	v_mov_b32_e32 v3, 0x7e
	v_mov_b32_e32 v4, 0x7f
	v_cmp_lt_u32_e32 vcc, s66, v2
	v_cndmask_b32_e32 v3, v3, v4, vcc
; %bb.1132:
	s_or_b64 exec, exec, s[64:65]
	global_store_byte v[0:1], v3, off
.LBB87_1133:
	s_mov_b64 s[64:65], 0
.LBB87_1134:
	s_andn2_b64 vcc, exec, s[64:65]
	s_cbranch_vccnz .LBB87_1144
; %bb.1135:
	v_cndmask_b32_e64 v2, 0, 1.0, s[2:3]
	s_mov_b32 s64, 0x47800000
	v_cmp_gt_u32_e32 vcc, s64, v2
                                        ; implicit-def: $vgpr3
	s_and_saveexec_b64 s[64:65], vcc
	s_xor_b64 s[64:65], exec, s[64:65]
	s_cbranch_execz .LBB87_1141
; %bb.1136:
	s_mov_b32 s66, 0x387fffff
	v_cmp_lt_u32_e32 vcc, s66, v2
                                        ; implicit-def: $vgpr3
	s_and_saveexec_b64 s[66:67], vcc
	s_xor_b64 s[66:67], exec, s[66:67]
; %bb.1137:
	v_bfe_u32 v3, v2, 21, 1
	s_mov_b32 s68, 0x80fffff
	v_add3_u32 v2, v2, v3, s68
	v_lshrrev_b32_e32 v3, 21, v2
                                        ; implicit-def: $vgpr2
; %bb.1138:
	s_andn2_saveexec_b64 s[66:67], s[66:67]
; %bb.1139:
	v_add_f32_e32 v3, 0x43000000, v2
; %bb.1140:
	s_or_b64 exec, exec, s[66:67]
                                        ; implicit-def: $vgpr2
.LBB87_1141:
	s_andn2_saveexec_b64 s[64:65], s[64:65]
; %bb.1142:
	s_mov_b32 s66, 0x7f800000
	v_mov_b32_e32 v3, 0x7c
	v_mov_b32_e32 v4, 0x7f
	v_cmp_lt_u32_e32 vcc, s66, v2
	v_cndmask_b32_e32 v3, v3, v4, vcc
; %bb.1143:
	s_or_b64 exec, exec, s[64:65]
	global_store_byte v[0:1], v3, off
.LBB87_1144:
	s_mov_b64 s[66:67], 0
	s_mov_b64 s[64:65], -1
.LBB87_1145:
	s_andn2_b64 vcc, exec, s[66:67]
	s_cbranch_vccnz .LBB87_1153
; %bb.1146:
	s_cmp_gt_i32 s71, 14
	s_mov_b64 s[66:67], -1
	s_cbranch_scc0 .LBB87_1150
; %bb.1147:
	s_cmp_eq_u32 s71, 15
	s_mov_b64 s[6:7], -1
	s_cbranch_scc0 .LBB87_1149
; %bb.1148:
	v_cndmask_b32_e64 v2, 0, 1.0, s[2:3]
	v_bfe_u32 v3, v2, 16, 1
	s_movk_i32 s6, 0x7fff
	v_add3_u32 v2, v2, v3, s6
	global_store_short_d16_hi v[0:1], v2, off
	s_mov_b64 s[64:65], -1
	s_mov_b64 s[6:7], 0
.LBB87_1149:
	s_mov_b64 s[66:67], 0
.LBB87_1150:
	s_and_b64 vcc, exec, s[66:67]
	s_cbranch_vccz .LBB87_1153
; %bb.1151:
	s_cmp_eq_u32 s71, 11
	s_mov_b64 s[6:7], -1
	s_cbranch_scc0 .LBB87_1153
; %bb.1152:
	v_cndmask_b32_e64 v2, 0, 1, s[2:3]
	s_mov_b64 s[64:65], -1
	s_mov_b64 s[6:7], 0
	global_store_byte v[0:1], v2, off
.LBB87_1153:
	s_mov_b64 s[66:67], 0
.LBB87_1154:
	s_and_b64 vcc, exec, s[66:67]
	s_cbranch_vccz .LBB87_1193
; %bb.1155:
	s_and_b32 s14, 0xffff, s14
	s_cmp_lt_i32 s14, 5
	s_mov_b64 s[64:65], -1
	s_cbranch_scc1 .LBB87_1176
; %bb.1156:
	s_cmp_lt_i32 s14, 8
	s_cbranch_scc1 .LBB87_1166
; %bb.1157:
	s_cmp_lt_i32 s14, 9
	s_cbranch_scc1 .LBB87_1163
; %bb.1158:
	s_cmp_gt_i32 s14, 9
	s_cbranch_scc0 .LBB87_1160
; %bb.1159:
	v_cndmask_b32_e64 v2, 0, 1, s[2:3]
	v_cvt_f64_u32_e32 v[2:3], v2
	v_mov_b32_e32 v4, 0
	v_mov_b32_e32 v5, v4
	s_mov_b64 s[64:65], 0
	global_store_dwordx4 v[0:1], v[2:5], off
.LBB87_1160:
	s_andn2_b64 vcc, exec, s[64:65]
	s_cbranch_vccnz .LBB87_1162
; %bb.1161:
	v_cndmask_b32_e64 v2, 0, 1.0, s[2:3]
	v_mov_b32_e32 v3, 0
	global_store_dwordx2 v[0:1], v[2:3], off
.LBB87_1162:
	s_mov_b64 s[64:65], 0
.LBB87_1163:
	s_andn2_b64 vcc, exec, s[64:65]
	s_cbranch_vccnz .LBB87_1165
; %bb.1164:
	v_cndmask_b32_e64 v2, 0, 1.0, s[2:3]
	v_cvt_f16_f32_e32 v2, v2
	global_store_dword v[0:1], v2, off
.LBB87_1165:
	s_mov_b64 s[64:65], 0
.LBB87_1166:
	s_andn2_b64 vcc, exec, s[64:65]
	s_cbranch_vccnz .LBB87_1175
; %bb.1167:
	s_cmp_lt_i32 s14, 6
	s_mov_b64 s[64:65], -1
	s_cbranch_scc1 .LBB87_1173
; %bb.1168:
	s_cmp_gt_i32 s14, 6
	s_cbranch_scc0 .LBB87_1170
; %bb.1169:
	v_cndmask_b32_e64 v2, 0, 1, s[2:3]
	v_cvt_f64_u32_e32 v[2:3], v2
	s_mov_b64 s[64:65], 0
	global_store_dwordx2 v[0:1], v[2:3], off
.LBB87_1170:
	s_andn2_b64 vcc, exec, s[64:65]
	s_cbranch_vccnz .LBB87_1172
; %bb.1171:
	v_cndmask_b32_e64 v2, 0, 1.0, s[2:3]
	global_store_dword v[0:1], v2, off
.LBB87_1172:
	s_mov_b64 s[64:65], 0
.LBB87_1173:
	s_andn2_b64 vcc, exec, s[64:65]
	s_cbranch_vccnz .LBB87_1175
; %bb.1174:
	v_cndmask_b32_e64 v2, 0, 1.0, s[2:3]
	v_cvt_f16_f32_e32 v2, v2
	global_store_short v[0:1], v2, off
.LBB87_1175:
	s_mov_b64 s[64:65], 0
.LBB87_1176:
	s_andn2_b64 vcc, exec, s[64:65]
	s_cbranch_vccnz .LBB87_1192
; %bb.1177:
	s_cmp_lt_i32 s14, 2
	s_mov_b64 s[64:65], -1
	s_cbranch_scc1 .LBB87_1187
; %bb.1178:
	s_cmp_lt_i32 s14, 3
	s_cbranch_scc1 .LBB87_1184
; %bb.1179:
	s_cmp_gt_i32 s14, 3
	s_cbranch_scc0 .LBB87_1181
; %bb.1180:
	s_mov_b32 s64, 0
	v_cndmask_b32_e64 v2, 0, 1, s[2:3]
	v_mov_b32_e32 v3, s64
	s_mov_b64 s[64:65], 0
	global_store_dwordx2 v[0:1], v[2:3], off
.LBB87_1181:
	s_andn2_b64 vcc, exec, s[64:65]
	s_cbranch_vccnz .LBB87_1183
; %bb.1182:
	v_cndmask_b32_e64 v2, 0, 1, s[2:3]
	global_store_dword v[0:1], v2, off
.LBB87_1183:
	s_mov_b64 s[64:65], 0
.LBB87_1184:
	s_andn2_b64 vcc, exec, s[64:65]
	s_cbranch_vccnz .LBB87_1186
; %bb.1185:
	v_cndmask_b32_e64 v2, 0, 1, s[2:3]
	global_store_short v[0:1], v2, off
.LBB87_1186:
	s_mov_b64 s[64:65], 0
.LBB87_1187:
	s_andn2_b64 vcc, exec, s[64:65]
	s_cbranch_vccnz .LBB87_1192
; %bb.1188:
	s_mov_b64 s[64:65], -1
	s_cmp_gt_i32 s14, 0
	v_cndmask_b32_e64 v2, 0, 1, s[2:3]
	s_cbranch_scc0 .LBB87_1190
; %bb.1189:
	s_mov_b64 s[64:65], 0
	global_store_byte v[0:1], v2, off
.LBB87_1190:
	s_andn2_b64 vcc, exec, s[64:65]
	s_cbranch_vccnz .LBB87_1192
; %bb.1191:
	global_store_byte v[0:1], v2, off
.LBB87_1192:
	s_mov_b64 s[64:65], -1
.LBB87_1193:
	s_andn2_b64 vcc, exec, s[64:65]
	s_cbranch_vccnz .LBB87_1205
; %bb.1194:
	v_add_u32_e32 v10, 0x80, v10
	s_mov_b64 s[66:67], -1
.LBB87_1195:
	s_andn2_b64 s[2:3], s[54:55], exec
	s_and_b64 s[6:7], s[6:7], exec
	s_or_b64 s[64:65], s[2:3], s[6:7]
	s_andn2_b64 s[2:3], s[52:53], exec
	s_and_b64 s[6:7], s[62:63], exec
	s_or_b64 s[6:7], s[2:3], s[6:7]
	;; [unrolled: 3-line block ×3, first 2 shown]
	s_orn2_b64 s[68:69], s[66:67], exec
.LBB87_1196:
	s_or_b64 exec, exec, s[58:59]
	s_mov_b64 s[62:63], 0
	s_mov_b64 s[66:67], 0
	;; [unrolled: 1-line block ×3, first 2 shown]
                                        ; implicit-def: $sgpr14
                                        ; implicit-def: $vgpr4_vgpr5
                                        ; implicit-def: $vgpr0
                                        ; implicit-def: $vgpr3
                                        ; implicit-def: $vgpr1_vgpr2
	s_and_saveexec_b64 s[58:59], s[68:69]
	s_cbranch_execz .LBB87_1291
; %bb.1197:
	v_cmp_gt_i32_e32 vcc, s70, v10
	s_mov_b64 s[68:69], s[2:3]
	s_mov_b64 s[70:71], 0
                                        ; implicit-def: $sgpr14
                                        ; implicit-def: $vgpr4_vgpr5
                                        ; implicit-def: $vgpr0
                                        ; implicit-def: $vgpr3
                                        ; implicit-def: $vgpr1_vgpr2
	s_and_saveexec_b64 s[60:61], vcc
	s_cbranch_execz .LBB87_1290
; %bb.1198:
	s_andn2_b64 vcc, exec, s[28:29]
	s_cbranch_vccnz .LBB87_1204
; %bb.1199:
	s_andn2_b64 vcc, exec, s[40:41]
	s_cbranch_vccnz .LBB87_1206
; %bb.1200:
	s_add_i32 s14, s75, 1
	s_and_b32 s14, s14, 30
	s_add_u32 s40, s24, 0xffffffe8
	s_addc_u32 s41, s25, -1
	v_mov_b32_e32 v3, 0
	s_waitcnt vmcnt(0)
	v_mov_b32_e32 v5, 0
	v_mov_b32_e32 v0, 0
	;; [unrolled: 1-line block ×3, first 2 shown]
.LBB87_1201:                            ; =>This Inner Loop Header: Depth=1
	s_load_dwordx4 s[68:71], s[40:41], 0x1c
	s_load_dwordx2 s[62:63], s[40:41], 0x2c
	s_load_dwordx2 s[66:67], s[40:41], 0xec
	s_load_dwordx4 s[76:79], s[40:41], 0xdc
	s_add_u32 s40, s40, 24
	s_waitcnt lgkmcnt(0)
	v_mul_hi_u32 v2, s69, v1
	s_addc_u32 s41, s41, 0
	s_add_i32 s14, s14, -2
	s_cmp_eq_u32 s14, 0
	v_add_u32_e32 v2, v1, v2
	v_lshrrev_b32_e32 v2, s70, v2
	v_mul_lo_u32 v4, v2, s68
	v_mul_hi_u32 v6, s62, v2
	v_sub_u32_e32 v4, v1, v4
	v_add_u32_e32 v1, v2, v6
	v_lshrrev_b32_e32 v1, s63, v1
	v_mul_lo_u32 v8, v1, s71
	v_mul_lo_u32 v6, v4, s76
	;; [unrolled: 1-line block ×4, first 2 shown]
	v_sub_u32_e32 v2, v2, v8
	v_mul_lo_u32 v8, v2, s79
	v_mul_lo_u32 v9, v2, s66
	;; [unrolled: 1-line block ×3, first 2 shown]
	v_add3_u32 v0, v6, v0, v8
	v_add3_u32 v5, v7, v5, v9
	;; [unrolled: 1-line block ×3, first 2 shown]
	s_cbranch_scc0 .LBB87_1201
; %bb.1202:
	s_bitcmp1_b32 s75, 0
	s_cselect_b64 s[62:63], -1, 0
	s_and_b64 vcc, exec, s[62:63]
	s_cbranch_vccnz .LBB87_1207
; %bb.1203:
	s_load_dwordx2 s[62:63], s[40:41], 0x1c
	s_load_dword s14, s[40:41], 0x24
	s_load_dwordx2 s[66:67], s[40:41], 0xdc
	s_waitcnt lgkmcnt(0)
	v_mul_hi_u32 v2, s63, v1
	v_add_u32_e32 v2, v1, v2
	v_lshrrev_b32_e32 v2, s14, v2
	v_mul_lo_u32 v2, v2, s62
	s_load_dword s14, s[40:41], 0xe4
	v_sub_u32_e32 v2, v1, v2
	v_mad_u64_u32 v[0:1], s[40:41], v2, s66, v[0:1]
	v_mad_u64_u32 v[5:6], s[40:41], v2, s67, v[5:6]
	s_waitcnt lgkmcnt(0)
	v_mad_u64_u32 v[3:4], s[40:41], v2, s14, v[3:4]
	s_branch .LBB87_1207
.LBB87_1204:
	s_mov_b64 s[40:41], -1
                                        ; implicit-def: $vgpr0
                                        ; implicit-def: $vgpr5
                                        ; implicit-def: $vgpr3
	s_branch .LBB87_1208
.LBB87_1205:
	s_mov_b64 s[66:67], 0
	s_branch .LBB87_948
.LBB87_1206:
	v_mov_b32_e32 v0, 0
	s_waitcnt vmcnt(0)
	v_mov_b32_e32 v5, 0
	v_mov_b32_e32 v3, 0
.LBB87_1207:
	s_mov_b64 s[40:41], 0
.LBB87_1208:
	s_andn2_b64 vcc, exec, s[40:41]
	s_cbranch_vccnz .LBB87_1211
; %bb.1209:
	v_mul_hi_u32 v0, s17, v10
	s_andn2_b64 vcc, exec, s[38:39]
	v_add_u32_e32 v0, v10, v0
	s_waitcnt vmcnt(0)
	v_lshrrev_b32_e32 v1, s18, v0
	v_mul_lo_u32 v0, v1, s16
	v_sub_u32_e32 v2, v10, v0
	v_mul_lo_u32 v0, v2, s20
	v_mul_lo_u32 v5, v2, s21
	;; [unrolled: 1-line block ×3, first 2 shown]
	s_cbranch_vccnz .LBB87_1211
; %bb.1210:
	v_mul_hi_u32 v2, s36, v1
	v_add_u32_e32 v2, v1, v2
	v_lshrrev_b32_e32 v2, s37, v2
	v_mul_lo_u32 v2, v2, s19
	v_sub_u32_e32 v2, v1, v2
	v_mad_u64_u32 v[0:1], s[16:17], v2, s23, v[0:1]
	v_mad_u64_u32 v[5:6], s[16:17], v2, s34, v[5:6]
	;; [unrolled: 1-line block ×3, first 2 shown]
.LBB87_1211:
	s_waitcnt vmcnt(0)
	v_mov_b32_e32 v1, s11
	s_and_b32 s14, s74, 0xff
	v_add_co_u32_e32 v4, vcc, s10, v5
	s_cmp_lt_i32 s14, 11
	v_addc_co_u32_e32 v5, vcc, 0, v1, vcc
	s_cbranch_scc1 .LBB87_1218
; %bb.1212:
	s_and_b32 s34, 0xffff, s14
	s_cmp_gt_i32 s34, 25
	s_mov_b64 s[16:17], 0
	s_cbranch_scc0 .LBB87_1219
; %bb.1213:
	s_cmp_gt_i32 s34, 28
	s_cbranch_scc0 .LBB87_1220
; %bb.1214:
	s_cmp_gt_i32 s34, 43
	;; [unrolled: 3-line block ×3, first 2 shown]
	s_cbranch_scc0 .LBB87_1222
; %bb.1216:
	s_cmp_eq_u32 s34, 46
	s_mov_b64 s[20:21], 0
	s_cbranch_scc0 .LBB87_1225
; %bb.1217:
	global_load_dword v1, v[4:5], off
	s_mov_b64 s[10:11], 0
	s_mov_b64 s[18:19], -1
	s_waitcnt vmcnt(0)
	v_lshlrev_b32_e32 v1, 16, v1
	v_cvt_f64_f32_e32 v[1:2], v1
	s_branch .LBB87_1226
.LBB87_1218:
	s_mov_b64 s[20:21], -1
	s_mov_b64 s[18:19], 0
	s_mov_b64 s[16:17], 0
	;; [unrolled: 1-line block ×3, first 2 shown]
                                        ; implicit-def: $vgpr1_vgpr2
	s_branch .LBB87_1289
.LBB87_1219:
	s_mov_b64 s[20:21], -1
	s_mov_b64 s[18:19], 0
	s_mov_b64 s[10:11], s[2:3]
                                        ; implicit-def: $vgpr1_vgpr2
	s_branch .LBB87_1257
.LBB87_1220:
	s_mov_b64 s[20:21], -1
	s_mov_b64 s[18:19], 0
	s_mov_b64 s[10:11], s[2:3]
                                        ; implicit-def: $vgpr1_vgpr2
	s_branch .LBB87_1236
.LBB87_1221:
	s_mov_b64 s[20:21], -1
	s_mov_b64 s[18:19], 0
	s_mov_b64 s[10:11], s[2:3]
                                        ; implicit-def: $vgpr1_vgpr2
	s_branch .LBB87_1231
.LBB87_1222:
	s_mov_b64 s[20:21], -1
	s_mov_b64 s[18:19], 0
	s_mov_b64 s[10:11], s[2:3]
                                        ; implicit-def: $vgpr1_vgpr2
	s_branch .LBB87_1226
.LBB87_1223:
	s_andn2_saveexec_b64 s[68:69], s[68:69]
	s_cbranch_execz .LBB87_1106
.LBB87_1224:
	v_add_f32_e32 v2, 0x46000000, v3
	v_and_b32_e32 v2, 0xff, v2
	v_cmp_ne_u32_e32 vcc, 0, v2
	s_andn2_b64 s[66:67], s[66:67], exec
	s_and_b64 s[76:77], vcc, exec
	s_or_b64 s[66:67], s[66:67], s[76:77]
	s_or_b64 exec, exec, s[68:69]
	v_mov_b32_e32 v4, 0
	s_and_saveexec_b64 s[68:69], s[66:67]
	s_cbranch_execnz .LBB87_1107
	s_branch .LBB87_1108
.LBB87_1225:
	s_mov_b64 s[10:11], -1
                                        ; implicit-def: $vgpr1_vgpr2
	s_mov_b64 s[18:19], 0
.LBB87_1226:
	s_and_b64 vcc, exec, s[20:21]
	s_cbranch_vccz .LBB87_1230
; %bb.1227:
	s_cmp_eq_u32 s34, 44
	s_cbranch_scc0 .LBB87_1229
; %bb.1228:
	global_load_ubyte v6, v[4:5], off
	s_movk_i32 s18, 0xff
	v_bfrev_b32_e32 v7, 4
	v_mov_b32_e32 v8, 0x7ff80000
	v_bfrev_b32_e32 v9, 28
	s_mov_b64 s[10:11], 0
	s_waitcnt vmcnt(0)
	v_lshlrev_b32_e32 v1, 23, v6
	v_cvt_f64_f32_e32 v[1:2], v1
	v_cmp_ne_u32_e32 vcc, s18, v6
	s_mov_b64 s[18:19], -1
	v_cndmask_b32_e32 v1, v7, v1, vcc
	v_cndmask_b32_e32 v2, v8, v2, vcc
	v_cmp_ne_u32_e32 vcc, 0, v6
	v_cndmask_b32_e32 v2, v9, v2, vcc
	v_cndmask_b32_e32 v1, 0, v1, vcc
	s_branch .LBB87_1230
.LBB87_1229:
	s_mov_b64 s[10:11], -1
                                        ; implicit-def: $vgpr1_vgpr2
.LBB87_1230:
	s_mov_b64 s[20:21], 0
.LBB87_1231:
	s_and_b64 vcc, exec, s[20:21]
	s_cbranch_vccz .LBB87_1235
; %bb.1232:
	s_cmp_eq_u32 s34, 29
	s_cbranch_scc0 .LBB87_1234
; %bb.1233:
	global_load_dwordx2 v[1:2], v[4:5], off
	s_mov_b64 s[10:11], 0
	s_mov_b64 s[18:19], -1
	s_mov_b64 s[20:21], 0
	s_waitcnt vmcnt(0)
	v_cvt_f64_u32_e32 v[6:7], v2
	v_cvt_f64_u32_e32 v[1:2], v1
	v_ldexp_f64 v[6:7], v[6:7], 32
	v_add_f64 v[1:2], v[6:7], v[1:2]
	s_branch .LBB87_1236
.LBB87_1234:
	s_mov_b64 s[10:11], -1
                                        ; implicit-def: $vgpr1_vgpr2
.LBB87_1235:
	s_mov_b64 s[20:21], 0
.LBB87_1236:
	s_and_b64 vcc, exec, s[20:21]
	s_cbranch_vccz .LBB87_1256
; %bb.1237:
	s_cmp_lt_i32 s34, 27
	s_cbranch_scc1 .LBB87_1240
; %bb.1238:
	s_cmp_gt_i32 s34, 27
	s_cbranch_scc0 .LBB87_1241
; %bb.1239:
	global_load_dword v1, v[4:5], off
	s_mov_b64 s[18:19], 0
	s_waitcnt vmcnt(0)
	v_cvt_f64_u32_e32 v[1:2], v1
	s_branch .LBB87_1242
.LBB87_1240:
	s_mov_b64 s[18:19], -1
                                        ; implicit-def: $vgpr1_vgpr2
	s_branch .LBB87_1245
.LBB87_1241:
	s_mov_b64 s[18:19], -1
                                        ; implicit-def: $vgpr1_vgpr2
.LBB87_1242:
	s_andn2_b64 vcc, exec, s[18:19]
	s_cbranch_vccnz .LBB87_1244
; %bb.1243:
	global_load_ushort v1, v[4:5], off
	s_waitcnt vmcnt(0)
	v_cvt_f64_u32_e32 v[1:2], v1
.LBB87_1244:
	s_mov_b64 s[18:19], 0
.LBB87_1245:
	s_andn2_b64 vcc, exec, s[18:19]
	s_cbranch_vccnz .LBB87_1255
; %bb.1246:
	global_load_ubyte v6, v[4:5], off
	s_movk_i32 s18, 0x7f
	s_waitcnt vmcnt(0)
	v_cmp_lt_i16_e32 vcc, s18, v6
	s_mov_b64 s[18:19], 0
	s_and_saveexec_b64 s[20:21], vcc
	s_xor_b64 s[20:21], exec, s[20:21]
	s_cbranch_execz .LBB87_1250
; %bb.1247:
	s_movk_i32 s18, 0x80
	v_cmp_eq_u16_e32 vcc, s18, v6
	s_mov_b64 s[18:19], -1
	s_and_saveexec_b64 s[22:23], vcc
; %bb.1248:
	s_xor_b64 s[18:19], exec, -1
; %bb.1249:
	s_or_b64 exec, exec, s[22:23]
	s_and_b64 s[18:19], s[18:19], exec
.LBB87_1250:
	s_or_saveexec_b64 s[20:21], s[20:21]
	v_bfrev_b32_e32 v1, 4
	v_mov_b32_e32 v2, 0x7ff80000
	s_xor_b64 exec, exec, s[20:21]
; %bb.1251:
	v_cmp_ne_u16_e32 vcc, 0, v6
	v_mov_b32_e32 v1, 0
	s_andn2_b64 s[18:19], s[18:19], exec
	s_and_b64 s[22:23], vcc, exec
	v_mov_b32_e32 v2, 0
	s_or_b64 s[18:19], s[18:19], s[22:23]
; %bb.1252:
	s_or_b64 exec, exec, s[20:21]
	s_and_saveexec_b64 s[20:21], s[18:19]
	s_cbranch_execz .LBB87_1254
; %bb.1253:
	v_and_b32_e32 v2, 0xffff, v6
	v_lshlrev_b32_e32 v1, 24, v6
	v_and_b32_e32 v6, 7, v2
	v_ffbh_u32_e32 v8, v6
	v_min_u32_e32 v8, 32, v8
	v_subrev_u32_e32 v9, 28, v8
	v_bfe_u32 v7, v2, 3, 4
	v_lshlrev_b32_e32 v2, v9, v2
	v_sub_u32_e32 v8, 29, v8
	v_and_b32_e32 v2, 7, v2
	v_cmp_eq_u32_e32 vcc, 0, v7
	v_cndmask_b32_e32 v7, v7, v8, vcc
	v_cndmask_b32_e32 v2, v6, v2, vcc
	v_mov_b32_e32 v6, 0x3b800000
	v_lshlrev_b32_e32 v2, 20, v2
	v_and_b32_e32 v1, 0x80000000, v1
	v_lshl_add_u32 v6, v7, 23, v6
	v_or3_b32 v1, v1, v6, v2
	v_cvt_f64_f32_e32 v[1:2], v1
.LBB87_1254:
	s_or_b64 exec, exec, s[20:21]
.LBB87_1255:
	s_mov_b64 s[18:19], -1
.LBB87_1256:
	s_mov_b64 s[20:21], 0
.LBB87_1257:
	s_and_b64 vcc, exec, s[20:21]
	s_cbranch_vccz .LBB87_1288
; %bb.1258:
	s_cmp_gt_i32 s34, 22
	s_cbranch_scc0 .LBB87_1270
; %bb.1259:
	s_cmp_lt_i32 s34, 24
	s_cbranch_scc1 .LBB87_1271
; %bb.1260:
	s_cmp_gt_i32 s34, 24
	s_cbranch_scc0 .LBB87_1272
; %bb.1261:
	global_load_ubyte v6, v[4:5], off
	s_movk_i32 s16, 0x7f
	s_waitcnt vmcnt(0)
	v_cmp_lt_i16_e32 vcc, s16, v6
	s_mov_b64 s[16:17], 0
	s_and_saveexec_b64 s[18:19], vcc
	s_xor_b64 s[18:19], exec, s[18:19]
	s_cbranch_execz .LBB87_1265
; %bb.1262:
	s_movk_i32 s16, 0x80
	v_cmp_eq_u16_e32 vcc, s16, v6
	s_mov_b64 s[16:17], -1
	s_and_saveexec_b64 s[20:21], vcc
; %bb.1263:
	s_xor_b64 s[16:17], exec, -1
; %bb.1264:
	s_or_b64 exec, exec, s[20:21]
	s_and_b64 s[16:17], s[16:17], exec
.LBB87_1265:
	s_or_saveexec_b64 s[18:19], s[18:19]
	v_bfrev_b32_e32 v1, 4
	v_mov_b32_e32 v2, 0x7ff80000
	s_xor_b64 exec, exec, s[18:19]
; %bb.1266:
	v_cmp_ne_u16_e32 vcc, 0, v6
	v_mov_b32_e32 v1, 0
	s_andn2_b64 s[16:17], s[16:17], exec
	s_and_b64 s[20:21], vcc, exec
	v_mov_b32_e32 v2, 0
	s_or_b64 s[16:17], s[16:17], s[20:21]
; %bb.1267:
	s_or_b64 exec, exec, s[18:19]
	s_and_saveexec_b64 s[18:19], s[16:17]
	s_cbranch_execz .LBB87_1269
; %bb.1268:
	v_and_b32_e32 v2, 0xffff, v6
	v_lshlrev_b32_e32 v1, 24, v6
	v_and_b32_e32 v6, 3, v2
	v_ffbh_u32_e32 v8, v6
	v_min_u32_e32 v8, 32, v8
	v_subrev_u32_e32 v9, 29, v8
	v_bfe_u32 v7, v2, 2, 5
	v_lshlrev_b32_e32 v2, v9, v2
	v_sub_u32_e32 v8, 30, v8
	v_and_b32_e32 v2, 3, v2
	v_cmp_eq_u32_e32 vcc, 0, v7
	v_cndmask_b32_e32 v7, v7, v8, vcc
	v_cndmask_b32_e32 v2, v6, v2, vcc
	v_mov_b32_e32 v6, 0x37800000
	v_lshlrev_b32_e32 v2, 21, v2
	v_and_b32_e32 v1, 0x80000000, v1
	v_lshl_add_u32 v6, v7, 23, v6
	v_or3_b32 v1, v1, v6, v2
	v_cvt_f64_f32_e32 v[1:2], v1
.LBB87_1269:
	s_or_b64 exec, exec, s[18:19]
	s_mov_b64 s[16:17], 0
	s_branch .LBB87_1273
.LBB87_1270:
	s_mov_b64 s[16:17], -1
                                        ; implicit-def: $vgpr1_vgpr2
	s_branch .LBB87_1279
.LBB87_1271:
	s_mov_b64 s[16:17], -1
                                        ; implicit-def: $vgpr1_vgpr2
	s_branch .LBB87_1276
.LBB87_1272:
	s_mov_b64 s[16:17], -1
                                        ; implicit-def: $vgpr1_vgpr2
.LBB87_1273:
	s_and_b64 vcc, exec, s[16:17]
	s_cbranch_vccz .LBB87_1275
; %bb.1274:
	global_load_ubyte v1, v[4:5], off
	s_mov_b32 s16, 0x7f800000
	s_waitcnt vmcnt(0)
	v_lshlrev_b32_e32 v1, 24, v1
	v_and_b32_e32 v2, 0x7f000000, v1
	v_ffbh_u32_e32 v6, v2
	v_min_u32_e32 v6, 32, v6
	v_sub_u32_e64 v6, v6, 4 clamp
	v_lshlrev_b32_e32 v8, v6, v2
	v_lshlrev_b32_e32 v6, 23, v6
	v_lshrrev_b32_e32 v8, 4, v8
	v_add_u32_e32 v7, 0x1000000, v2
	v_sub_u32_e32 v6, v8, v6
	v_ashrrev_i32_e32 v7, 8, v7
	v_add_u32_e32 v6, 0x3c000000, v6
	v_and_or_b32 v6, v7, s16, v6
	v_cmp_ne_u32_e32 vcc, 0, v2
	v_cndmask_b32_e32 v2, 0, v6, vcc
	s_brev_b32 s16, 1
	v_and_or_b32 v1, v1, s16, v2
	v_cvt_f64_f32_e32 v[1:2], v1
.LBB87_1275:
	s_mov_b64 s[16:17], 0
.LBB87_1276:
	s_andn2_b64 vcc, exec, s[16:17]
	s_cbranch_vccnz .LBB87_1278
; %bb.1277:
	global_load_ubyte v1, v[4:5], off
	s_movk_i32 s16, 0x7f00
	s_brev_b32 s17, 16
	s_waitcnt vmcnt(0)
	v_lshlrev_b16_e32 v2, 8, v1
	v_lshlrev_b32_e32 v1, 25, v1
	v_lshrrev_b32_e32 v6, 4, v1
	v_and_or_b32 v7, v2, s16, 0.5
	v_or_b32_e32 v6, 0x70000000, v6
	v_add_f32_e32 v7, -0.5, v7
	v_mul_f32_e32 v6, 0x7800000, v6
	v_cmp_gt_u32_e32 vcc, s17, v1
	v_bfe_i32 v2, v2, 0, 16
	v_cndmask_b32_e32 v1, v6, v7, vcc
	s_brev_b32 s16, 1
	v_and_or_b32 v1, v2, s16, v1
	v_cvt_f64_f32_e32 v[1:2], v1
.LBB87_1278:
	s_mov_b64 s[16:17], 0
	s_mov_b64 s[18:19], -1
.LBB87_1279:
	s_andn2_b64 vcc, exec, s[16:17]
	s_mov_b64 s[16:17], 0
	s_cbranch_vccnz .LBB87_1288
; %bb.1280:
	s_cmp_gt_i32 s34, 14
	s_cbranch_scc0 .LBB87_1283
; %bb.1281:
	s_cmp_eq_u32 s34, 15
	s_cbranch_scc0 .LBB87_1284
; %bb.1282:
	global_load_ushort v1, v[4:5], off
	s_mov_b64 s[10:11], 0
	s_mov_b64 s[18:19], -1
	s_waitcnt vmcnt(0)
	v_lshlrev_b32_e32 v1, 16, v1
	v_cvt_f64_f32_e32 v[1:2], v1
	s_branch .LBB87_1285
.LBB87_1283:
	s_mov_b64 s[20:21], -1
                                        ; implicit-def: $vgpr1_vgpr2
	s_branch .LBB87_1286
.LBB87_1284:
	s_mov_b64 s[10:11], -1
                                        ; implicit-def: $vgpr1_vgpr2
.LBB87_1285:
	s_mov_b64 s[20:21], 0
.LBB87_1286:
	s_and_b64 vcc, exec, s[20:21]
	s_cbranch_vccz .LBB87_1288
; %bb.1287:
	s_cmp_lg_u32 s34, 11
	s_cselect_b64 s[20:21], -1, 0
	s_andn2_b64 s[10:11], s[10:11], exec
	s_and_b64 s[20:21], s[20:21], exec
	s_mov_b64 s[16:17], -1
	s_or_b64 s[10:11], s[10:11], s[20:21]
.LBB87_1288:
	s_mov_b64 s[20:21], 0
.LBB87_1289:
	s_and_b64 s[62:63], s[16:17], exec
	s_andn2_b64 s[16:17], s[2:3], exec
	s_and_b64 s[10:11], s[10:11], exec
	s_and_b64 s[70:71], s[18:19], exec
	;; [unrolled: 1-line block ×3, first 2 shown]
	s_or_b64 s[68:69], s[16:17], s[10:11]
.LBB87_1290:
	s_or_b64 exec, exec, s[60:61]
	s_andn2_b64 s[2:3], s[2:3], exec
	s_and_b64 s[10:11], s[68:69], exec
	s_and_b64 s[60:61], s[70:71], exec
	s_and_b64 s[66:67], s[66:67], exec
	s_and_b64 s[62:63], s[62:63], exec
	s_or_b64 s[2:3], s[2:3], s[10:11]
.LBB87_1291:
	s_or_b64 exec, exec, s[58:59]
	s_andn2_b64 s[10:11], s[54:55], exec
	s_and_b64 s[16:17], s[64:65], exec
	s_or_b64 s[54:55], s[10:11], s[16:17]
	s_andn2_b64 s[10:11], s[52:53], exec
	s_and_b64 s[6:7], s[6:7], exec
	s_or_b64 s[52:53], s[10:11], s[6:7]
	s_andn2_b64 s[10:11], s[50:51], exec
	s_and_b64 s[2:3], s[2:3], exec
	s_and_b64 s[60:61], s[60:61], exec
	;; [unrolled: 1-line block ×4, first 2 shown]
	s_or_b64 s[50:51], s[10:11], s[2:3]
.LBB87_1292:
	s_or_b64 exec, exec, s[56:57]
	s_andn2_b64 s[2:3], s[42:43], exec
	s_and_b64 s[10:11], s[54:55], exec
	s_or_b64 s[42:43], s[2:3], s[10:11]
	s_andn2_b64 s[2:3], s[44:45], exec
	s_and_b64 s[10:11], s[52:53], exec
	s_or_b64 s[44:45], s[2:3], s[10:11]
	s_and_b64 s[52:53], s[6:7], exec
	s_andn2_b64 s[2:3], s[46:47], exec
	s_and_b64 s[6:7], s[50:51], exec
	s_and_b64 s[54:55], s[60:61], exec
	;; [unrolled: 1-line block ×3, first 2 shown]
	s_or_b64 s[46:47], s[2:3], s[6:7]
	s_or_b64 exec, exec, s[48:49]
	s_mov_b64 s[2:3], 0
	s_and_saveexec_b64 s[6:7], s[46:47]
	s_cbranch_execz .LBB87_403
.LBB87_1293:
	s_mov_b64 s[2:3], exec
	s_andn2_b64 s[52:53], s[52:53], exec
	s_trap 2
	s_or_b64 exec, exec, s[6:7]
	s_and_saveexec_b64 s[6:7], s[52:53]
	s_xor_b64 s[6:7], exec, s[6:7]
	s_cbranch_execnz .LBB87_404
.LBB87_1294:
	s_or_b64 exec, exec, s[6:7]
	s_and_saveexec_b64 s[6:7], s[56:57]
	s_cbranch_execz .LBB87_1340
.LBB87_1295:
	s_sext_i32_i16 s10, s14
	s_cmp_lt_i32 s10, 5
	s_cbranch_scc1 .LBB87_1300
; %bb.1296:
	s_cmp_lt_i32 s10, 8
	s_cbranch_scc1 .LBB87_1301
; %bb.1297:
	;; [unrolled: 3-line block ×3, first 2 shown]
	s_cmp_gt_i32 s10, 9
	s_cbranch_scc0 .LBB87_1303
; %bb.1299:
	s_waitcnt vmcnt(0)
	global_load_dwordx2 v[1:2], v[4:5], off
	s_mov_b64 s[10:11], 0
	s_branch .LBB87_1304
.LBB87_1300:
                                        ; implicit-def: $vgpr1_vgpr2
	s_branch .LBB87_1321
.LBB87_1301:
                                        ; implicit-def: $vgpr1_vgpr2
	s_branch .LBB87_1310
.LBB87_1302:
	s_mov_b64 s[10:11], -1
                                        ; implicit-def: $vgpr1_vgpr2
	s_branch .LBB87_1307
.LBB87_1303:
	s_mov_b64 s[10:11], -1
                                        ; implicit-def: $vgpr1_vgpr2
.LBB87_1304:
	s_andn2_b64 vcc, exec, s[10:11]
	s_cbranch_vccnz .LBB87_1306
; %bb.1305:
	s_waitcnt vmcnt(0)
	global_load_dword v1, v[4:5], off
	s_waitcnt vmcnt(0)
	v_cvt_f64_f32_e32 v[1:2], v1
.LBB87_1306:
	s_mov_b64 s[10:11], 0
.LBB87_1307:
	s_andn2_b64 vcc, exec, s[10:11]
	s_cbranch_vccnz .LBB87_1309
; %bb.1308:
	s_waitcnt vmcnt(0)
	global_load_dword v1, v[4:5], off
	s_waitcnt vmcnt(0)
	v_cvt_f32_f16_e32 v1, v1
	v_cvt_f64_f32_e32 v[1:2], v1
.LBB87_1309:
	s_cbranch_execnz .LBB87_1320
.LBB87_1310:
	s_sext_i32_i16 s10, s14
	s_cmp_lt_i32 s10, 6
	s_cbranch_scc1 .LBB87_1313
; %bb.1311:
	s_cmp_gt_i32 s10, 6
	s_cbranch_scc0 .LBB87_1314
; %bb.1312:
	s_waitcnt vmcnt(0)
	global_load_dwordx2 v[1:2], v[4:5], off
	s_mov_b64 s[10:11], 0
	s_branch .LBB87_1315
.LBB87_1313:
	s_mov_b64 s[10:11], -1
                                        ; implicit-def: $vgpr1_vgpr2
	s_branch .LBB87_1318
.LBB87_1314:
	s_mov_b64 s[10:11], -1
                                        ; implicit-def: $vgpr1_vgpr2
.LBB87_1315:
	s_andn2_b64 vcc, exec, s[10:11]
	s_cbranch_vccnz .LBB87_1317
; %bb.1316:
	s_waitcnt vmcnt(0)
	global_load_dword v1, v[4:5], off
	s_waitcnt vmcnt(0)
	v_cvt_f64_f32_e32 v[1:2], v1
.LBB87_1317:
	s_mov_b64 s[10:11], 0
.LBB87_1318:
	s_andn2_b64 vcc, exec, s[10:11]
	s_cbranch_vccnz .LBB87_1320
; %bb.1319:
	s_waitcnt vmcnt(0)
	global_load_ushort v1, v[4:5], off
	s_waitcnt vmcnt(0)
	v_cvt_f32_f16_e32 v1, v1
	v_cvt_f64_f32_e32 v[1:2], v1
.LBB87_1320:
	s_cbranch_execnz .LBB87_1339
.LBB87_1321:
	s_sext_i32_i16 s10, s14
	s_cmp_lt_i32 s10, 2
	s_cbranch_scc1 .LBB87_1325
; %bb.1322:
	s_cmp_lt_i32 s10, 3
	s_cbranch_scc1 .LBB87_1326
; %bb.1323:
	s_cmp_gt_i32 s10, 3
	s_cbranch_scc0 .LBB87_1327
; %bb.1324:
	s_waitcnt vmcnt(0)
	global_load_dwordx2 v[1:2], v[4:5], off
	s_mov_b64 s[10:11], 0
	s_waitcnt vmcnt(0)
	v_cvt_f64_i32_e32 v[6:7], v2
	v_cvt_f64_u32_e32 v[1:2], v1
	v_ldexp_f64 v[6:7], v[6:7], 32
	v_add_f64 v[1:2], v[6:7], v[1:2]
	s_branch .LBB87_1328
.LBB87_1325:
                                        ; implicit-def: $vgpr1_vgpr2
	s_branch .LBB87_1334
.LBB87_1326:
	s_mov_b64 s[10:11], -1
                                        ; implicit-def: $vgpr1_vgpr2
	s_branch .LBB87_1331
.LBB87_1327:
	s_mov_b64 s[10:11], -1
                                        ; implicit-def: $vgpr1_vgpr2
.LBB87_1328:
	s_andn2_b64 vcc, exec, s[10:11]
	s_cbranch_vccnz .LBB87_1330
; %bb.1329:
	s_waitcnt vmcnt(0)
	global_load_dword v1, v[4:5], off
	s_waitcnt vmcnt(0)
	v_cvt_f64_i32_e32 v[1:2], v1
.LBB87_1330:
	s_mov_b64 s[10:11], 0
.LBB87_1331:
	s_andn2_b64 vcc, exec, s[10:11]
	s_cbranch_vccnz .LBB87_1333
; %bb.1332:
	s_waitcnt vmcnt(0)
	global_load_sshort v1, v[4:5], off
	s_waitcnt vmcnt(0)
	v_cvt_f64_i32_e32 v[1:2], v1
.LBB87_1333:
	s_cbranch_execnz .LBB87_1339
.LBB87_1334:
	s_sext_i32_i16 s10, s14
	s_cmp_gt_i32 s10, 0
	s_cbranch_scc0 .LBB87_1336
; %bb.1335:
	s_waitcnt vmcnt(0)
	global_load_sbyte v1, v[4:5], off
	s_mov_b64 s[10:11], 0
	s_waitcnt vmcnt(0)
	v_cvt_f64_i32_e32 v[1:2], v1
	s_branch .LBB87_1337
.LBB87_1336:
	s_mov_b64 s[10:11], -1
                                        ; implicit-def: $vgpr1_vgpr2
.LBB87_1337:
	s_andn2_b64 vcc, exec, s[10:11]
	s_cbranch_vccnz .LBB87_1339
; %bb.1338:
	s_waitcnt vmcnt(0)
	global_load_ubyte v1, v[4:5], off
	s_waitcnt vmcnt(0)
	v_cvt_f64_u32_e32 v[1:2], v1
.LBB87_1339:
	s_or_b64 s[54:55], s[54:55], exec
.LBB87_1340:
	s_or_b64 exec, exec, s[6:7]
	s_mov_b64 s[20:21], 0
	s_mov_b64 s[18:19], 0
	;; [unrolled: 1-line block ×3, first 2 shown]
                                        ; implicit-def: $sgpr14
                                        ; implicit-def: $vgpr4_vgpr5
                                        ; implicit-def: $vgpr6_vgpr7
	s_and_saveexec_b64 s[6:7], s[54:55]
	s_cbranch_execz .LBB87_1348
; %bb.1341:
	s_waitcnt vmcnt(0)
	v_mov_b32_e32 v5, s13
	s_and_b32 s14, s73, 0xff
	v_add_co_u32_e32 v4, vcc, s12, v3
	s_cmp_lt_i32 s14, 11
	v_addc_co_u32_e32 v5, vcc, 0, v5, vcc
	s_cbranch_scc1 .LBB87_1351
; %bb.1342:
	s_and_b32 s22, 0xffff, s14
	s_cmp_gt_i32 s22, 25
	s_mov_b64 s[12:13], 0
	s_cbranch_scc0 .LBB87_1352
; %bb.1343:
	s_cmp_gt_i32 s22, 28
	s_cbranch_scc0 .LBB87_1353
; %bb.1344:
	s_cmp_gt_i32 s22, 43
	;; [unrolled: 3-line block ×3, first 2 shown]
	s_cbranch_scc0 .LBB87_1355
; %bb.1346:
	s_cmp_eq_u32 s22, 46
	s_cbranch_scc0 .LBB87_1356
; %bb.1347:
	global_load_dword v3, v[4:5], off
	s_mov_b64 s[10:11], 0
	s_mov_b64 s[16:17], -1
	s_waitcnt vmcnt(0)
	v_lshlrev_b32_e32 v3, 16, v3
	v_cvt_f64_f32_e32 v[6:7], v3
	s_branch .LBB87_1358
.LBB87_1348:
	s_or_b64 exec, exec, s[6:7]
	s_and_saveexec_b64 s[6:7], s[44:45]
	s_cbranch_execnz .LBB87_1421
.LBB87_1349:
	s_or_b64 exec, exec, s[6:7]
	s_and_saveexec_b64 s[6:7], s[20:21]
	s_xor_b64 s[6:7], exec, s[6:7]
	s_cbranch_execz .LBB87_1422
.LBB87_1350:
	s_waitcnt vmcnt(0)
	global_load_ubyte v3, v[4:5], off
	v_mov_b32_e32 v7, 0x3ff00000
	v_mov_b32_e32 v6, 0
	s_or_b64 s[16:17], s[16:17], exec
	s_waitcnt vmcnt(0)
	v_cmp_ne_u16_e32 vcc, 0, v3
	v_cndmask_b32_e32 v7, 0, v7, vcc
	s_or_b64 exec, exec, s[6:7]
	s_and_saveexec_b64 s[6:7], s[18:19]
	s_cbranch_execz .LBB87_1468
	s_branch .LBB87_1423
.LBB87_1351:
	s_mov_b64 s[18:19], -1
                                        ; implicit-def: $vgpr6_vgpr7
	s_mov_b64 s[12:13], 0
	s_mov_b64 s[10:11], s[44:45]
	s_branch .LBB87_1420
.LBB87_1352:
	s_mov_b64 s[10:11], s[44:45]
                                        ; implicit-def: $vgpr6_vgpr7
	s_cbranch_execnz .LBB87_1389
	s_branch .LBB87_1419
.LBB87_1353:
	s_mov_b64 s[18:19], -1
	s_mov_b64 s[10:11], s[44:45]
                                        ; implicit-def: $vgpr6_vgpr7
	s_branch .LBB87_1368
.LBB87_1354:
	s_mov_b64 s[18:19], -1
	s_mov_b64 s[10:11], s[44:45]
                                        ; implicit-def: $vgpr6_vgpr7
	s_branch .LBB87_1363
.LBB87_1355:
	s_mov_b64 s[18:19], -1
	s_mov_b64 s[10:11], s[44:45]
	s_branch .LBB87_1357
.LBB87_1356:
	s_mov_b64 s[10:11], -1
.LBB87_1357:
                                        ; implicit-def: $vgpr6_vgpr7
.LBB87_1358:
	s_and_b64 vcc, exec, s[18:19]
	s_cbranch_vccz .LBB87_1362
; %bb.1359:
	s_cmp_eq_u32 s22, 44
	s_cbranch_scc0 .LBB87_1361
; %bb.1360:
	global_load_ubyte v3, v[4:5], off
	s_movk_i32 s16, 0xff
	v_bfrev_b32_e32 v8, 4
	v_mov_b32_e32 v9, 0x7ff80000
	v_bfrev_b32_e32 v10, 28
	s_mov_b64 s[10:11], 0
	s_waitcnt vmcnt(0)
	v_lshlrev_b32_e32 v6, 23, v3
	v_cvt_f64_f32_e32 v[6:7], v6
	v_cmp_ne_u32_e32 vcc, s16, v3
	s_mov_b64 s[16:17], -1
	v_cndmask_b32_e32 v6, v8, v6, vcc
	v_cndmask_b32_e32 v7, v9, v7, vcc
	v_cmp_ne_u32_e32 vcc, 0, v3
	v_cndmask_b32_e32 v7, v10, v7, vcc
	v_cndmask_b32_e32 v6, 0, v6, vcc
	s_branch .LBB87_1362
.LBB87_1361:
	s_mov_b64 s[10:11], -1
                                        ; implicit-def: $vgpr6_vgpr7
.LBB87_1362:
	s_mov_b64 s[18:19], 0
.LBB87_1363:
	s_and_b64 vcc, exec, s[18:19]
	s_cbranch_vccz .LBB87_1367
; %bb.1364:
	s_cmp_eq_u32 s22, 29
	s_cbranch_scc0 .LBB87_1366
; %bb.1365:
	global_load_dwordx2 v[6:7], v[4:5], off
	s_mov_b64 s[10:11], 0
	s_mov_b64 s[16:17], -1
	s_mov_b64 s[18:19], 0
	s_waitcnt vmcnt(0)
	v_cvt_f64_u32_e32 v[7:8], v7
	v_cvt_f64_u32_e32 v[9:10], v6
	v_ldexp_f64 v[7:8], v[7:8], 32
	v_add_f64 v[6:7], v[7:8], v[9:10]
	s_branch .LBB87_1368
.LBB87_1366:
	s_mov_b64 s[10:11], -1
                                        ; implicit-def: $vgpr6_vgpr7
.LBB87_1367:
	s_mov_b64 s[18:19], 0
.LBB87_1368:
	s_and_b64 vcc, exec, s[18:19]
	s_cbranch_vccz .LBB87_1388
; %bb.1369:
	s_cmp_lt_i32 s22, 27
	s_cbranch_scc1 .LBB87_1372
; %bb.1370:
	s_cmp_gt_i32 s22, 27
	s_cbranch_scc0 .LBB87_1373
; %bb.1371:
	global_load_dword v3, v[4:5], off
	s_mov_b64 s[16:17], 0
	s_waitcnt vmcnt(0)
	v_cvt_f64_u32_e32 v[6:7], v3
	s_branch .LBB87_1374
.LBB87_1372:
	s_mov_b64 s[16:17], -1
                                        ; implicit-def: $vgpr6_vgpr7
	s_branch .LBB87_1377
.LBB87_1373:
	s_mov_b64 s[16:17], -1
                                        ; implicit-def: $vgpr6_vgpr7
.LBB87_1374:
	s_andn2_b64 vcc, exec, s[16:17]
	s_cbranch_vccnz .LBB87_1376
; %bb.1375:
	global_load_ushort v3, v[4:5], off
	s_waitcnt vmcnt(0)
	v_cvt_f64_u32_e32 v[6:7], v3
.LBB87_1376:
	s_mov_b64 s[16:17], 0
.LBB87_1377:
	s_andn2_b64 vcc, exec, s[16:17]
	s_cbranch_vccnz .LBB87_1387
; %bb.1378:
	global_load_ubyte v3, v[4:5], off
	s_movk_i32 s16, 0x7f
	s_waitcnt vmcnt(0)
	v_cmp_lt_i16_e32 vcc, s16, v3
	s_mov_b64 s[16:17], 0
	s_and_saveexec_b64 s[18:19], vcc
	s_xor_b64 s[18:19], exec, s[18:19]
	s_cbranch_execz .LBB87_1382
; %bb.1379:
	s_movk_i32 s16, 0x80
	v_cmp_eq_u16_e32 vcc, s16, v3
	s_mov_b64 s[16:17], -1
	s_and_saveexec_b64 s[20:21], vcc
; %bb.1380:
	s_xor_b64 s[16:17], exec, -1
; %bb.1381:
	s_or_b64 exec, exec, s[20:21]
	s_and_b64 s[16:17], s[16:17], exec
.LBB87_1382:
	s_or_saveexec_b64 s[18:19], s[18:19]
	v_bfrev_b32_e32 v6, 4
	v_mov_b32_e32 v7, 0x7ff80000
	s_xor_b64 exec, exec, s[18:19]
; %bb.1383:
	v_cmp_ne_u16_e32 vcc, 0, v3
	v_mov_b32_e32 v6, 0
	s_andn2_b64 s[16:17], s[16:17], exec
	s_and_b64 s[20:21], vcc, exec
	v_mov_b32_e32 v7, 0
	s_or_b64 s[16:17], s[16:17], s[20:21]
; %bb.1384:
	s_or_b64 exec, exec, s[18:19]
	s_and_saveexec_b64 s[18:19], s[16:17]
	s_cbranch_execz .LBB87_1386
; %bb.1385:
	v_lshlrev_b32_e32 v6, 24, v3
	v_and_b32_e32 v3, 0xffff, v3
	v_and_b32_e32 v7, 7, v3
	v_ffbh_u32_e32 v9, v7
	v_min_u32_e32 v9, 32, v9
	v_subrev_u32_e32 v10, 28, v9
	v_bfe_u32 v8, v3, 3, 4
	v_lshlrev_b32_e32 v3, v10, v3
	v_sub_u32_e32 v9, 29, v9
	v_and_b32_e32 v3, 7, v3
	v_cmp_eq_u32_e32 vcc, 0, v8
	v_cndmask_b32_e32 v8, v8, v9, vcc
	v_cndmask_b32_e32 v3, v7, v3, vcc
	v_mov_b32_e32 v7, 0x3b800000
	v_lshlrev_b32_e32 v3, 20, v3
	v_and_b32_e32 v6, 0x80000000, v6
	v_lshl_add_u32 v7, v8, 23, v7
	v_or3_b32 v3, v6, v7, v3
	v_cvt_f64_f32_e32 v[6:7], v3
.LBB87_1386:
	s_or_b64 exec, exec, s[18:19]
.LBB87_1387:
	s_mov_b64 s[16:17], -1
.LBB87_1388:
	s_branch .LBB87_1419
.LBB87_1389:
	s_cmp_gt_i32 s22, 22
	s_cbranch_scc0 .LBB87_1401
; %bb.1390:
	s_cmp_lt_i32 s22, 24
	s_cbranch_scc1 .LBB87_1402
; %bb.1391:
	s_cmp_gt_i32 s22, 24
	s_cbranch_scc0 .LBB87_1403
; %bb.1392:
	global_load_ubyte v3, v[4:5], off
	s_movk_i32 s12, 0x7f
	s_waitcnt vmcnt(0)
	v_cmp_lt_i16_e32 vcc, s12, v3
	s_mov_b64 s[12:13], 0
	s_and_saveexec_b64 s[16:17], vcc
	s_xor_b64 s[16:17], exec, s[16:17]
	s_cbranch_execz .LBB87_1396
; %bb.1393:
	s_movk_i32 s12, 0x80
	v_cmp_eq_u16_e32 vcc, s12, v3
	s_mov_b64 s[12:13], -1
	s_and_saveexec_b64 s[18:19], vcc
; %bb.1394:
	s_xor_b64 s[12:13], exec, -1
; %bb.1395:
	s_or_b64 exec, exec, s[18:19]
	s_and_b64 s[12:13], s[12:13], exec
.LBB87_1396:
	s_or_saveexec_b64 s[16:17], s[16:17]
	v_bfrev_b32_e32 v6, 4
	v_mov_b32_e32 v7, 0x7ff80000
	s_xor_b64 exec, exec, s[16:17]
; %bb.1397:
	v_cmp_ne_u16_e32 vcc, 0, v3
	v_mov_b32_e32 v6, 0
	s_andn2_b64 s[12:13], s[12:13], exec
	s_and_b64 s[18:19], vcc, exec
	v_mov_b32_e32 v7, 0
	s_or_b64 s[12:13], s[12:13], s[18:19]
; %bb.1398:
	s_or_b64 exec, exec, s[16:17]
	s_and_saveexec_b64 s[16:17], s[12:13]
	s_cbranch_execz .LBB87_1400
; %bb.1399:
	v_lshlrev_b32_e32 v6, 24, v3
	v_and_b32_e32 v3, 0xffff, v3
	v_and_b32_e32 v7, 3, v3
	v_ffbh_u32_e32 v9, v7
	v_min_u32_e32 v9, 32, v9
	v_subrev_u32_e32 v10, 29, v9
	v_bfe_u32 v8, v3, 2, 5
	v_lshlrev_b32_e32 v3, v10, v3
	v_sub_u32_e32 v9, 30, v9
	v_and_b32_e32 v3, 3, v3
	v_cmp_eq_u32_e32 vcc, 0, v8
	v_cndmask_b32_e32 v8, v8, v9, vcc
	v_cndmask_b32_e32 v3, v7, v3, vcc
	v_mov_b32_e32 v7, 0x37800000
	v_lshlrev_b32_e32 v3, 21, v3
	v_and_b32_e32 v6, 0x80000000, v6
	v_lshl_add_u32 v7, v8, 23, v7
	v_or3_b32 v3, v6, v7, v3
	v_cvt_f64_f32_e32 v[6:7], v3
.LBB87_1400:
	s_or_b64 exec, exec, s[16:17]
	s_mov_b64 s[12:13], 0
	s_branch .LBB87_1404
.LBB87_1401:
	s_mov_b64 s[12:13], -1
                                        ; implicit-def: $vgpr6_vgpr7
	s_branch .LBB87_1410
.LBB87_1402:
	s_mov_b64 s[12:13], -1
                                        ; implicit-def: $vgpr6_vgpr7
	s_branch .LBB87_1407
.LBB87_1403:
	s_mov_b64 s[12:13], -1
                                        ; implicit-def: $vgpr6_vgpr7
.LBB87_1404:
	s_and_b64 vcc, exec, s[12:13]
	s_cbranch_vccz .LBB87_1406
; %bb.1405:
	global_load_ubyte v3, v[4:5], off
	s_mov_b32 s12, 0x7f800000
	s_waitcnt vmcnt(0)
	v_lshlrev_b32_e32 v3, 24, v3
	v_and_b32_e32 v6, 0x7f000000, v3
	v_ffbh_u32_e32 v7, v6
	v_min_u32_e32 v7, 32, v7
	v_sub_u32_e64 v7, v7, 4 clamp
	v_lshlrev_b32_e32 v9, v7, v6
	v_lshlrev_b32_e32 v7, 23, v7
	v_lshrrev_b32_e32 v9, 4, v9
	v_add_u32_e32 v8, 0x1000000, v6
	v_sub_u32_e32 v7, v9, v7
	v_ashrrev_i32_e32 v8, 8, v8
	v_add_u32_e32 v7, 0x3c000000, v7
	v_and_or_b32 v7, v8, s12, v7
	v_cmp_ne_u32_e32 vcc, 0, v6
	v_cndmask_b32_e32 v6, 0, v7, vcc
	s_brev_b32 s12, 1
	v_and_or_b32 v3, v3, s12, v6
	v_cvt_f64_f32_e32 v[6:7], v3
.LBB87_1406:
	s_mov_b64 s[12:13], 0
.LBB87_1407:
	s_andn2_b64 vcc, exec, s[12:13]
	s_cbranch_vccnz .LBB87_1409
; %bb.1408:
	global_load_ubyte v3, v[4:5], off
	s_movk_i32 s12, 0x7f00
	s_brev_b32 s13, 16
	s_waitcnt vmcnt(0)
	v_lshlrev_b16_e32 v6, 8, v3
	v_lshlrev_b32_e32 v3, 25, v3
	v_lshrrev_b32_e32 v7, 4, v3
	v_and_or_b32 v8, v6, s12, 0.5
	v_or_b32_e32 v7, 0x70000000, v7
	v_add_f32_e32 v8, -0.5, v8
	v_mul_f32_e32 v7, 0x7800000, v7
	v_cmp_gt_u32_e32 vcc, s13, v3
	v_bfe_i32 v6, v6, 0, 16
	v_cndmask_b32_e32 v3, v7, v8, vcc
	s_brev_b32 s12, 1
	v_and_or_b32 v3, v6, s12, v3
	v_cvt_f64_f32_e32 v[6:7], v3
.LBB87_1409:
	s_mov_b64 s[12:13], 0
	s_mov_b64 s[16:17], -1
.LBB87_1410:
	s_andn2_b64 vcc, exec, s[12:13]
	s_mov_b64 s[12:13], 0
	s_cbranch_vccnz .LBB87_1419
; %bb.1411:
	s_cmp_gt_i32 s22, 14
	s_cbranch_scc0 .LBB87_1414
; %bb.1412:
	s_cmp_eq_u32 s22, 15
	s_cbranch_scc0 .LBB87_1415
; %bb.1413:
	global_load_ushort v3, v[4:5], off
	s_mov_b64 s[10:11], 0
	s_mov_b64 s[16:17], -1
	s_waitcnt vmcnt(0)
	v_lshlrev_b32_e32 v3, 16, v3
	v_cvt_f64_f32_e32 v[6:7], v3
	s_branch .LBB87_1416
.LBB87_1414:
	s_mov_b64 s[18:19], -1
                                        ; implicit-def: $vgpr6_vgpr7
	s_branch .LBB87_1417
.LBB87_1415:
	s_mov_b64 s[10:11], -1
                                        ; implicit-def: $vgpr6_vgpr7
.LBB87_1416:
	s_mov_b64 s[18:19], 0
.LBB87_1417:
	s_and_b64 vcc, exec, s[18:19]
	s_cbranch_vccz .LBB87_1419
; %bb.1418:
	s_cmp_lg_u32 s22, 11
	s_cselect_b64 s[18:19], -1, 0
	s_andn2_b64 s[10:11], s[10:11], exec
	s_and_b64 s[18:19], s[18:19], exec
	s_mov_b64 s[12:13], -1
	s_or_b64 s[10:11], s[10:11], s[18:19]
.LBB87_1419:
	s_mov_b64 s[18:19], 0
.LBB87_1420:
	s_and_b64 s[20:21], s[12:13], exec
	s_andn2_b64 s[12:13], s[44:45], exec
	s_and_b64 s[10:11], s[10:11], exec
	s_and_b64 s[16:17], s[16:17], exec
	;; [unrolled: 1-line block ×3, first 2 shown]
	s_or_b64 s[44:45], s[12:13], s[10:11]
	s_or_b64 exec, exec, s[6:7]
	s_and_saveexec_b64 s[6:7], s[44:45]
	s_cbranch_execz .LBB87_1349
.LBB87_1421:
	s_or_b64 s[2:3], s[2:3], exec
	s_andn2_b64 s[20:21], s[20:21], exec
	s_trap 2
	s_or_b64 exec, exec, s[6:7]
	s_and_saveexec_b64 s[6:7], s[20:21]
	s_xor_b64 s[6:7], exec, s[6:7]
	s_cbranch_execnz .LBB87_1350
.LBB87_1422:
	s_or_b64 exec, exec, s[6:7]
	s_and_saveexec_b64 s[6:7], s[18:19]
	s_cbranch_execz .LBB87_1468
.LBB87_1423:
	s_sext_i32_i16 s10, s14
	s_cmp_lt_i32 s10, 5
	s_cbranch_scc1 .LBB87_1428
; %bb.1424:
	s_cmp_lt_i32 s10, 8
	s_cbranch_scc1 .LBB87_1429
; %bb.1425:
	;; [unrolled: 3-line block ×3, first 2 shown]
	s_cmp_gt_i32 s10, 9
	s_cbranch_scc0 .LBB87_1431
; %bb.1427:
	s_waitcnt vmcnt(0)
	global_load_dwordx2 v[6:7], v[4:5], off
	s_mov_b64 s[10:11], 0
	s_branch .LBB87_1432
.LBB87_1428:
                                        ; implicit-def: $vgpr6_vgpr7
	s_branch .LBB87_1449
.LBB87_1429:
                                        ; implicit-def: $vgpr6_vgpr7
	s_branch .LBB87_1438
.LBB87_1430:
	s_mov_b64 s[10:11], -1
                                        ; implicit-def: $vgpr6_vgpr7
	s_branch .LBB87_1435
.LBB87_1431:
	s_mov_b64 s[10:11], -1
                                        ; implicit-def: $vgpr6_vgpr7
.LBB87_1432:
	s_andn2_b64 vcc, exec, s[10:11]
	s_cbranch_vccnz .LBB87_1434
; %bb.1433:
	s_waitcnt vmcnt(0)
	global_load_dword v3, v[4:5], off
	s_waitcnt vmcnt(0)
	v_cvt_f64_f32_e32 v[6:7], v3
.LBB87_1434:
	s_mov_b64 s[10:11], 0
.LBB87_1435:
	s_andn2_b64 vcc, exec, s[10:11]
	s_cbranch_vccnz .LBB87_1437
; %bb.1436:
	s_waitcnt vmcnt(0)
	global_load_dword v3, v[4:5], off
	s_waitcnt vmcnt(0)
	v_cvt_f32_f16_e32 v3, v3
	v_cvt_f64_f32_e32 v[6:7], v3
.LBB87_1437:
	s_cbranch_execnz .LBB87_1448
.LBB87_1438:
	s_sext_i32_i16 s10, s14
	s_cmp_lt_i32 s10, 6
	s_cbranch_scc1 .LBB87_1441
; %bb.1439:
	s_cmp_gt_i32 s10, 6
	s_cbranch_scc0 .LBB87_1442
; %bb.1440:
	s_waitcnt vmcnt(0)
	global_load_dwordx2 v[6:7], v[4:5], off
	s_mov_b64 s[10:11], 0
	s_branch .LBB87_1443
.LBB87_1441:
	s_mov_b64 s[10:11], -1
                                        ; implicit-def: $vgpr6_vgpr7
	s_branch .LBB87_1446
.LBB87_1442:
	s_mov_b64 s[10:11], -1
                                        ; implicit-def: $vgpr6_vgpr7
.LBB87_1443:
	s_andn2_b64 vcc, exec, s[10:11]
	s_cbranch_vccnz .LBB87_1445
; %bb.1444:
	s_waitcnt vmcnt(0)
	global_load_dword v3, v[4:5], off
	s_waitcnt vmcnt(0)
	v_cvt_f64_f32_e32 v[6:7], v3
.LBB87_1445:
	s_mov_b64 s[10:11], 0
.LBB87_1446:
	s_andn2_b64 vcc, exec, s[10:11]
	s_cbranch_vccnz .LBB87_1448
; %bb.1447:
	s_waitcnt vmcnt(0)
	global_load_ushort v3, v[4:5], off
	s_waitcnt vmcnt(0)
	v_cvt_f32_f16_e32 v3, v3
	v_cvt_f64_f32_e32 v[6:7], v3
.LBB87_1448:
	s_cbranch_execnz .LBB87_1467
.LBB87_1449:
	s_sext_i32_i16 s10, s14
	s_cmp_lt_i32 s10, 2
	s_cbranch_scc1 .LBB87_1453
; %bb.1450:
	s_cmp_lt_i32 s10, 3
	s_cbranch_scc1 .LBB87_1454
; %bb.1451:
	s_cmp_gt_i32 s10, 3
	s_cbranch_scc0 .LBB87_1455
; %bb.1452:
	s_waitcnt vmcnt(0)
	global_load_dwordx2 v[6:7], v[4:5], off
	s_mov_b64 s[10:11], 0
	s_waitcnt vmcnt(0)
	v_cvt_f64_i32_e32 v[7:8], v7
	v_cvt_f64_u32_e32 v[9:10], v6
	v_ldexp_f64 v[7:8], v[7:8], 32
	v_add_f64 v[6:7], v[7:8], v[9:10]
	s_branch .LBB87_1456
.LBB87_1453:
                                        ; implicit-def: $vgpr6_vgpr7
	s_branch .LBB87_1462
.LBB87_1454:
	s_mov_b64 s[10:11], -1
                                        ; implicit-def: $vgpr6_vgpr7
	s_branch .LBB87_1459
.LBB87_1455:
	s_mov_b64 s[10:11], -1
                                        ; implicit-def: $vgpr6_vgpr7
.LBB87_1456:
	s_andn2_b64 vcc, exec, s[10:11]
	s_cbranch_vccnz .LBB87_1458
; %bb.1457:
	s_waitcnt vmcnt(0)
	global_load_dword v3, v[4:5], off
	s_waitcnt vmcnt(0)
	v_cvt_f64_i32_e32 v[6:7], v3
.LBB87_1458:
	s_mov_b64 s[10:11], 0
.LBB87_1459:
	s_andn2_b64 vcc, exec, s[10:11]
	s_cbranch_vccnz .LBB87_1461
; %bb.1460:
	s_waitcnt vmcnt(0)
	global_load_sshort v3, v[4:5], off
	s_waitcnt vmcnt(0)
	v_cvt_f64_i32_e32 v[6:7], v3
.LBB87_1461:
	s_cbranch_execnz .LBB87_1467
.LBB87_1462:
	s_sext_i32_i16 s10, s14
	s_cmp_gt_i32 s10, 0
	s_cbranch_scc0 .LBB87_1464
; %bb.1463:
	s_waitcnt vmcnt(0)
	global_load_sbyte v3, v[4:5], off
	s_mov_b64 s[10:11], 0
	s_waitcnt vmcnt(0)
	v_cvt_f64_i32_e32 v[6:7], v3
	s_branch .LBB87_1465
.LBB87_1464:
	s_mov_b64 s[10:11], -1
                                        ; implicit-def: $vgpr6_vgpr7
.LBB87_1465:
	s_andn2_b64 vcc, exec, s[10:11]
	s_cbranch_vccnz .LBB87_1467
; %bb.1466:
	s_waitcnt vmcnt(0)
	global_load_ubyte v3, v[4:5], off
	s_waitcnt vmcnt(0)
	v_cvt_f64_u32_e32 v[6:7], v3
.LBB87_1467:
	s_or_b64 s[16:17], s[16:17], exec
.LBB87_1468:
	s_or_b64 exec, exec, s[6:7]
	s_mov_b64 s[18:19], 0
	s_mov_b64 s[12:13], 0
                                        ; implicit-def: $sgpr6_sgpr7
                                        ; implicit-def: $sgpr20
                                        ; implicit-def: $vgpr3_vgpr4
	s_and_saveexec_b64 s[10:11], s[16:17]
	s_cbranch_execz .LBB87_1543
; %bb.1469:
	s_waitcnt vmcnt(0)
	v_cmp_eq_f64_e32 vcc, v[1:2], v[6:7]
	s_and_b32 s20, s15, 0xff
	s_cmp_lt_i32 s20, 11
	v_cndmask_b32_e64 v3, 0, 1, vcc
	v_cmp_neq_f64_e32 vcc, v[1:2], v[6:7]
	v_cndmask_b32_e64 v1, 0, 1, vcc
	v_cndmask_b32_e64 v1, v1, v3, s[0:1]
	v_and_b32_e32 v1, 1, v1
	v_cmp_eq_u32_e64 s[6:7], 1, v1
	v_mov_b32_e32 v1, s9
	v_add_co_u32_e32 v3, vcc, s8, v0
	v_addc_co_u32_e32 v4, vcc, 0, v1, vcc
	s_cbranch_scc1 .LBB87_1546
; %bb.1470:
	s_and_b32 s18, 0xffff, s20
	s_mov_b64 s[12:13], -1
	s_cmp_gt_i32 s18, 25
	s_mov_b64 s[0:1], s[42:43]
	s_cbranch_scc0 .LBB87_1503
; %bb.1471:
	s_mov_b64 s[8:9], -1
	s_cmp_gt_i32 s18, 28
	s_mov_b64 s[0:1], s[42:43]
	s_cbranch_scc0 .LBB87_1487
; %bb.1472:
	s_cmp_gt_i32 s18, 43
	s_mov_b64 s[0:1], s[42:43]
	s_cbranch_scc0 .LBB87_1483
; %bb.1473:
	;; [unrolled: 4-line block ×3, first 2 shown]
	s_cmp_eq_u32 s18, 46
	s_mov_b64 s[0:1], -1
	s_cbranch_scc0 .LBB87_1476
; %bb.1475:
	v_cndmask_b32_e64 v0, 0, 1.0, s[6:7]
	v_bfe_u32 v1, v0, 16, 1
	s_movk_i32 s0, 0x7fff
	v_add3_u32 v0, v0, v1, s0
	v_lshrrev_b32_e32 v0, 16, v0
	global_store_dword v[3:4], v0, off
	s_mov_b64 s[0:1], 0
.LBB87_1476:
	s_mov_b64 s[8:9], 0
.LBB87_1477:
	s_and_b64 vcc, exec, s[8:9]
	s_cbranch_vccz .LBB87_1482
; %bb.1478:
	s_cmp_eq_u32 s18, 44
	s_mov_b64 s[0:1], -1
	s_cbranch_scc0 .LBB87_1482
; %bb.1479:
	v_cndmask_b32_e64 v1, 0, 1.0, s[6:7]
	v_lshrrev_b32_e32 v0, 23, v1
	s_movk_i32 s0, 0xff
	v_cmp_ne_u32_e32 vcc, s0, v0
	v_mov_b32_e32 v2, 0xff
	s_and_saveexec_b64 s[8:9], vcc
; %bb.1480:
	s_mov_b32 s0, 0x3fffff
	v_and_b32_e32 v2, 0x400000, v1
	v_and_or_b32 v1, v1, s0, v0
	v_cmp_ne_u32_e32 vcc, 0, v2
	v_cmp_ne_u32_e64 s[0:1], 0, v1
	s_and_b64 s[0:1], vcc, s[0:1]
	v_cndmask_b32_e64 v1, 0, 1, s[0:1]
	v_add_u32_e32 v2, v0, v1
; %bb.1481:
	s_or_b64 exec, exec, s[8:9]
	s_mov_b64 s[0:1], 0
	global_store_byte v[3:4], v2, off
.LBB87_1482:
	s_mov_b64 s[8:9], 0
.LBB87_1483:
	s_and_b64 vcc, exec, s[8:9]
	s_cbranch_vccz .LBB87_1486
; %bb.1484:
	s_cmp_eq_u32 s18, 29
	s_mov_b64 s[0:1], -1
	s_cbranch_scc0 .LBB87_1486
; %bb.1485:
	s_mov_b32 s0, 0
	v_cndmask_b32_e64 v0, 0, 1, s[6:7]
	v_mov_b32_e32 v1, s0
	global_store_dwordx2 v[3:4], v[0:1], off
	s_mov_b64 s[0:1], 0
.LBB87_1486:
	s_mov_b64 s[8:9], 0
.LBB87_1487:
	s_and_b64 vcc, exec, s[8:9]
	s_cbranch_vccz .LBB87_1502
; %bb.1488:
	s_cmp_lt_i32 s18, 27
	s_mov_b64 s[8:9], -1
	s_cbranch_scc1 .LBB87_1494
; %bb.1489:
	s_cmp_gt_i32 s18, 27
	s_cbranch_scc0 .LBB87_1491
; %bb.1490:
	v_cndmask_b32_e64 v0, 0, 1, s[6:7]
	s_mov_b64 s[8:9], 0
	global_store_dword v[3:4], v0, off
.LBB87_1491:
	s_andn2_b64 vcc, exec, s[8:9]
	s_cbranch_vccnz .LBB87_1493
; %bb.1492:
	v_cndmask_b32_e64 v0, 0, 1, s[6:7]
	global_store_short v[3:4], v0, off
.LBB87_1493:
	s_mov_b64 s[8:9], 0
.LBB87_1494:
	s_andn2_b64 vcc, exec, s[8:9]
	s_cbranch_vccnz .LBB87_1502
; %bb.1495:
	v_cndmask_b32_e64 v1, 0, 1.0, s[6:7]
	s_mov_b32 s8, 0x43800000
	v_cmp_gt_u32_e32 vcc, s8, v1
	v_mov_b32_e32 v2, 0x80
	s_and_saveexec_b64 s[8:9], vcc
	s_cbranch_execz .LBB87_1501
; %bb.1496:
	s_mov_b32 s12, 0x3bffffff
	v_cmp_lt_u32_e32 vcc, s12, v1
	s_mov_b64 s[12:13], 0
                                        ; implicit-def: $vgpr0
	s_and_saveexec_b64 s[14:15], vcc
	s_xor_b64 s[14:15], exec, s[14:15]
	s_cbranch_execz .LBB87_1647
; %bb.1497:
	v_bfe_u32 v0, v1, 20, 1
	s_mov_b32 s16, 0x487ffff
	v_add3_u32 v0, v1, v0, s16
	s_mov_b64 s[12:13], exec
	v_lshrrev_b32_e32 v0, 20, v0
                                        ; implicit-def: $vgpr1
	s_andn2_saveexec_b64 s[14:15], s[14:15]
	s_cbranch_execnz .LBB87_1648
.LBB87_1498:
	s_or_b64 exec, exec, s[14:15]
	v_mov_b32_e32 v2, 0
	s_and_saveexec_b64 s[14:15], s[12:13]
.LBB87_1499:
	v_mov_b32_e32 v2, v0
.LBB87_1500:
	s_or_b64 exec, exec, s[14:15]
.LBB87_1501:
	s_or_b64 exec, exec, s[8:9]
	global_store_byte v[3:4], v2, off
.LBB87_1502:
	s_mov_b64 s[12:13], 0
.LBB87_1503:
	s_mov_b64 s[8:9], 0
	s_and_b64 vcc, exec, s[12:13]
	s_cbranch_vccz .LBB87_1547
; %bb.1504:
	s_cmp_gt_i32 s18, 22
	s_mov_b64 s[12:13], -1
	s_cbranch_scc0 .LBB87_1536
; %bb.1505:
	s_cmp_lt_i32 s18, 24
	s_cbranch_scc1 .LBB87_1525
; %bb.1506:
	s_cmp_gt_i32 s18, 24
	s_cbranch_scc0 .LBB87_1514
; %bb.1507:
	v_cndmask_b32_e64 v1, 0, 1.0, s[6:7]
	s_mov_b32 s12, 0x47800000
	v_cmp_gt_u32_e32 vcc, s12, v1
	v_mov_b32_e32 v2, 0x80
	s_and_saveexec_b64 s[12:13], vcc
	s_cbranch_execz .LBB87_1513
; %bb.1508:
	s_mov_b32 s14, 0x37ffffff
	v_cmp_lt_u32_e32 vcc, s14, v1
	s_mov_b64 s[14:15], 0
                                        ; implicit-def: $vgpr0
	s_and_saveexec_b64 s[16:17], vcc
	s_xor_b64 s[16:17], exec, s[16:17]
	s_cbranch_execz .LBB87_1772
; %bb.1509:
	v_bfe_u32 v0, v1, 21, 1
	s_mov_b32 s19, 0x88fffff
	v_add3_u32 v0, v1, v0, s19
	s_mov_b64 s[14:15], exec
	v_lshrrev_b32_e32 v0, 21, v0
                                        ; implicit-def: $vgpr1
	s_andn2_saveexec_b64 s[16:17], s[16:17]
	s_cbranch_execnz .LBB87_1773
.LBB87_1510:
	s_or_b64 exec, exec, s[16:17]
	v_mov_b32_e32 v2, 0
	s_and_saveexec_b64 s[16:17], s[14:15]
.LBB87_1511:
	v_mov_b32_e32 v2, v0
.LBB87_1512:
	s_or_b64 exec, exec, s[16:17]
.LBB87_1513:
	s_or_b64 exec, exec, s[12:13]
	s_mov_b64 s[12:13], 0
	global_store_byte v[3:4], v2, off
.LBB87_1514:
	s_and_b64 vcc, exec, s[12:13]
	s_cbranch_vccz .LBB87_1524
; %bb.1515:
	v_cndmask_b32_e64 v0, 0, 1.0, s[6:7]
	s_mov_b32 s12, 0x43f00000
	v_cmp_gt_u32_e32 vcc, s12, v0
                                        ; implicit-def: $vgpr1
	s_and_saveexec_b64 s[12:13], vcc
	s_xor_b64 s[12:13], exec, s[12:13]
	s_cbranch_execz .LBB87_1521
; %bb.1516:
	s_mov_b32 s14, 0x3c7fffff
	v_cmp_lt_u32_e32 vcc, s14, v0
                                        ; implicit-def: $vgpr1
	s_and_saveexec_b64 s[14:15], vcc
	s_xor_b64 s[14:15], exec, s[14:15]
; %bb.1517:
	v_bfe_u32 v1, v0, 20, 1
	s_mov_b32 s16, 0x407ffff
	v_add3_u32 v0, v0, v1, s16
	v_lshrrev_b32_e32 v1, 20, v0
	v_and_b32_e32 v0, 0xff00000, v0
	s_mov_b32 s16, 0x7f00000
	v_mov_b32_e32 v2, 0x7e
	v_cmp_ne_u32_e32 vcc, s16, v0
	v_cndmask_b32_e32 v1, v2, v1, vcc
                                        ; implicit-def: $vgpr0
; %bb.1518:
	s_andn2_saveexec_b64 s[14:15], s[14:15]
; %bb.1519:
	v_add_f32_e32 v1, 0x46800000, v0
; %bb.1520:
	s_or_b64 exec, exec, s[14:15]
                                        ; implicit-def: $vgpr0
.LBB87_1521:
	s_andn2_saveexec_b64 s[12:13], s[12:13]
; %bb.1522:
	s_mov_b32 s14, 0x7f800000
	v_mov_b32_e32 v1, 0x7e
	v_mov_b32_e32 v2, 0x7f
	v_cmp_lt_u32_e32 vcc, s14, v0
	v_cndmask_b32_e32 v1, v1, v2, vcc
; %bb.1523:
	s_or_b64 exec, exec, s[12:13]
	global_store_byte v[3:4], v1, off
.LBB87_1524:
	s_mov_b64 s[12:13], 0
.LBB87_1525:
	s_andn2_b64 vcc, exec, s[12:13]
	s_cbranch_vccnz .LBB87_1535
; %bb.1526:
	v_cndmask_b32_e64 v0, 0, 1.0, s[6:7]
	s_mov_b32 s12, 0x47800000
	v_cmp_gt_u32_e32 vcc, s12, v0
                                        ; implicit-def: $vgpr1
	s_and_saveexec_b64 s[12:13], vcc
	s_xor_b64 s[12:13], exec, s[12:13]
	s_cbranch_execz .LBB87_1532
; %bb.1527:
	s_mov_b32 s14, 0x387fffff
	v_cmp_lt_u32_e32 vcc, s14, v0
                                        ; implicit-def: $vgpr1
	s_and_saveexec_b64 s[14:15], vcc
	s_xor_b64 s[14:15], exec, s[14:15]
; %bb.1528:
	v_bfe_u32 v1, v0, 21, 1
	s_mov_b32 s16, 0x80fffff
	v_add3_u32 v0, v0, v1, s16
	v_lshrrev_b32_e32 v1, 21, v0
                                        ; implicit-def: $vgpr0
; %bb.1529:
	s_andn2_saveexec_b64 s[14:15], s[14:15]
; %bb.1530:
	v_add_f32_e32 v1, 0x43000000, v0
; %bb.1531:
	s_or_b64 exec, exec, s[14:15]
                                        ; implicit-def: $vgpr0
.LBB87_1532:
	s_andn2_saveexec_b64 s[12:13], s[12:13]
; %bb.1533:
	s_mov_b32 s14, 0x7f800000
	v_mov_b32_e32 v1, 0x7c
	v_mov_b32_e32 v2, 0x7f
	v_cmp_lt_u32_e32 vcc, s14, v0
	v_cndmask_b32_e32 v1, v1, v2, vcc
; %bb.1534:
	s_or_b64 exec, exec, s[12:13]
	global_store_byte v[3:4], v1, off
.LBB87_1535:
	s_mov_b64 s[12:13], 0
.LBB87_1536:
	s_andn2_b64 vcc, exec, s[12:13]
	s_mov_b64 s[14:15], 0
	s_cbranch_vccnz .LBB87_1548
; %bb.1537:
	s_cmp_gt_i32 s18, 14
	s_mov_b64 s[12:13], -1
	s_cbranch_scc0 .LBB87_1541
; %bb.1538:
	s_cmp_eq_u32 s18, 15
	s_mov_b64 s[0:1], -1
	s_cbranch_scc0 .LBB87_1540
; %bb.1539:
	v_cndmask_b32_e64 v0, 0, 1.0, s[6:7]
	v_bfe_u32 v1, v0, 16, 1
	s_movk_i32 s0, 0x7fff
	v_add3_u32 v0, v0, v1, s0
	global_store_short_d16_hi v[3:4], v0, off
	s_mov_b64 s[0:1], 0
.LBB87_1540:
	s_mov_b64 s[12:13], 0
.LBB87_1541:
	s_and_b64 vcc, exec, s[12:13]
	s_cbranch_vccz .LBB87_1548
; %bb.1542:
	s_cmp_lg_u32 s18, 11
	s_cselect_b64 s[12:13], -1, 0
	s_andn2_b64 s[0:1], s[0:1], exec
	s_and_b64 s[12:13], s[12:13], exec
	s_mov_b64 s[14:15], -1
	s_or_b64 s[0:1], s[0:1], s[12:13]
	s_branch .LBB87_1548
.LBB87_1543:
	s_or_b64 exec, exec, s[10:11]
	s_and_saveexec_b64 s[0:1], s[42:43]
	s_cbranch_execnz .LBB87_1549
.LBB87_1544:
	s_or_b64 exec, exec, s[0:1]
	s_and_saveexec_b64 s[0:1], s[18:19]
	s_xor_b64 s[0:1], exec, s[0:1]
	s_cbranch_execz .LBB87_1550
.LBB87_1545:
	v_cndmask_b32_e64 v0, 0, 1, s[6:7]
	global_store_byte v[3:4], v0, off
	s_or_b64 exec, exec, s[0:1]
	s_and_saveexec_b64 s[0:1], s[12:13]
	s_xor_b64 s[0:1], exec, s[0:1]
	s_cbranch_execz .LBB87_1588
	s_branch .LBB87_1551
.LBB87_1546:
	s_mov_b64 s[14:15], 0
	s_mov_b64 s[8:9], -1
	s_mov_b64 s[0:1], s[42:43]
	s_branch .LBB87_1548
.LBB87_1547:
	s_mov_b64 s[14:15], 0
.LBB87_1548:
	s_and_b64 s[12:13], s[8:9], exec
	s_andn2_b64 s[8:9], s[42:43], exec
	s_and_b64 s[0:1], s[0:1], exec
	s_and_b64 s[18:19], s[14:15], exec
	s_or_b64 s[42:43], s[8:9], s[0:1]
	s_or_b64 exec, exec, s[10:11]
	s_and_saveexec_b64 s[0:1], s[42:43]
	s_cbranch_execz .LBB87_1544
.LBB87_1549:
	s_or_b64 s[2:3], s[2:3], exec
	s_andn2_b64 s[18:19], s[18:19], exec
	s_trap 2
	s_or_b64 exec, exec, s[0:1]
	s_and_saveexec_b64 s[0:1], s[18:19]
	s_xor_b64 s[0:1], exec, s[0:1]
	s_cbranch_execnz .LBB87_1545
.LBB87_1550:
	s_or_b64 exec, exec, s[0:1]
	s_and_saveexec_b64 s[0:1], s[12:13]
	s_xor_b64 s[0:1], exec, s[0:1]
	s_cbranch_execz .LBB87_1588
.LBB87_1551:
	s_sext_i32_i16 s10, s20
	s_cmp_lt_i32 s10, 5
	s_mov_b64 s[8:9], -1
	s_cbranch_scc1 .LBB87_1572
; %bb.1552:
	s_cmp_lt_i32 s10, 8
	s_cbranch_scc1 .LBB87_1562
; %bb.1553:
	s_cmp_lt_i32 s10, 9
	s_cbranch_scc1 .LBB87_1559
; %bb.1554:
	s_cmp_gt_i32 s10, 9
	s_cbranch_scc0 .LBB87_1556
; %bb.1555:
	v_cndmask_b32_e64 v0, 0, 1, s[6:7]
	s_waitcnt vmcnt(0)
	v_cvt_f64_u32_e32 v[5:6], v0
	v_mov_b32_e32 v7, 0
	v_mov_b32_e32 v8, v7
	s_mov_b64 s[8:9], 0
	global_store_dwordx4 v[3:4], v[5:8], off
.LBB87_1556:
	s_andn2_b64 vcc, exec, s[8:9]
	s_cbranch_vccnz .LBB87_1558
; %bb.1557:
	v_cndmask_b32_e64 v0, 0, 1.0, s[6:7]
	s_waitcnt vmcnt(0)
	v_mov_b32_e32 v1, 0
	global_store_dwordx2 v[3:4], v[0:1], off
.LBB87_1558:
	s_mov_b64 s[8:9], 0
.LBB87_1559:
	s_andn2_b64 vcc, exec, s[8:9]
	s_cbranch_vccnz .LBB87_1561
; %bb.1560:
	v_cndmask_b32_e64 v0, 0, 1.0, s[6:7]
	v_cvt_f16_f32_e32 v0, v0
	global_store_dword v[3:4], v0, off
.LBB87_1561:
	s_mov_b64 s[8:9], 0
.LBB87_1562:
	s_andn2_b64 vcc, exec, s[8:9]
	s_cbranch_vccnz .LBB87_1571
; %bb.1563:
	s_sext_i32_i16 s10, s20
	s_cmp_lt_i32 s10, 6
	s_mov_b64 s[8:9], -1
	s_cbranch_scc1 .LBB87_1569
; %bb.1564:
	s_cmp_gt_i32 s10, 6
	s_cbranch_scc0 .LBB87_1566
; %bb.1565:
	v_cndmask_b32_e64 v0, 0, 1, s[6:7]
	s_waitcnt vmcnt(0)
	v_cvt_f64_u32_e32 v[0:1], v0
	s_mov_b64 s[8:9], 0
	global_store_dwordx2 v[3:4], v[0:1], off
.LBB87_1566:
	s_andn2_b64 vcc, exec, s[8:9]
	s_cbranch_vccnz .LBB87_1568
; %bb.1567:
	v_cndmask_b32_e64 v0, 0, 1.0, s[6:7]
	global_store_dword v[3:4], v0, off
.LBB87_1568:
	s_mov_b64 s[8:9], 0
.LBB87_1569:
	s_andn2_b64 vcc, exec, s[8:9]
	s_cbranch_vccnz .LBB87_1571
; %bb.1570:
	v_cndmask_b32_e64 v0, 0, 1.0, s[6:7]
	v_cvt_f16_f32_e32 v0, v0
	global_store_short v[3:4], v0, off
.LBB87_1571:
	s_mov_b64 s[8:9], 0
.LBB87_1572:
	s_andn2_b64 vcc, exec, s[8:9]
	s_cbranch_vccnz .LBB87_1588
; %bb.1573:
	s_sext_i32_i16 s10, s20
	s_cmp_lt_i32 s10, 2
	s_mov_b64 s[8:9], -1
	s_cbranch_scc1 .LBB87_1583
; %bb.1574:
	s_cmp_lt_i32 s10, 3
	s_cbranch_scc1 .LBB87_1580
; %bb.1575:
	s_cmp_gt_i32 s10, 3
	s_cbranch_scc0 .LBB87_1577
; %bb.1576:
	s_mov_b32 s8, 0
	v_cndmask_b32_e64 v0, 0, 1, s[6:7]
	s_waitcnt vmcnt(0)
	v_mov_b32_e32 v1, s8
	s_mov_b64 s[8:9], 0
	global_store_dwordx2 v[3:4], v[0:1], off
.LBB87_1577:
	s_andn2_b64 vcc, exec, s[8:9]
	s_cbranch_vccnz .LBB87_1579
; %bb.1578:
	v_cndmask_b32_e64 v0, 0, 1, s[6:7]
	global_store_dword v[3:4], v0, off
.LBB87_1579:
	s_mov_b64 s[8:9], 0
.LBB87_1580:
	s_andn2_b64 vcc, exec, s[8:9]
	s_cbranch_vccnz .LBB87_1582
; %bb.1581:
	v_cndmask_b32_e64 v0, 0, 1, s[6:7]
	global_store_short v[3:4], v0, off
.LBB87_1582:
	s_mov_b64 s[8:9], 0
.LBB87_1583:
	s_andn2_b64 vcc, exec, s[8:9]
	s_cbranch_vccnz .LBB87_1588
; %bb.1584:
	s_sext_i32_i16 s10, s20
	s_mov_b64 s[8:9], -1
	s_cmp_gt_i32 s10, 0
	v_cndmask_b32_e64 v0, 0, 1, s[6:7]
	s_cbranch_scc0 .LBB87_1586
; %bb.1585:
	s_mov_b64 s[8:9], 0
	global_store_byte v[3:4], v0, off
.LBB87_1586:
	s_andn2_b64 vcc, exec, s[8:9]
	s_cbranch_vccnz .LBB87_1588
; %bb.1587:
	global_store_byte v[3:4], v0, off
.LBB87_1588:
	s_or_b64 exec, exec, s[0:1]
	s_and_b64 s[6:7], s[2:3], exec
                                        ; implicit-def: $vgpr21
                                        ; implicit-def: $vgpr10
.LBB87_1589:
	s_or_saveexec_b64 s[12:13], s[30:31]
	s_mov_b64 s[0:1], 0
                                        ; implicit-def: $sgpr2_sgpr3
                                        ; implicit-def: $vgpr0_vgpr1
                                        ; implicit-def: $sgpr22
	s_xor_b64 exec, exec, s[12:13]
	s_cbranch_execz .LBB87_3103
; %bb.1590:
	v_cndmask_b32_e64 v0, 0, 1, s[28:29]
	v_cmp_ne_u32_e64 s[0:1], 1, v0
	s_andn2_b64 vcc, exec, s[28:29]
	s_cbranch_vccnz .LBB87_1596
; %bb.1591:
	s_cmp_lg_u32 s33, 0
	s_cbranch_scc0 .LBB87_1597
; %bb.1592:
	s_min_u32 s8, s72, 15
	s_add_i32 s2, s8, 1
	s_and_b32 s9, s2, 30
	s_add_u32 s2, s24, 0xffffffe8
	s_addc_u32 s3, s25, -1
	v_mov_b32_e32 v11, 0
	v_mov_b32_e32 v8, 0
	s_waitcnt vmcnt(0)
	v_mov_b32_e32 v6, 0
	v_mov_b32_e32 v0, v10
.LBB87_1593:                            ; =>This Inner Loop Header: Depth=1
	s_load_dwordx4 s[16:19], s[2:3], 0x1c
	s_load_dwordx2 s[10:11], s[2:3], 0x2c
	s_load_dwordx2 s[14:15], s[2:3], 0xec
	s_load_dwordx4 s[20:23], s[2:3], 0xdc
	s_add_u32 s2, s2, 24
	s_waitcnt lgkmcnt(0)
	v_mul_hi_u32 v1, s17, v0
	s_addc_u32 s3, s3, 0
	s_add_i32 s9, s9, -2
	s_cmp_lg_u32 s9, 0
	v_add_u32_e32 v1, v0, v1
	v_lshrrev_b32_e32 v1, s18, v1
	v_mul_lo_u32 v2, v1, s16
	v_mul_hi_u32 v3, s10, v1
	v_sub_u32_e32 v2, v0, v2
	v_add_u32_e32 v0, v1, v3
	v_lshrrev_b32_e32 v0, s11, v0
	v_mul_lo_u32 v5, v0, s19
	v_mul_lo_u32 v3, v2, s20
	;; [unrolled: 1-line block ×4, first 2 shown]
	v_sub_u32_e32 v1, v1, v5
	v_mul_lo_u32 v5, v1, s23
	v_mul_lo_u32 v7, v1, s14
	;; [unrolled: 1-line block ×3, first 2 shown]
	v_add3_u32 v6, v3, v6, v5
	v_add3_u32 v8, v4, v8, v7
	;; [unrolled: 1-line block ×3, first 2 shown]
	s_cbranch_scc1 .LBB87_1593
; %bb.1594:
	s_bitcmp1_b32 s8, 0
	s_cselect_b64 s[8:9], -1, 0
	s_and_b64 vcc, exec, s[8:9]
	s_cbranch_vccnz .LBB87_1598
; %bb.1595:
	s_load_dwordx2 s[8:9], s[2:3], 0x1c
	s_load_dword s14, s[2:3], 0x24
	s_load_dwordx2 s[10:11], s[2:3], 0xdc
	s_waitcnt lgkmcnt(0)
	v_mul_hi_u32 v1, s9, v0
	v_add_u32_e32 v1, v0, v1
	v_lshrrev_b32_e32 v1, s14, v1
	v_mul_lo_u32 v1, v1, s8
	s_load_dword s8, s[2:3], 0xe4
	v_sub_u32_e32 v0, v0, v1
	v_mad_u64_u32 v[6:7], s[2:3], v0, s10, v[6:7]
	v_mad_u64_u32 v[8:9], s[2:3], v0, s11, v[8:9]
	s_waitcnt lgkmcnt(0)
	v_mad_u64_u32 v[11:12], s[2:3], v0, s8, v[11:12]
	s_cbranch_execz .LBB87_1599
	s_branch .LBB87_1601
.LBB87_1596:
                                        ; implicit-def: $vgpr6
                                        ; implicit-def: $vgpr8
                                        ; implicit-def: $vgpr11
	s_branch .LBB87_1599
.LBB87_1597:
	s_waitcnt vmcnt(0)
	v_mov_b32_e32 v6, 0
	v_mov_b32_e32 v8, 0
	;; [unrolled: 1-line block ×3, first 2 shown]
.LBB87_1598:
	s_cbranch_execnz .LBB87_1601
.LBB87_1599:
	s_load_dwordx4 s[8:11], s[24:25], 0x4
	s_load_dwordx4 s[16:19], s[24:25], 0xc4
	s_cmp_lt_u32 s33, 2
	s_waitcnt lgkmcnt(0)
	v_mul_hi_u32 v0, s9, v10
	v_add_u32_e32 v0, v10, v0
	v_lshrrev_b32_e32 v0, s10, v0
	s_waitcnt vmcnt(0)
	v_mul_lo_u32 v1, v0, s8
	v_sub_u32_e32 v1, v10, v1
	v_mul_lo_u32 v6, v1, s16
	v_mul_lo_u32 v8, v1, s17
	;; [unrolled: 1-line block ×3, first 2 shown]
	s_cbranch_scc1 .LBB87_1601
; %bb.1600:
	s_load_dwordx4 s[8:11], s[24:25], 0x10
	s_load_dwordx4 s[16:19], s[24:25], 0xd0
	s_waitcnt lgkmcnt(0)
	v_mul_hi_u32 v1, s9, v0
	v_add_u32_e32 v1, v0, v1
	v_lshrrev_b32_e32 v1, s10, v1
	v_mul_lo_u32 v1, v1, s8
	v_sub_u32_e32 v0, v0, v1
	v_mad_u64_u32 v[6:7], s[2:3], v0, s16, v[6:7]
	v_mad_u64_u32 v[8:9], s[2:3], v0, s17, v[8:9]
	v_mad_u64_u32 v[11:12], s[2:3], v0, s18, v[11:12]
.LBB87_1601:
	s_and_b64 vcc, exec, s[0:1]
	v_add_u32_e32 v0, 0x80, v10
	s_cbranch_vccnz .LBB87_1607
; %bb.1602:
	s_cmp_lg_u32 s33, 0
	s_cbranch_scc0 .LBB87_1608
; %bb.1603:
	s_min_u32 s8, s72, 15
	s_add_i32 s2, s8, 1
	s_and_b32 s9, s2, 30
	s_add_u32 s2, s24, 0xffffffe8
	s_addc_u32 s3, s25, -1
	v_mov_b32_e32 v16, 0
	v_mov_b32_e32 v12, 0
	;; [unrolled: 1-line block ×3, first 2 shown]
	s_waitcnt vmcnt(0)
	v_mov_b32_e32 v1, v0
.LBB87_1604:                            ; =>This Inner Loop Header: Depth=1
	s_load_dwordx4 s[16:19], s[2:3], 0x1c
	s_load_dwordx2 s[10:11], s[2:3], 0x2c
	s_load_dwordx2 s[14:15], s[2:3], 0xec
	s_load_dwordx4 s[20:23], s[2:3], 0xdc
	s_add_u32 s2, s2, 24
	s_waitcnt lgkmcnt(0)
	v_mul_hi_u32 v2, s17, v1
	s_addc_u32 s3, s3, 0
	s_add_i32 s9, s9, -2
	s_cmp_lg_u32 s9, 0
	v_add_u32_e32 v2, v1, v2
	v_lshrrev_b32_e32 v2, s18, v2
	v_mul_lo_u32 v3, v2, s16
	v_mul_hi_u32 v5, s10, v2
	v_sub_u32_e32 v3, v1, v3
	v_add_u32_e32 v1, v2, v5
	v_lshrrev_b32_e32 v1, s11, v1
	v_mul_lo_u32 v9, v1, s19
	v_mul_lo_u32 v5, v3, s20
	;; [unrolled: 1-line block ×4, first 2 shown]
	v_sub_u32_e32 v2, v2, v9
	v_mul_lo_u32 v9, v2, s23
	v_mul_lo_u32 v13, v2, s14
	;; [unrolled: 1-line block ×3, first 2 shown]
	v_add3_u32 v4, v5, v4, v9
	v_add3_u32 v12, v7, v12, v13
	;; [unrolled: 1-line block ×3, first 2 shown]
	s_cbranch_scc1 .LBB87_1604
; %bb.1605:
	s_bitcmp1_b32 s8, 0
	s_cselect_b64 s[8:9], -1, 0
	s_and_b64 vcc, exec, s[8:9]
	s_cbranch_vccnz .LBB87_1609
; %bb.1606:
	s_load_dwordx2 s[8:9], s[2:3], 0x1c
	s_load_dword s14, s[2:3], 0x24
	s_load_dwordx2 s[10:11], s[2:3], 0xdc
	s_waitcnt lgkmcnt(0)
	v_mul_hi_u32 v2, s9, v1
	v_add_u32_e32 v2, v1, v2
	v_lshrrev_b32_e32 v2, s14, v2
	v_mul_lo_u32 v2, v2, s8
	s_load_dword s8, s[2:3], 0xe4
	v_sub_u32_e32 v1, v1, v2
	v_mad_u64_u32 v[4:5], s[2:3], v1, s10, v[4:5]
	v_mad_u64_u32 v[12:13], s[2:3], v1, s11, v[12:13]
	s_waitcnt lgkmcnt(0)
	v_mad_u64_u32 v[16:17], s[2:3], v1, s8, v[16:17]
	s_cbranch_execz .LBB87_1610
	s_branch .LBB87_1612
.LBB87_1607:
                                        ; implicit-def: $vgpr4
                                        ; implicit-def: $vgpr12
                                        ; implicit-def: $vgpr16
	s_branch .LBB87_1610
.LBB87_1608:
	v_mov_b32_e32 v4, 0
	v_mov_b32_e32 v12, 0
	v_mov_b32_e32 v16, 0
.LBB87_1609:
	s_cbranch_execnz .LBB87_1612
.LBB87_1610:
	s_load_dwordx4 s[8:11], s[24:25], 0x4
	s_load_dwordx4 s[16:19], s[24:25], 0xc4
	s_cmp_lt_u32 s33, 2
	s_waitcnt vmcnt(0) lgkmcnt(0)
	v_mul_hi_u32 v1, s9, v0
	v_add_u32_e32 v1, v0, v1
	v_lshrrev_b32_e32 v1, s10, v1
	v_mul_lo_u32 v2, v1, s8
	v_sub_u32_e32 v0, v0, v2
	v_mul_lo_u32 v4, v0, s16
	v_mul_lo_u32 v12, v0, s17
	;; [unrolled: 1-line block ×3, first 2 shown]
	s_cbranch_scc1 .LBB87_1612
; %bb.1611:
	s_load_dwordx4 s[8:11], s[24:25], 0x10
	s_load_dwordx4 s[16:19], s[24:25], 0xd0
	s_waitcnt lgkmcnt(0)
	v_mul_hi_u32 v0, s9, v1
	v_add_u32_e32 v0, v1, v0
	v_lshrrev_b32_e32 v0, s10, v0
	v_mul_lo_u32 v0, v0, s8
	v_sub_u32_e32 v0, v1, v0
	v_mad_u64_u32 v[4:5], s[2:3], v0, s16, v[4:5]
	v_mad_u64_u32 v[12:13], s[2:3], v0, s17, v[12:13]
	;; [unrolled: 1-line block ×3, first 2 shown]
.LBB87_1612:
	s_and_b64 vcc, exec, s[0:1]
	v_add_u32_e32 v0, 0x100, v10
	s_cbranch_vccnz .LBB87_1618
; %bb.1613:
	s_cmp_lg_u32 s33, 0
	s_cbranch_scc0 .LBB87_1619
; %bb.1614:
	s_min_u32 s8, s72, 15
	s_add_i32 s2, s8, 1
	s_and_b32 s9, s2, 30
	s_add_u32 s2, s24, 0xffffffe8
	s_addc_u32 s3, s25, -1
	v_mov_b32_e32 v19, 0
	v_mov_b32_e32 v17, 0
	s_waitcnt vmcnt(0)
	v_mov_b32_e32 v2, 0
	v_mov_b32_e32 v1, v0
.LBB87_1615:                            ; =>This Inner Loop Header: Depth=1
	s_load_dwordx4 s[16:19], s[2:3], 0x1c
	s_load_dwordx2 s[10:11], s[2:3], 0x2c
	s_load_dwordx2 s[14:15], s[2:3], 0xec
	s_load_dwordx4 s[20:23], s[2:3], 0xdc
	s_add_u32 s2, s2, 24
	s_waitcnt lgkmcnt(0)
	v_mul_hi_u32 v3, s17, v1
	s_addc_u32 s3, s3, 0
	s_add_i32 s9, s9, -2
	s_cmp_lg_u32 s9, 0
	v_add_u32_e32 v3, v1, v3
	v_lshrrev_b32_e32 v3, s18, v3
	v_mul_lo_u32 v5, v3, s16
	v_mul_hi_u32 v7, s10, v3
	v_sub_u32_e32 v5, v1, v5
	v_add_u32_e32 v1, v3, v7
	v_lshrrev_b32_e32 v1, s11, v1
	v_mul_lo_u32 v10, v1, s19
	v_mul_lo_u32 v7, v5, s20
	;; [unrolled: 1-line block ×4, first 2 shown]
	v_sub_u32_e32 v3, v3, v10
	v_mul_lo_u32 v10, v3, s23
	v_mul_lo_u32 v13, v3, s14
	v_mul_lo_u32 v3, v3, s15
	v_add3_u32 v2, v7, v2, v10
	v_add3_u32 v17, v9, v17, v13
	;; [unrolled: 1-line block ×3, first 2 shown]
	s_cbranch_scc1 .LBB87_1615
; %bb.1616:
	s_bitcmp1_b32 s8, 0
	s_cselect_b64 s[8:9], -1, 0
	s_and_b64 vcc, exec, s[8:9]
	s_cbranch_vccnz .LBB87_1620
; %bb.1617:
	s_load_dwordx2 s[8:9], s[2:3], 0x1c
	s_load_dword s14, s[2:3], 0x24
	s_load_dwordx2 s[10:11], s[2:3], 0xdc
	s_waitcnt lgkmcnt(0)
	v_mul_hi_u32 v3, s9, v1
	v_add_u32_e32 v3, v1, v3
	v_lshrrev_b32_e32 v3, s14, v3
	v_mul_lo_u32 v3, v3, s8
	s_load_dword s8, s[2:3], 0xe4
	v_sub_u32_e32 v1, v1, v3
	v_mad_u64_u32 v[2:3], s[2:3], v1, s10, v[2:3]
	v_mad_u64_u32 v[17:18], s[2:3], v1, s11, v[17:18]
	s_waitcnt lgkmcnt(0)
	v_mad_u64_u32 v[19:20], s[2:3], v1, s8, v[19:20]
	s_cbranch_execz .LBB87_1621
	s_branch .LBB87_1623
.LBB87_1618:
                                        ; implicit-def: $vgpr2
                                        ; implicit-def: $vgpr17
                                        ; implicit-def: $vgpr19
	s_branch .LBB87_1621
.LBB87_1619:
	s_waitcnt vmcnt(0)
	v_mov_b32_e32 v2, 0
	v_mov_b32_e32 v17, 0
	;; [unrolled: 1-line block ×3, first 2 shown]
.LBB87_1620:
	s_cbranch_execnz .LBB87_1623
.LBB87_1621:
	s_load_dwordx4 s[8:11], s[24:25], 0x4
	s_load_dwordx4 s[16:19], s[24:25], 0xc4
	s_cmp_lt_u32 s33, 2
	s_waitcnt vmcnt(0) lgkmcnt(0)
	v_mul_hi_u32 v1, s9, v0
	v_add_u32_e32 v1, v0, v1
	v_lshrrev_b32_e32 v1, s10, v1
	v_mul_lo_u32 v2, v1, s8
	v_sub_u32_e32 v0, v0, v2
	v_mul_lo_u32 v2, v0, s16
	v_mul_lo_u32 v17, v0, s17
	;; [unrolled: 1-line block ×3, first 2 shown]
	s_cbranch_scc1 .LBB87_1623
; %bb.1622:
	s_load_dwordx4 s[8:11], s[24:25], 0x10
	s_load_dwordx4 s[16:19], s[24:25], 0xd0
	s_waitcnt lgkmcnt(0)
	v_mul_hi_u32 v0, s9, v1
	v_add_u32_e32 v0, v1, v0
	v_lshrrev_b32_e32 v0, s10, v0
	v_mul_lo_u32 v0, v0, s8
	v_sub_u32_e32 v0, v1, v0
	v_mad_u64_u32 v[2:3], s[2:3], v0, s16, v[2:3]
	v_mad_u64_u32 v[17:18], s[2:3], v0, s17, v[17:18]
	v_mad_u64_u32 v[19:20], s[2:3], v0, s18, v[19:20]
.LBB87_1623:
	s_and_b64 vcc, exec, s[0:1]
	s_cbranch_vccnz .LBB87_1629
; %bb.1624:
	s_cmp_lg_u32 s33, 0
	s_cbranch_scc0 .LBB87_1630
; %bb.1625:
	s_min_u32 s2, s72, 15
	s_add_i32 s0, s2, 1
	s_and_b32 s3, s0, 30
	s_add_u32 s0, s24, 0xffffffe8
	s_addc_u32 s1, s25, -1
	v_mov_b32_e32 v9, 0
	v_mov_b32_e32 v14, 0
	;; [unrolled: 1-line block ×3, first 2 shown]
	s_waitcnt vmcnt(0)
	v_mov_b32_e32 v1, v21
.LBB87_1626:                            ; =>This Inner Loop Header: Depth=1
	s_load_dwordx4 s[8:11], s[0:1], 0x1c
	s_load_dwordx2 s[14:15], s[0:1], 0x2c
	s_load_dwordx2 s[20:21], s[0:1], 0xec
	s_load_dwordx4 s[16:19], s[0:1], 0xdc
	s_add_u32 s0, s0, 24
	s_waitcnt lgkmcnt(0)
	v_mul_hi_u32 v3, s9, v1
	s_addc_u32 s1, s1, 0
	s_add_i32 s3, s3, -2
	s_cmp_lg_u32 s3, 0
	v_add_u32_e32 v3, v1, v3
	v_lshrrev_b32_e32 v3, s10, v3
	v_mul_lo_u32 v5, v3, s8
	v_mul_hi_u32 v7, s14, v3
	v_sub_u32_e32 v5, v1, v5
	v_add_u32_e32 v1, v3, v7
	v_lshrrev_b32_e32 v1, s15, v1
	v_mul_lo_u32 v13, v1, s11
	v_mul_lo_u32 v7, v5, s16
	;; [unrolled: 1-line block ×4, first 2 shown]
	v_sub_u32_e32 v3, v3, v13
	v_mul_lo_u32 v13, v3, s19
	v_mul_lo_u32 v15, v3, s20
	;; [unrolled: 1-line block ×3, first 2 shown]
	v_add3_u32 v0, v7, v0, v13
	v_add3_u32 v14, v10, v14, v15
	;; [unrolled: 1-line block ×3, first 2 shown]
	s_cbranch_scc1 .LBB87_1626
; %bb.1627:
	s_bitcmp1_b32 s2, 0
	s_cselect_b64 s[2:3], -1, 0
	s_and_b64 vcc, exec, s[2:3]
	s_cbranch_vccnz .LBB87_1631
; %bb.1628:
	s_load_dwordx2 s[2:3], s[0:1], 0x1c
	s_load_dword s10, s[0:1], 0x24
	s_load_dwordx2 s[8:9], s[0:1], 0xdc
	s_waitcnt lgkmcnt(0)
	v_mul_hi_u32 v3, s3, v1
	v_add_u32_e32 v3, v1, v3
	v_lshrrev_b32_e32 v3, s10, v3
	v_mul_lo_u32 v3, v3, s2
	s_load_dword s2, s[0:1], 0xe4
	v_sub_u32_e32 v3, v1, v3
	v_mad_u64_u32 v[0:1], s[0:1], v3, s8, v[0:1]
	v_mad_u64_u32 v[14:15], s[0:1], v3, s9, v[14:15]
	s_waitcnt lgkmcnt(0)
	v_mad_u64_u32 v[9:10], s[0:1], v3, s2, v[9:10]
	s_cbranch_execz .LBB87_1632
	s_branch .LBB87_1634
.LBB87_1629:
                                        ; implicit-def: $vgpr0
                                        ; implicit-def: $vgpr14
                                        ; implicit-def: $vgpr9
	s_branch .LBB87_1632
.LBB87_1630:
	v_mov_b32_e32 v0, 0
	v_mov_b32_e32 v14, 0
	;; [unrolled: 1-line block ×3, first 2 shown]
.LBB87_1631:
	s_cbranch_execnz .LBB87_1634
.LBB87_1632:
	s_load_dwordx4 s[0:3], s[24:25], 0x4
	s_load_dwordx4 s[8:11], s[24:25], 0xc4
	s_cmp_lt_u32 s33, 2
	s_waitcnt lgkmcnt(0)
	v_mul_hi_u32 v0, s1, v21
	v_add_u32_e32 v0, v21, v0
	s_waitcnt vmcnt(0)
	v_lshrrev_b32_e32 v1, s2, v0
	v_mul_lo_u32 v0, v1, s0
	v_sub_u32_e32 v3, v21, v0
	v_mul_lo_u32 v0, v3, s8
	v_mul_lo_u32 v14, v3, s9
	;; [unrolled: 1-line block ×3, first 2 shown]
	s_cbranch_scc1 .LBB87_1634
; %bb.1633:
	s_load_dwordx4 s[0:3], s[24:25], 0x10
	s_load_dwordx4 s[8:11], s[24:25], 0xd0
	s_waitcnt lgkmcnt(0)
	v_mul_hi_u32 v3, s1, v1
	v_add_u32_e32 v3, v1, v3
	v_lshrrev_b32_e32 v3, s2, v3
	v_mul_lo_u32 v3, v3, s0
	v_sub_u32_e32 v3, v1, v3
	v_mad_u64_u32 v[0:1], s[0:1], v3, s8, v[0:1]
	v_mad_u64_u32 v[14:15], s[0:1], v3, s9, v[14:15]
	;; [unrolled: 1-line block ×3, first 2 shown]
.LBB87_1634:
	s_load_dwordx4 s[8:11], s[24:25], 0x188
	s_load_dword s23, s[4:5], 0x1ac
	s_waitcnt vmcnt(0) lgkmcnt(0)
	v_mov_b32_e32 v1, s11
	s_bfe_u32 s18, s23, 0x80008
	v_add_co_u32_e32 v20, vcc, s10, v8
	s_cmp_lt_i32 s18, 11
	v_addc_co_u32_e32 v21, vcc, 0, v1, vcc
	s_cbranch_scc1 .LBB87_1641
; %bb.1635:
	s_and_b32 s19, 0xffff, s18
	s_cmp_gt_i32 s19, 25
	s_mov_b64 s[2:3], 0
	s_cbranch_scc0 .LBB87_1643
; %bb.1636:
	s_cmp_gt_i32 s19, 28
	s_cbranch_scc0 .LBB87_1644
; %bb.1637:
	s_cmp_gt_i32 s19, 43
	;; [unrolled: 3-line block ×3, first 2 shown]
	s_cbranch_scc0 .LBB87_1646
; %bb.1639:
	s_cmp_eq_u32 s19, 46
	s_mov_b64 s[14:15], 0
	s_cbranch_scc0 .LBB87_1649
; %bb.1640:
	global_load_dword v1, v[20:21], off
	s_mov_b64 s[0:1], 0
	s_mov_b64 s[4:5], -1
	s_waitcnt vmcnt(0)
	v_lshlrev_b32_e32 v1, 16, v1
	v_cvt_f64_f32_e32 v[7:8], v1
	s_branch .LBB87_1650
.LBB87_1641:
	s_mov_b64 s[4:5], 0
                                        ; implicit-def: $vgpr7_vgpr8
	s_mov_b64 s[14:15], s[6:7]
	s_cbranch_execnz .LBB87_1713
.LBB87_1642:
	s_andn2_b64 vcc, exec, s[4:5]
	s_cbranch_vccz .LBB87_1758
	s_branch .LBB87_3101
.LBB87_1643:
	s_mov_b64 s[4:5], 0
	s_mov_b64 s[0:1], 0
                                        ; implicit-def: $vgpr7_vgpr8
	s_cbranch_execnz .LBB87_1680
	s_branch .LBB87_1709
.LBB87_1644:
	s_mov_b64 s[14:15], -1
	s_mov_b64 s[4:5], 0
	s_mov_b64 s[0:1], 0
                                        ; implicit-def: $vgpr7_vgpr8
	s_branch .LBB87_1659
.LBB87_1645:
	s_mov_b64 s[4:5], 0
	s_mov_b64 s[0:1], 0
                                        ; implicit-def: $vgpr7_vgpr8
	s_cbranch_execnz .LBB87_1655
	s_branch .LBB87_1658
.LBB87_1646:
	s_mov_b64 s[14:15], -1
	s_mov_b64 s[4:5], 0
	s_mov_b64 s[0:1], 0
                                        ; implicit-def: $vgpr7_vgpr8
	s_branch .LBB87_1650
.LBB87_1647:
	s_andn2_saveexec_b64 s[14:15], s[14:15]
	s_cbranch_execz .LBB87_1498
.LBB87_1648:
	v_add_f32_e32 v0, 0x46000000, v1
	v_and_b32_e32 v0, 0xff, v0
	v_cmp_ne_u32_e32 vcc, 0, v0
	s_andn2_b64 s[12:13], s[12:13], exec
	s_and_b64 s[16:17], vcc, exec
	s_or_b64 s[12:13], s[12:13], s[16:17]
	s_or_b64 exec, exec, s[14:15]
	v_mov_b32_e32 v2, 0
	s_and_saveexec_b64 s[14:15], s[12:13]
	s_cbranch_execnz .LBB87_1499
	s_branch .LBB87_1500
.LBB87_1649:
	s_mov_b64 s[0:1], -1
                                        ; implicit-def: $vgpr7_vgpr8
	s_mov_b64 s[4:5], 0
.LBB87_1650:
	s_and_b64 vcc, exec, s[14:15]
	s_cbranch_vccz .LBB87_1653
; %bb.1651:
	s_cmp_eq_u32 s19, 44
	s_cbranch_scc0 .LBB87_1654
; %bb.1652:
	global_load_ubyte v1, v[20:21], off
	s_movk_i32 s4, 0xff
	v_bfrev_b32_e32 v3, 4
	v_mov_b32_e32 v5, 0x7ff80000
	v_bfrev_b32_e32 v10, 28
	s_mov_b64 s[0:1], 0
	s_waitcnt vmcnt(0)
	v_lshlrev_b32_e32 v7, 23, v1
	v_cvt_f64_f32_e32 v[7:8], v7
	v_cmp_ne_u32_e32 vcc, s4, v1
	s_mov_b64 s[4:5], -1
	v_cndmask_b32_e32 v3, v3, v7, vcc
	v_cndmask_b32_e32 v5, v5, v8, vcc
	v_cmp_ne_u32_e32 vcc, 0, v1
	v_cndmask_b32_e32 v8, v10, v5, vcc
	v_cndmask_b32_e32 v7, 0, v3, vcc
.LBB87_1653:
	s_branch .LBB87_1658
.LBB87_1654:
	s_mov_b64 s[0:1], -1
                                        ; implicit-def: $vgpr7_vgpr8
	s_branch .LBB87_1658
.LBB87_1655:
	s_cmp_eq_u32 s19, 29
	s_cbranch_scc0 .LBB87_1657
; %bb.1656:
	global_load_dwordx2 v[7:8], v[20:21], off
	s_mov_b64 s[0:1], 0
	s_mov_b64 s[4:5], -1
	s_mov_b64 s[14:15], 0
	s_waitcnt vmcnt(0)
	v_cvt_f64_u32_e32 v[22:23], v8
	v_cvt_f64_u32_e32 v[7:8], v7
	v_ldexp_f64 v[22:23], v[22:23], 32
	v_add_f64 v[7:8], v[22:23], v[7:8]
	s_branch .LBB87_1659
.LBB87_1657:
	s_mov_b64 s[0:1], -1
                                        ; implicit-def: $vgpr7_vgpr8
.LBB87_1658:
	s_mov_b64 s[14:15], 0
.LBB87_1659:
	s_and_b64 vcc, exec, s[14:15]
	s_cbranch_vccz .LBB87_1679
; %bb.1660:
	s_cmp_lt_i32 s19, 27
	s_cbranch_scc1 .LBB87_1663
; %bb.1661:
	s_cmp_gt_i32 s19, 27
	s_cbranch_scc0 .LBB87_1664
; %bb.1662:
	global_load_dword v1, v[20:21], off
	s_mov_b64 s[4:5], 0
	s_waitcnt vmcnt(0)
	v_cvt_f64_u32_e32 v[7:8], v1
	s_branch .LBB87_1665
.LBB87_1663:
	s_mov_b64 s[4:5], -1
                                        ; implicit-def: $vgpr7_vgpr8
	s_branch .LBB87_1668
.LBB87_1664:
	s_mov_b64 s[4:5], -1
                                        ; implicit-def: $vgpr7_vgpr8
.LBB87_1665:
	s_andn2_b64 vcc, exec, s[4:5]
	s_cbranch_vccnz .LBB87_1667
; %bb.1666:
	global_load_ushort v1, v[20:21], off
	s_waitcnt vmcnt(0)
	v_cvt_f64_u32_e32 v[7:8], v1
.LBB87_1667:
	s_mov_b64 s[4:5], 0
.LBB87_1668:
	s_andn2_b64 vcc, exec, s[4:5]
	s_cbranch_vccnz .LBB87_1678
; %bb.1669:
	global_load_ubyte v1, v[20:21], off
	s_movk_i32 s4, 0x7f
	s_waitcnt vmcnt(0)
	v_cmp_lt_i16_e32 vcc, s4, v1
	s_mov_b64 s[4:5], 0
	s_and_saveexec_b64 s[14:15], vcc
	s_xor_b64 s[14:15], exec, s[14:15]
	s_cbranch_execz .LBB87_1673
; %bb.1670:
	s_movk_i32 s4, 0x80
	v_cmp_eq_u16_e32 vcc, s4, v1
	s_mov_b64 s[4:5], -1
	s_and_saveexec_b64 s[16:17], vcc
; %bb.1671:
	s_xor_b64 s[4:5], exec, -1
; %bb.1672:
	s_or_b64 exec, exec, s[16:17]
	s_and_b64 s[4:5], s[4:5], exec
.LBB87_1673:
	s_or_saveexec_b64 s[14:15], s[14:15]
	v_bfrev_b32_e32 v7, 4
	v_mov_b32_e32 v8, 0x7ff80000
	s_xor_b64 exec, exec, s[14:15]
; %bb.1674:
	v_cmp_ne_u16_e32 vcc, 0, v1
	v_mov_b32_e32 v7, 0
	s_andn2_b64 s[4:5], s[4:5], exec
	s_and_b64 s[16:17], vcc, exec
	v_mov_b32_e32 v8, 0
	s_or_b64 s[4:5], s[4:5], s[16:17]
; %bb.1675:
	s_or_b64 exec, exec, s[14:15]
	s_and_saveexec_b64 s[14:15], s[4:5]
	s_cbranch_execz .LBB87_1677
; %bb.1676:
	v_lshlrev_b32_e32 v3, 24, v1
	v_and_b32_e32 v1, 0xffff, v1
	v_and_b32_e32 v5, 7, v1
	v_ffbh_u32_e32 v8, v5
	v_min_u32_e32 v8, 32, v8
	v_subrev_u32_e32 v10, 28, v8
	v_bfe_u32 v7, v1, 3, 4
	v_lshlrev_b32_e32 v1, v10, v1
	v_sub_u32_e32 v8, 29, v8
	v_and_b32_e32 v1, 7, v1
	v_cmp_eq_u32_e32 vcc, 0, v7
	v_cndmask_b32_e32 v7, v7, v8, vcc
	v_cndmask_b32_e32 v1, v5, v1, vcc
	v_mov_b32_e32 v5, 0x3b800000
	v_lshlrev_b32_e32 v1, 20, v1
	v_and_b32_e32 v3, 0x80000000, v3
	v_lshl_add_u32 v5, v7, 23, v5
	v_or3_b32 v1, v3, v5, v1
	v_cvt_f64_f32_e32 v[7:8], v1
.LBB87_1677:
	s_or_b64 exec, exec, s[14:15]
.LBB87_1678:
	s_mov_b64 s[4:5], -1
.LBB87_1679:
	s_branch .LBB87_1709
.LBB87_1680:
	s_cmp_gt_i32 s19, 22
	s_cbranch_scc0 .LBB87_1692
; %bb.1681:
	s_cmp_lt_i32 s19, 24
	s_cbranch_scc1 .LBB87_1693
; %bb.1682:
	s_cmp_gt_i32 s19, 24
	s_cbranch_scc0 .LBB87_1694
; %bb.1683:
	global_load_ubyte v1, v[20:21], off
	s_movk_i32 s2, 0x7f
	s_waitcnt vmcnt(0)
	v_cmp_lt_i16_e32 vcc, s2, v1
	s_mov_b64 s[2:3], 0
	s_and_saveexec_b64 s[4:5], vcc
	s_xor_b64 s[4:5], exec, s[4:5]
	s_cbranch_execz .LBB87_1687
; %bb.1684:
	s_movk_i32 s2, 0x80
	v_cmp_eq_u16_e32 vcc, s2, v1
	s_mov_b64 s[2:3], -1
	s_and_saveexec_b64 s[14:15], vcc
; %bb.1685:
	s_xor_b64 s[2:3], exec, -1
; %bb.1686:
	s_or_b64 exec, exec, s[14:15]
	s_and_b64 s[2:3], s[2:3], exec
.LBB87_1687:
	s_or_saveexec_b64 s[4:5], s[4:5]
	v_bfrev_b32_e32 v7, 4
	v_mov_b32_e32 v8, 0x7ff80000
	s_xor_b64 exec, exec, s[4:5]
; %bb.1688:
	v_cmp_ne_u16_e32 vcc, 0, v1
	v_mov_b32_e32 v7, 0
	s_andn2_b64 s[2:3], s[2:3], exec
	s_and_b64 s[14:15], vcc, exec
	v_mov_b32_e32 v8, 0
	s_or_b64 s[2:3], s[2:3], s[14:15]
; %bb.1689:
	s_or_b64 exec, exec, s[4:5]
	s_and_saveexec_b64 s[4:5], s[2:3]
	s_cbranch_execz .LBB87_1691
; %bb.1690:
	v_lshlrev_b32_e32 v3, 24, v1
	v_and_b32_e32 v1, 0xffff, v1
	v_and_b32_e32 v5, 3, v1
	v_ffbh_u32_e32 v8, v5
	v_min_u32_e32 v8, 32, v8
	v_subrev_u32_e32 v10, 29, v8
	v_bfe_u32 v7, v1, 2, 5
	v_lshlrev_b32_e32 v1, v10, v1
	v_sub_u32_e32 v8, 30, v8
	v_and_b32_e32 v1, 3, v1
	v_cmp_eq_u32_e32 vcc, 0, v7
	v_cndmask_b32_e32 v7, v7, v8, vcc
	v_cndmask_b32_e32 v1, v5, v1, vcc
	v_mov_b32_e32 v5, 0x37800000
	v_lshlrev_b32_e32 v1, 21, v1
	v_and_b32_e32 v3, 0x80000000, v3
	v_lshl_add_u32 v5, v7, 23, v5
	v_or3_b32 v1, v3, v5, v1
	v_cvt_f64_f32_e32 v[7:8], v1
.LBB87_1691:
	s_or_b64 exec, exec, s[4:5]
	s_mov_b64 s[2:3], 0
	s_branch .LBB87_1695
.LBB87_1692:
                                        ; implicit-def: $vgpr7_vgpr8
	s_mov_b64 s[2:3], 0
	s_branch .LBB87_1701
.LBB87_1693:
	s_mov_b64 s[2:3], -1
                                        ; implicit-def: $vgpr7_vgpr8
	s_branch .LBB87_1698
.LBB87_1694:
	s_mov_b64 s[2:3], -1
                                        ; implicit-def: $vgpr7_vgpr8
.LBB87_1695:
	s_and_b64 vcc, exec, s[2:3]
	s_cbranch_vccz .LBB87_1697
; %bb.1696:
	global_load_ubyte v1, v[20:21], off
	s_mov_b32 s2, 0x7f800000
	s_waitcnt vmcnt(0)
	v_lshlrev_b32_e32 v1, 24, v1
	v_and_b32_e32 v3, 0x7f000000, v1
	v_ffbh_u32_e32 v5, v3
	v_min_u32_e32 v5, 32, v5
	v_sub_u32_e64 v5, v5, 4 clamp
	v_lshlrev_b32_e32 v8, v5, v3
	v_lshlrev_b32_e32 v5, 23, v5
	v_lshrrev_b32_e32 v8, 4, v8
	v_add_u32_e32 v7, 0x1000000, v3
	v_sub_u32_e32 v5, v8, v5
	v_ashrrev_i32_e32 v7, 8, v7
	v_add_u32_e32 v5, 0x3c000000, v5
	v_and_or_b32 v5, v7, s2, v5
	v_cmp_ne_u32_e32 vcc, 0, v3
	v_cndmask_b32_e32 v3, 0, v5, vcc
	s_brev_b32 s2, 1
	v_and_or_b32 v1, v1, s2, v3
	v_cvt_f64_f32_e32 v[7:8], v1
.LBB87_1697:
	s_mov_b64 s[2:3], 0
.LBB87_1698:
	s_andn2_b64 vcc, exec, s[2:3]
	s_cbranch_vccnz .LBB87_1700
; %bb.1699:
	global_load_ubyte v1, v[20:21], off
	s_movk_i32 s2, 0x7f00
	s_brev_b32 s3, 16
	s_waitcnt vmcnt(0)
	v_lshlrev_b16_e32 v3, 8, v1
	v_lshlrev_b32_e32 v1, 25, v1
	v_lshrrev_b32_e32 v5, 4, v1
	v_and_or_b32 v7, v3, s2, 0.5
	v_or_b32_e32 v5, 0x70000000, v5
	v_add_f32_e32 v7, -0.5, v7
	v_mul_f32_e32 v5, 0x7800000, v5
	v_cmp_gt_u32_e32 vcc, s3, v1
	v_bfe_i32 v3, v3, 0, 16
	v_cndmask_b32_e32 v1, v5, v7, vcc
	s_brev_b32 s2, 1
	v_and_or_b32 v1, v3, s2, v1
	v_cvt_f64_f32_e32 v[7:8], v1
.LBB87_1700:
	s_mov_b64 s[4:5], -1
	s_mov_b64 s[2:3], 0
	s_cbranch_execnz .LBB87_1709
.LBB87_1701:
	s_cmp_gt_i32 s19, 14
	s_cbranch_scc0 .LBB87_1704
; %bb.1702:
	s_cmp_eq_u32 s19, 15
	s_cbranch_scc0 .LBB87_1705
; %bb.1703:
	global_load_ushort v1, v[20:21], off
	s_mov_b64 s[0:1], 0
	s_mov_b64 s[4:5], -1
	s_waitcnt vmcnt(0)
	v_lshlrev_b32_e32 v1, 16, v1
	v_cvt_f64_f32_e32 v[7:8], v1
	s_branch .LBB87_1706
.LBB87_1704:
	s_mov_b64 s[14:15], -1
                                        ; implicit-def: $vgpr7_vgpr8
	s_branch .LBB87_1707
.LBB87_1705:
	s_mov_b64 s[0:1], -1
                                        ; implicit-def: $vgpr7_vgpr8
.LBB87_1706:
	s_mov_b64 s[14:15], 0
.LBB87_1707:
	s_and_b64 vcc, exec, s[14:15]
	s_cbranch_vccz .LBB87_1709
; %bb.1708:
	s_cmp_lg_u32 s19, 11
	s_mov_b64 s[2:3], -1
	s_cselect_b64 s[0:1], -1, 0
.LBB87_1709:
	s_and_b64 vcc, exec, s[0:1]
	s_mov_b64 s[14:15], s[6:7]
	s_cbranch_vccnz .LBB87_1770
; %bb.1710:
	s_andn2_b64 vcc, exec, s[2:3]
	s_cbranch_vccnz .LBB87_1712
.LBB87_1711:
	global_load_ubyte v1, v[20:21], off
	v_mov_b32_e32 v3, 0x3ff00000
	v_mov_b32_e32 v7, 0
	s_mov_b64 s[4:5], -1
	s_waitcnt vmcnt(0)
	v_cmp_ne_u16_e32 vcc, 0, v1
	v_cndmask_b32_e32 v8, 0, v3, vcc
.LBB87_1712:
	s_branch .LBB87_1642
.LBB87_1713:
	s_and_b32 s2, 0xffff, s18
	s_cmp_lt_i32 s2, 5
	s_cbranch_scc1 .LBB87_1718
; %bb.1714:
	s_cmp_lt_i32 s2, 8
	s_cbranch_scc1 .LBB87_1719
; %bb.1715:
	;; [unrolled: 3-line block ×3, first 2 shown]
	s_cmp_gt_i32 s2, 9
	s_cbranch_scc0 .LBB87_1721
; %bb.1717:
	global_load_dwordx2 v[7:8], v[20:21], off
	s_mov_b64 s[0:1], 0
	s_branch .LBB87_1722
.LBB87_1718:
                                        ; implicit-def: $vgpr7_vgpr8
	s_branch .LBB87_1739
.LBB87_1719:
                                        ; implicit-def: $vgpr7_vgpr8
	s_branch .LBB87_1728
.LBB87_1720:
	s_mov_b64 s[0:1], -1
                                        ; implicit-def: $vgpr7_vgpr8
	s_branch .LBB87_1725
.LBB87_1721:
	s_mov_b64 s[0:1], -1
                                        ; implicit-def: $vgpr7_vgpr8
.LBB87_1722:
	s_andn2_b64 vcc, exec, s[0:1]
	s_cbranch_vccnz .LBB87_1724
; %bb.1723:
	global_load_dword v1, v[20:21], off
	s_waitcnt vmcnt(0)
	v_cvt_f64_f32_e32 v[7:8], v1
.LBB87_1724:
	s_mov_b64 s[0:1], 0
.LBB87_1725:
	s_andn2_b64 vcc, exec, s[0:1]
	s_cbranch_vccnz .LBB87_1727
; %bb.1726:
	global_load_dword v1, v[20:21], off
	s_waitcnt vmcnt(0)
	v_cvt_f32_f16_e32 v1, v1
	v_cvt_f64_f32_e32 v[7:8], v1
.LBB87_1727:
	s_cbranch_execnz .LBB87_1738
.LBB87_1728:
	s_cmp_lt_i32 s2, 6
	s_cbranch_scc1 .LBB87_1731
; %bb.1729:
	s_cmp_gt_i32 s2, 6
	s_cbranch_scc0 .LBB87_1732
; %bb.1730:
	global_load_dwordx2 v[7:8], v[20:21], off
	s_mov_b64 s[0:1], 0
	s_branch .LBB87_1733
.LBB87_1731:
	s_mov_b64 s[0:1], -1
                                        ; implicit-def: $vgpr7_vgpr8
	s_branch .LBB87_1736
.LBB87_1732:
	s_mov_b64 s[0:1], -1
                                        ; implicit-def: $vgpr7_vgpr8
.LBB87_1733:
	s_andn2_b64 vcc, exec, s[0:1]
	s_cbranch_vccnz .LBB87_1735
; %bb.1734:
	global_load_dword v1, v[20:21], off
	s_waitcnt vmcnt(0)
	v_cvt_f64_f32_e32 v[7:8], v1
.LBB87_1735:
	s_mov_b64 s[0:1], 0
.LBB87_1736:
	s_andn2_b64 vcc, exec, s[0:1]
	s_cbranch_vccnz .LBB87_1738
; %bb.1737:
	global_load_ushort v1, v[20:21], off
	s_waitcnt vmcnt(0)
	v_cvt_f32_f16_e32 v1, v1
	v_cvt_f64_f32_e32 v[7:8], v1
.LBB87_1738:
	s_cbranch_execnz .LBB87_1757
.LBB87_1739:
	s_cmp_lt_i32 s2, 2
	s_cbranch_scc1 .LBB87_1743
; %bb.1740:
	s_cmp_lt_i32 s2, 3
	s_cbranch_scc1 .LBB87_1744
; %bb.1741:
	s_cmp_gt_i32 s2, 3
	s_cbranch_scc0 .LBB87_1745
; %bb.1742:
	global_load_dwordx2 v[7:8], v[20:21], off
	s_mov_b64 s[0:1], 0
	s_waitcnt vmcnt(0)
	v_cvt_f64_i32_e32 v[22:23], v8
	v_cvt_f64_u32_e32 v[7:8], v7
	v_ldexp_f64 v[22:23], v[22:23], 32
	v_add_f64 v[7:8], v[22:23], v[7:8]
	s_branch .LBB87_1746
.LBB87_1743:
                                        ; implicit-def: $vgpr7_vgpr8
	s_branch .LBB87_1752
.LBB87_1744:
	s_mov_b64 s[0:1], -1
                                        ; implicit-def: $vgpr7_vgpr8
	s_branch .LBB87_1749
.LBB87_1745:
	s_mov_b64 s[0:1], -1
                                        ; implicit-def: $vgpr7_vgpr8
.LBB87_1746:
	s_andn2_b64 vcc, exec, s[0:1]
	s_cbranch_vccnz .LBB87_1748
; %bb.1747:
	global_load_dword v1, v[20:21], off
	s_waitcnt vmcnt(0)
	v_cvt_f64_i32_e32 v[7:8], v1
.LBB87_1748:
	s_mov_b64 s[0:1], 0
.LBB87_1749:
	s_andn2_b64 vcc, exec, s[0:1]
	s_cbranch_vccnz .LBB87_1751
; %bb.1750:
	global_load_sshort v1, v[20:21], off
	s_waitcnt vmcnt(0)
	v_cvt_f64_i32_e32 v[7:8], v1
.LBB87_1751:
	s_cbranch_execnz .LBB87_1757
.LBB87_1752:
	s_cmp_gt_i32 s2, 0
	s_cbranch_scc0 .LBB87_1754
; %bb.1753:
	global_load_sbyte v1, v[20:21], off
	s_mov_b64 s[0:1], 0
	s_waitcnt vmcnt(0)
	v_cvt_f64_i32_e32 v[7:8], v1
	s_branch .LBB87_1755
.LBB87_1754:
	s_mov_b64 s[0:1], -1
                                        ; implicit-def: $vgpr7_vgpr8
.LBB87_1755:
	s_andn2_b64 vcc, exec, s[0:1]
	s_cbranch_vccnz .LBB87_1757
; %bb.1756:
	global_load_ubyte v1, v[20:21], off
	s_waitcnt vmcnt(0)
	v_cvt_f64_u32_e32 v[7:8], v1
.LBB87_1757:
.LBB87_1758:
	s_load_dwordx2 s[0:1], s[24:25], 0x198
	s_bfe_u32 s22, s23, 0x80010
	s_cmp_lt_i32 s22, 11
	s_waitcnt lgkmcnt(0)
	v_mov_b32_e32 v1, s1
	v_add_co_u32_e32 v20, vcc, s0, v11
	v_addc_co_u32_e32 v21, vcc, 0, v1, vcc
	s_cbranch_scc1 .LBB87_1765
; %bb.1759:
	s_and_b32 s26, 0xffff, s22
	s_cmp_gt_i32 s26, 25
	s_mov_b64 s[4:5], 0
	s_cbranch_scc0 .LBB87_1767
; %bb.1760:
	s_cmp_gt_i32 s26, 28
	s_cbranch_scc0 .LBB87_1768
; %bb.1761:
	s_cmp_gt_i32 s26, 43
	;; [unrolled: 3-line block ×3, first 2 shown]
	s_cbranch_scc0 .LBB87_1771
; %bb.1763:
	s_cmp_eq_u32 s26, 46
	s_mov_b64 s[18:19], 0
	s_cbranch_scc0 .LBB87_1774
; %bb.1764:
	global_load_dword v1, v[20:21], off
	s_mov_b64 s[2:3], 0
	s_mov_b64 s[16:17], -1
	s_waitcnt vmcnt(0)
	v_lshlrev_b32_e32 v1, 16, v1
	v_cvt_f64_f32_e32 v[10:11], v1
	s_branch .LBB87_1775
.LBB87_1765:
	s_mov_b64 s[16:17], 0
                                        ; implicit-def: $vgpr10_vgpr11
	s_cbranch_execnz .LBB87_1840
.LBB87_1766:
	s_andn2_b64 vcc, exec, s[16:17]
	s_cbranch_vccnz .LBB87_3101
	s_branch .LBB87_1887
.LBB87_1767:
	s_mov_b64 s[16:17], 0
	s_mov_b64 s[2:3], 0
                                        ; implicit-def: $vgpr10_vgpr11
	s_cbranch_execnz .LBB87_1806
	s_branch .LBB87_1836
.LBB87_1768:
	s_mov_b64 s[18:19], -1
	s_mov_b64 s[16:17], 0
	s_mov_b64 s[2:3], 0
                                        ; implicit-def: $vgpr10_vgpr11
	s_branch .LBB87_1785
.LBB87_1769:
	s_mov_b64 s[18:19], -1
	s_mov_b64 s[16:17], 0
	s_mov_b64 s[2:3], 0
                                        ; implicit-def: $vgpr10_vgpr11
	s_branch .LBB87_1780
.LBB87_1770:
	s_or_b64 s[14:15], s[6:7], exec
	s_trap 2
	s_cbranch_execz .LBB87_1711
	s_branch .LBB87_1712
.LBB87_1771:
	s_mov_b64 s[18:19], -1
	s_mov_b64 s[16:17], 0
	s_mov_b64 s[2:3], 0
                                        ; implicit-def: $vgpr10_vgpr11
	s_branch .LBB87_1775
.LBB87_1772:
	s_andn2_saveexec_b64 s[16:17], s[16:17]
	s_cbranch_execz .LBB87_1510
.LBB87_1773:
	v_add_f32_e32 v0, 0x42800000, v1
	v_and_b32_e32 v0, 0xff, v0
	v_cmp_ne_u32_e32 vcc, 0, v0
	s_andn2_b64 s[14:15], s[14:15], exec
	s_and_b64 s[22:23], vcc, exec
	s_or_b64 s[14:15], s[14:15], s[22:23]
	s_or_b64 exec, exec, s[16:17]
	v_mov_b32_e32 v2, 0
	s_and_saveexec_b64 s[16:17], s[14:15]
	s_cbranch_execnz .LBB87_1511
	s_branch .LBB87_1512
.LBB87_1774:
	s_mov_b64 s[2:3], -1
                                        ; implicit-def: $vgpr10_vgpr11
	s_mov_b64 s[16:17], 0
.LBB87_1775:
	s_and_b64 vcc, exec, s[18:19]
	s_cbranch_vccz .LBB87_1779
; %bb.1776:
	s_cmp_eq_u32 s26, 44
	s_cbranch_scc0 .LBB87_1778
; %bb.1777:
	global_load_ubyte v1, v[20:21], off
	s_movk_i32 s16, 0xff
	v_bfrev_b32_e32 v3, 4
	v_mov_b32_e32 v5, 0x7ff80000
	v_bfrev_b32_e32 v13, 28
	s_mov_b64 s[2:3], 0
	s_waitcnt vmcnt(0)
	v_lshlrev_b32_e32 v10, 23, v1
	v_cvt_f64_f32_e32 v[10:11], v10
	v_cmp_ne_u32_e32 vcc, s16, v1
	s_mov_b64 s[16:17], -1
	v_cndmask_b32_e32 v3, v3, v10, vcc
	v_cndmask_b32_e32 v5, v5, v11, vcc
	v_cmp_ne_u32_e32 vcc, 0, v1
	v_cndmask_b32_e32 v11, v13, v5, vcc
	v_cndmask_b32_e32 v10, 0, v3, vcc
	s_branch .LBB87_1779
.LBB87_1778:
	s_mov_b64 s[2:3], -1
                                        ; implicit-def: $vgpr10_vgpr11
.LBB87_1779:
	s_mov_b64 s[18:19], 0
.LBB87_1780:
	s_and_b64 vcc, exec, s[18:19]
	s_cbranch_vccz .LBB87_1784
; %bb.1781:
	s_cmp_eq_u32 s26, 29
	s_cbranch_scc0 .LBB87_1783
; %bb.1782:
	global_load_dwordx2 v[10:11], v[20:21], off
	s_mov_b64 s[2:3], 0
	s_mov_b64 s[16:17], -1
	s_mov_b64 s[18:19], 0
	s_waitcnt vmcnt(0)
	v_cvt_f64_u32_e32 v[22:23], v11
	v_cvt_f64_u32_e32 v[10:11], v10
	v_ldexp_f64 v[22:23], v[22:23], 32
	v_add_f64 v[10:11], v[22:23], v[10:11]
	s_branch .LBB87_1785
.LBB87_1783:
	s_mov_b64 s[2:3], -1
                                        ; implicit-def: $vgpr10_vgpr11
.LBB87_1784:
	s_mov_b64 s[18:19], 0
.LBB87_1785:
	s_and_b64 vcc, exec, s[18:19]
	s_cbranch_vccz .LBB87_1805
; %bb.1786:
	s_cmp_lt_i32 s26, 27
	s_cbranch_scc1 .LBB87_1789
; %bb.1787:
	s_cmp_gt_i32 s26, 27
	s_cbranch_scc0 .LBB87_1790
; %bb.1788:
	global_load_dword v1, v[20:21], off
	s_mov_b64 s[16:17], 0
	s_waitcnt vmcnt(0)
	v_cvt_f64_u32_e32 v[10:11], v1
	s_branch .LBB87_1791
.LBB87_1789:
	s_mov_b64 s[16:17], -1
                                        ; implicit-def: $vgpr10_vgpr11
	s_branch .LBB87_1794
.LBB87_1790:
	s_mov_b64 s[16:17], -1
                                        ; implicit-def: $vgpr10_vgpr11
.LBB87_1791:
	s_andn2_b64 vcc, exec, s[16:17]
	s_cbranch_vccnz .LBB87_1793
; %bb.1792:
	global_load_ushort v1, v[20:21], off
	s_waitcnt vmcnt(0)
	v_cvt_f64_u32_e32 v[10:11], v1
.LBB87_1793:
	s_mov_b64 s[16:17], 0
.LBB87_1794:
	s_andn2_b64 vcc, exec, s[16:17]
	s_cbranch_vccnz .LBB87_1804
; %bb.1795:
	global_load_ubyte v1, v[20:21], off
	s_movk_i32 s16, 0x7f
	s_waitcnt vmcnt(0)
	v_cmp_lt_i16_e32 vcc, s16, v1
	s_mov_b64 s[16:17], 0
	s_and_saveexec_b64 s[18:19], vcc
	s_xor_b64 s[18:19], exec, s[18:19]
	s_cbranch_execz .LBB87_1799
; %bb.1796:
	s_movk_i32 s16, 0x80
	v_cmp_eq_u16_e32 vcc, s16, v1
	s_mov_b64 s[16:17], -1
	s_and_saveexec_b64 s[20:21], vcc
; %bb.1797:
	s_xor_b64 s[16:17], exec, -1
; %bb.1798:
	s_or_b64 exec, exec, s[20:21]
	s_and_b64 s[16:17], s[16:17], exec
.LBB87_1799:
	s_or_saveexec_b64 s[18:19], s[18:19]
	v_bfrev_b32_e32 v10, 4
	v_mov_b32_e32 v11, 0x7ff80000
	s_xor_b64 exec, exec, s[18:19]
; %bb.1800:
	v_cmp_ne_u16_e32 vcc, 0, v1
	v_mov_b32_e32 v10, 0
	s_andn2_b64 s[16:17], s[16:17], exec
	s_and_b64 s[20:21], vcc, exec
	v_mov_b32_e32 v11, 0
	s_or_b64 s[16:17], s[16:17], s[20:21]
; %bb.1801:
	s_or_b64 exec, exec, s[18:19]
	s_and_saveexec_b64 s[18:19], s[16:17]
	s_cbranch_execz .LBB87_1803
; %bb.1802:
	v_lshlrev_b32_e32 v3, 24, v1
	v_and_b32_e32 v1, 0xffff, v1
	v_and_b32_e32 v5, 7, v1
	v_ffbh_u32_e32 v11, v5
	v_min_u32_e32 v11, 32, v11
	v_subrev_u32_e32 v13, 28, v11
	v_bfe_u32 v10, v1, 3, 4
	v_lshlrev_b32_e32 v1, v13, v1
	v_sub_u32_e32 v11, 29, v11
	v_and_b32_e32 v1, 7, v1
	v_cmp_eq_u32_e32 vcc, 0, v10
	v_cndmask_b32_e32 v10, v10, v11, vcc
	v_cndmask_b32_e32 v1, v5, v1, vcc
	v_mov_b32_e32 v5, 0x3b800000
	v_lshlrev_b32_e32 v1, 20, v1
	v_and_b32_e32 v3, 0x80000000, v3
	v_lshl_add_u32 v5, v10, 23, v5
	v_or3_b32 v1, v3, v5, v1
	v_cvt_f64_f32_e32 v[10:11], v1
.LBB87_1803:
	s_or_b64 exec, exec, s[18:19]
.LBB87_1804:
	s_mov_b64 s[16:17], -1
.LBB87_1805:
	s_branch .LBB87_1836
.LBB87_1806:
	s_cmp_gt_i32 s26, 22
	s_cbranch_scc0 .LBB87_1818
; %bb.1807:
	s_cmp_lt_i32 s26, 24
	s_cbranch_scc1 .LBB87_1819
; %bb.1808:
	s_cmp_gt_i32 s26, 24
	s_cbranch_scc0 .LBB87_1820
; %bb.1809:
	global_load_ubyte v1, v[20:21], off
	s_movk_i32 s4, 0x7f
	s_waitcnt vmcnt(0)
	v_cmp_lt_i16_e32 vcc, s4, v1
	s_mov_b64 s[4:5], 0
	s_and_saveexec_b64 s[16:17], vcc
	s_xor_b64 s[16:17], exec, s[16:17]
	s_cbranch_execz .LBB87_1813
; %bb.1810:
	s_movk_i32 s4, 0x80
	v_cmp_eq_u16_e32 vcc, s4, v1
	s_mov_b64 s[4:5], -1
	s_and_saveexec_b64 s[18:19], vcc
; %bb.1811:
	s_xor_b64 s[4:5], exec, -1
; %bb.1812:
	s_or_b64 exec, exec, s[18:19]
	s_and_b64 s[4:5], s[4:5], exec
.LBB87_1813:
	s_or_saveexec_b64 s[16:17], s[16:17]
	v_bfrev_b32_e32 v10, 4
	v_mov_b32_e32 v11, 0x7ff80000
	s_xor_b64 exec, exec, s[16:17]
; %bb.1814:
	v_cmp_ne_u16_e32 vcc, 0, v1
	v_mov_b32_e32 v10, 0
	s_andn2_b64 s[4:5], s[4:5], exec
	s_and_b64 s[18:19], vcc, exec
	v_mov_b32_e32 v11, 0
	s_or_b64 s[4:5], s[4:5], s[18:19]
; %bb.1815:
	s_or_b64 exec, exec, s[16:17]
	s_and_saveexec_b64 s[16:17], s[4:5]
	s_cbranch_execz .LBB87_1817
; %bb.1816:
	v_lshlrev_b32_e32 v3, 24, v1
	v_and_b32_e32 v1, 0xffff, v1
	v_and_b32_e32 v5, 3, v1
	v_ffbh_u32_e32 v11, v5
	v_min_u32_e32 v11, 32, v11
	v_subrev_u32_e32 v13, 29, v11
	v_bfe_u32 v10, v1, 2, 5
	v_lshlrev_b32_e32 v1, v13, v1
	v_sub_u32_e32 v11, 30, v11
	v_and_b32_e32 v1, 3, v1
	v_cmp_eq_u32_e32 vcc, 0, v10
	v_cndmask_b32_e32 v10, v10, v11, vcc
	v_cndmask_b32_e32 v1, v5, v1, vcc
	v_mov_b32_e32 v5, 0x37800000
	v_lshlrev_b32_e32 v1, 21, v1
	v_and_b32_e32 v3, 0x80000000, v3
	v_lshl_add_u32 v5, v10, 23, v5
	v_or3_b32 v1, v3, v5, v1
	v_cvt_f64_f32_e32 v[10:11], v1
.LBB87_1817:
	s_or_b64 exec, exec, s[16:17]
	s_mov_b64 s[4:5], 0
	s_branch .LBB87_1821
.LBB87_1818:
	s_mov_b64 s[4:5], -1
                                        ; implicit-def: $vgpr10_vgpr11
	s_branch .LBB87_1827
.LBB87_1819:
	s_mov_b64 s[4:5], -1
                                        ; implicit-def: $vgpr10_vgpr11
	s_branch .LBB87_1824
.LBB87_1820:
	s_mov_b64 s[4:5], -1
                                        ; implicit-def: $vgpr10_vgpr11
.LBB87_1821:
	s_and_b64 vcc, exec, s[4:5]
	s_cbranch_vccz .LBB87_1823
; %bb.1822:
	global_load_ubyte v1, v[20:21], off
	s_mov_b32 s4, 0x7f800000
	s_waitcnt vmcnt(0)
	v_lshlrev_b32_e32 v1, 24, v1
	v_and_b32_e32 v3, 0x7f000000, v1
	v_ffbh_u32_e32 v5, v3
	v_min_u32_e32 v5, 32, v5
	v_sub_u32_e64 v5, v5, 4 clamp
	v_lshlrev_b32_e32 v11, v5, v3
	v_lshlrev_b32_e32 v5, 23, v5
	v_lshrrev_b32_e32 v11, 4, v11
	v_add_u32_e32 v10, 0x1000000, v3
	v_sub_u32_e32 v5, v11, v5
	v_ashrrev_i32_e32 v10, 8, v10
	v_add_u32_e32 v5, 0x3c000000, v5
	v_and_or_b32 v5, v10, s4, v5
	v_cmp_ne_u32_e32 vcc, 0, v3
	v_cndmask_b32_e32 v3, 0, v5, vcc
	s_brev_b32 s4, 1
	v_and_or_b32 v1, v1, s4, v3
	v_cvt_f64_f32_e32 v[10:11], v1
.LBB87_1823:
	s_mov_b64 s[4:5], 0
.LBB87_1824:
	s_andn2_b64 vcc, exec, s[4:5]
	s_cbranch_vccnz .LBB87_1826
; %bb.1825:
	global_load_ubyte v1, v[20:21], off
	s_movk_i32 s4, 0x7f00
	s_brev_b32 s5, 16
	s_waitcnt vmcnt(0)
	v_lshlrev_b16_e32 v3, 8, v1
	v_lshlrev_b32_e32 v1, 25, v1
	v_lshrrev_b32_e32 v5, 4, v1
	v_and_or_b32 v10, v3, s4, 0.5
	v_or_b32_e32 v5, 0x70000000, v5
	v_add_f32_e32 v10, -0.5, v10
	v_mul_f32_e32 v5, 0x7800000, v5
	v_cmp_gt_u32_e32 vcc, s5, v1
	v_bfe_i32 v3, v3, 0, 16
	v_cndmask_b32_e32 v1, v5, v10, vcc
	s_brev_b32 s4, 1
	v_and_or_b32 v1, v3, s4, v1
	v_cvt_f64_f32_e32 v[10:11], v1
.LBB87_1826:
	s_mov_b64 s[4:5], 0
	s_mov_b64 s[16:17], -1
.LBB87_1827:
	s_andn2_b64 vcc, exec, s[4:5]
	s_mov_b64 s[4:5], 0
	s_cbranch_vccnz .LBB87_1836
; %bb.1828:
	s_cmp_gt_i32 s26, 14
	s_cbranch_scc0 .LBB87_1831
; %bb.1829:
	s_cmp_eq_u32 s26, 15
	s_cbranch_scc0 .LBB87_1832
; %bb.1830:
	global_load_ushort v1, v[20:21], off
	s_mov_b64 s[2:3], 0
	s_mov_b64 s[16:17], -1
	s_waitcnt vmcnt(0)
	v_lshlrev_b32_e32 v1, 16, v1
	v_cvt_f64_f32_e32 v[10:11], v1
	s_branch .LBB87_1833
.LBB87_1831:
	s_mov_b64 s[18:19], -1
                                        ; implicit-def: $vgpr10_vgpr11
	s_branch .LBB87_1834
.LBB87_1832:
	s_mov_b64 s[2:3], -1
                                        ; implicit-def: $vgpr10_vgpr11
.LBB87_1833:
	s_mov_b64 s[18:19], 0
.LBB87_1834:
	s_and_b64 vcc, exec, s[18:19]
	s_cbranch_vccz .LBB87_1836
; %bb.1835:
	s_cmp_lg_u32 s26, 11
	s_mov_b64 s[4:5], -1
	s_cselect_b64 s[2:3], -1, 0
.LBB87_1836:
	s_and_b64 vcc, exec, s[2:3]
	s_cbranch_vccnz .LBB87_1899
; %bb.1837:
	s_andn2_b64 vcc, exec, s[4:5]
	s_cbranch_vccnz .LBB87_1839
.LBB87_1838:
	global_load_ubyte v1, v[20:21], off
	v_mov_b32_e32 v3, 0x3ff00000
	v_mov_b32_e32 v10, 0
	s_mov_b64 s[16:17], -1
	s_waitcnt vmcnt(0)
	v_cmp_ne_u16_e32 vcc, 0, v1
	v_cndmask_b32_e32 v11, 0, v3, vcc
.LBB87_1839:
	s_branch .LBB87_1766
.LBB87_1840:
	s_and_b32 s4, 0xffff, s22
	s_cmp_lt_i32 s4, 5
	s_cbranch_scc1 .LBB87_1845
; %bb.1841:
	s_cmp_lt_i32 s4, 8
	s_cbranch_scc1 .LBB87_1846
; %bb.1842:
	;; [unrolled: 3-line block ×3, first 2 shown]
	s_cmp_gt_i32 s4, 9
	s_cbranch_scc0 .LBB87_1848
; %bb.1844:
	global_load_dwordx2 v[10:11], v[20:21], off
	s_mov_b64 s[2:3], 0
	s_branch .LBB87_1849
.LBB87_1845:
                                        ; implicit-def: $vgpr10_vgpr11
	s_branch .LBB87_1867
.LBB87_1846:
	s_mov_b64 s[2:3], -1
                                        ; implicit-def: $vgpr10_vgpr11
	s_branch .LBB87_1855
.LBB87_1847:
	s_mov_b64 s[2:3], -1
                                        ; implicit-def: $vgpr10_vgpr11
	s_branch .LBB87_1852
.LBB87_1848:
	s_mov_b64 s[2:3], -1
                                        ; implicit-def: $vgpr10_vgpr11
.LBB87_1849:
	s_andn2_b64 vcc, exec, s[2:3]
	s_cbranch_vccnz .LBB87_1851
; %bb.1850:
	global_load_dword v1, v[20:21], off
	s_waitcnt vmcnt(0)
	v_cvt_f64_f32_e32 v[10:11], v1
.LBB87_1851:
	s_mov_b64 s[2:3], 0
.LBB87_1852:
	s_andn2_b64 vcc, exec, s[2:3]
	s_cbranch_vccnz .LBB87_1854
; %bb.1853:
	global_load_dword v1, v[20:21], off
	s_waitcnt vmcnt(0)
	v_cvt_f32_f16_e32 v1, v1
	v_cvt_f64_f32_e32 v[10:11], v1
.LBB87_1854:
	s_mov_b64 s[2:3], 0
.LBB87_1855:
	s_andn2_b64 vcc, exec, s[2:3]
	s_cbranch_vccnz .LBB87_1866
; %bb.1856:
	s_cmp_lt_i32 s4, 6
	s_cbranch_scc1 .LBB87_1859
; %bb.1857:
	s_cmp_gt_i32 s4, 6
	s_cbranch_scc0 .LBB87_1860
; %bb.1858:
	global_load_dwordx2 v[10:11], v[20:21], off
	s_mov_b64 s[2:3], 0
	s_branch .LBB87_1861
.LBB87_1859:
	s_mov_b64 s[2:3], -1
                                        ; implicit-def: $vgpr10_vgpr11
	s_branch .LBB87_1864
.LBB87_1860:
	s_mov_b64 s[2:3], -1
                                        ; implicit-def: $vgpr10_vgpr11
.LBB87_1861:
	s_andn2_b64 vcc, exec, s[2:3]
	s_cbranch_vccnz .LBB87_1863
; %bb.1862:
	global_load_dword v1, v[20:21], off
	s_waitcnt vmcnt(0)
	v_cvt_f64_f32_e32 v[10:11], v1
.LBB87_1863:
	s_mov_b64 s[2:3], 0
.LBB87_1864:
	s_andn2_b64 vcc, exec, s[2:3]
	s_cbranch_vccnz .LBB87_1866
; %bb.1865:
	global_load_ushort v1, v[20:21], off
	s_waitcnt vmcnt(0)
	v_cvt_f32_f16_e32 v1, v1
	v_cvt_f64_f32_e32 v[10:11], v1
.LBB87_1866:
	s_cbranch_execnz .LBB87_1886
.LBB87_1867:
	s_cmp_lt_i32 s4, 2
	s_cbranch_scc1 .LBB87_1871
; %bb.1868:
	s_cmp_lt_i32 s4, 3
	s_cbranch_scc1 .LBB87_1872
; %bb.1869:
	s_cmp_gt_i32 s4, 3
	s_cbranch_scc0 .LBB87_1873
; %bb.1870:
	global_load_dwordx2 v[10:11], v[20:21], off
	s_mov_b64 s[2:3], 0
	s_waitcnt vmcnt(0)
	v_cvt_f64_i32_e32 v[22:23], v11
	v_cvt_f64_u32_e32 v[10:11], v10
	v_ldexp_f64 v[22:23], v[22:23], 32
	v_add_f64 v[10:11], v[22:23], v[10:11]
	s_branch .LBB87_1874
.LBB87_1871:
	s_mov_b64 s[2:3], -1
                                        ; implicit-def: $vgpr10_vgpr11
	s_branch .LBB87_1880
.LBB87_1872:
	s_mov_b64 s[2:3], -1
                                        ; implicit-def: $vgpr10_vgpr11
	s_branch .LBB87_1877
.LBB87_1873:
	s_mov_b64 s[2:3], -1
                                        ; implicit-def: $vgpr10_vgpr11
.LBB87_1874:
	s_andn2_b64 vcc, exec, s[2:3]
	s_cbranch_vccnz .LBB87_1876
; %bb.1875:
	global_load_dword v1, v[20:21], off
	s_waitcnt vmcnt(0)
	v_cvt_f64_i32_e32 v[10:11], v1
.LBB87_1876:
	s_mov_b64 s[2:3], 0
.LBB87_1877:
	s_andn2_b64 vcc, exec, s[2:3]
	s_cbranch_vccnz .LBB87_1879
; %bb.1878:
	global_load_sshort v1, v[20:21], off
	s_waitcnt vmcnt(0)
	v_cvt_f64_i32_e32 v[10:11], v1
.LBB87_1879:
	s_mov_b64 s[2:3], 0
.LBB87_1880:
	s_andn2_b64 vcc, exec, s[2:3]
	s_cbranch_vccnz .LBB87_1886
; %bb.1881:
	s_cmp_gt_i32 s4, 0
	s_cbranch_scc0 .LBB87_1883
; %bb.1882:
	global_load_sbyte v1, v[20:21], off
	s_mov_b64 s[2:3], 0
	s_waitcnt vmcnt(0)
	v_cvt_f64_i32_e32 v[10:11], v1
	s_branch .LBB87_1884
.LBB87_1883:
	s_mov_b64 s[2:3], -1
                                        ; implicit-def: $vgpr10_vgpr11
.LBB87_1884:
	s_andn2_b64 vcc, exec, s[2:3]
	s_cbranch_vccnz .LBB87_1886
; %bb.1885:
	global_load_ubyte v1, v[20:21], off
	s_waitcnt vmcnt(0)
	v_cvt_f64_u32_e32 v[10:11], v1
.LBB87_1886:
.LBB87_1887:
	s_lshr_b32 s2, s23, 8
	v_mov_b32_e32 v1, s11
	s_and_b32 s22, s2, 0xff
	v_add_co_u32_e32 v20, vcc, s10, v12
	s_cmp_lt_i32 s22, 11
	v_addc_co_u32_e32 v21, vcc, 0, v1, vcc
	s_cbranch_scc1 .LBB87_1894
; %bb.1888:
	s_and_b32 s26, 0xffff, s22
	s_cmp_gt_i32 s26, 25
	s_mov_b64 s[4:5], 0
	s_cbranch_scc0 .LBB87_1896
; %bb.1889:
	s_cmp_gt_i32 s26, 28
	s_cbranch_scc0 .LBB87_1897
; %bb.1890:
	s_cmp_gt_i32 s26, 43
	s_cbranch_scc0 .LBB87_1898
; %bb.1891:
	s_cmp_gt_i32 s26, 45
	s_cbranch_scc0 .LBB87_1900
; %bb.1892:
	s_cmp_eq_u32 s26, 46
	s_mov_b64 s[18:19], 0
	s_cbranch_scc0 .LBB87_1901
; %bb.1893:
	global_load_dword v1, v[20:21], off
	s_mov_b64 s[2:3], 0
	s_mov_b64 s[16:17], -1
	s_waitcnt vmcnt(0)
	v_lshlrev_b32_e32 v1, 16, v1
	v_cvt_f64_f32_e32 v[12:13], v1
	s_branch .LBB87_1902
.LBB87_1894:
	s_mov_b64 s[16:17], 0
                                        ; implicit-def: $vgpr12_vgpr13
	s_cbranch_execnz .LBB87_1968
.LBB87_1895:
	s_andn2_b64 vcc, exec, s[16:17]
	s_cbranch_vccnz .LBB87_3101
	s_branch .LBB87_2016
.LBB87_1896:
	s_mov_b64 s[18:19], -1
	s_mov_b64 s[16:17], 0
	s_mov_b64 s[2:3], 0
                                        ; implicit-def: $vgpr12_vgpr13
	s_branch .LBB87_1933
.LBB87_1897:
	s_mov_b64 s[18:19], -1
	s_mov_b64 s[16:17], 0
	s_mov_b64 s[2:3], 0
                                        ; implicit-def: $vgpr12_vgpr13
	s_branch .LBB87_1912
.LBB87_1898:
	s_mov_b64 s[18:19], -1
	s_mov_b64 s[16:17], 0
	s_mov_b64 s[2:3], 0
                                        ; implicit-def: $vgpr12_vgpr13
	s_branch .LBB87_1907
.LBB87_1899:
	s_trap 2
	s_or_b64 s[14:15], s[14:15], exec
	s_cbranch_execz .LBB87_1838
	s_branch .LBB87_1839
.LBB87_1900:
	s_mov_b64 s[18:19], -1
	s_mov_b64 s[16:17], 0
	s_mov_b64 s[2:3], 0
                                        ; implicit-def: $vgpr12_vgpr13
	s_branch .LBB87_1902
.LBB87_1901:
	s_mov_b64 s[2:3], -1
                                        ; implicit-def: $vgpr12_vgpr13
	s_mov_b64 s[16:17], 0
.LBB87_1902:
	s_and_b64 vcc, exec, s[18:19]
	s_cbranch_vccz .LBB87_1906
; %bb.1903:
	s_cmp_eq_u32 s26, 44
	s_cbranch_scc0 .LBB87_1905
; %bb.1904:
	global_load_ubyte v1, v[20:21], off
	s_movk_i32 s16, 0xff
	v_bfrev_b32_e32 v3, 4
	v_mov_b32_e32 v5, 0x7ff80000
	v_bfrev_b32_e32 v15, 28
	s_mov_b64 s[2:3], 0
	s_waitcnt vmcnt(0)
	v_lshlrev_b32_e32 v12, 23, v1
	v_cvt_f64_f32_e32 v[12:13], v12
	v_cmp_ne_u32_e32 vcc, s16, v1
	s_mov_b64 s[16:17], -1
	v_cndmask_b32_e32 v3, v3, v12, vcc
	v_cndmask_b32_e32 v5, v5, v13, vcc
	v_cmp_ne_u32_e32 vcc, 0, v1
	v_cndmask_b32_e32 v13, v15, v5, vcc
	v_cndmask_b32_e32 v12, 0, v3, vcc
	s_branch .LBB87_1906
.LBB87_1905:
	s_mov_b64 s[2:3], -1
                                        ; implicit-def: $vgpr12_vgpr13
.LBB87_1906:
	s_mov_b64 s[18:19], 0
.LBB87_1907:
	s_and_b64 vcc, exec, s[18:19]
	s_cbranch_vccz .LBB87_1911
; %bb.1908:
	s_cmp_eq_u32 s26, 29
	s_cbranch_scc0 .LBB87_1910
; %bb.1909:
	global_load_dwordx2 v[12:13], v[20:21], off
	s_mov_b64 s[2:3], 0
	s_mov_b64 s[16:17], -1
	s_mov_b64 s[18:19], 0
	s_waitcnt vmcnt(0)
	v_cvt_f64_u32_e32 v[22:23], v13
	v_cvt_f64_u32_e32 v[12:13], v12
	v_ldexp_f64 v[22:23], v[22:23], 32
	v_add_f64 v[12:13], v[22:23], v[12:13]
	s_branch .LBB87_1912
.LBB87_1910:
	s_mov_b64 s[2:3], -1
                                        ; implicit-def: $vgpr12_vgpr13
.LBB87_1911:
	s_mov_b64 s[18:19], 0
.LBB87_1912:
	s_and_b64 vcc, exec, s[18:19]
	s_cbranch_vccz .LBB87_1932
; %bb.1913:
	s_cmp_lt_i32 s26, 27
	s_cbranch_scc1 .LBB87_1916
; %bb.1914:
	s_cmp_gt_i32 s26, 27
	s_cbranch_scc0 .LBB87_1917
; %bb.1915:
	global_load_dword v1, v[20:21], off
	s_mov_b64 s[16:17], 0
	s_waitcnt vmcnt(0)
	v_cvt_f64_u32_e32 v[12:13], v1
	s_branch .LBB87_1918
.LBB87_1916:
	s_mov_b64 s[16:17], -1
                                        ; implicit-def: $vgpr12_vgpr13
	s_branch .LBB87_1921
.LBB87_1917:
	s_mov_b64 s[16:17], -1
                                        ; implicit-def: $vgpr12_vgpr13
.LBB87_1918:
	s_andn2_b64 vcc, exec, s[16:17]
	s_cbranch_vccnz .LBB87_1920
; %bb.1919:
	global_load_ushort v1, v[20:21], off
	s_waitcnt vmcnt(0)
	v_cvt_f64_u32_e32 v[12:13], v1
.LBB87_1920:
	s_mov_b64 s[16:17], 0
.LBB87_1921:
	s_andn2_b64 vcc, exec, s[16:17]
	s_cbranch_vccnz .LBB87_1931
; %bb.1922:
	global_load_ubyte v1, v[20:21], off
	s_movk_i32 s16, 0x7f
	s_waitcnt vmcnt(0)
	v_cmp_lt_i16_e32 vcc, s16, v1
	s_mov_b64 s[16:17], 0
	s_and_saveexec_b64 s[18:19], vcc
	s_xor_b64 s[18:19], exec, s[18:19]
	s_cbranch_execz .LBB87_1926
; %bb.1923:
	s_movk_i32 s16, 0x80
	v_cmp_eq_u16_e32 vcc, s16, v1
	s_mov_b64 s[16:17], -1
	s_and_saveexec_b64 s[20:21], vcc
; %bb.1924:
	s_xor_b64 s[16:17], exec, -1
; %bb.1925:
	s_or_b64 exec, exec, s[20:21]
	s_and_b64 s[16:17], s[16:17], exec
.LBB87_1926:
	s_or_saveexec_b64 s[18:19], s[18:19]
	v_bfrev_b32_e32 v12, 4
	v_mov_b32_e32 v13, 0x7ff80000
	s_xor_b64 exec, exec, s[18:19]
; %bb.1927:
	v_cmp_ne_u16_e32 vcc, 0, v1
	v_mov_b32_e32 v12, 0
	s_andn2_b64 s[16:17], s[16:17], exec
	s_and_b64 s[20:21], vcc, exec
	v_mov_b32_e32 v13, 0
	s_or_b64 s[16:17], s[16:17], s[20:21]
; %bb.1928:
	s_or_b64 exec, exec, s[18:19]
	s_and_saveexec_b64 s[18:19], s[16:17]
	s_cbranch_execz .LBB87_1930
; %bb.1929:
	v_lshlrev_b32_e32 v3, 24, v1
	v_and_b32_e32 v1, 0xffff, v1
	v_and_b32_e32 v5, 7, v1
	v_ffbh_u32_e32 v13, v5
	v_min_u32_e32 v13, 32, v13
	v_subrev_u32_e32 v15, 28, v13
	v_bfe_u32 v12, v1, 3, 4
	v_lshlrev_b32_e32 v1, v15, v1
	v_sub_u32_e32 v13, 29, v13
	v_and_b32_e32 v1, 7, v1
	v_cmp_eq_u32_e32 vcc, 0, v12
	v_cndmask_b32_e32 v12, v12, v13, vcc
	v_cndmask_b32_e32 v1, v5, v1, vcc
	v_mov_b32_e32 v5, 0x3b800000
	v_lshlrev_b32_e32 v1, 20, v1
	v_and_b32_e32 v3, 0x80000000, v3
	v_lshl_add_u32 v5, v12, 23, v5
	v_or3_b32 v1, v3, v5, v1
	v_cvt_f64_f32_e32 v[12:13], v1
.LBB87_1930:
	s_or_b64 exec, exec, s[18:19]
.LBB87_1931:
	s_mov_b64 s[16:17], -1
.LBB87_1932:
	s_mov_b64 s[18:19], 0
.LBB87_1933:
	s_and_b64 vcc, exec, s[18:19]
	s_cbranch_vccz .LBB87_1964
; %bb.1934:
	s_cmp_gt_i32 s26, 22
	s_cbranch_scc0 .LBB87_1946
; %bb.1935:
	s_cmp_lt_i32 s26, 24
	s_cbranch_scc1 .LBB87_1947
; %bb.1936:
	s_cmp_gt_i32 s26, 24
	s_cbranch_scc0 .LBB87_1948
; %bb.1937:
	global_load_ubyte v1, v[20:21], off
	s_movk_i32 s4, 0x7f
	s_waitcnt vmcnt(0)
	v_cmp_lt_i16_e32 vcc, s4, v1
	s_mov_b64 s[4:5], 0
	s_and_saveexec_b64 s[16:17], vcc
	s_xor_b64 s[16:17], exec, s[16:17]
	s_cbranch_execz .LBB87_1941
; %bb.1938:
	s_movk_i32 s4, 0x80
	v_cmp_eq_u16_e32 vcc, s4, v1
	s_mov_b64 s[4:5], -1
	s_and_saveexec_b64 s[18:19], vcc
; %bb.1939:
	s_xor_b64 s[4:5], exec, -1
; %bb.1940:
	s_or_b64 exec, exec, s[18:19]
	s_and_b64 s[4:5], s[4:5], exec
.LBB87_1941:
	s_or_saveexec_b64 s[16:17], s[16:17]
	v_bfrev_b32_e32 v12, 4
	v_mov_b32_e32 v13, 0x7ff80000
	s_xor_b64 exec, exec, s[16:17]
; %bb.1942:
	v_cmp_ne_u16_e32 vcc, 0, v1
	v_mov_b32_e32 v12, 0
	s_andn2_b64 s[4:5], s[4:5], exec
	s_and_b64 s[18:19], vcc, exec
	v_mov_b32_e32 v13, 0
	s_or_b64 s[4:5], s[4:5], s[18:19]
; %bb.1943:
	s_or_b64 exec, exec, s[16:17]
	s_and_saveexec_b64 s[16:17], s[4:5]
	s_cbranch_execz .LBB87_1945
; %bb.1944:
	v_lshlrev_b32_e32 v3, 24, v1
	v_and_b32_e32 v1, 0xffff, v1
	v_and_b32_e32 v5, 3, v1
	v_ffbh_u32_e32 v13, v5
	v_min_u32_e32 v13, 32, v13
	v_subrev_u32_e32 v15, 29, v13
	v_bfe_u32 v12, v1, 2, 5
	v_lshlrev_b32_e32 v1, v15, v1
	v_sub_u32_e32 v13, 30, v13
	v_and_b32_e32 v1, 3, v1
	v_cmp_eq_u32_e32 vcc, 0, v12
	v_cndmask_b32_e32 v12, v12, v13, vcc
	v_cndmask_b32_e32 v1, v5, v1, vcc
	v_mov_b32_e32 v5, 0x37800000
	v_lshlrev_b32_e32 v1, 21, v1
	v_and_b32_e32 v3, 0x80000000, v3
	v_lshl_add_u32 v5, v12, 23, v5
	v_or3_b32 v1, v3, v5, v1
	v_cvt_f64_f32_e32 v[12:13], v1
.LBB87_1945:
	s_or_b64 exec, exec, s[16:17]
	s_mov_b64 s[4:5], 0
	s_branch .LBB87_1949
.LBB87_1946:
	s_mov_b64 s[4:5], -1
                                        ; implicit-def: $vgpr12_vgpr13
	s_branch .LBB87_1955
.LBB87_1947:
	s_mov_b64 s[4:5], -1
                                        ; implicit-def: $vgpr12_vgpr13
	s_branch .LBB87_1952
.LBB87_1948:
	s_mov_b64 s[4:5], -1
                                        ; implicit-def: $vgpr12_vgpr13
.LBB87_1949:
	s_and_b64 vcc, exec, s[4:5]
	s_cbranch_vccz .LBB87_1951
; %bb.1950:
	global_load_ubyte v1, v[20:21], off
	s_mov_b32 s4, 0x7f800000
	s_waitcnt vmcnt(0)
	v_lshlrev_b32_e32 v1, 24, v1
	v_and_b32_e32 v3, 0x7f000000, v1
	v_ffbh_u32_e32 v5, v3
	v_min_u32_e32 v5, 32, v5
	v_sub_u32_e64 v5, v5, 4 clamp
	v_lshlrev_b32_e32 v13, v5, v3
	v_lshlrev_b32_e32 v5, 23, v5
	v_lshrrev_b32_e32 v13, 4, v13
	v_add_u32_e32 v12, 0x1000000, v3
	v_sub_u32_e32 v5, v13, v5
	v_ashrrev_i32_e32 v12, 8, v12
	v_add_u32_e32 v5, 0x3c000000, v5
	v_and_or_b32 v5, v12, s4, v5
	v_cmp_ne_u32_e32 vcc, 0, v3
	v_cndmask_b32_e32 v3, 0, v5, vcc
	s_brev_b32 s4, 1
	v_and_or_b32 v1, v1, s4, v3
	v_cvt_f64_f32_e32 v[12:13], v1
.LBB87_1951:
	s_mov_b64 s[4:5], 0
.LBB87_1952:
	s_andn2_b64 vcc, exec, s[4:5]
	s_cbranch_vccnz .LBB87_1954
; %bb.1953:
	global_load_ubyte v1, v[20:21], off
	s_movk_i32 s4, 0x7f00
	s_brev_b32 s5, 16
	s_waitcnt vmcnt(0)
	v_lshlrev_b16_e32 v3, 8, v1
	v_lshlrev_b32_e32 v1, 25, v1
	v_lshrrev_b32_e32 v5, 4, v1
	v_and_or_b32 v12, v3, s4, 0.5
	v_or_b32_e32 v5, 0x70000000, v5
	v_add_f32_e32 v12, -0.5, v12
	v_mul_f32_e32 v5, 0x7800000, v5
	v_cmp_gt_u32_e32 vcc, s5, v1
	v_bfe_i32 v3, v3, 0, 16
	v_cndmask_b32_e32 v1, v5, v12, vcc
	s_brev_b32 s4, 1
	v_and_or_b32 v1, v3, s4, v1
	v_cvt_f64_f32_e32 v[12:13], v1
.LBB87_1954:
	s_mov_b64 s[4:5], 0
	s_mov_b64 s[16:17], -1
.LBB87_1955:
	s_andn2_b64 vcc, exec, s[4:5]
	s_mov_b64 s[4:5], 0
	s_cbranch_vccnz .LBB87_1964
; %bb.1956:
	s_cmp_gt_i32 s26, 14
	s_cbranch_scc0 .LBB87_1959
; %bb.1957:
	s_cmp_eq_u32 s26, 15
	s_cbranch_scc0 .LBB87_1960
; %bb.1958:
	global_load_ushort v1, v[20:21], off
	s_mov_b64 s[2:3], 0
	s_mov_b64 s[16:17], -1
	s_waitcnt vmcnt(0)
	v_lshlrev_b32_e32 v1, 16, v1
	v_cvt_f64_f32_e32 v[12:13], v1
	s_branch .LBB87_1961
.LBB87_1959:
	s_mov_b64 s[18:19], -1
                                        ; implicit-def: $vgpr12_vgpr13
	s_branch .LBB87_1962
.LBB87_1960:
	s_mov_b64 s[2:3], -1
                                        ; implicit-def: $vgpr12_vgpr13
.LBB87_1961:
	s_mov_b64 s[18:19], 0
.LBB87_1962:
	s_and_b64 vcc, exec, s[18:19]
	s_cbranch_vccz .LBB87_1964
; %bb.1963:
	s_cmp_lg_u32 s26, 11
	s_mov_b64 s[4:5], -1
	s_cselect_b64 s[2:3], -1, 0
.LBB87_1964:
	s_and_b64 vcc, exec, s[2:3]
	s_cbranch_vccnz .LBB87_2027
; %bb.1965:
	s_andn2_b64 vcc, exec, s[4:5]
	s_cbranch_vccnz .LBB87_1967
.LBB87_1966:
	global_load_ubyte v1, v[20:21], off
	v_mov_b32_e32 v3, 0x3ff00000
	v_mov_b32_e32 v12, 0
	s_mov_b64 s[16:17], -1
	s_waitcnt vmcnt(0)
	v_cmp_ne_u16_e32 vcc, 0, v1
	v_cndmask_b32_e32 v13, 0, v3, vcc
.LBB87_1967:
	s_branch .LBB87_1895
.LBB87_1968:
	s_and_b32 s4, 0xffff, s22
	s_cmp_lt_i32 s4, 5
	s_cbranch_scc1 .LBB87_1973
; %bb.1969:
	s_cmp_lt_i32 s4, 8
	s_cbranch_scc1 .LBB87_1974
; %bb.1970:
	;; [unrolled: 3-line block ×3, first 2 shown]
	s_cmp_gt_i32 s4, 9
	s_cbranch_scc0 .LBB87_1976
; %bb.1972:
	global_load_dwordx2 v[12:13], v[20:21], off
	s_mov_b64 s[2:3], 0
	s_branch .LBB87_1977
.LBB87_1973:
	s_mov_b64 s[2:3], -1
                                        ; implicit-def: $vgpr12_vgpr13
	s_branch .LBB87_1995
.LBB87_1974:
	s_mov_b64 s[2:3], -1
                                        ; implicit-def: $vgpr12_vgpr13
	s_branch .LBB87_1983
.LBB87_1975:
	s_mov_b64 s[2:3], -1
                                        ; implicit-def: $vgpr12_vgpr13
	s_branch .LBB87_1980
.LBB87_1976:
	s_mov_b64 s[2:3], -1
                                        ; implicit-def: $vgpr12_vgpr13
.LBB87_1977:
	s_andn2_b64 vcc, exec, s[2:3]
	s_cbranch_vccnz .LBB87_1979
; %bb.1978:
	global_load_dword v1, v[20:21], off
	s_waitcnt vmcnt(0)
	v_cvt_f64_f32_e32 v[12:13], v1
.LBB87_1979:
	s_mov_b64 s[2:3], 0
.LBB87_1980:
	s_andn2_b64 vcc, exec, s[2:3]
	s_cbranch_vccnz .LBB87_1982
; %bb.1981:
	global_load_dword v1, v[20:21], off
	s_waitcnt vmcnt(0)
	v_cvt_f32_f16_e32 v1, v1
	v_cvt_f64_f32_e32 v[12:13], v1
.LBB87_1982:
	s_mov_b64 s[2:3], 0
.LBB87_1983:
	s_andn2_b64 vcc, exec, s[2:3]
	s_cbranch_vccnz .LBB87_1994
; %bb.1984:
	s_cmp_lt_i32 s4, 6
	s_cbranch_scc1 .LBB87_1987
; %bb.1985:
	s_cmp_gt_i32 s4, 6
	s_cbranch_scc0 .LBB87_1988
; %bb.1986:
	global_load_dwordx2 v[12:13], v[20:21], off
	s_mov_b64 s[2:3], 0
	s_branch .LBB87_1989
.LBB87_1987:
	s_mov_b64 s[2:3], -1
                                        ; implicit-def: $vgpr12_vgpr13
	s_branch .LBB87_1992
.LBB87_1988:
	s_mov_b64 s[2:3], -1
                                        ; implicit-def: $vgpr12_vgpr13
.LBB87_1989:
	s_andn2_b64 vcc, exec, s[2:3]
	s_cbranch_vccnz .LBB87_1991
; %bb.1990:
	global_load_dword v1, v[20:21], off
	s_waitcnt vmcnt(0)
	v_cvt_f64_f32_e32 v[12:13], v1
.LBB87_1991:
	s_mov_b64 s[2:3], 0
.LBB87_1992:
	s_andn2_b64 vcc, exec, s[2:3]
	s_cbranch_vccnz .LBB87_1994
; %bb.1993:
	global_load_ushort v1, v[20:21], off
	s_waitcnt vmcnt(0)
	v_cvt_f32_f16_e32 v1, v1
	v_cvt_f64_f32_e32 v[12:13], v1
.LBB87_1994:
	s_mov_b64 s[2:3], 0
.LBB87_1995:
	s_andn2_b64 vcc, exec, s[2:3]
	s_cbranch_vccnz .LBB87_2015
; %bb.1996:
	s_cmp_lt_i32 s4, 2
	s_cbranch_scc1 .LBB87_2000
; %bb.1997:
	s_cmp_lt_i32 s4, 3
	s_cbranch_scc1 .LBB87_2001
; %bb.1998:
	s_cmp_gt_i32 s4, 3
	s_cbranch_scc0 .LBB87_2002
; %bb.1999:
	global_load_dwordx2 v[12:13], v[20:21], off
	s_mov_b64 s[2:3], 0
	s_waitcnt vmcnt(0)
	v_cvt_f64_i32_e32 v[22:23], v13
	v_cvt_f64_u32_e32 v[12:13], v12
	v_ldexp_f64 v[22:23], v[22:23], 32
	v_add_f64 v[12:13], v[22:23], v[12:13]
	s_branch .LBB87_2003
.LBB87_2000:
	s_mov_b64 s[2:3], -1
                                        ; implicit-def: $vgpr12_vgpr13
	s_branch .LBB87_2009
.LBB87_2001:
	s_mov_b64 s[2:3], -1
                                        ; implicit-def: $vgpr12_vgpr13
	s_branch .LBB87_2006
.LBB87_2002:
	s_mov_b64 s[2:3], -1
                                        ; implicit-def: $vgpr12_vgpr13
.LBB87_2003:
	s_andn2_b64 vcc, exec, s[2:3]
	s_cbranch_vccnz .LBB87_2005
; %bb.2004:
	global_load_dword v1, v[20:21], off
	s_waitcnt vmcnt(0)
	v_cvt_f64_i32_e32 v[12:13], v1
.LBB87_2005:
	s_mov_b64 s[2:3], 0
.LBB87_2006:
	s_andn2_b64 vcc, exec, s[2:3]
	s_cbranch_vccnz .LBB87_2008
; %bb.2007:
	global_load_sshort v1, v[20:21], off
	s_waitcnt vmcnt(0)
	v_cvt_f64_i32_e32 v[12:13], v1
.LBB87_2008:
	s_mov_b64 s[2:3], 0
.LBB87_2009:
	s_andn2_b64 vcc, exec, s[2:3]
	s_cbranch_vccnz .LBB87_2015
; %bb.2010:
	s_cmp_gt_i32 s4, 0
	s_cbranch_scc0 .LBB87_2012
; %bb.2011:
	global_load_sbyte v1, v[20:21], off
	s_mov_b64 s[2:3], 0
	s_waitcnt vmcnt(0)
	v_cvt_f64_i32_e32 v[12:13], v1
	s_branch .LBB87_2013
.LBB87_2012:
	s_mov_b64 s[2:3], -1
                                        ; implicit-def: $vgpr12_vgpr13
.LBB87_2013:
	s_andn2_b64 vcc, exec, s[2:3]
	s_cbranch_vccnz .LBB87_2015
; %bb.2014:
	global_load_ubyte v1, v[20:21], off
	s_waitcnt vmcnt(0)
	v_cvt_f64_u32_e32 v[12:13], v1
.LBB87_2015:
.LBB87_2016:
	s_lshr_b32 s2, s23, 16
	v_mov_b32_e32 v1, s1
	s_and_b32 s23, s2, 0xff
	v_add_co_u32_e32 v20, vcc, s0, v16
	s_cmp_lt_i32 s23, 11
	v_addc_co_u32_e32 v21, vcc, 0, v1, vcc
	s_cbranch_scc1 .LBB87_2023
; %bb.2017:
	s_and_b32 s26, 0xffff, s23
	s_cmp_gt_i32 s26, 25
	s_mov_b64 s[4:5], 0
	s_cbranch_scc0 .LBB87_2024
; %bb.2018:
	s_cmp_gt_i32 s26, 28
	s_cbranch_scc0 .LBB87_2025
; %bb.2019:
	s_cmp_gt_i32 s26, 43
	;; [unrolled: 3-line block ×3, first 2 shown]
	s_cbranch_scc0 .LBB87_2028
; %bb.2021:
	s_cmp_eq_u32 s26, 46
	s_mov_b64 s[18:19], 0
	s_cbranch_scc0 .LBB87_2029
; %bb.2022:
	global_load_dword v1, v[20:21], off
	s_mov_b64 s[2:3], 0
	s_mov_b64 s[16:17], -1
	s_waitcnt vmcnt(0)
	v_lshlrev_b32_e32 v1, 16, v1
	v_cvt_f64_f32_e32 v[15:16], v1
	s_branch .LBB87_2030
.LBB87_2023:
	s_mov_b64 s[2:3], -1
	s_mov_b64 s[16:17], 0
                                        ; implicit-def: $vgpr15_vgpr16
	s_branch .LBB87_2096
.LBB87_2024:
	s_mov_b64 s[18:19], -1
	s_mov_b64 s[16:17], 0
	s_mov_b64 s[2:3], 0
                                        ; implicit-def: $vgpr15_vgpr16
	s_branch .LBB87_2061
.LBB87_2025:
	s_mov_b64 s[18:19], -1
	s_mov_b64 s[16:17], 0
	s_mov_b64 s[2:3], 0
                                        ; implicit-def: $vgpr15_vgpr16
	s_branch .LBB87_2040
.LBB87_2026:
	s_mov_b64 s[18:19], -1
	s_mov_b64 s[16:17], 0
	s_mov_b64 s[2:3], 0
                                        ; implicit-def: $vgpr15_vgpr16
	s_branch .LBB87_2035
.LBB87_2027:
	s_trap 2
	s_or_b64 s[14:15], s[14:15], exec
	s_cbranch_execz .LBB87_1966
	s_branch .LBB87_1967
.LBB87_2028:
	s_mov_b64 s[18:19], -1
	s_mov_b64 s[16:17], 0
	s_mov_b64 s[2:3], 0
                                        ; implicit-def: $vgpr15_vgpr16
	s_branch .LBB87_2030
.LBB87_2029:
	s_mov_b64 s[2:3], -1
                                        ; implicit-def: $vgpr15_vgpr16
	s_mov_b64 s[16:17], 0
.LBB87_2030:
	s_and_b64 vcc, exec, s[18:19]
	s_cbranch_vccz .LBB87_2034
; %bb.2031:
	s_cmp_eq_u32 s26, 44
	s_cbranch_scc0 .LBB87_2033
; %bb.2032:
	global_load_ubyte v1, v[20:21], off
	s_movk_i32 s16, 0xff
	v_bfrev_b32_e32 v3, 4
	v_mov_b32_e32 v5, 0x7ff80000
	v_bfrev_b32_e32 v18, 28
	s_mov_b64 s[2:3], 0
	s_waitcnt vmcnt(0)
	v_lshlrev_b32_e32 v15, 23, v1
	v_cvt_f64_f32_e32 v[15:16], v15
	v_cmp_ne_u32_e32 vcc, s16, v1
	s_mov_b64 s[16:17], -1
	v_cndmask_b32_e32 v3, v3, v15, vcc
	v_cndmask_b32_e32 v5, v5, v16, vcc
	v_cmp_ne_u32_e32 vcc, 0, v1
	v_cndmask_b32_e32 v16, v18, v5, vcc
	v_cndmask_b32_e32 v15, 0, v3, vcc
	s_branch .LBB87_2034
.LBB87_2033:
	s_mov_b64 s[2:3], -1
                                        ; implicit-def: $vgpr15_vgpr16
.LBB87_2034:
	s_mov_b64 s[18:19], 0
.LBB87_2035:
	s_and_b64 vcc, exec, s[18:19]
	s_cbranch_vccz .LBB87_2039
; %bb.2036:
	s_cmp_eq_u32 s26, 29
	s_cbranch_scc0 .LBB87_2038
; %bb.2037:
	global_load_dwordx2 v[15:16], v[20:21], off
	s_mov_b64 s[2:3], 0
	s_mov_b64 s[16:17], -1
	s_mov_b64 s[18:19], 0
	s_waitcnt vmcnt(0)
	v_cvt_f64_u32_e32 v[22:23], v16
	v_cvt_f64_u32_e32 v[15:16], v15
	v_ldexp_f64 v[22:23], v[22:23], 32
	v_add_f64 v[15:16], v[22:23], v[15:16]
	s_branch .LBB87_2040
.LBB87_2038:
	s_mov_b64 s[2:3], -1
                                        ; implicit-def: $vgpr15_vgpr16
.LBB87_2039:
	s_mov_b64 s[18:19], 0
.LBB87_2040:
	s_and_b64 vcc, exec, s[18:19]
	s_cbranch_vccz .LBB87_2060
; %bb.2041:
	s_cmp_lt_i32 s26, 27
	s_cbranch_scc1 .LBB87_2044
; %bb.2042:
	s_cmp_gt_i32 s26, 27
	s_cbranch_scc0 .LBB87_2045
; %bb.2043:
	global_load_dword v1, v[20:21], off
	s_mov_b64 s[16:17], 0
	s_waitcnt vmcnt(0)
	v_cvt_f64_u32_e32 v[15:16], v1
	s_branch .LBB87_2046
.LBB87_2044:
	s_mov_b64 s[16:17], -1
                                        ; implicit-def: $vgpr15_vgpr16
	s_branch .LBB87_2049
.LBB87_2045:
	s_mov_b64 s[16:17], -1
                                        ; implicit-def: $vgpr15_vgpr16
.LBB87_2046:
	s_andn2_b64 vcc, exec, s[16:17]
	s_cbranch_vccnz .LBB87_2048
; %bb.2047:
	global_load_ushort v1, v[20:21], off
	s_waitcnt vmcnt(0)
	v_cvt_f64_u32_e32 v[15:16], v1
.LBB87_2048:
	s_mov_b64 s[16:17], 0
.LBB87_2049:
	s_andn2_b64 vcc, exec, s[16:17]
	s_cbranch_vccnz .LBB87_2059
; %bb.2050:
	global_load_ubyte v1, v[20:21], off
	s_movk_i32 s16, 0x7f
	s_waitcnt vmcnt(0)
	v_cmp_lt_i16_e32 vcc, s16, v1
	s_mov_b64 s[16:17], 0
	s_and_saveexec_b64 s[18:19], vcc
	s_xor_b64 s[18:19], exec, s[18:19]
	s_cbranch_execz .LBB87_2054
; %bb.2051:
	s_movk_i32 s16, 0x80
	v_cmp_eq_u16_e32 vcc, s16, v1
	s_mov_b64 s[16:17], -1
	s_and_saveexec_b64 s[20:21], vcc
; %bb.2052:
	s_xor_b64 s[16:17], exec, -1
; %bb.2053:
	s_or_b64 exec, exec, s[20:21]
	s_and_b64 s[16:17], s[16:17], exec
.LBB87_2054:
	s_or_saveexec_b64 s[18:19], s[18:19]
	v_bfrev_b32_e32 v15, 4
	v_mov_b32_e32 v16, 0x7ff80000
	s_xor_b64 exec, exec, s[18:19]
; %bb.2055:
	v_cmp_ne_u16_e32 vcc, 0, v1
	v_mov_b32_e32 v15, 0
	s_andn2_b64 s[16:17], s[16:17], exec
	s_and_b64 s[20:21], vcc, exec
	v_mov_b32_e32 v16, 0
	s_or_b64 s[16:17], s[16:17], s[20:21]
; %bb.2056:
	s_or_b64 exec, exec, s[18:19]
	s_and_saveexec_b64 s[18:19], s[16:17]
	s_cbranch_execz .LBB87_2058
; %bb.2057:
	v_lshlrev_b32_e32 v3, 24, v1
	v_and_b32_e32 v1, 0xffff, v1
	v_and_b32_e32 v5, 7, v1
	v_ffbh_u32_e32 v16, v5
	v_min_u32_e32 v16, 32, v16
	v_subrev_u32_e32 v18, 28, v16
	v_bfe_u32 v15, v1, 3, 4
	v_lshlrev_b32_e32 v1, v18, v1
	v_sub_u32_e32 v16, 29, v16
	v_and_b32_e32 v1, 7, v1
	v_cmp_eq_u32_e32 vcc, 0, v15
	v_cndmask_b32_e32 v15, v15, v16, vcc
	v_cndmask_b32_e32 v1, v5, v1, vcc
	v_mov_b32_e32 v5, 0x3b800000
	v_lshlrev_b32_e32 v1, 20, v1
	v_and_b32_e32 v3, 0x80000000, v3
	v_lshl_add_u32 v5, v15, 23, v5
	v_or3_b32 v1, v3, v5, v1
	v_cvt_f64_f32_e32 v[15:16], v1
.LBB87_2058:
	s_or_b64 exec, exec, s[18:19]
.LBB87_2059:
	s_mov_b64 s[16:17], -1
.LBB87_2060:
	s_mov_b64 s[18:19], 0
.LBB87_2061:
	s_and_b64 vcc, exec, s[18:19]
	s_cbranch_vccz .LBB87_2092
; %bb.2062:
	s_cmp_gt_i32 s26, 22
	s_cbranch_scc0 .LBB87_2074
; %bb.2063:
	s_cmp_lt_i32 s26, 24
	s_cbranch_scc1 .LBB87_2075
; %bb.2064:
	s_cmp_gt_i32 s26, 24
	s_cbranch_scc0 .LBB87_2076
; %bb.2065:
	global_load_ubyte v1, v[20:21], off
	s_movk_i32 s4, 0x7f
	s_waitcnt vmcnt(0)
	v_cmp_lt_i16_e32 vcc, s4, v1
	s_mov_b64 s[4:5], 0
	s_and_saveexec_b64 s[16:17], vcc
	s_xor_b64 s[16:17], exec, s[16:17]
	s_cbranch_execz .LBB87_2069
; %bb.2066:
	s_movk_i32 s4, 0x80
	v_cmp_eq_u16_e32 vcc, s4, v1
	s_mov_b64 s[4:5], -1
	s_and_saveexec_b64 s[18:19], vcc
; %bb.2067:
	s_xor_b64 s[4:5], exec, -1
; %bb.2068:
	s_or_b64 exec, exec, s[18:19]
	s_and_b64 s[4:5], s[4:5], exec
.LBB87_2069:
	s_or_saveexec_b64 s[16:17], s[16:17]
	v_bfrev_b32_e32 v15, 4
	v_mov_b32_e32 v16, 0x7ff80000
	s_xor_b64 exec, exec, s[16:17]
; %bb.2070:
	v_cmp_ne_u16_e32 vcc, 0, v1
	v_mov_b32_e32 v15, 0
	s_andn2_b64 s[4:5], s[4:5], exec
	s_and_b64 s[18:19], vcc, exec
	v_mov_b32_e32 v16, 0
	s_or_b64 s[4:5], s[4:5], s[18:19]
; %bb.2071:
	s_or_b64 exec, exec, s[16:17]
	s_and_saveexec_b64 s[16:17], s[4:5]
	s_cbranch_execz .LBB87_2073
; %bb.2072:
	v_lshlrev_b32_e32 v3, 24, v1
	v_and_b32_e32 v1, 0xffff, v1
	v_and_b32_e32 v5, 3, v1
	v_ffbh_u32_e32 v16, v5
	v_min_u32_e32 v16, 32, v16
	v_subrev_u32_e32 v18, 29, v16
	v_bfe_u32 v15, v1, 2, 5
	v_lshlrev_b32_e32 v1, v18, v1
	v_sub_u32_e32 v16, 30, v16
	v_and_b32_e32 v1, 3, v1
	v_cmp_eq_u32_e32 vcc, 0, v15
	v_cndmask_b32_e32 v15, v15, v16, vcc
	v_cndmask_b32_e32 v1, v5, v1, vcc
	v_mov_b32_e32 v5, 0x37800000
	v_lshlrev_b32_e32 v1, 21, v1
	v_and_b32_e32 v3, 0x80000000, v3
	v_lshl_add_u32 v5, v15, 23, v5
	v_or3_b32 v1, v3, v5, v1
	v_cvt_f64_f32_e32 v[15:16], v1
.LBB87_2073:
	s_or_b64 exec, exec, s[16:17]
	s_mov_b64 s[4:5], 0
	s_branch .LBB87_2077
.LBB87_2074:
	s_mov_b64 s[4:5], -1
                                        ; implicit-def: $vgpr15_vgpr16
	s_branch .LBB87_2083
.LBB87_2075:
	s_mov_b64 s[4:5], -1
                                        ; implicit-def: $vgpr15_vgpr16
	s_branch .LBB87_2080
.LBB87_2076:
	s_mov_b64 s[4:5], -1
                                        ; implicit-def: $vgpr15_vgpr16
.LBB87_2077:
	s_and_b64 vcc, exec, s[4:5]
	s_cbranch_vccz .LBB87_2079
; %bb.2078:
	global_load_ubyte v1, v[20:21], off
	s_mov_b32 s4, 0x7f800000
	s_waitcnt vmcnt(0)
	v_lshlrev_b32_e32 v1, 24, v1
	v_and_b32_e32 v3, 0x7f000000, v1
	v_ffbh_u32_e32 v5, v3
	v_min_u32_e32 v5, 32, v5
	v_sub_u32_e64 v5, v5, 4 clamp
	v_lshlrev_b32_e32 v16, v5, v3
	v_lshlrev_b32_e32 v5, 23, v5
	v_lshrrev_b32_e32 v16, 4, v16
	v_add_u32_e32 v15, 0x1000000, v3
	v_sub_u32_e32 v5, v16, v5
	v_ashrrev_i32_e32 v15, 8, v15
	v_add_u32_e32 v5, 0x3c000000, v5
	v_and_or_b32 v5, v15, s4, v5
	v_cmp_ne_u32_e32 vcc, 0, v3
	v_cndmask_b32_e32 v3, 0, v5, vcc
	s_brev_b32 s4, 1
	v_and_or_b32 v1, v1, s4, v3
	v_cvt_f64_f32_e32 v[15:16], v1
.LBB87_2079:
	s_mov_b64 s[4:5], 0
.LBB87_2080:
	s_andn2_b64 vcc, exec, s[4:5]
	s_cbranch_vccnz .LBB87_2082
; %bb.2081:
	global_load_ubyte v1, v[20:21], off
	s_movk_i32 s4, 0x7f00
	s_brev_b32 s5, 16
	s_waitcnt vmcnt(0)
	v_lshlrev_b16_e32 v3, 8, v1
	v_lshlrev_b32_e32 v1, 25, v1
	v_lshrrev_b32_e32 v5, 4, v1
	v_and_or_b32 v15, v3, s4, 0.5
	v_or_b32_e32 v5, 0x70000000, v5
	v_add_f32_e32 v15, -0.5, v15
	v_mul_f32_e32 v5, 0x7800000, v5
	v_cmp_gt_u32_e32 vcc, s5, v1
	v_bfe_i32 v3, v3, 0, 16
	v_cndmask_b32_e32 v1, v5, v15, vcc
	s_brev_b32 s4, 1
	v_and_or_b32 v1, v3, s4, v1
	v_cvt_f64_f32_e32 v[15:16], v1
.LBB87_2082:
	s_mov_b64 s[4:5], 0
	s_mov_b64 s[16:17], -1
.LBB87_2083:
	s_andn2_b64 vcc, exec, s[4:5]
	s_mov_b64 s[4:5], 0
	s_cbranch_vccnz .LBB87_2092
; %bb.2084:
	s_cmp_gt_i32 s26, 14
	s_cbranch_scc0 .LBB87_2087
; %bb.2085:
	s_cmp_eq_u32 s26, 15
	s_cbranch_scc0 .LBB87_2088
; %bb.2086:
	global_load_ushort v1, v[20:21], off
	s_mov_b64 s[2:3], 0
	s_mov_b64 s[16:17], -1
	s_waitcnt vmcnt(0)
	v_lshlrev_b32_e32 v1, 16, v1
	v_cvt_f64_f32_e32 v[15:16], v1
	s_branch .LBB87_2089
.LBB87_2087:
	s_mov_b64 s[18:19], -1
                                        ; implicit-def: $vgpr15_vgpr16
	s_branch .LBB87_2090
.LBB87_2088:
	s_mov_b64 s[2:3], -1
                                        ; implicit-def: $vgpr15_vgpr16
.LBB87_2089:
	s_mov_b64 s[18:19], 0
.LBB87_2090:
	s_and_b64 vcc, exec, s[18:19]
	s_cbranch_vccz .LBB87_2092
; %bb.2091:
	s_cmp_lg_u32 s26, 11
	s_mov_b64 s[4:5], -1
	s_cselect_b64 s[2:3], -1, 0
.LBB87_2092:
	s_and_b64 vcc, exec, s[2:3]
	s_cbranch_vccnz .LBB87_2157
; %bb.2093:
	s_andn2_b64 vcc, exec, s[4:5]
	s_cbranch_vccnz .LBB87_2095
.LBB87_2094:
	global_load_ubyte v1, v[20:21], off
	v_mov_b32_e32 v3, 0x3ff00000
	v_mov_b32_e32 v15, 0
	s_mov_b64 s[16:17], -1
	s_waitcnt vmcnt(0)
	v_cmp_ne_u16_e32 vcc, 0, v1
	v_cndmask_b32_e32 v16, 0, v3, vcc
.LBB87_2095:
	s_mov_b64 s[2:3], 0
.LBB87_2096:
	s_and_b64 vcc, exec, s[2:3]
	s_cbranch_vccz .LBB87_2145
; %bb.2097:
	s_and_b32 s4, 0xffff, s23
	s_cmp_lt_i32 s4, 5
	s_cbranch_scc1 .LBB87_2102
; %bb.2098:
	s_cmp_lt_i32 s4, 8
	s_cbranch_scc1 .LBB87_2103
; %bb.2099:
	;; [unrolled: 3-line block ×3, first 2 shown]
	s_cmp_gt_i32 s4, 9
	s_cbranch_scc0 .LBB87_2105
; %bb.2101:
	global_load_dwordx2 v[15:16], v[20:21], off
	s_mov_b64 s[2:3], 0
	s_branch .LBB87_2106
.LBB87_2102:
	s_mov_b64 s[2:3], -1
                                        ; implicit-def: $vgpr15_vgpr16
	s_branch .LBB87_2124
.LBB87_2103:
	s_mov_b64 s[2:3], -1
                                        ; implicit-def: $vgpr15_vgpr16
	s_branch .LBB87_2112
.LBB87_2104:
	s_mov_b64 s[2:3], -1
                                        ; implicit-def: $vgpr15_vgpr16
	s_branch .LBB87_2109
.LBB87_2105:
	s_mov_b64 s[2:3], -1
                                        ; implicit-def: $vgpr15_vgpr16
.LBB87_2106:
	s_andn2_b64 vcc, exec, s[2:3]
	s_cbranch_vccnz .LBB87_2108
; %bb.2107:
	global_load_dword v1, v[20:21], off
	s_waitcnt vmcnt(0)
	v_cvt_f64_f32_e32 v[15:16], v1
.LBB87_2108:
	s_mov_b64 s[2:3], 0
.LBB87_2109:
	s_andn2_b64 vcc, exec, s[2:3]
	s_cbranch_vccnz .LBB87_2111
; %bb.2110:
	global_load_dword v1, v[20:21], off
	s_waitcnt vmcnt(0)
	v_cvt_f32_f16_e32 v1, v1
	v_cvt_f64_f32_e32 v[15:16], v1
.LBB87_2111:
	s_mov_b64 s[2:3], 0
.LBB87_2112:
	s_andn2_b64 vcc, exec, s[2:3]
	s_cbranch_vccnz .LBB87_2123
; %bb.2113:
	s_cmp_lt_i32 s4, 6
	s_cbranch_scc1 .LBB87_2116
; %bb.2114:
	s_cmp_gt_i32 s4, 6
	s_cbranch_scc0 .LBB87_2117
; %bb.2115:
	global_load_dwordx2 v[15:16], v[20:21], off
	s_mov_b64 s[2:3], 0
	s_branch .LBB87_2118
.LBB87_2116:
	s_mov_b64 s[2:3], -1
                                        ; implicit-def: $vgpr15_vgpr16
	s_branch .LBB87_2121
.LBB87_2117:
	s_mov_b64 s[2:3], -1
                                        ; implicit-def: $vgpr15_vgpr16
.LBB87_2118:
	s_andn2_b64 vcc, exec, s[2:3]
	s_cbranch_vccnz .LBB87_2120
; %bb.2119:
	global_load_dword v1, v[20:21], off
	s_waitcnt vmcnt(0)
	v_cvt_f64_f32_e32 v[15:16], v1
.LBB87_2120:
	s_mov_b64 s[2:3], 0
.LBB87_2121:
	s_andn2_b64 vcc, exec, s[2:3]
	s_cbranch_vccnz .LBB87_2123
; %bb.2122:
	global_load_ushort v1, v[20:21], off
	s_waitcnt vmcnt(0)
	v_cvt_f32_f16_e32 v1, v1
	v_cvt_f64_f32_e32 v[15:16], v1
.LBB87_2123:
	s_mov_b64 s[2:3], 0
.LBB87_2124:
	s_andn2_b64 vcc, exec, s[2:3]
	s_cbranch_vccnz .LBB87_2144
; %bb.2125:
	s_cmp_lt_i32 s4, 2
	s_cbranch_scc1 .LBB87_2129
; %bb.2126:
	s_cmp_lt_i32 s4, 3
	s_cbranch_scc1 .LBB87_2130
; %bb.2127:
	s_cmp_gt_i32 s4, 3
	s_cbranch_scc0 .LBB87_2131
; %bb.2128:
	global_load_dwordx2 v[15:16], v[20:21], off
	s_mov_b64 s[2:3], 0
	s_waitcnt vmcnt(0)
	v_cvt_f64_i32_e32 v[22:23], v16
	v_cvt_f64_u32_e32 v[15:16], v15
	v_ldexp_f64 v[22:23], v[22:23], 32
	v_add_f64 v[15:16], v[22:23], v[15:16]
	s_branch .LBB87_2132
.LBB87_2129:
	s_mov_b64 s[2:3], -1
                                        ; implicit-def: $vgpr15_vgpr16
	s_branch .LBB87_2138
.LBB87_2130:
	s_mov_b64 s[2:3], -1
                                        ; implicit-def: $vgpr15_vgpr16
	s_branch .LBB87_2135
.LBB87_2131:
	s_mov_b64 s[2:3], -1
                                        ; implicit-def: $vgpr15_vgpr16
.LBB87_2132:
	s_andn2_b64 vcc, exec, s[2:3]
	s_cbranch_vccnz .LBB87_2134
; %bb.2133:
	global_load_dword v1, v[20:21], off
	s_waitcnt vmcnt(0)
	v_cvt_f64_i32_e32 v[15:16], v1
.LBB87_2134:
	s_mov_b64 s[2:3], 0
.LBB87_2135:
	s_andn2_b64 vcc, exec, s[2:3]
	s_cbranch_vccnz .LBB87_2137
; %bb.2136:
	global_load_sshort v1, v[20:21], off
	s_waitcnt vmcnt(0)
	v_cvt_f64_i32_e32 v[15:16], v1
.LBB87_2137:
	s_mov_b64 s[2:3], 0
.LBB87_2138:
	s_andn2_b64 vcc, exec, s[2:3]
	s_cbranch_vccnz .LBB87_2144
; %bb.2139:
	s_cmp_gt_i32 s4, 0
	s_cbranch_scc0 .LBB87_2141
; %bb.2140:
	global_load_sbyte v1, v[20:21], off
	s_mov_b64 s[2:3], 0
	s_waitcnt vmcnt(0)
	v_cvt_f64_i32_e32 v[15:16], v1
	s_branch .LBB87_2142
.LBB87_2141:
	s_mov_b64 s[2:3], -1
                                        ; implicit-def: $vgpr15_vgpr16
.LBB87_2142:
	s_andn2_b64 vcc, exec, s[2:3]
	s_cbranch_vccnz .LBB87_2144
; %bb.2143:
	global_load_ubyte v1, v[20:21], off
	s_waitcnt vmcnt(0)
	v_cvt_f64_u32_e32 v[15:16], v1
.LBB87_2144:
	s_mov_b64 s[16:17], -1
.LBB87_2145:
	s_andn2_b64 vcc, exec, s[16:17]
	s_cbranch_vccnz .LBB87_3101
; %bb.2146:
	v_mov_b32_e32 v1, s11
	v_add_co_u32_e32 v20, vcc, s10, v17
	s_cmp_lt_i32 s22, 11
	v_addc_co_u32_e32 v21, vcc, 0, v1, vcc
	s_cbranch_scc1 .LBB87_2153
; %bb.2147:
	s_and_b32 s26, 0xffff, s22
	s_cmp_gt_i32 s26, 25
	s_mov_b64 s[4:5], 0
	s_cbranch_scc0 .LBB87_2154
; %bb.2148:
	s_cmp_gt_i32 s26, 28
	s_cbranch_scc0 .LBB87_2155
; %bb.2149:
	s_cmp_gt_i32 s26, 43
	;; [unrolled: 3-line block ×3, first 2 shown]
	s_cbranch_scc0 .LBB87_2158
; %bb.2151:
	s_cmp_eq_u32 s26, 46
	s_mov_b64 s[18:19], 0
	s_cbranch_scc0 .LBB87_2159
; %bb.2152:
	global_load_dword v1, v[20:21], off
	s_mov_b64 s[2:3], 0
	s_mov_b64 s[16:17], -1
	s_waitcnt vmcnt(0)
	v_lshlrev_b32_e32 v1, 16, v1
	v_cvt_f64_f32_e32 v[17:18], v1
	s_branch .LBB87_2160
.LBB87_2153:
	s_mov_b64 s[2:3], -1
	s_mov_b64 s[16:17], 0
                                        ; implicit-def: $vgpr17_vgpr18
	s_branch .LBB87_2226
.LBB87_2154:
	s_mov_b64 s[18:19], -1
	s_mov_b64 s[16:17], 0
	s_mov_b64 s[2:3], 0
                                        ; implicit-def: $vgpr17_vgpr18
	s_branch .LBB87_2191
.LBB87_2155:
	s_mov_b64 s[18:19], -1
	s_mov_b64 s[16:17], 0
	s_mov_b64 s[2:3], 0
                                        ; implicit-def: $vgpr17_vgpr18
	s_branch .LBB87_2170
.LBB87_2156:
	s_mov_b64 s[18:19], -1
	s_mov_b64 s[16:17], 0
	s_mov_b64 s[2:3], 0
                                        ; implicit-def: $vgpr17_vgpr18
	s_branch .LBB87_2165
.LBB87_2157:
	s_trap 2
	s_or_b64 s[14:15], s[14:15], exec
	s_cbranch_execz .LBB87_2094
	s_branch .LBB87_2095
.LBB87_2158:
	s_mov_b64 s[18:19], -1
	s_mov_b64 s[16:17], 0
	s_mov_b64 s[2:3], 0
                                        ; implicit-def: $vgpr17_vgpr18
	s_branch .LBB87_2160
.LBB87_2159:
	s_mov_b64 s[2:3], -1
                                        ; implicit-def: $vgpr17_vgpr18
	s_mov_b64 s[16:17], 0
.LBB87_2160:
	s_and_b64 vcc, exec, s[18:19]
	s_cbranch_vccz .LBB87_2164
; %bb.2161:
	s_cmp_eq_u32 s26, 44
	s_cbranch_scc0 .LBB87_2163
; %bb.2162:
	global_load_ubyte v1, v[20:21], off
	s_movk_i32 s16, 0xff
	v_bfrev_b32_e32 v3, 4
	v_mov_b32_e32 v5, 0x7ff80000
	v_bfrev_b32_e32 v22, 28
	s_mov_b64 s[2:3], 0
	s_waitcnt vmcnt(0)
	v_lshlrev_b32_e32 v17, 23, v1
	v_cvt_f64_f32_e32 v[17:18], v17
	v_cmp_ne_u32_e32 vcc, s16, v1
	s_mov_b64 s[16:17], -1
	v_cndmask_b32_e32 v3, v3, v17, vcc
	v_cndmask_b32_e32 v5, v5, v18, vcc
	v_cmp_ne_u32_e32 vcc, 0, v1
	v_cndmask_b32_e32 v18, v22, v5, vcc
	v_cndmask_b32_e32 v17, 0, v3, vcc
	s_branch .LBB87_2164
.LBB87_2163:
	s_mov_b64 s[2:3], -1
                                        ; implicit-def: $vgpr17_vgpr18
.LBB87_2164:
	s_mov_b64 s[18:19], 0
.LBB87_2165:
	s_and_b64 vcc, exec, s[18:19]
	s_cbranch_vccz .LBB87_2169
; %bb.2166:
	s_cmp_eq_u32 s26, 29
	s_cbranch_scc0 .LBB87_2168
; %bb.2167:
	global_load_dwordx2 v[17:18], v[20:21], off
	s_mov_b64 s[2:3], 0
	s_mov_b64 s[16:17], -1
	s_mov_b64 s[18:19], 0
	s_waitcnt vmcnt(0)
	v_cvt_f64_u32_e32 v[22:23], v18
	v_cvt_f64_u32_e32 v[17:18], v17
	v_ldexp_f64 v[22:23], v[22:23], 32
	v_add_f64 v[17:18], v[22:23], v[17:18]
	s_branch .LBB87_2170
.LBB87_2168:
	s_mov_b64 s[2:3], -1
                                        ; implicit-def: $vgpr17_vgpr18
.LBB87_2169:
	s_mov_b64 s[18:19], 0
.LBB87_2170:
	s_and_b64 vcc, exec, s[18:19]
	s_cbranch_vccz .LBB87_2190
; %bb.2171:
	s_cmp_lt_i32 s26, 27
	s_cbranch_scc1 .LBB87_2174
; %bb.2172:
	s_cmp_gt_i32 s26, 27
	s_cbranch_scc0 .LBB87_2175
; %bb.2173:
	global_load_dword v1, v[20:21], off
	s_mov_b64 s[16:17], 0
	s_waitcnt vmcnt(0)
	v_cvt_f64_u32_e32 v[17:18], v1
	s_branch .LBB87_2176
.LBB87_2174:
	s_mov_b64 s[16:17], -1
                                        ; implicit-def: $vgpr17_vgpr18
	s_branch .LBB87_2179
.LBB87_2175:
	s_mov_b64 s[16:17], -1
                                        ; implicit-def: $vgpr17_vgpr18
.LBB87_2176:
	s_andn2_b64 vcc, exec, s[16:17]
	s_cbranch_vccnz .LBB87_2178
; %bb.2177:
	global_load_ushort v1, v[20:21], off
	s_waitcnt vmcnt(0)
	v_cvt_f64_u32_e32 v[17:18], v1
.LBB87_2178:
	s_mov_b64 s[16:17], 0
.LBB87_2179:
	s_andn2_b64 vcc, exec, s[16:17]
	s_cbranch_vccnz .LBB87_2189
; %bb.2180:
	global_load_ubyte v1, v[20:21], off
	s_movk_i32 s16, 0x7f
	s_waitcnt vmcnt(0)
	v_cmp_lt_i16_e32 vcc, s16, v1
	s_mov_b64 s[16:17], 0
	s_and_saveexec_b64 s[18:19], vcc
	s_xor_b64 s[18:19], exec, s[18:19]
	s_cbranch_execz .LBB87_2184
; %bb.2181:
	s_movk_i32 s16, 0x80
	v_cmp_eq_u16_e32 vcc, s16, v1
	s_mov_b64 s[16:17], -1
	s_and_saveexec_b64 s[20:21], vcc
; %bb.2182:
	s_xor_b64 s[16:17], exec, -1
; %bb.2183:
	s_or_b64 exec, exec, s[20:21]
	s_and_b64 s[16:17], s[16:17], exec
.LBB87_2184:
	s_or_saveexec_b64 s[18:19], s[18:19]
	v_bfrev_b32_e32 v17, 4
	v_mov_b32_e32 v18, 0x7ff80000
	s_xor_b64 exec, exec, s[18:19]
; %bb.2185:
	v_cmp_ne_u16_e32 vcc, 0, v1
	v_mov_b32_e32 v17, 0
	s_andn2_b64 s[16:17], s[16:17], exec
	s_and_b64 s[20:21], vcc, exec
	v_mov_b32_e32 v18, 0
	s_or_b64 s[16:17], s[16:17], s[20:21]
; %bb.2186:
	s_or_b64 exec, exec, s[18:19]
	s_and_saveexec_b64 s[18:19], s[16:17]
	s_cbranch_execz .LBB87_2188
; %bb.2187:
	v_lshlrev_b32_e32 v3, 24, v1
	v_and_b32_e32 v1, 0xffff, v1
	v_and_b32_e32 v5, 7, v1
	v_ffbh_u32_e32 v18, v5
	v_min_u32_e32 v18, 32, v18
	v_subrev_u32_e32 v22, 28, v18
	v_bfe_u32 v17, v1, 3, 4
	v_lshlrev_b32_e32 v1, v22, v1
	v_sub_u32_e32 v18, 29, v18
	v_and_b32_e32 v1, 7, v1
	v_cmp_eq_u32_e32 vcc, 0, v17
	v_cndmask_b32_e32 v17, v17, v18, vcc
	v_cndmask_b32_e32 v1, v5, v1, vcc
	v_mov_b32_e32 v5, 0x3b800000
	v_lshlrev_b32_e32 v1, 20, v1
	v_and_b32_e32 v3, 0x80000000, v3
	v_lshl_add_u32 v5, v17, 23, v5
	v_or3_b32 v1, v3, v5, v1
	v_cvt_f64_f32_e32 v[17:18], v1
.LBB87_2188:
	s_or_b64 exec, exec, s[18:19]
.LBB87_2189:
	s_mov_b64 s[16:17], -1
.LBB87_2190:
	s_mov_b64 s[18:19], 0
.LBB87_2191:
	s_and_b64 vcc, exec, s[18:19]
	s_cbranch_vccz .LBB87_2222
; %bb.2192:
	s_cmp_gt_i32 s26, 22
	s_cbranch_scc0 .LBB87_2204
; %bb.2193:
	s_cmp_lt_i32 s26, 24
	s_cbranch_scc1 .LBB87_2205
; %bb.2194:
	s_cmp_gt_i32 s26, 24
	s_cbranch_scc0 .LBB87_2206
; %bb.2195:
	global_load_ubyte v1, v[20:21], off
	s_movk_i32 s4, 0x7f
	s_waitcnt vmcnt(0)
	v_cmp_lt_i16_e32 vcc, s4, v1
	s_mov_b64 s[4:5], 0
	s_and_saveexec_b64 s[16:17], vcc
	s_xor_b64 s[16:17], exec, s[16:17]
	s_cbranch_execz .LBB87_2199
; %bb.2196:
	s_movk_i32 s4, 0x80
	v_cmp_eq_u16_e32 vcc, s4, v1
	s_mov_b64 s[4:5], -1
	s_and_saveexec_b64 s[18:19], vcc
; %bb.2197:
	s_xor_b64 s[4:5], exec, -1
; %bb.2198:
	s_or_b64 exec, exec, s[18:19]
	s_and_b64 s[4:5], s[4:5], exec
.LBB87_2199:
	s_or_saveexec_b64 s[16:17], s[16:17]
	v_bfrev_b32_e32 v17, 4
	v_mov_b32_e32 v18, 0x7ff80000
	s_xor_b64 exec, exec, s[16:17]
; %bb.2200:
	v_cmp_ne_u16_e32 vcc, 0, v1
	v_mov_b32_e32 v17, 0
	s_andn2_b64 s[4:5], s[4:5], exec
	s_and_b64 s[18:19], vcc, exec
	v_mov_b32_e32 v18, 0
	s_or_b64 s[4:5], s[4:5], s[18:19]
; %bb.2201:
	s_or_b64 exec, exec, s[16:17]
	s_and_saveexec_b64 s[16:17], s[4:5]
	s_cbranch_execz .LBB87_2203
; %bb.2202:
	v_lshlrev_b32_e32 v3, 24, v1
	v_and_b32_e32 v1, 0xffff, v1
	v_and_b32_e32 v5, 3, v1
	v_ffbh_u32_e32 v18, v5
	v_min_u32_e32 v18, 32, v18
	v_subrev_u32_e32 v22, 29, v18
	v_bfe_u32 v17, v1, 2, 5
	v_lshlrev_b32_e32 v1, v22, v1
	v_sub_u32_e32 v18, 30, v18
	v_and_b32_e32 v1, 3, v1
	v_cmp_eq_u32_e32 vcc, 0, v17
	v_cndmask_b32_e32 v17, v17, v18, vcc
	v_cndmask_b32_e32 v1, v5, v1, vcc
	v_mov_b32_e32 v5, 0x37800000
	v_lshlrev_b32_e32 v1, 21, v1
	v_and_b32_e32 v3, 0x80000000, v3
	v_lshl_add_u32 v5, v17, 23, v5
	v_or3_b32 v1, v3, v5, v1
	v_cvt_f64_f32_e32 v[17:18], v1
.LBB87_2203:
	s_or_b64 exec, exec, s[16:17]
	s_mov_b64 s[4:5], 0
	s_branch .LBB87_2207
.LBB87_2204:
	s_mov_b64 s[4:5], -1
                                        ; implicit-def: $vgpr17_vgpr18
	s_branch .LBB87_2213
.LBB87_2205:
	s_mov_b64 s[4:5], -1
                                        ; implicit-def: $vgpr17_vgpr18
	s_branch .LBB87_2210
.LBB87_2206:
	s_mov_b64 s[4:5], -1
                                        ; implicit-def: $vgpr17_vgpr18
.LBB87_2207:
	s_and_b64 vcc, exec, s[4:5]
	s_cbranch_vccz .LBB87_2209
; %bb.2208:
	global_load_ubyte v1, v[20:21], off
	s_mov_b32 s4, 0x7f800000
	s_waitcnt vmcnt(0)
	v_lshlrev_b32_e32 v1, 24, v1
	v_and_b32_e32 v3, 0x7f000000, v1
	v_ffbh_u32_e32 v5, v3
	v_min_u32_e32 v5, 32, v5
	v_sub_u32_e64 v5, v5, 4 clamp
	v_lshlrev_b32_e32 v18, v5, v3
	v_lshlrev_b32_e32 v5, 23, v5
	v_lshrrev_b32_e32 v18, 4, v18
	v_add_u32_e32 v17, 0x1000000, v3
	v_sub_u32_e32 v5, v18, v5
	v_ashrrev_i32_e32 v17, 8, v17
	v_add_u32_e32 v5, 0x3c000000, v5
	v_and_or_b32 v5, v17, s4, v5
	v_cmp_ne_u32_e32 vcc, 0, v3
	v_cndmask_b32_e32 v3, 0, v5, vcc
	s_brev_b32 s4, 1
	v_and_or_b32 v1, v1, s4, v3
	v_cvt_f64_f32_e32 v[17:18], v1
.LBB87_2209:
	s_mov_b64 s[4:5], 0
.LBB87_2210:
	s_andn2_b64 vcc, exec, s[4:5]
	s_cbranch_vccnz .LBB87_2212
; %bb.2211:
	global_load_ubyte v1, v[20:21], off
	s_movk_i32 s4, 0x7f00
	s_brev_b32 s5, 16
	s_waitcnt vmcnt(0)
	v_lshlrev_b16_e32 v3, 8, v1
	v_lshlrev_b32_e32 v1, 25, v1
	v_lshrrev_b32_e32 v5, 4, v1
	v_and_or_b32 v17, v3, s4, 0.5
	v_or_b32_e32 v5, 0x70000000, v5
	v_add_f32_e32 v17, -0.5, v17
	v_mul_f32_e32 v5, 0x7800000, v5
	v_cmp_gt_u32_e32 vcc, s5, v1
	v_bfe_i32 v3, v3, 0, 16
	v_cndmask_b32_e32 v1, v5, v17, vcc
	s_brev_b32 s4, 1
	v_and_or_b32 v1, v3, s4, v1
	v_cvt_f64_f32_e32 v[17:18], v1
.LBB87_2212:
	s_mov_b64 s[4:5], 0
	s_mov_b64 s[16:17], -1
.LBB87_2213:
	s_andn2_b64 vcc, exec, s[4:5]
	s_mov_b64 s[4:5], 0
	s_cbranch_vccnz .LBB87_2222
; %bb.2214:
	s_cmp_gt_i32 s26, 14
	s_cbranch_scc0 .LBB87_2217
; %bb.2215:
	s_cmp_eq_u32 s26, 15
	s_cbranch_scc0 .LBB87_2218
; %bb.2216:
	global_load_ushort v1, v[20:21], off
	s_mov_b64 s[2:3], 0
	s_mov_b64 s[16:17], -1
	s_waitcnt vmcnt(0)
	v_lshlrev_b32_e32 v1, 16, v1
	v_cvt_f64_f32_e32 v[17:18], v1
	s_branch .LBB87_2219
.LBB87_2217:
	s_mov_b64 s[18:19], -1
                                        ; implicit-def: $vgpr17_vgpr18
	s_branch .LBB87_2220
.LBB87_2218:
	s_mov_b64 s[2:3], -1
                                        ; implicit-def: $vgpr17_vgpr18
.LBB87_2219:
	s_mov_b64 s[18:19], 0
.LBB87_2220:
	s_and_b64 vcc, exec, s[18:19]
	s_cbranch_vccz .LBB87_2222
; %bb.2221:
	s_cmp_lg_u32 s26, 11
	s_mov_b64 s[4:5], -1
	s_cselect_b64 s[2:3], -1, 0
.LBB87_2222:
	s_and_b64 vcc, exec, s[2:3]
	s_cbranch_vccnz .LBB87_2287
; %bb.2223:
	s_andn2_b64 vcc, exec, s[4:5]
	s_cbranch_vccnz .LBB87_2225
.LBB87_2224:
	global_load_ubyte v1, v[20:21], off
	v_mov_b32_e32 v3, 0x3ff00000
	v_mov_b32_e32 v17, 0
	s_mov_b64 s[16:17], -1
	s_waitcnt vmcnt(0)
	v_cmp_ne_u16_e32 vcc, 0, v1
	v_cndmask_b32_e32 v18, 0, v3, vcc
.LBB87_2225:
	s_mov_b64 s[2:3], 0
.LBB87_2226:
	s_and_b64 vcc, exec, s[2:3]
	s_cbranch_vccz .LBB87_2275
; %bb.2227:
	s_and_b32 s4, 0xffff, s22
	s_cmp_lt_i32 s4, 5
	s_cbranch_scc1 .LBB87_2232
; %bb.2228:
	s_cmp_lt_i32 s4, 8
	s_cbranch_scc1 .LBB87_2233
; %bb.2229:
	;; [unrolled: 3-line block ×3, first 2 shown]
	s_cmp_gt_i32 s4, 9
	s_cbranch_scc0 .LBB87_2235
; %bb.2231:
	global_load_dwordx2 v[17:18], v[20:21], off
	s_mov_b64 s[2:3], 0
	s_branch .LBB87_2236
.LBB87_2232:
	s_mov_b64 s[2:3], -1
                                        ; implicit-def: $vgpr17_vgpr18
	s_branch .LBB87_2254
.LBB87_2233:
	s_mov_b64 s[2:3], -1
                                        ; implicit-def: $vgpr17_vgpr18
	s_branch .LBB87_2242
.LBB87_2234:
	s_mov_b64 s[2:3], -1
                                        ; implicit-def: $vgpr17_vgpr18
	s_branch .LBB87_2239
.LBB87_2235:
	s_mov_b64 s[2:3], -1
                                        ; implicit-def: $vgpr17_vgpr18
.LBB87_2236:
	s_andn2_b64 vcc, exec, s[2:3]
	s_cbranch_vccnz .LBB87_2238
; %bb.2237:
	global_load_dword v1, v[20:21], off
	s_waitcnt vmcnt(0)
	v_cvt_f64_f32_e32 v[17:18], v1
.LBB87_2238:
	s_mov_b64 s[2:3], 0
.LBB87_2239:
	s_andn2_b64 vcc, exec, s[2:3]
	s_cbranch_vccnz .LBB87_2241
; %bb.2240:
	global_load_dword v1, v[20:21], off
	s_waitcnt vmcnt(0)
	v_cvt_f32_f16_e32 v1, v1
	v_cvt_f64_f32_e32 v[17:18], v1
.LBB87_2241:
	s_mov_b64 s[2:3], 0
.LBB87_2242:
	s_andn2_b64 vcc, exec, s[2:3]
	s_cbranch_vccnz .LBB87_2253
; %bb.2243:
	s_cmp_lt_i32 s4, 6
	s_cbranch_scc1 .LBB87_2246
; %bb.2244:
	s_cmp_gt_i32 s4, 6
	s_cbranch_scc0 .LBB87_2247
; %bb.2245:
	global_load_dwordx2 v[17:18], v[20:21], off
	s_mov_b64 s[2:3], 0
	s_branch .LBB87_2248
.LBB87_2246:
	s_mov_b64 s[2:3], -1
                                        ; implicit-def: $vgpr17_vgpr18
	s_branch .LBB87_2251
.LBB87_2247:
	s_mov_b64 s[2:3], -1
                                        ; implicit-def: $vgpr17_vgpr18
.LBB87_2248:
	s_andn2_b64 vcc, exec, s[2:3]
	s_cbranch_vccnz .LBB87_2250
; %bb.2249:
	global_load_dword v1, v[20:21], off
	s_waitcnt vmcnt(0)
	v_cvt_f64_f32_e32 v[17:18], v1
.LBB87_2250:
	s_mov_b64 s[2:3], 0
.LBB87_2251:
	s_andn2_b64 vcc, exec, s[2:3]
	s_cbranch_vccnz .LBB87_2253
; %bb.2252:
	global_load_ushort v1, v[20:21], off
	s_waitcnt vmcnt(0)
	v_cvt_f32_f16_e32 v1, v1
	v_cvt_f64_f32_e32 v[17:18], v1
.LBB87_2253:
	s_mov_b64 s[2:3], 0
.LBB87_2254:
	s_andn2_b64 vcc, exec, s[2:3]
	s_cbranch_vccnz .LBB87_2274
; %bb.2255:
	s_cmp_lt_i32 s4, 2
	s_cbranch_scc1 .LBB87_2259
; %bb.2256:
	s_cmp_lt_i32 s4, 3
	s_cbranch_scc1 .LBB87_2260
; %bb.2257:
	s_cmp_gt_i32 s4, 3
	s_cbranch_scc0 .LBB87_2261
; %bb.2258:
	global_load_dwordx2 v[17:18], v[20:21], off
	s_mov_b64 s[2:3], 0
	s_waitcnt vmcnt(0)
	v_cvt_f64_i32_e32 v[22:23], v18
	v_cvt_f64_u32_e32 v[17:18], v17
	v_ldexp_f64 v[22:23], v[22:23], 32
	v_add_f64 v[17:18], v[22:23], v[17:18]
	s_branch .LBB87_2262
.LBB87_2259:
	s_mov_b64 s[2:3], -1
                                        ; implicit-def: $vgpr17_vgpr18
	s_branch .LBB87_2268
.LBB87_2260:
	s_mov_b64 s[2:3], -1
                                        ; implicit-def: $vgpr17_vgpr18
	s_branch .LBB87_2265
.LBB87_2261:
	s_mov_b64 s[2:3], -1
                                        ; implicit-def: $vgpr17_vgpr18
.LBB87_2262:
	s_andn2_b64 vcc, exec, s[2:3]
	s_cbranch_vccnz .LBB87_2264
; %bb.2263:
	global_load_dword v1, v[20:21], off
	s_waitcnt vmcnt(0)
	v_cvt_f64_i32_e32 v[17:18], v1
.LBB87_2264:
	s_mov_b64 s[2:3], 0
.LBB87_2265:
	s_andn2_b64 vcc, exec, s[2:3]
	s_cbranch_vccnz .LBB87_2267
; %bb.2266:
	global_load_sshort v1, v[20:21], off
	s_waitcnt vmcnt(0)
	v_cvt_f64_i32_e32 v[17:18], v1
.LBB87_2267:
	s_mov_b64 s[2:3], 0
.LBB87_2268:
	s_andn2_b64 vcc, exec, s[2:3]
	s_cbranch_vccnz .LBB87_2274
; %bb.2269:
	s_cmp_gt_i32 s4, 0
	s_cbranch_scc0 .LBB87_2271
; %bb.2270:
	global_load_sbyte v1, v[20:21], off
	s_mov_b64 s[2:3], 0
	s_waitcnt vmcnt(0)
	v_cvt_f64_i32_e32 v[17:18], v1
	s_branch .LBB87_2272
.LBB87_2271:
	s_mov_b64 s[2:3], -1
                                        ; implicit-def: $vgpr17_vgpr18
.LBB87_2272:
	s_andn2_b64 vcc, exec, s[2:3]
	s_cbranch_vccnz .LBB87_2274
; %bb.2273:
	global_load_ubyte v1, v[20:21], off
	s_waitcnt vmcnt(0)
	v_cvt_f64_u32_e32 v[17:18], v1
.LBB87_2274:
	s_mov_b64 s[16:17], -1
.LBB87_2275:
	s_andn2_b64 vcc, exec, s[16:17]
	s_cbranch_vccnz .LBB87_3101
; %bb.2276:
	v_mov_b32_e32 v1, s1
	v_add_co_u32_e32 v21, vcc, s0, v19
	s_cmp_lt_i32 s23, 11
	v_addc_co_u32_e32 v22, vcc, 0, v1, vcc
	s_cbranch_scc1 .LBB87_2283
; %bb.2277:
	s_and_b32 s26, 0xffff, s23
	s_cmp_gt_i32 s26, 25
	s_mov_b64 s[4:5], 0
	s_cbranch_scc0 .LBB87_2284
; %bb.2278:
	s_cmp_gt_i32 s26, 28
	s_cbranch_scc0 .LBB87_2285
; %bb.2279:
	s_cmp_gt_i32 s26, 43
	;; [unrolled: 3-line block ×3, first 2 shown]
	s_cbranch_scc0 .LBB87_2288
; %bb.2281:
	s_cmp_eq_u32 s26, 46
	s_mov_b64 s[18:19], 0
	s_cbranch_scc0 .LBB87_2291
; %bb.2282:
	global_load_dword v1, v[21:22], off
	s_mov_b64 s[2:3], 0
	s_mov_b64 s[16:17], -1
	s_waitcnt vmcnt(0)
	v_lshlrev_b32_e32 v1, 16, v1
	v_cvt_f64_f32_e32 v[19:20], v1
	s_branch .LBB87_2292
.LBB87_2283:
	s_mov_b64 s[2:3], -1
	s_mov_b64 s[16:17], 0
                                        ; implicit-def: $vgpr19_vgpr20
	s_branch .LBB87_2358
.LBB87_2284:
	s_mov_b64 s[18:19], -1
	s_mov_b64 s[16:17], 0
	s_mov_b64 s[2:3], 0
                                        ; implicit-def: $vgpr19_vgpr20
	s_branch .LBB87_2323
.LBB87_2285:
	s_mov_b64 s[18:19], -1
	s_mov_b64 s[16:17], 0
	s_mov_b64 s[2:3], 0
                                        ; implicit-def: $vgpr19_vgpr20
	s_branch .LBB87_2302
.LBB87_2286:
	s_mov_b64 s[18:19], -1
	s_mov_b64 s[16:17], 0
	s_mov_b64 s[2:3], 0
                                        ; implicit-def: $vgpr19_vgpr20
	s_branch .LBB87_2297
.LBB87_2287:
	s_trap 2
	s_or_b64 s[14:15], s[14:15], exec
	s_cbranch_execz .LBB87_2224
	s_branch .LBB87_2225
.LBB87_2288:
	s_mov_b64 s[18:19], -1
	s_mov_b64 s[16:17], 0
	s_mov_b64 s[2:3], 0
                                        ; implicit-def: $vgpr19_vgpr20
	s_branch .LBB87_2292
.LBB87_2289:
	s_andn2_saveexec_b64 s[68:69], s[68:69]
	s_cbranch_execz .LBB87_1119
.LBB87_2290:
	v_add_f32_e32 v2, 0x42800000, v3
	v_and_b32_e32 v2, 0xff, v2
	v_cmp_ne_u32_e32 vcc, 0, v2
	s_andn2_b64 s[66:67], s[66:67], exec
	s_and_b64 s[76:77], vcc, exec
	s_or_b64 s[66:67], s[66:67], s[76:77]
	s_or_b64 exec, exec, s[68:69]
	v_mov_b32_e32 v4, 0
	s_and_saveexec_b64 s[68:69], s[66:67]
	s_cbranch_execnz .LBB87_1120
	s_branch .LBB87_1121
.LBB87_2291:
	s_mov_b64 s[2:3], -1
                                        ; implicit-def: $vgpr19_vgpr20
	s_mov_b64 s[16:17], 0
.LBB87_2292:
	s_and_b64 vcc, exec, s[18:19]
	s_cbranch_vccz .LBB87_2296
; %bb.2293:
	s_cmp_eq_u32 s26, 44
	s_cbranch_scc0 .LBB87_2295
; %bb.2294:
	global_load_ubyte v1, v[21:22], off
	s_movk_i32 s16, 0xff
	v_bfrev_b32_e32 v3, 4
	v_mov_b32_e32 v5, 0x7ff80000
	v_bfrev_b32_e32 v23, 28
	s_mov_b64 s[2:3], 0
	s_waitcnt vmcnt(0)
	v_lshlrev_b32_e32 v19, 23, v1
	v_cvt_f64_f32_e32 v[19:20], v19
	v_cmp_ne_u32_e32 vcc, s16, v1
	s_mov_b64 s[16:17], -1
	v_cndmask_b32_e32 v3, v3, v19, vcc
	v_cndmask_b32_e32 v5, v5, v20, vcc
	v_cmp_ne_u32_e32 vcc, 0, v1
	v_cndmask_b32_e32 v20, v23, v5, vcc
	v_cndmask_b32_e32 v19, 0, v3, vcc
	s_branch .LBB87_2296
.LBB87_2295:
	s_mov_b64 s[2:3], -1
                                        ; implicit-def: $vgpr19_vgpr20
.LBB87_2296:
	s_mov_b64 s[18:19], 0
.LBB87_2297:
	s_and_b64 vcc, exec, s[18:19]
	s_cbranch_vccz .LBB87_2301
; %bb.2298:
	s_cmp_eq_u32 s26, 29
	s_cbranch_scc0 .LBB87_2300
; %bb.2299:
	global_load_dwordx2 v[19:20], v[21:22], off
	s_mov_b64 s[2:3], 0
	s_mov_b64 s[16:17], -1
	s_mov_b64 s[18:19], 0
	s_waitcnt vmcnt(0)
	v_cvt_f64_u32_e32 v[23:24], v20
	v_cvt_f64_u32_e32 v[19:20], v19
	v_ldexp_f64 v[23:24], v[23:24], 32
	v_add_f64 v[19:20], v[23:24], v[19:20]
	s_branch .LBB87_2302
.LBB87_2300:
	s_mov_b64 s[2:3], -1
                                        ; implicit-def: $vgpr19_vgpr20
.LBB87_2301:
	s_mov_b64 s[18:19], 0
.LBB87_2302:
	s_and_b64 vcc, exec, s[18:19]
	s_cbranch_vccz .LBB87_2322
; %bb.2303:
	s_cmp_lt_i32 s26, 27
	s_cbranch_scc1 .LBB87_2306
; %bb.2304:
	s_cmp_gt_i32 s26, 27
	s_cbranch_scc0 .LBB87_2307
; %bb.2305:
	global_load_dword v1, v[21:22], off
	s_mov_b64 s[16:17], 0
	s_waitcnt vmcnt(0)
	v_cvt_f64_u32_e32 v[19:20], v1
	s_branch .LBB87_2308
.LBB87_2306:
	s_mov_b64 s[16:17], -1
                                        ; implicit-def: $vgpr19_vgpr20
	s_branch .LBB87_2311
.LBB87_2307:
	s_mov_b64 s[16:17], -1
                                        ; implicit-def: $vgpr19_vgpr20
.LBB87_2308:
	s_andn2_b64 vcc, exec, s[16:17]
	s_cbranch_vccnz .LBB87_2310
; %bb.2309:
	global_load_ushort v1, v[21:22], off
	s_waitcnt vmcnt(0)
	v_cvt_f64_u32_e32 v[19:20], v1
.LBB87_2310:
	s_mov_b64 s[16:17], 0
.LBB87_2311:
	s_andn2_b64 vcc, exec, s[16:17]
	s_cbranch_vccnz .LBB87_2321
; %bb.2312:
	global_load_ubyte v1, v[21:22], off
	s_movk_i32 s16, 0x7f
	s_waitcnt vmcnt(0)
	v_cmp_lt_i16_e32 vcc, s16, v1
	s_mov_b64 s[16:17], 0
	s_and_saveexec_b64 s[18:19], vcc
	s_xor_b64 s[18:19], exec, s[18:19]
	s_cbranch_execz .LBB87_2316
; %bb.2313:
	s_movk_i32 s16, 0x80
	v_cmp_eq_u16_e32 vcc, s16, v1
	s_mov_b64 s[16:17], -1
	s_and_saveexec_b64 s[20:21], vcc
; %bb.2314:
	s_xor_b64 s[16:17], exec, -1
; %bb.2315:
	s_or_b64 exec, exec, s[20:21]
	s_and_b64 s[16:17], s[16:17], exec
.LBB87_2316:
	s_or_saveexec_b64 s[18:19], s[18:19]
	v_bfrev_b32_e32 v19, 4
	v_mov_b32_e32 v20, 0x7ff80000
	s_xor_b64 exec, exec, s[18:19]
; %bb.2317:
	v_cmp_ne_u16_e32 vcc, 0, v1
	v_mov_b32_e32 v19, 0
	s_andn2_b64 s[16:17], s[16:17], exec
	s_and_b64 s[20:21], vcc, exec
	v_mov_b32_e32 v20, 0
	s_or_b64 s[16:17], s[16:17], s[20:21]
; %bb.2318:
	s_or_b64 exec, exec, s[18:19]
	s_and_saveexec_b64 s[18:19], s[16:17]
	s_cbranch_execz .LBB87_2320
; %bb.2319:
	v_lshlrev_b32_e32 v3, 24, v1
	v_and_b32_e32 v1, 0xffff, v1
	v_and_b32_e32 v5, 7, v1
	v_ffbh_u32_e32 v20, v5
	v_min_u32_e32 v20, 32, v20
	v_subrev_u32_e32 v23, 28, v20
	v_bfe_u32 v19, v1, 3, 4
	v_lshlrev_b32_e32 v1, v23, v1
	v_sub_u32_e32 v20, 29, v20
	v_and_b32_e32 v1, 7, v1
	v_cmp_eq_u32_e32 vcc, 0, v19
	v_cndmask_b32_e32 v19, v19, v20, vcc
	v_cndmask_b32_e32 v1, v5, v1, vcc
	v_mov_b32_e32 v5, 0x3b800000
	v_lshlrev_b32_e32 v1, 20, v1
	v_and_b32_e32 v3, 0x80000000, v3
	v_lshl_add_u32 v5, v19, 23, v5
	v_or3_b32 v1, v3, v5, v1
	v_cvt_f64_f32_e32 v[19:20], v1
.LBB87_2320:
	s_or_b64 exec, exec, s[18:19]
.LBB87_2321:
	s_mov_b64 s[16:17], -1
.LBB87_2322:
	s_mov_b64 s[18:19], 0
.LBB87_2323:
	s_and_b64 vcc, exec, s[18:19]
	s_cbranch_vccz .LBB87_2354
; %bb.2324:
	s_cmp_gt_i32 s26, 22
	s_cbranch_scc0 .LBB87_2336
; %bb.2325:
	s_cmp_lt_i32 s26, 24
	s_cbranch_scc1 .LBB87_2337
; %bb.2326:
	s_cmp_gt_i32 s26, 24
	s_cbranch_scc0 .LBB87_2338
; %bb.2327:
	global_load_ubyte v1, v[21:22], off
	s_movk_i32 s4, 0x7f
	s_waitcnt vmcnt(0)
	v_cmp_lt_i16_e32 vcc, s4, v1
	s_mov_b64 s[4:5], 0
	s_and_saveexec_b64 s[16:17], vcc
	s_xor_b64 s[16:17], exec, s[16:17]
	s_cbranch_execz .LBB87_2331
; %bb.2328:
	s_movk_i32 s4, 0x80
	v_cmp_eq_u16_e32 vcc, s4, v1
	s_mov_b64 s[4:5], -1
	s_and_saveexec_b64 s[18:19], vcc
; %bb.2329:
	s_xor_b64 s[4:5], exec, -1
; %bb.2330:
	s_or_b64 exec, exec, s[18:19]
	s_and_b64 s[4:5], s[4:5], exec
.LBB87_2331:
	s_or_saveexec_b64 s[16:17], s[16:17]
	v_bfrev_b32_e32 v19, 4
	v_mov_b32_e32 v20, 0x7ff80000
	s_xor_b64 exec, exec, s[16:17]
; %bb.2332:
	v_cmp_ne_u16_e32 vcc, 0, v1
	v_mov_b32_e32 v19, 0
	s_andn2_b64 s[4:5], s[4:5], exec
	s_and_b64 s[18:19], vcc, exec
	v_mov_b32_e32 v20, 0
	s_or_b64 s[4:5], s[4:5], s[18:19]
; %bb.2333:
	s_or_b64 exec, exec, s[16:17]
	s_and_saveexec_b64 s[16:17], s[4:5]
	s_cbranch_execz .LBB87_2335
; %bb.2334:
	v_lshlrev_b32_e32 v3, 24, v1
	v_and_b32_e32 v1, 0xffff, v1
	v_and_b32_e32 v5, 3, v1
	v_ffbh_u32_e32 v20, v5
	v_min_u32_e32 v20, 32, v20
	v_subrev_u32_e32 v23, 29, v20
	v_bfe_u32 v19, v1, 2, 5
	v_lshlrev_b32_e32 v1, v23, v1
	v_sub_u32_e32 v20, 30, v20
	v_and_b32_e32 v1, 3, v1
	v_cmp_eq_u32_e32 vcc, 0, v19
	v_cndmask_b32_e32 v19, v19, v20, vcc
	v_cndmask_b32_e32 v1, v5, v1, vcc
	v_mov_b32_e32 v5, 0x37800000
	v_lshlrev_b32_e32 v1, 21, v1
	v_and_b32_e32 v3, 0x80000000, v3
	v_lshl_add_u32 v5, v19, 23, v5
	v_or3_b32 v1, v3, v5, v1
	v_cvt_f64_f32_e32 v[19:20], v1
.LBB87_2335:
	s_or_b64 exec, exec, s[16:17]
	s_mov_b64 s[4:5], 0
	s_branch .LBB87_2339
.LBB87_2336:
	s_mov_b64 s[4:5], -1
                                        ; implicit-def: $vgpr19_vgpr20
	s_branch .LBB87_2345
.LBB87_2337:
	s_mov_b64 s[4:5], -1
                                        ; implicit-def: $vgpr19_vgpr20
	s_branch .LBB87_2342
.LBB87_2338:
	s_mov_b64 s[4:5], -1
                                        ; implicit-def: $vgpr19_vgpr20
.LBB87_2339:
	s_and_b64 vcc, exec, s[4:5]
	s_cbranch_vccz .LBB87_2341
; %bb.2340:
	global_load_ubyte v1, v[21:22], off
	s_mov_b32 s4, 0x7f800000
	s_waitcnt vmcnt(0)
	v_lshlrev_b32_e32 v1, 24, v1
	v_and_b32_e32 v3, 0x7f000000, v1
	v_ffbh_u32_e32 v5, v3
	v_min_u32_e32 v5, 32, v5
	v_sub_u32_e64 v5, v5, 4 clamp
	v_lshlrev_b32_e32 v20, v5, v3
	v_lshlrev_b32_e32 v5, 23, v5
	v_lshrrev_b32_e32 v20, 4, v20
	v_add_u32_e32 v19, 0x1000000, v3
	v_sub_u32_e32 v5, v20, v5
	v_ashrrev_i32_e32 v19, 8, v19
	v_add_u32_e32 v5, 0x3c000000, v5
	v_and_or_b32 v5, v19, s4, v5
	v_cmp_ne_u32_e32 vcc, 0, v3
	v_cndmask_b32_e32 v3, 0, v5, vcc
	s_brev_b32 s4, 1
	v_and_or_b32 v1, v1, s4, v3
	v_cvt_f64_f32_e32 v[19:20], v1
.LBB87_2341:
	s_mov_b64 s[4:5], 0
.LBB87_2342:
	s_andn2_b64 vcc, exec, s[4:5]
	s_cbranch_vccnz .LBB87_2344
; %bb.2343:
	global_load_ubyte v1, v[21:22], off
	s_movk_i32 s4, 0x7f00
	s_brev_b32 s5, 16
	s_waitcnt vmcnt(0)
	v_lshlrev_b16_e32 v3, 8, v1
	v_lshlrev_b32_e32 v1, 25, v1
	v_lshrrev_b32_e32 v5, 4, v1
	v_and_or_b32 v19, v3, s4, 0.5
	v_or_b32_e32 v5, 0x70000000, v5
	v_add_f32_e32 v19, -0.5, v19
	v_mul_f32_e32 v5, 0x7800000, v5
	v_cmp_gt_u32_e32 vcc, s5, v1
	v_bfe_i32 v3, v3, 0, 16
	v_cndmask_b32_e32 v1, v5, v19, vcc
	s_brev_b32 s4, 1
	v_and_or_b32 v1, v3, s4, v1
	v_cvt_f64_f32_e32 v[19:20], v1
.LBB87_2344:
	s_mov_b64 s[4:5], 0
	s_mov_b64 s[16:17], -1
.LBB87_2345:
	s_andn2_b64 vcc, exec, s[4:5]
	s_mov_b64 s[4:5], 0
	s_cbranch_vccnz .LBB87_2354
; %bb.2346:
	s_cmp_gt_i32 s26, 14
	s_cbranch_scc0 .LBB87_2349
; %bb.2347:
	s_cmp_eq_u32 s26, 15
	s_cbranch_scc0 .LBB87_2350
; %bb.2348:
	global_load_ushort v1, v[21:22], off
	s_mov_b64 s[2:3], 0
	s_mov_b64 s[16:17], -1
	s_waitcnt vmcnt(0)
	v_lshlrev_b32_e32 v1, 16, v1
	v_cvt_f64_f32_e32 v[19:20], v1
	s_branch .LBB87_2351
.LBB87_2349:
	s_mov_b64 s[18:19], -1
                                        ; implicit-def: $vgpr19_vgpr20
	s_branch .LBB87_2352
.LBB87_2350:
	s_mov_b64 s[2:3], -1
                                        ; implicit-def: $vgpr19_vgpr20
.LBB87_2351:
	s_mov_b64 s[18:19], 0
.LBB87_2352:
	s_and_b64 vcc, exec, s[18:19]
	s_cbranch_vccz .LBB87_2354
; %bb.2353:
	s_cmp_lg_u32 s26, 11
	s_mov_b64 s[4:5], -1
	s_cselect_b64 s[2:3], -1, 0
.LBB87_2354:
	s_and_b64 vcc, exec, s[2:3]
	s_cbranch_vccnz .LBB87_2419
; %bb.2355:
	s_andn2_b64 vcc, exec, s[4:5]
	s_cbranch_vccnz .LBB87_2357
.LBB87_2356:
	global_load_ubyte v1, v[21:22], off
	v_mov_b32_e32 v3, 0x3ff00000
	v_mov_b32_e32 v19, 0
	s_mov_b64 s[16:17], -1
	s_waitcnt vmcnt(0)
	v_cmp_ne_u16_e32 vcc, 0, v1
	v_cndmask_b32_e32 v20, 0, v3, vcc
.LBB87_2357:
	s_mov_b64 s[2:3], 0
.LBB87_2358:
	s_and_b64 vcc, exec, s[2:3]
	s_cbranch_vccz .LBB87_2407
; %bb.2359:
	s_and_b32 s4, 0xffff, s23
	s_cmp_lt_i32 s4, 5
	s_cbranch_scc1 .LBB87_2364
; %bb.2360:
	s_cmp_lt_i32 s4, 8
	s_cbranch_scc1 .LBB87_2365
; %bb.2361:
	;; [unrolled: 3-line block ×3, first 2 shown]
	s_cmp_gt_i32 s4, 9
	s_cbranch_scc0 .LBB87_2367
; %bb.2363:
	global_load_dwordx2 v[19:20], v[21:22], off
	s_mov_b64 s[2:3], 0
	s_branch .LBB87_2368
.LBB87_2364:
	s_mov_b64 s[2:3], -1
                                        ; implicit-def: $vgpr19_vgpr20
	s_branch .LBB87_2386
.LBB87_2365:
	s_mov_b64 s[2:3], -1
                                        ; implicit-def: $vgpr19_vgpr20
	s_branch .LBB87_2374
.LBB87_2366:
	s_mov_b64 s[2:3], -1
                                        ; implicit-def: $vgpr19_vgpr20
	s_branch .LBB87_2371
.LBB87_2367:
	s_mov_b64 s[2:3], -1
                                        ; implicit-def: $vgpr19_vgpr20
.LBB87_2368:
	s_andn2_b64 vcc, exec, s[2:3]
	s_cbranch_vccnz .LBB87_2370
; %bb.2369:
	global_load_dword v1, v[21:22], off
	s_waitcnt vmcnt(0)
	v_cvt_f64_f32_e32 v[19:20], v1
.LBB87_2370:
	s_mov_b64 s[2:3], 0
.LBB87_2371:
	s_andn2_b64 vcc, exec, s[2:3]
	s_cbranch_vccnz .LBB87_2373
; %bb.2372:
	global_load_dword v1, v[21:22], off
	s_waitcnt vmcnt(0)
	v_cvt_f32_f16_e32 v1, v1
	v_cvt_f64_f32_e32 v[19:20], v1
.LBB87_2373:
	s_mov_b64 s[2:3], 0
.LBB87_2374:
	s_andn2_b64 vcc, exec, s[2:3]
	s_cbranch_vccnz .LBB87_2385
; %bb.2375:
	s_cmp_lt_i32 s4, 6
	s_cbranch_scc1 .LBB87_2378
; %bb.2376:
	s_cmp_gt_i32 s4, 6
	s_cbranch_scc0 .LBB87_2379
; %bb.2377:
	global_load_dwordx2 v[19:20], v[21:22], off
	s_mov_b64 s[2:3], 0
	s_branch .LBB87_2380
.LBB87_2378:
	s_mov_b64 s[2:3], -1
                                        ; implicit-def: $vgpr19_vgpr20
	s_branch .LBB87_2383
.LBB87_2379:
	s_mov_b64 s[2:3], -1
                                        ; implicit-def: $vgpr19_vgpr20
.LBB87_2380:
	s_andn2_b64 vcc, exec, s[2:3]
	s_cbranch_vccnz .LBB87_2382
; %bb.2381:
	global_load_dword v1, v[21:22], off
	s_waitcnt vmcnt(0)
	v_cvt_f64_f32_e32 v[19:20], v1
.LBB87_2382:
	s_mov_b64 s[2:3], 0
.LBB87_2383:
	s_andn2_b64 vcc, exec, s[2:3]
	s_cbranch_vccnz .LBB87_2385
; %bb.2384:
	global_load_ushort v1, v[21:22], off
	s_waitcnt vmcnt(0)
	v_cvt_f32_f16_e32 v1, v1
	v_cvt_f64_f32_e32 v[19:20], v1
.LBB87_2385:
	s_mov_b64 s[2:3], 0
.LBB87_2386:
	s_andn2_b64 vcc, exec, s[2:3]
	s_cbranch_vccnz .LBB87_2406
; %bb.2387:
	s_cmp_lt_i32 s4, 2
	s_cbranch_scc1 .LBB87_2391
; %bb.2388:
	s_cmp_lt_i32 s4, 3
	s_cbranch_scc1 .LBB87_2392
; %bb.2389:
	s_cmp_gt_i32 s4, 3
	s_cbranch_scc0 .LBB87_2393
; %bb.2390:
	global_load_dwordx2 v[19:20], v[21:22], off
	s_mov_b64 s[2:3], 0
	s_waitcnt vmcnt(0)
	v_cvt_f64_i32_e32 v[23:24], v20
	v_cvt_f64_u32_e32 v[19:20], v19
	v_ldexp_f64 v[23:24], v[23:24], 32
	v_add_f64 v[19:20], v[23:24], v[19:20]
	s_branch .LBB87_2394
.LBB87_2391:
	s_mov_b64 s[2:3], -1
                                        ; implicit-def: $vgpr19_vgpr20
	s_branch .LBB87_2400
.LBB87_2392:
	s_mov_b64 s[2:3], -1
                                        ; implicit-def: $vgpr19_vgpr20
	s_branch .LBB87_2397
.LBB87_2393:
	s_mov_b64 s[2:3], -1
                                        ; implicit-def: $vgpr19_vgpr20
.LBB87_2394:
	s_andn2_b64 vcc, exec, s[2:3]
	s_cbranch_vccnz .LBB87_2396
; %bb.2395:
	global_load_dword v1, v[21:22], off
	s_waitcnt vmcnt(0)
	v_cvt_f64_i32_e32 v[19:20], v1
.LBB87_2396:
	s_mov_b64 s[2:3], 0
.LBB87_2397:
	s_andn2_b64 vcc, exec, s[2:3]
	s_cbranch_vccnz .LBB87_2399
; %bb.2398:
	global_load_sshort v1, v[21:22], off
	s_waitcnt vmcnt(0)
	v_cvt_f64_i32_e32 v[19:20], v1
.LBB87_2399:
	s_mov_b64 s[2:3], 0
.LBB87_2400:
	s_andn2_b64 vcc, exec, s[2:3]
	s_cbranch_vccnz .LBB87_2406
; %bb.2401:
	s_cmp_gt_i32 s4, 0
	s_cbranch_scc0 .LBB87_2403
; %bb.2402:
	global_load_sbyte v1, v[21:22], off
	s_mov_b64 s[2:3], 0
	s_waitcnt vmcnt(0)
	v_cvt_f64_i32_e32 v[19:20], v1
	s_branch .LBB87_2404
.LBB87_2403:
	s_mov_b64 s[2:3], -1
                                        ; implicit-def: $vgpr19_vgpr20
.LBB87_2404:
	s_andn2_b64 vcc, exec, s[2:3]
	s_cbranch_vccnz .LBB87_2406
; %bb.2405:
	global_load_ubyte v1, v[21:22], off
	s_waitcnt vmcnt(0)
	v_cvt_f64_u32_e32 v[19:20], v1
.LBB87_2406:
	s_mov_b64 s[16:17], -1
.LBB87_2407:
	s_andn2_b64 vcc, exec, s[16:17]
	s_cbranch_vccnz .LBB87_3101
; %bb.2408:
	v_mov_b32_e32 v1, s11
	v_add_co_u32_e32 v23, vcc, s10, v14
	s_cmp_lt_i32 s22, 11
	v_addc_co_u32_e32 v24, vcc, 0, v1, vcc
	s_cbranch_scc1 .LBB87_2415
; %bb.2409:
	s_and_b32 s20, 0xffff, s22
	s_cmp_gt_i32 s20, 25
	s_mov_b64 s[4:5], 0
	s_cbranch_scc0 .LBB87_2416
; %bb.2410:
	s_cmp_gt_i32 s20, 28
	s_cbranch_scc0 .LBB87_2417
; %bb.2411:
	s_cmp_gt_i32 s20, 43
	s_cbranch_scc0 .LBB87_2418
; %bb.2412:
	s_cmp_gt_i32 s20, 45
	s_cbranch_scc0 .LBB87_2420
; %bb.2413:
	s_cmp_eq_u32 s20, 46
	s_mov_b64 s[16:17], 0
	s_cbranch_scc0 .LBB87_2421
; %bb.2414:
	global_load_dword v1, v[23:24], off
	s_mov_b64 s[2:3], 0
	s_mov_b64 s[10:11], -1
	s_waitcnt vmcnt(0)
	v_lshlrev_b32_e32 v1, 16, v1
	v_cvt_f64_f32_e32 v[21:22], v1
	s_branch .LBB87_2422
.LBB87_2415:
	s_mov_b64 s[2:3], -1
	s_mov_b64 s[10:11], 0
                                        ; implicit-def: $vgpr21_vgpr22
	s_branch .LBB87_2488
.LBB87_2416:
	s_mov_b64 s[16:17], -1
	s_mov_b64 s[10:11], 0
	s_mov_b64 s[2:3], 0
                                        ; implicit-def: $vgpr21_vgpr22
	s_branch .LBB87_2453
.LBB87_2417:
	s_mov_b64 s[16:17], -1
	s_mov_b64 s[10:11], 0
	s_mov_b64 s[2:3], 0
                                        ; implicit-def: $vgpr21_vgpr22
	s_branch .LBB87_2432
.LBB87_2418:
	s_mov_b64 s[16:17], -1
	s_mov_b64 s[10:11], 0
	s_mov_b64 s[2:3], 0
                                        ; implicit-def: $vgpr21_vgpr22
	s_branch .LBB87_2427
.LBB87_2419:
	s_trap 2
	s_or_b64 s[14:15], s[14:15], exec
	s_cbranch_execz .LBB87_2356
	s_branch .LBB87_2357
.LBB87_2420:
	s_mov_b64 s[16:17], -1
	s_mov_b64 s[10:11], 0
	s_mov_b64 s[2:3], 0
                                        ; implicit-def: $vgpr21_vgpr22
	s_branch .LBB87_2422
.LBB87_2421:
	s_mov_b64 s[2:3], -1
                                        ; implicit-def: $vgpr21_vgpr22
	s_mov_b64 s[10:11], 0
.LBB87_2422:
	s_and_b64 vcc, exec, s[16:17]
	s_cbranch_vccz .LBB87_2426
; %bb.2423:
	s_cmp_eq_u32 s20, 44
	s_cbranch_scc0 .LBB87_2425
; %bb.2424:
	global_load_ubyte v1, v[23:24], off
	s_movk_i32 s10, 0xff
	v_bfrev_b32_e32 v3, 4
	v_mov_b32_e32 v5, 0x7ff80000
	s_mov_b64 s[2:3], 0
	s_waitcnt vmcnt(0)
	v_lshlrev_b32_e32 v14, 23, v1
	v_cvt_f64_f32_e32 v[21:22], v14
	v_cmp_ne_u32_e32 vcc, s10, v1
	v_bfrev_b32_e32 v14, 28
	s_mov_b64 s[10:11], -1
	v_cndmask_b32_e32 v3, v3, v21, vcc
	v_cndmask_b32_e32 v5, v5, v22, vcc
	v_cmp_ne_u32_e32 vcc, 0, v1
	v_cndmask_b32_e32 v22, v14, v5, vcc
	v_cndmask_b32_e32 v21, 0, v3, vcc
	s_branch .LBB87_2426
.LBB87_2425:
	s_mov_b64 s[2:3], -1
                                        ; implicit-def: $vgpr21_vgpr22
.LBB87_2426:
	s_mov_b64 s[16:17], 0
.LBB87_2427:
	s_and_b64 vcc, exec, s[16:17]
	s_cbranch_vccz .LBB87_2431
; %bb.2428:
	s_cmp_eq_u32 s20, 29
	s_cbranch_scc0 .LBB87_2430
; %bb.2429:
	global_load_dwordx2 v[21:22], v[23:24], off
	s_mov_b64 s[2:3], 0
	s_mov_b64 s[10:11], -1
	s_mov_b64 s[16:17], 0
	s_waitcnt vmcnt(0)
	v_cvt_f64_u32_e32 v[25:26], v22
	v_cvt_f64_u32_e32 v[21:22], v21
	v_ldexp_f64 v[25:26], v[25:26], 32
	v_add_f64 v[21:22], v[25:26], v[21:22]
	s_branch .LBB87_2432
.LBB87_2430:
	s_mov_b64 s[2:3], -1
                                        ; implicit-def: $vgpr21_vgpr22
.LBB87_2431:
	s_mov_b64 s[16:17], 0
.LBB87_2432:
	s_and_b64 vcc, exec, s[16:17]
	s_cbranch_vccz .LBB87_2452
; %bb.2433:
	s_cmp_lt_i32 s20, 27
	s_cbranch_scc1 .LBB87_2436
; %bb.2434:
	s_cmp_gt_i32 s20, 27
	s_cbranch_scc0 .LBB87_2437
; %bb.2435:
	global_load_dword v1, v[23:24], off
	s_mov_b64 s[10:11], 0
	s_waitcnt vmcnt(0)
	v_cvt_f64_u32_e32 v[21:22], v1
	s_branch .LBB87_2438
.LBB87_2436:
	s_mov_b64 s[10:11], -1
                                        ; implicit-def: $vgpr21_vgpr22
	s_branch .LBB87_2441
.LBB87_2437:
	s_mov_b64 s[10:11], -1
                                        ; implicit-def: $vgpr21_vgpr22
.LBB87_2438:
	s_andn2_b64 vcc, exec, s[10:11]
	s_cbranch_vccnz .LBB87_2440
; %bb.2439:
	global_load_ushort v1, v[23:24], off
	s_waitcnt vmcnt(0)
	v_cvt_f64_u32_e32 v[21:22], v1
.LBB87_2440:
	s_mov_b64 s[10:11], 0
.LBB87_2441:
	s_andn2_b64 vcc, exec, s[10:11]
	s_cbranch_vccnz .LBB87_2451
; %bb.2442:
	global_load_ubyte v1, v[23:24], off
	s_movk_i32 s10, 0x7f
	s_waitcnt vmcnt(0)
	v_cmp_lt_i16_e32 vcc, s10, v1
	s_mov_b64 s[10:11], 0
	s_and_saveexec_b64 s[16:17], vcc
	s_xor_b64 s[16:17], exec, s[16:17]
	s_cbranch_execz .LBB87_2446
; %bb.2443:
	s_movk_i32 s10, 0x80
	v_cmp_eq_u16_e32 vcc, s10, v1
	s_mov_b64 s[10:11], -1
	s_and_saveexec_b64 s[18:19], vcc
; %bb.2444:
	s_xor_b64 s[10:11], exec, -1
; %bb.2445:
	s_or_b64 exec, exec, s[18:19]
	s_and_b64 s[10:11], s[10:11], exec
.LBB87_2446:
	s_or_saveexec_b64 s[16:17], s[16:17]
	v_bfrev_b32_e32 v21, 4
	v_mov_b32_e32 v22, 0x7ff80000
	s_xor_b64 exec, exec, s[16:17]
; %bb.2447:
	v_cmp_ne_u16_e32 vcc, 0, v1
	v_mov_b32_e32 v21, 0
	s_andn2_b64 s[10:11], s[10:11], exec
	s_and_b64 s[18:19], vcc, exec
	v_mov_b32_e32 v22, 0
	s_or_b64 s[10:11], s[10:11], s[18:19]
; %bb.2448:
	s_or_b64 exec, exec, s[16:17]
	s_and_saveexec_b64 s[16:17], s[10:11]
	s_cbranch_execz .LBB87_2450
; %bb.2449:
	v_lshlrev_b32_e32 v3, 24, v1
	v_and_b32_e32 v1, 0xffff, v1
	v_and_b32_e32 v5, 7, v1
	v_ffbh_u32_e32 v21, v5
	v_min_u32_e32 v21, 32, v21
	v_subrev_u32_e32 v22, 28, v21
	v_bfe_u32 v14, v1, 3, 4
	v_lshlrev_b32_e32 v1, v22, v1
	v_sub_u32_e32 v21, 29, v21
	v_and_b32_e32 v1, 7, v1
	v_cmp_eq_u32_e32 vcc, 0, v14
	v_cndmask_b32_e32 v14, v14, v21, vcc
	v_cndmask_b32_e32 v1, v5, v1, vcc
	v_mov_b32_e32 v5, 0x3b800000
	v_lshlrev_b32_e32 v1, 20, v1
	v_and_b32_e32 v3, 0x80000000, v3
	v_lshl_add_u32 v5, v14, 23, v5
	v_or3_b32 v1, v3, v5, v1
	v_cvt_f64_f32_e32 v[21:22], v1
.LBB87_2450:
	s_or_b64 exec, exec, s[16:17]
.LBB87_2451:
	s_mov_b64 s[10:11], -1
.LBB87_2452:
	s_mov_b64 s[16:17], 0
.LBB87_2453:
	s_and_b64 vcc, exec, s[16:17]
	s_cbranch_vccz .LBB87_2484
; %bb.2454:
	s_cmp_gt_i32 s20, 22
	s_cbranch_scc0 .LBB87_2466
; %bb.2455:
	s_cmp_lt_i32 s20, 24
	s_cbranch_scc1 .LBB87_2467
; %bb.2456:
	s_cmp_gt_i32 s20, 24
	s_cbranch_scc0 .LBB87_2468
; %bb.2457:
	global_load_ubyte v1, v[23:24], off
	s_movk_i32 s4, 0x7f
	s_waitcnt vmcnt(0)
	v_cmp_lt_i16_e32 vcc, s4, v1
	s_mov_b64 s[4:5], 0
	s_and_saveexec_b64 s[10:11], vcc
	s_xor_b64 s[10:11], exec, s[10:11]
	s_cbranch_execz .LBB87_2461
; %bb.2458:
	s_movk_i32 s4, 0x80
	v_cmp_eq_u16_e32 vcc, s4, v1
	s_mov_b64 s[4:5], -1
	s_and_saveexec_b64 s[16:17], vcc
; %bb.2459:
	s_xor_b64 s[4:5], exec, -1
; %bb.2460:
	s_or_b64 exec, exec, s[16:17]
	s_and_b64 s[4:5], s[4:5], exec
.LBB87_2461:
	s_or_saveexec_b64 s[10:11], s[10:11]
	v_bfrev_b32_e32 v21, 4
	v_mov_b32_e32 v22, 0x7ff80000
	s_xor_b64 exec, exec, s[10:11]
; %bb.2462:
	v_cmp_ne_u16_e32 vcc, 0, v1
	v_mov_b32_e32 v21, 0
	s_andn2_b64 s[4:5], s[4:5], exec
	s_and_b64 s[16:17], vcc, exec
	v_mov_b32_e32 v22, 0
	s_or_b64 s[4:5], s[4:5], s[16:17]
; %bb.2463:
	s_or_b64 exec, exec, s[10:11]
	s_and_saveexec_b64 s[10:11], s[4:5]
	s_cbranch_execz .LBB87_2465
; %bb.2464:
	v_lshlrev_b32_e32 v3, 24, v1
	v_and_b32_e32 v1, 0xffff, v1
	v_and_b32_e32 v5, 3, v1
	v_ffbh_u32_e32 v21, v5
	v_min_u32_e32 v21, 32, v21
	v_subrev_u32_e32 v22, 29, v21
	v_bfe_u32 v14, v1, 2, 5
	v_lshlrev_b32_e32 v1, v22, v1
	v_sub_u32_e32 v21, 30, v21
	v_and_b32_e32 v1, 3, v1
	v_cmp_eq_u32_e32 vcc, 0, v14
	v_cndmask_b32_e32 v14, v14, v21, vcc
	v_cndmask_b32_e32 v1, v5, v1, vcc
	v_mov_b32_e32 v5, 0x37800000
	v_lshlrev_b32_e32 v1, 21, v1
	v_and_b32_e32 v3, 0x80000000, v3
	v_lshl_add_u32 v5, v14, 23, v5
	v_or3_b32 v1, v3, v5, v1
	v_cvt_f64_f32_e32 v[21:22], v1
.LBB87_2465:
	s_or_b64 exec, exec, s[10:11]
	s_mov_b64 s[4:5], 0
	s_branch .LBB87_2469
.LBB87_2466:
	s_mov_b64 s[4:5], -1
                                        ; implicit-def: $vgpr21_vgpr22
	s_branch .LBB87_2475
.LBB87_2467:
	s_mov_b64 s[4:5], -1
                                        ; implicit-def: $vgpr21_vgpr22
	s_branch .LBB87_2472
.LBB87_2468:
	s_mov_b64 s[4:5], -1
                                        ; implicit-def: $vgpr21_vgpr22
.LBB87_2469:
	s_and_b64 vcc, exec, s[4:5]
	s_cbranch_vccz .LBB87_2471
; %bb.2470:
	global_load_ubyte v1, v[23:24], off
	s_mov_b32 s4, 0x7f800000
	s_waitcnt vmcnt(0)
	v_lshlrev_b32_e32 v1, 24, v1
	v_and_b32_e32 v3, 0x7f000000, v1
	v_ffbh_u32_e32 v5, v3
	v_min_u32_e32 v5, 32, v5
	v_sub_u32_e64 v5, v5, 4 clamp
	v_lshlrev_b32_e32 v21, v5, v3
	v_lshlrev_b32_e32 v5, 23, v5
	v_lshrrev_b32_e32 v21, 4, v21
	v_add_u32_e32 v14, 0x1000000, v3
	v_sub_u32_e32 v5, v21, v5
	v_ashrrev_i32_e32 v14, 8, v14
	v_add_u32_e32 v5, 0x3c000000, v5
	v_and_or_b32 v5, v14, s4, v5
	v_cmp_ne_u32_e32 vcc, 0, v3
	v_cndmask_b32_e32 v3, 0, v5, vcc
	s_brev_b32 s4, 1
	v_and_or_b32 v1, v1, s4, v3
	v_cvt_f64_f32_e32 v[21:22], v1
.LBB87_2471:
	s_mov_b64 s[4:5], 0
.LBB87_2472:
	s_andn2_b64 vcc, exec, s[4:5]
	s_cbranch_vccnz .LBB87_2474
; %bb.2473:
	global_load_ubyte v1, v[23:24], off
	s_movk_i32 s4, 0x7f00
	s_brev_b32 s5, 16
	s_waitcnt vmcnt(0)
	v_lshlrev_b16_e32 v3, 8, v1
	v_lshlrev_b32_e32 v1, 25, v1
	v_lshrrev_b32_e32 v5, 4, v1
	v_and_or_b32 v14, v3, s4, 0.5
	v_or_b32_e32 v5, 0x70000000, v5
	v_add_f32_e32 v14, -0.5, v14
	v_mul_f32_e32 v5, 0x7800000, v5
	v_cmp_gt_u32_e32 vcc, s5, v1
	v_bfe_i32 v3, v3, 0, 16
	v_cndmask_b32_e32 v1, v5, v14, vcc
	s_brev_b32 s4, 1
	v_and_or_b32 v1, v3, s4, v1
	v_cvt_f64_f32_e32 v[21:22], v1
.LBB87_2474:
	s_mov_b64 s[4:5], 0
	s_mov_b64 s[10:11], -1
.LBB87_2475:
	s_andn2_b64 vcc, exec, s[4:5]
	s_mov_b64 s[4:5], 0
	s_cbranch_vccnz .LBB87_2484
; %bb.2476:
	s_cmp_gt_i32 s20, 14
	s_cbranch_scc0 .LBB87_2479
; %bb.2477:
	s_cmp_eq_u32 s20, 15
	s_cbranch_scc0 .LBB87_2480
; %bb.2478:
	global_load_ushort v1, v[23:24], off
	s_mov_b64 s[2:3], 0
	s_mov_b64 s[10:11], -1
	s_waitcnt vmcnt(0)
	v_lshlrev_b32_e32 v1, 16, v1
	v_cvt_f64_f32_e32 v[21:22], v1
	s_branch .LBB87_2481
.LBB87_2479:
	s_mov_b64 s[16:17], -1
                                        ; implicit-def: $vgpr21_vgpr22
	s_branch .LBB87_2482
.LBB87_2480:
	s_mov_b64 s[2:3], -1
                                        ; implicit-def: $vgpr21_vgpr22
.LBB87_2481:
	s_mov_b64 s[16:17], 0
.LBB87_2482:
	s_and_b64 vcc, exec, s[16:17]
	s_cbranch_vccz .LBB87_2484
; %bb.2483:
	s_cmp_lg_u32 s20, 11
	s_mov_b64 s[4:5], -1
	s_cselect_b64 s[2:3], -1, 0
.LBB87_2484:
	s_and_b64 vcc, exec, s[2:3]
	s_cbranch_vccnz .LBB87_2549
; %bb.2485:
	s_andn2_b64 vcc, exec, s[4:5]
	s_cbranch_vccnz .LBB87_2487
.LBB87_2486:
	global_load_ubyte v1, v[23:24], off
	v_mov_b32_e32 v3, 0x3ff00000
	v_mov_b32_e32 v21, 0
	s_mov_b64 s[10:11], -1
	s_waitcnt vmcnt(0)
	v_cmp_ne_u16_e32 vcc, 0, v1
	v_cndmask_b32_e32 v22, 0, v3, vcc
.LBB87_2487:
	s_mov_b64 s[2:3], 0
.LBB87_2488:
	s_and_b64 vcc, exec, s[2:3]
	s_cbranch_vccz .LBB87_2537
; %bb.2489:
	s_and_b32 s4, 0xffff, s22
	s_cmp_lt_i32 s4, 5
	s_cbranch_scc1 .LBB87_2494
; %bb.2490:
	s_cmp_lt_i32 s4, 8
	s_cbranch_scc1 .LBB87_2495
; %bb.2491:
	;; [unrolled: 3-line block ×3, first 2 shown]
	s_cmp_gt_i32 s4, 9
	s_cbranch_scc0 .LBB87_2497
; %bb.2493:
	global_load_dwordx2 v[21:22], v[23:24], off
	s_mov_b64 s[2:3], 0
	s_branch .LBB87_2498
.LBB87_2494:
	s_mov_b64 s[2:3], -1
                                        ; implicit-def: $vgpr21_vgpr22
	s_branch .LBB87_2516
.LBB87_2495:
	s_mov_b64 s[2:3], -1
                                        ; implicit-def: $vgpr21_vgpr22
	s_branch .LBB87_2504
.LBB87_2496:
	s_mov_b64 s[2:3], -1
                                        ; implicit-def: $vgpr21_vgpr22
	s_branch .LBB87_2501
.LBB87_2497:
	s_mov_b64 s[2:3], -1
                                        ; implicit-def: $vgpr21_vgpr22
.LBB87_2498:
	s_andn2_b64 vcc, exec, s[2:3]
	s_cbranch_vccnz .LBB87_2500
; %bb.2499:
	global_load_dword v1, v[23:24], off
	s_waitcnt vmcnt(0)
	v_cvt_f64_f32_e32 v[21:22], v1
.LBB87_2500:
	s_mov_b64 s[2:3], 0
.LBB87_2501:
	s_andn2_b64 vcc, exec, s[2:3]
	s_cbranch_vccnz .LBB87_2503
; %bb.2502:
	global_load_dword v1, v[23:24], off
	s_waitcnt vmcnt(0)
	v_cvt_f32_f16_e32 v1, v1
	v_cvt_f64_f32_e32 v[21:22], v1
.LBB87_2503:
	s_mov_b64 s[2:3], 0
.LBB87_2504:
	s_andn2_b64 vcc, exec, s[2:3]
	s_cbranch_vccnz .LBB87_2515
; %bb.2505:
	s_cmp_lt_i32 s4, 6
	s_cbranch_scc1 .LBB87_2508
; %bb.2506:
	s_cmp_gt_i32 s4, 6
	s_cbranch_scc0 .LBB87_2509
; %bb.2507:
	global_load_dwordx2 v[21:22], v[23:24], off
	s_mov_b64 s[2:3], 0
	s_branch .LBB87_2510
.LBB87_2508:
	s_mov_b64 s[2:3], -1
                                        ; implicit-def: $vgpr21_vgpr22
	s_branch .LBB87_2513
.LBB87_2509:
	s_mov_b64 s[2:3], -1
                                        ; implicit-def: $vgpr21_vgpr22
.LBB87_2510:
	s_andn2_b64 vcc, exec, s[2:3]
	s_cbranch_vccnz .LBB87_2512
; %bb.2511:
	global_load_dword v1, v[23:24], off
	s_waitcnt vmcnt(0)
	v_cvt_f64_f32_e32 v[21:22], v1
.LBB87_2512:
	s_mov_b64 s[2:3], 0
.LBB87_2513:
	s_andn2_b64 vcc, exec, s[2:3]
	s_cbranch_vccnz .LBB87_2515
; %bb.2514:
	global_load_ushort v1, v[23:24], off
	s_waitcnt vmcnt(0)
	v_cvt_f32_f16_e32 v1, v1
	v_cvt_f64_f32_e32 v[21:22], v1
.LBB87_2515:
	s_mov_b64 s[2:3], 0
.LBB87_2516:
	s_andn2_b64 vcc, exec, s[2:3]
	s_cbranch_vccnz .LBB87_2536
; %bb.2517:
	s_cmp_lt_i32 s4, 2
	s_cbranch_scc1 .LBB87_2521
; %bb.2518:
	s_cmp_lt_i32 s4, 3
	s_cbranch_scc1 .LBB87_2522
; %bb.2519:
	s_cmp_gt_i32 s4, 3
	s_cbranch_scc0 .LBB87_2523
; %bb.2520:
	global_load_dwordx2 v[21:22], v[23:24], off
	s_mov_b64 s[2:3], 0
	s_waitcnt vmcnt(0)
	v_cvt_f64_i32_e32 v[25:26], v22
	v_cvt_f64_u32_e32 v[21:22], v21
	v_ldexp_f64 v[25:26], v[25:26], 32
	v_add_f64 v[21:22], v[25:26], v[21:22]
	s_branch .LBB87_2524
.LBB87_2521:
	s_mov_b64 s[2:3], -1
                                        ; implicit-def: $vgpr21_vgpr22
	s_branch .LBB87_2530
.LBB87_2522:
	s_mov_b64 s[2:3], -1
                                        ; implicit-def: $vgpr21_vgpr22
	s_branch .LBB87_2527
.LBB87_2523:
	s_mov_b64 s[2:3], -1
                                        ; implicit-def: $vgpr21_vgpr22
.LBB87_2524:
	s_andn2_b64 vcc, exec, s[2:3]
	s_cbranch_vccnz .LBB87_2526
; %bb.2525:
	global_load_dword v1, v[23:24], off
	s_waitcnt vmcnt(0)
	v_cvt_f64_i32_e32 v[21:22], v1
.LBB87_2526:
	s_mov_b64 s[2:3], 0
.LBB87_2527:
	s_andn2_b64 vcc, exec, s[2:3]
	s_cbranch_vccnz .LBB87_2529
; %bb.2528:
	global_load_sshort v1, v[23:24], off
	s_waitcnt vmcnt(0)
	v_cvt_f64_i32_e32 v[21:22], v1
.LBB87_2529:
	s_mov_b64 s[2:3], 0
.LBB87_2530:
	s_andn2_b64 vcc, exec, s[2:3]
	s_cbranch_vccnz .LBB87_2536
; %bb.2531:
	s_cmp_gt_i32 s4, 0
	s_cbranch_scc0 .LBB87_2533
; %bb.2532:
	global_load_sbyte v1, v[23:24], off
	s_mov_b64 s[2:3], 0
	s_waitcnt vmcnt(0)
	v_cvt_f64_i32_e32 v[21:22], v1
	s_branch .LBB87_2534
.LBB87_2533:
	s_mov_b64 s[2:3], -1
                                        ; implicit-def: $vgpr21_vgpr22
.LBB87_2534:
	s_andn2_b64 vcc, exec, s[2:3]
	s_cbranch_vccnz .LBB87_2536
; %bb.2535:
	global_load_ubyte v1, v[23:24], off
	s_waitcnt vmcnt(0)
	v_cvt_f64_u32_e32 v[21:22], v1
.LBB87_2536:
	s_mov_b64 s[10:11], -1
.LBB87_2537:
	s_andn2_b64 vcc, exec, s[10:11]
	s_cbranch_vccnz .LBB87_3101
; %bb.2538:
	v_mov_b32_e32 v1, s1
	v_add_co_u32_e32 v25, vcc, s0, v9
	s_cmp_lt_i32 s23, 11
	v_addc_co_u32_e32 v26, vcc, 0, v1, vcc
	s_cbranch_scc1 .LBB87_2545
; %bb.2539:
	s_and_b32 s18, 0xffff, s23
	s_cmp_gt_i32 s18, 25
	s_mov_b64 s[2:3], 0
	s_cbranch_scc0 .LBB87_2546
; %bb.2540:
	s_cmp_gt_i32 s18, 28
	s_cbranch_scc0 .LBB87_2547
; %bb.2541:
	s_cmp_gt_i32 s18, 43
	;; [unrolled: 3-line block ×3, first 2 shown]
	s_cbranch_scc0 .LBB87_2550
; %bb.2543:
	s_cmp_eq_u32 s18, 46
	s_mov_b64 s[10:11], 0
	s_cbranch_scc0 .LBB87_2551
; %bb.2544:
	global_load_dword v1, v[25:26], off
	s_mov_b64 s[0:1], 0
	s_mov_b64 s[4:5], -1
	s_waitcnt vmcnt(0)
	v_lshlrev_b32_e32 v1, 16, v1
	v_cvt_f64_f32_e32 v[23:24], v1
	s_branch .LBB87_2552
.LBB87_2545:
	s_mov_b64 s[0:1], -1
	s_mov_b64 s[4:5], 0
                                        ; implicit-def: $vgpr23_vgpr24
	s_branch .LBB87_2618
.LBB87_2546:
	s_mov_b64 s[10:11], -1
	s_mov_b64 s[4:5], 0
	s_mov_b64 s[0:1], 0
                                        ; implicit-def: $vgpr23_vgpr24
	s_branch .LBB87_2583
.LBB87_2547:
	s_mov_b64 s[10:11], -1
	s_mov_b64 s[4:5], 0
	s_mov_b64 s[0:1], 0
                                        ; implicit-def: $vgpr23_vgpr24
	s_branch .LBB87_2562
.LBB87_2548:
	s_mov_b64 s[10:11], -1
	s_mov_b64 s[4:5], 0
	s_mov_b64 s[0:1], 0
                                        ; implicit-def: $vgpr23_vgpr24
	s_branch .LBB87_2557
.LBB87_2549:
	s_trap 2
	s_or_b64 s[14:15], s[14:15], exec
	s_cbranch_execz .LBB87_2486
	s_branch .LBB87_2487
.LBB87_2550:
	s_mov_b64 s[10:11], -1
	s_mov_b64 s[4:5], 0
	s_mov_b64 s[0:1], 0
                                        ; implicit-def: $vgpr23_vgpr24
	s_branch .LBB87_2552
.LBB87_2551:
	s_mov_b64 s[0:1], -1
                                        ; implicit-def: $vgpr23_vgpr24
	s_mov_b64 s[4:5], 0
.LBB87_2552:
	s_and_b64 vcc, exec, s[10:11]
	s_cbranch_vccz .LBB87_2556
; %bb.2553:
	s_cmp_eq_u32 s18, 44
	s_cbranch_scc0 .LBB87_2555
; %bb.2554:
	global_load_ubyte v1, v[25:26], off
	s_movk_i32 s4, 0xff
	v_bfrev_b32_e32 v3, 4
	v_mov_b32_e32 v5, 0x7ff80000
	s_mov_b64 s[0:1], 0
	s_waitcnt vmcnt(0)
	v_lshlrev_b32_e32 v9, 23, v1
	v_cvt_f64_f32_e32 v[23:24], v9
	v_cmp_ne_u32_e32 vcc, s4, v1
	v_bfrev_b32_e32 v9, 28
	s_mov_b64 s[4:5], -1
	v_cndmask_b32_e32 v3, v3, v23, vcc
	v_cndmask_b32_e32 v5, v5, v24, vcc
	v_cmp_ne_u32_e32 vcc, 0, v1
	v_cndmask_b32_e32 v24, v9, v5, vcc
	v_cndmask_b32_e32 v23, 0, v3, vcc
	s_branch .LBB87_2556
.LBB87_2555:
	s_mov_b64 s[0:1], -1
                                        ; implicit-def: $vgpr23_vgpr24
.LBB87_2556:
	s_mov_b64 s[10:11], 0
.LBB87_2557:
	s_and_b64 vcc, exec, s[10:11]
	s_cbranch_vccz .LBB87_2561
; %bb.2558:
	s_cmp_eq_u32 s18, 29
	s_cbranch_scc0 .LBB87_2560
; %bb.2559:
	global_load_dwordx2 v[23:24], v[25:26], off
	s_mov_b64 s[0:1], 0
	s_mov_b64 s[4:5], -1
	s_mov_b64 s[10:11], 0
	s_waitcnt vmcnt(0)
	v_cvt_f64_u32_e32 v[27:28], v24
	v_cvt_f64_u32_e32 v[23:24], v23
	v_ldexp_f64 v[27:28], v[27:28], 32
	v_add_f64 v[23:24], v[27:28], v[23:24]
	s_branch .LBB87_2562
.LBB87_2560:
	s_mov_b64 s[0:1], -1
                                        ; implicit-def: $vgpr23_vgpr24
.LBB87_2561:
	s_mov_b64 s[10:11], 0
.LBB87_2562:
	s_and_b64 vcc, exec, s[10:11]
	s_cbranch_vccz .LBB87_2582
; %bb.2563:
	s_cmp_lt_i32 s18, 27
	s_cbranch_scc1 .LBB87_2566
; %bb.2564:
	s_cmp_gt_i32 s18, 27
	s_cbranch_scc0 .LBB87_2567
; %bb.2565:
	global_load_dword v1, v[25:26], off
	s_mov_b64 s[4:5], 0
	s_waitcnt vmcnt(0)
	v_cvt_f64_u32_e32 v[23:24], v1
	s_branch .LBB87_2568
.LBB87_2566:
	s_mov_b64 s[4:5], -1
                                        ; implicit-def: $vgpr23_vgpr24
	s_branch .LBB87_2571
.LBB87_2567:
	s_mov_b64 s[4:5], -1
                                        ; implicit-def: $vgpr23_vgpr24
.LBB87_2568:
	s_andn2_b64 vcc, exec, s[4:5]
	s_cbranch_vccnz .LBB87_2570
; %bb.2569:
	global_load_ushort v1, v[25:26], off
	s_waitcnt vmcnt(0)
	v_cvt_f64_u32_e32 v[23:24], v1
.LBB87_2570:
	s_mov_b64 s[4:5], 0
.LBB87_2571:
	s_andn2_b64 vcc, exec, s[4:5]
	s_cbranch_vccnz .LBB87_2581
; %bb.2572:
	global_load_ubyte v1, v[25:26], off
	s_movk_i32 s4, 0x7f
	s_waitcnt vmcnt(0)
	v_cmp_lt_i16_e32 vcc, s4, v1
	s_mov_b64 s[4:5], 0
	s_and_saveexec_b64 s[10:11], vcc
	s_xor_b64 s[10:11], exec, s[10:11]
	s_cbranch_execz .LBB87_2576
; %bb.2573:
	s_movk_i32 s4, 0x80
	v_cmp_eq_u16_e32 vcc, s4, v1
	s_mov_b64 s[4:5], -1
	s_and_saveexec_b64 s[16:17], vcc
; %bb.2574:
	s_xor_b64 s[4:5], exec, -1
; %bb.2575:
	s_or_b64 exec, exec, s[16:17]
	s_and_b64 s[4:5], s[4:5], exec
.LBB87_2576:
	s_or_saveexec_b64 s[10:11], s[10:11]
	v_bfrev_b32_e32 v23, 4
	v_mov_b32_e32 v24, 0x7ff80000
	s_xor_b64 exec, exec, s[10:11]
; %bb.2577:
	v_cmp_ne_u16_e32 vcc, 0, v1
	v_mov_b32_e32 v23, 0
	s_andn2_b64 s[4:5], s[4:5], exec
	s_and_b64 s[16:17], vcc, exec
	v_mov_b32_e32 v24, 0
	s_or_b64 s[4:5], s[4:5], s[16:17]
; %bb.2578:
	s_or_b64 exec, exec, s[10:11]
	s_and_saveexec_b64 s[10:11], s[4:5]
	s_cbranch_execz .LBB87_2580
; %bb.2579:
	v_lshlrev_b32_e32 v3, 24, v1
	v_and_b32_e32 v1, 0xffff, v1
	v_and_b32_e32 v5, 7, v1
	v_ffbh_u32_e32 v14, v5
	v_min_u32_e32 v14, 32, v14
	v_subrev_u32_e32 v23, 28, v14
	v_bfe_u32 v9, v1, 3, 4
	v_lshlrev_b32_e32 v1, v23, v1
	v_sub_u32_e32 v14, 29, v14
	v_and_b32_e32 v1, 7, v1
	v_cmp_eq_u32_e32 vcc, 0, v9
	v_cndmask_b32_e32 v9, v9, v14, vcc
	v_cndmask_b32_e32 v1, v5, v1, vcc
	v_mov_b32_e32 v5, 0x3b800000
	v_lshlrev_b32_e32 v1, 20, v1
	v_and_b32_e32 v3, 0x80000000, v3
	v_lshl_add_u32 v5, v9, 23, v5
	v_or3_b32 v1, v3, v5, v1
	v_cvt_f64_f32_e32 v[23:24], v1
.LBB87_2580:
	s_or_b64 exec, exec, s[10:11]
.LBB87_2581:
	s_mov_b64 s[4:5], -1
.LBB87_2582:
	s_mov_b64 s[10:11], 0
.LBB87_2583:
	s_and_b64 vcc, exec, s[10:11]
	s_cbranch_vccz .LBB87_2614
; %bb.2584:
	s_cmp_gt_i32 s18, 22
	s_cbranch_scc0 .LBB87_2596
; %bb.2585:
	s_cmp_lt_i32 s18, 24
	s_cbranch_scc1 .LBB87_2597
; %bb.2586:
	s_cmp_gt_i32 s18, 24
	s_cbranch_scc0 .LBB87_2598
; %bb.2587:
	global_load_ubyte v1, v[25:26], off
	s_movk_i32 s2, 0x7f
	s_waitcnt vmcnt(0)
	v_cmp_lt_i16_e32 vcc, s2, v1
	s_mov_b64 s[2:3], 0
	s_and_saveexec_b64 s[4:5], vcc
	s_xor_b64 s[4:5], exec, s[4:5]
	s_cbranch_execz .LBB87_2591
; %bb.2588:
	s_movk_i32 s2, 0x80
	v_cmp_eq_u16_e32 vcc, s2, v1
	s_mov_b64 s[2:3], -1
	s_and_saveexec_b64 s[10:11], vcc
; %bb.2589:
	s_xor_b64 s[2:3], exec, -1
; %bb.2590:
	s_or_b64 exec, exec, s[10:11]
	s_and_b64 s[2:3], s[2:3], exec
.LBB87_2591:
	s_or_saveexec_b64 s[4:5], s[4:5]
	v_bfrev_b32_e32 v23, 4
	v_mov_b32_e32 v24, 0x7ff80000
	s_xor_b64 exec, exec, s[4:5]
; %bb.2592:
	v_cmp_ne_u16_e32 vcc, 0, v1
	v_mov_b32_e32 v23, 0
	s_andn2_b64 s[2:3], s[2:3], exec
	s_and_b64 s[10:11], vcc, exec
	v_mov_b32_e32 v24, 0
	s_or_b64 s[2:3], s[2:3], s[10:11]
; %bb.2593:
	s_or_b64 exec, exec, s[4:5]
	s_and_saveexec_b64 s[4:5], s[2:3]
	s_cbranch_execz .LBB87_2595
; %bb.2594:
	v_lshlrev_b32_e32 v3, 24, v1
	v_and_b32_e32 v1, 0xffff, v1
	v_and_b32_e32 v5, 3, v1
	v_ffbh_u32_e32 v14, v5
	v_min_u32_e32 v14, 32, v14
	v_subrev_u32_e32 v23, 29, v14
	v_bfe_u32 v9, v1, 2, 5
	v_lshlrev_b32_e32 v1, v23, v1
	v_sub_u32_e32 v14, 30, v14
	v_and_b32_e32 v1, 3, v1
	v_cmp_eq_u32_e32 vcc, 0, v9
	v_cndmask_b32_e32 v9, v9, v14, vcc
	v_cndmask_b32_e32 v1, v5, v1, vcc
	v_mov_b32_e32 v5, 0x37800000
	v_lshlrev_b32_e32 v1, 21, v1
	v_and_b32_e32 v3, 0x80000000, v3
	v_lshl_add_u32 v5, v9, 23, v5
	v_or3_b32 v1, v3, v5, v1
	v_cvt_f64_f32_e32 v[23:24], v1
.LBB87_2595:
	s_or_b64 exec, exec, s[4:5]
	s_mov_b64 s[2:3], 0
	s_branch .LBB87_2599
.LBB87_2596:
	s_mov_b64 s[2:3], -1
                                        ; implicit-def: $vgpr23_vgpr24
	s_branch .LBB87_2605
.LBB87_2597:
	s_mov_b64 s[2:3], -1
                                        ; implicit-def: $vgpr23_vgpr24
	s_branch .LBB87_2602
.LBB87_2598:
	s_mov_b64 s[2:3], -1
                                        ; implicit-def: $vgpr23_vgpr24
.LBB87_2599:
	s_and_b64 vcc, exec, s[2:3]
	s_cbranch_vccz .LBB87_2601
; %bb.2600:
	global_load_ubyte v1, v[25:26], off
	s_mov_b32 s2, 0x7f800000
	s_waitcnt vmcnt(0)
	v_lshlrev_b32_e32 v1, 24, v1
	v_and_b32_e32 v3, 0x7f000000, v1
	v_ffbh_u32_e32 v5, v3
	v_min_u32_e32 v5, 32, v5
	v_sub_u32_e64 v5, v5, 4 clamp
	v_lshlrev_b32_e32 v14, v5, v3
	v_lshlrev_b32_e32 v5, 23, v5
	v_lshrrev_b32_e32 v14, 4, v14
	v_add_u32_e32 v9, 0x1000000, v3
	v_sub_u32_e32 v5, v14, v5
	v_ashrrev_i32_e32 v9, 8, v9
	v_add_u32_e32 v5, 0x3c000000, v5
	v_and_or_b32 v5, v9, s2, v5
	v_cmp_ne_u32_e32 vcc, 0, v3
	v_cndmask_b32_e32 v3, 0, v5, vcc
	s_brev_b32 s2, 1
	v_and_or_b32 v1, v1, s2, v3
	v_cvt_f64_f32_e32 v[23:24], v1
.LBB87_2601:
	s_mov_b64 s[2:3], 0
.LBB87_2602:
	s_andn2_b64 vcc, exec, s[2:3]
	s_cbranch_vccnz .LBB87_2604
; %bb.2603:
	global_load_ubyte v1, v[25:26], off
	s_movk_i32 s2, 0x7f00
	s_brev_b32 s3, 16
	s_waitcnt vmcnt(0)
	v_lshlrev_b16_e32 v3, 8, v1
	v_lshlrev_b32_e32 v1, 25, v1
	v_lshrrev_b32_e32 v5, 4, v1
	v_and_or_b32 v9, v3, s2, 0.5
	v_or_b32_e32 v5, 0x70000000, v5
	v_add_f32_e32 v9, -0.5, v9
	v_mul_f32_e32 v5, 0x7800000, v5
	v_cmp_gt_u32_e32 vcc, s3, v1
	v_bfe_i32 v3, v3, 0, 16
	v_cndmask_b32_e32 v1, v5, v9, vcc
	s_brev_b32 s2, 1
	v_and_or_b32 v1, v3, s2, v1
	v_cvt_f64_f32_e32 v[23:24], v1
.LBB87_2604:
	s_mov_b64 s[2:3], 0
	s_mov_b64 s[4:5], -1
.LBB87_2605:
	s_andn2_b64 vcc, exec, s[2:3]
	s_mov_b64 s[2:3], 0
	s_cbranch_vccnz .LBB87_2614
; %bb.2606:
	s_cmp_gt_i32 s18, 14
	s_cbranch_scc0 .LBB87_2609
; %bb.2607:
	s_cmp_eq_u32 s18, 15
	s_cbranch_scc0 .LBB87_2610
; %bb.2608:
	global_load_ushort v1, v[25:26], off
	s_mov_b64 s[0:1], 0
	s_mov_b64 s[4:5], -1
	s_waitcnt vmcnt(0)
	v_lshlrev_b32_e32 v1, 16, v1
	v_cvt_f64_f32_e32 v[23:24], v1
	s_branch .LBB87_2611
.LBB87_2609:
	s_mov_b64 s[10:11], -1
                                        ; implicit-def: $vgpr23_vgpr24
	s_branch .LBB87_2612
.LBB87_2610:
	s_mov_b64 s[0:1], -1
                                        ; implicit-def: $vgpr23_vgpr24
.LBB87_2611:
	s_mov_b64 s[10:11], 0
.LBB87_2612:
	s_and_b64 vcc, exec, s[10:11]
	s_cbranch_vccz .LBB87_2614
; %bb.2613:
	s_cmp_lg_u32 s18, 11
	s_mov_b64 s[2:3], -1
	s_cselect_b64 s[0:1], -1, 0
.LBB87_2614:
	s_and_b64 vcc, exec, s[0:1]
	s_cbranch_vccnz .LBB87_3147
; %bb.2615:
	s_andn2_b64 vcc, exec, s[2:3]
	s_cbranch_vccnz .LBB87_2617
.LBB87_2616:
	global_load_ubyte v1, v[25:26], off
	v_mov_b32_e32 v3, 0x3ff00000
	v_mov_b32_e32 v23, 0
	s_mov_b64 s[4:5], -1
	s_waitcnt vmcnt(0)
	v_cmp_ne_u16_e32 vcc, 0, v1
	v_cndmask_b32_e32 v24, 0, v3, vcc
.LBB87_2617:
	s_mov_b64 s[0:1], 0
.LBB87_2618:
	s_and_b64 vcc, exec, s[0:1]
	s_cbranch_vccz .LBB87_2667
; %bb.2619:
	s_and_b32 s2, 0xffff, s23
	s_cmp_lt_i32 s2, 5
	s_cbranch_scc1 .LBB87_2624
; %bb.2620:
	s_cmp_lt_i32 s2, 8
	s_cbranch_scc1 .LBB87_2625
; %bb.2621:
	;; [unrolled: 3-line block ×3, first 2 shown]
	s_cmp_gt_i32 s2, 9
	s_cbranch_scc0 .LBB87_2627
; %bb.2623:
	global_load_dwordx2 v[23:24], v[25:26], off
	s_mov_b64 s[0:1], 0
	s_branch .LBB87_2628
.LBB87_2624:
	s_mov_b64 s[0:1], -1
                                        ; implicit-def: $vgpr23_vgpr24
	s_branch .LBB87_2646
.LBB87_2625:
	s_mov_b64 s[0:1], -1
                                        ; implicit-def: $vgpr23_vgpr24
	s_branch .LBB87_2634
.LBB87_2626:
	s_mov_b64 s[0:1], -1
                                        ; implicit-def: $vgpr23_vgpr24
	s_branch .LBB87_2631
.LBB87_2627:
	s_mov_b64 s[0:1], -1
                                        ; implicit-def: $vgpr23_vgpr24
.LBB87_2628:
	s_andn2_b64 vcc, exec, s[0:1]
	s_cbranch_vccnz .LBB87_2630
; %bb.2629:
	global_load_dword v1, v[25:26], off
	s_waitcnt vmcnt(0)
	v_cvt_f64_f32_e32 v[23:24], v1
.LBB87_2630:
	s_mov_b64 s[0:1], 0
.LBB87_2631:
	s_andn2_b64 vcc, exec, s[0:1]
	s_cbranch_vccnz .LBB87_2633
; %bb.2632:
	global_load_dword v1, v[25:26], off
	s_waitcnt vmcnt(0)
	v_cvt_f32_f16_e32 v1, v1
	v_cvt_f64_f32_e32 v[23:24], v1
.LBB87_2633:
	s_mov_b64 s[0:1], 0
.LBB87_2634:
	s_andn2_b64 vcc, exec, s[0:1]
	s_cbranch_vccnz .LBB87_2645
; %bb.2635:
	s_cmp_lt_i32 s2, 6
	s_cbranch_scc1 .LBB87_2638
; %bb.2636:
	s_cmp_gt_i32 s2, 6
	s_cbranch_scc0 .LBB87_2639
; %bb.2637:
	global_load_dwordx2 v[23:24], v[25:26], off
	s_mov_b64 s[0:1], 0
	s_branch .LBB87_2640
.LBB87_2638:
	s_mov_b64 s[0:1], -1
                                        ; implicit-def: $vgpr23_vgpr24
	s_branch .LBB87_2643
.LBB87_2639:
	s_mov_b64 s[0:1], -1
                                        ; implicit-def: $vgpr23_vgpr24
.LBB87_2640:
	s_andn2_b64 vcc, exec, s[0:1]
	s_cbranch_vccnz .LBB87_2642
; %bb.2641:
	global_load_dword v1, v[25:26], off
	s_waitcnt vmcnt(0)
	v_cvt_f64_f32_e32 v[23:24], v1
.LBB87_2642:
	s_mov_b64 s[0:1], 0
.LBB87_2643:
	s_andn2_b64 vcc, exec, s[0:1]
	s_cbranch_vccnz .LBB87_2645
; %bb.2644:
	global_load_ushort v1, v[25:26], off
	s_waitcnt vmcnt(0)
	v_cvt_f32_f16_e32 v1, v1
	v_cvt_f64_f32_e32 v[23:24], v1
.LBB87_2645:
	s_mov_b64 s[0:1], 0
.LBB87_2646:
	s_andn2_b64 vcc, exec, s[0:1]
	s_cbranch_vccnz .LBB87_2666
; %bb.2647:
	s_cmp_lt_i32 s2, 2
	s_cbranch_scc1 .LBB87_2651
; %bb.2648:
	s_cmp_lt_i32 s2, 3
	s_cbranch_scc1 .LBB87_2652
; %bb.2649:
	s_cmp_gt_i32 s2, 3
	s_cbranch_scc0 .LBB87_2653
; %bb.2650:
	global_load_dwordx2 v[23:24], v[25:26], off
	s_mov_b64 s[0:1], 0
	s_waitcnt vmcnt(0)
	v_cvt_f64_i32_e32 v[27:28], v24
	v_cvt_f64_u32_e32 v[23:24], v23
	v_ldexp_f64 v[27:28], v[27:28], 32
	v_add_f64 v[23:24], v[27:28], v[23:24]
	s_branch .LBB87_2654
.LBB87_2651:
	s_mov_b64 s[0:1], -1
                                        ; implicit-def: $vgpr23_vgpr24
	s_branch .LBB87_2660
.LBB87_2652:
	s_mov_b64 s[0:1], -1
                                        ; implicit-def: $vgpr23_vgpr24
	s_branch .LBB87_2657
.LBB87_2653:
	s_mov_b64 s[0:1], -1
                                        ; implicit-def: $vgpr23_vgpr24
.LBB87_2654:
	s_andn2_b64 vcc, exec, s[0:1]
	s_cbranch_vccnz .LBB87_2656
; %bb.2655:
	global_load_dword v1, v[25:26], off
	s_waitcnt vmcnt(0)
	v_cvt_f64_i32_e32 v[23:24], v1
.LBB87_2656:
	s_mov_b64 s[0:1], 0
.LBB87_2657:
	s_andn2_b64 vcc, exec, s[0:1]
	s_cbranch_vccnz .LBB87_2659
; %bb.2658:
	global_load_sshort v1, v[25:26], off
	s_waitcnt vmcnt(0)
	v_cvt_f64_i32_e32 v[23:24], v1
.LBB87_2659:
	s_mov_b64 s[0:1], 0
.LBB87_2660:
	s_andn2_b64 vcc, exec, s[0:1]
	s_cbranch_vccnz .LBB87_2666
; %bb.2661:
	s_cmp_gt_i32 s2, 0
	s_cbranch_scc0 .LBB87_2663
; %bb.2662:
	global_load_sbyte v1, v[25:26], off
	s_mov_b64 s[0:1], 0
	s_waitcnt vmcnt(0)
	v_cvt_f64_i32_e32 v[23:24], v1
	s_branch .LBB87_2664
.LBB87_2663:
	s_mov_b64 s[0:1], -1
                                        ; implicit-def: $vgpr23_vgpr24
.LBB87_2664:
	s_andn2_b64 vcc, exec, s[0:1]
	s_cbranch_vccnz .LBB87_2666
; %bb.2665:
	global_load_ubyte v1, v[25:26], off
	s_waitcnt vmcnt(0)
	v_cvt_f64_u32_e32 v[23:24], v1
.LBB87_2666:
	s_mov_b64 s[4:5], -1
.LBB87_2667:
	s_andn2_b64 vcc, exec, s[4:5]
	s_cbranch_vccnz .LBB87_3101
; %bb.2668:
	s_waitcnt vmcnt(0)
	v_cmp_eq_f64_e32 vcc, v[7:8], v[10:11]
	s_load_dwordx2 s[2:3], s[24:25], 0x1a0
	s_waitcnt lgkmcnt(0)
	s_cmp_eq_u32 s2, 0
	s_cselect_b64 s[0:1], -1, 0
	v_cndmask_b32_e64 v1, 0, 1, vcc
	v_cmp_neq_f64_e32 vcc, v[7:8], v[10:11]
	s_and_b32 s22, s3, 0xff
	s_cmp_lt_i32 s22, 11
	v_cndmask_b32_e64 v3, 0, 1, vcc
	v_cndmask_b32_e64 v1, v3, v1, s[0:1]
	v_and_b32_e32 v1, 1, v1
	v_cmp_eq_u32_e64 s[2:3], 1, v1
	v_mov_b32_e32 v1, s9
	v_add_co_u32_e32 v5, vcc, s8, v6
	v_addc_co_u32_e32 v6, vcc, 0, v1, vcc
	s_cbranch_scc1 .LBB87_2746
; %bb.2669:
	s_and_b32 s23, 0xffff, s22
	s_mov_b64 s[18:19], -1
	s_mov_b64 s[10:11], 0
	s_cmp_gt_i32 s23, 25
	s_mov_b64 s[16:17], 0
	s_mov_b64 s[4:5], 0
	s_cbranch_scc0 .LBB87_2702
; %bb.2670:
	s_cmp_gt_i32 s23, 28
	s_cbranch_scc0 .LBB87_2685
; %bb.2671:
	s_cmp_gt_i32 s23, 43
	;; [unrolled: 3-line block ×3, first 2 shown]
	s_cbranch_scc0 .LBB87_2675
; %bb.2673:
	s_mov_b64 s[4:5], -1
	s_mov_b64 s[18:19], 0
	s_cmp_eq_u32 s23, 46
	s_cbranch_scc0 .LBB87_2675
; %bb.2674:
	v_cndmask_b32_e64 v1, 0, 1.0, s[2:3]
	v_bfe_u32 v3, v1, 16, 1
	s_movk_i32 s4, 0x7fff
	v_add3_u32 v1, v1, v3, s4
	v_lshrrev_b32_e32 v1, 16, v1
	global_store_dword v[5:6], v1, off
	s_mov_b64 s[4:5], 0
	s_mov_b64 s[16:17], -1
.LBB87_2675:
	s_and_b64 vcc, exec, s[18:19]
	s_cbranch_vccz .LBB87_2680
; %bb.2676:
	s_cmp_eq_u32 s23, 44
	s_mov_b64 s[4:5], -1
	s_cbranch_scc0 .LBB87_2680
; %bb.2677:
	v_cndmask_b32_e64 v3, 0, 1.0, s[2:3]
	v_lshrrev_b32_e32 v1, 23, v3
	s_movk_i32 s4, 0xff
	v_cmp_ne_u32_e32 vcc, s4, v1
	v_mov_b32_e32 v7, 0xff
	s_and_saveexec_b64 s[16:17], vcc
; %bb.2678:
	s_mov_b32 s4, 0x3fffff
	v_and_b32_e32 v7, 0x400000, v3
	v_and_or_b32 v3, v3, s4, v1
	v_cmp_ne_u32_e32 vcc, 0, v7
	v_cmp_ne_u32_e64 s[4:5], 0, v3
	s_and_b64 s[4:5], vcc, s[4:5]
	v_cndmask_b32_e64 v3, 0, 1, s[4:5]
	v_add_u32_e32 v7, v1, v3
; %bb.2679:
	s_or_b64 exec, exec, s[16:17]
	s_mov_b64 s[4:5], 0
	s_mov_b64 s[16:17], -1
	global_store_byte v[5:6], v7, off
.LBB87_2680:
	s_mov_b64 s[18:19], 0
.LBB87_2681:
	s_and_b64 vcc, exec, s[18:19]
	s_cbranch_vccz .LBB87_2684
; %bb.2682:
	s_cmp_eq_u32 s23, 29
	s_mov_b64 s[4:5], -1
	s_cbranch_scc0 .LBB87_2684
; %bb.2683:
	s_mov_b32 s4, 0
	v_cndmask_b32_e64 v7, 0, 1, s[2:3]
	v_mov_b32_e32 v8, s4
	global_store_dwordx2 v[5:6], v[7:8], off
	s_mov_b64 s[4:5], 0
	s_mov_b64 s[16:17], -1
.LBB87_2684:
	s_mov_b64 s[18:19], 0
.LBB87_2685:
	s_and_b64 vcc, exec, s[18:19]
	s_cbranch_vccz .LBB87_2701
; %bb.2686:
	s_cmp_lt_i32 s23, 27
	s_mov_b64 s[16:17], -1
	s_cbranch_scc1 .LBB87_2692
; %bb.2687:
	s_cmp_gt_i32 s23, 27
	s_cbranch_scc0 .LBB87_2689
; %bb.2688:
	v_cndmask_b32_e64 v1, 0, 1, s[2:3]
	s_mov_b64 s[16:17], 0
	global_store_dword v[5:6], v1, off
.LBB87_2689:
	s_andn2_b64 vcc, exec, s[16:17]
	s_cbranch_vccnz .LBB87_2691
; %bb.2690:
	v_cndmask_b32_e64 v1, 0, 1, s[2:3]
	global_store_short v[5:6], v1, off
.LBB87_2691:
	s_mov_b64 s[16:17], 0
.LBB87_2692:
	s_andn2_b64 vcc, exec, s[16:17]
	s_cbranch_vccnz .LBB87_2700
; %bb.2693:
	v_cndmask_b32_e64 v3, 0, 1.0, s[2:3]
	s_mov_b32 s16, 0x43800000
	v_cmp_gt_u32_e32 vcc, s16, v3
	v_mov_b32_e32 v7, 0x80
	s_and_saveexec_b64 s[16:17], vcc
	s_cbranch_execz .LBB87_2699
; %bb.2694:
	s_mov_b32 s18, 0x3bffffff
	v_cmp_lt_u32_e32 vcc, s18, v3
	s_mov_b64 s[18:19], 0
                                        ; implicit-def: $vgpr1
	s_and_saveexec_b64 s[20:21], vcc
	s_xor_b64 s[20:21], exec, s[20:21]
	s_cbranch_execz .LBB87_3148
; %bb.2695:
	v_bfe_u32 v1, v3, 20, 1
	s_mov_b32 s24, 0x487ffff
	v_add3_u32 v1, v3, v1, s24
	s_mov_b64 s[18:19], exec
	v_lshrrev_b32_e32 v1, 20, v1
                                        ; implicit-def: $vgpr3
	s_andn2_saveexec_b64 s[20:21], s[20:21]
	s_cbranch_execnz .LBB87_3149
.LBB87_2696:
	s_or_b64 exec, exec, s[20:21]
	v_mov_b32_e32 v7, 0
	s_and_saveexec_b64 s[20:21], s[18:19]
.LBB87_2697:
	v_mov_b32_e32 v7, v1
.LBB87_2698:
	s_or_b64 exec, exec, s[20:21]
.LBB87_2699:
	s_or_b64 exec, exec, s[16:17]
	global_store_byte v[5:6], v7, off
.LBB87_2700:
	s_mov_b64 s[16:17], -1
.LBB87_2701:
	s_mov_b64 s[18:19], 0
.LBB87_2702:
	s_and_b64 vcc, exec, s[18:19]
	s_cbranch_vccz .LBB87_2742
; %bb.2703:
	s_cmp_gt_i32 s23, 22
	s_mov_b64 s[10:11], -1
	s_cbranch_scc0 .LBB87_2735
; %bb.2704:
	s_cmp_lt_i32 s23, 24
	s_cbranch_scc1 .LBB87_2724
; %bb.2705:
	s_cmp_gt_i32 s23, 24
	s_cbranch_scc0 .LBB87_2713
; %bb.2706:
	v_cndmask_b32_e64 v3, 0, 1.0, s[2:3]
	s_mov_b32 s10, 0x47800000
	v_cmp_gt_u32_e32 vcc, s10, v3
	v_mov_b32_e32 v7, 0x80
	s_and_saveexec_b64 s[10:11], vcc
	s_cbranch_execz .LBB87_2712
; %bb.2707:
	s_mov_b32 s16, 0x37ffffff
	v_cmp_lt_u32_e32 vcc, s16, v3
	s_mov_b64 s[16:17], 0
                                        ; implicit-def: $vgpr1
	s_and_saveexec_b64 s[18:19], vcc
	s_xor_b64 s[18:19], exec, s[18:19]
	s_cbranch_execz .LBB87_3151
; %bb.2708:
	v_bfe_u32 v1, v3, 21, 1
	s_mov_b32 s20, 0x88fffff
	v_add3_u32 v1, v3, v1, s20
	s_mov_b64 s[16:17], exec
	v_lshrrev_b32_e32 v1, 21, v1
                                        ; implicit-def: $vgpr3
	s_andn2_saveexec_b64 s[18:19], s[18:19]
	s_cbranch_execnz .LBB87_3152
.LBB87_2709:
	s_or_b64 exec, exec, s[18:19]
	v_mov_b32_e32 v7, 0
	s_and_saveexec_b64 s[18:19], s[16:17]
.LBB87_2710:
	v_mov_b32_e32 v7, v1
.LBB87_2711:
	s_or_b64 exec, exec, s[18:19]
.LBB87_2712:
	s_or_b64 exec, exec, s[10:11]
	s_mov_b64 s[10:11], 0
	global_store_byte v[5:6], v7, off
.LBB87_2713:
	s_and_b64 vcc, exec, s[10:11]
	s_cbranch_vccz .LBB87_2723
; %bb.2714:
	v_cndmask_b32_e64 v1, 0, 1.0, s[2:3]
	s_mov_b32 s10, 0x43f00000
	v_cmp_gt_u32_e32 vcc, s10, v1
                                        ; implicit-def: $vgpr3
	s_and_saveexec_b64 s[10:11], vcc
	s_xor_b64 s[10:11], exec, s[10:11]
	s_cbranch_execz .LBB87_2720
; %bb.2715:
	s_mov_b32 s16, 0x3c7fffff
	v_cmp_lt_u32_e32 vcc, s16, v1
                                        ; implicit-def: $vgpr3
	s_and_saveexec_b64 s[16:17], vcc
	s_xor_b64 s[16:17], exec, s[16:17]
; %bb.2716:
	v_bfe_u32 v3, v1, 20, 1
	s_mov_b32 s18, 0x407ffff
	v_add3_u32 v1, v1, v3, s18
	v_lshrrev_b32_e32 v3, 20, v1
	v_and_b32_e32 v1, 0xff00000, v1
	s_mov_b32 s18, 0x7f00000
	v_mov_b32_e32 v7, 0x7e
	v_cmp_ne_u32_e32 vcc, s18, v1
	v_cndmask_b32_e32 v3, v7, v3, vcc
                                        ; implicit-def: $vgpr1
; %bb.2717:
	s_andn2_saveexec_b64 s[16:17], s[16:17]
; %bb.2718:
	v_add_f32_e32 v3, 0x46800000, v1
; %bb.2719:
	s_or_b64 exec, exec, s[16:17]
                                        ; implicit-def: $vgpr1
.LBB87_2720:
	s_andn2_saveexec_b64 s[10:11], s[10:11]
; %bb.2721:
	s_mov_b32 s16, 0x7f800000
	v_mov_b32_e32 v3, 0x7e
	v_mov_b32_e32 v7, 0x7f
	v_cmp_lt_u32_e32 vcc, s16, v1
	v_cndmask_b32_e32 v3, v3, v7, vcc
; %bb.2722:
	s_or_b64 exec, exec, s[10:11]
	global_store_byte v[5:6], v3, off
.LBB87_2723:
	s_mov_b64 s[10:11], 0
.LBB87_2724:
	s_andn2_b64 vcc, exec, s[10:11]
	s_cbranch_vccnz .LBB87_2734
; %bb.2725:
	v_cndmask_b32_e64 v1, 0, 1.0, s[2:3]
	s_mov_b32 s10, 0x47800000
	v_cmp_gt_u32_e32 vcc, s10, v1
                                        ; implicit-def: $vgpr3
	s_and_saveexec_b64 s[10:11], vcc
	s_xor_b64 s[10:11], exec, s[10:11]
	s_cbranch_execz .LBB87_2731
; %bb.2726:
	s_mov_b32 s16, 0x387fffff
	v_cmp_lt_u32_e32 vcc, s16, v1
                                        ; implicit-def: $vgpr3
	s_and_saveexec_b64 s[16:17], vcc
	s_xor_b64 s[16:17], exec, s[16:17]
; %bb.2727:
	v_bfe_u32 v3, v1, 21, 1
	s_mov_b32 s18, 0x80fffff
	v_add3_u32 v1, v1, v3, s18
	v_lshrrev_b32_e32 v3, 21, v1
                                        ; implicit-def: $vgpr1
; %bb.2728:
	s_andn2_saveexec_b64 s[16:17], s[16:17]
; %bb.2729:
	v_add_f32_e32 v3, 0x43000000, v1
; %bb.2730:
	s_or_b64 exec, exec, s[16:17]
                                        ; implicit-def: $vgpr1
.LBB87_2731:
	s_andn2_saveexec_b64 s[10:11], s[10:11]
; %bb.2732:
	s_mov_b32 s16, 0x7f800000
	v_mov_b32_e32 v3, 0x7c
	v_mov_b32_e32 v7, 0x7f
	v_cmp_lt_u32_e32 vcc, s16, v1
	v_cndmask_b32_e32 v3, v3, v7, vcc
; %bb.2733:
	s_or_b64 exec, exec, s[10:11]
	global_store_byte v[5:6], v3, off
.LBB87_2734:
	s_mov_b64 s[10:11], 0
	s_mov_b64 s[16:17], -1
.LBB87_2735:
	s_andn2_b64 vcc, exec, s[10:11]
	s_mov_b64 s[10:11], 0
	s_cbranch_vccnz .LBB87_2742
; %bb.2736:
	s_cmp_gt_i32 s23, 14
	s_mov_b64 s[18:19], -1
	s_cbranch_scc0 .LBB87_2740
; %bb.2737:
	s_cmp_eq_u32 s23, 15
	s_mov_b64 s[4:5], -1
	s_cbranch_scc0 .LBB87_2739
; %bb.2738:
	v_cndmask_b32_e64 v1, 0, 1.0, s[2:3]
	v_bfe_u32 v3, v1, 16, 1
	s_movk_i32 s4, 0x7fff
	v_add3_u32 v1, v1, v3, s4
	global_store_short_d16_hi v[5:6], v1, off
	s_mov_b64 s[4:5], 0
	s_mov_b64 s[16:17], -1
.LBB87_2739:
	s_mov_b64 s[18:19], 0
.LBB87_2740:
	s_and_b64 vcc, exec, s[18:19]
	s_cbranch_vccz .LBB87_2742
; %bb.2741:
	s_cmp_lg_u32 s23, 11
	s_mov_b64 s[10:11], -1
	s_cselect_b64 s[4:5], -1, 0
.LBB87_2742:
	s_and_b64 vcc, exec, s[4:5]
	s_cbranch_vccnz .LBB87_3150
; %bb.2743:
	s_andn2_b64 vcc, exec, s[10:11]
	s_cbranch_vccnz .LBB87_2745
.LBB87_2744:
	v_cndmask_b32_e64 v1, 0, 1, s[2:3]
	s_mov_b64 s[16:17], -1
	global_store_byte v[5:6], v1, off
.LBB87_2745:
	s_mov_b64 s[4:5], 0
	s_branch .LBB87_2747
.LBB87_2746:
	s_mov_b64 s[4:5], -1
	s_mov_b64 s[16:17], 0
.LBB87_2747:
	s_and_b64 vcc, exec, s[4:5]
	s_cbranch_vccz .LBB87_2786
; %bb.2748:
	s_and_b32 s10, 0xffff, s22
	s_cmp_lt_i32 s10, 5
	s_mov_b64 s[4:5], -1
	s_cbranch_scc1 .LBB87_2769
; %bb.2749:
	s_cmp_lt_i32 s10, 8
	s_cbranch_scc1 .LBB87_2759
; %bb.2750:
	s_cmp_lt_i32 s10, 9
	s_cbranch_scc1 .LBB87_2756
; %bb.2751:
	s_cmp_gt_i32 s10, 9
	s_cbranch_scc0 .LBB87_2753
; %bb.2752:
	v_cndmask_b32_e64 v1, 0, 1, s[2:3]
	v_cvt_f64_u32_e32 v[7:8], v1
	v_mov_b32_e32 v9, 0
	v_mov_b32_e32 v10, v9
	s_mov_b64 s[4:5], 0
	global_store_dwordx4 v[5:6], v[7:10], off
.LBB87_2753:
	s_andn2_b64 vcc, exec, s[4:5]
	s_cbranch_vccnz .LBB87_2755
; %bb.2754:
	v_cndmask_b32_e64 v7, 0, 1.0, s[2:3]
	v_mov_b32_e32 v8, 0
	global_store_dwordx2 v[5:6], v[7:8], off
.LBB87_2755:
	s_mov_b64 s[4:5], 0
.LBB87_2756:
	s_andn2_b64 vcc, exec, s[4:5]
	s_cbranch_vccnz .LBB87_2758
; %bb.2757:
	v_cndmask_b32_e64 v1, 0, 1.0, s[2:3]
	v_cvt_f16_f32_e32 v1, v1
	global_store_dword v[5:6], v1, off
.LBB87_2758:
	s_mov_b64 s[4:5], 0
.LBB87_2759:
	s_andn2_b64 vcc, exec, s[4:5]
	s_cbranch_vccnz .LBB87_2768
; %bb.2760:
	s_cmp_lt_i32 s10, 6
	s_mov_b64 s[4:5], -1
	s_cbranch_scc1 .LBB87_2766
; %bb.2761:
	s_cmp_gt_i32 s10, 6
	s_cbranch_scc0 .LBB87_2763
; %bb.2762:
	v_cndmask_b32_e64 v1, 0, 1, s[2:3]
	v_cvt_f64_u32_e32 v[7:8], v1
	s_mov_b64 s[4:5], 0
	global_store_dwordx2 v[5:6], v[7:8], off
.LBB87_2763:
	s_andn2_b64 vcc, exec, s[4:5]
	s_cbranch_vccnz .LBB87_2765
; %bb.2764:
	v_cndmask_b32_e64 v1, 0, 1.0, s[2:3]
	global_store_dword v[5:6], v1, off
.LBB87_2765:
	s_mov_b64 s[4:5], 0
.LBB87_2766:
	s_andn2_b64 vcc, exec, s[4:5]
	s_cbranch_vccnz .LBB87_2768
; %bb.2767:
	v_cndmask_b32_e64 v1, 0, 1.0, s[2:3]
	v_cvt_f16_f32_e32 v1, v1
	global_store_short v[5:6], v1, off
.LBB87_2768:
	s_mov_b64 s[4:5], 0
.LBB87_2769:
	s_andn2_b64 vcc, exec, s[4:5]
	s_cbranch_vccnz .LBB87_2785
; %bb.2770:
	s_cmp_lt_i32 s10, 2
	s_mov_b64 s[4:5], -1
	s_cbranch_scc1 .LBB87_2780
; %bb.2771:
	s_cmp_lt_i32 s10, 3
	s_cbranch_scc1 .LBB87_2777
; %bb.2772:
	s_cmp_gt_i32 s10, 3
	s_cbranch_scc0 .LBB87_2774
; %bb.2773:
	s_mov_b32 s4, 0
	v_cndmask_b32_e64 v7, 0, 1, s[2:3]
	v_mov_b32_e32 v8, s4
	global_store_dwordx2 v[5:6], v[7:8], off
	s_mov_b64 s[4:5], 0
.LBB87_2774:
	s_andn2_b64 vcc, exec, s[4:5]
	s_cbranch_vccnz .LBB87_2776
; %bb.2775:
	v_cndmask_b32_e64 v1, 0, 1, s[2:3]
	global_store_dword v[5:6], v1, off
.LBB87_2776:
	s_mov_b64 s[4:5], 0
.LBB87_2777:
	s_andn2_b64 vcc, exec, s[4:5]
	s_cbranch_vccnz .LBB87_2779
; %bb.2778:
	v_cndmask_b32_e64 v1, 0, 1, s[2:3]
	global_store_short v[5:6], v1, off
.LBB87_2779:
	s_mov_b64 s[4:5], 0
.LBB87_2780:
	s_andn2_b64 vcc, exec, s[4:5]
	s_cbranch_vccnz .LBB87_2785
; %bb.2781:
	s_mov_b64 s[4:5], -1
	s_cmp_gt_i32 s10, 0
	v_cndmask_b32_e64 v1, 0, 1, s[2:3]
	s_cbranch_scc0 .LBB87_2783
; %bb.2782:
	global_store_byte v[5:6], v1, off
	s_mov_b64 s[4:5], 0
.LBB87_2783:
	s_andn2_b64 vcc, exec, s[4:5]
	s_cbranch_vccnz .LBB87_2785
; %bb.2784:
	global_store_byte v[5:6], v1, off
.LBB87_2785:
	s_mov_b64 s[16:17], -1
.LBB87_2786:
	s_andn2_b64 vcc, exec, s[16:17]
	s_cbranch_vccnz .LBB87_3101
; %bb.2787:
	v_cmp_eq_f64_e32 vcc, v[12:13], v[15:16]
	s_and_b32 s23, 0xffff, s22
	s_cmp_lt_i32 s23, 11
	v_cndmask_b32_e64 v1, 0, 1, vcc
	v_cmp_neq_f64_e32 vcc, v[12:13], v[15:16]
	v_cndmask_b32_e64 v3, 0, 1, vcc
	v_cndmask_b32_e64 v1, v3, v1, s[0:1]
	v_and_b32_e32 v1, 1, v1
	v_cmp_eq_u32_e64 s[2:3], 1, v1
	v_mov_b32_e32 v1, s9
	v_add_co_u32_e32 v3, vcc, s8, v4
	v_addc_co_u32_e32 v4, vcc, 0, v1, vcc
	s_cbranch_scc1 .LBB87_2865
; %bb.2788:
	s_mov_b64 s[18:19], -1
	s_mov_b64 s[10:11], 0
	s_cmp_gt_i32 s23, 25
	s_mov_b64 s[16:17], 0
	s_mov_b64 s[4:5], 0
	s_cbranch_scc0 .LBB87_2821
; %bb.2789:
	s_cmp_gt_i32 s23, 28
	s_cbranch_scc0 .LBB87_2804
; %bb.2790:
	s_cmp_gt_i32 s23, 43
	;; [unrolled: 3-line block ×3, first 2 shown]
	s_cbranch_scc0 .LBB87_2794
; %bb.2792:
	s_mov_b64 s[4:5], -1
	s_mov_b64 s[18:19], 0
	s_cmp_eq_u32 s23, 46
	s_cbranch_scc0 .LBB87_2794
; %bb.2793:
	v_cndmask_b32_e64 v1, 0, 1.0, s[2:3]
	v_bfe_u32 v5, v1, 16, 1
	s_movk_i32 s4, 0x7fff
	v_add3_u32 v1, v1, v5, s4
	v_lshrrev_b32_e32 v1, 16, v1
	global_store_dword v[3:4], v1, off
	s_mov_b64 s[4:5], 0
	s_mov_b64 s[16:17], -1
.LBB87_2794:
	s_and_b64 vcc, exec, s[18:19]
	s_cbranch_vccz .LBB87_2799
; %bb.2795:
	s_cmp_eq_u32 s23, 44
	s_mov_b64 s[4:5], -1
	s_cbranch_scc0 .LBB87_2799
; %bb.2796:
	v_cndmask_b32_e64 v5, 0, 1.0, s[2:3]
	v_lshrrev_b32_e32 v1, 23, v5
	s_movk_i32 s4, 0xff
	v_cmp_ne_u32_e32 vcc, s4, v1
	v_mov_b32_e32 v6, 0xff
	s_and_saveexec_b64 s[16:17], vcc
; %bb.2797:
	s_mov_b32 s4, 0x3fffff
	v_and_b32_e32 v6, 0x400000, v5
	v_and_or_b32 v5, v5, s4, v1
	v_cmp_ne_u32_e32 vcc, 0, v6
	v_cmp_ne_u32_e64 s[4:5], 0, v5
	s_and_b64 s[4:5], vcc, s[4:5]
	v_cndmask_b32_e64 v5, 0, 1, s[4:5]
	v_add_u32_e32 v6, v1, v5
; %bb.2798:
	s_or_b64 exec, exec, s[16:17]
	s_mov_b64 s[4:5], 0
	s_mov_b64 s[16:17], -1
	global_store_byte v[3:4], v6, off
.LBB87_2799:
	s_mov_b64 s[18:19], 0
.LBB87_2800:
	s_and_b64 vcc, exec, s[18:19]
	s_cbranch_vccz .LBB87_2803
; %bb.2801:
	s_cmp_eq_u32 s23, 29
	s_mov_b64 s[4:5], -1
	s_cbranch_scc0 .LBB87_2803
; %bb.2802:
	s_mov_b32 s4, 0
	v_cndmask_b32_e64 v5, 0, 1, s[2:3]
	v_mov_b32_e32 v6, s4
	global_store_dwordx2 v[3:4], v[5:6], off
	s_mov_b64 s[4:5], 0
	s_mov_b64 s[16:17], -1
.LBB87_2803:
	s_mov_b64 s[18:19], 0
.LBB87_2804:
	s_and_b64 vcc, exec, s[18:19]
	s_cbranch_vccz .LBB87_2820
; %bb.2805:
	s_cmp_lt_i32 s23, 27
	s_mov_b64 s[16:17], -1
	s_cbranch_scc1 .LBB87_2811
; %bb.2806:
	s_cmp_gt_i32 s23, 27
	s_cbranch_scc0 .LBB87_2808
; %bb.2807:
	v_cndmask_b32_e64 v1, 0, 1, s[2:3]
	s_mov_b64 s[16:17], 0
	global_store_dword v[3:4], v1, off
.LBB87_2808:
	s_andn2_b64 vcc, exec, s[16:17]
	s_cbranch_vccnz .LBB87_2810
; %bb.2809:
	v_cndmask_b32_e64 v1, 0, 1, s[2:3]
	global_store_short v[3:4], v1, off
.LBB87_2810:
	s_mov_b64 s[16:17], 0
.LBB87_2811:
	s_andn2_b64 vcc, exec, s[16:17]
	s_cbranch_vccnz .LBB87_2819
; %bb.2812:
	v_cndmask_b32_e64 v5, 0, 1.0, s[2:3]
	s_mov_b32 s16, 0x43800000
	v_cmp_gt_u32_e32 vcc, s16, v5
	v_mov_b32_e32 v6, 0x80
	s_and_saveexec_b64 s[16:17], vcc
	s_cbranch_execz .LBB87_2818
; %bb.2813:
	s_mov_b32 s18, 0x3bffffff
	v_cmp_lt_u32_e32 vcc, s18, v5
	s_mov_b64 s[18:19], 0
                                        ; implicit-def: $vgpr1
	s_and_saveexec_b64 s[20:21], vcc
	s_xor_b64 s[20:21], exec, s[20:21]
	s_cbranch_execz .LBB87_3153
; %bb.2814:
	v_bfe_u32 v1, v5, 20, 1
	s_mov_b32 s24, 0x487ffff
	v_add3_u32 v1, v5, v1, s24
	s_mov_b64 s[18:19], exec
	v_lshrrev_b32_e32 v1, 20, v1
                                        ; implicit-def: $vgpr5
	s_andn2_saveexec_b64 s[20:21], s[20:21]
	s_cbranch_execnz .LBB87_3154
.LBB87_2815:
	s_or_b64 exec, exec, s[20:21]
	v_mov_b32_e32 v6, 0
	s_and_saveexec_b64 s[20:21], s[18:19]
.LBB87_2816:
	v_mov_b32_e32 v6, v1
.LBB87_2817:
	s_or_b64 exec, exec, s[20:21]
.LBB87_2818:
	s_or_b64 exec, exec, s[16:17]
	global_store_byte v[3:4], v6, off
.LBB87_2819:
	s_mov_b64 s[16:17], -1
.LBB87_2820:
	s_mov_b64 s[18:19], 0
.LBB87_2821:
	s_and_b64 vcc, exec, s[18:19]
	s_cbranch_vccz .LBB87_2861
; %bb.2822:
	s_cmp_gt_i32 s23, 22
	s_mov_b64 s[10:11], -1
	s_cbranch_scc0 .LBB87_2854
; %bb.2823:
	s_cmp_lt_i32 s23, 24
	s_cbranch_scc1 .LBB87_2843
; %bb.2824:
	s_cmp_gt_i32 s23, 24
	s_cbranch_scc0 .LBB87_2832
; %bb.2825:
	v_cndmask_b32_e64 v5, 0, 1.0, s[2:3]
	s_mov_b32 s10, 0x47800000
	v_cmp_gt_u32_e32 vcc, s10, v5
	v_mov_b32_e32 v6, 0x80
	s_and_saveexec_b64 s[10:11], vcc
	s_cbranch_execz .LBB87_2831
; %bb.2826:
	s_mov_b32 s16, 0x37ffffff
	v_cmp_lt_u32_e32 vcc, s16, v5
	s_mov_b64 s[16:17], 0
                                        ; implicit-def: $vgpr1
	s_and_saveexec_b64 s[18:19], vcc
	s_xor_b64 s[18:19], exec, s[18:19]
	s_cbranch_execz .LBB87_3156
; %bb.2827:
	v_bfe_u32 v1, v5, 21, 1
	s_mov_b32 s20, 0x88fffff
	v_add3_u32 v1, v5, v1, s20
	s_mov_b64 s[16:17], exec
	v_lshrrev_b32_e32 v1, 21, v1
                                        ; implicit-def: $vgpr5
	s_andn2_saveexec_b64 s[18:19], s[18:19]
	s_cbranch_execnz .LBB87_3157
.LBB87_2828:
	s_or_b64 exec, exec, s[18:19]
	v_mov_b32_e32 v6, 0
	s_and_saveexec_b64 s[18:19], s[16:17]
.LBB87_2829:
	v_mov_b32_e32 v6, v1
.LBB87_2830:
	s_or_b64 exec, exec, s[18:19]
.LBB87_2831:
	s_or_b64 exec, exec, s[10:11]
	s_mov_b64 s[10:11], 0
	global_store_byte v[3:4], v6, off
.LBB87_2832:
	s_and_b64 vcc, exec, s[10:11]
	s_cbranch_vccz .LBB87_2842
; %bb.2833:
	v_cndmask_b32_e64 v1, 0, 1.0, s[2:3]
	s_mov_b32 s10, 0x43f00000
	v_cmp_gt_u32_e32 vcc, s10, v1
                                        ; implicit-def: $vgpr5
	s_and_saveexec_b64 s[10:11], vcc
	s_xor_b64 s[10:11], exec, s[10:11]
	s_cbranch_execz .LBB87_2839
; %bb.2834:
	s_mov_b32 s16, 0x3c7fffff
	v_cmp_lt_u32_e32 vcc, s16, v1
                                        ; implicit-def: $vgpr5
	s_and_saveexec_b64 s[16:17], vcc
	s_xor_b64 s[16:17], exec, s[16:17]
; %bb.2835:
	v_bfe_u32 v5, v1, 20, 1
	s_mov_b32 s18, 0x407ffff
	v_add3_u32 v1, v1, v5, s18
	v_lshrrev_b32_e32 v5, 20, v1
	v_and_b32_e32 v1, 0xff00000, v1
	s_mov_b32 s18, 0x7f00000
	v_mov_b32_e32 v6, 0x7e
	v_cmp_ne_u32_e32 vcc, s18, v1
	v_cndmask_b32_e32 v5, v6, v5, vcc
                                        ; implicit-def: $vgpr1
; %bb.2836:
	s_andn2_saveexec_b64 s[16:17], s[16:17]
; %bb.2837:
	v_add_f32_e32 v5, 0x46800000, v1
; %bb.2838:
	s_or_b64 exec, exec, s[16:17]
                                        ; implicit-def: $vgpr1
.LBB87_2839:
	s_andn2_saveexec_b64 s[10:11], s[10:11]
; %bb.2840:
	s_mov_b32 s16, 0x7f800000
	v_mov_b32_e32 v5, 0x7e
	v_mov_b32_e32 v6, 0x7f
	v_cmp_lt_u32_e32 vcc, s16, v1
	v_cndmask_b32_e32 v5, v5, v6, vcc
; %bb.2841:
	s_or_b64 exec, exec, s[10:11]
	global_store_byte v[3:4], v5, off
.LBB87_2842:
	s_mov_b64 s[10:11], 0
.LBB87_2843:
	s_andn2_b64 vcc, exec, s[10:11]
	s_cbranch_vccnz .LBB87_2853
; %bb.2844:
	v_cndmask_b32_e64 v1, 0, 1.0, s[2:3]
	s_mov_b32 s10, 0x47800000
	v_cmp_gt_u32_e32 vcc, s10, v1
                                        ; implicit-def: $vgpr5
	s_and_saveexec_b64 s[10:11], vcc
	s_xor_b64 s[10:11], exec, s[10:11]
	s_cbranch_execz .LBB87_2850
; %bb.2845:
	s_mov_b32 s16, 0x387fffff
	v_cmp_lt_u32_e32 vcc, s16, v1
                                        ; implicit-def: $vgpr5
	s_and_saveexec_b64 s[16:17], vcc
	s_xor_b64 s[16:17], exec, s[16:17]
; %bb.2846:
	v_bfe_u32 v5, v1, 21, 1
	s_mov_b32 s18, 0x80fffff
	v_add3_u32 v1, v1, v5, s18
	v_lshrrev_b32_e32 v5, 21, v1
                                        ; implicit-def: $vgpr1
; %bb.2847:
	s_andn2_saveexec_b64 s[16:17], s[16:17]
; %bb.2848:
	v_add_f32_e32 v5, 0x43000000, v1
; %bb.2849:
	s_or_b64 exec, exec, s[16:17]
                                        ; implicit-def: $vgpr1
.LBB87_2850:
	s_andn2_saveexec_b64 s[10:11], s[10:11]
; %bb.2851:
	s_mov_b32 s16, 0x7f800000
	v_mov_b32_e32 v5, 0x7c
	v_mov_b32_e32 v6, 0x7f
	v_cmp_lt_u32_e32 vcc, s16, v1
	v_cndmask_b32_e32 v5, v5, v6, vcc
; %bb.2852:
	s_or_b64 exec, exec, s[10:11]
	global_store_byte v[3:4], v5, off
.LBB87_2853:
	s_mov_b64 s[10:11], 0
	s_mov_b64 s[16:17], -1
.LBB87_2854:
	s_andn2_b64 vcc, exec, s[10:11]
	s_mov_b64 s[10:11], 0
	s_cbranch_vccnz .LBB87_2861
; %bb.2855:
	s_cmp_gt_i32 s23, 14
	s_mov_b64 s[18:19], -1
	s_cbranch_scc0 .LBB87_2859
; %bb.2856:
	s_cmp_eq_u32 s23, 15
	s_mov_b64 s[4:5], -1
	s_cbranch_scc0 .LBB87_2858
; %bb.2857:
	v_cndmask_b32_e64 v1, 0, 1.0, s[2:3]
	v_bfe_u32 v5, v1, 16, 1
	s_movk_i32 s4, 0x7fff
	v_add3_u32 v1, v1, v5, s4
	global_store_short_d16_hi v[3:4], v1, off
	s_mov_b64 s[4:5], 0
	s_mov_b64 s[16:17], -1
.LBB87_2858:
	s_mov_b64 s[18:19], 0
.LBB87_2859:
	s_and_b64 vcc, exec, s[18:19]
	s_cbranch_vccz .LBB87_2861
; %bb.2860:
	s_cmp_lg_u32 s23, 11
	s_mov_b64 s[10:11], -1
	s_cselect_b64 s[4:5], -1, 0
.LBB87_2861:
	s_and_b64 vcc, exec, s[4:5]
	s_cbranch_vccnz .LBB87_3155
; %bb.2862:
	s_andn2_b64 vcc, exec, s[10:11]
	s_cbranch_vccnz .LBB87_2864
.LBB87_2863:
	v_cndmask_b32_e64 v1, 0, 1, s[2:3]
	s_mov_b64 s[16:17], -1
	global_store_byte v[3:4], v1, off
.LBB87_2864:
	s_mov_b64 s[4:5], 0
	s_branch .LBB87_2866
.LBB87_2865:
	s_mov_b64 s[4:5], -1
	s_mov_b64 s[16:17], 0
.LBB87_2866:
	s_and_b64 vcc, exec, s[4:5]
	s_cbranch_vccz .LBB87_2905
; %bb.2867:
	s_cmp_lt_i32 s23, 5
	s_mov_b64 s[4:5], -1
	s_cbranch_scc1 .LBB87_2888
; %bb.2868:
	s_cmp_lt_i32 s23, 8
	s_cbranch_scc1 .LBB87_2878
; %bb.2869:
	s_cmp_lt_i32 s23, 9
	s_cbranch_scc1 .LBB87_2875
; %bb.2870:
	s_cmp_gt_i32 s23, 9
	s_cbranch_scc0 .LBB87_2872
; %bb.2871:
	v_cndmask_b32_e64 v1, 0, 1, s[2:3]
	v_cvt_f64_u32_e32 v[5:6], v1
	v_mov_b32_e32 v7, 0
	v_mov_b32_e32 v8, v7
	s_mov_b64 s[4:5], 0
	global_store_dwordx4 v[3:4], v[5:8], off
.LBB87_2872:
	s_andn2_b64 vcc, exec, s[4:5]
	s_cbranch_vccnz .LBB87_2874
; %bb.2873:
	v_cndmask_b32_e64 v5, 0, 1.0, s[2:3]
	v_mov_b32_e32 v6, 0
	global_store_dwordx2 v[3:4], v[5:6], off
.LBB87_2874:
	s_mov_b64 s[4:5], 0
.LBB87_2875:
	s_andn2_b64 vcc, exec, s[4:5]
	s_cbranch_vccnz .LBB87_2877
; %bb.2876:
	v_cndmask_b32_e64 v1, 0, 1.0, s[2:3]
	v_cvt_f16_f32_e32 v1, v1
	global_store_dword v[3:4], v1, off
.LBB87_2877:
	s_mov_b64 s[4:5], 0
.LBB87_2878:
	s_andn2_b64 vcc, exec, s[4:5]
	s_cbranch_vccnz .LBB87_2887
; %bb.2879:
	s_cmp_lt_i32 s23, 6
	s_mov_b64 s[4:5], -1
	s_cbranch_scc1 .LBB87_2885
; %bb.2880:
	s_cmp_gt_i32 s23, 6
	s_cbranch_scc0 .LBB87_2882
; %bb.2881:
	v_cndmask_b32_e64 v1, 0, 1, s[2:3]
	v_cvt_f64_u32_e32 v[5:6], v1
	s_mov_b64 s[4:5], 0
	global_store_dwordx2 v[3:4], v[5:6], off
.LBB87_2882:
	s_andn2_b64 vcc, exec, s[4:5]
	s_cbranch_vccnz .LBB87_2884
; %bb.2883:
	v_cndmask_b32_e64 v1, 0, 1.0, s[2:3]
	global_store_dword v[3:4], v1, off
.LBB87_2884:
	s_mov_b64 s[4:5], 0
.LBB87_2885:
	s_andn2_b64 vcc, exec, s[4:5]
	s_cbranch_vccnz .LBB87_2887
; %bb.2886:
	v_cndmask_b32_e64 v1, 0, 1.0, s[2:3]
	v_cvt_f16_f32_e32 v1, v1
	global_store_short v[3:4], v1, off
.LBB87_2887:
	s_mov_b64 s[4:5], 0
.LBB87_2888:
	s_andn2_b64 vcc, exec, s[4:5]
	s_cbranch_vccnz .LBB87_2904
; %bb.2889:
	s_cmp_lt_i32 s23, 2
	s_mov_b64 s[4:5], -1
	s_cbranch_scc1 .LBB87_2899
; %bb.2890:
	s_cmp_lt_i32 s23, 3
	s_cbranch_scc1 .LBB87_2896
; %bb.2891:
	s_cmp_gt_i32 s23, 3
	s_cbranch_scc0 .LBB87_2893
; %bb.2892:
	s_mov_b32 s4, 0
	v_cndmask_b32_e64 v5, 0, 1, s[2:3]
	v_mov_b32_e32 v6, s4
	global_store_dwordx2 v[3:4], v[5:6], off
	s_mov_b64 s[4:5], 0
.LBB87_2893:
	s_andn2_b64 vcc, exec, s[4:5]
	s_cbranch_vccnz .LBB87_2895
; %bb.2894:
	v_cndmask_b32_e64 v1, 0, 1, s[2:3]
	global_store_dword v[3:4], v1, off
.LBB87_2895:
	s_mov_b64 s[4:5], 0
.LBB87_2896:
	s_andn2_b64 vcc, exec, s[4:5]
	s_cbranch_vccnz .LBB87_2898
; %bb.2897:
	v_cndmask_b32_e64 v1, 0, 1, s[2:3]
	global_store_short v[3:4], v1, off
.LBB87_2898:
	s_mov_b64 s[4:5], 0
.LBB87_2899:
	s_andn2_b64 vcc, exec, s[4:5]
	s_cbranch_vccnz .LBB87_2904
; %bb.2900:
	s_mov_b64 s[4:5], -1
	s_cmp_gt_i32 s23, 0
	v_cndmask_b32_e64 v1, 0, 1, s[2:3]
	s_cbranch_scc0 .LBB87_2902
; %bb.2901:
	global_store_byte v[3:4], v1, off
	s_mov_b64 s[4:5], 0
.LBB87_2902:
	s_andn2_b64 vcc, exec, s[4:5]
	s_cbranch_vccnz .LBB87_2904
; %bb.2903:
	global_store_byte v[3:4], v1, off
.LBB87_2904:
	s_mov_b64 s[16:17], -1
.LBB87_2905:
	s_andn2_b64 vcc, exec, s[16:17]
	s_cbranch_vccnz .LBB87_3101
; %bb.2906:
	v_cmp_eq_f64_e32 vcc, v[17:18], v[19:20]
	s_cmp_lt_i32 s23, 11
	v_cndmask_b32_e64 v1, 0, 1, vcc
	v_cmp_neq_f64_e32 vcc, v[17:18], v[19:20]
	v_cndmask_b32_e64 v3, 0, 1, vcc
	v_cndmask_b32_e64 v1, v3, v1, s[0:1]
	v_and_b32_e32 v1, 1, v1
	v_cmp_eq_u32_e64 s[2:3], 1, v1
	v_mov_b32_e32 v3, s9
	v_add_co_u32_e32 v1, vcc, s8, v2
	v_addc_co_u32_e32 v2, vcc, 0, v3, vcc
	s_cbranch_scc1 .LBB87_2984
; %bb.2907:
	s_mov_b64 s[18:19], -1
	s_mov_b64 s[10:11], 0
	s_cmp_gt_i32 s23, 25
	s_mov_b64 s[16:17], 0
	s_mov_b64 s[4:5], 0
	s_cbranch_scc0 .LBB87_2940
; %bb.2908:
	s_cmp_gt_i32 s23, 28
	s_cbranch_scc0 .LBB87_2923
; %bb.2909:
	s_cmp_gt_i32 s23, 43
	;; [unrolled: 3-line block ×3, first 2 shown]
	s_cbranch_scc0 .LBB87_2913
; %bb.2911:
	s_mov_b64 s[4:5], -1
	s_mov_b64 s[18:19], 0
	s_cmp_eq_u32 s23, 46
	s_cbranch_scc0 .LBB87_2913
; %bb.2912:
	v_cndmask_b32_e64 v3, 0, 1.0, s[2:3]
	v_bfe_u32 v4, v3, 16, 1
	s_movk_i32 s4, 0x7fff
	v_add3_u32 v3, v3, v4, s4
	v_lshrrev_b32_e32 v3, 16, v3
	global_store_dword v[1:2], v3, off
	s_mov_b64 s[4:5], 0
	s_mov_b64 s[16:17], -1
.LBB87_2913:
	s_and_b64 vcc, exec, s[18:19]
	s_cbranch_vccz .LBB87_2918
; %bb.2914:
	s_cmp_eq_u32 s23, 44
	s_mov_b64 s[4:5], -1
	s_cbranch_scc0 .LBB87_2918
; %bb.2915:
	v_cndmask_b32_e64 v4, 0, 1.0, s[2:3]
	v_lshrrev_b32_e32 v3, 23, v4
	s_movk_i32 s4, 0xff
	v_cmp_ne_u32_e32 vcc, s4, v3
	v_mov_b32_e32 v5, 0xff
	s_and_saveexec_b64 s[16:17], vcc
; %bb.2916:
	s_mov_b32 s4, 0x3fffff
	v_and_b32_e32 v5, 0x400000, v4
	v_and_or_b32 v4, v4, s4, v3
	v_cmp_ne_u32_e32 vcc, 0, v5
	v_cmp_ne_u32_e64 s[4:5], 0, v4
	s_and_b64 s[4:5], vcc, s[4:5]
	v_cndmask_b32_e64 v4, 0, 1, s[4:5]
	v_add_u32_e32 v5, v3, v4
; %bb.2917:
	s_or_b64 exec, exec, s[16:17]
	s_mov_b64 s[4:5], 0
	s_mov_b64 s[16:17], -1
	global_store_byte v[1:2], v5, off
.LBB87_2918:
	s_mov_b64 s[18:19], 0
.LBB87_2919:
	s_and_b64 vcc, exec, s[18:19]
	s_cbranch_vccz .LBB87_2922
; %bb.2920:
	s_cmp_eq_u32 s23, 29
	s_mov_b64 s[4:5], -1
	s_cbranch_scc0 .LBB87_2922
; %bb.2921:
	s_mov_b32 s4, 0
	v_cndmask_b32_e64 v3, 0, 1, s[2:3]
	v_mov_b32_e32 v4, s4
	global_store_dwordx2 v[1:2], v[3:4], off
	s_mov_b64 s[4:5], 0
	s_mov_b64 s[16:17], -1
.LBB87_2922:
	s_mov_b64 s[18:19], 0
.LBB87_2923:
	s_and_b64 vcc, exec, s[18:19]
	s_cbranch_vccz .LBB87_2939
; %bb.2924:
	s_cmp_lt_i32 s23, 27
	s_mov_b64 s[16:17], -1
	s_cbranch_scc1 .LBB87_2930
; %bb.2925:
	s_cmp_gt_i32 s23, 27
	s_cbranch_scc0 .LBB87_2927
; %bb.2926:
	v_cndmask_b32_e64 v3, 0, 1, s[2:3]
	s_mov_b64 s[16:17], 0
	global_store_dword v[1:2], v3, off
.LBB87_2927:
	s_andn2_b64 vcc, exec, s[16:17]
	s_cbranch_vccnz .LBB87_2929
; %bb.2928:
	v_cndmask_b32_e64 v3, 0, 1, s[2:3]
	global_store_short v[1:2], v3, off
.LBB87_2929:
	s_mov_b64 s[16:17], 0
.LBB87_2930:
	s_andn2_b64 vcc, exec, s[16:17]
	s_cbranch_vccnz .LBB87_2938
; %bb.2931:
	v_cndmask_b32_e64 v4, 0, 1.0, s[2:3]
	s_mov_b32 s16, 0x43800000
	v_cmp_gt_u32_e32 vcc, s16, v4
	v_mov_b32_e32 v5, 0x80
	s_and_saveexec_b64 s[16:17], vcc
	s_cbranch_execz .LBB87_2937
; %bb.2932:
	s_mov_b32 s18, 0x3bffffff
	v_cmp_lt_u32_e32 vcc, s18, v4
	s_mov_b64 s[18:19], 0
                                        ; implicit-def: $vgpr3
	s_and_saveexec_b64 s[20:21], vcc
	s_xor_b64 s[20:21], exec, s[20:21]
	s_cbranch_execz .LBB87_3158
; %bb.2933:
	v_bfe_u32 v3, v4, 20, 1
	s_mov_b32 s24, 0x487ffff
	v_add3_u32 v3, v4, v3, s24
	s_mov_b64 s[18:19], exec
	v_lshrrev_b32_e32 v3, 20, v3
                                        ; implicit-def: $vgpr4
	s_andn2_saveexec_b64 s[20:21], s[20:21]
	s_cbranch_execnz .LBB87_3159
.LBB87_2934:
	s_or_b64 exec, exec, s[20:21]
	v_mov_b32_e32 v5, 0
	s_and_saveexec_b64 s[20:21], s[18:19]
.LBB87_2935:
	v_mov_b32_e32 v5, v3
.LBB87_2936:
	s_or_b64 exec, exec, s[20:21]
.LBB87_2937:
	s_or_b64 exec, exec, s[16:17]
	global_store_byte v[1:2], v5, off
.LBB87_2938:
	s_mov_b64 s[16:17], -1
.LBB87_2939:
	s_mov_b64 s[18:19], 0
.LBB87_2940:
	s_and_b64 vcc, exec, s[18:19]
	s_cbranch_vccz .LBB87_2980
; %bb.2941:
	s_cmp_gt_i32 s23, 22
	s_mov_b64 s[10:11], -1
	s_cbranch_scc0 .LBB87_2973
; %bb.2942:
	s_cmp_lt_i32 s23, 24
	s_cbranch_scc1 .LBB87_2962
; %bb.2943:
	s_cmp_gt_i32 s23, 24
	s_cbranch_scc0 .LBB87_2951
; %bb.2944:
	v_cndmask_b32_e64 v4, 0, 1.0, s[2:3]
	s_mov_b32 s10, 0x47800000
	v_cmp_gt_u32_e32 vcc, s10, v4
	v_mov_b32_e32 v5, 0x80
	s_and_saveexec_b64 s[10:11], vcc
	s_cbranch_execz .LBB87_2950
; %bb.2945:
	s_mov_b32 s16, 0x37ffffff
	v_cmp_lt_u32_e32 vcc, s16, v4
	s_mov_b64 s[16:17], 0
                                        ; implicit-def: $vgpr3
	s_and_saveexec_b64 s[18:19], vcc
	s_xor_b64 s[18:19], exec, s[18:19]
	s_cbranch_execz .LBB87_3161
; %bb.2946:
	v_bfe_u32 v3, v4, 21, 1
	s_mov_b32 s20, 0x88fffff
	v_add3_u32 v3, v4, v3, s20
	s_mov_b64 s[16:17], exec
	v_lshrrev_b32_e32 v3, 21, v3
                                        ; implicit-def: $vgpr4
	s_andn2_saveexec_b64 s[18:19], s[18:19]
	s_cbranch_execnz .LBB87_3162
.LBB87_2947:
	s_or_b64 exec, exec, s[18:19]
	v_mov_b32_e32 v5, 0
	s_and_saveexec_b64 s[18:19], s[16:17]
.LBB87_2948:
	v_mov_b32_e32 v5, v3
.LBB87_2949:
	s_or_b64 exec, exec, s[18:19]
.LBB87_2950:
	s_or_b64 exec, exec, s[10:11]
	s_mov_b64 s[10:11], 0
	global_store_byte v[1:2], v5, off
.LBB87_2951:
	s_and_b64 vcc, exec, s[10:11]
	s_cbranch_vccz .LBB87_2961
; %bb.2952:
	v_cndmask_b32_e64 v3, 0, 1.0, s[2:3]
	s_mov_b32 s10, 0x43f00000
	v_cmp_gt_u32_e32 vcc, s10, v3
                                        ; implicit-def: $vgpr4
	s_and_saveexec_b64 s[10:11], vcc
	s_xor_b64 s[10:11], exec, s[10:11]
	s_cbranch_execz .LBB87_2958
; %bb.2953:
	s_mov_b32 s16, 0x3c7fffff
	v_cmp_lt_u32_e32 vcc, s16, v3
                                        ; implicit-def: $vgpr4
	s_and_saveexec_b64 s[16:17], vcc
	s_xor_b64 s[16:17], exec, s[16:17]
; %bb.2954:
	v_bfe_u32 v4, v3, 20, 1
	s_mov_b32 s18, 0x407ffff
	v_add3_u32 v3, v3, v4, s18
	v_lshrrev_b32_e32 v4, 20, v3
	v_and_b32_e32 v3, 0xff00000, v3
	s_mov_b32 s18, 0x7f00000
	v_mov_b32_e32 v5, 0x7e
	v_cmp_ne_u32_e32 vcc, s18, v3
	v_cndmask_b32_e32 v4, v5, v4, vcc
                                        ; implicit-def: $vgpr3
; %bb.2955:
	s_andn2_saveexec_b64 s[16:17], s[16:17]
; %bb.2956:
	v_add_f32_e32 v4, 0x46800000, v3
; %bb.2957:
	s_or_b64 exec, exec, s[16:17]
                                        ; implicit-def: $vgpr3
.LBB87_2958:
	s_andn2_saveexec_b64 s[10:11], s[10:11]
; %bb.2959:
	s_mov_b32 s16, 0x7f800000
	v_mov_b32_e32 v4, 0x7e
	v_mov_b32_e32 v5, 0x7f
	v_cmp_lt_u32_e32 vcc, s16, v3
	v_cndmask_b32_e32 v4, v4, v5, vcc
; %bb.2960:
	s_or_b64 exec, exec, s[10:11]
	global_store_byte v[1:2], v4, off
.LBB87_2961:
	s_mov_b64 s[10:11], 0
.LBB87_2962:
	s_andn2_b64 vcc, exec, s[10:11]
	s_cbranch_vccnz .LBB87_2972
; %bb.2963:
	v_cndmask_b32_e64 v3, 0, 1.0, s[2:3]
	s_mov_b32 s10, 0x47800000
	v_cmp_gt_u32_e32 vcc, s10, v3
                                        ; implicit-def: $vgpr4
	s_and_saveexec_b64 s[10:11], vcc
	s_xor_b64 s[10:11], exec, s[10:11]
	s_cbranch_execz .LBB87_2969
; %bb.2964:
	s_mov_b32 s16, 0x387fffff
	v_cmp_lt_u32_e32 vcc, s16, v3
                                        ; implicit-def: $vgpr4
	s_and_saveexec_b64 s[16:17], vcc
	s_xor_b64 s[16:17], exec, s[16:17]
; %bb.2965:
	v_bfe_u32 v4, v3, 21, 1
	s_mov_b32 s18, 0x80fffff
	v_add3_u32 v3, v3, v4, s18
	v_lshrrev_b32_e32 v4, 21, v3
                                        ; implicit-def: $vgpr3
; %bb.2966:
	s_andn2_saveexec_b64 s[16:17], s[16:17]
; %bb.2967:
	v_add_f32_e32 v4, 0x43000000, v3
; %bb.2968:
	s_or_b64 exec, exec, s[16:17]
                                        ; implicit-def: $vgpr3
.LBB87_2969:
	s_andn2_saveexec_b64 s[10:11], s[10:11]
; %bb.2970:
	s_mov_b32 s16, 0x7f800000
	v_mov_b32_e32 v4, 0x7c
	v_mov_b32_e32 v5, 0x7f
	v_cmp_lt_u32_e32 vcc, s16, v3
	v_cndmask_b32_e32 v4, v4, v5, vcc
; %bb.2971:
	s_or_b64 exec, exec, s[10:11]
	global_store_byte v[1:2], v4, off
.LBB87_2972:
	s_mov_b64 s[10:11], 0
	s_mov_b64 s[16:17], -1
.LBB87_2973:
	s_andn2_b64 vcc, exec, s[10:11]
	s_mov_b64 s[10:11], 0
	s_cbranch_vccnz .LBB87_2980
; %bb.2974:
	s_cmp_gt_i32 s23, 14
	s_mov_b64 s[18:19], -1
	s_cbranch_scc0 .LBB87_2978
; %bb.2975:
	s_cmp_eq_u32 s23, 15
	s_mov_b64 s[4:5], -1
	s_cbranch_scc0 .LBB87_2977
; %bb.2976:
	v_cndmask_b32_e64 v3, 0, 1.0, s[2:3]
	v_bfe_u32 v4, v3, 16, 1
	s_movk_i32 s4, 0x7fff
	v_add3_u32 v3, v3, v4, s4
	global_store_short_d16_hi v[1:2], v3, off
	s_mov_b64 s[4:5], 0
	s_mov_b64 s[16:17], -1
.LBB87_2977:
	s_mov_b64 s[18:19], 0
.LBB87_2978:
	s_and_b64 vcc, exec, s[18:19]
	s_cbranch_vccz .LBB87_2980
; %bb.2979:
	s_cmp_lg_u32 s23, 11
	s_mov_b64 s[10:11], -1
	s_cselect_b64 s[4:5], -1, 0
.LBB87_2980:
	s_and_b64 vcc, exec, s[4:5]
	s_cbranch_vccnz .LBB87_3160
; %bb.2981:
	s_andn2_b64 vcc, exec, s[10:11]
	s_cbranch_vccnz .LBB87_2983
.LBB87_2982:
	v_cndmask_b32_e64 v3, 0, 1, s[2:3]
	s_mov_b64 s[16:17], -1
	global_store_byte v[1:2], v3, off
.LBB87_2983:
	s_mov_b64 s[4:5], 0
	s_branch .LBB87_2985
.LBB87_2984:
	s_mov_b64 s[4:5], -1
	s_mov_b64 s[16:17], 0
.LBB87_2985:
	s_and_b64 vcc, exec, s[4:5]
	s_cbranch_vccz .LBB87_3024
; %bb.2986:
	s_cmp_lt_i32 s23, 5
	s_mov_b64 s[4:5], -1
	s_cbranch_scc1 .LBB87_3007
; %bb.2987:
	s_cmp_lt_i32 s23, 8
	s_cbranch_scc1 .LBB87_2997
; %bb.2988:
	s_cmp_lt_i32 s23, 9
	s_cbranch_scc1 .LBB87_2994
; %bb.2989:
	s_cmp_gt_i32 s23, 9
	s_cbranch_scc0 .LBB87_2991
; %bb.2990:
	v_cndmask_b32_e64 v3, 0, 1, s[2:3]
	v_cvt_f64_u32_e32 v[3:4], v3
	v_mov_b32_e32 v5, 0
	v_mov_b32_e32 v6, v5
	s_mov_b64 s[4:5], 0
	global_store_dwordx4 v[1:2], v[3:6], off
.LBB87_2991:
	s_andn2_b64 vcc, exec, s[4:5]
	s_cbranch_vccnz .LBB87_2993
; %bb.2992:
	v_cndmask_b32_e64 v3, 0, 1.0, s[2:3]
	v_mov_b32_e32 v4, 0
	global_store_dwordx2 v[1:2], v[3:4], off
.LBB87_2993:
	s_mov_b64 s[4:5], 0
.LBB87_2994:
	s_andn2_b64 vcc, exec, s[4:5]
	s_cbranch_vccnz .LBB87_2996
; %bb.2995:
	v_cndmask_b32_e64 v3, 0, 1.0, s[2:3]
	v_cvt_f16_f32_e32 v3, v3
	global_store_dword v[1:2], v3, off
.LBB87_2996:
	s_mov_b64 s[4:5], 0
.LBB87_2997:
	s_andn2_b64 vcc, exec, s[4:5]
	s_cbranch_vccnz .LBB87_3006
; %bb.2998:
	s_cmp_lt_i32 s23, 6
	s_mov_b64 s[4:5], -1
	s_cbranch_scc1 .LBB87_3004
; %bb.2999:
	s_cmp_gt_i32 s23, 6
	s_cbranch_scc0 .LBB87_3001
; %bb.3000:
	v_cndmask_b32_e64 v3, 0, 1, s[2:3]
	v_cvt_f64_u32_e32 v[3:4], v3
	s_mov_b64 s[4:5], 0
	global_store_dwordx2 v[1:2], v[3:4], off
.LBB87_3001:
	s_andn2_b64 vcc, exec, s[4:5]
	s_cbranch_vccnz .LBB87_3003
; %bb.3002:
	v_cndmask_b32_e64 v3, 0, 1.0, s[2:3]
	global_store_dword v[1:2], v3, off
.LBB87_3003:
	s_mov_b64 s[4:5], 0
.LBB87_3004:
	s_andn2_b64 vcc, exec, s[4:5]
	s_cbranch_vccnz .LBB87_3006
; %bb.3005:
	v_cndmask_b32_e64 v3, 0, 1.0, s[2:3]
	v_cvt_f16_f32_e32 v3, v3
	global_store_short v[1:2], v3, off
.LBB87_3006:
	s_mov_b64 s[4:5], 0
.LBB87_3007:
	s_andn2_b64 vcc, exec, s[4:5]
	s_cbranch_vccnz .LBB87_3023
; %bb.3008:
	s_cmp_lt_i32 s23, 2
	s_mov_b64 s[4:5], -1
	s_cbranch_scc1 .LBB87_3018
; %bb.3009:
	s_cmp_lt_i32 s23, 3
	s_cbranch_scc1 .LBB87_3015
; %bb.3010:
	s_cmp_gt_i32 s23, 3
	s_cbranch_scc0 .LBB87_3012
; %bb.3011:
	s_mov_b32 s4, 0
	v_cndmask_b32_e64 v3, 0, 1, s[2:3]
	v_mov_b32_e32 v4, s4
	global_store_dwordx2 v[1:2], v[3:4], off
	s_mov_b64 s[4:5], 0
.LBB87_3012:
	s_andn2_b64 vcc, exec, s[4:5]
	s_cbranch_vccnz .LBB87_3014
; %bb.3013:
	v_cndmask_b32_e64 v3, 0, 1, s[2:3]
	global_store_dword v[1:2], v3, off
.LBB87_3014:
	s_mov_b64 s[4:5], 0
.LBB87_3015:
	s_andn2_b64 vcc, exec, s[4:5]
	s_cbranch_vccnz .LBB87_3017
; %bb.3016:
	v_cndmask_b32_e64 v3, 0, 1, s[2:3]
	global_store_short v[1:2], v3, off
.LBB87_3017:
	s_mov_b64 s[4:5], 0
.LBB87_3018:
	s_andn2_b64 vcc, exec, s[4:5]
	s_cbranch_vccnz .LBB87_3023
; %bb.3019:
	s_cmp_gt_i32 s23, 0
	s_mov_b64 s[4:5], -1
	s_cbranch_scc0 .LBB87_3021
; %bb.3020:
	v_cndmask_b32_e64 v3, 0, 1, s[2:3]
	global_store_byte v[1:2], v3, off
	s_mov_b64 s[4:5], 0
.LBB87_3021:
	s_andn2_b64 vcc, exec, s[4:5]
	s_cbranch_vccnz .LBB87_3023
; %bb.3022:
	v_cndmask_b32_e64 v3, 0, 1, s[2:3]
	global_store_byte v[1:2], v3, off
.LBB87_3023:
	s_mov_b64 s[16:17], -1
.LBB87_3024:
	s_andn2_b64 vcc, exec, s[16:17]
	s_cbranch_vccnz .LBB87_3101
; %bb.3025:
	v_cmp_eq_f64_e32 vcc, v[21:22], v[23:24]
	s_cmp_lt_i32 s23, 11
	v_cndmask_b32_e64 v1, 0, 1, vcc
	v_cmp_neq_f64_e32 vcc, v[21:22], v[23:24]
	v_cndmask_b32_e64 v2, 0, 1, vcc
	v_cndmask_b32_e64 v1, v2, v1, s[0:1]
	v_and_b32_e32 v1, 1, v1
	v_cmp_eq_u32_e64 s[2:3], 1, v1
	v_mov_b32_e32 v1, s9
	v_add_co_u32_e32 v0, vcc, s8, v0
	v_addc_co_u32_e32 v1, vcc, 0, v1, vcc
	s_cbranch_scc1 .LBB87_3146
; %bb.3026:
	s_mov_b64 s[8:9], -1
	s_mov_b64 s[4:5], 0
	s_cmp_gt_i32 s23, 25
	s_mov_b64 s[0:1], 0
	s_cbranch_scc0 .LBB87_3059
; %bb.3027:
	s_cmp_gt_i32 s23, 28
	s_cbranch_scc0 .LBB87_3043
; %bb.3028:
	s_cmp_gt_i32 s23, 43
	;; [unrolled: 3-line block ×3, first 2 shown]
	s_cbranch_scc0 .LBB87_3033
; %bb.3030:
	s_cmp_eq_u32 s23, 46
	s_mov_b64 s[0:1], -1
	s_cbranch_scc0 .LBB87_3032
; %bb.3031:
	v_cndmask_b32_e64 v2, 0, 1.0, s[2:3]
	v_bfe_u32 v3, v2, 16, 1
	s_movk_i32 s0, 0x7fff
	v_add3_u32 v2, v2, v3, s0
	v_lshrrev_b32_e32 v2, 16, v2
	global_store_dword v[0:1], v2, off
	s_mov_b64 s[0:1], 0
.LBB87_3032:
	s_mov_b64 s[8:9], 0
.LBB87_3033:
	s_and_b64 vcc, exec, s[8:9]
	s_cbranch_vccz .LBB87_3038
; %bb.3034:
	s_cmp_eq_u32 s23, 44
	s_mov_b64 s[0:1], -1
	s_cbranch_scc0 .LBB87_3038
; %bb.3035:
	v_cndmask_b32_e64 v3, 0, 1.0, s[2:3]
	v_lshrrev_b32_e32 v2, 23, v3
	s_movk_i32 s0, 0xff
	v_cmp_ne_u32_e32 vcc, s0, v2
	v_mov_b32_e32 v4, 0xff
	s_and_saveexec_b64 s[8:9], vcc
; %bb.3036:
	s_mov_b32 s0, 0x3fffff
	v_and_b32_e32 v4, 0x400000, v3
	v_and_or_b32 v3, v3, s0, v2
	v_cmp_ne_u32_e32 vcc, 0, v4
	v_cmp_ne_u32_e64 s[0:1], 0, v3
	s_and_b64 s[0:1], vcc, s[0:1]
	v_cndmask_b32_e64 v3, 0, 1, s[0:1]
	v_add_u32_e32 v4, v2, v3
; %bb.3037:
	s_or_b64 exec, exec, s[8:9]
	s_mov_b64 s[0:1], 0
	global_store_byte v[0:1], v4, off
.LBB87_3038:
	s_mov_b64 s[8:9], 0
.LBB87_3039:
	s_and_b64 vcc, exec, s[8:9]
	s_cbranch_vccz .LBB87_3042
; %bb.3040:
	s_cmp_eq_u32 s23, 29
	s_mov_b64 s[0:1], -1
	s_cbranch_scc0 .LBB87_3042
; %bb.3041:
	s_mov_b32 s0, 0
	v_cndmask_b32_e64 v2, 0, 1, s[2:3]
	v_mov_b32_e32 v3, s0
	global_store_dwordx2 v[0:1], v[2:3], off
	s_mov_b64 s[0:1], 0
.LBB87_3042:
	s_mov_b64 s[8:9], 0
.LBB87_3043:
	s_and_b64 vcc, exec, s[8:9]
	s_cbranch_vccz .LBB87_3058
; %bb.3044:
	s_cmp_lt_i32 s23, 27
	s_mov_b64 s[8:9], -1
	s_cbranch_scc1 .LBB87_3050
; %bb.3045:
	s_cmp_gt_i32 s23, 27
	v_cndmask_b32_e64 v2, 0, 1, s[2:3]
	s_cbranch_scc0 .LBB87_3047
; %bb.3046:
	global_store_dword v[0:1], v2, off
	s_mov_b64 s[8:9], 0
.LBB87_3047:
	s_andn2_b64 vcc, exec, s[8:9]
	s_cbranch_vccnz .LBB87_3049
; %bb.3048:
	global_store_short v[0:1], v2, off
.LBB87_3049:
	s_mov_b64 s[8:9], 0
.LBB87_3050:
	s_andn2_b64 vcc, exec, s[8:9]
	s_cbranch_vccnz .LBB87_3058
; %bb.3051:
	v_cndmask_b32_e64 v3, 0, 1.0, s[2:3]
	s_mov_b32 s8, 0x43800000
	v_cmp_gt_u32_e32 vcc, s8, v3
	v_mov_b32_e32 v4, 0x80
	s_and_saveexec_b64 s[8:9], vcc
	s_cbranch_execz .LBB87_3057
; %bb.3052:
	s_mov_b32 s10, 0x3bffffff
	v_cmp_lt_u32_e32 vcc, s10, v3
	s_mov_b64 s[10:11], 0
                                        ; implicit-def: $vgpr2
	s_and_saveexec_b64 s[16:17], vcc
	s_xor_b64 s[16:17], exec, s[16:17]
	s_cbranch_execz .LBB87_3163
; %bb.3053:
	v_bfe_u32 v2, v3, 20, 1
	s_mov_b32 s18, 0x487ffff
	v_add3_u32 v2, v3, v2, s18
	s_mov_b64 s[10:11], exec
	v_lshrrev_b32_e32 v2, 20, v2
                                        ; implicit-def: $vgpr3
	s_andn2_saveexec_b64 s[16:17], s[16:17]
	s_cbranch_execnz .LBB87_3164
.LBB87_3054:
	s_or_b64 exec, exec, s[16:17]
	v_mov_b32_e32 v4, 0
	s_and_saveexec_b64 s[16:17], s[10:11]
.LBB87_3055:
	v_mov_b32_e32 v4, v2
.LBB87_3056:
	s_or_b64 exec, exec, s[16:17]
.LBB87_3057:
	s_or_b64 exec, exec, s[8:9]
	global_store_byte v[0:1], v4, off
.LBB87_3058:
	s_mov_b64 s[8:9], 0
.LBB87_3059:
	s_and_b64 vcc, exec, s[8:9]
	s_cbranch_vccz .LBB87_3099
; %bb.3060:
	s_cmp_gt_i32 s23, 22
	s_mov_b64 s[4:5], -1
	s_cbranch_scc0 .LBB87_3092
; %bb.3061:
	s_cmp_lt_i32 s23, 24
	s_cbranch_scc1 .LBB87_3081
; %bb.3062:
	s_cmp_gt_i32 s23, 24
	s_cbranch_scc0 .LBB87_3070
; %bb.3063:
	v_cndmask_b32_e64 v3, 0, 1.0, s[2:3]
	s_mov_b32 s4, 0x47800000
	v_cmp_gt_u32_e32 vcc, s4, v3
	v_mov_b32_e32 v4, 0x80
	s_and_saveexec_b64 s[4:5], vcc
	s_cbranch_execz .LBB87_3069
; %bb.3064:
	s_mov_b32 s8, 0x37ffffff
	v_cmp_lt_u32_e32 vcc, s8, v3
	s_mov_b64 s[8:9], 0
                                        ; implicit-def: $vgpr2
	s_and_saveexec_b64 s[10:11], vcc
	s_xor_b64 s[10:11], exec, s[10:11]
	s_cbranch_execz .LBB87_3166
; %bb.3065:
	v_bfe_u32 v2, v3, 21, 1
	s_mov_b32 s16, 0x88fffff
	v_add3_u32 v2, v3, v2, s16
	s_mov_b64 s[8:9], exec
	v_lshrrev_b32_e32 v2, 21, v2
                                        ; implicit-def: $vgpr3
	s_andn2_saveexec_b64 s[10:11], s[10:11]
	s_cbranch_execnz .LBB87_3167
.LBB87_3066:
	s_or_b64 exec, exec, s[10:11]
	v_mov_b32_e32 v4, 0
	s_and_saveexec_b64 s[10:11], s[8:9]
.LBB87_3067:
	v_mov_b32_e32 v4, v2
.LBB87_3068:
	s_or_b64 exec, exec, s[10:11]
.LBB87_3069:
	s_or_b64 exec, exec, s[4:5]
	s_mov_b64 s[4:5], 0
	global_store_byte v[0:1], v4, off
.LBB87_3070:
	s_and_b64 vcc, exec, s[4:5]
	s_cbranch_vccz .LBB87_3080
; %bb.3071:
	v_cndmask_b32_e64 v2, 0, 1.0, s[2:3]
	s_mov_b32 s4, 0x43f00000
	v_cmp_gt_u32_e32 vcc, s4, v2
                                        ; implicit-def: $vgpr3
	s_and_saveexec_b64 s[4:5], vcc
	s_xor_b64 s[4:5], exec, s[4:5]
	s_cbranch_execz .LBB87_3077
; %bb.3072:
	s_mov_b32 s8, 0x3c7fffff
	v_cmp_lt_u32_e32 vcc, s8, v2
                                        ; implicit-def: $vgpr3
	s_and_saveexec_b64 s[8:9], vcc
	s_xor_b64 s[8:9], exec, s[8:9]
; %bb.3073:
	v_bfe_u32 v3, v2, 20, 1
	s_mov_b32 s10, 0x407ffff
	v_add3_u32 v2, v2, v3, s10
	v_lshrrev_b32_e32 v3, 20, v2
	v_and_b32_e32 v2, 0xff00000, v2
	s_mov_b32 s10, 0x7f00000
	v_mov_b32_e32 v4, 0x7e
	v_cmp_ne_u32_e32 vcc, s10, v2
	v_cndmask_b32_e32 v3, v4, v3, vcc
                                        ; implicit-def: $vgpr2
; %bb.3074:
	s_andn2_saveexec_b64 s[8:9], s[8:9]
; %bb.3075:
	v_add_f32_e32 v3, 0x46800000, v2
; %bb.3076:
	s_or_b64 exec, exec, s[8:9]
                                        ; implicit-def: $vgpr2
.LBB87_3077:
	s_andn2_saveexec_b64 s[4:5], s[4:5]
; %bb.3078:
	s_mov_b32 s8, 0x7f800000
	v_mov_b32_e32 v3, 0x7e
	v_mov_b32_e32 v4, 0x7f
	v_cmp_lt_u32_e32 vcc, s8, v2
	v_cndmask_b32_e32 v3, v3, v4, vcc
; %bb.3079:
	s_or_b64 exec, exec, s[4:5]
	global_store_byte v[0:1], v3, off
.LBB87_3080:
	s_mov_b64 s[4:5], 0
.LBB87_3081:
	s_andn2_b64 vcc, exec, s[4:5]
	s_cbranch_vccnz .LBB87_3091
; %bb.3082:
	v_cndmask_b32_e64 v2, 0, 1.0, s[2:3]
	s_mov_b32 s4, 0x47800000
	v_cmp_gt_u32_e32 vcc, s4, v2
                                        ; implicit-def: $vgpr3
	s_and_saveexec_b64 s[4:5], vcc
	s_xor_b64 s[4:5], exec, s[4:5]
	s_cbranch_execz .LBB87_3088
; %bb.3083:
	s_mov_b32 s8, 0x387fffff
	v_cmp_lt_u32_e32 vcc, s8, v2
                                        ; implicit-def: $vgpr3
	s_and_saveexec_b64 s[8:9], vcc
	s_xor_b64 s[8:9], exec, s[8:9]
; %bb.3084:
	v_bfe_u32 v3, v2, 21, 1
	s_mov_b32 s10, 0x80fffff
	v_add3_u32 v2, v2, v3, s10
	v_lshrrev_b32_e32 v3, 21, v2
                                        ; implicit-def: $vgpr2
; %bb.3085:
	s_andn2_saveexec_b64 s[8:9], s[8:9]
; %bb.3086:
	v_add_f32_e32 v3, 0x43000000, v2
; %bb.3087:
	s_or_b64 exec, exec, s[8:9]
                                        ; implicit-def: $vgpr2
.LBB87_3088:
	s_andn2_saveexec_b64 s[4:5], s[4:5]
; %bb.3089:
	s_mov_b32 s8, 0x7f800000
	v_mov_b32_e32 v3, 0x7c
	v_mov_b32_e32 v4, 0x7f
	v_cmp_lt_u32_e32 vcc, s8, v2
	v_cndmask_b32_e32 v3, v3, v4, vcc
; %bb.3090:
	s_or_b64 exec, exec, s[4:5]
	global_store_byte v[0:1], v3, off
.LBB87_3091:
	s_mov_b64 s[4:5], 0
.LBB87_3092:
	s_andn2_b64 vcc, exec, s[4:5]
	s_mov_b64 s[4:5], 0
	s_cbranch_vccnz .LBB87_3099
; %bb.3093:
	s_cmp_gt_i32 s23, 14
	s_mov_b64 s[8:9], -1
	s_cbranch_scc0 .LBB87_3097
; %bb.3094:
	s_cmp_eq_u32 s23, 15
	s_mov_b64 s[0:1], -1
	s_cbranch_scc0 .LBB87_3096
; %bb.3095:
	v_cndmask_b32_e64 v2, 0, 1.0, s[2:3]
	v_bfe_u32 v3, v2, 16, 1
	s_movk_i32 s0, 0x7fff
	v_add3_u32 v2, v2, v3, s0
	global_store_short_d16_hi v[0:1], v2, off
	s_mov_b64 s[0:1], 0
.LBB87_3096:
	s_mov_b64 s[8:9], 0
.LBB87_3097:
	s_and_b64 vcc, exec, s[8:9]
	s_cbranch_vccz .LBB87_3099
; %bb.3098:
	s_cmp_lg_u32 s23, 11
	s_mov_b64 s[4:5], -1
	s_cselect_b64 s[0:1], -1, 0
.LBB87_3099:
	s_and_b64 vcc, exec, s[0:1]
	s_cbranch_vccnz .LBB87_3165
.LBB87_3100:
	s_mov_b64 s[0:1], 0
	s_branch .LBB87_3102
.LBB87_3101:
	s_mov_b64 s[0:1], 0
	s_mov_b64 s[4:5], 0
                                        ; implicit-def: $sgpr2_sgpr3
                                        ; implicit-def: $vgpr0_vgpr1
                                        ; implicit-def: $sgpr22
.LBB87_3102:
	s_and_b64 s[26:27], s[4:5], exec
	s_andn2_b64 s[4:5], s[6:7], exec
	s_and_b64 s[6:7], s[14:15], exec
	s_and_b64 s[0:1], s[0:1], exec
	s_or_b64 s[6:7], s[4:5], s[6:7]
.LBB87_3103:
	s_or_b64 exec, exec, s[12:13]
	s_and_saveexec_b64 s[4:5], s[6:7]
	s_cbranch_execz .LBB87_3106
; %bb.3104:
	; divergent unreachable
	s_or_b64 exec, exec, s[4:5]
	s_and_saveexec_b64 s[4:5], s[26:27]
	s_xor_b64 s[4:5], exec, s[4:5]
	s_cbranch_execnz .LBB87_3107
.LBB87_3105:
	s_or_b64 exec, exec, s[4:5]
	s_and_saveexec_b64 s[4:5], s[0:1]
	s_cbranch_execnz .LBB87_3108
	s_branch .LBB87_3145
.LBB87_3106:
	s_or_b64 exec, exec, s[4:5]
	s_and_saveexec_b64 s[4:5], s[26:27]
	s_xor_b64 s[4:5], exec, s[4:5]
	s_cbranch_execz .LBB87_3105
.LBB87_3107:
	s_waitcnt vmcnt(0)
	v_cndmask_b32_e64 v2, 0, 1, s[2:3]
	global_store_byte v[0:1], v2, off
	s_or_b64 exec, exec, s[4:5]
	s_and_saveexec_b64 s[4:5], s[0:1]
	s_cbranch_execz .LBB87_3145
.LBB87_3108:
	s_sext_i32_i16 s4, s22
	s_cmp_lt_i32 s4, 5
	s_mov_b64 s[0:1], -1
	s_cbranch_scc1 .LBB87_3129
; %bb.3109:
	s_cmp_lt_i32 s4, 8
	s_cbranch_scc1 .LBB87_3119
; %bb.3110:
	s_cmp_lt_i32 s4, 9
	s_cbranch_scc1 .LBB87_3116
; %bb.3111:
	s_cmp_gt_i32 s4, 9
	s_cbranch_scc0 .LBB87_3113
; %bb.3112:
	s_waitcnt vmcnt(0)
	v_cndmask_b32_e64 v2, 0, 1, s[2:3]
	v_cvt_f64_u32_e32 v[2:3], v2
	v_mov_b32_e32 v4, 0
	v_mov_b32_e32 v5, v4
	s_mov_b64 s[0:1], 0
	global_store_dwordx4 v[0:1], v[2:5], off
.LBB87_3113:
	s_andn2_b64 vcc, exec, s[0:1]
	s_cbranch_vccnz .LBB87_3115
; %bb.3114:
	s_waitcnt vmcnt(0)
	v_cndmask_b32_e64 v2, 0, 1.0, s[2:3]
	v_mov_b32_e32 v3, 0
	global_store_dwordx2 v[0:1], v[2:3], off
.LBB87_3115:
	s_mov_b64 s[0:1], 0
.LBB87_3116:
	s_andn2_b64 vcc, exec, s[0:1]
	s_cbranch_vccnz .LBB87_3118
; %bb.3117:
	s_waitcnt vmcnt(0)
	v_cndmask_b32_e64 v2, 0, 1.0, s[2:3]
	v_cvt_f16_f32_e32 v2, v2
	global_store_dword v[0:1], v2, off
.LBB87_3118:
	s_mov_b64 s[0:1], 0
.LBB87_3119:
	s_andn2_b64 vcc, exec, s[0:1]
	s_cbranch_vccnz .LBB87_3128
; %bb.3120:
	s_sext_i32_i16 s4, s22
	s_cmp_lt_i32 s4, 6
	s_mov_b64 s[0:1], -1
	s_cbranch_scc1 .LBB87_3126
; %bb.3121:
	s_cmp_gt_i32 s4, 6
	s_cbranch_scc0 .LBB87_3123
; %bb.3122:
	s_waitcnt vmcnt(0)
	v_cndmask_b32_e64 v2, 0, 1, s[2:3]
	v_cvt_f64_u32_e32 v[2:3], v2
	s_mov_b64 s[0:1], 0
	global_store_dwordx2 v[0:1], v[2:3], off
.LBB87_3123:
	s_andn2_b64 vcc, exec, s[0:1]
	s_cbranch_vccnz .LBB87_3125
; %bb.3124:
	s_waitcnt vmcnt(0)
	v_cndmask_b32_e64 v2, 0, 1.0, s[2:3]
	global_store_dword v[0:1], v2, off
.LBB87_3125:
	s_mov_b64 s[0:1], 0
.LBB87_3126:
	s_andn2_b64 vcc, exec, s[0:1]
	s_cbranch_vccnz .LBB87_3128
; %bb.3127:
	s_waitcnt vmcnt(0)
	v_cndmask_b32_e64 v2, 0, 1.0, s[2:3]
	v_cvt_f16_f32_e32 v2, v2
	global_store_short v[0:1], v2, off
.LBB87_3128:
	s_mov_b64 s[0:1], 0
.LBB87_3129:
	s_andn2_b64 vcc, exec, s[0:1]
	s_cbranch_vccnz .LBB87_3145
; %bb.3130:
	s_sext_i32_i16 s4, s22
	s_cmp_lt_i32 s4, 2
	s_mov_b64 s[0:1], -1
	s_cbranch_scc1 .LBB87_3140
; %bb.3131:
	s_cmp_lt_i32 s4, 3
	s_cbranch_scc1 .LBB87_3137
; %bb.3132:
	s_cmp_gt_i32 s4, 3
	s_cbranch_scc0 .LBB87_3134
; %bb.3133:
	s_mov_b32 s0, 0
	s_waitcnt vmcnt(0)
	v_cndmask_b32_e64 v2, 0, 1, s[2:3]
	v_mov_b32_e32 v3, s0
	global_store_dwordx2 v[0:1], v[2:3], off
	s_mov_b64 s[0:1], 0
.LBB87_3134:
	s_andn2_b64 vcc, exec, s[0:1]
	s_cbranch_vccnz .LBB87_3136
; %bb.3135:
	s_waitcnt vmcnt(0)
	v_cndmask_b32_e64 v2, 0, 1, s[2:3]
	global_store_dword v[0:1], v2, off
.LBB87_3136:
	s_mov_b64 s[0:1], 0
.LBB87_3137:
	s_andn2_b64 vcc, exec, s[0:1]
	s_cbranch_vccnz .LBB87_3139
; %bb.3138:
	s_waitcnt vmcnt(0)
	v_cndmask_b32_e64 v2, 0, 1, s[2:3]
	global_store_short v[0:1], v2, off
.LBB87_3139:
	s_mov_b64 s[0:1], 0
.LBB87_3140:
	s_andn2_b64 vcc, exec, s[0:1]
	s_cbranch_vccnz .LBB87_3145
; %bb.3141:
	s_sext_i32_i16 s0, s22
	s_cmp_gt_i32 s0, 0
	s_mov_b64 s[0:1], -1
	s_cbranch_scc0 .LBB87_3143
; %bb.3142:
	s_waitcnt vmcnt(0)
	v_cndmask_b32_e64 v2, 0, 1, s[2:3]
	global_store_byte v[0:1], v2, off
	s_mov_b64 s[0:1], 0
.LBB87_3143:
	s_andn2_b64 vcc, exec, s[0:1]
	s_cbranch_vccnz .LBB87_3145
; %bb.3144:
	s_waitcnt vmcnt(0)
	v_cndmask_b32_e64 v2, 0, 1, s[2:3]
	global_store_byte v[0:1], v2, off
	s_endpgm
.LBB87_3145:
	s_endpgm
.LBB87_3146:
	s_mov_b64 s[4:5], 0
	s_mov_b64 s[0:1], -1
	s_branch .LBB87_3102
.LBB87_3147:
	s_trap 2
	s_or_b64 s[14:15], s[14:15], exec
	s_cbranch_execz .LBB87_2616
	s_branch .LBB87_2617
.LBB87_3148:
	s_andn2_saveexec_b64 s[20:21], s[20:21]
	s_cbranch_execz .LBB87_2696
.LBB87_3149:
	v_add_f32_e32 v1, 0x46000000, v3
	v_and_b32_e32 v1, 0xff, v1
	v_cmp_ne_u32_e32 vcc, 0, v1
	s_andn2_b64 s[18:19], s[18:19], exec
	s_and_b64 s[24:25], vcc, exec
	s_or_b64 s[18:19], s[18:19], s[24:25]
	s_or_b64 exec, exec, s[20:21]
	v_mov_b32_e32 v7, 0
	s_and_saveexec_b64 s[20:21], s[18:19]
	s_cbranch_execnz .LBB87_2697
	s_branch .LBB87_2698
.LBB87_3150:
	s_trap 2
	s_or_b64 s[14:15], s[14:15], exec
	s_cbranch_execz .LBB87_2744
	s_branch .LBB87_2745
.LBB87_3151:
	s_andn2_saveexec_b64 s[18:19], s[18:19]
	s_cbranch_execz .LBB87_2709
.LBB87_3152:
	v_add_f32_e32 v1, 0x42800000, v3
	v_and_b32_e32 v1, 0xff, v1
	v_cmp_ne_u32_e32 vcc, 0, v1
	s_andn2_b64 s[16:17], s[16:17], exec
	s_and_b64 s[20:21], vcc, exec
	s_or_b64 s[16:17], s[16:17], s[20:21]
	s_or_b64 exec, exec, s[18:19]
	v_mov_b32_e32 v7, 0
	s_and_saveexec_b64 s[18:19], s[16:17]
	s_cbranch_execnz .LBB87_2710
	s_branch .LBB87_2711
.LBB87_3153:
	s_andn2_saveexec_b64 s[20:21], s[20:21]
	s_cbranch_execz .LBB87_2815
.LBB87_3154:
	v_add_f32_e32 v1, 0x46000000, v5
	v_and_b32_e32 v1, 0xff, v1
	v_cmp_ne_u32_e32 vcc, 0, v1
	s_andn2_b64 s[18:19], s[18:19], exec
	s_and_b64 s[24:25], vcc, exec
	s_or_b64 s[18:19], s[18:19], s[24:25]
	s_or_b64 exec, exec, s[20:21]
	v_mov_b32_e32 v6, 0
	s_and_saveexec_b64 s[20:21], s[18:19]
	s_cbranch_execnz .LBB87_2816
	s_branch .LBB87_2817
.LBB87_3155:
	s_trap 2
	s_or_b64 s[14:15], s[14:15], exec
	s_cbranch_execz .LBB87_2863
	s_branch .LBB87_2864
.LBB87_3156:
	s_andn2_saveexec_b64 s[18:19], s[18:19]
	s_cbranch_execz .LBB87_2828
.LBB87_3157:
	v_add_f32_e32 v1, 0x42800000, v5
	v_and_b32_e32 v1, 0xff, v1
	v_cmp_ne_u32_e32 vcc, 0, v1
	s_andn2_b64 s[16:17], s[16:17], exec
	s_and_b64 s[20:21], vcc, exec
	s_or_b64 s[16:17], s[16:17], s[20:21]
	s_or_b64 exec, exec, s[18:19]
	v_mov_b32_e32 v6, 0
	s_and_saveexec_b64 s[18:19], s[16:17]
	s_cbranch_execnz .LBB87_2829
	s_branch .LBB87_2830
.LBB87_3158:
	s_andn2_saveexec_b64 s[20:21], s[20:21]
	s_cbranch_execz .LBB87_2934
.LBB87_3159:
	v_add_f32_e32 v3, 0x46000000, v4
	v_and_b32_e32 v3, 0xff, v3
	v_cmp_ne_u32_e32 vcc, 0, v3
	s_andn2_b64 s[18:19], s[18:19], exec
	s_and_b64 s[24:25], vcc, exec
	s_or_b64 s[18:19], s[18:19], s[24:25]
	s_or_b64 exec, exec, s[20:21]
	v_mov_b32_e32 v5, 0
	s_and_saveexec_b64 s[20:21], s[18:19]
	s_cbranch_execnz .LBB87_2935
	s_branch .LBB87_2936
.LBB87_3160:
	s_trap 2
	s_or_b64 s[14:15], s[14:15], exec
	s_cbranch_execz .LBB87_2982
	s_branch .LBB87_2983
.LBB87_3161:
	s_andn2_saveexec_b64 s[18:19], s[18:19]
	s_cbranch_execz .LBB87_2947
.LBB87_3162:
	v_add_f32_e32 v3, 0x42800000, v4
	v_and_b32_e32 v3, 0xff, v3
	v_cmp_ne_u32_e32 vcc, 0, v3
	s_andn2_b64 s[16:17], s[16:17], exec
	s_and_b64 s[20:21], vcc, exec
	s_or_b64 s[16:17], s[16:17], s[20:21]
	s_or_b64 exec, exec, s[18:19]
	v_mov_b32_e32 v5, 0
	s_and_saveexec_b64 s[18:19], s[16:17]
	s_cbranch_execnz .LBB87_2948
	s_branch .LBB87_2949
.LBB87_3163:
	s_andn2_saveexec_b64 s[16:17], s[16:17]
	s_cbranch_execz .LBB87_3054
.LBB87_3164:
	v_add_f32_e32 v2, 0x46000000, v3
	v_and_b32_e32 v2, 0xff, v2
	v_cmp_ne_u32_e32 vcc, 0, v2
	s_andn2_b64 s[10:11], s[10:11], exec
	s_and_b64 s[18:19], vcc, exec
	s_or_b64 s[10:11], s[10:11], s[18:19]
	s_or_b64 exec, exec, s[16:17]
	v_mov_b32_e32 v4, 0
	s_and_saveexec_b64 s[16:17], s[10:11]
	s_cbranch_execnz .LBB87_3055
	s_branch .LBB87_3056
.LBB87_3165:
	s_mov_b64 s[4:5], 0
	s_or_b64 s[14:15], s[14:15], exec
	s_trap 2
	s_branch .LBB87_3100
.LBB87_3166:
	s_andn2_saveexec_b64 s[10:11], s[10:11]
	s_cbranch_execz .LBB87_3066
.LBB87_3167:
	v_add_f32_e32 v2, 0x42800000, v3
	v_and_b32_e32 v2, 0xff, v2
	v_cmp_ne_u32_e32 vcc, 0, v2
	s_andn2_b64 s[8:9], s[8:9], exec
	s_and_b64 s[16:17], vcc, exec
	s_or_b64 s[8:9], s[8:9], s[16:17]
	s_or_b64 exec, exec, s[10:11]
	v_mov_b32_e32 v4, 0
	s_and_saveexec_b64 s[10:11], s[8:9]
	s_cbranch_execnz .LBB87_3067
	s_branch .LBB87_3068
	.section	.rodata,"a",@progbits
	.p2align	6, 0x0
	.amdhsa_kernel _ZN2at6native32elementwise_kernel_manual_unrollILi128ELi4EZNS0_15gpu_kernel_implINS0_13BinaryFunctorIddbNS0_12_GLOBAL__N_116CompareEqFunctorIdEEEEEEvRNS_18TensorIteratorBaseERKT_EUlibE0_EEviT1_
		.amdhsa_group_segment_fixed_size 0
		.amdhsa_private_segment_fixed_size 0
		.amdhsa_kernarg_size 432
		.amdhsa_user_sgpr_count 6
		.amdhsa_user_sgpr_private_segment_buffer 1
		.amdhsa_user_sgpr_dispatch_ptr 0
		.amdhsa_user_sgpr_queue_ptr 0
		.amdhsa_user_sgpr_kernarg_segment_ptr 1
		.amdhsa_user_sgpr_dispatch_id 0
		.amdhsa_user_sgpr_flat_scratch_init 0
		.amdhsa_user_sgpr_private_segment_size 0
		.amdhsa_uses_dynamic_stack 0
		.amdhsa_system_sgpr_private_segment_wavefront_offset 0
		.amdhsa_system_sgpr_workgroup_id_x 1
		.amdhsa_system_sgpr_workgroup_id_y 0
		.amdhsa_system_sgpr_workgroup_id_z 0
		.amdhsa_system_sgpr_workgroup_info 0
		.amdhsa_system_vgpr_workitem_id 0
		.amdhsa_next_free_vgpr 29
		.amdhsa_next_free_sgpr 80
		.amdhsa_reserve_vcc 1
		.amdhsa_reserve_flat_scratch 0
		.amdhsa_float_round_mode_32 0
		.amdhsa_float_round_mode_16_64 0
		.amdhsa_float_denorm_mode_32 3
		.amdhsa_float_denorm_mode_16_64 3
		.amdhsa_dx10_clamp 1
		.amdhsa_ieee_mode 1
		.amdhsa_fp16_overflow 0
		.amdhsa_exception_fp_ieee_invalid_op 0
		.amdhsa_exception_fp_denorm_src 0
		.amdhsa_exception_fp_ieee_div_zero 0
		.amdhsa_exception_fp_ieee_overflow 0
		.amdhsa_exception_fp_ieee_underflow 0
		.amdhsa_exception_fp_ieee_inexact 0
		.amdhsa_exception_int_div_zero 0
	.end_amdhsa_kernel
	.section	.text._ZN2at6native32elementwise_kernel_manual_unrollILi128ELi4EZNS0_15gpu_kernel_implINS0_13BinaryFunctorIddbNS0_12_GLOBAL__N_116CompareEqFunctorIdEEEEEEvRNS_18TensorIteratorBaseERKT_EUlibE0_EEviT1_,"axG",@progbits,_ZN2at6native32elementwise_kernel_manual_unrollILi128ELi4EZNS0_15gpu_kernel_implINS0_13BinaryFunctorIddbNS0_12_GLOBAL__N_116CompareEqFunctorIdEEEEEEvRNS_18TensorIteratorBaseERKT_EUlibE0_EEviT1_,comdat
.Lfunc_end87:
	.size	_ZN2at6native32elementwise_kernel_manual_unrollILi128ELi4EZNS0_15gpu_kernel_implINS0_13BinaryFunctorIddbNS0_12_GLOBAL__N_116CompareEqFunctorIdEEEEEEvRNS_18TensorIteratorBaseERKT_EUlibE0_EEviT1_, .Lfunc_end87-_ZN2at6native32elementwise_kernel_manual_unrollILi128ELi4EZNS0_15gpu_kernel_implINS0_13BinaryFunctorIddbNS0_12_GLOBAL__N_116CompareEqFunctorIdEEEEEEvRNS_18TensorIteratorBaseERKT_EUlibE0_EEviT1_
                                        ; -- End function
	.set _ZN2at6native32elementwise_kernel_manual_unrollILi128ELi4EZNS0_15gpu_kernel_implINS0_13BinaryFunctorIddbNS0_12_GLOBAL__N_116CompareEqFunctorIdEEEEEEvRNS_18TensorIteratorBaseERKT_EUlibE0_EEviT1_.num_vgpr, 29
	.set _ZN2at6native32elementwise_kernel_manual_unrollILi128ELi4EZNS0_15gpu_kernel_implINS0_13BinaryFunctorIddbNS0_12_GLOBAL__N_116CompareEqFunctorIdEEEEEEvRNS_18TensorIteratorBaseERKT_EUlibE0_EEviT1_.num_agpr, 0
	.set _ZN2at6native32elementwise_kernel_manual_unrollILi128ELi4EZNS0_15gpu_kernel_implINS0_13BinaryFunctorIddbNS0_12_GLOBAL__N_116CompareEqFunctorIdEEEEEEvRNS_18TensorIteratorBaseERKT_EUlibE0_EEviT1_.numbered_sgpr, 80
	.set _ZN2at6native32elementwise_kernel_manual_unrollILi128ELi4EZNS0_15gpu_kernel_implINS0_13BinaryFunctorIddbNS0_12_GLOBAL__N_116CompareEqFunctorIdEEEEEEvRNS_18TensorIteratorBaseERKT_EUlibE0_EEviT1_.num_named_barrier, 0
	.set _ZN2at6native32elementwise_kernel_manual_unrollILi128ELi4EZNS0_15gpu_kernel_implINS0_13BinaryFunctorIddbNS0_12_GLOBAL__N_116CompareEqFunctorIdEEEEEEvRNS_18TensorIteratorBaseERKT_EUlibE0_EEviT1_.private_seg_size, 0
	.set _ZN2at6native32elementwise_kernel_manual_unrollILi128ELi4EZNS0_15gpu_kernel_implINS0_13BinaryFunctorIddbNS0_12_GLOBAL__N_116CompareEqFunctorIdEEEEEEvRNS_18TensorIteratorBaseERKT_EUlibE0_EEviT1_.uses_vcc, 1
	.set _ZN2at6native32elementwise_kernel_manual_unrollILi128ELi4EZNS0_15gpu_kernel_implINS0_13BinaryFunctorIddbNS0_12_GLOBAL__N_116CompareEqFunctorIdEEEEEEvRNS_18TensorIteratorBaseERKT_EUlibE0_EEviT1_.uses_flat_scratch, 0
	.set _ZN2at6native32elementwise_kernel_manual_unrollILi128ELi4EZNS0_15gpu_kernel_implINS0_13BinaryFunctorIddbNS0_12_GLOBAL__N_116CompareEqFunctorIdEEEEEEvRNS_18TensorIteratorBaseERKT_EUlibE0_EEviT1_.has_dyn_sized_stack, 0
	.set _ZN2at6native32elementwise_kernel_manual_unrollILi128ELi4EZNS0_15gpu_kernel_implINS0_13BinaryFunctorIddbNS0_12_GLOBAL__N_116CompareEqFunctorIdEEEEEEvRNS_18TensorIteratorBaseERKT_EUlibE0_EEviT1_.has_recursion, 0
	.set _ZN2at6native32elementwise_kernel_manual_unrollILi128ELi4EZNS0_15gpu_kernel_implINS0_13BinaryFunctorIddbNS0_12_GLOBAL__N_116CompareEqFunctorIdEEEEEEvRNS_18TensorIteratorBaseERKT_EUlibE0_EEviT1_.has_indirect_call, 0
	.section	.AMDGPU.csdata,"",@progbits
; Kernel info:
; codeLenInByte = 50272
; TotalNumSgprs: 84
; NumVgprs: 29
; ScratchSize: 0
; MemoryBound: 1
; FloatMode: 240
; IeeeMode: 1
; LDSByteSize: 0 bytes/workgroup (compile time only)
; SGPRBlocks: 10
; VGPRBlocks: 7
; NumSGPRsForWavesPerEU: 84
; NumVGPRsForWavesPerEU: 29
; Occupancy: 8
; WaveLimiterHint : 1
; COMPUTE_PGM_RSRC2:SCRATCH_EN: 0
; COMPUTE_PGM_RSRC2:USER_SGPR: 6
; COMPUTE_PGM_RSRC2:TRAP_HANDLER: 0
; COMPUTE_PGM_RSRC2:TGID_X_EN: 1
; COMPUTE_PGM_RSRC2:TGID_Y_EN: 0
; COMPUTE_PGM_RSRC2:TGID_Z_EN: 0
; COMPUTE_PGM_RSRC2:TIDIG_COMP_CNT: 0
	.section	.text._ZN2at6native29vectorized_elementwise_kernelILi16ENS0_13AUnaryFunctorIddbNS0_12_GLOBAL__N_116CompareEqFunctorIdEEEESt5arrayIPcLm2EEEEviT0_T1_,"axG",@progbits,_ZN2at6native29vectorized_elementwise_kernelILi16ENS0_13AUnaryFunctorIddbNS0_12_GLOBAL__N_116CompareEqFunctorIdEEEESt5arrayIPcLm2EEEEviT0_T1_,comdat
	.globl	_ZN2at6native29vectorized_elementwise_kernelILi16ENS0_13AUnaryFunctorIddbNS0_12_GLOBAL__N_116CompareEqFunctorIdEEEESt5arrayIPcLm2EEEEviT0_T1_ ; -- Begin function _ZN2at6native29vectorized_elementwise_kernelILi16ENS0_13AUnaryFunctorIddbNS0_12_GLOBAL__N_116CompareEqFunctorIdEEEESt5arrayIPcLm2EEEEviT0_T1_
	.p2align	8
	.type	_ZN2at6native29vectorized_elementwise_kernelILi16ENS0_13AUnaryFunctorIddbNS0_12_GLOBAL__N_116CompareEqFunctorIdEEEESt5arrayIPcLm2EEEEviT0_T1_,@function
_ZN2at6native29vectorized_elementwise_kernelILi16ENS0_13AUnaryFunctorIddbNS0_12_GLOBAL__N_116CompareEqFunctorIdEEEESt5arrayIPcLm2EEEEviT0_T1_: ; @_ZN2at6native29vectorized_elementwise_kernelILi16ENS0_13AUnaryFunctorIddbNS0_12_GLOBAL__N_116CompareEqFunctorIdEEEESt5arrayIPcLm2EEEEviT0_T1_
; %bb.0:
	s_load_dword s0, s[4:5], 0x0
	s_load_dword s27, s[4:5], 0x8
	s_load_dwordx4 s[16:19], s[4:5], 0x10
	s_load_dwordx2 s[22:23], s[4:5], 0x20
	s_lshl_b32 s20, s6, 12
	s_waitcnt lgkmcnt(0)
	s_sub_i32 s26, s0, s20
	s_cmpk_gt_i32 s26, 0xfff
	s_mov_b64 s[0:1], -1
	s_cbranch_scc0 .LBB88_2
; %bb.1:
	s_ashr_i32 s21, s20, 31
	s_lshl_b64 s[0:1], s[20:21], 3
	s_add_u32 s0, s22, s0
	s_addc_u32 s1, s23, s1
	v_lshlrev_b32_e32 v29, 7, v0
	global_load_dwordx4 v[1:4], v29, s[0:1] offset:16
	global_load_dwordx4 v[5:8], v29, s[0:1] offset:32
	;; [unrolled: 1-line block ×3, first 2 shown]
	global_load_dwordx4 v[13:16], v29, s[0:1]
	global_load_dwordx4 v[17:20], v29, s[0:1] offset:80
	global_load_dwordx4 v[21:24], v29, s[0:1] offset:64
	;; [unrolled: 1-line block ×3, first 2 shown]
	s_cmp_eq_u32 s27, 0
	global_load_dwordx4 v[29:32], v29, s[0:1] offset:96
	v_mov_b32_e32 v34, 1
	v_lshlrev_b32_e32 v33, 4, v0
	s_waitcnt vmcnt(7)
	v_cmp_eq_f64_e64 s[0:1], s[16:17], v[1:2]
	v_cmp_eq_f64_e32 vcc, s[16:17], v[3:4]
	v_cmp_neq_f64_e64 s[2:3], s[16:17], v[1:2]
	s_waitcnt vmcnt(6)
	v_cmp_eq_f64_e64 s[4:5], s[16:17], v[5:6]
	v_cmp_neq_f64_e64 s[10:11], s[16:17], v[5:6]
	s_waitcnt vmcnt(4)
	v_cmp_eq_f64_e64 s[8:9], s[16:17], v[13:14]
	v_cmp_neq_f64_e64 s[14:15], s[16:17], v[13:14]
	v_cmp_eq_f64_e64 s[6:7], s[16:17], v[9:10]
	v_cmp_neq_f64_e64 s[12:13], s[16:17], v[9:10]
	v_cndmask_b32_e64 v1, 0, 1, vcc
	v_cmp_neq_f64_e32 vcc, s[16:17], v[3:4]
	v_cndmask_b32_e64 v3, 0, 1, s[0:1]
	v_cmp_eq_f64_e64 s[0:1], s[16:17], v[15:16]
	v_cndmask_b32_e64 v4, 0, 1, s[2:3]
	s_waitcnt vmcnt(3)
	v_cmp_neq_f64_e64 s[2:3], s[16:17], v[17:18]
	v_cndmask_b32_e64 v9, 0, 1, s[8:9]
	v_cndmask_b32_e64 v10, 0, 1, s[14:15]
	;; [unrolled: 1-line block ×3, first 2 shown]
	v_cndmask_b32_e64 v2, 0, 1, vcc
	s_cselect_b64 vcc, -1, 0
	v_cndmask_b32_e64 v5, 0, 1, s[0:1]
	v_cmp_neq_f64_e64 s[0:1], s[16:17], v[15:16]
	v_cndmask_b32_e32 v1, v2, v1, vcc
	v_cndmask_b32_e32 v3, v4, v3, vcc
	v_and_b32_e32 v3, 1, v3
	v_and_b32_sdwa v1, v1, v34 dst_sel:BYTE_1 dst_unused:UNUSED_PAD src0_sel:DWORD src1_sel:DWORD
	v_or_b32_sdwa v1, v3, v1 dst_sel:WORD_1 dst_unused:UNUSED_PAD src0_sel:DWORD src1_sel:DWORD
	v_cndmask_b32_e64 v16, 0, 1, s[10:11]
	s_add_u32 s24, s18, s20
	v_cndmask_b32_e64 v6, 0, 1, s[0:1]
	v_cmp_eq_f64_e64 s[0:1], s[16:17], v[11:12]
	v_cndmask_b32_e32 v4, v6, v5, vcc
	v_cndmask_b32_e32 v5, v10, v9, vcc
	v_and_b32_e32 v5, 1, v5
	v_and_b32_sdwa v4, v4, v34 dst_sel:BYTE_1 dst_unused:UNUSED_PAD src0_sel:DWORD src1_sel:DWORD
	v_or_b32_e32 v4, v5, v4
	v_or_b32_sdwa v1, v4, v1 dst_sel:DWORD dst_unused:UNUSED_PAD src0_sel:WORD_0 src1_sel:DWORD
	s_addc_u32 s25, s19, s21
	v_cndmask_b32_e64 v13, 0, 1, s[0:1]
	v_cmp_neq_f64_e64 s[0:1], s[16:17], v[11:12]
	v_cndmask_b32_e64 v12, 0, 1, s[6:7]
	v_cndmask_b32_e32 v9, v14, v12, vcc
	v_cndmask_b32_e64 v11, 0, 1, s[0:1]
	v_cmp_eq_f64_e64 s[0:1], s[16:17], v[7:8]
	v_cndmask_b32_e32 v6, v11, v13, vcc
	v_and_b32_sdwa v6, v6, v34 dst_sel:BYTE_1 dst_unused:UNUSED_PAD src0_sel:DWORD src1_sel:DWORD
	v_cndmask_b32_e64 v15, 0, 1, s[0:1]
	v_cmp_neq_f64_e64 s[0:1], s[16:17], v[7:8]
	v_cndmask_b32_e64 v8, 0, 1, s[4:5]
	v_cmp_eq_f64_e64 s[4:5], s[16:17], v[19:20]
	v_cndmask_b32_e32 v8, v16, v8, vcc
	v_cndmask_b32_e64 v7, 0, 1, s[0:1]
	v_cmp_eq_f64_e64 s[0:1], s[16:17], v[17:18]
	v_cndmask_b32_e64 v17, 0, 1, s[4:5]
	v_cmp_neq_f64_e64 s[4:5], s[16:17], v[19:20]
	v_cndmask_b32_e32 v7, v7, v15, vcc
	v_and_b32_sdwa v7, v7, v34 dst_sel:BYTE_1 dst_unused:UNUSED_PAD src0_sel:DWORD src1_sel:DWORD
	v_cndmask_b32_e64 v20, 0, 1, s[2:3]
	v_cndmask_b32_e64 v19, 0, 1, s[0:1]
	s_waitcnt vmcnt(2)
	v_cmp_eq_f64_e64 s[0:1], s[16:17], v[23:24]
	v_cndmask_b32_e64 v18, 0, 1, s[4:5]
	v_cndmask_b32_e32 v10, v18, v17, vcc
	v_cndmask_b32_e32 v11, v20, v19, vcc
	v_cndmask_b32_e64 v35, 0, 1, s[0:1]
	v_cmp_neq_f64_e64 s[0:1], s[16:17], v[23:24]
	v_cndmask_b32_e64 v2, 0, 1, s[0:1]
	v_cmp_eq_f64_e64 s[0:1], s[16:17], v[21:22]
	v_cndmask_b32_e32 v12, v2, v35, vcc
	v_and_b32_e32 v2, 1, v8
	v_and_b32_e32 v8, 1, v9
	v_or_b32_e32 v2, v2, v7
	v_or_b32_sdwa v6, v8, v6 dst_sel:WORD_1 dst_unused:UNUSED_PAD src0_sel:DWORD src1_sel:DWORD
	v_or_b32_sdwa v2, v2, v6 dst_sel:DWORD dst_unused:UNUSED_PAD src0_sel:WORD_0 src1_sel:DWORD
	v_cndmask_b32_e64 v3, 0, 1, s[0:1]
	v_cmp_neq_f64_e64 s[0:1], s[16:17], v[21:22]
	v_cndmask_b32_e64 v4, 0, 1, s[0:1]
	s_waitcnt vmcnt(1)
	v_cmp_eq_f64_e64 s[0:1], s[16:17], v[27:28]
	v_cndmask_b32_e32 v3, v4, v3, vcc
	v_and_b32_e32 v3, 1, v3
	v_cndmask_b32_e64 v4, 0, 1, s[0:1]
	v_cmp_neq_f64_e64 s[0:1], s[16:17], v[27:28]
	v_cndmask_b32_e64 v5, 0, 1, s[0:1]
	v_cmp_eq_f64_e64 s[0:1], s[16:17], v[25:26]
	v_cndmask_b32_e32 v4, v5, v4, vcc
	v_and_b32_sdwa v4, v4, v34 dst_sel:BYTE_1 dst_unused:UNUSED_PAD src0_sel:DWORD src1_sel:DWORD
	v_cndmask_b32_e64 v5, 0, 1, s[0:1]
	v_cmp_neq_f64_e64 s[0:1], s[16:17], v[25:26]
	v_cndmask_b32_e64 v6, 0, 1, s[0:1]
	s_waitcnt vmcnt(0)
	v_cmp_eq_f64_e64 s[0:1], s[16:17], v[31:32]
	v_cndmask_b32_e32 v5, v6, v5, vcc
	v_and_b32_e32 v5, 1, v5
	v_or_b32_sdwa v4, v5, v4 dst_sel:WORD_1 dst_unused:UNUSED_PAD src0_sel:DWORD src1_sel:DWORD
	v_and_b32_sdwa v5, v12, v34 dst_sel:BYTE_1 dst_unused:UNUSED_PAD src0_sel:DWORD src1_sel:DWORD
	v_or_b32_e32 v3, v3, v5
	v_and_b32_e32 v5, 1, v11
	v_cndmask_b32_e64 v6, 0, 1, s[0:1]
	v_cmp_neq_f64_e64 s[0:1], s[16:17], v[31:32]
	v_cndmask_b32_e64 v7, 0, 1, s[0:1]
	v_cmp_eq_f64_e64 s[0:1], s[16:17], v[29:30]
	v_cndmask_b32_e32 v6, v7, v6, vcc
	v_and_b32_sdwa v6, v6, v34 dst_sel:BYTE_1 dst_unused:UNUSED_PAD src0_sel:DWORD src1_sel:DWORD
	v_cndmask_b32_e64 v7, 0, 1, s[0:1]
	v_cmp_neq_f64_e64 s[0:1], s[16:17], v[29:30]
	v_cndmask_b32_e64 v8, 0, 1, s[0:1]
	v_cndmask_b32_e32 v7, v8, v7, vcc
	v_and_b32_e32 v7, 1, v7
	v_or_b32_e32 v6, v7, v6
	v_or_b32_sdwa v4, v6, v4 dst_sel:DWORD dst_unused:UNUSED_PAD src0_sel:WORD_0 src1_sel:DWORD
	v_and_b32_sdwa v6, v10, v34 dst_sel:BYTE_1 dst_unused:UNUSED_PAD src0_sel:DWORD src1_sel:DWORD
	v_or_b32_sdwa v5, v5, v6 dst_sel:WORD_1 dst_unused:UNUSED_PAD src0_sel:DWORD src1_sel:DWORD
	v_or_b32_sdwa v3, v3, v5 dst_sel:DWORD dst_unused:UNUSED_PAD src0_sel:WORD_0 src1_sel:DWORD
	global_store_dwordx4 v33, v[1:4], s[24:25]
	s_mov_b64 s[0:1], 0
.LBB88_2:
	s_andn2_b64 vcc, exec, s[0:1]
	s_cbranch_vccnz .LBB88_52
; %bb.3:
	v_mov_b32_e32 v1, 0
	v_mov_b32_e32 v6, 0
	v_cmp_gt_i32_e32 vcc, s26, v0
	v_mov_b32_e32 v2, 0
	v_or_b32_e32 v3, s20, v0
	v_mov_b32_e32 v7, 0
	v_mov_b32_e32 v34, v0
	s_and_saveexec_b64 s[2:3], vcc
	s_cbranch_execz .LBB88_5
; %bb.4:
	v_mov_b32_e32 v4, 0
	v_lshlrev_b64 v[4:5], 3, v[3:4]
	v_mov_b32_e32 v6, s23
	v_add_co_u32_e64 v4, s[0:1], s22, v4
	v_addc_co_u32_e64 v5, s[0:1], v6, v5, s[0:1]
	global_load_dwordx2 v[6:7], v[4:5], off
	v_or_b32_e32 v34, 0x100, v0
.LBB88_5:
	s_or_b64 exec, exec, s[2:3]
	v_cmp_gt_i32_e64 s[0:1], s26, v34
	s_and_saveexec_b64 s[2:3], s[0:1]
	s_cbranch_execz .LBB88_7
; %bb.6:
	v_add_u32_e32 v1, s20, v34
	v_mov_b32_e32 v2, 0
	v_lshlrev_b64 v[1:2], 3, v[1:2]
	v_mov_b32_e32 v4, s23
	v_add_co_u32_e64 v1, s[0:1], s22, v1
	v_addc_co_u32_e64 v2, s[0:1], v4, v2, s[0:1]
	global_load_dwordx2 v[1:2], v[1:2], off
	v_add_u32_e32 v34, 0x100, v34
.LBB88_7:
	s_or_b64 exec, exec, s[2:3]
	v_mov_b32_e32 v4, 0
	v_mov_b32_e32 v10, 0
	v_mov_b32_e32 v5, 0
	v_mov_b32_e32 v11, 0
	v_cmp_gt_i32_e64 s[0:1], s26, v34
	s_and_saveexec_b64 s[2:3], s[0:1]
	s_cbranch_execz .LBB88_9
; %bb.8:
	v_add_u32_e32 v8, s20, v34
	v_mov_b32_e32 v9, 0
	v_lshlrev_b64 v[8:9], 3, v[8:9]
	v_mov_b32_e32 v10, s23
	v_add_co_u32_e64 v8, s[0:1], s22, v8
	v_addc_co_u32_e64 v9, s[0:1], v10, v9, s[0:1]
	global_load_dwordx2 v[10:11], v[8:9], off
	v_add_u32_e32 v34, 0x100, v34
.LBB88_9:
	s_or_b64 exec, exec, s[2:3]
	v_cmp_gt_i32_e64 s[0:1], s26, v34
	s_and_saveexec_b64 s[2:3], s[0:1]
	s_cbranch_execz .LBB88_11
; %bb.10:
	v_add_u32_e32 v4, s20, v34
	v_mov_b32_e32 v5, 0
	v_lshlrev_b64 v[4:5], 3, v[4:5]
	v_mov_b32_e32 v8, s23
	v_add_co_u32_e64 v4, s[0:1], s22, v4
	v_addc_co_u32_e64 v5, s[0:1], v8, v5, s[0:1]
	global_load_dwordx2 v[4:5], v[4:5], off
	v_add_u32_e32 v34, 0x100, v34
.LBB88_11:
	s_or_b64 exec, exec, s[2:3]
	v_mov_b32_e32 v8, 0
	v_mov_b32_e32 v14, 0
	v_mov_b32_e32 v9, 0
	v_mov_b32_e32 v15, 0
	v_cmp_gt_i32_e64 s[0:1], s26, v34
	s_and_saveexec_b64 s[2:3], s[0:1]
	s_cbranch_execz .LBB88_13
; %bb.12:
	v_add_u32_e32 v12, s20, v34
	v_mov_b32_e32 v13, 0
	v_lshlrev_b64 v[12:13], 3, v[12:13]
	v_mov_b32_e32 v14, s23
	v_add_co_u32_e64 v12, s[0:1], s22, v12
	v_addc_co_u32_e64 v13, s[0:1], v14, v13, s[0:1]
	global_load_dwordx2 v[14:15], v[12:13], off
	v_add_u32_e32 v34, 0x100, v34
.LBB88_13:
	;; [unrolled: 32-line block ×7, first 2 shown]
	s_or_b64 exec, exec, s[2:3]
	v_cmp_gt_i32_e64 s[0:1], s26, v34
	s_and_saveexec_b64 s[2:3], s[0:1]
	s_cbranch_execz .LBB88_35
; %bb.34:
	v_add_u32_e32 v28, s20, v34
	v_mov_b32_e32 v29, 0
	v_lshlrev_b64 v[28:29], 3, v[28:29]
	v_mov_b32_e32 v34, s23
	v_add_co_u32_e64 v28, s[0:1], s22, v28
	v_addc_co_u32_e64 v29, s[0:1], v34, v29, s[0:1]
	global_load_dwordx2 v[28:29], v[28:29], off
.LBB88_35:
	s_or_b64 exec, exec, s[2:3]
	s_cmp_eq_u32 s27, 0
	s_cselect_b64 s[0:1], -1, 0
	s_and_saveexec_b64 s[2:3], vcc
	s_cbranch_execnz .LBB88_53
; %bb.36:
	s_or_b64 exec, exec, s[2:3]
	v_cmp_gt_i32_e32 vcc, s26, v0
	s_and_saveexec_b64 s[2:3], vcc
	s_cbranch_execnz .LBB88_54
.LBB88_37:
	s_or_b64 exec, exec, s[2:3]
	v_cmp_gt_i32_e32 vcc, s26, v0
	s_and_saveexec_b64 s[2:3], vcc
	s_cbranch_execnz .LBB88_55
.LBB88_38:
	s_or_b64 exec, exec, s[2:3]
	v_cmp_gt_i32_e32 vcc, s26, v0
	s_and_saveexec_b64 s[2:3], vcc
	s_cbranch_execnz .LBB88_56
.LBB88_39:
	s_or_b64 exec, exec, s[2:3]
	v_cmp_gt_i32_e32 vcc, s26, v0
	s_and_saveexec_b64 s[2:3], vcc
	s_cbranch_execnz .LBB88_57
.LBB88_40:
	s_or_b64 exec, exec, s[2:3]
	v_cmp_gt_i32_e32 vcc, s26, v0
	s_and_saveexec_b64 s[2:3], vcc
	s_cbranch_execnz .LBB88_58
.LBB88_41:
	s_or_b64 exec, exec, s[2:3]
	v_cmp_gt_i32_e32 vcc, s26, v0
	s_and_saveexec_b64 s[2:3], vcc
	s_cbranch_execnz .LBB88_59
.LBB88_42:
	s_or_b64 exec, exec, s[2:3]
	v_cmp_gt_i32_e32 vcc, s26, v0
	s_and_saveexec_b64 s[2:3], vcc
	s_cbranch_execnz .LBB88_60
.LBB88_43:
	s_or_b64 exec, exec, s[2:3]
	v_cmp_gt_i32_e32 vcc, s26, v0
	s_and_saveexec_b64 s[2:3], vcc
	s_cbranch_execnz .LBB88_61
.LBB88_44:
	s_or_b64 exec, exec, s[2:3]
	v_cmp_gt_i32_e32 vcc, s26, v0
	s_and_saveexec_b64 s[2:3], vcc
	s_cbranch_execnz .LBB88_62
.LBB88_45:
	s_or_b64 exec, exec, s[2:3]
	v_cmp_gt_i32_e32 vcc, s26, v0
	s_and_saveexec_b64 s[2:3], vcc
	s_cbranch_execnz .LBB88_63
.LBB88_46:
	s_or_b64 exec, exec, s[2:3]
	v_cmp_gt_i32_e32 vcc, s26, v0
	s_and_saveexec_b64 s[2:3], vcc
	s_cbranch_execnz .LBB88_64
.LBB88_47:
	s_or_b64 exec, exec, s[2:3]
	v_cmp_gt_i32_e32 vcc, s26, v0
	s_and_saveexec_b64 s[2:3], vcc
	s_cbranch_execnz .LBB88_65
.LBB88_48:
	s_or_b64 exec, exec, s[2:3]
	v_cmp_gt_i32_e32 vcc, s26, v0
	s_and_saveexec_b64 s[2:3], vcc
	s_cbranch_execnz .LBB88_66
.LBB88_49:
	s_or_b64 exec, exec, s[2:3]
	v_cmp_gt_i32_e32 vcc, s26, v0
	s_and_saveexec_b64 s[2:3], vcc
	s_cbranch_execnz .LBB88_67
.LBB88_50:
	s_or_b64 exec, exec, s[2:3]
	v_cmp_gt_i32_e32 vcc, s26, v0
	s_and_saveexec_b64 s[2:3], vcc
	s_cbranch_execz .LBB88_52
.LBB88_51:
	s_waitcnt vmcnt(0)
	v_cmp_eq_f64_e32 vcc, s[16:17], v[28:29]
	v_add_u32_e32 v0, s20, v0
	v_cndmask_b32_e64 v1, 0, 1, vcc
	v_cmp_neq_f64_e32 vcc, s[16:17], v[28:29]
	v_cndmask_b32_e64 v2, 0, 1, vcc
	v_cndmask_b32_e64 v1, v2, v1, s[0:1]
	v_and_b32_e32 v1, 1, v1
	global_store_byte v0, v1, s[18:19]
.LBB88_52:
	s_endpgm
.LBB88_53:
	s_waitcnt vmcnt(0)
	v_cmp_eq_f64_e32 vcc, s[16:17], v[6:7]
	v_or_b32_e32 v0, 0x100, v0
	v_cndmask_b32_e64 v34, 0, 1, vcc
	v_cmp_neq_f64_e32 vcc, s[16:17], v[6:7]
	v_cndmask_b32_e64 v6, 0, 1, vcc
	v_cndmask_b32_e64 v6, v6, v34, s[0:1]
	v_and_b32_e32 v6, 1, v6
	global_store_byte v3, v6, s[18:19]
	s_or_b64 exec, exec, s[2:3]
	v_cmp_gt_i32_e32 vcc, s26, v0
	s_and_saveexec_b64 s[2:3], vcc
	s_cbranch_execz .LBB88_37
.LBB88_54:
	s_waitcnt vmcnt(0)
	v_cmp_eq_f64_e32 vcc, s[16:17], v[1:2]
	v_cndmask_b32_e64 v3, 0, 1, vcc
	v_cmp_neq_f64_e32 vcc, s[16:17], v[1:2]
	v_add_u32_e32 v2, s20, v0
	v_add_u32_e32 v0, 0x100, v0
	v_cndmask_b32_e64 v1, 0, 1, vcc
	v_cndmask_b32_e64 v1, v1, v3, s[0:1]
	v_and_b32_e32 v1, 1, v1
	global_store_byte v2, v1, s[18:19]
	s_or_b64 exec, exec, s[2:3]
	v_cmp_gt_i32_e32 vcc, s26, v0
	s_and_saveexec_b64 s[2:3], vcc
	s_cbranch_execz .LBB88_38
.LBB88_55:
	s_waitcnt vmcnt(0)
	v_cmp_eq_f64_e32 vcc, s[16:17], v[10:11]
	v_cndmask_b32_e64 v1, 0, 1, vcc
	v_cmp_neq_f64_e32 vcc, s[16:17], v[10:11]
	v_cndmask_b32_e64 v2, 0, 1, vcc
	v_cndmask_b32_e64 v1, v2, v1, s[0:1]
	v_and_b32_e32 v1, 1, v1
	v_add_u32_e32 v2, s20, v0
	v_add_u32_e32 v0, 0x100, v0
	global_store_byte v2, v1, s[18:19]
	s_or_b64 exec, exec, s[2:3]
	v_cmp_gt_i32_e32 vcc, s26, v0
	s_and_saveexec_b64 s[2:3], vcc
	s_cbranch_execz .LBB88_39
.LBB88_56:
	s_waitcnt vmcnt(0)
	v_cmp_eq_f64_e32 vcc, s[16:17], v[4:5]
	v_cndmask_b32_e64 v1, 0, 1, vcc
	v_cmp_neq_f64_e32 vcc, s[16:17], v[4:5]
	v_cndmask_b32_e64 v2, 0, 1, vcc
	v_cndmask_b32_e64 v1, v2, v1, s[0:1]
	v_and_b32_e32 v1, 1, v1
	v_add_u32_e32 v2, s20, v0
	v_add_u32_e32 v0, 0x100, v0
	global_store_byte v2, v1, s[18:19]
	s_or_b64 exec, exec, s[2:3]
	v_cmp_gt_i32_e32 vcc, s26, v0
	s_and_saveexec_b64 s[2:3], vcc
	s_cbranch_execz .LBB88_40
.LBB88_57:
	s_waitcnt vmcnt(0)
	v_cmp_eq_f64_e32 vcc, s[16:17], v[14:15]
	v_cndmask_b32_e64 v1, 0, 1, vcc
	v_cmp_neq_f64_e32 vcc, s[16:17], v[14:15]
	v_cndmask_b32_e64 v2, 0, 1, vcc
	v_cndmask_b32_e64 v1, v2, v1, s[0:1]
	v_and_b32_e32 v1, 1, v1
	v_add_u32_e32 v2, s20, v0
	v_add_u32_e32 v0, 0x100, v0
	global_store_byte v2, v1, s[18:19]
	s_or_b64 exec, exec, s[2:3]
	v_cmp_gt_i32_e32 vcc, s26, v0
	s_and_saveexec_b64 s[2:3], vcc
	s_cbranch_execz .LBB88_41
.LBB88_58:
	s_waitcnt vmcnt(0)
	v_cmp_eq_f64_e32 vcc, s[16:17], v[8:9]
	v_cndmask_b32_e64 v1, 0, 1, vcc
	v_cmp_neq_f64_e32 vcc, s[16:17], v[8:9]
	v_cndmask_b32_e64 v2, 0, 1, vcc
	v_cndmask_b32_e64 v1, v2, v1, s[0:1]
	v_and_b32_e32 v1, 1, v1
	v_add_u32_e32 v2, s20, v0
	v_add_u32_e32 v0, 0x100, v0
	global_store_byte v2, v1, s[18:19]
	s_or_b64 exec, exec, s[2:3]
	v_cmp_gt_i32_e32 vcc, s26, v0
	s_and_saveexec_b64 s[2:3], vcc
	s_cbranch_execz .LBB88_42
.LBB88_59:
	s_waitcnt vmcnt(0)
	v_cmp_eq_f64_e32 vcc, s[16:17], v[18:19]
	v_cndmask_b32_e64 v1, 0, 1, vcc
	v_cmp_neq_f64_e32 vcc, s[16:17], v[18:19]
	v_cndmask_b32_e64 v2, 0, 1, vcc
	v_cndmask_b32_e64 v1, v2, v1, s[0:1]
	v_and_b32_e32 v1, 1, v1
	v_add_u32_e32 v2, s20, v0
	v_add_u32_e32 v0, 0x100, v0
	global_store_byte v2, v1, s[18:19]
	s_or_b64 exec, exec, s[2:3]
	v_cmp_gt_i32_e32 vcc, s26, v0
	s_and_saveexec_b64 s[2:3], vcc
	s_cbranch_execz .LBB88_43
.LBB88_60:
	s_waitcnt vmcnt(0)
	v_cmp_eq_f64_e32 vcc, s[16:17], v[12:13]
	v_cndmask_b32_e64 v1, 0, 1, vcc
	v_cmp_neq_f64_e32 vcc, s[16:17], v[12:13]
	v_cndmask_b32_e64 v2, 0, 1, vcc
	v_cndmask_b32_e64 v1, v2, v1, s[0:1]
	v_and_b32_e32 v1, 1, v1
	v_add_u32_e32 v2, s20, v0
	v_add_u32_e32 v0, 0x100, v0
	global_store_byte v2, v1, s[18:19]
	s_or_b64 exec, exec, s[2:3]
	v_cmp_gt_i32_e32 vcc, s26, v0
	s_and_saveexec_b64 s[2:3], vcc
	s_cbranch_execz .LBB88_44
.LBB88_61:
	s_waitcnt vmcnt(0)
	v_cmp_eq_f64_e32 vcc, s[16:17], v[22:23]
	v_cndmask_b32_e64 v1, 0, 1, vcc
	v_cmp_neq_f64_e32 vcc, s[16:17], v[22:23]
	v_cndmask_b32_e64 v2, 0, 1, vcc
	v_cndmask_b32_e64 v1, v2, v1, s[0:1]
	v_and_b32_e32 v1, 1, v1
	v_add_u32_e32 v2, s20, v0
	v_add_u32_e32 v0, 0x100, v0
	global_store_byte v2, v1, s[18:19]
	s_or_b64 exec, exec, s[2:3]
	v_cmp_gt_i32_e32 vcc, s26, v0
	s_and_saveexec_b64 s[2:3], vcc
	s_cbranch_execz .LBB88_45
.LBB88_62:
	s_waitcnt vmcnt(0)
	v_cmp_eq_f64_e32 vcc, s[16:17], v[16:17]
	v_cndmask_b32_e64 v1, 0, 1, vcc
	v_cmp_neq_f64_e32 vcc, s[16:17], v[16:17]
	v_cndmask_b32_e64 v2, 0, 1, vcc
	v_cndmask_b32_e64 v1, v2, v1, s[0:1]
	v_and_b32_e32 v1, 1, v1
	v_add_u32_e32 v2, s20, v0
	v_add_u32_e32 v0, 0x100, v0
	global_store_byte v2, v1, s[18:19]
	s_or_b64 exec, exec, s[2:3]
	v_cmp_gt_i32_e32 vcc, s26, v0
	s_and_saveexec_b64 s[2:3], vcc
	s_cbranch_execz .LBB88_46
.LBB88_63:
	s_waitcnt vmcnt(0)
	v_cmp_eq_f64_e32 vcc, s[16:17], v[26:27]
	v_cndmask_b32_e64 v1, 0, 1, vcc
	v_cmp_neq_f64_e32 vcc, s[16:17], v[26:27]
	v_cndmask_b32_e64 v2, 0, 1, vcc
	v_cndmask_b32_e64 v1, v2, v1, s[0:1]
	v_and_b32_e32 v1, 1, v1
	v_add_u32_e32 v2, s20, v0
	v_add_u32_e32 v0, 0x100, v0
	global_store_byte v2, v1, s[18:19]
	s_or_b64 exec, exec, s[2:3]
	v_cmp_gt_i32_e32 vcc, s26, v0
	s_and_saveexec_b64 s[2:3], vcc
	s_cbranch_execz .LBB88_47
.LBB88_64:
	s_waitcnt vmcnt(0)
	v_cmp_eq_f64_e32 vcc, s[16:17], v[20:21]
	v_cndmask_b32_e64 v1, 0, 1, vcc
	v_cmp_neq_f64_e32 vcc, s[16:17], v[20:21]
	v_cndmask_b32_e64 v2, 0, 1, vcc
	v_cndmask_b32_e64 v1, v2, v1, s[0:1]
	v_and_b32_e32 v1, 1, v1
	v_add_u32_e32 v2, s20, v0
	v_add_u32_e32 v0, 0x100, v0
	global_store_byte v2, v1, s[18:19]
	s_or_b64 exec, exec, s[2:3]
	v_cmp_gt_i32_e32 vcc, s26, v0
	s_and_saveexec_b64 s[2:3], vcc
	s_cbranch_execz .LBB88_48
.LBB88_65:
	s_waitcnt vmcnt(0)
	v_cmp_eq_f64_e32 vcc, s[16:17], v[30:31]
	v_cndmask_b32_e64 v1, 0, 1, vcc
	v_cmp_neq_f64_e32 vcc, s[16:17], v[30:31]
	v_cndmask_b32_e64 v2, 0, 1, vcc
	v_cndmask_b32_e64 v1, v2, v1, s[0:1]
	v_and_b32_e32 v1, 1, v1
	v_add_u32_e32 v2, s20, v0
	v_add_u32_e32 v0, 0x100, v0
	global_store_byte v2, v1, s[18:19]
	s_or_b64 exec, exec, s[2:3]
	v_cmp_gt_i32_e32 vcc, s26, v0
	s_and_saveexec_b64 s[2:3], vcc
	s_cbranch_execz .LBB88_49
.LBB88_66:
	s_waitcnt vmcnt(0)
	v_cmp_eq_f64_e32 vcc, s[16:17], v[24:25]
	v_cndmask_b32_e64 v1, 0, 1, vcc
	v_cmp_neq_f64_e32 vcc, s[16:17], v[24:25]
	v_cndmask_b32_e64 v2, 0, 1, vcc
	v_cndmask_b32_e64 v1, v2, v1, s[0:1]
	v_and_b32_e32 v1, 1, v1
	v_add_u32_e32 v2, s20, v0
	v_add_u32_e32 v0, 0x100, v0
	global_store_byte v2, v1, s[18:19]
	s_or_b64 exec, exec, s[2:3]
	v_cmp_gt_i32_e32 vcc, s26, v0
	s_and_saveexec_b64 s[2:3], vcc
	s_cbranch_execz .LBB88_50
.LBB88_67:
	s_waitcnt vmcnt(0)
	v_cmp_eq_f64_e32 vcc, s[16:17], v[32:33]
	v_cndmask_b32_e64 v1, 0, 1, vcc
	v_cmp_neq_f64_e32 vcc, s[16:17], v[32:33]
	v_cndmask_b32_e64 v2, 0, 1, vcc
	v_cndmask_b32_e64 v1, v2, v1, s[0:1]
	v_and_b32_e32 v1, 1, v1
	v_add_u32_e32 v2, s20, v0
	v_add_u32_e32 v0, 0x100, v0
	global_store_byte v2, v1, s[18:19]
	s_or_b64 exec, exec, s[2:3]
	v_cmp_gt_i32_e32 vcc, s26, v0
	s_and_saveexec_b64 s[2:3], vcc
	s_cbranch_execnz .LBB88_51
	s_branch .LBB88_52
	.section	.rodata,"a",@progbits
	.p2align	6, 0x0
	.amdhsa_kernel _ZN2at6native29vectorized_elementwise_kernelILi16ENS0_13AUnaryFunctorIddbNS0_12_GLOBAL__N_116CompareEqFunctorIdEEEESt5arrayIPcLm2EEEEviT0_T1_
		.amdhsa_group_segment_fixed_size 0
		.amdhsa_private_segment_fixed_size 0
		.amdhsa_kernarg_size 40
		.amdhsa_user_sgpr_count 6
		.amdhsa_user_sgpr_private_segment_buffer 1
		.amdhsa_user_sgpr_dispatch_ptr 0
		.amdhsa_user_sgpr_queue_ptr 0
		.amdhsa_user_sgpr_kernarg_segment_ptr 1
		.amdhsa_user_sgpr_dispatch_id 0
		.amdhsa_user_sgpr_flat_scratch_init 0
		.amdhsa_user_sgpr_private_segment_size 0
		.amdhsa_uses_dynamic_stack 0
		.amdhsa_system_sgpr_private_segment_wavefront_offset 0
		.amdhsa_system_sgpr_workgroup_id_x 1
		.amdhsa_system_sgpr_workgroup_id_y 0
		.amdhsa_system_sgpr_workgroup_id_z 0
		.amdhsa_system_sgpr_workgroup_info 0
		.amdhsa_system_vgpr_workitem_id 0
		.amdhsa_next_free_vgpr 36
		.amdhsa_next_free_sgpr 28
		.amdhsa_reserve_vcc 1
		.amdhsa_reserve_flat_scratch 0
		.amdhsa_float_round_mode_32 0
		.amdhsa_float_round_mode_16_64 0
		.amdhsa_float_denorm_mode_32 3
		.amdhsa_float_denorm_mode_16_64 3
		.amdhsa_dx10_clamp 1
		.amdhsa_ieee_mode 1
		.amdhsa_fp16_overflow 0
		.amdhsa_exception_fp_ieee_invalid_op 0
		.amdhsa_exception_fp_denorm_src 0
		.amdhsa_exception_fp_ieee_div_zero 0
		.amdhsa_exception_fp_ieee_overflow 0
		.amdhsa_exception_fp_ieee_underflow 0
		.amdhsa_exception_fp_ieee_inexact 0
		.amdhsa_exception_int_div_zero 0
	.end_amdhsa_kernel
	.section	.text._ZN2at6native29vectorized_elementwise_kernelILi16ENS0_13AUnaryFunctorIddbNS0_12_GLOBAL__N_116CompareEqFunctorIdEEEESt5arrayIPcLm2EEEEviT0_T1_,"axG",@progbits,_ZN2at6native29vectorized_elementwise_kernelILi16ENS0_13AUnaryFunctorIddbNS0_12_GLOBAL__N_116CompareEqFunctorIdEEEESt5arrayIPcLm2EEEEviT0_T1_,comdat
.Lfunc_end88:
	.size	_ZN2at6native29vectorized_elementwise_kernelILi16ENS0_13AUnaryFunctorIddbNS0_12_GLOBAL__N_116CompareEqFunctorIdEEEESt5arrayIPcLm2EEEEviT0_T1_, .Lfunc_end88-_ZN2at6native29vectorized_elementwise_kernelILi16ENS0_13AUnaryFunctorIddbNS0_12_GLOBAL__N_116CompareEqFunctorIdEEEESt5arrayIPcLm2EEEEviT0_T1_
                                        ; -- End function
	.set _ZN2at6native29vectorized_elementwise_kernelILi16ENS0_13AUnaryFunctorIddbNS0_12_GLOBAL__N_116CompareEqFunctorIdEEEESt5arrayIPcLm2EEEEviT0_T1_.num_vgpr, 36
	.set _ZN2at6native29vectorized_elementwise_kernelILi16ENS0_13AUnaryFunctorIddbNS0_12_GLOBAL__N_116CompareEqFunctorIdEEEESt5arrayIPcLm2EEEEviT0_T1_.num_agpr, 0
	.set _ZN2at6native29vectorized_elementwise_kernelILi16ENS0_13AUnaryFunctorIddbNS0_12_GLOBAL__N_116CompareEqFunctorIdEEEESt5arrayIPcLm2EEEEviT0_T1_.numbered_sgpr, 28
	.set _ZN2at6native29vectorized_elementwise_kernelILi16ENS0_13AUnaryFunctorIddbNS0_12_GLOBAL__N_116CompareEqFunctorIdEEEESt5arrayIPcLm2EEEEviT0_T1_.num_named_barrier, 0
	.set _ZN2at6native29vectorized_elementwise_kernelILi16ENS0_13AUnaryFunctorIddbNS0_12_GLOBAL__N_116CompareEqFunctorIdEEEESt5arrayIPcLm2EEEEviT0_T1_.private_seg_size, 0
	.set _ZN2at6native29vectorized_elementwise_kernelILi16ENS0_13AUnaryFunctorIddbNS0_12_GLOBAL__N_116CompareEqFunctorIdEEEESt5arrayIPcLm2EEEEviT0_T1_.uses_vcc, 1
	.set _ZN2at6native29vectorized_elementwise_kernelILi16ENS0_13AUnaryFunctorIddbNS0_12_GLOBAL__N_116CompareEqFunctorIdEEEESt5arrayIPcLm2EEEEviT0_T1_.uses_flat_scratch, 0
	.set _ZN2at6native29vectorized_elementwise_kernelILi16ENS0_13AUnaryFunctorIddbNS0_12_GLOBAL__N_116CompareEqFunctorIdEEEESt5arrayIPcLm2EEEEviT0_T1_.has_dyn_sized_stack, 0
	.set _ZN2at6native29vectorized_elementwise_kernelILi16ENS0_13AUnaryFunctorIddbNS0_12_GLOBAL__N_116CompareEqFunctorIdEEEESt5arrayIPcLm2EEEEviT0_T1_.has_recursion, 0
	.set _ZN2at6native29vectorized_elementwise_kernelILi16ENS0_13AUnaryFunctorIddbNS0_12_GLOBAL__N_116CompareEqFunctorIdEEEESt5arrayIPcLm2EEEEviT0_T1_.has_indirect_call, 0
	.section	.AMDGPU.csdata,"",@progbits
; Kernel info:
; codeLenInByte = 3680
; TotalNumSgprs: 32
; NumVgprs: 36
; ScratchSize: 0
; MemoryBound: 1
; FloatMode: 240
; IeeeMode: 1
; LDSByteSize: 0 bytes/workgroup (compile time only)
; SGPRBlocks: 3
; VGPRBlocks: 8
; NumSGPRsForWavesPerEU: 32
; NumVGPRsForWavesPerEU: 36
; Occupancy: 7
; WaveLimiterHint : 0
; COMPUTE_PGM_RSRC2:SCRATCH_EN: 0
; COMPUTE_PGM_RSRC2:USER_SGPR: 6
; COMPUTE_PGM_RSRC2:TRAP_HANDLER: 0
; COMPUTE_PGM_RSRC2:TGID_X_EN: 1
; COMPUTE_PGM_RSRC2:TGID_Y_EN: 0
; COMPUTE_PGM_RSRC2:TGID_Z_EN: 0
; COMPUTE_PGM_RSRC2:TIDIG_COMP_CNT: 0
	.section	.text._ZN2at6native29vectorized_elementwise_kernelILi8ENS0_13AUnaryFunctorIddbNS0_12_GLOBAL__N_116CompareEqFunctorIdEEEESt5arrayIPcLm2EEEEviT0_T1_,"axG",@progbits,_ZN2at6native29vectorized_elementwise_kernelILi8ENS0_13AUnaryFunctorIddbNS0_12_GLOBAL__N_116CompareEqFunctorIdEEEESt5arrayIPcLm2EEEEviT0_T1_,comdat
	.globl	_ZN2at6native29vectorized_elementwise_kernelILi8ENS0_13AUnaryFunctorIddbNS0_12_GLOBAL__N_116CompareEqFunctorIdEEEESt5arrayIPcLm2EEEEviT0_T1_ ; -- Begin function _ZN2at6native29vectorized_elementwise_kernelILi8ENS0_13AUnaryFunctorIddbNS0_12_GLOBAL__N_116CompareEqFunctorIdEEEESt5arrayIPcLm2EEEEviT0_T1_
	.p2align	8
	.type	_ZN2at6native29vectorized_elementwise_kernelILi8ENS0_13AUnaryFunctorIddbNS0_12_GLOBAL__N_116CompareEqFunctorIdEEEESt5arrayIPcLm2EEEEviT0_T1_,@function
_ZN2at6native29vectorized_elementwise_kernelILi8ENS0_13AUnaryFunctorIddbNS0_12_GLOBAL__N_116CompareEqFunctorIdEEEESt5arrayIPcLm2EEEEviT0_T1_: ; @_ZN2at6native29vectorized_elementwise_kernelILi8ENS0_13AUnaryFunctorIddbNS0_12_GLOBAL__N_116CompareEqFunctorIdEEEESt5arrayIPcLm2EEEEviT0_T1_
; %bb.0:
	s_load_dword s0, s[4:5], 0x0
	s_load_dword s17, s[4:5], 0x8
	s_load_dwordx4 s[8:11], s[4:5], 0x10
	s_load_dwordx2 s[14:15], s[4:5], 0x20
	s_lshl_b32 s12, s6, 12
	s_waitcnt lgkmcnt(0)
	s_sub_i32 s16, s0, s12
	s_cmpk_gt_i32 s16, 0xfff
	s_mov_b64 s[0:1], -1
	s_cbranch_scc0 .LBB89_2
; %bb.1:
	s_ashr_i32 s13, s12, 31
	s_lshl_b64 s[0:1], s[12:13], 3
	s_add_u32 s0, s14, s0
	s_addc_u32 s1, s15, s1
	v_lshlrev_b32_e32 v17, 6, v0
	global_load_dwordx4 v[1:4], v17, s[0:1] offset:48
	global_load_dwordx4 v[5:8], v17, s[0:1]
	global_load_dwordx4 v[9:12], v17, s[0:1] offset:16
	global_load_dwordx4 v[13:16], v17, s[0:1] offset:32
	v_mov_b32_e32 v18, s1
	v_add_co_u32_e32 v17, vcc, s0, v17
	s_movk_i32 s2, 0x4000
	v_addc_co_u32_e32 v18, vcc, 0, v18, vcc
	v_add_co_u32_e32 v29, vcc, s2, v17
	v_addc_co_u32_e32 v30, vcc, 0, v18, vcc
	global_load_dwordx4 v[17:20], v[29:30], off
	global_load_dwordx4 v[21:24], v[29:30], off offset:48
	global_load_dwordx4 v[25:28], v[29:30], off offset:32
	s_cmp_eq_u32 s17, 0
	v_mov_b32_e32 v31, 0x100
	v_mov_b32_e32 v32, 0x10000
	;; [unrolled: 1-line block ×3, first 2 shown]
	v_or3_b32 v34, 0, 0, 0
	s_waitcnt vmcnt(6)
	v_cmp_eq_f64_e32 vcc, s[8:9], v[1:2]
	s_waitcnt vmcnt(5)
	v_cmp_eq_f64_e64 s[6:7], s[8:9], v[5:6]
	v_cmp_neq_f64_e64 s[0:1], s[8:9], v[1:2]
	v_cmp_eq_f64_e64 s[2:3], s[8:9], v[3:4]
	v_cmp_neq_f64_e64 s[4:5], s[8:9], v[3:4]
	global_load_dwordx4 v[1:4], v[29:30], off offset:16
	v_cndmask_b32_e64 v29, 0, 1, s[6:7]
	v_cmp_neq_f64_e64 s[6:7], s[8:9], v[5:6]
	v_cndmask_b32_e64 v30, 0, 1, s[0:1]
	v_cndmask_b32_e64 v35, 0, 1, s[2:3]
	v_cndmask_b32_e64 v5, 0, 1, s[6:7]
	v_cmp_eq_f64_e64 s[6:7], s[8:9], v[7:8]
	v_cndmask_b32_e64 v6, 0, 1, s[6:7]
	v_cmp_neq_f64_e64 s[6:7], s[8:9], v[7:8]
	v_cndmask_b32_e64 v7, 0, 1, s[6:7]
	s_waitcnt vmcnt(5)
	v_cmp_eq_f64_e64 s[6:7], s[8:9], v[9:10]
	v_cndmask_b32_e64 v8, 0, 1, s[6:7]
	v_cmp_neq_f64_e64 s[6:7], s[8:9], v[9:10]
	v_cndmask_b32_e64 v9, 0, 1, s[6:7]
	v_cmp_eq_f64_e64 s[6:7], s[8:9], v[11:12]
	v_cndmask_b32_e64 v10, 0, 1, s[6:7]
	v_cmp_neq_f64_e64 s[6:7], s[8:9], v[11:12]
	v_cndmask_b32_e64 v11, 0, 1, s[6:7]
	s_waitcnt vmcnt(4)
	v_cmp_eq_f64_e64 s[6:7], s[8:9], v[13:14]
	v_cndmask_b32_e64 v12, 0, 1, s[6:7]
	v_cmp_neq_f64_e64 s[6:7], s[8:9], v[13:14]
	v_cndmask_b32_e64 v13, 0, 1, s[6:7]
	v_cmp_eq_f64_e64 s[6:7], s[8:9], v[15:16]
	v_cndmask_b32_e64 v14, 0, 1, s[6:7]
	v_cmp_neq_f64_e64 s[6:7], s[8:9], v[15:16]
	v_cndmask_b32_e64 v16, 0, 1, vcc
	s_cselect_b64 vcc, -1, 0
	v_cndmask_b32_e32 v6, v7, v6, vcc
	v_cndmask_b32_e32 v7, v9, v8, vcc
	v_and_b32_e32 v6, 1, v6
	v_cndmask_b32_e32 v8, v11, v10, vcc
	v_and_b32_e32 v7, 1, v7
	v_cmp_eq_u32_e64 s[0:1], 1, v6
	v_cndmask_b32_e64 v15, 0, 1, s[6:7]
	v_cndmask_b32_e32 v5, v5, v29, vcc
	v_cndmask_b32_e32 v9, v13, v12, vcc
	v_and_b32_e32 v8, 1, v8
	v_cndmask_b32_e64 v6, 0, v31, s[0:1]
	v_cmp_eq_u32_e64 s[0:1], 1, v7
	v_cndmask_b32_e32 v10, v15, v14, vcc
	v_and_b32_e32 v5, 1, v5
	v_and_b32_e32 v9, 1, v9
	v_cndmask_b32_e64 v7, 0, v32, s[0:1]
	v_cmp_eq_u32_e64 s[0:1], 1, v8
	v_cndmask_b32_e64 v29, 0, 1, s[4:5]
	v_cndmask_b32_e32 v11, v30, v16, vcc
	v_and_b32_e32 v10, 1, v10
	v_cndmask_b32_e64 v8, 0, v33, s[0:1]
	v_cmp_eq_u32_e64 s[0:1], 1, v9
	v_or_b32_e32 v5, v6, v5
	v_and_b32_e32 v11, 1, v11
	v_cndmask_b32_e64 v9, 0, 1, s[0:1]
	v_cmp_eq_u32_e64 s[0:1], 1, v10
	v_or3_b32 v5, v5, v7, v8
	v_cndmask_b32_e32 v7, v29, v35, vcc
	v_cndmask_b32_e64 v10, 0, v31, s[0:1]
	v_cmp_eq_u32_e64 s[0:1], 1, v11
	v_and_b32_e32 v7, 1, v7
	v_cndmask_b32_e64 v11, 0, v32, s[0:1]
	v_cmp_eq_u32_e64 s[0:1], 1, v7
	v_cndmask_b32_e64 v7, 0, v33, s[0:1]
	s_waitcnt vmcnt(3)
	v_cmp_eq_f64_e64 s[0:1], s[8:9], v[17:18]
	v_or3_b32 v6, v34, v9, v10
	v_or3_b32 v6, v6, v11, v7
	;; [unrolled: 1-line block ×4, first 2 shown]
	v_cndmask_b32_e64 v7, 0, 1, s[0:1]
	v_cmp_neq_f64_e64 s[0:1], s[8:9], v[17:18]
	v_cndmask_b32_e64 v8, 0, 1, s[0:1]
	v_cmp_eq_f64_e64 s[0:1], s[8:9], v[19:20]
	v_cndmask_b32_e32 v7, v8, v7, vcc
	v_and_b32_e32 v7, 1, v7
	v_cndmask_b32_e64 v8, 0, 1, s[0:1]
	v_cmp_neq_f64_e64 s[0:1], s[8:9], v[19:20]
	v_cndmask_b32_e64 v9, 0, 1, s[0:1]
	v_cndmask_b32_e32 v8, v9, v8, vcc
	v_and_b32_e32 v8, 1, v8
	v_cmp_eq_u32_e64 s[0:1], 1, v8
	v_cndmask_b32_e64 v8, 0, v31, s[0:1]
	s_waitcnt vmcnt(0)
	v_cmp_eq_f64_e64 s[0:1], s[8:9], v[1:2]
	v_or_b32_e32 v7, v8, v7
	v_cndmask_b32_e64 v8, 0, 1, s[0:1]
	v_cmp_neq_f64_e64 s[0:1], s[8:9], v[1:2]
	v_cndmask_b32_e64 v1, 0, 1, s[0:1]
	v_cndmask_b32_e32 v1, v1, v8, vcc
	v_and_b32_e32 v1, 1, v1
	v_cmp_eq_u32_e64 s[0:1], 1, v1
	v_cndmask_b32_e64 v1, 0, v32, s[0:1]
	v_cmp_eq_f64_e64 s[0:1], s[8:9], v[3:4]
	v_cndmask_b32_e64 v2, 0, 1, s[0:1]
	v_cmp_neq_f64_e64 s[0:1], s[8:9], v[3:4]
	v_cndmask_b32_e64 v3, 0, 1, s[0:1]
	v_cndmask_b32_e32 v2, v3, v2, vcc
	v_and_b32_e32 v2, 1, v2
	v_cmp_eq_u32_e64 s[0:1], 1, v2
	v_cndmask_b32_e64 v2, 0, v33, s[0:1]
	v_cmp_eq_f64_e64 s[0:1], s[8:9], v[25:26]
	v_or3_b32 v1, v7, v1, v2
	v_or3_b32 v1, v1, 0, 0
	;; [unrolled: 1-line block ×3, first 2 shown]
	v_cndmask_b32_e64 v2, 0, 1, s[0:1]
	v_cmp_neq_f64_e64 s[0:1], s[8:9], v[25:26]
	v_cndmask_b32_e64 v3, 0, 1, s[0:1]
	v_cndmask_b32_e32 v2, v3, v2, vcc
	v_and_b32_e32 v2, 1, v2
	v_cmp_eq_u32_e64 s[0:1], 1, v2
	v_cndmask_b32_e64 v2, 0, 1, s[0:1]
	v_cmp_eq_f64_e64 s[0:1], s[8:9], v[27:28]
	v_cndmask_b32_e64 v3, 0, 1, s[0:1]
	v_cmp_neq_f64_e64 s[0:1], s[8:9], v[27:28]
	v_cndmask_b32_e64 v4, 0, 1, s[0:1]
	v_cndmask_b32_e32 v3, v4, v3, vcc
	v_and_b32_e32 v3, 1, v3
	v_cmp_eq_u32_e64 s[0:1], 1, v3
	v_cndmask_b32_e64 v3, 0, v31, s[0:1]
	v_cmp_eq_f64_e64 s[0:1], s[8:9], v[21:22]
	v_or3_b32 v2, v34, v2, v3
	v_cndmask_b32_e64 v4, 0, 1, s[0:1]
	v_cmp_neq_f64_e64 s[0:1], s[8:9], v[21:22]
	v_cndmask_b32_e64 v7, 0, 1, s[0:1]
	v_cndmask_b32_e32 v4, v7, v4, vcc
	v_and_b32_e32 v4, 1, v4
	v_cmp_eq_u32_e64 s[0:1], 1, v4
	v_cndmask_b32_e64 v4, 0, v32, s[0:1]
	v_cmp_eq_f64_e64 s[0:1], s[8:9], v[23:24]
	v_cndmask_b32_e64 v3, 0, 1, s[0:1]
	v_cmp_neq_f64_e64 s[0:1], s[8:9], v[23:24]
	v_cndmask_b32_e64 v7, 0, 1, s[0:1]
	v_cndmask_b32_e32 v3, v7, v3, vcc
	v_and_b32_e32 v3, 1, v3
	v_cmp_eq_u32_e32 vcc, 1, v3
	v_cndmask_b32_e32 v3, 0, v33, vcc
	s_add_u32 s0, s10, s12
	v_or3_b32 v2, v2, v4, v3
	s_addc_u32 s1, s11, s13
	v_lshlrev_b32_e32 v3, 3, v0
	global_store_dwordx2 v3, v[5:6], s[0:1]
	global_store_dwordx2 v3, v[1:2], s[0:1] offset:2048
	s_mov_b64 s[0:1], 0
.LBB89_2:
	s_andn2_b64 vcc, exec, s[0:1]
	s_cbranch_vccnz .LBB89_52
; %bb.3:
	v_mov_b32_e32 v1, 0
	v_mov_b32_e32 v6, 0
	v_cmp_gt_i32_e32 vcc, s16, v0
	v_mov_b32_e32 v2, 0
	v_or_b32_e32 v3, s12, v0
	v_mov_b32_e32 v7, 0
	v_mov_b32_e32 v34, v0
	s_and_saveexec_b64 s[2:3], vcc
	s_cbranch_execz .LBB89_5
; %bb.4:
	v_mov_b32_e32 v4, 0
	v_lshlrev_b64 v[4:5], 3, v[3:4]
	v_mov_b32_e32 v6, s15
	v_add_co_u32_e64 v4, s[0:1], s14, v4
	v_addc_co_u32_e64 v5, s[0:1], v6, v5, s[0:1]
	global_load_dwordx2 v[6:7], v[4:5], off
	v_or_b32_e32 v34, 0x100, v0
.LBB89_5:
	s_or_b64 exec, exec, s[2:3]
	v_cmp_gt_i32_e64 s[0:1], s16, v34
	s_and_saveexec_b64 s[2:3], s[0:1]
	s_cbranch_execz .LBB89_7
; %bb.6:
	v_add_u32_e32 v1, s12, v34
	v_mov_b32_e32 v2, 0
	v_lshlrev_b64 v[1:2], 3, v[1:2]
	v_mov_b32_e32 v4, s15
	v_add_co_u32_e64 v1, s[0:1], s14, v1
	v_addc_co_u32_e64 v2, s[0:1], v4, v2, s[0:1]
	global_load_dwordx2 v[1:2], v[1:2], off
	v_add_u32_e32 v34, 0x100, v34
.LBB89_7:
	s_or_b64 exec, exec, s[2:3]
	v_mov_b32_e32 v4, 0
	v_mov_b32_e32 v10, 0
	v_mov_b32_e32 v5, 0
	v_mov_b32_e32 v11, 0
	v_cmp_gt_i32_e64 s[0:1], s16, v34
	s_and_saveexec_b64 s[2:3], s[0:1]
	s_cbranch_execz .LBB89_9
; %bb.8:
	v_add_u32_e32 v8, s12, v34
	v_mov_b32_e32 v9, 0
	v_lshlrev_b64 v[8:9], 3, v[8:9]
	v_mov_b32_e32 v10, s15
	v_add_co_u32_e64 v8, s[0:1], s14, v8
	v_addc_co_u32_e64 v9, s[0:1], v10, v9, s[0:1]
	global_load_dwordx2 v[10:11], v[8:9], off
	v_add_u32_e32 v34, 0x100, v34
.LBB89_9:
	s_or_b64 exec, exec, s[2:3]
	v_cmp_gt_i32_e64 s[0:1], s16, v34
	s_and_saveexec_b64 s[2:3], s[0:1]
	s_cbranch_execz .LBB89_11
; %bb.10:
	v_add_u32_e32 v4, s12, v34
	v_mov_b32_e32 v5, 0
	v_lshlrev_b64 v[4:5], 3, v[4:5]
	v_mov_b32_e32 v8, s15
	v_add_co_u32_e64 v4, s[0:1], s14, v4
	v_addc_co_u32_e64 v5, s[0:1], v8, v5, s[0:1]
	global_load_dwordx2 v[4:5], v[4:5], off
	v_add_u32_e32 v34, 0x100, v34
.LBB89_11:
	s_or_b64 exec, exec, s[2:3]
	v_mov_b32_e32 v8, 0
	v_mov_b32_e32 v14, 0
	v_mov_b32_e32 v9, 0
	v_mov_b32_e32 v15, 0
	v_cmp_gt_i32_e64 s[0:1], s16, v34
	s_and_saveexec_b64 s[2:3], s[0:1]
	s_cbranch_execz .LBB89_13
; %bb.12:
	v_add_u32_e32 v12, s12, v34
	v_mov_b32_e32 v13, 0
	v_lshlrev_b64 v[12:13], 3, v[12:13]
	v_mov_b32_e32 v14, s15
	v_add_co_u32_e64 v12, s[0:1], s14, v12
	v_addc_co_u32_e64 v13, s[0:1], v14, v13, s[0:1]
	global_load_dwordx2 v[14:15], v[12:13], off
	v_add_u32_e32 v34, 0x100, v34
.LBB89_13:
	;; [unrolled: 32-line block ×7, first 2 shown]
	s_or_b64 exec, exec, s[2:3]
	v_cmp_gt_i32_e64 s[0:1], s16, v34
	s_and_saveexec_b64 s[2:3], s[0:1]
	s_cbranch_execz .LBB89_35
; %bb.34:
	v_add_u32_e32 v28, s12, v34
	v_mov_b32_e32 v29, 0
	v_lshlrev_b64 v[28:29], 3, v[28:29]
	v_mov_b32_e32 v34, s15
	v_add_co_u32_e64 v28, s[0:1], s14, v28
	v_addc_co_u32_e64 v29, s[0:1], v34, v29, s[0:1]
	global_load_dwordx2 v[28:29], v[28:29], off
.LBB89_35:
	s_or_b64 exec, exec, s[2:3]
	s_cmp_eq_u32 s17, 0
	s_cselect_b64 s[0:1], -1, 0
	s_and_saveexec_b64 s[2:3], vcc
	s_cbranch_execnz .LBB89_53
; %bb.36:
	s_or_b64 exec, exec, s[2:3]
	v_cmp_gt_i32_e32 vcc, s16, v0
	s_and_saveexec_b64 s[2:3], vcc
	s_cbranch_execnz .LBB89_54
.LBB89_37:
	s_or_b64 exec, exec, s[2:3]
	v_cmp_gt_i32_e32 vcc, s16, v0
	s_and_saveexec_b64 s[2:3], vcc
	s_cbranch_execnz .LBB89_55
.LBB89_38:
	s_or_b64 exec, exec, s[2:3]
	v_cmp_gt_i32_e32 vcc, s16, v0
	s_and_saveexec_b64 s[2:3], vcc
	s_cbranch_execnz .LBB89_56
.LBB89_39:
	s_or_b64 exec, exec, s[2:3]
	v_cmp_gt_i32_e32 vcc, s16, v0
	s_and_saveexec_b64 s[2:3], vcc
	s_cbranch_execnz .LBB89_57
.LBB89_40:
	s_or_b64 exec, exec, s[2:3]
	v_cmp_gt_i32_e32 vcc, s16, v0
	s_and_saveexec_b64 s[2:3], vcc
	s_cbranch_execnz .LBB89_58
.LBB89_41:
	s_or_b64 exec, exec, s[2:3]
	v_cmp_gt_i32_e32 vcc, s16, v0
	s_and_saveexec_b64 s[2:3], vcc
	s_cbranch_execnz .LBB89_59
.LBB89_42:
	s_or_b64 exec, exec, s[2:3]
	v_cmp_gt_i32_e32 vcc, s16, v0
	s_and_saveexec_b64 s[2:3], vcc
	s_cbranch_execnz .LBB89_60
.LBB89_43:
	s_or_b64 exec, exec, s[2:3]
	v_cmp_gt_i32_e32 vcc, s16, v0
	s_and_saveexec_b64 s[2:3], vcc
	s_cbranch_execnz .LBB89_61
.LBB89_44:
	s_or_b64 exec, exec, s[2:3]
	v_cmp_gt_i32_e32 vcc, s16, v0
	s_and_saveexec_b64 s[2:3], vcc
	s_cbranch_execnz .LBB89_62
.LBB89_45:
	s_or_b64 exec, exec, s[2:3]
	v_cmp_gt_i32_e32 vcc, s16, v0
	s_and_saveexec_b64 s[2:3], vcc
	s_cbranch_execnz .LBB89_63
.LBB89_46:
	s_or_b64 exec, exec, s[2:3]
	v_cmp_gt_i32_e32 vcc, s16, v0
	s_and_saveexec_b64 s[2:3], vcc
	s_cbranch_execnz .LBB89_64
.LBB89_47:
	s_or_b64 exec, exec, s[2:3]
	v_cmp_gt_i32_e32 vcc, s16, v0
	s_and_saveexec_b64 s[2:3], vcc
	s_cbranch_execnz .LBB89_65
.LBB89_48:
	s_or_b64 exec, exec, s[2:3]
	v_cmp_gt_i32_e32 vcc, s16, v0
	s_and_saveexec_b64 s[2:3], vcc
	s_cbranch_execnz .LBB89_66
.LBB89_49:
	s_or_b64 exec, exec, s[2:3]
	v_cmp_gt_i32_e32 vcc, s16, v0
	s_and_saveexec_b64 s[2:3], vcc
	s_cbranch_execnz .LBB89_67
.LBB89_50:
	s_or_b64 exec, exec, s[2:3]
	v_cmp_gt_i32_e32 vcc, s16, v0
	s_and_saveexec_b64 s[2:3], vcc
	s_cbranch_execz .LBB89_52
.LBB89_51:
	s_waitcnt vmcnt(0)
	v_cmp_eq_f64_e32 vcc, s[8:9], v[28:29]
	v_add_u32_e32 v0, s12, v0
	v_cndmask_b32_e64 v1, 0, 1, vcc
	v_cmp_neq_f64_e32 vcc, s[8:9], v[28:29]
	v_cndmask_b32_e64 v2, 0, 1, vcc
	v_cndmask_b32_e64 v1, v2, v1, s[0:1]
	v_and_b32_e32 v1, 1, v1
	global_store_byte v0, v1, s[10:11]
.LBB89_52:
	s_endpgm
.LBB89_53:
	s_waitcnt vmcnt(0)
	v_cmp_eq_f64_e32 vcc, s[8:9], v[6:7]
	v_or_b32_e32 v0, 0x100, v0
	v_cndmask_b32_e64 v34, 0, 1, vcc
	v_cmp_neq_f64_e32 vcc, s[8:9], v[6:7]
	v_cndmask_b32_e64 v6, 0, 1, vcc
	v_cndmask_b32_e64 v6, v6, v34, s[0:1]
	v_and_b32_e32 v6, 1, v6
	global_store_byte v3, v6, s[10:11]
	s_or_b64 exec, exec, s[2:3]
	v_cmp_gt_i32_e32 vcc, s16, v0
	s_and_saveexec_b64 s[2:3], vcc
	s_cbranch_execz .LBB89_37
.LBB89_54:
	s_waitcnt vmcnt(0)
	v_cmp_eq_f64_e32 vcc, s[8:9], v[1:2]
	v_cndmask_b32_e64 v3, 0, 1, vcc
	v_cmp_neq_f64_e32 vcc, s[8:9], v[1:2]
	v_add_u32_e32 v2, s12, v0
	v_add_u32_e32 v0, 0x100, v0
	v_cndmask_b32_e64 v1, 0, 1, vcc
	v_cndmask_b32_e64 v1, v1, v3, s[0:1]
	v_and_b32_e32 v1, 1, v1
	global_store_byte v2, v1, s[10:11]
	s_or_b64 exec, exec, s[2:3]
	v_cmp_gt_i32_e32 vcc, s16, v0
	s_and_saveexec_b64 s[2:3], vcc
	s_cbranch_execz .LBB89_38
.LBB89_55:
	s_waitcnt vmcnt(0)
	v_cmp_eq_f64_e32 vcc, s[8:9], v[10:11]
	v_cndmask_b32_e64 v1, 0, 1, vcc
	v_cmp_neq_f64_e32 vcc, s[8:9], v[10:11]
	v_cndmask_b32_e64 v2, 0, 1, vcc
	v_cndmask_b32_e64 v1, v2, v1, s[0:1]
	v_and_b32_e32 v1, 1, v1
	v_add_u32_e32 v2, s12, v0
	v_add_u32_e32 v0, 0x100, v0
	global_store_byte v2, v1, s[10:11]
	s_or_b64 exec, exec, s[2:3]
	v_cmp_gt_i32_e32 vcc, s16, v0
	s_and_saveexec_b64 s[2:3], vcc
	s_cbranch_execz .LBB89_39
.LBB89_56:
	s_waitcnt vmcnt(0)
	v_cmp_eq_f64_e32 vcc, s[8:9], v[4:5]
	v_cndmask_b32_e64 v1, 0, 1, vcc
	v_cmp_neq_f64_e32 vcc, s[8:9], v[4:5]
	v_cndmask_b32_e64 v2, 0, 1, vcc
	v_cndmask_b32_e64 v1, v2, v1, s[0:1]
	v_and_b32_e32 v1, 1, v1
	v_add_u32_e32 v2, s12, v0
	v_add_u32_e32 v0, 0x100, v0
	global_store_byte v2, v1, s[10:11]
	s_or_b64 exec, exec, s[2:3]
	v_cmp_gt_i32_e32 vcc, s16, v0
	s_and_saveexec_b64 s[2:3], vcc
	s_cbranch_execz .LBB89_40
.LBB89_57:
	s_waitcnt vmcnt(0)
	v_cmp_eq_f64_e32 vcc, s[8:9], v[14:15]
	v_cndmask_b32_e64 v1, 0, 1, vcc
	v_cmp_neq_f64_e32 vcc, s[8:9], v[14:15]
	v_cndmask_b32_e64 v2, 0, 1, vcc
	v_cndmask_b32_e64 v1, v2, v1, s[0:1]
	v_and_b32_e32 v1, 1, v1
	v_add_u32_e32 v2, s12, v0
	v_add_u32_e32 v0, 0x100, v0
	global_store_byte v2, v1, s[10:11]
	s_or_b64 exec, exec, s[2:3]
	v_cmp_gt_i32_e32 vcc, s16, v0
	s_and_saveexec_b64 s[2:3], vcc
	s_cbranch_execz .LBB89_41
.LBB89_58:
	s_waitcnt vmcnt(0)
	v_cmp_eq_f64_e32 vcc, s[8:9], v[8:9]
	v_cndmask_b32_e64 v1, 0, 1, vcc
	v_cmp_neq_f64_e32 vcc, s[8:9], v[8:9]
	v_cndmask_b32_e64 v2, 0, 1, vcc
	v_cndmask_b32_e64 v1, v2, v1, s[0:1]
	v_and_b32_e32 v1, 1, v1
	v_add_u32_e32 v2, s12, v0
	v_add_u32_e32 v0, 0x100, v0
	global_store_byte v2, v1, s[10:11]
	s_or_b64 exec, exec, s[2:3]
	v_cmp_gt_i32_e32 vcc, s16, v0
	s_and_saveexec_b64 s[2:3], vcc
	s_cbranch_execz .LBB89_42
.LBB89_59:
	s_waitcnt vmcnt(0)
	v_cmp_eq_f64_e32 vcc, s[8:9], v[18:19]
	v_cndmask_b32_e64 v1, 0, 1, vcc
	v_cmp_neq_f64_e32 vcc, s[8:9], v[18:19]
	v_cndmask_b32_e64 v2, 0, 1, vcc
	v_cndmask_b32_e64 v1, v2, v1, s[0:1]
	v_and_b32_e32 v1, 1, v1
	v_add_u32_e32 v2, s12, v0
	v_add_u32_e32 v0, 0x100, v0
	global_store_byte v2, v1, s[10:11]
	s_or_b64 exec, exec, s[2:3]
	v_cmp_gt_i32_e32 vcc, s16, v0
	s_and_saveexec_b64 s[2:3], vcc
	s_cbranch_execz .LBB89_43
.LBB89_60:
	s_waitcnt vmcnt(0)
	v_cmp_eq_f64_e32 vcc, s[8:9], v[12:13]
	v_cndmask_b32_e64 v1, 0, 1, vcc
	v_cmp_neq_f64_e32 vcc, s[8:9], v[12:13]
	v_cndmask_b32_e64 v2, 0, 1, vcc
	v_cndmask_b32_e64 v1, v2, v1, s[0:1]
	v_and_b32_e32 v1, 1, v1
	v_add_u32_e32 v2, s12, v0
	v_add_u32_e32 v0, 0x100, v0
	global_store_byte v2, v1, s[10:11]
	s_or_b64 exec, exec, s[2:3]
	v_cmp_gt_i32_e32 vcc, s16, v0
	s_and_saveexec_b64 s[2:3], vcc
	s_cbranch_execz .LBB89_44
.LBB89_61:
	s_waitcnt vmcnt(0)
	v_cmp_eq_f64_e32 vcc, s[8:9], v[22:23]
	v_cndmask_b32_e64 v1, 0, 1, vcc
	v_cmp_neq_f64_e32 vcc, s[8:9], v[22:23]
	v_cndmask_b32_e64 v2, 0, 1, vcc
	v_cndmask_b32_e64 v1, v2, v1, s[0:1]
	v_and_b32_e32 v1, 1, v1
	v_add_u32_e32 v2, s12, v0
	v_add_u32_e32 v0, 0x100, v0
	global_store_byte v2, v1, s[10:11]
	s_or_b64 exec, exec, s[2:3]
	v_cmp_gt_i32_e32 vcc, s16, v0
	s_and_saveexec_b64 s[2:3], vcc
	s_cbranch_execz .LBB89_45
.LBB89_62:
	s_waitcnt vmcnt(0)
	v_cmp_eq_f64_e32 vcc, s[8:9], v[16:17]
	v_cndmask_b32_e64 v1, 0, 1, vcc
	v_cmp_neq_f64_e32 vcc, s[8:9], v[16:17]
	v_cndmask_b32_e64 v2, 0, 1, vcc
	v_cndmask_b32_e64 v1, v2, v1, s[0:1]
	v_and_b32_e32 v1, 1, v1
	v_add_u32_e32 v2, s12, v0
	v_add_u32_e32 v0, 0x100, v0
	global_store_byte v2, v1, s[10:11]
	s_or_b64 exec, exec, s[2:3]
	v_cmp_gt_i32_e32 vcc, s16, v0
	s_and_saveexec_b64 s[2:3], vcc
	s_cbranch_execz .LBB89_46
.LBB89_63:
	s_waitcnt vmcnt(0)
	v_cmp_eq_f64_e32 vcc, s[8:9], v[26:27]
	v_cndmask_b32_e64 v1, 0, 1, vcc
	v_cmp_neq_f64_e32 vcc, s[8:9], v[26:27]
	v_cndmask_b32_e64 v2, 0, 1, vcc
	v_cndmask_b32_e64 v1, v2, v1, s[0:1]
	v_and_b32_e32 v1, 1, v1
	v_add_u32_e32 v2, s12, v0
	v_add_u32_e32 v0, 0x100, v0
	global_store_byte v2, v1, s[10:11]
	s_or_b64 exec, exec, s[2:3]
	v_cmp_gt_i32_e32 vcc, s16, v0
	s_and_saveexec_b64 s[2:3], vcc
	s_cbranch_execz .LBB89_47
.LBB89_64:
	s_waitcnt vmcnt(0)
	v_cmp_eq_f64_e32 vcc, s[8:9], v[20:21]
	v_cndmask_b32_e64 v1, 0, 1, vcc
	v_cmp_neq_f64_e32 vcc, s[8:9], v[20:21]
	v_cndmask_b32_e64 v2, 0, 1, vcc
	v_cndmask_b32_e64 v1, v2, v1, s[0:1]
	v_and_b32_e32 v1, 1, v1
	v_add_u32_e32 v2, s12, v0
	v_add_u32_e32 v0, 0x100, v0
	global_store_byte v2, v1, s[10:11]
	s_or_b64 exec, exec, s[2:3]
	v_cmp_gt_i32_e32 vcc, s16, v0
	s_and_saveexec_b64 s[2:3], vcc
	s_cbranch_execz .LBB89_48
.LBB89_65:
	s_waitcnt vmcnt(0)
	v_cmp_eq_f64_e32 vcc, s[8:9], v[30:31]
	v_cndmask_b32_e64 v1, 0, 1, vcc
	v_cmp_neq_f64_e32 vcc, s[8:9], v[30:31]
	v_cndmask_b32_e64 v2, 0, 1, vcc
	v_cndmask_b32_e64 v1, v2, v1, s[0:1]
	v_and_b32_e32 v1, 1, v1
	v_add_u32_e32 v2, s12, v0
	v_add_u32_e32 v0, 0x100, v0
	global_store_byte v2, v1, s[10:11]
	s_or_b64 exec, exec, s[2:3]
	v_cmp_gt_i32_e32 vcc, s16, v0
	s_and_saveexec_b64 s[2:3], vcc
	s_cbranch_execz .LBB89_49
.LBB89_66:
	s_waitcnt vmcnt(0)
	v_cmp_eq_f64_e32 vcc, s[8:9], v[24:25]
	v_cndmask_b32_e64 v1, 0, 1, vcc
	v_cmp_neq_f64_e32 vcc, s[8:9], v[24:25]
	v_cndmask_b32_e64 v2, 0, 1, vcc
	v_cndmask_b32_e64 v1, v2, v1, s[0:1]
	v_and_b32_e32 v1, 1, v1
	v_add_u32_e32 v2, s12, v0
	v_add_u32_e32 v0, 0x100, v0
	global_store_byte v2, v1, s[10:11]
	s_or_b64 exec, exec, s[2:3]
	v_cmp_gt_i32_e32 vcc, s16, v0
	s_and_saveexec_b64 s[2:3], vcc
	s_cbranch_execz .LBB89_50
.LBB89_67:
	s_waitcnt vmcnt(0)
	v_cmp_eq_f64_e32 vcc, s[8:9], v[32:33]
	v_cndmask_b32_e64 v1, 0, 1, vcc
	v_cmp_neq_f64_e32 vcc, s[8:9], v[32:33]
	v_cndmask_b32_e64 v2, 0, 1, vcc
	v_cndmask_b32_e64 v1, v2, v1, s[0:1]
	v_and_b32_e32 v1, 1, v1
	v_add_u32_e32 v2, s12, v0
	v_add_u32_e32 v0, 0x100, v0
	global_store_byte v2, v1, s[10:11]
	s_or_b64 exec, exec, s[2:3]
	v_cmp_gt_i32_e32 vcc, s16, v0
	s_and_saveexec_b64 s[2:3], vcc
	s_cbranch_execnz .LBB89_51
	s_branch .LBB89_52
	.section	.rodata,"a",@progbits
	.p2align	6, 0x0
	.amdhsa_kernel _ZN2at6native29vectorized_elementwise_kernelILi8ENS0_13AUnaryFunctorIddbNS0_12_GLOBAL__N_116CompareEqFunctorIdEEEESt5arrayIPcLm2EEEEviT0_T1_
		.amdhsa_group_segment_fixed_size 0
		.amdhsa_private_segment_fixed_size 0
		.amdhsa_kernarg_size 40
		.amdhsa_user_sgpr_count 6
		.amdhsa_user_sgpr_private_segment_buffer 1
		.amdhsa_user_sgpr_dispatch_ptr 0
		.amdhsa_user_sgpr_queue_ptr 0
		.amdhsa_user_sgpr_kernarg_segment_ptr 1
		.amdhsa_user_sgpr_dispatch_id 0
		.amdhsa_user_sgpr_flat_scratch_init 0
		.amdhsa_user_sgpr_private_segment_size 0
		.amdhsa_uses_dynamic_stack 0
		.amdhsa_system_sgpr_private_segment_wavefront_offset 0
		.amdhsa_system_sgpr_workgroup_id_x 1
		.amdhsa_system_sgpr_workgroup_id_y 0
		.amdhsa_system_sgpr_workgroup_id_z 0
		.amdhsa_system_sgpr_workgroup_info 0
		.amdhsa_system_vgpr_workitem_id 0
		.amdhsa_next_free_vgpr 36
		.amdhsa_next_free_sgpr 18
		.amdhsa_reserve_vcc 1
		.amdhsa_reserve_flat_scratch 0
		.amdhsa_float_round_mode_32 0
		.amdhsa_float_round_mode_16_64 0
		.amdhsa_float_denorm_mode_32 3
		.amdhsa_float_denorm_mode_16_64 3
		.amdhsa_dx10_clamp 1
		.amdhsa_ieee_mode 1
		.amdhsa_fp16_overflow 0
		.amdhsa_exception_fp_ieee_invalid_op 0
		.amdhsa_exception_fp_denorm_src 0
		.amdhsa_exception_fp_ieee_div_zero 0
		.amdhsa_exception_fp_ieee_overflow 0
		.amdhsa_exception_fp_ieee_underflow 0
		.amdhsa_exception_fp_ieee_inexact 0
		.amdhsa_exception_int_div_zero 0
	.end_amdhsa_kernel
	.section	.text._ZN2at6native29vectorized_elementwise_kernelILi8ENS0_13AUnaryFunctorIddbNS0_12_GLOBAL__N_116CompareEqFunctorIdEEEESt5arrayIPcLm2EEEEviT0_T1_,"axG",@progbits,_ZN2at6native29vectorized_elementwise_kernelILi8ENS0_13AUnaryFunctorIddbNS0_12_GLOBAL__N_116CompareEqFunctorIdEEEESt5arrayIPcLm2EEEEviT0_T1_,comdat
.Lfunc_end89:
	.size	_ZN2at6native29vectorized_elementwise_kernelILi8ENS0_13AUnaryFunctorIddbNS0_12_GLOBAL__N_116CompareEqFunctorIdEEEESt5arrayIPcLm2EEEEviT0_T1_, .Lfunc_end89-_ZN2at6native29vectorized_elementwise_kernelILi8ENS0_13AUnaryFunctorIddbNS0_12_GLOBAL__N_116CompareEqFunctorIdEEEESt5arrayIPcLm2EEEEviT0_T1_
                                        ; -- End function
	.set _ZN2at6native29vectorized_elementwise_kernelILi8ENS0_13AUnaryFunctorIddbNS0_12_GLOBAL__N_116CompareEqFunctorIdEEEESt5arrayIPcLm2EEEEviT0_T1_.num_vgpr, 36
	.set _ZN2at6native29vectorized_elementwise_kernelILi8ENS0_13AUnaryFunctorIddbNS0_12_GLOBAL__N_116CompareEqFunctorIdEEEESt5arrayIPcLm2EEEEviT0_T1_.num_agpr, 0
	.set _ZN2at6native29vectorized_elementwise_kernelILi8ENS0_13AUnaryFunctorIddbNS0_12_GLOBAL__N_116CompareEqFunctorIdEEEESt5arrayIPcLm2EEEEviT0_T1_.numbered_sgpr, 18
	.set _ZN2at6native29vectorized_elementwise_kernelILi8ENS0_13AUnaryFunctorIddbNS0_12_GLOBAL__N_116CompareEqFunctorIdEEEESt5arrayIPcLm2EEEEviT0_T1_.num_named_barrier, 0
	.set _ZN2at6native29vectorized_elementwise_kernelILi8ENS0_13AUnaryFunctorIddbNS0_12_GLOBAL__N_116CompareEqFunctorIdEEEESt5arrayIPcLm2EEEEviT0_T1_.private_seg_size, 0
	.set _ZN2at6native29vectorized_elementwise_kernelILi8ENS0_13AUnaryFunctorIddbNS0_12_GLOBAL__N_116CompareEqFunctorIdEEEESt5arrayIPcLm2EEEEviT0_T1_.uses_vcc, 1
	.set _ZN2at6native29vectorized_elementwise_kernelILi8ENS0_13AUnaryFunctorIddbNS0_12_GLOBAL__N_116CompareEqFunctorIdEEEESt5arrayIPcLm2EEEEviT0_T1_.uses_flat_scratch, 0
	.set _ZN2at6native29vectorized_elementwise_kernelILi8ENS0_13AUnaryFunctorIddbNS0_12_GLOBAL__N_116CompareEqFunctorIdEEEESt5arrayIPcLm2EEEEviT0_T1_.has_dyn_sized_stack, 0
	.set _ZN2at6native29vectorized_elementwise_kernelILi8ENS0_13AUnaryFunctorIddbNS0_12_GLOBAL__N_116CompareEqFunctorIdEEEESt5arrayIPcLm2EEEEviT0_T1_.has_recursion, 0
	.set _ZN2at6native29vectorized_elementwise_kernelILi8ENS0_13AUnaryFunctorIddbNS0_12_GLOBAL__N_116CompareEqFunctorIdEEEESt5arrayIPcLm2EEEEviT0_T1_.has_indirect_call, 0
	.section	.AMDGPU.csdata,"",@progbits
; Kernel info:
; codeLenInByte = 3932
; TotalNumSgprs: 22
; NumVgprs: 36
; ScratchSize: 0
; MemoryBound: 0
; FloatMode: 240
; IeeeMode: 1
; LDSByteSize: 0 bytes/workgroup (compile time only)
; SGPRBlocks: 2
; VGPRBlocks: 8
; NumSGPRsForWavesPerEU: 22
; NumVGPRsForWavesPerEU: 36
; Occupancy: 7
; WaveLimiterHint : 1
; COMPUTE_PGM_RSRC2:SCRATCH_EN: 0
; COMPUTE_PGM_RSRC2:USER_SGPR: 6
; COMPUTE_PGM_RSRC2:TRAP_HANDLER: 0
; COMPUTE_PGM_RSRC2:TGID_X_EN: 1
; COMPUTE_PGM_RSRC2:TGID_Y_EN: 0
; COMPUTE_PGM_RSRC2:TGID_Z_EN: 0
; COMPUTE_PGM_RSRC2:TIDIG_COMP_CNT: 0
	.section	.text._ZN2at6native29vectorized_elementwise_kernelILi4ENS0_13AUnaryFunctorIddbNS0_12_GLOBAL__N_116CompareEqFunctorIdEEEESt5arrayIPcLm2EEEEviT0_T1_,"axG",@progbits,_ZN2at6native29vectorized_elementwise_kernelILi4ENS0_13AUnaryFunctorIddbNS0_12_GLOBAL__N_116CompareEqFunctorIdEEEESt5arrayIPcLm2EEEEviT0_T1_,comdat
	.globl	_ZN2at6native29vectorized_elementwise_kernelILi4ENS0_13AUnaryFunctorIddbNS0_12_GLOBAL__N_116CompareEqFunctorIdEEEESt5arrayIPcLm2EEEEviT0_T1_ ; -- Begin function _ZN2at6native29vectorized_elementwise_kernelILi4ENS0_13AUnaryFunctorIddbNS0_12_GLOBAL__N_116CompareEqFunctorIdEEEESt5arrayIPcLm2EEEEviT0_T1_
	.p2align	8
	.type	_ZN2at6native29vectorized_elementwise_kernelILi4ENS0_13AUnaryFunctorIddbNS0_12_GLOBAL__N_116CompareEqFunctorIdEEEESt5arrayIPcLm2EEEEviT0_T1_,@function
_ZN2at6native29vectorized_elementwise_kernelILi4ENS0_13AUnaryFunctorIddbNS0_12_GLOBAL__N_116CompareEqFunctorIdEEEESt5arrayIPcLm2EEEEviT0_T1_: ; @_ZN2at6native29vectorized_elementwise_kernelILi4ENS0_13AUnaryFunctorIddbNS0_12_GLOBAL__N_116CompareEqFunctorIdEEEESt5arrayIPcLm2EEEEviT0_T1_
; %bb.0:
	s_load_dword s0, s[4:5], 0x0
	s_load_dword s15, s[4:5], 0x8
	s_load_dwordx4 s[8:11], s[4:5], 0x10
	s_load_dwordx2 s[12:13], s[4:5], 0x20
	s_lshl_b32 s6, s6, 12
	s_waitcnt lgkmcnt(0)
	s_sub_i32 s14, s0, s6
	s_cmpk_gt_i32 s14, 0xfff
	s_mov_b64 s[0:1], -1
	s_cbranch_scc0 .LBB90_2
; %bb.1:
	s_ashr_i32 s7, s6, 31
	s_lshl_b64 s[0:1], s[6:7], 3
	s_add_u32 s0, s12, s0
	s_addc_u32 s1, s13, s1
	v_lshlrev_b32_e32 v9, 5, v0
	global_load_dwordx4 v[1:4], v9, s[0:1]
	global_load_dwordx4 v[5:8], v9, s[0:1] offset:16
	v_mov_b32_e32 v10, s1
	v_add_co_u32_e32 v21, vcc, s0, v9
	s_movk_i32 s2, 0x2000
	v_addc_co_u32_e32 v22, vcc, 0, v10, vcc
	v_add_co_u32_e32 v17, vcc, s2, v21
	v_addc_co_u32_e32 v18, vcc, 0, v22, vcc
	global_load_dwordx4 v[9:12], v[17:18], off
	global_load_dwordx4 v[13:16], v[17:18], off offset:16
	s_movk_i32 s0, 0x4000
	v_add_co_u32_e32 v33, vcc, s0, v21
	v_addc_co_u32_e32 v34, vcc, 0, v22, vcc
	s_movk_i32 s0, 0x6000
	v_add_co_u32_e32 v35, vcc, s0, v21
	v_addc_co_u32_e32 v36, vcc, 0, v22, vcc
	global_load_dwordx4 v[17:20], v[33:34], off
	s_cmp_eq_u32 s15, 0
	v_mov_b32_e32 v37, 0x100
	v_mov_b32_e32 v38, 0x10000
	;; [unrolled: 1-line block ×3, first 2 shown]
	global_load_dwordx4 v[21:24], v[33:34], off offset:16
	global_load_dwordx4 v[25:28], v[35:36], off
	global_load_dwordx4 v[29:32], v[35:36], off offset:16
	s_waitcnt vmcnt(7)
	v_cmp_neq_f64_e32 vcc, s[8:9], v[1:2]
	v_cmp_eq_f64_e64 s[4:5], s[8:9], v[1:2]
	v_cmp_eq_f64_e64 s[0:1], s[8:9], v[3:4]
	v_cmp_neq_f64_e64 s[2:3], s[8:9], v[3:4]
	v_cndmask_b32_e64 v2, 0, 1, vcc
	s_waitcnt vmcnt(6)
	v_cmp_neq_f64_e32 vcc, s[8:9], v[5:6]
	v_cndmask_b32_e64 v1, 0, 1, s[4:5]
	v_cmp_eq_f64_e64 s[4:5], s[8:9], v[5:6]
	v_cndmask_b32_e64 v3, 0, 1, s[0:1]
	v_cndmask_b32_e64 v4, 0, 1, s[2:3]
	v_cmp_eq_f64_e64 s[0:1], s[8:9], v[7:8]
	v_cmp_neq_f64_e64 s[2:3], s[8:9], v[7:8]
	v_cndmask_b32_e64 v6, 0, 1, vcc
	s_cselect_b64 vcc, -1, 0
	v_cndmask_b32_e64 v5, 0, 1, s[4:5]
	v_cndmask_b32_e32 v1, v2, v1, vcc
	v_cndmask_b32_e32 v2, v4, v3, vcc
	v_cndmask_b32_e64 v7, 0, 1, s[0:1]
	v_cndmask_b32_e64 v8, 0, 1, s[2:3]
	v_cndmask_b32_e32 v3, v6, v5, vcc
	v_and_b32_e32 v2, 1, v2
	v_cndmask_b32_e32 v4, v8, v7, vcc
	v_and_b32_e32 v3, 1, v3
	v_cmp_eq_u32_e64 s[0:1], 1, v2
	v_and_b32_e32 v4, 1, v4
	v_cndmask_b32_e64 v2, 0, v37, s[0:1]
	v_cmp_eq_u32_e64 s[0:1], 1, v3
	v_cndmask_b32_e64 v3, 0, v38, s[0:1]
	v_cmp_eq_u32_e64 s[0:1], 1, v4
	v_cndmask_b32_e64 v4, 0, v39, s[0:1]
	s_waitcnt vmcnt(5)
	v_cmp_eq_f64_e64 s[0:1], s[8:9], v[9:10]
	v_and_or_b32 v1, v1, 1, v2
	v_or3_b32 v1, v1, v3, v4
	v_cndmask_b32_e64 v5, 0, 1, s[0:1]
	v_cmp_neq_f64_e64 s[0:1], s[8:9], v[9:10]
	v_cndmask_b32_e64 v6, 0, 1, s[0:1]
	v_cmp_eq_f64_e64 s[0:1], s[8:9], v[11:12]
	v_cndmask_b32_e32 v2, v6, v5, vcc
	v_cndmask_b32_e64 v7, 0, 1, s[0:1]
	v_cmp_neq_f64_e64 s[0:1], s[8:9], v[11:12]
	v_cndmask_b32_e64 v8, 0, 1, s[0:1]
	s_waitcnt vmcnt(4)
	v_cmp_eq_f64_e64 s[0:1], s[8:9], v[13:14]
	v_cndmask_b32_e32 v5, v8, v7, vcc
	v_and_b32_e32 v3, 1, v5
	v_cndmask_b32_e64 v9, 0, 1, s[0:1]
	v_cmp_neq_f64_e64 s[0:1], s[8:9], v[13:14]
	v_cndmask_b32_e64 v10, 0, 1, s[0:1]
	v_cndmask_b32_e32 v6, v10, v9, vcc
	v_and_b32_e32 v4, 1, v6
	v_cmp_eq_u32_e64 s[0:1], 1, v3
	v_cndmask_b32_e64 v3, 0, v37, s[0:1]
	v_cmp_eq_u32_e64 s[0:1], 1, v4
	v_cndmask_b32_e64 v4, 0, v38, s[0:1]
	v_cmp_eq_f64_e64 s[0:1], s[8:9], v[15:16]
	v_and_or_b32 v2, v2, 1, v3
	v_cndmask_b32_e64 v3, 0, 1, s[0:1]
	v_cmp_neq_f64_e64 s[0:1], s[8:9], v[15:16]
	v_cndmask_b32_e64 v5, 0, 1, s[0:1]
	v_cndmask_b32_e32 v3, v5, v3, vcc
	v_and_b32_e32 v3, 1, v3
	v_cmp_eq_u32_e64 s[0:1], 1, v3
	v_cndmask_b32_e64 v3, 0, v39, s[0:1]
	s_waitcnt vmcnt(3)
	v_cmp_eq_f64_e64 s[0:1], s[8:9], v[17:18]
	v_or3_b32 v2, v2, v4, v3
	v_cndmask_b32_e64 v3, 0, 1, s[0:1]
	v_cmp_neq_f64_e64 s[0:1], s[8:9], v[17:18]
	v_cndmask_b32_e64 v4, 0, 1, s[0:1]
	v_cmp_eq_f64_e64 s[0:1], s[8:9], v[19:20]
	v_cndmask_b32_e32 v3, v4, v3, vcc
	v_cndmask_b32_e64 v4, 0, 1, s[0:1]
	v_cmp_neq_f64_e64 s[0:1], s[8:9], v[19:20]
	v_cndmask_b32_e64 v5, 0, 1, s[0:1]
	v_cndmask_b32_e32 v4, v5, v4, vcc
	v_and_b32_e32 v4, 1, v4
	v_cmp_eq_u32_e64 s[0:1], 1, v4
	v_cndmask_b32_e64 v4, 0, v37, s[0:1]
	s_waitcnt vmcnt(2)
	v_cmp_eq_f64_e64 s[0:1], s[8:9], v[21:22]
	v_and_or_b32 v3, v3, 1, v4
	v_cndmask_b32_e64 v4, 0, 1, s[0:1]
	v_cmp_neq_f64_e64 s[0:1], s[8:9], v[21:22]
	v_cndmask_b32_e64 v5, 0, 1, s[0:1]
	v_cndmask_b32_e32 v4, v5, v4, vcc
	v_and_b32_e32 v4, 1, v4
	v_cmp_eq_u32_e64 s[0:1], 1, v4
	v_cndmask_b32_e64 v4, 0, v38, s[0:1]
	v_cmp_eq_f64_e64 s[0:1], s[8:9], v[23:24]
	v_cndmask_b32_e64 v5, 0, 1, s[0:1]
	v_cmp_neq_f64_e64 s[0:1], s[8:9], v[23:24]
	v_cndmask_b32_e64 v6, 0, 1, s[0:1]
	v_cndmask_b32_e32 v5, v6, v5, vcc
	v_and_b32_e32 v5, 1, v5
	v_cmp_eq_u32_e64 s[0:1], 1, v5
	v_cndmask_b32_e64 v5, 0, v39, s[0:1]
	s_waitcnt vmcnt(1)
	v_cmp_eq_f64_e64 s[0:1], s[8:9], v[25:26]
	v_or3_b32 v3, v3, v4, v5
	v_cndmask_b32_e64 v4, 0, 1, s[0:1]
	v_cmp_neq_f64_e64 s[0:1], s[8:9], v[25:26]
	v_cndmask_b32_e64 v5, 0, 1, s[0:1]
	v_cmp_eq_f64_e64 s[0:1], s[8:9], v[27:28]
	v_cndmask_b32_e32 v4, v5, v4, vcc
	v_cndmask_b32_e64 v5, 0, 1, s[0:1]
	v_cmp_neq_f64_e64 s[0:1], s[8:9], v[27:28]
	v_cndmask_b32_e64 v6, 0, 1, s[0:1]
	v_cndmask_b32_e32 v5, v6, v5, vcc
	v_and_b32_e32 v5, 1, v5
	v_cmp_eq_u32_e64 s[0:1], 1, v5
	v_cndmask_b32_e64 v5, 0, v37, s[0:1]
	s_waitcnt vmcnt(0)
	v_cmp_eq_f64_e64 s[0:1], s[8:9], v[29:30]
	v_and_or_b32 v4, v4, 1, v5
	v_cndmask_b32_e64 v5, 0, 1, s[0:1]
	v_cmp_neq_f64_e64 s[0:1], s[8:9], v[29:30]
	v_cndmask_b32_e64 v6, 0, 1, s[0:1]
	v_cndmask_b32_e32 v5, v6, v5, vcc
	v_and_b32_e32 v5, 1, v5
	v_cmp_eq_u32_e64 s[0:1], 1, v5
	v_cndmask_b32_e64 v5, 0, v38, s[0:1]
	v_cmp_eq_f64_e64 s[0:1], s[8:9], v[31:32]
	v_cndmask_b32_e64 v6, 0, 1, s[0:1]
	v_cmp_neq_f64_e64 s[0:1], s[8:9], v[31:32]
	v_cndmask_b32_e64 v7, 0, 1, s[0:1]
	v_cndmask_b32_e32 v6, v7, v6, vcc
	v_and_b32_e32 v6, 1, v6
	v_cmp_eq_u32_e32 vcc, 1, v6
	v_cndmask_b32_e32 v6, 0, v39, vcc
	s_add_u32 s0, s10, s6
	v_or3_b32 v4, v4, v5, v6
	s_addc_u32 s1, s11, s7
	v_lshlrev_b32_e32 v5, 2, v0
	global_store_dword v5, v1, s[0:1]
	global_store_dword v5, v2, s[0:1] offset:1024
	global_store_dword v5, v3, s[0:1] offset:2048
	;; [unrolled: 1-line block ×3, first 2 shown]
	s_mov_b64 s[0:1], 0
.LBB90_2:
	s_andn2_b64 vcc, exec, s[0:1]
	s_cbranch_vccnz .LBB90_52
; %bb.3:
	v_mov_b32_e32 v1, 0
	v_mov_b32_e32 v6, 0
	v_cmp_gt_i32_e32 vcc, s14, v0
	v_mov_b32_e32 v2, 0
	v_or_b32_e32 v3, s6, v0
	v_mov_b32_e32 v7, 0
	v_mov_b32_e32 v34, v0
	s_and_saveexec_b64 s[2:3], vcc
	s_cbranch_execz .LBB90_5
; %bb.4:
	v_mov_b32_e32 v4, 0
	v_lshlrev_b64 v[4:5], 3, v[3:4]
	v_mov_b32_e32 v6, s13
	v_add_co_u32_e64 v4, s[0:1], s12, v4
	v_addc_co_u32_e64 v5, s[0:1], v6, v5, s[0:1]
	global_load_dwordx2 v[6:7], v[4:5], off
	v_or_b32_e32 v34, 0x100, v0
.LBB90_5:
	s_or_b64 exec, exec, s[2:3]
	v_cmp_gt_i32_e64 s[0:1], s14, v34
	s_and_saveexec_b64 s[2:3], s[0:1]
	s_cbranch_execz .LBB90_7
; %bb.6:
	v_add_u32_e32 v1, s6, v34
	v_mov_b32_e32 v2, 0
	v_lshlrev_b64 v[1:2], 3, v[1:2]
	v_mov_b32_e32 v4, s13
	v_add_co_u32_e64 v1, s[0:1], s12, v1
	v_addc_co_u32_e64 v2, s[0:1], v4, v2, s[0:1]
	global_load_dwordx2 v[1:2], v[1:2], off
	v_add_u32_e32 v34, 0x100, v34
.LBB90_7:
	s_or_b64 exec, exec, s[2:3]
	v_mov_b32_e32 v4, 0
	v_mov_b32_e32 v10, 0
	v_mov_b32_e32 v5, 0
	v_mov_b32_e32 v11, 0
	v_cmp_gt_i32_e64 s[0:1], s14, v34
	s_and_saveexec_b64 s[2:3], s[0:1]
	s_cbranch_execz .LBB90_9
; %bb.8:
	v_add_u32_e32 v8, s6, v34
	v_mov_b32_e32 v9, 0
	v_lshlrev_b64 v[8:9], 3, v[8:9]
	v_mov_b32_e32 v10, s13
	v_add_co_u32_e64 v8, s[0:1], s12, v8
	v_addc_co_u32_e64 v9, s[0:1], v10, v9, s[0:1]
	global_load_dwordx2 v[10:11], v[8:9], off
	v_add_u32_e32 v34, 0x100, v34
.LBB90_9:
	s_or_b64 exec, exec, s[2:3]
	v_cmp_gt_i32_e64 s[0:1], s14, v34
	s_and_saveexec_b64 s[2:3], s[0:1]
	s_cbranch_execz .LBB90_11
; %bb.10:
	v_add_u32_e32 v4, s6, v34
	v_mov_b32_e32 v5, 0
	v_lshlrev_b64 v[4:5], 3, v[4:5]
	v_mov_b32_e32 v8, s13
	v_add_co_u32_e64 v4, s[0:1], s12, v4
	v_addc_co_u32_e64 v5, s[0:1], v8, v5, s[0:1]
	global_load_dwordx2 v[4:5], v[4:5], off
	v_add_u32_e32 v34, 0x100, v34
.LBB90_11:
	s_or_b64 exec, exec, s[2:3]
	v_mov_b32_e32 v8, 0
	v_mov_b32_e32 v14, 0
	v_mov_b32_e32 v9, 0
	v_mov_b32_e32 v15, 0
	v_cmp_gt_i32_e64 s[0:1], s14, v34
	s_and_saveexec_b64 s[2:3], s[0:1]
	s_cbranch_execz .LBB90_13
; %bb.12:
	v_add_u32_e32 v12, s6, v34
	v_mov_b32_e32 v13, 0
	v_lshlrev_b64 v[12:13], 3, v[12:13]
	v_mov_b32_e32 v14, s13
	v_add_co_u32_e64 v12, s[0:1], s12, v12
	v_addc_co_u32_e64 v13, s[0:1], v14, v13, s[0:1]
	global_load_dwordx2 v[14:15], v[12:13], off
	v_add_u32_e32 v34, 0x100, v34
.LBB90_13:
	;; [unrolled: 32-line block ×7, first 2 shown]
	s_or_b64 exec, exec, s[2:3]
	v_cmp_gt_i32_e64 s[0:1], s14, v34
	s_and_saveexec_b64 s[2:3], s[0:1]
	s_cbranch_execz .LBB90_35
; %bb.34:
	v_add_u32_e32 v28, s6, v34
	v_mov_b32_e32 v29, 0
	v_lshlrev_b64 v[28:29], 3, v[28:29]
	v_mov_b32_e32 v34, s13
	v_add_co_u32_e64 v28, s[0:1], s12, v28
	v_addc_co_u32_e64 v29, s[0:1], v34, v29, s[0:1]
	global_load_dwordx2 v[28:29], v[28:29], off
.LBB90_35:
	s_or_b64 exec, exec, s[2:3]
	s_cmp_eq_u32 s15, 0
	s_cselect_b64 s[0:1], -1, 0
	s_and_saveexec_b64 s[2:3], vcc
	s_cbranch_execnz .LBB90_53
; %bb.36:
	s_or_b64 exec, exec, s[2:3]
	v_cmp_gt_i32_e32 vcc, s14, v0
	s_and_saveexec_b64 s[2:3], vcc
	s_cbranch_execnz .LBB90_54
.LBB90_37:
	s_or_b64 exec, exec, s[2:3]
	v_cmp_gt_i32_e32 vcc, s14, v0
	s_and_saveexec_b64 s[2:3], vcc
	s_cbranch_execnz .LBB90_55
.LBB90_38:
	s_or_b64 exec, exec, s[2:3]
	v_cmp_gt_i32_e32 vcc, s14, v0
	s_and_saveexec_b64 s[2:3], vcc
	s_cbranch_execnz .LBB90_56
.LBB90_39:
	s_or_b64 exec, exec, s[2:3]
	v_cmp_gt_i32_e32 vcc, s14, v0
	s_and_saveexec_b64 s[2:3], vcc
	s_cbranch_execnz .LBB90_57
.LBB90_40:
	s_or_b64 exec, exec, s[2:3]
	v_cmp_gt_i32_e32 vcc, s14, v0
	s_and_saveexec_b64 s[2:3], vcc
	s_cbranch_execnz .LBB90_58
.LBB90_41:
	s_or_b64 exec, exec, s[2:3]
	v_cmp_gt_i32_e32 vcc, s14, v0
	s_and_saveexec_b64 s[2:3], vcc
	s_cbranch_execnz .LBB90_59
.LBB90_42:
	s_or_b64 exec, exec, s[2:3]
	v_cmp_gt_i32_e32 vcc, s14, v0
	s_and_saveexec_b64 s[2:3], vcc
	s_cbranch_execnz .LBB90_60
.LBB90_43:
	s_or_b64 exec, exec, s[2:3]
	v_cmp_gt_i32_e32 vcc, s14, v0
	s_and_saveexec_b64 s[2:3], vcc
	s_cbranch_execnz .LBB90_61
.LBB90_44:
	s_or_b64 exec, exec, s[2:3]
	v_cmp_gt_i32_e32 vcc, s14, v0
	s_and_saveexec_b64 s[2:3], vcc
	s_cbranch_execnz .LBB90_62
.LBB90_45:
	s_or_b64 exec, exec, s[2:3]
	v_cmp_gt_i32_e32 vcc, s14, v0
	s_and_saveexec_b64 s[2:3], vcc
	s_cbranch_execnz .LBB90_63
.LBB90_46:
	s_or_b64 exec, exec, s[2:3]
	v_cmp_gt_i32_e32 vcc, s14, v0
	s_and_saveexec_b64 s[2:3], vcc
	s_cbranch_execnz .LBB90_64
.LBB90_47:
	s_or_b64 exec, exec, s[2:3]
	v_cmp_gt_i32_e32 vcc, s14, v0
	s_and_saveexec_b64 s[2:3], vcc
	s_cbranch_execnz .LBB90_65
.LBB90_48:
	s_or_b64 exec, exec, s[2:3]
	v_cmp_gt_i32_e32 vcc, s14, v0
	s_and_saveexec_b64 s[2:3], vcc
	s_cbranch_execnz .LBB90_66
.LBB90_49:
	s_or_b64 exec, exec, s[2:3]
	v_cmp_gt_i32_e32 vcc, s14, v0
	s_and_saveexec_b64 s[2:3], vcc
	s_cbranch_execnz .LBB90_67
.LBB90_50:
	s_or_b64 exec, exec, s[2:3]
	v_cmp_gt_i32_e32 vcc, s14, v0
	s_and_saveexec_b64 s[2:3], vcc
	s_cbranch_execz .LBB90_52
.LBB90_51:
	s_waitcnt vmcnt(0)
	v_cmp_eq_f64_e32 vcc, s[8:9], v[28:29]
	v_add_u32_e32 v0, s6, v0
	v_cndmask_b32_e64 v1, 0, 1, vcc
	v_cmp_neq_f64_e32 vcc, s[8:9], v[28:29]
	v_cndmask_b32_e64 v2, 0, 1, vcc
	v_cndmask_b32_e64 v1, v2, v1, s[0:1]
	v_and_b32_e32 v1, 1, v1
	global_store_byte v0, v1, s[10:11]
.LBB90_52:
	s_endpgm
.LBB90_53:
	s_waitcnt vmcnt(0)
	v_cmp_eq_f64_e32 vcc, s[8:9], v[6:7]
	v_or_b32_e32 v0, 0x100, v0
	v_cndmask_b32_e64 v34, 0, 1, vcc
	v_cmp_neq_f64_e32 vcc, s[8:9], v[6:7]
	v_cndmask_b32_e64 v6, 0, 1, vcc
	v_cndmask_b32_e64 v6, v6, v34, s[0:1]
	v_and_b32_e32 v6, 1, v6
	global_store_byte v3, v6, s[10:11]
	s_or_b64 exec, exec, s[2:3]
	v_cmp_gt_i32_e32 vcc, s14, v0
	s_and_saveexec_b64 s[2:3], vcc
	s_cbranch_execz .LBB90_37
.LBB90_54:
	s_waitcnt vmcnt(0)
	v_cmp_eq_f64_e32 vcc, s[8:9], v[1:2]
	v_cndmask_b32_e64 v3, 0, 1, vcc
	v_cmp_neq_f64_e32 vcc, s[8:9], v[1:2]
	v_add_u32_e32 v2, s6, v0
	v_add_u32_e32 v0, 0x100, v0
	v_cndmask_b32_e64 v1, 0, 1, vcc
	v_cndmask_b32_e64 v1, v1, v3, s[0:1]
	v_and_b32_e32 v1, 1, v1
	global_store_byte v2, v1, s[10:11]
	s_or_b64 exec, exec, s[2:3]
	v_cmp_gt_i32_e32 vcc, s14, v0
	s_and_saveexec_b64 s[2:3], vcc
	s_cbranch_execz .LBB90_38
.LBB90_55:
	s_waitcnt vmcnt(0)
	v_cmp_eq_f64_e32 vcc, s[8:9], v[10:11]
	v_cndmask_b32_e64 v1, 0, 1, vcc
	v_cmp_neq_f64_e32 vcc, s[8:9], v[10:11]
	v_cndmask_b32_e64 v2, 0, 1, vcc
	v_cndmask_b32_e64 v1, v2, v1, s[0:1]
	v_and_b32_e32 v1, 1, v1
	v_add_u32_e32 v2, s6, v0
	v_add_u32_e32 v0, 0x100, v0
	global_store_byte v2, v1, s[10:11]
	s_or_b64 exec, exec, s[2:3]
	v_cmp_gt_i32_e32 vcc, s14, v0
	s_and_saveexec_b64 s[2:3], vcc
	s_cbranch_execz .LBB90_39
.LBB90_56:
	s_waitcnt vmcnt(0)
	v_cmp_eq_f64_e32 vcc, s[8:9], v[4:5]
	v_cndmask_b32_e64 v1, 0, 1, vcc
	v_cmp_neq_f64_e32 vcc, s[8:9], v[4:5]
	v_cndmask_b32_e64 v2, 0, 1, vcc
	v_cndmask_b32_e64 v1, v2, v1, s[0:1]
	v_and_b32_e32 v1, 1, v1
	v_add_u32_e32 v2, s6, v0
	v_add_u32_e32 v0, 0x100, v0
	global_store_byte v2, v1, s[10:11]
	s_or_b64 exec, exec, s[2:3]
	v_cmp_gt_i32_e32 vcc, s14, v0
	s_and_saveexec_b64 s[2:3], vcc
	s_cbranch_execz .LBB90_40
.LBB90_57:
	s_waitcnt vmcnt(0)
	v_cmp_eq_f64_e32 vcc, s[8:9], v[14:15]
	v_cndmask_b32_e64 v1, 0, 1, vcc
	v_cmp_neq_f64_e32 vcc, s[8:9], v[14:15]
	v_cndmask_b32_e64 v2, 0, 1, vcc
	v_cndmask_b32_e64 v1, v2, v1, s[0:1]
	v_and_b32_e32 v1, 1, v1
	v_add_u32_e32 v2, s6, v0
	v_add_u32_e32 v0, 0x100, v0
	global_store_byte v2, v1, s[10:11]
	s_or_b64 exec, exec, s[2:3]
	v_cmp_gt_i32_e32 vcc, s14, v0
	s_and_saveexec_b64 s[2:3], vcc
	s_cbranch_execz .LBB90_41
.LBB90_58:
	s_waitcnt vmcnt(0)
	v_cmp_eq_f64_e32 vcc, s[8:9], v[8:9]
	v_cndmask_b32_e64 v1, 0, 1, vcc
	v_cmp_neq_f64_e32 vcc, s[8:9], v[8:9]
	v_cndmask_b32_e64 v2, 0, 1, vcc
	v_cndmask_b32_e64 v1, v2, v1, s[0:1]
	v_and_b32_e32 v1, 1, v1
	v_add_u32_e32 v2, s6, v0
	v_add_u32_e32 v0, 0x100, v0
	global_store_byte v2, v1, s[10:11]
	s_or_b64 exec, exec, s[2:3]
	v_cmp_gt_i32_e32 vcc, s14, v0
	s_and_saveexec_b64 s[2:3], vcc
	s_cbranch_execz .LBB90_42
.LBB90_59:
	s_waitcnt vmcnt(0)
	v_cmp_eq_f64_e32 vcc, s[8:9], v[18:19]
	v_cndmask_b32_e64 v1, 0, 1, vcc
	v_cmp_neq_f64_e32 vcc, s[8:9], v[18:19]
	v_cndmask_b32_e64 v2, 0, 1, vcc
	v_cndmask_b32_e64 v1, v2, v1, s[0:1]
	v_and_b32_e32 v1, 1, v1
	v_add_u32_e32 v2, s6, v0
	v_add_u32_e32 v0, 0x100, v0
	global_store_byte v2, v1, s[10:11]
	s_or_b64 exec, exec, s[2:3]
	v_cmp_gt_i32_e32 vcc, s14, v0
	s_and_saveexec_b64 s[2:3], vcc
	s_cbranch_execz .LBB90_43
.LBB90_60:
	s_waitcnt vmcnt(0)
	v_cmp_eq_f64_e32 vcc, s[8:9], v[12:13]
	v_cndmask_b32_e64 v1, 0, 1, vcc
	v_cmp_neq_f64_e32 vcc, s[8:9], v[12:13]
	v_cndmask_b32_e64 v2, 0, 1, vcc
	v_cndmask_b32_e64 v1, v2, v1, s[0:1]
	v_and_b32_e32 v1, 1, v1
	v_add_u32_e32 v2, s6, v0
	v_add_u32_e32 v0, 0x100, v0
	global_store_byte v2, v1, s[10:11]
	s_or_b64 exec, exec, s[2:3]
	v_cmp_gt_i32_e32 vcc, s14, v0
	s_and_saveexec_b64 s[2:3], vcc
	s_cbranch_execz .LBB90_44
.LBB90_61:
	s_waitcnt vmcnt(0)
	v_cmp_eq_f64_e32 vcc, s[8:9], v[22:23]
	v_cndmask_b32_e64 v1, 0, 1, vcc
	v_cmp_neq_f64_e32 vcc, s[8:9], v[22:23]
	v_cndmask_b32_e64 v2, 0, 1, vcc
	v_cndmask_b32_e64 v1, v2, v1, s[0:1]
	v_and_b32_e32 v1, 1, v1
	v_add_u32_e32 v2, s6, v0
	v_add_u32_e32 v0, 0x100, v0
	global_store_byte v2, v1, s[10:11]
	s_or_b64 exec, exec, s[2:3]
	v_cmp_gt_i32_e32 vcc, s14, v0
	s_and_saveexec_b64 s[2:3], vcc
	s_cbranch_execz .LBB90_45
.LBB90_62:
	s_waitcnt vmcnt(0)
	v_cmp_eq_f64_e32 vcc, s[8:9], v[16:17]
	v_cndmask_b32_e64 v1, 0, 1, vcc
	v_cmp_neq_f64_e32 vcc, s[8:9], v[16:17]
	v_cndmask_b32_e64 v2, 0, 1, vcc
	v_cndmask_b32_e64 v1, v2, v1, s[0:1]
	v_and_b32_e32 v1, 1, v1
	v_add_u32_e32 v2, s6, v0
	v_add_u32_e32 v0, 0x100, v0
	global_store_byte v2, v1, s[10:11]
	s_or_b64 exec, exec, s[2:3]
	v_cmp_gt_i32_e32 vcc, s14, v0
	s_and_saveexec_b64 s[2:3], vcc
	s_cbranch_execz .LBB90_46
.LBB90_63:
	s_waitcnt vmcnt(0)
	v_cmp_eq_f64_e32 vcc, s[8:9], v[26:27]
	v_cndmask_b32_e64 v1, 0, 1, vcc
	v_cmp_neq_f64_e32 vcc, s[8:9], v[26:27]
	v_cndmask_b32_e64 v2, 0, 1, vcc
	v_cndmask_b32_e64 v1, v2, v1, s[0:1]
	v_and_b32_e32 v1, 1, v1
	v_add_u32_e32 v2, s6, v0
	v_add_u32_e32 v0, 0x100, v0
	global_store_byte v2, v1, s[10:11]
	s_or_b64 exec, exec, s[2:3]
	v_cmp_gt_i32_e32 vcc, s14, v0
	s_and_saveexec_b64 s[2:3], vcc
	s_cbranch_execz .LBB90_47
.LBB90_64:
	s_waitcnt vmcnt(0)
	v_cmp_eq_f64_e32 vcc, s[8:9], v[20:21]
	v_cndmask_b32_e64 v1, 0, 1, vcc
	v_cmp_neq_f64_e32 vcc, s[8:9], v[20:21]
	v_cndmask_b32_e64 v2, 0, 1, vcc
	v_cndmask_b32_e64 v1, v2, v1, s[0:1]
	v_and_b32_e32 v1, 1, v1
	v_add_u32_e32 v2, s6, v0
	v_add_u32_e32 v0, 0x100, v0
	global_store_byte v2, v1, s[10:11]
	s_or_b64 exec, exec, s[2:3]
	v_cmp_gt_i32_e32 vcc, s14, v0
	s_and_saveexec_b64 s[2:3], vcc
	s_cbranch_execz .LBB90_48
.LBB90_65:
	s_waitcnt vmcnt(0)
	v_cmp_eq_f64_e32 vcc, s[8:9], v[30:31]
	v_cndmask_b32_e64 v1, 0, 1, vcc
	v_cmp_neq_f64_e32 vcc, s[8:9], v[30:31]
	v_cndmask_b32_e64 v2, 0, 1, vcc
	v_cndmask_b32_e64 v1, v2, v1, s[0:1]
	v_and_b32_e32 v1, 1, v1
	v_add_u32_e32 v2, s6, v0
	v_add_u32_e32 v0, 0x100, v0
	global_store_byte v2, v1, s[10:11]
	s_or_b64 exec, exec, s[2:3]
	v_cmp_gt_i32_e32 vcc, s14, v0
	s_and_saveexec_b64 s[2:3], vcc
	s_cbranch_execz .LBB90_49
.LBB90_66:
	s_waitcnt vmcnt(0)
	v_cmp_eq_f64_e32 vcc, s[8:9], v[24:25]
	v_cndmask_b32_e64 v1, 0, 1, vcc
	v_cmp_neq_f64_e32 vcc, s[8:9], v[24:25]
	v_cndmask_b32_e64 v2, 0, 1, vcc
	v_cndmask_b32_e64 v1, v2, v1, s[0:1]
	v_and_b32_e32 v1, 1, v1
	v_add_u32_e32 v2, s6, v0
	v_add_u32_e32 v0, 0x100, v0
	global_store_byte v2, v1, s[10:11]
	s_or_b64 exec, exec, s[2:3]
	v_cmp_gt_i32_e32 vcc, s14, v0
	s_and_saveexec_b64 s[2:3], vcc
	s_cbranch_execz .LBB90_50
.LBB90_67:
	s_waitcnt vmcnt(0)
	v_cmp_eq_f64_e32 vcc, s[8:9], v[32:33]
	v_cndmask_b32_e64 v1, 0, 1, vcc
	v_cmp_neq_f64_e32 vcc, s[8:9], v[32:33]
	v_cndmask_b32_e64 v2, 0, 1, vcc
	v_cndmask_b32_e64 v1, v2, v1, s[0:1]
	v_and_b32_e32 v1, 1, v1
	v_add_u32_e32 v2, s6, v0
	v_add_u32_e32 v0, 0x100, v0
	global_store_byte v2, v1, s[10:11]
	s_or_b64 exec, exec, s[2:3]
	v_cmp_gt_i32_e32 vcc, s14, v0
	s_and_saveexec_b64 s[2:3], vcc
	s_cbranch_execnz .LBB90_51
	s_branch .LBB90_52
	.section	.rodata,"a",@progbits
	.p2align	6, 0x0
	.amdhsa_kernel _ZN2at6native29vectorized_elementwise_kernelILi4ENS0_13AUnaryFunctorIddbNS0_12_GLOBAL__N_116CompareEqFunctorIdEEEESt5arrayIPcLm2EEEEviT0_T1_
		.amdhsa_group_segment_fixed_size 0
		.amdhsa_private_segment_fixed_size 0
		.amdhsa_kernarg_size 40
		.amdhsa_user_sgpr_count 6
		.amdhsa_user_sgpr_private_segment_buffer 1
		.amdhsa_user_sgpr_dispatch_ptr 0
		.amdhsa_user_sgpr_queue_ptr 0
		.amdhsa_user_sgpr_kernarg_segment_ptr 1
		.amdhsa_user_sgpr_dispatch_id 0
		.amdhsa_user_sgpr_flat_scratch_init 0
		.amdhsa_user_sgpr_private_segment_size 0
		.amdhsa_uses_dynamic_stack 0
		.amdhsa_system_sgpr_private_segment_wavefront_offset 0
		.amdhsa_system_sgpr_workgroup_id_x 1
		.amdhsa_system_sgpr_workgroup_id_y 0
		.amdhsa_system_sgpr_workgroup_id_z 0
		.amdhsa_system_sgpr_workgroup_info 0
		.amdhsa_system_vgpr_workitem_id 0
		.amdhsa_next_free_vgpr 40
		.amdhsa_next_free_sgpr 16
		.amdhsa_reserve_vcc 1
		.amdhsa_reserve_flat_scratch 0
		.amdhsa_float_round_mode_32 0
		.amdhsa_float_round_mode_16_64 0
		.amdhsa_float_denorm_mode_32 3
		.amdhsa_float_denorm_mode_16_64 3
		.amdhsa_dx10_clamp 1
		.amdhsa_ieee_mode 1
		.amdhsa_fp16_overflow 0
		.amdhsa_exception_fp_ieee_invalid_op 0
		.amdhsa_exception_fp_denorm_src 0
		.amdhsa_exception_fp_ieee_div_zero 0
		.amdhsa_exception_fp_ieee_overflow 0
		.amdhsa_exception_fp_ieee_underflow 0
		.amdhsa_exception_fp_ieee_inexact 0
		.amdhsa_exception_int_div_zero 0
	.end_amdhsa_kernel
	.section	.text._ZN2at6native29vectorized_elementwise_kernelILi4ENS0_13AUnaryFunctorIddbNS0_12_GLOBAL__N_116CompareEqFunctorIdEEEESt5arrayIPcLm2EEEEviT0_T1_,"axG",@progbits,_ZN2at6native29vectorized_elementwise_kernelILi4ENS0_13AUnaryFunctorIddbNS0_12_GLOBAL__N_116CompareEqFunctorIdEEEESt5arrayIPcLm2EEEEviT0_T1_,comdat
.Lfunc_end90:
	.size	_ZN2at6native29vectorized_elementwise_kernelILi4ENS0_13AUnaryFunctorIddbNS0_12_GLOBAL__N_116CompareEqFunctorIdEEEESt5arrayIPcLm2EEEEviT0_T1_, .Lfunc_end90-_ZN2at6native29vectorized_elementwise_kernelILi4ENS0_13AUnaryFunctorIddbNS0_12_GLOBAL__N_116CompareEqFunctorIdEEEESt5arrayIPcLm2EEEEviT0_T1_
                                        ; -- End function
	.set _ZN2at6native29vectorized_elementwise_kernelILi4ENS0_13AUnaryFunctorIddbNS0_12_GLOBAL__N_116CompareEqFunctorIdEEEESt5arrayIPcLm2EEEEviT0_T1_.num_vgpr, 40
	.set _ZN2at6native29vectorized_elementwise_kernelILi4ENS0_13AUnaryFunctorIddbNS0_12_GLOBAL__N_116CompareEqFunctorIdEEEESt5arrayIPcLm2EEEEviT0_T1_.num_agpr, 0
	.set _ZN2at6native29vectorized_elementwise_kernelILi4ENS0_13AUnaryFunctorIddbNS0_12_GLOBAL__N_116CompareEqFunctorIdEEEESt5arrayIPcLm2EEEEviT0_T1_.numbered_sgpr, 16
	.set _ZN2at6native29vectorized_elementwise_kernelILi4ENS0_13AUnaryFunctorIddbNS0_12_GLOBAL__N_116CompareEqFunctorIdEEEESt5arrayIPcLm2EEEEviT0_T1_.num_named_barrier, 0
	.set _ZN2at6native29vectorized_elementwise_kernelILi4ENS0_13AUnaryFunctorIddbNS0_12_GLOBAL__N_116CompareEqFunctorIdEEEESt5arrayIPcLm2EEEEviT0_T1_.private_seg_size, 0
	.set _ZN2at6native29vectorized_elementwise_kernelILi4ENS0_13AUnaryFunctorIddbNS0_12_GLOBAL__N_116CompareEqFunctorIdEEEESt5arrayIPcLm2EEEEviT0_T1_.uses_vcc, 1
	.set _ZN2at6native29vectorized_elementwise_kernelILi4ENS0_13AUnaryFunctorIddbNS0_12_GLOBAL__N_116CompareEqFunctorIdEEEESt5arrayIPcLm2EEEEviT0_T1_.uses_flat_scratch, 0
	.set _ZN2at6native29vectorized_elementwise_kernelILi4ENS0_13AUnaryFunctorIddbNS0_12_GLOBAL__N_116CompareEqFunctorIdEEEESt5arrayIPcLm2EEEEviT0_T1_.has_dyn_sized_stack, 0
	.set _ZN2at6native29vectorized_elementwise_kernelILi4ENS0_13AUnaryFunctorIddbNS0_12_GLOBAL__N_116CompareEqFunctorIdEEEESt5arrayIPcLm2EEEEviT0_T1_.has_recursion, 0
	.set _ZN2at6native29vectorized_elementwise_kernelILi4ENS0_13AUnaryFunctorIddbNS0_12_GLOBAL__N_116CompareEqFunctorIdEEEESt5arrayIPcLm2EEEEviT0_T1_.has_indirect_call, 0
	.section	.AMDGPU.csdata,"",@progbits
; Kernel info:
; codeLenInByte = 3896
; TotalNumSgprs: 20
; NumVgprs: 40
; ScratchSize: 0
; MemoryBound: 0
; FloatMode: 240
; IeeeMode: 1
; LDSByteSize: 0 bytes/workgroup (compile time only)
; SGPRBlocks: 2
; VGPRBlocks: 9
; NumSGPRsForWavesPerEU: 20
; NumVGPRsForWavesPerEU: 40
; Occupancy: 6
; WaveLimiterHint : 1
; COMPUTE_PGM_RSRC2:SCRATCH_EN: 0
; COMPUTE_PGM_RSRC2:USER_SGPR: 6
; COMPUTE_PGM_RSRC2:TRAP_HANDLER: 0
; COMPUTE_PGM_RSRC2:TGID_X_EN: 1
; COMPUTE_PGM_RSRC2:TGID_Y_EN: 0
; COMPUTE_PGM_RSRC2:TGID_Z_EN: 0
; COMPUTE_PGM_RSRC2:TIDIG_COMP_CNT: 0
	.section	.text._ZN2at6native29vectorized_elementwise_kernelILi2ENS0_13AUnaryFunctorIddbNS0_12_GLOBAL__N_116CompareEqFunctorIdEEEESt5arrayIPcLm2EEEEviT0_T1_,"axG",@progbits,_ZN2at6native29vectorized_elementwise_kernelILi2ENS0_13AUnaryFunctorIddbNS0_12_GLOBAL__N_116CompareEqFunctorIdEEEESt5arrayIPcLm2EEEEviT0_T1_,comdat
	.globl	_ZN2at6native29vectorized_elementwise_kernelILi2ENS0_13AUnaryFunctorIddbNS0_12_GLOBAL__N_116CompareEqFunctorIdEEEESt5arrayIPcLm2EEEEviT0_T1_ ; -- Begin function _ZN2at6native29vectorized_elementwise_kernelILi2ENS0_13AUnaryFunctorIddbNS0_12_GLOBAL__N_116CompareEqFunctorIdEEEESt5arrayIPcLm2EEEEviT0_T1_
	.p2align	8
	.type	_ZN2at6native29vectorized_elementwise_kernelILi2ENS0_13AUnaryFunctorIddbNS0_12_GLOBAL__N_116CompareEqFunctorIdEEEESt5arrayIPcLm2EEEEviT0_T1_,@function
_ZN2at6native29vectorized_elementwise_kernelILi2ENS0_13AUnaryFunctorIddbNS0_12_GLOBAL__N_116CompareEqFunctorIdEEEESt5arrayIPcLm2EEEEviT0_T1_: ; @_ZN2at6native29vectorized_elementwise_kernelILi2ENS0_13AUnaryFunctorIddbNS0_12_GLOBAL__N_116CompareEqFunctorIdEEEESt5arrayIPcLm2EEEEviT0_T1_
; %bb.0:
	s_load_dword s0, s[4:5], 0x0
	s_load_dword s7, s[4:5], 0x8
	s_load_dwordx4 s[8:11], s[4:5], 0x10
	s_load_dwordx2 s[12:13], s[4:5], 0x20
	s_lshl_b32 s2, s6, 12
	s_waitcnt lgkmcnt(0)
	s_sub_i32 s6, s0, s2
	s_cmpk_gt_i32 s6, 0xfff
	s_mov_b64 s[0:1], -1
	s_cbranch_scc0 .LBB91_2
; %bb.1:
	s_ashr_i32 s3, s2, 31
	s_lshl_b64 s[0:1], s[2:3], 3
	s_add_u32 s0, s12, s0
	s_addc_u32 s1, s13, s1
	v_lshlrev_b32_e32 v5, 4, v0
	global_load_dwordx4 v[1:4], v5, s[0:1]
	v_mov_b32_e32 v6, s1
	v_add_co_u32_e32 v25, vcc, s0, v5
	v_addc_co_u32_e32 v26, vcc, 0, v6, vcc
	v_add_co_u32_e32 v5, vcc, 0x1000, v25
	v_addc_co_u32_e32 v6, vcc, 0, v26, vcc
	global_load_dwordx4 v[5:8], v[5:6], off
	v_add_co_u32_e32 v9, vcc, 0x2000, v25
	v_addc_co_u32_e32 v10, vcc, 0, v26, vcc
	global_load_dwordx4 v[9:12], v[9:10], off
	v_add_co_u32_e32 v13, vcc, 0x3000, v25
	v_addc_co_u32_e32 v14, vcc, 0, v26, vcc
	v_add_co_u32_e32 v17, vcc, 0x4000, v25
	v_addc_co_u32_e32 v18, vcc, 0, v26, vcc
	;; [unrolled: 2-line block ×5, first 2 shown]
	global_load_dwordx4 v[13:16], v[13:14], off
	s_cmp_eq_u32 s7, 0
	global_load_dwordx4 v[17:20], v[17:18], off
	v_mov_b32_e32 v37, 0x100
	global_load_dwordx4 v[21:24], v[21:22], off
	s_nop 0
	global_load_dwordx4 v[25:28], v[33:34], off
	global_load_dwordx4 v[29:32], v[35:36], off
	s_waitcnt vmcnt(7)
	v_cmp_eq_f64_e32 vcc, s[8:9], v[1:2]
	v_cmp_eq_f64_e64 s[0:1], s[8:9], v[3:4]
	v_cndmask_b32_e64 v33, 0, 1, vcc
	v_cmp_neq_f64_e32 vcc, s[8:9], v[1:2]
	v_cndmask_b32_e64 v2, 0, 1, s[0:1]
	v_cndmask_b32_e64 v1, 0, 1, vcc
	v_cmp_neq_f64_e32 vcc, s[8:9], v[3:4]
	v_cndmask_b32_e64 v3, 0, 1, vcc
	s_cselect_b64 vcc, -1, 0
	v_cndmask_b32_e32 v2, v3, v2, vcc
	v_and_b32_e32 v2, 1, v2
	v_cmp_eq_u32_e64 s[0:1], 1, v2
	v_cndmask_b32_e64 v2, 0, v37, s[0:1]
	s_waitcnt vmcnt(6)
	v_cmp_eq_f64_e64 s[0:1], s[8:9], v[5:6]
	v_cndmask_b32_e32 v1, v1, v33, vcc
	v_and_b32_e32 v1, 1, v1
	v_or_b32_e32 v1, v2, v1
	v_cndmask_b32_e64 v3, 0, 1, s[0:1]
	v_cmp_neq_f64_e64 s[0:1], s[8:9], v[5:6]
	v_cndmask_b32_e64 v4, 0, 1, s[0:1]
	v_cmp_eq_f64_e64 s[0:1], s[8:9], v[7:8]
	v_cndmask_b32_e32 v2, v4, v3, vcc
	v_and_b32_e32 v2, 1, v2
	v_cndmask_b32_e64 v5, 0, 1, s[0:1]
	v_cmp_neq_f64_e64 s[0:1], s[8:9], v[7:8]
	v_cndmask_b32_e64 v6, 0, 1, s[0:1]
	s_waitcnt vmcnt(5)
	v_cmp_eq_f64_e64 s[0:1], s[8:9], v[9:10]
	v_cndmask_b32_e32 v3, v6, v5, vcc
	v_and_b32_e32 v3, 1, v3
	v_cndmask_b32_e64 v4, 0, 1, s[0:1]
	v_cmp_neq_f64_e64 s[0:1], s[8:9], v[9:10]
	v_cndmask_b32_e64 v5, 0, 1, s[0:1]
	v_cmp_eq_u32_e64 s[0:1], 1, v3
	v_cndmask_b32_e64 v3, 0, v37, s[0:1]
	v_cmp_eq_f64_e64 s[0:1], s[8:9], v[11:12]
	v_or_b32_e32 v2, v3, v2
	v_cndmask_b32_e32 v4, v5, v4, vcc
	v_and_b32_e32 v4, 1, v4
	v_cndmask_b32_e64 v3, 0, 1, s[0:1]
	v_cmp_neq_f64_e64 s[0:1], s[8:9], v[11:12]
	v_cndmask_b32_e64 v5, 0, 1, s[0:1]
	v_cndmask_b32_e32 v3, v5, v3, vcc
	v_and_b32_e32 v3, 1, v3
	v_cmp_eq_u32_e64 s[0:1], 1, v3
	v_cndmask_b32_e64 v3, 0, v37, s[0:1]
	s_waitcnt vmcnt(4)
	v_cmp_eq_f64_e64 s[0:1], s[8:9], v[13:14]
	v_or_b32_e32 v3, v3, v4
	v_cndmask_b32_e64 v4, 0, 1, s[0:1]
	v_cmp_neq_f64_e64 s[0:1], s[8:9], v[13:14]
	v_cndmask_b32_e64 v5, 0, 1, s[0:1]
	v_cmp_eq_f64_e64 s[0:1], s[8:9], v[15:16]
	v_cndmask_b32_e32 v4, v5, v4, vcc
	v_and_b32_e32 v4, 1, v4
	v_cndmask_b32_e64 v5, 0, 1, s[0:1]
	v_cmp_neq_f64_e64 s[0:1], s[8:9], v[15:16]
	v_cndmask_b32_e64 v6, 0, 1, s[0:1]
	v_cndmask_b32_e32 v5, v6, v5, vcc
	v_and_b32_e32 v5, 1, v5
	v_cmp_eq_u32_e64 s[0:1], 1, v5
	v_cndmask_b32_e64 v5, 0, v37, s[0:1]
	s_waitcnt vmcnt(3)
	v_cmp_eq_f64_e64 s[0:1], s[8:9], v[17:18]
	v_or_b32_e32 v4, v5, v4
	v_cndmask_b32_e64 v5, 0, 1, s[0:1]
	v_cmp_neq_f64_e64 s[0:1], s[8:9], v[17:18]
	v_cndmask_b32_e64 v6, 0, 1, s[0:1]
	v_cmp_eq_f64_e64 s[0:1], s[8:9], v[19:20]
	v_cndmask_b32_e32 v5, v6, v5, vcc
	v_and_b32_e32 v5, 1, v5
	v_cndmask_b32_e64 v6, 0, 1, s[0:1]
	v_cmp_neq_f64_e64 s[0:1], s[8:9], v[19:20]
	v_cndmask_b32_e64 v7, 0, 1, s[0:1]
	v_cndmask_b32_e32 v6, v7, v6, vcc
	v_and_b32_e32 v6, 1, v6
	v_cmp_eq_u32_e64 s[0:1], 1, v6
	v_cndmask_b32_e64 v6, 0, v37, s[0:1]
	s_waitcnt vmcnt(2)
	v_cmp_eq_f64_e64 s[0:1], s[8:9], v[21:22]
	v_or_b32_e32 v5, v6, v5
	v_cndmask_b32_e64 v6, 0, 1, s[0:1]
	v_cmp_neq_f64_e64 s[0:1], s[8:9], v[21:22]
	v_cndmask_b32_e64 v7, 0, 1, s[0:1]
	v_cmp_eq_f64_e64 s[0:1], s[8:9], v[23:24]
	v_cndmask_b32_e32 v6, v7, v6, vcc
	v_and_b32_e32 v6, 1, v6
	v_cndmask_b32_e64 v7, 0, 1, s[0:1]
	v_cmp_neq_f64_e64 s[0:1], s[8:9], v[23:24]
	v_cndmask_b32_e64 v8, 0, 1, s[0:1]
	v_cndmask_b32_e32 v7, v8, v7, vcc
	v_and_b32_e32 v7, 1, v7
	v_cmp_eq_u32_e64 s[0:1], 1, v7
	v_cndmask_b32_e64 v7, 0, v37, s[0:1]
	s_waitcnt vmcnt(1)
	v_cmp_eq_f64_e64 s[0:1], s[8:9], v[25:26]
	v_or_b32_e32 v6, v7, v6
	v_cndmask_b32_e64 v7, 0, 1, s[0:1]
	v_cmp_neq_f64_e64 s[0:1], s[8:9], v[25:26]
	v_cndmask_b32_e64 v8, 0, 1, s[0:1]
	v_cmp_eq_f64_e64 s[0:1], s[8:9], v[27:28]
	v_cndmask_b32_e32 v7, v8, v7, vcc
	v_and_b32_e32 v7, 1, v7
	v_cndmask_b32_e64 v8, 0, 1, s[0:1]
	v_cmp_neq_f64_e64 s[0:1], s[8:9], v[27:28]
	v_cndmask_b32_e64 v9, 0, 1, s[0:1]
	v_cndmask_b32_e32 v8, v9, v8, vcc
	v_and_b32_e32 v8, 1, v8
	v_cmp_eq_u32_e64 s[0:1], 1, v8
	v_cndmask_b32_e64 v8, 0, v37, s[0:1]
	s_waitcnt vmcnt(0)
	v_cmp_eq_f64_e64 s[0:1], s[8:9], v[29:30]
	v_or_b32_e32 v7, v8, v7
	v_cndmask_b32_e64 v8, 0, 1, s[0:1]
	v_cmp_neq_f64_e64 s[0:1], s[8:9], v[29:30]
	v_cndmask_b32_e64 v9, 0, 1, s[0:1]
	v_cmp_eq_f64_e64 s[0:1], s[8:9], v[31:32]
	v_cndmask_b32_e32 v8, v9, v8, vcc
	v_and_b32_e32 v8, 1, v8
	v_cndmask_b32_e64 v9, 0, 1, s[0:1]
	v_cmp_neq_f64_e64 s[0:1], s[8:9], v[31:32]
	v_cndmask_b32_e64 v10, 0, 1, s[0:1]
	v_cndmask_b32_e32 v9, v10, v9, vcc
	v_and_b32_e32 v9, 1, v9
	v_cmp_eq_u32_e32 vcc, 1, v9
	v_cndmask_b32_e32 v9, 0, v37, vcc
	s_add_u32 s0, s10, s2
	v_or_b32_e32 v8, v9, v8
	s_addc_u32 s1, s11, s3
	v_lshlrev_b32_e32 v9, 1, v0
	global_store_short v9, v1, s[0:1]
	global_store_short v9, v2, s[0:1] offset:512
	global_store_short v9, v3, s[0:1] offset:1024
	;; [unrolled: 1-line block ×7, first 2 shown]
	s_mov_b64 s[0:1], 0
.LBB91_2:
	s_andn2_b64 vcc, exec, s[0:1]
	s_cbranch_vccnz .LBB91_52
; %bb.3:
	v_mov_b32_e32 v1, 0
	v_mov_b32_e32 v6, 0
	v_cmp_gt_i32_e32 vcc, s6, v0
	v_mov_b32_e32 v2, 0
	v_or_b32_e32 v3, s2, v0
	v_mov_b32_e32 v7, 0
	v_mov_b32_e32 v34, v0
	s_and_saveexec_b64 s[4:5], vcc
	s_cbranch_execz .LBB91_5
; %bb.4:
	v_mov_b32_e32 v4, 0
	v_lshlrev_b64 v[4:5], 3, v[3:4]
	v_mov_b32_e32 v6, s13
	v_add_co_u32_e64 v4, s[0:1], s12, v4
	v_addc_co_u32_e64 v5, s[0:1], v6, v5, s[0:1]
	global_load_dwordx2 v[6:7], v[4:5], off
	v_or_b32_e32 v34, 0x100, v0
.LBB91_5:
	s_or_b64 exec, exec, s[4:5]
	v_cmp_gt_i32_e64 s[0:1], s6, v34
	s_and_saveexec_b64 s[4:5], s[0:1]
	s_cbranch_execz .LBB91_7
; %bb.6:
	v_add_u32_e32 v1, s2, v34
	v_mov_b32_e32 v2, 0
	v_lshlrev_b64 v[1:2], 3, v[1:2]
	v_mov_b32_e32 v4, s13
	v_add_co_u32_e64 v1, s[0:1], s12, v1
	v_addc_co_u32_e64 v2, s[0:1], v4, v2, s[0:1]
	global_load_dwordx2 v[1:2], v[1:2], off
	v_add_u32_e32 v34, 0x100, v34
.LBB91_7:
	s_or_b64 exec, exec, s[4:5]
	v_mov_b32_e32 v4, 0
	v_mov_b32_e32 v10, 0
	v_mov_b32_e32 v5, 0
	v_mov_b32_e32 v11, 0
	v_cmp_gt_i32_e64 s[0:1], s6, v34
	s_and_saveexec_b64 s[4:5], s[0:1]
	s_cbranch_execz .LBB91_9
; %bb.8:
	v_add_u32_e32 v8, s2, v34
	v_mov_b32_e32 v9, 0
	v_lshlrev_b64 v[8:9], 3, v[8:9]
	v_mov_b32_e32 v10, s13
	v_add_co_u32_e64 v8, s[0:1], s12, v8
	v_addc_co_u32_e64 v9, s[0:1], v10, v9, s[0:1]
	global_load_dwordx2 v[10:11], v[8:9], off
	v_add_u32_e32 v34, 0x100, v34
.LBB91_9:
	s_or_b64 exec, exec, s[4:5]
	v_cmp_gt_i32_e64 s[0:1], s6, v34
	s_and_saveexec_b64 s[4:5], s[0:1]
	s_cbranch_execz .LBB91_11
; %bb.10:
	v_add_u32_e32 v4, s2, v34
	v_mov_b32_e32 v5, 0
	v_lshlrev_b64 v[4:5], 3, v[4:5]
	v_mov_b32_e32 v8, s13
	v_add_co_u32_e64 v4, s[0:1], s12, v4
	v_addc_co_u32_e64 v5, s[0:1], v8, v5, s[0:1]
	global_load_dwordx2 v[4:5], v[4:5], off
	v_add_u32_e32 v34, 0x100, v34
.LBB91_11:
	s_or_b64 exec, exec, s[4:5]
	v_mov_b32_e32 v8, 0
	v_mov_b32_e32 v14, 0
	v_mov_b32_e32 v9, 0
	v_mov_b32_e32 v15, 0
	v_cmp_gt_i32_e64 s[0:1], s6, v34
	s_and_saveexec_b64 s[4:5], s[0:1]
	s_cbranch_execz .LBB91_13
; %bb.12:
	v_add_u32_e32 v12, s2, v34
	v_mov_b32_e32 v13, 0
	v_lshlrev_b64 v[12:13], 3, v[12:13]
	v_mov_b32_e32 v14, s13
	v_add_co_u32_e64 v12, s[0:1], s12, v12
	v_addc_co_u32_e64 v13, s[0:1], v14, v13, s[0:1]
	global_load_dwordx2 v[14:15], v[12:13], off
	v_add_u32_e32 v34, 0x100, v34
.LBB91_13:
	;; [unrolled: 32-line block ×7, first 2 shown]
	s_or_b64 exec, exec, s[4:5]
	v_cmp_gt_i32_e64 s[0:1], s6, v34
	s_and_saveexec_b64 s[4:5], s[0:1]
	s_cbranch_execz .LBB91_35
; %bb.34:
	v_add_u32_e32 v28, s2, v34
	v_mov_b32_e32 v29, 0
	v_lshlrev_b64 v[28:29], 3, v[28:29]
	v_mov_b32_e32 v34, s13
	v_add_co_u32_e64 v28, s[0:1], s12, v28
	v_addc_co_u32_e64 v29, s[0:1], v34, v29, s[0:1]
	global_load_dwordx2 v[28:29], v[28:29], off
.LBB91_35:
	s_or_b64 exec, exec, s[4:5]
	s_cmp_eq_u32 s7, 0
	s_cselect_b64 s[0:1], -1, 0
	s_and_saveexec_b64 s[4:5], vcc
	s_cbranch_execnz .LBB91_53
; %bb.36:
	s_or_b64 exec, exec, s[4:5]
	v_cmp_gt_i32_e32 vcc, s6, v0
	s_and_saveexec_b64 s[4:5], vcc
	s_cbranch_execnz .LBB91_54
.LBB91_37:
	s_or_b64 exec, exec, s[4:5]
	v_cmp_gt_i32_e32 vcc, s6, v0
	s_and_saveexec_b64 s[4:5], vcc
	s_cbranch_execnz .LBB91_55
.LBB91_38:
	s_or_b64 exec, exec, s[4:5]
	v_cmp_gt_i32_e32 vcc, s6, v0
	s_and_saveexec_b64 s[4:5], vcc
	s_cbranch_execnz .LBB91_56
.LBB91_39:
	s_or_b64 exec, exec, s[4:5]
	v_cmp_gt_i32_e32 vcc, s6, v0
	s_and_saveexec_b64 s[4:5], vcc
	s_cbranch_execnz .LBB91_57
.LBB91_40:
	s_or_b64 exec, exec, s[4:5]
	v_cmp_gt_i32_e32 vcc, s6, v0
	s_and_saveexec_b64 s[4:5], vcc
	s_cbranch_execnz .LBB91_58
.LBB91_41:
	s_or_b64 exec, exec, s[4:5]
	v_cmp_gt_i32_e32 vcc, s6, v0
	s_and_saveexec_b64 s[4:5], vcc
	s_cbranch_execnz .LBB91_59
.LBB91_42:
	s_or_b64 exec, exec, s[4:5]
	v_cmp_gt_i32_e32 vcc, s6, v0
	s_and_saveexec_b64 s[4:5], vcc
	s_cbranch_execnz .LBB91_60
.LBB91_43:
	s_or_b64 exec, exec, s[4:5]
	v_cmp_gt_i32_e32 vcc, s6, v0
	s_and_saveexec_b64 s[4:5], vcc
	s_cbranch_execnz .LBB91_61
.LBB91_44:
	s_or_b64 exec, exec, s[4:5]
	v_cmp_gt_i32_e32 vcc, s6, v0
	s_and_saveexec_b64 s[4:5], vcc
	s_cbranch_execnz .LBB91_62
.LBB91_45:
	s_or_b64 exec, exec, s[4:5]
	v_cmp_gt_i32_e32 vcc, s6, v0
	s_and_saveexec_b64 s[4:5], vcc
	s_cbranch_execnz .LBB91_63
.LBB91_46:
	s_or_b64 exec, exec, s[4:5]
	v_cmp_gt_i32_e32 vcc, s6, v0
	s_and_saveexec_b64 s[4:5], vcc
	s_cbranch_execnz .LBB91_64
.LBB91_47:
	s_or_b64 exec, exec, s[4:5]
	v_cmp_gt_i32_e32 vcc, s6, v0
	s_and_saveexec_b64 s[4:5], vcc
	s_cbranch_execnz .LBB91_65
.LBB91_48:
	s_or_b64 exec, exec, s[4:5]
	v_cmp_gt_i32_e32 vcc, s6, v0
	s_and_saveexec_b64 s[4:5], vcc
	s_cbranch_execnz .LBB91_66
.LBB91_49:
	s_or_b64 exec, exec, s[4:5]
	v_cmp_gt_i32_e32 vcc, s6, v0
	s_and_saveexec_b64 s[4:5], vcc
	s_cbranch_execnz .LBB91_67
.LBB91_50:
	s_or_b64 exec, exec, s[4:5]
	v_cmp_gt_i32_e32 vcc, s6, v0
	s_and_saveexec_b64 s[4:5], vcc
	s_cbranch_execz .LBB91_52
.LBB91_51:
	s_waitcnt vmcnt(0)
	v_cmp_eq_f64_e32 vcc, s[8:9], v[28:29]
	v_add_u32_e32 v0, s2, v0
	v_cndmask_b32_e64 v1, 0, 1, vcc
	v_cmp_neq_f64_e32 vcc, s[8:9], v[28:29]
	v_cndmask_b32_e64 v2, 0, 1, vcc
	v_cndmask_b32_e64 v1, v2, v1, s[0:1]
	v_and_b32_e32 v1, 1, v1
	global_store_byte v0, v1, s[10:11]
.LBB91_52:
	s_endpgm
.LBB91_53:
	s_waitcnt vmcnt(0)
	v_cmp_eq_f64_e32 vcc, s[8:9], v[6:7]
	v_or_b32_e32 v0, 0x100, v0
	v_cndmask_b32_e64 v34, 0, 1, vcc
	v_cmp_neq_f64_e32 vcc, s[8:9], v[6:7]
	v_cndmask_b32_e64 v6, 0, 1, vcc
	v_cndmask_b32_e64 v6, v6, v34, s[0:1]
	v_and_b32_e32 v6, 1, v6
	global_store_byte v3, v6, s[10:11]
	s_or_b64 exec, exec, s[4:5]
	v_cmp_gt_i32_e32 vcc, s6, v0
	s_and_saveexec_b64 s[4:5], vcc
	s_cbranch_execz .LBB91_37
.LBB91_54:
	s_waitcnt vmcnt(0)
	v_cmp_eq_f64_e32 vcc, s[8:9], v[1:2]
	v_cndmask_b32_e64 v3, 0, 1, vcc
	v_cmp_neq_f64_e32 vcc, s[8:9], v[1:2]
	v_add_u32_e32 v2, s2, v0
	v_add_u32_e32 v0, 0x100, v0
	v_cndmask_b32_e64 v1, 0, 1, vcc
	v_cndmask_b32_e64 v1, v1, v3, s[0:1]
	v_and_b32_e32 v1, 1, v1
	global_store_byte v2, v1, s[10:11]
	s_or_b64 exec, exec, s[4:5]
	v_cmp_gt_i32_e32 vcc, s6, v0
	s_and_saveexec_b64 s[4:5], vcc
	s_cbranch_execz .LBB91_38
.LBB91_55:
	s_waitcnt vmcnt(0)
	v_cmp_eq_f64_e32 vcc, s[8:9], v[10:11]
	v_cndmask_b32_e64 v1, 0, 1, vcc
	v_cmp_neq_f64_e32 vcc, s[8:9], v[10:11]
	v_cndmask_b32_e64 v2, 0, 1, vcc
	v_cndmask_b32_e64 v1, v2, v1, s[0:1]
	v_and_b32_e32 v1, 1, v1
	v_add_u32_e32 v2, s2, v0
	v_add_u32_e32 v0, 0x100, v0
	global_store_byte v2, v1, s[10:11]
	s_or_b64 exec, exec, s[4:5]
	v_cmp_gt_i32_e32 vcc, s6, v0
	s_and_saveexec_b64 s[4:5], vcc
	s_cbranch_execz .LBB91_39
.LBB91_56:
	s_waitcnt vmcnt(0)
	v_cmp_eq_f64_e32 vcc, s[8:9], v[4:5]
	v_cndmask_b32_e64 v1, 0, 1, vcc
	v_cmp_neq_f64_e32 vcc, s[8:9], v[4:5]
	v_cndmask_b32_e64 v2, 0, 1, vcc
	v_cndmask_b32_e64 v1, v2, v1, s[0:1]
	v_and_b32_e32 v1, 1, v1
	v_add_u32_e32 v2, s2, v0
	v_add_u32_e32 v0, 0x100, v0
	global_store_byte v2, v1, s[10:11]
	s_or_b64 exec, exec, s[4:5]
	v_cmp_gt_i32_e32 vcc, s6, v0
	s_and_saveexec_b64 s[4:5], vcc
	s_cbranch_execz .LBB91_40
.LBB91_57:
	s_waitcnt vmcnt(0)
	v_cmp_eq_f64_e32 vcc, s[8:9], v[14:15]
	v_cndmask_b32_e64 v1, 0, 1, vcc
	v_cmp_neq_f64_e32 vcc, s[8:9], v[14:15]
	v_cndmask_b32_e64 v2, 0, 1, vcc
	v_cndmask_b32_e64 v1, v2, v1, s[0:1]
	v_and_b32_e32 v1, 1, v1
	v_add_u32_e32 v2, s2, v0
	v_add_u32_e32 v0, 0x100, v0
	global_store_byte v2, v1, s[10:11]
	s_or_b64 exec, exec, s[4:5]
	v_cmp_gt_i32_e32 vcc, s6, v0
	s_and_saveexec_b64 s[4:5], vcc
	s_cbranch_execz .LBB91_41
.LBB91_58:
	s_waitcnt vmcnt(0)
	v_cmp_eq_f64_e32 vcc, s[8:9], v[8:9]
	v_cndmask_b32_e64 v1, 0, 1, vcc
	v_cmp_neq_f64_e32 vcc, s[8:9], v[8:9]
	v_cndmask_b32_e64 v2, 0, 1, vcc
	v_cndmask_b32_e64 v1, v2, v1, s[0:1]
	v_and_b32_e32 v1, 1, v1
	v_add_u32_e32 v2, s2, v0
	v_add_u32_e32 v0, 0x100, v0
	global_store_byte v2, v1, s[10:11]
	s_or_b64 exec, exec, s[4:5]
	v_cmp_gt_i32_e32 vcc, s6, v0
	s_and_saveexec_b64 s[4:5], vcc
	s_cbranch_execz .LBB91_42
.LBB91_59:
	s_waitcnt vmcnt(0)
	v_cmp_eq_f64_e32 vcc, s[8:9], v[18:19]
	v_cndmask_b32_e64 v1, 0, 1, vcc
	v_cmp_neq_f64_e32 vcc, s[8:9], v[18:19]
	v_cndmask_b32_e64 v2, 0, 1, vcc
	v_cndmask_b32_e64 v1, v2, v1, s[0:1]
	v_and_b32_e32 v1, 1, v1
	v_add_u32_e32 v2, s2, v0
	v_add_u32_e32 v0, 0x100, v0
	global_store_byte v2, v1, s[10:11]
	s_or_b64 exec, exec, s[4:5]
	v_cmp_gt_i32_e32 vcc, s6, v0
	s_and_saveexec_b64 s[4:5], vcc
	s_cbranch_execz .LBB91_43
.LBB91_60:
	s_waitcnt vmcnt(0)
	v_cmp_eq_f64_e32 vcc, s[8:9], v[12:13]
	v_cndmask_b32_e64 v1, 0, 1, vcc
	v_cmp_neq_f64_e32 vcc, s[8:9], v[12:13]
	v_cndmask_b32_e64 v2, 0, 1, vcc
	v_cndmask_b32_e64 v1, v2, v1, s[0:1]
	v_and_b32_e32 v1, 1, v1
	v_add_u32_e32 v2, s2, v0
	v_add_u32_e32 v0, 0x100, v0
	global_store_byte v2, v1, s[10:11]
	s_or_b64 exec, exec, s[4:5]
	v_cmp_gt_i32_e32 vcc, s6, v0
	s_and_saveexec_b64 s[4:5], vcc
	s_cbranch_execz .LBB91_44
.LBB91_61:
	s_waitcnt vmcnt(0)
	v_cmp_eq_f64_e32 vcc, s[8:9], v[22:23]
	v_cndmask_b32_e64 v1, 0, 1, vcc
	v_cmp_neq_f64_e32 vcc, s[8:9], v[22:23]
	v_cndmask_b32_e64 v2, 0, 1, vcc
	v_cndmask_b32_e64 v1, v2, v1, s[0:1]
	v_and_b32_e32 v1, 1, v1
	v_add_u32_e32 v2, s2, v0
	v_add_u32_e32 v0, 0x100, v0
	global_store_byte v2, v1, s[10:11]
	s_or_b64 exec, exec, s[4:5]
	v_cmp_gt_i32_e32 vcc, s6, v0
	s_and_saveexec_b64 s[4:5], vcc
	s_cbranch_execz .LBB91_45
.LBB91_62:
	s_waitcnt vmcnt(0)
	v_cmp_eq_f64_e32 vcc, s[8:9], v[16:17]
	v_cndmask_b32_e64 v1, 0, 1, vcc
	v_cmp_neq_f64_e32 vcc, s[8:9], v[16:17]
	v_cndmask_b32_e64 v2, 0, 1, vcc
	v_cndmask_b32_e64 v1, v2, v1, s[0:1]
	v_and_b32_e32 v1, 1, v1
	v_add_u32_e32 v2, s2, v0
	v_add_u32_e32 v0, 0x100, v0
	global_store_byte v2, v1, s[10:11]
	s_or_b64 exec, exec, s[4:5]
	v_cmp_gt_i32_e32 vcc, s6, v0
	s_and_saveexec_b64 s[4:5], vcc
	s_cbranch_execz .LBB91_46
.LBB91_63:
	s_waitcnt vmcnt(0)
	v_cmp_eq_f64_e32 vcc, s[8:9], v[26:27]
	v_cndmask_b32_e64 v1, 0, 1, vcc
	v_cmp_neq_f64_e32 vcc, s[8:9], v[26:27]
	v_cndmask_b32_e64 v2, 0, 1, vcc
	v_cndmask_b32_e64 v1, v2, v1, s[0:1]
	v_and_b32_e32 v1, 1, v1
	v_add_u32_e32 v2, s2, v0
	v_add_u32_e32 v0, 0x100, v0
	global_store_byte v2, v1, s[10:11]
	s_or_b64 exec, exec, s[4:5]
	v_cmp_gt_i32_e32 vcc, s6, v0
	s_and_saveexec_b64 s[4:5], vcc
	s_cbranch_execz .LBB91_47
.LBB91_64:
	s_waitcnt vmcnt(0)
	v_cmp_eq_f64_e32 vcc, s[8:9], v[20:21]
	v_cndmask_b32_e64 v1, 0, 1, vcc
	v_cmp_neq_f64_e32 vcc, s[8:9], v[20:21]
	v_cndmask_b32_e64 v2, 0, 1, vcc
	v_cndmask_b32_e64 v1, v2, v1, s[0:1]
	v_and_b32_e32 v1, 1, v1
	v_add_u32_e32 v2, s2, v0
	v_add_u32_e32 v0, 0x100, v0
	global_store_byte v2, v1, s[10:11]
	s_or_b64 exec, exec, s[4:5]
	v_cmp_gt_i32_e32 vcc, s6, v0
	s_and_saveexec_b64 s[4:5], vcc
	s_cbranch_execz .LBB91_48
.LBB91_65:
	s_waitcnt vmcnt(0)
	v_cmp_eq_f64_e32 vcc, s[8:9], v[30:31]
	v_cndmask_b32_e64 v1, 0, 1, vcc
	v_cmp_neq_f64_e32 vcc, s[8:9], v[30:31]
	v_cndmask_b32_e64 v2, 0, 1, vcc
	v_cndmask_b32_e64 v1, v2, v1, s[0:1]
	v_and_b32_e32 v1, 1, v1
	v_add_u32_e32 v2, s2, v0
	v_add_u32_e32 v0, 0x100, v0
	global_store_byte v2, v1, s[10:11]
	s_or_b64 exec, exec, s[4:5]
	v_cmp_gt_i32_e32 vcc, s6, v0
	s_and_saveexec_b64 s[4:5], vcc
	s_cbranch_execz .LBB91_49
.LBB91_66:
	s_waitcnt vmcnt(0)
	v_cmp_eq_f64_e32 vcc, s[8:9], v[24:25]
	v_cndmask_b32_e64 v1, 0, 1, vcc
	v_cmp_neq_f64_e32 vcc, s[8:9], v[24:25]
	v_cndmask_b32_e64 v2, 0, 1, vcc
	v_cndmask_b32_e64 v1, v2, v1, s[0:1]
	v_and_b32_e32 v1, 1, v1
	v_add_u32_e32 v2, s2, v0
	v_add_u32_e32 v0, 0x100, v0
	global_store_byte v2, v1, s[10:11]
	s_or_b64 exec, exec, s[4:5]
	v_cmp_gt_i32_e32 vcc, s6, v0
	s_and_saveexec_b64 s[4:5], vcc
	s_cbranch_execz .LBB91_50
.LBB91_67:
	s_waitcnt vmcnt(0)
	v_cmp_eq_f64_e32 vcc, s[8:9], v[32:33]
	v_cndmask_b32_e64 v1, 0, 1, vcc
	v_cmp_neq_f64_e32 vcc, s[8:9], v[32:33]
	v_cndmask_b32_e64 v2, 0, 1, vcc
	v_cndmask_b32_e64 v1, v2, v1, s[0:1]
	v_and_b32_e32 v1, 1, v1
	v_add_u32_e32 v2, s2, v0
	v_add_u32_e32 v0, 0x100, v0
	global_store_byte v2, v1, s[10:11]
	s_or_b64 exec, exec, s[4:5]
	v_cmp_gt_i32_e32 vcc, s6, v0
	s_and_saveexec_b64 s[4:5], vcc
	s_cbranch_execnz .LBB91_51
	s_branch .LBB91_52
	.section	.rodata,"a",@progbits
	.p2align	6, 0x0
	.amdhsa_kernel _ZN2at6native29vectorized_elementwise_kernelILi2ENS0_13AUnaryFunctorIddbNS0_12_GLOBAL__N_116CompareEqFunctorIdEEEESt5arrayIPcLm2EEEEviT0_T1_
		.amdhsa_group_segment_fixed_size 0
		.amdhsa_private_segment_fixed_size 0
		.amdhsa_kernarg_size 40
		.amdhsa_user_sgpr_count 6
		.amdhsa_user_sgpr_private_segment_buffer 1
		.amdhsa_user_sgpr_dispatch_ptr 0
		.amdhsa_user_sgpr_queue_ptr 0
		.amdhsa_user_sgpr_kernarg_segment_ptr 1
		.amdhsa_user_sgpr_dispatch_id 0
		.amdhsa_user_sgpr_flat_scratch_init 0
		.amdhsa_user_sgpr_private_segment_size 0
		.amdhsa_uses_dynamic_stack 0
		.amdhsa_system_sgpr_private_segment_wavefront_offset 0
		.amdhsa_system_sgpr_workgroup_id_x 1
		.amdhsa_system_sgpr_workgroup_id_y 0
		.amdhsa_system_sgpr_workgroup_id_z 0
		.amdhsa_system_sgpr_workgroup_info 0
		.amdhsa_system_vgpr_workitem_id 0
		.amdhsa_next_free_vgpr 38
		.amdhsa_next_free_sgpr 14
		.amdhsa_reserve_vcc 1
		.amdhsa_reserve_flat_scratch 0
		.amdhsa_float_round_mode_32 0
		.amdhsa_float_round_mode_16_64 0
		.amdhsa_float_denorm_mode_32 3
		.amdhsa_float_denorm_mode_16_64 3
		.amdhsa_dx10_clamp 1
		.amdhsa_ieee_mode 1
		.amdhsa_fp16_overflow 0
		.amdhsa_exception_fp_ieee_invalid_op 0
		.amdhsa_exception_fp_denorm_src 0
		.amdhsa_exception_fp_ieee_div_zero 0
		.amdhsa_exception_fp_ieee_overflow 0
		.amdhsa_exception_fp_ieee_underflow 0
		.amdhsa_exception_fp_ieee_inexact 0
		.amdhsa_exception_int_div_zero 0
	.end_amdhsa_kernel
	.section	.text._ZN2at6native29vectorized_elementwise_kernelILi2ENS0_13AUnaryFunctorIddbNS0_12_GLOBAL__N_116CompareEqFunctorIdEEEESt5arrayIPcLm2EEEEviT0_T1_,"axG",@progbits,_ZN2at6native29vectorized_elementwise_kernelILi2ENS0_13AUnaryFunctorIddbNS0_12_GLOBAL__N_116CompareEqFunctorIdEEEESt5arrayIPcLm2EEEEviT0_T1_,comdat
.Lfunc_end91:
	.size	_ZN2at6native29vectorized_elementwise_kernelILi2ENS0_13AUnaryFunctorIddbNS0_12_GLOBAL__N_116CompareEqFunctorIdEEEESt5arrayIPcLm2EEEEviT0_T1_, .Lfunc_end91-_ZN2at6native29vectorized_elementwise_kernelILi2ENS0_13AUnaryFunctorIddbNS0_12_GLOBAL__N_116CompareEqFunctorIdEEEESt5arrayIPcLm2EEEEviT0_T1_
                                        ; -- End function
	.set _ZN2at6native29vectorized_elementwise_kernelILi2ENS0_13AUnaryFunctorIddbNS0_12_GLOBAL__N_116CompareEqFunctorIdEEEESt5arrayIPcLm2EEEEviT0_T1_.num_vgpr, 38
	.set _ZN2at6native29vectorized_elementwise_kernelILi2ENS0_13AUnaryFunctorIddbNS0_12_GLOBAL__N_116CompareEqFunctorIdEEEESt5arrayIPcLm2EEEEviT0_T1_.num_agpr, 0
	.set _ZN2at6native29vectorized_elementwise_kernelILi2ENS0_13AUnaryFunctorIddbNS0_12_GLOBAL__N_116CompareEqFunctorIdEEEESt5arrayIPcLm2EEEEviT0_T1_.numbered_sgpr, 14
	.set _ZN2at6native29vectorized_elementwise_kernelILi2ENS0_13AUnaryFunctorIddbNS0_12_GLOBAL__N_116CompareEqFunctorIdEEEESt5arrayIPcLm2EEEEviT0_T1_.num_named_barrier, 0
	.set _ZN2at6native29vectorized_elementwise_kernelILi2ENS0_13AUnaryFunctorIddbNS0_12_GLOBAL__N_116CompareEqFunctorIdEEEESt5arrayIPcLm2EEEEviT0_T1_.private_seg_size, 0
	.set _ZN2at6native29vectorized_elementwise_kernelILi2ENS0_13AUnaryFunctorIddbNS0_12_GLOBAL__N_116CompareEqFunctorIdEEEESt5arrayIPcLm2EEEEviT0_T1_.uses_vcc, 1
	.set _ZN2at6native29vectorized_elementwise_kernelILi2ENS0_13AUnaryFunctorIddbNS0_12_GLOBAL__N_116CompareEqFunctorIdEEEESt5arrayIPcLm2EEEEviT0_T1_.uses_flat_scratch, 0
	.set _ZN2at6native29vectorized_elementwise_kernelILi2ENS0_13AUnaryFunctorIddbNS0_12_GLOBAL__N_116CompareEqFunctorIdEEEESt5arrayIPcLm2EEEEviT0_T1_.has_dyn_sized_stack, 0
	.set _ZN2at6native29vectorized_elementwise_kernelILi2ENS0_13AUnaryFunctorIddbNS0_12_GLOBAL__N_116CompareEqFunctorIdEEEESt5arrayIPcLm2EEEEviT0_T1_.has_recursion, 0
	.set _ZN2at6native29vectorized_elementwise_kernelILi2ENS0_13AUnaryFunctorIddbNS0_12_GLOBAL__N_116CompareEqFunctorIdEEEESt5arrayIPcLm2EEEEviT0_T1_.has_indirect_call, 0
	.section	.AMDGPU.csdata,"",@progbits
; Kernel info:
; codeLenInByte = 3880
; TotalNumSgprs: 18
; NumVgprs: 38
; ScratchSize: 0
; MemoryBound: 0
; FloatMode: 240
; IeeeMode: 1
; LDSByteSize: 0 bytes/workgroup (compile time only)
; SGPRBlocks: 2
; VGPRBlocks: 9
; NumSGPRsForWavesPerEU: 18
; NumVGPRsForWavesPerEU: 38
; Occupancy: 6
; WaveLimiterHint : 1
; COMPUTE_PGM_RSRC2:SCRATCH_EN: 0
; COMPUTE_PGM_RSRC2:USER_SGPR: 6
; COMPUTE_PGM_RSRC2:TRAP_HANDLER: 0
; COMPUTE_PGM_RSRC2:TGID_X_EN: 1
; COMPUTE_PGM_RSRC2:TGID_Y_EN: 0
; COMPUTE_PGM_RSRC2:TGID_Z_EN: 0
; COMPUTE_PGM_RSRC2:TIDIG_COMP_CNT: 0
	.section	.text._ZN2at6native27unrolled_elementwise_kernelINS0_13AUnaryFunctorIddbNS0_12_GLOBAL__N_116CompareEqFunctorIdEEEESt5arrayIPcLm2EELi4E23TrivialOffsetCalculatorILi1EjESB_NS0_6memory15LoadWithoutCastENSC_16StoreWithoutCastEEEviT_T0_T2_T3_T4_T5_,"axG",@progbits,_ZN2at6native27unrolled_elementwise_kernelINS0_13AUnaryFunctorIddbNS0_12_GLOBAL__N_116CompareEqFunctorIdEEEESt5arrayIPcLm2EELi4E23TrivialOffsetCalculatorILi1EjESB_NS0_6memory15LoadWithoutCastENSC_16StoreWithoutCastEEEviT_T0_T2_T3_T4_T5_,comdat
	.globl	_ZN2at6native27unrolled_elementwise_kernelINS0_13AUnaryFunctorIddbNS0_12_GLOBAL__N_116CompareEqFunctorIdEEEESt5arrayIPcLm2EELi4E23TrivialOffsetCalculatorILi1EjESB_NS0_6memory15LoadWithoutCastENSC_16StoreWithoutCastEEEviT_T0_T2_T3_T4_T5_ ; -- Begin function _ZN2at6native27unrolled_elementwise_kernelINS0_13AUnaryFunctorIddbNS0_12_GLOBAL__N_116CompareEqFunctorIdEEEESt5arrayIPcLm2EELi4E23TrivialOffsetCalculatorILi1EjESB_NS0_6memory15LoadWithoutCastENSC_16StoreWithoutCastEEEviT_T0_T2_T3_T4_T5_
	.p2align	8
	.type	_ZN2at6native27unrolled_elementwise_kernelINS0_13AUnaryFunctorIddbNS0_12_GLOBAL__N_116CompareEqFunctorIdEEEESt5arrayIPcLm2EELi4E23TrivialOffsetCalculatorILi1EjESB_NS0_6memory15LoadWithoutCastENSC_16StoreWithoutCastEEEviT_T0_T2_T3_T4_T5_,@function
_ZN2at6native27unrolled_elementwise_kernelINS0_13AUnaryFunctorIddbNS0_12_GLOBAL__N_116CompareEqFunctorIdEEEESt5arrayIPcLm2EELi4E23TrivialOffsetCalculatorILi1EjESB_NS0_6memory15LoadWithoutCastENSC_16StoreWithoutCastEEEviT_T0_T2_T3_T4_T5_: ; @_ZN2at6native27unrolled_elementwise_kernelINS0_13AUnaryFunctorIddbNS0_12_GLOBAL__N_116CompareEqFunctorIdEEEESt5arrayIPcLm2EELi4E23TrivialOffsetCalculatorILi1EjESB_NS0_6memory15LoadWithoutCastENSC_16StoreWithoutCastEEEviT_T0_T2_T3_T4_T5_
; %bb.0:
	s_load_dword s0, s[4:5], 0x0
	s_load_dwordx2 s[2:3], s[4:5], 0x20
	s_lshl_b32 s12, s6, 10
	v_mov_b32_e32 v3, 0
	v_mov_b32_e32 v5, 0
	s_waitcnt lgkmcnt(0)
	s_sub_i32 s13, s0, s12
	v_cmp_gt_i32_e32 vcc, s13, v0
	v_mov_b32_e32 v4, 0
	v_or_b32_e32 v1, s12, v0
	v_mov_b32_e32 v6, 0
	v_mov_b32_e32 v2, v0
	s_and_saveexec_b64 s[6:7], vcc
	s_cbranch_execz .LBB92_2
; %bb.1:
	v_mov_b32_e32 v2, 0
	v_lshlrev_b64 v[5:6], 3, v[1:2]
	v_mov_b32_e32 v2, s3
	v_add_co_u32_e64 v5, s[0:1], s2, v5
	v_addc_co_u32_e64 v6, s[0:1], v2, v6, s[0:1]
	global_load_dwordx2 v[5:6], v[5:6], off
	v_or_b32_e32 v2, 0x100, v0
.LBB92_2:
	s_or_b64 exec, exec, s[6:7]
	s_load_dwordx4 s[8:11], s[4:5], 0x10
	v_cmp_gt_i32_e64 s[0:1], s13, v2
	s_and_saveexec_b64 s[6:7], s[0:1]
	s_cbranch_execz .LBB92_4
; %bb.3:
	v_add_u32_e32 v3, s12, v2
	v_mov_b32_e32 v4, 0
	v_lshlrev_b64 v[3:4], 3, v[3:4]
	v_mov_b32_e32 v7, s3
	v_add_co_u32_e64 v3, s[0:1], s2, v3
	v_addc_co_u32_e64 v4, s[0:1], v7, v4, s[0:1]
	global_load_dwordx2 v[3:4], v[3:4], off
	v_add_u32_e32 v2, 0x100, v2
.LBB92_4:
	s_or_b64 exec, exec, s[6:7]
	v_mov_b32_e32 v7, 0
	v_mov_b32_e32 v9, 0
	;; [unrolled: 1-line block ×4, first 2 shown]
	v_cmp_gt_i32_e64 s[0:1], s13, v2
	s_and_saveexec_b64 s[6:7], s[0:1]
	s_cbranch_execz .LBB92_6
; %bb.5:
	v_add_u32_e32 v9, s12, v2
	v_mov_b32_e32 v10, 0
	v_lshlrev_b64 v[9:10], 3, v[9:10]
	v_mov_b32_e32 v11, s3
	v_add_co_u32_e64 v9, s[0:1], s2, v9
	v_addc_co_u32_e64 v10, s[0:1], v11, v10, s[0:1]
	global_load_dwordx2 v[9:10], v[9:10], off
	v_add_u32_e32 v2, 0x100, v2
.LBB92_6:
	s_or_b64 exec, exec, s[6:7]
	s_load_dword s6, s[4:5], 0x8
	v_cmp_gt_i32_e64 s[0:1], s13, v2
	s_and_saveexec_b64 s[4:5], s[0:1]
	s_cbranch_execz .LBB92_8
; %bb.7:
	v_add_u32_e32 v7, s12, v2
	v_mov_b32_e32 v8, 0
	v_lshlrev_b64 v[7:8], 3, v[7:8]
	v_mov_b32_e32 v2, s3
	v_add_co_u32_e64 v7, s[0:1], s2, v7
	v_addc_co_u32_e64 v8, s[0:1], v2, v8, s[0:1]
	global_load_dwordx2 v[7:8], v[7:8], off
.LBB92_8:
	s_or_b64 exec, exec, s[4:5]
	s_waitcnt vmcnt(0) lgkmcnt(0)
	v_cmp_eq_f64_e64 s[0:1], s[8:9], v[5:6]
	v_cmp_eq_f64_e64 s[2:3], s[8:9], v[3:4]
	s_cmp_eq_u32 s6, 0
	s_mov_b32 s4, 0xffff
	v_cndmask_b32_e64 v2, 0, 1, s[0:1]
	v_cmp_neq_f64_e64 s[0:1], s[8:9], v[5:6]
	v_cndmask_b32_e64 v6, 0, 1, s[2:3]
	v_cmp_neq_f64_e64 s[2:3], s[8:9], v[3:4]
	v_mov_b32_e32 v4, 1
	v_cndmask_b32_e64 v5, 0, 1, s[0:1]
	s_cselect_b64 s[0:1], -1, 0
	v_cndmask_b32_e64 v3, 0, 1, s[2:3]
	v_cndmask_b32_e64 v2, v5, v2, s[0:1]
	v_cndmask_b32_e64 v5, 0, 1, vcc
	v_cndmask_b32_e64 v3, v3, v6, s[0:1]
	v_and_b32_e32 v2, v5, v2
	v_and_b32_sdwa v3, v3, v4 dst_sel:BYTE_1 dst_unused:UNUSED_PAD src0_sel:DWORD src1_sel:DWORD
	v_or_b32_e32 v5, 0x100, v0
	v_or_b32_e32 v3, v2, v3
	v_and_b32_e32 v3, 0xffff, v3
	v_cmp_gt_i32_e64 s[2:3], s13, v5
	v_cndmask_b32_e64 v2, v2, v3, s[2:3]
	v_cmp_eq_f64_e64 s[2:3], s[8:9], v[9:10]
	v_or_b32_e32 v3, 0x200, v0
	v_cndmask_b32_e64 v6, 0, 1, s[2:3]
	v_cmp_neq_f64_e64 s[2:3], s[8:9], v[9:10]
	v_cndmask_b32_e64 v9, 0, 1, s[2:3]
	v_cndmask_b32_e64 v6, v9, v6, s[0:1]
	v_and_b32_sdwa v6, v6, v4 dst_sel:WORD_1 dst_unused:UNUSED_PAD src0_sel:DWORD src1_sel:DWORD
	v_or_b32_e32 v6, v2, v6
	v_cmp_gt_i32_e64 s[2:3], s13, v3
	v_cndmask_b32_e64 v2, v2, v6, s[2:3]
	s_movk_i32 s2, 0xff
	v_and_b32_sdwa v3, v2, s2 dst_sel:DWORD dst_unused:UNUSED_PAD src0_sel:WORD_1 src1_sel:DWORD
	v_cmp_eq_f64_e64 s[2:3], s[8:9], v[7:8]
	v_or_b32_e32 v6, 0x300, v0
	v_cndmask_b32_e64 v9, 0, 1, s[2:3]
	v_cmp_neq_f64_e64 s[2:3], s[8:9], v[7:8]
	v_cndmask_b32_e64 v7, 0, 1, s[2:3]
	v_cndmask_b32_e64 v7, v7, v9, s[0:1]
	v_and_b32_sdwa v4, v7, v4 dst_sel:BYTE_1 dst_unused:UNUSED_PAD src0_sel:DWORD src1_sel:DWORD
	v_or_b32_sdwa v3, v3, v4 dst_sel:WORD_1 dst_unused:UNUSED_PAD src0_sel:DWORD src1_sel:DWORD
	v_and_or_b32 v3, v2, s4, v3
	v_cmp_gt_i32_e64 s[0:1], s13, v6
	v_cndmask_b32_e64 v2, v2, v3, s[0:1]
	s_and_saveexec_b64 s[0:1], vcc
	s_cbranch_execnz .LBB92_13
; %bb.9:
	s_or_b64 exec, exec, s[0:1]
	v_cmp_gt_i32_e32 vcc, s13, v0
	s_and_saveexec_b64 s[0:1], vcc
	s_cbranch_execnz .LBB92_14
.LBB92_10:
	s_or_b64 exec, exec, s[0:1]
	v_cmp_gt_i32_e32 vcc, s13, v0
	s_and_saveexec_b64 s[0:1], vcc
	s_cbranch_execnz .LBB92_15
.LBB92_11:
	s_or_b64 exec, exec, s[0:1]
	v_cmp_gt_i32_e32 vcc, s13, v0
	s_and_saveexec_b64 s[0:1], vcc
	s_cbranch_execnz .LBB92_16
.LBB92_12:
	s_endpgm
.LBB92_13:
	v_mov_b32_e32 v0, v5
	global_store_byte v1, v2, s[10:11]
	s_or_b64 exec, exec, s[0:1]
	v_cmp_gt_i32_e32 vcc, s13, v0
	s_and_saveexec_b64 s[0:1], vcc
	s_cbranch_execz .LBB92_10
.LBB92_14:
	v_add_u32_e32 v1, 0x100, v0
	v_add_u32_e32 v0, s12, v0
	v_lshrrev_b32_e32 v3, 8, v2
	global_store_byte v0, v3, s[10:11]
	v_mov_b32_e32 v0, v1
	s_or_b64 exec, exec, s[0:1]
	v_cmp_gt_i32_e32 vcc, s13, v0
	s_and_saveexec_b64 s[0:1], vcc
	s_cbranch_execz .LBB92_11
.LBB92_15:
	v_add_u32_e32 v1, 0x100, v0
	v_add_u32_e32 v0, s12, v0
	global_store_byte_d16_hi v0, v2, s[10:11]
	v_mov_b32_e32 v0, v1
	s_or_b64 exec, exec, s[0:1]
	v_cmp_gt_i32_e32 vcc, s13, v0
	s_and_saveexec_b64 s[0:1], vcc
	s_cbranch_execz .LBB92_12
.LBB92_16:
	v_add_u32_e32 v0, s12, v0
	v_lshrrev_b32_e32 v1, 24, v2
	global_store_byte v0, v1, s[10:11]
	s_endpgm
	.section	.rodata,"a",@progbits
	.p2align	6, 0x0
	.amdhsa_kernel _ZN2at6native27unrolled_elementwise_kernelINS0_13AUnaryFunctorIddbNS0_12_GLOBAL__N_116CompareEqFunctorIdEEEESt5arrayIPcLm2EELi4E23TrivialOffsetCalculatorILi1EjESB_NS0_6memory15LoadWithoutCastENSC_16StoreWithoutCastEEEviT_T0_T2_T3_T4_T5_
		.amdhsa_group_segment_fixed_size 0
		.amdhsa_private_segment_fixed_size 0
		.amdhsa_kernarg_size 44
		.amdhsa_user_sgpr_count 6
		.amdhsa_user_sgpr_private_segment_buffer 1
		.amdhsa_user_sgpr_dispatch_ptr 0
		.amdhsa_user_sgpr_queue_ptr 0
		.amdhsa_user_sgpr_kernarg_segment_ptr 1
		.amdhsa_user_sgpr_dispatch_id 0
		.amdhsa_user_sgpr_flat_scratch_init 0
		.amdhsa_user_sgpr_private_segment_size 0
		.amdhsa_uses_dynamic_stack 0
		.amdhsa_system_sgpr_private_segment_wavefront_offset 0
		.amdhsa_system_sgpr_workgroup_id_x 1
		.amdhsa_system_sgpr_workgroup_id_y 0
		.amdhsa_system_sgpr_workgroup_id_z 0
		.amdhsa_system_sgpr_workgroup_info 0
		.amdhsa_system_vgpr_workitem_id 0
		.amdhsa_next_free_vgpr 12
		.amdhsa_next_free_sgpr 14
		.amdhsa_reserve_vcc 1
		.amdhsa_reserve_flat_scratch 0
		.amdhsa_float_round_mode_32 0
		.amdhsa_float_round_mode_16_64 0
		.amdhsa_float_denorm_mode_32 3
		.amdhsa_float_denorm_mode_16_64 3
		.amdhsa_dx10_clamp 1
		.amdhsa_ieee_mode 1
		.amdhsa_fp16_overflow 0
		.amdhsa_exception_fp_ieee_invalid_op 0
		.amdhsa_exception_fp_denorm_src 0
		.amdhsa_exception_fp_ieee_div_zero 0
		.amdhsa_exception_fp_ieee_overflow 0
		.amdhsa_exception_fp_ieee_underflow 0
		.amdhsa_exception_fp_ieee_inexact 0
		.amdhsa_exception_int_div_zero 0
	.end_amdhsa_kernel
	.section	.text._ZN2at6native27unrolled_elementwise_kernelINS0_13AUnaryFunctorIddbNS0_12_GLOBAL__N_116CompareEqFunctorIdEEEESt5arrayIPcLm2EELi4E23TrivialOffsetCalculatorILi1EjESB_NS0_6memory15LoadWithoutCastENSC_16StoreWithoutCastEEEviT_T0_T2_T3_T4_T5_,"axG",@progbits,_ZN2at6native27unrolled_elementwise_kernelINS0_13AUnaryFunctorIddbNS0_12_GLOBAL__N_116CompareEqFunctorIdEEEESt5arrayIPcLm2EELi4E23TrivialOffsetCalculatorILi1EjESB_NS0_6memory15LoadWithoutCastENSC_16StoreWithoutCastEEEviT_T0_T2_T3_T4_T5_,comdat
.Lfunc_end92:
	.size	_ZN2at6native27unrolled_elementwise_kernelINS0_13AUnaryFunctorIddbNS0_12_GLOBAL__N_116CompareEqFunctorIdEEEESt5arrayIPcLm2EELi4E23TrivialOffsetCalculatorILi1EjESB_NS0_6memory15LoadWithoutCastENSC_16StoreWithoutCastEEEviT_T0_T2_T3_T4_T5_, .Lfunc_end92-_ZN2at6native27unrolled_elementwise_kernelINS0_13AUnaryFunctorIddbNS0_12_GLOBAL__N_116CompareEqFunctorIdEEEESt5arrayIPcLm2EELi4E23TrivialOffsetCalculatorILi1EjESB_NS0_6memory15LoadWithoutCastENSC_16StoreWithoutCastEEEviT_T0_T2_T3_T4_T5_
                                        ; -- End function
	.set _ZN2at6native27unrolled_elementwise_kernelINS0_13AUnaryFunctorIddbNS0_12_GLOBAL__N_116CompareEqFunctorIdEEEESt5arrayIPcLm2EELi4E23TrivialOffsetCalculatorILi1EjESB_NS0_6memory15LoadWithoutCastENSC_16StoreWithoutCastEEEviT_T0_T2_T3_T4_T5_.num_vgpr, 12
	.set _ZN2at6native27unrolled_elementwise_kernelINS0_13AUnaryFunctorIddbNS0_12_GLOBAL__N_116CompareEqFunctorIdEEEESt5arrayIPcLm2EELi4E23TrivialOffsetCalculatorILi1EjESB_NS0_6memory15LoadWithoutCastENSC_16StoreWithoutCastEEEviT_T0_T2_T3_T4_T5_.num_agpr, 0
	.set _ZN2at6native27unrolled_elementwise_kernelINS0_13AUnaryFunctorIddbNS0_12_GLOBAL__N_116CompareEqFunctorIdEEEESt5arrayIPcLm2EELi4E23TrivialOffsetCalculatorILi1EjESB_NS0_6memory15LoadWithoutCastENSC_16StoreWithoutCastEEEviT_T0_T2_T3_T4_T5_.numbered_sgpr, 14
	.set _ZN2at6native27unrolled_elementwise_kernelINS0_13AUnaryFunctorIddbNS0_12_GLOBAL__N_116CompareEqFunctorIdEEEESt5arrayIPcLm2EELi4E23TrivialOffsetCalculatorILi1EjESB_NS0_6memory15LoadWithoutCastENSC_16StoreWithoutCastEEEviT_T0_T2_T3_T4_T5_.num_named_barrier, 0
	.set _ZN2at6native27unrolled_elementwise_kernelINS0_13AUnaryFunctorIddbNS0_12_GLOBAL__N_116CompareEqFunctorIdEEEESt5arrayIPcLm2EELi4E23TrivialOffsetCalculatorILi1EjESB_NS0_6memory15LoadWithoutCastENSC_16StoreWithoutCastEEEviT_T0_T2_T3_T4_T5_.private_seg_size, 0
	.set _ZN2at6native27unrolled_elementwise_kernelINS0_13AUnaryFunctorIddbNS0_12_GLOBAL__N_116CompareEqFunctorIdEEEESt5arrayIPcLm2EELi4E23TrivialOffsetCalculatorILi1EjESB_NS0_6memory15LoadWithoutCastENSC_16StoreWithoutCastEEEviT_T0_T2_T3_T4_T5_.uses_vcc, 1
	.set _ZN2at6native27unrolled_elementwise_kernelINS0_13AUnaryFunctorIddbNS0_12_GLOBAL__N_116CompareEqFunctorIdEEEESt5arrayIPcLm2EELi4E23TrivialOffsetCalculatorILi1EjESB_NS0_6memory15LoadWithoutCastENSC_16StoreWithoutCastEEEviT_T0_T2_T3_T4_T5_.uses_flat_scratch, 0
	.set _ZN2at6native27unrolled_elementwise_kernelINS0_13AUnaryFunctorIddbNS0_12_GLOBAL__N_116CompareEqFunctorIdEEEESt5arrayIPcLm2EELi4E23TrivialOffsetCalculatorILi1EjESB_NS0_6memory15LoadWithoutCastENSC_16StoreWithoutCastEEEviT_T0_T2_T3_T4_T5_.has_dyn_sized_stack, 0
	.set _ZN2at6native27unrolled_elementwise_kernelINS0_13AUnaryFunctorIddbNS0_12_GLOBAL__N_116CompareEqFunctorIdEEEESt5arrayIPcLm2EELi4E23TrivialOffsetCalculatorILi1EjESB_NS0_6memory15LoadWithoutCastENSC_16StoreWithoutCastEEEviT_T0_T2_T3_T4_T5_.has_recursion, 0
	.set _ZN2at6native27unrolled_elementwise_kernelINS0_13AUnaryFunctorIddbNS0_12_GLOBAL__N_116CompareEqFunctorIdEEEESt5arrayIPcLm2EELi4E23TrivialOffsetCalculatorILi1EjESB_NS0_6memory15LoadWithoutCastENSC_16StoreWithoutCastEEEviT_T0_T2_T3_T4_T5_.has_indirect_call, 0
	.section	.AMDGPU.csdata,"",@progbits
; Kernel info:
; codeLenInByte = 884
; TotalNumSgprs: 18
; NumVgprs: 12
; ScratchSize: 0
; MemoryBound: 0
; FloatMode: 240
; IeeeMode: 1
; LDSByteSize: 0 bytes/workgroup (compile time only)
; SGPRBlocks: 2
; VGPRBlocks: 2
; NumSGPRsForWavesPerEU: 18
; NumVGPRsForWavesPerEU: 12
; Occupancy: 10
; WaveLimiterHint : 0
; COMPUTE_PGM_RSRC2:SCRATCH_EN: 0
; COMPUTE_PGM_RSRC2:USER_SGPR: 6
; COMPUTE_PGM_RSRC2:TRAP_HANDLER: 0
; COMPUTE_PGM_RSRC2:TGID_X_EN: 1
; COMPUTE_PGM_RSRC2:TGID_Y_EN: 0
; COMPUTE_PGM_RSRC2:TGID_Z_EN: 0
; COMPUTE_PGM_RSRC2:TIDIG_COMP_CNT: 0
	.section	.text._ZN2at6native32elementwise_kernel_manual_unrollILi128ELi8EZNS0_22gpu_kernel_impl_nocastINS0_13AUnaryFunctorIddbNS0_12_GLOBAL__N_116CompareEqFunctorIdEEEEEEvRNS_18TensorIteratorBaseERKT_EUlibE_EEviT1_,"axG",@progbits,_ZN2at6native32elementwise_kernel_manual_unrollILi128ELi8EZNS0_22gpu_kernel_impl_nocastINS0_13AUnaryFunctorIddbNS0_12_GLOBAL__N_116CompareEqFunctorIdEEEEEEvRNS_18TensorIteratorBaseERKT_EUlibE_EEviT1_,comdat
	.globl	_ZN2at6native32elementwise_kernel_manual_unrollILi128ELi8EZNS0_22gpu_kernel_impl_nocastINS0_13AUnaryFunctorIddbNS0_12_GLOBAL__N_116CompareEqFunctorIdEEEEEEvRNS_18TensorIteratorBaseERKT_EUlibE_EEviT1_ ; -- Begin function _ZN2at6native32elementwise_kernel_manual_unrollILi128ELi8EZNS0_22gpu_kernel_impl_nocastINS0_13AUnaryFunctorIddbNS0_12_GLOBAL__N_116CompareEqFunctorIdEEEEEEvRNS_18TensorIteratorBaseERKT_EUlibE_EEviT1_
	.p2align	8
	.type	_ZN2at6native32elementwise_kernel_manual_unrollILi128ELi8EZNS0_22gpu_kernel_impl_nocastINS0_13AUnaryFunctorIddbNS0_12_GLOBAL__N_116CompareEqFunctorIdEEEEEEvRNS_18TensorIteratorBaseERKT_EUlibE_EEviT1_,@function
_ZN2at6native32elementwise_kernel_manual_unrollILi128ELi8EZNS0_22gpu_kernel_impl_nocastINS0_13AUnaryFunctorIddbNS0_12_GLOBAL__N_116CompareEqFunctorIdEEEEEEvRNS_18TensorIteratorBaseERKT_EUlibE_EEviT1_: ; @_ZN2at6native32elementwise_kernel_manual_unrollILi128ELi8EZNS0_22gpu_kernel_impl_nocastINS0_13AUnaryFunctorIddbNS0_12_GLOBAL__N_116CompareEqFunctorIdEEEEEEvRNS_18TensorIteratorBaseERKT_EUlibE_EEviT1_
; %bb.0:
	s_load_dword s59, s[4:5], 0x0
	s_load_dword s33, s[4:5], 0x8
	s_add_u32 s34, s4, 8
	s_addc_u32 s35, s5, 0
	v_lshl_or_b32 v19, s6, 10, v0
	v_or_b32_e32 v25, 0x380, v19
	s_waitcnt lgkmcnt(0)
	s_add_i32 s58, s33, -1
	s_cmp_gt_u32 s58, 1
	v_cmp_le_i32_e32 vcc, s59, v25
	s_cselect_b64 s[2:3], -1, 0
	s_and_saveexec_b64 s[0:1], vcc
	s_xor_b64 s[40:41], exec, s[0:1]
	s_cbranch_execz .LBB93_7
; %bb.1:
	s_cmp_lg_u32 s33, 0
	s_cselect_b64 s[50:51], -1, 0
	s_add_u32 s48, s34, 0xc4
	s_load_dwordx4 s[24:27], s[34:35], 0x4
	s_load_dwordx2 s[44:45], s[34:35], 0x14
	s_addc_u32 s49, s35, 0
	s_min_u32 s60, s58, 15
	s_load_dword s0, s[34:35], 0x158
	s_load_dwordx4 s[28:31], s[34:35], 0xc4
	s_load_dwordx4 s[20:23], s[34:35], 0x148
	s_load_dwordx2 s[42:43], s[34:35], 0x160
	s_cmp_gt_u32 s33, 1
	s_cselect_b64 s[46:47], -1, 0
	s_waitcnt lgkmcnt(0)
	s_cmp_eq_u32 s0, 0
	s_cselect_b64 s[0:1], -1, 0
	v_cmp_gt_i32_e32 vcc, s59, v19
	s_and_saveexec_b64 s[52:53], vcc
	s_cbranch_execz .LBB93_14
; %bb.2:
	s_andn2_b64 vcc, exec, s[2:3]
	s_cbranch_vccnz .LBB93_21
; %bb.3:
	s_andn2_b64 vcc, exec, s[50:51]
	s_cbranch_vccnz .LBB93_129
; %bb.4:
	s_add_i32 s62, s60, 1
	s_cmp_eq_u32 s58, 2
	s_cbranch_scc1 .LBB93_131
; %bb.5:
	s_and_b32 s61, s62, 28
	v_mov_b32_e32 v2, 0
	s_mov_b32 s63, 0
	s_mov_b64 s[54:55], s[34:35]
	s_mov_b64 s[56:57], s[48:49]
	v_mov_b32_e32 v0, 0
	v_mov_b32_e32 v1, v19
.LBB93_6:                               ; =>This Inner Loop Header: Depth=1
	s_load_dwordx8 s[12:19], s[54:55], 0x4
	s_load_dwordx4 s[36:39], s[54:55], 0x24
	s_load_dwordx8 s[4:11], s[56:57], 0x0
	s_add_u32 s54, s54, 48
	s_addc_u32 s55, s55, 0
	s_waitcnt lgkmcnt(0)
	v_mul_hi_u32 v3, s13, v1
	s_add_i32 s63, s63, 4
	s_add_u32 s56, s56, 32
	s_addc_u32 s57, s57, 0
	v_add_u32_e32 v3, v1, v3
	v_lshrrev_b32_e32 v3, s14, v3
	v_mul_lo_u32 v4, v3, s12
	v_mul_hi_u32 v5, s16, v3
	s_cmp_lg_u32 s61, s63
	v_sub_u32_e32 v1, v1, v4
	v_add_u32_e32 v4, v3, v5
	v_mul_lo_u32 v5, v1, s4
	v_mul_lo_u32 v6, v1, s5
	v_lshrrev_b32_e32 v1, s17, v4
	v_mul_lo_u32 v4, v1, s15
	v_mul_hi_u32 v7, s19, v1
	v_sub_u32_e32 v3, v3, v4
	v_add_u32_e32 v4, v1, v7
	v_lshrrev_b32_e32 v4, s36, v4
	v_mul_hi_u32 v8, s38, v4
	v_mul_lo_u32 v9, v4, s18
	v_mul_lo_u32 v7, v3, s6
	;; [unrolled: 1-line block ×3, first 2 shown]
	v_sub_u32_e32 v9, v1, v9
	v_add_u32_e32 v1, v4, v8
	v_lshrrev_b32_e32 v1, s39, v1
	v_mul_lo_u32 v8, v1, s37
	v_mul_lo_u32 v10, v9, s8
	;; [unrolled: 1-line block ×3, first 2 shown]
	v_add3_u32 v0, v5, v0, v7
	v_sub_u32_e32 v4, v4, v8
	v_mul_lo_u32 v8, v4, s10
	v_mul_lo_u32 v4, v4, s11
	v_add3_u32 v2, v6, v2, v3
	v_add3_u32 v0, v10, v0, v8
	;; [unrolled: 1-line block ×3, first 2 shown]
	s_cbranch_scc1 .LBB93_6
	s_branch .LBB93_132
.LBB93_7:
	s_andn2_saveexec_b64 s[0:1], s[40:41]
	s_cbranch_execz .LBB93_221
.LBB93_8:
	v_cndmask_b32_e64 v0, 0, 1, s[2:3]
	v_cmp_ne_u32_e64 s[0:1], 1, v0
	s_andn2_b64 vcc, exec, s[2:3]
	s_cbranch_vccnz .LBB93_20
; %bb.9:
	s_cmp_lg_u32 s33, 0
	s_mov_b32 s26, 0
	s_cbranch_scc0 .LBB93_23
; %bb.10:
	s_min_u32 s27, s58, 15
	s_add_i32 s27, s27, 1
	s_cmp_eq_u32 s58, 2
	s_cbranch_scc1 .LBB93_24
; %bb.11:
	s_and_b32 s26, s27, 28
	s_add_u32 s2, s34, 0xc4
	s_addc_u32 s3, s35, 0
	v_mov_b32_e32 v2, 0
	s_mov_b32 s28, 0
	s_mov_b64 s[24:25], s[34:35]
	v_mov_b32_e32 v0, 0
	v_mov_b32_e32 v1, v19
.LBB93_12:                              ; =>This Inner Loop Header: Depth=1
	s_load_dwordx8 s[12:19], s[24:25], 0x4
	s_load_dwordx4 s[20:23], s[24:25], 0x24
	s_load_dwordx8 s[4:11], s[2:3], 0x0
	s_add_u32 s24, s24, 48
	s_addc_u32 s25, s25, 0
	s_waitcnt lgkmcnt(0)
	v_mul_hi_u32 v3, s13, v1
	s_add_i32 s28, s28, 4
	s_add_u32 s2, s2, 32
	s_addc_u32 s3, s3, 0
	v_add_u32_e32 v3, v1, v3
	v_lshrrev_b32_e32 v3, s14, v3
	v_mul_lo_u32 v4, v3, s12
	v_mul_hi_u32 v5, s16, v3
	s_cmp_lg_u32 s26, s28
	v_sub_u32_e32 v1, v1, v4
	v_add_u32_e32 v4, v3, v5
	v_mul_lo_u32 v5, v1, s4
	v_mul_lo_u32 v6, v1, s5
	v_lshrrev_b32_e32 v1, s17, v4
	v_mul_lo_u32 v4, v1, s15
	v_mul_hi_u32 v7, s19, v1
	v_sub_u32_e32 v3, v3, v4
	v_add_u32_e32 v4, v1, v7
	v_lshrrev_b32_e32 v4, s20, v4
	v_mul_hi_u32 v8, s22, v4
	v_mul_lo_u32 v9, v4, s18
	v_mul_lo_u32 v7, v3, s6
	;; [unrolled: 1-line block ×3, first 2 shown]
	v_sub_u32_e32 v9, v1, v9
	v_add_u32_e32 v1, v4, v8
	v_lshrrev_b32_e32 v1, s23, v1
	v_mul_lo_u32 v8, v1, s21
	v_mul_lo_u32 v10, v9, s8
	;; [unrolled: 1-line block ×3, first 2 shown]
	v_add3_u32 v0, v5, v0, v7
	v_sub_u32_e32 v4, v4, v8
	v_mul_lo_u32 v8, v4, s10
	v_mul_lo_u32 v4, v4, s11
	v_add3_u32 v2, v6, v2, v3
	v_add3_u32 v0, v10, v0, v8
	;; [unrolled: 1-line block ×3, first 2 shown]
	s_cbranch_scc1 .LBB93_12
; %bb.13:
	s_and_b32 s6, s27, 3
	s_cmp_eq_u32 s6, 0
	s_cbranch_scc0 .LBB93_25
	s_branch .LBB93_27
.LBB93_14:
	s_or_b64 exec, exec, s[52:53]
	v_cmp_gt_i32_e32 vcc, s59, v19
	s_and_saveexec_b64 s[52:53], vcc
	s_cbranch_execz .LBB93_139
.LBB93_15:
	s_andn2_b64 vcc, exec, s[2:3]
	s_cbranch_vccnz .LBB93_22
; %bb.16:
	s_andn2_b64 vcc, exec, s[50:51]
	s_cbranch_vccnz .LBB93_130
; %bb.17:
	s_add_i32 s62, s60, 1
	s_cmp_eq_u32 s58, 2
	s_cbranch_scc1 .LBB93_147
; %bb.18:
	s_and_b32 s61, s62, 28
	v_mov_b32_e32 v2, 0
	s_mov_b32 s63, 0
	s_mov_b64 s[54:55], s[34:35]
	s_mov_b64 s[56:57], s[48:49]
	v_mov_b32_e32 v0, 0
	v_mov_b32_e32 v1, v19
.LBB93_19:                              ; =>This Inner Loop Header: Depth=1
	s_load_dwordx8 s[12:19], s[54:55], 0x4
	s_load_dwordx4 s[36:39], s[54:55], 0x24
	s_load_dwordx8 s[4:11], s[56:57], 0x0
	s_add_u32 s54, s54, 48
	s_addc_u32 s55, s55, 0
	s_waitcnt lgkmcnt(0)
	v_mul_hi_u32 v3, s13, v1
	s_add_i32 s63, s63, 4
	s_add_u32 s56, s56, 32
	s_addc_u32 s57, s57, 0
	v_add_u32_e32 v3, v1, v3
	v_lshrrev_b32_e32 v3, s14, v3
	v_mul_lo_u32 v4, v3, s12
	v_mul_hi_u32 v5, s16, v3
	s_cmp_eq_u32 s61, s63
	v_sub_u32_e32 v1, v1, v4
	v_add_u32_e32 v4, v3, v5
	v_mul_lo_u32 v5, v1, s4
	v_mul_lo_u32 v6, v1, s5
	v_lshrrev_b32_e32 v1, s17, v4
	v_mul_lo_u32 v4, v1, s15
	v_mul_hi_u32 v7, s19, v1
	v_sub_u32_e32 v3, v3, v4
	v_add_u32_e32 v4, v1, v7
	v_lshrrev_b32_e32 v4, s36, v4
	v_mul_hi_u32 v8, s38, v4
	v_mul_lo_u32 v9, v4, s18
	v_mul_lo_u32 v7, v3, s6
	v_mul_lo_u32 v3, v3, s7
	v_sub_u32_e32 v9, v1, v9
	v_add_u32_e32 v1, v4, v8
	v_lshrrev_b32_e32 v1, s39, v1
	v_mul_lo_u32 v8, v1, s37
	v_mul_lo_u32 v10, v9, s8
	;; [unrolled: 1-line block ×3, first 2 shown]
	v_add3_u32 v0, v5, v0, v7
	v_sub_u32_e32 v4, v4, v8
	v_mul_lo_u32 v8, v4, s10
	v_mul_lo_u32 v4, v4, s11
	v_add3_u32 v2, v6, v2, v3
	v_add3_u32 v0, v10, v0, v8
	;; [unrolled: 1-line block ×3, first 2 shown]
	s_cbranch_scc0 .LBB93_19
	s_branch .LBB93_148
.LBB93_20:
                                        ; implicit-def: $vgpr0
                                        ; implicit-def: $vgpr2
	s_branch .LBB93_28
.LBB93_21:
                                        ; implicit-def: $vgpr0
                                        ; implicit-def: $vgpr2
	s_branch .LBB93_136
.LBB93_22:
                                        ; implicit-def: $vgpr0
                                        ; implicit-def: $vgpr2
	s_branch .LBB93_152
.LBB93_23:
	v_mov_b32_e32 v0, 0
	v_mov_b32_e32 v2, 0
	s_branch .LBB93_27
.LBB93_24:
	v_mov_b32_e32 v0, 0
	v_mov_b32_e32 v2, 0
	;; [unrolled: 1-line block ×3, first 2 shown]
	s_and_b32 s6, s27, 3
	s_cmp_eq_u32 s6, 0
	s_cbranch_scc1 .LBB93_27
.LBB93_25:
	s_lshl_b32 s2, s26, 3
	s_add_u32 s2, s34, s2
	s_addc_u32 s3, s35, 0
	s_add_u32 s2, s2, 0xc4
	s_addc_u32 s3, s3, 0
	s_mul_i32 s4, s26, 12
	s_add_u32 s4, s34, s4
	s_addc_u32 s5, s35, 0
.LBB93_26:                              ; =>This Inner Loop Header: Depth=1
	s_load_dwordx2 s[8:9], s[4:5], 0x4
	s_load_dword s7, s[4:5], 0xc
	s_load_dwordx2 s[10:11], s[2:3], 0x0
	s_add_u32 s4, s4, 12
	s_addc_u32 s5, s5, 0
	s_waitcnt lgkmcnt(0)
	v_mul_hi_u32 v4, s9, v1
	s_add_u32 s2, s2, 8
	s_addc_u32 s3, s3, 0
	s_add_i32 s6, s6, -1
	v_add_u32_e32 v4, v1, v4
	v_lshrrev_b32_e32 v4, s7, v4
	v_mul_lo_u32 v5, v4, s8
	s_cmp_lg_u32 s6, 0
	v_sub_u32_e32 v5, v1, v5
	v_mad_u64_u32 v[0:1], s[8:9], v5, s10, v[0:1]
	v_mad_u64_u32 v[2:3], s[8:9], v5, s11, v[2:3]
	v_mov_b32_e32 v1, v4
	s_cbranch_scc1 .LBB93_26
.LBB93_27:
	s_cbranch_execnz .LBB93_30
.LBB93_28:
	s_load_dwordx4 s[4:7], s[34:35], 0x4
	s_load_dwordx2 s[2:3], s[34:35], 0xc4
	s_cmp_lt_u32 s33, 2
	s_waitcnt lgkmcnt(0)
	v_mul_hi_u32 v0, s5, v19
	v_add_u32_e32 v0, v19, v0
	v_lshrrev_b32_e32 v1, s6, v0
	v_mul_lo_u32 v0, v1, s4
	v_sub_u32_e32 v2, v19, v0
	v_mul_lo_u32 v0, v2, s2
	v_mul_lo_u32 v2, v2, s3
	s_cbranch_scc1 .LBB93_30
; %bb.29:
	s_load_dwordx4 s[4:7], s[34:35], 0x10
	s_load_dwordx2 s[2:3], s[34:35], 0xcc
	s_waitcnt lgkmcnt(0)
	v_mul_hi_u32 v3, s5, v1
	v_add_u32_e32 v3, v1, v3
	v_lshrrev_b32_e32 v3, s6, v3
	v_mul_lo_u32 v3, v3, s4
	v_sub_u32_e32 v3, v1, v3
	v_mad_u64_u32 v[0:1], s[4:5], v3, s2, v[0:1]
	v_mad_u64_u32 v[2:3], s[2:3], v3, s3, v[2:3]
.LBB93_30:
	s_and_b64 vcc, exec, s[0:1]
	v_add_u32_e32 v1, 0x80, v19
	s_cbranch_vccnz .LBB93_36
; %bb.31:
	s_cmp_lg_u32 s33, 0
	s_mov_b32 s26, 0
	s_cbranch_scc0 .LBB93_37
; %bb.32:
	s_min_u32 s27, s58, 15
	s_add_i32 s27, s27, 1
	s_cmp_eq_u32 s58, 2
	s_cbranch_scc1 .LBB93_38
; %bb.33:
	s_and_b32 s26, s27, 28
	s_add_u32 s2, s34, 0xc4
	s_addc_u32 s3, s35, 0
	v_mov_b32_e32 v5, 0
	s_mov_b32 s28, 0
	s_mov_b64 s[24:25], s[34:35]
	v_mov_b32_e32 v3, 0
	v_mov_b32_e32 v4, v1
.LBB93_34:                              ; =>This Inner Loop Header: Depth=1
	s_load_dwordx8 s[12:19], s[24:25], 0x4
	s_load_dwordx4 s[20:23], s[24:25], 0x24
	s_load_dwordx8 s[4:11], s[2:3], 0x0
	s_add_u32 s24, s24, 48
	s_addc_u32 s25, s25, 0
	s_waitcnt lgkmcnt(0)
	v_mul_hi_u32 v6, s13, v4
	s_add_i32 s28, s28, 4
	s_add_u32 s2, s2, 32
	s_addc_u32 s3, s3, 0
	v_add_u32_e32 v6, v4, v6
	v_lshrrev_b32_e32 v6, s14, v6
	v_mul_lo_u32 v7, v6, s12
	v_mul_hi_u32 v8, s16, v6
	s_cmp_lg_u32 s26, s28
	v_sub_u32_e32 v4, v4, v7
	v_add_u32_e32 v7, v6, v8
	v_mul_lo_u32 v8, v4, s4
	v_mul_lo_u32 v9, v4, s5
	v_lshrrev_b32_e32 v4, s17, v7
	v_mul_lo_u32 v7, v4, s15
	v_mul_hi_u32 v10, s19, v4
	v_sub_u32_e32 v6, v6, v7
	v_add_u32_e32 v7, v4, v10
	v_lshrrev_b32_e32 v7, s20, v7
	v_mul_hi_u32 v11, s22, v7
	v_mul_lo_u32 v12, v7, s18
	v_mul_lo_u32 v10, v6, s6
	;; [unrolled: 1-line block ×3, first 2 shown]
	v_sub_u32_e32 v12, v4, v12
	v_add_u32_e32 v4, v7, v11
	v_lshrrev_b32_e32 v4, s23, v4
	v_mul_lo_u32 v11, v4, s21
	v_mul_lo_u32 v13, v12, s8
	;; [unrolled: 1-line block ×3, first 2 shown]
	v_add3_u32 v3, v8, v3, v10
	v_sub_u32_e32 v7, v7, v11
	v_mul_lo_u32 v11, v7, s10
	v_mul_lo_u32 v7, v7, s11
	v_add3_u32 v5, v9, v5, v6
	v_add3_u32 v3, v13, v3, v11
	;; [unrolled: 1-line block ×3, first 2 shown]
	s_cbranch_scc1 .LBB93_34
; %bb.35:
	s_and_b32 s6, s27, 3
	s_cmp_eq_u32 s6, 0
	s_cbranch_scc0 .LBB93_39
	s_branch .LBB93_41
.LBB93_36:
                                        ; implicit-def: $vgpr3
                                        ; implicit-def: $vgpr5
	s_branch .LBB93_42
.LBB93_37:
	v_mov_b32_e32 v3, 0
	v_mov_b32_e32 v5, 0
	s_branch .LBB93_41
.LBB93_38:
	v_mov_b32_e32 v3, 0
	v_mov_b32_e32 v5, 0
	;; [unrolled: 1-line block ×3, first 2 shown]
	s_and_b32 s6, s27, 3
	s_cmp_eq_u32 s6, 0
	s_cbranch_scc1 .LBB93_41
.LBB93_39:
	s_lshl_b32 s2, s26, 3
	s_add_u32 s2, s34, s2
	s_addc_u32 s3, s35, 0
	s_add_u32 s2, s2, 0xc4
	s_addc_u32 s3, s3, 0
	s_mul_i32 s4, s26, 12
	s_add_u32 s4, s34, s4
	s_addc_u32 s5, s35, 0
.LBB93_40:                              ; =>This Inner Loop Header: Depth=1
	s_load_dwordx2 s[8:9], s[4:5], 0x4
	s_load_dword s7, s[4:5], 0xc
	s_load_dwordx2 s[10:11], s[2:3], 0x0
	s_add_u32 s4, s4, 12
	s_addc_u32 s5, s5, 0
	s_waitcnt lgkmcnt(0)
	v_mul_hi_u32 v7, s9, v4
	s_add_u32 s2, s2, 8
	s_addc_u32 s3, s3, 0
	s_add_i32 s6, s6, -1
	v_add_u32_e32 v7, v4, v7
	v_lshrrev_b32_e32 v7, s7, v7
	v_mul_lo_u32 v8, v7, s8
	s_cmp_lg_u32 s6, 0
	v_sub_u32_e32 v8, v4, v8
	v_mad_u64_u32 v[3:4], s[8:9], v8, s10, v[3:4]
	v_mad_u64_u32 v[5:6], s[8:9], v8, s11, v[5:6]
	v_mov_b32_e32 v4, v7
	s_cbranch_scc1 .LBB93_40
.LBB93_41:
	s_cbranch_execnz .LBB93_44
.LBB93_42:
	s_load_dwordx4 s[4:7], s[34:35], 0x4
	s_load_dwordx2 s[2:3], s[34:35], 0xc4
	s_cmp_lt_u32 s33, 2
	s_waitcnt lgkmcnt(0)
	v_mul_hi_u32 v3, s5, v1
	v_add_u32_e32 v3, v1, v3
	v_lshrrev_b32_e32 v4, s6, v3
	v_mul_lo_u32 v3, v4, s4
	v_sub_u32_e32 v1, v1, v3
	v_mul_lo_u32 v3, v1, s2
	v_mul_lo_u32 v5, v1, s3
	s_cbranch_scc1 .LBB93_44
; %bb.43:
	s_load_dwordx4 s[4:7], s[34:35], 0x10
	s_load_dwordx2 s[2:3], s[34:35], 0xcc
	s_waitcnt lgkmcnt(0)
	v_mul_hi_u32 v1, s5, v4
	v_add_u32_e32 v1, v4, v1
	v_lshrrev_b32_e32 v1, s6, v1
	v_mul_lo_u32 v1, v1, s4
	v_sub_u32_e32 v1, v4, v1
	v_mad_u64_u32 v[3:4], s[4:5], v1, s2, v[3:4]
	v_mad_u64_u32 v[5:6], s[2:3], v1, s3, v[5:6]
.LBB93_44:
	s_and_b64 vcc, exec, s[0:1]
	v_add_u32_e32 v1, 0x100, v19
	s_cbranch_vccnz .LBB93_50
; %bb.45:
	s_cmp_lg_u32 s33, 0
	s_mov_b32 s26, 0
	s_cbranch_scc0 .LBB93_51
; %bb.46:
	s_min_u32 s27, s58, 15
	s_add_i32 s27, s27, 1
	s_cmp_eq_u32 s58, 2
	s_cbranch_scc1 .LBB93_52
; %bb.47:
	s_and_b32 s26, s27, 28
	s_add_u32 s2, s34, 0xc4
	s_addc_u32 s3, s35, 0
	v_mov_b32_e32 v8, 0
	s_mov_b32 s28, 0
	s_mov_b64 s[24:25], s[34:35]
	v_mov_b32_e32 v6, 0
	v_mov_b32_e32 v4, v1
.LBB93_48:                              ; =>This Inner Loop Header: Depth=1
	s_load_dwordx8 s[12:19], s[24:25], 0x4
	s_load_dwordx4 s[20:23], s[24:25], 0x24
	s_load_dwordx8 s[4:11], s[2:3], 0x0
	s_add_u32 s24, s24, 48
	s_addc_u32 s25, s25, 0
	s_waitcnt lgkmcnt(0)
	v_mul_hi_u32 v7, s13, v4
	s_add_i32 s28, s28, 4
	s_add_u32 s2, s2, 32
	s_addc_u32 s3, s3, 0
	v_add_u32_e32 v7, v4, v7
	v_lshrrev_b32_e32 v7, s14, v7
	v_mul_lo_u32 v9, v7, s12
	v_mul_hi_u32 v10, s16, v7
	s_cmp_lg_u32 s26, s28
	v_sub_u32_e32 v4, v4, v9
	v_add_u32_e32 v9, v7, v10
	v_mul_lo_u32 v10, v4, s4
	v_mul_lo_u32 v11, v4, s5
	v_lshrrev_b32_e32 v4, s17, v9
	v_mul_lo_u32 v9, v4, s15
	v_mul_hi_u32 v12, s19, v4
	v_sub_u32_e32 v7, v7, v9
	v_add_u32_e32 v9, v4, v12
	v_lshrrev_b32_e32 v9, s20, v9
	v_mul_hi_u32 v13, s22, v9
	v_mul_lo_u32 v14, v9, s18
	v_mul_lo_u32 v12, v7, s6
	;; [unrolled: 1-line block ×3, first 2 shown]
	v_sub_u32_e32 v14, v4, v14
	v_add_u32_e32 v4, v9, v13
	v_lshrrev_b32_e32 v4, s23, v4
	v_mul_lo_u32 v13, v4, s21
	v_mul_lo_u32 v15, v14, s8
	;; [unrolled: 1-line block ×3, first 2 shown]
	v_add3_u32 v6, v10, v6, v12
	v_sub_u32_e32 v9, v9, v13
	v_mul_lo_u32 v13, v9, s10
	v_mul_lo_u32 v9, v9, s11
	v_add3_u32 v7, v11, v8, v7
	v_add3_u32 v6, v15, v6, v13
	;; [unrolled: 1-line block ×3, first 2 shown]
	s_cbranch_scc1 .LBB93_48
; %bb.49:
	s_and_b32 s6, s27, 3
	s_cmp_eq_u32 s6, 0
	s_cbranch_scc0 .LBB93_53
	s_branch .LBB93_55
.LBB93_50:
                                        ; implicit-def: $vgpr6
                                        ; implicit-def: $vgpr8
	s_branch .LBB93_56
.LBB93_51:
	v_mov_b32_e32 v6, 0
	v_mov_b32_e32 v8, 0
	s_branch .LBB93_55
.LBB93_52:
	v_mov_b32_e32 v6, 0
	v_mov_b32_e32 v8, 0
	;; [unrolled: 1-line block ×3, first 2 shown]
	s_and_b32 s6, s27, 3
	s_cmp_eq_u32 s6, 0
	s_cbranch_scc1 .LBB93_55
.LBB93_53:
	s_lshl_b32 s2, s26, 3
	s_add_u32 s2, s34, s2
	s_addc_u32 s3, s35, 0
	s_add_u32 s2, s2, 0xc4
	s_addc_u32 s3, s3, 0
	s_mul_i32 s4, s26, 12
	s_add_u32 s4, s34, s4
	s_addc_u32 s5, s35, 0
.LBB93_54:                              ; =>This Inner Loop Header: Depth=1
	s_load_dwordx2 s[8:9], s[4:5], 0x4
	s_load_dword s7, s[4:5], 0xc
	s_load_dwordx2 s[10:11], s[2:3], 0x0
	s_add_u32 s4, s4, 12
	s_addc_u32 s5, s5, 0
	s_waitcnt lgkmcnt(0)
	v_mul_hi_u32 v7, s9, v4
	s_add_u32 s2, s2, 8
	s_addc_u32 s3, s3, 0
	s_add_i32 s6, s6, -1
	v_add_u32_e32 v7, v4, v7
	v_lshrrev_b32_e32 v10, s7, v7
	v_mul_lo_u32 v7, v10, s8
	s_cmp_lg_u32 s6, 0
	v_sub_u32_e32 v4, v4, v7
	v_mad_u64_u32 v[6:7], s[8:9], v4, s10, v[6:7]
	v_mad_u64_u32 v[8:9], s[8:9], v4, s11, v[8:9]
	v_mov_b32_e32 v4, v10
	s_cbranch_scc1 .LBB93_54
.LBB93_55:
	s_cbranch_execnz .LBB93_58
.LBB93_56:
	s_load_dwordx4 s[4:7], s[34:35], 0x4
	s_load_dwordx2 s[2:3], s[34:35], 0xc4
	s_cmp_lt_u32 s33, 2
	s_waitcnt lgkmcnt(0)
	v_mul_hi_u32 v4, s5, v1
	v_add_u32_e32 v4, v1, v4
	v_lshrrev_b32_e32 v4, s6, v4
	v_mul_lo_u32 v6, v4, s4
	v_sub_u32_e32 v1, v1, v6
	v_mul_lo_u32 v6, v1, s2
	v_mul_lo_u32 v8, v1, s3
	s_cbranch_scc1 .LBB93_58
; %bb.57:
	s_load_dwordx4 s[4:7], s[34:35], 0x10
	s_load_dwordx2 s[2:3], s[34:35], 0xcc
	s_waitcnt lgkmcnt(0)
	v_mul_hi_u32 v1, s5, v4
	v_add_u32_e32 v1, v4, v1
	v_lshrrev_b32_e32 v1, s6, v1
	v_mul_lo_u32 v1, v1, s4
	v_sub_u32_e32 v1, v4, v1
	v_mad_u64_u32 v[6:7], s[4:5], v1, s2, v[6:7]
	v_mad_u64_u32 v[8:9], s[2:3], v1, s3, v[8:9]
.LBB93_58:
	s_and_b64 vcc, exec, s[0:1]
	v_add_u32_e32 v1, 0x180, v19
	s_cbranch_vccnz .LBB93_64
; %bb.59:
	s_cmp_lg_u32 s33, 0
	s_mov_b32 s26, 0
	s_cbranch_scc0 .LBB93_65
; %bb.60:
	s_min_u32 s27, s58, 15
	s_add_i32 s27, s27, 1
	s_cmp_eq_u32 s58, 2
	s_cbranch_scc1 .LBB93_66
; %bb.61:
	s_and_b32 s26, s27, 28
	s_add_u32 s2, s34, 0xc4
	s_addc_u32 s3, s35, 0
	v_mov_b32_e32 v11, 0
	s_mov_b32 s28, 0
	s_mov_b64 s[24:25], s[34:35]
	v_mov_b32_e32 v9, 0
	v_mov_b32_e32 v4, v1
.LBB93_62:                              ; =>This Inner Loop Header: Depth=1
	s_load_dwordx8 s[12:19], s[24:25], 0x4
	s_load_dwordx4 s[20:23], s[24:25], 0x24
	s_load_dwordx8 s[4:11], s[2:3], 0x0
	s_add_u32 s24, s24, 48
	s_addc_u32 s25, s25, 0
	s_waitcnt lgkmcnt(0)
	v_mul_hi_u32 v7, s13, v4
	s_add_i32 s28, s28, 4
	s_add_u32 s2, s2, 32
	s_addc_u32 s3, s3, 0
	v_add_u32_e32 v7, v4, v7
	v_lshrrev_b32_e32 v7, s14, v7
	v_mul_lo_u32 v10, v7, s12
	v_mul_hi_u32 v12, s16, v7
	s_cmp_lg_u32 s26, s28
	v_sub_u32_e32 v4, v4, v10
	v_add_u32_e32 v10, v7, v12
	v_mul_lo_u32 v12, v4, s4
	v_mul_lo_u32 v13, v4, s5
	v_lshrrev_b32_e32 v4, s17, v10
	v_mul_lo_u32 v10, v4, s15
	v_mul_hi_u32 v14, s19, v4
	v_sub_u32_e32 v7, v7, v10
	v_add_u32_e32 v10, v4, v14
	v_lshrrev_b32_e32 v10, s20, v10
	v_mul_hi_u32 v15, s22, v10
	v_mul_lo_u32 v16, v10, s18
	v_mul_lo_u32 v14, v7, s6
	;; [unrolled: 1-line block ×3, first 2 shown]
	v_sub_u32_e32 v16, v4, v16
	v_add_u32_e32 v4, v10, v15
	v_lshrrev_b32_e32 v4, s23, v4
	v_mul_lo_u32 v15, v4, s21
	v_mul_lo_u32 v17, v16, s8
	;; [unrolled: 1-line block ×3, first 2 shown]
	v_add3_u32 v9, v12, v9, v14
	v_sub_u32_e32 v10, v10, v15
	v_mul_lo_u32 v15, v10, s10
	v_mul_lo_u32 v10, v10, s11
	v_add3_u32 v7, v13, v11, v7
	v_add3_u32 v9, v17, v9, v15
	;; [unrolled: 1-line block ×3, first 2 shown]
	s_cbranch_scc1 .LBB93_62
; %bb.63:
	s_and_b32 s6, s27, 3
	s_cmp_eq_u32 s6, 0
	s_cbranch_scc0 .LBB93_67
	s_branch .LBB93_69
.LBB93_64:
                                        ; implicit-def: $vgpr9
                                        ; implicit-def: $vgpr11
	s_branch .LBB93_70
.LBB93_65:
	v_mov_b32_e32 v9, 0
	v_mov_b32_e32 v11, 0
	s_branch .LBB93_69
.LBB93_66:
	v_mov_b32_e32 v9, 0
	v_mov_b32_e32 v11, 0
	;; [unrolled: 1-line block ×3, first 2 shown]
	s_and_b32 s6, s27, 3
	s_cmp_eq_u32 s6, 0
	s_cbranch_scc1 .LBB93_69
.LBB93_67:
	s_lshl_b32 s2, s26, 3
	s_add_u32 s2, s34, s2
	s_addc_u32 s3, s35, 0
	s_add_u32 s2, s2, 0xc4
	s_addc_u32 s3, s3, 0
	s_mul_i32 s4, s26, 12
	s_add_u32 s4, s34, s4
	s_addc_u32 s5, s35, 0
.LBB93_68:                              ; =>This Inner Loop Header: Depth=1
	s_load_dwordx2 s[8:9], s[4:5], 0x4
	s_load_dword s7, s[4:5], 0xc
	s_load_dwordx2 s[10:11], s[2:3], 0x0
	s_add_u32 s4, s4, 12
	s_addc_u32 s5, s5, 0
	s_waitcnt lgkmcnt(0)
	v_mul_hi_u32 v7, s9, v4
	s_add_u32 s2, s2, 8
	s_addc_u32 s3, s3, 0
	s_add_i32 s6, s6, -1
	v_add_u32_e32 v7, v4, v7
	v_lshrrev_b32_e32 v7, s7, v7
	v_mul_lo_u32 v10, v7, s8
	s_cmp_lg_u32 s6, 0
	v_sub_u32_e32 v4, v4, v10
	v_mad_u64_u32 v[9:10], s[8:9], v4, s10, v[9:10]
	v_mad_u64_u32 v[11:12], s[8:9], v4, s11, v[11:12]
	v_mov_b32_e32 v4, v7
	s_cbranch_scc1 .LBB93_68
.LBB93_69:
	s_cbranch_execnz .LBB93_72
.LBB93_70:
	s_load_dwordx4 s[4:7], s[34:35], 0x4
	s_load_dwordx2 s[2:3], s[34:35], 0xc4
	s_cmp_lt_u32 s33, 2
	s_waitcnt lgkmcnt(0)
	v_mul_hi_u32 v4, s5, v1
	v_add_u32_e32 v4, v1, v4
	v_lshrrev_b32_e32 v4, s6, v4
	v_mul_lo_u32 v7, v4, s4
	v_sub_u32_e32 v1, v1, v7
	v_mul_lo_u32 v9, v1, s2
	v_mul_lo_u32 v11, v1, s3
	s_cbranch_scc1 .LBB93_72
; %bb.71:
	s_load_dwordx4 s[4:7], s[34:35], 0x10
	s_load_dwordx2 s[2:3], s[34:35], 0xcc
	s_waitcnt lgkmcnt(0)
	v_mul_hi_u32 v1, s5, v4
	v_add_u32_e32 v1, v4, v1
	v_lshrrev_b32_e32 v1, s6, v1
	v_mul_lo_u32 v1, v1, s4
	v_sub_u32_e32 v1, v4, v1
	v_mad_u64_u32 v[9:10], s[4:5], v1, s2, v[9:10]
	v_mad_u64_u32 v[11:12], s[2:3], v1, s3, v[11:12]
.LBB93_72:
	s_and_b64 vcc, exec, s[0:1]
	v_add_u32_e32 v1, 0x200, v19
	s_cbranch_vccnz .LBB93_78
; %bb.73:
	s_cmp_lg_u32 s33, 0
	s_mov_b32 s26, 0
	s_cbranch_scc0 .LBB93_79
; %bb.74:
	s_min_u32 s27, s58, 15
	s_add_i32 s27, s27, 1
	s_cmp_eq_u32 s58, 2
	s_cbranch_scc1 .LBB93_80
; %bb.75:
	s_and_b32 s26, s27, 28
	s_add_u32 s2, s34, 0xc4
	s_addc_u32 s3, s35, 0
	v_mov_b32_e32 v14, 0
	s_mov_b32 s28, 0
	s_mov_b64 s[24:25], s[34:35]
	v_mov_b32_e32 v12, 0
	v_mov_b32_e32 v4, v1
.LBB93_76:                              ; =>This Inner Loop Header: Depth=1
	s_load_dwordx8 s[12:19], s[24:25], 0x4
	s_load_dwordx4 s[20:23], s[24:25], 0x24
	s_load_dwordx8 s[4:11], s[2:3], 0x0
	s_add_u32 s24, s24, 48
	s_addc_u32 s25, s25, 0
	s_waitcnt lgkmcnt(0)
	v_mul_hi_u32 v7, s13, v4
	s_add_i32 s28, s28, 4
	s_add_u32 s2, s2, 32
	s_addc_u32 s3, s3, 0
	v_add_u32_e32 v7, v4, v7
	v_lshrrev_b32_e32 v7, s14, v7
	v_mul_lo_u32 v10, v7, s12
	v_mul_hi_u32 v13, s16, v7
	s_cmp_lg_u32 s26, s28
	v_sub_u32_e32 v4, v4, v10
	v_add_u32_e32 v10, v7, v13
	v_mul_lo_u32 v13, v4, s4
	v_mul_lo_u32 v15, v4, s5
	v_lshrrev_b32_e32 v4, s17, v10
	v_mul_lo_u32 v10, v4, s15
	v_mul_hi_u32 v16, s19, v4
	v_sub_u32_e32 v7, v7, v10
	v_add_u32_e32 v10, v4, v16
	v_lshrrev_b32_e32 v10, s20, v10
	v_mul_hi_u32 v17, s22, v10
	v_mul_lo_u32 v18, v10, s18
	v_mul_lo_u32 v16, v7, s6
	;; [unrolled: 1-line block ×3, first 2 shown]
	v_sub_u32_e32 v18, v4, v18
	v_add_u32_e32 v4, v10, v17
	v_lshrrev_b32_e32 v4, s23, v4
	v_mul_lo_u32 v17, v4, s21
	v_mul_lo_u32 v20, v18, s8
	v_mul_lo_u32 v18, v18, s9
	v_add3_u32 v12, v13, v12, v16
	v_sub_u32_e32 v10, v10, v17
	v_mul_lo_u32 v17, v10, s10
	v_mul_lo_u32 v10, v10, s11
	v_add3_u32 v7, v15, v14, v7
	v_add3_u32 v12, v20, v12, v17
	;; [unrolled: 1-line block ×3, first 2 shown]
	s_cbranch_scc1 .LBB93_76
; %bb.77:
	s_and_b32 s6, s27, 3
	s_cmp_eq_u32 s6, 0
	s_cbranch_scc0 .LBB93_81
	s_branch .LBB93_83
.LBB93_78:
                                        ; implicit-def: $vgpr12
                                        ; implicit-def: $vgpr14
	s_branch .LBB93_84
.LBB93_79:
	v_mov_b32_e32 v12, 0
	v_mov_b32_e32 v14, 0
	s_branch .LBB93_83
.LBB93_80:
	v_mov_b32_e32 v12, 0
	v_mov_b32_e32 v14, 0
	;; [unrolled: 1-line block ×3, first 2 shown]
	s_and_b32 s6, s27, 3
	s_cmp_eq_u32 s6, 0
	s_cbranch_scc1 .LBB93_83
.LBB93_81:
	s_lshl_b32 s2, s26, 3
	s_add_u32 s2, s34, s2
	s_addc_u32 s3, s35, 0
	s_add_u32 s2, s2, 0xc4
	s_addc_u32 s3, s3, 0
	s_mul_i32 s4, s26, 12
	s_add_u32 s4, s34, s4
	s_addc_u32 s5, s35, 0
.LBB93_82:                              ; =>This Inner Loop Header: Depth=1
	s_load_dwordx2 s[8:9], s[4:5], 0x4
	s_load_dword s7, s[4:5], 0xc
	s_load_dwordx2 s[10:11], s[2:3], 0x0
	s_add_u32 s4, s4, 12
	s_addc_u32 s5, s5, 0
	s_waitcnt lgkmcnt(0)
	v_mul_hi_u32 v7, s9, v4
	s_add_u32 s2, s2, 8
	s_addc_u32 s3, s3, 0
	s_add_i32 s6, s6, -1
	v_add_u32_e32 v7, v4, v7
	v_lshrrev_b32_e32 v7, s7, v7
	v_mul_lo_u32 v10, v7, s8
	s_cmp_lg_u32 s6, 0
	v_sub_u32_e32 v4, v4, v10
	v_mad_u64_u32 v[12:13], s[8:9], v4, s10, v[12:13]
	v_mad_u64_u32 v[14:15], s[8:9], v4, s11, v[14:15]
	v_mov_b32_e32 v4, v7
	s_cbranch_scc1 .LBB93_82
.LBB93_83:
	s_cbranch_execnz .LBB93_86
.LBB93_84:
	s_load_dwordx4 s[4:7], s[34:35], 0x4
	s_load_dwordx2 s[2:3], s[34:35], 0xc4
	s_cmp_lt_u32 s33, 2
	s_waitcnt lgkmcnt(0)
	v_mul_hi_u32 v4, s5, v1
	v_add_u32_e32 v4, v1, v4
	v_lshrrev_b32_e32 v4, s6, v4
	v_mul_lo_u32 v7, v4, s4
	v_sub_u32_e32 v1, v1, v7
	v_mul_lo_u32 v12, v1, s2
	v_mul_lo_u32 v14, v1, s3
	s_cbranch_scc1 .LBB93_86
; %bb.85:
	s_load_dwordx4 s[4:7], s[34:35], 0x10
	s_load_dwordx2 s[2:3], s[34:35], 0xcc
	s_waitcnt lgkmcnt(0)
	v_mul_hi_u32 v1, s5, v4
	v_add_u32_e32 v1, v4, v1
	v_lshrrev_b32_e32 v1, s6, v1
	v_mul_lo_u32 v1, v1, s4
	v_sub_u32_e32 v1, v4, v1
	v_mad_u64_u32 v[12:13], s[4:5], v1, s2, v[12:13]
	v_mad_u64_u32 v[14:15], s[2:3], v1, s3, v[14:15]
.LBB93_86:
	s_and_b64 vcc, exec, s[0:1]
	v_add_u32_e32 v1, 0x280, v19
	s_cbranch_vccnz .LBB93_92
; %bb.87:
	s_cmp_lg_u32 s33, 0
	s_mov_b32 s26, 0
	s_cbranch_scc0 .LBB93_93
; %bb.88:
	s_min_u32 s27, s58, 15
	s_add_i32 s27, s27, 1
	s_cmp_eq_u32 s58, 2
	s_cbranch_scc1 .LBB93_94
; %bb.89:
	s_and_b32 s26, s27, 28
	s_add_u32 s2, s34, 0xc4
	s_addc_u32 s3, s35, 0
	v_mov_b32_e32 v17, 0
	s_mov_b32 s28, 0
	s_mov_b64 s[24:25], s[34:35]
	v_mov_b32_e32 v15, 0
	v_mov_b32_e32 v4, v1
.LBB93_90:                              ; =>This Inner Loop Header: Depth=1
	s_load_dwordx8 s[12:19], s[24:25], 0x4
	s_load_dwordx4 s[20:23], s[24:25], 0x24
	s_load_dwordx8 s[4:11], s[2:3], 0x0
	s_add_u32 s24, s24, 48
	s_addc_u32 s25, s25, 0
	s_waitcnt lgkmcnt(0)
	v_mul_hi_u32 v7, s13, v4
	s_add_i32 s28, s28, 4
	s_add_u32 s2, s2, 32
	s_addc_u32 s3, s3, 0
	v_add_u32_e32 v7, v4, v7
	v_lshrrev_b32_e32 v7, s14, v7
	v_mul_lo_u32 v10, v7, s12
	v_mul_hi_u32 v13, s16, v7
	s_cmp_lg_u32 s26, s28
	v_sub_u32_e32 v4, v4, v10
	v_add_u32_e32 v10, v7, v13
	v_mul_lo_u32 v13, v4, s4
	v_mul_lo_u32 v16, v4, s5
	v_lshrrev_b32_e32 v4, s17, v10
	v_mul_lo_u32 v10, v4, s15
	v_mul_hi_u32 v18, s19, v4
	v_sub_u32_e32 v7, v7, v10
	v_add_u32_e32 v10, v4, v18
	v_lshrrev_b32_e32 v10, s20, v10
	v_mul_hi_u32 v20, s22, v10
	v_mul_lo_u32 v21, v10, s18
	v_mul_lo_u32 v18, v7, s6
	;; [unrolled: 1-line block ×3, first 2 shown]
	v_sub_u32_e32 v21, v4, v21
	v_add_u32_e32 v4, v10, v20
	v_lshrrev_b32_e32 v4, s23, v4
	v_mul_lo_u32 v20, v4, s21
	v_mul_lo_u32 v22, v21, s8
	;; [unrolled: 1-line block ×3, first 2 shown]
	v_add3_u32 v13, v13, v15, v18
	v_sub_u32_e32 v10, v10, v20
	v_mul_lo_u32 v20, v10, s10
	v_mul_lo_u32 v10, v10, s11
	v_add3_u32 v7, v16, v17, v7
	v_add3_u32 v15, v22, v13, v20
	v_add3_u32 v17, v21, v7, v10
	s_cbranch_scc1 .LBB93_90
; %bb.91:
	s_and_b32 s6, s27, 3
	s_cmp_eq_u32 s6, 0
	s_cbranch_scc0 .LBB93_95
	s_branch .LBB93_97
.LBB93_92:
                                        ; implicit-def: $vgpr15
                                        ; implicit-def: $vgpr17
	s_branch .LBB93_98
.LBB93_93:
	v_mov_b32_e32 v15, 0
	v_mov_b32_e32 v17, 0
	s_branch .LBB93_97
.LBB93_94:
	v_mov_b32_e32 v15, 0
	v_mov_b32_e32 v17, 0
	;; [unrolled: 1-line block ×3, first 2 shown]
	s_and_b32 s6, s27, 3
	s_cmp_eq_u32 s6, 0
	s_cbranch_scc1 .LBB93_97
.LBB93_95:
	s_lshl_b32 s2, s26, 3
	s_add_u32 s2, s34, s2
	s_addc_u32 s3, s35, 0
	s_add_u32 s2, s2, 0xc4
	s_addc_u32 s3, s3, 0
	s_mul_i32 s4, s26, 12
	s_add_u32 s4, s34, s4
	s_addc_u32 s5, s35, 0
.LBB93_96:                              ; =>This Inner Loop Header: Depth=1
	s_load_dwordx2 s[8:9], s[4:5], 0x4
	s_load_dword s7, s[4:5], 0xc
	s_load_dwordx2 s[10:11], s[2:3], 0x0
	s_add_u32 s4, s4, 12
	s_addc_u32 s5, s5, 0
	s_waitcnt lgkmcnt(0)
	v_mul_hi_u32 v7, s9, v4
	s_add_u32 s2, s2, 8
	s_addc_u32 s3, s3, 0
	s_add_i32 s6, s6, -1
	v_add_u32_e32 v7, v4, v7
	v_lshrrev_b32_e32 v7, s7, v7
	v_mul_lo_u32 v10, v7, s8
	s_cmp_lg_u32 s6, 0
	v_sub_u32_e32 v4, v4, v10
	v_mad_u64_u32 v[15:16], s[8:9], v4, s10, v[15:16]
	v_mad_u64_u32 v[17:18], s[8:9], v4, s11, v[17:18]
	v_mov_b32_e32 v4, v7
	s_cbranch_scc1 .LBB93_96
.LBB93_97:
	s_cbranch_execnz .LBB93_100
.LBB93_98:
	s_load_dwordx4 s[4:7], s[34:35], 0x4
	s_load_dwordx2 s[2:3], s[34:35], 0xc4
	s_cmp_lt_u32 s33, 2
	s_waitcnt lgkmcnt(0)
	v_mul_hi_u32 v4, s5, v1
	v_add_u32_e32 v4, v1, v4
	v_lshrrev_b32_e32 v4, s6, v4
	v_mul_lo_u32 v7, v4, s4
	v_sub_u32_e32 v1, v1, v7
	v_mul_lo_u32 v15, v1, s2
	v_mul_lo_u32 v17, v1, s3
	s_cbranch_scc1 .LBB93_100
; %bb.99:
	s_load_dwordx4 s[4:7], s[34:35], 0x10
	s_load_dwordx2 s[2:3], s[34:35], 0xcc
	s_waitcnt lgkmcnt(0)
	v_mul_hi_u32 v1, s5, v4
	v_add_u32_e32 v1, v4, v1
	v_lshrrev_b32_e32 v1, s6, v1
	v_mul_lo_u32 v1, v1, s4
	v_sub_u32_e32 v1, v4, v1
	v_mad_u64_u32 v[15:16], s[4:5], v1, s2, v[15:16]
	v_mad_u64_u32 v[17:18], s[2:3], v1, s3, v[17:18]
.LBB93_100:
	s_and_b64 vcc, exec, s[0:1]
	v_add_u32_e32 v1, 0x300, v19
	s_cbranch_vccnz .LBB93_106
; %bb.101:
	s_cmp_lg_u32 s33, 0
	s_mov_b32 s26, 0
	s_cbranch_scc0 .LBB93_107
; %bb.102:
	s_min_u32 s27, s58, 15
	s_add_i32 s27, s27, 1
	s_cmp_eq_u32 s58, 2
	s_cbranch_scc1 .LBB93_108
; %bb.103:
	s_and_b32 s26, s27, 28
	s_add_u32 s2, s34, 0xc4
	s_addc_u32 s3, s35, 0
	v_mov_b32_e32 v20, 0
	s_mov_b32 s28, 0
	s_mov_b64 s[24:25], s[34:35]
	v_mov_b32_e32 v18, 0
	v_mov_b32_e32 v4, v1
.LBB93_104:                             ; =>This Inner Loop Header: Depth=1
	s_load_dwordx8 s[12:19], s[24:25], 0x4
	s_load_dwordx4 s[20:23], s[24:25], 0x24
	s_load_dwordx8 s[4:11], s[2:3], 0x0
	s_add_u32 s24, s24, 48
	s_addc_u32 s25, s25, 0
	s_waitcnt lgkmcnt(0)
	v_mul_hi_u32 v7, s13, v4
	s_add_i32 s28, s28, 4
	s_add_u32 s2, s2, 32
	s_addc_u32 s3, s3, 0
	v_add_u32_e32 v7, v4, v7
	v_lshrrev_b32_e32 v7, s14, v7
	v_mul_lo_u32 v10, v7, s12
	v_mul_hi_u32 v13, s16, v7
	s_cmp_lg_u32 s26, s28
	v_sub_u32_e32 v4, v4, v10
	v_add_u32_e32 v10, v7, v13
	v_mul_lo_u32 v13, v4, s4
	v_mul_lo_u32 v16, v4, s5
	v_lshrrev_b32_e32 v4, s17, v10
	v_mul_lo_u32 v10, v4, s15
	v_mul_hi_u32 v19, s19, v4
	v_sub_u32_e32 v7, v7, v10
	v_add_u32_e32 v10, v4, v19
	v_lshrrev_b32_e32 v10, s20, v10
	v_mul_hi_u32 v21, s22, v10
	v_mul_lo_u32 v22, v10, s18
	v_mul_lo_u32 v19, v7, s6
	;; [unrolled: 1-line block ×3, first 2 shown]
	v_sub_u32_e32 v22, v4, v22
	v_add_u32_e32 v4, v10, v21
	v_lshrrev_b32_e32 v4, s23, v4
	v_mul_lo_u32 v21, v4, s21
	v_mul_lo_u32 v23, v22, s8
	;; [unrolled: 1-line block ×3, first 2 shown]
	v_add3_u32 v13, v13, v18, v19
	v_sub_u32_e32 v10, v10, v21
	v_mul_lo_u32 v21, v10, s10
	v_mul_lo_u32 v10, v10, s11
	v_add3_u32 v7, v16, v20, v7
	v_add3_u32 v18, v23, v13, v21
	;; [unrolled: 1-line block ×3, first 2 shown]
	s_cbranch_scc1 .LBB93_104
; %bb.105:
	s_and_b32 s6, s27, 3
	s_cmp_eq_u32 s6, 0
	s_cbranch_scc0 .LBB93_109
	s_branch .LBB93_111
.LBB93_106:
                                        ; implicit-def: $vgpr18
                                        ; implicit-def: $vgpr20
	s_branch .LBB93_112
.LBB93_107:
	v_mov_b32_e32 v18, 0
	v_mov_b32_e32 v20, 0
	s_branch .LBB93_111
.LBB93_108:
	v_mov_b32_e32 v18, 0
	v_mov_b32_e32 v20, 0
	;; [unrolled: 1-line block ×3, first 2 shown]
	s_and_b32 s6, s27, 3
	s_cmp_eq_u32 s6, 0
	s_cbranch_scc1 .LBB93_111
.LBB93_109:
	s_lshl_b32 s2, s26, 3
	s_add_u32 s2, s34, s2
	s_addc_u32 s3, s35, 0
	s_add_u32 s2, s2, 0xc4
	s_addc_u32 s3, s3, 0
	s_mul_i32 s4, s26, 12
	s_add_u32 s4, s34, s4
	s_addc_u32 s5, s35, 0
.LBB93_110:                             ; =>This Inner Loop Header: Depth=1
	s_load_dwordx2 s[8:9], s[4:5], 0x4
	s_load_dword s7, s[4:5], 0xc
	s_load_dwordx2 s[10:11], s[2:3], 0x0
	s_add_u32 s4, s4, 12
	s_addc_u32 s5, s5, 0
	s_waitcnt lgkmcnt(0)
	v_mul_hi_u32 v7, s9, v4
	s_add_u32 s2, s2, 8
	s_addc_u32 s3, s3, 0
	s_add_i32 s6, s6, -1
	v_add_u32_e32 v7, v4, v7
	v_lshrrev_b32_e32 v7, s7, v7
	v_mul_lo_u32 v10, v7, s8
	s_cmp_lg_u32 s6, 0
	v_sub_u32_e32 v4, v4, v10
	v_mad_u64_u32 v[18:19], s[8:9], v4, s10, v[18:19]
	v_mad_u64_u32 v[20:21], s[8:9], v4, s11, v[20:21]
	v_mov_b32_e32 v4, v7
	s_cbranch_scc1 .LBB93_110
.LBB93_111:
	s_cbranch_execnz .LBB93_114
.LBB93_112:
	s_load_dwordx4 s[4:7], s[34:35], 0x4
	s_load_dwordx2 s[2:3], s[34:35], 0xc4
	s_cmp_lt_u32 s33, 2
	s_waitcnt lgkmcnt(0)
	v_mul_hi_u32 v4, s5, v1
	v_add_u32_e32 v4, v1, v4
	v_lshrrev_b32_e32 v4, s6, v4
	v_mul_lo_u32 v7, v4, s4
	v_sub_u32_e32 v1, v1, v7
	v_mul_lo_u32 v18, v1, s2
	v_mul_lo_u32 v20, v1, s3
	s_cbranch_scc1 .LBB93_114
; %bb.113:
	s_load_dwordx4 s[4:7], s[34:35], 0x10
	s_load_dwordx2 s[2:3], s[34:35], 0xcc
	s_waitcnt lgkmcnt(0)
	v_mul_hi_u32 v1, s5, v4
	v_add_u32_e32 v1, v4, v1
	v_lshrrev_b32_e32 v1, s6, v1
	v_mul_lo_u32 v1, v1, s4
	v_sub_u32_e32 v1, v4, v1
	v_mad_u64_u32 v[18:19], s[4:5], v1, s2, v[18:19]
	v_mad_u64_u32 v[20:21], s[2:3], v1, s3, v[20:21]
.LBB93_114:
	s_and_b64 vcc, exec, s[0:1]
	s_cbranch_vccnz .LBB93_120
; %bb.115:
	s_cmp_lg_u32 s33, 0
	s_mov_b32 s24, 0
	s_cbranch_scc0 .LBB93_121
; %bb.116:
	s_min_u32 s25, s58, 15
	s_add_i32 s25, s25, 1
	s_cmp_eq_u32 s58, 2
	s_cbranch_scc1 .LBB93_122
; %bb.117:
	s_and_b32 s24, s25, 28
	s_add_u32 s20, s34, 0xc4
	s_addc_u32 s21, s35, 0
	v_mov_b32_e32 v23, 0
	s_mov_b32 s26, 0
	s_mov_b64 s[22:23], s[34:35]
	v_mov_b32_e32 v21, 0
	v_mov_b32_e32 v1, v25
.LBB93_118:                             ; =>This Inner Loop Header: Depth=1
	s_load_dwordx8 s[8:15], s[22:23], 0x4
	s_load_dwordx4 s[16:19], s[22:23], 0x24
	s_load_dwordx8 s[0:7], s[20:21], 0x0
	s_add_u32 s22, s22, 48
	s_addc_u32 s23, s23, 0
	s_waitcnt lgkmcnt(0)
	v_mul_hi_u32 v4, s9, v1
	s_add_i32 s26, s26, 4
	s_add_u32 s20, s20, 32
	s_addc_u32 s21, s21, 0
	v_add_u32_e32 v4, v1, v4
	v_lshrrev_b32_e32 v4, s10, v4
	v_mul_lo_u32 v7, v4, s8
	v_mul_hi_u32 v10, s12, v4
	s_cmp_lg_u32 s24, s26
	v_sub_u32_e32 v1, v1, v7
	v_add_u32_e32 v7, v4, v10
	v_mul_lo_u32 v10, v1, s0
	v_mul_lo_u32 v13, v1, s1
	v_lshrrev_b32_e32 v1, s13, v7
	v_mul_lo_u32 v7, v1, s11
	v_mul_hi_u32 v16, s15, v1
	v_sub_u32_e32 v4, v4, v7
	v_add_u32_e32 v7, v1, v16
	v_lshrrev_b32_e32 v7, s16, v7
	v_mul_hi_u32 v19, s18, v7
	v_mul_lo_u32 v22, v7, s14
	v_mul_lo_u32 v16, v4, s2
	;; [unrolled: 1-line block ×3, first 2 shown]
	v_sub_u32_e32 v22, v1, v22
	v_add_u32_e32 v1, v7, v19
	v_lshrrev_b32_e32 v1, s19, v1
	v_mul_lo_u32 v19, v1, s17
	v_mul_lo_u32 v24, v22, s4
	;; [unrolled: 1-line block ×3, first 2 shown]
	v_add3_u32 v10, v10, v21, v16
	v_sub_u32_e32 v7, v7, v19
	v_mul_lo_u32 v19, v7, s6
	v_mul_lo_u32 v7, v7, s7
	v_add3_u32 v4, v13, v23, v4
	v_add3_u32 v21, v24, v10, v19
	;; [unrolled: 1-line block ×3, first 2 shown]
	s_cbranch_scc1 .LBB93_118
; %bb.119:
	s_and_b32 s4, s25, 3
	s_cmp_eq_u32 s4, 0
	s_cbranch_scc0 .LBB93_123
	s_branch .LBB93_125
.LBB93_120:
                                        ; implicit-def: $vgpr21
                                        ; implicit-def: $vgpr23
	s_branch .LBB93_126
.LBB93_121:
	v_mov_b32_e32 v21, 0
	v_mov_b32_e32 v23, 0
	s_branch .LBB93_125
.LBB93_122:
	v_mov_b32_e32 v21, 0
	v_mov_b32_e32 v23, 0
	;; [unrolled: 1-line block ×3, first 2 shown]
	s_and_b32 s4, s25, 3
	s_cmp_eq_u32 s4, 0
	s_cbranch_scc1 .LBB93_125
.LBB93_123:
	s_lshl_b32 s0, s24, 3
	s_add_u32 s0, s34, s0
	s_addc_u32 s1, s35, 0
	s_add_u32 s0, s0, 0xc4
	s_addc_u32 s1, s1, 0
	s_mul_i32 s2, s24, 12
	s_add_u32 s2, s34, s2
	s_addc_u32 s3, s35, 0
.LBB93_124:                             ; =>This Inner Loop Header: Depth=1
	s_load_dwordx2 s[6:7], s[2:3], 0x4
	s_load_dword s5, s[2:3], 0xc
	s_load_dwordx2 s[8:9], s[0:1], 0x0
	s_add_u32 s2, s2, 12
	s_addc_u32 s3, s3, 0
	s_waitcnt lgkmcnt(0)
	v_mul_hi_u32 v4, s7, v1
	s_add_u32 s0, s0, 8
	s_addc_u32 s1, s1, 0
	s_add_i32 s4, s4, -1
	v_add_u32_e32 v4, v1, v4
	v_lshrrev_b32_e32 v4, s5, v4
	v_mul_lo_u32 v7, v4, s6
	s_cmp_lg_u32 s4, 0
	v_sub_u32_e32 v1, v1, v7
	v_mad_u64_u32 v[21:22], s[6:7], v1, s8, v[21:22]
	v_mad_u64_u32 v[23:24], s[6:7], v1, s9, v[23:24]
	v_mov_b32_e32 v1, v4
	s_cbranch_scc1 .LBB93_124
.LBB93_125:
	s_cbranch_execnz .LBB93_128
.LBB93_126:
	s_load_dwordx4 s[0:3], s[34:35], 0x4
	s_load_dwordx2 s[4:5], s[34:35], 0xc4
	s_cmp_lt_u32 s33, 2
	s_waitcnt lgkmcnt(0)
	v_mul_hi_u32 v1, s1, v25
	v_add_u32_e32 v1, v25, v1
	v_lshrrev_b32_e32 v1, s2, v1
	v_mul_lo_u32 v4, v1, s0
	v_sub_u32_e32 v4, v25, v4
	v_mul_lo_u32 v21, v4, s4
	v_mul_lo_u32 v23, v4, s5
	s_cbranch_scc1 .LBB93_128
; %bb.127:
	s_load_dwordx4 s[0:3], s[34:35], 0x10
	s_load_dwordx2 s[4:5], s[34:35], 0xcc
	s_waitcnt lgkmcnt(0)
	v_mul_hi_u32 v4, s1, v1
	v_add_u32_e32 v4, v1, v4
	v_lshrrev_b32_e32 v4, s2, v4
	v_mul_lo_u32 v4, v4, s0
	v_sub_u32_e32 v1, v1, v4
	v_mad_u64_u32 v[21:22], s[0:1], v1, s4, v[21:22]
	v_mad_u64_u32 v[23:24], s[0:1], v1, s5, v[23:24]
.LBB93_128:
	s_load_dwordx4 s[20:23], s[34:35], 0x148
	s_load_dword s14, s[34:35], 0x158
	s_load_dwordx2 s[18:19], s[34:35], 0x160
	s_waitcnt lgkmcnt(0)
	global_load_dwordx2 v[24:25], v14, s[22:23]
	global_load_dwordx2 v[26:27], v17, s[22:23]
	s_nop 0
	global_load_dwordx2 v[13:14], v20, s[22:23]
	global_load_dwordx2 v[16:17], v23, s[22:23]
	s_cmp_eq_u32 s14, 0
	s_waitcnt vmcnt(3)
	v_cmp_eq_f64_e32 vcc, s[18:19], v[24:25]
	v_cmp_neq_f64_e64 s[0:1], s[18:19], v[24:25]
	s_waitcnt vmcnt(1)
	v_cmp_eq_f64_e64 s[6:7], s[18:19], v[13:14]
	v_cmp_neq_f64_e64 s[8:9], s[18:19], v[13:14]
	s_waitcnt vmcnt(0)
	v_cmp_eq_f64_e64 s[10:11], s[18:19], v[16:17]
	v_cmp_neq_f64_e64 s[12:13], s[18:19], v[16:17]
	global_load_dwordx2 v[13:14], v2, s[22:23]
	global_load_dwordx2 v[16:17], v5, s[22:23]
	;; [unrolled: 1-line block ×4, first 2 shown]
	v_cmp_eq_f64_e64 s[2:3], s[18:19], v[26:27]
	v_cmp_neq_f64_e64 s[4:5], s[18:19], v[26:27]
	s_waitcnt vmcnt(3)
	v_cmp_neq_f64_e64 s[14:15], s[18:19], v[13:14]
	v_cmp_eq_f64_e64 s[16:17], s[18:19], v[13:14]
	v_cndmask_b32_e64 v13, 0, 1, s[12:13]
	v_cndmask_b32_e64 v2, 0, 1, s[14:15]
	;; [unrolled: 1-line block ×3, first 2 shown]
	s_waitcnt vmcnt(2)
	v_cmp_neq_f64_e64 s[14:15], s[18:19], v[16:17]
	v_cmp_eq_f64_e64 s[16:17], s[18:19], v[16:17]
	v_cndmask_b32_e64 v5, 0, 1, s[14:15]
	v_cndmask_b32_e64 v4, 0, 1, s[16:17]
	s_waitcnt vmcnt(1)
	v_cmp_neq_f64_e64 s[14:15], s[18:19], v[19:20]
	v_cmp_eq_f64_e64 s[16:17], s[18:19], v[19:20]
	v_cndmask_b32_e64 v8, 0, 1, s[14:15]
	v_cndmask_b32_e64 v7, 0, 1, s[16:17]
	;; [unrolled: 5-line block ×3, first 2 shown]
	s_cselect_b64 s[14:15], -1, 0
	v_cndmask_b32_e64 v1, v2, v1, s[14:15]
	v_cndmask_b32_e64 v2, 0, 1, vcc
	v_cndmask_b32_e64 v4, v5, v4, s[14:15]
	v_cndmask_b32_e64 v5, 0, 1, s[0:1]
	v_cndmask_b32_e64 v7, v8, v7, s[14:15]
	v_cndmask_b32_e64 v8, 0, 1, s[2:3]
	v_cndmask_b32_e64 v10, v11, v10, s[14:15]
	v_cndmask_b32_e64 v11, 0, 1, s[4:5]
	v_cndmask_b32_e64 v2, v5, v2, s[14:15]
	v_cndmask_b32_e64 v5, 0, 1, s[6:7]
	v_cndmask_b32_e64 v8, v11, v8, s[14:15]
	v_cndmask_b32_e64 v11, 0, 1, s[8:9]
	v_cndmask_b32_e64 v5, v11, v5, s[14:15]
	v_cndmask_b32_e64 v11, 0, 1, s[10:11]
	v_cndmask_b32_e64 v11, v13, v11, s[14:15]
	v_and_b32_e32 v1, 1, v1
	v_and_b32_e32 v4, 1, v4
	v_and_b32_e32 v7, 1, v7
	v_and_b32_e32 v10, 1, v10
	v_and_b32_e32 v2, 1, v2
	v_and_b32_e32 v8, 1, v8
	v_and_b32_e32 v5, 1, v5
	v_and_b32_e32 v11, 1, v11
	global_store_byte v0, v1, s[20:21]
	global_store_byte v3, v4, s[20:21]
	;; [unrolled: 1-line block ×8, first 2 shown]
	s_endpgm
.LBB93_129:
	v_mov_b32_e32 v0, 0
	v_mov_b32_e32 v2, 0
	s_branch .LBB93_135
.LBB93_130:
	v_mov_b32_e32 v0, 0
	v_mov_b32_e32 v2, 0
	s_branch .LBB93_151
.LBB93_131:
	s_mov_b32 s61, 0
	v_mov_b32_e32 v0, 0
	v_mov_b32_e32 v2, 0
	;; [unrolled: 1-line block ×3, first 2 shown]
.LBB93_132:
	s_and_b32 s8, s62, 3
	s_cmp_eq_u32 s8, 0
	s_cbranch_scc1 .LBB93_135
; %bb.133:
	s_lshl_b32 s4, s61, 3
	s_add_u32 s4, s34, s4
	s_addc_u32 s5, s35, 0
	s_add_u32 s4, s4, 0xc4
	s_addc_u32 s5, s5, 0
	s_mul_i32 s6, s61, 12
	s_add_u32 s6, s34, s6
	s_addc_u32 s7, s35, 0
.LBB93_134:                             ; =>This Inner Loop Header: Depth=1
	s_load_dwordx2 s[10:11], s[6:7], 0x4
	s_load_dword s9, s[6:7], 0xc
	s_load_dwordx2 s[12:13], s[4:5], 0x0
	s_add_u32 s6, s6, 12
	s_addc_u32 s7, s7, 0
	s_waitcnt lgkmcnt(0)
	v_mul_hi_u32 v3, s11, v1
	s_add_u32 s4, s4, 8
	s_addc_u32 s5, s5, 0
	s_add_i32 s8, s8, -1
	v_add_u32_e32 v3, v1, v3
	v_lshrrev_b32_e32 v4, s9, v3
	v_mul_lo_u32 v3, v4, s10
	s_cmp_lg_u32 s8, 0
	v_sub_u32_e32 v3, v1, v3
	v_mad_u64_u32 v[0:1], s[10:11], v3, s12, v[0:1]
	v_mad_u64_u32 v[2:3], s[10:11], v3, s13, v[2:3]
	v_mov_b32_e32 v1, v4
	s_cbranch_scc1 .LBB93_134
.LBB93_135:
	s_cbranch_execnz .LBB93_138
.LBB93_136:
	v_mul_hi_u32 v0, s25, v19
	s_andn2_b64 vcc, exec, s[46:47]
	v_add_u32_e32 v0, v19, v0
	v_lshrrev_b32_e32 v1, s26, v0
	v_mul_lo_u32 v0, v1, s24
	v_sub_u32_e32 v2, v19, v0
	v_mul_lo_u32 v0, v2, s28
	v_mul_lo_u32 v2, v2, s29
	s_cbranch_vccnz .LBB93_138
; %bb.137:
	v_mul_hi_u32 v3, s44, v1
	v_add_u32_e32 v3, v1, v3
	v_lshrrev_b32_e32 v3, s45, v3
	v_mul_lo_u32 v3, v3, s27
	v_sub_u32_e32 v3, v1, v3
	v_mad_u64_u32 v[0:1], s[4:5], v3, s30, v[0:1]
	v_mad_u64_u32 v[2:3], s[4:5], v3, s31, v[2:3]
.LBB93_138:
	global_load_dwordx2 v[1:2], v2, s[22:23]
	v_add_u32_e32 v19, 0x80, v19
	s_waitcnt vmcnt(0)
	v_cmp_eq_f64_e32 vcc, s[42:43], v[1:2]
	v_cndmask_b32_e64 v3, 0, 1, vcc
	v_cmp_neq_f64_e32 vcc, s[42:43], v[1:2]
	v_cndmask_b32_e64 v1, 0, 1, vcc
	v_cndmask_b32_e64 v1, v1, v3, s[0:1]
	v_and_b32_e32 v1, 1, v1
	global_store_byte v0, v1, s[20:21]
	s_or_b64 exec, exec, s[52:53]
	v_cmp_gt_i32_e32 vcc, s59, v19
	s_and_saveexec_b64 s[52:53], vcc
	s_cbranch_execnz .LBB93_15
.LBB93_139:
	s_or_b64 exec, exec, s[52:53]
	v_cmp_gt_i32_e32 vcc, s59, v19
	s_and_saveexec_b64 s[52:53], vcc
	s_cbranch_execz .LBB93_155
.LBB93_140:
	s_andn2_b64 vcc, exec, s[2:3]
	s_cbranch_vccnz .LBB93_145
; %bb.141:
	s_andn2_b64 vcc, exec, s[50:51]
	s_cbranch_vccnz .LBB93_146
; %bb.142:
	s_add_i32 s62, s60, 1
	s_cmp_eq_u32 s58, 2
	s_cbranch_scc1 .LBB93_163
; %bb.143:
	s_and_b32 s61, s62, 28
	v_mov_b32_e32 v2, 0
	s_mov_b32 s63, 0
	s_mov_b64 s[54:55], s[34:35]
	s_mov_b64 s[56:57], s[48:49]
	v_mov_b32_e32 v0, 0
	v_mov_b32_e32 v1, v19
.LBB93_144:                             ; =>This Inner Loop Header: Depth=1
	s_load_dwordx8 s[12:19], s[54:55], 0x4
	s_load_dwordx4 s[36:39], s[54:55], 0x24
	s_load_dwordx8 s[4:11], s[56:57], 0x0
	s_add_u32 s54, s54, 48
	s_addc_u32 s55, s55, 0
	s_waitcnt lgkmcnt(0)
	v_mul_hi_u32 v3, s13, v1
	s_add_i32 s63, s63, 4
	s_add_u32 s56, s56, 32
	s_addc_u32 s57, s57, 0
	v_add_u32_e32 v3, v1, v3
	v_lshrrev_b32_e32 v3, s14, v3
	v_mul_lo_u32 v4, v3, s12
	v_mul_hi_u32 v5, s16, v3
	s_cmp_eq_u32 s61, s63
	v_sub_u32_e32 v1, v1, v4
	v_add_u32_e32 v4, v3, v5
	v_mul_lo_u32 v5, v1, s4
	v_mul_lo_u32 v6, v1, s5
	v_lshrrev_b32_e32 v1, s17, v4
	v_mul_lo_u32 v4, v1, s15
	v_mul_hi_u32 v7, s19, v1
	v_sub_u32_e32 v3, v3, v4
	v_add_u32_e32 v4, v1, v7
	v_lshrrev_b32_e32 v4, s36, v4
	v_mul_hi_u32 v8, s38, v4
	v_mul_lo_u32 v9, v4, s18
	v_mul_lo_u32 v7, v3, s6
	;; [unrolled: 1-line block ×3, first 2 shown]
	v_sub_u32_e32 v9, v1, v9
	v_add_u32_e32 v1, v4, v8
	v_lshrrev_b32_e32 v1, s39, v1
	v_mul_lo_u32 v8, v1, s37
	v_mul_lo_u32 v10, v9, s8
	;; [unrolled: 1-line block ×3, first 2 shown]
	v_add3_u32 v0, v5, v0, v7
	v_sub_u32_e32 v4, v4, v8
	v_mul_lo_u32 v8, v4, s10
	v_mul_lo_u32 v4, v4, s11
	v_add3_u32 v2, v6, v2, v3
	v_add3_u32 v0, v10, v0, v8
	;; [unrolled: 1-line block ×3, first 2 shown]
	s_cbranch_scc0 .LBB93_144
	s_branch .LBB93_164
.LBB93_145:
                                        ; implicit-def: $vgpr0
                                        ; implicit-def: $vgpr2
	s_branch .LBB93_168
.LBB93_146:
	v_mov_b32_e32 v0, 0
	v_mov_b32_e32 v2, 0
	s_branch .LBB93_167
.LBB93_147:
	s_mov_b32 s61, 0
	v_mov_b32_e32 v0, 0
	v_mov_b32_e32 v2, 0
	;; [unrolled: 1-line block ×3, first 2 shown]
.LBB93_148:
	s_and_b32 s8, s62, 3
	s_cmp_eq_u32 s8, 0
	s_cbranch_scc1 .LBB93_151
; %bb.149:
	s_lshl_b32 s4, s61, 3
	s_add_u32 s4, s34, s4
	s_addc_u32 s5, s35, 0
	s_add_u32 s4, s4, 0xc4
	s_addc_u32 s5, s5, 0
	s_mul_i32 s6, s61, 12
	s_add_u32 s6, s34, s6
	s_addc_u32 s7, s35, 0
.LBB93_150:                             ; =>This Inner Loop Header: Depth=1
	s_load_dwordx2 s[10:11], s[6:7], 0x4
	s_load_dword s9, s[6:7], 0xc
	s_load_dwordx2 s[12:13], s[4:5], 0x0
	s_add_u32 s6, s6, 12
	s_addc_u32 s7, s7, 0
	s_waitcnt lgkmcnt(0)
	v_mul_hi_u32 v3, s11, v1
	s_add_u32 s4, s4, 8
	s_addc_u32 s5, s5, 0
	s_add_i32 s8, s8, -1
	v_add_u32_e32 v3, v1, v3
	v_lshrrev_b32_e32 v4, s9, v3
	v_mul_lo_u32 v3, v4, s10
	s_cmp_lg_u32 s8, 0
	v_sub_u32_e32 v3, v1, v3
	v_mad_u64_u32 v[0:1], s[10:11], v3, s12, v[0:1]
	v_mad_u64_u32 v[2:3], s[10:11], v3, s13, v[2:3]
	v_mov_b32_e32 v1, v4
	s_cbranch_scc1 .LBB93_150
.LBB93_151:
	s_cbranch_execnz .LBB93_154
.LBB93_152:
	v_mul_hi_u32 v0, s25, v19
	s_andn2_b64 vcc, exec, s[46:47]
	v_add_u32_e32 v0, v19, v0
	v_lshrrev_b32_e32 v1, s26, v0
	v_mul_lo_u32 v0, v1, s24
	v_sub_u32_e32 v2, v19, v0
	v_mul_lo_u32 v0, v2, s28
	v_mul_lo_u32 v2, v2, s29
	s_cbranch_vccnz .LBB93_154
; %bb.153:
	v_mul_hi_u32 v3, s44, v1
	v_add_u32_e32 v3, v1, v3
	v_lshrrev_b32_e32 v3, s45, v3
	v_mul_lo_u32 v3, v3, s27
	v_sub_u32_e32 v3, v1, v3
	v_mad_u64_u32 v[0:1], s[4:5], v3, s30, v[0:1]
	v_mad_u64_u32 v[2:3], s[4:5], v3, s31, v[2:3]
.LBB93_154:
	global_load_dwordx2 v[1:2], v2, s[22:23]
	v_add_u32_e32 v19, 0x80, v19
	s_waitcnt vmcnt(0)
	v_cmp_eq_f64_e32 vcc, s[42:43], v[1:2]
	v_cndmask_b32_e64 v3, 0, 1, vcc
	v_cmp_neq_f64_e32 vcc, s[42:43], v[1:2]
	v_cndmask_b32_e64 v1, 0, 1, vcc
	v_cndmask_b32_e64 v1, v1, v3, s[0:1]
	v_and_b32_e32 v1, 1, v1
	global_store_byte v0, v1, s[20:21]
	s_or_b64 exec, exec, s[52:53]
	v_cmp_gt_i32_e32 vcc, s59, v19
	s_and_saveexec_b64 s[52:53], vcc
	s_cbranch_execnz .LBB93_140
.LBB93_155:
	s_or_b64 exec, exec, s[52:53]
	v_cmp_gt_i32_e32 vcc, s59, v19
	s_and_saveexec_b64 s[52:53], vcc
	s_cbranch_execz .LBB93_171
.LBB93_156:
	s_andn2_b64 vcc, exec, s[2:3]
	s_cbranch_vccnz .LBB93_161
; %bb.157:
	s_andn2_b64 vcc, exec, s[50:51]
	s_cbranch_vccnz .LBB93_162
; %bb.158:
	s_add_i32 s62, s60, 1
	s_cmp_eq_u32 s58, 2
	s_cbranch_scc1 .LBB93_179
; %bb.159:
	s_and_b32 s61, s62, 28
	v_mov_b32_e32 v2, 0
	s_mov_b32 s63, 0
	s_mov_b64 s[54:55], s[34:35]
	s_mov_b64 s[56:57], s[48:49]
	v_mov_b32_e32 v0, 0
	v_mov_b32_e32 v1, v19
.LBB93_160:                             ; =>This Inner Loop Header: Depth=1
	s_load_dwordx8 s[12:19], s[54:55], 0x4
	s_load_dwordx4 s[36:39], s[54:55], 0x24
	s_load_dwordx8 s[4:11], s[56:57], 0x0
	s_add_u32 s54, s54, 48
	s_addc_u32 s55, s55, 0
	s_waitcnt lgkmcnt(0)
	v_mul_hi_u32 v3, s13, v1
	s_add_i32 s63, s63, 4
	s_add_u32 s56, s56, 32
	s_addc_u32 s57, s57, 0
	v_add_u32_e32 v3, v1, v3
	v_lshrrev_b32_e32 v3, s14, v3
	v_mul_lo_u32 v4, v3, s12
	v_mul_hi_u32 v5, s16, v3
	s_cmp_eq_u32 s61, s63
	v_sub_u32_e32 v1, v1, v4
	v_add_u32_e32 v4, v3, v5
	v_mul_lo_u32 v5, v1, s4
	v_mul_lo_u32 v6, v1, s5
	v_lshrrev_b32_e32 v1, s17, v4
	v_mul_lo_u32 v4, v1, s15
	v_mul_hi_u32 v7, s19, v1
	v_sub_u32_e32 v3, v3, v4
	v_add_u32_e32 v4, v1, v7
	v_lshrrev_b32_e32 v4, s36, v4
	v_mul_hi_u32 v8, s38, v4
	v_mul_lo_u32 v9, v4, s18
	v_mul_lo_u32 v7, v3, s6
	;; [unrolled: 1-line block ×3, first 2 shown]
	v_sub_u32_e32 v9, v1, v9
	v_add_u32_e32 v1, v4, v8
	v_lshrrev_b32_e32 v1, s39, v1
	v_mul_lo_u32 v8, v1, s37
	v_mul_lo_u32 v10, v9, s8
	;; [unrolled: 1-line block ×3, first 2 shown]
	v_add3_u32 v0, v5, v0, v7
	v_sub_u32_e32 v4, v4, v8
	v_mul_lo_u32 v8, v4, s10
	v_mul_lo_u32 v4, v4, s11
	v_add3_u32 v2, v6, v2, v3
	v_add3_u32 v0, v10, v0, v8
	;; [unrolled: 1-line block ×3, first 2 shown]
	s_cbranch_scc0 .LBB93_160
	s_branch .LBB93_180
.LBB93_161:
                                        ; implicit-def: $vgpr0
                                        ; implicit-def: $vgpr2
	s_branch .LBB93_184
.LBB93_162:
	v_mov_b32_e32 v0, 0
	v_mov_b32_e32 v2, 0
	s_branch .LBB93_183
.LBB93_163:
	s_mov_b32 s61, 0
	v_mov_b32_e32 v0, 0
	v_mov_b32_e32 v2, 0
	;; [unrolled: 1-line block ×3, first 2 shown]
.LBB93_164:
	s_and_b32 s8, s62, 3
	s_cmp_eq_u32 s8, 0
	s_cbranch_scc1 .LBB93_167
; %bb.165:
	s_lshl_b32 s4, s61, 3
	s_add_u32 s4, s34, s4
	s_addc_u32 s5, s35, 0
	s_add_u32 s4, s4, 0xc4
	s_addc_u32 s5, s5, 0
	s_mul_i32 s6, s61, 12
	s_add_u32 s6, s34, s6
	s_addc_u32 s7, s35, 0
.LBB93_166:                             ; =>This Inner Loop Header: Depth=1
	s_load_dwordx2 s[10:11], s[6:7], 0x4
	s_load_dword s9, s[6:7], 0xc
	s_load_dwordx2 s[12:13], s[4:5], 0x0
	s_add_u32 s6, s6, 12
	s_addc_u32 s7, s7, 0
	s_waitcnt lgkmcnt(0)
	v_mul_hi_u32 v3, s11, v1
	s_add_u32 s4, s4, 8
	s_addc_u32 s5, s5, 0
	s_add_i32 s8, s8, -1
	v_add_u32_e32 v3, v1, v3
	v_lshrrev_b32_e32 v4, s9, v3
	v_mul_lo_u32 v3, v4, s10
	s_cmp_lg_u32 s8, 0
	v_sub_u32_e32 v3, v1, v3
	v_mad_u64_u32 v[0:1], s[10:11], v3, s12, v[0:1]
	v_mad_u64_u32 v[2:3], s[10:11], v3, s13, v[2:3]
	v_mov_b32_e32 v1, v4
	s_cbranch_scc1 .LBB93_166
.LBB93_167:
	s_cbranch_execnz .LBB93_170
.LBB93_168:
	v_mul_hi_u32 v0, s25, v19
	s_andn2_b64 vcc, exec, s[46:47]
	v_add_u32_e32 v0, v19, v0
	v_lshrrev_b32_e32 v1, s26, v0
	v_mul_lo_u32 v0, v1, s24
	v_sub_u32_e32 v2, v19, v0
	v_mul_lo_u32 v0, v2, s28
	v_mul_lo_u32 v2, v2, s29
	s_cbranch_vccnz .LBB93_170
; %bb.169:
	v_mul_hi_u32 v3, s44, v1
	v_add_u32_e32 v3, v1, v3
	v_lshrrev_b32_e32 v3, s45, v3
	v_mul_lo_u32 v3, v3, s27
	v_sub_u32_e32 v3, v1, v3
	v_mad_u64_u32 v[0:1], s[4:5], v3, s30, v[0:1]
	v_mad_u64_u32 v[2:3], s[4:5], v3, s31, v[2:3]
.LBB93_170:
	global_load_dwordx2 v[1:2], v2, s[22:23]
	v_add_u32_e32 v19, 0x80, v19
	s_waitcnt vmcnt(0)
	v_cmp_eq_f64_e32 vcc, s[42:43], v[1:2]
	v_cndmask_b32_e64 v3, 0, 1, vcc
	v_cmp_neq_f64_e32 vcc, s[42:43], v[1:2]
	v_cndmask_b32_e64 v1, 0, 1, vcc
	v_cndmask_b32_e64 v1, v1, v3, s[0:1]
	v_and_b32_e32 v1, 1, v1
	global_store_byte v0, v1, s[20:21]
	s_or_b64 exec, exec, s[52:53]
	v_cmp_gt_i32_e32 vcc, s59, v19
	s_and_saveexec_b64 s[52:53], vcc
	s_cbranch_execnz .LBB93_156
.LBB93_171:
	s_or_b64 exec, exec, s[52:53]
	v_cmp_gt_i32_e32 vcc, s59, v19
	s_and_saveexec_b64 s[52:53], vcc
	s_cbranch_execz .LBB93_187
.LBB93_172:
	s_andn2_b64 vcc, exec, s[2:3]
	s_cbranch_vccnz .LBB93_177
; %bb.173:
	s_andn2_b64 vcc, exec, s[50:51]
	s_cbranch_vccnz .LBB93_178
; %bb.174:
	s_add_i32 s62, s60, 1
	s_cmp_eq_u32 s58, 2
	s_cbranch_scc1 .LBB93_195
; %bb.175:
	s_and_b32 s61, s62, 28
	v_mov_b32_e32 v2, 0
	s_mov_b32 s63, 0
	s_mov_b64 s[54:55], s[34:35]
	s_mov_b64 s[56:57], s[48:49]
	v_mov_b32_e32 v0, 0
	v_mov_b32_e32 v1, v19
.LBB93_176:                             ; =>This Inner Loop Header: Depth=1
	s_load_dwordx8 s[12:19], s[54:55], 0x4
	s_load_dwordx4 s[36:39], s[54:55], 0x24
	s_load_dwordx8 s[4:11], s[56:57], 0x0
	s_add_u32 s54, s54, 48
	s_addc_u32 s55, s55, 0
	s_waitcnt lgkmcnt(0)
	v_mul_hi_u32 v3, s13, v1
	s_add_i32 s63, s63, 4
	s_add_u32 s56, s56, 32
	s_addc_u32 s57, s57, 0
	v_add_u32_e32 v3, v1, v3
	v_lshrrev_b32_e32 v3, s14, v3
	v_mul_lo_u32 v4, v3, s12
	v_mul_hi_u32 v5, s16, v3
	s_cmp_eq_u32 s61, s63
	v_sub_u32_e32 v1, v1, v4
	v_add_u32_e32 v4, v3, v5
	v_mul_lo_u32 v5, v1, s4
	v_mul_lo_u32 v6, v1, s5
	v_lshrrev_b32_e32 v1, s17, v4
	v_mul_lo_u32 v4, v1, s15
	v_mul_hi_u32 v7, s19, v1
	v_sub_u32_e32 v3, v3, v4
	v_add_u32_e32 v4, v1, v7
	v_lshrrev_b32_e32 v4, s36, v4
	v_mul_hi_u32 v8, s38, v4
	v_mul_lo_u32 v9, v4, s18
	v_mul_lo_u32 v7, v3, s6
	;; [unrolled: 1-line block ×3, first 2 shown]
	v_sub_u32_e32 v9, v1, v9
	v_add_u32_e32 v1, v4, v8
	v_lshrrev_b32_e32 v1, s39, v1
	v_mul_lo_u32 v8, v1, s37
	v_mul_lo_u32 v10, v9, s8
	;; [unrolled: 1-line block ×3, first 2 shown]
	v_add3_u32 v0, v5, v0, v7
	v_sub_u32_e32 v4, v4, v8
	v_mul_lo_u32 v8, v4, s10
	v_mul_lo_u32 v4, v4, s11
	v_add3_u32 v2, v6, v2, v3
	v_add3_u32 v0, v10, v0, v8
	v_add3_u32 v2, v9, v2, v4
	s_cbranch_scc0 .LBB93_176
	s_branch .LBB93_196
.LBB93_177:
                                        ; implicit-def: $vgpr0
                                        ; implicit-def: $vgpr2
	s_branch .LBB93_200
.LBB93_178:
	v_mov_b32_e32 v0, 0
	v_mov_b32_e32 v2, 0
	s_branch .LBB93_199
.LBB93_179:
	s_mov_b32 s61, 0
	v_mov_b32_e32 v0, 0
	v_mov_b32_e32 v2, 0
	;; [unrolled: 1-line block ×3, first 2 shown]
.LBB93_180:
	s_and_b32 s8, s62, 3
	s_cmp_eq_u32 s8, 0
	s_cbranch_scc1 .LBB93_183
; %bb.181:
	s_lshl_b32 s4, s61, 3
	s_add_u32 s4, s34, s4
	s_addc_u32 s5, s35, 0
	s_add_u32 s4, s4, 0xc4
	s_addc_u32 s5, s5, 0
	s_mul_i32 s6, s61, 12
	s_add_u32 s6, s34, s6
	s_addc_u32 s7, s35, 0
.LBB93_182:                             ; =>This Inner Loop Header: Depth=1
	s_load_dwordx2 s[10:11], s[6:7], 0x4
	s_load_dword s9, s[6:7], 0xc
	s_load_dwordx2 s[12:13], s[4:5], 0x0
	s_add_u32 s6, s6, 12
	s_addc_u32 s7, s7, 0
	s_waitcnt lgkmcnt(0)
	v_mul_hi_u32 v3, s11, v1
	s_add_u32 s4, s4, 8
	s_addc_u32 s5, s5, 0
	s_add_i32 s8, s8, -1
	v_add_u32_e32 v3, v1, v3
	v_lshrrev_b32_e32 v4, s9, v3
	v_mul_lo_u32 v3, v4, s10
	s_cmp_lg_u32 s8, 0
	v_sub_u32_e32 v3, v1, v3
	v_mad_u64_u32 v[0:1], s[10:11], v3, s12, v[0:1]
	v_mad_u64_u32 v[2:3], s[10:11], v3, s13, v[2:3]
	v_mov_b32_e32 v1, v4
	s_cbranch_scc1 .LBB93_182
.LBB93_183:
	s_cbranch_execnz .LBB93_186
.LBB93_184:
	v_mul_hi_u32 v0, s25, v19
	s_andn2_b64 vcc, exec, s[46:47]
	v_add_u32_e32 v0, v19, v0
	v_lshrrev_b32_e32 v1, s26, v0
	v_mul_lo_u32 v0, v1, s24
	v_sub_u32_e32 v2, v19, v0
	v_mul_lo_u32 v0, v2, s28
	v_mul_lo_u32 v2, v2, s29
	s_cbranch_vccnz .LBB93_186
; %bb.185:
	v_mul_hi_u32 v3, s44, v1
	v_add_u32_e32 v3, v1, v3
	v_lshrrev_b32_e32 v3, s45, v3
	v_mul_lo_u32 v3, v3, s27
	v_sub_u32_e32 v3, v1, v3
	v_mad_u64_u32 v[0:1], s[4:5], v3, s30, v[0:1]
	v_mad_u64_u32 v[2:3], s[4:5], v3, s31, v[2:3]
.LBB93_186:
	global_load_dwordx2 v[1:2], v2, s[22:23]
	v_add_u32_e32 v19, 0x80, v19
	s_waitcnt vmcnt(0)
	v_cmp_eq_f64_e32 vcc, s[42:43], v[1:2]
	v_cndmask_b32_e64 v3, 0, 1, vcc
	v_cmp_neq_f64_e32 vcc, s[42:43], v[1:2]
	v_cndmask_b32_e64 v1, 0, 1, vcc
	v_cndmask_b32_e64 v1, v1, v3, s[0:1]
	v_and_b32_e32 v1, 1, v1
	global_store_byte v0, v1, s[20:21]
	s_or_b64 exec, exec, s[52:53]
	v_cmp_gt_i32_e32 vcc, s59, v19
	s_and_saveexec_b64 s[52:53], vcc
	s_cbranch_execnz .LBB93_172
.LBB93_187:
	s_or_b64 exec, exec, s[52:53]
	v_cmp_gt_i32_e32 vcc, s59, v19
	s_and_saveexec_b64 s[52:53], vcc
	s_cbranch_execz .LBB93_203
.LBB93_188:
	s_andn2_b64 vcc, exec, s[2:3]
	s_cbranch_vccnz .LBB93_193
; %bb.189:
	s_andn2_b64 vcc, exec, s[50:51]
	s_cbranch_vccnz .LBB93_194
; %bb.190:
	s_add_i32 s62, s60, 1
	s_cmp_eq_u32 s58, 2
	s_cbranch_scc1 .LBB93_211
; %bb.191:
	s_and_b32 s61, s62, 28
	v_mov_b32_e32 v2, 0
	s_mov_b32 s63, 0
	s_mov_b64 s[54:55], s[34:35]
	s_mov_b64 s[56:57], s[48:49]
	v_mov_b32_e32 v0, 0
	v_mov_b32_e32 v1, v19
.LBB93_192:                             ; =>This Inner Loop Header: Depth=1
	s_load_dwordx8 s[12:19], s[54:55], 0x4
	s_load_dwordx4 s[36:39], s[54:55], 0x24
	s_load_dwordx8 s[4:11], s[56:57], 0x0
	s_add_u32 s54, s54, 48
	s_addc_u32 s55, s55, 0
	s_waitcnt lgkmcnt(0)
	v_mul_hi_u32 v3, s13, v1
	s_add_i32 s63, s63, 4
	s_add_u32 s56, s56, 32
	s_addc_u32 s57, s57, 0
	v_add_u32_e32 v3, v1, v3
	v_lshrrev_b32_e32 v3, s14, v3
	v_mul_lo_u32 v4, v3, s12
	v_mul_hi_u32 v5, s16, v3
	s_cmp_eq_u32 s61, s63
	v_sub_u32_e32 v1, v1, v4
	v_add_u32_e32 v4, v3, v5
	v_mul_lo_u32 v5, v1, s4
	v_mul_lo_u32 v6, v1, s5
	v_lshrrev_b32_e32 v1, s17, v4
	v_mul_lo_u32 v4, v1, s15
	v_mul_hi_u32 v7, s19, v1
	v_sub_u32_e32 v3, v3, v4
	v_add_u32_e32 v4, v1, v7
	v_lshrrev_b32_e32 v4, s36, v4
	v_mul_hi_u32 v8, s38, v4
	v_mul_lo_u32 v9, v4, s18
	v_mul_lo_u32 v7, v3, s6
	;; [unrolled: 1-line block ×3, first 2 shown]
	v_sub_u32_e32 v9, v1, v9
	v_add_u32_e32 v1, v4, v8
	v_lshrrev_b32_e32 v1, s39, v1
	v_mul_lo_u32 v8, v1, s37
	v_mul_lo_u32 v10, v9, s8
	v_mul_lo_u32 v9, v9, s9
	v_add3_u32 v0, v5, v0, v7
	v_sub_u32_e32 v4, v4, v8
	v_mul_lo_u32 v8, v4, s10
	v_mul_lo_u32 v4, v4, s11
	v_add3_u32 v2, v6, v2, v3
	v_add3_u32 v0, v10, v0, v8
	;; [unrolled: 1-line block ×3, first 2 shown]
	s_cbranch_scc0 .LBB93_192
	s_branch .LBB93_212
.LBB93_193:
                                        ; implicit-def: $vgpr0
                                        ; implicit-def: $vgpr2
	s_branch .LBB93_216
.LBB93_194:
	v_mov_b32_e32 v0, 0
	v_mov_b32_e32 v2, 0
	s_branch .LBB93_215
.LBB93_195:
	s_mov_b32 s61, 0
	v_mov_b32_e32 v0, 0
	v_mov_b32_e32 v2, 0
	;; [unrolled: 1-line block ×3, first 2 shown]
.LBB93_196:
	s_and_b32 s8, s62, 3
	s_cmp_eq_u32 s8, 0
	s_cbranch_scc1 .LBB93_199
; %bb.197:
	s_lshl_b32 s4, s61, 3
	s_add_u32 s4, s34, s4
	s_addc_u32 s5, s35, 0
	s_add_u32 s4, s4, 0xc4
	s_addc_u32 s5, s5, 0
	s_mul_i32 s6, s61, 12
	s_add_u32 s6, s34, s6
	s_addc_u32 s7, s35, 0
.LBB93_198:                             ; =>This Inner Loop Header: Depth=1
	s_load_dwordx2 s[10:11], s[6:7], 0x4
	s_load_dword s9, s[6:7], 0xc
	s_load_dwordx2 s[12:13], s[4:5], 0x0
	s_add_u32 s6, s6, 12
	s_addc_u32 s7, s7, 0
	s_waitcnt lgkmcnt(0)
	v_mul_hi_u32 v3, s11, v1
	s_add_u32 s4, s4, 8
	s_addc_u32 s5, s5, 0
	s_add_i32 s8, s8, -1
	v_add_u32_e32 v3, v1, v3
	v_lshrrev_b32_e32 v4, s9, v3
	v_mul_lo_u32 v3, v4, s10
	s_cmp_lg_u32 s8, 0
	v_sub_u32_e32 v3, v1, v3
	v_mad_u64_u32 v[0:1], s[10:11], v3, s12, v[0:1]
	v_mad_u64_u32 v[2:3], s[10:11], v3, s13, v[2:3]
	v_mov_b32_e32 v1, v4
	s_cbranch_scc1 .LBB93_198
.LBB93_199:
	s_cbranch_execnz .LBB93_202
.LBB93_200:
	v_mul_hi_u32 v0, s25, v19
	s_andn2_b64 vcc, exec, s[46:47]
	v_add_u32_e32 v0, v19, v0
	v_lshrrev_b32_e32 v1, s26, v0
	v_mul_lo_u32 v0, v1, s24
	v_sub_u32_e32 v2, v19, v0
	v_mul_lo_u32 v0, v2, s28
	v_mul_lo_u32 v2, v2, s29
	s_cbranch_vccnz .LBB93_202
; %bb.201:
	v_mul_hi_u32 v3, s44, v1
	v_add_u32_e32 v3, v1, v3
	v_lshrrev_b32_e32 v3, s45, v3
	v_mul_lo_u32 v3, v3, s27
	v_sub_u32_e32 v3, v1, v3
	v_mad_u64_u32 v[0:1], s[4:5], v3, s30, v[0:1]
	v_mad_u64_u32 v[2:3], s[4:5], v3, s31, v[2:3]
.LBB93_202:
	global_load_dwordx2 v[1:2], v2, s[22:23]
	v_add_u32_e32 v19, 0x80, v19
	s_waitcnt vmcnt(0)
	v_cmp_eq_f64_e32 vcc, s[42:43], v[1:2]
	v_cndmask_b32_e64 v3, 0, 1, vcc
	v_cmp_neq_f64_e32 vcc, s[42:43], v[1:2]
	v_cndmask_b32_e64 v1, 0, 1, vcc
	v_cndmask_b32_e64 v1, v1, v3, s[0:1]
	v_and_b32_e32 v1, 1, v1
	global_store_byte v0, v1, s[20:21]
	s_or_b64 exec, exec, s[52:53]
	v_cmp_gt_i32_e32 vcc, s59, v19
	s_and_saveexec_b64 s[52:53], vcc
	s_cbranch_execnz .LBB93_188
.LBB93_203:
	s_or_b64 exec, exec, s[52:53]
	v_cmp_gt_i32_e32 vcc, s59, v19
	s_and_saveexec_b64 s[52:53], vcc
	s_cbranch_execz .LBB93_219
.LBB93_204:
	s_andn2_b64 vcc, exec, s[2:3]
	s_cbranch_vccnz .LBB93_209
; %bb.205:
	s_andn2_b64 vcc, exec, s[50:51]
	s_cbranch_vccnz .LBB93_210
; %bb.206:
	s_add_i32 s62, s60, 1
	s_cmp_eq_u32 s58, 2
	s_cbranch_scc1 .LBB93_222
; %bb.207:
	s_and_b32 s61, s62, 28
	v_mov_b32_e32 v2, 0
	s_mov_b32 s63, 0
	s_mov_b64 s[54:55], s[34:35]
	s_mov_b64 s[56:57], s[48:49]
	v_mov_b32_e32 v0, 0
	v_mov_b32_e32 v1, v19
.LBB93_208:                             ; =>This Inner Loop Header: Depth=1
	s_load_dwordx8 s[12:19], s[54:55], 0x4
	s_load_dwordx4 s[36:39], s[54:55], 0x24
	s_load_dwordx8 s[4:11], s[56:57], 0x0
	s_add_u32 s54, s54, 48
	s_addc_u32 s55, s55, 0
	s_waitcnt lgkmcnt(0)
	v_mul_hi_u32 v3, s13, v1
	s_add_i32 s63, s63, 4
	s_add_u32 s56, s56, 32
	s_addc_u32 s57, s57, 0
	v_add_u32_e32 v3, v1, v3
	v_lshrrev_b32_e32 v3, s14, v3
	v_mul_lo_u32 v4, v3, s12
	v_mul_hi_u32 v5, s16, v3
	s_cmp_eq_u32 s61, s63
	v_sub_u32_e32 v1, v1, v4
	v_add_u32_e32 v4, v3, v5
	v_mul_lo_u32 v5, v1, s4
	v_mul_lo_u32 v6, v1, s5
	v_lshrrev_b32_e32 v1, s17, v4
	v_mul_lo_u32 v4, v1, s15
	v_mul_hi_u32 v7, s19, v1
	v_sub_u32_e32 v3, v3, v4
	v_add_u32_e32 v4, v1, v7
	v_lshrrev_b32_e32 v4, s36, v4
	v_mul_hi_u32 v8, s38, v4
	v_mul_lo_u32 v9, v4, s18
	v_mul_lo_u32 v7, v3, s6
	;; [unrolled: 1-line block ×3, first 2 shown]
	v_sub_u32_e32 v9, v1, v9
	v_add_u32_e32 v1, v4, v8
	v_lshrrev_b32_e32 v1, s39, v1
	v_mul_lo_u32 v8, v1, s37
	v_mul_lo_u32 v10, v9, s8
	v_mul_lo_u32 v9, v9, s9
	v_add3_u32 v0, v5, v0, v7
	v_sub_u32_e32 v4, v4, v8
	v_mul_lo_u32 v8, v4, s10
	v_mul_lo_u32 v4, v4, s11
	v_add3_u32 v2, v6, v2, v3
	v_add3_u32 v0, v10, v0, v8
	;; [unrolled: 1-line block ×3, first 2 shown]
	s_cbranch_scc0 .LBB93_208
	s_branch .LBB93_223
.LBB93_209:
                                        ; implicit-def: $vgpr0
                                        ; implicit-def: $vgpr2
	s_branch .LBB93_227
.LBB93_210:
	v_mov_b32_e32 v0, 0
	v_mov_b32_e32 v2, 0
	s_branch .LBB93_226
.LBB93_211:
	s_mov_b32 s61, 0
	v_mov_b32_e32 v0, 0
	v_mov_b32_e32 v2, 0
	;; [unrolled: 1-line block ×3, first 2 shown]
.LBB93_212:
	s_and_b32 s8, s62, 3
	s_cmp_eq_u32 s8, 0
	s_cbranch_scc1 .LBB93_215
; %bb.213:
	s_lshl_b32 s4, s61, 3
	s_add_u32 s4, s34, s4
	s_addc_u32 s5, s35, 0
	s_add_u32 s4, s4, 0xc4
	s_addc_u32 s5, s5, 0
	s_mul_i32 s6, s61, 12
	s_add_u32 s6, s34, s6
	s_addc_u32 s7, s35, 0
.LBB93_214:                             ; =>This Inner Loop Header: Depth=1
	s_load_dwordx2 s[10:11], s[6:7], 0x4
	s_load_dword s9, s[6:7], 0xc
	s_load_dwordx2 s[12:13], s[4:5], 0x0
	s_add_u32 s6, s6, 12
	s_addc_u32 s7, s7, 0
	s_waitcnt lgkmcnt(0)
	v_mul_hi_u32 v3, s11, v1
	s_add_u32 s4, s4, 8
	s_addc_u32 s5, s5, 0
	s_add_i32 s8, s8, -1
	v_add_u32_e32 v3, v1, v3
	v_lshrrev_b32_e32 v4, s9, v3
	v_mul_lo_u32 v3, v4, s10
	s_cmp_lg_u32 s8, 0
	v_sub_u32_e32 v3, v1, v3
	v_mad_u64_u32 v[0:1], s[10:11], v3, s12, v[0:1]
	v_mad_u64_u32 v[2:3], s[10:11], v3, s13, v[2:3]
	v_mov_b32_e32 v1, v4
	s_cbranch_scc1 .LBB93_214
.LBB93_215:
	s_cbranch_execnz .LBB93_218
.LBB93_216:
	v_mul_hi_u32 v0, s25, v19
	s_andn2_b64 vcc, exec, s[46:47]
	v_add_u32_e32 v0, v19, v0
	v_lshrrev_b32_e32 v1, s26, v0
	v_mul_lo_u32 v0, v1, s24
	v_sub_u32_e32 v2, v19, v0
	v_mul_lo_u32 v0, v2, s28
	v_mul_lo_u32 v2, v2, s29
	s_cbranch_vccnz .LBB93_218
; %bb.217:
	v_mul_hi_u32 v3, s44, v1
	v_add_u32_e32 v3, v1, v3
	v_lshrrev_b32_e32 v3, s45, v3
	v_mul_lo_u32 v3, v3, s27
	v_sub_u32_e32 v3, v1, v3
	v_mad_u64_u32 v[0:1], s[4:5], v3, s30, v[0:1]
	v_mad_u64_u32 v[2:3], s[4:5], v3, s31, v[2:3]
.LBB93_218:
	global_load_dwordx2 v[1:2], v2, s[22:23]
	v_add_u32_e32 v19, 0x80, v19
	s_waitcnt vmcnt(0)
	v_cmp_eq_f64_e32 vcc, s[42:43], v[1:2]
	v_cndmask_b32_e64 v3, 0, 1, vcc
	v_cmp_neq_f64_e32 vcc, s[42:43], v[1:2]
	v_cndmask_b32_e64 v1, 0, 1, vcc
	v_cndmask_b32_e64 v1, v1, v3, s[0:1]
	v_and_b32_e32 v1, 1, v1
	global_store_byte v0, v1, s[20:21]
	s_or_b64 exec, exec, s[52:53]
	v_cmp_gt_i32_e32 vcc, s59, v19
	s_and_saveexec_b64 s[52:53], vcc
	s_cbranch_execnz .LBB93_204
.LBB93_219:
	s_or_b64 exec, exec, s[52:53]
	v_cmp_gt_i32_e32 vcc, s59, v19
	s_and_saveexec_b64 s[52:53], vcc
	s_cbranch_execnz .LBB93_230
.LBB93_220:
	s_or_b64 exec, exec, s[52:53]
                                        ; implicit-def: $vgpr25
                                        ; implicit-def: $vgpr19
	s_andn2_saveexec_b64 s[0:1], s[40:41]
	s_cbranch_execnz .LBB93_8
.LBB93_221:
	s_endpgm
.LBB93_222:
	s_mov_b32 s61, 0
	v_mov_b32_e32 v0, 0
	v_mov_b32_e32 v2, 0
	;; [unrolled: 1-line block ×3, first 2 shown]
.LBB93_223:
	s_and_b32 s8, s62, 3
	s_cmp_eq_u32 s8, 0
	s_cbranch_scc1 .LBB93_226
; %bb.224:
	s_lshl_b32 s4, s61, 3
	s_add_u32 s4, s34, s4
	s_addc_u32 s5, s35, 0
	s_add_u32 s4, s4, 0xc4
	s_addc_u32 s5, s5, 0
	s_mul_i32 s6, s61, 12
	s_add_u32 s6, s34, s6
	s_addc_u32 s7, s35, 0
.LBB93_225:                             ; =>This Inner Loop Header: Depth=1
	s_load_dwordx2 s[10:11], s[6:7], 0x4
	s_load_dword s9, s[6:7], 0xc
	s_load_dwordx2 s[12:13], s[4:5], 0x0
	s_add_u32 s6, s6, 12
	s_addc_u32 s7, s7, 0
	s_waitcnt lgkmcnt(0)
	v_mul_hi_u32 v3, s11, v1
	s_add_u32 s4, s4, 8
	s_addc_u32 s5, s5, 0
	s_add_i32 s8, s8, -1
	v_add_u32_e32 v3, v1, v3
	v_lshrrev_b32_e32 v4, s9, v3
	v_mul_lo_u32 v3, v4, s10
	s_cmp_lg_u32 s8, 0
	v_sub_u32_e32 v3, v1, v3
	v_mad_u64_u32 v[0:1], s[10:11], v3, s12, v[0:1]
	v_mad_u64_u32 v[2:3], s[10:11], v3, s13, v[2:3]
	v_mov_b32_e32 v1, v4
	s_cbranch_scc1 .LBB93_225
.LBB93_226:
	s_cbranch_execnz .LBB93_229
.LBB93_227:
	v_mul_hi_u32 v0, s25, v19
	s_andn2_b64 vcc, exec, s[46:47]
	v_add_u32_e32 v0, v19, v0
	v_lshrrev_b32_e32 v1, s26, v0
	v_mul_lo_u32 v0, v1, s24
	v_sub_u32_e32 v2, v19, v0
	v_mul_lo_u32 v0, v2, s28
	v_mul_lo_u32 v2, v2, s29
	s_cbranch_vccnz .LBB93_229
; %bb.228:
	v_mul_hi_u32 v3, s44, v1
	v_add_u32_e32 v3, v1, v3
	v_lshrrev_b32_e32 v3, s45, v3
	v_mul_lo_u32 v3, v3, s27
	v_sub_u32_e32 v3, v1, v3
	v_mad_u64_u32 v[0:1], s[4:5], v3, s30, v[0:1]
	v_mad_u64_u32 v[2:3], s[4:5], v3, s31, v[2:3]
.LBB93_229:
	global_load_dwordx2 v[1:2], v2, s[22:23]
	v_add_u32_e32 v19, 0x80, v19
	s_waitcnt vmcnt(0)
	v_cmp_eq_f64_e32 vcc, s[42:43], v[1:2]
	v_cndmask_b32_e64 v3, 0, 1, vcc
	v_cmp_neq_f64_e32 vcc, s[42:43], v[1:2]
	v_cndmask_b32_e64 v1, 0, 1, vcc
	v_cndmask_b32_e64 v1, v1, v3, s[0:1]
	v_and_b32_e32 v1, 1, v1
	global_store_byte v0, v1, s[20:21]
	s_or_b64 exec, exec, s[52:53]
	v_cmp_gt_i32_e32 vcc, s59, v19
	s_and_saveexec_b64 s[52:53], vcc
	s_cbranch_execz .LBB93_220
.LBB93_230:
	s_andn2_b64 vcc, exec, s[2:3]
	s_cbranch_vccnz .LBB93_235
; %bb.231:
	s_andn2_b64 vcc, exec, s[50:51]
	s_cbranch_vccnz .LBB93_236
; %bb.232:
	s_add_i32 s60, s60, 1
	s_cmp_eq_u32 s58, 2
	s_cbranch_scc1 .LBB93_237
; %bb.233:
	s_and_b32 s54, s60, 28
	v_mov_b32_e32 v2, 0
	s_mov_b32 s55, 0
	s_mov_b64 s[50:51], s[34:35]
	v_mov_b32_e32 v0, 0
	v_mov_b32_e32 v1, v19
.LBB93_234:                             ; =>This Inner Loop Header: Depth=1
	s_load_dwordx8 s[12:19], s[50:51], 0x4
	s_load_dwordx4 s[36:39], s[50:51], 0x24
	s_load_dwordx8 s[4:11], s[48:49], 0x0
	s_add_u32 s50, s50, 48
	s_addc_u32 s51, s51, 0
	s_waitcnt lgkmcnt(0)
	v_mul_hi_u32 v3, s13, v1
	s_add_i32 s55, s55, 4
	s_add_u32 s48, s48, 32
	s_addc_u32 s49, s49, 0
	v_add_u32_e32 v3, v1, v3
	v_lshrrev_b32_e32 v3, s14, v3
	v_mul_lo_u32 v4, v3, s12
	v_mul_hi_u32 v5, s16, v3
	s_cmp_eq_u32 s54, s55
	v_sub_u32_e32 v1, v1, v4
	v_add_u32_e32 v4, v3, v5
	v_mul_lo_u32 v5, v1, s4
	v_mul_lo_u32 v6, v1, s5
	v_lshrrev_b32_e32 v1, s17, v4
	v_mul_lo_u32 v4, v1, s15
	v_mul_hi_u32 v7, s19, v1
	v_sub_u32_e32 v3, v3, v4
	v_add_u32_e32 v4, v1, v7
	v_lshrrev_b32_e32 v4, s36, v4
	v_mul_hi_u32 v8, s38, v4
	v_mul_lo_u32 v9, v4, s18
	v_mul_lo_u32 v7, v3, s6
	v_mul_lo_u32 v3, v3, s7
	v_sub_u32_e32 v9, v1, v9
	v_add_u32_e32 v1, v4, v8
	v_lshrrev_b32_e32 v1, s39, v1
	v_mul_lo_u32 v8, v1, s37
	v_mul_lo_u32 v10, v9, s8
	;; [unrolled: 1-line block ×3, first 2 shown]
	v_add3_u32 v0, v5, v0, v7
	v_sub_u32_e32 v4, v4, v8
	v_mul_lo_u32 v8, v4, s10
	v_mul_lo_u32 v4, v4, s11
	v_add3_u32 v2, v6, v2, v3
	v_add3_u32 v0, v10, v0, v8
	;; [unrolled: 1-line block ×3, first 2 shown]
	s_cbranch_scc0 .LBB93_234
	s_branch .LBB93_238
.LBB93_235:
                                        ; implicit-def: $vgpr0
                                        ; implicit-def: $vgpr2
	s_branch .LBB93_242
.LBB93_236:
	v_mov_b32_e32 v0, 0
	v_mov_b32_e32 v2, 0
	s_branch .LBB93_241
.LBB93_237:
	s_mov_b32 s54, 0
	v_mov_b32_e32 v0, 0
	v_mov_b32_e32 v2, 0
	;; [unrolled: 1-line block ×3, first 2 shown]
.LBB93_238:
	s_and_b32 s8, s60, 3
	s_cmp_eq_u32 s8, 0
	s_cbranch_scc1 .LBB93_241
; %bb.239:
	s_lshl_b32 s4, s54, 3
	s_add_u32 s4, s34, s4
	s_addc_u32 s5, s35, 0
	s_add_u32 s4, s4, 0xc4
	s_addc_u32 s5, s5, 0
	s_mul_i32 s6, s54, 12
	s_add_u32 s6, s34, s6
	s_addc_u32 s7, s35, 0
.LBB93_240:                             ; =>This Inner Loop Header: Depth=1
	s_load_dwordx2 s[10:11], s[6:7], 0x4
	s_load_dword s9, s[6:7], 0xc
	s_load_dwordx2 s[12:13], s[4:5], 0x0
	s_add_u32 s6, s6, 12
	s_addc_u32 s7, s7, 0
	s_waitcnt lgkmcnt(0)
	v_mul_hi_u32 v3, s11, v1
	s_add_u32 s4, s4, 8
	s_addc_u32 s5, s5, 0
	s_add_i32 s8, s8, -1
	v_add_u32_e32 v3, v1, v3
	v_lshrrev_b32_e32 v4, s9, v3
	v_mul_lo_u32 v3, v4, s10
	s_cmp_lg_u32 s8, 0
	v_sub_u32_e32 v3, v1, v3
	v_mad_u64_u32 v[0:1], s[10:11], v3, s12, v[0:1]
	v_mad_u64_u32 v[2:3], s[10:11], v3, s13, v[2:3]
	v_mov_b32_e32 v1, v4
	s_cbranch_scc1 .LBB93_240
.LBB93_241:
	s_cbranch_execnz .LBB93_244
.LBB93_242:
	v_mul_hi_u32 v0, s25, v19
	s_andn2_b64 vcc, exec, s[46:47]
	v_add_u32_e32 v0, v19, v0
	v_lshrrev_b32_e32 v1, s26, v0
	v_mul_lo_u32 v0, v1, s24
	v_sub_u32_e32 v2, v19, v0
	v_mul_lo_u32 v0, v2, s28
	v_mul_lo_u32 v2, v2, s29
	s_cbranch_vccnz .LBB93_244
; %bb.243:
	v_mul_hi_u32 v3, s44, v1
	v_add_u32_e32 v3, v1, v3
	v_lshrrev_b32_e32 v3, s45, v3
	v_mul_lo_u32 v3, v3, s27
	v_sub_u32_e32 v3, v1, v3
	v_mad_u64_u32 v[0:1], s[4:5], v3, s30, v[0:1]
	v_mad_u64_u32 v[2:3], s[4:5], v3, s31, v[2:3]
.LBB93_244:
	global_load_dwordx2 v[1:2], v2, s[22:23]
	s_waitcnt vmcnt(0)
	v_cmp_eq_f64_e32 vcc, s[42:43], v[1:2]
	v_cndmask_b32_e64 v3, 0, 1, vcc
	v_cmp_neq_f64_e32 vcc, s[42:43], v[1:2]
	v_cndmask_b32_e64 v1, 0, 1, vcc
	v_cndmask_b32_e64 v1, v1, v3, s[0:1]
	v_and_b32_e32 v1, 1, v1
	global_store_byte v0, v1, s[20:21]
	s_or_b64 exec, exec, s[52:53]
                                        ; implicit-def: $vgpr25
                                        ; implicit-def: $vgpr19
	s_andn2_saveexec_b64 s[0:1], s[40:41]
	s_cbranch_execz .LBB93_221
	s_branch .LBB93_8
	.section	.rodata,"a",@progbits
	.p2align	6, 0x0
	.amdhsa_kernel _ZN2at6native32elementwise_kernel_manual_unrollILi128ELi8EZNS0_22gpu_kernel_impl_nocastINS0_13AUnaryFunctorIddbNS0_12_GLOBAL__N_116CompareEqFunctorIdEEEEEEvRNS_18TensorIteratorBaseERKT_EUlibE_EEviT1_
		.amdhsa_group_segment_fixed_size 0
		.amdhsa_private_segment_fixed_size 0
		.amdhsa_kernarg_size 368
		.amdhsa_user_sgpr_count 6
		.amdhsa_user_sgpr_private_segment_buffer 1
		.amdhsa_user_sgpr_dispatch_ptr 0
		.amdhsa_user_sgpr_queue_ptr 0
		.amdhsa_user_sgpr_kernarg_segment_ptr 1
		.amdhsa_user_sgpr_dispatch_id 0
		.amdhsa_user_sgpr_flat_scratch_init 0
		.amdhsa_user_sgpr_private_segment_size 0
		.amdhsa_uses_dynamic_stack 0
		.amdhsa_system_sgpr_private_segment_wavefront_offset 0
		.amdhsa_system_sgpr_workgroup_id_x 1
		.amdhsa_system_sgpr_workgroup_id_y 0
		.amdhsa_system_sgpr_workgroup_id_z 0
		.amdhsa_system_sgpr_workgroup_info 0
		.amdhsa_system_vgpr_workitem_id 0
		.amdhsa_next_free_vgpr 28
		.amdhsa_next_free_sgpr 64
		.amdhsa_reserve_vcc 1
		.amdhsa_reserve_flat_scratch 0
		.amdhsa_float_round_mode_32 0
		.amdhsa_float_round_mode_16_64 0
		.amdhsa_float_denorm_mode_32 3
		.amdhsa_float_denorm_mode_16_64 3
		.amdhsa_dx10_clamp 1
		.amdhsa_ieee_mode 1
		.amdhsa_fp16_overflow 0
		.amdhsa_exception_fp_ieee_invalid_op 0
		.amdhsa_exception_fp_denorm_src 0
		.amdhsa_exception_fp_ieee_div_zero 0
		.amdhsa_exception_fp_ieee_overflow 0
		.amdhsa_exception_fp_ieee_underflow 0
		.amdhsa_exception_fp_ieee_inexact 0
		.amdhsa_exception_int_div_zero 0
	.end_amdhsa_kernel
	.section	.text._ZN2at6native32elementwise_kernel_manual_unrollILi128ELi8EZNS0_22gpu_kernel_impl_nocastINS0_13AUnaryFunctorIddbNS0_12_GLOBAL__N_116CompareEqFunctorIdEEEEEEvRNS_18TensorIteratorBaseERKT_EUlibE_EEviT1_,"axG",@progbits,_ZN2at6native32elementwise_kernel_manual_unrollILi128ELi8EZNS0_22gpu_kernel_impl_nocastINS0_13AUnaryFunctorIddbNS0_12_GLOBAL__N_116CompareEqFunctorIdEEEEEEvRNS_18TensorIteratorBaseERKT_EUlibE_EEviT1_,comdat
.Lfunc_end93:
	.size	_ZN2at6native32elementwise_kernel_manual_unrollILi128ELi8EZNS0_22gpu_kernel_impl_nocastINS0_13AUnaryFunctorIddbNS0_12_GLOBAL__N_116CompareEqFunctorIdEEEEEEvRNS_18TensorIteratorBaseERKT_EUlibE_EEviT1_, .Lfunc_end93-_ZN2at6native32elementwise_kernel_manual_unrollILi128ELi8EZNS0_22gpu_kernel_impl_nocastINS0_13AUnaryFunctorIddbNS0_12_GLOBAL__N_116CompareEqFunctorIdEEEEEEvRNS_18TensorIteratorBaseERKT_EUlibE_EEviT1_
                                        ; -- End function
	.set _ZN2at6native32elementwise_kernel_manual_unrollILi128ELi8EZNS0_22gpu_kernel_impl_nocastINS0_13AUnaryFunctorIddbNS0_12_GLOBAL__N_116CompareEqFunctorIdEEEEEEvRNS_18TensorIteratorBaseERKT_EUlibE_EEviT1_.num_vgpr, 28
	.set _ZN2at6native32elementwise_kernel_manual_unrollILi128ELi8EZNS0_22gpu_kernel_impl_nocastINS0_13AUnaryFunctorIddbNS0_12_GLOBAL__N_116CompareEqFunctorIdEEEEEEvRNS_18TensorIteratorBaseERKT_EUlibE_EEviT1_.num_agpr, 0
	.set _ZN2at6native32elementwise_kernel_manual_unrollILi128ELi8EZNS0_22gpu_kernel_impl_nocastINS0_13AUnaryFunctorIddbNS0_12_GLOBAL__N_116CompareEqFunctorIdEEEEEEvRNS_18TensorIteratorBaseERKT_EUlibE_EEviT1_.numbered_sgpr, 64
	.set _ZN2at6native32elementwise_kernel_manual_unrollILi128ELi8EZNS0_22gpu_kernel_impl_nocastINS0_13AUnaryFunctorIddbNS0_12_GLOBAL__N_116CompareEqFunctorIdEEEEEEvRNS_18TensorIteratorBaseERKT_EUlibE_EEviT1_.num_named_barrier, 0
	.set _ZN2at6native32elementwise_kernel_manual_unrollILi128ELi8EZNS0_22gpu_kernel_impl_nocastINS0_13AUnaryFunctorIddbNS0_12_GLOBAL__N_116CompareEqFunctorIdEEEEEEvRNS_18TensorIteratorBaseERKT_EUlibE_EEviT1_.private_seg_size, 0
	.set _ZN2at6native32elementwise_kernel_manual_unrollILi128ELi8EZNS0_22gpu_kernel_impl_nocastINS0_13AUnaryFunctorIddbNS0_12_GLOBAL__N_116CompareEqFunctorIdEEEEEEvRNS_18TensorIteratorBaseERKT_EUlibE_EEviT1_.uses_vcc, 1
	.set _ZN2at6native32elementwise_kernel_manual_unrollILi128ELi8EZNS0_22gpu_kernel_impl_nocastINS0_13AUnaryFunctorIddbNS0_12_GLOBAL__N_116CompareEqFunctorIdEEEEEEvRNS_18TensorIteratorBaseERKT_EUlibE_EEviT1_.uses_flat_scratch, 0
	.set _ZN2at6native32elementwise_kernel_manual_unrollILi128ELi8EZNS0_22gpu_kernel_impl_nocastINS0_13AUnaryFunctorIddbNS0_12_GLOBAL__N_116CompareEqFunctorIdEEEEEEvRNS_18TensorIteratorBaseERKT_EUlibE_EEviT1_.has_dyn_sized_stack, 0
	.set _ZN2at6native32elementwise_kernel_manual_unrollILi128ELi8EZNS0_22gpu_kernel_impl_nocastINS0_13AUnaryFunctorIddbNS0_12_GLOBAL__N_116CompareEqFunctorIdEEEEEEvRNS_18TensorIteratorBaseERKT_EUlibE_EEviT1_.has_recursion, 0
	.set _ZN2at6native32elementwise_kernel_manual_unrollILi128ELi8EZNS0_22gpu_kernel_impl_nocastINS0_13AUnaryFunctorIddbNS0_12_GLOBAL__N_116CompareEqFunctorIdEEEEEEvRNS_18TensorIteratorBaseERKT_EUlibE_EEviT1_.has_indirect_call, 0
	.section	.AMDGPU.csdata,"",@progbits
; Kernel info:
; codeLenInByte = 11792
; TotalNumSgprs: 68
; NumVgprs: 28
; ScratchSize: 0
; MemoryBound: 0
; FloatMode: 240
; IeeeMode: 1
; LDSByteSize: 0 bytes/workgroup (compile time only)
; SGPRBlocks: 8
; VGPRBlocks: 6
; NumSGPRsForWavesPerEU: 68
; NumVGPRsForWavesPerEU: 28
; Occupancy: 9
; WaveLimiterHint : 1
; COMPUTE_PGM_RSRC2:SCRATCH_EN: 0
; COMPUTE_PGM_RSRC2:USER_SGPR: 6
; COMPUTE_PGM_RSRC2:TRAP_HANDLER: 0
; COMPUTE_PGM_RSRC2:TGID_X_EN: 1
; COMPUTE_PGM_RSRC2:TGID_Y_EN: 0
; COMPUTE_PGM_RSRC2:TGID_Z_EN: 0
; COMPUTE_PGM_RSRC2:TIDIG_COMP_CNT: 0
	.section	.text._ZN2at6native32elementwise_kernel_manual_unrollILi128ELi4EZNS0_15gpu_kernel_implINS0_13AUnaryFunctorIddbNS0_12_GLOBAL__N_116CompareEqFunctorIdEEEEEEvRNS_18TensorIteratorBaseERKT_EUlibE_EEviT1_,"axG",@progbits,_ZN2at6native32elementwise_kernel_manual_unrollILi128ELi4EZNS0_15gpu_kernel_implINS0_13AUnaryFunctorIddbNS0_12_GLOBAL__N_116CompareEqFunctorIdEEEEEEvRNS_18TensorIteratorBaseERKT_EUlibE_EEviT1_,comdat
	.globl	_ZN2at6native32elementwise_kernel_manual_unrollILi128ELi4EZNS0_15gpu_kernel_implINS0_13AUnaryFunctorIddbNS0_12_GLOBAL__N_116CompareEqFunctorIdEEEEEEvRNS_18TensorIteratorBaseERKT_EUlibE_EEviT1_ ; -- Begin function _ZN2at6native32elementwise_kernel_manual_unrollILi128ELi4EZNS0_15gpu_kernel_implINS0_13AUnaryFunctorIddbNS0_12_GLOBAL__N_116CompareEqFunctorIdEEEEEEvRNS_18TensorIteratorBaseERKT_EUlibE_EEviT1_
	.p2align	8
	.type	_ZN2at6native32elementwise_kernel_manual_unrollILi128ELi4EZNS0_15gpu_kernel_implINS0_13AUnaryFunctorIddbNS0_12_GLOBAL__N_116CompareEqFunctorIdEEEEEEvRNS_18TensorIteratorBaseERKT_EUlibE_EEviT1_,@function
_ZN2at6native32elementwise_kernel_manual_unrollILi128ELi4EZNS0_15gpu_kernel_implINS0_13AUnaryFunctorIddbNS0_12_GLOBAL__N_116CompareEqFunctorIdEEEEEEvRNS_18TensorIteratorBaseERKT_EUlibE_EEviT1_: ; @_ZN2at6native32elementwise_kernel_manual_unrollILi128ELi4EZNS0_15gpu_kernel_implINS0_13AUnaryFunctorIddbNS0_12_GLOBAL__N_116CompareEqFunctorIdEEEEEEvRNS_18TensorIteratorBaseERKT_EUlibE_EEviT1_
; %bb.0:
	s_load_dword s33, s[4:5], 0x30
	s_load_dwordx2 s[16:17], s[4:5], 0x28
	s_load_dword s44, s[4:5], 0x0
	s_load_dwordx8 s[8:15], s[4:5], 0x8
	v_lshl_or_b32 v10, s6, 9, v0
	v_or_b32_e32 v0, 0x180, v10
	s_waitcnt lgkmcnt(0)
	s_bfe_u32 s15, s33, 0x80008
	v_cmp_le_i32_e32 vcc, s44, v0
	s_mov_b64 s[6:7], 0
	s_mov_b64 s[20:21], 0
	s_and_saveexec_b64 s[0:1], vcc
	s_xor_b64 s[18:19], exec, s[0:1]
	s_cbranch_execz .LBB94_1027
; %bb.1:
	s_cmp_eq_u32 s14, 0
	s_cselect_b64 s[0:1], -1, 0
	v_cmp_gt_i32_e32 vcc, s44, v10
	s_mov_b64 s[2:3], -1
	s_mov_b64 s[28:29], 0
	s_mov_b64 s[22:23], 0
	s_and_saveexec_b64 s[24:25], vcc
	s_cbranch_execz .LBB94_252
; %bb.2:
	v_mul_lo_u32 v0, v10, s13
	v_mov_b32_e32 v1, s11
	s_and_b32 s26, 0xffff, s15
	s_cmp_lt_i32 s26, 11
	v_ashrrev_i32_e32 v2, 31, v0
	v_add_co_u32_e32 v0, vcc, s10, v0
	v_addc_co_u32_e32 v1, vcc, v1, v2, vcc
	s_cbranch_scc1 .LBB94_9
; %bb.3:
	s_cmp_gt_i32 s26, 25
	s_cbranch_scc0 .LBB94_18
; %bb.4:
	s_cmp_gt_i32 s26, 28
	s_cbranch_scc0 .LBB94_22
; %bb.5:
	s_cmp_gt_i32 s26, 43
	s_cbranch_scc0 .LBB94_24
; %bb.6:
	s_cmp_gt_i32 s26, 45
	s_cbranch_scc0 .LBB94_26
; %bb.7:
	s_cmp_eq_u32 s26, 46
	s_mov_b64 s[4:5], 0
	s_cbranch_scc0 .LBB94_28
; %bb.8:
	global_load_dword v2, v[0:1], off
	s_waitcnt vmcnt(0)
	v_lshlrev_b32_e32 v2, 16, v2
	v_cvt_f64_f32_e32 v[2:3], v2
	s_branch .LBB94_30
.LBB94_9:
                                        ; implicit-def: $vgpr2_vgpr3
	s_mov_b64 s[2:3], 0
	s_cbranch_execnz .LBB94_203
.LBB94_10:
	s_andn2_b64 vcc, exec, s[2:3]
	s_cbranch_vccnz .LBB94_250
.LBB94_11:
	s_waitcnt vmcnt(0)
	v_cmp_eq_f64_e32 vcc, s[16:17], v[2:3]
	s_and_b32 s34, s33, 0xff
	s_cmp_lt_i32 s34, 11
	v_cndmask_b32_e64 v0, 0, 1, vcc
	v_cmp_neq_f64_e32 vcc, s[16:17], v[2:3]
	v_mul_lo_u32 v2, v10, s12
	v_mov_b32_e32 v3, s9
	v_cndmask_b32_e64 v1, 0, 1, vcc
	v_cndmask_b32_e64 v0, v1, v0, s[0:1]
	v_and_b32_e32 v0, 1, v0
	v_cmp_eq_u32_e64 s[2:3], 1, v0
	v_ashrrev_i32_e32 v1, 31, v2
	v_add_co_u32_e32 v0, vcc, s8, v2
	v_addc_co_u32_e32 v1, vcc, v3, v1, vcc
	s_cbranch_scc1 .LBB94_19
; %bb.12:
	s_and_b32 s35, 0xffff, s34
	s_cmp_gt_i32 s35, 25
	s_cbranch_scc0 .LBB94_23
; %bb.13:
	s_cmp_gt_i32 s35, 28
	s_cbranch_scc0 .LBB94_25
; %bb.14:
	;; [unrolled: 3-line block ×4, first 2 shown]
	s_mov_b64 s[26:27], 0
	s_mov_b64 s[4:5], -1
	s_cmp_eq_u32 s35, 46
	s_mov_b64 s[20:21], 0
	s_cbranch_scc0 .LBB94_34
; %bb.17:
	v_cndmask_b32_e64 v2, 0, 1.0, s[2:3]
	v_bfe_u32 v3, v2, 16, 1
	s_movk_i32 s4, 0x7fff
	v_add3_u32 v2, v2, v3, s4
	v_lshrrev_b32_e32 v2, 16, v2
	global_store_dword v[0:1], v2, off
	s_mov_b64 s[20:21], -1
	s_mov_b64 s[4:5], 0
	s_branch .LBB94_34
.LBB94_18:
	s_mov_b64 s[2:3], 0
                                        ; implicit-def: $vgpr2_vgpr3
	s_cbranch_execnz .LBB94_170
	s_branch .LBB94_202
.LBB94_19:
	s_mov_b64 s[4:5], 0
	s_mov_b64 s[20:21], 0
	s_cbranch_execnz .LBB94_103
.LBB94_20:
	s_andn2_b64 vcc, exec, s[20:21]
	s_cbranch_vccnz .LBB94_141
.LBB94_21:
	v_add_u32_e32 v10, 0x80, v10
	s_mov_b64 s[2:3], -1
	s_branch .LBB94_251
.LBB94_22:
	s_mov_b64 s[4:5], -1
	s_mov_b64 s[2:3], 0
                                        ; implicit-def: $vgpr2_vgpr3
	s_branch .LBB94_149
.LBB94_23:
	s_mov_b64 s[26:27], -1
	s_mov_b64 s[4:5], 0
	s_mov_b64 s[20:21], 0
	s_branch .LBB94_61
.LBB94_24:
	s_mov_b64 s[4:5], -1
	s_mov_b64 s[2:3], 0
                                        ; implicit-def: $vgpr2_vgpr3
	s_branch .LBB94_144
.LBB94_25:
	s_mov_b64 s[26:27], -1
	s_mov_b64 s[4:5], 0
	s_mov_b64 s[20:21], 0
	s_branch .LBB94_44
.LBB94_26:
	s_mov_b64 s[4:5], -1
	s_branch .LBB94_29
.LBB94_27:
	s_mov_b64 s[26:27], -1
	s_mov_b64 s[4:5], 0
	s_mov_b64 s[20:21], 0
	s_branch .LBB94_40
.LBB94_28:
	s_mov_b64 s[22:23], -1
.LBB94_29:
	s_mov_b64 s[2:3], 0
                                        ; implicit-def: $vgpr2_vgpr3
.LBB94_30:
	s_and_b64 vcc, exec, s[4:5]
	s_cbranch_vccz .LBB94_143
; %bb.31:
	s_cmp_eq_u32 s26, 44
	s_cbranch_scc0 .LBB94_142
; %bb.32:
	global_load_ubyte v4, v[0:1], off
	s_movk_i32 s4, 0xff
	v_bfrev_b32_e32 v5, 4
	v_mov_b32_e32 v6, 0x7ff80000
	v_bfrev_b32_e32 v7, 28
	s_mov_b64 s[2:3], -1
	s_mov_b64 s[22:23], 0
	s_waitcnt vmcnt(0)
	v_lshlrev_b32_e32 v2, 23, v4
	v_cvt_f64_f32_e32 v[2:3], v2
	v_cmp_ne_u32_e32 vcc, s4, v4
	v_cndmask_b32_e32 v2, v5, v2, vcc
	v_cndmask_b32_e32 v3, v6, v3, vcc
	v_cmp_ne_u32_e32 vcc, 0, v4
	v_cndmask_b32_e32 v3, v7, v3, vcc
	v_cndmask_b32_e32 v2, 0, v2, vcc
	s_branch .LBB94_143
.LBB94_33:
	s_mov_b64 s[26:27], -1
	s_mov_b64 s[4:5], 0
	s_mov_b64 s[20:21], 0
.LBB94_34:
	s_and_b64 vcc, exec, s[26:27]
	s_cbranch_vccz .LBB94_39
; %bb.35:
	s_cmp_eq_u32 s35, 44
	s_mov_b64 s[4:5], -1
	s_cbranch_scc0 .LBB94_39
; %bb.36:
	v_cndmask_b32_e64 v3, 0, 1.0, s[2:3]
	v_lshrrev_b32_e32 v2, 23, v3
	s_movk_i32 s4, 0xff
	v_cmp_ne_u32_e32 vcc, s4, v2
	v_mov_b32_e32 v4, 0xff
	s_and_saveexec_b64 s[20:21], vcc
; %bb.37:
	s_mov_b32 s4, 0x3fffff
	v_and_b32_e32 v4, 0x400000, v3
	v_and_or_b32 v3, v3, s4, v2
	v_cmp_ne_u32_e32 vcc, 0, v4
	v_cmp_ne_u32_e64 s[4:5], 0, v3
	s_and_b64 s[4:5], vcc, s[4:5]
	v_cndmask_b32_e64 v3, 0, 1, s[4:5]
	v_add_u32_e32 v4, v2, v3
; %bb.38:
	s_or_b64 exec, exec, s[20:21]
	s_mov_b64 s[20:21], -1
	s_mov_b64 s[4:5], 0
	global_store_byte v[0:1], v4, off
.LBB94_39:
	s_mov_b64 s[26:27], 0
.LBB94_40:
	s_and_b64 vcc, exec, s[26:27]
	s_cbranch_vccz .LBB94_43
; %bb.41:
	s_cmp_eq_u32 s35, 29
	s_mov_b64 s[4:5], -1
	s_cbranch_scc0 .LBB94_43
; %bb.42:
	s_mov_b32 s4, 0
	v_cndmask_b32_e64 v2, 0, 1, s[2:3]
	v_mov_b32_e32 v3, s4
	global_store_dwordx2 v[0:1], v[2:3], off
	s_mov_b64 s[20:21], -1
	s_mov_b64 s[4:5], 0
.LBB94_43:
	s_mov_b64 s[26:27], 0
.LBB94_44:
	s_and_b64 vcc, exec, s[26:27]
	s_cbranch_vccz .LBB94_60
; %bb.45:
	s_cmp_lt_i32 s35, 27
	s_mov_b64 s[20:21], -1
	s_cbranch_scc1 .LBB94_51
; %bb.46:
	s_cmp_gt_i32 s35, 27
	s_cbranch_scc0 .LBB94_48
; %bb.47:
	v_cndmask_b32_e64 v2, 0, 1, s[2:3]
	s_mov_b64 s[20:21], 0
	global_store_dword v[0:1], v2, off
.LBB94_48:
	s_andn2_b64 vcc, exec, s[20:21]
	s_cbranch_vccnz .LBB94_50
; %bb.49:
	v_cndmask_b32_e64 v2, 0, 1, s[2:3]
	global_store_short v[0:1], v2, off
.LBB94_50:
	s_mov_b64 s[20:21], 0
.LBB94_51:
	s_andn2_b64 vcc, exec, s[20:21]
	s_cbranch_vccnz .LBB94_59
; %bb.52:
	v_cndmask_b32_e64 v3, 0, 1.0, s[2:3]
	s_mov_b32 s20, 0x43800000
	v_cmp_gt_u32_e32 vcc, s20, v3
	v_mov_b32_e32 v4, 0x80
	s_and_saveexec_b64 s[20:21], vcc
	s_cbranch_execz .LBB94_58
; %bb.53:
	s_mov_b32 s26, 0x3bffffff
	v_cmp_lt_u32_e32 vcc, s26, v3
	s_mov_b64 s[26:27], 0
                                        ; implicit-def: $vgpr2
	s_and_saveexec_b64 s[30:31], vcc
	s_xor_b64 s[30:31], exec, s[30:31]
	s_cbranch_execz .LBB94_279
; %bb.54:
	v_bfe_u32 v2, v3, 20, 1
	s_mov_b32 s36, 0x487ffff
	v_add3_u32 v2, v3, v2, s36
	s_mov_b64 s[26:27], exec
	v_lshrrev_b32_e32 v2, 20, v2
                                        ; implicit-def: $vgpr3
	s_andn2_saveexec_b64 s[30:31], s[30:31]
	s_cbranch_execnz .LBB94_280
.LBB94_55:
	s_or_b64 exec, exec, s[30:31]
	v_mov_b32_e32 v4, 0
	s_and_saveexec_b64 s[30:31], s[26:27]
.LBB94_56:
	v_mov_b32_e32 v4, v2
.LBB94_57:
	s_or_b64 exec, exec, s[30:31]
.LBB94_58:
	s_or_b64 exec, exec, s[20:21]
	global_store_byte v[0:1], v4, off
.LBB94_59:
	s_mov_b64 s[20:21], -1
.LBB94_60:
	s_mov_b64 s[26:27], 0
.LBB94_61:
	s_and_b64 vcc, exec, s[26:27]
	s_cbranch_vccz .LBB94_102
; %bb.62:
	s_cmp_gt_i32 s35, 22
	s_mov_b64 s[26:27], -1
	s_cbranch_scc0 .LBB94_94
; %bb.63:
	s_cmp_lt_i32 s35, 24
	s_mov_b64 s[20:21], -1
	s_cbranch_scc1 .LBB94_83
; %bb.64:
	s_cmp_gt_i32 s35, 24
	s_cbranch_scc0 .LBB94_72
; %bb.65:
	v_cndmask_b32_e64 v3, 0, 1.0, s[2:3]
	s_mov_b32 s20, 0x47800000
	v_cmp_gt_u32_e32 vcc, s20, v3
	v_mov_b32_e32 v4, 0x80
	s_and_saveexec_b64 s[20:21], vcc
	s_cbranch_execz .LBB94_71
; %bb.66:
	s_mov_b32 s26, 0x37ffffff
	v_cmp_lt_u32_e32 vcc, s26, v3
	s_mov_b64 s[26:27], 0
                                        ; implicit-def: $vgpr2
	s_and_saveexec_b64 s[30:31], vcc
	s_xor_b64 s[30:31], exec, s[30:31]
	s_cbranch_execz .LBB94_283
; %bb.67:
	v_bfe_u32 v2, v3, 21, 1
	s_mov_b32 s36, 0x88fffff
	v_add3_u32 v2, v3, v2, s36
	s_mov_b64 s[26:27], exec
	v_lshrrev_b32_e32 v2, 21, v2
                                        ; implicit-def: $vgpr3
	s_andn2_saveexec_b64 s[30:31], s[30:31]
	s_cbranch_execnz .LBB94_284
.LBB94_68:
	s_or_b64 exec, exec, s[30:31]
	v_mov_b32_e32 v4, 0
	s_and_saveexec_b64 s[30:31], s[26:27]
.LBB94_69:
	v_mov_b32_e32 v4, v2
.LBB94_70:
	s_or_b64 exec, exec, s[30:31]
.LBB94_71:
	s_or_b64 exec, exec, s[20:21]
	s_mov_b64 s[20:21], 0
	global_store_byte v[0:1], v4, off
.LBB94_72:
	s_and_b64 vcc, exec, s[20:21]
	s_cbranch_vccz .LBB94_82
; %bb.73:
	v_cndmask_b32_e64 v2, 0, 1.0, s[2:3]
	s_mov_b32 s20, 0x43f00000
	v_cmp_gt_u32_e32 vcc, s20, v2
                                        ; implicit-def: $vgpr3
	s_and_saveexec_b64 s[20:21], vcc
	s_xor_b64 s[20:21], exec, s[20:21]
	s_cbranch_execz .LBB94_79
; %bb.74:
	s_mov_b32 s26, 0x3c7fffff
	v_cmp_lt_u32_e32 vcc, s26, v2
                                        ; implicit-def: $vgpr3
	s_and_saveexec_b64 s[26:27], vcc
	s_xor_b64 s[26:27], exec, s[26:27]
; %bb.75:
	v_bfe_u32 v3, v2, 20, 1
	s_mov_b32 s30, 0x407ffff
	v_add3_u32 v2, v2, v3, s30
	v_lshrrev_b32_e32 v3, 20, v2
	v_and_b32_e32 v2, 0xff00000, v2
	s_mov_b32 s30, 0x7f00000
	v_mov_b32_e32 v4, 0x7e
	v_cmp_ne_u32_e32 vcc, s30, v2
	v_cndmask_b32_e32 v3, v4, v3, vcc
                                        ; implicit-def: $vgpr2
; %bb.76:
	s_andn2_saveexec_b64 s[26:27], s[26:27]
; %bb.77:
	v_add_f32_e32 v3, 0x46800000, v2
; %bb.78:
	s_or_b64 exec, exec, s[26:27]
                                        ; implicit-def: $vgpr2
.LBB94_79:
	s_andn2_saveexec_b64 s[20:21], s[20:21]
; %bb.80:
	s_mov_b32 s26, 0x7f800000
	v_mov_b32_e32 v3, 0x7e
	v_mov_b32_e32 v4, 0x7f
	v_cmp_lt_u32_e32 vcc, s26, v2
	v_cndmask_b32_e32 v3, v3, v4, vcc
; %bb.81:
	s_or_b64 exec, exec, s[20:21]
	global_store_byte v[0:1], v3, off
.LBB94_82:
	s_mov_b64 s[20:21], 0
.LBB94_83:
	s_andn2_b64 vcc, exec, s[20:21]
	s_cbranch_vccnz .LBB94_93
; %bb.84:
	v_cndmask_b32_e64 v2, 0, 1.0, s[2:3]
	s_mov_b32 s20, 0x47800000
	v_cmp_gt_u32_e32 vcc, s20, v2
                                        ; implicit-def: $vgpr3
	s_and_saveexec_b64 s[20:21], vcc
	s_xor_b64 s[20:21], exec, s[20:21]
	s_cbranch_execz .LBB94_90
; %bb.85:
	s_mov_b32 s26, 0x387fffff
	v_cmp_lt_u32_e32 vcc, s26, v2
                                        ; implicit-def: $vgpr3
	s_and_saveexec_b64 s[26:27], vcc
	s_xor_b64 s[26:27], exec, s[26:27]
; %bb.86:
	v_bfe_u32 v3, v2, 21, 1
	s_mov_b32 s30, 0x80fffff
	v_add3_u32 v2, v2, v3, s30
	v_lshrrev_b32_e32 v3, 21, v2
                                        ; implicit-def: $vgpr2
; %bb.87:
	s_andn2_saveexec_b64 s[26:27], s[26:27]
; %bb.88:
	v_add_f32_e32 v3, 0x43000000, v2
; %bb.89:
	s_or_b64 exec, exec, s[26:27]
                                        ; implicit-def: $vgpr2
.LBB94_90:
	s_andn2_saveexec_b64 s[20:21], s[20:21]
; %bb.91:
	s_mov_b32 s26, 0x7f800000
	v_mov_b32_e32 v3, 0x7c
	v_mov_b32_e32 v4, 0x7f
	v_cmp_lt_u32_e32 vcc, s26, v2
	v_cndmask_b32_e32 v3, v3, v4, vcc
; %bb.92:
	s_or_b64 exec, exec, s[20:21]
	global_store_byte v[0:1], v3, off
.LBB94_93:
	s_mov_b64 s[26:27], 0
	s_mov_b64 s[20:21], -1
.LBB94_94:
	s_andn2_b64 vcc, exec, s[26:27]
	s_cbranch_vccnz .LBB94_102
; %bb.95:
	s_cmp_gt_i32 s35, 14
	s_mov_b64 s[26:27], -1
	s_cbranch_scc0 .LBB94_99
; %bb.96:
	s_cmp_eq_u32 s35, 15
	s_mov_b64 s[4:5], -1
	s_cbranch_scc0 .LBB94_98
; %bb.97:
	v_cndmask_b32_e64 v2, 0, 1.0, s[2:3]
	v_bfe_u32 v3, v2, 16, 1
	s_movk_i32 s4, 0x7fff
	v_add3_u32 v2, v2, v3, s4
	global_store_short_d16_hi v[0:1], v2, off
	s_mov_b64 s[20:21], -1
	s_mov_b64 s[4:5], 0
.LBB94_98:
	s_mov_b64 s[26:27], 0
.LBB94_99:
	s_and_b64 vcc, exec, s[26:27]
	s_cbranch_vccz .LBB94_102
; %bb.100:
	s_cmp_eq_u32 s35, 11
	s_mov_b64 s[4:5], -1
	s_cbranch_scc0 .LBB94_102
; %bb.101:
	v_cndmask_b32_e64 v2, 0, 1, s[2:3]
	s_mov_b64 s[20:21], -1
	s_mov_b64 s[4:5], 0
	global_store_byte v[0:1], v2, off
.LBB94_102:
	s_branch .LBB94_20
.LBB94_103:
	s_and_b32 s26, 0xffff, s34
	s_cmp_lt_i32 s26, 5
	s_mov_b64 s[20:21], -1
	s_cbranch_scc1 .LBB94_124
; %bb.104:
	s_cmp_lt_i32 s26, 8
	s_cbranch_scc1 .LBB94_114
; %bb.105:
	s_cmp_lt_i32 s26, 9
	s_cbranch_scc1 .LBB94_111
; %bb.106:
	s_cmp_gt_i32 s26, 9
	s_cbranch_scc0 .LBB94_108
; %bb.107:
	v_cndmask_b32_e64 v2, 0, 1, s[2:3]
	v_cvt_f64_u32_e32 v[2:3], v2
	v_mov_b32_e32 v4, 0
	v_mov_b32_e32 v5, v4
	s_mov_b64 s[20:21], 0
	global_store_dwordx4 v[0:1], v[2:5], off
.LBB94_108:
	s_andn2_b64 vcc, exec, s[20:21]
	s_cbranch_vccnz .LBB94_110
; %bb.109:
	v_cndmask_b32_e64 v2, 0, 1.0, s[2:3]
	v_mov_b32_e32 v3, 0
	global_store_dwordx2 v[0:1], v[2:3], off
.LBB94_110:
	s_mov_b64 s[20:21], 0
.LBB94_111:
	s_andn2_b64 vcc, exec, s[20:21]
	s_cbranch_vccnz .LBB94_113
; %bb.112:
	v_cndmask_b32_e64 v2, 0, 1.0, s[2:3]
	v_cvt_f16_f32_e32 v2, v2
	global_store_dword v[0:1], v2, off
.LBB94_113:
	s_mov_b64 s[20:21], 0
.LBB94_114:
	s_andn2_b64 vcc, exec, s[20:21]
	s_cbranch_vccnz .LBB94_123
; %bb.115:
	s_cmp_lt_i32 s26, 6
	s_mov_b64 s[20:21], -1
	s_cbranch_scc1 .LBB94_121
; %bb.116:
	s_cmp_gt_i32 s26, 6
	s_cbranch_scc0 .LBB94_118
; %bb.117:
	v_cndmask_b32_e64 v2, 0, 1, s[2:3]
	v_cvt_f64_u32_e32 v[2:3], v2
	s_mov_b64 s[20:21], 0
	global_store_dwordx2 v[0:1], v[2:3], off
.LBB94_118:
	s_andn2_b64 vcc, exec, s[20:21]
	s_cbranch_vccnz .LBB94_120
; %bb.119:
	v_cndmask_b32_e64 v2, 0, 1.0, s[2:3]
	global_store_dword v[0:1], v2, off
.LBB94_120:
	s_mov_b64 s[20:21], 0
.LBB94_121:
	s_andn2_b64 vcc, exec, s[20:21]
	s_cbranch_vccnz .LBB94_123
; %bb.122:
	v_cndmask_b32_e64 v2, 0, 1.0, s[2:3]
	v_cvt_f16_f32_e32 v2, v2
	global_store_short v[0:1], v2, off
.LBB94_123:
	s_mov_b64 s[20:21], 0
.LBB94_124:
	s_andn2_b64 vcc, exec, s[20:21]
	s_cbranch_vccnz .LBB94_140
; %bb.125:
	s_cmp_lt_i32 s26, 2
	s_mov_b64 s[20:21], -1
	s_cbranch_scc1 .LBB94_135
; %bb.126:
	s_cmp_lt_i32 s26, 3
	s_cbranch_scc1 .LBB94_132
; %bb.127:
	s_cmp_gt_i32 s26, 3
	s_cbranch_scc0 .LBB94_129
; %bb.128:
	s_mov_b32 s20, 0
	v_cndmask_b32_e64 v2, 0, 1, s[2:3]
	v_mov_b32_e32 v3, s20
	global_store_dwordx2 v[0:1], v[2:3], off
	s_mov_b64 s[20:21], 0
.LBB94_129:
	s_andn2_b64 vcc, exec, s[20:21]
	s_cbranch_vccnz .LBB94_131
; %bb.130:
	v_cndmask_b32_e64 v2, 0, 1, s[2:3]
	global_store_dword v[0:1], v2, off
.LBB94_131:
	s_mov_b64 s[20:21], 0
.LBB94_132:
	s_andn2_b64 vcc, exec, s[20:21]
	s_cbranch_vccnz .LBB94_134
; %bb.133:
	v_cndmask_b32_e64 v2, 0, 1, s[2:3]
	global_store_short v[0:1], v2, off
.LBB94_134:
	s_mov_b64 s[20:21], 0
.LBB94_135:
	s_andn2_b64 vcc, exec, s[20:21]
	s_cbranch_vccnz .LBB94_140
; %bb.136:
	s_mov_b64 s[20:21], -1
	s_cmp_gt_i32 s26, 0
	v_cndmask_b32_e64 v2, 0, 1, s[2:3]
	s_cbranch_scc0 .LBB94_138
; %bb.137:
	global_store_byte v[0:1], v2, off
	s_mov_b64 s[20:21], 0
.LBB94_138:
	s_andn2_b64 vcc, exec, s[20:21]
	s_cbranch_vccnz .LBB94_140
; %bb.139:
	global_store_byte v[0:1], v2, off
.LBB94_140:
	s_branch .LBB94_21
.LBB94_141:
	s_mov_b64 s[2:3], 0
                                        ; implicit-def: $vgpr10
	s_branch .LBB94_251
.LBB94_142:
	s_mov_b64 s[22:23], -1
                                        ; implicit-def: $vgpr2_vgpr3
.LBB94_143:
	s_mov_b64 s[4:5], 0
.LBB94_144:
	s_and_b64 vcc, exec, s[4:5]
	s_cbranch_vccz .LBB94_148
; %bb.145:
	s_cmp_eq_u32 s26, 29
	s_cbranch_scc0 .LBB94_147
; %bb.146:
	global_load_dwordx2 v[2:3], v[0:1], off
	s_mov_b64 s[2:3], -1
	s_mov_b64 s[22:23], 0
	s_mov_b64 s[4:5], 0
	s_waitcnt vmcnt(0)
	v_cvt_f64_u32_e32 v[3:4], v3
	v_cvt_f64_u32_e32 v[5:6], v2
	v_ldexp_f64 v[3:4], v[3:4], 32
	v_add_f64 v[2:3], v[3:4], v[5:6]
	s_branch .LBB94_149
.LBB94_147:
	s_mov_b64 s[22:23], -1
                                        ; implicit-def: $vgpr2_vgpr3
.LBB94_148:
	s_mov_b64 s[4:5], 0
.LBB94_149:
	s_and_b64 vcc, exec, s[4:5]
	s_cbranch_vccz .LBB94_169
; %bb.150:
	s_cmp_lt_i32 s26, 27
	s_cbranch_scc1 .LBB94_153
; %bb.151:
	s_cmp_gt_i32 s26, 27
	s_cbranch_scc0 .LBB94_154
; %bb.152:
	global_load_dword v2, v[0:1], off
	s_mov_b64 s[2:3], 0
	s_waitcnt vmcnt(0)
	v_cvt_f64_u32_e32 v[2:3], v2
	s_branch .LBB94_155
.LBB94_153:
	s_mov_b64 s[2:3], -1
                                        ; implicit-def: $vgpr2_vgpr3
	s_branch .LBB94_158
.LBB94_154:
	s_mov_b64 s[2:3], -1
                                        ; implicit-def: $vgpr2_vgpr3
.LBB94_155:
	s_andn2_b64 vcc, exec, s[2:3]
	s_cbranch_vccnz .LBB94_157
; %bb.156:
	global_load_ushort v2, v[0:1], off
	s_waitcnt vmcnt(0)
	v_cvt_f64_u32_e32 v[2:3], v2
.LBB94_157:
	s_mov_b64 s[2:3], 0
.LBB94_158:
	s_andn2_b64 vcc, exec, s[2:3]
	s_cbranch_vccnz .LBB94_168
; %bb.159:
	global_load_ubyte v4, v[0:1], off
	s_movk_i32 s2, 0x7f
	s_waitcnt vmcnt(0)
	v_cmp_lt_i16_e32 vcc, s2, v4
	s_mov_b64 s[2:3], 0
	s_and_saveexec_b64 s[4:5], vcc
	s_xor_b64 s[4:5], exec, s[4:5]
	s_cbranch_execz .LBB94_163
; %bb.160:
	s_movk_i32 s2, 0x80
	v_cmp_eq_u16_e32 vcc, s2, v4
	s_mov_b64 s[2:3], -1
	s_and_saveexec_b64 s[20:21], vcc
; %bb.161:
	s_xor_b64 s[2:3], exec, -1
; %bb.162:
	s_or_b64 exec, exec, s[20:21]
	s_and_b64 s[2:3], s[2:3], exec
.LBB94_163:
	s_or_saveexec_b64 s[4:5], s[4:5]
	v_bfrev_b32_e32 v2, 4
	v_mov_b32_e32 v3, 0x7ff80000
	s_xor_b64 exec, exec, s[4:5]
; %bb.164:
	v_cmp_ne_u16_e32 vcc, 0, v4
	v_mov_b32_e32 v2, 0
	s_andn2_b64 s[2:3], s[2:3], exec
	s_and_b64 s[20:21], vcc, exec
	v_mov_b32_e32 v3, 0
	s_or_b64 s[2:3], s[2:3], s[20:21]
; %bb.165:
	s_or_b64 exec, exec, s[4:5]
	s_and_saveexec_b64 s[4:5], s[2:3]
	s_cbranch_execz .LBB94_167
; %bb.166:
	v_and_b32_e32 v3, 0xffff, v4
	v_lshlrev_b32_e32 v2, 24, v4
	v_and_b32_e32 v4, 7, v3
	v_ffbh_u32_e32 v6, v4
	v_min_u32_e32 v6, 32, v6
	v_subrev_u32_e32 v7, 28, v6
	v_bfe_u32 v5, v3, 3, 4
	v_lshlrev_b32_e32 v3, v7, v3
	v_sub_u32_e32 v6, 29, v6
	v_and_b32_e32 v3, 7, v3
	v_cmp_eq_u32_e32 vcc, 0, v5
	v_cndmask_b32_e32 v5, v5, v6, vcc
	v_cndmask_b32_e32 v3, v4, v3, vcc
	v_mov_b32_e32 v4, 0x3b800000
	v_lshlrev_b32_e32 v3, 20, v3
	v_and_b32_e32 v2, 0x80000000, v2
	v_lshl_add_u32 v4, v5, 23, v4
	v_or3_b32 v2, v2, v4, v3
	v_cvt_f64_f32_e32 v[2:3], v2
.LBB94_167:
	s_or_b64 exec, exec, s[4:5]
.LBB94_168:
	s_mov_b64 s[2:3], -1
.LBB94_169:
	s_branch .LBB94_202
.LBB94_170:
	s_cmp_gt_i32 s26, 22
	s_cbranch_scc0 .LBB94_182
; %bb.171:
	s_cmp_lt_i32 s26, 24
	s_cbranch_scc1 .LBB94_183
; %bb.172:
	s_cmp_gt_i32 s26, 24
	s_cbranch_scc0 .LBB94_184
; %bb.173:
	global_load_ubyte v4, v[0:1], off
	s_movk_i32 s2, 0x7f
	s_waitcnt vmcnt(0)
	v_cmp_lt_i16_e32 vcc, s2, v4
	s_mov_b64 s[2:3], 0
	s_and_saveexec_b64 s[4:5], vcc
	s_xor_b64 s[4:5], exec, s[4:5]
	s_cbranch_execz .LBB94_177
; %bb.174:
	s_movk_i32 s2, 0x80
	v_cmp_eq_u16_e32 vcc, s2, v4
	s_mov_b64 s[2:3], -1
	s_and_saveexec_b64 s[20:21], vcc
; %bb.175:
	s_xor_b64 s[2:3], exec, -1
; %bb.176:
	s_or_b64 exec, exec, s[20:21]
	s_and_b64 s[2:3], s[2:3], exec
.LBB94_177:
	s_or_saveexec_b64 s[4:5], s[4:5]
	v_bfrev_b32_e32 v2, 4
	v_mov_b32_e32 v3, 0x7ff80000
	s_xor_b64 exec, exec, s[4:5]
; %bb.178:
	v_cmp_ne_u16_e32 vcc, 0, v4
	v_mov_b32_e32 v2, 0
	s_andn2_b64 s[2:3], s[2:3], exec
	s_and_b64 s[20:21], vcc, exec
	v_mov_b32_e32 v3, 0
	s_or_b64 s[2:3], s[2:3], s[20:21]
; %bb.179:
	s_or_b64 exec, exec, s[4:5]
	s_and_saveexec_b64 s[4:5], s[2:3]
	s_cbranch_execz .LBB94_181
; %bb.180:
	v_and_b32_e32 v3, 0xffff, v4
	v_lshlrev_b32_e32 v2, 24, v4
	v_and_b32_e32 v4, 3, v3
	v_ffbh_u32_e32 v6, v4
	v_min_u32_e32 v6, 32, v6
	v_subrev_u32_e32 v7, 29, v6
	v_bfe_u32 v5, v3, 2, 5
	v_lshlrev_b32_e32 v3, v7, v3
	v_sub_u32_e32 v6, 30, v6
	v_and_b32_e32 v3, 3, v3
	v_cmp_eq_u32_e32 vcc, 0, v5
	v_cndmask_b32_e32 v5, v5, v6, vcc
	v_cndmask_b32_e32 v3, v4, v3, vcc
	v_mov_b32_e32 v4, 0x37800000
	v_lshlrev_b32_e32 v3, 21, v3
	v_and_b32_e32 v2, 0x80000000, v2
	v_lshl_add_u32 v4, v5, 23, v4
	v_or3_b32 v2, v2, v4, v3
	v_cvt_f64_f32_e32 v[2:3], v2
.LBB94_181:
	s_or_b64 exec, exec, s[4:5]
	s_mov_b64 s[2:3], 0
	s_branch .LBB94_185
.LBB94_182:
	s_mov_b64 s[4:5], -1
                                        ; implicit-def: $vgpr2_vgpr3
	s_branch .LBB94_191
.LBB94_183:
	s_mov_b64 s[2:3], -1
                                        ; implicit-def: $vgpr2_vgpr3
	s_branch .LBB94_188
.LBB94_184:
	s_mov_b64 s[2:3], -1
                                        ; implicit-def: $vgpr2_vgpr3
.LBB94_185:
	s_and_b64 vcc, exec, s[2:3]
	s_cbranch_vccz .LBB94_187
; %bb.186:
	global_load_ubyte v2, v[0:1], off
	s_mov_b32 s2, 0x7f800000
	s_waitcnt vmcnt(0)
	v_lshlrev_b32_e32 v2, 24, v2
	v_and_b32_e32 v3, 0x7f000000, v2
	v_ffbh_u32_e32 v4, v3
	v_min_u32_e32 v4, 32, v4
	v_sub_u32_e64 v4, v4, 4 clamp
	v_lshlrev_b32_e32 v6, v4, v3
	v_lshlrev_b32_e32 v4, 23, v4
	v_lshrrev_b32_e32 v6, 4, v6
	v_add_u32_e32 v5, 0x1000000, v3
	v_sub_u32_e32 v4, v6, v4
	v_ashrrev_i32_e32 v5, 8, v5
	v_add_u32_e32 v4, 0x3c000000, v4
	v_and_or_b32 v4, v5, s2, v4
	v_cmp_ne_u32_e32 vcc, 0, v3
	v_cndmask_b32_e32 v3, 0, v4, vcc
	s_brev_b32 s2, 1
	v_and_or_b32 v2, v2, s2, v3
	v_cvt_f64_f32_e32 v[2:3], v2
.LBB94_187:
	s_mov_b64 s[2:3], 0
.LBB94_188:
	s_andn2_b64 vcc, exec, s[2:3]
	s_cbranch_vccnz .LBB94_190
; %bb.189:
	global_load_ubyte v2, v[0:1], off
	s_movk_i32 s2, 0x7f00
	s_brev_b32 s3, 16
	s_waitcnt vmcnt(0)
	v_lshlrev_b16_e32 v3, 8, v2
	v_lshlrev_b32_e32 v2, 25, v2
	v_lshrrev_b32_e32 v4, 4, v2
	v_and_or_b32 v5, v3, s2, 0.5
	v_or_b32_e32 v4, 0x70000000, v4
	v_add_f32_e32 v5, -0.5, v5
	v_mul_f32_e32 v4, 0x7800000, v4
	v_cmp_gt_u32_e32 vcc, s3, v2
	v_bfe_i32 v3, v3, 0, 16
	v_cndmask_b32_e32 v2, v4, v5, vcc
	s_brev_b32 s2, 1
	v_and_or_b32 v2, v3, s2, v2
	v_cvt_f64_f32_e32 v[2:3], v2
.LBB94_190:
	s_mov_b64 s[4:5], 0
	s_mov_b64 s[2:3], -1
.LBB94_191:
	s_andn2_b64 vcc, exec, s[4:5]
	s_cbranch_vccnz .LBB94_202
; %bb.192:
	s_cmp_gt_i32 s26, 14
	s_cbranch_scc0 .LBB94_195
; %bb.193:
	s_cmp_eq_u32 s26, 15
	s_cbranch_scc0 .LBB94_196
; %bb.194:
	global_load_ushort v2, v[0:1], off
	s_mov_b64 s[2:3], -1
	s_mov_b64 s[22:23], 0
	s_waitcnt vmcnt(0)
	v_lshlrev_b32_e32 v2, 16, v2
	v_cvt_f64_f32_e32 v[2:3], v2
	s_branch .LBB94_197
.LBB94_195:
	s_mov_b64 s[4:5], -1
                                        ; implicit-def: $vgpr2_vgpr3
	s_branch .LBB94_198
.LBB94_196:
	s_mov_b64 s[22:23], -1
                                        ; implicit-def: $vgpr2_vgpr3
.LBB94_197:
	s_mov_b64 s[4:5], 0
.LBB94_198:
	s_and_b64 vcc, exec, s[4:5]
	s_cbranch_vccz .LBB94_202
; %bb.199:
	s_cmp_eq_u32 s26, 11
	s_cbranch_scc0 .LBB94_201
; %bb.200:
	global_load_ubyte v3, v[0:1], off
	v_mov_b32_e32 v4, 0x3ff00000
	v_mov_b32_e32 v2, 0
	s_mov_b64 s[2:3], -1
	s_mov_b64 s[22:23], 0
	s_waitcnt vmcnt(0)
	v_cmp_ne_u16_e32 vcc, 0, v3
	v_cndmask_b32_e32 v3, 0, v4, vcc
	s_branch .LBB94_202
.LBB94_201:
	s_mov_b64 s[22:23], -1
                                        ; implicit-def: $vgpr2_vgpr3
.LBB94_202:
	s_branch .LBB94_10
.LBB94_203:
	s_cmp_lt_i32 s26, 5
	s_cbranch_scc1 .LBB94_208
; %bb.204:
	s_cmp_lt_i32 s26, 8
	s_cbranch_scc1 .LBB94_209
; %bb.205:
	;; [unrolled: 3-line block ×3, first 2 shown]
	s_cmp_gt_i32 s26, 9
	s_cbranch_scc0 .LBB94_211
; %bb.207:
	global_load_dwordx2 v[2:3], v[0:1], off
	s_mov_b64 s[2:3], 0
	s_branch .LBB94_212
.LBB94_208:
                                        ; implicit-def: $vgpr2_vgpr3
	s_branch .LBB94_230
.LBB94_209:
	s_mov_b64 s[2:3], -1
                                        ; implicit-def: $vgpr2_vgpr3
	s_branch .LBB94_218
.LBB94_210:
	s_mov_b64 s[2:3], -1
                                        ; implicit-def: $vgpr2_vgpr3
	s_branch .LBB94_215
.LBB94_211:
	s_mov_b64 s[2:3], -1
                                        ; implicit-def: $vgpr2_vgpr3
.LBB94_212:
	s_andn2_b64 vcc, exec, s[2:3]
	s_cbranch_vccnz .LBB94_214
; %bb.213:
	global_load_dword v2, v[0:1], off
	s_waitcnt vmcnt(0)
	v_cvt_f64_f32_e32 v[2:3], v2
.LBB94_214:
	s_mov_b64 s[2:3], 0
.LBB94_215:
	s_andn2_b64 vcc, exec, s[2:3]
	s_cbranch_vccnz .LBB94_217
; %bb.216:
	global_load_dword v2, v[0:1], off
	s_waitcnt vmcnt(0)
	v_cvt_f32_f16_e32 v2, v2
	v_cvt_f64_f32_e32 v[2:3], v2
.LBB94_217:
	s_mov_b64 s[2:3], 0
.LBB94_218:
	s_andn2_b64 vcc, exec, s[2:3]
	s_cbranch_vccnz .LBB94_229
; %bb.219:
	s_cmp_lt_i32 s26, 6
	s_cbranch_scc1 .LBB94_222
; %bb.220:
	s_cmp_gt_i32 s26, 6
	s_cbranch_scc0 .LBB94_223
; %bb.221:
	global_load_dwordx2 v[2:3], v[0:1], off
	s_mov_b64 s[2:3], 0
	s_branch .LBB94_224
.LBB94_222:
	s_mov_b64 s[2:3], -1
                                        ; implicit-def: $vgpr2_vgpr3
	s_branch .LBB94_227
.LBB94_223:
	s_mov_b64 s[2:3], -1
                                        ; implicit-def: $vgpr2_vgpr3
.LBB94_224:
	s_andn2_b64 vcc, exec, s[2:3]
	s_cbranch_vccnz .LBB94_226
; %bb.225:
	global_load_dword v2, v[0:1], off
	s_waitcnt vmcnt(0)
	v_cvt_f64_f32_e32 v[2:3], v2
.LBB94_226:
	s_mov_b64 s[2:3], 0
.LBB94_227:
	s_andn2_b64 vcc, exec, s[2:3]
	s_cbranch_vccnz .LBB94_229
; %bb.228:
	global_load_ushort v2, v[0:1], off
	s_waitcnt vmcnt(0)
	v_cvt_f32_f16_e32 v2, v2
	v_cvt_f64_f32_e32 v[2:3], v2
.LBB94_229:
	s_cbranch_execnz .LBB94_249
.LBB94_230:
	s_cmp_lt_i32 s26, 2
	s_cbranch_scc1 .LBB94_234
; %bb.231:
	s_cmp_lt_i32 s26, 3
	s_cbranch_scc1 .LBB94_235
; %bb.232:
	s_cmp_gt_i32 s26, 3
	s_cbranch_scc0 .LBB94_236
; %bb.233:
	global_load_dwordx2 v[2:3], v[0:1], off
	s_mov_b64 s[2:3], 0
	s_waitcnt vmcnt(0)
	v_cvt_f64_i32_e32 v[3:4], v3
	v_cvt_f64_u32_e32 v[5:6], v2
	v_ldexp_f64 v[3:4], v[3:4], 32
	v_add_f64 v[2:3], v[3:4], v[5:6]
	s_branch .LBB94_237
.LBB94_234:
	s_mov_b64 s[2:3], -1
                                        ; implicit-def: $vgpr2_vgpr3
	s_branch .LBB94_243
.LBB94_235:
	s_mov_b64 s[2:3], -1
                                        ; implicit-def: $vgpr2_vgpr3
	s_branch .LBB94_240
.LBB94_236:
	s_mov_b64 s[2:3], -1
                                        ; implicit-def: $vgpr2_vgpr3
.LBB94_237:
	s_andn2_b64 vcc, exec, s[2:3]
	s_cbranch_vccnz .LBB94_239
; %bb.238:
	global_load_dword v2, v[0:1], off
	s_waitcnt vmcnt(0)
	v_cvt_f64_i32_e32 v[2:3], v2
.LBB94_239:
	s_mov_b64 s[2:3], 0
.LBB94_240:
	s_andn2_b64 vcc, exec, s[2:3]
	s_cbranch_vccnz .LBB94_242
; %bb.241:
	global_load_sshort v2, v[0:1], off
	s_waitcnt vmcnt(0)
	v_cvt_f64_i32_e32 v[2:3], v2
.LBB94_242:
	s_mov_b64 s[2:3], 0
.LBB94_243:
	s_andn2_b64 vcc, exec, s[2:3]
	s_cbranch_vccnz .LBB94_249
; %bb.244:
	s_cmp_gt_i32 s26, 0
	s_cbranch_scc0 .LBB94_246
; %bb.245:
	global_load_sbyte v2, v[0:1], off
	s_mov_b64 s[2:3], 0
	s_waitcnt vmcnt(0)
	v_cvt_f64_i32_e32 v[2:3], v2
	s_branch .LBB94_247
.LBB94_246:
	s_mov_b64 s[2:3], -1
                                        ; implicit-def: $vgpr2_vgpr3
.LBB94_247:
	s_andn2_b64 vcc, exec, s[2:3]
	s_cbranch_vccnz .LBB94_249
; %bb.248:
	global_load_ubyte v0, v[0:1], off
	s_waitcnt vmcnt(0)
	v_cvt_f64_u32_e32 v[2:3], v0
.LBB94_249:
	s_branch .LBB94_11
.LBB94_250:
	s_mov_b64 s[4:5], 0
                                        ; implicit-def: $vgpr10
	s_mov_b64 s[2:3], 0
.LBB94_251:
	s_and_b64 s[20:21], s[4:5], exec
	s_and_b64 s[22:23], s[22:23], exec
	s_orn2_b64 s[2:3], s[2:3], exec
.LBB94_252:
	s_or_b64 exec, exec, s[24:25]
	s_mov_b64 s[34:35], 0
	s_mov_b64 s[30:31], 0
                                        ; implicit-def: $vgpr0_vgpr1
                                        ; implicit-def: $vgpr2_vgpr3
	s_and_saveexec_b64 s[24:25], s[2:3]
	s_cbranch_execz .LBB94_261
; %bb.253:
	v_cmp_gt_i32_e32 vcc, s44, v10
	s_mov_b64 s[2:3], -1
	s_mov_b64 s[26:27], s[22:23]
	s_mov_b64 s[28:29], s[20:21]
	s_and_saveexec_b64 s[30:31], vcc
	s_cbranch_execz .LBB94_513
; %bb.254:
	v_mul_lo_u32 v0, v10, s13
	v_mov_b32_e32 v1, s11
	s_and_b32 s34, 0xffff, s15
	s_cmp_lt_i32 s34, 11
	s_waitcnt vmcnt(0)
	v_ashrrev_i32_e32 v2, 31, v0
	v_add_co_u32_e32 v0, vcc, s10, v0
	v_addc_co_u32_e32 v1, vcc, v1, v2, vcc
	s_cbranch_scc1 .LBB94_264
; %bb.255:
	s_cmp_gt_i32 s34, 25
	s_cbranch_scc0 .LBB94_273
; %bb.256:
	s_cmp_gt_i32 s34, 28
	s_cbranch_scc0 .LBB94_275
	;; [unrolled: 3-line block ×4, first 2 shown]
; %bb.259:
	s_cmp_eq_u32 s34, 46
	s_mov_b64 s[4:5], 0
	s_cbranch_scc0 .LBB94_285
; %bb.260:
	global_load_dword v2, v[0:1], off
	s_mov_b64 s[26:27], 0
	s_waitcnt vmcnt(0)
	v_lshlrev_b32_e32 v2, 16, v2
	v_cvt_f64_f32_e32 v[2:3], v2
	s_branch .LBB94_286
.LBB94_261:
	s_or_b64 exec, exec, s[24:25]
	s_mov_b64 s[2:3], 0
	s_and_saveexec_b64 s[4:5], s[22:23]
	s_cbranch_execnz .LBB94_859
.LBB94_262:
	s_or_b64 exec, exec, s[4:5]
	s_and_saveexec_b64 s[4:5], s[28:29]
	s_xor_b64 s[4:5], exec, s[4:5]
	s_cbranch_execz .LBB94_860
.LBB94_263:
	global_load_ubyte v3, v[0:1], off
	v_mov_b32_e32 v4, 0x3ff00000
	s_waitcnt vmcnt(1)
	v_mov_b32_e32 v2, 0
	s_or_b64 s[30:31], s[30:31], exec
	s_waitcnt vmcnt(0)
	v_cmp_ne_u16_e32 vcc, 0, v3
	v_cndmask_b32_e32 v3, 0, v4, vcc
	s_or_b64 exec, exec, s[4:5]
	s_and_saveexec_b64 s[4:5], s[34:35]
	s_cbranch_execz .LBB94_906
	s_branch .LBB94_861
.LBB94_264:
	s_mov_b64 s[2:3], 0
                                        ; implicit-def: $vgpr2_vgpr3
	s_mov_b64 s[26:27], s[22:23]
	s_cbranch_execnz .LBB94_463
.LBB94_265:
	s_andn2_b64 vcc, exec, s[2:3]
	s_cbranch_vccnz .LBB94_511
.LBB94_266:
	s_waitcnt vmcnt(0)
	v_cmp_eq_f64_e32 vcc, s[16:17], v[2:3]
	s_and_b32 s38, s33, 0xff
	s_cmp_lt_i32 s38, 11
	v_cndmask_b32_e64 v0, 0, 1, vcc
	v_cmp_neq_f64_e32 vcc, s[16:17], v[2:3]
	v_mul_lo_u32 v2, v10, s12
	v_mov_b32_e32 v3, s9
	v_cndmask_b32_e64 v1, 0, 1, vcc
	v_cndmask_b32_e64 v0, v1, v0, s[0:1]
	v_and_b32_e32 v0, 1, v0
	v_cmp_eq_u32_e64 s[2:3], 1, v0
	v_ashrrev_i32_e32 v1, 31, v2
	v_add_co_u32_e32 v0, vcc, s8, v2
	v_addc_co_u32_e32 v1, vcc, v3, v1, vcc
	s_cbranch_scc1 .LBB94_274
; %bb.267:
	s_and_b32 s39, 0xffff, s38
	s_cmp_gt_i32 s39, 25
	s_cbranch_scc0 .LBB94_276
; %bb.268:
	s_cmp_gt_i32 s39, 28
	s_cbranch_scc0 .LBB94_278
; %bb.269:
	;; [unrolled: 3-line block ×4, first 2 shown]
	s_mov_b64 s[34:35], 0
	s_mov_b64 s[4:5], -1
	s_cmp_eq_u32 s39, 46
	s_mov_b64 s[28:29], 0
	s_cbranch_scc0 .LBB94_290
; %bb.272:
	v_cndmask_b32_e64 v2, 0, 1.0, s[2:3]
	v_bfe_u32 v3, v2, 16, 1
	s_movk_i32 s4, 0x7fff
	v_add3_u32 v2, v2, v3, s4
	v_lshrrev_b32_e32 v2, 16, v2
	global_store_dword v[0:1], v2, off
	s_mov_b64 s[28:29], -1
	s_mov_b64 s[4:5], 0
	s_branch .LBB94_290
.LBB94_273:
	s_mov_b64 s[4:5], -1
	s_mov_b64 s[2:3], 0
	s_mov_b64 s[26:27], s[22:23]
                                        ; implicit-def: $vgpr2_vgpr3
	s_branch .LBB94_429
.LBB94_274:
	s_mov_b64 s[34:35], -1
	s_mov_b64 s[28:29], 0
	s_mov_b64 s[4:5], s[20:21]
	s_branch .LBB94_359
.LBB94_275:
	s_mov_b64 s[4:5], -1
	s_mov_b64 s[2:3], 0
	s_mov_b64 s[26:27], s[22:23]
                                        ; implicit-def: $vgpr2_vgpr3
	s_branch .LBB94_408
.LBB94_276:
	s_mov_b64 s[34:35], -1
	s_mov_b64 s[28:29], 0
	s_mov_b64 s[4:5], s[20:21]
	s_branch .LBB94_317
.LBB94_277:
	s_mov_b64 s[4:5], -1
	s_mov_b64 s[2:3], 0
	s_mov_b64 s[26:27], s[22:23]
                                        ; implicit-def: $vgpr2_vgpr3
	s_branch .LBB94_403
.LBB94_278:
	s_mov_b64 s[34:35], -1
	s_mov_b64 s[28:29], 0
	s_mov_b64 s[4:5], s[20:21]
	s_branch .LBB94_300
.LBB94_279:
	s_andn2_saveexec_b64 s[30:31], s[30:31]
	s_cbranch_execz .LBB94_55
.LBB94_280:
	v_add_f32_e32 v2, 0x46000000, v3
	v_and_b32_e32 v2, 0xff, v2
	v_cmp_ne_u32_e32 vcc, 0, v2
	s_andn2_b64 s[26:27], s[26:27], exec
	s_and_b64 s[36:37], vcc, exec
	s_or_b64 s[26:27], s[26:27], s[36:37]
	s_or_b64 exec, exec, s[30:31]
	v_mov_b32_e32 v4, 0
	s_and_saveexec_b64 s[30:31], s[26:27]
	s_cbranch_execnz .LBB94_56
	s_branch .LBB94_57
.LBB94_281:
	s_mov_b64 s[4:5], -1
	s_mov_b64 s[2:3], 0
	s_mov_b64 s[26:27], s[22:23]
                                        ; implicit-def: $vgpr2_vgpr3
	s_branch .LBB94_286
.LBB94_282:
	s_mov_b64 s[34:35], -1
	s_mov_b64 s[28:29], 0
	s_mov_b64 s[4:5], s[20:21]
	s_branch .LBB94_296
.LBB94_283:
	s_andn2_saveexec_b64 s[30:31], s[30:31]
	s_cbranch_execz .LBB94_68
.LBB94_284:
	v_add_f32_e32 v2, 0x42800000, v3
	v_and_b32_e32 v2, 0xff, v2
	v_cmp_ne_u32_e32 vcc, 0, v2
	s_andn2_b64 s[26:27], s[26:27], exec
	s_and_b64 s[36:37], vcc, exec
	s_or_b64 s[26:27], s[26:27], s[36:37]
	s_or_b64 exec, exec, s[30:31]
	v_mov_b32_e32 v4, 0
	s_and_saveexec_b64 s[30:31], s[26:27]
	s_cbranch_execnz .LBB94_69
	s_branch .LBB94_70
.LBB94_285:
	s_mov_b64 s[26:27], -1
                                        ; implicit-def: $vgpr2_vgpr3
	s_mov_b64 s[2:3], 0
.LBB94_286:
	s_and_b64 vcc, exec, s[4:5]
	s_cbranch_vccz .LBB94_402
; %bb.287:
	s_cmp_eq_u32 s34, 44
	s_cbranch_scc0 .LBB94_401
; %bb.288:
	global_load_ubyte v4, v[0:1], off
	s_movk_i32 s4, 0xff
	v_bfrev_b32_e32 v5, 4
	v_mov_b32_e32 v6, 0x7ff80000
	v_bfrev_b32_e32 v7, 28
	s_mov_b64 s[2:3], -1
	s_mov_b64 s[26:27], 0
	s_waitcnt vmcnt(0)
	v_lshlrev_b32_e32 v2, 23, v4
	v_cvt_f64_f32_e32 v[2:3], v2
	v_cmp_ne_u32_e32 vcc, s4, v4
	v_cndmask_b32_e32 v2, v5, v2, vcc
	v_cndmask_b32_e32 v3, v6, v3, vcc
	v_cmp_ne_u32_e32 vcc, 0, v4
	v_cndmask_b32_e32 v3, v7, v3, vcc
	v_cndmask_b32_e32 v2, 0, v2, vcc
	s_branch .LBB94_402
.LBB94_289:
	s_mov_b64 s[34:35], -1
	s_mov_b64 s[28:29], 0
	s_mov_b64 s[4:5], s[20:21]
.LBB94_290:
	s_and_b64 vcc, exec, s[34:35]
	s_cbranch_vccz .LBB94_295
; %bb.291:
	s_cmp_eq_u32 s39, 44
	s_mov_b64 s[4:5], -1
	s_cbranch_scc0 .LBB94_295
; %bb.292:
	v_cndmask_b32_e64 v3, 0, 1.0, s[2:3]
	v_lshrrev_b32_e32 v2, 23, v3
	s_movk_i32 s4, 0xff
	v_cmp_ne_u32_e32 vcc, s4, v2
	v_mov_b32_e32 v4, 0xff
	s_and_saveexec_b64 s[28:29], vcc
; %bb.293:
	s_mov_b32 s4, 0x3fffff
	v_and_b32_e32 v4, 0x400000, v3
	v_and_or_b32 v3, v3, s4, v2
	v_cmp_ne_u32_e32 vcc, 0, v4
	v_cmp_ne_u32_e64 s[4:5], 0, v3
	s_and_b64 s[4:5], vcc, s[4:5]
	v_cndmask_b32_e64 v3, 0, 1, s[4:5]
	v_add_u32_e32 v4, v2, v3
; %bb.294:
	s_or_b64 exec, exec, s[28:29]
	s_mov_b64 s[28:29], -1
	s_mov_b64 s[4:5], 0
	global_store_byte v[0:1], v4, off
.LBB94_295:
	s_mov_b64 s[34:35], 0
.LBB94_296:
	s_and_b64 vcc, exec, s[34:35]
	s_cbranch_vccz .LBB94_299
; %bb.297:
	s_cmp_eq_u32 s39, 29
	s_mov_b64 s[4:5], -1
	s_cbranch_scc0 .LBB94_299
; %bb.298:
	s_mov_b32 s4, 0
	v_cndmask_b32_e64 v2, 0, 1, s[2:3]
	v_mov_b32_e32 v3, s4
	global_store_dwordx2 v[0:1], v[2:3], off
	s_mov_b64 s[28:29], -1
	s_mov_b64 s[4:5], 0
.LBB94_299:
	s_mov_b64 s[34:35], 0
.LBB94_300:
	s_and_b64 vcc, exec, s[34:35]
	s_cbranch_vccz .LBB94_316
; %bb.301:
	s_cmp_lt_i32 s39, 27
	s_mov_b64 s[28:29], -1
	s_cbranch_scc1 .LBB94_307
; %bb.302:
	s_cmp_gt_i32 s39, 27
	s_cbranch_scc0 .LBB94_304
; %bb.303:
	v_cndmask_b32_e64 v2, 0, 1, s[2:3]
	s_mov_b64 s[28:29], 0
	global_store_dword v[0:1], v2, off
.LBB94_304:
	s_andn2_b64 vcc, exec, s[28:29]
	s_cbranch_vccnz .LBB94_306
; %bb.305:
	v_cndmask_b32_e64 v2, 0, 1, s[2:3]
	global_store_short v[0:1], v2, off
.LBB94_306:
	s_mov_b64 s[28:29], 0
.LBB94_307:
	s_andn2_b64 vcc, exec, s[28:29]
	s_cbranch_vccnz .LBB94_315
; %bb.308:
	v_cndmask_b32_e64 v3, 0, 1.0, s[2:3]
	s_mov_b32 s28, 0x43800000
	v_cmp_gt_u32_e32 vcc, s28, v3
	v_mov_b32_e32 v4, 0x80
	s_and_saveexec_b64 s[28:29], vcc
	s_cbranch_execz .LBB94_314
; %bb.309:
	s_mov_b32 s34, 0x3bffffff
	v_cmp_lt_u32_e32 vcc, s34, v3
	s_mov_b64 s[34:35], 0
                                        ; implicit-def: $vgpr2
	s_and_saveexec_b64 s[36:37], vcc
	s_xor_b64 s[36:37], exec, s[36:37]
	s_cbranch_execz .LBB94_526
; %bb.310:
	v_bfe_u32 v2, v3, 20, 1
	s_mov_b32 s40, 0x487ffff
	v_add3_u32 v2, v3, v2, s40
	s_mov_b64 s[34:35], exec
	v_lshrrev_b32_e32 v2, 20, v2
                                        ; implicit-def: $vgpr3
	s_andn2_saveexec_b64 s[36:37], s[36:37]
	s_cbranch_execnz .LBB94_527
.LBB94_311:
	s_or_b64 exec, exec, s[36:37]
	v_mov_b32_e32 v4, 0
	s_and_saveexec_b64 s[36:37], s[34:35]
.LBB94_312:
	v_mov_b32_e32 v4, v2
.LBB94_313:
	s_or_b64 exec, exec, s[36:37]
.LBB94_314:
	s_or_b64 exec, exec, s[28:29]
	global_store_byte v[0:1], v4, off
.LBB94_315:
	s_mov_b64 s[28:29], -1
.LBB94_316:
	s_mov_b64 s[34:35], 0
.LBB94_317:
	s_and_b64 vcc, exec, s[34:35]
	s_cbranch_vccz .LBB94_358
; %bb.318:
	s_cmp_gt_i32 s39, 22
	s_mov_b64 s[34:35], -1
	s_cbranch_scc0 .LBB94_350
; %bb.319:
	s_cmp_lt_i32 s39, 24
	s_mov_b64 s[28:29], -1
	s_cbranch_scc1 .LBB94_339
; %bb.320:
	s_cmp_gt_i32 s39, 24
	s_cbranch_scc0 .LBB94_328
; %bb.321:
	v_cndmask_b32_e64 v3, 0, 1.0, s[2:3]
	s_mov_b32 s28, 0x47800000
	v_cmp_gt_u32_e32 vcc, s28, v3
	v_mov_b32_e32 v4, 0x80
	s_and_saveexec_b64 s[28:29], vcc
	s_cbranch_execz .LBB94_327
; %bb.322:
	s_mov_b32 s34, 0x37ffffff
	v_cmp_lt_u32_e32 vcc, s34, v3
	s_mov_b64 s[34:35], 0
                                        ; implicit-def: $vgpr2
	s_and_saveexec_b64 s[36:37], vcc
	s_xor_b64 s[36:37], exec, s[36:37]
	s_cbranch_execz .LBB94_529
; %bb.323:
	v_bfe_u32 v2, v3, 21, 1
	s_mov_b32 s40, 0x88fffff
	v_add3_u32 v2, v3, v2, s40
	s_mov_b64 s[34:35], exec
	v_lshrrev_b32_e32 v2, 21, v2
                                        ; implicit-def: $vgpr3
	s_andn2_saveexec_b64 s[36:37], s[36:37]
	s_cbranch_execnz .LBB94_530
.LBB94_324:
	s_or_b64 exec, exec, s[36:37]
	v_mov_b32_e32 v4, 0
	s_and_saveexec_b64 s[36:37], s[34:35]
.LBB94_325:
	v_mov_b32_e32 v4, v2
.LBB94_326:
	s_or_b64 exec, exec, s[36:37]
.LBB94_327:
	s_or_b64 exec, exec, s[28:29]
	s_mov_b64 s[28:29], 0
	global_store_byte v[0:1], v4, off
.LBB94_328:
	s_and_b64 vcc, exec, s[28:29]
	s_cbranch_vccz .LBB94_338
; %bb.329:
	v_cndmask_b32_e64 v2, 0, 1.0, s[2:3]
	s_mov_b32 s28, 0x43f00000
	v_cmp_gt_u32_e32 vcc, s28, v2
                                        ; implicit-def: $vgpr3
	s_and_saveexec_b64 s[28:29], vcc
	s_xor_b64 s[28:29], exec, s[28:29]
	s_cbranch_execz .LBB94_335
; %bb.330:
	s_mov_b32 s34, 0x3c7fffff
	v_cmp_lt_u32_e32 vcc, s34, v2
                                        ; implicit-def: $vgpr3
	s_and_saveexec_b64 s[34:35], vcc
	s_xor_b64 s[34:35], exec, s[34:35]
; %bb.331:
	v_bfe_u32 v3, v2, 20, 1
	s_mov_b32 s36, 0x407ffff
	v_add3_u32 v2, v2, v3, s36
	v_lshrrev_b32_e32 v3, 20, v2
	v_and_b32_e32 v2, 0xff00000, v2
	s_mov_b32 s36, 0x7f00000
	v_mov_b32_e32 v4, 0x7e
	v_cmp_ne_u32_e32 vcc, s36, v2
	v_cndmask_b32_e32 v3, v4, v3, vcc
                                        ; implicit-def: $vgpr2
; %bb.332:
	s_andn2_saveexec_b64 s[34:35], s[34:35]
; %bb.333:
	v_add_f32_e32 v3, 0x46800000, v2
; %bb.334:
	s_or_b64 exec, exec, s[34:35]
                                        ; implicit-def: $vgpr2
.LBB94_335:
	s_andn2_saveexec_b64 s[28:29], s[28:29]
; %bb.336:
	s_mov_b32 s34, 0x7f800000
	v_mov_b32_e32 v3, 0x7e
	v_mov_b32_e32 v4, 0x7f
	v_cmp_lt_u32_e32 vcc, s34, v2
	v_cndmask_b32_e32 v3, v3, v4, vcc
; %bb.337:
	s_or_b64 exec, exec, s[28:29]
	global_store_byte v[0:1], v3, off
.LBB94_338:
	s_mov_b64 s[28:29], 0
.LBB94_339:
	s_andn2_b64 vcc, exec, s[28:29]
	s_cbranch_vccnz .LBB94_349
; %bb.340:
	v_cndmask_b32_e64 v2, 0, 1.0, s[2:3]
	s_mov_b32 s28, 0x47800000
	v_cmp_gt_u32_e32 vcc, s28, v2
                                        ; implicit-def: $vgpr3
	s_and_saveexec_b64 s[28:29], vcc
	s_xor_b64 s[28:29], exec, s[28:29]
	s_cbranch_execz .LBB94_346
; %bb.341:
	s_mov_b32 s34, 0x387fffff
	v_cmp_lt_u32_e32 vcc, s34, v2
                                        ; implicit-def: $vgpr3
	s_and_saveexec_b64 s[34:35], vcc
	s_xor_b64 s[34:35], exec, s[34:35]
; %bb.342:
	v_bfe_u32 v3, v2, 21, 1
	s_mov_b32 s36, 0x80fffff
	v_add3_u32 v2, v2, v3, s36
	v_lshrrev_b32_e32 v3, 21, v2
                                        ; implicit-def: $vgpr2
; %bb.343:
	s_andn2_saveexec_b64 s[34:35], s[34:35]
; %bb.344:
	v_add_f32_e32 v3, 0x43000000, v2
; %bb.345:
	s_or_b64 exec, exec, s[34:35]
                                        ; implicit-def: $vgpr2
.LBB94_346:
	s_andn2_saveexec_b64 s[28:29], s[28:29]
; %bb.347:
	s_mov_b32 s34, 0x7f800000
	v_mov_b32_e32 v3, 0x7c
	v_mov_b32_e32 v4, 0x7f
	v_cmp_lt_u32_e32 vcc, s34, v2
	v_cndmask_b32_e32 v3, v3, v4, vcc
; %bb.348:
	s_or_b64 exec, exec, s[28:29]
	global_store_byte v[0:1], v3, off
.LBB94_349:
	s_mov_b64 s[34:35], 0
	s_mov_b64 s[28:29], -1
.LBB94_350:
	s_andn2_b64 vcc, exec, s[34:35]
	s_cbranch_vccnz .LBB94_358
; %bb.351:
	s_cmp_gt_i32 s39, 14
	s_mov_b64 s[34:35], -1
	s_cbranch_scc0 .LBB94_355
; %bb.352:
	s_cmp_eq_u32 s39, 15
	s_mov_b64 s[4:5], -1
	s_cbranch_scc0 .LBB94_354
; %bb.353:
	v_cndmask_b32_e64 v2, 0, 1.0, s[2:3]
	v_bfe_u32 v3, v2, 16, 1
	s_movk_i32 s4, 0x7fff
	v_add3_u32 v2, v2, v3, s4
	global_store_short_d16_hi v[0:1], v2, off
	s_mov_b64 s[28:29], -1
	s_mov_b64 s[4:5], 0
.LBB94_354:
	s_mov_b64 s[34:35], 0
.LBB94_355:
	s_and_b64 vcc, exec, s[34:35]
	s_cbranch_vccz .LBB94_358
; %bb.356:
	s_cmp_eq_u32 s39, 11
	s_mov_b64 s[4:5], -1
	s_cbranch_scc0 .LBB94_358
; %bb.357:
	v_cndmask_b32_e64 v2, 0, 1, s[2:3]
	s_mov_b64 s[28:29], -1
	s_mov_b64 s[4:5], 0
	global_store_byte v[0:1], v2, off
.LBB94_358:
	s_mov_b64 s[34:35], 0
.LBB94_359:
	s_and_b64 vcc, exec, s[34:35]
	s_cbranch_vccz .LBB94_398
; %bb.360:
	s_and_b32 s34, 0xffff, s38
	s_cmp_lt_i32 s34, 5
	s_mov_b64 s[28:29], -1
	s_cbranch_scc1 .LBB94_381
; %bb.361:
	s_cmp_lt_i32 s34, 8
	s_cbranch_scc1 .LBB94_371
; %bb.362:
	s_cmp_lt_i32 s34, 9
	s_cbranch_scc1 .LBB94_368
; %bb.363:
	s_cmp_gt_i32 s34, 9
	s_cbranch_scc0 .LBB94_365
; %bb.364:
	v_cndmask_b32_e64 v2, 0, 1, s[2:3]
	v_cvt_f64_u32_e32 v[2:3], v2
	v_mov_b32_e32 v4, 0
	v_mov_b32_e32 v5, v4
	s_mov_b64 s[28:29], 0
	global_store_dwordx4 v[0:1], v[2:5], off
.LBB94_365:
	s_andn2_b64 vcc, exec, s[28:29]
	s_cbranch_vccnz .LBB94_367
; %bb.366:
	v_cndmask_b32_e64 v2, 0, 1.0, s[2:3]
	v_mov_b32_e32 v3, 0
	global_store_dwordx2 v[0:1], v[2:3], off
.LBB94_367:
	s_mov_b64 s[28:29], 0
.LBB94_368:
	s_andn2_b64 vcc, exec, s[28:29]
	s_cbranch_vccnz .LBB94_370
; %bb.369:
	v_cndmask_b32_e64 v2, 0, 1.0, s[2:3]
	v_cvt_f16_f32_e32 v2, v2
	global_store_dword v[0:1], v2, off
.LBB94_370:
	s_mov_b64 s[28:29], 0
.LBB94_371:
	s_andn2_b64 vcc, exec, s[28:29]
	s_cbranch_vccnz .LBB94_380
; %bb.372:
	s_cmp_lt_i32 s34, 6
	s_mov_b64 s[28:29], -1
	s_cbranch_scc1 .LBB94_378
; %bb.373:
	s_cmp_gt_i32 s34, 6
	s_cbranch_scc0 .LBB94_375
; %bb.374:
	v_cndmask_b32_e64 v2, 0, 1, s[2:3]
	v_cvt_f64_u32_e32 v[2:3], v2
	s_mov_b64 s[28:29], 0
	global_store_dwordx2 v[0:1], v[2:3], off
.LBB94_375:
	s_andn2_b64 vcc, exec, s[28:29]
	s_cbranch_vccnz .LBB94_377
; %bb.376:
	v_cndmask_b32_e64 v2, 0, 1.0, s[2:3]
	global_store_dword v[0:1], v2, off
.LBB94_377:
	s_mov_b64 s[28:29], 0
.LBB94_378:
	s_andn2_b64 vcc, exec, s[28:29]
	s_cbranch_vccnz .LBB94_380
; %bb.379:
	v_cndmask_b32_e64 v2, 0, 1.0, s[2:3]
	v_cvt_f16_f32_e32 v2, v2
	global_store_short v[0:1], v2, off
.LBB94_380:
	s_mov_b64 s[28:29], 0
.LBB94_381:
	s_andn2_b64 vcc, exec, s[28:29]
	s_cbranch_vccnz .LBB94_397
; %bb.382:
	s_cmp_lt_i32 s34, 2
	s_mov_b64 s[28:29], -1
	s_cbranch_scc1 .LBB94_392
; %bb.383:
	s_cmp_lt_i32 s34, 3
	s_cbranch_scc1 .LBB94_389
; %bb.384:
	s_cmp_gt_i32 s34, 3
	s_cbranch_scc0 .LBB94_386
; %bb.385:
	s_mov_b32 s28, 0
	v_cndmask_b32_e64 v2, 0, 1, s[2:3]
	v_mov_b32_e32 v3, s28
	s_mov_b64 s[28:29], 0
	global_store_dwordx2 v[0:1], v[2:3], off
.LBB94_386:
	s_andn2_b64 vcc, exec, s[28:29]
	s_cbranch_vccnz .LBB94_388
; %bb.387:
	v_cndmask_b32_e64 v2, 0, 1, s[2:3]
	global_store_dword v[0:1], v2, off
.LBB94_388:
	s_mov_b64 s[28:29], 0
.LBB94_389:
	s_andn2_b64 vcc, exec, s[28:29]
	s_cbranch_vccnz .LBB94_391
; %bb.390:
	v_cndmask_b32_e64 v2, 0, 1, s[2:3]
	global_store_short v[0:1], v2, off
.LBB94_391:
	s_mov_b64 s[28:29], 0
.LBB94_392:
	s_andn2_b64 vcc, exec, s[28:29]
	s_cbranch_vccnz .LBB94_397
; %bb.393:
	s_mov_b64 s[28:29], -1
	s_cmp_gt_i32 s34, 0
	v_cndmask_b32_e64 v2, 0, 1, s[2:3]
	s_cbranch_scc0 .LBB94_395
; %bb.394:
	s_mov_b64 s[28:29], 0
	global_store_byte v[0:1], v2, off
.LBB94_395:
	s_andn2_b64 vcc, exec, s[28:29]
	s_cbranch_vccnz .LBB94_397
; %bb.396:
	global_store_byte v[0:1], v2, off
.LBB94_397:
	s_mov_b64 s[28:29], -1
.LBB94_398:
	s_andn2_b64 vcc, exec, s[28:29]
	s_cbranch_vccnz .LBB94_400
; %bb.399:
	v_add_u32_e32 v10, 0x80, v10
	s_mov_b64 s[2:3], -1
	s_branch .LBB94_512
.LBB94_400:
	s_mov_b64 s[2:3], 0
                                        ; implicit-def: $vgpr10
	s_branch .LBB94_512
.LBB94_401:
	s_mov_b64 s[26:27], -1
                                        ; implicit-def: $vgpr2_vgpr3
.LBB94_402:
	s_mov_b64 s[4:5], 0
.LBB94_403:
	s_and_b64 vcc, exec, s[4:5]
	s_cbranch_vccz .LBB94_407
; %bb.404:
	s_cmp_eq_u32 s34, 29
	s_cbranch_scc0 .LBB94_406
; %bb.405:
	global_load_dwordx2 v[2:3], v[0:1], off
	s_mov_b64 s[2:3], -1
	s_mov_b64 s[26:27], 0
	s_mov_b64 s[4:5], 0
	s_waitcnt vmcnt(0)
	v_cvt_f64_u32_e32 v[3:4], v3
	v_cvt_f64_u32_e32 v[5:6], v2
	v_ldexp_f64 v[3:4], v[3:4], 32
	v_add_f64 v[2:3], v[3:4], v[5:6]
	s_branch .LBB94_408
.LBB94_406:
	s_mov_b64 s[26:27], -1
                                        ; implicit-def: $vgpr2_vgpr3
.LBB94_407:
	s_mov_b64 s[4:5], 0
.LBB94_408:
	s_and_b64 vcc, exec, s[4:5]
	s_cbranch_vccz .LBB94_428
; %bb.409:
	s_cmp_lt_i32 s34, 27
	s_cbranch_scc1 .LBB94_412
; %bb.410:
	s_cmp_gt_i32 s34, 27
	s_cbranch_scc0 .LBB94_413
; %bb.411:
	global_load_dword v2, v[0:1], off
	s_mov_b64 s[2:3], 0
	s_waitcnt vmcnt(0)
	v_cvt_f64_u32_e32 v[2:3], v2
	s_branch .LBB94_414
.LBB94_412:
	s_mov_b64 s[2:3], -1
                                        ; implicit-def: $vgpr2_vgpr3
	s_branch .LBB94_417
.LBB94_413:
	s_mov_b64 s[2:3], -1
                                        ; implicit-def: $vgpr2_vgpr3
.LBB94_414:
	s_andn2_b64 vcc, exec, s[2:3]
	s_cbranch_vccnz .LBB94_416
; %bb.415:
	global_load_ushort v2, v[0:1], off
	s_waitcnt vmcnt(0)
	v_cvt_f64_u32_e32 v[2:3], v2
.LBB94_416:
	s_mov_b64 s[2:3], 0
.LBB94_417:
	s_andn2_b64 vcc, exec, s[2:3]
	s_cbranch_vccnz .LBB94_427
; %bb.418:
	global_load_ubyte v4, v[0:1], off
	s_movk_i32 s2, 0x7f
	s_waitcnt vmcnt(0)
	v_cmp_lt_i16_e32 vcc, s2, v4
	s_mov_b64 s[2:3], 0
	s_and_saveexec_b64 s[4:5], vcc
	s_xor_b64 s[4:5], exec, s[4:5]
	s_cbranch_execz .LBB94_422
; %bb.419:
	s_movk_i32 s2, 0x80
	v_cmp_eq_u16_e32 vcc, s2, v4
	s_mov_b64 s[2:3], -1
	s_and_saveexec_b64 s[28:29], vcc
; %bb.420:
	s_xor_b64 s[2:3], exec, -1
; %bb.421:
	s_or_b64 exec, exec, s[28:29]
	s_and_b64 s[2:3], s[2:3], exec
.LBB94_422:
	s_or_saveexec_b64 s[4:5], s[4:5]
	v_bfrev_b32_e32 v2, 4
	v_mov_b32_e32 v3, 0x7ff80000
	s_xor_b64 exec, exec, s[4:5]
; %bb.423:
	v_cmp_ne_u16_e32 vcc, 0, v4
	v_mov_b32_e32 v2, 0
	s_andn2_b64 s[2:3], s[2:3], exec
	s_and_b64 s[28:29], vcc, exec
	v_mov_b32_e32 v3, 0
	s_or_b64 s[2:3], s[2:3], s[28:29]
; %bb.424:
	s_or_b64 exec, exec, s[4:5]
	s_and_saveexec_b64 s[4:5], s[2:3]
	s_cbranch_execz .LBB94_426
; %bb.425:
	v_and_b32_e32 v3, 0xffff, v4
	v_lshlrev_b32_e32 v2, 24, v4
	v_and_b32_e32 v4, 7, v3
	v_ffbh_u32_e32 v6, v4
	v_min_u32_e32 v6, 32, v6
	v_subrev_u32_e32 v7, 28, v6
	v_bfe_u32 v5, v3, 3, 4
	v_lshlrev_b32_e32 v3, v7, v3
	v_sub_u32_e32 v6, 29, v6
	v_and_b32_e32 v3, 7, v3
	v_cmp_eq_u32_e32 vcc, 0, v5
	v_cndmask_b32_e32 v5, v5, v6, vcc
	v_cndmask_b32_e32 v3, v4, v3, vcc
	v_mov_b32_e32 v4, 0x3b800000
	v_lshlrev_b32_e32 v3, 20, v3
	v_and_b32_e32 v2, 0x80000000, v2
	v_lshl_add_u32 v4, v5, 23, v4
	v_or3_b32 v2, v2, v4, v3
	v_cvt_f64_f32_e32 v[2:3], v2
.LBB94_426:
	s_or_b64 exec, exec, s[4:5]
.LBB94_427:
	s_mov_b64 s[2:3], -1
.LBB94_428:
	s_mov_b64 s[4:5], 0
.LBB94_429:
	s_and_b64 vcc, exec, s[4:5]
	s_cbranch_vccz .LBB94_462
; %bb.430:
	s_cmp_gt_i32 s34, 22
	s_cbranch_scc0 .LBB94_442
; %bb.431:
	s_cmp_lt_i32 s34, 24
	s_cbranch_scc1 .LBB94_443
; %bb.432:
	s_cmp_gt_i32 s34, 24
	s_cbranch_scc0 .LBB94_444
; %bb.433:
	global_load_ubyte v4, v[0:1], off
	s_movk_i32 s2, 0x7f
	s_waitcnt vmcnt(0)
	v_cmp_lt_i16_e32 vcc, s2, v4
	s_mov_b64 s[2:3], 0
	s_and_saveexec_b64 s[4:5], vcc
	s_xor_b64 s[4:5], exec, s[4:5]
	s_cbranch_execz .LBB94_437
; %bb.434:
	s_movk_i32 s2, 0x80
	v_cmp_eq_u16_e32 vcc, s2, v4
	s_mov_b64 s[2:3], -1
	s_and_saveexec_b64 s[28:29], vcc
; %bb.435:
	s_xor_b64 s[2:3], exec, -1
; %bb.436:
	s_or_b64 exec, exec, s[28:29]
	s_and_b64 s[2:3], s[2:3], exec
.LBB94_437:
	s_or_saveexec_b64 s[4:5], s[4:5]
	v_bfrev_b32_e32 v2, 4
	v_mov_b32_e32 v3, 0x7ff80000
	s_xor_b64 exec, exec, s[4:5]
; %bb.438:
	v_cmp_ne_u16_e32 vcc, 0, v4
	v_mov_b32_e32 v2, 0
	s_andn2_b64 s[2:3], s[2:3], exec
	s_and_b64 s[28:29], vcc, exec
	v_mov_b32_e32 v3, 0
	s_or_b64 s[2:3], s[2:3], s[28:29]
; %bb.439:
	s_or_b64 exec, exec, s[4:5]
	s_and_saveexec_b64 s[4:5], s[2:3]
	s_cbranch_execz .LBB94_441
; %bb.440:
	v_and_b32_e32 v3, 0xffff, v4
	v_lshlrev_b32_e32 v2, 24, v4
	v_and_b32_e32 v4, 3, v3
	v_ffbh_u32_e32 v6, v4
	v_min_u32_e32 v6, 32, v6
	v_subrev_u32_e32 v7, 29, v6
	v_bfe_u32 v5, v3, 2, 5
	v_lshlrev_b32_e32 v3, v7, v3
	v_sub_u32_e32 v6, 30, v6
	v_and_b32_e32 v3, 3, v3
	v_cmp_eq_u32_e32 vcc, 0, v5
	v_cndmask_b32_e32 v5, v5, v6, vcc
	v_cndmask_b32_e32 v3, v4, v3, vcc
	v_mov_b32_e32 v4, 0x37800000
	v_lshlrev_b32_e32 v3, 21, v3
	v_and_b32_e32 v2, 0x80000000, v2
	v_lshl_add_u32 v4, v5, 23, v4
	v_or3_b32 v2, v2, v4, v3
	v_cvt_f64_f32_e32 v[2:3], v2
.LBB94_441:
	s_or_b64 exec, exec, s[4:5]
	s_mov_b64 s[2:3], 0
	s_branch .LBB94_445
.LBB94_442:
	s_mov_b64 s[4:5], -1
                                        ; implicit-def: $vgpr2_vgpr3
	s_branch .LBB94_451
.LBB94_443:
	s_mov_b64 s[2:3], -1
                                        ; implicit-def: $vgpr2_vgpr3
	s_branch .LBB94_448
.LBB94_444:
	s_mov_b64 s[2:3], -1
                                        ; implicit-def: $vgpr2_vgpr3
.LBB94_445:
	s_and_b64 vcc, exec, s[2:3]
	s_cbranch_vccz .LBB94_447
; %bb.446:
	global_load_ubyte v2, v[0:1], off
	s_mov_b32 s2, 0x7f800000
	s_waitcnt vmcnt(0)
	v_lshlrev_b32_e32 v2, 24, v2
	v_and_b32_e32 v3, 0x7f000000, v2
	v_ffbh_u32_e32 v4, v3
	v_min_u32_e32 v4, 32, v4
	v_sub_u32_e64 v4, v4, 4 clamp
	v_lshlrev_b32_e32 v6, v4, v3
	v_lshlrev_b32_e32 v4, 23, v4
	v_lshrrev_b32_e32 v6, 4, v6
	v_add_u32_e32 v5, 0x1000000, v3
	v_sub_u32_e32 v4, v6, v4
	v_ashrrev_i32_e32 v5, 8, v5
	v_add_u32_e32 v4, 0x3c000000, v4
	v_and_or_b32 v4, v5, s2, v4
	v_cmp_ne_u32_e32 vcc, 0, v3
	v_cndmask_b32_e32 v3, 0, v4, vcc
	s_brev_b32 s2, 1
	v_and_or_b32 v2, v2, s2, v3
	v_cvt_f64_f32_e32 v[2:3], v2
.LBB94_447:
	s_mov_b64 s[2:3], 0
.LBB94_448:
	s_andn2_b64 vcc, exec, s[2:3]
	s_cbranch_vccnz .LBB94_450
; %bb.449:
	global_load_ubyte v2, v[0:1], off
	s_movk_i32 s2, 0x7f00
	s_brev_b32 s3, 16
	s_waitcnt vmcnt(0)
	v_lshlrev_b16_e32 v3, 8, v2
	v_lshlrev_b32_e32 v2, 25, v2
	v_lshrrev_b32_e32 v4, 4, v2
	v_and_or_b32 v5, v3, s2, 0.5
	v_or_b32_e32 v4, 0x70000000, v4
	v_add_f32_e32 v5, -0.5, v5
	v_mul_f32_e32 v4, 0x7800000, v4
	v_cmp_gt_u32_e32 vcc, s3, v2
	v_bfe_i32 v3, v3, 0, 16
	v_cndmask_b32_e32 v2, v4, v5, vcc
	s_brev_b32 s2, 1
	v_and_or_b32 v2, v3, s2, v2
	v_cvt_f64_f32_e32 v[2:3], v2
.LBB94_450:
	s_mov_b64 s[4:5], 0
	s_mov_b64 s[2:3], -1
.LBB94_451:
	s_andn2_b64 vcc, exec, s[4:5]
	s_cbranch_vccnz .LBB94_462
; %bb.452:
	s_cmp_gt_i32 s34, 14
	s_cbranch_scc0 .LBB94_455
; %bb.453:
	s_cmp_eq_u32 s34, 15
	s_cbranch_scc0 .LBB94_456
; %bb.454:
	global_load_ushort v2, v[0:1], off
	s_mov_b64 s[2:3], -1
	s_mov_b64 s[26:27], 0
	s_waitcnt vmcnt(0)
	v_lshlrev_b32_e32 v2, 16, v2
	v_cvt_f64_f32_e32 v[2:3], v2
	s_branch .LBB94_457
.LBB94_455:
	s_mov_b64 s[4:5], -1
                                        ; implicit-def: $vgpr2_vgpr3
	s_branch .LBB94_458
.LBB94_456:
	s_mov_b64 s[26:27], -1
                                        ; implicit-def: $vgpr2_vgpr3
.LBB94_457:
	s_mov_b64 s[4:5], 0
.LBB94_458:
	s_and_b64 vcc, exec, s[4:5]
	s_cbranch_vccz .LBB94_462
; %bb.459:
	s_cmp_eq_u32 s34, 11
	s_cbranch_scc0 .LBB94_461
; %bb.460:
	global_load_ubyte v3, v[0:1], off
	v_mov_b32_e32 v4, 0x3ff00000
	v_mov_b32_e32 v2, 0
	s_mov_b64 s[2:3], -1
	s_mov_b64 s[26:27], 0
	s_waitcnt vmcnt(0)
	v_cmp_ne_u16_e32 vcc, 0, v3
	v_cndmask_b32_e32 v3, 0, v4, vcc
	s_branch .LBB94_462
.LBB94_461:
	s_mov_b64 s[26:27], -1
                                        ; implicit-def: $vgpr2_vgpr3
.LBB94_462:
	s_branch .LBB94_265
.LBB94_463:
	s_cmp_lt_i32 s34, 5
	s_cbranch_scc1 .LBB94_468
; %bb.464:
	s_cmp_lt_i32 s34, 8
	s_cbranch_scc1 .LBB94_469
; %bb.465:
	;; [unrolled: 3-line block ×3, first 2 shown]
	s_cmp_gt_i32 s34, 9
	s_cbranch_scc0 .LBB94_471
; %bb.467:
	global_load_dwordx2 v[2:3], v[0:1], off
	s_mov_b64 s[2:3], 0
	s_branch .LBB94_472
.LBB94_468:
	s_mov_b64 s[2:3], -1
                                        ; implicit-def: $vgpr2_vgpr3
	s_branch .LBB94_490
.LBB94_469:
	s_mov_b64 s[2:3], -1
                                        ; implicit-def: $vgpr2_vgpr3
	s_branch .LBB94_478
.LBB94_470:
	s_mov_b64 s[2:3], -1
                                        ; implicit-def: $vgpr2_vgpr3
	s_branch .LBB94_475
.LBB94_471:
	s_mov_b64 s[2:3], -1
                                        ; implicit-def: $vgpr2_vgpr3
.LBB94_472:
	s_andn2_b64 vcc, exec, s[2:3]
	s_cbranch_vccnz .LBB94_474
; %bb.473:
	global_load_dword v2, v[0:1], off
	s_waitcnt vmcnt(0)
	v_cvt_f64_f32_e32 v[2:3], v2
.LBB94_474:
	s_mov_b64 s[2:3], 0
.LBB94_475:
	s_andn2_b64 vcc, exec, s[2:3]
	s_cbranch_vccnz .LBB94_477
; %bb.476:
	global_load_dword v2, v[0:1], off
	s_waitcnt vmcnt(0)
	v_cvt_f32_f16_e32 v2, v2
	v_cvt_f64_f32_e32 v[2:3], v2
.LBB94_477:
	s_mov_b64 s[2:3], 0
.LBB94_478:
	s_andn2_b64 vcc, exec, s[2:3]
	s_cbranch_vccnz .LBB94_489
; %bb.479:
	s_cmp_lt_i32 s34, 6
	s_cbranch_scc1 .LBB94_482
; %bb.480:
	s_cmp_gt_i32 s34, 6
	s_cbranch_scc0 .LBB94_483
; %bb.481:
	global_load_dwordx2 v[2:3], v[0:1], off
	s_mov_b64 s[2:3], 0
	s_branch .LBB94_484
.LBB94_482:
	s_mov_b64 s[2:3], -1
                                        ; implicit-def: $vgpr2_vgpr3
	s_branch .LBB94_487
.LBB94_483:
	s_mov_b64 s[2:3], -1
                                        ; implicit-def: $vgpr2_vgpr3
.LBB94_484:
	s_andn2_b64 vcc, exec, s[2:3]
	s_cbranch_vccnz .LBB94_486
; %bb.485:
	global_load_dword v2, v[0:1], off
	s_waitcnt vmcnt(0)
	v_cvt_f64_f32_e32 v[2:3], v2
.LBB94_486:
	s_mov_b64 s[2:3], 0
.LBB94_487:
	s_andn2_b64 vcc, exec, s[2:3]
	s_cbranch_vccnz .LBB94_489
; %bb.488:
	global_load_ushort v2, v[0:1], off
	s_waitcnt vmcnt(0)
	v_cvt_f32_f16_e32 v2, v2
	v_cvt_f64_f32_e32 v[2:3], v2
.LBB94_489:
	s_mov_b64 s[2:3], 0
.LBB94_490:
	s_andn2_b64 vcc, exec, s[2:3]
	s_cbranch_vccnz .LBB94_510
; %bb.491:
	s_cmp_lt_i32 s34, 2
	s_cbranch_scc1 .LBB94_495
; %bb.492:
	s_cmp_lt_i32 s34, 3
	s_cbranch_scc1 .LBB94_496
; %bb.493:
	s_cmp_gt_i32 s34, 3
	s_cbranch_scc0 .LBB94_497
; %bb.494:
	global_load_dwordx2 v[2:3], v[0:1], off
	s_mov_b64 s[2:3], 0
	s_waitcnt vmcnt(0)
	v_cvt_f64_i32_e32 v[3:4], v3
	v_cvt_f64_u32_e32 v[5:6], v2
	v_ldexp_f64 v[3:4], v[3:4], 32
	v_add_f64 v[2:3], v[3:4], v[5:6]
	s_branch .LBB94_498
.LBB94_495:
	s_mov_b64 s[2:3], -1
                                        ; implicit-def: $vgpr2_vgpr3
	s_branch .LBB94_504
.LBB94_496:
	s_mov_b64 s[2:3], -1
                                        ; implicit-def: $vgpr2_vgpr3
	s_branch .LBB94_501
.LBB94_497:
	s_mov_b64 s[2:3], -1
                                        ; implicit-def: $vgpr2_vgpr3
.LBB94_498:
	s_andn2_b64 vcc, exec, s[2:3]
	s_cbranch_vccnz .LBB94_500
; %bb.499:
	global_load_dword v2, v[0:1], off
	s_waitcnt vmcnt(0)
	v_cvt_f64_i32_e32 v[2:3], v2
.LBB94_500:
	s_mov_b64 s[2:3], 0
.LBB94_501:
	s_andn2_b64 vcc, exec, s[2:3]
	s_cbranch_vccnz .LBB94_503
; %bb.502:
	global_load_sshort v2, v[0:1], off
	s_waitcnt vmcnt(0)
	v_cvt_f64_i32_e32 v[2:3], v2
.LBB94_503:
	s_mov_b64 s[2:3], 0
.LBB94_504:
	s_andn2_b64 vcc, exec, s[2:3]
	s_cbranch_vccnz .LBB94_510
; %bb.505:
	s_cmp_gt_i32 s34, 0
	s_cbranch_scc0 .LBB94_507
; %bb.506:
	global_load_sbyte v2, v[0:1], off
	s_mov_b64 s[2:3], 0
	s_waitcnt vmcnt(0)
	v_cvt_f64_i32_e32 v[2:3], v2
	s_branch .LBB94_508
.LBB94_507:
	s_mov_b64 s[2:3], -1
                                        ; implicit-def: $vgpr2_vgpr3
.LBB94_508:
	s_andn2_b64 vcc, exec, s[2:3]
	s_cbranch_vccnz .LBB94_510
; %bb.509:
	global_load_ubyte v0, v[0:1], off
	s_waitcnt vmcnt(0)
	v_cvt_f64_u32_e32 v[2:3], v0
.LBB94_510:
	s_branch .LBB94_266
.LBB94_511:
	s_mov_b64 s[2:3], 0
                                        ; implicit-def: $vgpr10
	s_mov_b64 s[4:5], s[20:21]
.LBB94_512:
	s_andn2_b64 s[28:29], s[20:21], exec
	s_and_b64 s[4:5], s[4:5], exec
	s_or_b64 s[28:29], s[28:29], s[4:5]
	s_andn2_b64 s[4:5], s[22:23], exec
	s_and_b64 s[26:27], s[26:27], exec
	s_or_b64 s[26:27], s[4:5], s[26:27]
	s_orn2_b64 s[2:3], s[2:3], exec
.LBB94_513:
	s_or_b64 exec, exec, s[30:31]
	s_mov_b64 s[4:5], 0
	s_mov_b64 s[34:35], 0
	;; [unrolled: 1-line block ×3, first 2 shown]
                                        ; implicit-def: $vgpr0_vgpr1
                                        ; implicit-def: $vgpr2_vgpr3
	s_and_saveexec_b64 s[30:31], s[2:3]
	s_cbranch_execz .LBB94_858
; %bb.514:
	v_cmp_gt_i32_e32 vcc, s44, v10
	s_mov_b64 s[40:41], -1
	s_mov_b64 s[2:3], s[26:27]
	s_mov_b64 s[4:5], s[28:29]
	s_and_saveexec_b64 s[34:35], vcc
	s_cbranch_execz .LBB94_772
; %bb.515:
	v_mul_lo_u32 v0, v10, s13
	v_mov_b32_e32 v1, s11
	s_and_b32 s40, 0xffff, s15
	s_cmp_lt_i32 s40, 11
	s_waitcnt vmcnt(0)
	v_ashrrev_i32_e32 v2, 31, v0
	v_add_co_u32_e32 v0, vcc, s10, v0
	v_addc_co_u32_e32 v1, vcc, v1, v2, vcc
	s_cbranch_scc1 .LBB94_522
; %bb.516:
	s_cmp_gt_i32 s40, 25
	s_cbranch_scc0 .LBB94_523
; %bb.517:
	s_cmp_gt_i32 s40, 28
	s_cbranch_scc0 .LBB94_524
	;; [unrolled: 3-line block ×4, first 2 shown]
; %bb.520:
	s_cmp_eq_u32 s40, 46
	s_mov_b64 s[4:5], 0
	s_cbranch_scc0 .LBB94_531
; %bb.521:
	global_load_dword v2, v[0:1], off
	s_mov_b64 s[2:3], -1
	s_waitcnt vmcnt(0)
	v_lshlrev_b32_e32 v2, 16, v2
	v_cvt_f64_f32_e32 v[2:3], v2
	s_branch .LBB94_532
.LBB94_522:
	s_mov_b64 s[4:5], -1
	s_mov_b64 s[2:3], 0
                                        ; implicit-def: $vgpr2_vgpr3
	s_mov_b64 s[36:37], s[26:27]
	s_branch .LBB94_597
.LBB94_523:
	s_mov_b64 s[4:5], -1
	s_mov_b64 s[2:3], 0
	s_mov_b64 s[36:37], s[26:27]
                                        ; implicit-def: $vgpr2_vgpr3
	s_branch .LBB94_563
.LBB94_524:
	s_mov_b64 s[4:5], -1
	s_mov_b64 s[2:3], 0
	s_mov_b64 s[36:37], s[26:27]
                                        ; implicit-def: $vgpr2_vgpr3
	s_branch .LBB94_542
.LBB94_525:
	s_mov_b64 s[4:5], -1
	s_mov_b64 s[2:3], 0
	s_mov_b64 s[36:37], s[26:27]
                                        ; implicit-def: $vgpr2_vgpr3
	s_branch .LBB94_537
.LBB94_526:
	s_andn2_saveexec_b64 s[36:37], s[36:37]
	s_cbranch_execz .LBB94_311
.LBB94_527:
	v_add_f32_e32 v2, 0x46000000, v3
	v_and_b32_e32 v2, 0xff, v2
	v_cmp_ne_u32_e32 vcc, 0, v2
	s_andn2_b64 s[34:35], s[34:35], exec
	s_and_b64 s[40:41], vcc, exec
	s_or_b64 s[34:35], s[34:35], s[40:41]
	s_or_b64 exec, exec, s[36:37]
	v_mov_b32_e32 v4, 0
	s_and_saveexec_b64 s[36:37], s[34:35]
	s_cbranch_execnz .LBB94_312
	s_branch .LBB94_313
.LBB94_528:
	s_mov_b64 s[4:5], -1
	s_mov_b64 s[2:3], 0
	s_mov_b64 s[36:37], s[26:27]
                                        ; implicit-def: $vgpr2_vgpr3
	s_branch .LBB94_532
.LBB94_529:
	s_andn2_saveexec_b64 s[36:37], s[36:37]
	s_cbranch_execz .LBB94_324
.LBB94_530:
	v_add_f32_e32 v2, 0x42800000, v3
	v_and_b32_e32 v2, 0xff, v2
	v_cmp_ne_u32_e32 vcc, 0, v2
	s_andn2_b64 s[34:35], s[34:35], exec
	s_and_b64 s[40:41], vcc, exec
	s_or_b64 s[34:35], s[34:35], s[40:41]
	s_or_b64 exec, exec, s[36:37]
	v_mov_b32_e32 v4, 0
	s_and_saveexec_b64 s[36:37], s[34:35]
	s_cbranch_execnz .LBB94_325
	s_branch .LBB94_326
.LBB94_531:
	s_mov_b64 s[36:37], -1
                                        ; implicit-def: $vgpr2_vgpr3
	s_mov_b64 s[2:3], 0
.LBB94_532:
	s_and_b64 vcc, exec, s[4:5]
	s_cbranch_vccz .LBB94_536
; %bb.533:
	s_cmp_eq_u32 s40, 44
	s_cbranch_scc0 .LBB94_535
; %bb.534:
	global_load_ubyte v4, v[0:1], off
	s_movk_i32 s4, 0xff
	v_bfrev_b32_e32 v5, 4
	v_mov_b32_e32 v6, 0x7ff80000
	v_bfrev_b32_e32 v7, 28
	s_mov_b64 s[2:3], -1
	s_mov_b64 s[36:37], 0
	s_waitcnt vmcnt(0)
	v_lshlrev_b32_e32 v2, 23, v4
	v_cvt_f64_f32_e32 v[2:3], v2
	v_cmp_ne_u32_e32 vcc, s4, v4
	v_cndmask_b32_e32 v2, v5, v2, vcc
	v_cndmask_b32_e32 v3, v6, v3, vcc
	v_cmp_ne_u32_e32 vcc, 0, v4
	v_cndmask_b32_e32 v3, v7, v3, vcc
	v_cndmask_b32_e32 v2, 0, v2, vcc
	s_branch .LBB94_536
.LBB94_535:
	s_mov_b64 s[36:37], -1
                                        ; implicit-def: $vgpr2_vgpr3
.LBB94_536:
	s_mov_b64 s[4:5], 0
.LBB94_537:
	s_and_b64 vcc, exec, s[4:5]
	s_cbranch_vccz .LBB94_541
; %bb.538:
	s_cmp_eq_u32 s40, 29
	s_cbranch_scc0 .LBB94_540
; %bb.539:
	global_load_dwordx2 v[2:3], v[0:1], off
	s_mov_b64 s[2:3], -1
	s_mov_b64 s[36:37], 0
	s_mov_b64 s[4:5], 0
	s_waitcnt vmcnt(0)
	v_cvt_f64_u32_e32 v[3:4], v3
	v_cvt_f64_u32_e32 v[5:6], v2
	v_ldexp_f64 v[3:4], v[3:4], 32
	v_add_f64 v[2:3], v[3:4], v[5:6]
	s_branch .LBB94_542
.LBB94_540:
	s_mov_b64 s[36:37], -1
                                        ; implicit-def: $vgpr2_vgpr3
.LBB94_541:
	s_mov_b64 s[4:5], 0
.LBB94_542:
	s_and_b64 vcc, exec, s[4:5]
	s_cbranch_vccz .LBB94_562
; %bb.543:
	s_cmp_lt_i32 s40, 27
	s_cbranch_scc1 .LBB94_546
; %bb.544:
	s_cmp_gt_i32 s40, 27
	s_cbranch_scc0 .LBB94_547
; %bb.545:
	global_load_dword v2, v[0:1], off
	s_mov_b64 s[2:3], 0
	s_waitcnt vmcnt(0)
	v_cvt_f64_u32_e32 v[2:3], v2
	s_branch .LBB94_548
.LBB94_546:
	s_mov_b64 s[2:3], -1
                                        ; implicit-def: $vgpr2_vgpr3
	s_branch .LBB94_551
.LBB94_547:
	s_mov_b64 s[2:3], -1
                                        ; implicit-def: $vgpr2_vgpr3
.LBB94_548:
	s_andn2_b64 vcc, exec, s[2:3]
	s_cbranch_vccnz .LBB94_550
; %bb.549:
	global_load_ushort v2, v[0:1], off
	s_waitcnt vmcnt(0)
	v_cvt_f64_u32_e32 v[2:3], v2
.LBB94_550:
	s_mov_b64 s[2:3], 0
.LBB94_551:
	s_andn2_b64 vcc, exec, s[2:3]
	s_cbranch_vccnz .LBB94_561
; %bb.552:
	global_load_ubyte v4, v[0:1], off
	s_movk_i32 s2, 0x7f
	s_waitcnt vmcnt(0)
	v_cmp_lt_i16_e32 vcc, s2, v4
	s_mov_b64 s[2:3], 0
	s_and_saveexec_b64 s[4:5], vcc
	s_xor_b64 s[4:5], exec, s[4:5]
	s_cbranch_execz .LBB94_556
; %bb.553:
	s_movk_i32 s2, 0x80
	v_cmp_eq_u16_e32 vcc, s2, v4
	s_mov_b64 s[2:3], -1
	s_and_saveexec_b64 s[38:39], vcc
; %bb.554:
	s_xor_b64 s[2:3], exec, -1
; %bb.555:
	s_or_b64 exec, exec, s[38:39]
	s_and_b64 s[2:3], s[2:3], exec
.LBB94_556:
	s_or_saveexec_b64 s[4:5], s[4:5]
	v_bfrev_b32_e32 v2, 4
	v_mov_b32_e32 v3, 0x7ff80000
	s_xor_b64 exec, exec, s[4:5]
; %bb.557:
	v_cmp_ne_u16_e32 vcc, 0, v4
	v_mov_b32_e32 v2, 0
	s_andn2_b64 s[2:3], s[2:3], exec
	s_and_b64 s[38:39], vcc, exec
	v_mov_b32_e32 v3, 0
	s_or_b64 s[2:3], s[2:3], s[38:39]
; %bb.558:
	s_or_b64 exec, exec, s[4:5]
	s_and_saveexec_b64 s[4:5], s[2:3]
	s_cbranch_execz .LBB94_560
; %bb.559:
	v_and_b32_e32 v3, 0xffff, v4
	v_lshlrev_b32_e32 v2, 24, v4
	v_and_b32_e32 v4, 7, v3
	v_ffbh_u32_e32 v6, v4
	v_min_u32_e32 v6, 32, v6
	v_subrev_u32_e32 v7, 28, v6
	v_bfe_u32 v5, v3, 3, 4
	v_lshlrev_b32_e32 v3, v7, v3
	v_sub_u32_e32 v6, 29, v6
	v_and_b32_e32 v3, 7, v3
	v_cmp_eq_u32_e32 vcc, 0, v5
	v_cndmask_b32_e32 v5, v5, v6, vcc
	v_cndmask_b32_e32 v3, v4, v3, vcc
	v_mov_b32_e32 v4, 0x3b800000
	v_lshlrev_b32_e32 v3, 20, v3
	v_and_b32_e32 v2, 0x80000000, v2
	v_lshl_add_u32 v4, v5, 23, v4
	v_or3_b32 v2, v2, v4, v3
	v_cvt_f64_f32_e32 v[2:3], v2
.LBB94_560:
	s_or_b64 exec, exec, s[4:5]
.LBB94_561:
	s_mov_b64 s[2:3], -1
.LBB94_562:
	s_mov_b64 s[4:5], 0
.LBB94_563:
	s_and_b64 vcc, exec, s[4:5]
	s_cbranch_vccz .LBB94_596
; %bb.564:
	s_cmp_gt_i32 s40, 22
	s_cbranch_scc0 .LBB94_576
; %bb.565:
	s_cmp_lt_i32 s40, 24
	s_cbranch_scc1 .LBB94_577
; %bb.566:
	s_cmp_gt_i32 s40, 24
	s_cbranch_scc0 .LBB94_578
; %bb.567:
	global_load_ubyte v4, v[0:1], off
	s_movk_i32 s2, 0x7f
	s_waitcnt vmcnt(0)
	v_cmp_lt_i16_e32 vcc, s2, v4
	s_mov_b64 s[2:3], 0
	s_and_saveexec_b64 s[4:5], vcc
	s_xor_b64 s[4:5], exec, s[4:5]
	s_cbranch_execz .LBB94_571
; %bb.568:
	s_movk_i32 s2, 0x80
	v_cmp_eq_u16_e32 vcc, s2, v4
	s_mov_b64 s[2:3], -1
	s_and_saveexec_b64 s[38:39], vcc
; %bb.569:
	s_xor_b64 s[2:3], exec, -1
; %bb.570:
	s_or_b64 exec, exec, s[38:39]
	s_and_b64 s[2:3], s[2:3], exec
.LBB94_571:
	s_or_saveexec_b64 s[4:5], s[4:5]
	v_bfrev_b32_e32 v2, 4
	v_mov_b32_e32 v3, 0x7ff80000
	s_xor_b64 exec, exec, s[4:5]
; %bb.572:
	v_cmp_ne_u16_e32 vcc, 0, v4
	v_mov_b32_e32 v2, 0
	s_andn2_b64 s[2:3], s[2:3], exec
	s_and_b64 s[38:39], vcc, exec
	v_mov_b32_e32 v3, 0
	s_or_b64 s[2:3], s[2:3], s[38:39]
; %bb.573:
	s_or_b64 exec, exec, s[4:5]
	s_and_saveexec_b64 s[4:5], s[2:3]
	s_cbranch_execz .LBB94_575
; %bb.574:
	v_and_b32_e32 v3, 0xffff, v4
	v_lshlrev_b32_e32 v2, 24, v4
	v_and_b32_e32 v4, 3, v3
	v_ffbh_u32_e32 v6, v4
	v_min_u32_e32 v6, 32, v6
	v_subrev_u32_e32 v7, 29, v6
	v_bfe_u32 v5, v3, 2, 5
	v_lshlrev_b32_e32 v3, v7, v3
	v_sub_u32_e32 v6, 30, v6
	v_and_b32_e32 v3, 3, v3
	v_cmp_eq_u32_e32 vcc, 0, v5
	v_cndmask_b32_e32 v5, v5, v6, vcc
	v_cndmask_b32_e32 v3, v4, v3, vcc
	v_mov_b32_e32 v4, 0x37800000
	v_lshlrev_b32_e32 v3, 21, v3
	v_and_b32_e32 v2, 0x80000000, v2
	v_lshl_add_u32 v4, v5, 23, v4
	v_or3_b32 v2, v2, v4, v3
	v_cvt_f64_f32_e32 v[2:3], v2
.LBB94_575:
	s_or_b64 exec, exec, s[4:5]
	s_mov_b64 s[2:3], 0
	s_branch .LBB94_579
.LBB94_576:
	s_mov_b64 s[4:5], -1
                                        ; implicit-def: $vgpr2_vgpr3
	s_branch .LBB94_585
.LBB94_577:
	s_mov_b64 s[2:3], -1
                                        ; implicit-def: $vgpr2_vgpr3
	s_branch .LBB94_582
.LBB94_578:
	s_mov_b64 s[2:3], -1
                                        ; implicit-def: $vgpr2_vgpr3
.LBB94_579:
	s_and_b64 vcc, exec, s[2:3]
	s_cbranch_vccz .LBB94_581
; %bb.580:
	global_load_ubyte v2, v[0:1], off
	s_mov_b32 s2, 0x7f800000
	s_waitcnt vmcnt(0)
	v_lshlrev_b32_e32 v2, 24, v2
	v_and_b32_e32 v3, 0x7f000000, v2
	v_ffbh_u32_e32 v4, v3
	v_min_u32_e32 v4, 32, v4
	v_sub_u32_e64 v4, v4, 4 clamp
	v_lshlrev_b32_e32 v6, v4, v3
	v_lshlrev_b32_e32 v4, 23, v4
	v_lshrrev_b32_e32 v6, 4, v6
	v_add_u32_e32 v5, 0x1000000, v3
	v_sub_u32_e32 v4, v6, v4
	v_ashrrev_i32_e32 v5, 8, v5
	v_add_u32_e32 v4, 0x3c000000, v4
	v_and_or_b32 v4, v5, s2, v4
	v_cmp_ne_u32_e32 vcc, 0, v3
	v_cndmask_b32_e32 v3, 0, v4, vcc
	s_brev_b32 s2, 1
	v_and_or_b32 v2, v2, s2, v3
	v_cvt_f64_f32_e32 v[2:3], v2
.LBB94_581:
	s_mov_b64 s[2:3], 0
.LBB94_582:
	s_andn2_b64 vcc, exec, s[2:3]
	s_cbranch_vccnz .LBB94_584
; %bb.583:
	global_load_ubyte v2, v[0:1], off
	s_movk_i32 s2, 0x7f00
	s_brev_b32 s3, 16
	s_waitcnt vmcnt(0)
	v_lshlrev_b16_e32 v3, 8, v2
	v_lshlrev_b32_e32 v2, 25, v2
	v_lshrrev_b32_e32 v4, 4, v2
	v_and_or_b32 v5, v3, s2, 0.5
	v_or_b32_e32 v4, 0x70000000, v4
	v_add_f32_e32 v5, -0.5, v5
	v_mul_f32_e32 v4, 0x7800000, v4
	v_cmp_gt_u32_e32 vcc, s3, v2
	v_bfe_i32 v3, v3, 0, 16
	v_cndmask_b32_e32 v2, v4, v5, vcc
	s_brev_b32 s2, 1
	v_and_or_b32 v2, v3, s2, v2
	v_cvt_f64_f32_e32 v[2:3], v2
.LBB94_584:
	s_mov_b64 s[4:5], 0
	s_mov_b64 s[2:3], -1
.LBB94_585:
	s_andn2_b64 vcc, exec, s[4:5]
	s_cbranch_vccnz .LBB94_596
; %bb.586:
	s_cmp_gt_i32 s40, 14
	s_cbranch_scc0 .LBB94_589
; %bb.587:
	s_cmp_eq_u32 s40, 15
	s_cbranch_scc0 .LBB94_590
; %bb.588:
	global_load_ushort v2, v[0:1], off
	s_mov_b64 s[2:3], -1
	s_mov_b64 s[36:37], 0
	s_waitcnt vmcnt(0)
	v_lshlrev_b32_e32 v2, 16, v2
	v_cvt_f64_f32_e32 v[2:3], v2
	s_branch .LBB94_591
.LBB94_589:
	s_mov_b64 s[4:5], -1
                                        ; implicit-def: $vgpr2_vgpr3
	s_branch .LBB94_592
.LBB94_590:
	s_mov_b64 s[36:37], -1
                                        ; implicit-def: $vgpr2_vgpr3
.LBB94_591:
	s_mov_b64 s[4:5], 0
.LBB94_592:
	s_and_b64 vcc, exec, s[4:5]
	s_cbranch_vccz .LBB94_596
; %bb.593:
	s_cmp_eq_u32 s40, 11
	s_cbranch_scc0 .LBB94_595
; %bb.594:
	global_load_ubyte v3, v[0:1], off
	v_mov_b32_e32 v4, 0x3ff00000
	v_mov_b32_e32 v2, 0
	s_mov_b64 s[2:3], -1
	s_mov_b64 s[36:37], 0
	s_waitcnt vmcnt(0)
	v_cmp_ne_u16_e32 vcc, 0, v3
	v_cndmask_b32_e32 v3, 0, v4, vcc
	s_branch .LBB94_596
.LBB94_595:
	s_mov_b64 s[36:37], -1
                                        ; implicit-def: $vgpr2_vgpr3
.LBB94_596:
	s_mov_b64 s[4:5], 0
.LBB94_597:
	s_and_b64 vcc, exec, s[4:5]
	s_cbranch_vccz .LBB94_646
; %bb.598:
	s_cmp_lt_i32 s40, 5
	s_cbranch_scc1 .LBB94_603
; %bb.599:
	s_cmp_lt_i32 s40, 8
	s_cbranch_scc1 .LBB94_604
	;; [unrolled: 3-line block ×3, first 2 shown]
; %bb.601:
	s_cmp_gt_i32 s40, 9
	s_cbranch_scc0 .LBB94_606
; %bb.602:
	global_load_dwordx2 v[2:3], v[0:1], off
	s_mov_b64 s[2:3], 0
	s_branch .LBB94_607
.LBB94_603:
	s_mov_b64 s[2:3], -1
                                        ; implicit-def: $vgpr2_vgpr3
	s_branch .LBB94_625
.LBB94_604:
	s_mov_b64 s[2:3], -1
                                        ; implicit-def: $vgpr2_vgpr3
	s_branch .LBB94_613
.LBB94_605:
	s_mov_b64 s[2:3], -1
                                        ; implicit-def: $vgpr2_vgpr3
	s_branch .LBB94_610
.LBB94_606:
	s_mov_b64 s[2:3], -1
                                        ; implicit-def: $vgpr2_vgpr3
.LBB94_607:
	s_andn2_b64 vcc, exec, s[2:3]
	s_cbranch_vccnz .LBB94_609
; %bb.608:
	global_load_dword v2, v[0:1], off
	s_waitcnt vmcnt(0)
	v_cvt_f64_f32_e32 v[2:3], v2
.LBB94_609:
	s_mov_b64 s[2:3], 0
.LBB94_610:
	s_andn2_b64 vcc, exec, s[2:3]
	s_cbranch_vccnz .LBB94_612
; %bb.611:
	global_load_dword v2, v[0:1], off
	s_waitcnt vmcnt(0)
	v_cvt_f32_f16_e32 v2, v2
	v_cvt_f64_f32_e32 v[2:3], v2
.LBB94_612:
	s_mov_b64 s[2:3], 0
.LBB94_613:
	s_andn2_b64 vcc, exec, s[2:3]
	s_cbranch_vccnz .LBB94_624
; %bb.614:
	s_cmp_lt_i32 s40, 6
	s_cbranch_scc1 .LBB94_617
; %bb.615:
	s_cmp_gt_i32 s40, 6
	s_cbranch_scc0 .LBB94_618
; %bb.616:
	global_load_dwordx2 v[2:3], v[0:1], off
	s_mov_b64 s[2:3], 0
	s_branch .LBB94_619
.LBB94_617:
	s_mov_b64 s[2:3], -1
                                        ; implicit-def: $vgpr2_vgpr3
	s_branch .LBB94_622
.LBB94_618:
	s_mov_b64 s[2:3], -1
                                        ; implicit-def: $vgpr2_vgpr3
.LBB94_619:
	s_andn2_b64 vcc, exec, s[2:3]
	s_cbranch_vccnz .LBB94_621
; %bb.620:
	global_load_dword v2, v[0:1], off
	s_waitcnt vmcnt(0)
	v_cvt_f64_f32_e32 v[2:3], v2
.LBB94_621:
	s_mov_b64 s[2:3], 0
.LBB94_622:
	s_andn2_b64 vcc, exec, s[2:3]
	s_cbranch_vccnz .LBB94_624
; %bb.623:
	global_load_ushort v2, v[0:1], off
	s_waitcnt vmcnt(0)
	v_cvt_f32_f16_e32 v2, v2
	v_cvt_f64_f32_e32 v[2:3], v2
.LBB94_624:
	s_mov_b64 s[2:3], 0
.LBB94_625:
	s_andn2_b64 vcc, exec, s[2:3]
	s_cbranch_vccnz .LBB94_645
; %bb.626:
	s_cmp_lt_i32 s40, 2
	s_cbranch_scc1 .LBB94_630
; %bb.627:
	s_cmp_lt_i32 s40, 3
	s_cbranch_scc1 .LBB94_631
; %bb.628:
	s_cmp_gt_i32 s40, 3
	s_cbranch_scc0 .LBB94_632
; %bb.629:
	global_load_dwordx2 v[2:3], v[0:1], off
	s_mov_b64 s[2:3], 0
	s_waitcnt vmcnt(0)
	v_cvt_f64_i32_e32 v[3:4], v3
	v_cvt_f64_u32_e32 v[5:6], v2
	v_ldexp_f64 v[3:4], v[3:4], 32
	v_add_f64 v[2:3], v[3:4], v[5:6]
	s_branch .LBB94_633
.LBB94_630:
	s_mov_b64 s[2:3], -1
                                        ; implicit-def: $vgpr2_vgpr3
	s_branch .LBB94_639
.LBB94_631:
	s_mov_b64 s[2:3], -1
                                        ; implicit-def: $vgpr2_vgpr3
	s_branch .LBB94_636
.LBB94_632:
	s_mov_b64 s[2:3], -1
                                        ; implicit-def: $vgpr2_vgpr3
.LBB94_633:
	s_andn2_b64 vcc, exec, s[2:3]
	s_cbranch_vccnz .LBB94_635
; %bb.634:
	global_load_dword v2, v[0:1], off
	s_waitcnt vmcnt(0)
	v_cvt_f64_i32_e32 v[2:3], v2
.LBB94_635:
	s_mov_b64 s[2:3], 0
.LBB94_636:
	s_andn2_b64 vcc, exec, s[2:3]
	s_cbranch_vccnz .LBB94_638
; %bb.637:
	global_load_sshort v2, v[0:1], off
	s_waitcnt vmcnt(0)
	v_cvt_f64_i32_e32 v[2:3], v2
.LBB94_638:
	s_mov_b64 s[2:3], 0
.LBB94_639:
	s_andn2_b64 vcc, exec, s[2:3]
	s_cbranch_vccnz .LBB94_645
; %bb.640:
	s_cmp_gt_i32 s40, 0
	s_cbranch_scc0 .LBB94_642
; %bb.641:
	global_load_sbyte v2, v[0:1], off
	s_mov_b64 s[2:3], 0
	s_waitcnt vmcnt(0)
	v_cvt_f64_i32_e32 v[2:3], v2
	s_branch .LBB94_643
.LBB94_642:
	s_mov_b64 s[2:3], -1
                                        ; implicit-def: $vgpr2_vgpr3
.LBB94_643:
	s_andn2_b64 vcc, exec, s[2:3]
	s_cbranch_vccnz .LBB94_645
; %bb.644:
	global_load_ubyte v0, v[0:1], off
	s_waitcnt vmcnt(0)
	v_cvt_f64_u32_e32 v[2:3], v0
.LBB94_645:
	s_mov_b64 s[2:3], -1
.LBB94_646:
	s_andn2_b64 vcc, exec, s[2:3]
	s_cbranch_vccnz .LBB94_654
; %bb.647:
	s_waitcnt vmcnt(0)
	v_cmp_eq_f64_e32 vcc, s[16:17], v[2:3]
	s_and_b32 s45, s33, 0xff
	s_cmp_lt_i32 s45, 11
	v_cndmask_b32_e64 v0, 0, 1, vcc
	v_cmp_neq_f64_e32 vcc, s[16:17], v[2:3]
	v_mul_lo_u32 v2, v10, s12
	v_mov_b32_e32 v3, s9
	v_cndmask_b32_e64 v1, 0, 1, vcc
	v_cndmask_b32_e64 v0, v1, v0, s[0:1]
	v_and_b32_e32 v0, 1, v0
	v_cmp_eq_u32_e64 s[2:3], 1, v0
	v_ashrrev_i32_e32 v1, 31, v2
	v_add_co_u32_e32 v0, vcc, s8, v2
	v_addc_co_u32_e32 v1, vcc, v3, v1, vcc
	s_cbranch_scc1 .LBB94_655
; %bb.648:
	s_and_b32 s46, 0xffff, s45
	s_cmp_gt_i32 s46, 25
	s_cbranch_scc0 .LBB94_656
; %bb.649:
	s_cmp_gt_i32 s46, 28
	s_cbranch_scc0 .LBB94_657
; %bb.650:
	;; [unrolled: 3-line block ×4, first 2 shown]
	s_mov_b64 s[40:41], 0
	s_mov_b64 s[4:5], -1
	s_cmp_eq_u32 s46, 46
	s_mov_b64 s[38:39], 0
	s_cbranch_scc0 .LBB94_660
; %bb.653:
	v_cndmask_b32_e64 v2, 0, 1.0, s[2:3]
	v_bfe_u32 v3, v2, 16, 1
	s_movk_i32 s4, 0x7fff
	v_add3_u32 v2, v2, v3, s4
	v_lshrrev_b32_e32 v2, 16, v2
	global_store_dword v[0:1], v2, off
	s_mov_b64 s[38:39], -1
	s_mov_b64 s[4:5], 0
	s_branch .LBB94_660
.LBB94_654:
	s_mov_b64 s[38:39], 0
                                        ; implicit-def: $vgpr10
	s_mov_b64 s[4:5], s[28:29]
	s_branch .LBB94_771
.LBB94_655:
	s_mov_b64 s[40:41], -1
	s_mov_b64 s[38:39], 0
	s_mov_b64 s[4:5], s[28:29]
	s_branch .LBB94_729
.LBB94_656:
	s_mov_b64 s[40:41], -1
	s_mov_b64 s[38:39], 0
	s_mov_b64 s[4:5], s[28:29]
	s_branch .LBB94_687
.LBB94_657:
	s_mov_b64 s[40:41], -1
	s_mov_b64 s[38:39], 0
	s_mov_b64 s[4:5], s[28:29]
	s_branch .LBB94_670
.LBB94_658:
	s_mov_b64 s[40:41], -1
	s_mov_b64 s[38:39], 0
	s_mov_b64 s[4:5], s[28:29]
	s_branch .LBB94_666
.LBB94_659:
	s_mov_b64 s[40:41], -1
	s_mov_b64 s[38:39], 0
	s_mov_b64 s[4:5], s[28:29]
.LBB94_660:
	s_and_b64 vcc, exec, s[40:41]
	s_cbranch_vccz .LBB94_665
; %bb.661:
	s_cmp_eq_u32 s46, 44
	s_mov_b64 s[4:5], -1
	s_cbranch_scc0 .LBB94_665
; %bb.662:
	v_cndmask_b32_e64 v3, 0, 1.0, s[2:3]
	v_lshrrev_b32_e32 v2, 23, v3
	s_movk_i32 s4, 0xff
	v_cmp_ne_u32_e32 vcc, s4, v2
	v_mov_b32_e32 v4, 0xff
	s_and_saveexec_b64 s[38:39], vcc
; %bb.663:
	s_mov_b32 s4, 0x3fffff
	v_and_b32_e32 v4, 0x400000, v3
	v_and_or_b32 v3, v3, s4, v2
	v_cmp_ne_u32_e32 vcc, 0, v4
	v_cmp_ne_u32_e64 s[4:5], 0, v3
	s_and_b64 s[4:5], vcc, s[4:5]
	v_cndmask_b32_e64 v3, 0, 1, s[4:5]
	v_add_u32_e32 v4, v2, v3
; %bb.664:
	s_or_b64 exec, exec, s[38:39]
	s_mov_b64 s[38:39], -1
	s_mov_b64 s[4:5], 0
	global_store_byte v[0:1], v4, off
.LBB94_665:
	s_mov_b64 s[40:41], 0
.LBB94_666:
	s_and_b64 vcc, exec, s[40:41]
	s_cbranch_vccz .LBB94_669
; %bb.667:
	s_cmp_eq_u32 s46, 29
	s_mov_b64 s[4:5], -1
	s_cbranch_scc0 .LBB94_669
; %bb.668:
	s_mov_b32 s4, 0
	v_cndmask_b32_e64 v2, 0, 1, s[2:3]
	v_mov_b32_e32 v3, s4
	global_store_dwordx2 v[0:1], v[2:3], off
	s_mov_b64 s[38:39], -1
	s_mov_b64 s[4:5], 0
.LBB94_669:
	s_mov_b64 s[40:41], 0
.LBB94_670:
	s_and_b64 vcc, exec, s[40:41]
	s_cbranch_vccz .LBB94_686
; %bb.671:
	s_cmp_lt_i32 s46, 27
	s_mov_b64 s[38:39], -1
	s_cbranch_scc1 .LBB94_677
; %bb.672:
	s_cmp_gt_i32 s46, 27
	s_cbranch_scc0 .LBB94_674
; %bb.673:
	v_cndmask_b32_e64 v2, 0, 1, s[2:3]
	s_mov_b64 s[38:39], 0
	global_store_dword v[0:1], v2, off
.LBB94_674:
	s_andn2_b64 vcc, exec, s[38:39]
	s_cbranch_vccnz .LBB94_676
; %bb.675:
	v_cndmask_b32_e64 v2, 0, 1, s[2:3]
	global_store_short v[0:1], v2, off
.LBB94_676:
	s_mov_b64 s[38:39], 0
.LBB94_677:
	s_andn2_b64 vcc, exec, s[38:39]
	s_cbranch_vccnz .LBB94_685
; %bb.678:
	v_cndmask_b32_e64 v3, 0, 1.0, s[2:3]
	s_mov_b32 s38, 0x43800000
	v_cmp_gt_u32_e32 vcc, s38, v3
	v_mov_b32_e32 v4, 0x80
	s_and_saveexec_b64 s[38:39], vcc
	s_cbranch_execz .LBB94_684
; %bb.679:
	s_mov_b32 s40, 0x3bffffff
	v_cmp_lt_u32_e32 vcc, s40, v3
	s_mov_b64 s[40:41], 0
                                        ; implicit-def: $vgpr2
	s_and_saveexec_b64 s[42:43], vcc
	s_xor_b64 s[42:43], exec, s[42:43]
	s_cbranch_execz .LBB94_785
; %bb.680:
	v_bfe_u32 v2, v3, 20, 1
	s_mov_b32 s47, 0x487ffff
	v_add3_u32 v2, v3, v2, s47
	s_mov_b64 s[40:41], exec
	v_lshrrev_b32_e32 v2, 20, v2
                                        ; implicit-def: $vgpr3
	s_andn2_saveexec_b64 s[42:43], s[42:43]
	s_cbranch_execnz .LBB94_786
.LBB94_681:
	s_or_b64 exec, exec, s[42:43]
	v_mov_b32_e32 v4, 0
	s_and_saveexec_b64 s[42:43], s[40:41]
.LBB94_682:
	v_mov_b32_e32 v4, v2
.LBB94_683:
	s_or_b64 exec, exec, s[42:43]
.LBB94_684:
	s_or_b64 exec, exec, s[38:39]
	global_store_byte v[0:1], v4, off
.LBB94_685:
	s_mov_b64 s[38:39], -1
.LBB94_686:
	s_mov_b64 s[40:41], 0
.LBB94_687:
	s_and_b64 vcc, exec, s[40:41]
	s_cbranch_vccz .LBB94_728
; %bb.688:
	s_cmp_gt_i32 s46, 22
	s_mov_b64 s[40:41], -1
	s_cbranch_scc0 .LBB94_720
; %bb.689:
	s_cmp_lt_i32 s46, 24
	s_mov_b64 s[38:39], -1
	s_cbranch_scc1 .LBB94_709
; %bb.690:
	s_cmp_gt_i32 s46, 24
	s_cbranch_scc0 .LBB94_698
; %bb.691:
	v_cndmask_b32_e64 v3, 0, 1.0, s[2:3]
	s_mov_b32 s38, 0x47800000
	v_cmp_gt_u32_e32 vcc, s38, v3
	v_mov_b32_e32 v4, 0x80
	s_and_saveexec_b64 s[38:39], vcc
	s_cbranch_execz .LBB94_697
; %bb.692:
	s_mov_b32 s40, 0x37ffffff
	v_cmp_lt_u32_e32 vcc, s40, v3
	s_mov_b64 s[40:41], 0
                                        ; implicit-def: $vgpr2
	s_and_saveexec_b64 s[42:43], vcc
	s_xor_b64 s[42:43], exec, s[42:43]
	s_cbranch_execz .LBB94_788
; %bb.693:
	v_bfe_u32 v2, v3, 21, 1
	s_mov_b32 s47, 0x88fffff
	v_add3_u32 v2, v3, v2, s47
	s_mov_b64 s[40:41], exec
	v_lshrrev_b32_e32 v2, 21, v2
                                        ; implicit-def: $vgpr3
	s_andn2_saveexec_b64 s[42:43], s[42:43]
	s_cbranch_execnz .LBB94_789
.LBB94_694:
	s_or_b64 exec, exec, s[42:43]
	v_mov_b32_e32 v4, 0
	s_and_saveexec_b64 s[42:43], s[40:41]
.LBB94_695:
	v_mov_b32_e32 v4, v2
.LBB94_696:
	s_or_b64 exec, exec, s[42:43]
.LBB94_697:
	s_or_b64 exec, exec, s[38:39]
	s_mov_b64 s[38:39], 0
	global_store_byte v[0:1], v4, off
.LBB94_698:
	s_and_b64 vcc, exec, s[38:39]
	s_cbranch_vccz .LBB94_708
; %bb.699:
	v_cndmask_b32_e64 v2, 0, 1.0, s[2:3]
	s_mov_b32 s38, 0x43f00000
	v_cmp_gt_u32_e32 vcc, s38, v2
                                        ; implicit-def: $vgpr3
	s_and_saveexec_b64 s[38:39], vcc
	s_xor_b64 s[38:39], exec, s[38:39]
	s_cbranch_execz .LBB94_705
; %bb.700:
	s_mov_b32 s40, 0x3c7fffff
	v_cmp_lt_u32_e32 vcc, s40, v2
                                        ; implicit-def: $vgpr3
	s_and_saveexec_b64 s[40:41], vcc
	s_xor_b64 s[40:41], exec, s[40:41]
; %bb.701:
	v_bfe_u32 v3, v2, 20, 1
	s_mov_b32 s42, 0x407ffff
	v_add3_u32 v2, v2, v3, s42
	v_lshrrev_b32_e32 v3, 20, v2
	v_and_b32_e32 v2, 0xff00000, v2
	s_mov_b32 s42, 0x7f00000
	v_mov_b32_e32 v4, 0x7e
	v_cmp_ne_u32_e32 vcc, s42, v2
	v_cndmask_b32_e32 v3, v4, v3, vcc
                                        ; implicit-def: $vgpr2
; %bb.702:
	s_andn2_saveexec_b64 s[40:41], s[40:41]
; %bb.703:
	v_add_f32_e32 v3, 0x46800000, v2
; %bb.704:
	s_or_b64 exec, exec, s[40:41]
                                        ; implicit-def: $vgpr2
.LBB94_705:
	s_andn2_saveexec_b64 s[38:39], s[38:39]
; %bb.706:
	s_mov_b32 s40, 0x7f800000
	v_mov_b32_e32 v3, 0x7e
	v_mov_b32_e32 v4, 0x7f
	v_cmp_lt_u32_e32 vcc, s40, v2
	v_cndmask_b32_e32 v3, v3, v4, vcc
; %bb.707:
	s_or_b64 exec, exec, s[38:39]
	global_store_byte v[0:1], v3, off
.LBB94_708:
	s_mov_b64 s[38:39], 0
.LBB94_709:
	s_andn2_b64 vcc, exec, s[38:39]
	s_cbranch_vccnz .LBB94_719
; %bb.710:
	v_cndmask_b32_e64 v2, 0, 1.0, s[2:3]
	s_mov_b32 s38, 0x47800000
	v_cmp_gt_u32_e32 vcc, s38, v2
                                        ; implicit-def: $vgpr3
	s_and_saveexec_b64 s[38:39], vcc
	s_xor_b64 s[38:39], exec, s[38:39]
	s_cbranch_execz .LBB94_716
; %bb.711:
	s_mov_b32 s40, 0x387fffff
	v_cmp_lt_u32_e32 vcc, s40, v2
                                        ; implicit-def: $vgpr3
	s_and_saveexec_b64 s[40:41], vcc
	s_xor_b64 s[40:41], exec, s[40:41]
; %bb.712:
	v_bfe_u32 v3, v2, 21, 1
	s_mov_b32 s42, 0x80fffff
	v_add3_u32 v2, v2, v3, s42
	v_lshrrev_b32_e32 v3, 21, v2
                                        ; implicit-def: $vgpr2
; %bb.713:
	s_andn2_saveexec_b64 s[40:41], s[40:41]
; %bb.714:
	v_add_f32_e32 v3, 0x43000000, v2
; %bb.715:
	s_or_b64 exec, exec, s[40:41]
                                        ; implicit-def: $vgpr2
.LBB94_716:
	s_andn2_saveexec_b64 s[38:39], s[38:39]
; %bb.717:
	s_mov_b32 s40, 0x7f800000
	v_mov_b32_e32 v3, 0x7c
	v_mov_b32_e32 v4, 0x7f
	v_cmp_lt_u32_e32 vcc, s40, v2
	v_cndmask_b32_e32 v3, v3, v4, vcc
; %bb.718:
	s_or_b64 exec, exec, s[38:39]
	global_store_byte v[0:1], v3, off
.LBB94_719:
	s_mov_b64 s[40:41], 0
	s_mov_b64 s[38:39], -1
.LBB94_720:
	s_andn2_b64 vcc, exec, s[40:41]
	s_cbranch_vccnz .LBB94_728
; %bb.721:
	s_cmp_gt_i32 s46, 14
	s_mov_b64 s[40:41], -1
	s_cbranch_scc0 .LBB94_725
; %bb.722:
	s_cmp_eq_u32 s46, 15
	s_mov_b64 s[4:5], -1
	s_cbranch_scc0 .LBB94_724
; %bb.723:
	v_cndmask_b32_e64 v2, 0, 1.0, s[2:3]
	v_bfe_u32 v3, v2, 16, 1
	s_movk_i32 s4, 0x7fff
	v_add3_u32 v2, v2, v3, s4
	global_store_short_d16_hi v[0:1], v2, off
	s_mov_b64 s[38:39], -1
	s_mov_b64 s[4:5], 0
.LBB94_724:
	s_mov_b64 s[40:41], 0
.LBB94_725:
	s_and_b64 vcc, exec, s[40:41]
	s_cbranch_vccz .LBB94_728
; %bb.726:
	s_cmp_eq_u32 s46, 11
	s_mov_b64 s[4:5], -1
	s_cbranch_scc0 .LBB94_728
; %bb.727:
	v_cndmask_b32_e64 v2, 0, 1, s[2:3]
	s_mov_b64 s[38:39], -1
	s_mov_b64 s[4:5], 0
	global_store_byte v[0:1], v2, off
.LBB94_728:
	s_mov_b64 s[40:41], 0
.LBB94_729:
	s_and_b64 vcc, exec, s[40:41]
	s_cbranch_vccz .LBB94_768
; %bb.730:
	s_and_b32 s40, 0xffff, s45
	s_cmp_lt_i32 s40, 5
	s_mov_b64 s[38:39], -1
	s_cbranch_scc1 .LBB94_751
; %bb.731:
	s_cmp_lt_i32 s40, 8
	s_cbranch_scc1 .LBB94_741
; %bb.732:
	s_cmp_lt_i32 s40, 9
	s_cbranch_scc1 .LBB94_738
; %bb.733:
	s_cmp_gt_i32 s40, 9
	s_cbranch_scc0 .LBB94_735
; %bb.734:
	v_cndmask_b32_e64 v2, 0, 1, s[2:3]
	v_cvt_f64_u32_e32 v[2:3], v2
	v_mov_b32_e32 v4, 0
	v_mov_b32_e32 v5, v4
	s_mov_b64 s[38:39], 0
	global_store_dwordx4 v[0:1], v[2:5], off
.LBB94_735:
	s_andn2_b64 vcc, exec, s[38:39]
	s_cbranch_vccnz .LBB94_737
; %bb.736:
	v_cndmask_b32_e64 v2, 0, 1.0, s[2:3]
	v_mov_b32_e32 v3, 0
	global_store_dwordx2 v[0:1], v[2:3], off
.LBB94_737:
	s_mov_b64 s[38:39], 0
.LBB94_738:
	s_andn2_b64 vcc, exec, s[38:39]
	s_cbranch_vccnz .LBB94_740
; %bb.739:
	v_cndmask_b32_e64 v2, 0, 1.0, s[2:3]
	v_cvt_f16_f32_e32 v2, v2
	global_store_dword v[0:1], v2, off
.LBB94_740:
	s_mov_b64 s[38:39], 0
.LBB94_741:
	s_andn2_b64 vcc, exec, s[38:39]
	s_cbranch_vccnz .LBB94_750
; %bb.742:
	s_cmp_lt_i32 s40, 6
	s_mov_b64 s[38:39], -1
	s_cbranch_scc1 .LBB94_748
; %bb.743:
	s_cmp_gt_i32 s40, 6
	s_cbranch_scc0 .LBB94_745
; %bb.744:
	v_cndmask_b32_e64 v2, 0, 1, s[2:3]
	v_cvt_f64_u32_e32 v[2:3], v2
	s_mov_b64 s[38:39], 0
	global_store_dwordx2 v[0:1], v[2:3], off
.LBB94_745:
	s_andn2_b64 vcc, exec, s[38:39]
	s_cbranch_vccnz .LBB94_747
; %bb.746:
	v_cndmask_b32_e64 v2, 0, 1.0, s[2:3]
	global_store_dword v[0:1], v2, off
.LBB94_747:
	s_mov_b64 s[38:39], 0
.LBB94_748:
	s_andn2_b64 vcc, exec, s[38:39]
	s_cbranch_vccnz .LBB94_750
; %bb.749:
	v_cndmask_b32_e64 v2, 0, 1.0, s[2:3]
	v_cvt_f16_f32_e32 v2, v2
	global_store_short v[0:1], v2, off
.LBB94_750:
	s_mov_b64 s[38:39], 0
.LBB94_751:
	s_andn2_b64 vcc, exec, s[38:39]
	s_cbranch_vccnz .LBB94_767
; %bb.752:
	s_cmp_lt_i32 s40, 2
	s_mov_b64 s[38:39], -1
	s_cbranch_scc1 .LBB94_762
; %bb.753:
	s_cmp_lt_i32 s40, 3
	s_cbranch_scc1 .LBB94_759
; %bb.754:
	s_cmp_gt_i32 s40, 3
	s_cbranch_scc0 .LBB94_756
; %bb.755:
	s_mov_b32 s38, 0
	v_cndmask_b32_e64 v2, 0, 1, s[2:3]
	v_mov_b32_e32 v3, s38
	s_mov_b64 s[38:39], 0
	global_store_dwordx2 v[0:1], v[2:3], off
.LBB94_756:
	s_andn2_b64 vcc, exec, s[38:39]
	s_cbranch_vccnz .LBB94_758
; %bb.757:
	v_cndmask_b32_e64 v2, 0, 1, s[2:3]
	global_store_dword v[0:1], v2, off
.LBB94_758:
	s_mov_b64 s[38:39], 0
.LBB94_759:
	s_andn2_b64 vcc, exec, s[38:39]
	s_cbranch_vccnz .LBB94_761
; %bb.760:
	v_cndmask_b32_e64 v2, 0, 1, s[2:3]
	global_store_short v[0:1], v2, off
.LBB94_761:
	s_mov_b64 s[38:39], 0
.LBB94_762:
	s_andn2_b64 vcc, exec, s[38:39]
	s_cbranch_vccnz .LBB94_767
; %bb.763:
	s_mov_b64 s[38:39], -1
	s_cmp_gt_i32 s40, 0
	v_cndmask_b32_e64 v2, 0, 1, s[2:3]
	s_cbranch_scc0 .LBB94_765
; %bb.764:
	s_mov_b64 s[38:39], 0
	global_store_byte v[0:1], v2, off
.LBB94_765:
	s_andn2_b64 vcc, exec, s[38:39]
	s_cbranch_vccnz .LBB94_767
; %bb.766:
	global_store_byte v[0:1], v2, off
.LBB94_767:
	s_mov_b64 s[38:39], -1
.LBB94_768:
	s_andn2_b64 vcc, exec, s[38:39]
	s_cbranch_vccnz .LBB94_770
; %bb.769:
	v_add_u32_e32 v10, 0x80, v10
	s_mov_b64 s[38:39], -1
	s_branch .LBB94_771
.LBB94_770:
	s_mov_b64 s[38:39], 0
                                        ; implicit-def: $vgpr10
.LBB94_771:
	s_andn2_b64 s[2:3], s[28:29], exec
	s_and_b64 s[4:5], s[4:5], exec
	s_or_b64 s[4:5], s[2:3], s[4:5]
	s_andn2_b64 s[2:3], s[26:27], exec
	s_and_b64 s[36:37], s[36:37], exec
	s_or_b64 s[2:3], s[2:3], s[36:37]
	s_orn2_b64 s[40:41], s[38:39], exec
.LBB94_772:
	s_or_b64 exec, exec, s[34:35]
	s_mov_b64 s[38:39], 0
	s_mov_b64 s[42:43], 0
	;; [unrolled: 1-line block ×3, first 2 shown]
                                        ; implicit-def: $vgpr0_vgpr1
                                        ; implicit-def: $vgpr2_vgpr3
	s_and_saveexec_b64 s[34:35], s[40:41]
	s_cbranch_execz .LBB94_857
; %bb.773:
	v_cmp_gt_i32_e32 vcc, s44, v10
	s_mov_b64 s[40:41], 0
	s_mov_b64 s[44:45], s[2:3]
	;; [unrolled: 1-line block ×3, first 2 shown]
                                        ; implicit-def: $vgpr0_vgpr1
                                        ; implicit-def: $vgpr2_vgpr3
	s_and_saveexec_b64 s[36:37], vcc
	s_cbranch_execz .LBB94_856
; %bb.774:
	v_mul_lo_u32 v0, v10, s13
	v_mov_b32_e32 v1, s11
	s_and_b32 s48, 0xffff, s15
	s_cmp_lt_i32 s48, 11
	s_waitcnt vmcnt(0)
	v_ashrrev_i32_e32 v2, 31, v0
	v_add_co_u32_e32 v0, vcc, s10, v0
	v_addc_co_u32_e32 v1, vcc, v1, v2, vcc
	s_cbranch_scc1 .LBB94_781
; %bb.775:
	s_cmp_gt_i32 s48, 25
	s_cbranch_scc0 .LBB94_782
; %bb.776:
	s_cmp_gt_i32 s48, 28
	s_cbranch_scc0 .LBB94_783
	;; [unrolled: 3-line block ×4, first 2 shown]
; %bb.779:
	s_cmp_eq_u32 s48, 46
	s_mov_b64 s[44:45], 0
	s_cbranch_scc0 .LBB94_790
; %bb.780:
	global_load_dword v2, v[0:1], off
	s_mov_b64 s[42:43], -1
	s_waitcnt vmcnt(0)
	v_lshlrev_b32_e32 v2, 16, v2
	v_cvt_f64_f32_e32 v[2:3], v2
	s_branch .LBB94_792
.LBB94_781:
	s_mov_b64 s[44:45], -1
                                        ; implicit-def: $vgpr2_vgpr3
	s_mov_b64 s[38:39], s[2:3]
	s_branch .LBB94_855
.LBB94_782:
	s_mov_b64 s[44:45], -1
	s_mov_b64 s[38:39], s[2:3]
                                        ; implicit-def: $vgpr2_vgpr3
	s_branch .LBB94_823
.LBB94_783:
	s_mov_b64 s[44:45], -1
	s_mov_b64 s[38:39], s[2:3]
                                        ; implicit-def: $vgpr2_vgpr3
	s_branch .LBB94_802
.LBB94_784:
	s_mov_b64 s[44:45], -1
	s_mov_b64 s[38:39], s[2:3]
                                        ; implicit-def: $vgpr2_vgpr3
	s_branch .LBB94_797
.LBB94_785:
	s_andn2_saveexec_b64 s[42:43], s[42:43]
	s_cbranch_execz .LBB94_681
.LBB94_786:
	v_add_f32_e32 v2, 0x46000000, v3
	v_and_b32_e32 v2, 0xff, v2
	v_cmp_ne_u32_e32 vcc, 0, v2
	s_andn2_b64 s[40:41], s[40:41], exec
	s_and_b64 s[48:49], vcc, exec
	s_or_b64 s[40:41], s[40:41], s[48:49]
	s_or_b64 exec, exec, s[42:43]
	v_mov_b32_e32 v4, 0
	s_and_saveexec_b64 s[42:43], s[40:41]
	s_cbranch_execnz .LBB94_682
	s_branch .LBB94_683
.LBB94_787:
	s_mov_b64 s[44:45], -1
	s_mov_b64 s[38:39], s[2:3]
	s_branch .LBB94_791
.LBB94_788:
	s_andn2_saveexec_b64 s[42:43], s[42:43]
	s_cbranch_execz .LBB94_694
.LBB94_789:
	v_add_f32_e32 v2, 0x42800000, v3
	v_and_b32_e32 v2, 0xff, v2
	v_cmp_ne_u32_e32 vcc, 0, v2
	s_andn2_b64 s[40:41], s[40:41], exec
	s_and_b64 s[48:49], vcc, exec
	s_or_b64 s[40:41], s[40:41], s[48:49]
	s_or_b64 exec, exec, s[42:43]
	v_mov_b32_e32 v4, 0
	s_and_saveexec_b64 s[42:43], s[40:41]
	s_cbranch_execnz .LBB94_695
	s_branch .LBB94_696
.LBB94_790:
	s_mov_b64 s[38:39], -1
.LBB94_791:
                                        ; implicit-def: $vgpr2_vgpr3
.LBB94_792:
	s_and_b64 vcc, exec, s[44:45]
	s_cbranch_vccz .LBB94_796
; %bb.793:
	s_cmp_eq_u32 s48, 44
	s_cbranch_scc0 .LBB94_795
; %bb.794:
	global_load_ubyte v4, v[0:1], off
	s_movk_i32 s42, 0xff
	v_bfrev_b32_e32 v5, 4
	v_mov_b32_e32 v6, 0x7ff80000
	v_bfrev_b32_e32 v7, 28
	s_mov_b64 s[38:39], 0
	s_waitcnt vmcnt(0)
	v_lshlrev_b32_e32 v2, 23, v4
	v_cvt_f64_f32_e32 v[2:3], v2
	v_cmp_ne_u32_e32 vcc, s42, v4
	s_mov_b64 s[42:43], -1
	v_cndmask_b32_e32 v2, v5, v2, vcc
	v_cndmask_b32_e32 v3, v6, v3, vcc
	v_cmp_ne_u32_e32 vcc, 0, v4
	v_cndmask_b32_e32 v3, v7, v3, vcc
	v_cndmask_b32_e32 v2, 0, v2, vcc
	s_branch .LBB94_796
.LBB94_795:
	s_mov_b64 s[38:39], -1
                                        ; implicit-def: $vgpr2_vgpr3
.LBB94_796:
	s_mov_b64 s[44:45], 0
.LBB94_797:
	s_and_b64 vcc, exec, s[44:45]
	s_cbranch_vccz .LBB94_801
; %bb.798:
	s_cmp_eq_u32 s48, 29
	s_cbranch_scc0 .LBB94_800
; %bb.799:
	global_load_dwordx2 v[2:3], v[0:1], off
	s_mov_b64 s[38:39], 0
	s_mov_b64 s[42:43], -1
	s_mov_b64 s[44:45], 0
	s_waitcnt vmcnt(0)
	v_cvt_f64_u32_e32 v[3:4], v3
	v_cvt_f64_u32_e32 v[5:6], v2
	v_ldexp_f64 v[3:4], v[3:4], 32
	v_add_f64 v[2:3], v[3:4], v[5:6]
	s_branch .LBB94_802
.LBB94_800:
	s_mov_b64 s[38:39], -1
                                        ; implicit-def: $vgpr2_vgpr3
.LBB94_801:
	s_mov_b64 s[44:45], 0
.LBB94_802:
	s_and_b64 vcc, exec, s[44:45]
	s_cbranch_vccz .LBB94_822
; %bb.803:
	s_cmp_lt_i32 s48, 27
	s_cbranch_scc1 .LBB94_806
; %bb.804:
	s_cmp_gt_i32 s48, 27
	s_cbranch_scc0 .LBB94_807
; %bb.805:
	global_load_dword v2, v[0:1], off
	s_mov_b64 s[42:43], 0
	s_waitcnt vmcnt(0)
	v_cvt_f64_u32_e32 v[2:3], v2
	s_branch .LBB94_808
.LBB94_806:
	s_mov_b64 s[42:43], -1
                                        ; implicit-def: $vgpr2_vgpr3
	s_branch .LBB94_811
.LBB94_807:
	s_mov_b64 s[42:43], -1
                                        ; implicit-def: $vgpr2_vgpr3
.LBB94_808:
	s_andn2_b64 vcc, exec, s[42:43]
	s_cbranch_vccnz .LBB94_810
; %bb.809:
	global_load_ushort v2, v[0:1], off
	s_waitcnt vmcnt(0)
	v_cvt_f64_u32_e32 v[2:3], v2
.LBB94_810:
	s_mov_b64 s[42:43], 0
.LBB94_811:
	s_andn2_b64 vcc, exec, s[42:43]
	s_cbranch_vccnz .LBB94_821
; %bb.812:
	global_load_ubyte v4, v[0:1], off
	s_movk_i32 s42, 0x7f
	s_waitcnt vmcnt(0)
	v_cmp_lt_i16_e32 vcc, s42, v4
	s_mov_b64 s[42:43], 0
	s_and_saveexec_b64 s[44:45], vcc
	s_xor_b64 s[44:45], exec, s[44:45]
	s_cbranch_execz .LBB94_816
; %bb.813:
	s_movk_i32 s42, 0x80
	v_cmp_eq_u16_e32 vcc, s42, v4
	s_mov_b64 s[42:43], -1
	s_and_saveexec_b64 s[46:47], vcc
; %bb.814:
	s_xor_b64 s[42:43], exec, -1
; %bb.815:
	s_or_b64 exec, exec, s[46:47]
	s_and_b64 s[42:43], s[42:43], exec
.LBB94_816:
	s_or_saveexec_b64 s[44:45], s[44:45]
	v_bfrev_b32_e32 v2, 4
	v_mov_b32_e32 v3, 0x7ff80000
	s_xor_b64 exec, exec, s[44:45]
; %bb.817:
	v_cmp_ne_u16_e32 vcc, 0, v4
	v_mov_b32_e32 v2, 0
	s_andn2_b64 s[42:43], s[42:43], exec
	s_and_b64 s[46:47], vcc, exec
	v_mov_b32_e32 v3, 0
	s_or_b64 s[42:43], s[42:43], s[46:47]
; %bb.818:
	s_or_b64 exec, exec, s[44:45]
	s_and_saveexec_b64 s[44:45], s[42:43]
	s_cbranch_execz .LBB94_820
; %bb.819:
	v_and_b32_e32 v3, 0xffff, v4
	v_lshlrev_b32_e32 v2, 24, v4
	v_and_b32_e32 v4, 7, v3
	v_ffbh_u32_e32 v6, v4
	v_min_u32_e32 v6, 32, v6
	v_subrev_u32_e32 v7, 28, v6
	v_bfe_u32 v5, v3, 3, 4
	v_lshlrev_b32_e32 v3, v7, v3
	v_sub_u32_e32 v6, 29, v6
	v_and_b32_e32 v3, 7, v3
	v_cmp_eq_u32_e32 vcc, 0, v5
	v_cndmask_b32_e32 v5, v5, v6, vcc
	v_cndmask_b32_e32 v3, v4, v3, vcc
	v_mov_b32_e32 v4, 0x3b800000
	v_lshlrev_b32_e32 v3, 20, v3
	v_and_b32_e32 v2, 0x80000000, v2
	v_lshl_add_u32 v4, v5, 23, v4
	v_or3_b32 v2, v2, v4, v3
	v_cvt_f64_f32_e32 v[2:3], v2
.LBB94_820:
	s_or_b64 exec, exec, s[44:45]
.LBB94_821:
	s_mov_b64 s[42:43], -1
.LBB94_822:
	s_mov_b64 s[44:45], 0
.LBB94_823:
	s_and_b64 vcc, exec, s[44:45]
	s_cbranch_vccz .LBB94_854
; %bb.824:
	s_cmp_gt_i32 s48, 22
	s_cbranch_scc0 .LBB94_836
; %bb.825:
	s_cmp_lt_i32 s48, 24
	s_cbranch_scc1 .LBB94_837
; %bb.826:
	s_cmp_gt_i32 s48, 24
	s_cbranch_scc0 .LBB94_838
; %bb.827:
	global_load_ubyte v4, v[0:1], off
	s_movk_i32 s40, 0x7f
	s_waitcnt vmcnt(0)
	v_cmp_lt_i16_e32 vcc, s40, v4
	s_mov_b64 s[40:41], 0
	s_and_saveexec_b64 s[42:43], vcc
	s_xor_b64 s[42:43], exec, s[42:43]
	s_cbranch_execz .LBB94_831
; %bb.828:
	s_movk_i32 s40, 0x80
	v_cmp_eq_u16_e32 vcc, s40, v4
	s_mov_b64 s[40:41], -1
	s_and_saveexec_b64 s[44:45], vcc
; %bb.829:
	s_xor_b64 s[40:41], exec, -1
; %bb.830:
	s_or_b64 exec, exec, s[44:45]
	s_and_b64 s[40:41], s[40:41], exec
.LBB94_831:
	s_or_saveexec_b64 s[42:43], s[42:43]
	v_bfrev_b32_e32 v2, 4
	v_mov_b32_e32 v3, 0x7ff80000
	s_xor_b64 exec, exec, s[42:43]
; %bb.832:
	v_cmp_ne_u16_e32 vcc, 0, v4
	v_mov_b32_e32 v2, 0
	s_andn2_b64 s[40:41], s[40:41], exec
	s_and_b64 s[44:45], vcc, exec
	v_mov_b32_e32 v3, 0
	s_or_b64 s[40:41], s[40:41], s[44:45]
; %bb.833:
	s_or_b64 exec, exec, s[42:43]
	s_and_saveexec_b64 s[42:43], s[40:41]
	s_cbranch_execz .LBB94_835
; %bb.834:
	v_and_b32_e32 v3, 0xffff, v4
	v_lshlrev_b32_e32 v2, 24, v4
	v_and_b32_e32 v4, 3, v3
	v_ffbh_u32_e32 v6, v4
	v_min_u32_e32 v6, 32, v6
	v_subrev_u32_e32 v7, 29, v6
	v_bfe_u32 v5, v3, 2, 5
	v_lshlrev_b32_e32 v3, v7, v3
	v_sub_u32_e32 v6, 30, v6
	v_and_b32_e32 v3, 3, v3
	v_cmp_eq_u32_e32 vcc, 0, v5
	v_cndmask_b32_e32 v5, v5, v6, vcc
	v_cndmask_b32_e32 v3, v4, v3, vcc
	v_mov_b32_e32 v4, 0x37800000
	v_lshlrev_b32_e32 v3, 21, v3
	v_and_b32_e32 v2, 0x80000000, v2
	v_lshl_add_u32 v4, v5, 23, v4
	v_or3_b32 v2, v2, v4, v3
	v_cvt_f64_f32_e32 v[2:3], v2
.LBB94_835:
	s_or_b64 exec, exec, s[42:43]
	s_mov_b64 s[40:41], 0
	s_branch .LBB94_839
.LBB94_836:
	s_mov_b64 s[40:41], -1
                                        ; implicit-def: $vgpr2_vgpr3
	s_branch .LBB94_845
.LBB94_837:
	s_mov_b64 s[40:41], -1
                                        ; implicit-def: $vgpr2_vgpr3
	s_branch .LBB94_842
.LBB94_838:
	s_mov_b64 s[40:41], -1
                                        ; implicit-def: $vgpr2_vgpr3
.LBB94_839:
	s_and_b64 vcc, exec, s[40:41]
	s_cbranch_vccz .LBB94_841
; %bb.840:
	global_load_ubyte v2, v[0:1], off
	s_mov_b32 s40, 0x7f800000
	s_waitcnt vmcnt(0)
	v_lshlrev_b32_e32 v2, 24, v2
	v_and_b32_e32 v3, 0x7f000000, v2
	v_ffbh_u32_e32 v4, v3
	v_min_u32_e32 v4, 32, v4
	v_sub_u32_e64 v4, v4, 4 clamp
	v_lshlrev_b32_e32 v6, v4, v3
	v_lshlrev_b32_e32 v4, 23, v4
	v_lshrrev_b32_e32 v6, 4, v6
	v_add_u32_e32 v5, 0x1000000, v3
	v_sub_u32_e32 v4, v6, v4
	v_ashrrev_i32_e32 v5, 8, v5
	v_add_u32_e32 v4, 0x3c000000, v4
	v_and_or_b32 v4, v5, s40, v4
	v_cmp_ne_u32_e32 vcc, 0, v3
	v_cndmask_b32_e32 v3, 0, v4, vcc
	s_brev_b32 s40, 1
	v_and_or_b32 v2, v2, s40, v3
	v_cvt_f64_f32_e32 v[2:3], v2
.LBB94_841:
	s_mov_b64 s[40:41], 0
.LBB94_842:
	s_andn2_b64 vcc, exec, s[40:41]
	s_cbranch_vccnz .LBB94_844
; %bb.843:
	global_load_ubyte v2, v[0:1], off
	s_movk_i32 s40, 0x7f00
	s_brev_b32 s41, 16
	s_waitcnt vmcnt(0)
	v_lshlrev_b16_e32 v3, 8, v2
	v_lshlrev_b32_e32 v2, 25, v2
	v_lshrrev_b32_e32 v4, 4, v2
	v_and_or_b32 v5, v3, s40, 0.5
	v_or_b32_e32 v4, 0x70000000, v4
	v_add_f32_e32 v5, -0.5, v5
	v_mul_f32_e32 v4, 0x7800000, v4
	v_cmp_gt_u32_e32 vcc, s41, v2
	v_bfe_i32 v3, v3, 0, 16
	v_cndmask_b32_e32 v2, v4, v5, vcc
	s_brev_b32 s40, 1
	v_and_or_b32 v2, v3, s40, v2
	v_cvt_f64_f32_e32 v[2:3], v2
.LBB94_844:
	s_mov_b64 s[40:41], 0
	s_mov_b64 s[42:43], -1
.LBB94_845:
	s_andn2_b64 vcc, exec, s[40:41]
	s_mov_b64 s[40:41], 0
	s_cbranch_vccnz .LBB94_854
; %bb.846:
	s_cmp_gt_i32 s48, 14
	s_cbranch_scc0 .LBB94_849
; %bb.847:
	s_cmp_eq_u32 s48, 15
	s_cbranch_scc0 .LBB94_850
; %bb.848:
	global_load_ushort v2, v[0:1], off
	s_mov_b64 s[38:39], 0
	s_mov_b64 s[42:43], -1
	s_waitcnt vmcnt(0)
	v_lshlrev_b32_e32 v2, 16, v2
	v_cvt_f64_f32_e32 v[2:3], v2
	s_branch .LBB94_851
.LBB94_849:
	s_mov_b64 s[44:45], -1
                                        ; implicit-def: $vgpr2_vgpr3
	s_branch .LBB94_852
.LBB94_850:
	s_mov_b64 s[38:39], -1
                                        ; implicit-def: $vgpr2_vgpr3
.LBB94_851:
	s_mov_b64 s[44:45], 0
.LBB94_852:
	s_and_b64 vcc, exec, s[44:45]
	s_cbranch_vccz .LBB94_854
; %bb.853:
	s_cmp_lg_u32 s48, 11
	s_cselect_b64 s[44:45], -1, 0
	s_andn2_b64 s[38:39], s[38:39], exec
	s_and_b64 s[44:45], s[44:45], exec
	s_mov_b64 s[40:41], -1
	s_or_b64 s[38:39], s[38:39], s[44:45]
.LBB94_854:
	s_mov_b64 s[44:45], 0
.LBB94_855:
	s_and_b64 s[46:47], s[42:43], exec
	s_and_b64 s[42:43], s[44:45], exec
	s_andn2_b64 s[44:45], s[2:3], exec
	s_and_b64 s[38:39], s[38:39], exec
	s_and_b64 s[40:41], s[40:41], exec
	s_or_b64 s[44:45], s[44:45], s[38:39]
.LBB94_856:
	s_or_b64 exec, exec, s[36:37]
	s_and_b64 s[38:39], s[40:41], exec
	s_andn2_b64 s[2:3], s[2:3], exec
	s_and_b64 s[40:41], s[44:45], exec
	s_and_b64 s[36:37], s[46:47], exec
	;; [unrolled: 1-line block ×3, first 2 shown]
	s_or_b64 s[2:3], s[2:3], s[40:41]
.LBB94_857:
	s_or_b64 exec, exec, s[34:35]
	s_andn2_b64 s[28:29], s[28:29], exec
	s_and_b64 s[4:5], s[4:5], exec
	s_andn2_b64 s[26:27], s[26:27], exec
	s_and_b64 s[2:3], s[2:3], exec
	s_or_b64 s[28:29], s[28:29], s[4:5]
	s_and_b64 s[36:37], s[36:37], exec
	s_and_b64 s[34:35], s[42:43], exec
	;; [unrolled: 1-line block ×3, first 2 shown]
	s_or_b64 s[26:27], s[26:27], s[2:3]
.LBB94_858:
	s_or_b64 exec, exec, s[30:31]
	s_andn2_b64 s[2:3], s[20:21], exec
	s_and_b64 s[20:21], s[28:29], exec
	s_or_b64 s[20:21], s[2:3], s[20:21]
	s_and_b64 s[28:29], s[4:5], exec
	s_andn2_b64 s[2:3], s[22:23], exec
	s_and_b64 s[4:5], s[26:27], exec
	s_and_b64 s[30:31], s[36:37], exec
	;; [unrolled: 1-line block ×3, first 2 shown]
	s_or_b64 s[22:23], s[2:3], s[4:5]
	s_or_b64 exec, exec, s[24:25]
	s_mov_b64 s[2:3], 0
	s_and_saveexec_b64 s[4:5], s[22:23]
	s_cbranch_execz .LBB94_262
.LBB94_859:
	s_mov_b64 s[2:3], exec
	s_andn2_b64 s[28:29], s[28:29], exec
	s_trap 2
	s_or_b64 exec, exec, s[4:5]
	s_and_saveexec_b64 s[4:5], s[28:29]
	s_xor_b64 s[4:5], exec, s[4:5]
	s_cbranch_execnz .LBB94_263
.LBB94_860:
	s_or_b64 exec, exec, s[4:5]
	s_and_saveexec_b64 s[4:5], s[34:35]
	s_cbranch_execz .LBB94_906
.LBB94_861:
	s_sext_i32_i16 s22, s15
	s_cmp_lt_i32 s22, 5
	s_cbranch_scc1 .LBB94_866
; %bb.862:
	s_cmp_lt_i32 s22, 8
	s_cbranch_scc1 .LBB94_867
; %bb.863:
	;; [unrolled: 3-line block ×3, first 2 shown]
	s_cmp_gt_i32 s22, 9
	s_cbranch_scc0 .LBB94_869
; %bb.865:
	global_load_dwordx2 v[2:3], v[0:1], off
	s_mov_b64 s[22:23], 0
	s_branch .LBB94_870
.LBB94_866:
                                        ; implicit-def: $vgpr2_vgpr3
	s_branch .LBB94_887
.LBB94_867:
                                        ; implicit-def: $vgpr2_vgpr3
	s_branch .LBB94_876
.LBB94_868:
	s_mov_b64 s[22:23], -1
                                        ; implicit-def: $vgpr2_vgpr3
	s_branch .LBB94_873
.LBB94_869:
	s_mov_b64 s[22:23], -1
                                        ; implicit-def: $vgpr2_vgpr3
.LBB94_870:
	s_andn2_b64 vcc, exec, s[22:23]
	s_cbranch_vccnz .LBB94_872
; %bb.871:
	global_load_dword v2, v[0:1], off
	s_waitcnt vmcnt(0)
	v_cvt_f64_f32_e32 v[2:3], v2
.LBB94_872:
	s_mov_b64 s[22:23], 0
.LBB94_873:
	s_andn2_b64 vcc, exec, s[22:23]
	s_cbranch_vccnz .LBB94_875
; %bb.874:
	global_load_dword v2, v[0:1], off
	s_waitcnt vmcnt(0)
	v_cvt_f32_f16_e32 v2, v2
	v_cvt_f64_f32_e32 v[2:3], v2
.LBB94_875:
	s_cbranch_execnz .LBB94_886
.LBB94_876:
	s_sext_i32_i16 s22, s15
	s_cmp_lt_i32 s22, 6
	s_cbranch_scc1 .LBB94_879
; %bb.877:
	s_cmp_gt_i32 s22, 6
	s_cbranch_scc0 .LBB94_880
; %bb.878:
	global_load_dwordx2 v[2:3], v[0:1], off
	s_mov_b64 s[22:23], 0
	s_branch .LBB94_881
.LBB94_879:
	s_mov_b64 s[22:23], -1
                                        ; implicit-def: $vgpr2_vgpr3
	s_branch .LBB94_884
.LBB94_880:
	s_mov_b64 s[22:23], -1
                                        ; implicit-def: $vgpr2_vgpr3
.LBB94_881:
	s_andn2_b64 vcc, exec, s[22:23]
	s_cbranch_vccnz .LBB94_883
; %bb.882:
	global_load_dword v2, v[0:1], off
	s_waitcnt vmcnt(0)
	v_cvt_f64_f32_e32 v[2:3], v2
.LBB94_883:
	s_mov_b64 s[22:23], 0
.LBB94_884:
	s_andn2_b64 vcc, exec, s[22:23]
	s_cbranch_vccnz .LBB94_886
; %bb.885:
	global_load_ushort v2, v[0:1], off
	s_waitcnt vmcnt(0)
	v_cvt_f32_f16_e32 v2, v2
	v_cvt_f64_f32_e32 v[2:3], v2
.LBB94_886:
	s_cbranch_execnz .LBB94_905
.LBB94_887:
	s_sext_i32_i16 s22, s15
	s_cmp_lt_i32 s22, 2
	s_cbranch_scc1 .LBB94_891
; %bb.888:
	s_cmp_lt_i32 s22, 3
	s_cbranch_scc1 .LBB94_892
; %bb.889:
	s_cmp_gt_i32 s22, 3
	s_cbranch_scc0 .LBB94_893
; %bb.890:
	global_load_dwordx2 v[2:3], v[0:1], off
	s_mov_b64 s[22:23], 0
	s_waitcnt vmcnt(0)
	v_cvt_f64_i32_e32 v[3:4], v3
	v_cvt_f64_u32_e32 v[5:6], v2
	v_ldexp_f64 v[3:4], v[3:4], 32
	v_add_f64 v[2:3], v[3:4], v[5:6]
	s_branch .LBB94_894
.LBB94_891:
                                        ; implicit-def: $vgpr2_vgpr3
	s_branch .LBB94_900
.LBB94_892:
	s_mov_b64 s[22:23], -1
                                        ; implicit-def: $vgpr2_vgpr3
	s_branch .LBB94_897
.LBB94_893:
	s_mov_b64 s[22:23], -1
                                        ; implicit-def: $vgpr2_vgpr3
.LBB94_894:
	s_andn2_b64 vcc, exec, s[22:23]
	s_cbranch_vccnz .LBB94_896
; %bb.895:
	global_load_dword v2, v[0:1], off
	s_waitcnt vmcnt(0)
	v_cvt_f64_i32_e32 v[2:3], v2
.LBB94_896:
	s_mov_b64 s[22:23], 0
.LBB94_897:
	s_andn2_b64 vcc, exec, s[22:23]
	s_cbranch_vccnz .LBB94_899
; %bb.898:
	global_load_sshort v2, v[0:1], off
	s_waitcnt vmcnt(0)
	v_cvt_f64_i32_e32 v[2:3], v2
.LBB94_899:
	s_cbranch_execnz .LBB94_905
.LBB94_900:
	s_sext_i32_i16 s22, s15
	s_cmp_gt_i32 s22, 0
	s_cbranch_scc0 .LBB94_902
; %bb.901:
	global_load_sbyte v2, v[0:1], off
	s_mov_b64 s[22:23], 0
	s_waitcnt vmcnt(0)
	v_cvt_f64_i32_e32 v[2:3], v2
	s_branch .LBB94_903
.LBB94_902:
	s_mov_b64 s[22:23], -1
                                        ; implicit-def: $vgpr2_vgpr3
.LBB94_903:
	s_andn2_b64 vcc, exec, s[22:23]
	s_cbranch_vccnz .LBB94_905
; %bb.904:
	global_load_ubyte v0, v[0:1], off
	s_waitcnt vmcnt(0)
	v_cvt_f64_u32_e32 v[2:3], v0
.LBB94_905:
	s_or_b64 s[30:31], s[30:31], exec
.LBB94_906:
	s_or_b64 exec, exec, s[4:5]
	s_mov_b64 s[26:27], 0
	s_mov_b64 s[24:25], 0
                                        ; implicit-def: $sgpr4_sgpr5
                                        ; implicit-def: $sgpr34
                                        ; implicit-def: $vgpr0_vgpr1
	s_and_saveexec_b64 s[22:23], s[30:31]
	s_cbranch_execz .LBB94_981
; %bb.907:
	s_waitcnt vmcnt(0)
	v_cmp_eq_f64_e32 vcc, s[16:17], v[2:3]
	s_and_b32 s34, s33, 0xff
	s_cmp_lt_i32 s34, 11
	v_cndmask_b32_e64 v0, 0, 1, vcc
	v_cmp_neq_f64_e32 vcc, s[16:17], v[2:3]
	v_mul_lo_u32 v2, v10, s12
	v_mov_b32_e32 v3, s9
	v_cndmask_b32_e64 v1, 0, 1, vcc
	v_cndmask_b32_e64 v0, v1, v0, s[0:1]
	v_and_b32_e32 v0, 1, v0
	v_cmp_eq_u32_e64 s[4:5], 1, v0
	v_ashrrev_i32_e32 v1, 31, v2
	v_add_co_u32_e32 v0, vcc, s8, v2
	v_addc_co_u32_e32 v1, vcc, v3, v1, vcc
	s_cbranch_scc1 .LBB94_984
; %bb.908:
	s_and_b32 s35, 0xffff, s34
	s_mov_b64 s[26:27], -1
	s_cmp_gt_i32 s35, 25
	s_mov_b64 s[0:1], s[20:21]
	s_cbranch_scc0 .LBB94_941
; %bb.909:
	s_mov_b64 s[24:25], -1
	s_cmp_gt_i32 s35, 28
	s_mov_b64 s[0:1], s[20:21]
	s_cbranch_scc0 .LBB94_925
; %bb.910:
	s_cmp_gt_i32 s35, 43
	s_mov_b64 s[0:1], s[20:21]
	s_cbranch_scc0 .LBB94_921
; %bb.911:
	;; [unrolled: 4-line block ×3, first 2 shown]
	s_cmp_eq_u32 s35, 46
	s_mov_b64 s[0:1], -1
	s_cbranch_scc0 .LBB94_914
; %bb.913:
	v_cndmask_b32_e64 v2, 0, 1.0, s[4:5]
	v_bfe_u32 v3, v2, 16, 1
	s_movk_i32 s0, 0x7fff
	v_add3_u32 v2, v2, v3, s0
	v_lshrrev_b32_e32 v2, 16, v2
	global_store_dword v[0:1], v2, off
	s_mov_b64 s[0:1], 0
.LBB94_914:
	s_mov_b64 s[24:25], 0
.LBB94_915:
	s_and_b64 vcc, exec, s[24:25]
	s_cbranch_vccz .LBB94_920
; %bb.916:
	s_cmp_eq_u32 s35, 44
	s_mov_b64 s[0:1], -1
	s_cbranch_scc0 .LBB94_920
; %bb.917:
	v_cndmask_b32_e64 v3, 0, 1.0, s[4:5]
	v_lshrrev_b32_e32 v2, 23, v3
	s_movk_i32 s0, 0xff
	v_cmp_ne_u32_e32 vcc, s0, v2
	v_mov_b32_e32 v4, 0xff
	s_and_saveexec_b64 s[24:25], vcc
; %bb.918:
	s_mov_b32 s0, 0x3fffff
	v_and_b32_e32 v4, 0x400000, v3
	v_and_or_b32 v3, v3, s0, v2
	v_cmp_ne_u32_e32 vcc, 0, v4
	v_cmp_ne_u32_e64 s[0:1], 0, v3
	s_and_b64 s[0:1], vcc, s[0:1]
	v_cndmask_b32_e64 v3, 0, 1, s[0:1]
	v_add_u32_e32 v4, v2, v3
; %bb.919:
	s_or_b64 exec, exec, s[24:25]
	s_mov_b64 s[0:1], 0
	global_store_byte v[0:1], v4, off
.LBB94_920:
	s_mov_b64 s[24:25], 0
.LBB94_921:
	s_and_b64 vcc, exec, s[24:25]
	s_cbranch_vccz .LBB94_924
; %bb.922:
	s_cmp_eq_u32 s35, 29
	s_mov_b64 s[0:1], -1
	s_cbranch_scc0 .LBB94_924
; %bb.923:
	s_mov_b32 s0, 0
	v_cndmask_b32_e64 v2, 0, 1, s[4:5]
	v_mov_b32_e32 v3, s0
	global_store_dwordx2 v[0:1], v[2:3], off
	s_mov_b64 s[0:1], 0
.LBB94_924:
	s_mov_b64 s[24:25], 0
.LBB94_925:
	s_and_b64 vcc, exec, s[24:25]
	s_cbranch_vccz .LBB94_940
; %bb.926:
	s_cmp_lt_i32 s35, 27
	s_mov_b64 s[24:25], -1
	s_cbranch_scc1 .LBB94_932
; %bb.927:
	s_cmp_gt_i32 s35, 27
	v_cndmask_b32_e64 v2, 0, 1, s[4:5]
	s_cbranch_scc0 .LBB94_929
; %bb.928:
	s_mov_b64 s[24:25], 0
	global_store_dword v[0:1], v2, off
.LBB94_929:
	s_andn2_b64 vcc, exec, s[24:25]
	s_cbranch_vccnz .LBB94_931
; %bb.930:
	global_store_short v[0:1], v2, off
.LBB94_931:
	s_mov_b64 s[24:25], 0
.LBB94_932:
	s_andn2_b64 vcc, exec, s[24:25]
	s_cbranch_vccnz .LBB94_940
; %bb.933:
	v_cndmask_b32_e64 v3, 0, 1.0, s[4:5]
	s_mov_b32 s24, 0x43800000
	v_cmp_gt_u32_e32 vcc, s24, v3
	v_mov_b32_e32 v4, 0x80
	s_and_saveexec_b64 s[24:25], vcc
	s_cbranch_execz .LBB94_939
; %bb.934:
	s_mov_b32 s26, 0x3bffffff
	v_cmp_lt_u32_e32 vcc, s26, v3
	s_mov_b64 s[26:27], 0
                                        ; implicit-def: $vgpr2
	s_and_saveexec_b64 s[28:29], vcc
	s_xor_b64 s[28:29], exec, s[28:29]
	s_cbranch_execz .LBB94_1041
; %bb.935:
	v_bfe_u32 v2, v3, 20, 1
	s_mov_b32 s30, 0x487ffff
	v_add3_u32 v2, v3, v2, s30
	s_mov_b64 s[26:27], exec
	v_lshrrev_b32_e32 v2, 20, v2
                                        ; implicit-def: $vgpr3
	s_andn2_saveexec_b64 s[28:29], s[28:29]
	s_cbranch_execnz .LBB94_1042
.LBB94_936:
	s_or_b64 exec, exec, s[28:29]
	v_mov_b32_e32 v4, 0
	s_and_saveexec_b64 s[28:29], s[26:27]
.LBB94_937:
	v_mov_b32_e32 v4, v2
.LBB94_938:
	s_or_b64 exec, exec, s[28:29]
.LBB94_939:
	s_or_b64 exec, exec, s[24:25]
	global_store_byte v[0:1], v4, off
.LBB94_940:
	s_mov_b64 s[26:27], 0
.LBB94_941:
	s_mov_b64 s[24:25], 0
	s_and_b64 vcc, exec, s[26:27]
	s_cbranch_vccz .LBB94_985
; %bb.942:
	s_cmp_gt_i32 s35, 22
	s_mov_b64 s[26:27], -1
	s_cbranch_scc0 .LBB94_974
; %bb.943:
	s_cmp_lt_i32 s35, 24
	s_cbranch_scc1 .LBB94_963
; %bb.944:
	s_cmp_gt_i32 s35, 24
	s_cbranch_scc0 .LBB94_952
; %bb.945:
	v_cndmask_b32_e64 v3, 0, 1.0, s[4:5]
	s_mov_b32 s26, 0x47800000
	v_cmp_gt_u32_e32 vcc, s26, v3
	v_mov_b32_e32 v4, 0x80
	s_and_saveexec_b64 s[26:27], vcc
	s_cbranch_execz .LBB94_951
; %bb.946:
	s_mov_b32 s28, 0x37ffffff
	v_cmp_lt_u32_e32 vcc, s28, v3
	s_mov_b64 s[28:29], 0
                                        ; implicit-def: $vgpr2
	s_and_saveexec_b64 s[30:31], vcc
	s_xor_b64 s[30:31], exec, s[30:31]
	s_cbranch_execz .LBB94_1166
; %bb.947:
	v_bfe_u32 v2, v3, 21, 1
	s_mov_b32 s36, 0x88fffff
	v_add3_u32 v2, v3, v2, s36
	s_mov_b64 s[28:29], exec
	v_lshrrev_b32_e32 v2, 21, v2
                                        ; implicit-def: $vgpr3
	s_andn2_saveexec_b64 s[30:31], s[30:31]
	s_cbranch_execnz .LBB94_1167
.LBB94_948:
	s_or_b64 exec, exec, s[30:31]
	v_mov_b32_e32 v4, 0
	s_and_saveexec_b64 s[30:31], s[28:29]
.LBB94_949:
	v_mov_b32_e32 v4, v2
.LBB94_950:
	s_or_b64 exec, exec, s[30:31]
.LBB94_951:
	s_or_b64 exec, exec, s[26:27]
	s_mov_b64 s[26:27], 0
	global_store_byte v[0:1], v4, off
.LBB94_952:
	s_and_b64 vcc, exec, s[26:27]
	s_cbranch_vccz .LBB94_962
; %bb.953:
	v_cndmask_b32_e64 v2, 0, 1.0, s[4:5]
	s_mov_b32 s26, 0x43f00000
	v_cmp_gt_u32_e32 vcc, s26, v2
                                        ; implicit-def: $vgpr3
	s_and_saveexec_b64 s[26:27], vcc
	s_xor_b64 s[26:27], exec, s[26:27]
	s_cbranch_execz .LBB94_959
; %bb.954:
	s_mov_b32 s28, 0x3c7fffff
	v_cmp_lt_u32_e32 vcc, s28, v2
                                        ; implicit-def: $vgpr3
	s_and_saveexec_b64 s[28:29], vcc
	s_xor_b64 s[28:29], exec, s[28:29]
; %bb.955:
	v_bfe_u32 v3, v2, 20, 1
	s_mov_b32 s30, 0x407ffff
	v_add3_u32 v2, v2, v3, s30
	v_lshrrev_b32_e32 v3, 20, v2
	v_and_b32_e32 v2, 0xff00000, v2
	s_mov_b32 s30, 0x7f00000
	v_mov_b32_e32 v4, 0x7e
	v_cmp_ne_u32_e32 vcc, s30, v2
	v_cndmask_b32_e32 v3, v4, v3, vcc
                                        ; implicit-def: $vgpr2
; %bb.956:
	s_andn2_saveexec_b64 s[28:29], s[28:29]
; %bb.957:
	v_add_f32_e32 v3, 0x46800000, v2
; %bb.958:
	s_or_b64 exec, exec, s[28:29]
                                        ; implicit-def: $vgpr2
.LBB94_959:
	s_andn2_saveexec_b64 s[26:27], s[26:27]
; %bb.960:
	s_mov_b32 s28, 0x7f800000
	v_mov_b32_e32 v3, 0x7e
	v_mov_b32_e32 v4, 0x7f
	v_cmp_lt_u32_e32 vcc, s28, v2
	v_cndmask_b32_e32 v3, v3, v4, vcc
; %bb.961:
	s_or_b64 exec, exec, s[26:27]
	global_store_byte v[0:1], v3, off
.LBB94_962:
	s_mov_b64 s[26:27], 0
.LBB94_963:
	s_andn2_b64 vcc, exec, s[26:27]
	s_cbranch_vccnz .LBB94_973
; %bb.964:
	v_cndmask_b32_e64 v2, 0, 1.0, s[4:5]
	s_mov_b32 s26, 0x47800000
	v_cmp_gt_u32_e32 vcc, s26, v2
                                        ; implicit-def: $vgpr3
	s_and_saveexec_b64 s[26:27], vcc
	s_xor_b64 s[26:27], exec, s[26:27]
	s_cbranch_execz .LBB94_970
; %bb.965:
	s_mov_b32 s28, 0x387fffff
	v_cmp_lt_u32_e32 vcc, s28, v2
                                        ; implicit-def: $vgpr3
	s_and_saveexec_b64 s[28:29], vcc
	s_xor_b64 s[28:29], exec, s[28:29]
; %bb.966:
	v_bfe_u32 v3, v2, 21, 1
	s_mov_b32 s30, 0x80fffff
	v_add3_u32 v2, v2, v3, s30
	v_lshrrev_b32_e32 v3, 21, v2
                                        ; implicit-def: $vgpr2
; %bb.967:
	s_andn2_saveexec_b64 s[28:29], s[28:29]
; %bb.968:
	v_add_f32_e32 v3, 0x43000000, v2
; %bb.969:
	s_or_b64 exec, exec, s[28:29]
                                        ; implicit-def: $vgpr2
.LBB94_970:
	s_andn2_saveexec_b64 s[26:27], s[26:27]
; %bb.971:
	s_mov_b32 s28, 0x7f800000
	v_mov_b32_e32 v3, 0x7c
	v_mov_b32_e32 v4, 0x7f
	v_cmp_lt_u32_e32 vcc, s28, v2
	v_cndmask_b32_e32 v3, v3, v4, vcc
; %bb.972:
	s_or_b64 exec, exec, s[26:27]
	global_store_byte v[0:1], v3, off
.LBB94_973:
	s_mov_b64 s[26:27], 0
.LBB94_974:
	s_andn2_b64 vcc, exec, s[26:27]
	s_mov_b64 s[26:27], 0
	s_cbranch_vccnz .LBB94_986
; %bb.975:
	s_cmp_gt_i32 s35, 14
	s_mov_b64 s[28:29], -1
	s_cbranch_scc0 .LBB94_979
; %bb.976:
	s_cmp_eq_u32 s35, 15
	s_mov_b64 s[0:1], -1
	s_cbranch_scc0 .LBB94_978
; %bb.977:
	v_cndmask_b32_e64 v2, 0, 1.0, s[4:5]
	v_bfe_u32 v3, v2, 16, 1
	s_movk_i32 s0, 0x7fff
	v_add3_u32 v2, v2, v3, s0
	global_store_short_d16_hi v[0:1], v2, off
	s_mov_b64 s[0:1], 0
.LBB94_978:
	s_mov_b64 s[28:29], 0
.LBB94_979:
	s_and_b64 vcc, exec, s[28:29]
	s_cbranch_vccz .LBB94_986
; %bb.980:
	s_cmp_lg_u32 s35, 11
	s_cselect_b64 s[28:29], -1, 0
	s_andn2_b64 s[0:1], s[0:1], exec
	s_and_b64 s[28:29], s[28:29], exec
	s_mov_b64 s[26:27], -1
	s_or_b64 s[0:1], s[0:1], s[28:29]
	s_branch .LBB94_986
.LBB94_981:
	s_or_b64 exec, exec, s[22:23]
	s_and_saveexec_b64 s[0:1], s[20:21]
	s_cbranch_execnz .LBB94_987
.LBB94_982:
	s_or_b64 exec, exec, s[0:1]
	s_and_saveexec_b64 s[0:1], s[26:27]
	s_xor_b64 s[0:1], exec, s[0:1]
	s_cbranch_execz .LBB94_988
.LBB94_983:
	s_waitcnt vmcnt(0)
	v_cndmask_b32_e64 v2, 0, 1, s[4:5]
	global_store_byte v[0:1], v2, off
	s_or_b64 exec, exec, s[0:1]
	s_and_saveexec_b64 s[0:1], s[24:25]
	s_xor_b64 s[0:1], exec, s[0:1]
	s_cbranch_execz .LBB94_1026
	s_branch .LBB94_989
.LBB94_984:
	s_mov_b64 s[24:25], -1
	s_mov_b64 s[0:1], s[20:21]
	s_branch .LBB94_986
.LBB94_985:
	s_mov_b64 s[26:27], 0
.LBB94_986:
	s_andn2_b64 s[20:21], s[20:21], exec
	s_and_b64 s[0:1], s[0:1], exec
	s_and_b64 s[24:25], s[24:25], exec
	s_and_b64 s[26:27], s[26:27], exec
	s_or_b64 s[20:21], s[20:21], s[0:1]
	s_or_b64 exec, exec, s[22:23]
	s_and_saveexec_b64 s[0:1], s[20:21]
	s_cbranch_execz .LBB94_982
.LBB94_987:
	s_or_b64 s[2:3], s[2:3], exec
	s_andn2_b64 s[26:27], s[26:27], exec
	s_trap 2
	s_or_b64 exec, exec, s[0:1]
	s_and_saveexec_b64 s[0:1], s[26:27]
	s_xor_b64 s[0:1], exec, s[0:1]
	s_cbranch_execnz .LBB94_983
.LBB94_988:
	s_or_b64 exec, exec, s[0:1]
	s_and_saveexec_b64 s[0:1], s[24:25]
	s_xor_b64 s[0:1], exec, s[0:1]
	s_cbranch_execz .LBB94_1026
.LBB94_989:
	s_sext_i32_i16 s22, s34
	s_cmp_lt_i32 s22, 5
	s_mov_b64 s[20:21], -1
	s_cbranch_scc1 .LBB94_1010
; %bb.990:
	s_cmp_lt_i32 s22, 8
	s_cbranch_scc1 .LBB94_1000
; %bb.991:
	s_cmp_lt_i32 s22, 9
	s_cbranch_scc1 .LBB94_997
; %bb.992:
	s_cmp_gt_i32 s22, 9
	s_cbranch_scc0 .LBB94_994
; %bb.993:
	s_waitcnt vmcnt(0)
	v_cndmask_b32_e64 v2, 0, 1, s[4:5]
	v_cvt_f64_u32_e32 v[2:3], v2
	v_mov_b32_e32 v4, 0
	v_mov_b32_e32 v5, v4
	s_mov_b64 s[20:21], 0
	global_store_dwordx4 v[0:1], v[2:5], off
.LBB94_994:
	s_andn2_b64 vcc, exec, s[20:21]
	s_cbranch_vccnz .LBB94_996
; %bb.995:
	s_waitcnt vmcnt(0)
	v_cndmask_b32_e64 v2, 0, 1.0, s[4:5]
	v_mov_b32_e32 v3, 0
	global_store_dwordx2 v[0:1], v[2:3], off
.LBB94_996:
	s_mov_b64 s[20:21], 0
.LBB94_997:
	s_andn2_b64 vcc, exec, s[20:21]
	s_cbranch_vccnz .LBB94_999
; %bb.998:
	s_waitcnt vmcnt(0)
	v_cndmask_b32_e64 v2, 0, 1.0, s[4:5]
	v_cvt_f16_f32_e32 v2, v2
	global_store_dword v[0:1], v2, off
.LBB94_999:
	s_mov_b64 s[20:21], 0
.LBB94_1000:
	s_andn2_b64 vcc, exec, s[20:21]
	s_cbranch_vccnz .LBB94_1009
; %bb.1001:
	s_sext_i32_i16 s22, s34
	s_cmp_lt_i32 s22, 6
	s_mov_b64 s[20:21], -1
	s_cbranch_scc1 .LBB94_1007
; %bb.1002:
	s_cmp_gt_i32 s22, 6
	s_cbranch_scc0 .LBB94_1004
; %bb.1003:
	s_waitcnt vmcnt(0)
	v_cndmask_b32_e64 v2, 0, 1, s[4:5]
	v_cvt_f64_u32_e32 v[2:3], v2
	s_mov_b64 s[20:21], 0
	global_store_dwordx2 v[0:1], v[2:3], off
.LBB94_1004:
	s_andn2_b64 vcc, exec, s[20:21]
	s_cbranch_vccnz .LBB94_1006
; %bb.1005:
	s_waitcnt vmcnt(0)
	v_cndmask_b32_e64 v2, 0, 1.0, s[4:5]
	global_store_dword v[0:1], v2, off
.LBB94_1006:
	s_mov_b64 s[20:21], 0
.LBB94_1007:
	s_andn2_b64 vcc, exec, s[20:21]
	s_cbranch_vccnz .LBB94_1009
; %bb.1008:
	s_waitcnt vmcnt(0)
	v_cndmask_b32_e64 v2, 0, 1.0, s[4:5]
	v_cvt_f16_f32_e32 v2, v2
	global_store_short v[0:1], v2, off
.LBB94_1009:
	s_mov_b64 s[20:21], 0
.LBB94_1010:
	s_andn2_b64 vcc, exec, s[20:21]
	s_cbranch_vccnz .LBB94_1026
; %bb.1011:
	s_sext_i32_i16 s22, s34
	s_cmp_lt_i32 s22, 2
	s_mov_b64 s[20:21], -1
	s_cbranch_scc1 .LBB94_1021
; %bb.1012:
	s_cmp_lt_i32 s22, 3
	s_cbranch_scc1 .LBB94_1018
; %bb.1013:
	s_cmp_gt_i32 s22, 3
	s_cbranch_scc0 .LBB94_1015
; %bb.1014:
	s_mov_b32 s20, 0
	s_waitcnt vmcnt(0)
	v_cndmask_b32_e64 v2, 0, 1, s[4:5]
	v_mov_b32_e32 v3, s20
	s_mov_b64 s[20:21], 0
	global_store_dwordx2 v[0:1], v[2:3], off
.LBB94_1015:
	s_andn2_b64 vcc, exec, s[20:21]
	s_cbranch_vccnz .LBB94_1017
; %bb.1016:
	s_waitcnt vmcnt(0)
	v_cndmask_b32_e64 v2, 0, 1, s[4:5]
	global_store_dword v[0:1], v2, off
.LBB94_1017:
	s_mov_b64 s[20:21], 0
.LBB94_1018:
	s_andn2_b64 vcc, exec, s[20:21]
	s_cbranch_vccnz .LBB94_1020
; %bb.1019:
	s_waitcnt vmcnt(0)
	v_cndmask_b32_e64 v2, 0, 1, s[4:5]
	global_store_short v[0:1], v2, off
.LBB94_1020:
	s_mov_b64 s[20:21], 0
.LBB94_1021:
	s_andn2_b64 vcc, exec, s[20:21]
	s_cbranch_vccnz .LBB94_1026
; %bb.1022:
	s_sext_i32_i16 s22, s34
	s_mov_b64 s[20:21], -1
	s_cmp_gt_i32 s22, 0
	s_waitcnt vmcnt(0)
	v_cndmask_b32_e64 v2, 0, 1, s[4:5]
	s_cbranch_scc0 .LBB94_1024
; %bb.1023:
	s_mov_b64 s[20:21], 0
	global_store_byte v[0:1], v2, off
.LBB94_1024:
	s_andn2_b64 vcc, exec, s[20:21]
	s_cbranch_vccnz .LBB94_1026
; %bb.1025:
	global_store_byte v[0:1], v2, off
.LBB94_1026:
	s_or_b64 exec, exec, s[0:1]
	s_and_b64 s[20:21], s[2:3], exec
                                        ; implicit-def: $vgpr10
.LBB94_1027:
	s_or_saveexec_b64 s[18:19], s[18:19]
	s_mov_b64 s[0:1], 0
                                        ; implicit-def: $sgpr2_sgpr3
                                        ; implicit-def: $sgpr26
                                        ; implicit-def: $vgpr0_vgpr1
	s_xor_b64 exec, exec, s[18:19]
	s_cbranch_execz .LBB94_1975
; %bb.1028:
	v_mul_lo_u32 v4, s13, v10
	v_mov_b32_e32 v0, s11
	s_and_b32 s15, 0xffff, s15
	s_cmp_lt_i32 s15, 11
	v_ashrrev_i32_e32 v1, 31, v4
	s_waitcnt vmcnt(0)
	v_add_co_u32_e32 v2, vcc, s10, v4
	v_addc_co_u32_e32 v3, vcc, v0, v1, vcc
	s_cbranch_scc1 .LBB94_1035
; %bb.1029:
	s_cmp_gt_i32 s15, 25
	s_mov_b64 s[2:3], 0
	s_cbranch_scc0 .LBB94_1037
; %bb.1030:
	s_cmp_gt_i32 s15, 28
	s_cbranch_scc0 .LBB94_1038
; %bb.1031:
	s_cmp_gt_i32 s15, 43
	;; [unrolled: 3-line block ×3, first 2 shown]
	s_cbranch_scc0 .LBB94_1040
; %bb.1033:
	s_cmp_eq_u32 s15, 46
	s_cbranch_scc0 .LBB94_1043
; %bb.1034:
	global_load_dword v0, v[2:3], off
	s_mov_b64 s[4:5], -1
	s_waitcnt vmcnt(0)
	v_lshlrev_b32_e32 v0, 16, v0
	v_cvt_f64_f32_e32 v[0:1], v0
	s_branch .LBB94_1044
.LBB94_1035:
	s_mov_b64 s[4:5], 0
                                        ; implicit-def: $vgpr0_vgpr1
	s_mov_b64 s[22:23], s[20:21]
	s_cbranch_execnz .LBB94_1107
.LBB94_1036:
	s_andn2_b64 vcc, exec, s[4:5]
	s_cbranch_vccz .LBB94_1152
	s_branch .LBB94_1973
.LBB94_1037:
	s_mov_b64 s[4:5], 0
                                        ; implicit-def: $vgpr0_vgpr1
	s_cbranch_execnz .LBB94_1074
	s_branch .LBB94_1103
.LBB94_1038:
	s_mov_b64 s[6:7], -1
	s_mov_b64 s[4:5], 0
                                        ; implicit-def: $vgpr0_vgpr1
	s_branch .LBB94_1053
.LBB94_1039:
	s_mov_b64 s[4:5], 0
                                        ; implicit-def: $vgpr0_vgpr1
	s_cbranch_execnz .LBB94_1049
	s_branch .LBB94_1052
.LBB94_1040:
	s_mov_b64 s[6:7], -1
	s_mov_b64 s[4:5], 0
                                        ; implicit-def: $vgpr0_vgpr1
	s_branch .LBB94_1044
.LBB94_1041:
	s_andn2_saveexec_b64 s[28:29], s[28:29]
	s_cbranch_execz .LBB94_936
.LBB94_1042:
	v_add_f32_e32 v2, 0x46000000, v3
	v_and_b32_e32 v2, 0xff, v2
	v_cmp_ne_u32_e32 vcc, 0, v2
	s_andn2_b64 s[26:27], s[26:27], exec
	s_and_b64 s[30:31], vcc, exec
	s_or_b64 s[26:27], s[26:27], s[30:31]
	s_or_b64 exec, exec, s[28:29]
	v_mov_b32_e32 v4, 0
	s_and_saveexec_b64 s[28:29], s[26:27]
	s_cbranch_execnz .LBB94_937
	s_branch .LBB94_938
.LBB94_1043:
	s_mov_b64 s[0:1], -1
                                        ; implicit-def: $vgpr0_vgpr1
	s_mov_b64 s[4:5], 0
.LBB94_1044:
	s_and_b64 vcc, exec, s[6:7]
	s_cbranch_vccz .LBB94_1047
; %bb.1045:
	s_cmp_eq_u32 s15, 44
	s_cbranch_scc0 .LBB94_1048
; %bb.1046:
	global_load_ubyte v5, v[2:3], off
	s_movk_i32 s4, 0xff
	v_bfrev_b32_e32 v6, 4
	v_mov_b32_e32 v7, 0x7ff80000
	v_bfrev_b32_e32 v8, 28
	s_mov_b64 s[0:1], 0
	s_waitcnt vmcnt(0)
	v_lshlrev_b32_e32 v0, 23, v5
	v_cvt_f64_f32_e32 v[0:1], v0
	v_cmp_ne_u32_e32 vcc, s4, v5
	s_mov_b64 s[4:5], -1
	v_cndmask_b32_e32 v0, v6, v0, vcc
	v_cndmask_b32_e32 v1, v7, v1, vcc
	v_cmp_ne_u32_e32 vcc, 0, v5
	v_cndmask_b32_e32 v1, v8, v1, vcc
	v_cndmask_b32_e32 v0, 0, v0, vcc
.LBB94_1047:
	s_branch .LBB94_1052
.LBB94_1048:
	s_mov_b64 s[0:1], -1
                                        ; implicit-def: $vgpr0_vgpr1
	s_branch .LBB94_1052
.LBB94_1049:
	s_cmp_eq_u32 s15, 29
	s_cbranch_scc0 .LBB94_1051
; %bb.1050:
	global_load_dwordx2 v[0:1], v[2:3], off
	s_mov_b64 s[0:1], 0
	s_mov_b64 s[4:5], -1
	s_mov_b64 s[6:7], 0
	s_waitcnt vmcnt(0)
	v_cvt_f64_u32_e32 v[5:6], v1
	v_cvt_f64_u32_e32 v[0:1], v0
	v_ldexp_f64 v[5:6], v[5:6], 32
	v_add_f64 v[0:1], v[5:6], v[0:1]
	s_branch .LBB94_1053
.LBB94_1051:
	s_mov_b64 s[0:1], -1
                                        ; implicit-def: $vgpr0_vgpr1
.LBB94_1052:
	s_mov_b64 s[6:7], 0
.LBB94_1053:
	s_and_b64 vcc, exec, s[6:7]
	s_cbranch_vccz .LBB94_1073
; %bb.1054:
	s_cmp_lt_i32 s15, 27
	s_cbranch_scc1 .LBB94_1057
; %bb.1055:
	s_cmp_gt_i32 s15, 27
	s_cbranch_scc0 .LBB94_1058
; %bb.1056:
	global_load_dword v0, v[2:3], off
	s_mov_b64 s[4:5], 0
	s_waitcnt vmcnt(0)
	v_cvt_f64_u32_e32 v[0:1], v0
	s_branch .LBB94_1059
.LBB94_1057:
	s_mov_b64 s[4:5], -1
                                        ; implicit-def: $vgpr0_vgpr1
	s_branch .LBB94_1062
.LBB94_1058:
	s_mov_b64 s[4:5], -1
                                        ; implicit-def: $vgpr0_vgpr1
.LBB94_1059:
	s_andn2_b64 vcc, exec, s[4:5]
	s_cbranch_vccnz .LBB94_1061
; %bb.1060:
	global_load_ushort v0, v[2:3], off
	s_waitcnt vmcnt(0)
	v_cvt_f64_u32_e32 v[0:1], v0
.LBB94_1061:
	s_mov_b64 s[4:5], 0
.LBB94_1062:
	s_andn2_b64 vcc, exec, s[4:5]
	s_cbranch_vccnz .LBB94_1072
; %bb.1063:
	global_load_ubyte v5, v[2:3], off
	s_movk_i32 s4, 0x7f
	s_waitcnt vmcnt(0)
	v_cmp_lt_i16_e32 vcc, s4, v5
	s_mov_b64 s[4:5], 0
	s_and_saveexec_b64 s[6:7], vcc
	s_xor_b64 s[6:7], exec, s[6:7]
	s_cbranch_execz .LBB94_1067
; %bb.1064:
	s_movk_i32 s4, 0x80
	v_cmp_eq_u16_e32 vcc, s4, v5
	s_mov_b64 s[4:5], -1
	s_and_saveexec_b64 s[22:23], vcc
; %bb.1065:
	s_xor_b64 s[4:5], exec, -1
; %bb.1066:
	s_or_b64 exec, exec, s[22:23]
	s_and_b64 s[4:5], s[4:5], exec
.LBB94_1067:
	s_or_saveexec_b64 s[6:7], s[6:7]
	v_bfrev_b32_e32 v0, 4
	v_mov_b32_e32 v1, 0x7ff80000
	s_xor_b64 exec, exec, s[6:7]
; %bb.1068:
	v_cmp_ne_u16_e32 vcc, 0, v5
	v_mov_b32_e32 v0, 0
	s_andn2_b64 s[4:5], s[4:5], exec
	s_and_b64 s[22:23], vcc, exec
	v_mov_b32_e32 v1, 0
	s_or_b64 s[4:5], s[4:5], s[22:23]
; %bb.1069:
	s_or_b64 exec, exec, s[6:7]
	s_and_saveexec_b64 s[6:7], s[4:5]
	s_cbranch_execz .LBB94_1071
; %bb.1070:
	v_and_b32_e32 v1, 0xffff, v5
	v_lshlrev_b32_e32 v0, 24, v5
	v_and_b32_e32 v5, 7, v1
	v_ffbh_u32_e32 v7, v5
	v_min_u32_e32 v7, 32, v7
	v_subrev_u32_e32 v8, 28, v7
	v_bfe_u32 v6, v1, 3, 4
	v_lshlrev_b32_e32 v1, v8, v1
	v_sub_u32_e32 v7, 29, v7
	v_and_b32_e32 v1, 7, v1
	v_cmp_eq_u32_e32 vcc, 0, v6
	v_cndmask_b32_e32 v6, v6, v7, vcc
	v_cndmask_b32_e32 v1, v5, v1, vcc
	v_mov_b32_e32 v5, 0x3b800000
	v_lshlrev_b32_e32 v1, 20, v1
	v_and_b32_e32 v0, 0x80000000, v0
	v_lshl_add_u32 v5, v6, 23, v5
	v_or3_b32 v0, v0, v5, v1
	v_cvt_f64_f32_e32 v[0:1], v0
.LBB94_1071:
	s_or_b64 exec, exec, s[6:7]
.LBB94_1072:
	s_mov_b64 s[4:5], -1
.LBB94_1073:
	s_branch .LBB94_1103
.LBB94_1074:
	s_cmp_gt_i32 s15, 22
	s_cbranch_scc0 .LBB94_1086
; %bb.1075:
	s_cmp_lt_i32 s15, 24
	s_cbranch_scc1 .LBB94_1087
; %bb.1076:
	s_cmp_gt_i32 s15, 24
	s_cbranch_scc0 .LBB94_1088
; %bb.1077:
	global_load_ubyte v5, v[2:3], off
	s_movk_i32 s2, 0x7f
	s_waitcnt vmcnt(0)
	v_cmp_lt_i16_e32 vcc, s2, v5
	s_mov_b64 s[2:3], 0
	s_and_saveexec_b64 s[4:5], vcc
	s_xor_b64 s[4:5], exec, s[4:5]
	s_cbranch_execz .LBB94_1081
; %bb.1078:
	s_movk_i32 s2, 0x80
	v_cmp_eq_u16_e32 vcc, s2, v5
	s_mov_b64 s[2:3], -1
	s_and_saveexec_b64 s[6:7], vcc
; %bb.1079:
	s_xor_b64 s[2:3], exec, -1
; %bb.1080:
	s_or_b64 exec, exec, s[6:7]
	s_and_b64 s[2:3], s[2:3], exec
.LBB94_1081:
	s_or_saveexec_b64 s[4:5], s[4:5]
	v_bfrev_b32_e32 v0, 4
	v_mov_b32_e32 v1, 0x7ff80000
	s_xor_b64 exec, exec, s[4:5]
; %bb.1082:
	v_cmp_ne_u16_e32 vcc, 0, v5
	v_mov_b32_e32 v0, 0
	s_andn2_b64 s[2:3], s[2:3], exec
	s_and_b64 s[6:7], vcc, exec
	v_mov_b32_e32 v1, 0
	s_or_b64 s[2:3], s[2:3], s[6:7]
; %bb.1083:
	s_or_b64 exec, exec, s[4:5]
	s_and_saveexec_b64 s[4:5], s[2:3]
	s_cbranch_execz .LBB94_1085
; %bb.1084:
	v_and_b32_e32 v1, 0xffff, v5
	v_lshlrev_b32_e32 v0, 24, v5
	v_and_b32_e32 v5, 3, v1
	v_ffbh_u32_e32 v7, v5
	v_min_u32_e32 v7, 32, v7
	v_subrev_u32_e32 v8, 29, v7
	v_bfe_u32 v6, v1, 2, 5
	v_lshlrev_b32_e32 v1, v8, v1
	v_sub_u32_e32 v7, 30, v7
	v_and_b32_e32 v1, 3, v1
	v_cmp_eq_u32_e32 vcc, 0, v6
	v_cndmask_b32_e32 v6, v6, v7, vcc
	v_cndmask_b32_e32 v1, v5, v1, vcc
	v_mov_b32_e32 v5, 0x37800000
	v_lshlrev_b32_e32 v1, 21, v1
	v_and_b32_e32 v0, 0x80000000, v0
	v_lshl_add_u32 v5, v6, 23, v5
	v_or3_b32 v0, v0, v5, v1
	v_cvt_f64_f32_e32 v[0:1], v0
.LBB94_1085:
	s_or_b64 exec, exec, s[4:5]
	s_mov_b64 s[2:3], 0
	s_branch .LBB94_1089
.LBB94_1086:
                                        ; implicit-def: $vgpr0_vgpr1
	s_mov_b64 s[2:3], 0
	s_branch .LBB94_1095
.LBB94_1087:
	s_mov_b64 s[2:3], -1
                                        ; implicit-def: $vgpr0_vgpr1
	s_branch .LBB94_1092
.LBB94_1088:
	s_mov_b64 s[2:3], -1
                                        ; implicit-def: $vgpr0_vgpr1
.LBB94_1089:
	s_and_b64 vcc, exec, s[2:3]
	s_cbranch_vccz .LBB94_1091
; %bb.1090:
	global_load_ubyte v0, v[2:3], off
	s_mov_b32 s2, 0x7f800000
	s_waitcnt vmcnt(0)
	v_lshlrev_b32_e32 v0, 24, v0
	v_and_b32_e32 v1, 0x7f000000, v0
	v_ffbh_u32_e32 v5, v1
	v_min_u32_e32 v5, 32, v5
	v_sub_u32_e64 v5, v5, 4 clamp
	v_lshlrev_b32_e32 v7, v5, v1
	v_lshlrev_b32_e32 v5, 23, v5
	v_lshrrev_b32_e32 v7, 4, v7
	v_add_u32_e32 v6, 0x1000000, v1
	v_sub_u32_e32 v5, v7, v5
	v_ashrrev_i32_e32 v6, 8, v6
	v_add_u32_e32 v5, 0x3c000000, v5
	v_and_or_b32 v5, v6, s2, v5
	v_cmp_ne_u32_e32 vcc, 0, v1
	v_cndmask_b32_e32 v1, 0, v5, vcc
	s_brev_b32 s2, 1
	v_and_or_b32 v0, v0, s2, v1
	v_cvt_f64_f32_e32 v[0:1], v0
.LBB94_1091:
	s_mov_b64 s[2:3], 0
.LBB94_1092:
	s_andn2_b64 vcc, exec, s[2:3]
	s_cbranch_vccnz .LBB94_1094
; %bb.1093:
	global_load_ubyte v0, v[2:3], off
	s_movk_i32 s2, 0x7f00
	s_brev_b32 s3, 16
	s_waitcnt vmcnt(0)
	v_lshlrev_b16_e32 v1, 8, v0
	v_lshlrev_b32_e32 v0, 25, v0
	v_lshrrev_b32_e32 v5, 4, v0
	v_and_or_b32 v6, v1, s2, 0.5
	v_or_b32_e32 v5, 0x70000000, v5
	v_add_f32_e32 v6, -0.5, v6
	v_mul_f32_e32 v5, 0x7800000, v5
	v_cmp_gt_u32_e32 vcc, s3, v0
	v_bfe_i32 v1, v1, 0, 16
	v_cndmask_b32_e32 v0, v5, v6, vcc
	s_brev_b32 s2, 1
	v_and_or_b32 v0, v1, s2, v0
	v_cvt_f64_f32_e32 v[0:1], v0
.LBB94_1094:
	s_mov_b64 s[4:5], -1
	s_mov_b64 s[2:3], 0
	s_cbranch_execnz .LBB94_1103
.LBB94_1095:
	s_cmp_gt_i32 s15, 14
	s_cbranch_scc0 .LBB94_1098
; %bb.1096:
	s_cmp_eq_u32 s15, 15
	s_cbranch_scc0 .LBB94_1099
; %bb.1097:
	global_load_ushort v0, v[2:3], off
	s_mov_b64 s[0:1], 0
	s_mov_b64 s[4:5], -1
	s_waitcnt vmcnt(0)
	v_lshlrev_b32_e32 v0, 16, v0
	v_cvt_f64_f32_e32 v[0:1], v0
	s_branch .LBB94_1100
.LBB94_1098:
	s_mov_b64 s[6:7], -1
                                        ; implicit-def: $vgpr0_vgpr1
	s_branch .LBB94_1101
.LBB94_1099:
	s_mov_b64 s[0:1], -1
                                        ; implicit-def: $vgpr0_vgpr1
.LBB94_1100:
	s_mov_b64 s[6:7], 0
.LBB94_1101:
	s_and_b64 vcc, exec, s[6:7]
	s_cbranch_vccz .LBB94_1103
; %bb.1102:
	s_cmp_lg_u32 s15, 11
	s_mov_b64 s[2:3], -1
	s_cselect_b64 s[0:1], -1, 0
.LBB94_1103:
	s_and_b64 vcc, exec, s[0:1]
	s_mov_b64 s[22:23], s[20:21]
	s_cbranch_vccnz .LBB94_1164
; %bb.1104:
	s_andn2_b64 vcc, exec, s[2:3]
	s_cbranch_vccnz .LBB94_1106
.LBB94_1105:
	global_load_ubyte v1, v[2:3], off
	v_mov_b32_e32 v5, 0x3ff00000
	v_mov_b32_e32 v0, 0
	s_mov_b64 s[4:5], -1
	s_waitcnt vmcnt(0)
	v_cmp_ne_u16_e32 vcc, 0, v1
	v_cndmask_b32_e32 v1, 0, v5, vcc
.LBB94_1106:
	s_branch .LBB94_1036
.LBB94_1107:
	s_cmp_lt_i32 s15, 5
	s_cbranch_scc1 .LBB94_1112
; %bb.1108:
	s_cmp_lt_i32 s15, 8
	s_cbranch_scc1 .LBB94_1113
; %bb.1109:
	;; [unrolled: 3-line block ×3, first 2 shown]
	s_cmp_gt_i32 s15, 9
	s_cbranch_scc0 .LBB94_1115
; %bb.1111:
	global_load_dwordx2 v[0:1], v[2:3], off
	s_mov_b64 s[0:1], 0
	s_branch .LBB94_1116
.LBB94_1112:
                                        ; implicit-def: $vgpr0_vgpr1
	s_branch .LBB94_1133
.LBB94_1113:
                                        ; implicit-def: $vgpr0_vgpr1
	s_branch .LBB94_1122
.LBB94_1114:
	s_mov_b64 s[0:1], -1
                                        ; implicit-def: $vgpr0_vgpr1
	s_branch .LBB94_1119
.LBB94_1115:
	s_mov_b64 s[0:1], -1
                                        ; implicit-def: $vgpr0_vgpr1
.LBB94_1116:
	s_andn2_b64 vcc, exec, s[0:1]
	s_cbranch_vccnz .LBB94_1118
; %bb.1117:
	global_load_dword v0, v[2:3], off
	s_waitcnt vmcnt(0)
	v_cvt_f64_f32_e32 v[0:1], v0
.LBB94_1118:
	s_mov_b64 s[0:1], 0
.LBB94_1119:
	s_andn2_b64 vcc, exec, s[0:1]
	s_cbranch_vccnz .LBB94_1121
; %bb.1120:
	global_load_dword v0, v[2:3], off
	s_waitcnt vmcnt(0)
	v_cvt_f32_f16_e32 v0, v0
	v_cvt_f64_f32_e32 v[0:1], v0
.LBB94_1121:
	s_cbranch_execnz .LBB94_1132
.LBB94_1122:
	s_cmp_lt_i32 s15, 6
	s_cbranch_scc1 .LBB94_1125
; %bb.1123:
	s_cmp_gt_i32 s15, 6
	s_cbranch_scc0 .LBB94_1126
; %bb.1124:
	global_load_dwordx2 v[0:1], v[2:3], off
	s_mov_b64 s[0:1], 0
	s_branch .LBB94_1127
.LBB94_1125:
	s_mov_b64 s[0:1], -1
                                        ; implicit-def: $vgpr0_vgpr1
	s_branch .LBB94_1130
.LBB94_1126:
	s_mov_b64 s[0:1], -1
                                        ; implicit-def: $vgpr0_vgpr1
.LBB94_1127:
	s_andn2_b64 vcc, exec, s[0:1]
	s_cbranch_vccnz .LBB94_1129
; %bb.1128:
	global_load_dword v0, v[2:3], off
	s_waitcnt vmcnt(0)
	v_cvt_f64_f32_e32 v[0:1], v0
.LBB94_1129:
	s_mov_b64 s[0:1], 0
.LBB94_1130:
	s_andn2_b64 vcc, exec, s[0:1]
	s_cbranch_vccnz .LBB94_1132
; %bb.1131:
	global_load_ushort v0, v[2:3], off
	s_waitcnt vmcnt(0)
	v_cvt_f32_f16_e32 v0, v0
	v_cvt_f64_f32_e32 v[0:1], v0
.LBB94_1132:
	s_cbranch_execnz .LBB94_1151
.LBB94_1133:
	s_cmp_lt_i32 s15, 2
	s_cbranch_scc1 .LBB94_1137
; %bb.1134:
	s_cmp_lt_i32 s15, 3
	s_cbranch_scc1 .LBB94_1138
; %bb.1135:
	s_cmp_gt_i32 s15, 3
	s_cbranch_scc0 .LBB94_1139
; %bb.1136:
	global_load_dwordx2 v[0:1], v[2:3], off
	s_mov_b64 s[0:1], 0
	s_waitcnt vmcnt(0)
	v_cvt_f64_i32_e32 v[5:6], v1
	v_cvt_f64_u32_e32 v[0:1], v0
	v_ldexp_f64 v[5:6], v[5:6], 32
	v_add_f64 v[0:1], v[5:6], v[0:1]
	s_branch .LBB94_1140
.LBB94_1137:
                                        ; implicit-def: $vgpr0_vgpr1
	s_branch .LBB94_1146
.LBB94_1138:
	s_mov_b64 s[0:1], -1
                                        ; implicit-def: $vgpr0_vgpr1
	s_branch .LBB94_1143
.LBB94_1139:
	s_mov_b64 s[0:1], -1
                                        ; implicit-def: $vgpr0_vgpr1
.LBB94_1140:
	s_andn2_b64 vcc, exec, s[0:1]
	s_cbranch_vccnz .LBB94_1142
; %bb.1141:
	global_load_dword v0, v[2:3], off
	s_waitcnt vmcnt(0)
	v_cvt_f64_i32_e32 v[0:1], v0
.LBB94_1142:
	s_mov_b64 s[0:1], 0
.LBB94_1143:
	s_andn2_b64 vcc, exec, s[0:1]
	s_cbranch_vccnz .LBB94_1145
; %bb.1144:
	global_load_sshort v0, v[2:3], off
	s_waitcnt vmcnt(0)
	v_cvt_f64_i32_e32 v[0:1], v0
.LBB94_1145:
	s_cbranch_execnz .LBB94_1151
.LBB94_1146:
	s_cmp_gt_i32 s15, 0
	s_cbranch_scc0 .LBB94_1148
; %bb.1147:
	global_load_sbyte v0, v[2:3], off
	s_mov_b64 s[0:1], 0
	s_waitcnt vmcnt(0)
	v_cvt_f64_i32_e32 v[0:1], v0
	s_branch .LBB94_1149
.LBB94_1148:
	s_mov_b64 s[0:1], -1
                                        ; implicit-def: $vgpr0_vgpr1
.LBB94_1149:
	s_andn2_b64 vcc, exec, s[0:1]
	s_cbranch_vccnz .LBB94_1151
; %bb.1150:
	global_load_ubyte v0, v[2:3], off
	s_waitcnt vmcnt(0)
	v_cvt_f64_u32_e32 v[0:1], v0
.LBB94_1151:
.LBB94_1152:
	s_lshl_b32 s13, s13, 7
	v_add_u32_e32 v6, s13, v4
	v_ashrrev_i32_e32 v2, 31, v6
	v_mov_b32_e32 v3, s11
	v_add_co_u32_e32 v4, vcc, s10, v6
	s_cmp_lt_i32 s15, 11
	v_addc_co_u32_e32 v5, vcc, v3, v2, vcc
	s_cbranch_scc1 .LBB94_1159
; %bb.1153:
	s_cmp_gt_i32 s15, 25
	s_mov_b64 s[2:3], 0
	s_cbranch_scc0 .LBB94_1161
; %bb.1154:
	s_cmp_gt_i32 s15, 28
	s_cbranch_scc0 .LBB94_1162
; %bb.1155:
	s_cmp_gt_i32 s15, 43
	;; [unrolled: 3-line block ×3, first 2 shown]
	s_cbranch_scc0 .LBB94_1165
; %bb.1157:
	s_cmp_eq_u32 s15, 46
	s_mov_b64 s[6:7], 0
	s_cbranch_scc0 .LBB94_1168
; %bb.1158:
	global_load_dword v2, v[4:5], off
	s_mov_b64 s[0:1], 0
	s_mov_b64 s[4:5], -1
	s_waitcnt vmcnt(0)
	v_lshlrev_b32_e32 v2, 16, v2
	v_cvt_f64_f32_e32 v[2:3], v2
	s_branch .LBB94_1169
.LBB94_1159:
	s_mov_b64 s[4:5], 0
                                        ; implicit-def: $vgpr2_vgpr3
	s_cbranch_execnz .LBB94_1234
.LBB94_1160:
	s_andn2_b64 vcc, exec, s[4:5]
	s_cbranch_vccnz .LBB94_1973
	s_branch .LBB94_1281
.LBB94_1161:
	s_mov_b64 s[4:5], 0
	s_mov_b64 s[0:1], 0
                                        ; implicit-def: $vgpr2_vgpr3
	s_cbranch_execnz .LBB94_1200
	s_branch .LBB94_1230
.LBB94_1162:
	s_mov_b64 s[6:7], -1
	s_mov_b64 s[4:5], 0
	s_mov_b64 s[0:1], 0
                                        ; implicit-def: $vgpr2_vgpr3
	s_branch .LBB94_1179
.LBB94_1163:
	s_mov_b64 s[6:7], -1
	s_mov_b64 s[4:5], 0
	s_mov_b64 s[0:1], 0
                                        ; implicit-def: $vgpr2_vgpr3
	s_branch .LBB94_1174
.LBB94_1164:
	s_or_b64 s[22:23], s[20:21], exec
	s_trap 2
	s_cbranch_execz .LBB94_1105
	s_branch .LBB94_1106
.LBB94_1165:
	s_mov_b64 s[6:7], -1
	s_mov_b64 s[4:5], 0
	s_mov_b64 s[0:1], 0
                                        ; implicit-def: $vgpr2_vgpr3
	s_branch .LBB94_1169
.LBB94_1166:
	s_andn2_saveexec_b64 s[30:31], s[30:31]
	s_cbranch_execz .LBB94_948
.LBB94_1167:
	v_add_f32_e32 v2, 0x42800000, v3
	v_and_b32_e32 v2, 0xff, v2
	v_cmp_ne_u32_e32 vcc, 0, v2
	s_andn2_b64 s[28:29], s[28:29], exec
	s_and_b64 s[36:37], vcc, exec
	s_or_b64 s[28:29], s[28:29], s[36:37]
	s_or_b64 exec, exec, s[30:31]
	v_mov_b32_e32 v4, 0
	s_and_saveexec_b64 s[30:31], s[28:29]
	s_cbranch_execnz .LBB94_949
	s_branch .LBB94_950
.LBB94_1168:
	s_mov_b64 s[0:1], -1
                                        ; implicit-def: $vgpr2_vgpr3
	s_mov_b64 s[4:5], 0
.LBB94_1169:
	s_and_b64 vcc, exec, s[6:7]
	s_cbranch_vccz .LBB94_1173
; %bb.1170:
	s_cmp_eq_u32 s15, 44
	s_cbranch_scc0 .LBB94_1172
; %bb.1171:
	global_load_ubyte v7, v[4:5], off
	s_movk_i32 s4, 0xff
	v_bfrev_b32_e32 v8, 4
	v_mov_b32_e32 v9, 0x7ff80000
	v_bfrev_b32_e32 v11, 28
	s_mov_b64 s[0:1], 0
	s_waitcnt vmcnt(0)
	v_lshlrev_b32_e32 v2, 23, v7
	v_cvt_f64_f32_e32 v[2:3], v2
	v_cmp_ne_u32_e32 vcc, s4, v7
	s_mov_b64 s[4:5], -1
	v_cndmask_b32_e32 v2, v8, v2, vcc
	v_cndmask_b32_e32 v3, v9, v3, vcc
	v_cmp_ne_u32_e32 vcc, 0, v7
	v_cndmask_b32_e32 v3, v11, v3, vcc
	v_cndmask_b32_e32 v2, 0, v2, vcc
	s_branch .LBB94_1173
.LBB94_1172:
	s_mov_b64 s[0:1], -1
                                        ; implicit-def: $vgpr2_vgpr3
.LBB94_1173:
	s_mov_b64 s[6:7], 0
.LBB94_1174:
	s_and_b64 vcc, exec, s[6:7]
	s_cbranch_vccz .LBB94_1178
; %bb.1175:
	s_cmp_eq_u32 s15, 29
	s_cbranch_scc0 .LBB94_1177
; %bb.1176:
	global_load_dwordx2 v[2:3], v[4:5], off
	s_mov_b64 s[0:1], 0
	s_mov_b64 s[4:5], -1
	s_mov_b64 s[6:7], 0
	s_waitcnt vmcnt(0)
	v_cvt_f64_u32_e32 v[7:8], v3
	v_cvt_f64_u32_e32 v[2:3], v2
	v_ldexp_f64 v[7:8], v[7:8], 32
	v_add_f64 v[2:3], v[7:8], v[2:3]
	s_branch .LBB94_1179
.LBB94_1177:
	s_mov_b64 s[0:1], -1
                                        ; implicit-def: $vgpr2_vgpr3
.LBB94_1178:
	s_mov_b64 s[6:7], 0
.LBB94_1179:
	s_and_b64 vcc, exec, s[6:7]
	s_cbranch_vccz .LBB94_1199
; %bb.1180:
	s_cmp_lt_i32 s15, 27
	s_cbranch_scc1 .LBB94_1183
; %bb.1181:
	s_cmp_gt_i32 s15, 27
	s_cbranch_scc0 .LBB94_1184
; %bb.1182:
	global_load_dword v2, v[4:5], off
	s_mov_b64 s[4:5], 0
	s_waitcnt vmcnt(0)
	v_cvt_f64_u32_e32 v[2:3], v2
	s_branch .LBB94_1185
.LBB94_1183:
	s_mov_b64 s[4:5], -1
                                        ; implicit-def: $vgpr2_vgpr3
	s_branch .LBB94_1188
.LBB94_1184:
	s_mov_b64 s[4:5], -1
                                        ; implicit-def: $vgpr2_vgpr3
.LBB94_1185:
	s_andn2_b64 vcc, exec, s[4:5]
	s_cbranch_vccnz .LBB94_1187
; %bb.1186:
	global_load_ushort v2, v[4:5], off
	s_waitcnt vmcnt(0)
	v_cvt_f64_u32_e32 v[2:3], v2
.LBB94_1187:
	s_mov_b64 s[4:5], 0
.LBB94_1188:
	s_andn2_b64 vcc, exec, s[4:5]
	s_cbranch_vccnz .LBB94_1198
; %bb.1189:
	global_load_ubyte v7, v[4:5], off
	s_movk_i32 s4, 0x7f
	s_waitcnt vmcnt(0)
	v_cmp_lt_i16_e32 vcc, s4, v7
	s_mov_b64 s[4:5], 0
	s_and_saveexec_b64 s[6:7], vcc
	s_xor_b64 s[6:7], exec, s[6:7]
	s_cbranch_execz .LBB94_1193
; %bb.1190:
	s_movk_i32 s4, 0x80
	v_cmp_eq_u16_e32 vcc, s4, v7
	s_mov_b64 s[4:5], -1
	s_and_saveexec_b64 s[24:25], vcc
; %bb.1191:
	s_xor_b64 s[4:5], exec, -1
; %bb.1192:
	s_or_b64 exec, exec, s[24:25]
	s_and_b64 s[4:5], s[4:5], exec
.LBB94_1193:
	s_or_saveexec_b64 s[6:7], s[6:7]
	v_bfrev_b32_e32 v2, 4
	v_mov_b32_e32 v3, 0x7ff80000
	s_xor_b64 exec, exec, s[6:7]
; %bb.1194:
	v_cmp_ne_u16_e32 vcc, 0, v7
	v_mov_b32_e32 v2, 0
	s_andn2_b64 s[4:5], s[4:5], exec
	s_and_b64 s[24:25], vcc, exec
	v_mov_b32_e32 v3, 0
	s_or_b64 s[4:5], s[4:5], s[24:25]
; %bb.1195:
	s_or_b64 exec, exec, s[6:7]
	s_and_saveexec_b64 s[6:7], s[4:5]
	s_cbranch_execz .LBB94_1197
; %bb.1196:
	v_and_b32_e32 v3, 0xffff, v7
	v_lshlrev_b32_e32 v2, 24, v7
	v_and_b32_e32 v7, 7, v3
	v_ffbh_u32_e32 v9, v7
	v_min_u32_e32 v9, 32, v9
	v_subrev_u32_e32 v11, 28, v9
	v_bfe_u32 v8, v3, 3, 4
	v_lshlrev_b32_e32 v3, v11, v3
	v_sub_u32_e32 v9, 29, v9
	v_and_b32_e32 v3, 7, v3
	v_cmp_eq_u32_e32 vcc, 0, v8
	v_cndmask_b32_e32 v8, v8, v9, vcc
	v_cndmask_b32_e32 v3, v7, v3, vcc
	v_mov_b32_e32 v7, 0x3b800000
	v_lshlrev_b32_e32 v3, 20, v3
	v_and_b32_e32 v2, 0x80000000, v2
	v_lshl_add_u32 v7, v8, 23, v7
	v_or3_b32 v2, v2, v7, v3
	v_cvt_f64_f32_e32 v[2:3], v2
.LBB94_1197:
	s_or_b64 exec, exec, s[6:7]
.LBB94_1198:
	s_mov_b64 s[4:5], -1
.LBB94_1199:
	s_branch .LBB94_1230
.LBB94_1200:
	s_cmp_gt_i32 s15, 22
	s_cbranch_scc0 .LBB94_1212
; %bb.1201:
	s_cmp_lt_i32 s15, 24
	s_cbranch_scc1 .LBB94_1213
; %bb.1202:
	s_cmp_gt_i32 s15, 24
	s_cbranch_scc0 .LBB94_1214
; %bb.1203:
	global_load_ubyte v7, v[4:5], off
	s_movk_i32 s2, 0x7f
	s_waitcnt vmcnt(0)
	v_cmp_lt_i16_e32 vcc, s2, v7
	s_mov_b64 s[2:3], 0
	s_and_saveexec_b64 s[4:5], vcc
	s_xor_b64 s[4:5], exec, s[4:5]
	s_cbranch_execz .LBB94_1207
; %bb.1204:
	s_movk_i32 s2, 0x80
	v_cmp_eq_u16_e32 vcc, s2, v7
	s_mov_b64 s[2:3], -1
	s_and_saveexec_b64 s[6:7], vcc
; %bb.1205:
	s_xor_b64 s[2:3], exec, -1
; %bb.1206:
	s_or_b64 exec, exec, s[6:7]
	s_and_b64 s[2:3], s[2:3], exec
.LBB94_1207:
	s_or_saveexec_b64 s[4:5], s[4:5]
	v_bfrev_b32_e32 v2, 4
	v_mov_b32_e32 v3, 0x7ff80000
	s_xor_b64 exec, exec, s[4:5]
; %bb.1208:
	v_cmp_ne_u16_e32 vcc, 0, v7
	v_mov_b32_e32 v2, 0
	s_andn2_b64 s[2:3], s[2:3], exec
	s_and_b64 s[6:7], vcc, exec
	v_mov_b32_e32 v3, 0
	s_or_b64 s[2:3], s[2:3], s[6:7]
; %bb.1209:
	s_or_b64 exec, exec, s[4:5]
	s_and_saveexec_b64 s[4:5], s[2:3]
	s_cbranch_execz .LBB94_1211
; %bb.1210:
	v_and_b32_e32 v3, 0xffff, v7
	v_lshlrev_b32_e32 v2, 24, v7
	v_and_b32_e32 v7, 3, v3
	v_ffbh_u32_e32 v9, v7
	v_min_u32_e32 v9, 32, v9
	v_subrev_u32_e32 v11, 29, v9
	v_bfe_u32 v8, v3, 2, 5
	v_lshlrev_b32_e32 v3, v11, v3
	v_sub_u32_e32 v9, 30, v9
	v_and_b32_e32 v3, 3, v3
	v_cmp_eq_u32_e32 vcc, 0, v8
	v_cndmask_b32_e32 v8, v8, v9, vcc
	v_cndmask_b32_e32 v3, v7, v3, vcc
	v_mov_b32_e32 v7, 0x37800000
	v_lshlrev_b32_e32 v3, 21, v3
	v_and_b32_e32 v2, 0x80000000, v2
	v_lshl_add_u32 v7, v8, 23, v7
	v_or3_b32 v2, v2, v7, v3
	v_cvt_f64_f32_e32 v[2:3], v2
.LBB94_1211:
	s_or_b64 exec, exec, s[4:5]
	s_mov_b64 s[2:3], 0
	s_branch .LBB94_1215
.LBB94_1212:
	s_mov_b64 s[2:3], -1
                                        ; implicit-def: $vgpr2_vgpr3
	s_branch .LBB94_1221
.LBB94_1213:
	s_mov_b64 s[2:3], -1
                                        ; implicit-def: $vgpr2_vgpr3
	s_branch .LBB94_1218
.LBB94_1214:
	s_mov_b64 s[2:3], -1
                                        ; implicit-def: $vgpr2_vgpr3
.LBB94_1215:
	s_and_b64 vcc, exec, s[2:3]
	s_cbranch_vccz .LBB94_1217
; %bb.1216:
	global_load_ubyte v2, v[4:5], off
	s_mov_b32 s2, 0x7f800000
	s_waitcnt vmcnt(0)
	v_lshlrev_b32_e32 v2, 24, v2
	v_and_b32_e32 v3, 0x7f000000, v2
	v_ffbh_u32_e32 v7, v3
	v_min_u32_e32 v7, 32, v7
	v_sub_u32_e64 v7, v7, 4 clamp
	v_lshlrev_b32_e32 v9, v7, v3
	v_lshlrev_b32_e32 v7, 23, v7
	v_lshrrev_b32_e32 v9, 4, v9
	v_add_u32_e32 v8, 0x1000000, v3
	v_sub_u32_e32 v7, v9, v7
	v_ashrrev_i32_e32 v8, 8, v8
	v_add_u32_e32 v7, 0x3c000000, v7
	v_and_or_b32 v7, v8, s2, v7
	v_cmp_ne_u32_e32 vcc, 0, v3
	v_cndmask_b32_e32 v3, 0, v7, vcc
	s_brev_b32 s2, 1
	v_and_or_b32 v2, v2, s2, v3
	v_cvt_f64_f32_e32 v[2:3], v2
.LBB94_1217:
	s_mov_b64 s[2:3], 0
.LBB94_1218:
	s_andn2_b64 vcc, exec, s[2:3]
	s_cbranch_vccnz .LBB94_1220
; %bb.1219:
	global_load_ubyte v2, v[4:5], off
	s_movk_i32 s2, 0x7f00
	s_brev_b32 s3, 16
	s_waitcnt vmcnt(0)
	v_lshlrev_b16_e32 v3, 8, v2
	v_lshlrev_b32_e32 v2, 25, v2
	v_lshrrev_b32_e32 v7, 4, v2
	v_and_or_b32 v8, v3, s2, 0.5
	v_or_b32_e32 v7, 0x70000000, v7
	v_add_f32_e32 v8, -0.5, v8
	v_mul_f32_e32 v7, 0x7800000, v7
	v_cmp_gt_u32_e32 vcc, s3, v2
	v_bfe_i32 v3, v3, 0, 16
	v_cndmask_b32_e32 v2, v7, v8, vcc
	s_brev_b32 s2, 1
	v_and_or_b32 v2, v3, s2, v2
	v_cvt_f64_f32_e32 v[2:3], v2
.LBB94_1220:
	s_mov_b64 s[2:3], 0
	s_mov_b64 s[4:5], -1
.LBB94_1221:
	s_andn2_b64 vcc, exec, s[2:3]
	s_mov_b64 s[2:3], 0
	s_cbranch_vccnz .LBB94_1230
; %bb.1222:
	s_cmp_gt_i32 s15, 14
	s_cbranch_scc0 .LBB94_1225
; %bb.1223:
	s_cmp_eq_u32 s15, 15
	s_cbranch_scc0 .LBB94_1226
; %bb.1224:
	global_load_ushort v2, v[4:5], off
	s_mov_b64 s[0:1], 0
	s_mov_b64 s[4:5], -1
	s_waitcnt vmcnt(0)
	v_lshlrev_b32_e32 v2, 16, v2
	v_cvt_f64_f32_e32 v[2:3], v2
	s_branch .LBB94_1227
.LBB94_1225:
	s_mov_b64 s[6:7], -1
                                        ; implicit-def: $vgpr2_vgpr3
	s_branch .LBB94_1228
.LBB94_1226:
	s_mov_b64 s[0:1], -1
                                        ; implicit-def: $vgpr2_vgpr3
.LBB94_1227:
	s_mov_b64 s[6:7], 0
.LBB94_1228:
	s_and_b64 vcc, exec, s[6:7]
	s_cbranch_vccz .LBB94_1230
; %bb.1229:
	s_cmp_lg_u32 s15, 11
	s_mov_b64 s[2:3], -1
	s_cselect_b64 s[0:1], -1, 0
.LBB94_1230:
	s_and_b64 vcc, exec, s[0:1]
	s_cbranch_vccnz .LBB94_1293
; %bb.1231:
	s_andn2_b64 vcc, exec, s[2:3]
	s_cbranch_vccnz .LBB94_1233
.LBB94_1232:
	global_load_ubyte v3, v[4:5], off
	v_mov_b32_e32 v7, 0x3ff00000
	v_mov_b32_e32 v2, 0
	s_mov_b64 s[4:5], -1
	s_waitcnt vmcnt(0)
	v_cmp_ne_u16_e32 vcc, 0, v3
	v_cndmask_b32_e32 v3, 0, v7, vcc
.LBB94_1233:
	s_branch .LBB94_1160
.LBB94_1234:
	s_cmp_lt_i32 s15, 5
	s_cbranch_scc1 .LBB94_1239
; %bb.1235:
	s_cmp_lt_i32 s15, 8
	s_cbranch_scc1 .LBB94_1240
; %bb.1236:
	;; [unrolled: 3-line block ×3, first 2 shown]
	s_cmp_gt_i32 s15, 9
	s_cbranch_scc0 .LBB94_1242
; %bb.1238:
	global_load_dwordx2 v[2:3], v[4:5], off
	s_mov_b64 s[0:1], 0
	s_branch .LBB94_1243
.LBB94_1239:
                                        ; implicit-def: $vgpr2_vgpr3
	s_branch .LBB94_1261
.LBB94_1240:
	s_mov_b64 s[0:1], -1
                                        ; implicit-def: $vgpr2_vgpr3
	s_branch .LBB94_1249
.LBB94_1241:
	s_mov_b64 s[0:1], -1
                                        ; implicit-def: $vgpr2_vgpr3
	s_branch .LBB94_1246
.LBB94_1242:
	s_mov_b64 s[0:1], -1
                                        ; implicit-def: $vgpr2_vgpr3
.LBB94_1243:
	s_andn2_b64 vcc, exec, s[0:1]
	s_cbranch_vccnz .LBB94_1245
; %bb.1244:
	global_load_dword v2, v[4:5], off
	s_waitcnt vmcnt(0)
	v_cvt_f64_f32_e32 v[2:3], v2
.LBB94_1245:
	s_mov_b64 s[0:1], 0
.LBB94_1246:
	s_andn2_b64 vcc, exec, s[0:1]
	s_cbranch_vccnz .LBB94_1248
; %bb.1247:
	global_load_dword v2, v[4:5], off
	s_waitcnt vmcnt(0)
	v_cvt_f32_f16_e32 v2, v2
	v_cvt_f64_f32_e32 v[2:3], v2
.LBB94_1248:
	s_mov_b64 s[0:1], 0
.LBB94_1249:
	s_andn2_b64 vcc, exec, s[0:1]
	s_cbranch_vccnz .LBB94_1260
; %bb.1250:
	s_cmp_lt_i32 s15, 6
	s_cbranch_scc1 .LBB94_1253
; %bb.1251:
	s_cmp_gt_i32 s15, 6
	s_cbranch_scc0 .LBB94_1254
; %bb.1252:
	global_load_dwordx2 v[2:3], v[4:5], off
	s_mov_b64 s[0:1], 0
	s_branch .LBB94_1255
.LBB94_1253:
	s_mov_b64 s[0:1], -1
                                        ; implicit-def: $vgpr2_vgpr3
	s_branch .LBB94_1258
.LBB94_1254:
	s_mov_b64 s[0:1], -1
                                        ; implicit-def: $vgpr2_vgpr3
.LBB94_1255:
	s_andn2_b64 vcc, exec, s[0:1]
	s_cbranch_vccnz .LBB94_1257
; %bb.1256:
	global_load_dword v2, v[4:5], off
	s_waitcnt vmcnt(0)
	v_cvt_f64_f32_e32 v[2:3], v2
.LBB94_1257:
	s_mov_b64 s[0:1], 0
.LBB94_1258:
	s_andn2_b64 vcc, exec, s[0:1]
	s_cbranch_vccnz .LBB94_1260
; %bb.1259:
	global_load_ushort v2, v[4:5], off
	s_waitcnt vmcnt(0)
	v_cvt_f32_f16_e32 v2, v2
	v_cvt_f64_f32_e32 v[2:3], v2
.LBB94_1260:
	s_cbranch_execnz .LBB94_1280
.LBB94_1261:
	s_cmp_lt_i32 s15, 2
	s_cbranch_scc1 .LBB94_1265
; %bb.1262:
	s_cmp_lt_i32 s15, 3
	s_cbranch_scc1 .LBB94_1266
; %bb.1263:
	s_cmp_gt_i32 s15, 3
	s_cbranch_scc0 .LBB94_1267
; %bb.1264:
	global_load_dwordx2 v[2:3], v[4:5], off
	s_mov_b64 s[0:1], 0
	s_waitcnt vmcnt(0)
	v_cvt_f64_i32_e32 v[7:8], v3
	v_cvt_f64_u32_e32 v[2:3], v2
	v_ldexp_f64 v[7:8], v[7:8], 32
	v_add_f64 v[2:3], v[7:8], v[2:3]
	s_branch .LBB94_1268
.LBB94_1265:
	s_mov_b64 s[0:1], -1
                                        ; implicit-def: $vgpr2_vgpr3
	s_branch .LBB94_1274
.LBB94_1266:
	s_mov_b64 s[0:1], -1
                                        ; implicit-def: $vgpr2_vgpr3
	s_branch .LBB94_1271
.LBB94_1267:
	s_mov_b64 s[0:1], -1
                                        ; implicit-def: $vgpr2_vgpr3
.LBB94_1268:
	s_andn2_b64 vcc, exec, s[0:1]
	s_cbranch_vccnz .LBB94_1270
; %bb.1269:
	global_load_dword v2, v[4:5], off
	s_waitcnt vmcnt(0)
	v_cvt_f64_i32_e32 v[2:3], v2
.LBB94_1270:
	s_mov_b64 s[0:1], 0
.LBB94_1271:
	s_andn2_b64 vcc, exec, s[0:1]
	s_cbranch_vccnz .LBB94_1273
; %bb.1272:
	global_load_sshort v2, v[4:5], off
	s_waitcnt vmcnt(0)
	v_cvt_f64_i32_e32 v[2:3], v2
.LBB94_1273:
	s_mov_b64 s[0:1], 0
.LBB94_1274:
	s_andn2_b64 vcc, exec, s[0:1]
	s_cbranch_vccnz .LBB94_1280
; %bb.1275:
	s_cmp_gt_i32 s15, 0
	s_cbranch_scc0 .LBB94_1277
; %bb.1276:
	global_load_sbyte v2, v[4:5], off
	s_mov_b64 s[0:1], 0
	s_waitcnt vmcnt(0)
	v_cvt_f64_i32_e32 v[2:3], v2
	s_branch .LBB94_1278
.LBB94_1277:
	s_mov_b64 s[0:1], -1
                                        ; implicit-def: $vgpr2_vgpr3
.LBB94_1278:
	s_andn2_b64 vcc, exec, s[0:1]
	s_cbranch_vccnz .LBB94_1280
; %bb.1279:
	global_load_ubyte v2, v[4:5], off
	s_waitcnt vmcnt(0)
	v_cvt_f64_u32_e32 v[2:3], v2
.LBB94_1280:
.LBB94_1281:
	v_add_u32_e32 v8, s13, v6
	v_ashrrev_i32_e32 v4, 31, v8
	v_mov_b32_e32 v5, s11
	v_add_co_u32_e32 v6, vcc, s10, v8
	s_cmp_lt_i32 s15, 11
	v_addc_co_u32_e32 v7, vcc, v5, v4, vcc
	s_cbranch_scc1 .LBB94_1288
; %bb.1282:
	s_cmp_gt_i32 s15, 25
	s_mov_b64 s[2:3], 0
	s_cbranch_scc0 .LBB94_1290
; %bb.1283:
	s_cmp_gt_i32 s15, 28
	s_cbranch_scc0 .LBB94_1291
; %bb.1284:
	s_cmp_gt_i32 s15, 43
	;; [unrolled: 3-line block ×3, first 2 shown]
	s_cbranch_scc0 .LBB94_1294
; %bb.1286:
	s_cmp_eq_u32 s15, 46
	s_mov_b64 s[6:7], 0
	s_cbranch_scc0 .LBB94_1295
; %bb.1287:
	global_load_dword v4, v[6:7], off
	s_mov_b64 s[0:1], 0
	s_mov_b64 s[4:5], -1
	s_waitcnt vmcnt(0)
	v_lshlrev_b32_e32 v4, 16, v4
	v_cvt_f64_f32_e32 v[4:5], v4
	s_branch .LBB94_1296
.LBB94_1288:
	s_mov_b64 s[4:5], 0
                                        ; implicit-def: $vgpr4_vgpr5
	s_cbranch_execnz .LBB94_1362
.LBB94_1289:
	s_andn2_b64 vcc, exec, s[4:5]
	s_cbranch_vccnz .LBB94_1973
	s_branch .LBB94_1410
.LBB94_1290:
	s_mov_b64 s[6:7], -1
	s_mov_b64 s[4:5], 0
	s_mov_b64 s[0:1], 0
                                        ; implicit-def: $vgpr4_vgpr5
	s_branch .LBB94_1327
.LBB94_1291:
	s_mov_b64 s[6:7], -1
	s_mov_b64 s[4:5], 0
	s_mov_b64 s[0:1], 0
                                        ; implicit-def: $vgpr4_vgpr5
	s_branch .LBB94_1306
.LBB94_1292:
	s_mov_b64 s[6:7], -1
	s_mov_b64 s[4:5], 0
	s_mov_b64 s[0:1], 0
                                        ; implicit-def: $vgpr4_vgpr5
	s_branch .LBB94_1301
.LBB94_1293:
	s_trap 2
	s_or_b64 s[22:23], s[22:23], exec
	s_cbranch_execz .LBB94_1232
	s_branch .LBB94_1233
.LBB94_1294:
	s_mov_b64 s[6:7], -1
	s_mov_b64 s[4:5], 0
	s_mov_b64 s[0:1], 0
                                        ; implicit-def: $vgpr4_vgpr5
	s_branch .LBB94_1296
.LBB94_1295:
	s_mov_b64 s[0:1], -1
                                        ; implicit-def: $vgpr4_vgpr5
	s_mov_b64 s[4:5], 0
.LBB94_1296:
	s_and_b64 vcc, exec, s[6:7]
	s_cbranch_vccz .LBB94_1300
; %bb.1297:
	s_cmp_eq_u32 s15, 44
	s_cbranch_scc0 .LBB94_1299
; %bb.1298:
	global_load_ubyte v9, v[6:7], off
	s_movk_i32 s4, 0xff
	v_bfrev_b32_e32 v11, 4
	v_mov_b32_e32 v12, 0x7ff80000
	v_bfrev_b32_e32 v13, 28
	s_mov_b64 s[0:1], 0
	s_waitcnt vmcnt(0)
	v_lshlrev_b32_e32 v4, 23, v9
	v_cvt_f64_f32_e32 v[4:5], v4
	v_cmp_ne_u32_e32 vcc, s4, v9
	s_mov_b64 s[4:5], -1
	v_cndmask_b32_e32 v4, v11, v4, vcc
	v_cndmask_b32_e32 v5, v12, v5, vcc
	v_cmp_ne_u32_e32 vcc, 0, v9
	v_cndmask_b32_e32 v5, v13, v5, vcc
	v_cndmask_b32_e32 v4, 0, v4, vcc
	s_branch .LBB94_1300
.LBB94_1299:
	s_mov_b64 s[0:1], -1
                                        ; implicit-def: $vgpr4_vgpr5
.LBB94_1300:
	s_mov_b64 s[6:7], 0
.LBB94_1301:
	s_and_b64 vcc, exec, s[6:7]
	s_cbranch_vccz .LBB94_1305
; %bb.1302:
	s_cmp_eq_u32 s15, 29
	s_cbranch_scc0 .LBB94_1304
; %bb.1303:
	global_load_dwordx2 v[4:5], v[6:7], off
	s_mov_b64 s[0:1], 0
	s_mov_b64 s[4:5], -1
	s_mov_b64 s[6:7], 0
	s_waitcnt vmcnt(0)
	v_cvt_f64_u32_e32 v[11:12], v5
	v_cvt_f64_u32_e32 v[4:5], v4
	v_ldexp_f64 v[11:12], v[11:12], 32
	v_add_f64 v[4:5], v[11:12], v[4:5]
	s_branch .LBB94_1306
.LBB94_1304:
	s_mov_b64 s[0:1], -1
                                        ; implicit-def: $vgpr4_vgpr5
.LBB94_1305:
	s_mov_b64 s[6:7], 0
.LBB94_1306:
	s_and_b64 vcc, exec, s[6:7]
	s_cbranch_vccz .LBB94_1326
; %bb.1307:
	s_cmp_lt_i32 s15, 27
	s_cbranch_scc1 .LBB94_1310
; %bb.1308:
	s_cmp_gt_i32 s15, 27
	s_cbranch_scc0 .LBB94_1311
; %bb.1309:
	global_load_dword v4, v[6:7], off
	s_mov_b64 s[4:5], 0
	s_waitcnt vmcnt(0)
	v_cvt_f64_u32_e32 v[4:5], v4
	s_branch .LBB94_1312
.LBB94_1310:
	s_mov_b64 s[4:5], -1
                                        ; implicit-def: $vgpr4_vgpr5
	s_branch .LBB94_1315
.LBB94_1311:
	s_mov_b64 s[4:5], -1
                                        ; implicit-def: $vgpr4_vgpr5
.LBB94_1312:
	s_andn2_b64 vcc, exec, s[4:5]
	s_cbranch_vccnz .LBB94_1314
; %bb.1313:
	global_load_ushort v4, v[6:7], off
	s_waitcnt vmcnt(0)
	v_cvt_f64_u32_e32 v[4:5], v4
.LBB94_1314:
	s_mov_b64 s[4:5], 0
.LBB94_1315:
	s_andn2_b64 vcc, exec, s[4:5]
	s_cbranch_vccnz .LBB94_1325
; %bb.1316:
	global_load_ubyte v9, v[6:7], off
	s_movk_i32 s4, 0x7f
	s_waitcnt vmcnt(0)
	v_cmp_lt_i16_e32 vcc, s4, v9
	s_mov_b64 s[4:5], 0
	s_and_saveexec_b64 s[6:7], vcc
	s_xor_b64 s[6:7], exec, s[6:7]
	s_cbranch_execz .LBB94_1320
; %bb.1317:
	s_movk_i32 s4, 0x80
	v_cmp_eq_u16_e32 vcc, s4, v9
	s_mov_b64 s[4:5], -1
	s_and_saveexec_b64 s[24:25], vcc
; %bb.1318:
	s_xor_b64 s[4:5], exec, -1
; %bb.1319:
	s_or_b64 exec, exec, s[24:25]
	s_and_b64 s[4:5], s[4:5], exec
.LBB94_1320:
	s_or_saveexec_b64 s[6:7], s[6:7]
	v_bfrev_b32_e32 v4, 4
	v_mov_b32_e32 v5, 0x7ff80000
	s_xor_b64 exec, exec, s[6:7]
; %bb.1321:
	v_cmp_ne_u16_e32 vcc, 0, v9
	v_mov_b32_e32 v4, 0
	s_andn2_b64 s[4:5], s[4:5], exec
	s_and_b64 s[24:25], vcc, exec
	v_mov_b32_e32 v5, 0
	s_or_b64 s[4:5], s[4:5], s[24:25]
; %bb.1322:
	s_or_b64 exec, exec, s[6:7]
	s_and_saveexec_b64 s[6:7], s[4:5]
	s_cbranch_execz .LBB94_1324
; %bb.1323:
	v_and_b32_e32 v5, 0xffff, v9
	v_lshlrev_b32_e32 v4, 24, v9
	v_and_b32_e32 v9, 7, v5
	v_ffbh_u32_e32 v12, v9
	v_min_u32_e32 v12, 32, v12
	v_subrev_u32_e32 v13, 28, v12
	v_bfe_u32 v11, v5, 3, 4
	v_lshlrev_b32_e32 v5, v13, v5
	v_sub_u32_e32 v12, 29, v12
	v_and_b32_e32 v5, 7, v5
	v_cmp_eq_u32_e32 vcc, 0, v11
	v_cndmask_b32_e32 v11, v11, v12, vcc
	v_cndmask_b32_e32 v5, v9, v5, vcc
	v_mov_b32_e32 v9, 0x3b800000
	v_lshlrev_b32_e32 v5, 20, v5
	v_and_b32_e32 v4, 0x80000000, v4
	v_lshl_add_u32 v9, v11, 23, v9
	v_or3_b32 v4, v4, v9, v5
	v_cvt_f64_f32_e32 v[4:5], v4
.LBB94_1324:
	s_or_b64 exec, exec, s[6:7]
.LBB94_1325:
	s_mov_b64 s[4:5], -1
.LBB94_1326:
	s_mov_b64 s[6:7], 0
.LBB94_1327:
	s_and_b64 vcc, exec, s[6:7]
	s_cbranch_vccz .LBB94_1358
; %bb.1328:
	s_cmp_gt_i32 s15, 22
	s_cbranch_scc0 .LBB94_1340
; %bb.1329:
	s_cmp_lt_i32 s15, 24
	s_cbranch_scc1 .LBB94_1341
; %bb.1330:
	s_cmp_gt_i32 s15, 24
	s_cbranch_scc0 .LBB94_1342
; %bb.1331:
	global_load_ubyte v9, v[6:7], off
	s_movk_i32 s2, 0x7f
	s_waitcnt vmcnt(0)
	v_cmp_lt_i16_e32 vcc, s2, v9
	s_mov_b64 s[2:3], 0
	s_and_saveexec_b64 s[4:5], vcc
	s_xor_b64 s[4:5], exec, s[4:5]
	s_cbranch_execz .LBB94_1335
; %bb.1332:
	s_movk_i32 s2, 0x80
	v_cmp_eq_u16_e32 vcc, s2, v9
	s_mov_b64 s[2:3], -1
	s_and_saveexec_b64 s[6:7], vcc
; %bb.1333:
	s_xor_b64 s[2:3], exec, -1
; %bb.1334:
	s_or_b64 exec, exec, s[6:7]
	s_and_b64 s[2:3], s[2:3], exec
.LBB94_1335:
	s_or_saveexec_b64 s[4:5], s[4:5]
	v_bfrev_b32_e32 v4, 4
	v_mov_b32_e32 v5, 0x7ff80000
	s_xor_b64 exec, exec, s[4:5]
; %bb.1336:
	v_cmp_ne_u16_e32 vcc, 0, v9
	v_mov_b32_e32 v4, 0
	s_andn2_b64 s[2:3], s[2:3], exec
	s_and_b64 s[6:7], vcc, exec
	v_mov_b32_e32 v5, 0
	s_or_b64 s[2:3], s[2:3], s[6:7]
; %bb.1337:
	s_or_b64 exec, exec, s[4:5]
	s_and_saveexec_b64 s[4:5], s[2:3]
	s_cbranch_execz .LBB94_1339
; %bb.1338:
	v_and_b32_e32 v5, 0xffff, v9
	v_lshlrev_b32_e32 v4, 24, v9
	v_and_b32_e32 v9, 3, v5
	v_ffbh_u32_e32 v12, v9
	v_min_u32_e32 v12, 32, v12
	v_subrev_u32_e32 v13, 29, v12
	v_bfe_u32 v11, v5, 2, 5
	v_lshlrev_b32_e32 v5, v13, v5
	v_sub_u32_e32 v12, 30, v12
	v_and_b32_e32 v5, 3, v5
	v_cmp_eq_u32_e32 vcc, 0, v11
	v_cndmask_b32_e32 v11, v11, v12, vcc
	v_cndmask_b32_e32 v5, v9, v5, vcc
	v_mov_b32_e32 v9, 0x37800000
	v_lshlrev_b32_e32 v5, 21, v5
	v_and_b32_e32 v4, 0x80000000, v4
	v_lshl_add_u32 v9, v11, 23, v9
	v_or3_b32 v4, v4, v9, v5
	v_cvt_f64_f32_e32 v[4:5], v4
.LBB94_1339:
	s_or_b64 exec, exec, s[4:5]
	s_mov_b64 s[2:3], 0
	s_branch .LBB94_1343
.LBB94_1340:
	s_mov_b64 s[2:3], -1
                                        ; implicit-def: $vgpr4_vgpr5
	s_branch .LBB94_1349
.LBB94_1341:
	s_mov_b64 s[2:3], -1
                                        ; implicit-def: $vgpr4_vgpr5
	s_branch .LBB94_1346
.LBB94_1342:
	s_mov_b64 s[2:3], -1
                                        ; implicit-def: $vgpr4_vgpr5
.LBB94_1343:
	s_and_b64 vcc, exec, s[2:3]
	s_cbranch_vccz .LBB94_1345
; %bb.1344:
	global_load_ubyte v4, v[6:7], off
	s_mov_b32 s2, 0x7f800000
	s_waitcnt vmcnt(0)
	v_lshlrev_b32_e32 v4, 24, v4
	v_and_b32_e32 v5, 0x7f000000, v4
	v_ffbh_u32_e32 v9, v5
	v_min_u32_e32 v9, 32, v9
	v_sub_u32_e64 v9, v9, 4 clamp
	v_lshlrev_b32_e32 v12, v9, v5
	v_lshlrev_b32_e32 v9, 23, v9
	v_lshrrev_b32_e32 v12, 4, v12
	v_add_u32_e32 v11, 0x1000000, v5
	v_sub_u32_e32 v9, v12, v9
	v_ashrrev_i32_e32 v11, 8, v11
	v_add_u32_e32 v9, 0x3c000000, v9
	v_and_or_b32 v9, v11, s2, v9
	v_cmp_ne_u32_e32 vcc, 0, v5
	v_cndmask_b32_e32 v5, 0, v9, vcc
	s_brev_b32 s2, 1
	v_and_or_b32 v4, v4, s2, v5
	v_cvt_f64_f32_e32 v[4:5], v4
.LBB94_1345:
	s_mov_b64 s[2:3], 0
.LBB94_1346:
	s_andn2_b64 vcc, exec, s[2:3]
	s_cbranch_vccnz .LBB94_1348
; %bb.1347:
	global_load_ubyte v4, v[6:7], off
	s_movk_i32 s2, 0x7f00
	s_brev_b32 s3, 16
	s_waitcnt vmcnt(0)
	v_lshlrev_b16_e32 v5, 8, v4
	v_lshlrev_b32_e32 v4, 25, v4
	v_lshrrev_b32_e32 v9, 4, v4
	v_and_or_b32 v11, v5, s2, 0.5
	v_or_b32_e32 v9, 0x70000000, v9
	v_add_f32_e32 v11, -0.5, v11
	v_mul_f32_e32 v9, 0x7800000, v9
	v_cmp_gt_u32_e32 vcc, s3, v4
	v_bfe_i32 v5, v5, 0, 16
	v_cndmask_b32_e32 v4, v9, v11, vcc
	s_brev_b32 s2, 1
	v_and_or_b32 v4, v5, s2, v4
	v_cvt_f64_f32_e32 v[4:5], v4
.LBB94_1348:
	s_mov_b64 s[2:3], 0
	s_mov_b64 s[4:5], -1
.LBB94_1349:
	s_andn2_b64 vcc, exec, s[2:3]
	s_mov_b64 s[2:3], 0
	s_cbranch_vccnz .LBB94_1358
; %bb.1350:
	s_cmp_gt_i32 s15, 14
	s_cbranch_scc0 .LBB94_1353
; %bb.1351:
	s_cmp_eq_u32 s15, 15
	s_cbranch_scc0 .LBB94_1354
; %bb.1352:
	global_load_ushort v4, v[6:7], off
	s_mov_b64 s[0:1], 0
	s_mov_b64 s[4:5], -1
	s_waitcnt vmcnt(0)
	v_lshlrev_b32_e32 v4, 16, v4
	v_cvt_f64_f32_e32 v[4:5], v4
	s_branch .LBB94_1355
.LBB94_1353:
	s_mov_b64 s[6:7], -1
                                        ; implicit-def: $vgpr4_vgpr5
	s_branch .LBB94_1356
.LBB94_1354:
	s_mov_b64 s[0:1], -1
                                        ; implicit-def: $vgpr4_vgpr5
.LBB94_1355:
	s_mov_b64 s[6:7], 0
.LBB94_1356:
	s_and_b64 vcc, exec, s[6:7]
	s_cbranch_vccz .LBB94_1358
; %bb.1357:
	s_cmp_lg_u32 s15, 11
	s_mov_b64 s[2:3], -1
	s_cselect_b64 s[0:1], -1, 0
.LBB94_1358:
	s_and_b64 vcc, exec, s[0:1]
	s_cbranch_vccnz .LBB94_1421
; %bb.1359:
	s_andn2_b64 vcc, exec, s[2:3]
	s_cbranch_vccnz .LBB94_1361
.LBB94_1360:
	global_load_ubyte v5, v[6:7], off
	v_mov_b32_e32 v9, 0x3ff00000
	v_mov_b32_e32 v4, 0
	s_mov_b64 s[4:5], -1
	s_waitcnt vmcnt(0)
	v_cmp_ne_u16_e32 vcc, 0, v5
	v_cndmask_b32_e32 v5, 0, v9, vcc
.LBB94_1361:
	s_branch .LBB94_1289
.LBB94_1362:
	s_cmp_lt_i32 s15, 5
	s_cbranch_scc1 .LBB94_1367
; %bb.1363:
	s_cmp_lt_i32 s15, 8
	s_cbranch_scc1 .LBB94_1368
; %bb.1364:
	;; [unrolled: 3-line block ×3, first 2 shown]
	s_cmp_gt_i32 s15, 9
	s_cbranch_scc0 .LBB94_1370
; %bb.1366:
	global_load_dwordx2 v[4:5], v[6:7], off
	s_mov_b64 s[0:1], 0
	s_branch .LBB94_1371
.LBB94_1367:
	s_mov_b64 s[0:1], -1
                                        ; implicit-def: $vgpr4_vgpr5
	s_branch .LBB94_1389
.LBB94_1368:
	s_mov_b64 s[0:1], -1
                                        ; implicit-def: $vgpr4_vgpr5
	s_branch .LBB94_1377
.LBB94_1369:
	s_mov_b64 s[0:1], -1
                                        ; implicit-def: $vgpr4_vgpr5
	s_branch .LBB94_1374
.LBB94_1370:
	s_mov_b64 s[0:1], -1
                                        ; implicit-def: $vgpr4_vgpr5
.LBB94_1371:
	s_andn2_b64 vcc, exec, s[0:1]
	s_cbranch_vccnz .LBB94_1373
; %bb.1372:
	global_load_dword v4, v[6:7], off
	s_waitcnt vmcnt(0)
	v_cvt_f64_f32_e32 v[4:5], v4
.LBB94_1373:
	s_mov_b64 s[0:1], 0
.LBB94_1374:
	s_andn2_b64 vcc, exec, s[0:1]
	s_cbranch_vccnz .LBB94_1376
; %bb.1375:
	global_load_dword v4, v[6:7], off
	s_waitcnt vmcnt(0)
	v_cvt_f32_f16_e32 v4, v4
	v_cvt_f64_f32_e32 v[4:5], v4
.LBB94_1376:
	s_mov_b64 s[0:1], 0
.LBB94_1377:
	s_andn2_b64 vcc, exec, s[0:1]
	s_cbranch_vccnz .LBB94_1388
; %bb.1378:
	s_cmp_lt_i32 s15, 6
	s_cbranch_scc1 .LBB94_1381
; %bb.1379:
	s_cmp_gt_i32 s15, 6
	s_cbranch_scc0 .LBB94_1382
; %bb.1380:
	global_load_dwordx2 v[4:5], v[6:7], off
	s_mov_b64 s[0:1], 0
	s_branch .LBB94_1383
.LBB94_1381:
	s_mov_b64 s[0:1], -1
                                        ; implicit-def: $vgpr4_vgpr5
	s_branch .LBB94_1386
.LBB94_1382:
	s_mov_b64 s[0:1], -1
                                        ; implicit-def: $vgpr4_vgpr5
.LBB94_1383:
	s_andn2_b64 vcc, exec, s[0:1]
	s_cbranch_vccnz .LBB94_1385
; %bb.1384:
	global_load_dword v4, v[6:7], off
	s_waitcnt vmcnt(0)
	v_cvt_f64_f32_e32 v[4:5], v4
.LBB94_1385:
	s_mov_b64 s[0:1], 0
.LBB94_1386:
	s_andn2_b64 vcc, exec, s[0:1]
	s_cbranch_vccnz .LBB94_1388
; %bb.1387:
	global_load_ushort v4, v[6:7], off
	s_waitcnt vmcnt(0)
	v_cvt_f32_f16_e32 v4, v4
	v_cvt_f64_f32_e32 v[4:5], v4
.LBB94_1388:
	s_mov_b64 s[0:1], 0
.LBB94_1389:
	s_andn2_b64 vcc, exec, s[0:1]
	s_cbranch_vccnz .LBB94_1409
; %bb.1390:
	s_cmp_lt_i32 s15, 2
	s_cbranch_scc1 .LBB94_1394
; %bb.1391:
	s_cmp_lt_i32 s15, 3
	s_cbranch_scc1 .LBB94_1395
; %bb.1392:
	s_cmp_gt_i32 s15, 3
	s_cbranch_scc0 .LBB94_1396
; %bb.1393:
	global_load_dwordx2 v[4:5], v[6:7], off
	s_mov_b64 s[0:1], 0
	s_waitcnt vmcnt(0)
	v_cvt_f64_i32_e32 v[11:12], v5
	v_cvt_f64_u32_e32 v[4:5], v4
	v_ldexp_f64 v[11:12], v[11:12], 32
	v_add_f64 v[4:5], v[11:12], v[4:5]
	s_branch .LBB94_1397
.LBB94_1394:
	s_mov_b64 s[0:1], -1
                                        ; implicit-def: $vgpr4_vgpr5
	s_branch .LBB94_1403
.LBB94_1395:
	s_mov_b64 s[0:1], -1
                                        ; implicit-def: $vgpr4_vgpr5
	s_branch .LBB94_1400
.LBB94_1396:
	s_mov_b64 s[0:1], -1
                                        ; implicit-def: $vgpr4_vgpr5
.LBB94_1397:
	s_andn2_b64 vcc, exec, s[0:1]
	s_cbranch_vccnz .LBB94_1399
; %bb.1398:
	global_load_dword v4, v[6:7], off
	s_waitcnt vmcnt(0)
	v_cvt_f64_i32_e32 v[4:5], v4
.LBB94_1399:
	s_mov_b64 s[0:1], 0
.LBB94_1400:
	s_andn2_b64 vcc, exec, s[0:1]
	s_cbranch_vccnz .LBB94_1402
; %bb.1401:
	global_load_sshort v4, v[6:7], off
	s_waitcnt vmcnt(0)
	v_cvt_f64_i32_e32 v[4:5], v4
.LBB94_1402:
	s_mov_b64 s[0:1], 0
.LBB94_1403:
	s_andn2_b64 vcc, exec, s[0:1]
	s_cbranch_vccnz .LBB94_1409
; %bb.1404:
	s_cmp_gt_i32 s15, 0
	s_cbranch_scc0 .LBB94_1406
; %bb.1405:
	global_load_sbyte v4, v[6:7], off
	s_mov_b64 s[0:1], 0
	s_waitcnt vmcnt(0)
	v_cvt_f64_i32_e32 v[4:5], v4
	s_branch .LBB94_1407
.LBB94_1406:
	s_mov_b64 s[0:1], -1
                                        ; implicit-def: $vgpr4_vgpr5
.LBB94_1407:
	s_andn2_b64 vcc, exec, s[0:1]
	s_cbranch_vccnz .LBB94_1409
; %bb.1408:
	global_load_ubyte v4, v[6:7], off
	s_waitcnt vmcnt(0)
	v_cvt_f64_u32_e32 v[4:5], v4
.LBB94_1409:
.LBB94_1410:
	v_add_u32_e32 v6, s13, v8
	v_ashrrev_i32_e32 v7, 31, v6
	v_mov_b32_e32 v9, s11
	v_add_co_u32_e32 v8, vcc, s10, v6
	s_cmp_lt_i32 s15, 11
	v_addc_co_u32_e32 v9, vcc, v9, v7, vcc
	s_cbranch_scc1 .LBB94_1417
; %bb.1411:
	s_cmp_gt_i32 s15, 25
	s_mov_b64 s[2:3], 0
	s_cbranch_scc0 .LBB94_1418
; %bb.1412:
	s_cmp_gt_i32 s15, 28
	s_cbranch_scc0 .LBB94_1419
; %bb.1413:
	s_cmp_gt_i32 s15, 43
	;; [unrolled: 3-line block ×3, first 2 shown]
	s_cbranch_scc0 .LBB94_1422
; %bb.1415:
	s_cmp_eq_u32 s15, 46
	s_mov_b64 s[6:7], 0
	s_cbranch_scc0 .LBB94_1423
; %bb.1416:
	global_load_dword v6, v[8:9], off
	s_mov_b64 s[0:1], 0
	s_mov_b64 s[4:5], -1
	s_waitcnt vmcnt(0)
	v_lshlrev_b32_e32 v6, 16, v6
	v_cvt_f64_f32_e32 v[6:7], v6
	s_branch .LBB94_1424
.LBB94_1417:
	s_mov_b64 s[0:1], -1
	s_mov_b64 s[4:5], 0
                                        ; implicit-def: $vgpr6_vgpr7
	s_branch .LBB94_1490
.LBB94_1418:
	s_mov_b64 s[6:7], -1
	s_mov_b64 s[4:5], 0
	s_mov_b64 s[0:1], 0
                                        ; implicit-def: $vgpr6_vgpr7
	s_branch .LBB94_1455
.LBB94_1419:
	s_mov_b64 s[6:7], -1
	s_mov_b64 s[4:5], 0
	s_mov_b64 s[0:1], 0
                                        ; implicit-def: $vgpr6_vgpr7
	s_branch .LBB94_1434
.LBB94_1420:
	s_mov_b64 s[6:7], -1
	s_mov_b64 s[4:5], 0
	s_mov_b64 s[0:1], 0
                                        ; implicit-def: $vgpr6_vgpr7
	s_branch .LBB94_1429
.LBB94_1421:
	s_trap 2
	s_or_b64 s[22:23], s[22:23], exec
	s_cbranch_execz .LBB94_1360
	s_branch .LBB94_1361
.LBB94_1422:
	s_mov_b64 s[6:7], -1
	s_mov_b64 s[4:5], 0
	s_mov_b64 s[0:1], 0
                                        ; implicit-def: $vgpr6_vgpr7
	s_branch .LBB94_1424
.LBB94_1423:
	s_mov_b64 s[0:1], -1
                                        ; implicit-def: $vgpr6_vgpr7
	s_mov_b64 s[4:5], 0
.LBB94_1424:
	s_and_b64 vcc, exec, s[6:7]
	s_cbranch_vccz .LBB94_1428
; %bb.1425:
	s_cmp_eq_u32 s15, 44
	s_cbranch_scc0 .LBB94_1427
; %bb.1426:
	global_load_ubyte v11, v[8:9], off
	s_movk_i32 s4, 0xff
	v_bfrev_b32_e32 v12, 4
	v_mov_b32_e32 v13, 0x7ff80000
	v_bfrev_b32_e32 v14, 28
	s_mov_b64 s[0:1], 0
	s_waitcnt vmcnt(0)
	v_lshlrev_b32_e32 v6, 23, v11
	v_cvt_f64_f32_e32 v[6:7], v6
	v_cmp_ne_u32_e32 vcc, s4, v11
	s_mov_b64 s[4:5], -1
	v_cndmask_b32_e32 v6, v12, v6, vcc
	v_cndmask_b32_e32 v7, v13, v7, vcc
	v_cmp_ne_u32_e32 vcc, 0, v11
	v_cndmask_b32_e32 v7, v14, v7, vcc
	v_cndmask_b32_e32 v6, 0, v6, vcc
	s_branch .LBB94_1428
.LBB94_1427:
	s_mov_b64 s[0:1], -1
                                        ; implicit-def: $vgpr6_vgpr7
.LBB94_1428:
	s_mov_b64 s[6:7], 0
.LBB94_1429:
	s_and_b64 vcc, exec, s[6:7]
	s_cbranch_vccz .LBB94_1433
; %bb.1430:
	s_cmp_eq_u32 s15, 29
	s_cbranch_scc0 .LBB94_1432
; %bb.1431:
	global_load_dwordx2 v[6:7], v[8:9], off
	s_mov_b64 s[0:1], 0
	s_mov_b64 s[4:5], -1
	s_mov_b64 s[6:7], 0
	s_waitcnt vmcnt(0)
	v_cvt_f64_u32_e32 v[11:12], v7
	v_cvt_f64_u32_e32 v[6:7], v6
	v_ldexp_f64 v[11:12], v[11:12], 32
	v_add_f64 v[6:7], v[11:12], v[6:7]
	s_branch .LBB94_1434
.LBB94_1432:
	s_mov_b64 s[0:1], -1
                                        ; implicit-def: $vgpr6_vgpr7
.LBB94_1433:
	s_mov_b64 s[6:7], 0
.LBB94_1434:
	s_and_b64 vcc, exec, s[6:7]
	s_cbranch_vccz .LBB94_1454
; %bb.1435:
	s_cmp_lt_i32 s15, 27
	s_cbranch_scc1 .LBB94_1438
; %bb.1436:
	s_cmp_gt_i32 s15, 27
	s_cbranch_scc0 .LBB94_1439
; %bb.1437:
	global_load_dword v6, v[8:9], off
	s_mov_b64 s[4:5], 0
	s_waitcnt vmcnt(0)
	v_cvt_f64_u32_e32 v[6:7], v6
	s_branch .LBB94_1440
.LBB94_1438:
	s_mov_b64 s[4:5], -1
                                        ; implicit-def: $vgpr6_vgpr7
	s_branch .LBB94_1443
.LBB94_1439:
	s_mov_b64 s[4:5], -1
                                        ; implicit-def: $vgpr6_vgpr7
.LBB94_1440:
	s_andn2_b64 vcc, exec, s[4:5]
	s_cbranch_vccnz .LBB94_1442
; %bb.1441:
	global_load_ushort v6, v[8:9], off
	s_waitcnt vmcnt(0)
	v_cvt_f64_u32_e32 v[6:7], v6
.LBB94_1442:
	s_mov_b64 s[4:5], 0
.LBB94_1443:
	s_andn2_b64 vcc, exec, s[4:5]
	s_cbranch_vccnz .LBB94_1453
; %bb.1444:
	global_load_ubyte v11, v[8:9], off
	s_movk_i32 s4, 0x7f
	s_waitcnt vmcnt(0)
	v_cmp_lt_i16_e32 vcc, s4, v11
	s_mov_b64 s[4:5], 0
	s_and_saveexec_b64 s[6:7], vcc
	s_xor_b64 s[6:7], exec, s[6:7]
	s_cbranch_execz .LBB94_1448
; %bb.1445:
	s_movk_i32 s4, 0x80
	v_cmp_eq_u16_e32 vcc, s4, v11
	s_mov_b64 s[4:5], -1
	s_and_saveexec_b64 s[10:11], vcc
; %bb.1446:
	s_xor_b64 s[4:5], exec, -1
; %bb.1447:
	s_or_b64 exec, exec, s[10:11]
	s_and_b64 s[4:5], s[4:5], exec
.LBB94_1448:
	s_or_saveexec_b64 s[6:7], s[6:7]
	v_bfrev_b32_e32 v6, 4
	v_mov_b32_e32 v7, 0x7ff80000
	s_xor_b64 exec, exec, s[6:7]
; %bb.1449:
	v_cmp_ne_u16_e32 vcc, 0, v11
	v_mov_b32_e32 v6, 0
	s_andn2_b64 s[4:5], s[4:5], exec
	s_and_b64 s[10:11], vcc, exec
	v_mov_b32_e32 v7, 0
	s_or_b64 s[4:5], s[4:5], s[10:11]
; %bb.1450:
	s_or_b64 exec, exec, s[6:7]
	s_and_saveexec_b64 s[6:7], s[4:5]
	s_cbranch_execz .LBB94_1452
; %bb.1451:
	v_and_b32_e32 v7, 0xffff, v11
	v_lshlrev_b32_e32 v6, 24, v11
	v_and_b32_e32 v11, 7, v7
	v_ffbh_u32_e32 v13, v11
	v_min_u32_e32 v13, 32, v13
	v_subrev_u32_e32 v14, 28, v13
	v_bfe_u32 v12, v7, 3, 4
	v_lshlrev_b32_e32 v7, v14, v7
	v_sub_u32_e32 v13, 29, v13
	v_and_b32_e32 v7, 7, v7
	v_cmp_eq_u32_e32 vcc, 0, v12
	v_cndmask_b32_e32 v12, v12, v13, vcc
	v_cndmask_b32_e32 v7, v11, v7, vcc
	v_mov_b32_e32 v11, 0x3b800000
	v_lshlrev_b32_e32 v7, 20, v7
	v_and_b32_e32 v6, 0x80000000, v6
	v_lshl_add_u32 v11, v12, 23, v11
	v_or3_b32 v6, v6, v11, v7
	v_cvt_f64_f32_e32 v[6:7], v6
.LBB94_1452:
	s_or_b64 exec, exec, s[6:7]
.LBB94_1453:
	s_mov_b64 s[4:5], -1
.LBB94_1454:
	s_mov_b64 s[6:7], 0
.LBB94_1455:
	s_and_b64 vcc, exec, s[6:7]
	s_cbranch_vccz .LBB94_1486
; %bb.1456:
	s_cmp_gt_i32 s15, 22
	s_cbranch_scc0 .LBB94_1468
; %bb.1457:
	s_cmp_lt_i32 s15, 24
	s_cbranch_scc1 .LBB94_1469
; %bb.1458:
	s_cmp_gt_i32 s15, 24
	s_cbranch_scc0 .LBB94_1470
; %bb.1459:
	global_load_ubyte v11, v[8:9], off
	s_movk_i32 s2, 0x7f
	s_waitcnt vmcnt(0)
	v_cmp_lt_i16_e32 vcc, s2, v11
	s_mov_b64 s[2:3], 0
	s_and_saveexec_b64 s[4:5], vcc
	s_xor_b64 s[4:5], exec, s[4:5]
	s_cbranch_execz .LBB94_1463
; %bb.1460:
	s_movk_i32 s2, 0x80
	v_cmp_eq_u16_e32 vcc, s2, v11
	s_mov_b64 s[2:3], -1
	s_and_saveexec_b64 s[6:7], vcc
; %bb.1461:
	s_xor_b64 s[2:3], exec, -1
; %bb.1462:
	s_or_b64 exec, exec, s[6:7]
	s_and_b64 s[2:3], s[2:3], exec
.LBB94_1463:
	s_or_saveexec_b64 s[4:5], s[4:5]
	v_bfrev_b32_e32 v6, 4
	v_mov_b32_e32 v7, 0x7ff80000
	s_xor_b64 exec, exec, s[4:5]
; %bb.1464:
	v_cmp_ne_u16_e32 vcc, 0, v11
	v_mov_b32_e32 v6, 0
	s_andn2_b64 s[2:3], s[2:3], exec
	s_and_b64 s[6:7], vcc, exec
	v_mov_b32_e32 v7, 0
	s_or_b64 s[2:3], s[2:3], s[6:7]
; %bb.1465:
	s_or_b64 exec, exec, s[4:5]
	s_and_saveexec_b64 s[4:5], s[2:3]
	s_cbranch_execz .LBB94_1467
; %bb.1466:
	v_and_b32_e32 v7, 0xffff, v11
	v_lshlrev_b32_e32 v6, 24, v11
	v_and_b32_e32 v11, 3, v7
	v_ffbh_u32_e32 v13, v11
	v_min_u32_e32 v13, 32, v13
	v_subrev_u32_e32 v14, 29, v13
	v_bfe_u32 v12, v7, 2, 5
	v_lshlrev_b32_e32 v7, v14, v7
	v_sub_u32_e32 v13, 30, v13
	v_and_b32_e32 v7, 3, v7
	v_cmp_eq_u32_e32 vcc, 0, v12
	v_cndmask_b32_e32 v12, v12, v13, vcc
	v_cndmask_b32_e32 v7, v11, v7, vcc
	v_mov_b32_e32 v11, 0x37800000
	v_lshlrev_b32_e32 v7, 21, v7
	v_and_b32_e32 v6, 0x80000000, v6
	v_lshl_add_u32 v11, v12, 23, v11
	v_or3_b32 v6, v6, v11, v7
	v_cvt_f64_f32_e32 v[6:7], v6
.LBB94_1467:
	s_or_b64 exec, exec, s[4:5]
	s_mov_b64 s[2:3], 0
	s_branch .LBB94_1471
.LBB94_1468:
	s_mov_b64 s[2:3], -1
                                        ; implicit-def: $vgpr6_vgpr7
	s_branch .LBB94_1477
.LBB94_1469:
	s_mov_b64 s[2:3], -1
                                        ; implicit-def: $vgpr6_vgpr7
	s_branch .LBB94_1474
.LBB94_1470:
	s_mov_b64 s[2:3], -1
                                        ; implicit-def: $vgpr6_vgpr7
.LBB94_1471:
	s_and_b64 vcc, exec, s[2:3]
	s_cbranch_vccz .LBB94_1473
; %bb.1472:
	global_load_ubyte v6, v[8:9], off
	s_mov_b32 s2, 0x7f800000
	s_waitcnt vmcnt(0)
	v_lshlrev_b32_e32 v6, 24, v6
	v_and_b32_e32 v7, 0x7f000000, v6
	v_ffbh_u32_e32 v11, v7
	v_min_u32_e32 v11, 32, v11
	v_sub_u32_e64 v11, v11, 4 clamp
	v_lshlrev_b32_e32 v13, v11, v7
	v_lshlrev_b32_e32 v11, 23, v11
	v_lshrrev_b32_e32 v13, 4, v13
	v_add_u32_e32 v12, 0x1000000, v7
	v_sub_u32_e32 v11, v13, v11
	v_ashrrev_i32_e32 v12, 8, v12
	v_add_u32_e32 v11, 0x3c000000, v11
	v_and_or_b32 v11, v12, s2, v11
	v_cmp_ne_u32_e32 vcc, 0, v7
	v_cndmask_b32_e32 v7, 0, v11, vcc
	s_brev_b32 s2, 1
	v_and_or_b32 v6, v6, s2, v7
	v_cvt_f64_f32_e32 v[6:7], v6
.LBB94_1473:
	s_mov_b64 s[2:3], 0
.LBB94_1474:
	s_andn2_b64 vcc, exec, s[2:3]
	s_cbranch_vccnz .LBB94_1476
; %bb.1475:
	global_load_ubyte v6, v[8:9], off
	s_movk_i32 s2, 0x7f00
	s_brev_b32 s3, 16
	s_waitcnt vmcnt(0)
	v_lshlrev_b16_e32 v7, 8, v6
	v_lshlrev_b32_e32 v6, 25, v6
	v_lshrrev_b32_e32 v11, 4, v6
	v_and_or_b32 v12, v7, s2, 0.5
	v_or_b32_e32 v11, 0x70000000, v11
	v_add_f32_e32 v12, -0.5, v12
	v_mul_f32_e32 v11, 0x7800000, v11
	v_cmp_gt_u32_e32 vcc, s3, v6
	v_bfe_i32 v7, v7, 0, 16
	v_cndmask_b32_e32 v6, v11, v12, vcc
	s_brev_b32 s2, 1
	v_and_or_b32 v6, v7, s2, v6
	v_cvt_f64_f32_e32 v[6:7], v6
.LBB94_1476:
	s_mov_b64 s[2:3], 0
	s_mov_b64 s[4:5], -1
.LBB94_1477:
	s_andn2_b64 vcc, exec, s[2:3]
	s_mov_b64 s[2:3], 0
	s_cbranch_vccnz .LBB94_1486
; %bb.1478:
	s_cmp_gt_i32 s15, 14
	s_cbranch_scc0 .LBB94_1481
; %bb.1479:
	s_cmp_eq_u32 s15, 15
	s_cbranch_scc0 .LBB94_1482
; %bb.1480:
	global_load_ushort v6, v[8:9], off
	s_mov_b64 s[0:1], 0
	s_mov_b64 s[4:5], -1
	s_waitcnt vmcnt(0)
	v_lshlrev_b32_e32 v6, 16, v6
	v_cvt_f64_f32_e32 v[6:7], v6
	s_branch .LBB94_1483
.LBB94_1481:
	s_mov_b64 s[6:7], -1
                                        ; implicit-def: $vgpr6_vgpr7
	s_branch .LBB94_1484
.LBB94_1482:
	s_mov_b64 s[0:1], -1
                                        ; implicit-def: $vgpr6_vgpr7
.LBB94_1483:
	s_mov_b64 s[6:7], 0
.LBB94_1484:
	s_and_b64 vcc, exec, s[6:7]
	s_cbranch_vccz .LBB94_1486
; %bb.1485:
	s_cmp_lg_u32 s15, 11
	s_mov_b64 s[2:3], -1
	s_cselect_b64 s[0:1], -1, 0
.LBB94_1486:
	s_and_b64 vcc, exec, s[0:1]
	s_cbranch_vccnz .LBB94_2019
; %bb.1487:
	s_andn2_b64 vcc, exec, s[2:3]
	s_cbranch_vccnz .LBB94_1489
.LBB94_1488:
	global_load_ubyte v7, v[8:9], off
	v_mov_b32_e32 v11, 0x3ff00000
	v_mov_b32_e32 v6, 0
	s_mov_b64 s[4:5], -1
	s_waitcnt vmcnt(0)
	v_cmp_ne_u16_e32 vcc, 0, v7
	v_cndmask_b32_e32 v7, 0, v11, vcc
.LBB94_1489:
	s_mov_b64 s[0:1], 0
.LBB94_1490:
	s_and_b64 vcc, exec, s[0:1]
	s_cbranch_vccz .LBB94_1539
; %bb.1491:
	s_cmp_lt_i32 s15, 5
	s_cbranch_scc1 .LBB94_1496
; %bb.1492:
	s_cmp_lt_i32 s15, 8
	s_cbranch_scc1 .LBB94_1497
	;; [unrolled: 3-line block ×3, first 2 shown]
; %bb.1494:
	s_cmp_gt_i32 s15, 9
	s_cbranch_scc0 .LBB94_1499
; %bb.1495:
	global_load_dwordx2 v[6:7], v[8:9], off
	s_mov_b64 s[0:1], 0
	s_branch .LBB94_1500
.LBB94_1496:
	s_mov_b64 s[0:1], -1
                                        ; implicit-def: $vgpr6_vgpr7
	s_branch .LBB94_1518
.LBB94_1497:
	s_mov_b64 s[0:1], -1
                                        ; implicit-def: $vgpr6_vgpr7
	s_branch .LBB94_1506
.LBB94_1498:
	s_mov_b64 s[0:1], -1
                                        ; implicit-def: $vgpr6_vgpr7
	s_branch .LBB94_1503
.LBB94_1499:
	s_mov_b64 s[0:1], -1
                                        ; implicit-def: $vgpr6_vgpr7
.LBB94_1500:
	s_andn2_b64 vcc, exec, s[0:1]
	s_cbranch_vccnz .LBB94_1502
; %bb.1501:
	global_load_dword v6, v[8:9], off
	s_waitcnt vmcnt(0)
	v_cvt_f64_f32_e32 v[6:7], v6
.LBB94_1502:
	s_mov_b64 s[0:1], 0
.LBB94_1503:
	s_andn2_b64 vcc, exec, s[0:1]
	s_cbranch_vccnz .LBB94_1505
; %bb.1504:
	global_load_dword v6, v[8:9], off
	s_waitcnt vmcnt(0)
	v_cvt_f32_f16_e32 v6, v6
	v_cvt_f64_f32_e32 v[6:7], v6
.LBB94_1505:
	s_mov_b64 s[0:1], 0
.LBB94_1506:
	s_andn2_b64 vcc, exec, s[0:1]
	s_cbranch_vccnz .LBB94_1517
; %bb.1507:
	s_cmp_lt_i32 s15, 6
	s_cbranch_scc1 .LBB94_1510
; %bb.1508:
	s_cmp_gt_i32 s15, 6
	s_cbranch_scc0 .LBB94_1511
; %bb.1509:
	global_load_dwordx2 v[6:7], v[8:9], off
	s_mov_b64 s[0:1], 0
	s_branch .LBB94_1512
.LBB94_1510:
	s_mov_b64 s[0:1], -1
                                        ; implicit-def: $vgpr6_vgpr7
	s_branch .LBB94_1515
.LBB94_1511:
	s_mov_b64 s[0:1], -1
                                        ; implicit-def: $vgpr6_vgpr7
.LBB94_1512:
	s_andn2_b64 vcc, exec, s[0:1]
	s_cbranch_vccnz .LBB94_1514
; %bb.1513:
	global_load_dword v6, v[8:9], off
	s_waitcnt vmcnt(0)
	v_cvt_f64_f32_e32 v[6:7], v6
.LBB94_1514:
	s_mov_b64 s[0:1], 0
.LBB94_1515:
	s_andn2_b64 vcc, exec, s[0:1]
	s_cbranch_vccnz .LBB94_1517
; %bb.1516:
	global_load_ushort v6, v[8:9], off
	s_waitcnt vmcnt(0)
	v_cvt_f32_f16_e32 v6, v6
	v_cvt_f64_f32_e32 v[6:7], v6
.LBB94_1517:
	s_mov_b64 s[0:1], 0
.LBB94_1518:
	s_andn2_b64 vcc, exec, s[0:1]
	s_cbranch_vccnz .LBB94_1538
; %bb.1519:
	s_cmp_lt_i32 s15, 2
	s_cbranch_scc1 .LBB94_1523
; %bb.1520:
	s_cmp_lt_i32 s15, 3
	s_cbranch_scc1 .LBB94_1524
; %bb.1521:
	s_cmp_gt_i32 s15, 3
	s_cbranch_scc0 .LBB94_1525
; %bb.1522:
	global_load_dwordx2 v[6:7], v[8:9], off
	s_mov_b64 s[0:1], 0
	s_waitcnt vmcnt(0)
	v_cvt_f64_i32_e32 v[11:12], v7
	v_cvt_f64_u32_e32 v[6:7], v6
	v_ldexp_f64 v[11:12], v[11:12], 32
	v_add_f64 v[6:7], v[11:12], v[6:7]
	s_branch .LBB94_1526
.LBB94_1523:
	s_mov_b64 s[0:1], -1
                                        ; implicit-def: $vgpr6_vgpr7
	s_branch .LBB94_1532
.LBB94_1524:
	s_mov_b64 s[0:1], -1
                                        ; implicit-def: $vgpr6_vgpr7
	s_branch .LBB94_1529
.LBB94_1525:
	s_mov_b64 s[0:1], -1
                                        ; implicit-def: $vgpr6_vgpr7
.LBB94_1526:
	s_andn2_b64 vcc, exec, s[0:1]
	s_cbranch_vccnz .LBB94_1528
; %bb.1527:
	global_load_dword v6, v[8:9], off
	s_waitcnt vmcnt(0)
	v_cvt_f64_i32_e32 v[6:7], v6
.LBB94_1528:
	s_mov_b64 s[0:1], 0
.LBB94_1529:
	s_andn2_b64 vcc, exec, s[0:1]
	s_cbranch_vccnz .LBB94_1531
; %bb.1530:
	global_load_sshort v6, v[8:9], off
	s_waitcnt vmcnt(0)
	v_cvt_f64_i32_e32 v[6:7], v6
.LBB94_1531:
	s_mov_b64 s[0:1], 0
.LBB94_1532:
	s_andn2_b64 vcc, exec, s[0:1]
	s_cbranch_vccnz .LBB94_1538
; %bb.1533:
	s_cmp_gt_i32 s15, 0
	s_cbranch_scc0 .LBB94_1535
; %bb.1534:
	global_load_sbyte v6, v[8:9], off
	s_mov_b64 s[0:1], 0
	s_waitcnt vmcnt(0)
	v_cvt_f64_i32_e32 v[6:7], v6
	s_branch .LBB94_1536
.LBB94_1535:
	s_mov_b64 s[0:1], -1
                                        ; implicit-def: $vgpr6_vgpr7
.LBB94_1536:
	s_andn2_b64 vcc, exec, s[0:1]
	s_cbranch_vccnz .LBB94_1538
; %bb.1537:
	global_load_ubyte v6, v[8:9], off
	s_waitcnt vmcnt(0)
	v_cvt_f64_u32_e32 v[6:7], v6
.LBB94_1538:
	s_mov_b64 s[4:5], -1
.LBB94_1539:
	s_andn2_b64 vcc, exec, s[4:5]
	s_cbranch_vccnz .LBB94_1973
; %bb.1540:
	s_waitcnt vmcnt(0)
	v_cmp_eq_f64_e32 vcc, s[16:17], v[0:1]
	s_cmp_eq_u32 s14, 0
	v_mul_lo_u32 v8, s12, v10
	s_cselect_b64 s[0:1], -1, 0
	s_and_b32 s26, s33, 0xff
	s_cmp_lt_i32 s26, 11
	v_cndmask_b32_e64 v9, 0, 1, vcc
	v_cmp_neq_f64_e32 vcc, s[16:17], v[0:1]
	v_ashrrev_i32_e32 v1, 31, v8
	v_cndmask_b32_e64 v0, 0, 1, vcc
	v_cndmask_b32_e64 v0, v0, v9, s[0:1]
	v_and_b32_e32 v0, 1, v0
	v_cmp_eq_u32_e64 s[2:3], 1, v0
	v_mov_b32_e32 v9, s9
	v_add_co_u32_e32 v0, vcc, s8, v8
	v_addc_co_u32_e32 v1, vcc, v9, v1, vcc
	s_cbranch_scc1 .LBB94_1618
; %bb.1541:
	s_and_b32 s13, 0xffff, s26
	s_mov_b64 s[14:15], -1
	s_mov_b64 s[6:7], 0
	s_cmp_gt_i32 s13, 25
	s_mov_b64 s[10:11], 0
	s_mov_b64 s[4:5], 0
	s_cbranch_scc0 .LBB94_1574
; %bb.1542:
	s_cmp_gt_i32 s13, 28
	s_cbranch_scc0 .LBB94_1557
; %bb.1543:
	s_cmp_gt_i32 s13, 43
	;; [unrolled: 3-line block ×3, first 2 shown]
	s_cbranch_scc0 .LBB94_1547
; %bb.1545:
	s_mov_b64 s[4:5], -1
	s_mov_b64 s[14:15], 0
	s_cmp_eq_u32 s13, 46
	s_cbranch_scc0 .LBB94_1547
; %bb.1546:
	v_cndmask_b32_e64 v9, 0, 1.0, s[2:3]
	v_bfe_u32 v10, v9, 16, 1
	s_movk_i32 s4, 0x7fff
	v_add3_u32 v9, v9, v10, s4
	v_lshrrev_b32_e32 v9, 16, v9
	global_store_dword v[0:1], v9, off
	s_mov_b64 s[4:5], 0
	s_mov_b64 s[10:11], -1
.LBB94_1547:
	s_and_b64 vcc, exec, s[14:15]
	s_cbranch_vccz .LBB94_1552
; %bb.1548:
	s_cmp_eq_u32 s13, 44
	s_mov_b64 s[4:5], -1
	s_cbranch_scc0 .LBB94_1552
; %bb.1549:
	v_cndmask_b32_e64 v10, 0, 1.0, s[2:3]
	v_lshrrev_b32_e32 v9, 23, v10
	s_movk_i32 s4, 0xff
	v_cmp_ne_u32_e32 vcc, s4, v9
	v_mov_b32_e32 v11, 0xff
	s_and_saveexec_b64 s[10:11], vcc
; %bb.1550:
	s_mov_b32 s4, 0x3fffff
	v_and_b32_e32 v11, 0x400000, v10
	v_and_or_b32 v10, v10, s4, v9
	v_cmp_ne_u32_e32 vcc, 0, v11
	v_cmp_ne_u32_e64 s[4:5], 0, v10
	s_and_b64 s[4:5], vcc, s[4:5]
	v_cndmask_b32_e64 v10, 0, 1, s[4:5]
	v_add_u32_e32 v11, v9, v10
; %bb.1551:
	s_or_b64 exec, exec, s[10:11]
	s_mov_b64 s[4:5], 0
	s_mov_b64 s[10:11], -1
	global_store_byte v[0:1], v11, off
.LBB94_1552:
	s_mov_b64 s[14:15], 0
.LBB94_1553:
	s_and_b64 vcc, exec, s[14:15]
	s_cbranch_vccz .LBB94_1556
; %bb.1554:
	s_cmp_eq_u32 s13, 29
	s_mov_b64 s[4:5], -1
	s_cbranch_scc0 .LBB94_1556
; %bb.1555:
	s_mov_b32 s4, 0
	v_cndmask_b32_e64 v9, 0, 1, s[2:3]
	v_mov_b32_e32 v10, s4
	global_store_dwordx2 v[0:1], v[9:10], off
	s_mov_b64 s[4:5], 0
	s_mov_b64 s[10:11], -1
.LBB94_1556:
	s_mov_b64 s[14:15], 0
.LBB94_1557:
	s_and_b64 vcc, exec, s[14:15]
	s_cbranch_vccz .LBB94_1573
; %bb.1558:
	s_cmp_lt_i32 s13, 27
	s_mov_b64 s[10:11], -1
	s_cbranch_scc1 .LBB94_1564
; %bb.1559:
	s_cmp_gt_i32 s13, 27
	s_cbranch_scc0 .LBB94_1561
; %bb.1560:
	v_cndmask_b32_e64 v9, 0, 1, s[2:3]
	s_mov_b64 s[10:11], 0
	global_store_dword v[0:1], v9, off
.LBB94_1561:
	s_andn2_b64 vcc, exec, s[10:11]
	s_cbranch_vccnz .LBB94_1563
; %bb.1562:
	v_cndmask_b32_e64 v9, 0, 1, s[2:3]
	global_store_short v[0:1], v9, off
.LBB94_1563:
	s_mov_b64 s[10:11], 0
.LBB94_1564:
	s_andn2_b64 vcc, exec, s[10:11]
	s_cbranch_vccnz .LBB94_1572
; %bb.1565:
	v_cndmask_b32_e64 v10, 0, 1.0, s[2:3]
	s_mov_b32 s10, 0x43800000
	v_cmp_gt_u32_e32 vcc, s10, v10
	v_mov_b32_e32 v11, 0x80
	s_and_saveexec_b64 s[10:11], vcc
	s_cbranch_execz .LBB94_1571
; %bb.1566:
	s_mov_b32 s14, 0x3bffffff
	v_cmp_lt_u32_e32 vcc, s14, v10
	s_mov_b64 s[14:15], 0
                                        ; implicit-def: $vgpr9
	s_and_saveexec_b64 s[24:25], vcc
	s_xor_b64 s[24:25], exec, s[24:25]
	s_cbranch_execz .LBB94_2020
; %bb.1567:
	v_bfe_u32 v9, v10, 20, 1
	s_mov_b32 s27, 0x487ffff
	v_add3_u32 v9, v10, v9, s27
	s_mov_b64 s[14:15], exec
	v_lshrrev_b32_e32 v9, 20, v9
                                        ; implicit-def: $vgpr10
	s_andn2_saveexec_b64 s[24:25], s[24:25]
	s_cbranch_execnz .LBB94_2021
.LBB94_1568:
	s_or_b64 exec, exec, s[24:25]
	v_mov_b32_e32 v11, 0
	s_and_saveexec_b64 s[24:25], s[14:15]
.LBB94_1569:
	v_mov_b32_e32 v11, v9
.LBB94_1570:
	s_or_b64 exec, exec, s[24:25]
.LBB94_1571:
	s_or_b64 exec, exec, s[10:11]
	global_store_byte v[0:1], v11, off
.LBB94_1572:
	s_mov_b64 s[10:11], -1
.LBB94_1573:
	s_mov_b64 s[14:15], 0
.LBB94_1574:
	s_and_b64 vcc, exec, s[14:15]
	s_cbranch_vccz .LBB94_1614
; %bb.1575:
	s_cmp_gt_i32 s13, 22
	s_mov_b64 s[6:7], -1
	s_cbranch_scc0 .LBB94_1607
; %bb.1576:
	s_cmp_lt_i32 s13, 24
	s_cbranch_scc1 .LBB94_1596
; %bb.1577:
	s_cmp_gt_i32 s13, 24
	s_cbranch_scc0 .LBB94_1585
; %bb.1578:
	v_cndmask_b32_e64 v10, 0, 1.0, s[2:3]
	s_mov_b32 s6, 0x47800000
	v_cmp_gt_u32_e32 vcc, s6, v10
	v_mov_b32_e32 v11, 0x80
	s_and_saveexec_b64 s[6:7], vcc
	s_cbranch_execz .LBB94_1584
; %bb.1579:
	s_mov_b32 s10, 0x37ffffff
	v_cmp_lt_u32_e32 vcc, s10, v10
	s_mov_b64 s[10:11], 0
                                        ; implicit-def: $vgpr9
	s_and_saveexec_b64 s[14:15], vcc
	s_xor_b64 s[14:15], exec, s[14:15]
	s_cbranch_execz .LBB94_2023
; %bb.1580:
	v_bfe_u32 v9, v10, 21, 1
	s_mov_b32 s24, 0x88fffff
	v_add3_u32 v9, v10, v9, s24
	s_mov_b64 s[10:11], exec
	v_lshrrev_b32_e32 v9, 21, v9
                                        ; implicit-def: $vgpr10
	s_andn2_saveexec_b64 s[14:15], s[14:15]
	s_cbranch_execnz .LBB94_2024
.LBB94_1581:
	s_or_b64 exec, exec, s[14:15]
	v_mov_b32_e32 v11, 0
	s_and_saveexec_b64 s[14:15], s[10:11]
.LBB94_1582:
	v_mov_b32_e32 v11, v9
.LBB94_1583:
	s_or_b64 exec, exec, s[14:15]
.LBB94_1584:
	s_or_b64 exec, exec, s[6:7]
	s_mov_b64 s[6:7], 0
	global_store_byte v[0:1], v11, off
.LBB94_1585:
	s_and_b64 vcc, exec, s[6:7]
	s_cbranch_vccz .LBB94_1595
; %bb.1586:
	v_cndmask_b32_e64 v9, 0, 1.0, s[2:3]
	s_mov_b32 s6, 0x43f00000
	v_cmp_gt_u32_e32 vcc, s6, v9
                                        ; implicit-def: $vgpr10
	s_and_saveexec_b64 s[6:7], vcc
	s_xor_b64 s[6:7], exec, s[6:7]
	s_cbranch_execz .LBB94_1592
; %bb.1587:
	s_mov_b32 s10, 0x3c7fffff
	v_cmp_lt_u32_e32 vcc, s10, v9
                                        ; implicit-def: $vgpr10
	s_and_saveexec_b64 s[10:11], vcc
	s_xor_b64 s[10:11], exec, s[10:11]
; %bb.1588:
	v_bfe_u32 v10, v9, 20, 1
	s_mov_b32 s14, 0x407ffff
	v_add3_u32 v9, v9, v10, s14
	v_lshrrev_b32_e32 v10, 20, v9
	v_and_b32_e32 v9, 0xff00000, v9
	s_mov_b32 s14, 0x7f00000
	v_mov_b32_e32 v11, 0x7e
	v_cmp_ne_u32_e32 vcc, s14, v9
	v_cndmask_b32_e32 v10, v11, v10, vcc
                                        ; implicit-def: $vgpr9
; %bb.1589:
	s_andn2_saveexec_b64 s[10:11], s[10:11]
; %bb.1590:
	v_add_f32_e32 v10, 0x46800000, v9
; %bb.1591:
	s_or_b64 exec, exec, s[10:11]
                                        ; implicit-def: $vgpr9
.LBB94_1592:
	s_andn2_saveexec_b64 s[6:7], s[6:7]
; %bb.1593:
	s_mov_b32 s10, 0x7f800000
	v_mov_b32_e32 v10, 0x7e
	v_mov_b32_e32 v11, 0x7f
	v_cmp_lt_u32_e32 vcc, s10, v9
	v_cndmask_b32_e32 v10, v10, v11, vcc
; %bb.1594:
	s_or_b64 exec, exec, s[6:7]
	global_store_byte v[0:1], v10, off
.LBB94_1595:
	s_mov_b64 s[6:7], 0
.LBB94_1596:
	s_andn2_b64 vcc, exec, s[6:7]
	s_cbranch_vccnz .LBB94_1606
; %bb.1597:
	v_cndmask_b32_e64 v9, 0, 1.0, s[2:3]
	s_mov_b32 s6, 0x47800000
	v_cmp_gt_u32_e32 vcc, s6, v9
                                        ; implicit-def: $vgpr10
	s_and_saveexec_b64 s[6:7], vcc
	s_xor_b64 s[6:7], exec, s[6:7]
	s_cbranch_execz .LBB94_1603
; %bb.1598:
	s_mov_b32 s10, 0x387fffff
	v_cmp_lt_u32_e32 vcc, s10, v9
                                        ; implicit-def: $vgpr10
	s_and_saveexec_b64 s[10:11], vcc
	s_xor_b64 s[10:11], exec, s[10:11]
; %bb.1599:
	v_bfe_u32 v10, v9, 21, 1
	s_mov_b32 s14, 0x80fffff
	v_add3_u32 v9, v9, v10, s14
	v_lshrrev_b32_e32 v10, 21, v9
                                        ; implicit-def: $vgpr9
; %bb.1600:
	s_andn2_saveexec_b64 s[10:11], s[10:11]
; %bb.1601:
	v_add_f32_e32 v10, 0x43000000, v9
; %bb.1602:
	s_or_b64 exec, exec, s[10:11]
                                        ; implicit-def: $vgpr9
.LBB94_1603:
	s_andn2_saveexec_b64 s[6:7], s[6:7]
; %bb.1604:
	s_mov_b32 s10, 0x7f800000
	v_mov_b32_e32 v10, 0x7c
	v_mov_b32_e32 v11, 0x7f
	v_cmp_lt_u32_e32 vcc, s10, v9
	v_cndmask_b32_e32 v10, v10, v11, vcc
; %bb.1605:
	s_or_b64 exec, exec, s[6:7]
	global_store_byte v[0:1], v10, off
.LBB94_1606:
	s_mov_b64 s[6:7], 0
	s_mov_b64 s[10:11], -1
.LBB94_1607:
	s_andn2_b64 vcc, exec, s[6:7]
	s_mov_b64 s[6:7], 0
	s_cbranch_vccnz .LBB94_1614
; %bb.1608:
	s_cmp_gt_i32 s13, 14
	s_mov_b64 s[14:15], -1
	s_cbranch_scc0 .LBB94_1612
; %bb.1609:
	s_cmp_eq_u32 s13, 15
	s_mov_b64 s[4:5], -1
	s_cbranch_scc0 .LBB94_1611
; %bb.1610:
	v_cndmask_b32_e64 v9, 0, 1.0, s[2:3]
	v_bfe_u32 v10, v9, 16, 1
	s_movk_i32 s4, 0x7fff
	v_add3_u32 v9, v9, v10, s4
	global_store_short_d16_hi v[0:1], v9, off
	s_mov_b64 s[4:5], 0
	s_mov_b64 s[10:11], -1
.LBB94_1611:
	s_mov_b64 s[14:15], 0
.LBB94_1612:
	s_and_b64 vcc, exec, s[14:15]
	s_cbranch_vccz .LBB94_1614
; %bb.1613:
	s_cmp_lg_u32 s13, 11
	s_mov_b64 s[6:7], -1
	s_cselect_b64 s[4:5], -1, 0
.LBB94_1614:
	s_and_b64 vcc, exec, s[4:5]
	s_cbranch_vccnz .LBB94_2022
; %bb.1615:
	s_andn2_b64 vcc, exec, s[6:7]
	s_cbranch_vccnz .LBB94_1617
.LBB94_1616:
	v_cndmask_b32_e64 v9, 0, 1, s[2:3]
	s_mov_b64 s[10:11], -1
	global_store_byte v[0:1], v9, off
.LBB94_1617:
	s_mov_b64 s[4:5], 0
	s_branch .LBB94_1619
.LBB94_1618:
	s_mov_b64 s[4:5], -1
	s_mov_b64 s[10:11], 0
.LBB94_1619:
	s_and_b64 vcc, exec, s[4:5]
	s_cbranch_vccz .LBB94_1658
; %bb.1620:
	s_and_b32 s6, 0xffff, s26
	s_cmp_lt_i32 s6, 5
	s_mov_b64 s[4:5], -1
	s_cbranch_scc1 .LBB94_1641
; %bb.1621:
	s_cmp_lt_i32 s6, 8
	s_cbranch_scc1 .LBB94_1631
; %bb.1622:
	s_cmp_lt_i32 s6, 9
	s_cbranch_scc1 .LBB94_1628
; %bb.1623:
	s_cmp_gt_i32 s6, 9
	s_cbranch_scc0 .LBB94_1625
; %bb.1624:
	v_cndmask_b32_e64 v9, 0, 1, s[2:3]
	v_cvt_f64_u32_e32 v[9:10], v9
	v_mov_b32_e32 v11, 0
	v_mov_b32_e32 v12, v11
	s_mov_b64 s[4:5], 0
	global_store_dwordx4 v[0:1], v[9:12], off
.LBB94_1625:
	s_andn2_b64 vcc, exec, s[4:5]
	s_cbranch_vccnz .LBB94_1627
; %bb.1626:
	v_cndmask_b32_e64 v9, 0, 1.0, s[2:3]
	v_mov_b32_e32 v10, 0
	global_store_dwordx2 v[0:1], v[9:10], off
.LBB94_1627:
	s_mov_b64 s[4:5], 0
.LBB94_1628:
	s_andn2_b64 vcc, exec, s[4:5]
	s_cbranch_vccnz .LBB94_1630
; %bb.1629:
	v_cndmask_b32_e64 v9, 0, 1.0, s[2:3]
	v_cvt_f16_f32_e32 v9, v9
	global_store_dword v[0:1], v9, off
.LBB94_1630:
	s_mov_b64 s[4:5], 0
.LBB94_1631:
	s_andn2_b64 vcc, exec, s[4:5]
	s_cbranch_vccnz .LBB94_1640
; %bb.1632:
	s_cmp_lt_i32 s6, 6
	s_mov_b64 s[4:5], -1
	s_cbranch_scc1 .LBB94_1638
; %bb.1633:
	s_cmp_gt_i32 s6, 6
	s_cbranch_scc0 .LBB94_1635
; %bb.1634:
	v_cndmask_b32_e64 v9, 0, 1, s[2:3]
	v_cvt_f64_u32_e32 v[9:10], v9
	s_mov_b64 s[4:5], 0
	global_store_dwordx2 v[0:1], v[9:10], off
.LBB94_1635:
	s_andn2_b64 vcc, exec, s[4:5]
	s_cbranch_vccnz .LBB94_1637
; %bb.1636:
	v_cndmask_b32_e64 v9, 0, 1.0, s[2:3]
	global_store_dword v[0:1], v9, off
.LBB94_1637:
	s_mov_b64 s[4:5], 0
.LBB94_1638:
	s_andn2_b64 vcc, exec, s[4:5]
	s_cbranch_vccnz .LBB94_1640
; %bb.1639:
	v_cndmask_b32_e64 v9, 0, 1.0, s[2:3]
	v_cvt_f16_f32_e32 v9, v9
	global_store_short v[0:1], v9, off
.LBB94_1640:
	s_mov_b64 s[4:5], 0
.LBB94_1641:
	s_andn2_b64 vcc, exec, s[4:5]
	s_cbranch_vccnz .LBB94_1657
; %bb.1642:
	s_cmp_lt_i32 s6, 2
	s_mov_b64 s[4:5], -1
	s_cbranch_scc1 .LBB94_1652
; %bb.1643:
	s_cmp_lt_i32 s6, 3
	s_cbranch_scc1 .LBB94_1649
; %bb.1644:
	s_cmp_gt_i32 s6, 3
	s_cbranch_scc0 .LBB94_1646
; %bb.1645:
	s_mov_b32 s4, 0
	v_cndmask_b32_e64 v9, 0, 1, s[2:3]
	v_mov_b32_e32 v10, s4
	global_store_dwordx2 v[0:1], v[9:10], off
	s_mov_b64 s[4:5], 0
.LBB94_1646:
	s_andn2_b64 vcc, exec, s[4:5]
	s_cbranch_vccnz .LBB94_1648
; %bb.1647:
	v_cndmask_b32_e64 v9, 0, 1, s[2:3]
	global_store_dword v[0:1], v9, off
.LBB94_1648:
	s_mov_b64 s[4:5], 0
.LBB94_1649:
	s_andn2_b64 vcc, exec, s[4:5]
	s_cbranch_vccnz .LBB94_1651
; %bb.1650:
	v_cndmask_b32_e64 v9, 0, 1, s[2:3]
	global_store_short v[0:1], v9, off
.LBB94_1651:
	s_mov_b64 s[4:5], 0
.LBB94_1652:
	s_andn2_b64 vcc, exec, s[4:5]
	s_cbranch_vccnz .LBB94_1657
; %bb.1653:
	s_mov_b64 s[4:5], -1
	s_cmp_gt_i32 s6, 0
	v_cndmask_b32_e64 v9, 0, 1, s[2:3]
	s_cbranch_scc0 .LBB94_1655
; %bb.1654:
	global_store_byte v[0:1], v9, off
	s_mov_b64 s[4:5], 0
.LBB94_1655:
	s_andn2_b64 vcc, exec, s[4:5]
	s_cbranch_vccnz .LBB94_1657
; %bb.1656:
	global_store_byte v[0:1], v9, off
.LBB94_1657:
	s_mov_b64 s[10:11], -1
.LBB94_1658:
	s_andn2_b64 vcc, exec, s[10:11]
	s_cbranch_vccnz .LBB94_1973
; %bb.1659:
	v_cmp_eq_f64_e32 vcc, s[16:17], v[2:3]
	s_lshl_b32 s24, s12, 7
	s_cmp_lt_i32 s26, 11
	v_cndmask_b32_e64 v0, 0, 1, vcc
	v_cmp_neq_f64_e32 vcc, s[16:17], v[2:3]
	v_add_u32_e32 v2, s24, v8
	v_mov_b32_e32 v3, s9
	v_cndmask_b32_e64 v1, 0, 1, vcc
	v_cndmask_b32_e64 v0, v1, v0, s[0:1]
	v_and_b32_e32 v0, 1, v0
	v_cmp_eq_u32_e64 s[2:3], 1, v0
	v_ashrrev_i32_e32 v1, 31, v2
	v_add_co_u32_e32 v0, vcc, s8, v2
	v_addc_co_u32_e32 v1, vcc, v3, v1, vcc
	s_cbranch_scc1 .LBB94_1737
; %bb.1660:
	s_and_b32 s25, 0xffff, s26
	s_mov_b64 s[12:13], -1
	s_mov_b64 s[6:7], 0
	s_cmp_gt_i32 s25, 25
	s_mov_b64 s[10:11], 0
	s_mov_b64 s[4:5], 0
	s_cbranch_scc0 .LBB94_1693
; %bb.1661:
	s_cmp_gt_i32 s25, 28
	s_cbranch_scc0 .LBB94_1676
; %bb.1662:
	s_cmp_gt_i32 s25, 43
	;; [unrolled: 3-line block ×3, first 2 shown]
	s_cbranch_scc0 .LBB94_1666
; %bb.1664:
	s_mov_b64 s[4:5], -1
	s_mov_b64 s[12:13], 0
	s_cmp_eq_u32 s25, 46
	s_cbranch_scc0 .LBB94_1666
; %bb.1665:
	v_cndmask_b32_e64 v3, 0, 1.0, s[2:3]
	v_bfe_u32 v8, v3, 16, 1
	s_movk_i32 s4, 0x7fff
	v_add3_u32 v3, v3, v8, s4
	v_lshrrev_b32_e32 v3, 16, v3
	global_store_dword v[0:1], v3, off
	s_mov_b64 s[4:5], 0
	s_mov_b64 s[10:11], -1
.LBB94_1666:
	s_and_b64 vcc, exec, s[12:13]
	s_cbranch_vccz .LBB94_1671
; %bb.1667:
	s_cmp_eq_u32 s25, 44
	s_mov_b64 s[4:5], -1
	s_cbranch_scc0 .LBB94_1671
; %bb.1668:
	v_cndmask_b32_e64 v8, 0, 1.0, s[2:3]
	v_lshrrev_b32_e32 v3, 23, v8
	s_movk_i32 s4, 0xff
	v_cmp_ne_u32_e32 vcc, s4, v3
	v_mov_b32_e32 v9, 0xff
	s_and_saveexec_b64 s[10:11], vcc
; %bb.1669:
	s_mov_b32 s4, 0x3fffff
	v_and_b32_e32 v9, 0x400000, v8
	v_and_or_b32 v8, v8, s4, v3
	v_cmp_ne_u32_e32 vcc, 0, v9
	v_cmp_ne_u32_e64 s[4:5], 0, v8
	s_and_b64 s[4:5], vcc, s[4:5]
	v_cndmask_b32_e64 v8, 0, 1, s[4:5]
	v_add_u32_e32 v9, v3, v8
; %bb.1670:
	s_or_b64 exec, exec, s[10:11]
	s_mov_b64 s[4:5], 0
	s_mov_b64 s[10:11], -1
	global_store_byte v[0:1], v9, off
.LBB94_1671:
	s_mov_b64 s[12:13], 0
.LBB94_1672:
	s_and_b64 vcc, exec, s[12:13]
	s_cbranch_vccz .LBB94_1675
; %bb.1673:
	s_cmp_eq_u32 s25, 29
	s_mov_b64 s[4:5], -1
	s_cbranch_scc0 .LBB94_1675
; %bb.1674:
	s_mov_b32 s4, 0
	v_cndmask_b32_e64 v8, 0, 1, s[2:3]
	v_mov_b32_e32 v9, s4
	global_store_dwordx2 v[0:1], v[8:9], off
	s_mov_b64 s[4:5], 0
	s_mov_b64 s[10:11], -1
.LBB94_1675:
	s_mov_b64 s[12:13], 0
.LBB94_1676:
	s_and_b64 vcc, exec, s[12:13]
	s_cbranch_vccz .LBB94_1692
; %bb.1677:
	s_cmp_lt_i32 s25, 27
	s_mov_b64 s[10:11], -1
	s_cbranch_scc1 .LBB94_1683
; %bb.1678:
	s_cmp_gt_i32 s25, 27
	s_cbranch_scc0 .LBB94_1680
; %bb.1679:
	v_cndmask_b32_e64 v3, 0, 1, s[2:3]
	s_mov_b64 s[10:11], 0
	global_store_dword v[0:1], v3, off
.LBB94_1680:
	s_andn2_b64 vcc, exec, s[10:11]
	s_cbranch_vccnz .LBB94_1682
; %bb.1681:
	v_cndmask_b32_e64 v3, 0, 1, s[2:3]
	global_store_short v[0:1], v3, off
.LBB94_1682:
	s_mov_b64 s[10:11], 0
.LBB94_1683:
	s_andn2_b64 vcc, exec, s[10:11]
	s_cbranch_vccnz .LBB94_1691
; %bb.1684:
	v_cndmask_b32_e64 v8, 0, 1.0, s[2:3]
	s_mov_b32 s10, 0x43800000
	v_cmp_gt_u32_e32 vcc, s10, v8
	v_mov_b32_e32 v9, 0x80
	s_and_saveexec_b64 s[10:11], vcc
	s_cbranch_execz .LBB94_1690
; %bb.1685:
	s_mov_b32 s12, 0x3bffffff
	v_cmp_lt_u32_e32 vcc, s12, v8
	s_mov_b64 s[12:13], 0
                                        ; implicit-def: $vgpr3
	s_and_saveexec_b64 s[14:15], vcc
	s_xor_b64 s[14:15], exec, s[14:15]
	s_cbranch_execz .LBB94_2025
; %bb.1686:
	v_bfe_u32 v3, v8, 20, 1
	s_mov_b32 s27, 0x487ffff
	v_add3_u32 v3, v8, v3, s27
	s_mov_b64 s[12:13], exec
	v_lshrrev_b32_e32 v3, 20, v3
                                        ; implicit-def: $vgpr8
	s_andn2_saveexec_b64 s[14:15], s[14:15]
	s_cbranch_execnz .LBB94_2026
.LBB94_1687:
	s_or_b64 exec, exec, s[14:15]
	v_mov_b32_e32 v9, 0
	s_and_saveexec_b64 s[14:15], s[12:13]
.LBB94_1688:
	v_mov_b32_e32 v9, v3
.LBB94_1689:
	s_or_b64 exec, exec, s[14:15]
.LBB94_1690:
	s_or_b64 exec, exec, s[10:11]
	global_store_byte v[0:1], v9, off
.LBB94_1691:
	s_mov_b64 s[10:11], -1
.LBB94_1692:
	s_mov_b64 s[12:13], 0
.LBB94_1693:
	s_and_b64 vcc, exec, s[12:13]
	s_cbranch_vccz .LBB94_1733
; %bb.1694:
	s_cmp_gt_i32 s25, 22
	s_mov_b64 s[6:7], -1
	s_cbranch_scc0 .LBB94_1726
; %bb.1695:
	s_cmp_lt_i32 s25, 24
	s_cbranch_scc1 .LBB94_1715
; %bb.1696:
	s_cmp_gt_i32 s25, 24
	s_cbranch_scc0 .LBB94_1704
; %bb.1697:
	v_cndmask_b32_e64 v8, 0, 1.0, s[2:3]
	s_mov_b32 s6, 0x47800000
	v_cmp_gt_u32_e32 vcc, s6, v8
	v_mov_b32_e32 v9, 0x80
	s_and_saveexec_b64 s[6:7], vcc
	s_cbranch_execz .LBB94_1703
; %bb.1698:
	s_mov_b32 s10, 0x37ffffff
	v_cmp_lt_u32_e32 vcc, s10, v8
	s_mov_b64 s[10:11], 0
                                        ; implicit-def: $vgpr3
	s_and_saveexec_b64 s[12:13], vcc
	s_xor_b64 s[12:13], exec, s[12:13]
	s_cbranch_execz .LBB94_2028
; %bb.1699:
	v_bfe_u32 v3, v8, 21, 1
	s_mov_b32 s14, 0x88fffff
	v_add3_u32 v3, v8, v3, s14
	s_mov_b64 s[10:11], exec
	v_lshrrev_b32_e32 v3, 21, v3
                                        ; implicit-def: $vgpr8
	s_andn2_saveexec_b64 s[12:13], s[12:13]
	s_cbranch_execnz .LBB94_2029
.LBB94_1700:
	s_or_b64 exec, exec, s[12:13]
	v_mov_b32_e32 v9, 0
	s_and_saveexec_b64 s[12:13], s[10:11]
.LBB94_1701:
	v_mov_b32_e32 v9, v3
.LBB94_1702:
	s_or_b64 exec, exec, s[12:13]
.LBB94_1703:
	s_or_b64 exec, exec, s[6:7]
	s_mov_b64 s[6:7], 0
	global_store_byte v[0:1], v9, off
.LBB94_1704:
	s_and_b64 vcc, exec, s[6:7]
	s_cbranch_vccz .LBB94_1714
; %bb.1705:
	v_cndmask_b32_e64 v3, 0, 1.0, s[2:3]
	s_mov_b32 s6, 0x43f00000
	v_cmp_gt_u32_e32 vcc, s6, v3
                                        ; implicit-def: $vgpr8
	s_and_saveexec_b64 s[6:7], vcc
	s_xor_b64 s[6:7], exec, s[6:7]
	s_cbranch_execz .LBB94_1711
; %bb.1706:
	s_mov_b32 s10, 0x3c7fffff
	v_cmp_lt_u32_e32 vcc, s10, v3
                                        ; implicit-def: $vgpr8
	s_and_saveexec_b64 s[10:11], vcc
	s_xor_b64 s[10:11], exec, s[10:11]
; %bb.1707:
	v_bfe_u32 v8, v3, 20, 1
	s_mov_b32 s12, 0x407ffff
	v_add3_u32 v3, v3, v8, s12
	v_lshrrev_b32_e32 v8, 20, v3
	v_and_b32_e32 v3, 0xff00000, v3
	s_mov_b32 s12, 0x7f00000
	v_mov_b32_e32 v9, 0x7e
	v_cmp_ne_u32_e32 vcc, s12, v3
	v_cndmask_b32_e32 v8, v9, v8, vcc
                                        ; implicit-def: $vgpr3
; %bb.1708:
	s_andn2_saveexec_b64 s[10:11], s[10:11]
; %bb.1709:
	v_add_f32_e32 v8, 0x46800000, v3
; %bb.1710:
	s_or_b64 exec, exec, s[10:11]
                                        ; implicit-def: $vgpr3
.LBB94_1711:
	s_andn2_saveexec_b64 s[6:7], s[6:7]
; %bb.1712:
	s_mov_b32 s10, 0x7f800000
	v_mov_b32_e32 v8, 0x7e
	v_mov_b32_e32 v9, 0x7f
	v_cmp_lt_u32_e32 vcc, s10, v3
	v_cndmask_b32_e32 v8, v8, v9, vcc
; %bb.1713:
	s_or_b64 exec, exec, s[6:7]
	global_store_byte v[0:1], v8, off
.LBB94_1714:
	s_mov_b64 s[6:7], 0
.LBB94_1715:
	s_andn2_b64 vcc, exec, s[6:7]
	s_cbranch_vccnz .LBB94_1725
; %bb.1716:
	v_cndmask_b32_e64 v3, 0, 1.0, s[2:3]
	s_mov_b32 s6, 0x47800000
	v_cmp_gt_u32_e32 vcc, s6, v3
                                        ; implicit-def: $vgpr8
	s_and_saveexec_b64 s[6:7], vcc
	s_xor_b64 s[6:7], exec, s[6:7]
	s_cbranch_execz .LBB94_1722
; %bb.1717:
	s_mov_b32 s10, 0x387fffff
	v_cmp_lt_u32_e32 vcc, s10, v3
                                        ; implicit-def: $vgpr8
	s_and_saveexec_b64 s[10:11], vcc
	s_xor_b64 s[10:11], exec, s[10:11]
; %bb.1718:
	v_bfe_u32 v8, v3, 21, 1
	s_mov_b32 s12, 0x80fffff
	v_add3_u32 v3, v3, v8, s12
	v_lshrrev_b32_e32 v8, 21, v3
                                        ; implicit-def: $vgpr3
; %bb.1719:
	s_andn2_saveexec_b64 s[10:11], s[10:11]
; %bb.1720:
	v_add_f32_e32 v8, 0x43000000, v3
; %bb.1721:
	s_or_b64 exec, exec, s[10:11]
                                        ; implicit-def: $vgpr3
.LBB94_1722:
	s_andn2_saveexec_b64 s[6:7], s[6:7]
; %bb.1723:
	s_mov_b32 s10, 0x7f800000
	v_mov_b32_e32 v8, 0x7c
	v_mov_b32_e32 v9, 0x7f
	v_cmp_lt_u32_e32 vcc, s10, v3
	v_cndmask_b32_e32 v8, v8, v9, vcc
; %bb.1724:
	s_or_b64 exec, exec, s[6:7]
	global_store_byte v[0:1], v8, off
.LBB94_1725:
	s_mov_b64 s[6:7], 0
	s_mov_b64 s[10:11], -1
.LBB94_1726:
	s_andn2_b64 vcc, exec, s[6:7]
	s_mov_b64 s[6:7], 0
	s_cbranch_vccnz .LBB94_1733
; %bb.1727:
	s_cmp_gt_i32 s25, 14
	s_mov_b64 s[12:13], -1
	s_cbranch_scc0 .LBB94_1731
; %bb.1728:
	s_cmp_eq_u32 s25, 15
	s_mov_b64 s[4:5], -1
	s_cbranch_scc0 .LBB94_1730
; %bb.1729:
	v_cndmask_b32_e64 v3, 0, 1.0, s[2:3]
	v_bfe_u32 v8, v3, 16, 1
	s_movk_i32 s4, 0x7fff
	v_add3_u32 v3, v3, v8, s4
	global_store_short_d16_hi v[0:1], v3, off
	s_mov_b64 s[4:5], 0
	s_mov_b64 s[10:11], -1
.LBB94_1730:
	s_mov_b64 s[12:13], 0
.LBB94_1731:
	s_and_b64 vcc, exec, s[12:13]
	s_cbranch_vccz .LBB94_1733
; %bb.1732:
	s_cmp_lg_u32 s25, 11
	s_mov_b64 s[6:7], -1
	s_cselect_b64 s[4:5], -1, 0
.LBB94_1733:
	s_and_b64 vcc, exec, s[4:5]
	s_cbranch_vccnz .LBB94_2027
; %bb.1734:
	s_andn2_b64 vcc, exec, s[6:7]
	s_cbranch_vccnz .LBB94_1736
.LBB94_1735:
	v_cndmask_b32_e64 v3, 0, 1, s[2:3]
	s_mov_b64 s[10:11], -1
	global_store_byte v[0:1], v3, off
.LBB94_1736:
	s_mov_b64 s[4:5], 0
	s_branch .LBB94_1738
.LBB94_1737:
	s_mov_b64 s[4:5], -1
	s_mov_b64 s[10:11], 0
.LBB94_1738:
	s_and_b64 vcc, exec, s[4:5]
	s_cbranch_vccz .LBB94_1777
; %bb.1739:
	s_and_b32 s6, 0xffff, s26
	s_cmp_lt_i32 s6, 5
	s_mov_b64 s[4:5], -1
	s_cbranch_scc1 .LBB94_1760
; %bb.1740:
	s_cmp_lt_i32 s6, 8
	s_cbranch_scc1 .LBB94_1750
; %bb.1741:
	s_cmp_lt_i32 s6, 9
	s_cbranch_scc1 .LBB94_1747
; %bb.1742:
	s_cmp_gt_i32 s6, 9
	s_cbranch_scc0 .LBB94_1744
; %bb.1743:
	v_cndmask_b32_e64 v3, 0, 1, s[2:3]
	v_cvt_f64_u32_e32 v[8:9], v3
	v_mov_b32_e32 v10, 0
	v_mov_b32_e32 v11, v10
	s_mov_b64 s[4:5], 0
	global_store_dwordx4 v[0:1], v[8:11], off
.LBB94_1744:
	s_andn2_b64 vcc, exec, s[4:5]
	s_cbranch_vccnz .LBB94_1746
; %bb.1745:
	v_cndmask_b32_e64 v8, 0, 1.0, s[2:3]
	v_mov_b32_e32 v9, 0
	global_store_dwordx2 v[0:1], v[8:9], off
.LBB94_1746:
	s_mov_b64 s[4:5], 0
.LBB94_1747:
	s_andn2_b64 vcc, exec, s[4:5]
	s_cbranch_vccnz .LBB94_1749
; %bb.1748:
	v_cndmask_b32_e64 v3, 0, 1.0, s[2:3]
	v_cvt_f16_f32_e32 v3, v3
	global_store_dword v[0:1], v3, off
.LBB94_1749:
	s_mov_b64 s[4:5], 0
.LBB94_1750:
	s_andn2_b64 vcc, exec, s[4:5]
	s_cbranch_vccnz .LBB94_1759
; %bb.1751:
	s_cmp_lt_i32 s6, 6
	s_mov_b64 s[4:5], -1
	s_cbranch_scc1 .LBB94_1757
; %bb.1752:
	s_cmp_gt_i32 s6, 6
	s_cbranch_scc0 .LBB94_1754
; %bb.1753:
	v_cndmask_b32_e64 v3, 0, 1, s[2:3]
	v_cvt_f64_u32_e32 v[8:9], v3
	s_mov_b64 s[4:5], 0
	global_store_dwordx2 v[0:1], v[8:9], off
.LBB94_1754:
	s_andn2_b64 vcc, exec, s[4:5]
	s_cbranch_vccnz .LBB94_1756
; %bb.1755:
	v_cndmask_b32_e64 v3, 0, 1.0, s[2:3]
	global_store_dword v[0:1], v3, off
.LBB94_1756:
	s_mov_b64 s[4:5], 0
.LBB94_1757:
	s_andn2_b64 vcc, exec, s[4:5]
	s_cbranch_vccnz .LBB94_1759
; %bb.1758:
	v_cndmask_b32_e64 v3, 0, 1.0, s[2:3]
	v_cvt_f16_f32_e32 v3, v3
	global_store_short v[0:1], v3, off
.LBB94_1759:
	s_mov_b64 s[4:5], 0
.LBB94_1760:
	s_andn2_b64 vcc, exec, s[4:5]
	s_cbranch_vccnz .LBB94_1776
; %bb.1761:
	s_cmp_lt_i32 s6, 2
	s_mov_b64 s[4:5], -1
	s_cbranch_scc1 .LBB94_1771
; %bb.1762:
	s_cmp_lt_i32 s6, 3
	s_cbranch_scc1 .LBB94_1768
; %bb.1763:
	s_cmp_gt_i32 s6, 3
	s_cbranch_scc0 .LBB94_1765
; %bb.1764:
	s_mov_b32 s4, 0
	v_cndmask_b32_e64 v8, 0, 1, s[2:3]
	v_mov_b32_e32 v9, s4
	global_store_dwordx2 v[0:1], v[8:9], off
	s_mov_b64 s[4:5], 0
.LBB94_1765:
	s_andn2_b64 vcc, exec, s[4:5]
	s_cbranch_vccnz .LBB94_1767
; %bb.1766:
	v_cndmask_b32_e64 v3, 0, 1, s[2:3]
	global_store_dword v[0:1], v3, off
.LBB94_1767:
	s_mov_b64 s[4:5], 0
.LBB94_1768:
	s_andn2_b64 vcc, exec, s[4:5]
	s_cbranch_vccnz .LBB94_1770
; %bb.1769:
	v_cndmask_b32_e64 v3, 0, 1, s[2:3]
	global_store_short v[0:1], v3, off
.LBB94_1770:
	s_mov_b64 s[4:5], 0
.LBB94_1771:
	s_andn2_b64 vcc, exec, s[4:5]
	s_cbranch_vccnz .LBB94_1776
; %bb.1772:
	s_mov_b64 s[4:5], -1
	s_cmp_gt_i32 s6, 0
	v_cndmask_b32_e64 v3, 0, 1, s[2:3]
	s_cbranch_scc0 .LBB94_1774
; %bb.1773:
	global_store_byte v[0:1], v3, off
	s_mov_b64 s[4:5], 0
.LBB94_1774:
	s_andn2_b64 vcc, exec, s[4:5]
	s_cbranch_vccnz .LBB94_1776
; %bb.1775:
	global_store_byte v[0:1], v3, off
.LBB94_1776:
	s_mov_b64 s[10:11], -1
.LBB94_1777:
	s_andn2_b64 vcc, exec, s[10:11]
	s_cbranch_vccnz .LBB94_1973
; %bb.1778:
	v_cmp_eq_f64_e32 vcc, s[16:17], v[4:5]
	v_add_u32_e32 v2, s24, v2
	v_mov_b32_e32 v3, s9
	s_cmp_lt_i32 s26, 11
	v_cndmask_b32_e64 v0, 0, 1, vcc
	v_cmp_neq_f64_e32 vcc, s[16:17], v[4:5]
	v_cndmask_b32_e64 v1, 0, 1, vcc
	v_cndmask_b32_e64 v0, v1, v0, s[0:1]
	v_and_b32_e32 v0, 1, v0
	v_cmp_eq_u32_e64 s[2:3], 1, v0
	v_ashrrev_i32_e32 v1, 31, v2
	v_add_co_u32_e32 v0, vcc, s8, v2
	v_addc_co_u32_e32 v1, vcc, v3, v1, vcc
	s_cbranch_scc1 .LBB94_1856
; %bb.1779:
	s_and_b32 s25, 0xffff, s26
	s_mov_b64 s[12:13], -1
	s_mov_b64 s[6:7], 0
	s_cmp_gt_i32 s25, 25
	s_mov_b64 s[10:11], 0
	s_mov_b64 s[4:5], 0
	s_cbranch_scc0 .LBB94_1812
; %bb.1780:
	s_cmp_gt_i32 s25, 28
	s_cbranch_scc0 .LBB94_1795
; %bb.1781:
	s_cmp_gt_i32 s25, 43
	;; [unrolled: 3-line block ×3, first 2 shown]
	s_cbranch_scc0 .LBB94_1785
; %bb.1783:
	s_mov_b64 s[4:5], -1
	s_mov_b64 s[12:13], 0
	s_cmp_eq_u32 s25, 46
	s_cbranch_scc0 .LBB94_1785
; %bb.1784:
	v_cndmask_b32_e64 v3, 0, 1.0, s[2:3]
	v_bfe_u32 v4, v3, 16, 1
	s_movk_i32 s4, 0x7fff
	v_add3_u32 v3, v3, v4, s4
	v_lshrrev_b32_e32 v3, 16, v3
	global_store_dword v[0:1], v3, off
	s_mov_b64 s[4:5], 0
	s_mov_b64 s[10:11], -1
.LBB94_1785:
	s_and_b64 vcc, exec, s[12:13]
	s_cbranch_vccz .LBB94_1790
; %bb.1786:
	s_cmp_eq_u32 s25, 44
	s_mov_b64 s[4:5], -1
	s_cbranch_scc0 .LBB94_1790
; %bb.1787:
	v_cndmask_b32_e64 v4, 0, 1.0, s[2:3]
	v_lshrrev_b32_e32 v3, 23, v4
	s_movk_i32 s4, 0xff
	v_cmp_ne_u32_e32 vcc, s4, v3
	v_mov_b32_e32 v5, 0xff
	s_and_saveexec_b64 s[10:11], vcc
; %bb.1788:
	s_mov_b32 s4, 0x3fffff
	v_and_b32_e32 v5, 0x400000, v4
	v_and_or_b32 v4, v4, s4, v3
	v_cmp_ne_u32_e32 vcc, 0, v5
	v_cmp_ne_u32_e64 s[4:5], 0, v4
	s_and_b64 s[4:5], vcc, s[4:5]
	v_cndmask_b32_e64 v4, 0, 1, s[4:5]
	v_add_u32_e32 v5, v3, v4
; %bb.1789:
	s_or_b64 exec, exec, s[10:11]
	s_mov_b64 s[4:5], 0
	s_mov_b64 s[10:11], -1
	global_store_byte v[0:1], v5, off
.LBB94_1790:
	s_mov_b64 s[12:13], 0
.LBB94_1791:
	s_and_b64 vcc, exec, s[12:13]
	s_cbranch_vccz .LBB94_1794
; %bb.1792:
	s_cmp_eq_u32 s25, 29
	s_mov_b64 s[4:5], -1
	s_cbranch_scc0 .LBB94_1794
; %bb.1793:
	s_mov_b32 s4, 0
	v_cndmask_b32_e64 v3, 0, 1, s[2:3]
	v_mov_b32_e32 v4, s4
	global_store_dwordx2 v[0:1], v[3:4], off
	s_mov_b64 s[4:5], 0
	s_mov_b64 s[10:11], -1
.LBB94_1794:
	s_mov_b64 s[12:13], 0
.LBB94_1795:
	s_and_b64 vcc, exec, s[12:13]
	s_cbranch_vccz .LBB94_1811
; %bb.1796:
	s_cmp_lt_i32 s25, 27
	s_mov_b64 s[10:11], -1
	s_cbranch_scc1 .LBB94_1802
; %bb.1797:
	s_cmp_gt_i32 s25, 27
	s_cbranch_scc0 .LBB94_1799
; %bb.1798:
	v_cndmask_b32_e64 v3, 0, 1, s[2:3]
	s_mov_b64 s[10:11], 0
	global_store_dword v[0:1], v3, off
.LBB94_1799:
	s_andn2_b64 vcc, exec, s[10:11]
	s_cbranch_vccnz .LBB94_1801
; %bb.1800:
	v_cndmask_b32_e64 v3, 0, 1, s[2:3]
	global_store_short v[0:1], v3, off
.LBB94_1801:
	s_mov_b64 s[10:11], 0
.LBB94_1802:
	s_andn2_b64 vcc, exec, s[10:11]
	s_cbranch_vccnz .LBB94_1810
; %bb.1803:
	v_cndmask_b32_e64 v4, 0, 1.0, s[2:3]
	s_mov_b32 s10, 0x43800000
	v_cmp_gt_u32_e32 vcc, s10, v4
	v_mov_b32_e32 v5, 0x80
	s_and_saveexec_b64 s[10:11], vcc
	s_cbranch_execz .LBB94_1809
; %bb.1804:
	s_mov_b32 s12, 0x3bffffff
	v_cmp_lt_u32_e32 vcc, s12, v4
	s_mov_b64 s[12:13], 0
                                        ; implicit-def: $vgpr3
	s_and_saveexec_b64 s[14:15], vcc
	s_xor_b64 s[14:15], exec, s[14:15]
	s_cbranch_execz .LBB94_2030
; %bb.1805:
	v_bfe_u32 v3, v4, 20, 1
	s_mov_b32 s27, 0x487ffff
	v_add3_u32 v3, v4, v3, s27
	s_mov_b64 s[12:13], exec
	v_lshrrev_b32_e32 v3, 20, v3
                                        ; implicit-def: $vgpr4
	s_andn2_saveexec_b64 s[14:15], s[14:15]
	s_cbranch_execnz .LBB94_2031
.LBB94_1806:
	s_or_b64 exec, exec, s[14:15]
	v_mov_b32_e32 v5, 0
	s_and_saveexec_b64 s[14:15], s[12:13]
.LBB94_1807:
	v_mov_b32_e32 v5, v3
.LBB94_1808:
	s_or_b64 exec, exec, s[14:15]
.LBB94_1809:
	s_or_b64 exec, exec, s[10:11]
	global_store_byte v[0:1], v5, off
.LBB94_1810:
	s_mov_b64 s[10:11], -1
.LBB94_1811:
	s_mov_b64 s[12:13], 0
.LBB94_1812:
	s_and_b64 vcc, exec, s[12:13]
	s_cbranch_vccz .LBB94_1852
; %bb.1813:
	s_cmp_gt_i32 s25, 22
	s_mov_b64 s[6:7], -1
	s_cbranch_scc0 .LBB94_1845
; %bb.1814:
	s_cmp_lt_i32 s25, 24
	s_cbranch_scc1 .LBB94_1834
; %bb.1815:
	s_cmp_gt_i32 s25, 24
	s_cbranch_scc0 .LBB94_1823
; %bb.1816:
	v_cndmask_b32_e64 v4, 0, 1.0, s[2:3]
	s_mov_b32 s6, 0x47800000
	v_cmp_gt_u32_e32 vcc, s6, v4
	v_mov_b32_e32 v5, 0x80
	s_and_saveexec_b64 s[6:7], vcc
	s_cbranch_execz .LBB94_1822
; %bb.1817:
	s_mov_b32 s10, 0x37ffffff
	v_cmp_lt_u32_e32 vcc, s10, v4
	s_mov_b64 s[10:11], 0
                                        ; implicit-def: $vgpr3
	s_and_saveexec_b64 s[12:13], vcc
	s_xor_b64 s[12:13], exec, s[12:13]
	s_cbranch_execz .LBB94_2033
; %bb.1818:
	v_bfe_u32 v3, v4, 21, 1
	s_mov_b32 s14, 0x88fffff
	v_add3_u32 v3, v4, v3, s14
	s_mov_b64 s[10:11], exec
	v_lshrrev_b32_e32 v3, 21, v3
                                        ; implicit-def: $vgpr4
	s_andn2_saveexec_b64 s[12:13], s[12:13]
	s_cbranch_execnz .LBB94_2034
.LBB94_1819:
	s_or_b64 exec, exec, s[12:13]
	v_mov_b32_e32 v5, 0
	s_and_saveexec_b64 s[12:13], s[10:11]
.LBB94_1820:
	v_mov_b32_e32 v5, v3
.LBB94_1821:
	s_or_b64 exec, exec, s[12:13]
.LBB94_1822:
	s_or_b64 exec, exec, s[6:7]
	s_mov_b64 s[6:7], 0
	global_store_byte v[0:1], v5, off
.LBB94_1823:
	s_and_b64 vcc, exec, s[6:7]
	s_cbranch_vccz .LBB94_1833
; %bb.1824:
	v_cndmask_b32_e64 v3, 0, 1.0, s[2:3]
	s_mov_b32 s6, 0x43f00000
	v_cmp_gt_u32_e32 vcc, s6, v3
                                        ; implicit-def: $vgpr4
	s_and_saveexec_b64 s[6:7], vcc
	s_xor_b64 s[6:7], exec, s[6:7]
	s_cbranch_execz .LBB94_1830
; %bb.1825:
	s_mov_b32 s10, 0x3c7fffff
	v_cmp_lt_u32_e32 vcc, s10, v3
                                        ; implicit-def: $vgpr4
	s_and_saveexec_b64 s[10:11], vcc
	s_xor_b64 s[10:11], exec, s[10:11]
; %bb.1826:
	v_bfe_u32 v4, v3, 20, 1
	s_mov_b32 s12, 0x407ffff
	v_add3_u32 v3, v3, v4, s12
	v_lshrrev_b32_e32 v4, 20, v3
	v_and_b32_e32 v3, 0xff00000, v3
	s_mov_b32 s12, 0x7f00000
	v_mov_b32_e32 v5, 0x7e
	v_cmp_ne_u32_e32 vcc, s12, v3
	v_cndmask_b32_e32 v4, v5, v4, vcc
                                        ; implicit-def: $vgpr3
; %bb.1827:
	s_andn2_saveexec_b64 s[10:11], s[10:11]
; %bb.1828:
	v_add_f32_e32 v4, 0x46800000, v3
; %bb.1829:
	s_or_b64 exec, exec, s[10:11]
                                        ; implicit-def: $vgpr3
.LBB94_1830:
	s_andn2_saveexec_b64 s[6:7], s[6:7]
; %bb.1831:
	s_mov_b32 s10, 0x7f800000
	v_mov_b32_e32 v4, 0x7e
	v_mov_b32_e32 v5, 0x7f
	v_cmp_lt_u32_e32 vcc, s10, v3
	v_cndmask_b32_e32 v4, v4, v5, vcc
; %bb.1832:
	s_or_b64 exec, exec, s[6:7]
	global_store_byte v[0:1], v4, off
.LBB94_1833:
	s_mov_b64 s[6:7], 0
.LBB94_1834:
	s_andn2_b64 vcc, exec, s[6:7]
	s_cbranch_vccnz .LBB94_1844
; %bb.1835:
	v_cndmask_b32_e64 v3, 0, 1.0, s[2:3]
	s_mov_b32 s6, 0x47800000
	v_cmp_gt_u32_e32 vcc, s6, v3
                                        ; implicit-def: $vgpr4
	s_and_saveexec_b64 s[6:7], vcc
	s_xor_b64 s[6:7], exec, s[6:7]
	s_cbranch_execz .LBB94_1841
; %bb.1836:
	s_mov_b32 s10, 0x387fffff
	v_cmp_lt_u32_e32 vcc, s10, v3
                                        ; implicit-def: $vgpr4
	s_and_saveexec_b64 s[10:11], vcc
	s_xor_b64 s[10:11], exec, s[10:11]
; %bb.1837:
	v_bfe_u32 v4, v3, 21, 1
	s_mov_b32 s12, 0x80fffff
	v_add3_u32 v3, v3, v4, s12
	v_lshrrev_b32_e32 v4, 21, v3
                                        ; implicit-def: $vgpr3
; %bb.1838:
	s_andn2_saveexec_b64 s[10:11], s[10:11]
; %bb.1839:
	v_add_f32_e32 v4, 0x43000000, v3
; %bb.1840:
	s_or_b64 exec, exec, s[10:11]
                                        ; implicit-def: $vgpr3
.LBB94_1841:
	s_andn2_saveexec_b64 s[6:7], s[6:7]
; %bb.1842:
	s_mov_b32 s10, 0x7f800000
	v_mov_b32_e32 v4, 0x7c
	v_mov_b32_e32 v5, 0x7f
	v_cmp_lt_u32_e32 vcc, s10, v3
	v_cndmask_b32_e32 v4, v4, v5, vcc
; %bb.1843:
	s_or_b64 exec, exec, s[6:7]
	global_store_byte v[0:1], v4, off
.LBB94_1844:
	s_mov_b64 s[6:7], 0
	s_mov_b64 s[10:11], -1
.LBB94_1845:
	s_andn2_b64 vcc, exec, s[6:7]
	s_mov_b64 s[6:7], 0
	s_cbranch_vccnz .LBB94_1852
; %bb.1846:
	s_cmp_gt_i32 s25, 14
	s_mov_b64 s[12:13], -1
	s_cbranch_scc0 .LBB94_1850
; %bb.1847:
	s_cmp_eq_u32 s25, 15
	s_mov_b64 s[4:5], -1
	s_cbranch_scc0 .LBB94_1849
; %bb.1848:
	v_cndmask_b32_e64 v3, 0, 1.0, s[2:3]
	v_bfe_u32 v4, v3, 16, 1
	s_movk_i32 s4, 0x7fff
	v_add3_u32 v3, v3, v4, s4
	global_store_short_d16_hi v[0:1], v3, off
	s_mov_b64 s[4:5], 0
	s_mov_b64 s[10:11], -1
.LBB94_1849:
	s_mov_b64 s[12:13], 0
.LBB94_1850:
	s_and_b64 vcc, exec, s[12:13]
	s_cbranch_vccz .LBB94_1852
; %bb.1851:
	s_cmp_lg_u32 s25, 11
	s_mov_b64 s[6:7], -1
	s_cselect_b64 s[4:5], -1, 0
.LBB94_1852:
	s_and_b64 vcc, exec, s[4:5]
	s_cbranch_vccnz .LBB94_2032
; %bb.1853:
	s_andn2_b64 vcc, exec, s[6:7]
	s_cbranch_vccnz .LBB94_1855
.LBB94_1854:
	v_cndmask_b32_e64 v3, 0, 1, s[2:3]
	s_mov_b64 s[10:11], -1
	global_store_byte v[0:1], v3, off
.LBB94_1855:
	s_mov_b64 s[4:5], 0
	s_branch .LBB94_1857
.LBB94_1856:
	s_mov_b64 s[4:5], -1
	s_mov_b64 s[10:11], 0
.LBB94_1857:
	s_and_b64 vcc, exec, s[4:5]
	s_cbranch_vccz .LBB94_1896
; %bb.1858:
	s_and_b32 s6, 0xffff, s26
	s_cmp_lt_i32 s6, 5
	s_mov_b64 s[4:5], -1
	s_cbranch_scc1 .LBB94_1879
; %bb.1859:
	s_cmp_lt_i32 s6, 8
	s_cbranch_scc1 .LBB94_1869
; %bb.1860:
	s_cmp_lt_i32 s6, 9
	s_cbranch_scc1 .LBB94_1866
; %bb.1861:
	s_cmp_gt_i32 s6, 9
	s_cbranch_scc0 .LBB94_1863
; %bb.1862:
	v_cndmask_b32_e64 v3, 0, 1, s[2:3]
	v_cvt_f64_u32_e32 v[8:9], v3
	v_mov_b32_e32 v10, 0
	v_mov_b32_e32 v11, v10
	s_mov_b64 s[4:5], 0
	global_store_dwordx4 v[0:1], v[8:11], off
.LBB94_1863:
	s_andn2_b64 vcc, exec, s[4:5]
	s_cbranch_vccnz .LBB94_1865
; %bb.1864:
	v_cndmask_b32_e64 v3, 0, 1.0, s[2:3]
	v_mov_b32_e32 v4, 0
	global_store_dwordx2 v[0:1], v[3:4], off
.LBB94_1865:
	s_mov_b64 s[4:5], 0
.LBB94_1866:
	s_andn2_b64 vcc, exec, s[4:5]
	s_cbranch_vccnz .LBB94_1868
; %bb.1867:
	v_cndmask_b32_e64 v3, 0, 1.0, s[2:3]
	v_cvt_f16_f32_e32 v3, v3
	global_store_dword v[0:1], v3, off
.LBB94_1868:
	s_mov_b64 s[4:5], 0
.LBB94_1869:
	s_andn2_b64 vcc, exec, s[4:5]
	s_cbranch_vccnz .LBB94_1878
; %bb.1870:
	s_cmp_lt_i32 s6, 6
	s_mov_b64 s[4:5], -1
	s_cbranch_scc1 .LBB94_1876
; %bb.1871:
	s_cmp_gt_i32 s6, 6
	s_cbranch_scc0 .LBB94_1873
; %bb.1872:
	v_cndmask_b32_e64 v3, 0, 1, s[2:3]
	v_cvt_f64_u32_e32 v[3:4], v3
	s_mov_b64 s[4:5], 0
	global_store_dwordx2 v[0:1], v[3:4], off
.LBB94_1873:
	s_andn2_b64 vcc, exec, s[4:5]
	s_cbranch_vccnz .LBB94_1875
; %bb.1874:
	v_cndmask_b32_e64 v3, 0, 1.0, s[2:3]
	global_store_dword v[0:1], v3, off
.LBB94_1875:
	s_mov_b64 s[4:5], 0
.LBB94_1876:
	s_andn2_b64 vcc, exec, s[4:5]
	s_cbranch_vccnz .LBB94_1878
; %bb.1877:
	v_cndmask_b32_e64 v3, 0, 1.0, s[2:3]
	v_cvt_f16_f32_e32 v3, v3
	global_store_short v[0:1], v3, off
.LBB94_1878:
	s_mov_b64 s[4:5], 0
.LBB94_1879:
	s_andn2_b64 vcc, exec, s[4:5]
	s_cbranch_vccnz .LBB94_1895
; %bb.1880:
	s_cmp_lt_i32 s6, 2
	s_mov_b64 s[4:5], -1
	s_cbranch_scc1 .LBB94_1890
; %bb.1881:
	s_cmp_lt_i32 s6, 3
	s_cbranch_scc1 .LBB94_1887
; %bb.1882:
	s_cmp_gt_i32 s6, 3
	s_cbranch_scc0 .LBB94_1884
; %bb.1883:
	s_mov_b32 s4, 0
	v_cndmask_b32_e64 v3, 0, 1, s[2:3]
	v_mov_b32_e32 v4, s4
	global_store_dwordx2 v[0:1], v[3:4], off
	s_mov_b64 s[4:5], 0
.LBB94_1884:
	s_andn2_b64 vcc, exec, s[4:5]
	s_cbranch_vccnz .LBB94_1886
; %bb.1885:
	v_cndmask_b32_e64 v3, 0, 1, s[2:3]
	global_store_dword v[0:1], v3, off
.LBB94_1886:
	s_mov_b64 s[4:5], 0
.LBB94_1887:
	s_andn2_b64 vcc, exec, s[4:5]
	s_cbranch_vccnz .LBB94_1889
; %bb.1888:
	v_cndmask_b32_e64 v3, 0, 1, s[2:3]
	global_store_short v[0:1], v3, off
.LBB94_1889:
	s_mov_b64 s[4:5], 0
.LBB94_1890:
	s_andn2_b64 vcc, exec, s[4:5]
	s_cbranch_vccnz .LBB94_1895
; %bb.1891:
	s_mov_b64 s[4:5], -1
	s_cmp_gt_i32 s6, 0
	v_cndmask_b32_e64 v3, 0, 1, s[2:3]
	s_cbranch_scc0 .LBB94_1893
; %bb.1892:
	global_store_byte v[0:1], v3, off
	s_mov_b64 s[4:5], 0
.LBB94_1893:
	s_andn2_b64 vcc, exec, s[4:5]
	s_cbranch_vccnz .LBB94_1895
; %bb.1894:
	global_store_byte v[0:1], v3, off
.LBB94_1895:
	s_mov_b64 s[10:11], -1
.LBB94_1896:
	s_andn2_b64 vcc, exec, s[10:11]
	s_cbranch_vccnz .LBB94_1973
; %bb.1897:
	v_cmp_eq_f64_e32 vcc, s[16:17], v[6:7]
	s_cmp_lt_i32 s26, 11
	v_cndmask_b32_e64 v0, 0, 1, vcc
	v_cmp_neq_f64_e32 vcc, s[16:17], v[6:7]
	v_cndmask_b32_e64 v1, 0, 1, vcc
	v_cndmask_b32_e64 v0, v1, v0, s[0:1]
	v_and_b32_e32 v0, 1, v0
	v_cmp_eq_u32_e64 s[2:3], 1, v0
	v_add_u32_e32 v0, s24, v2
	v_ashrrev_i32_e32 v1, 31, v0
	v_mov_b32_e32 v2, s9
	v_add_co_u32_e32 v0, vcc, s8, v0
	v_addc_co_u32_e32 v1, vcc, v2, v1, vcc
	s_cbranch_scc1 .LBB94_2018
; %bb.1898:
	s_and_b32 s12, 0xffff, s26
	s_mov_b64 s[6:7], -1
	s_mov_b64 s[4:5], 0
	s_cmp_gt_i32 s12, 25
	s_mov_b64 s[0:1], 0
	s_cbranch_scc0 .LBB94_1931
; %bb.1899:
	s_cmp_gt_i32 s12, 28
	s_cbranch_scc0 .LBB94_1915
; %bb.1900:
	s_cmp_gt_i32 s12, 43
	;; [unrolled: 3-line block ×3, first 2 shown]
	s_cbranch_scc0 .LBB94_1905
; %bb.1902:
	s_cmp_eq_u32 s12, 46
	s_mov_b64 s[0:1], -1
	s_cbranch_scc0 .LBB94_1904
; %bb.1903:
	v_cndmask_b32_e64 v2, 0, 1.0, s[2:3]
	v_bfe_u32 v3, v2, 16, 1
	s_movk_i32 s0, 0x7fff
	v_add3_u32 v2, v2, v3, s0
	v_lshrrev_b32_e32 v2, 16, v2
	global_store_dword v[0:1], v2, off
	s_mov_b64 s[0:1], 0
.LBB94_1904:
	s_mov_b64 s[6:7], 0
.LBB94_1905:
	s_and_b64 vcc, exec, s[6:7]
	s_cbranch_vccz .LBB94_1910
; %bb.1906:
	s_cmp_eq_u32 s12, 44
	s_mov_b64 s[0:1], -1
	s_cbranch_scc0 .LBB94_1910
; %bb.1907:
	v_cndmask_b32_e64 v3, 0, 1.0, s[2:3]
	v_lshrrev_b32_e32 v2, 23, v3
	s_movk_i32 s0, 0xff
	v_cmp_ne_u32_e32 vcc, s0, v2
	v_mov_b32_e32 v4, 0xff
	s_and_saveexec_b64 s[6:7], vcc
; %bb.1908:
	s_mov_b32 s0, 0x3fffff
	v_and_b32_e32 v4, 0x400000, v3
	v_and_or_b32 v3, v3, s0, v2
	v_cmp_ne_u32_e32 vcc, 0, v4
	v_cmp_ne_u32_e64 s[0:1], 0, v3
	s_and_b64 s[0:1], vcc, s[0:1]
	v_cndmask_b32_e64 v3, 0, 1, s[0:1]
	v_add_u32_e32 v4, v2, v3
; %bb.1909:
	s_or_b64 exec, exec, s[6:7]
	s_mov_b64 s[0:1], 0
	global_store_byte v[0:1], v4, off
.LBB94_1910:
	s_mov_b64 s[6:7], 0
.LBB94_1911:
	s_and_b64 vcc, exec, s[6:7]
	s_cbranch_vccz .LBB94_1914
; %bb.1912:
	s_cmp_eq_u32 s12, 29
	s_mov_b64 s[0:1], -1
	s_cbranch_scc0 .LBB94_1914
; %bb.1913:
	s_mov_b32 s0, 0
	v_cndmask_b32_e64 v2, 0, 1, s[2:3]
	v_mov_b32_e32 v3, s0
	global_store_dwordx2 v[0:1], v[2:3], off
	s_mov_b64 s[0:1], 0
.LBB94_1914:
	s_mov_b64 s[6:7], 0
.LBB94_1915:
	s_and_b64 vcc, exec, s[6:7]
	s_cbranch_vccz .LBB94_1930
; %bb.1916:
	s_cmp_lt_i32 s12, 27
	s_mov_b64 s[6:7], -1
	s_cbranch_scc1 .LBB94_1922
; %bb.1917:
	s_cmp_gt_i32 s12, 27
	v_cndmask_b32_e64 v2, 0, 1, s[2:3]
	s_cbranch_scc0 .LBB94_1919
; %bb.1918:
	global_store_dword v[0:1], v2, off
	s_mov_b64 s[6:7], 0
.LBB94_1919:
	s_andn2_b64 vcc, exec, s[6:7]
	s_cbranch_vccnz .LBB94_1921
; %bb.1920:
	global_store_short v[0:1], v2, off
.LBB94_1921:
	s_mov_b64 s[6:7], 0
.LBB94_1922:
	s_andn2_b64 vcc, exec, s[6:7]
	s_cbranch_vccnz .LBB94_1930
; %bb.1923:
	v_cndmask_b32_e64 v3, 0, 1.0, s[2:3]
	s_mov_b32 s6, 0x43800000
	v_cmp_gt_u32_e32 vcc, s6, v3
	v_mov_b32_e32 v4, 0x80
	s_and_saveexec_b64 s[6:7], vcc
	s_cbranch_execz .LBB94_1929
; %bb.1924:
	s_mov_b32 s8, 0x3bffffff
	v_cmp_lt_u32_e32 vcc, s8, v3
	s_mov_b64 s[8:9], 0
                                        ; implicit-def: $vgpr2
	s_and_saveexec_b64 s[10:11], vcc
	s_xor_b64 s[10:11], exec, s[10:11]
	s_cbranch_execz .LBB94_2035
; %bb.1925:
	v_bfe_u32 v2, v3, 20, 1
	s_mov_b32 s13, 0x487ffff
	v_add3_u32 v2, v3, v2, s13
	s_mov_b64 s[8:9], exec
	v_lshrrev_b32_e32 v2, 20, v2
                                        ; implicit-def: $vgpr3
	s_andn2_saveexec_b64 s[10:11], s[10:11]
	s_cbranch_execnz .LBB94_2036
.LBB94_1926:
	s_or_b64 exec, exec, s[10:11]
	v_mov_b32_e32 v4, 0
	s_and_saveexec_b64 s[10:11], s[8:9]
.LBB94_1927:
	v_mov_b32_e32 v4, v2
.LBB94_1928:
	s_or_b64 exec, exec, s[10:11]
.LBB94_1929:
	s_or_b64 exec, exec, s[6:7]
	global_store_byte v[0:1], v4, off
.LBB94_1930:
	s_mov_b64 s[6:7], 0
.LBB94_1931:
	s_and_b64 vcc, exec, s[6:7]
	s_cbranch_vccz .LBB94_1971
; %bb.1932:
	s_cmp_gt_i32 s12, 22
	s_mov_b64 s[4:5], -1
	s_cbranch_scc0 .LBB94_1964
; %bb.1933:
	s_cmp_lt_i32 s12, 24
	s_cbranch_scc1 .LBB94_1953
; %bb.1934:
	s_cmp_gt_i32 s12, 24
	s_cbranch_scc0 .LBB94_1942
; %bb.1935:
	v_cndmask_b32_e64 v3, 0, 1.0, s[2:3]
	s_mov_b32 s4, 0x47800000
	v_cmp_gt_u32_e32 vcc, s4, v3
	v_mov_b32_e32 v4, 0x80
	s_and_saveexec_b64 s[4:5], vcc
	s_cbranch_execz .LBB94_1941
; %bb.1936:
	s_mov_b32 s6, 0x37ffffff
	v_cmp_lt_u32_e32 vcc, s6, v3
	s_mov_b64 s[6:7], 0
                                        ; implicit-def: $vgpr2
	s_and_saveexec_b64 s[8:9], vcc
	s_xor_b64 s[8:9], exec, s[8:9]
	s_cbranch_execz .LBB94_2038
; %bb.1937:
	v_bfe_u32 v2, v3, 21, 1
	s_mov_b32 s10, 0x88fffff
	v_add3_u32 v2, v3, v2, s10
	s_mov_b64 s[6:7], exec
	v_lshrrev_b32_e32 v2, 21, v2
                                        ; implicit-def: $vgpr3
	s_andn2_saveexec_b64 s[8:9], s[8:9]
	s_cbranch_execnz .LBB94_2039
.LBB94_1938:
	s_or_b64 exec, exec, s[8:9]
	v_mov_b32_e32 v4, 0
	s_and_saveexec_b64 s[8:9], s[6:7]
.LBB94_1939:
	v_mov_b32_e32 v4, v2
.LBB94_1940:
	s_or_b64 exec, exec, s[8:9]
.LBB94_1941:
	s_or_b64 exec, exec, s[4:5]
	s_mov_b64 s[4:5], 0
	global_store_byte v[0:1], v4, off
.LBB94_1942:
	s_and_b64 vcc, exec, s[4:5]
	s_cbranch_vccz .LBB94_1952
; %bb.1943:
	v_cndmask_b32_e64 v2, 0, 1.0, s[2:3]
	s_mov_b32 s4, 0x43f00000
	v_cmp_gt_u32_e32 vcc, s4, v2
                                        ; implicit-def: $vgpr3
	s_and_saveexec_b64 s[4:5], vcc
	s_xor_b64 s[4:5], exec, s[4:5]
	s_cbranch_execz .LBB94_1949
; %bb.1944:
	s_mov_b32 s6, 0x3c7fffff
	v_cmp_lt_u32_e32 vcc, s6, v2
                                        ; implicit-def: $vgpr3
	s_and_saveexec_b64 s[6:7], vcc
	s_xor_b64 s[6:7], exec, s[6:7]
; %bb.1945:
	v_bfe_u32 v3, v2, 20, 1
	s_mov_b32 s8, 0x407ffff
	v_add3_u32 v2, v2, v3, s8
	v_lshrrev_b32_e32 v3, 20, v2
	v_and_b32_e32 v2, 0xff00000, v2
	s_mov_b32 s8, 0x7f00000
	v_mov_b32_e32 v4, 0x7e
	v_cmp_ne_u32_e32 vcc, s8, v2
	v_cndmask_b32_e32 v3, v4, v3, vcc
                                        ; implicit-def: $vgpr2
; %bb.1946:
	s_andn2_saveexec_b64 s[6:7], s[6:7]
; %bb.1947:
	v_add_f32_e32 v3, 0x46800000, v2
; %bb.1948:
	s_or_b64 exec, exec, s[6:7]
                                        ; implicit-def: $vgpr2
.LBB94_1949:
	s_andn2_saveexec_b64 s[4:5], s[4:5]
; %bb.1950:
	s_mov_b32 s6, 0x7f800000
	v_mov_b32_e32 v3, 0x7e
	v_mov_b32_e32 v4, 0x7f
	v_cmp_lt_u32_e32 vcc, s6, v2
	v_cndmask_b32_e32 v3, v3, v4, vcc
; %bb.1951:
	s_or_b64 exec, exec, s[4:5]
	global_store_byte v[0:1], v3, off
.LBB94_1952:
	s_mov_b64 s[4:5], 0
.LBB94_1953:
	s_andn2_b64 vcc, exec, s[4:5]
	s_cbranch_vccnz .LBB94_1963
; %bb.1954:
	v_cndmask_b32_e64 v2, 0, 1.0, s[2:3]
	s_mov_b32 s4, 0x47800000
	v_cmp_gt_u32_e32 vcc, s4, v2
                                        ; implicit-def: $vgpr3
	s_and_saveexec_b64 s[4:5], vcc
	s_xor_b64 s[4:5], exec, s[4:5]
	s_cbranch_execz .LBB94_1960
; %bb.1955:
	s_mov_b32 s6, 0x387fffff
	v_cmp_lt_u32_e32 vcc, s6, v2
                                        ; implicit-def: $vgpr3
	s_and_saveexec_b64 s[6:7], vcc
	s_xor_b64 s[6:7], exec, s[6:7]
; %bb.1956:
	v_bfe_u32 v3, v2, 21, 1
	s_mov_b32 s8, 0x80fffff
	v_add3_u32 v2, v2, v3, s8
	v_lshrrev_b32_e32 v3, 21, v2
                                        ; implicit-def: $vgpr2
; %bb.1957:
	s_andn2_saveexec_b64 s[6:7], s[6:7]
; %bb.1958:
	v_add_f32_e32 v3, 0x43000000, v2
; %bb.1959:
	s_or_b64 exec, exec, s[6:7]
                                        ; implicit-def: $vgpr2
.LBB94_1960:
	s_andn2_saveexec_b64 s[4:5], s[4:5]
; %bb.1961:
	s_mov_b32 s6, 0x7f800000
	v_mov_b32_e32 v3, 0x7c
	v_mov_b32_e32 v4, 0x7f
	v_cmp_lt_u32_e32 vcc, s6, v2
	v_cndmask_b32_e32 v3, v3, v4, vcc
; %bb.1962:
	s_or_b64 exec, exec, s[4:5]
	global_store_byte v[0:1], v3, off
.LBB94_1963:
	s_mov_b64 s[4:5], 0
.LBB94_1964:
	s_andn2_b64 vcc, exec, s[4:5]
	s_mov_b64 s[4:5], 0
	s_cbranch_vccnz .LBB94_1971
; %bb.1965:
	s_cmp_gt_i32 s12, 14
	s_mov_b64 s[6:7], -1
	s_cbranch_scc0 .LBB94_1969
; %bb.1966:
	s_cmp_eq_u32 s12, 15
	s_mov_b64 s[0:1], -1
	s_cbranch_scc0 .LBB94_1968
; %bb.1967:
	v_cndmask_b32_e64 v2, 0, 1.0, s[2:3]
	v_bfe_u32 v3, v2, 16, 1
	s_movk_i32 s0, 0x7fff
	v_add3_u32 v2, v2, v3, s0
	global_store_short_d16_hi v[0:1], v2, off
	s_mov_b64 s[0:1], 0
.LBB94_1968:
	s_mov_b64 s[6:7], 0
.LBB94_1969:
	s_and_b64 vcc, exec, s[6:7]
	s_cbranch_vccz .LBB94_1971
; %bb.1970:
	s_cmp_lg_u32 s12, 11
	s_mov_b64 s[4:5], -1
	s_cselect_b64 s[0:1], -1, 0
.LBB94_1971:
	s_and_b64 vcc, exec, s[0:1]
	s_cbranch_vccnz .LBB94_2037
.LBB94_1972:
	s_mov_b64 s[0:1], 0
	s_branch .LBB94_1974
.LBB94_1973:
	s_mov_b64 s[0:1], 0
	s_mov_b64 s[4:5], 0
                                        ; implicit-def: $sgpr2_sgpr3
                                        ; implicit-def: $sgpr26
                                        ; implicit-def: $vgpr0_vgpr1
.LBB94_1974:
	s_and_b64 s[6:7], s[4:5], exec
	s_andn2_b64 s[4:5], s[20:21], exec
	s_and_b64 s[8:9], s[22:23], exec
	s_and_b64 s[0:1], s[0:1], exec
	s_or_b64 s[20:21], s[4:5], s[8:9]
.LBB94_1975:
	s_or_b64 exec, exec, s[18:19]
	s_and_saveexec_b64 s[4:5], s[20:21]
	s_cbranch_execz .LBB94_1978
; %bb.1976:
	; divergent unreachable
	s_or_b64 exec, exec, s[4:5]
	s_and_saveexec_b64 s[4:5], s[6:7]
	s_xor_b64 s[4:5], exec, s[4:5]
	s_cbranch_execnz .LBB94_1979
.LBB94_1977:
	s_or_b64 exec, exec, s[4:5]
	s_and_saveexec_b64 s[4:5], s[0:1]
	s_cbranch_execnz .LBB94_1980
	s_branch .LBB94_2017
.LBB94_1978:
	s_or_b64 exec, exec, s[4:5]
	s_and_saveexec_b64 s[4:5], s[6:7]
	s_xor_b64 s[4:5], exec, s[4:5]
	s_cbranch_execz .LBB94_1977
.LBB94_1979:
	s_waitcnt vmcnt(0)
	v_cndmask_b32_e64 v2, 0, 1, s[2:3]
	global_store_byte v[0:1], v2, off
	s_or_b64 exec, exec, s[4:5]
	s_and_saveexec_b64 s[4:5], s[0:1]
	s_cbranch_execz .LBB94_2017
.LBB94_1980:
	s_sext_i32_i16 s4, s26
	s_cmp_lt_i32 s4, 5
	s_mov_b64 s[0:1], -1
	s_cbranch_scc1 .LBB94_2001
; %bb.1981:
	s_cmp_lt_i32 s4, 8
	s_cbranch_scc1 .LBB94_1991
; %bb.1982:
	s_cmp_lt_i32 s4, 9
	s_cbranch_scc1 .LBB94_1988
; %bb.1983:
	s_cmp_gt_i32 s4, 9
	s_cbranch_scc0 .LBB94_1985
; %bb.1984:
	s_waitcnt vmcnt(0)
	v_cndmask_b32_e64 v2, 0, 1, s[2:3]
	v_cvt_f64_u32_e32 v[2:3], v2
	v_mov_b32_e32 v4, 0
	v_mov_b32_e32 v5, v4
	s_mov_b64 s[0:1], 0
	global_store_dwordx4 v[0:1], v[2:5], off
.LBB94_1985:
	s_andn2_b64 vcc, exec, s[0:1]
	s_cbranch_vccnz .LBB94_1987
; %bb.1986:
	s_waitcnt vmcnt(0)
	v_cndmask_b32_e64 v2, 0, 1.0, s[2:3]
	v_mov_b32_e32 v3, 0
	global_store_dwordx2 v[0:1], v[2:3], off
.LBB94_1987:
	s_mov_b64 s[0:1], 0
.LBB94_1988:
	s_andn2_b64 vcc, exec, s[0:1]
	s_cbranch_vccnz .LBB94_1990
; %bb.1989:
	s_waitcnt vmcnt(0)
	v_cndmask_b32_e64 v2, 0, 1.0, s[2:3]
	v_cvt_f16_f32_e32 v2, v2
	global_store_dword v[0:1], v2, off
.LBB94_1990:
	s_mov_b64 s[0:1], 0
.LBB94_1991:
	s_andn2_b64 vcc, exec, s[0:1]
	s_cbranch_vccnz .LBB94_2000
; %bb.1992:
	s_sext_i32_i16 s4, s26
	s_cmp_lt_i32 s4, 6
	s_mov_b64 s[0:1], -1
	s_cbranch_scc1 .LBB94_1998
; %bb.1993:
	s_cmp_gt_i32 s4, 6
	s_cbranch_scc0 .LBB94_1995
; %bb.1994:
	s_waitcnt vmcnt(0)
	v_cndmask_b32_e64 v2, 0, 1, s[2:3]
	v_cvt_f64_u32_e32 v[2:3], v2
	s_mov_b64 s[0:1], 0
	global_store_dwordx2 v[0:1], v[2:3], off
.LBB94_1995:
	s_andn2_b64 vcc, exec, s[0:1]
	s_cbranch_vccnz .LBB94_1997
; %bb.1996:
	s_waitcnt vmcnt(0)
	v_cndmask_b32_e64 v2, 0, 1.0, s[2:3]
	global_store_dword v[0:1], v2, off
.LBB94_1997:
	s_mov_b64 s[0:1], 0
.LBB94_1998:
	s_andn2_b64 vcc, exec, s[0:1]
	s_cbranch_vccnz .LBB94_2000
; %bb.1999:
	s_waitcnt vmcnt(0)
	v_cndmask_b32_e64 v2, 0, 1.0, s[2:3]
	v_cvt_f16_f32_e32 v2, v2
	global_store_short v[0:1], v2, off
.LBB94_2000:
	s_mov_b64 s[0:1], 0
.LBB94_2001:
	s_andn2_b64 vcc, exec, s[0:1]
	s_cbranch_vccnz .LBB94_2017
; %bb.2002:
	s_sext_i32_i16 s4, s26
	s_cmp_lt_i32 s4, 2
	s_mov_b64 s[0:1], -1
	s_cbranch_scc1 .LBB94_2012
; %bb.2003:
	s_cmp_lt_i32 s4, 3
	s_cbranch_scc1 .LBB94_2009
; %bb.2004:
	s_cmp_gt_i32 s4, 3
	s_cbranch_scc0 .LBB94_2006
; %bb.2005:
	s_mov_b32 s0, 0
	s_waitcnt vmcnt(0)
	v_cndmask_b32_e64 v2, 0, 1, s[2:3]
	v_mov_b32_e32 v3, s0
	global_store_dwordx2 v[0:1], v[2:3], off
	s_mov_b64 s[0:1], 0
.LBB94_2006:
	s_andn2_b64 vcc, exec, s[0:1]
	s_cbranch_vccnz .LBB94_2008
; %bb.2007:
	s_waitcnt vmcnt(0)
	v_cndmask_b32_e64 v2, 0, 1, s[2:3]
	global_store_dword v[0:1], v2, off
.LBB94_2008:
	s_mov_b64 s[0:1], 0
.LBB94_2009:
	s_andn2_b64 vcc, exec, s[0:1]
	s_cbranch_vccnz .LBB94_2011
; %bb.2010:
	s_waitcnt vmcnt(0)
	v_cndmask_b32_e64 v2, 0, 1, s[2:3]
	global_store_short v[0:1], v2, off
.LBB94_2011:
	s_mov_b64 s[0:1], 0
.LBB94_2012:
	s_andn2_b64 vcc, exec, s[0:1]
	s_cbranch_vccnz .LBB94_2017
; %bb.2013:
	s_sext_i32_i16 s4, s26
	s_mov_b64 s[0:1], -1
	s_cmp_gt_i32 s4, 0
	s_waitcnt vmcnt(0)
	v_cndmask_b32_e64 v2, 0, 1, s[2:3]
	s_cbranch_scc0 .LBB94_2015
; %bb.2014:
	global_store_byte v[0:1], v2, off
	s_mov_b64 s[0:1], 0
.LBB94_2015:
	s_andn2_b64 vcc, exec, s[0:1]
	s_cbranch_vccnz .LBB94_2017
; %bb.2016:
	global_store_byte v[0:1], v2, off
	s_endpgm
.LBB94_2017:
	s_endpgm
.LBB94_2018:
	s_mov_b64 s[4:5], 0
	s_mov_b64 s[0:1], -1
	s_branch .LBB94_1974
.LBB94_2019:
	s_trap 2
	s_or_b64 s[22:23], s[22:23], exec
	s_cbranch_execz .LBB94_1488
	s_branch .LBB94_1489
.LBB94_2020:
	s_andn2_saveexec_b64 s[24:25], s[24:25]
	s_cbranch_execz .LBB94_1568
.LBB94_2021:
	v_add_f32_e32 v9, 0x46000000, v10
	v_and_b32_e32 v9, 0xff, v9
	v_cmp_ne_u32_e32 vcc, 0, v9
	s_andn2_b64 s[14:15], s[14:15], exec
	s_and_b64 s[28:29], vcc, exec
	s_or_b64 s[14:15], s[14:15], s[28:29]
	s_or_b64 exec, exec, s[24:25]
	v_mov_b32_e32 v11, 0
	s_and_saveexec_b64 s[24:25], s[14:15]
	s_cbranch_execnz .LBB94_1569
	s_branch .LBB94_1570
.LBB94_2022:
	s_trap 2
	s_or_b64 s[22:23], s[22:23], exec
	s_cbranch_execz .LBB94_1616
	s_branch .LBB94_1617
.LBB94_2023:
	s_andn2_saveexec_b64 s[14:15], s[14:15]
	s_cbranch_execz .LBB94_1581
.LBB94_2024:
	v_add_f32_e32 v9, 0x42800000, v10
	v_and_b32_e32 v9, 0xff, v9
	v_cmp_ne_u32_e32 vcc, 0, v9
	s_andn2_b64 s[10:11], s[10:11], exec
	s_and_b64 s[24:25], vcc, exec
	s_or_b64 s[10:11], s[10:11], s[24:25]
	s_or_b64 exec, exec, s[14:15]
	v_mov_b32_e32 v11, 0
	s_and_saveexec_b64 s[14:15], s[10:11]
	s_cbranch_execnz .LBB94_1582
	s_branch .LBB94_1583
.LBB94_2025:
	s_andn2_saveexec_b64 s[14:15], s[14:15]
	s_cbranch_execz .LBB94_1687
.LBB94_2026:
	v_add_f32_e32 v3, 0x46000000, v8
	v_and_b32_e32 v3, 0xff, v3
	v_cmp_ne_u32_e32 vcc, 0, v3
	s_andn2_b64 s[12:13], s[12:13], exec
	s_and_b64 s[28:29], vcc, exec
	s_or_b64 s[12:13], s[12:13], s[28:29]
	s_or_b64 exec, exec, s[14:15]
	v_mov_b32_e32 v9, 0
	s_and_saveexec_b64 s[14:15], s[12:13]
	s_cbranch_execnz .LBB94_1688
	s_branch .LBB94_1689
.LBB94_2027:
	s_trap 2
	s_or_b64 s[22:23], s[22:23], exec
	s_cbranch_execz .LBB94_1735
	s_branch .LBB94_1736
.LBB94_2028:
	s_andn2_saveexec_b64 s[12:13], s[12:13]
	s_cbranch_execz .LBB94_1700
.LBB94_2029:
	v_add_f32_e32 v3, 0x42800000, v8
	v_and_b32_e32 v3, 0xff, v3
	v_cmp_ne_u32_e32 vcc, 0, v3
	s_andn2_b64 s[10:11], s[10:11], exec
	s_and_b64 s[14:15], vcc, exec
	s_or_b64 s[10:11], s[10:11], s[14:15]
	s_or_b64 exec, exec, s[12:13]
	v_mov_b32_e32 v9, 0
	s_and_saveexec_b64 s[12:13], s[10:11]
	s_cbranch_execnz .LBB94_1701
	s_branch .LBB94_1702
.LBB94_2030:
	s_andn2_saveexec_b64 s[14:15], s[14:15]
	s_cbranch_execz .LBB94_1806
.LBB94_2031:
	v_add_f32_e32 v3, 0x46000000, v4
	v_and_b32_e32 v3, 0xff, v3
	v_cmp_ne_u32_e32 vcc, 0, v3
	s_andn2_b64 s[12:13], s[12:13], exec
	s_and_b64 s[28:29], vcc, exec
	s_or_b64 s[12:13], s[12:13], s[28:29]
	s_or_b64 exec, exec, s[14:15]
	v_mov_b32_e32 v5, 0
	s_and_saveexec_b64 s[14:15], s[12:13]
	s_cbranch_execnz .LBB94_1807
	s_branch .LBB94_1808
.LBB94_2032:
	s_trap 2
	s_or_b64 s[22:23], s[22:23], exec
	s_cbranch_execz .LBB94_1854
	s_branch .LBB94_1855
.LBB94_2033:
	s_andn2_saveexec_b64 s[12:13], s[12:13]
	s_cbranch_execz .LBB94_1819
.LBB94_2034:
	v_add_f32_e32 v3, 0x42800000, v4
	v_and_b32_e32 v3, 0xff, v3
	v_cmp_ne_u32_e32 vcc, 0, v3
	s_andn2_b64 s[10:11], s[10:11], exec
	s_and_b64 s[14:15], vcc, exec
	s_or_b64 s[10:11], s[10:11], s[14:15]
	s_or_b64 exec, exec, s[12:13]
	v_mov_b32_e32 v5, 0
	s_and_saveexec_b64 s[12:13], s[10:11]
	s_cbranch_execnz .LBB94_1820
	s_branch .LBB94_1821
.LBB94_2035:
	s_andn2_saveexec_b64 s[10:11], s[10:11]
	s_cbranch_execz .LBB94_1926
.LBB94_2036:
	v_add_f32_e32 v2, 0x46000000, v3
	v_and_b32_e32 v2, 0xff, v2
	v_cmp_ne_u32_e32 vcc, 0, v2
	s_andn2_b64 s[8:9], s[8:9], exec
	s_and_b64 s[14:15], vcc, exec
	s_or_b64 s[8:9], s[8:9], s[14:15]
	s_or_b64 exec, exec, s[10:11]
	v_mov_b32_e32 v4, 0
	s_and_saveexec_b64 s[10:11], s[8:9]
	s_cbranch_execnz .LBB94_1927
	s_branch .LBB94_1928
.LBB94_2037:
	s_mov_b64 s[4:5], 0
	s_or_b64 s[22:23], s[22:23], exec
	s_trap 2
	s_branch .LBB94_1972
.LBB94_2038:
	s_andn2_saveexec_b64 s[8:9], s[8:9]
	s_cbranch_execz .LBB94_1938
.LBB94_2039:
	v_add_f32_e32 v2, 0x42800000, v3
	v_and_b32_e32 v2, 0xff, v2
	v_cmp_ne_u32_e32 vcc, 0, v2
	s_andn2_b64 s[6:7], s[6:7], exec
	s_and_b64 s[10:11], vcc, exec
	s_or_b64 s[6:7], s[6:7], s[10:11]
	s_or_b64 exec, exec, s[8:9]
	v_mov_b32_e32 v4, 0
	s_and_saveexec_b64 s[8:9], s[6:7]
	s_cbranch_execnz .LBB94_1939
	s_branch .LBB94_1940
	.section	.rodata,"a",@progbits
	.p2align	6, 0x0
	.amdhsa_kernel _ZN2at6native32elementwise_kernel_manual_unrollILi128ELi4EZNS0_15gpu_kernel_implINS0_13AUnaryFunctorIddbNS0_12_GLOBAL__N_116CompareEqFunctorIdEEEEEEvRNS_18TensorIteratorBaseERKT_EUlibE_EEviT1_
		.amdhsa_group_segment_fixed_size 0
		.amdhsa_private_segment_fixed_size 0
		.amdhsa_kernarg_size 56
		.amdhsa_user_sgpr_count 6
		.amdhsa_user_sgpr_private_segment_buffer 1
		.amdhsa_user_sgpr_dispatch_ptr 0
		.amdhsa_user_sgpr_queue_ptr 0
		.amdhsa_user_sgpr_kernarg_segment_ptr 1
		.amdhsa_user_sgpr_dispatch_id 0
		.amdhsa_user_sgpr_flat_scratch_init 0
		.amdhsa_user_sgpr_private_segment_size 0
		.amdhsa_uses_dynamic_stack 0
		.amdhsa_system_sgpr_private_segment_wavefront_offset 0
		.amdhsa_system_sgpr_workgroup_id_x 1
		.amdhsa_system_sgpr_workgroup_id_y 0
		.amdhsa_system_sgpr_workgroup_id_z 0
		.amdhsa_system_sgpr_workgroup_info 0
		.amdhsa_system_vgpr_workitem_id 0
		.amdhsa_next_free_vgpr 15
		.amdhsa_next_free_sgpr 50
		.amdhsa_reserve_vcc 1
		.amdhsa_reserve_flat_scratch 0
		.amdhsa_float_round_mode_32 0
		.amdhsa_float_round_mode_16_64 0
		.amdhsa_float_denorm_mode_32 3
		.amdhsa_float_denorm_mode_16_64 3
		.amdhsa_dx10_clamp 1
		.amdhsa_ieee_mode 1
		.amdhsa_fp16_overflow 0
		.amdhsa_exception_fp_ieee_invalid_op 0
		.amdhsa_exception_fp_denorm_src 0
		.amdhsa_exception_fp_ieee_div_zero 0
		.amdhsa_exception_fp_ieee_overflow 0
		.amdhsa_exception_fp_ieee_underflow 0
		.amdhsa_exception_fp_ieee_inexact 0
		.amdhsa_exception_int_div_zero 0
	.end_amdhsa_kernel
	.section	.text._ZN2at6native32elementwise_kernel_manual_unrollILi128ELi4EZNS0_15gpu_kernel_implINS0_13AUnaryFunctorIddbNS0_12_GLOBAL__N_116CompareEqFunctorIdEEEEEEvRNS_18TensorIteratorBaseERKT_EUlibE_EEviT1_,"axG",@progbits,_ZN2at6native32elementwise_kernel_manual_unrollILi128ELi4EZNS0_15gpu_kernel_implINS0_13AUnaryFunctorIddbNS0_12_GLOBAL__N_116CompareEqFunctorIdEEEEEEvRNS_18TensorIteratorBaseERKT_EUlibE_EEviT1_,comdat
.Lfunc_end94:
	.size	_ZN2at6native32elementwise_kernel_manual_unrollILi128ELi4EZNS0_15gpu_kernel_implINS0_13AUnaryFunctorIddbNS0_12_GLOBAL__N_116CompareEqFunctorIdEEEEEEvRNS_18TensorIteratorBaseERKT_EUlibE_EEviT1_, .Lfunc_end94-_ZN2at6native32elementwise_kernel_manual_unrollILi128ELi4EZNS0_15gpu_kernel_implINS0_13AUnaryFunctorIddbNS0_12_GLOBAL__N_116CompareEqFunctorIdEEEEEEvRNS_18TensorIteratorBaseERKT_EUlibE_EEviT1_
                                        ; -- End function
	.set _ZN2at6native32elementwise_kernel_manual_unrollILi128ELi4EZNS0_15gpu_kernel_implINS0_13AUnaryFunctorIddbNS0_12_GLOBAL__N_116CompareEqFunctorIdEEEEEEvRNS_18TensorIteratorBaseERKT_EUlibE_EEviT1_.num_vgpr, 15
	.set _ZN2at6native32elementwise_kernel_manual_unrollILi128ELi4EZNS0_15gpu_kernel_implINS0_13AUnaryFunctorIddbNS0_12_GLOBAL__N_116CompareEqFunctorIdEEEEEEvRNS_18TensorIteratorBaseERKT_EUlibE_EEviT1_.num_agpr, 0
	.set _ZN2at6native32elementwise_kernel_manual_unrollILi128ELi4EZNS0_15gpu_kernel_implINS0_13AUnaryFunctorIddbNS0_12_GLOBAL__N_116CompareEqFunctorIdEEEEEEvRNS_18TensorIteratorBaseERKT_EUlibE_EEviT1_.numbered_sgpr, 50
	.set _ZN2at6native32elementwise_kernel_manual_unrollILi128ELi4EZNS0_15gpu_kernel_implINS0_13AUnaryFunctorIddbNS0_12_GLOBAL__N_116CompareEqFunctorIdEEEEEEvRNS_18TensorIteratorBaseERKT_EUlibE_EEviT1_.num_named_barrier, 0
	.set _ZN2at6native32elementwise_kernel_manual_unrollILi128ELi4EZNS0_15gpu_kernel_implINS0_13AUnaryFunctorIddbNS0_12_GLOBAL__N_116CompareEqFunctorIdEEEEEEvRNS_18TensorIteratorBaseERKT_EUlibE_EEviT1_.private_seg_size, 0
	.set _ZN2at6native32elementwise_kernel_manual_unrollILi128ELi4EZNS0_15gpu_kernel_implINS0_13AUnaryFunctorIddbNS0_12_GLOBAL__N_116CompareEqFunctorIdEEEEEEvRNS_18TensorIteratorBaseERKT_EUlibE_EEviT1_.uses_vcc, 1
	.set _ZN2at6native32elementwise_kernel_manual_unrollILi128ELi4EZNS0_15gpu_kernel_implINS0_13AUnaryFunctorIddbNS0_12_GLOBAL__N_116CompareEqFunctorIdEEEEEEvRNS_18TensorIteratorBaseERKT_EUlibE_EEviT1_.uses_flat_scratch, 0
	.set _ZN2at6native32elementwise_kernel_manual_unrollILi128ELi4EZNS0_15gpu_kernel_implINS0_13AUnaryFunctorIddbNS0_12_GLOBAL__N_116CompareEqFunctorIdEEEEEEvRNS_18TensorIteratorBaseERKT_EUlibE_EEviT1_.has_dyn_sized_stack, 0
	.set _ZN2at6native32elementwise_kernel_manual_unrollILi128ELi4EZNS0_15gpu_kernel_implINS0_13AUnaryFunctorIddbNS0_12_GLOBAL__N_116CompareEqFunctorIdEEEEEEvRNS_18TensorIteratorBaseERKT_EUlibE_EEviT1_.has_recursion, 0
	.set _ZN2at6native32elementwise_kernel_manual_unrollILi128ELi4EZNS0_15gpu_kernel_implINS0_13AUnaryFunctorIddbNS0_12_GLOBAL__N_116CompareEqFunctorIdEEEEEEvRNS_18TensorIteratorBaseERKT_EUlibE_EEviT1_.has_indirect_call, 0
	.section	.AMDGPU.csdata,"",@progbits
; Kernel info:
; codeLenInByte = 30696
; TotalNumSgprs: 54
; NumVgprs: 15
; ScratchSize: 0
; MemoryBound: 1
; FloatMode: 240
; IeeeMode: 1
; LDSByteSize: 0 bytes/workgroup (compile time only)
; SGPRBlocks: 6
; VGPRBlocks: 3
; NumSGPRsForWavesPerEU: 54
; NumVGPRsForWavesPerEU: 15
; Occupancy: 10
; WaveLimiterHint : 0
; COMPUTE_PGM_RSRC2:SCRATCH_EN: 0
; COMPUTE_PGM_RSRC2:USER_SGPR: 6
; COMPUTE_PGM_RSRC2:TRAP_HANDLER: 0
; COMPUTE_PGM_RSRC2:TGID_X_EN: 1
; COMPUTE_PGM_RSRC2:TGID_Y_EN: 0
; COMPUTE_PGM_RSRC2:TGID_Z_EN: 0
; COMPUTE_PGM_RSRC2:TIDIG_COMP_CNT: 0
	.section	.text._ZN2at6native32elementwise_kernel_manual_unrollILi128ELi4EZNS0_15gpu_kernel_implINS0_13AUnaryFunctorIddbNS0_12_GLOBAL__N_116CompareEqFunctorIdEEEEEEvRNS_18TensorIteratorBaseERKT_EUlibE0_EEviT1_,"axG",@progbits,_ZN2at6native32elementwise_kernel_manual_unrollILi128ELi4EZNS0_15gpu_kernel_implINS0_13AUnaryFunctorIddbNS0_12_GLOBAL__N_116CompareEqFunctorIdEEEEEEvRNS_18TensorIteratorBaseERKT_EUlibE0_EEviT1_,comdat
	.globl	_ZN2at6native32elementwise_kernel_manual_unrollILi128ELi4EZNS0_15gpu_kernel_implINS0_13AUnaryFunctorIddbNS0_12_GLOBAL__N_116CompareEqFunctorIdEEEEEEvRNS_18TensorIteratorBaseERKT_EUlibE0_EEviT1_ ; -- Begin function _ZN2at6native32elementwise_kernel_manual_unrollILi128ELi4EZNS0_15gpu_kernel_implINS0_13AUnaryFunctorIddbNS0_12_GLOBAL__N_116CompareEqFunctorIdEEEEEEvRNS_18TensorIteratorBaseERKT_EUlibE0_EEviT1_
	.p2align	8
	.type	_ZN2at6native32elementwise_kernel_manual_unrollILi128ELi4EZNS0_15gpu_kernel_implINS0_13AUnaryFunctorIddbNS0_12_GLOBAL__N_116CompareEqFunctorIdEEEEEEvRNS_18TensorIteratorBaseERKT_EUlibE0_EEviT1_,@function
_ZN2at6native32elementwise_kernel_manual_unrollILi128ELi4EZNS0_15gpu_kernel_implINS0_13AUnaryFunctorIddbNS0_12_GLOBAL__N_116CompareEqFunctorIdEEEEEEvRNS_18TensorIteratorBaseERKT_EUlibE0_EEviT1_: ; @_ZN2at6native32elementwise_kernel_manual_unrollILi128ELi4EZNS0_15gpu_kernel_implINS0_13AUnaryFunctorIddbNS0_12_GLOBAL__N_116CompareEqFunctorIdEEEEEEvRNS_18TensorIteratorBaseERKT_EUlibE0_EEviT1_
; %bb.0:
	s_load_dword s74, s[4:5], 0x0
	s_load_dword s33, s[4:5], 0x8
	s_add_u32 s34, s4, 8
	s_addc_u32 s35, s5, 0
	v_lshl_or_b32 v11, s6, 9, v0
	v_or_b32_e32 v15, 0x180, v11
	s_waitcnt lgkmcnt(0)
	s_add_i32 s76, s33, -1
	s_cmp_gt_u32 s76, 1
	v_cmp_le_i32_e32 vcc, s74, v15
	s_cselect_b64 s[46:47], -1, 0
	s_mov_b64 s[44:45], 0
	s_mov_b64 s[6:7], 0
	s_and_saveexec_b64 s[0:1], vcc
	s_xor_b64 s[48:49], exec, s[0:1]
	s_cbranch_execz .LBB95_1086
; %bb.1:
	s_load_dwordx4 s[28:31], s[34:35], 0x4
	s_load_dwordx2 s[52:53], s[34:35], 0x14
	s_load_dword s0, s[34:35], 0x158
	s_load_dwordx2 s[50:51], s[34:35], 0x160
	s_load_dword s77, s[34:35], 0x168
	s_cmp_lg_u32 s33, 0
	s_cselect_b64 s[58:59], -1, 0
	s_add_u32 s56, s34, 0xc4
	s_addc_u32 s57, s35, 0
	s_min_u32 s79, s76, 15
	s_load_dwordx4 s[36:39], s[34:35], 0xc4
	s_load_dwordx4 s[24:27], s[34:35], 0x148
	s_cmp_gt_u32 s33, 1
	s_cselect_b64 s[54:55], -1, 0
	s_waitcnt lgkmcnt(0)
	s_bfe_u32 s78, s77, 0x80008
	s_cmp_eq_u32 s0, 0
	s_cselect_b64 s[0:1], -1, 0
	v_cmp_gt_i32_e32 vcc, s74, v11
	s_mov_b64 s[2:3], -1
	s_mov_b64 s[68:69], 0
	s_mov_b64 s[62:63], 0
	;; [unrolled: 1-line block ×3, first 2 shown]
	s_and_saveexec_b64 s[64:65], vcc
	s_cbranch_execz .LBB95_266
; %bb.2:
	s_andn2_b64 vcc, exec, s[46:47]
	s_cbranch_vccnz .LBB95_7
; %bb.3:
	s_andn2_b64 vcc, exec, s[58:59]
	s_cbranch_vccnz .LBB95_8
; %bb.4:
	s_add_i32 s61, s79, 1
	s_cmp_eq_u32 s76, 2
	s_cbranch_scc1 .LBB95_9
; %bb.5:
	s_and_b32 s60, s61, 28
	v_mov_b32_e32 v2, 0
	s_mov_b32 s62, 0
	s_mov_b64 s[2:3], s[34:35]
	s_mov_b64 s[6:7], s[56:57]
	v_mov_b32_e32 v0, 0
	v_mov_b32_e32 v1, v11
.LBB95_6:                               ; =>This Inner Loop Header: Depth=1
	s_load_dwordx8 s[16:23], s[2:3], 0x4
	s_load_dwordx4 s[40:43], s[2:3], 0x24
	s_load_dwordx8 s[8:15], s[6:7], 0x0
	s_add_u32 s2, s2, 48
	s_addc_u32 s3, s3, 0
	s_waitcnt lgkmcnt(0)
	v_mul_hi_u32 v3, s17, v1
	s_add_i32 s62, s62, 4
	s_add_u32 s6, s6, 32
	s_addc_u32 s7, s7, 0
	v_add_u32_e32 v3, v1, v3
	v_lshrrev_b32_e32 v3, s18, v3
	v_mul_lo_u32 v4, v3, s16
	v_mul_hi_u32 v5, s20, v3
	s_cmp_lg_u32 s60, s62
	v_sub_u32_e32 v1, v1, v4
	v_add_u32_e32 v4, v3, v5
	v_mul_lo_u32 v5, v1, s8
	v_mul_lo_u32 v6, v1, s9
	v_lshrrev_b32_e32 v1, s21, v4
	v_mul_lo_u32 v4, v1, s19
	v_mul_hi_u32 v7, s23, v1
	v_sub_u32_e32 v3, v3, v4
	v_add_u32_e32 v4, v1, v7
	v_lshrrev_b32_e32 v4, s40, v4
	v_mul_hi_u32 v8, s42, v4
	v_mul_lo_u32 v9, v4, s22
	v_mul_lo_u32 v7, v3, s10
	;; [unrolled: 1-line block ×3, first 2 shown]
	v_sub_u32_e32 v9, v1, v9
	v_add_u32_e32 v1, v4, v8
	v_lshrrev_b32_e32 v1, s43, v1
	v_mul_lo_u32 v8, v1, s41
	v_mul_lo_u32 v10, v9, s12
	;; [unrolled: 1-line block ×3, first 2 shown]
	v_add3_u32 v0, v5, v0, v7
	v_sub_u32_e32 v4, v4, v8
	v_mul_lo_u32 v8, v4, s14
	v_mul_lo_u32 v4, v4, s15
	v_add3_u32 v2, v6, v2, v3
	v_add3_u32 v0, v10, v0, v8
	;; [unrolled: 1-line block ×3, first 2 shown]
	s_cbranch_scc1 .LBB95_6
	s_branch .LBB95_10
.LBB95_7:
                                        ; implicit-def: $vgpr0
                                        ; implicit-def: $vgpr2
	s_andn2_b64 vcc, exec, s[2:3]
	s_cbranch_vccz .LBB95_14
	s_branch .LBB95_16
.LBB95_8:
	v_mov_b32_e32 v0, 0
	v_mov_b32_e32 v2, 0
	s_branch .LBB95_13
.LBB95_9:
	s_mov_b32 s60, 0
	v_mov_b32_e32 v0, 0
	v_mov_b32_e32 v2, 0
	;; [unrolled: 1-line block ×3, first 2 shown]
.LBB95_10:
	s_and_b32 s8, s61, 3
	s_cmp_eq_u32 s8, 0
	s_cbranch_scc1 .LBB95_13
; %bb.11:
	s_lshl_b32 s2, s60, 3
	s_add_u32 s2, s34, s2
	s_addc_u32 s3, s35, 0
	s_add_u32 s2, s2, 0xc4
	s_addc_u32 s3, s3, 0
	s_mul_i32 s6, s60, 12
	s_add_u32 s6, s34, s6
	s_addc_u32 s7, s35, 0
.LBB95_12:                              ; =>This Inner Loop Header: Depth=1
	s_load_dwordx2 s[10:11], s[6:7], 0x4
	s_load_dword s9, s[6:7], 0xc
	s_load_dwordx2 s[12:13], s[2:3], 0x0
	s_add_u32 s6, s6, 12
	s_addc_u32 s7, s7, 0
	s_waitcnt lgkmcnt(0)
	v_mul_hi_u32 v3, s11, v1
	s_add_u32 s2, s2, 8
	s_addc_u32 s3, s3, 0
	s_add_i32 s8, s8, -1
	v_add_u32_e32 v3, v1, v3
	v_lshrrev_b32_e32 v4, s9, v3
	v_mul_lo_u32 v3, v4, s10
	s_cmp_lg_u32 s8, 0
	v_sub_u32_e32 v3, v1, v3
	v_mad_u64_u32 v[0:1], s[10:11], v3, s12, v[0:1]
	v_mad_u64_u32 v[2:3], s[10:11], v3, s13, v[2:3]
	v_mov_b32_e32 v1, v4
	s_cbranch_scc1 .LBB95_12
.LBB95_13:
	s_cbranch_execnz .LBB95_16
.LBB95_14:
	v_mul_hi_u32 v0, s29, v11
	s_andn2_b64 vcc, exec, s[54:55]
	v_add_u32_e32 v0, v11, v0
	v_lshrrev_b32_e32 v1, s30, v0
	v_mul_lo_u32 v0, v1, s28
	v_sub_u32_e32 v2, v11, v0
	v_mul_lo_u32 v0, v2, s36
	v_mul_lo_u32 v2, v2, s37
	s_cbranch_vccnz .LBB95_16
; %bb.15:
	v_mul_hi_u32 v3, s52, v1
	v_add_u32_e32 v3, v1, v3
	v_lshrrev_b32_e32 v3, s53, v3
	v_mul_lo_u32 v3, v3, s31
	v_sub_u32_e32 v3, v1, v3
	v_mad_u64_u32 v[0:1], s[2:3], v3, s38, v[0:1]
	v_mad_u64_u32 v[2:3], s[2:3], v3, s39, v[2:3]
.LBB95_16:
	v_mov_b32_e32 v3, s27
	s_and_b32 s12, 0xffff, s78
	v_add_co_u32_e32 v1, vcc, s26, v2
	s_cmp_lt_i32 s12, 11
	v_addc_co_u32_e32 v2, vcc, 0, v3, vcc
	s_cbranch_scc1 .LBB95_23
; %bb.17:
	s_cmp_gt_i32 s12, 25
	s_cbranch_scc0 .LBB95_32
; %bb.18:
	s_cmp_gt_i32 s12, 28
	s_cbranch_scc0 .LBB95_35
	;; [unrolled: 3-line block ×4, first 2 shown]
; %bb.21:
	s_cmp_eq_u32 s12, 46
	s_mov_b64 s[6:7], 0
	s_cbranch_scc0 .LBB95_41
; %bb.22:
	global_load_dword v3, v[1:2], off
	s_mov_b64 s[2:3], -1
	s_mov_b64 s[8:9], 0
	s_waitcnt vmcnt(0)
	v_lshlrev_b32_e32 v3, 16, v3
	v_cvt_f64_f32_e32 v[3:4], v3
	s_branch .LBB95_43
.LBB95_23:
	s_mov_b64 s[8:9], 0
                                        ; implicit-def: $vgpr3_vgpr4
	s_mov_b64 s[2:3], 0
	s_cbranch_execnz .LBB95_216
.LBB95_24:
	s_andn2_b64 vcc, exec, s[2:3]
	s_cbranch_vccnz .LBB95_263
.LBB95_25:
	s_waitcnt vmcnt(0)
	v_cmp_eq_f64_e32 vcc, s[50:51], v[3:4]
	s_and_b32 s16, s77, 0xff
	s_cmp_lt_i32 s16, 11
	v_cndmask_b32_e64 v1, 0, 1, vcc
	v_cmp_neq_f64_e32 vcc, s[50:51], v[3:4]
	v_cndmask_b32_e64 v2, 0, 1, vcc
	v_cndmask_b32_e64 v1, v2, v1, s[0:1]
	v_and_b32_e32 v1, 1, v1
	v_cmp_eq_u32_e64 s[2:3], 1, v1
	v_mov_b32_e32 v1, s25
	v_add_co_u32_e32 v0, vcc, s24, v0
	v_addc_co_u32_e32 v1, vcc, 0, v1, vcc
	s_cbranch_scc1 .LBB95_33
; %bb.26:
	s_and_b32 s17, 0xffff, s16
	s_cmp_gt_i32 s17, 25
	s_cbranch_scc0 .LBB95_36
; %bb.27:
	s_cmp_gt_i32 s17, 28
	s_cbranch_scc0 .LBB95_38
; %bb.28:
	;; [unrolled: 3-line block ×4, first 2 shown]
	s_mov_b64 s[12:13], 0
	s_mov_b64 s[6:7], -1
	s_cmp_eq_u32 s17, 46
	s_mov_b64 s[10:11], 0
	s_cbranch_scc0 .LBB95_47
; %bb.31:
	v_cndmask_b32_e64 v2, 0, 1.0, s[2:3]
	v_bfe_u32 v3, v2, 16, 1
	s_movk_i32 s6, 0x7fff
	v_add3_u32 v2, v2, v3, s6
	v_lshrrev_b32_e32 v2, 16, v2
	global_store_dword v[0:1], v2, off
	s_mov_b64 s[10:11], -1
	s_mov_b64 s[6:7], 0
	s_branch .LBB95_47
.LBB95_32:
	s_mov_b64 s[8:9], 0
	s_mov_b64 s[2:3], 0
                                        ; implicit-def: $vgpr3_vgpr4
	s_cbranch_execnz .LBB95_183
	s_branch .LBB95_215
.LBB95_33:
	s_mov_b64 s[6:7], 0
	s_mov_b64 s[10:11], 0
	s_cbranch_execnz .LBB95_116
.LBB95_34:
	s_andn2_b64 vcc, exec, s[10:11]
	s_cbranch_vccnz .LBB95_264
	s_branch .LBB95_154
.LBB95_35:
	s_mov_b64 s[6:7], -1
	s_mov_b64 s[8:9], 0
	s_mov_b64 s[2:3], 0
                                        ; implicit-def: $vgpr3_vgpr4
	s_branch .LBB95_162
.LBB95_36:
	s_mov_b64 s[12:13], -1
	s_mov_b64 s[6:7], 0
	s_mov_b64 s[10:11], 0
	s_branch .LBB95_74
.LBB95_37:
	s_mov_b64 s[6:7], -1
	s_mov_b64 s[8:9], 0
	s_mov_b64 s[2:3], 0
                                        ; implicit-def: $vgpr3_vgpr4
	s_branch .LBB95_157
.LBB95_38:
	s_mov_b64 s[12:13], -1
	s_mov_b64 s[6:7], 0
	s_mov_b64 s[10:11], 0
	s_branch .LBB95_57
.LBB95_39:
	s_mov_b64 s[6:7], -1
	s_mov_b64 s[8:9], 0
	s_branch .LBB95_42
.LBB95_40:
	s_mov_b64 s[12:13], -1
	s_mov_b64 s[6:7], 0
	s_mov_b64 s[10:11], 0
	s_branch .LBB95_53
.LBB95_41:
	s_mov_b64 s[8:9], -1
.LBB95_42:
	s_mov_b64 s[2:3], 0
                                        ; implicit-def: $vgpr3_vgpr4
.LBB95_43:
	s_and_b64 vcc, exec, s[6:7]
	s_cbranch_vccz .LBB95_156
; %bb.44:
	s_cmp_eq_u32 s12, 44
	s_cbranch_scc0 .LBB95_155
; %bb.45:
	global_load_ubyte v5, v[1:2], off
	s_movk_i32 s6, 0xff
	v_bfrev_b32_e32 v6, 4
	v_mov_b32_e32 v7, 0x7ff80000
	v_bfrev_b32_e32 v8, 28
	s_mov_b64 s[2:3], -1
	s_mov_b64 s[8:9], 0
	s_waitcnt vmcnt(0)
	v_lshlrev_b32_e32 v3, 23, v5
	v_cvt_f64_f32_e32 v[3:4], v3
	v_cmp_ne_u32_e32 vcc, s6, v5
	v_cndmask_b32_e32 v3, v6, v3, vcc
	v_cndmask_b32_e32 v4, v7, v4, vcc
	v_cmp_ne_u32_e32 vcc, 0, v5
	v_cndmask_b32_e32 v4, v8, v4, vcc
	v_cndmask_b32_e32 v3, 0, v3, vcc
	s_branch .LBB95_156
.LBB95_46:
	s_mov_b64 s[12:13], -1
	s_mov_b64 s[6:7], 0
	s_mov_b64 s[10:11], 0
.LBB95_47:
	s_and_b64 vcc, exec, s[12:13]
	s_cbranch_vccz .LBB95_52
; %bb.48:
	s_cmp_eq_u32 s17, 44
	s_mov_b64 s[6:7], -1
	s_cbranch_scc0 .LBB95_52
; %bb.49:
	v_cndmask_b32_e64 v3, 0, 1.0, s[2:3]
	v_lshrrev_b32_e32 v2, 23, v3
	s_movk_i32 s6, 0xff
	v_cmp_ne_u32_e32 vcc, s6, v2
	v_mov_b32_e32 v4, 0xff
	s_and_saveexec_b64 s[10:11], vcc
; %bb.50:
	s_mov_b32 s6, 0x3fffff
	v_and_b32_e32 v4, 0x400000, v3
	v_and_or_b32 v3, v3, s6, v2
	v_cmp_ne_u32_e32 vcc, 0, v4
	v_cmp_ne_u32_e64 s[6:7], 0, v3
	s_and_b64 s[6:7], vcc, s[6:7]
	v_cndmask_b32_e64 v3, 0, 1, s[6:7]
	v_add_u32_e32 v4, v2, v3
; %bb.51:
	s_or_b64 exec, exec, s[10:11]
	s_mov_b64 s[10:11], -1
	s_mov_b64 s[6:7], 0
	global_store_byte v[0:1], v4, off
.LBB95_52:
	s_mov_b64 s[12:13], 0
.LBB95_53:
	s_and_b64 vcc, exec, s[12:13]
	s_cbranch_vccz .LBB95_56
; %bb.54:
	s_cmp_eq_u32 s17, 29
	s_mov_b64 s[6:7], -1
	s_cbranch_scc0 .LBB95_56
; %bb.55:
	s_mov_b32 s6, 0
	v_cndmask_b32_e64 v2, 0, 1, s[2:3]
	v_mov_b32_e32 v3, s6
	global_store_dwordx2 v[0:1], v[2:3], off
	s_mov_b64 s[10:11], -1
	s_mov_b64 s[6:7], 0
.LBB95_56:
	s_mov_b64 s[12:13], 0
.LBB95_57:
	s_and_b64 vcc, exec, s[12:13]
	s_cbranch_vccz .LBB95_73
; %bb.58:
	s_cmp_lt_i32 s17, 27
	s_mov_b64 s[10:11], -1
	s_cbranch_scc1 .LBB95_64
; %bb.59:
	s_cmp_gt_i32 s17, 27
	s_cbranch_scc0 .LBB95_61
; %bb.60:
	v_cndmask_b32_e64 v2, 0, 1, s[2:3]
	s_mov_b64 s[10:11], 0
	global_store_dword v[0:1], v2, off
.LBB95_61:
	s_andn2_b64 vcc, exec, s[10:11]
	s_cbranch_vccnz .LBB95_63
; %bb.62:
	v_cndmask_b32_e64 v2, 0, 1, s[2:3]
	global_store_short v[0:1], v2, off
.LBB95_63:
	s_mov_b64 s[10:11], 0
.LBB95_64:
	s_andn2_b64 vcc, exec, s[10:11]
	s_cbranch_vccnz .LBB95_72
; %bb.65:
	v_cndmask_b32_e64 v3, 0, 1.0, s[2:3]
	s_mov_b32 s10, 0x43800000
	v_cmp_gt_u32_e32 vcc, s10, v3
	v_mov_b32_e32 v4, 0x80
	s_and_saveexec_b64 s[10:11], vcc
	s_cbranch_execz .LBB95_71
; %bb.66:
	s_mov_b32 s12, 0x3bffffff
	v_cmp_lt_u32_e32 vcc, s12, v3
	s_mov_b64 s[12:13], 0
                                        ; implicit-def: $vgpr2
	s_and_saveexec_b64 s[14:15], vcc
	s_xor_b64 s[14:15], exec, s[14:15]
	s_cbranch_execz .LBB95_307
; %bb.67:
	v_bfe_u32 v2, v3, 20, 1
	s_mov_b32 s18, 0x487ffff
	v_add3_u32 v2, v3, v2, s18
	s_mov_b64 s[12:13], exec
	v_lshrrev_b32_e32 v2, 20, v2
                                        ; implicit-def: $vgpr3
	s_andn2_saveexec_b64 s[14:15], s[14:15]
	s_cbranch_execnz .LBB95_308
.LBB95_68:
	s_or_b64 exec, exec, s[14:15]
	v_mov_b32_e32 v4, 0
	s_and_saveexec_b64 s[14:15], s[12:13]
.LBB95_69:
	v_mov_b32_e32 v4, v2
.LBB95_70:
	s_or_b64 exec, exec, s[14:15]
.LBB95_71:
	s_or_b64 exec, exec, s[10:11]
	global_store_byte v[0:1], v4, off
.LBB95_72:
	s_mov_b64 s[10:11], -1
.LBB95_73:
	s_mov_b64 s[12:13], 0
.LBB95_74:
	s_and_b64 vcc, exec, s[12:13]
	s_cbranch_vccz .LBB95_115
; %bb.75:
	s_cmp_gt_i32 s17, 22
	s_mov_b64 s[12:13], -1
	s_cbranch_scc0 .LBB95_107
; %bb.76:
	s_cmp_lt_i32 s17, 24
	s_mov_b64 s[10:11], -1
	s_cbranch_scc1 .LBB95_96
; %bb.77:
	s_cmp_gt_i32 s17, 24
	s_cbranch_scc0 .LBB95_85
; %bb.78:
	v_cndmask_b32_e64 v3, 0, 1.0, s[2:3]
	s_mov_b32 s10, 0x47800000
	v_cmp_gt_u32_e32 vcc, s10, v3
	v_mov_b32_e32 v4, 0x80
	s_and_saveexec_b64 s[10:11], vcc
	s_cbranch_execz .LBB95_84
; %bb.79:
	s_mov_b32 s12, 0x37ffffff
	v_cmp_lt_u32_e32 vcc, s12, v3
	s_mov_b64 s[12:13], 0
                                        ; implicit-def: $vgpr2
	s_and_saveexec_b64 s[14:15], vcc
	s_xor_b64 s[14:15], exec, s[14:15]
	s_cbranch_execz .LBB95_311
; %bb.80:
	v_bfe_u32 v2, v3, 21, 1
	s_mov_b32 s18, 0x88fffff
	v_add3_u32 v2, v3, v2, s18
	s_mov_b64 s[12:13], exec
	v_lshrrev_b32_e32 v2, 21, v2
                                        ; implicit-def: $vgpr3
	s_andn2_saveexec_b64 s[14:15], s[14:15]
	s_cbranch_execnz .LBB95_312
.LBB95_81:
	s_or_b64 exec, exec, s[14:15]
	v_mov_b32_e32 v4, 0
	s_and_saveexec_b64 s[14:15], s[12:13]
.LBB95_82:
	v_mov_b32_e32 v4, v2
.LBB95_83:
	s_or_b64 exec, exec, s[14:15]
.LBB95_84:
	s_or_b64 exec, exec, s[10:11]
	s_mov_b64 s[10:11], 0
	global_store_byte v[0:1], v4, off
.LBB95_85:
	s_and_b64 vcc, exec, s[10:11]
	s_cbranch_vccz .LBB95_95
; %bb.86:
	v_cndmask_b32_e64 v2, 0, 1.0, s[2:3]
	s_mov_b32 s10, 0x43f00000
	v_cmp_gt_u32_e32 vcc, s10, v2
                                        ; implicit-def: $vgpr3
	s_and_saveexec_b64 s[10:11], vcc
	s_xor_b64 s[10:11], exec, s[10:11]
	s_cbranch_execz .LBB95_92
; %bb.87:
	s_mov_b32 s12, 0x3c7fffff
	v_cmp_lt_u32_e32 vcc, s12, v2
                                        ; implicit-def: $vgpr3
	s_and_saveexec_b64 s[12:13], vcc
	s_xor_b64 s[12:13], exec, s[12:13]
; %bb.88:
	v_bfe_u32 v3, v2, 20, 1
	s_mov_b32 s14, 0x407ffff
	v_add3_u32 v2, v2, v3, s14
	v_lshrrev_b32_e32 v3, 20, v2
	v_and_b32_e32 v2, 0xff00000, v2
	s_mov_b32 s14, 0x7f00000
	v_mov_b32_e32 v4, 0x7e
	v_cmp_ne_u32_e32 vcc, s14, v2
	v_cndmask_b32_e32 v3, v4, v3, vcc
                                        ; implicit-def: $vgpr2
; %bb.89:
	s_andn2_saveexec_b64 s[12:13], s[12:13]
; %bb.90:
	v_add_f32_e32 v3, 0x46800000, v2
; %bb.91:
	s_or_b64 exec, exec, s[12:13]
                                        ; implicit-def: $vgpr2
.LBB95_92:
	s_andn2_saveexec_b64 s[10:11], s[10:11]
; %bb.93:
	s_mov_b32 s12, 0x7f800000
	v_mov_b32_e32 v3, 0x7e
	v_mov_b32_e32 v4, 0x7f
	v_cmp_lt_u32_e32 vcc, s12, v2
	v_cndmask_b32_e32 v3, v3, v4, vcc
; %bb.94:
	s_or_b64 exec, exec, s[10:11]
	global_store_byte v[0:1], v3, off
.LBB95_95:
	s_mov_b64 s[10:11], 0
.LBB95_96:
	s_andn2_b64 vcc, exec, s[10:11]
	s_cbranch_vccnz .LBB95_106
; %bb.97:
	v_cndmask_b32_e64 v2, 0, 1.0, s[2:3]
	s_mov_b32 s10, 0x47800000
	v_cmp_gt_u32_e32 vcc, s10, v2
                                        ; implicit-def: $vgpr3
	s_and_saveexec_b64 s[10:11], vcc
	s_xor_b64 s[10:11], exec, s[10:11]
	s_cbranch_execz .LBB95_103
; %bb.98:
	s_mov_b32 s12, 0x387fffff
	v_cmp_lt_u32_e32 vcc, s12, v2
                                        ; implicit-def: $vgpr3
	s_and_saveexec_b64 s[12:13], vcc
	s_xor_b64 s[12:13], exec, s[12:13]
; %bb.99:
	v_bfe_u32 v3, v2, 21, 1
	s_mov_b32 s14, 0x80fffff
	v_add3_u32 v2, v2, v3, s14
	v_lshrrev_b32_e32 v3, 21, v2
                                        ; implicit-def: $vgpr2
; %bb.100:
	s_andn2_saveexec_b64 s[12:13], s[12:13]
; %bb.101:
	v_add_f32_e32 v3, 0x43000000, v2
; %bb.102:
	s_or_b64 exec, exec, s[12:13]
                                        ; implicit-def: $vgpr2
.LBB95_103:
	s_andn2_saveexec_b64 s[10:11], s[10:11]
; %bb.104:
	s_mov_b32 s12, 0x7f800000
	v_mov_b32_e32 v3, 0x7c
	v_mov_b32_e32 v4, 0x7f
	v_cmp_lt_u32_e32 vcc, s12, v2
	v_cndmask_b32_e32 v3, v3, v4, vcc
; %bb.105:
	s_or_b64 exec, exec, s[10:11]
	global_store_byte v[0:1], v3, off
.LBB95_106:
	s_mov_b64 s[12:13], 0
	s_mov_b64 s[10:11], -1
.LBB95_107:
	s_andn2_b64 vcc, exec, s[12:13]
	s_cbranch_vccnz .LBB95_115
; %bb.108:
	s_cmp_gt_i32 s17, 14
	s_mov_b64 s[12:13], -1
	s_cbranch_scc0 .LBB95_112
; %bb.109:
	s_cmp_eq_u32 s17, 15
	s_mov_b64 s[6:7], -1
	s_cbranch_scc0 .LBB95_111
; %bb.110:
	v_cndmask_b32_e64 v2, 0, 1.0, s[2:3]
	v_bfe_u32 v3, v2, 16, 1
	s_movk_i32 s6, 0x7fff
	v_add3_u32 v2, v2, v3, s6
	global_store_short_d16_hi v[0:1], v2, off
	s_mov_b64 s[10:11], -1
	s_mov_b64 s[6:7], 0
.LBB95_111:
	s_mov_b64 s[12:13], 0
.LBB95_112:
	s_and_b64 vcc, exec, s[12:13]
	s_cbranch_vccz .LBB95_115
; %bb.113:
	s_cmp_eq_u32 s17, 11
	s_mov_b64 s[6:7], -1
	s_cbranch_scc0 .LBB95_115
; %bb.114:
	v_cndmask_b32_e64 v2, 0, 1, s[2:3]
	s_mov_b64 s[10:11], -1
	s_mov_b64 s[6:7], 0
	global_store_byte v[0:1], v2, off
.LBB95_115:
	s_branch .LBB95_34
.LBB95_116:
	s_and_b32 s12, 0xffff, s16
	s_cmp_lt_i32 s12, 5
	s_mov_b64 s[10:11], -1
	s_cbranch_scc1 .LBB95_137
; %bb.117:
	s_cmp_lt_i32 s12, 8
	s_cbranch_scc1 .LBB95_127
; %bb.118:
	s_cmp_lt_i32 s12, 9
	s_cbranch_scc1 .LBB95_124
; %bb.119:
	s_cmp_gt_i32 s12, 9
	s_cbranch_scc0 .LBB95_121
; %bb.120:
	v_cndmask_b32_e64 v2, 0, 1, s[2:3]
	v_cvt_f64_u32_e32 v[2:3], v2
	v_mov_b32_e32 v4, 0
	v_mov_b32_e32 v5, v4
	s_mov_b64 s[10:11], 0
	global_store_dwordx4 v[0:1], v[2:5], off
.LBB95_121:
	s_andn2_b64 vcc, exec, s[10:11]
	s_cbranch_vccnz .LBB95_123
; %bb.122:
	v_cndmask_b32_e64 v2, 0, 1.0, s[2:3]
	v_mov_b32_e32 v3, 0
	global_store_dwordx2 v[0:1], v[2:3], off
.LBB95_123:
	s_mov_b64 s[10:11], 0
.LBB95_124:
	s_andn2_b64 vcc, exec, s[10:11]
	s_cbranch_vccnz .LBB95_126
; %bb.125:
	v_cndmask_b32_e64 v2, 0, 1.0, s[2:3]
	v_cvt_f16_f32_e32 v2, v2
	global_store_dword v[0:1], v2, off
.LBB95_126:
	s_mov_b64 s[10:11], 0
.LBB95_127:
	s_andn2_b64 vcc, exec, s[10:11]
	s_cbranch_vccnz .LBB95_136
; %bb.128:
	s_cmp_lt_i32 s12, 6
	s_mov_b64 s[10:11], -1
	s_cbranch_scc1 .LBB95_134
; %bb.129:
	s_cmp_gt_i32 s12, 6
	s_cbranch_scc0 .LBB95_131
; %bb.130:
	v_cndmask_b32_e64 v2, 0, 1, s[2:3]
	v_cvt_f64_u32_e32 v[2:3], v2
	s_mov_b64 s[10:11], 0
	global_store_dwordx2 v[0:1], v[2:3], off
.LBB95_131:
	s_andn2_b64 vcc, exec, s[10:11]
	s_cbranch_vccnz .LBB95_133
; %bb.132:
	v_cndmask_b32_e64 v2, 0, 1.0, s[2:3]
	global_store_dword v[0:1], v2, off
.LBB95_133:
	s_mov_b64 s[10:11], 0
.LBB95_134:
	s_andn2_b64 vcc, exec, s[10:11]
	s_cbranch_vccnz .LBB95_136
; %bb.135:
	v_cndmask_b32_e64 v2, 0, 1.0, s[2:3]
	v_cvt_f16_f32_e32 v2, v2
	global_store_short v[0:1], v2, off
.LBB95_136:
	s_mov_b64 s[10:11], 0
.LBB95_137:
	s_andn2_b64 vcc, exec, s[10:11]
	s_cbranch_vccnz .LBB95_153
; %bb.138:
	s_cmp_lt_i32 s12, 2
	s_mov_b64 s[10:11], -1
	s_cbranch_scc1 .LBB95_148
; %bb.139:
	s_cmp_lt_i32 s12, 3
	s_cbranch_scc1 .LBB95_145
; %bb.140:
	s_cmp_gt_i32 s12, 3
	s_cbranch_scc0 .LBB95_142
; %bb.141:
	s_mov_b32 s10, 0
	v_cndmask_b32_e64 v2, 0, 1, s[2:3]
	v_mov_b32_e32 v3, s10
	global_store_dwordx2 v[0:1], v[2:3], off
	s_mov_b64 s[10:11], 0
.LBB95_142:
	s_andn2_b64 vcc, exec, s[10:11]
	s_cbranch_vccnz .LBB95_144
; %bb.143:
	v_cndmask_b32_e64 v2, 0, 1, s[2:3]
	global_store_dword v[0:1], v2, off
.LBB95_144:
	s_mov_b64 s[10:11], 0
.LBB95_145:
	s_andn2_b64 vcc, exec, s[10:11]
	s_cbranch_vccnz .LBB95_147
; %bb.146:
	v_cndmask_b32_e64 v2, 0, 1, s[2:3]
	global_store_short v[0:1], v2, off
.LBB95_147:
	s_mov_b64 s[10:11], 0
.LBB95_148:
	s_andn2_b64 vcc, exec, s[10:11]
	s_cbranch_vccnz .LBB95_153
; %bb.149:
	s_cmp_gt_i32 s12, 0
	s_mov_b64 s[10:11], -1
	s_cbranch_scc0 .LBB95_151
; %bb.150:
	v_cndmask_b32_e64 v2, 0, 1, s[2:3]
	global_store_byte v[0:1], v2, off
	s_mov_b64 s[10:11], 0
.LBB95_151:
	s_andn2_b64 vcc, exec, s[10:11]
	s_cbranch_vccnz .LBB95_153
; %bb.152:
	v_cndmask_b32_e64 v2, 0, 1, s[2:3]
	global_store_byte v[0:1], v2, off
.LBB95_153:
.LBB95_154:
	v_add_u32_e32 v11, 0x80, v11
	s_mov_b64 s[2:3], -1
	s_branch .LBB95_265
.LBB95_155:
	s_mov_b64 s[8:9], -1
                                        ; implicit-def: $vgpr3_vgpr4
.LBB95_156:
	s_mov_b64 s[6:7], 0
.LBB95_157:
	s_and_b64 vcc, exec, s[6:7]
	s_cbranch_vccz .LBB95_161
; %bb.158:
	s_cmp_eq_u32 s12, 29
	s_cbranch_scc0 .LBB95_160
; %bb.159:
	global_load_dwordx2 v[3:4], v[1:2], off
	s_mov_b64 s[2:3], -1
	s_mov_b64 s[8:9], 0
	s_mov_b64 s[6:7], 0
	s_waitcnt vmcnt(0)
	v_cvt_f64_u32_e32 v[4:5], v4
	v_cvt_f64_u32_e32 v[6:7], v3
	v_ldexp_f64 v[4:5], v[4:5], 32
	v_add_f64 v[3:4], v[4:5], v[6:7]
	s_branch .LBB95_162
.LBB95_160:
	s_mov_b64 s[8:9], -1
                                        ; implicit-def: $vgpr3_vgpr4
.LBB95_161:
	s_mov_b64 s[6:7], 0
.LBB95_162:
	s_and_b64 vcc, exec, s[6:7]
	s_cbranch_vccz .LBB95_182
; %bb.163:
	s_cmp_lt_i32 s12, 27
	s_cbranch_scc1 .LBB95_166
; %bb.164:
	s_cmp_gt_i32 s12, 27
	s_cbranch_scc0 .LBB95_167
; %bb.165:
	global_load_dword v3, v[1:2], off
	s_mov_b64 s[2:3], 0
	s_waitcnt vmcnt(0)
	v_cvt_f64_u32_e32 v[3:4], v3
	s_branch .LBB95_168
.LBB95_166:
	s_mov_b64 s[2:3], -1
                                        ; implicit-def: $vgpr3_vgpr4
	s_branch .LBB95_171
.LBB95_167:
	s_mov_b64 s[2:3], -1
                                        ; implicit-def: $vgpr3_vgpr4
.LBB95_168:
	s_andn2_b64 vcc, exec, s[2:3]
	s_cbranch_vccnz .LBB95_170
; %bb.169:
	global_load_ushort v3, v[1:2], off
	s_waitcnt vmcnt(0)
	v_cvt_f64_u32_e32 v[3:4], v3
.LBB95_170:
	s_mov_b64 s[2:3], 0
.LBB95_171:
	s_andn2_b64 vcc, exec, s[2:3]
	s_cbranch_vccnz .LBB95_181
; %bb.172:
	global_load_ubyte v5, v[1:2], off
	s_movk_i32 s2, 0x7f
	s_waitcnt vmcnt(0)
	v_cmp_lt_i16_e32 vcc, s2, v5
	s_mov_b64 s[2:3], 0
	s_and_saveexec_b64 s[6:7], vcc
	s_xor_b64 s[6:7], exec, s[6:7]
	s_cbranch_execz .LBB95_176
; %bb.173:
	s_movk_i32 s2, 0x80
	v_cmp_eq_u16_e32 vcc, s2, v5
	s_mov_b64 s[2:3], -1
	s_and_saveexec_b64 s[10:11], vcc
; %bb.174:
	s_xor_b64 s[2:3], exec, -1
; %bb.175:
	s_or_b64 exec, exec, s[10:11]
	s_and_b64 s[2:3], s[2:3], exec
.LBB95_176:
	s_or_saveexec_b64 s[6:7], s[6:7]
	v_bfrev_b32_e32 v3, 4
	v_mov_b32_e32 v4, 0x7ff80000
	s_xor_b64 exec, exec, s[6:7]
; %bb.177:
	v_cmp_ne_u16_e32 vcc, 0, v5
	v_mov_b32_e32 v3, 0
	s_andn2_b64 s[2:3], s[2:3], exec
	s_and_b64 s[10:11], vcc, exec
	v_mov_b32_e32 v4, 0
	s_or_b64 s[2:3], s[2:3], s[10:11]
; %bb.178:
	s_or_b64 exec, exec, s[6:7]
	s_and_saveexec_b64 s[6:7], s[2:3]
	s_cbranch_execz .LBB95_180
; %bb.179:
	v_and_b32_e32 v4, 0xffff, v5
	v_lshlrev_b32_e32 v3, 24, v5
	v_and_b32_e32 v5, 7, v4
	v_ffbh_u32_e32 v7, v5
	v_min_u32_e32 v7, 32, v7
	v_subrev_u32_e32 v8, 28, v7
	v_bfe_u32 v6, v4, 3, 4
	v_lshlrev_b32_e32 v4, v8, v4
	v_sub_u32_e32 v7, 29, v7
	v_and_b32_e32 v4, 7, v4
	v_cmp_eq_u32_e32 vcc, 0, v6
	v_cndmask_b32_e32 v6, v6, v7, vcc
	v_cndmask_b32_e32 v4, v5, v4, vcc
	v_mov_b32_e32 v5, 0x3b800000
	v_lshlrev_b32_e32 v4, 20, v4
	v_and_b32_e32 v3, 0x80000000, v3
	v_lshl_add_u32 v5, v6, 23, v5
	v_or3_b32 v3, v3, v5, v4
	v_cvt_f64_f32_e32 v[3:4], v3
.LBB95_180:
	s_or_b64 exec, exec, s[6:7]
.LBB95_181:
	s_mov_b64 s[2:3], -1
.LBB95_182:
	s_branch .LBB95_215
.LBB95_183:
	s_cmp_gt_i32 s12, 22
	s_cbranch_scc0 .LBB95_195
; %bb.184:
	s_cmp_lt_i32 s12, 24
	s_cbranch_scc1 .LBB95_196
; %bb.185:
	s_cmp_gt_i32 s12, 24
	s_cbranch_scc0 .LBB95_197
; %bb.186:
	global_load_ubyte v5, v[1:2], off
	s_movk_i32 s2, 0x7f
	s_waitcnt vmcnt(0)
	v_cmp_lt_i16_e32 vcc, s2, v5
	s_mov_b64 s[2:3], 0
	s_and_saveexec_b64 s[6:7], vcc
	s_xor_b64 s[6:7], exec, s[6:7]
	s_cbranch_execz .LBB95_190
; %bb.187:
	s_movk_i32 s2, 0x80
	v_cmp_eq_u16_e32 vcc, s2, v5
	s_mov_b64 s[2:3], -1
	s_and_saveexec_b64 s[10:11], vcc
; %bb.188:
	s_xor_b64 s[2:3], exec, -1
; %bb.189:
	s_or_b64 exec, exec, s[10:11]
	s_and_b64 s[2:3], s[2:3], exec
.LBB95_190:
	s_or_saveexec_b64 s[6:7], s[6:7]
	v_bfrev_b32_e32 v3, 4
	v_mov_b32_e32 v4, 0x7ff80000
	s_xor_b64 exec, exec, s[6:7]
; %bb.191:
	v_cmp_ne_u16_e32 vcc, 0, v5
	v_mov_b32_e32 v3, 0
	s_andn2_b64 s[2:3], s[2:3], exec
	s_and_b64 s[10:11], vcc, exec
	v_mov_b32_e32 v4, 0
	s_or_b64 s[2:3], s[2:3], s[10:11]
; %bb.192:
	s_or_b64 exec, exec, s[6:7]
	s_and_saveexec_b64 s[6:7], s[2:3]
	s_cbranch_execz .LBB95_194
; %bb.193:
	v_and_b32_e32 v4, 0xffff, v5
	v_lshlrev_b32_e32 v3, 24, v5
	v_and_b32_e32 v5, 3, v4
	v_ffbh_u32_e32 v7, v5
	v_min_u32_e32 v7, 32, v7
	v_subrev_u32_e32 v8, 29, v7
	v_bfe_u32 v6, v4, 2, 5
	v_lshlrev_b32_e32 v4, v8, v4
	v_sub_u32_e32 v7, 30, v7
	v_and_b32_e32 v4, 3, v4
	v_cmp_eq_u32_e32 vcc, 0, v6
	v_cndmask_b32_e32 v6, v6, v7, vcc
	v_cndmask_b32_e32 v4, v5, v4, vcc
	v_mov_b32_e32 v5, 0x37800000
	v_lshlrev_b32_e32 v4, 21, v4
	v_and_b32_e32 v3, 0x80000000, v3
	v_lshl_add_u32 v5, v6, 23, v5
	v_or3_b32 v3, v3, v5, v4
	v_cvt_f64_f32_e32 v[3:4], v3
.LBB95_194:
	s_or_b64 exec, exec, s[6:7]
	s_mov_b64 s[2:3], 0
	s_branch .LBB95_198
.LBB95_195:
	s_mov_b64 s[6:7], -1
                                        ; implicit-def: $vgpr3_vgpr4
	s_branch .LBB95_204
.LBB95_196:
	s_mov_b64 s[2:3], -1
                                        ; implicit-def: $vgpr3_vgpr4
	s_branch .LBB95_201
.LBB95_197:
	s_mov_b64 s[2:3], -1
                                        ; implicit-def: $vgpr3_vgpr4
.LBB95_198:
	s_and_b64 vcc, exec, s[2:3]
	s_cbranch_vccz .LBB95_200
; %bb.199:
	global_load_ubyte v3, v[1:2], off
	s_mov_b32 s2, 0x7f800000
	s_waitcnt vmcnt(0)
	v_lshlrev_b32_e32 v3, 24, v3
	v_and_b32_e32 v4, 0x7f000000, v3
	v_ffbh_u32_e32 v5, v4
	v_min_u32_e32 v5, 32, v5
	v_sub_u32_e64 v5, v5, 4 clamp
	v_lshlrev_b32_e32 v7, v5, v4
	v_lshlrev_b32_e32 v5, 23, v5
	v_lshrrev_b32_e32 v7, 4, v7
	v_add_u32_e32 v6, 0x1000000, v4
	v_sub_u32_e32 v5, v7, v5
	v_ashrrev_i32_e32 v6, 8, v6
	v_add_u32_e32 v5, 0x3c000000, v5
	v_and_or_b32 v5, v6, s2, v5
	v_cmp_ne_u32_e32 vcc, 0, v4
	v_cndmask_b32_e32 v4, 0, v5, vcc
	s_brev_b32 s2, 1
	v_and_or_b32 v3, v3, s2, v4
	v_cvt_f64_f32_e32 v[3:4], v3
.LBB95_200:
	s_mov_b64 s[2:3], 0
.LBB95_201:
	s_andn2_b64 vcc, exec, s[2:3]
	s_cbranch_vccnz .LBB95_203
; %bb.202:
	global_load_ubyte v3, v[1:2], off
	s_movk_i32 s2, 0x7f00
	s_brev_b32 s3, 16
	s_waitcnt vmcnt(0)
	v_lshlrev_b16_e32 v4, 8, v3
	v_lshlrev_b32_e32 v3, 25, v3
	v_lshrrev_b32_e32 v5, 4, v3
	v_and_or_b32 v6, v4, s2, 0.5
	v_or_b32_e32 v5, 0x70000000, v5
	v_add_f32_e32 v6, -0.5, v6
	v_mul_f32_e32 v5, 0x7800000, v5
	v_cmp_gt_u32_e32 vcc, s3, v3
	v_bfe_i32 v4, v4, 0, 16
	v_cndmask_b32_e32 v3, v5, v6, vcc
	s_brev_b32 s2, 1
	v_and_or_b32 v3, v4, s2, v3
	v_cvt_f64_f32_e32 v[3:4], v3
.LBB95_203:
	s_mov_b64 s[6:7], 0
	s_mov_b64 s[2:3], -1
.LBB95_204:
	s_andn2_b64 vcc, exec, s[6:7]
	s_cbranch_vccnz .LBB95_215
; %bb.205:
	s_cmp_gt_i32 s12, 14
	s_cbranch_scc0 .LBB95_208
; %bb.206:
	s_cmp_eq_u32 s12, 15
	s_cbranch_scc0 .LBB95_209
; %bb.207:
	global_load_ushort v3, v[1:2], off
	s_mov_b64 s[2:3], -1
	s_mov_b64 s[8:9], 0
	s_waitcnt vmcnt(0)
	v_lshlrev_b32_e32 v3, 16, v3
	v_cvt_f64_f32_e32 v[3:4], v3
	s_branch .LBB95_210
.LBB95_208:
	s_mov_b64 s[6:7], -1
                                        ; implicit-def: $vgpr3_vgpr4
	s_branch .LBB95_211
.LBB95_209:
	s_mov_b64 s[8:9], -1
                                        ; implicit-def: $vgpr3_vgpr4
.LBB95_210:
	s_mov_b64 s[6:7], 0
.LBB95_211:
	s_and_b64 vcc, exec, s[6:7]
	s_cbranch_vccz .LBB95_215
; %bb.212:
	s_cmp_eq_u32 s12, 11
	s_cbranch_scc0 .LBB95_214
; %bb.213:
	global_load_ubyte v4, v[1:2], off
	v_mov_b32_e32 v5, 0x3ff00000
	v_mov_b32_e32 v3, 0
	s_mov_b64 s[2:3], -1
	s_mov_b64 s[8:9], 0
	s_waitcnt vmcnt(0)
	v_cmp_ne_u16_e32 vcc, 0, v4
	v_cndmask_b32_e32 v4, 0, v5, vcc
	s_branch .LBB95_215
.LBB95_214:
	s_mov_b64 s[8:9], -1
                                        ; implicit-def: $vgpr3_vgpr4
.LBB95_215:
	s_branch .LBB95_24
.LBB95_216:
	s_cmp_lt_i32 s12, 5
	s_cbranch_scc1 .LBB95_221
; %bb.217:
	s_cmp_lt_i32 s12, 8
	s_cbranch_scc1 .LBB95_222
; %bb.218:
	;; [unrolled: 3-line block ×3, first 2 shown]
	s_cmp_gt_i32 s12, 9
	s_cbranch_scc0 .LBB95_224
; %bb.220:
	global_load_dwordx2 v[3:4], v[1:2], off
	s_mov_b64 s[2:3], 0
	s_branch .LBB95_225
.LBB95_221:
                                        ; implicit-def: $vgpr3_vgpr4
	s_branch .LBB95_243
.LBB95_222:
	s_mov_b64 s[2:3], -1
                                        ; implicit-def: $vgpr3_vgpr4
	s_branch .LBB95_231
.LBB95_223:
	s_mov_b64 s[2:3], -1
                                        ; implicit-def: $vgpr3_vgpr4
	s_branch .LBB95_228
.LBB95_224:
	s_mov_b64 s[2:3], -1
                                        ; implicit-def: $vgpr3_vgpr4
.LBB95_225:
	s_andn2_b64 vcc, exec, s[2:3]
	s_cbranch_vccnz .LBB95_227
; %bb.226:
	global_load_dword v3, v[1:2], off
	s_waitcnt vmcnt(0)
	v_cvt_f64_f32_e32 v[3:4], v3
.LBB95_227:
	s_mov_b64 s[2:3], 0
.LBB95_228:
	s_andn2_b64 vcc, exec, s[2:3]
	s_cbranch_vccnz .LBB95_230
; %bb.229:
	global_load_dword v3, v[1:2], off
	s_waitcnt vmcnt(0)
	v_cvt_f32_f16_e32 v3, v3
	v_cvt_f64_f32_e32 v[3:4], v3
.LBB95_230:
	s_mov_b64 s[2:3], 0
.LBB95_231:
	s_andn2_b64 vcc, exec, s[2:3]
	s_cbranch_vccnz .LBB95_242
; %bb.232:
	s_cmp_lt_i32 s12, 6
	s_cbranch_scc1 .LBB95_235
; %bb.233:
	s_cmp_gt_i32 s12, 6
	s_cbranch_scc0 .LBB95_236
; %bb.234:
	global_load_dwordx2 v[3:4], v[1:2], off
	s_mov_b64 s[2:3], 0
	s_branch .LBB95_237
.LBB95_235:
	s_mov_b64 s[2:3], -1
                                        ; implicit-def: $vgpr3_vgpr4
	s_branch .LBB95_240
.LBB95_236:
	s_mov_b64 s[2:3], -1
                                        ; implicit-def: $vgpr3_vgpr4
.LBB95_237:
	s_andn2_b64 vcc, exec, s[2:3]
	s_cbranch_vccnz .LBB95_239
; %bb.238:
	global_load_dword v3, v[1:2], off
	s_waitcnt vmcnt(0)
	v_cvt_f64_f32_e32 v[3:4], v3
.LBB95_239:
	s_mov_b64 s[2:3], 0
.LBB95_240:
	s_andn2_b64 vcc, exec, s[2:3]
	s_cbranch_vccnz .LBB95_242
; %bb.241:
	global_load_ushort v3, v[1:2], off
	s_waitcnt vmcnt(0)
	v_cvt_f32_f16_e32 v3, v3
	v_cvt_f64_f32_e32 v[3:4], v3
.LBB95_242:
	s_cbranch_execnz .LBB95_262
.LBB95_243:
	s_cmp_lt_i32 s12, 2
	s_cbranch_scc1 .LBB95_247
; %bb.244:
	s_cmp_lt_i32 s12, 3
	s_cbranch_scc1 .LBB95_248
; %bb.245:
	s_cmp_gt_i32 s12, 3
	s_cbranch_scc0 .LBB95_249
; %bb.246:
	global_load_dwordx2 v[3:4], v[1:2], off
	s_mov_b64 s[2:3], 0
	s_waitcnt vmcnt(0)
	v_cvt_f64_i32_e32 v[4:5], v4
	v_cvt_f64_u32_e32 v[6:7], v3
	v_ldexp_f64 v[4:5], v[4:5], 32
	v_add_f64 v[3:4], v[4:5], v[6:7]
	s_branch .LBB95_250
.LBB95_247:
	s_mov_b64 s[2:3], -1
                                        ; implicit-def: $vgpr3_vgpr4
	s_branch .LBB95_256
.LBB95_248:
	s_mov_b64 s[2:3], -1
                                        ; implicit-def: $vgpr3_vgpr4
	s_branch .LBB95_253
.LBB95_249:
	s_mov_b64 s[2:3], -1
                                        ; implicit-def: $vgpr3_vgpr4
.LBB95_250:
	s_andn2_b64 vcc, exec, s[2:3]
	s_cbranch_vccnz .LBB95_252
; %bb.251:
	global_load_dword v3, v[1:2], off
	s_waitcnt vmcnt(0)
	v_cvt_f64_i32_e32 v[3:4], v3
.LBB95_252:
	s_mov_b64 s[2:3], 0
.LBB95_253:
	s_andn2_b64 vcc, exec, s[2:3]
	s_cbranch_vccnz .LBB95_255
; %bb.254:
	global_load_sshort v3, v[1:2], off
	s_waitcnt vmcnt(0)
	v_cvt_f64_i32_e32 v[3:4], v3
.LBB95_255:
	s_mov_b64 s[2:3], 0
.LBB95_256:
	s_andn2_b64 vcc, exec, s[2:3]
	s_cbranch_vccnz .LBB95_262
; %bb.257:
	s_cmp_gt_i32 s12, 0
	s_cbranch_scc0 .LBB95_259
; %bb.258:
	global_load_sbyte v3, v[1:2], off
	s_mov_b64 s[2:3], 0
	s_waitcnt vmcnt(0)
	v_cvt_f64_i32_e32 v[3:4], v3
	s_branch .LBB95_260
.LBB95_259:
	s_mov_b64 s[2:3], -1
                                        ; implicit-def: $vgpr3_vgpr4
.LBB95_260:
	s_andn2_b64 vcc, exec, s[2:3]
	s_cbranch_vccnz .LBB95_262
; %bb.261:
	global_load_ubyte v1, v[1:2], off
	s_waitcnt vmcnt(0)
	v_cvt_f64_u32_e32 v[3:4], v1
.LBB95_262:
	s_branch .LBB95_25
.LBB95_263:
	s_mov_b64 s[6:7], 0
.LBB95_264:
	s_mov_b64 s[2:3], 0
                                        ; implicit-def: $vgpr11
.LBB95_265:
	s_and_b64 s[60:61], s[6:7], exec
	s_and_b64 s[62:63], s[8:9], exec
	s_orn2_b64 s[2:3], s[2:3], exec
.LBB95_266:
	s_or_b64 exec, exec, s[64:65]
	s_mov_b64 s[8:9], 0
	s_mov_b64 s[10:11], 0
                                        ; implicit-def: $vgpr1_vgpr2
                                        ; implicit-def: $vgpr0
                                        ; implicit-def: $vgpr3_vgpr4
	s_and_saveexec_b64 s[64:65], s[2:3]
	s_cbranch_execz .LBB95_273
; %bb.267:
	v_cmp_gt_i32_e32 vcc, s74, v11
	s_mov_b64 s[2:3], -1
	s_mov_b64 s[66:67], s[62:63]
	s_mov_b64 s[68:69], s[60:61]
	s_and_saveexec_b64 s[70:71], vcc
	s_cbranch_execz .LBB95_542
; %bb.268:
	s_andn2_b64 vcc, exec, s[46:47]
	s_cbranch_vccnz .LBB95_276
; %bb.269:
	s_andn2_b64 vcc, exec, s[58:59]
	s_cbranch_vccnz .LBB95_277
; %bb.270:
	s_add_i32 s67, s79, 1
	s_cmp_eq_u32 s76, 2
	s_cbranch_scc1 .LBB95_278
; %bb.271:
	s_and_b32 s66, s67, 28
	v_mov_b32_e32 v2, 0
	s_mov_b32 s68, 0
	s_mov_b64 s[2:3], s[34:35]
	s_mov_b64 s[6:7], s[56:57]
	v_mov_b32_e32 v0, 0
	v_mov_b32_e32 v1, v11
.LBB95_272:                             ; =>This Inner Loop Header: Depth=1
	s_load_dwordx8 s[16:23], s[2:3], 0x4
	s_load_dwordx4 s[40:43], s[2:3], 0x24
	s_load_dwordx8 s[8:15], s[6:7], 0x0
	s_add_u32 s2, s2, 48
	s_addc_u32 s3, s3, 0
	s_waitcnt vmcnt(0) lgkmcnt(0)
	v_mul_hi_u32 v3, s17, v1
	s_add_i32 s68, s68, 4
	s_add_u32 s6, s6, 32
	s_addc_u32 s7, s7, 0
	v_add_u32_e32 v3, v1, v3
	v_lshrrev_b32_e32 v3, s18, v3
	v_mul_lo_u32 v4, v3, s16
	v_mul_hi_u32 v5, s20, v3
	s_cmp_eq_u32 s66, s68
	v_sub_u32_e32 v1, v1, v4
	v_add_u32_e32 v4, v3, v5
	v_mul_lo_u32 v5, v1, s8
	v_mul_lo_u32 v6, v1, s9
	v_lshrrev_b32_e32 v1, s21, v4
	v_mul_lo_u32 v4, v1, s19
	v_mul_hi_u32 v7, s23, v1
	v_sub_u32_e32 v3, v3, v4
	v_add_u32_e32 v4, v1, v7
	v_lshrrev_b32_e32 v4, s40, v4
	v_mul_hi_u32 v8, s42, v4
	v_mul_lo_u32 v9, v4, s22
	v_mul_lo_u32 v7, v3, s10
	;; [unrolled: 1-line block ×3, first 2 shown]
	v_sub_u32_e32 v9, v1, v9
	v_add_u32_e32 v1, v4, v8
	v_lshrrev_b32_e32 v1, s43, v1
	v_mul_lo_u32 v8, v1, s41
	v_mul_lo_u32 v10, v9, s12
	;; [unrolled: 1-line block ×3, first 2 shown]
	v_add3_u32 v0, v5, v0, v7
	v_sub_u32_e32 v4, v4, v8
	v_mul_lo_u32 v8, v4, s14
	v_mul_lo_u32 v4, v4, s15
	v_add3_u32 v2, v6, v2, v3
	v_add3_u32 v0, v10, v0, v8
	;; [unrolled: 1-line block ×3, first 2 shown]
	s_cbranch_scc0 .LBB95_272
	s_branch .LBB95_279
.LBB95_273:
	s_or_b64 exec, exec, s[64:65]
	s_mov_b64 s[2:3], 0
	s_and_saveexec_b64 s[6:7], s[62:63]
	s_cbranch_execnz .LBB95_918
.LBB95_274:
	s_or_b64 exec, exec, s[6:7]
	s_and_saveexec_b64 s[6:7], s[68:69]
	s_xor_b64 s[6:7], exec, s[6:7]
	s_cbranch_execz .LBB95_919
.LBB95_275:
	global_load_ubyte v4, v[1:2], off
	v_mov_b32_e32 v5, 0x3ff00000
	s_waitcnt vmcnt(1)
	v_mov_b32_e32 v3, 0
	s_or_b64 s[10:11], s[10:11], exec
	s_waitcnt vmcnt(0)
	v_cmp_ne_u16_e32 vcc, 0, v4
	v_cndmask_b32_e32 v4, 0, v5, vcc
	s_or_b64 exec, exec, s[6:7]
	s_and_saveexec_b64 s[6:7], s[8:9]
	s_cbranch_execz .LBB95_965
	s_branch .LBB95_920
.LBB95_276:
                                        ; implicit-def: $vgpr0
                                        ; implicit-def: $vgpr2
	s_andn2_b64 vcc, exec, s[2:3]
	s_cbranch_vccz .LBB95_283
	s_branch .LBB95_285
.LBB95_277:
	v_mov_b32_e32 v0, 0
	v_mov_b32_e32 v2, 0
	s_branch .LBB95_282
.LBB95_278:
	s_mov_b32 s66, 0
	v_mov_b32_e32 v0, 0
	v_mov_b32_e32 v2, 0
	;; [unrolled: 1-line block ×3, first 2 shown]
.LBB95_279:
	s_and_b32 s8, s67, 3
	s_cmp_eq_u32 s8, 0
	s_cbranch_scc1 .LBB95_282
; %bb.280:
	s_lshl_b32 s2, s66, 3
	s_add_u32 s2, s34, s2
	s_addc_u32 s3, s35, 0
	s_add_u32 s2, s2, 0xc4
	s_addc_u32 s3, s3, 0
	s_mul_i32 s6, s66, 12
	s_add_u32 s6, s34, s6
	s_addc_u32 s7, s35, 0
.LBB95_281:                             ; =>This Inner Loop Header: Depth=1
	s_load_dwordx2 s[10:11], s[6:7], 0x4
	s_load_dword s9, s[6:7], 0xc
	s_load_dwordx2 s[12:13], s[2:3], 0x0
	s_add_u32 s6, s6, 12
	s_addc_u32 s7, s7, 0
	s_waitcnt vmcnt(0) lgkmcnt(0)
	v_mul_hi_u32 v3, s11, v1
	s_add_u32 s2, s2, 8
	s_addc_u32 s3, s3, 0
	s_add_i32 s8, s8, -1
	v_add_u32_e32 v3, v1, v3
	v_lshrrev_b32_e32 v4, s9, v3
	v_mul_lo_u32 v3, v4, s10
	s_cmp_lg_u32 s8, 0
	v_sub_u32_e32 v3, v1, v3
	v_mad_u64_u32 v[0:1], s[10:11], v3, s12, v[0:1]
	v_mad_u64_u32 v[2:3], s[10:11], v3, s13, v[2:3]
	v_mov_b32_e32 v1, v4
	s_cbranch_scc1 .LBB95_281
.LBB95_282:
	s_cbranch_execnz .LBB95_285
.LBB95_283:
	v_mul_hi_u32 v0, s29, v11
	s_andn2_b64 vcc, exec, s[54:55]
	v_add_u32_e32 v0, v11, v0
	v_lshrrev_b32_e32 v1, s30, v0
	v_mul_lo_u32 v0, v1, s28
	v_sub_u32_e32 v2, v11, v0
	v_mul_lo_u32 v0, v2, s36
	v_mul_lo_u32 v2, v2, s37
	s_cbranch_vccnz .LBB95_285
; %bb.284:
	s_waitcnt vmcnt(0)
	v_mul_hi_u32 v3, s52, v1
	v_add_u32_e32 v3, v1, v3
	v_lshrrev_b32_e32 v3, s53, v3
	v_mul_lo_u32 v3, v3, s31
	v_sub_u32_e32 v3, v1, v3
	v_mad_u64_u32 v[0:1], s[2:3], v3, s38, v[0:1]
	v_mad_u64_u32 v[2:3], s[2:3], v3, s39, v[2:3]
.LBB95_285:
	s_waitcnt vmcnt(0)
	v_mov_b32_e32 v3, s27
	s_and_b32 s12, 0xffff, s78
	v_add_co_u32_e32 v1, vcc, s26, v2
	s_cmp_lt_i32 s12, 11
	v_addc_co_u32_e32 v2, vcc, 0, v3, vcc
	s_cbranch_scc1 .LBB95_292
; %bb.286:
	s_cmp_gt_i32 s12, 25
	s_cbranch_scc0 .LBB95_301
; %bb.287:
	s_cmp_gt_i32 s12, 28
	s_cbranch_scc0 .LBB95_303
	;; [unrolled: 3-line block ×4, first 2 shown]
; %bb.290:
	s_cmp_eq_u32 s12, 46
	s_mov_b64 s[6:7], 0
	s_cbranch_scc0 .LBB95_313
; %bb.291:
	global_load_dword v3, v[1:2], off
	s_mov_b64 s[2:3], -1
	s_mov_b64 s[8:9], 0
	s_waitcnt vmcnt(0)
	v_lshlrev_b32_e32 v3, 16, v3
	v_cvt_f64_f32_e32 v[3:4], v3
	s_branch .LBB95_314
.LBB95_292:
	s_mov_b64 s[2:3], 0
                                        ; implicit-def: $vgpr3_vgpr4
	s_mov_b64 s[8:9], s[62:63]
	s_cbranch_execnz .LBB95_491
.LBB95_293:
	s_andn2_b64 vcc, exec, s[2:3]
	s_cbranch_vccnz .LBB95_539
.LBB95_294:
	s_waitcnt vmcnt(0)
	v_cmp_eq_f64_e32 vcc, s[50:51], v[3:4]
	s_and_b32 s16, s77, 0xff
	s_cmp_lt_i32 s16, 11
	v_cndmask_b32_e64 v1, 0, 1, vcc
	v_cmp_neq_f64_e32 vcc, s[50:51], v[3:4]
	v_cndmask_b32_e64 v2, 0, 1, vcc
	v_cndmask_b32_e64 v1, v2, v1, s[0:1]
	v_and_b32_e32 v1, 1, v1
	v_cmp_eq_u32_e64 s[2:3], 1, v1
	v_mov_b32_e32 v1, s25
	v_add_co_u32_e32 v0, vcc, s24, v0
	v_addc_co_u32_e32 v1, vcc, 0, v1, vcc
	s_cbranch_scc1 .LBB95_302
; %bb.295:
	s_and_b32 s17, 0xffff, s16
	s_cmp_gt_i32 s17, 25
	s_cbranch_scc0 .LBB95_304
; %bb.296:
	s_cmp_gt_i32 s17, 28
	s_cbranch_scc0 .LBB95_306
; %bb.297:
	;; [unrolled: 3-line block ×4, first 2 shown]
	s_mov_b64 s[12:13], 0
	s_mov_b64 s[6:7], -1
	s_cmp_eq_u32 s17, 46
	s_mov_b64 s[10:11], 0
	s_cbranch_scc0 .LBB95_318
; %bb.300:
	v_cndmask_b32_e64 v2, 0, 1.0, s[2:3]
	v_bfe_u32 v3, v2, 16, 1
	s_movk_i32 s6, 0x7fff
	v_add3_u32 v2, v2, v3, s6
	v_lshrrev_b32_e32 v2, 16, v2
	global_store_dword v[0:1], v2, off
	s_mov_b64 s[10:11], -1
	s_mov_b64 s[6:7], 0
	s_branch .LBB95_318
.LBB95_301:
	s_mov_b64 s[6:7], -1
	s_mov_b64 s[2:3], 0
	s_mov_b64 s[8:9], s[62:63]
                                        ; implicit-def: $vgpr3_vgpr4
	s_branch .LBB95_457
.LBB95_302:
	s_mov_b64 s[12:13], -1
	s_mov_b64 s[10:11], 0
	s_mov_b64 s[6:7], s[60:61]
	s_branch .LBB95_387
.LBB95_303:
	s_mov_b64 s[6:7], -1
	s_mov_b64 s[2:3], 0
	s_mov_b64 s[8:9], s[62:63]
                                        ; implicit-def: $vgpr3_vgpr4
	s_branch .LBB95_436
.LBB95_304:
	s_mov_b64 s[12:13], -1
	s_mov_b64 s[10:11], 0
	s_mov_b64 s[6:7], s[60:61]
	s_branch .LBB95_345
.LBB95_305:
	s_mov_b64 s[6:7], -1
	s_mov_b64 s[2:3], 0
	s_mov_b64 s[8:9], s[62:63]
                                        ; implicit-def: $vgpr3_vgpr4
	s_branch .LBB95_431
.LBB95_306:
	s_mov_b64 s[12:13], -1
	s_mov_b64 s[10:11], 0
	s_mov_b64 s[6:7], s[60:61]
	s_branch .LBB95_328
.LBB95_307:
	s_andn2_saveexec_b64 s[14:15], s[14:15]
	s_cbranch_execz .LBB95_68
.LBB95_308:
	v_add_f32_e32 v2, 0x46000000, v3
	v_and_b32_e32 v2, 0xff, v2
	v_cmp_ne_u32_e32 vcc, 0, v2
	s_andn2_b64 s[12:13], s[12:13], exec
	s_and_b64 s[18:19], vcc, exec
	s_or_b64 s[12:13], s[12:13], s[18:19]
	s_or_b64 exec, exec, s[14:15]
	v_mov_b32_e32 v4, 0
	s_and_saveexec_b64 s[14:15], s[12:13]
	s_cbranch_execnz .LBB95_69
	s_branch .LBB95_70
.LBB95_309:
	s_mov_b64 s[6:7], -1
	s_mov_b64 s[2:3], 0
	s_mov_b64 s[8:9], s[62:63]
                                        ; implicit-def: $vgpr3_vgpr4
	s_branch .LBB95_314
.LBB95_310:
	s_mov_b64 s[12:13], -1
	s_mov_b64 s[10:11], 0
	s_mov_b64 s[6:7], s[60:61]
	s_branch .LBB95_324
.LBB95_311:
	s_andn2_saveexec_b64 s[14:15], s[14:15]
	s_cbranch_execz .LBB95_81
.LBB95_312:
	v_add_f32_e32 v2, 0x42800000, v3
	v_and_b32_e32 v2, 0xff, v2
	v_cmp_ne_u32_e32 vcc, 0, v2
	s_andn2_b64 s[12:13], s[12:13], exec
	s_and_b64 s[18:19], vcc, exec
	s_or_b64 s[12:13], s[12:13], s[18:19]
	s_or_b64 exec, exec, s[14:15]
	v_mov_b32_e32 v4, 0
	s_and_saveexec_b64 s[14:15], s[12:13]
	s_cbranch_execnz .LBB95_82
	s_branch .LBB95_83
.LBB95_313:
	s_mov_b64 s[8:9], -1
                                        ; implicit-def: $vgpr3_vgpr4
	s_mov_b64 s[2:3], 0
.LBB95_314:
	s_and_b64 vcc, exec, s[6:7]
	s_cbranch_vccz .LBB95_430
; %bb.315:
	s_cmp_eq_u32 s12, 44
	s_cbranch_scc0 .LBB95_429
; %bb.316:
	global_load_ubyte v5, v[1:2], off
	s_movk_i32 s6, 0xff
	v_bfrev_b32_e32 v6, 4
	v_mov_b32_e32 v7, 0x7ff80000
	v_bfrev_b32_e32 v8, 28
	s_mov_b64 s[2:3], -1
	s_mov_b64 s[8:9], 0
	s_waitcnt vmcnt(0)
	v_lshlrev_b32_e32 v3, 23, v5
	v_cvt_f64_f32_e32 v[3:4], v3
	v_cmp_ne_u32_e32 vcc, s6, v5
	v_cndmask_b32_e32 v3, v6, v3, vcc
	v_cndmask_b32_e32 v4, v7, v4, vcc
	v_cmp_ne_u32_e32 vcc, 0, v5
	v_cndmask_b32_e32 v4, v8, v4, vcc
	v_cndmask_b32_e32 v3, 0, v3, vcc
	s_branch .LBB95_430
.LBB95_317:
	s_mov_b64 s[12:13], -1
	s_mov_b64 s[10:11], 0
	s_mov_b64 s[6:7], s[60:61]
.LBB95_318:
	s_and_b64 vcc, exec, s[12:13]
	s_cbranch_vccz .LBB95_323
; %bb.319:
	s_cmp_eq_u32 s17, 44
	s_mov_b64 s[6:7], -1
	s_cbranch_scc0 .LBB95_323
; %bb.320:
	v_cndmask_b32_e64 v3, 0, 1.0, s[2:3]
	v_lshrrev_b32_e32 v2, 23, v3
	s_movk_i32 s6, 0xff
	v_cmp_ne_u32_e32 vcc, s6, v2
	v_mov_b32_e32 v4, 0xff
	s_and_saveexec_b64 s[10:11], vcc
; %bb.321:
	s_mov_b32 s6, 0x3fffff
	v_and_b32_e32 v4, 0x400000, v3
	v_and_or_b32 v3, v3, s6, v2
	v_cmp_ne_u32_e32 vcc, 0, v4
	v_cmp_ne_u32_e64 s[6:7], 0, v3
	s_and_b64 s[6:7], vcc, s[6:7]
	v_cndmask_b32_e64 v3, 0, 1, s[6:7]
	v_add_u32_e32 v4, v2, v3
; %bb.322:
	s_or_b64 exec, exec, s[10:11]
	s_mov_b64 s[10:11], -1
	s_mov_b64 s[6:7], 0
	global_store_byte v[0:1], v4, off
.LBB95_323:
	s_mov_b64 s[12:13], 0
.LBB95_324:
	s_and_b64 vcc, exec, s[12:13]
	s_cbranch_vccz .LBB95_327
; %bb.325:
	s_cmp_eq_u32 s17, 29
	s_mov_b64 s[6:7], -1
	s_cbranch_scc0 .LBB95_327
; %bb.326:
	s_mov_b32 s6, 0
	v_cndmask_b32_e64 v2, 0, 1, s[2:3]
	v_mov_b32_e32 v3, s6
	global_store_dwordx2 v[0:1], v[2:3], off
	s_mov_b64 s[10:11], -1
	s_mov_b64 s[6:7], 0
.LBB95_327:
	s_mov_b64 s[12:13], 0
.LBB95_328:
	s_and_b64 vcc, exec, s[12:13]
	s_cbranch_vccz .LBB95_344
; %bb.329:
	s_cmp_lt_i32 s17, 27
	s_mov_b64 s[10:11], -1
	s_cbranch_scc1 .LBB95_335
; %bb.330:
	s_cmp_gt_i32 s17, 27
	s_cbranch_scc0 .LBB95_332
; %bb.331:
	v_cndmask_b32_e64 v2, 0, 1, s[2:3]
	s_mov_b64 s[10:11], 0
	global_store_dword v[0:1], v2, off
.LBB95_332:
	s_andn2_b64 vcc, exec, s[10:11]
	s_cbranch_vccnz .LBB95_334
; %bb.333:
	v_cndmask_b32_e64 v2, 0, 1, s[2:3]
	global_store_short v[0:1], v2, off
.LBB95_334:
	s_mov_b64 s[10:11], 0
.LBB95_335:
	s_andn2_b64 vcc, exec, s[10:11]
	s_cbranch_vccnz .LBB95_343
; %bb.336:
	v_cndmask_b32_e64 v3, 0, 1.0, s[2:3]
	s_mov_b32 s10, 0x43800000
	v_cmp_gt_u32_e32 vcc, s10, v3
	v_mov_b32_e32 v4, 0x80
	s_and_saveexec_b64 s[10:11], vcc
	s_cbranch_execz .LBB95_342
; %bb.337:
	s_mov_b32 s12, 0x3bffffff
	v_cmp_lt_u32_e32 vcc, s12, v3
	s_mov_b64 s[12:13], 0
                                        ; implicit-def: $vgpr2
	s_and_saveexec_b64 s[14:15], vcc
	s_xor_b64 s[14:15], exec, s[14:15]
	s_cbranch_execz .LBB95_570
; %bb.338:
	v_bfe_u32 v2, v3, 20, 1
	s_mov_b32 s18, 0x487ffff
	v_add3_u32 v2, v3, v2, s18
	s_mov_b64 s[12:13], exec
	v_lshrrev_b32_e32 v2, 20, v2
                                        ; implicit-def: $vgpr3
	s_andn2_saveexec_b64 s[14:15], s[14:15]
	s_cbranch_execnz .LBB95_571
.LBB95_339:
	s_or_b64 exec, exec, s[14:15]
	v_mov_b32_e32 v4, 0
	s_and_saveexec_b64 s[14:15], s[12:13]
.LBB95_340:
	v_mov_b32_e32 v4, v2
.LBB95_341:
	s_or_b64 exec, exec, s[14:15]
.LBB95_342:
	s_or_b64 exec, exec, s[10:11]
	global_store_byte v[0:1], v4, off
.LBB95_343:
	s_mov_b64 s[10:11], -1
.LBB95_344:
	s_mov_b64 s[12:13], 0
.LBB95_345:
	s_and_b64 vcc, exec, s[12:13]
	s_cbranch_vccz .LBB95_386
; %bb.346:
	s_cmp_gt_i32 s17, 22
	s_mov_b64 s[12:13], -1
	s_cbranch_scc0 .LBB95_378
; %bb.347:
	s_cmp_lt_i32 s17, 24
	s_mov_b64 s[10:11], -1
	s_cbranch_scc1 .LBB95_367
; %bb.348:
	s_cmp_gt_i32 s17, 24
	s_cbranch_scc0 .LBB95_356
; %bb.349:
	v_cndmask_b32_e64 v3, 0, 1.0, s[2:3]
	s_mov_b32 s10, 0x47800000
	v_cmp_gt_u32_e32 vcc, s10, v3
	v_mov_b32_e32 v4, 0x80
	s_and_saveexec_b64 s[10:11], vcc
	s_cbranch_execz .LBB95_355
; %bb.350:
	s_mov_b32 s12, 0x37ffffff
	v_cmp_lt_u32_e32 vcc, s12, v3
	s_mov_b64 s[12:13], 0
                                        ; implicit-def: $vgpr2
	s_and_saveexec_b64 s[14:15], vcc
	s_xor_b64 s[14:15], exec, s[14:15]
	s_cbranch_execz .LBB95_573
; %bb.351:
	v_bfe_u32 v2, v3, 21, 1
	s_mov_b32 s18, 0x88fffff
	v_add3_u32 v2, v3, v2, s18
	s_mov_b64 s[12:13], exec
	v_lshrrev_b32_e32 v2, 21, v2
                                        ; implicit-def: $vgpr3
	s_andn2_saveexec_b64 s[14:15], s[14:15]
	s_cbranch_execnz .LBB95_574
.LBB95_352:
	s_or_b64 exec, exec, s[14:15]
	v_mov_b32_e32 v4, 0
	s_and_saveexec_b64 s[14:15], s[12:13]
.LBB95_353:
	v_mov_b32_e32 v4, v2
.LBB95_354:
	s_or_b64 exec, exec, s[14:15]
.LBB95_355:
	s_or_b64 exec, exec, s[10:11]
	s_mov_b64 s[10:11], 0
	global_store_byte v[0:1], v4, off
.LBB95_356:
	s_and_b64 vcc, exec, s[10:11]
	s_cbranch_vccz .LBB95_366
; %bb.357:
	v_cndmask_b32_e64 v2, 0, 1.0, s[2:3]
	s_mov_b32 s10, 0x43f00000
	v_cmp_gt_u32_e32 vcc, s10, v2
                                        ; implicit-def: $vgpr3
	s_and_saveexec_b64 s[10:11], vcc
	s_xor_b64 s[10:11], exec, s[10:11]
	s_cbranch_execz .LBB95_363
; %bb.358:
	s_mov_b32 s12, 0x3c7fffff
	v_cmp_lt_u32_e32 vcc, s12, v2
                                        ; implicit-def: $vgpr3
	s_and_saveexec_b64 s[12:13], vcc
	s_xor_b64 s[12:13], exec, s[12:13]
; %bb.359:
	v_bfe_u32 v3, v2, 20, 1
	s_mov_b32 s14, 0x407ffff
	v_add3_u32 v2, v2, v3, s14
	v_lshrrev_b32_e32 v3, 20, v2
	v_and_b32_e32 v2, 0xff00000, v2
	s_mov_b32 s14, 0x7f00000
	v_mov_b32_e32 v4, 0x7e
	v_cmp_ne_u32_e32 vcc, s14, v2
	v_cndmask_b32_e32 v3, v4, v3, vcc
                                        ; implicit-def: $vgpr2
; %bb.360:
	s_andn2_saveexec_b64 s[12:13], s[12:13]
; %bb.361:
	v_add_f32_e32 v3, 0x46800000, v2
; %bb.362:
	s_or_b64 exec, exec, s[12:13]
                                        ; implicit-def: $vgpr2
.LBB95_363:
	s_andn2_saveexec_b64 s[10:11], s[10:11]
; %bb.364:
	s_mov_b32 s12, 0x7f800000
	v_mov_b32_e32 v3, 0x7e
	v_mov_b32_e32 v4, 0x7f
	v_cmp_lt_u32_e32 vcc, s12, v2
	v_cndmask_b32_e32 v3, v3, v4, vcc
; %bb.365:
	s_or_b64 exec, exec, s[10:11]
	global_store_byte v[0:1], v3, off
.LBB95_366:
	s_mov_b64 s[10:11], 0
.LBB95_367:
	s_andn2_b64 vcc, exec, s[10:11]
	s_cbranch_vccnz .LBB95_377
; %bb.368:
	v_cndmask_b32_e64 v2, 0, 1.0, s[2:3]
	s_mov_b32 s10, 0x47800000
	v_cmp_gt_u32_e32 vcc, s10, v2
                                        ; implicit-def: $vgpr3
	s_and_saveexec_b64 s[10:11], vcc
	s_xor_b64 s[10:11], exec, s[10:11]
	s_cbranch_execz .LBB95_374
; %bb.369:
	s_mov_b32 s12, 0x387fffff
	v_cmp_lt_u32_e32 vcc, s12, v2
                                        ; implicit-def: $vgpr3
	s_and_saveexec_b64 s[12:13], vcc
	s_xor_b64 s[12:13], exec, s[12:13]
; %bb.370:
	v_bfe_u32 v3, v2, 21, 1
	s_mov_b32 s14, 0x80fffff
	v_add3_u32 v2, v2, v3, s14
	v_lshrrev_b32_e32 v3, 21, v2
                                        ; implicit-def: $vgpr2
; %bb.371:
	s_andn2_saveexec_b64 s[12:13], s[12:13]
; %bb.372:
	v_add_f32_e32 v3, 0x43000000, v2
; %bb.373:
	s_or_b64 exec, exec, s[12:13]
                                        ; implicit-def: $vgpr2
.LBB95_374:
	s_andn2_saveexec_b64 s[10:11], s[10:11]
; %bb.375:
	s_mov_b32 s12, 0x7f800000
	v_mov_b32_e32 v3, 0x7c
	v_mov_b32_e32 v4, 0x7f
	v_cmp_lt_u32_e32 vcc, s12, v2
	v_cndmask_b32_e32 v3, v3, v4, vcc
; %bb.376:
	s_or_b64 exec, exec, s[10:11]
	global_store_byte v[0:1], v3, off
.LBB95_377:
	s_mov_b64 s[12:13], 0
	s_mov_b64 s[10:11], -1
.LBB95_378:
	s_andn2_b64 vcc, exec, s[12:13]
	s_cbranch_vccnz .LBB95_386
; %bb.379:
	s_cmp_gt_i32 s17, 14
	s_mov_b64 s[12:13], -1
	s_cbranch_scc0 .LBB95_383
; %bb.380:
	s_cmp_eq_u32 s17, 15
	s_mov_b64 s[6:7], -1
	s_cbranch_scc0 .LBB95_382
; %bb.381:
	v_cndmask_b32_e64 v2, 0, 1.0, s[2:3]
	v_bfe_u32 v3, v2, 16, 1
	s_movk_i32 s6, 0x7fff
	v_add3_u32 v2, v2, v3, s6
	global_store_short_d16_hi v[0:1], v2, off
	s_mov_b64 s[10:11], -1
	s_mov_b64 s[6:7], 0
.LBB95_382:
	s_mov_b64 s[12:13], 0
.LBB95_383:
	s_and_b64 vcc, exec, s[12:13]
	s_cbranch_vccz .LBB95_386
; %bb.384:
	s_cmp_eq_u32 s17, 11
	s_mov_b64 s[6:7], -1
	s_cbranch_scc0 .LBB95_386
; %bb.385:
	v_cndmask_b32_e64 v2, 0, 1, s[2:3]
	s_mov_b64 s[10:11], -1
	s_mov_b64 s[6:7], 0
	global_store_byte v[0:1], v2, off
.LBB95_386:
	s_mov_b64 s[12:13], 0
.LBB95_387:
	s_and_b64 vcc, exec, s[12:13]
	s_cbranch_vccz .LBB95_426
; %bb.388:
	s_and_b32 s12, 0xffff, s16
	s_cmp_lt_i32 s12, 5
	s_mov_b64 s[10:11], -1
	s_cbranch_scc1 .LBB95_409
; %bb.389:
	s_cmp_lt_i32 s12, 8
	s_cbranch_scc1 .LBB95_399
; %bb.390:
	s_cmp_lt_i32 s12, 9
	s_cbranch_scc1 .LBB95_396
; %bb.391:
	s_cmp_gt_i32 s12, 9
	s_cbranch_scc0 .LBB95_393
; %bb.392:
	v_cndmask_b32_e64 v2, 0, 1, s[2:3]
	v_cvt_f64_u32_e32 v[2:3], v2
	v_mov_b32_e32 v4, 0
	v_mov_b32_e32 v5, v4
	s_mov_b64 s[10:11], 0
	global_store_dwordx4 v[0:1], v[2:5], off
.LBB95_393:
	s_andn2_b64 vcc, exec, s[10:11]
	s_cbranch_vccnz .LBB95_395
; %bb.394:
	v_cndmask_b32_e64 v2, 0, 1.0, s[2:3]
	v_mov_b32_e32 v3, 0
	global_store_dwordx2 v[0:1], v[2:3], off
.LBB95_395:
	s_mov_b64 s[10:11], 0
.LBB95_396:
	s_andn2_b64 vcc, exec, s[10:11]
	s_cbranch_vccnz .LBB95_398
; %bb.397:
	v_cndmask_b32_e64 v2, 0, 1.0, s[2:3]
	v_cvt_f16_f32_e32 v2, v2
	global_store_dword v[0:1], v2, off
.LBB95_398:
	s_mov_b64 s[10:11], 0
.LBB95_399:
	s_andn2_b64 vcc, exec, s[10:11]
	s_cbranch_vccnz .LBB95_408
; %bb.400:
	s_cmp_lt_i32 s12, 6
	s_mov_b64 s[10:11], -1
	s_cbranch_scc1 .LBB95_406
; %bb.401:
	s_cmp_gt_i32 s12, 6
	s_cbranch_scc0 .LBB95_403
; %bb.402:
	v_cndmask_b32_e64 v2, 0, 1, s[2:3]
	v_cvt_f64_u32_e32 v[2:3], v2
	s_mov_b64 s[10:11], 0
	global_store_dwordx2 v[0:1], v[2:3], off
.LBB95_403:
	s_andn2_b64 vcc, exec, s[10:11]
	s_cbranch_vccnz .LBB95_405
; %bb.404:
	v_cndmask_b32_e64 v2, 0, 1.0, s[2:3]
	global_store_dword v[0:1], v2, off
.LBB95_405:
	s_mov_b64 s[10:11], 0
.LBB95_406:
	s_andn2_b64 vcc, exec, s[10:11]
	s_cbranch_vccnz .LBB95_408
; %bb.407:
	v_cndmask_b32_e64 v2, 0, 1.0, s[2:3]
	v_cvt_f16_f32_e32 v2, v2
	global_store_short v[0:1], v2, off
.LBB95_408:
	s_mov_b64 s[10:11], 0
.LBB95_409:
	s_andn2_b64 vcc, exec, s[10:11]
	s_cbranch_vccnz .LBB95_425
; %bb.410:
	s_cmp_lt_i32 s12, 2
	s_mov_b64 s[10:11], -1
	s_cbranch_scc1 .LBB95_420
; %bb.411:
	s_cmp_lt_i32 s12, 3
	s_cbranch_scc1 .LBB95_417
; %bb.412:
	s_cmp_gt_i32 s12, 3
	s_cbranch_scc0 .LBB95_414
; %bb.413:
	s_mov_b32 s10, 0
	v_cndmask_b32_e64 v2, 0, 1, s[2:3]
	v_mov_b32_e32 v3, s10
	s_mov_b64 s[10:11], 0
	global_store_dwordx2 v[0:1], v[2:3], off
.LBB95_414:
	s_andn2_b64 vcc, exec, s[10:11]
	s_cbranch_vccnz .LBB95_416
; %bb.415:
	v_cndmask_b32_e64 v2, 0, 1, s[2:3]
	global_store_dword v[0:1], v2, off
.LBB95_416:
	s_mov_b64 s[10:11], 0
.LBB95_417:
	s_andn2_b64 vcc, exec, s[10:11]
	s_cbranch_vccnz .LBB95_419
; %bb.418:
	v_cndmask_b32_e64 v2, 0, 1, s[2:3]
	global_store_short v[0:1], v2, off
.LBB95_419:
	s_mov_b64 s[10:11], 0
.LBB95_420:
	s_andn2_b64 vcc, exec, s[10:11]
	s_cbranch_vccnz .LBB95_425
; %bb.421:
	s_mov_b64 s[10:11], -1
	s_cmp_gt_i32 s12, 0
	v_cndmask_b32_e64 v2, 0, 1, s[2:3]
	s_cbranch_scc0 .LBB95_423
; %bb.422:
	s_mov_b64 s[10:11], 0
	global_store_byte v[0:1], v2, off
.LBB95_423:
	s_andn2_b64 vcc, exec, s[10:11]
	s_cbranch_vccnz .LBB95_425
; %bb.424:
	global_store_byte v[0:1], v2, off
.LBB95_425:
	s_mov_b64 s[10:11], -1
.LBB95_426:
	s_andn2_b64 vcc, exec, s[10:11]
	s_cbranch_vccnz .LBB95_428
; %bb.427:
	v_add_u32_e32 v11, 0x80, v11
	s_mov_b64 s[2:3], -1
	s_branch .LBB95_541
.LBB95_428:
	s_mov_b64 s[2:3], 0
	s_branch .LBB95_540
.LBB95_429:
	s_mov_b64 s[8:9], -1
                                        ; implicit-def: $vgpr3_vgpr4
.LBB95_430:
	s_mov_b64 s[6:7], 0
.LBB95_431:
	s_and_b64 vcc, exec, s[6:7]
	s_cbranch_vccz .LBB95_435
; %bb.432:
	s_cmp_eq_u32 s12, 29
	s_cbranch_scc0 .LBB95_434
; %bb.433:
	global_load_dwordx2 v[3:4], v[1:2], off
	s_mov_b64 s[2:3], -1
	s_mov_b64 s[8:9], 0
	s_mov_b64 s[6:7], 0
	s_waitcnt vmcnt(0)
	v_cvt_f64_u32_e32 v[4:5], v4
	v_cvt_f64_u32_e32 v[6:7], v3
	v_ldexp_f64 v[4:5], v[4:5], 32
	v_add_f64 v[3:4], v[4:5], v[6:7]
	s_branch .LBB95_436
.LBB95_434:
	s_mov_b64 s[8:9], -1
                                        ; implicit-def: $vgpr3_vgpr4
.LBB95_435:
	s_mov_b64 s[6:7], 0
.LBB95_436:
	s_and_b64 vcc, exec, s[6:7]
	s_cbranch_vccz .LBB95_456
; %bb.437:
	s_cmp_lt_i32 s12, 27
	s_cbranch_scc1 .LBB95_440
; %bb.438:
	s_cmp_gt_i32 s12, 27
	s_cbranch_scc0 .LBB95_441
; %bb.439:
	global_load_dword v3, v[1:2], off
	s_mov_b64 s[2:3], 0
	s_waitcnt vmcnt(0)
	v_cvt_f64_u32_e32 v[3:4], v3
	s_branch .LBB95_442
.LBB95_440:
	s_mov_b64 s[2:3], -1
                                        ; implicit-def: $vgpr3_vgpr4
	s_branch .LBB95_445
.LBB95_441:
	s_mov_b64 s[2:3], -1
                                        ; implicit-def: $vgpr3_vgpr4
.LBB95_442:
	s_andn2_b64 vcc, exec, s[2:3]
	s_cbranch_vccnz .LBB95_444
; %bb.443:
	global_load_ushort v3, v[1:2], off
	s_waitcnt vmcnt(0)
	v_cvt_f64_u32_e32 v[3:4], v3
.LBB95_444:
	s_mov_b64 s[2:3], 0
.LBB95_445:
	s_andn2_b64 vcc, exec, s[2:3]
	s_cbranch_vccnz .LBB95_455
; %bb.446:
	global_load_ubyte v5, v[1:2], off
	s_movk_i32 s2, 0x7f
	s_waitcnt vmcnt(0)
	v_cmp_lt_i16_e32 vcc, s2, v5
	s_mov_b64 s[2:3], 0
	s_and_saveexec_b64 s[6:7], vcc
	s_xor_b64 s[6:7], exec, s[6:7]
	s_cbranch_execz .LBB95_450
; %bb.447:
	s_movk_i32 s2, 0x80
	v_cmp_eq_u16_e32 vcc, s2, v5
	s_mov_b64 s[2:3], -1
	s_and_saveexec_b64 s[10:11], vcc
; %bb.448:
	s_xor_b64 s[2:3], exec, -1
; %bb.449:
	s_or_b64 exec, exec, s[10:11]
	s_and_b64 s[2:3], s[2:3], exec
.LBB95_450:
	s_or_saveexec_b64 s[6:7], s[6:7]
	v_bfrev_b32_e32 v3, 4
	v_mov_b32_e32 v4, 0x7ff80000
	s_xor_b64 exec, exec, s[6:7]
; %bb.451:
	v_cmp_ne_u16_e32 vcc, 0, v5
	v_mov_b32_e32 v3, 0
	s_andn2_b64 s[2:3], s[2:3], exec
	s_and_b64 s[10:11], vcc, exec
	v_mov_b32_e32 v4, 0
	s_or_b64 s[2:3], s[2:3], s[10:11]
; %bb.452:
	s_or_b64 exec, exec, s[6:7]
	s_and_saveexec_b64 s[6:7], s[2:3]
	s_cbranch_execz .LBB95_454
; %bb.453:
	v_and_b32_e32 v4, 0xffff, v5
	v_lshlrev_b32_e32 v3, 24, v5
	v_and_b32_e32 v5, 7, v4
	v_ffbh_u32_e32 v7, v5
	v_min_u32_e32 v7, 32, v7
	v_subrev_u32_e32 v8, 28, v7
	v_bfe_u32 v6, v4, 3, 4
	v_lshlrev_b32_e32 v4, v8, v4
	v_sub_u32_e32 v7, 29, v7
	v_and_b32_e32 v4, 7, v4
	v_cmp_eq_u32_e32 vcc, 0, v6
	v_cndmask_b32_e32 v6, v6, v7, vcc
	v_cndmask_b32_e32 v4, v5, v4, vcc
	v_mov_b32_e32 v5, 0x3b800000
	v_lshlrev_b32_e32 v4, 20, v4
	v_and_b32_e32 v3, 0x80000000, v3
	v_lshl_add_u32 v5, v6, 23, v5
	v_or3_b32 v3, v3, v5, v4
	v_cvt_f64_f32_e32 v[3:4], v3
.LBB95_454:
	s_or_b64 exec, exec, s[6:7]
.LBB95_455:
	s_mov_b64 s[2:3], -1
.LBB95_456:
	s_mov_b64 s[6:7], 0
.LBB95_457:
	s_and_b64 vcc, exec, s[6:7]
	s_cbranch_vccz .LBB95_490
; %bb.458:
	s_cmp_gt_i32 s12, 22
	s_cbranch_scc0 .LBB95_470
; %bb.459:
	s_cmp_lt_i32 s12, 24
	s_cbranch_scc1 .LBB95_471
; %bb.460:
	s_cmp_gt_i32 s12, 24
	s_cbranch_scc0 .LBB95_472
; %bb.461:
	global_load_ubyte v5, v[1:2], off
	s_movk_i32 s2, 0x7f
	s_waitcnt vmcnt(0)
	v_cmp_lt_i16_e32 vcc, s2, v5
	s_mov_b64 s[2:3], 0
	s_and_saveexec_b64 s[6:7], vcc
	s_xor_b64 s[6:7], exec, s[6:7]
	s_cbranch_execz .LBB95_465
; %bb.462:
	s_movk_i32 s2, 0x80
	v_cmp_eq_u16_e32 vcc, s2, v5
	s_mov_b64 s[2:3], -1
	s_and_saveexec_b64 s[10:11], vcc
; %bb.463:
	s_xor_b64 s[2:3], exec, -1
; %bb.464:
	s_or_b64 exec, exec, s[10:11]
	s_and_b64 s[2:3], s[2:3], exec
.LBB95_465:
	s_or_saveexec_b64 s[6:7], s[6:7]
	v_bfrev_b32_e32 v3, 4
	v_mov_b32_e32 v4, 0x7ff80000
	s_xor_b64 exec, exec, s[6:7]
; %bb.466:
	v_cmp_ne_u16_e32 vcc, 0, v5
	v_mov_b32_e32 v3, 0
	s_andn2_b64 s[2:3], s[2:3], exec
	s_and_b64 s[10:11], vcc, exec
	v_mov_b32_e32 v4, 0
	s_or_b64 s[2:3], s[2:3], s[10:11]
; %bb.467:
	s_or_b64 exec, exec, s[6:7]
	s_and_saveexec_b64 s[6:7], s[2:3]
	s_cbranch_execz .LBB95_469
; %bb.468:
	v_and_b32_e32 v4, 0xffff, v5
	v_lshlrev_b32_e32 v3, 24, v5
	v_and_b32_e32 v5, 3, v4
	v_ffbh_u32_e32 v7, v5
	v_min_u32_e32 v7, 32, v7
	v_subrev_u32_e32 v8, 29, v7
	v_bfe_u32 v6, v4, 2, 5
	v_lshlrev_b32_e32 v4, v8, v4
	v_sub_u32_e32 v7, 30, v7
	v_and_b32_e32 v4, 3, v4
	v_cmp_eq_u32_e32 vcc, 0, v6
	v_cndmask_b32_e32 v6, v6, v7, vcc
	v_cndmask_b32_e32 v4, v5, v4, vcc
	v_mov_b32_e32 v5, 0x37800000
	v_lshlrev_b32_e32 v4, 21, v4
	v_and_b32_e32 v3, 0x80000000, v3
	v_lshl_add_u32 v5, v6, 23, v5
	v_or3_b32 v3, v3, v5, v4
	v_cvt_f64_f32_e32 v[3:4], v3
.LBB95_469:
	s_or_b64 exec, exec, s[6:7]
	s_mov_b64 s[2:3], 0
	s_branch .LBB95_473
.LBB95_470:
	s_mov_b64 s[6:7], -1
                                        ; implicit-def: $vgpr3_vgpr4
	s_branch .LBB95_479
.LBB95_471:
	s_mov_b64 s[2:3], -1
                                        ; implicit-def: $vgpr3_vgpr4
	s_branch .LBB95_476
.LBB95_472:
	s_mov_b64 s[2:3], -1
                                        ; implicit-def: $vgpr3_vgpr4
.LBB95_473:
	s_and_b64 vcc, exec, s[2:3]
	s_cbranch_vccz .LBB95_475
; %bb.474:
	global_load_ubyte v3, v[1:2], off
	s_mov_b32 s2, 0x7f800000
	s_waitcnt vmcnt(0)
	v_lshlrev_b32_e32 v3, 24, v3
	v_and_b32_e32 v4, 0x7f000000, v3
	v_ffbh_u32_e32 v5, v4
	v_min_u32_e32 v5, 32, v5
	v_sub_u32_e64 v5, v5, 4 clamp
	v_lshlrev_b32_e32 v7, v5, v4
	v_lshlrev_b32_e32 v5, 23, v5
	v_lshrrev_b32_e32 v7, 4, v7
	v_add_u32_e32 v6, 0x1000000, v4
	v_sub_u32_e32 v5, v7, v5
	v_ashrrev_i32_e32 v6, 8, v6
	v_add_u32_e32 v5, 0x3c000000, v5
	v_and_or_b32 v5, v6, s2, v5
	v_cmp_ne_u32_e32 vcc, 0, v4
	v_cndmask_b32_e32 v4, 0, v5, vcc
	s_brev_b32 s2, 1
	v_and_or_b32 v3, v3, s2, v4
	v_cvt_f64_f32_e32 v[3:4], v3
.LBB95_475:
	s_mov_b64 s[2:3], 0
.LBB95_476:
	s_andn2_b64 vcc, exec, s[2:3]
	s_cbranch_vccnz .LBB95_478
; %bb.477:
	global_load_ubyte v3, v[1:2], off
	s_movk_i32 s2, 0x7f00
	s_brev_b32 s3, 16
	s_waitcnt vmcnt(0)
	v_lshlrev_b16_e32 v4, 8, v3
	v_lshlrev_b32_e32 v3, 25, v3
	v_lshrrev_b32_e32 v5, 4, v3
	v_and_or_b32 v6, v4, s2, 0.5
	v_or_b32_e32 v5, 0x70000000, v5
	v_add_f32_e32 v6, -0.5, v6
	v_mul_f32_e32 v5, 0x7800000, v5
	v_cmp_gt_u32_e32 vcc, s3, v3
	v_bfe_i32 v4, v4, 0, 16
	v_cndmask_b32_e32 v3, v5, v6, vcc
	s_brev_b32 s2, 1
	v_and_or_b32 v3, v4, s2, v3
	v_cvt_f64_f32_e32 v[3:4], v3
.LBB95_478:
	s_mov_b64 s[6:7], 0
	s_mov_b64 s[2:3], -1
.LBB95_479:
	s_andn2_b64 vcc, exec, s[6:7]
	s_cbranch_vccnz .LBB95_490
; %bb.480:
	s_cmp_gt_i32 s12, 14
	s_cbranch_scc0 .LBB95_483
; %bb.481:
	s_cmp_eq_u32 s12, 15
	s_cbranch_scc0 .LBB95_484
; %bb.482:
	global_load_ushort v3, v[1:2], off
	s_mov_b64 s[2:3], -1
	s_mov_b64 s[8:9], 0
	s_waitcnt vmcnt(0)
	v_lshlrev_b32_e32 v3, 16, v3
	v_cvt_f64_f32_e32 v[3:4], v3
	s_branch .LBB95_485
.LBB95_483:
	s_mov_b64 s[6:7], -1
                                        ; implicit-def: $vgpr3_vgpr4
	s_branch .LBB95_486
.LBB95_484:
	s_mov_b64 s[8:9], -1
                                        ; implicit-def: $vgpr3_vgpr4
.LBB95_485:
	s_mov_b64 s[6:7], 0
.LBB95_486:
	s_and_b64 vcc, exec, s[6:7]
	s_cbranch_vccz .LBB95_490
; %bb.487:
	s_cmp_eq_u32 s12, 11
	s_cbranch_scc0 .LBB95_489
; %bb.488:
	global_load_ubyte v4, v[1:2], off
	v_mov_b32_e32 v5, 0x3ff00000
	v_mov_b32_e32 v3, 0
	s_mov_b64 s[2:3], -1
	s_mov_b64 s[8:9], 0
	s_waitcnt vmcnt(0)
	v_cmp_ne_u16_e32 vcc, 0, v4
	v_cndmask_b32_e32 v4, 0, v5, vcc
	s_branch .LBB95_490
.LBB95_489:
	s_mov_b64 s[8:9], -1
                                        ; implicit-def: $vgpr3_vgpr4
.LBB95_490:
	s_branch .LBB95_293
.LBB95_491:
	s_cmp_lt_i32 s12, 5
	s_cbranch_scc1 .LBB95_496
; %bb.492:
	s_cmp_lt_i32 s12, 8
	s_cbranch_scc1 .LBB95_497
; %bb.493:
	;; [unrolled: 3-line block ×3, first 2 shown]
	s_cmp_gt_i32 s12, 9
	s_cbranch_scc0 .LBB95_499
; %bb.495:
	global_load_dwordx2 v[3:4], v[1:2], off
	s_mov_b64 s[2:3], 0
	s_branch .LBB95_500
.LBB95_496:
	s_mov_b64 s[2:3], -1
                                        ; implicit-def: $vgpr3_vgpr4
	s_branch .LBB95_518
.LBB95_497:
	s_mov_b64 s[2:3], -1
                                        ; implicit-def: $vgpr3_vgpr4
	s_branch .LBB95_506
.LBB95_498:
	s_mov_b64 s[2:3], -1
                                        ; implicit-def: $vgpr3_vgpr4
	s_branch .LBB95_503
.LBB95_499:
	s_mov_b64 s[2:3], -1
                                        ; implicit-def: $vgpr3_vgpr4
.LBB95_500:
	s_andn2_b64 vcc, exec, s[2:3]
	s_cbranch_vccnz .LBB95_502
; %bb.501:
	global_load_dword v3, v[1:2], off
	s_waitcnt vmcnt(0)
	v_cvt_f64_f32_e32 v[3:4], v3
.LBB95_502:
	s_mov_b64 s[2:3], 0
.LBB95_503:
	s_andn2_b64 vcc, exec, s[2:3]
	s_cbranch_vccnz .LBB95_505
; %bb.504:
	global_load_dword v3, v[1:2], off
	s_waitcnt vmcnt(0)
	v_cvt_f32_f16_e32 v3, v3
	v_cvt_f64_f32_e32 v[3:4], v3
.LBB95_505:
	s_mov_b64 s[2:3], 0
.LBB95_506:
	s_andn2_b64 vcc, exec, s[2:3]
	s_cbranch_vccnz .LBB95_517
; %bb.507:
	s_cmp_lt_i32 s12, 6
	s_cbranch_scc1 .LBB95_510
; %bb.508:
	s_cmp_gt_i32 s12, 6
	s_cbranch_scc0 .LBB95_511
; %bb.509:
	global_load_dwordx2 v[3:4], v[1:2], off
	s_mov_b64 s[2:3], 0
	s_branch .LBB95_512
.LBB95_510:
	s_mov_b64 s[2:3], -1
                                        ; implicit-def: $vgpr3_vgpr4
	s_branch .LBB95_515
.LBB95_511:
	s_mov_b64 s[2:3], -1
                                        ; implicit-def: $vgpr3_vgpr4
.LBB95_512:
	s_andn2_b64 vcc, exec, s[2:3]
	s_cbranch_vccnz .LBB95_514
; %bb.513:
	global_load_dword v3, v[1:2], off
	s_waitcnt vmcnt(0)
	v_cvt_f64_f32_e32 v[3:4], v3
.LBB95_514:
	s_mov_b64 s[2:3], 0
.LBB95_515:
	s_andn2_b64 vcc, exec, s[2:3]
	s_cbranch_vccnz .LBB95_517
; %bb.516:
	global_load_ushort v3, v[1:2], off
	s_waitcnt vmcnt(0)
	v_cvt_f32_f16_e32 v3, v3
	v_cvt_f64_f32_e32 v[3:4], v3
.LBB95_517:
	s_mov_b64 s[2:3], 0
.LBB95_518:
	s_andn2_b64 vcc, exec, s[2:3]
	s_cbranch_vccnz .LBB95_538
; %bb.519:
	s_cmp_lt_i32 s12, 2
	s_cbranch_scc1 .LBB95_523
; %bb.520:
	s_cmp_lt_i32 s12, 3
	s_cbranch_scc1 .LBB95_524
; %bb.521:
	s_cmp_gt_i32 s12, 3
	s_cbranch_scc0 .LBB95_525
; %bb.522:
	global_load_dwordx2 v[3:4], v[1:2], off
	s_mov_b64 s[2:3], 0
	s_waitcnt vmcnt(0)
	v_cvt_f64_i32_e32 v[4:5], v4
	v_cvt_f64_u32_e32 v[6:7], v3
	v_ldexp_f64 v[4:5], v[4:5], 32
	v_add_f64 v[3:4], v[4:5], v[6:7]
	s_branch .LBB95_526
.LBB95_523:
	s_mov_b64 s[2:3], -1
                                        ; implicit-def: $vgpr3_vgpr4
	s_branch .LBB95_532
.LBB95_524:
	s_mov_b64 s[2:3], -1
                                        ; implicit-def: $vgpr3_vgpr4
	s_branch .LBB95_529
.LBB95_525:
	s_mov_b64 s[2:3], -1
                                        ; implicit-def: $vgpr3_vgpr4
.LBB95_526:
	s_andn2_b64 vcc, exec, s[2:3]
	s_cbranch_vccnz .LBB95_528
; %bb.527:
	global_load_dword v3, v[1:2], off
	s_waitcnt vmcnt(0)
	v_cvt_f64_i32_e32 v[3:4], v3
.LBB95_528:
	s_mov_b64 s[2:3], 0
.LBB95_529:
	s_andn2_b64 vcc, exec, s[2:3]
	s_cbranch_vccnz .LBB95_531
; %bb.530:
	global_load_sshort v3, v[1:2], off
	s_waitcnt vmcnt(0)
	v_cvt_f64_i32_e32 v[3:4], v3
.LBB95_531:
	s_mov_b64 s[2:3], 0
.LBB95_532:
	s_andn2_b64 vcc, exec, s[2:3]
	s_cbranch_vccnz .LBB95_538
; %bb.533:
	s_cmp_gt_i32 s12, 0
	s_cbranch_scc0 .LBB95_535
; %bb.534:
	global_load_sbyte v3, v[1:2], off
	s_mov_b64 s[2:3], 0
	s_waitcnt vmcnt(0)
	v_cvt_f64_i32_e32 v[3:4], v3
	s_branch .LBB95_536
.LBB95_535:
	s_mov_b64 s[2:3], -1
                                        ; implicit-def: $vgpr3_vgpr4
.LBB95_536:
	s_andn2_b64 vcc, exec, s[2:3]
	s_cbranch_vccnz .LBB95_538
; %bb.537:
	global_load_ubyte v1, v[1:2], off
	s_waitcnt vmcnt(0)
	v_cvt_f64_u32_e32 v[3:4], v1
.LBB95_538:
	s_branch .LBB95_294
.LBB95_539:
	s_mov_b64 s[2:3], 0
	s_mov_b64 s[6:7], s[60:61]
.LBB95_540:
                                        ; implicit-def: $vgpr11
.LBB95_541:
	s_andn2_b64 s[10:11], s[60:61], exec
	s_and_b64 s[6:7], s[6:7], exec
	s_or_b64 s[68:69], s[10:11], s[6:7]
	s_andn2_b64 s[6:7], s[62:63], exec
	s_and_b64 s[8:9], s[8:9], exec
	s_or_b64 s[66:67], s[6:7], s[8:9]
	s_orn2_b64 s[2:3], s[2:3], exec
.LBB95_542:
	s_or_b64 exec, exec, s[70:71]
	s_mov_b64 s[6:7], 0
	s_mov_b64 s[8:9], 0
	;; [unrolled: 1-line block ×3, first 2 shown]
                                        ; implicit-def: $vgpr1_vgpr2
                                        ; implicit-def: $vgpr0
                                        ; implicit-def: $vgpr3_vgpr4
	s_and_saveexec_b64 s[70:71], s[2:3]
	s_cbranch_execz .LBB95_917
; %bb.543:
	v_cmp_gt_i32_e32 vcc, s74, v11
	s_mov_b64 s[14:15], -1
	s_mov_b64 s[2:3], s[66:67]
	s_mov_b64 s[6:7], s[68:69]
	s_and_saveexec_b64 s[72:73], vcc
	s_cbranch_execz .LBB95_817
; %bb.544:
	s_andn2_b64 vcc, exec, s[46:47]
	s_cbranch_vccnz .LBB95_549
; %bb.545:
	s_andn2_b64 vcc, exec, s[58:59]
	s_cbranch_vccnz .LBB95_550
; %bb.546:
	s_add_i32 s80, s79, 1
	s_cmp_eq_u32 s76, 2
	s_cbranch_scc1 .LBB95_551
; %bb.547:
	s_and_b32 s75, s80, 28
	v_mov_b32_e32 v2, 0
	s_mov_b32 s81, 0
	s_mov_b64 s[2:3], s[34:35]
	s_mov_b64 s[6:7], s[56:57]
	v_mov_b32_e32 v0, 0
	v_mov_b32_e32 v1, v11
.LBB95_548:                             ; =>This Inner Loop Header: Depth=1
	s_load_dwordx8 s[16:23], s[2:3], 0x4
	s_load_dwordx4 s[40:43], s[2:3], 0x24
	s_load_dwordx8 s[8:15], s[6:7], 0x0
	s_add_u32 s2, s2, 48
	s_addc_u32 s3, s3, 0
	s_waitcnt vmcnt(0) lgkmcnt(0)
	v_mul_hi_u32 v3, s17, v1
	s_add_i32 s81, s81, 4
	s_add_u32 s6, s6, 32
	s_addc_u32 s7, s7, 0
	v_add_u32_e32 v3, v1, v3
	v_lshrrev_b32_e32 v3, s18, v3
	v_mul_lo_u32 v4, v3, s16
	v_mul_hi_u32 v5, s20, v3
	s_cmp_eq_u32 s75, s81
	v_sub_u32_e32 v1, v1, v4
	v_add_u32_e32 v4, v3, v5
	v_mul_lo_u32 v5, v1, s8
	v_mul_lo_u32 v6, v1, s9
	v_lshrrev_b32_e32 v1, s21, v4
	v_mul_lo_u32 v4, v1, s19
	v_mul_hi_u32 v7, s23, v1
	v_sub_u32_e32 v3, v3, v4
	v_add_u32_e32 v4, v1, v7
	v_lshrrev_b32_e32 v4, s40, v4
	v_mul_hi_u32 v8, s42, v4
	v_mul_lo_u32 v9, v4, s22
	v_mul_lo_u32 v7, v3, s10
	;; [unrolled: 1-line block ×3, first 2 shown]
	v_sub_u32_e32 v9, v1, v9
	v_add_u32_e32 v1, v4, v8
	v_lshrrev_b32_e32 v1, s43, v1
	v_mul_lo_u32 v8, v1, s41
	v_mul_lo_u32 v10, v9, s12
	;; [unrolled: 1-line block ×3, first 2 shown]
	v_add3_u32 v0, v5, v0, v7
	v_sub_u32_e32 v4, v4, v8
	v_mul_lo_u32 v8, v4, s14
	v_mul_lo_u32 v4, v4, s15
	v_add3_u32 v2, v6, v2, v3
	v_add3_u32 v0, v10, v0, v8
	;; [unrolled: 1-line block ×3, first 2 shown]
	s_cbranch_scc0 .LBB95_548
	s_branch .LBB95_552
.LBB95_549:
	s_mov_b64 s[2:3], -1
                                        ; implicit-def: $vgpr0
                                        ; implicit-def: $vgpr2
	s_branch .LBB95_556
.LBB95_550:
	v_mov_b32_e32 v0, 0
	v_mov_b32_e32 v2, 0
	s_branch .LBB95_555
.LBB95_551:
	s_mov_b32 s75, 0
	v_mov_b32_e32 v0, 0
	v_mov_b32_e32 v2, 0
	;; [unrolled: 1-line block ×3, first 2 shown]
.LBB95_552:
	s_and_b32 s8, s80, 3
	s_cmp_eq_u32 s8, 0
	s_cbranch_scc1 .LBB95_555
; %bb.553:
	s_lshl_b32 s2, s75, 3
	s_add_u32 s2, s34, s2
	s_addc_u32 s3, s35, 0
	s_add_u32 s2, s2, 0xc4
	s_addc_u32 s3, s3, 0
	s_mul_i32 s6, s75, 12
	s_add_u32 s6, s34, s6
	s_addc_u32 s7, s35, 0
.LBB95_554:                             ; =>This Inner Loop Header: Depth=1
	s_load_dwordx2 s[10:11], s[6:7], 0x4
	s_load_dword s9, s[6:7], 0xc
	s_load_dwordx2 s[12:13], s[2:3], 0x0
	s_add_u32 s6, s6, 12
	s_addc_u32 s7, s7, 0
	s_waitcnt vmcnt(0) lgkmcnt(0)
	v_mul_hi_u32 v3, s11, v1
	s_add_u32 s2, s2, 8
	s_addc_u32 s3, s3, 0
	s_add_i32 s8, s8, -1
	v_add_u32_e32 v3, v1, v3
	v_lshrrev_b32_e32 v4, s9, v3
	v_mul_lo_u32 v3, v4, s10
	s_cmp_lg_u32 s8, 0
	v_sub_u32_e32 v3, v1, v3
	v_mad_u64_u32 v[0:1], s[10:11], v3, s12, v[0:1]
	v_mad_u64_u32 v[2:3], s[10:11], v3, s13, v[2:3]
	v_mov_b32_e32 v1, v4
	s_cbranch_scc1 .LBB95_554
.LBB95_555:
	s_mov_b64 s[2:3], 0
.LBB95_556:
	s_andn2_b64 vcc, exec, s[2:3]
	s_cbranch_vccnz .LBB95_559
; %bb.557:
	v_mul_hi_u32 v0, s29, v11
	s_andn2_b64 vcc, exec, s[54:55]
	v_add_u32_e32 v0, v11, v0
	v_lshrrev_b32_e32 v1, s30, v0
	v_mul_lo_u32 v0, v1, s28
	v_sub_u32_e32 v2, v11, v0
	v_mul_lo_u32 v0, v2, s36
	v_mul_lo_u32 v2, v2, s37
	s_cbranch_vccnz .LBB95_559
; %bb.558:
	s_waitcnt vmcnt(0)
	v_mul_hi_u32 v3, s52, v1
	v_add_u32_e32 v3, v1, v3
	v_lshrrev_b32_e32 v3, s53, v3
	v_mul_lo_u32 v3, v3, s31
	v_sub_u32_e32 v3, v1, v3
	v_mad_u64_u32 v[0:1], s[2:3], v3, s38, v[0:1]
	v_mad_u64_u32 v[2:3], s[2:3], v3, s39, v[2:3]
.LBB95_559:
	s_waitcnt vmcnt(0)
	v_mov_b32_e32 v3, s27
	s_and_b32 s12, 0xffff, s78
	v_add_co_u32_e32 v1, vcc, s26, v2
	s_cmp_lt_i32 s12, 11
	v_addc_co_u32_e32 v2, vcc, 0, v3, vcc
	s_cbranch_scc1 .LBB95_566
; %bb.560:
	s_cmp_gt_i32 s12, 25
	s_cbranch_scc0 .LBB95_567
; %bb.561:
	s_cmp_gt_i32 s12, 28
	s_cbranch_scc0 .LBB95_568
	;; [unrolled: 3-line block ×4, first 2 shown]
; %bb.564:
	s_cmp_eq_u32 s12, 46
	s_mov_b64 s[6:7], 0
	s_cbranch_scc0 .LBB95_575
; %bb.565:
	global_load_dword v3, v[1:2], off
	s_mov_b64 s[2:3], -1
	s_mov_b64 s[8:9], 0
	s_waitcnt vmcnt(0)
	v_lshlrev_b32_e32 v3, 16, v3
	v_cvt_f64_f32_e32 v[3:4], v3
	s_branch .LBB95_576
.LBB95_566:
	s_mov_b64 s[6:7], -1
	s_mov_b64 s[2:3], 0
                                        ; implicit-def: $vgpr3_vgpr4
	s_mov_b64 s[8:9], s[66:67]
	s_branch .LBB95_641
.LBB95_567:
	s_mov_b64 s[6:7], -1
	s_mov_b64 s[2:3], 0
	s_mov_b64 s[8:9], s[66:67]
                                        ; implicit-def: $vgpr3_vgpr4
	s_branch .LBB95_607
.LBB95_568:
	s_mov_b64 s[6:7], -1
	s_mov_b64 s[2:3], 0
	s_mov_b64 s[8:9], s[66:67]
                                        ; implicit-def: $vgpr3_vgpr4
	s_branch .LBB95_586
.LBB95_569:
	s_mov_b64 s[6:7], -1
	s_mov_b64 s[2:3], 0
	s_mov_b64 s[8:9], s[66:67]
                                        ; implicit-def: $vgpr3_vgpr4
	s_branch .LBB95_581
.LBB95_570:
	s_andn2_saveexec_b64 s[14:15], s[14:15]
	s_cbranch_execz .LBB95_339
.LBB95_571:
	v_add_f32_e32 v2, 0x46000000, v3
	v_and_b32_e32 v2, 0xff, v2
	v_cmp_ne_u32_e32 vcc, 0, v2
	s_andn2_b64 s[12:13], s[12:13], exec
	s_and_b64 s[18:19], vcc, exec
	s_or_b64 s[12:13], s[12:13], s[18:19]
	s_or_b64 exec, exec, s[14:15]
	v_mov_b32_e32 v4, 0
	s_and_saveexec_b64 s[14:15], s[12:13]
	s_cbranch_execnz .LBB95_340
	s_branch .LBB95_341
.LBB95_572:
	s_mov_b64 s[6:7], -1
	s_mov_b64 s[2:3], 0
	s_mov_b64 s[8:9], s[66:67]
                                        ; implicit-def: $vgpr3_vgpr4
	s_branch .LBB95_576
.LBB95_573:
	s_andn2_saveexec_b64 s[14:15], s[14:15]
	s_cbranch_execz .LBB95_352
.LBB95_574:
	v_add_f32_e32 v2, 0x42800000, v3
	v_and_b32_e32 v2, 0xff, v2
	v_cmp_ne_u32_e32 vcc, 0, v2
	s_andn2_b64 s[12:13], s[12:13], exec
	s_and_b64 s[18:19], vcc, exec
	s_or_b64 s[12:13], s[12:13], s[18:19]
	s_or_b64 exec, exec, s[14:15]
	v_mov_b32_e32 v4, 0
	s_and_saveexec_b64 s[14:15], s[12:13]
	s_cbranch_execnz .LBB95_353
	s_branch .LBB95_354
.LBB95_575:
	s_mov_b64 s[8:9], -1
                                        ; implicit-def: $vgpr3_vgpr4
	s_mov_b64 s[2:3], 0
.LBB95_576:
	s_and_b64 vcc, exec, s[6:7]
	s_cbranch_vccz .LBB95_580
; %bb.577:
	s_cmp_eq_u32 s12, 44
	s_cbranch_scc0 .LBB95_579
; %bb.578:
	global_load_ubyte v5, v[1:2], off
	s_movk_i32 s6, 0xff
	v_bfrev_b32_e32 v6, 4
	v_mov_b32_e32 v7, 0x7ff80000
	v_bfrev_b32_e32 v8, 28
	s_mov_b64 s[2:3], -1
	s_mov_b64 s[8:9], 0
	s_waitcnt vmcnt(0)
	v_lshlrev_b32_e32 v3, 23, v5
	v_cvt_f64_f32_e32 v[3:4], v3
	v_cmp_ne_u32_e32 vcc, s6, v5
	v_cndmask_b32_e32 v3, v6, v3, vcc
	v_cndmask_b32_e32 v4, v7, v4, vcc
	v_cmp_ne_u32_e32 vcc, 0, v5
	v_cndmask_b32_e32 v4, v8, v4, vcc
	v_cndmask_b32_e32 v3, 0, v3, vcc
	s_branch .LBB95_580
.LBB95_579:
	s_mov_b64 s[8:9], -1
                                        ; implicit-def: $vgpr3_vgpr4
.LBB95_580:
	s_mov_b64 s[6:7], 0
.LBB95_581:
	s_and_b64 vcc, exec, s[6:7]
	s_cbranch_vccz .LBB95_585
; %bb.582:
	s_cmp_eq_u32 s12, 29
	s_cbranch_scc0 .LBB95_584
; %bb.583:
	global_load_dwordx2 v[3:4], v[1:2], off
	s_mov_b64 s[2:3], -1
	s_mov_b64 s[8:9], 0
	s_mov_b64 s[6:7], 0
	s_waitcnt vmcnt(0)
	v_cvt_f64_u32_e32 v[4:5], v4
	v_cvt_f64_u32_e32 v[6:7], v3
	v_ldexp_f64 v[4:5], v[4:5], 32
	v_add_f64 v[3:4], v[4:5], v[6:7]
	s_branch .LBB95_586
.LBB95_584:
	s_mov_b64 s[8:9], -1
                                        ; implicit-def: $vgpr3_vgpr4
.LBB95_585:
	s_mov_b64 s[6:7], 0
.LBB95_586:
	s_and_b64 vcc, exec, s[6:7]
	s_cbranch_vccz .LBB95_606
; %bb.587:
	s_cmp_lt_i32 s12, 27
	s_cbranch_scc1 .LBB95_590
; %bb.588:
	s_cmp_gt_i32 s12, 27
	s_cbranch_scc0 .LBB95_591
; %bb.589:
	global_load_dword v3, v[1:2], off
	s_mov_b64 s[2:3], 0
	s_waitcnt vmcnt(0)
	v_cvt_f64_u32_e32 v[3:4], v3
	s_branch .LBB95_592
.LBB95_590:
	s_mov_b64 s[2:3], -1
                                        ; implicit-def: $vgpr3_vgpr4
	s_branch .LBB95_595
.LBB95_591:
	s_mov_b64 s[2:3], -1
                                        ; implicit-def: $vgpr3_vgpr4
.LBB95_592:
	s_andn2_b64 vcc, exec, s[2:3]
	s_cbranch_vccnz .LBB95_594
; %bb.593:
	global_load_ushort v3, v[1:2], off
	s_waitcnt vmcnt(0)
	v_cvt_f64_u32_e32 v[3:4], v3
.LBB95_594:
	s_mov_b64 s[2:3], 0
.LBB95_595:
	s_andn2_b64 vcc, exec, s[2:3]
	s_cbranch_vccnz .LBB95_605
; %bb.596:
	global_load_ubyte v5, v[1:2], off
	s_movk_i32 s2, 0x7f
	s_waitcnt vmcnt(0)
	v_cmp_lt_i16_e32 vcc, s2, v5
	s_mov_b64 s[2:3], 0
	s_and_saveexec_b64 s[6:7], vcc
	s_xor_b64 s[6:7], exec, s[6:7]
	s_cbranch_execz .LBB95_600
; %bb.597:
	s_movk_i32 s2, 0x80
	v_cmp_eq_u16_e32 vcc, s2, v5
	s_mov_b64 s[2:3], -1
	s_and_saveexec_b64 s[10:11], vcc
; %bb.598:
	s_xor_b64 s[2:3], exec, -1
; %bb.599:
	s_or_b64 exec, exec, s[10:11]
	s_and_b64 s[2:3], s[2:3], exec
.LBB95_600:
	s_or_saveexec_b64 s[6:7], s[6:7]
	v_bfrev_b32_e32 v3, 4
	v_mov_b32_e32 v4, 0x7ff80000
	s_xor_b64 exec, exec, s[6:7]
; %bb.601:
	v_cmp_ne_u16_e32 vcc, 0, v5
	v_mov_b32_e32 v3, 0
	s_andn2_b64 s[2:3], s[2:3], exec
	s_and_b64 s[10:11], vcc, exec
	v_mov_b32_e32 v4, 0
	s_or_b64 s[2:3], s[2:3], s[10:11]
; %bb.602:
	s_or_b64 exec, exec, s[6:7]
	s_and_saveexec_b64 s[6:7], s[2:3]
	s_cbranch_execz .LBB95_604
; %bb.603:
	v_and_b32_e32 v4, 0xffff, v5
	v_lshlrev_b32_e32 v3, 24, v5
	v_and_b32_e32 v5, 7, v4
	v_ffbh_u32_e32 v7, v5
	v_min_u32_e32 v7, 32, v7
	v_subrev_u32_e32 v8, 28, v7
	v_bfe_u32 v6, v4, 3, 4
	v_lshlrev_b32_e32 v4, v8, v4
	v_sub_u32_e32 v7, 29, v7
	v_and_b32_e32 v4, 7, v4
	v_cmp_eq_u32_e32 vcc, 0, v6
	v_cndmask_b32_e32 v6, v6, v7, vcc
	v_cndmask_b32_e32 v4, v5, v4, vcc
	v_mov_b32_e32 v5, 0x3b800000
	v_lshlrev_b32_e32 v4, 20, v4
	v_and_b32_e32 v3, 0x80000000, v3
	v_lshl_add_u32 v5, v6, 23, v5
	v_or3_b32 v3, v3, v5, v4
	v_cvt_f64_f32_e32 v[3:4], v3
.LBB95_604:
	s_or_b64 exec, exec, s[6:7]
.LBB95_605:
	s_mov_b64 s[2:3], -1
.LBB95_606:
	s_mov_b64 s[6:7], 0
.LBB95_607:
	s_and_b64 vcc, exec, s[6:7]
	s_cbranch_vccz .LBB95_640
; %bb.608:
	s_cmp_gt_i32 s12, 22
	s_cbranch_scc0 .LBB95_620
; %bb.609:
	s_cmp_lt_i32 s12, 24
	s_cbranch_scc1 .LBB95_621
; %bb.610:
	s_cmp_gt_i32 s12, 24
	s_cbranch_scc0 .LBB95_622
; %bb.611:
	global_load_ubyte v5, v[1:2], off
	s_movk_i32 s2, 0x7f
	s_waitcnt vmcnt(0)
	v_cmp_lt_i16_e32 vcc, s2, v5
	s_mov_b64 s[2:3], 0
	s_and_saveexec_b64 s[6:7], vcc
	s_xor_b64 s[6:7], exec, s[6:7]
	s_cbranch_execz .LBB95_615
; %bb.612:
	s_movk_i32 s2, 0x80
	v_cmp_eq_u16_e32 vcc, s2, v5
	s_mov_b64 s[2:3], -1
	s_and_saveexec_b64 s[10:11], vcc
; %bb.613:
	s_xor_b64 s[2:3], exec, -1
; %bb.614:
	s_or_b64 exec, exec, s[10:11]
	s_and_b64 s[2:3], s[2:3], exec
.LBB95_615:
	s_or_saveexec_b64 s[6:7], s[6:7]
	v_bfrev_b32_e32 v3, 4
	v_mov_b32_e32 v4, 0x7ff80000
	s_xor_b64 exec, exec, s[6:7]
; %bb.616:
	v_cmp_ne_u16_e32 vcc, 0, v5
	v_mov_b32_e32 v3, 0
	s_andn2_b64 s[2:3], s[2:3], exec
	s_and_b64 s[10:11], vcc, exec
	v_mov_b32_e32 v4, 0
	s_or_b64 s[2:3], s[2:3], s[10:11]
; %bb.617:
	s_or_b64 exec, exec, s[6:7]
	s_and_saveexec_b64 s[6:7], s[2:3]
	s_cbranch_execz .LBB95_619
; %bb.618:
	v_and_b32_e32 v4, 0xffff, v5
	v_lshlrev_b32_e32 v3, 24, v5
	v_and_b32_e32 v5, 3, v4
	v_ffbh_u32_e32 v7, v5
	v_min_u32_e32 v7, 32, v7
	v_subrev_u32_e32 v8, 29, v7
	v_bfe_u32 v6, v4, 2, 5
	v_lshlrev_b32_e32 v4, v8, v4
	v_sub_u32_e32 v7, 30, v7
	v_and_b32_e32 v4, 3, v4
	v_cmp_eq_u32_e32 vcc, 0, v6
	v_cndmask_b32_e32 v6, v6, v7, vcc
	v_cndmask_b32_e32 v4, v5, v4, vcc
	v_mov_b32_e32 v5, 0x37800000
	v_lshlrev_b32_e32 v4, 21, v4
	v_and_b32_e32 v3, 0x80000000, v3
	v_lshl_add_u32 v5, v6, 23, v5
	v_or3_b32 v3, v3, v5, v4
	v_cvt_f64_f32_e32 v[3:4], v3
.LBB95_619:
	s_or_b64 exec, exec, s[6:7]
	s_mov_b64 s[2:3], 0
	s_branch .LBB95_623
.LBB95_620:
	s_mov_b64 s[6:7], -1
                                        ; implicit-def: $vgpr3_vgpr4
	s_branch .LBB95_629
.LBB95_621:
	s_mov_b64 s[2:3], -1
                                        ; implicit-def: $vgpr3_vgpr4
	s_branch .LBB95_626
.LBB95_622:
	s_mov_b64 s[2:3], -1
                                        ; implicit-def: $vgpr3_vgpr4
.LBB95_623:
	s_and_b64 vcc, exec, s[2:3]
	s_cbranch_vccz .LBB95_625
; %bb.624:
	global_load_ubyte v3, v[1:2], off
	s_mov_b32 s2, 0x7f800000
	s_waitcnt vmcnt(0)
	v_lshlrev_b32_e32 v3, 24, v3
	v_and_b32_e32 v4, 0x7f000000, v3
	v_ffbh_u32_e32 v5, v4
	v_min_u32_e32 v5, 32, v5
	v_sub_u32_e64 v5, v5, 4 clamp
	v_lshlrev_b32_e32 v7, v5, v4
	v_lshlrev_b32_e32 v5, 23, v5
	v_lshrrev_b32_e32 v7, 4, v7
	v_add_u32_e32 v6, 0x1000000, v4
	v_sub_u32_e32 v5, v7, v5
	v_ashrrev_i32_e32 v6, 8, v6
	v_add_u32_e32 v5, 0x3c000000, v5
	v_and_or_b32 v5, v6, s2, v5
	v_cmp_ne_u32_e32 vcc, 0, v4
	v_cndmask_b32_e32 v4, 0, v5, vcc
	s_brev_b32 s2, 1
	v_and_or_b32 v3, v3, s2, v4
	v_cvt_f64_f32_e32 v[3:4], v3
.LBB95_625:
	s_mov_b64 s[2:3], 0
.LBB95_626:
	s_andn2_b64 vcc, exec, s[2:3]
	s_cbranch_vccnz .LBB95_628
; %bb.627:
	global_load_ubyte v3, v[1:2], off
	s_movk_i32 s2, 0x7f00
	s_brev_b32 s3, 16
	s_waitcnt vmcnt(0)
	v_lshlrev_b16_e32 v4, 8, v3
	v_lshlrev_b32_e32 v3, 25, v3
	v_lshrrev_b32_e32 v5, 4, v3
	v_and_or_b32 v6, v4, s2, 0.5
	v_or_b32_e32 v5, 0x70000000, v5
	v_add_f32_e32 v6, -0.5, v6
	v_mul_f32_e32 v5, 0x7800000, v5
	v_cmp_gt_u32_e32 vcc, s3, v3
	v_bfe_i32 v4, v4, 0, 16
	v_cndmask_b32_e32 v3, v5, v6, vcc
	s_brev_b32 s2, 1
	v_and_or_b32 v3, v4, s2, v3
	v_cvt_f64_f32_e32 v[3:4], v3
.LBB95_628:
	s_mov_b64 s[6:7], 0
	s_mov_b64 s[2:3], -1
.LBB95_629:
	s_andn2_b64 vcc, exec, s[6:7]
	s_cbranch_vccnz .LBB95_640
; %bb.630:
	s_cmp_gt_i32 s12, 14
	s_cbranch_scc0 .LBB95_633
; %bb.631:
	s_cmp_eq_u32 s12, 15
	s_cbranch_scc0 .LBB95_634
; %bb.632:
	global_load_ushort v3, v[1:2], off
	s_mov_b64 s[2:3], -1
	s_mov_b64 s[8:9], 0
	s_waitcnt vmcnt(0)
	v_lshlrev_b32_e32 v3, 16, v3
	v_cvt_f64_f32_e32 v[3:4], v3
	s_branch .LBB95_635
.LBB95_633:
	s_mov_b64 s[6:7], -1
                                        ; implicit-def: $vgpr3_vgpr4
	s_branch .LBB95_636
.LBB95_634:
	s_mov_b64 s[8:9], -1
                                        ; implicit-def: $vgpr3_vgpr4
.LBB95_635:
	s_mov_b64 s[6:7], 0
.LBB95_636:
	s_and_b64 vcc, exec, s[6:7]
	s_cbranch_vccz .LBB95_640
; %bb.637:
	s_cmp_eq_u32 s12, 11
	s_cbranch_scc0 .LBB95_639
; %bb.638:
	global_load_ubyte v4, v[1:2], off
	v_mov_b32_e32 v5, 0x3ff00000
	v_mov_b32_e32 v3, 0
	s_mov_b64 s[2:3], -1
	s_mov_b64 s[8:9], 0
	s_waitcnt vmcnt(0)
	v_cmp_ne_u16_e32 vcc, 0, v4
	v_cndmask_b32_e32 v4, 0, v5, vcc
	s_branch .LBB95_640
.LBB95_639:
	s_mov_b64 s[8:9], -1
                                        ; implicit-def: $vgpr3_vgpr4
.LBB95_640:
	s_mov_b64 s[6:7], 0
.LBB95_641:
	s_and_b64 vcc, exec, s[6:7]
	s_cbranch_vccz .LBB95_690
; %bb.642:
	s_cmp_lt_i32 s12, 5
	s_cbranch_scc1 .LBB95_647
; %bb.643:
	s_cmp_lt_i32 s12, 8
	s_cbranch_scc1 .LBB95_648
	;; [unrolled: 3-line block ×3, first 2 shown]
; %bb.645:
	s_cmp_gt_i32 s12, 9
	s_cbranch_scc0 .LBB95_650
; %bb.646:
	global_load_dwordx2 v[3:4], v[1:2], off
	s_mov_b64 s[2:3], 0
	s_branch .LBB95_651
.LBB95_647:
	s_mov_b64 s[2:3], -1
                                        ; implicit-def: $vgpr3_vgpr4
	s_branch .LBB95_669
.LBB95_648:
	s_mov_b64 s[2:3], -1
                                        ; implicit-def: $vgpr3_vgpr4
	s_branch .LBB95_657
.LBB95_649:
	s_mov_b64 s[2:3], -1
                                        ; implicit-def: $vgpr3_vgpr4
	s_branch .LBB95_654
.LBB95_650:
	s_mov_b64 s[2:3], -1
                                        ; implicit-def: $vgpr3_vgpr4
.LBB95_651:
	s_andn2_b64 vcc, exec, s[2:3]
	s_cbranch_vccnz .LBB95_653
; %bb.652:
	global_load_dword v3, v[1:2], off
	s_waitcnt vmcnt(0)
	v_cvt_f64_f32_e32 v[3:4], v3
.LBB95_653:
	s_mov_b64 s[2:3], 0
.LBB95_654:
	s_andn2_b64 vcc, exec, s[2:3]
	s_cbranch_vccnz .LBB95_656
; %bb.655:
	global_load_dword v3, v[1:2], off
	s_waitcnt vmcnt(0)
	v_cvt_f32_f16_e32 v3, v3
	v_cvt_f64_f32_e32 v[3:4], v3
.LBB95_656:
	s_mov_b64 s[2:3], 0
.LBB95_657:
	s_andn2_b64 vcc, exec, s[2:3]
	s_cbranch_vccnz .LBB95_668
; %bb.658:
	s_cmp_lt_i32 s12, 6
	s_cbranch_scc1 .LBB95_661
; %bb.659:
	s_cmp_gt_i32 s12, 6
	s_cbranch_scc0 .LBB95_662
; %bb.660:
	global_load_dwordx2 v[3:4], v[1:2], off
	s_mov_b64 s[2:3], 0
	s_branch .LBB95_663
.LBB95_661:
	s_mov_b64 s[2:3], -1
                                        ; implicit-def: $vgpr3_vgpr4
	s_branch .LBB95_666
.LBB95_662:
	s_mov_b64 s[2:3], -1
                                        ; implicit-def: $vgpr3_vgpr4
.LBB95_663:
	s_andn2_b64 vcc, exec, s[2:3]
	s_cbranch_vccnz .LBB95_665
; %bb.664:
	global_load_dword v3, v[1:2], off
	s_waitcnt vmcnt(0)
	v_cvt_f64_f32_e32 v[3:4], v3
.LBB95_665:
	s_mov_b64 s[2:3], 0
.LBB95_666:
	s_andn2_b64 vcc, exec, s[2:3]
	s_cbranch_vccnz .LBB95_668
; %bb.667:
	global_load_ushort v3, v[1:2], off
	s_waitcnt vmcnt(0)
	v_cvt_f32_f16_e32 v3, v3
	v_cvt_f64_f32_e32 v[3:4], v3
.LBB95_668:
	s_mov_b64 s[2:3], 0
.LBB95_669:
	s_andn2_b64 vcc, exec, s[2:3]
	s_cbranch_vccnz .LBB95_689
; %bb.670:
	s_cmp_lt_i32 s12, 2
	s_cbranch_scc1 .LBB95_674
; %bb.671:
	s_cmp_lt_i32 s12, 3
	s_cbranch_scc1 .LBB95_675
; %bb.672:
	s_cmp_gt_i32 s12, 3
	s_cbranch_scc0 .LBB95_676
; %bb.673:
	global_load_dwordx2 v[3:4], v[1:2], off
	s_mov_b64 s[2:3], 0
	s_waitcnt vmcnt(0)
	v_cvt_f64_i32_e32 v[4:5], v4
	v_cvt_f64_u32_e32 v[6:7], v3
	v_ldexp_f64 v[4:5], v[4:5], 32
	v_add_f64 v[3:4], v[4:5], v[6:7]
	s_branch .LBB95_677
.LBB95_674:
	s_mov_b64 s[2:3], -1
                                        ; implicit-def: $vgpr3_vgpr4
	s_branch .LBB95_683
.LBB95_675:
	s_mov_b64 s[2:3], -1
                                        ; implicit-def: $vgpr3_vgpr4
	s_branch .LBB95_680
.LBB95_676:
	s_mov_b64 s[2:3], -1
                                        ; implicit-def: $vgpr3_vgpr4
.LBB95_677:
	s_andn2_b64 vcc, exec, s[2:3]
	s_cbranch_vccnz .LBB95_679
; %bb.678:
	global_load_dword v3, v[1:2], off
	s_waitcnt vmcnt(0)
	v_cvt_f64_i32_e32 v[3:4], v3
.LBB95_679:
	s_mov_b64 s[2:3], 0
.LBB95_680:
	s_andn2_b64 vcc, exec, s[2:3]
	s_cbranch_vccnz .LBB95_682
; %bb.681:
	global_load_sshort v3, v[1:2], off
	s_waitcnt vmcnt(0)
	v_cvt_f64_i32_e32 v[3:4], v3
.LBB95_682:
	s_mov_b64 s[2:3], 0
.LBB95_683:
	s_andn2_b64 vcc, exec, s[2:3]
	s_cbranch_vccnz .LBB95_689
; %bb.684:
	s_cmp_gt_i32 s12, 0
	s_cbranch_scc0 .LBB95_686
; %bb.685:
	global_load_sbyte v3, v[1:2], off
	s_mov_b64 s[2:3], 0
	s_waitcnt vmcnt(0)
	v_cvt_f64_i32_e32 v[3:4], v3
	s_branch .LBB95_687
.LBB95_686:
	s_mov_b64 s[2:3], -1
                                        ; implicit-def: $vgpr3_vgpr4
.LBB95_687:
	s_andn2_b64 vcc, exec, s[2:3]
	s_cbranch_vccnz .LBB95_689
; %bb.688:
	global_load_ubyte v1, v[1:2], off
	s_waitcnt vmcnt(0)
	v_cvt_f64_u32_e32 v[3:4], v1
.LBB95_689:
	s_mov_b64 s[2:3], -1
.LBB95_690:
	s_andn2_b64 vcc, exec, s[2:3]
	s_cbranch_vccnz .LBB95_698
; %bb.691:
	s_waitcnt vmcnt(0)
	v_cmp_eq_f64_e32 vcc, s[50:51], v[3:4]
	s_and_b32 s16, s77, 0xff
	s_cmp_lt_i32 s16, 11
	v_cndmask_b32_e64 v1, 0, 1, vcc
	v_cmp_neq_f64_e32 vcc, s[50:51], v[3:4]
	v_cndmask_b32_e64 v2, 0, 1, vcc
	v_cndmask_b32_e64 v1, v2, v1, s[0:1]
	v_and_b32_e32 v1, 1, v1
	v_cmp_eq_u32_e64 s[2:3], 1, v1
	v_mov_b32_e32 v1, s25
	v_add_co_u32_e32 v0, vcc, s24, v0
	v_addc_co_u32_e32 v1, vcc, 0, v1, vcc
	s_cbranch_scc1 .LBB95_699
; %bb.692:
	s_and_b32 s17, 0xffff, s16
	s_cmp_gt_i32 s17, 25
	s_cbranch_scc0 .LBB95_700
; %bb.693:
	s_cmp_gt_i32 s17, 28
	s_cbranch_scc0 .LBB95_701
; %bb.694:
	;; [unrolled: 3-line block ×4, first 2 shown]
	s_mov_b64 s[12:13], 0
	s_mov_b64 s[6:7], -1
	s_cmp_eq_u32 s17, 46
	s_mov_b64 s[10:11], 0
	s_cbranch_scc0 .LBB95_704
; %bb.697:
	v_cndmask_b32_e64 v2, 0, 1.0, s[2:3]
	v_bfe_u32 v3, v2, 16, 1
	s_movk_i32 s6, 0x7fff
	v_add3_u32 v2, v2, v3, s6
	v_lshrrev_b32_e32 v2, 16, v2
	global_store_dword v[0:1], v2, off
	s_mov_b64 s[10:11], -1
	s_mov_b64 s[6:7], 0
	s_branch .LBB95_704
.LBB95_698:
	s_mov_b64 s[10:11], 0
	s_mov_b64 s[6:7], s[68:69]
	s_branch .LBB95_815
.LBB95_699:
	s_mov_b64 s[12:13], -1
	s_mov_b64 s[10:11], 0
	s_mov_b64 s[6:7], s[68:69]
	s_branch .LBB95_773
.LBB95_700:
	s_mov_b64 s[12:13], -1
	s_mov_b64 s[10:11], 0
	s_mov_b64 s[6:7], s[68:69]
	s_branch .LBB95_731
.LBB95_701:
	s_mov_b64 s[12:13], -1
	s_mov_b64 s[10:11], 0
	s_mov_b64 s[6:7], s[68:69]
	s_branch .LBB95_714
.LBB95_702:
	s_mov_b64 s[12:13], -1
	s_mov_b64 s[10:11], 0
	s_mov_b64 s[6:7], s[68:69]
	s_branch .LBB95_710
.LBB95_703:
	s_mov_b64 s[12:13], -1
	s_mov_b64 s[10:11], 0
	s_mov_b64 s[6:7], s[68:69]
.LBB95_704:
	s_and_b64 vcc, exec, s[12:13]
	s_cbranch_vccz .LBB95_709
; %bb.705:
	s_cmp_eq_u32 s17, 44
	s_mov_b64 s[6:7], -1
	s_cbranch_scc0 .LBB95_709
; %bb.706:
	v_cndmask_b32_e64 v3, 0, 1.0, s[2:3]
	v_lshrrev_b32_e32 v2, 23, v3
	s_movk_i32 s6, 0xff
	v_cmp_ne_u32_e32 vcc, s6, v2
	v_mov_b32_e32 v4, 0xff
	s_and_saveexec_b64 s[10:11], vcc
; %bb.707:
	s_mov_b32 s6, 0x3fffff
	v_and_b32_e32 v4, 0x400000, v3
	v_and_or_b32 v3, v3, s6, v2
	v_cmp_ne_u32_e32 vcc, 0, v4
	v_cmp_ne_u32_e64 s[6:7], 0, v3
	s_and_b64 s[6:7], vcc, s[6:7]
	v_cndmask_b32_e64 v3, 0, 1, s[6:7]
	v_add_u32_e32 v4, v2, v3
; %bb.708:
	s_or_b64 exec, exec, s[10:11]
	s_mov_b64 s[10:11], -1
	s_mov_b64 s[6:7], 0
	global_store_byte v[0:1], v4, off
.LBB95_709:
	s_mov_b64 s[12:13], 0
.LBB95_710:
	s_and_b64 vcc, exec, s[12:13]
	s_cbranch_vccz .LBB95_713
; %bb.711:
	s_cmp_eq_u32 s17, 29
	s_mov_b64 s[6:7], -1
	s_cbranch_scc0 .LBB95_713
; %bb.712:
	s_mov_b32 s6, 0
	v_cndmask_b32_e64 v2, 0, 1, s[2:3]
	v_mov_b32_e32 v3, s6
	global_store_dwordx2 v[0:1], v[2:3], off
	s_mov_b64 s[10:11], -1
	s_mov_b64 s[6:7], 0
.LBB95_713:
	s_mov_b64 s[12:13], 0
.LBB95_714:
	s_and_b64 vcc, exec, s[12:13]
	s_cbranch_vccz .LBB95_730
; %bb.715:
	s_cmp_lt_i32 s17, 27
	s_mov_b64 s[10:11], -1
	s_cbranch_scc1 .LBB95_721
; %bb.716:
	s_cmp_gt_i32 s17, 27
	s_cbranch_scc0 .LBB95_718
; %bb.717:
	v_cndmask_b32_e64 v2, 0, 1, s[2:3]
	s_mov_b64 s[10:11], 0
	global_store_dword v[0:1], v2, off
.LBB95_718:
	s_andn2_b64 vcc, exec, s[10:11]
	s_cbranch_vccnz .LBB95_720
; %bb.719:
	v_cndmask_b32_e64 v2, 0, 1, s[2:3]
	global_store_short v[0:1], v2, off
.LBB95_720:
	s_mov_b64 s[10:11], 0
.LBB95_721:
	s_andn2_b64 vcc, exec, s[10:11]
	s_cbranch_vccnz .LBB95_729
; %bb.722:
	v_cndmask_b32_e64 v3, 0, 1.0, s[2:3]
	s_mov_b32 s10, 0x43800000
	v_cmp_gt_u32_e32 vcc, s10, v3
	v_mov_b32_e32 v4, 0x80
	s_and_saveexec_b64 s[10:11], vcc
	s_cbranch_execz .LBB95_728
; %bb.723:
	s_mov_b32 s12, 0x3bffffff
	v_cmp_lt_u32_e32 vcc, s12, v3
	s_mov_b64 s[12:13], 0
                                        ; implicit-def: $vgpr2
	s_and_saveexec_b64 s[14:15], vcc
	s_xor_b64 s[14:15], exec, s[14:15]
	s_cbranch_execz .LBB95_845
; %bb.724:
	v_bfe_u32 v2, v3, 20, 1
	s_mov_b32 s18, 0x487ffff
	v_add3_u32 v2, v3, v2, s18
	s_mov_b64 s[12:13], exec
	v_lshrrev_b32_e32 v2, 20, v2
                                        ; implicit-def: $vgpr3
	s_andn2_saveexec_b64 s[14:15], s[14:15]
	s_cbranch_execnz .LBB95_846
.LBB95_725:
	s_or_b64 exec, exec, s[14:15]
	v_mov_b32_e32 v4, 0
	s_and_saveexec_b64 s[14:15], s[12:13]
.LBB95_726:
	v_mov_b32_e32 v4, v2
.LBB95_727:
	s_or_b64 exec, exec, s[14:15]
.LBB95_728:
	s_or_b64 exec, exec, s[10:11]
	global_store_byte v[0:1], v4, off
.LBB95_729:
	s_mov_b64 s[10:11], -1
.LBB95_730:
	s_mov_b64 s[12:13], 0
.LBB95_731:
	s_and_b64 vcc, exec, s[12:13]
	s_cbranch_vccz .LBB95_772
; %bb.732:
	s_cmp_gt_i32 s17, 22
	s_mov_b64 s[12:13], -1
	s_cbranch_scc0 .LBB95_764
; %bb.733:
	s_cmp_lt_i32 s17, 24
	s_mov_b64 s[10:11], -1
	s_cbranch_scc1 .LBB95_753
; %bb.734:
	s_cmp_gt_i32 s17, 24
	s_cbranch_scc0 .LBB95_742
; %bb.735:
	v_cndmask_b32_e64 v3, 0, 1.0, s[2:3]
	s_mov_b32 s10, 0x47800000
	v_cmp_gt_u32_e32 vcc, s10, v3
	v_mov_b32_e32 v4, 0x80
	s_and_saveexec_b64 s[10:11], vcc
	s_cbranch_execz .LBB95_741
; %bb.736:
	s_mov_b32 s12, 0x37ffffff
	v_cmp_lt_u32_e32 vcc, s12, v3
	s_mov_b64 s[12:13], 0
                                        ; implicit-def: $vgpr2
	s_and_saveexec_b64 s[14:15], vcc
	s_xor_b64 s[14:15], exec, s[14:15]
	s_cbranch_execz .LBB95_848
; %bb.737:
	v_bfe_u32 v2, v3, 21, 1
	s_mov_b32 s18, 0x88fffff
	v_add3_u32 v2, v3, v2, s18
	s_mov_b64 s[12:13], exec
	v_lshrrev_b32_e32 v2, 21, v2
                                        ; implicit-def: $vgpr3
	s_andn2_saveexec_b64 s[14:15], s[14:15]
	s_cbranch_execnz .LBB95_849
.LBB95_738:
	s_or_b64 exec, exec, s[14:15]
	v_mov_b32_e32 v4, 0
	s_and_saveexec_b64 s[14:15], s[12:13]
.LBB95_739:
	v_mov_b32_e32 v4, v2
.LBB95_740:
	s_or_b64 exec, exec, s[14:15]
.LBB95_741:
	s_or_b64 exec, exec, s[10:11]
	s_mov_b64 s[10:11], 0
	global_store_byte v[0:1], v4, off
.LBB95_742:
	s_and_b64 vcc, exec, s[10:11]
	s_cbranch_vccz .LBB95_752
; %bb.743:
	v_cndmask_b32_e64 v2, 0, 1.0, s[2:3]
	s_mov_b32 s10, 0x43f00000
	v_cmp_gt_u32_e32 vcc, s10, v2
                                        ; implicit-def: $vgpr3
	s_and_saveexec_b64 s[10:11], vcc
	s_xor_b64 s[10:11], exec, s[10:11]
	s_cbranch_execz .LBB95_749
; %bb.744:
	s_mov_b32 s12, 0x3c7fffff
	v_cmp_lt_u32_e32 vcc, s12, v2
                                        ; implicit-def: $vgpr3
	s_and_saveexec_b64 s[12:13], vcc
	s_xor_b64 s[12:13], exec, s[12:13]
; %bb.745:
	v_bfe_u32 v3, v2, 20, 1
	s_mov_b32 s14, 0x407ffff
	v_add3_u32 v2, v2, v3, s14
	v_lshrrev_b32_e32 v3, 20, v2
	v_and_b32_e32 v2, 0xff00000, v2
	s_mov_b32 s14, 0x7f00000
	v_mov_b32_e32 v4, 0x7e
	v_cmp_ne_u32_e32 vcc, s14, v2
	v_cndmask_b32_e32 v3, v4, v3, vcc
                                        ; implicit-def: $vgpr2
; %bb.746:
	s_andn2_saveexec_b64 s[12:13], s[12:13]
; %bb.747:
	v_add_f32_e32 v3, 0x46800000, v2
; %bb.748:
	s_or_b64 exec, exec, s[12:13]
                                        ; implicit-def: $vgpr2
.LBB95_749:
	s_andn2_saveexec_b64 s[10:11], s[10:11]
; %bb.750:
	s_mov_b32 s12, 0x7f800000
	v_mov_b32_e32 v3, 0x7e
	v_mov_b32_e32 v4, 0x7f
	v_cmp_lt_u32_e32 vcc, s12, v2
	v_cndmask_b32_e32 v3, v3, v4, vcc
; %bb.751:
	s_or_b64 exec, exec, s[10:11]
	global_store_byte v[0:1], v3, off
.LBB95_752:
	s_mov_b64 s[10:11], 0
.LBB95_753:
	s_andn2_b64 vcc, exec, s[10:11]
	s_cbranch_vccnz .LBB95_763
; %bb.754:
	v_cndmask_b32_e64 v2, 0, 1.0, s[2:3]
	s_mov_b32 s10, 0x47800000
	v_cmp_gt_u32_e32 vcc, s10, v2
                                        ; implicit-def: $vgpr3
	s_and_saveexec_b64 s[10:11], vcc
	s_xor_b64 s[10:11], exec, s[10:11]
	s_cbranch_execz .LBB95_760
; %bb.755:
	s_mov_b32 s12, 0x387fffff
	v_cmp_lt_u32_e32 vcc, s12, v2
                                        ; implicit-def: $vgpr3
	s_and_saveexec_b64 s[12:13], vcc
	s_xor_b64 s[12:13], exec, s[12:13]
; %bb.756:
	v_bfe_u32 v3, v2, 21, 1
	s_mov_b32 s14, 0x80fffff
	v_add3_u32 v2, v2, v3, s14
	v_lshrrev_b32_e32 v3, 21, v2
                                        ; implicit-def: $vgpr2
; %bb.757:
	s_andn2_saveexec_b64 s[12:13], s[12:13]
; %bb.758:
	v_add_f32_e32 v3, 0x43000000, v2
; %bb.759:
	s_or_b64 exec, exec, s[12:13]
                                        ; implicit-def: $vgpr2
.LBB95_760:
	s_andn2_saveexec_b64 s[10:11], s[10:11]
; %bb.761:
	s_mov_b32 s12, 0x7f800000
	v_mov_b32_e32 v3, 0x7c
	v_mov_b32_e32 v4, 0x7f
	v_cmp_lt_u32_e32 vcc, s12, v2
	v_cndmask_b32_e32 v3, v3, v4, vcc
; %bb.762:
	s_or_b64 exec, exec, s[10:11]
	global_store_byte v[0:1], v3, off
.LBB95_763:
	s_mov_b64 s[12:13], 0
	s_mov_b64 s[10:11], -1
.LBB95_764:
	s_andn2_b64 vcc, exec, s[12:13]
	s_cbranch_vccnz .LBB95_772
; %bb.765:
	s_cmp_gt_i32 s17, 14
	s_mov_b64 s[12:13], -1
	s_cbranch_scc0 .LBB95_769
; %bb.766:
	s_cmp_eq_u32 s17, 15
	s_mov_b64 s[6:7], -1
	s_cbranch_scc0 .LBB95_768
; %bb.767:
	v_cndmask_b32_e64 v2, 0, 1.0, s[2:3]
	v_bfe_u32 v3, v2, 16, 1
	s_movk_i32 s6, 0x7fff
	v_add3_u32 v2, v2, v3, s6
	global_store_short_d16_hi v[0:1], v2, off
	s_mov_b64 s[10:11], -1
	s_mov_b64 s[6:7], 0
.LBB95_768:
	s_mov_b64 s[12:13], 0
.LBB95_769:
	s_and_b64 vcc, exec, s[12:13]
	s_cbranch_vccz .LBB95_772
; %bb.770:
	s_cmp_eq_u32 s17, 11
	s_mov_b64 s[6:7], -1
	s_cbranch_scc0 .LBB95_772
; %bb.771:
	v_cndmask_b32_e64 v2, 0, 1, s[2:3]
	s_mov_b64 s[10:11], -1
	s_mov_b64 s[6:7], 0
	global_store_byte v[0:1], v2, off
.LBB95_772:
	s_mov_b64 s[12:13], 0
.LBB95_773:
	s_and_b64 vcc, exec, s[12:13]
	s_cbranch_vccz .LBB95_812
; %bb.774:
	s_and_b32 s12, 0xffff, s16
	s_cmp_lt_i32 s12, 5
	s_mov_b64 s[10:11], -1
	s_cbranch_scc1 .LBB95_795
; %bb.775:
	s_cmp_lt_i32 s12, 8
	s_cbranch_scc1 .LBB95_785
; %bb.776:
	s_cmp_lt_i32 s12, 9
	s_cbranch_scc1 .LBB95_782
; %bb.777:
	s_cmp_gt_i32 s12, 9
	s_cbranch_scc0 .LBB95_779
; %bb.778:
	v_cndmask_b32_e64 v2, 0, 1, s[2:3]
	v_cvt_f64_u32_e32 v[2:3], v2
	v_mov_b32_e32 v4, 0
	v_mov_b32_e32 v5, v4
	s_mov_b64 s[10:11], 0
	global_store_dwordx4 v[0:1], v[2:5], off
.LBB95_779:
	s_andn2_b64 vcc, exec, s[10:11]
	s_cbranch_vccnz .LBB95_781
; %bb.780:
	v_cndmask_b32_e64 v2, 0, 1.0, s[2:3]
	v_mov_b32_e32 v3, 0
	global_store_dwordx2 v[0:1], v[2:3], off
.LBB95_781:
	s_mov_b64 s[10:11], 0
.LBB95_782:
	s_andn2_b64 vcc, exec, s[10:11]
	s_cbranch_vccnz .LBB95_784
; %bb.783:
	v_cndmask_b32_e64 v2, 0, 1.0, s[2:3]
	v_cvt_f16_f32_e32 v2, v2
	global_store_dword v[0:1], v2, off
.LBB95_784:
	s_mov_b64 s[10:11], 0
.LBB95_785:
	s_andn2_b64 vcc, exec, s[10:11]
	s_cbranch_vccnz .LBB95_794
; %bb.786:
	s_cmp_lt_i32 s12, 6
	s_mov_b64 s[10:11], -1
	s_cbranch_scc1 .LBB95_792
; %bb.787:
	s_cmp_gt_i32 s12, 6
	s_cbranch_scc0 .LBB95_789
; %bb.788:
	v_cndmask_b32_e64 v2, 0, 1, s[2:3]
	v_cvt_f64_u32_e32 v[2:3], v2
	s_mov_b64 s[10:11], 0
	global_store_dwordx2 v[0:1], v[2:3], off
.LBB95_789:
	s_andn2_b64 vcc, exec, s[10:11]
	s_cbranch_vccnz .LBB95_791
; %bb.790:
	v_cndmask_b32_e64 v2, 0, 1.0, s[2:3]
	global_store_dword v[0:1], v2, off
.LBB95_791:
	s_mov_b64 s[10:11], 0
.LBB95_792:
	s_andn2_b64 vcc, exec, s[10:11]
	s_cbranch_vccnz .LBB95_794
; %bb.793:
	v_cndmask_b32_e64 v2, 0, 1.0, s[2:3]
	v_cvt_f16_f32_e32 v2, v2
	global_store_short v[0:1], v2, off
.LBB95_794:
	s_mov_b64 s[10:11], 0
.LBB95_795:
	s_andn2_b64 vcc, exec, s[10:11]
	s_cbranch_vccnz .LBB95_811
; %bb.796:
	s_cmp_lt_i32 s12, 2
	s_mov_b64 s[10:11], -1
	s_cbranch_scc1 .LBB95_806
; %bb.797:
	s_cmp_lt_i32 s12, 3
	s_cbranch_scc1 .LBB95_803
; %bb.798:
	s_cmp_gt_i32 s12, 3
	s_cbranch_scc0 .LBB95_800
; %bb.799:
	s_mov_b32 s10, 0
	v_cndmask_b32_e64 v2, 0, 1, s[2:3]
	v_mov_b32_e32 v3, s10
	s_mov_b64 s[10:11], 0
	global_store_dwordx2 v[0:1], v[2:3], off
.LBB95_800:
	s_andn2_b64 vcc, exec, s[10:11]
	s_cbranch_vccnz .LBB95_802
; %bb.801:
	v_cndmask_b32_e64 v2, 0, 1, s[2:3]
	global_store_dword v[0:1], v2, off
.LBB95_802:
	s_mov_b64 s[10:11], 0
.LBB95_803:
	s_andn2_b64 vcc, exec, s[10:11]
	s_cbranch_vccnz .LBB95_805
; %bb.804:
	v_cndmask_b32_e64 v2, 0, 1, s[2:3]
	global_store_short v[0:1], v2, off
.LBB95_805:
	s_mov_b64 s[10:11], 0
.LBB95_806:
	s_andn2_b64 vcc, exec, s[10:11]
	s_cbranch_vccnz .LBB95_811
; %bb.807:
	s_mov_b64 s[10:11], -1
	s_cmp_gt_i32 s12, 0
	v_cndmask_b32_e64 v2, 0, 1, s[2:3]
	s_cbranch_scc0 .LBB95_809
; %bb.808:
	s_mov_b64 s[10:11], 0
	global_store_byte v[0:1], v2, off
.LBB95_809:
	s_andn2_b64 vcc, exec, s[10:11]
	s_cbranch_vccnz .LBB95_811
; %bb.810:
	global_store_byte v[0:1], v2, off
.LBB95_811:
	s_mov_b64 s[10:11], -1
.LBB95_812:
	s_andn2_b64 vcc, exec, s[10:11]
	s_cbranch_vccnz .LBB95_814
; %bb.813:
	v_add_u32_e32 v11, 0x80, v11
	s_mov_b64 s[10:11], -1
	s_branch .LBB95_816
.LBB95_814:
	s_mov_b64 s[10:11], 0
.LBB95_815:
                                        ; implicit-def: $vgpr11
.LBB95_816:
	s_andn2_b64 s[2:3], s[68:69], exec
	s_and_b64 s[6:7], s[6:7], exec
	s_or_b64 s[6:7], s[2:3], s[6:7]
	s_andn2_b64 s[2:3], s[66:67], exec
	s_and_b64 s[8:9], s[8:9], exec
	s_or_b64 s[2:3], s[2:3], s[8:9]
	s_orn2_b64 s[14:15], s[10:11], exec
.LBB95_817:
	s_or_b64 exec, exec, s[72:73]
	s_mov_b64 s[10:11], 0
	s_mov_b64 s[8:9], 0
	;; [unrolled: 1-line block ×3, first 2 shown]
                                        ; implicit-def: $vgpr1_vgpr2
                                        ; implicit-def: $vgpr0
                                        ; implicit-def: $vgpr3_vgpr4
	s_and_saveexec_b64 s[72:73], s[14:15]
	s_cbranch_execz .LBB95_916
; %bb.818:
	v_cmp_gt_i32_e32 vcc, s74, v11
	s_mov_b64 s[14:15], s[2:3]
	s_mov_b64 s[16:17], 0
                                        ; implicit-def: $vgpr1_vgpr2
                                        ; implicit-def: $vgpr0
                                        ; implicit-def: $vgpr3_vgpr4
	s_and_saveexec_b64 s[74:75], vcc
	s_cbranch_execz .LBB95_915
; %bb.819:
	s_andn2_b64 vcc, exec, s[46:47]
	s_cbranch_vccnz .LBB95_824
; %bb.820:
	s_andn2_b64 vcc, exec, s[58:59]
	s_cbranch_vccnz .LBB95_825
; %bb.821:
	s_add_i32 s80, s79, 1
	s_cmp_eq_u32 s76, 2
	s_cbranch_scc1 .LBB95_826
; %bb.822:
	s_and_b32 s79, s80, 28
	v_mov_b32_e32 v2, 0
	s_mov_b32 s81, 0
	s_mov_b64 s[58:59], s[34:35]
	v_mov_b32_e32 v0, 0
	v_mov_b32_e32 v1, v11
.LBB95_823:                             ; =>This Inner Loop Header: Depth=1
	s_load_dwordx8 s[16:23], s[58:59], 0x4
	s_load_dwordx4 s[40:43], s[58:59], 0x24
	s_load_dwordx8 s[8:15], s[56:57], 0x0
	s_add_u32 s58, s58, 48
	s_addc_u32 s59, s59, 0
	s_waitcnt vmcnt(0) lgkmcnt(0)
	v_mul_hi_u32 v3, s17, v1
	s_add_i32 s81, s81, 4
	s_add_u32 s56, s56, 32
	s_addc_u32 s57, s57, 0
	v_add_u32_e32 v3, v1, v3
	v_lshrrev_b32_e32 v3, s18, v3
	v_mul_lo_u32 v4, v3, s16
	v_mul_hi_u32 v5, s20, v3
	s_cmp_eq_u32 s79, s81
	v_sub_u32_e32 v1, v1, v4
	v_add_u32_e32 v4, v3, v5
	v_mul_lo_u32 v5, v1, s8
	v_mul_lo_u32 v6, v1, s9
	v_lshrrev_b32_e32 v1, s21, v4
	v_mul_lo_u32 v4, v1, s19
	v_mul_hi_u32 v7, s23, v1
	v_sub_u32_e32 v3, v3, v4
	v_add_u32_e32 v4, v1, v7
	v_lshrrev_b32_e32 v4, s40, v4
	v_mul_hi_u32 v8, s42, v4
	v_mul_lo_u32 v9, v4, s22
	v_mul_lo_u32 v7, v3, s10
	v_mul_lo_u32 v3, v3, s11
	v_sub_u32_e32 v9, v1, v9
	v_add_u32_e32 v1, v4, v8
	v_lshrrev_b32_e32 v1, s43, v1
	v_mul_lo_u32 v8, v1, s41
	v_mul_lo_u32 v10, v9, s12
	;; [unrolled: 1-line block ×3, first 2 shown]
	v_add3_u32 v0, v5, v0, v7
	v_sub_u32_e32 v4, v4, v8
	v_mul_lo_u32 v8, v4, s14
	v_mul_lo_u32 v4, v4, s15
	v_add3_u32 v2, v6, v2, v3
	v_add3_u32 v0, v10, v0, v8
	;; [unrolled: 1-line block ×3, first 2 shown]
	s_cbranch_scc0 .LBB95_823
	s_branch .LBB95_827
.LBB95_824:
	s_mov_b64 s[8:9], -1
                                        ; implicit-def: $vgpr0
                                        ; implicit-def: $vgpr2
	s_branch .LBB95_831
.LBB95_825:
	v_mov_b32_e32 v0, 0
	v_mov_b32_e32 v2, 0
	s_branch .LBB95_830
.LBB95_826:
	s_mov_b32 s79, 0
	v_mov_b32_e32 v0, 0
	v_mov_b32_e32 v2, 0
	;; [unrolled: 1-line block ×3, first 2 shown]
.LBB95_827:
	s_and_b32 s12, s80, 3
	s_cmp_eq_u32 s12, 0
	s_cbranch_scc1 .LBB95_830
; %bb.828:
	s_lshl_b32 s8, s79, 3
	s_add_u32 s8, s34, s8
	s_addc_u32 s9, s35, 0
	s_add_u32 s8, s8, 0xc4
	s_addc_u32 s9, s9, 0
	s_mul_i32 s10, s79, 12
	s_add_u32 s10, s34, s10
	s_addc_u32 s11, s35, 0
.LBB95_829:                             ; =>This Inner Loop Header: Depth=1
	s_load_dwordx2 s[14:15], s[10:11], 0x4
	s_load_dword s13, s[10:11], 0xc
	s_load_dwordx2 s[16:17], s[8:9], 0x0
	s_add_u32 s10, s10, 12
	s_addc_u32 s11, s11, 0
	s_waitcnt vmcnt(0) lgkmcnt(0)
	v_mul_hi_u32 v3, s15, v1
	s_add_u32 s8, s8, 8
	s_addc_u32 s9, s9, 0
	s_add_i32 s12, s12, -1
	v_add_u32_e32 v3, v1, v3
	v_lshrrev_b32_e32 v4, s13, v3
	v_mul_lo_u32 v3, v4, s14
	s_cmp_lg_u32 s12, 0
	v_sub_u32_e32 v3, v1, v3
	v_mad_u64_u32 v[0:1], s[14:15], v3, s16, v[0:1]
	v_mad_u64_u32 v[2:3], s[14:15], v3, s17, v[2:3]
	v_mov_b32_e32 v1, v4
	s_cbranch_scc1 .LBB95_829
.LBB95_830:
	s_mov_b64 s[8:9], 0
.LBB95_831:
	s_andn2_b64 vcc, exec, s[8:9]
	s_cbranch_vccnz .LBB95_834
; %bb.832:
	v_mul_hi_u32 v0, s29, v11
	s_andn2_b64 vcc, exec, s[54:55]
	v_add_u32_e32 v0, v11, v0
	v_lshrrev_b32_e32 v1, s30, v0
	v_mul_lo_u32 v0, v1, s28
	v_sub_u32_e32 v2, v11, v0
	v_mul_lo_u32 v0, v2, s36
	v_mul_lo_u32 v2, v2, s37
	s_cbranch_vccnz .LBB95_834
; %bb.833:
	s_waitcnt vmcnt(0)
	v_mul_hi_u32 v3, s52, v1
	v_add_u32_e32 v3, v1, v3
	v_lshrrev_b32_e32 v3, s53, v3
	v_mul_lo_u32 v3, v3, s31
	v_sub_u32_e32 v3, v1, v3
	v_mad_u64_u32 v[0:1], s[8:9], v3, s38, v[0:1]
	v_mad_u64_u32 v[2:3], s[8:9], v3, s39, v[2:3]
.LBB95_834:
	s_waitcnt vmcnt(0)
	v_mov_b32_e32 v3, s27
	s_and_b32 s18, 0xffff, s78
	v_add_co_u32_e32 v1, vcc, s26, v2
	s_cmp_lt_i32 s18, 11
	v_addc_co_u32_e32 v2, vcc, 0, v3, vcc
	s_cbranch_scc1 .LBB95_841
; %bb.835:
	s_cmp_gt_i32 s18, 25
	s_mov_b64 s[10:11], 0
	s_cbranch_scc0 .LBB95_842
; %bb.836:
	s_cmp_gt_i32 s18, 28
	s_cbranch_scc0 .LBB95_843
; %bb.837:
	s_cmp_gt_i32 s18, 43
	;; [unrolled: 3-line block ×3, first 2 shown]
	s_cbranch_scc0 .LBB95_847
; %bb.839:
	s_cmp_eq_u32 s18, 46
	s_mov_b64 s[14:15], 0
	s_cbranch_scc0 .LBB95_850
; %bb.840:
	global_load_dword v3, v[1:2], off
	s_mov_b64 s[8:9], 0
	s_mov_b64 s[12:13], -1
	s_waitcnt vmcnt(0)
	v_lshlrev_b32_e32 v3, 16, v3
	v_cvt_f64_f32_e32 v[3:4], v3
	s_branch .LBB95_851
.LBB95_841:
	s_mov_b64 s[14:15], -1
	s_mov_b64 s[12:13], 0
	s_mov_b64 s[10:11], 0
	;; [unrolled: 1-line block ×3, first 2 shown]
                                        ; implicit-def: $vgpr3_vgpr4
	s_branch .LBB95_914
.LBB95_842:
	s_mov_b64 s[14:15], -1
	s_mov_b64 s[12:13], 0
	s_mov_b64 s[8:9], s[2:3]
                                        ; implicit-def: $vgpr3_vgpr4
	s_branch .LBB95_882
.LBB95_843:
	s_mov_b64 s[14:15], -1
	s_mov_b64 s[12:13], 0
	s_mov_b64 s[8:9], s[2:3]
                                        ; implicit-def: $vgpr3_vgpr4
	s_branch .LBB95_861
.LBB95_844:
	s_mov_b64 s[14:15], -1
	s_mov_b64 s[12:13], 0
	s_mov_b64 s[8:9], s[2:3]
                                        ; implicit-def: $vgpr3_vgpr4
	s_branch .LBB95_856
.LBB95_845:
	s_andn2_saveexec_b64 s[14:15], s[14:15]
	s_cbranch_execz .LBB95_725
.LBB95_846:
	v_add_f32_e32 v2, 0x46000000, v3
	v_and_b32_e32 v2, 0xff, v2
	v_cmp_ne_u32_e32 vcc, 0, v2
	s_andn2_b64 s[12:13], s[12:13], exec
	s_and_b64 s[18:19], vcc, exec
	s_or_b64 s[12:13], s[12:13], s[18:19]
	s_or_b64 exec, exec, s[14:15]
	v_mov_b32_e32 v4, 0
	s_and_saveexec_b64 s[14:15], s[12:13]
	s_cbranch_execnz .LBB95_726
	s_branch .LBB95_727
.LBB95_847:
	s_mov_b64 s[14:15], -1
	s_mov_b64 s[12:13], 0
	s_mov_b64 s[8:9], s[2:3]
                                        ; implicit-def: $vgpr3_vgpr4
	s_branch .LBB95_851
.LBB95_848:
	s_andn2_saveexec_b64 s[14:15], s[14:15]
	s_cbranch_execz .LBB95_738
.LBB95_849:
	v_add_f32_e32 v2, 0x42800000, v3
	v_and_b32_e32 v2, 0xff, v2
	v_cmp_ne_u32_e32 vcc, 0, v2
	s_andn2_b64 s[12:13], s[12:13], exec
	s_and_b64 s[18:19], vcc, exec
	s_or_b64 s[12:13], s[12:13], s[18:19]
	s_or_b64 exec, exec, s[14:15]
	v_mov_b32_e32 v4, 0
	s_and_saveexec_b64 s[14:15], s[12:13]
	s_cbranch_execnz .LBB95_739
	s_branch .LBB95_740
.LBB95_850:
	s_mov_b64 s[8:9], -1
                                        ; implicit-def: $vgpr3_vgpr4
	s_mov_b64 s[12:13], 0
.LBB95_851:
	s_and_b64 vcc, exec, s[14:15]
	s_cbranch_vccz .LBB95_855
; %bb.852:
	s_cmp_eq_u32 s18, 44
	s_cbranch_scc0 .LBB95_854
; %bb.853:
	global_load_ubyte v5, v[1:2], off
	s_movk_i32 s12, 0xff
	v_bfrev_b32_e32 v6, 4
	v_mov_b32_e32 v7, 0x7ff80000
	v_bfrev_b32_e32 v8, 28
	s_mov_b64 s[8:9], 0
	s_waitcnt vmcnt(0)
	v_lshlrev_b32_e32 v3, 23, v5
	v_cvt_f64_f32_e32 v[3:4], v3
	v_cmp_ne_u32_e32 vcc, s12, v5
	s_mov_b64 s[12:13], -1
	v_cndmask_b32_e32 v3, v6, v3, vcc
	v_cndmask_b32_e32 v4, v7, v4, vcc
	v_cmp_ne_u32_e32 vcc, 0, v5
	v_cndmask_b32_e32 v4, v8, v4, vcc
	v_cndmask_b32_e32 v3, 0, v3, vcc
	s_branch .LBB95_855
.LBB95_854:
	s_mov_b64 s[8:9], -1
                                        ; implicit-def: $vgpr3_vgpr4
.LBB95_855:
	s_mov_b64 s[14:15], 0
.LBB95_856:
	s_and_b64 vcc, exec, s[14:15]
	s_cbranch_vccz .LBB95_860
; %bb.857:
	s_cmp_eq_u32 s18, 29
	s_cbranch_scc0 .LBB95_859
; %bb.858:
	global_load_dwordx2 v[3:4], v[1:2], off
	s_mov_b64 s[8:9], 0
	s_mov_b64 s[12:13], -1
	s_mov_b64 s[14:15], 0
	s_waitcnt vmcnt(0)
	v_cvt_f64_u32_e32 v[4:5], v4
	v_cvt_f64_u32_e32 v[6:7], v3
	v_ldexp_f64 v[4:5], v[4:5], 32
	v_add_f64 v[3:4], v[4:5], v[6:7]
	s_branch .LBB95_861
.LBB95_859:
	s_mov_b64 s[8:9], -1
                                        ; implicit-def: $vgpr3_vgpr4
.LBB95_860:
	s_mov_b64 s[14:15], 0
.LBB95_861:
	s_and_b64 vcc, exec, s[14:15]
	s_cbranch_vccz .LBB95_881
; %bb.862:
	s_cmp_lt_i32 s18, 27
	s_cbranch_scc1 .LBB95_865
; %bb.863:
	s_cmp_gt_i32 s18, 27
	s_cbranch_scc0 .LBB95_866
; %bb.864:
	global_load_dword v3, v[1:2], off
	s_mov_b64 s[12:13], 0
	s_waitcnt vmcnt(0)
	v_cvt_f64_u32_e32 v[3:4], v3
	s_branch .LBB95_867
.LBB95_865:
	s_mov_b64 s[12:13], -1
                                        ; implicit-def: $vgpr3_vgpr4
	s_branch .LBB95_870
.LBB95_866:
	s_mov_b64 s[12:13], -1
                                        ; implicit-def: $vgpr3_vgpr4
.LBB95_867:
	s_andn2_b64 vcc, exec, s[12:13]
	s_cbranch_vccnz .LBB95_869
; %bb.868:
	global_load_ushort v3, v[1:2], off
	s_waitcnt vmcnt(0)
	v_cvt_f64_u32_e32 v[3:4], v3
.LBB95_869:
	s_mov_b64 s[12:13], 0
.LBB95_870:
	s_andn2_b64 vcc, exec, s[12:13]
	s_cbranch_vccnz .LBB95_880
; %bb.871:
	global_load_ubyte v5, v[1:2], off
	s_movk_i32 s12, 0x7f
	s_waitcnt vmcnt(0)
	v_cmp_lt_i16_e32 vcc, s12, v5
	s_mov_b64 s[12:13], 0
	s_and_saveexec_b64 s[14:15], vcc
	s_xor_b64 s[14:15], exec, s[14:15]
	s_cbranch_execz .LBB95_875
; %bb.872:
	s_movk_i32 s12, 0x80
	v_cmp_eq_u16_e32 vcc, s12, v5
	s_mov_b64 s[12:13], -1
	s_and_saveexec_b64 s[16:17], vcc
; %bb.873:
	s_xor_b64 s[12:13], exec, -1
; %bb.874:
	s_or_b64 exec, exec, s[16:17]
	s_and_b64 s[12:13], s[12:13], exec
.LBB95_875:
	s_or_saveexec_b64 s[14:15], s[14:15]
	v_bfrev_b32_e32 v3, 4
	v_mov_b32_e32 v4, 0x7ff80000
	s_xor_b64 exec, exec, s[14:15]
; %bb.876:
	v_cmp_ne_u16_e32 vcc, 0, v5
	v_mov_b32_e32 v3, 0
	s_andn2_b64 s[12:13], s[12:13], exec
	s_and_b64 s[16:17], vcc, exec
	v_mov_b32_e32 v4, 0
	s_or_b64 s[12:13], s[12:13], s[16:17]
; %bb.877:
	s_or_b64 exec, exec, s[14:15]
	s_and_saveexec_b64 s[14:15], s[12:13]
	s_cbranch_execz .LBB95_879
; %bb.878:
	v_and_b32_e32 v4, 0xffff, v5
	v_lshlrev_b32_e32 v3, 24, v5
	v_and_b32_e32 v5, 7, v4
	v_ffbh_u32_e32 v7, v5
	v_min_u32_e32 v7, 32, v7
	v_subrev_u32_e32 v8, 28, v7
	v_bfe_u32 v6, v4, 3, 4
	v_lshlrev_b32_e32 v4, v8, v4
	v_sub_u32_e32 v7, 29, v7
	v_and_b32_e32 v4, 7, v4
	v_cmp_eq_u32_e32 vcc, 0, v6
	v_cndmask_b32_e32 v6, v6, v7, vcc
	v_cndmask_b32_e32 v4, v5, v4, vcc
	v_mov_b32_e32 v5, 0x3b800000
	v_lshlrev_b32_e32 v4, 20, v4
	v_and_b32_e32 v3, 0x80000000, v3
	v_lshl_add_u32 v5, v6, 23, v5
	v_or3_b32 v3, v3, v5, v4
	v_cvt_f64_f32_e32 v[3:4], v3
.LBB95_879:
	s_or_b64 exec, exec, s[14:15]
.LBB95_880:
	s_mov_b64 s[12:13], -1
.LBB95_881:
	s_mov_b64 s[14:15], 0
.LBB95_882:
	s_and_b64 vcc, exec, s[14:15]
	s_cbranch_vccz .LBB95_913
; %bb.883:
	s_cmp_gt_i32 s18, 22
	s_cbranch_scc0 .LBB95_895
; %bb.884:
	s_cmp_lt_i32 s18, 24
	s_cbranch_scc1 .LBB95_896
; %bb.885:
	s_cmp_gt_i32 s18, 24
	s_cbranch_scc0 .LBB95_897
; %bb.886:
	global_load_ubyte v5, v[1:2], off
	s_movk_i32 s10, 0x7f
	s_waitcnt vmcnt(0)
	v_cmp_lt_i16_e32 vcc, s10, v5
	s_mov_b64 s[10:11], 0
	s_and_saveexec_b64 s[12:13], vcc
	s_xor_b64 s[12:13], exec, s[12:13]
	s_cbranch_execz .LBB95_890
; %bb.887:
	s_movk_i32 s10, 0x80
	v_cmp_eq_u16_e32 vcc, s10, v5
	s_mov_b64 s[10:11], -1
	s_and_saveexec_b64 s[14:15], vcc
; %bb.888:
	s_xor_b64 s[10:11], exec, -1
; %bb.889:
	s_or_b64 exec, exec, s[14:15]
	s_and_b64 s[10:11], s[10:11], exec
.LBB95_890:
	s_or_saveexec_b64 s[12:13], s[12:13]
	v_bfrev_b32_e32 v3, 4
	v_mov_b32_e32 v4, 0x7ff80000
	s_xor_b64 exec, exec, s[12:13]
; %bb.891:
	v_cmp_ne_u16_e32 vcc, 0, v5
	v_mov_b32_e32 v3, 0
	s_andn2_b64 s[10:11], s[10:11], exec
	s_and_b64 s[14:15], vcc, exec
	v_mov_b32_e32 v4, 0
	s_or_b64 s[10:11], s[10:11], s[14:15]
; %bb.892:
	s_or_b64 exec, exec, s[12:13]
	s_and_saveexec_b64 s[12:13], s[10:11]
	s_cbranch_execz .LBB95_894
; %bb.893:
	v_and_b32_e32 v4, 0xffff, v5
	v_lshlrev_b32_e32 v3, 24, v5
	v_and_b32_e32 v5, 3, v4
	v_ffbh_u32_e32 v7, v5
	v_min_u32_e32 v7, 32, v7
	v_subrev_u32_e32 v8, 29, v7
	v_bfe_u32 v6, v4, 2, 5
	v_lshlrev_b32_e32 v4, v8, v4
	v_sub_u32_e32 v7, 30, v7
	v_and_b32_e32 v4, 3, v4
	v_cmp_eq_u32_e32 vcc, 0, v6
	v_cndmask_b32_e32 v6, v6, v7, vcc
	v_cndmask_b32_e32 v4, v5, v4, vcc
	v_mov_b32_e32 v5, 0x37800000
	v_lshlrev_b32_e32 v4, 21, v4
	v_and_b32_e32 v3, 0x80000000, v3
	v_lshl_add_u32 v5, v6, 23, v5
	v_or3_b32 v3, v3, v5, v4
	v_cvt_f64_f32_e32 v[3:4], v3
.LBB95_894:
	s_or_b64 exec, exec, s[12:13]
	s_mov_b64 s[10:11], 0
	s_branch .LBB95_898
.LBB95_895:
	s_mov_b64 s[10:11], -1
                                        ; implicit-def: $vgpr3_vgpr4
	s_branch .LBB95_904
.LBB95_896:
	s_mov_b64 s[10:11], -1
                                        ; implicit-def: $vgpr3_vgpr4
	s_branch .LBB95_901
.LBB95_897:
	s_mov_b64 s[10:11], -1
                                        ; implicit-def: $vgpr3_vgpr4
.LBB95_898:
	s_and_b64 vcc, exec, s[10:11]
	s_cbranch_vccz .LBB95_900
; %bb.899:
	global_load_ubyte v3, v[1:2], off
	s_mov_b32 s10, 0x7f800000
	s_waitcnt vmcnt(0)
	v_lshlrev_b32_e32 v3, 24, v3
	v_and_b32_e32 v4, 0x7f000000, v3
	v_ffbh_u32_e32 v5, v4
	v_min_u32_e32 v5, 32, v5
	v_sub_u32_e64 v5, v5, 4 clamp
	v_lshlrev_b32_e32 v7, v5, v4
	v_lshlrev_b32_e32 v5, 23, v5
	v_lshrrev_b32_e32 v7, 4, v7
	v_add_u32_e32 v6, 0x1000000, v4
	v_sub_u32_e32 v5, v7, v5
	v_ashrrev_i32_e32 v6, 8, v6
	v_add_u32_e32 v5, 0x3c000000, v5
	v_and_or_b32 v5, v6, s10, v5
	v_cmp_ne_u32_e32 vcc, 0, v4
	v_cndmask_b32_e32 v4, 0, v5, vcc
	s_brev_b32 s10, 1
	v_and_or_b32 v3, v3, s10, v4
	v_cvt_f64_f32_e32 v[3:4], v3
.LBB95_900:
	s_mov_b64 s[10:11], 0
.LBB95_901:
	s_andn2_b64 vcc, exec, s[10:11]
	s_cbranch_vccnz .LBB95_903
; %bb.902:
	global_load_ubyte v3, v[1:2], off
	s_movk_i32 s10, 0x7f00
	s_brev_b32 s11, 16
	s_waitcnt vmcnt(0)
	v_lshlrev_b16_e32 v4, 8, v3
	v_lshlrev_b32_e32 v3, 25, v3
	v_lshrrev_b32_e32 v5, 4, v3
	v_and_or_b32 v6, v4, s10, 0.5
	v_or_b32_e32 v5, 0x70000000, v5
	v_add_f32_e32 v6, -0.5, v6
	v_mul_f32_e32 v5, 0x7800000, v5
	v_cmp_gt_u32_e32 vcc, s11, v3
	v_bfe_i32 v4, v4, 0, 16
	v_cndmask_b32_e32 v3, v5, v6, vcc
	s_brev_b32 s10, 1
	v_and_or_b32 v3, v4, s10, v3
	v_cvt_f64_f32_e32 v[3:4], v3
.LBB95_903:
	s_mov_b64 s[10:11], 0
	s_mov_b64 s[12:13], -1
.LBB95_904:
	s_andn2_b64 vcc, exec, s[10:11]
	s_mov_b64 s[10:11], 0
	s_cbranch_vccnz .LBB95_913
; %bb.905:
	s_cmp_gt_i32 s18, 14
	s_cbranch_scc0 .LBB95_908
; %bb.906:
	s_cmp_eq_u32 s18, 15
	s_cbranch_scc0 .LBB95_909
; %bb.907:
	global_load_ushort v3, v[1:2], off
	s_mov_b64 s[8:9], 0
	s_mov_b64 s[12:13], -1
	s_waitcnt vmcnt(0)
	v_lshlrev_b32_e32 v3, 16, v3
	v_cvt_f64_f32_e32 v[3:4], v3
	s_branch .LBB95_910
.LBB95_908:
	s_mov_b64 s[14:15], -1
                                        ; implicit-def: $vgpr3_vgpr4
	s_branch .LBB95_911
.LBB95_909:
	s_mov_b64 s[8:9], -1
                                        ; implicit-def: $vgpr3_vgpr4
.LBB95_910:
	s_mov_b64 s[14:15], 0
.LBB95_911:
	s_and_b64 vcc, exec, s[14:15]
	s_cbranch_vccz .LBB95_913
; %bb.912:
	s_cmp_lg_u32 s18, 11
	s_cselect_b64 s[14:15], -1, 0
	s_andn2_b64 s[8:9], s[8:9], exec
	s_and_b64 s[14:15], s[14:15], exec
	s_mov_b64 s[10:11], -1
	s_or_b64 s[8:9], s[8:9], s[14:15]
.LBB95_913:
	s_mov_b64 s[14:15], 0
.LBB95_914:
	s_and_b64 s[16:17], s[14:15], exec
	s_andn2_b64 s[14:15], s[2:3], exec
	s_and_b64 s[8:9], s[8:9], exec
	s_and_b64 s[12:13], s[12:13], exec
	;; [unrolled: 1-line block ×3, first 2 shown]
	s_or_b64 s[14:15], s[14:15], s[8:9]
.LBB95_915:
	s_or_b64 exec, exec, s[74:75]
	s_andn2_b64 s[2:3], s[2:3], exec
	s_and_b64 s[14:15], s[14:15], exec
	s_and_b64 s[12:13], s[12:13], exec
	;; [unrolled: 1-line block ×4, first 2 shown]
	s_or_b64 s[2:3], s[2:3], s[14:15]
.LBB95_916:
	s_or_b64 exec, exec, s[72:73]
	s_andn2_b64 s[14:15], s[68:69], exec
	s_and_b64 s[6:7], s[6:7], exec
	s_or_b64 s[68:69], s[14:15], s[6:7]
	s_and_b64 s[6:7], s[10:11], exec
	s_andn2_b64 s[10:11], s[66:67], exec
	s_and_b64 s[2:3], s[2:3], exec
	s_and_b64 s[12:13], s[12:13], exec
	s_and_b64 s[8:9], s[8:9], exec
	s_or_b64 s[66:67], s[10:11], s[2:3]
.LBB95_917:
	s_or_b64 exec, exec, s[70:71]
	s_andn2_b64 s[2:3], s[60:61], exec
	s_and_b64 s[10:11], s[68:69], exec
	s_or_b64 s[60:61], s[2:3], s[10:11]
	s_and_b64 s[68:69], s[6:7], exec
	s_andn2_b64 s[2:3], s[62:63], exec
	s_and_b64 s[6:7], s[66:67], exec
	s_and_b64 s[10:11], s[12:13], exec
	;; [unrolled: 1-line block ×3, first 2 shown]
	s_or_b64 s[62:63], s[2:3], s[6:7]
	s_or_b64 exec, exec, s[64:65]
	s_mov_b64 s[2:3], 0
	s_and_saveexec_b64 s[6:7], s[62:63]
	s_cbranch_execz .LBB95_274
.LBB95_918:
	s_mov_b64 s[2:3], exec
	s_andn2_b64 s[68:69], s[68:69], exec
	s_trap 2
	s_or_b64 exec, exec, s[6:7]
	s_and_saveexec_b64 s[6:7], s[68:69]
	s_xor_b64 s[6:7], exec, s[6:7]
	s_cbranch_execnz .LBB95_275
.LBB95_919:
	s_or_b64 exec, exec, s[6:7]
	s_and_saveexec_b64 s[6:7], s[8:9]
	s_cbranch_execz .LBB95_965
.LBB95_920:
	s_sext_i32_i16 s8, s78
	s_cmp_lt_i32 s8, 5
	s_cbranch_scc1 .LBB95_925
; %bb.921:
	s_cmp_lt_i32 s8, 8
	s_cbranch_scc1 .LBB95_926
; %bb.922:
	;; [unrolled: 3-line block ×3, first 2 shown]
	s_cmp_gt_i32 s8, 9
	s_cbranch_scc0 .LBB95_928
; %bb.924:
	global_load_dwordx2 v[3:4], v[1:2], off
	s_mov_b64 s[8:9], 0
	s_branch .LBB95_929
.LBB95_925:
                                        ; implicit-def: $vgpr3_vgpr4
	s_branch .LBB95_946
.LBB95_926:
                                        ; implicit-def: $vgpr3_vgpr4
	s_branch .LBB95_935
.LBB95_927:
	s_mov_b64 s[8:9], -1
                                        ; implicit-def: $vgpr3_vgpr4
	s_branch .LBB95_932
.LBB95_928:
	s_mov_b64 s[8:9], -1
                                        ; implicit-def: $vgpr3_vgpr4
.LBB95_929:
	s_andn2_b64 vcc, exec, s[8:9]
	s_cbranch_vccnz .LBB95_931
; %bb.930:
	global_load_dword v3, v[1:2], off
	s_waitcnt vmcnt(0)
	v_cvt_f64_f32_e32 v[3:4], v3
.LBB95_931:
	s_mov_b64 s[8:9], 0
.LBB95_932:
	s_andn2_b64 vcc, exec, s[8:9]
	s_cbranch_vccnz .LBB95_934
; %bb.933:
	global_load_dword v3, v[1:2], off
	s_waitcnt vmcnt(0)
	v_cvt_f32_f16_e32 v3, v3
	v_cvt_f64_f32_e32 v[3:4], v3
.LBB95_934:
	s_cbranch_execnz .LBB95_945
.LBB95_935:
	s_sext_i32_i16 s8, s78
	s_cmp_lt_i32 s8, 6
	s_cbranch_scc1 .LBB95_938
; %bb.936:
	s_cmp_gt_i32 s8, 6
	s_cbranch_scc0 .LBB95_939
; %bb.937:
	global_load_dwordx2 v[3:4], v[1:2], off
	s_mov_b64 s[8:9], 0
	s_branch .LBB95_940
.LBB95_938:
	s_mov_b64 s[8:9], -1
                                        ; implicit-def: $vgpr3_vgpr4
	s_branch .LBB95_943
.LBB95_939:
	s_mov_b64 s[8:9], -1
                                        ; implicit-def: $vgpr3_vgpr4
.LBB95_940:
	s_andn2_b64 vcc, exec, s[8:9]
	s_cbranch_vccnz .LBB95_942
; %bb.941:
	global_load_dword v3, v[1:2], off
	s_waitcnt vmcnt(0)
	v_cvt_f64_f32_e32 v[3:4], v3
.LBB95_942:
	s_mov_b64 s[8:9], 0
.LBB95_943:
	s_andn2_b64 vcc, exec, s[8:9]
	s_cbranch_vccnz .LBB95_945
; %bb.944:
	global_load_ushort v3, v[1:2], off
	s_waitcnt vmcnt(0)
	v_cvt_f32_f16_e32 v3, v3
	v_cvt_f64_f32_e32 v[3:4], v3
.LBB95_945:
	s_cbranch_execnz .LBB95_964
.LBB95_946:
	s_sext_i32_i16 s8, s78
	s_cmp_lt_i32 s8, 2
	s_cbranch_scc1 .LBB95_950
; %bb.947:
	s_cmp_lt_i32 s8, 3
	s_cbranch_scc1 .LBB95_951
; %bb.948:
	s_cmp_gt_i32 s8, 3
	s_cbranch_scc0 .LBB95_952
; %bb.949:
	global_load_dwordx2 v[3:4], v[1:2], off
	s_mov_b64 s[8:9], 0
	s_waitcnt vmcnt(0)
	v_cvt_f64_i32_e32 v[4:5], v4
	v_cvt_f64_u32_e32 v[6:7], v3
	v_ldexp_f64 v[4:5], v[4:5], 32
	v_add_f64 v[3:4], v[4:5], v[6:7]
	s_branch .LBB95_953
.LBB95_950:
                                        ; implicit-def: $vgpr3_vgpr4
	s_branch .LBB95_959
.LBB95_951:
	s_mov_b64 s[8:9], -1
                                        ; implicit-def: $vgpr3_vgpr4
	s_branch .LBB95_956
.LBB95_952:
	s_mov_b64 s[8:9], -1
                                        ; implicit-def: $vgpr3_vgpr4
.LBB95_953:
	s_andn2_b64 vcc, exec, s[8:9]
	s_cbranch_vccnz .LBB95_955
; %bb.954:
	global_load_dword v3, v[1:2], off
	s_waitcnt vmcnt(0)
	v_cvt_f64_i32_e32 v[3:4], v3
.LBB95_955:
	s_mov_b64 s[8:9], 0
.LBB95_956:
	s_andn2_b64 vcc, exec, s[8:9]
	s_cbranch_vccnz .LBB95_958
; %bb.957:
	global_load_sshort v3, v[1:2], off
	s_waitcnt vmcnt(0)
	v_cvt_f64_i32_e32 v[3:4], v3
.LBB95_958:
	s_cbranch_execnz .LBB95_964
.LBB95_959:
	s_sext_i32_i16 s8, s78
	s_cmp_gt_i32 s8, 0
	s_cbranch_scc0 .LBB95_961
; %bb.960:
	global_load_sbyte v3, v[1:2], off
	s_mov_b64 s[8:9], 0
	s_waitcnt vmcnt(0)
	v_cvt_f64_i32_e32 v[3:4], v3
	s_branch .LBB95_962
.LBB95_961:
	s_mov_b64 s[8:9], -1
                                        ; implicit-def: $vgpr3_vgpr4
.LBB95_962:
	s_andn2_b64 vcc, exec, s[8:9]
	s_cbranch_vccnz .LBB95_964
; %bb.963:
	global_load_ubyte v1, v[1:2], off
	s_waitcnt vmcnt(0)
	v_cvt_f64_u32_e32 v[3:4], v1
.LBB95_964:
	s_or_b64 s[10:11], s[10:11], exec
.LBB95_965:
	s_or_b64 exec, exec, s[6:7]
	s_mov_b64 s[14:15], 0
	s_mov_b64 s[12:13], 0
                                        ; implicit-def: $sgpr6_sgpr7
                                        ; implicit-def: $sgpr18
                                        ; implicit-def: $vgpr1_vgpr2
	s_and_saveexec_b64 s[8:9], s[10:11]
	s_cbranch_execz .LBB95_1040
; %bb.966:
	s_waitcnt vmcnt(0)
	v_cmp_eq_f64_e32 vcc, s[50:51], v[3:4]
	s_and_b32 s18, s77, 0xff
	s_cmp_lt_i32 s18, 11
	v_cndmask_b32_e64 v1, 0, 1, vcc
	v_cmp_neq_f64_e32 vcc, s[50:51], v[3:4]
	v_cndmask_b32_e64 v2, 0, 1, vcc
	v_cndmask_b32_e64 v1, v2, v1, s[0:1]
	v_and_b32_e32 v1, 1, v1
	v_cmp_eq_u32_e64 s[6:7], 1, v1
	v_mov_b32_e32 v2, s25
	v_add_co_u32_e32 v1, vcc, s24, v0
	v_addc_co_u32_e32 v2, vcc, 0, v2, vcc
	s_cbranch_scc1 .LBB95_1043
; %bb.967:
	s_and_b32 s19, 0xffff, s18
	s_mov_b64 s[12:13], -1
	s_cmp_gt_i32 s19, 25
	s_mov_b64 s[0:1], s[60:61]
	s_cbranch_scc0 .LBB95_1000
; %bb.968:
	s_mov_b64 s[10:11], -1
	s_cmp_gt_i32 s19, 28
	s_mov_b64 s[0:1], s[60:61]
	s_cbranch_scc0 .LBB95_984
; %bb.969:
	s_cmp_gt_i32 s19, 43
	s_mov_b64 s[0:1], s[60:61]
	s_cbranch_scc0 .LBB95_980
; %bb.970:
	;; [unrolled: 4-line block ×3, first 2 shown]
	s_cmp_eq_u32 s19, 46
	s_mov_b64 s[0:1], -1
	s_cbranch_scc0 .LBB95_973
; %bb.972:
	v_cndmask_b32_e64 v0, 0, 1.0, s[6:7]
	v_bfe_u32 v3, v0, 16, 1
	s_movk_i32 s0, 0x7fff
	v_add3_u32 v0, v0, v3, s0
	v_lshrrev_b32_e32 v0, 16, v0
	global_store_dword v[1:2], v0, off
	s_mov_b64 s[0:1], 0
.LBB95_973:
	s_mov_b64 s[10:11], 0
.LBB95_974:
	s_and_b64 vcc, exec, s[10:11]
	s_cbranch_vccz .LBB95_979
; %bb.975:
	s_cmp_eq_u32 s19, 44
	s_mov_b64 s[0:1], -1
	s_cbranch_scc0 .LBB95_979
; %bb.976:
	v_cndmask_b32_e64 v3, 0, 1.0, s[6:7]
	v_lshrrev_b32_e32 v0, 23, v3
	s_movk_i32 s0, 0xff
	v_cmp_ne_u32_e32 vcc, s0, v0
	v_mov_b32_e32 v4, 0xff
	s_and_saveexec_b64 s[10:11], vcc
; %bb.977:
	s_mov_b32 s0, 0x3fffff
	v_and_b32_e32 v4, 0x400000, v3
	v_and_or_b32 v3, v3, s0, v0
	v_cmp_ne_u32_e32 vcc, 0, v4
	v_cmp_ne_u32_e64 s[0:1], 0, v3
	s_and_b64 s[0:1], vcc, s[0:1]
	v_cndmask_b32_e64 v3, 0, 1, s[0:1]
	v_add_u32_e32 v4, v0, v3
; %bb.978:
	s_or_b64 exec, exec, s[10:11]
	s_mov_b64 s[0:1], 0
	global_store_byte v[1:2], v4, off
.LBB95_979:
	s_mov_b64 s[10:11], 0
.LBB95_980:
	s_and_b64 vcc, exec, s[10:11]
	s_cbranch_vccz .LBB95_983
; %bb.981:
	s_cmp_eq_u32 s19, 29
	s_mov_b64 s[0:1], -1
	s_cbranch_scc0 .LBB95_983
; %bb.982:
	s_mov_b32 s0, 0
	v_cndmask_b32_e64 v3, 0, 1, s[6:7]
	v_mov_b32_e32 v4, s0
	global_store_dwordx2 v[1:2], v[3:4], off
	s_mov_b64 s[0:1], 0
.LBB95_983:
	s_mov_b64 s[10:11], 0
.LBB95_984:
	s_and_b64 vcc, exec, s[10:11]
	s_cbranch_vccz .LBB95_999
; %bb.985:
	s_cmp_lt_i32 s19, 27
	s_mov_b64 s[10:11], -1
	s_cbranch_scc1 .LBB95_991
; %bb.986:
	s_cmp_gt_i32 s19, 27
	s_cbranch_scc0 .LBB95_988
; %bb.987:
	v_cndmask_b32_e64 v0, 0, 1, s[6:7]
	s_mov_b64 s[10:11], 0
	global_store_dword v[1:2], v0, off
.LBB95_988:
	s_andn2_b64 vcc, exec, s[10:11]
	s_cbranch_vccnz .LBB95_990
; %bb.989:
	v_cndmask_b32_e64 v0, 0, 1, s[6:7]
	global_store_short v[1:2], v0, off
.LBB95_990:
	s_mov_b64 s[10:11], 0
.LBB95_991:
	s_andn2_b64 vcc, exec, s[10:11]
	s_cbranch_vccnz .LBB95_999
; %bb.992:
	v_cndmask_b32_e64 v3, 0, 1.0, s[6:7]
	s_mov_b32 s10, 0x43800000
	v_cmp_gt_u32_e32 vcc, s10, v3
	v_mov_b32_e32 v4, 0x80
	s_and_saveexec_b64 s[10:11], vcc
	s_cbranch_execz .LBB95_998
; %bb.993:
	s_mov_b32 s12, 0x3bffffff
	v_cmp_lt_u32_e32 vcc, s12, v3
	s_mov_b64 s[12:13], 0
                                        ; implicit-def: $vgpr0
	s_and_saveexec_b64 s[14:15], vcc
	s_xor_b64 s[14:15], exec, s[14:15]
	s_cbranch_execz .LBB95_1156
; %bb.994:
	v_bfe_u32 v0, v3, 20, 1
	s_mov_b32 s16, 0x487ffff
	v_add3_u32 v0, v3, v0, s16
	s_mov_b64 s[12:13], exec
	v_lshrrev_b32_e32 v0, 20, v0
                                        ; implicit-def: $vgpr3
	s_andn2_saveexec_b64 s[14:15], s[14:15]
	s_cbranch_execnz .LBB95_1157
.LBB95_995:
	s_or_b64 exec, exec, s[14:15]
	v_mov_b32_e32 v4, 0
	s_and_saveexec_b64 s[14:15], s[12:13]
.LBB95_996:
	v_mov_b32_e32 v4, v0
.LBB95_997:
	s_or_b64 exec, exec, s[14:15]
.LBB95_998:
	s_or_b64 exec, exec, s[10:11]
	global_store_byte v[1:2], v4, off
.LBB95_999:
	s_mov_b64 s[12:13], 0
.LBB95_1000:
	s_mov_b64 s[10:11], 0
	s_and_b64 vcc, exec, s[12:13]
	s_cbranch_vccz .LBB95_1044
; %bb.1001:
	s_cmp_gt_i32 s19, 22
	s_mov_b64 s[12:13], -1
	s_cbranch_scc0 .LBB95_1033
; %bb.1002:
	s_cmp_lt_i32 s19, 24
	s_cbranch_scc1 .LBB95_1022
; %bb.1003:
	s_cmp_gt_i32 s19, 24
	s_cbranch_scc0 .LBB95_1011
; %bb.1004:
	v_cndmask_b32_e64 v3, 0, 1.0, s[6:7]
	s_mov_b32 s12, 0x47800000
	v_cmp_gt_u32_e32 vcc, s12, v3
	v_mov_b32_e32 v4, 0x80
	s_and_saveexec_b64 s[12:13], vcc
	s_cbranch_execz .LBB95_1010
; %bb.1005:
	s_mov_b32 s14, 0x37ffffff
	v_cmp_lt_u32_e32 vcc, s14, v3
	s_mov_b64 s[14:15], 0
                                        ; implicit-def: $vgpr0
	s_and_saveexec_b64 s[16:17], vcc
	s_xor_b64 s[16:17], exec, s[16:17]
	s_cbranch_execz .LBB95_1281
; %bb.1006:
	v_bfe_u32 v0, v3, 21, 1
	s_mov_b32 s20, 0x88fffff
	v_add3_u32 v0, v3, v0, s20
	s_mov_b64 s[14:15], exec
	v_lshrrev_b32_e32 v0, 21, v0
                                        ; implicit-def: $vgpr3
	s_andn2_saveexec_b64 s[16:17], s[16:17]
	s_cbranch_execnz .LBB95_1282
.LBB95_1007:
	s_or_b64 exec, exec, s[16:17]
	v_mov_b32_e32 v4, 0
	s_and_saveexec_b64 s[16:17], s[14:15]
.LBB95_1008:
	v_mov_b32_e32 v4, v0
.LBB95_1009:
	s_or_b64 exec, exec, s[16:17]
.LBB95_1010:
	s_or_b64 exec, exec, s[12:13]
	s_mov_b64 s[12:13], 0
	global_store_byte v[1:2], v4, off
.LBB95_1011:
	s_and_b64 vcc, exec, s[12:13]
	s_cbranch_vccz .LBB95_1021
; %bb.1012:
	v_cndmask_b32_e64 v0, 0, 1.0, s[6:7]
	s_mov_b32 s12, 0x43f00000
	v_cmp_gt_u32_e32 vcc, s12, v0
                                        ; implicit-def: $vgpr3
	s_and_saveexec_b64 s[12:13], vcc
	s_xor_b64 s[12:13], exec, s[12:13]
	s_cbranch_execz .LBB95_1018
; %bb.1013:
	s_mov_b32 s14, 0x3c7fffff
	v_cmp_lt_u32_e32 vcc, s14, v0
                                        ; implicit-def: $vgpr3
	s_and_saveexec_b64 s[14:15], vcc
	s_xor_b64 s[14:15], exec, s[14:15]
; %bb.1014:
	v_bfe_u32 v3, v0, 20, 1
	s_mov_b32 s16, 0x407ffff
	v_add3_u32 v0, v0, v3, s16
	v_lshrrev_b32_e32 v3, 20, v0
	v_and_b32_e32 v0, 0xff00000, v0
	s_mov_b32 s16, 0x7f00000
	v_mov_b32_e32 v4, 0x7e
	v_cmp_ne_u32_e32 vcc, s16, v0
	v_cndmask_b32_e32 v3, v4, v3, vcc
                                        ; implicit-def: $vgpr0
; %bb.1015:
	s_andn2_saveexec_b64 s[14:15], s[14:15]
; %bb.1016:
	v_add_f32_e32 v3, 0x46800000, v0
; %bb.1017:
	s_or_b64 exec, exec, s[14:15]
                                        ; implicit-def: $vgpr0
.LBB95_1018:
	s_andn2_saveexec_b64 s[12:13], s[12:13]
; %bb.1019:
	s_mov_b32 s14, 0x7f800000
	v_mov_b32_e32 v3, 0x7e
	v_mov_b32_e32 v4, 0x7f
	v_cmp_lt_u32_e32 vcc, s14, v0
	v_cndmask_b32_e32 v3, v3, v4, vcc
; %bb.1020:
	s_or_b64 exec, exec, s[12:13]
	global_store_byte v[1:2], v3, off
.LBB95_1021:
	s_mov_b64 s[12:13], 0
.LBB95_1022:
	s_andn2_b64 vcc, exec, s[12:13]
	s_cbranch_vccnz .LBB95_1032
; %bb.1023:
	v_cndmask_b32_e64 v0, 0, 1.0, s[6:7]
	s_mov_b32 s12, 0x47800000
	v_cmp_gt_u32_e32 vcc, s12, v0
                                        ; implicit-def: $vgpr3
	s_and_saveexec_b64 s[12:13], vcc
	s_xor_b64 s[12:13], exec, s[12:13]
	s_cbranch_execz .LBB95_1029
; %bb.1024:
	s_mov_b32 s14, 0x387fffff
	v_cmp_lt_u32_e32 vcc, s14, v0
                                        ; implicit-def: $vgpr3
	s_and_saveexec_b64 s[14:15], vcc
	s_xor_b64 s[14:15], exec, s[14:15]
; %bb.1025:
	v_bfe_u32 v3, v0, 21, 1
	s_mov_b32 s16, 0x80fffff
	v_add3_u32 v0, v0, v3, s16
	v_lshrrev_b32_e32 v3, 21, v0
                                        ; implicit-def: $vgpr0
; %bb.1026:
	s_andn2_saveexec_b64 s[14:15], s[14:15]
; %bb.1027:
	v_add_f32_e32 v3, 0x43000000, v0
; %bb.1028:
	s_or_b64 exec, exec, s[14:15]
                                        ; implicit-def: $vgpr0
.LBB95_1029:
	s_andn2_saveexec_b64 s[12:13], s[12:13]
; %bb.1030:
	s_mov_b32 s14, 0x7f800000
	v_mov_b32_e32 v3, 0x7c
	v_mov_b32_e32 v4, 0x7f
	v_cmp_lt_u32_e32 vcc, s14, v0
	v_cndmask_b32_e32 v3, v3, v4, vcc
; %bb.1031:
	s_or_b64 exec, exec, s[12:13]
	global_store_byte v[1:2], v3, off
.LBB95_1032:
	s_mov_b64 s[12:13], 0
.LBB95_1033:
	s_andn2_b64 vcc, exec, s[12:13]
	s_mov_b64 s[14:15], 0
	s_cbranch_vccnz .LBB95_1045
; %bb.1034:
	s_cmp_gt_i32 s19, 14
	s_mov_b64 s[12:13], -1
	s_cbranch_scc0 .LBB95_1038
; %bb.1035:
	s_cmp_eq_u32 s19, 15
	s_mov_b64 s[0:1], -1
	s_cbranch_scc0 .LBB95_1037
; %bb.1036:
	v_cndmask_b32_e64 v0, 0, 1.0, s[6:7]
	v_bfe_u32 v3, v0, 16, 1
	s_movk_i32 s0, 0x7fff
	v_add3_u32 v0, v0, v3, s0
	global_store_short_d16_hi v[1:2], v0, off
	s_mov_b64 s[0:1], 0
.LBB95_1037:
	s_mov_b64 s[12:13], 0
.LBB95_1038:
	s_and_b64 vcc, exec, s[12:13]
	s_cbranch_vccz .LBB95_1045
; %bb.1039:
	s_cmp_lg_u32 s19, 11
	s_cselect_b64 s[12:13], -1, 0
	s_andn2_b64 s[0:1], s[0:1], exec
	s_and_b64 s[12:13], s[12:13], exec
	s_mov_b64 s[14:15], -1
	s_or_b64 s[0:1], s[0:1], s[12:13]
	s_branch .LBB95_1045
.LBB95_1040:
	s_or_b64 exec, exec, s[8:9]
	s_and_saveexec_b64 s[0:1], s[60:61]
	s_cbranch_execnz .LBB95_1046
.LBB95_1041:
	s_or_b64 exec, exec, s[0:1]
	s_and_saveexec_b64 s[0:1], s[14:15]
	s_xor_b64 s[0:1], exec, s[0:1]
	s_cbranch_execz .LBB95_1047
.LBB95_1042:
	v_cndmask_b32_e64 v0, 0, 1, s[6:7]
	global_store_byte v[1:2], v0, off
	s_or_b64 exec, exec, s[0:1]
	s_and_saveexec_b64 s[0:1], s[12:13]
	s_xor_b64 s[0:1], exec, s[0:1]
	s_cbranch_execz .LBB95_1085
	s_branch .LBB95_1048
.LBB95_1043:
	s_mov_b64 s[10:11], -1
	s_mov_b64 s[0:1], s[60:61]
	s_branch .LBB95_1045
.LBB95_1044:
	s_mov_b64 s[14:15], 0
.LBB95_1045:
	s_and_b64 s[12:13], s[10:11], exec
	s_andn2_b64 s[10:11], s[60:61], exec
	s_and_b64 s[0:1], s[0:1], exec
	s_and_b64 s[14:15], s[14:15], exec
	s_or_b64 s[60:61], s[10:11], s[0:1]
	s_or_b64 exec, exec, s[8:9]
	s_and_saveexec_b64 s[0:1], s[60:61]
	s_cbranch_execz .LBB95_1041
.LBB95_1046:
	s_or_b64 s[2:3], s[2:3], exec
	s_andn2_b64 s[14:15], s[14:15], exec
	s_trap 2
	s_or_b64 exec, exec, s[0:1]
	s_and_saveexec_b64 s[0:1], s[14:15]
	s_xor_b64 s[0:1], exec, s[0:1]
	s_cbranch_execnz .LBB95_1042
.LBB95_1047:
	s_or_b64 exec, exec, s[0:1]
	s_and_saveexec_b64 s[0:1], s[12:13]
	s_xor_b64 s[0:1], exec, s[0:1]
	s_cbranch_execz .LBB95_1085
.LBB95_1048:
	s_sext_i32_i16 s10, s18
	s_cmp_lt_i32 s10, 5
	s_mov_b64 s[8:9], -1
	s_cbranch_scc1 .LBB95_1069
; %bb.1049:
	s_cmp_lt_i32 s10, 8
	s_cbranch_scc1 .LBB95_1059
; %bb.1050:
	s_cmp_lt_i32 s10, 9
	s_cbranch_scc1 .LBB95_1056
; %bb.1051:
	s_cmp_gt_i32 s10, 9
	s_cbranch_scc0 .LBB95_1053
; %bb.1052:
	v_cndmask_b32_e64 v0, 0, 1, s[6:7]
	s_waitcnt vmcnt(0)
	v_cvt_f64_u32_e32 v[3:4], v0
	v_mov_b32_e32 v5, 0
	v_mov_b32_e32 v6, v5
	s_mov_b64 s[8:9], 0
	global_store_dwordx4 v[1:2], v[3:6], off
.LBB95_1053:
	s_andn2_b64 vcc, exec, s[8:9]
	s_cbranch_vccnz .LBB95_1055
; %bb.1054:
	s_waitcnt vmcnt(0)
	v_cndmask_b32_e64 v3, 0, 1.0, s[6:7]
	v_mov_b32_e32 v4, 0
	global_store_dwordx2 v[1:2], v[3:4], off
.LBB95_1055:
	s_mov_b64 s[8:9], 0
.LBB95_1056:
	s_andn2_b64 vcc, exec, s[8:9]
	s_cbranch_vccnz .LBB95_1058
; %bb.1057:
	v_cndmask_b32_e64 v0, 0, 1.0, s[6:7]
	v_cvt_f16_f32_e32 v0, v0
	global_store_dword v[1:2], v0, off
.LBB95_1058:
	s_mov_b64 s[8:9], 0
.LBB95_1059:
	s_andn2_b64 vcc, exec, s[8:9]
	s_cbranch_vccnz .LBB95_1068
; %bb.1060:
	s_sext_i32_i16 s10, s18
	s_cmp_lt_i32 s10, 6
	s_mov_b64 s[8:9], -1
	s_cbranch_scc1 .LBB95_1066
; %bb.1061:
	s_cmp_gt_i32 s10, 6
	s_cbranch_scc0 .LBB95_1063
; %bb.1062:
	v_cndmask_b32_e64 v0, 0, 1, s[6:7]
	s_waitcnt vmcnt(0)
	v_cvt_f64_u32_e32 v[3:4], v0
	s_mov_b64 s[8:9], 0
	global_store_dwordx2 v[1:2], v[3:4], off
.LBB95_1063:
	s_andn2_b64 vcc, exec, s[8:9]
	s_cbranch_vccnz .LBB95_1065
; %bb.1064:
	v_cndmask_b32_e64 v0, 0, 1.0, s[6:7]
	global_store_dword v[1:2], v0, off
.LBB95_1065:
	s_mov_b64 s[8:9], 0
.LBB95_1066:
	s_andn2_b64 vcc, exec, s[8:9]
	s_cbranch_vccnz .LBB95_1068
; %bb.1067:
	v_cndmask_b32_e64 v0, 0, 1.0, s[6:7]
	v_cvt_f16_f32_e32 v0, v0
	global_store_short v[1:2], v0, off
.LBB95_1068:
	s_mov_b64 s[8:9], 0
.LBB95_1069:
	s_andn2_b64 vcc, exec, s[8:9]
	s_cbranch_vccnz .LBB95_1085
; %bb.1070:
	s_sext_i32_i16 s10, s18
	s_cmp_lt_i32 s10, 2
	s_mov_b64 s[8:9], -1
	s_cbranch_scc1 .LBB95_1080
; %bb.1071:
	s_cmp_lt_i32 s10, 3
	s_cbranch_scc1 .LBB95_1077
; %bb.1072:
	s_cmp_gt_i32 s10, 3
	s_cbranch_scc0 .LBB95_1074
; %bb.1073:
	s_mov_b32 s8, 0
	s_waitcnt vmcnt(0)
	v_cndmask_b32_e64 v3, 0, 1, s[6:7]
	v_mov_b32_e32 v4, s8
	s_mov_b64 s[8:9], 0
	global_store_dwordx2 v[1:2], v[3:4], off
.LBB95_1074:
	s_andn2_b64 vcc, exec, s[8:9]
	s_cbranch_vccnz .LBB95_1076
; %bb.1075:
	v_cndmask_b32_e64 v0, 0, 1, s[6:7]
	global_store_dword v[1:2], v0, off
.LBB95_1076:
	s_mov_b64 s[8:9], 0
.LBB95_1077:
	s_andn2_b64 vcc, exec, s[8:9]
	s_cbranch_vccnz .LBB95_1079
; %bb.1078:
	v_cndmask_b32_e64 v0, 0, 1, s[6:7]
	global_store_short v[1:2], v0, off
.LBB95_1079:
	s_mov_b64 s[8:9], 0
.LBB95_1080:
	s_andn2_b64 vcc, exec, s[8:9]
	s_cbranch_vccnz .LBB95_1085
; %bb.1081:
	s_sext_i32_i16 s8, s18
	s_cmp_gt_i32 s8, 0
	s_mov_b64 s[8:9], -1
	s_cbranch_scc0 .LBB95_1083
; %bb.1082:
	v_cndmask_b32_e64 v0, 0, 1, s[6:7]
	s_mov_b64 s[8:9], 0
	global_store_byte v[1:2], v0, off
.LBB95_1083:
	s_andn2_b64 vcc, exec, s[8:9]
	s_cbranch_vccnz .LBB95_1085
; %bb.1084:
	v_cndmask_b32_e64 v0, 0, 1, s[6:7]
	global_store_byte v[1:2], v0, off
.LBB95_1085:
	s_or_b64 exec, exec, s[0:1]
	s_and_b64 s[6:7], s[2:3], exec
                                        ; implicit-def: $vgpr15
                                        ; implicit-def: $vgpr11
.LBB95_1086:
	s_or_saveexec_b64 s[28:29], s[48:49]
	s_mov_b64 s[0:1], 0
                                        ; implicit-def: $sgpr2_sgpr3
                                        ; implicit-def: $vgpr0_vgpr1
                                        ; implicit-def: $sgpr22
	s_xor_b64 exec, exec, s[28:29]
	s_cbranch_execz .LBB95_2090
; %bb.1087:
	v_cndmask_b32_e64 v0, 0, 1, s[46:47]
	v_cmp_ne_u32_e64 s[0:1], 1, v0
	s_andn2_b64 vcc, exec, s[46:47]
	s_cbranch_vccnz .LBB95_1093
; %bb.1088:
	s_cmp_lg_u32 s33, 0
	s_mov_b32 s36, 0
	s_cbranch_scc0 .LBB95_1094
; %bb.1089:
	s_min_u32 s37, s76, 15
	s_add_i32 s37, s37, 1
	s_cmp_eq_u32 s76, 2
	s_cbranch_scc1 .LBB95_1095
; %bb.1090:
	s_and_b32 s36, s37, 28
	s_add_u32 s2, s34, 0xc4
	s_addc_u32 s3, s35, 0
	v_mov_b32_e32 v8, 0
	s_mov_b32 s38, 0
	s_mov_b64 s[30:31], s[34:35]
	v_mov_b32_e32 v6, 0
	v_mov_b32_e32 v0, v11
.LBB95_1091:                            ; =>This Inner Loop Header: Depth=1
	s_load_dwordx8 s[16:23], s[30:31], 0x4
	s_load_dwordx4 s[24:27], s[30:31], 0x24
	s_load_dwordx8 s[8:15], s[2:3], 0x0
	s_add_u32 s30, s30, 48
	s_addc_u32 s31, s31, 0
	s_waitcnt lgkmcnt(0)
	v_mul_hi_u32 v1, s17, v0
	s_add_i32 s38, s38, 4
	s_add_u32 s2, s2, 32
	s_addc_u32 s3, s3, 0
	v_add_u32_e32 v1, v0, v1
	v_lshrrev_b32_e32 v1, s18, v1
	v_mul_lo_u32 v2, v1, s16
	s_waitcnt vmcnt(0)
	v_mul_hi_u32 v3, s20, v1
	s_cmp_lg_u32 s36, s38
	v_sub_u32_e32 v0, v0, v2
	v_add_u32_e32 v2, v1, v3
	v_mul_lo_u32 v3, v0, s8
	v_mul_lo_u32 v4, v0, s9
	v_lshrrev_b32_e32 v0, s21, v2
	v_mul_lo_u32 v2, v0, s19
	v_mul_hi_u32 v5, s23, v0
	v_sub_u32_e32 v1, v1, v2
	v_add_u32_e32 v2, v0, v5
	v_lshrrev_b32_e32 v2, s24, v2
	v_mul_hi_u32 v7, s26, v2
	v_mul_lo_u32 v9, v2, s22
	v_mul_lo_u32 v5, v1, s10
	v_mul_lo_u32 v1, v1, s11
	v_sub_u32_e32 v9, v0, v9
	v_add_u32_e32 v0, v2, v7
	v_lshrrev_b32_e32 v0, s27, v0
	v_mul_lo_u32 v7, v0, s25
	v_mul_lo_u32 v10, v9, s12
	v_mul_lo_u32 v9, v9, s13
	v_add3_u32 v3, v3, v6, v5
	v_sub_u32_e32 v2, v2, v7
	v_mul_lo_u32 v7, v2, s14
	v_mul_lo_u32 v2, v2, s15
	v_add3_u32 v1, v4, v8, v1
	v_add3_u32 v6, v10, v3, v7
	;; [unrolled: 1-line block ×3, first 2 shown]
	s_cbranch_scc1 .LBB95_1091
; %bb.1092:
	s_and_b32 s10, s37, 3
	s_cmp_eq_u32 s10, 0
	s_cbranch_scc0 .LBB95_1096
	s_branch .LBB95_1098
.LBB95_1093:
                                        ; implicit-def: $vgpr6
                                        ; implicit-def: $vgpr8
	s_branch .LBB95_1099
.LBB95_1094:
	v_mov_b32_e32 v6, 0
	v_mov_b32_e32 v8, 0
	s_branch .LBB95_1098
.LBB95_1095:
	v_mov_b32_e32 v6, 0
	v_mov_b32_e32 v8, 0
	;; [unrolled: 1-line block ×3, first 2 shown]
	s_and_b32 s10, s37, 3
	s_cmp_eq_u32 s10, 0
	s_cbranch_scc1 .LBB95_1098
.LBB95_1096:
	s_lshl_b32 s2, s36, 3
	s_add_u32 s2, s34, s2
	s_addc_u32 s3, s35, 0
	s_add_u32 s2, s2, 0xc4
	s_addc_u32 s3, s3, 0
	s_mul_i32 s8, s36, 12
	s_add_u32 s8, s34, s8
	s_addc_u32 s9, s35, 0
.LBB95_1097:                            ; =>This Inner Loop Header: Depth=1
	s_load_dwordx2 s[12:13], s[8:9], 0x4
	s_load_dword s11, s[8:9], 0xc
	s_load_dwordx2 s[14:15], s[2:3], 0x0
	s_add_u32 s8, s8, 12
	s_addc_u32 s9, s9, 0
	s_waitcnt lgkmcnt(0)
	v_mul_hi_u32 v1, s13, v0
	s_add_u32 s2, s2, 8
	s_addc_u32 s3, s3, 0
	s_add_i32 s10, s10, -1
	v_add_u32_e32 v1, v0, v1
	v_lshrrev_b32_e32 v1, s11, v1
	v_mul_lo_u32 v2, v1, s12
	s_cmp_lg_u32 s10, 0
	v_sub_u32_e32 v0, v0, v2
	v_mad_u64_u32 v[6:7], s[12:13], v0, s14, v[6:7]
	v_mad_u64_u32 v[8:9], s[12:13], v0, s15, v[8:9]
	v_mov_b32_e32 v0, v1
	s_cbranch_scc1 .LBB95_1097
.LBB95_1098:
	s_cbranch_execnz .LBB95_1101
.LBB95_1099:
	s_load_dwordx4 s[8:11], s[34:35], 0x4
	s_load_dwordx2 s[2:3], s[34:35], 0xc4
	s_cmp_lt_u32 s33, 2
	s_waitcnt lgkmcnt(0)
	v_mul_hi_u32 v0, s9, v11
	v_add_u32_e32 v0, v11, v0
	v_lshrrev_b32_e32 v0, s10, v0
	v_mul_lo_u32 v1, v0, s8
	v_sub_u32_e32 v1, v11, v1
	v_mul_lo_u32 v6, v1, s2
	v_mul_lo_u32 v8, v1, s3
	s_cbranch_scc1 .LBB95_1101
; %bb.1100:
	s_load_dwordx4 s[8:11], s[34:35], 0x10
	s_load_dwordx2 s[2:3], s[34:35], 0xcc
	s_waitcnt lgkmcnt(0)
	v_mul_hi_u32 v1, s9, v0
	v_add_u32_e32 v1, v0, v1
	v_lshrrev_b32_e32 v1, s10, v1
	v_mul_lo_u32 v1, v1, s8
	v_sub_u32_e32 v0, v0, v1
	v_mad_u64_u32 v[6:7], s[8:9], v0, s2, v[6:7]
	v_mad_u64_u32 v[8:9], s[2:3], v0, s3, v[8:9]
.LBB95_1101:
	s_and_b64 vcc, exec, s[0:1]
	v_add_u32_e32 v0, 0x80, v11
	s_cbranch_vccnz .LBB95_1107
; %bb.1102:
	s_cmp_lg_u32 s33, 0
	s_mov_b32 s36, 0
	s_cbranch_scc0 .LBB95_1108
; %bb.1103:
	s_min_u32 s37, s76, 15
	s_add_i32 s37, s37, 1
	s_cmp_eq_u32 s76, 2
	s_cbranch_scc1 .LBB95_1109
; %bb.1104:
	s_and_b32 s36, s37, 28
	s_add_u32 s2, s34, 0xc4
	s_addc_u32 s3, s35, 0
	v_mov_b32_e32 v9, 0
	s_mov_b32 s38, 0
	s_mov_b64 s[30:31], s[34:35]
	s_waitcnt vmcnt(0)
	v_mov_b32_e32 v4, 0
	v_mov_b32_e32 v1, v0
.LBB95_1105:                            ; =>This Inner Loop Header: Depth=1
	s_load_dwordx8 s[16:23], s[30:31], 0x4
	s_load_dwordx4 s[24:27], s[30:31], 0x24
	s_load_dwordx8 s[8:15], s[2:3], 0x0
	s_add_u32 s30, s30, 48
	s_addc_u32 s31, s31, 0
	s_waitcnt lgkmcnt(0)
	v_mul_hi_u32 v2, s17, v1
	s_add_i32 s38, s38, 4
	s_add_u32 s2, s2, 32
	s_addc_u32 s3, s3, 0
	v_add_u32_e32 v2, v1, v2
	v_lshrrev_b32_e32 v2, s18, v2
	v_mul_lo_u32 v3, v2, s16
	v_mul_hi_u32 v5, s20, v2
	s_cmp_lg_u32 s36, s38
	v_sub_u32_e32 v1, v1, v3
	v_add_u32_e32 v3, v2, v5
	v_mul_lo_u32 v5, v1, s8
	v_mul_lo_u32 v7, v1, s9
	v_lshrrev_b32_e32 v1, s21, v3
	v_mul_lo_u32 v3, v1, s19
	v_mul_hi_u32 v10, s23, v1
	v_sub_u32_e32 v2, v2, v3
	v_add_u32_e32 v3, v1, v10
	v_lshrrev_b32_e32 v3, s24, v3
	v_mul_hi_u32 v12, s26, v3
	v_mul_lo_u32 v13, v3, s22
	v_mul_lo_u32 v10, v2, s10
	;; [unrolled: 1-line block ×3, first 2 shown]
	v_sub_u32_e32 v13, v1, v13
	v_add_u32_e32 v1, v3, v12
	v_lshrrev_b32_e32 v1, s27, v1
	v_mul_lo_u32 v12, v1, s25
	v_mul_lo_u32 v14, v13, s12
	;; [unrolled: 1-line block ×3, first 2 shown]
	v_add3_u32 v4, v5, v4, v10
	v_sub_u32_e32 v3, v3, v12
	v_mul_lo_u32 v12, v3, s14
	v_mul_lo_u32 v3, v3, s15
	v_add3_u32 v2, v7, v9, v2
	v_add3_u32 v4, v14, v4, v12
	;; [unrolled: 1-line block ×3, first 2 shown]
	s_cbranch_scc1 .LBB95_1105
; %bb.1106:
	s_and_b32 s10, s37, 3
	s_cmp_eq_u32 s10, 0
	s_cbranch_scc0 .LBB95_1110
	s_branch .LBB95_1112
.LBB95_1107:
                                        ; implicit-def: $vgpr4
                                        ; implicit-def: $vgpr9
	s_branch .LBB95_1113
.LBB95_1108:
	s_waitcnt vmcnt(0)
	v_mov_b32_e32 v4, 0
	v_mov_b32_e32 v9, 0
	s_branch .LBB95_1112
.LBB95_1109:
	s_waitcnt vmcnt(0)
	v_mov_b32_e32 v4, 0
	v_mov_b32_e32 v9, 0
	;; [unrolled: 1-line block ×3, first 2 shown]
	s_and_b32 s10, s37, 3
	s_cmp_eq_u32 s10, 0
	s_cbranch_scc1 .LBB95_1112
.LBB95_1110:
	s_lshl_b32 s2, s36, 3
	s_add_u32 s2, s34, s2
	s_addc_u32 s3, s35, 0
	s_add_u32 s2, s2, 0xc4
	s_addc_u32 s3, s3, 0
	s_mul_i32 s8, s36, 12
	s_add_u32 s8, s34, s8
	s_addc_u32 s9, s35, 0
.LBB95_1111:                            ; =>This Inner Loop Header: Depth=1
	s_load_dwordx2 s[12:13], s[8:9], 0x4
	s_load_dword s11, s[8:9], 0xc
	s_load_dwordx2 s[14:15], s[2:3], 0x0
	s_add_u32 s8, s8, 12
	s_addc_u32 s9, s9, 0
	s_waitcnt lgkmcnt(0)
	v_mul_hi_u32 v2, s13, v1
	s_add_u32 s2, s2, 8
	s_addc_u32 s3, s3, 0
	s_add_i32 s10, s10, -1
	v_add_u32_e32 v2, v1, v2
	v_lshrrev_b32_e32 v2, s11, v2
	v_mul_lo_u32 v3, v2, s12
	s_cmp_lg_u32 s10, 0
	v_sub_u32_e32 v1, v1, v3
	v_mad_u64_u32 v[4:5], s[12:13], v1, s14, v[4:5]
	v_mad_u64_u32 v[9:10], s[12:13], v1, s15, v[9:10]
	v_mov_b32_e32 v1, v2
	s_cbranch_scc1 .LBB95_1111
.LBB95_1112:
	s_cbranch_execnz .LBB95_1115
.LBB95_1113:
	s_load_dwordx4 s[8:11], s[34:35], 0x4
	s_load_dwordx2 s[2:3], s[34:35], 0xc4
	s_cmp_lt_u32 s33, 2
	s_waitcnt lgkmcnt(0)
	v_mul_hi_u32 v1, s9, v0
	v_add_u32_e32 v1, v0, v1
	v_lshrrev_b32_e32 v1, s10, v1
	v_mul_lo_u32 v2, v1, s8
	v_sub_u32_e32 v0, v0, v2
	s_waitcnt vmcnt(0)
	v_mul_lo_u32 v4, v0, s2
	v_mul_lo_u32 v9, v0, s3
	s_cbranch_scc1 .LBB95_1115
; %bb.1114:
	s_load_dwordx4 s[8:11], s[34:35], 0x10
	s_load_dwordx2 s[2:3], s[34:35], 0xcc
	s_waitcnt lgkmcnt(0)
	v_mul_hi_u32 v0, s9, v1
	v_add_u32_e32 v0, v1, v0
	v_lshrrev_b32_e32 v0, s10, v0
	v_mul_lo_u32 v0, v0, s8
	v_sub_u32_e32 v0, v1, v0
	v_mad_u64_u32 v[4:5], s[8:9], v0, s2, v[4:5]
	v_mad_u64_u32 v[9:10], s[2:3], v0, s3, v[9:10]
.LBB95_1115:
	s_and_b64 vcc, exec, s[0:1]
	v_add_u32_e32 v0, 0x100, v11
	s_cbranch_vccnz .LBB95_1121
; %bb.1116:
	s_cmp_lg_u32 s33, 0
	s_mov_b32 s36, 0
	s_cbranch_scc0 .LBB95_1122
; %bb.1117:
	s_min_u32 s37, s76, 15
	s_add_i32 s37, s37, 1
	s_cmp_eq_u32 s76, 2
	s_cbranch_scc1 .LBB95_1123
; %bb.1118:
	s_and_b32 s36, s37, 28
	s_add_u32 s2, s34, 0xc4
	s_addc_u32 s3, s35, 0
	v_mov_b32_e32 v11, 0
	s_mov_b32 s38, 0
	s_mov_b64 s[30:31], s[34:35]
	v_mov_b32_e32 v2, 0
	v_mov_b32_e32 v1, v0
.LBB95_1119:                            ; =>This Inner Loop Header: Depth=1
	s_load_dwordx8 s[16:23], s[30:31], 0x4
	s_load_dwordx4 s[24:27], s[30:31], 0x24
	s_load_dwordx8 s[8:15], s[2:3], 0x0
	s_add_u32 s30, s30, 48
	s_addc_u32 s31, s31, 0
	s_waitcnt vmcnt(0) lgkmcnt(0)
	v_mul_hi_u32 v3, s17, v1
	s_add_i32 s38, s38, 4
	s_add_u32 s2, s2, 32
	s_addc_u32 s3, s3, 0
	v_add_u32_e32 v3, v1, v3
	v_lshrrev_b32_e32 v3, s18, v3
	v_mul_lo_u32 v5, v3, s16
	v_mul_hi_u32 v7, s20, v3
	s_cmp_lg_u32 s36, s38
	v_sub_u32_e32 v1, v1, v5
	v_add_u32_e32 v5, v3, v7
	v_mul_lo_u32 v7, v1, s8
	v_mul_lo_u32 v10, v1, s9
	v_lshrrev_b32_e32 v1, s21, v5
	v_mul_lo_u32 v5, v1, s19
	v_mul_hi_u32 v12, s23, v1
	v_sub_u32_e32 v3, v3, v5
	v_add_u32_e32 v5, v1, v12
	v_lshrrev_b32_e32 v5, s24, v5
	v_mul_hi_u32 v13, s26, v5
	v_mul_lo_u32 v14, v5, s22
	v_mul_lo_u32 v12, v3, s10
	;; [unrolled: 1-line block ×3, first 2 shown]
	v_sub_u32_e32 v14, v1, v14
	v_add_u32_e32 v1, v5, v13
	v_lshrrev_b32_e32 v1, s27, v1
	v_mul_lo_u32 v13, v1, s25
	v_mul_lo_u32 v16, v14, s12
	;; [unrolled: 1-line block ×3, first 2 shown]
	v_add3_u32 v2, v7, v2, v12
	v_sub_u32_e32 v5, v5, v13
	v_mul_lo_u32 v13, v5, s14
	v_mul_lo_u32 v5, v5, s15
	v_add3_u32 v3, v10, v11, v3
	v_add3_u32 v2, v16, v2, v13
	;; [unrolled: 1-line block ×3, first 2 shown]
	s_cbranch_scc1 .LBB95_1119
; %bb.1120:
	s_and_b32 s10, s37, 3
	s_cmp_eq_u32 s10, 0
	s_cbranch_scc0 .LBB95_1124
	s_branch .LBB95_1126
.LBB95_1121:
                                        ; implicit-def: $vgpr2
                                        ; implicit-def: $vgpr11
	s_branch .LBB95_1127
.LBB95_1122:
	v_mov_b32_e32 v2, 0
	v_mov_b32_e32 v11, 0
	s_branch .LBB95_1126
.LBB95_1123:
	v_mov_b32_e32 v2, 0
	v_mov_b32_e32 v11, 0
	;; [unrolled: 1-line block ×3, first 2 shown]
	s_and_b32 s10, s37, 3
	s_cmp_eq_u32 s10, 0
	s_cbranch_scc1 .LBB95_1126
.LBB95_1124:
	s_lshl_b32 s2, s36, 3
	s_add_u32 s2, s34, s2
	s_addc_u32 s3, s35, 0
	s_add_u32 s2, s2, 0xc4
	s_addc_u32 s3, s3, 0
	s_mul_i32 s8, s36, 12
	s_add_u32 s8, s34, s8
	s_addc_u32 s9, s35, 0
.LBB95_1125:                            ; =>This Inner Loop Header: Depth=1
	s_load_dwordx2 s[12:13], s[8:9], 0x4
	s_load_dword s11, s[8:9], 0xc
	s_load_dwordx2 s[14:15], s[2:3], 0x0
	s_add_u32 s8, s8, 12
	s_addc_u32 s9, s9, 0
	s_waitcnt vmcnt(0) lgkmcnt(0)
	v_mul_hi_u32 v3, s13, v1
	s_add_u32 s2, s2, 8
	s_addc_u32 s3, s3, 0
	s_add_i32 s10, s10, -1
	v_add_u32_e32 v3, v1, v3
	v_lshrrev_b32_e32 v5, s11, v3
	v_mul_lo_u32 v3, v5, s12
	s_cmp_lg_u32 s10, 0
	v_sub_u32_e32 v1, v1, v3
	v_mad_u64_u32 v[2:3], s[12:13], v1, s14, v[2:3]
	v_mad_u64_u32 v[11:12], s[12:13], v1, s15, v[11:12]
	v_mov_b32_e32 v1, v5
	s_cbranch_scc1 .LBB95_1125
.LBB95_1126:
	s_cbranch_execnz .LBB95_1129
.LBB95_1127:
	s_load_dwordx4 s[8:11], s[34:35], 0x4
	s_load_dwordx2 s[2:3], s[34:35], 0xc4
	s_cmp_lt_u32 s33, 2
	s_waitcnt lgkmcnt(0)
	v_mul_hi_u32 v1, s9, v0
	v_add_u32_e32 v1, v0, v1
	v_lshrrev_b32_e32 v1, s10, v1
	v_mul_lo_u32 v2, v1, s8
	v_sub_u32_e32 v0, v0, v2
	v_mul_lo_u32 v2, v0, s2
	v_mul_lo_u32 v11, v0, s3
	s_cbranch_scc1 .LBB95_1129
; %bb.1128:
	s_load_dwordx4 s[8:11], s[34:35], 0x10
	s_load_dwordx2 s[2:3], s[34:35], 0xcc
	s_waitcnt lgkmcnt(0)
	v_mul_hi_u32 v0, s9, v1
	v_add_u32_e32 v0, v1, v0
	v_lshrrev_b32_e32 v0, s10, v0
	v_mul_lo_u32 v0, v0, s8
	v_sub_u32_e32 v0, v1, v0
	s_waitcnt vmcnt(0)
	v_mad_u64_u32 v[2:3], s[8:9], v0, s2, v[2:3]
	v_mad_u64_u32 v[11:12], s[2:3], v0, s3, v[11:12]
.LBB95_1129:
	s_and_b64 vcc, exec, s[0:1]
	s_cbranch_vccnz .LBB95_1135
; %bb.1130:
	s_cmp_lg_u32 s33, 0
	s_mov_b32 s30, 0
	s_cbranch_scc0 .LBB95_1136
; %bb.1131:
	s_min_u32 s31, s76, 15
	s_add_i32 s31, s31, 1
	s_cmp_eq_u32 s76, 2
	s_cbranch_scc1 .LBB95_1137
; %bb.1132:
	s_and_b32 s30, s31, 28
	s_add_u32 s24, s34, 0xc4
	s_addc_u32 s25, s35, 0
	v_mov_b32_e32 v13, 0
	s_mov_b32 s36, 0
	s_mov_b64 s[26:27], s[34:35]
	v_mov_b32_e32 v0, 0
	v_mov_b32_e32 v1, v15
.LBB95_1133:                            ; =>This Inner Loop Header: Depth=1
	s_load_dwordx8 s[16:23], s[26:27], 0x4
	s_load_dwordx4 s[0:3], s[26:27], 0x24
	s_load_dwordx8 s[8:15], s[24:25], 0x0
	s_add_u32 s26, s26, 48
	s_addc_u32 s27, s27, 0
	s_waitcnt vmcnt(0) lgkmcnt(0)
	v_mul_hi_u32 v3, s17, v1
	s_add_i32 s36, s36, 4
	s_add_u32 s24, s24, 32
	s_addc_u32 s25, s25, 0
	v_add_u32_e32 v3, v1, v3
	v_lshrrev_b32_e32 v3, s18, v3
	v_mul_lo_u32 v5, v3, s16
	v_mul_hi_u32 v7, s20, v3
	s_cmp_lg_u32 s30, s36
	v_sub_u32_e32 v1, v1, v5
	v_add_u32_e32 v5, v3, v7
	v_mul_lo_u32 v7, v1, s8
	v_mul_lo_u32 v10, v1, s9
	v_lshrrev_b32_e32 v1, s21, v5
	v_mul_lo_u32 v5, v1, s19
	v_mul_hi_u32 v12, s23, v1
	v_sub_u32_e32 v3, v3, v5
	v_add_u32_e32 v5, v1, v12
	v_lshrrev_b32_e32 v5, s0, v5
	v_mul_hi_u32 v14, s2, v5
	v_mul_lo_u32 v16, v5, s22
	v_mul_lo_u32 v12, v3, s10
	;; [unrolled: 1-line block ×3, first 2 shown]
	v_sub_u32_e32 v16, v1, v16
	v_add_u32_e32 v1, v5, v14
	v_lshrrev_b32_e32 v1, s3, v1
	v_mul_lo_u32 v14, v1, s1
	v_mul_lo_u32 v17, v16, s12
	;; [unrolled: 1-line block ×3, first 2 shown]
	v_add3_u32 v0, v7, v0, v12
	v_sub_u32_e32 v5, v5, v14
	v_mul_lo_u32 v14, v5, s14
	v_mul_lo_u32 v5, v5, s15
	v_add3_u32 v3, v10, v13, v3
	v_add3_u32 v0, v17, v0, v14
	;; [unrolled: 1-line block ×3, first 2 shown]
	s_cbranch_scc1 .LBB95_1133
; %bb.1134:
	s_and_b32 s8, s31, 3
	s_cmp_eq_u32 s8, 0
	s_cbranch_scc0 .LBB95_1138
	s_branch .LBB95_1140
.LBB95_1135:
                                        ; implicit-def: $vgpr0
                                        ; implicit-def: $vgpr13
	s_branch .LBB95_1141
.LBB95_1136:
	v_mov_b32_e32 v0, 0
	v_mov_b32_e32 v13, 0
	s_branch .LBB95_1140
.LBB95_1137:
	v_mov_b32_e32 v0, 0
	v_mov_b32_e32 v13, 0
	;; [unrolled: 1-line block ×3, first 2 shown]
	s_and_b32 s8, s31, 3
	s_cmp_eq_u32 s8, 0
	s_cbranch_scc1 .LBB95_1140
.LBB95_1138:
	s_lshl_b32 s0, s30, 3
	s_add_u32 s0, s34, s0
	s_addc_u32 s1, s35, 0
	s_add_u32 s0, s0, 0xc4
	s_addc_u32 s1, s1, 0
	s_mul_i32 s2, s30, 12
	s_add_u32 s2, s34, s2
	s_addc_u32 s3, s35, 0
.LBB95_1139:                            ; =>This Inner Loop Header: Depth=1
	s_load_dwordx2 s[10:11], s[2:3], 0x4
	s_load_dword s9, s[2:3], 0xc
	s_load_dwordx2 s[12:13], s[0:1], 0x0
	s_add_u32 s2, s2, 12
	s_addc_u32 s3, s3, 0
	s_waitcnt vmcnt(0) lgkmcnt(0)
	v_mul_hi_u32 v3, s11, v1
	s_add_u32 s0, s0, 8
	s_addc_u32 s1, s1, 0
	s_add_i32 s8, s8, -1
	v_add_u32_e32 v3, v1, v3
	v_lshrrev_b32_e32 v3, s9, v3
	v_mul_lo_u32 v5, v3, s10
	s_cmp_lg_u32 s8, 0
	v_sub_u32_e32 v5, v1, v5
	v_mad_u64_u32 v[0:1], s[10:11], v5, s12, v[0:1]
	v_mad_u64_u32 v[13:14], s[10:11], v5, s13, v[13:14]
	v_mov_b32_e32 v1, v3
	s_cbranch_scc1 .LBB95_1139
.LBB95_1140:
	s_cbranch_execnz .LBB95_1143
.LBB95_1141:
	s_load_dwordx4 s[0:3], s[34:35], 0x4
	s_load_dwordx2 s[8:9], s[34:35], 0xc4
	s_cmp_lt_u32 s33, 2
	s_waitcnt lgkmcnt(0)
	v_mul_hi_u32 v0, s1, v15
	v_add_u32_e32 v0, v15, v0
	v_lshrrev_b32_e32 v1, s2, v0
	v_mul_lo_u32 v0, v1, s0
	s_waitcnt vmcnt(0)
	v_sub_u32_e32 v3, v15, v0
	v_mul_lo_u32 v0, v3, s8
	v_mul_lo_u32 v13, v3, s9
	s_cbranch_scc1 .LBB95_1143
; %bb.1142:
	s_load_dwordx4 s[0:3], s[34:35], 0x10
	s_load_dwordx2 s[8:9], s[34:35], 0xcc
	s_waitcnt lgkmcnt(0)
	v_mul_hi_u32 v3, s1, v1
	v_add_u32_e32 v3, v1, v3
	v_lshrrev_b32_e32 v3, s2, v3
	v_mul_lo_u32 v3, v3, s0
	v_sub_u32_e32 v3, v1, v3
	v_mad_u64_u32 v[0:1], s[0:1], v3, s8, v[0:1]
	v_mad_u64_u32 v[13:14], s[0:1], v3, s9, v[13:14]
.LBB95_1143:
	s_load_dwordx4 s[8:11], s[34:35], 0x148
	s_load_dword s16, s[4:5], 0x170
	s_waitcnt lgkmcnt(0)
	v_mov_b32_e32 v1, s11
	s_bfe_u32 s17, s16, 0x80008
	v_add_co_u32_e32 v14, vcc, s10, v8
	s_cmp_lt_i32 s17, 11
	v_addc_co_u32_e32 v15, vcc, 0, v1, vcc
	s_cbranch_scc1 .LBB95_1150
; %bb.1144:
	s_and_b32 s18, 0xffff, s17
	s_cmp_gt_i32 s18, 25
	s_mov_b64 s[2:3], 0
	s_cbranch_scc0 .LBB95_1152
; %bb.1145:
	s_cmp_gt_i32 s18, 28
	s_cbranch_scc0 .LBB95_1153
; %bb.1146:
	s_cmp_gt_i32 s18, 43
	s_cbranch_scc0 .LBB95_1154
; %bb.1147:
	s_cmp_gt_i32 s18, 45
	s_cbranch_scc0 .LBB95_1155
; %bb.1148:
	s_cmp_eq_u32 s18, 46
	s_mov_b64 s[12:13], 0
	s_cbranch_scc0 .LBB95_1158
; %bb.1149:
	global_load_dword v1, v[14:15], off
	s_mov_b64 s[0:1], 0
	s_mov_b64 s[4:5], -1
	s_waitcnt vmcnt(0)
	v_lshlrev_b32_e32 v1, 16, v1
	v_cvt_f64_f32_e32 v[7:8], v1
	s_branch .LBB95_1159
.LBB95_1150:
	s_mov_b64 s[4:5], 0
                                        ; implicit-def: $vgpr7_vgpr8
	s_mov_b64 s[12:13], s[6:7]
	s_cbranch_execnz .LBB95_1222
.LBB95_1151:
	s_andn2_b64 vcc, exec, s[4:5]
	s_cbranch_vccz .LBB95_1267
	s_branch .LBB95_2088
.LBB95_1152:
	s_mov_b64 s[4:5], 0
	s_mov_b64 s[0:1], 0
                                        ; implicit-def: $vgpr7_vgpr8
	s_cbranch_execnz .LBB95_1189
	s_branch .LBB95_1218
.LBB95_1153:
	s_mov_b64 s[12:13], -1
	s_mov_b64 s[4:5], 0
	s_mov_b64 s[0:1], 0
                                        ; implicit-def: $vgpr7_vgpr8
	s_branch .LBB95_1168
.LBB95_1154:
	s_mov_b64 s[4:5], 0
	s_mov_b64 s[0:1], 0
                                        ; implicit-def: $vgpr7_vgpr8
	s_cbranch_execnz .LBB95_1164
	s_branch .LBB95_1167
.LBB95_1155:
	s_mov_b64 s[12:13], -1
	s_mov_b64 s[4:5], 0
	s_mov_b64 s[0:1], 0
                                        ; implicit-def: $vgpr7_vgpr8
	s_branch .LBB95_1159
.LBB95_1156:
	s_andn2_saveexec_b64 s[14:15], s[14:15]
	s_cbranch_execz .LBB95_995
.LBB95_1157:
	v_add_f32_e32 v0, 0x46000000, v3
	v_and_b32_e32 v0, 0xff, v0
	v_cmp_ne_u32_e32 vcc, 0, v0
	s_andn2_b64 s[12:13], s[12:13], exec
	s_and_b64 s[16:17], vcc, exec
	s_or_b64 s[12:13], s[12:13], s[16:17]
	s_or_b64 exec, exec, s[14:15]
	v_mov_b32_e32 v4, 0
	s_and_saveexec_b64 s[14:15], s[12:13]
	s_cbranch_execnz .LBB95_996
	s_branch .LBB95_997
.LBB95_1158:
	s_mov_b64 s[0:1], -1
                                        ; implicit-def: $vgpr7_vgpr8
	s_mov_b64 s[4:5], 0
.LBB95_1159:
	s_and_b64 vcc, exec, s[12:13]
	s_cbranch_vccz .LBB95_1162
; %bb.1160:
	s_cmp_eq_u32 s18, 44
	s_cbranch_scc0 .LBB95_1163
; %bb.1161:
	global_load_ubyte v1, v[14:15], off
	s_movk_i32 s4, 0xff
	s_waitcnt vmcnt(1)
	v_bfrev_b32_e32 v3, 4
	v_mov_b32_e32 v5, 0x7ff80000
	v_bfrev_b32_e32 v10, 28
	s_mov_b64 s[0:1], 0
	s_waitcnt vmcnt(0)
	v_lshlrev_b32_e32 v7, 23, v1
	v_cvt_f64_f32_e32 v[7:8], v7
	v_cmp_ne_u32_e32 vcc, s4, v1
	s_mov_b64 s[4:5], -1
	v_cndmask_b32_e32 v3, v3, v7, vcc
	v_cndmask_b32_e32 v5, v5, v8, vcc
	v_cmp_ne_u32_e32 vcc, 0, v1
	v_cndmask_b32_e32 v8, v10, v5, vcc
	v_cndmask_b32_e32 v7, 0, v3, vcc
.LBB95_1162:
	s_branch .LBB95_1167
.LBB95_1163:
	s_mov_b64 s[0:1], -1
                                        ; implicit-def: $vgpr7_vgpr8
	s_branch .LBB95_1167
.LBB95_1164:
	s_cmp_eq_u32 s18, 29
	s_cbranch_scc0 .LBB95_1166
; %bb.1165:
	global_load_dwordx2 v[7:8], v[14:15], off
	s_mov_b64 s[0:1], 0
	s_mov_b64 s[4:5], -1
	s_mov_b64 s[12:13], 0
	s_waitcnt vmcnt(0)
	v_cvt_f64_u32_e32 v[16:17], v8
	v_cvt_f64_u32_e32 v[7:8], v7
	v_ldexp_f64 v[16:17], v[16:17], 32
	v_add_f64 v[7:8], v[16:17], v[7:8]
	s_branch .LBB95_1168
.LBB95_1166:
	s_mov_b64 s[0:1], -1
                                        ; implicit-def: $vgpr7_vgpr8
.LBB95_1167:
	s_mov_b64 s[12:13], 0
.LBB95_1168:
	s_and_b64 vcc, exec, s[12:13]
	s_cbranch_vccz .LBB95_1188
; %bb.1169:
	s_cmp_lt_i32 s18, 27
	s_cbranch_scc1 .LBB95_1172
; %bb.1170:
	s_cmp_gt_i32 s18, 27
	s_cbranch_scc0 .LBB95_1173
; %bb.1171:
	global_load_dword v1, v[14:15], off
	s_mov_b64 s[4:5], 0
	s_waitcnt vmcnt(0)
	v_cvt_f64_u32_e32 v[7:8], v1
	s_branch .LBB95_1174
.LBB95_1172:
	s_mov_b64 s[4:5], -1
                                        ; implicit-def: $vgpr7_vgpr8
	s_branch .LBB95_1177
.LBB95_1173:
	s_mov_b64 s[4:5], -1
                                        ; implicit-def: $vgpr7_vgpr8
.LBB95_1174:
	s_andn2_b64 vcc, exec, s[4:5]
	s_cbranch_vccnz .LBB95_1176
; %bb.1175:
	global_load_ushort v1, v[14:15], off
	s_waitcnt vmcnt(0)
	v_cvt_f64_u32_e32 v[7:8], v1
.LBB95_1176:
	s_mov_b64 s[4:5], 0
.LBB95_1177:
	s_andn2_b64 vcc, exec, s[4:5]
	s_cbranch_vccnz .LBB95_1187
; %bb.1178:
	global_load_ubyte v1, v[14:15], off
	s_movk_i32 s4, 0x7f
	s_waitcnt vmcnt(0)
	v_cmp_lt_i16_e32 vcc, s4, v1
	s_mov_b64 s[4:5], 0
	s_and_saveexec_b64 s[12:13], vcc
	s_xor_b64 s[12:13], exec, s[12:13]
	s_cbranch_execz .LBB95_1182
; %bb.1179:
	s_movk_i32 s4, 0x80
	v_cmp_eq_u16_e32 vcc, s4, v1
	s_mov_b64 s[4:5], -1
	s_and_saveexec_b64 s[14:15], vcc
; %bb.1180:
	s_xor_b64 s[4:5], exec, -1
; %bb.1181:
	s_or_b64 exec, exec, s[14:15]
	s_and_b64 s[4:5], s[4:5], exec
.LBB95_1182:
	s_or_saveexec_b64 s[12:13], s[12:13]
	v_bfrev_b32_e32 v7, 4
	v_mov_b32_e32 v8, 0x7ff80000
	s_xor_b64 exec, exec, s[12:13]
; %bb.1183:
	v_cmp_ne_u16_e32 vcc, 0, v1
	v_mov_b32_e32 v7, 0
	s_andn2_b64 s[4:5], s[4:5], exec
	s_and_b64 s[14:15], vcc, exec
	v_mov_b32_e32 v8, 0
	s_or_b64 s[4:5], s[4:5], s[14:15]
; %bb.1184:
	s_or_b64 exec, exec, s[12:13]
	s_and_saveexec_b64 s[12:13], s[4:5]
	s_cbranch_execz .LBB95_1186
; %bb.1185:
	v_lshlrev_b32_e32 v3, 24, v1
	v_and_b32_e32 v1, 0xffff, v1
	v_and_b32_e32 v5, 7, v1
	v_ffbh_u32_e32 v8, v5
	v_min_u32_e32 v8, 32, v8
	v_subrev_u32_e32 v10, 28, v8
	v_bfe_u32 v7, v1, 3, 4
	v_lshlrev_b32_e32 v1, v10, v1
	v_sub_u32_e32 v8, 29, v8
	v_and_b32_e32 v1, 7, v1
	v_cmp_eq_u32_e32 vcc, 0, v7
	v_cndmask_b32_e32 v7, v7, v8, vcc
	v_cndmask_b32_e32 v1, v5, v1, vcc
	v_mov_b32_e32 v5, 0x3b800000
	v_lshlrev_b32_e32 v1, 20, v1
	v_and_b32_e32 v3, 0x80000000, v3
	v_lshl_add_u32 v5, v7, 23, v5
	v_or3_b32 v1, v3, v5, v1
	v_cvt_f64_f32_e32 v[7:8], v1
.LBB95_1186:
	s_or_b64 exec, exec, s[12:13]
.LBB95_1187:
	s_mov_b64 s[4:5], -1
.LBB95_1188:
	s_branch .LBB95_1218
.LBB95_1189:
	s_cmp_gt_i32 s18, 22
	s_cbranch_scc0 .LBB95_1201
; %bb.1190:
	s_cmp_lt_i32 s18, 24
	s_cbranch_scc1 .LBB95_1202
; %bb.1191:
	s_cmp_gt_i32 s18, 24
	s_cbranch_scc0 .LBB95_1203
; %bb.1192:
	global_load_ubyte v1, v[14:15], off
	s_movk_i32 s2, 0x7f
	s_waitcnt vmcnt(0)
	v_cmp_lt_i16_e32 vcc, s2, v1
	s_mov_b64 s[2:3], 0
	s_and_saveexec_b64 s[4:5], vcc
	s_xor_b64 s[4:5], exec, s[4:5]
	s_cbranch_execz .LBB95_1196
; %bb.1193:
	s_movk_i32 s2, 0x80
	v_cmp_eq_u16_e32 vcc, s2, v1
	s_mov_b64 s[2:3], -1
	s_and_saveexec_b64 s[12:13], vcc
; %bb.1194:
	s_xor_b64 s[2:3], exec, -1
; %bb.1195:
	s_or_b64 exec, exec, s[12:13]
	s_and_b64 s[2:3], s[2:3], exec
.LBB95_1196:
	s_or_saveexec_b64 s[4:5], s[4:5]
	v_bfrev_b32_e32 v7, 4
	v_mov_b32_e32 v8, 0x7ff80000
	s_xor_b64 exec, exec, s[4:5]
; %bb.1197:
	v_cmp_ne_u16_e32 vcc, 0, v1
	v_mov_b32_e32 v7, 0
	s_andn2_b64 s[2:3], s[2:3], exec
	s_and_b64 s[12:13], vcc, exec
	v_mov_b32_e32 v8, 0
	s_or_b64 s[2:3], s[2:3], s[12:13]
; %bb.1198:
	s_or_b64 exec, exec, s[4:5]
	s_and_saveexec_b64 s[4:5], s[2:3]
	s_cbranch_execz .LBB95_1200
; %bb.1199:
	v_lshlrev_b32_e32 v3, 24, v1
	v_and_b32_e32 v1, 0xffff, v1
	v_and_b32_e32 v5, 3, v1
	v_ffbh_u32_e32 v8, v5
	v_min_u32_e32 v8, 32, v8
	v_subrev_u32_e32 v10, 29, v8
	v_bfe_u32 v7, v1, 2, 5
	v_lshlrev_b32_e32 v1, v10, v1
	v_sub_u32_e32 v8, 30, v8
	v_and_b32_e32 v1, 3, v1
	v_cmp_eq_u32_e32 vcc, 0, v7
	v_cndmask_b32_e32 v7, v7, v8, vcc
	v_cndmask_b32_e32 v1, v5, v1, vcc
	v_mov_b32_e32 v5, 0x37800000
	v_lshlrev_b32_e32 v1, 21, v1
	v_and_b32_e32 v3, 0x80000000, v3
	v_lshl_add_u32 v5, v7, 23, v5
	v_or3_b32 v1, v3, v5, v1
	v_cvt_f64_f32_e32 v[7:8], v1
.LBB95_1200:
	s_or_b64 exec, exec, s[4:5]
	s_mov_b64 s[2:3], 0
	s_branch .LBB95_1204
.LBB95_1201:
                                        ; implicit-def: $vgpr7_vgpr8
	s_mov_b64 s[2:3], 0
	s_branch .LBB95_1210
.LBB95_1202:
	s_mov_b64 s[2:3], -1
                                        ; implicit-def: $vgpr7_vgpr8
	s_branch .LBB95_1207
.LBB95_1203:
	s_mov_b64 s[2:3], -1
                                        ; implicit-def: $vgpr7_vgpr8
.LBB95_1204:
	s_and_b64 vcc, exec, s[2:3]
	s_cbranch_vccz .LBB95_1206
; %bb.1205:
	global_load_ubyte v1, v[14:15], off
	s_mov_b32 s2, 0x7f800000
	s_waitcnt vmcnt(0)
	v_lshlrev_b32_e32 v1, 24, v1
	v_and_b32_e32 v3, 0x7f000000, v1
	v_ffbh_u32_e32 v5, v3
	v_min_u32_e32 v5, 32, v5
	v_sub_u32_e64 v5, v5, 4 clamp
	v_lshlrev_b32_e32 v8, v5, v3
	v_lshlrev_b32_e32 v5, 23, v5
	v_lshrrev_b32_e32 v8, 4, v8
	v_add_u32_e32 v7, 0x1000000, v3
	v_sub_u32_e32 v5, v8, v5
	v_ashrrev_i32_e32 v7, 8, v7
	v_add_u32_e32 v5, 0x3c000000, v5
	v_and_or_b32 v5, v7, s2, v5
	v_cmp_ne_u32_e32 vcc, 0, v3
	v_cndmask_b32_e32 v3, 0, v5, vcc
	s_brev_b32 s2, 1
	v_and_or_b32 v1, v1, s2, v3
	v_cvt_f64_f32_e32 v[7:8], v1
.LBB95_1206:
	s_mov_b64 s[2:3], 0
.LBB95_1207:
	s_andn2_b64 vcc, exec, s[2:3]
	s_cbranch_vccnz .LBB95_1209
; %bb.1208:
	global_load_ubyte v1, v[14:15], off
	s_movk_i32 s2, 0x7f00
	s_brev_b32 s3, 16
	s_waitcnt vmcnt(0)
	v_lshlrev_b16_e32 v3, 8, v1
	v_lshlrev_b32_e32 v1, 25, v1
	v_lshrrev_b32_e32 v5, 4, v1
	v_and_or_b32 v7, v3, s2, 0.5
	v_or_b32_e32 v5, 0x70000000, v5
	v_add_f32_e32 v7, -0.5, v7
	v_mul_f32_e32 v5, 0x7800000, v5
	v_cmp_gt_u32_e32 vcc, s3, v1
	v_bfe_i32 v3, v3, 0, 16
	v_cndmask_b32_e32 v1, v5, v7, vcc
	s_brev_b32 s2, 1
	v_and_or_b32 v1, v3, s2, v1
	v_cvt_f64_f32_e32 v[7:8], v1
.LBB95_1209:
	s_mov_b64 s[4:5], -1
	s_mov_b64 s[2:3], 0
	s_cbranch_execnz .LBB95_1218
.LBB95_1210:
	s_cmp_gt_i32 s18, 14
	s_cbranch_scc0 .LBB95_1213
; %bb.1211:
	s_cmp_eq_u32 s18, 15
	s_cbranch_scc0 .LBB95_1214
; %bb.1212:
	global_load_ushort v1, v[14:15], off
	s_mov_b64 s[0:1], 0
	s_mov_b64 s[4:5], -1
	s_waitcnt vmcnt(0)
	v_lshlrev_b32_e32 v1, 16, v1
	v_cvt_f64_f32_e32 v[7:8], v1
	s_branch .LBB95_1215
.LBB95_1213:
	s_mov_b64 s[12:13], -1
                                        ; implicit-def: $vgpr7_vgpr8
	s_branch .LBB95_1216
.LBB95_1214:
	s_mov_b64 s[0:1], -1
                                        ; implicit-def: $vgpr7_vgpr8
.LBB95_1215:
	s_mov_b64 s[12:13], 0
.LBB95_1216:
	s_and_b64 vcc, exec, s[12:13]
	s_cbranch_vccz .LBB95_1218
; %bb.1217:
	s_cmp_lg_u32 s18, 11
	s_mov_b64 s[2:3], -1
	s_cselect_b64 s[0:1], -1, 0
.LBB95_1218:
	s_and_b64 vcc, exec, s[0:1]
	s_mov_b64 s[12:13], s[6:7]
	s_cbranch_vccnz .LBB95_1279
; %bb.1219:
	s_andn2_b64 vcc, exec, s[2:3]
	s_cbranch_vccnz .LBB95_1221
.LBB95_1220:
	global_load_ubyte v1, v[14:15], off
	s_waitcnt vmcnt(1)
	v_mov_b32_e32 v3, 0x3ff00000
	v_mov_b32_e32 v7, 0
	s_mov_b64 s[4:5], -1
	s_waitcnt vmcnt(0)
	v_cmp_ne_u16_e32 vcc, 0, v1
	v_cndmask_b32_e32 v8, 0, v3, vcc
.LBB95_1221:
	s_branch .LBB95_1151
.LBB95_1222:
	s_and_b32 s2, 0xffff, s17
	s_cmp_lt_i32 s2, 5
	s_cbranch_scc1 .LBB95_1227
; %bb.1223:
	s_cmp_lt_i32 s2, 8
	s_cbranch_scc1 .LBB95_1228
; %bb.1224:
	;; [unrolled: 3-line block ×3, first 2 shown]
	s_cmp_gt_i32 s2, 9
	s_cbranch_scc0 .LBB95_1230
; %bb.1226:
	global_load_dwordx2 v[7:8], v[14:15], off
	s_mov_b64 s[0:1], 0
	s_branch .LBB95_1231
.LBB95_1227:
                                        ; implicit-def: $vgpr7_vgpr8
	s_branch .LBB95_1248
.LBB95_1228:
                                        ; implicit-def: $vgpr7_vgpr8
	s_branch .LBB95_1237
.LBB95_1229:
	s_mov_b64 s[0:1], -1
                                        ; implicit-def: $vgpr7_vgpr8
	s_branch .LBB95_1234
.LBB95_1230:
	s_mov_b64 s[0:1], -1
                                        ; implicit-def: $vgpr7_vgpr8
.LBB95_1231:
	s_andn2_b64 vcc, exec, s[0:1]
	s_cbranch_vccnz .LBB95_1233
; %bb.1232:
	global_load_dword v1, v[14:15], off
	s_waitcnt vmcnt(0)
	v_cvt_f64_f32_e32 v[7:8], v1
.LBB95_1233:
	s_mov_b64 s[0:1], 0
.LBB95_1234:
	s_andn2_b64 vcc, exec, s[0:1]
	s_cbranch_vccnz .LBB95_1236
; %bb.1235:
	global_load_dword v1, v[14:15], off
	s_waitcnt vmcnt(0)
	v_cvt_f32_f16_e32 v1, v1
	v_cvt_f64_f32_e32 v[7:8], v1
.LBB95_1236:
	s_cbranch_execnz .LBB95_1247
.LBB95_1237:
	s_cmp_lt_i32 s2, 6
	s_cbranch_scc1 .LBB95_1240
; %bb.1238:
	s_cmp_gt_i32 s2, 6
	s_cbranch_scc0 .LBB95_1241
; %bb.1239:
	global_load_dwordx2 v[7:8], v[14:15], off
	s_mov_b64 s[0:1], 0
	s_branch .LBB95_1242
.LBB95_1240:
	s_mov_b64 s[0:1], -1
                                        ; implicit-def: $vgpr7_vgpr8
	s_branch .LBB95_1245
.LBB95_1241:
	s_mov_b64 s[0:1], -1
                                        ; implicit-def: $vgpr7_vgpr8
.LBB95_1242:
	s_andn2_b64 vcc, exec, s[0:1]
	s_cbranch_vccnz .LBB95_1244
; %bb.1243:
	global_load_dword v1, v[14:15], off
	s_waitcnt vmcnt(0)
	v_cvt_f64_f32_e32 v[7:8], v1
.LBB95_1244:
	s_mov_b64 s[0:1], 0
.LBB95_1245:
	s_andn2_b64 vcc, exec, s[0:1]
	s_cbranch_vccnz .LBB95_1247
; %bb.1246:
	global_load_ushort v1, v[14:15], off
	s_waitcnt vmcnt(0)
	v_cvt_f32_f16_e32 v1, v1
	v_cvt_f64_f32_e32 v[7:8], v1
.LBB95_1247:
	s_cbranch_execnz .LBB95_1266
.LBB95_1248:
	s_cmp_lt_i32 s2, 2
	s_cbranch_scc1 .LBB95_1252
; %bb.1249:
	s_cmp_lt_i32 s2, 3
	s_cbranch_scc1 .LBB95_1253
; %bb.1250:
	s_cmp_gt_i32 s2, 3
	s_cbranch_scc0 .LBB95_1254
; %bb.1251:
	global_load_dwordx2 v[7:8], v[14:15], off
	s_mov_b64 s[0:1], 0
	s_waitcnt vmcnt(0)
	v_cvt_f64_i32_e32 v[16:17], v8
	v_cvt_f64_u32_e32 v[7:8], v7
	v_ldexp_f64 v[16:17], v[16:17], 32
	v_add_f64 v[7:8], v[16:17], v[7:8]
	s_branch .LBB95_1255
.LBB95_1252:
                                        ; implicit-def: $vgpr7_vgpr8
	s_branch .LBB95_1261
.LBB95_1253:
	s_mov_b64 s[0:1], -1
                                        ; implicit-def: $vgpr7_vgpr8
	s_branch .LBB95_1258
.LBB95_1254:
	s_mov_b64 s[0:1], -1
                                        ; implicit-def: $vgpr7_vgpr8
.LBB95_1255:
	s_andn2_b64 vcc, exec, s[0:1]
	s_cbranch_vccnz .LBB95_1257
; %bb.1256:
	global_load_dword v1, v[14:15], off
	s_waitcnt vmcnt(0)
	v_cvt_f64_i32_e32 v[7:8], v1
.LBB95_1257:
	s_mov_b64 s[0:1], 0
.LBB95_1258:
	s_andn2_b64 vcc, exec, s[0:1]
	s_cbranch_vccnz .LBB95_1260
; %bb.1259:
	global_load_sshort v1, v[14:15], off
	s_waitcnt vmcnt(0)
	v_cvt_f64_i32_e32 v[7:8], v1
.LBB95_1260:
	s_cbranch_execnz .LBB95_1266
.LBB95_1261:
	s_cmp_gt_i32 s2, 0
	s_cbranch_scc0 .LBB95_1263
; %bb.1262:
	global_load_sbyte v1, v[14:15], off
	s_mov_b64 s[0:1], 0
	s_waitcnt vmcnt(0)
	v_cvt_f64_i32_e32 v[7:8], v1
	s_branch .LBB95_1264
.LBB95_1263:
	s_mov_b64 s[0:1], -1
                                        ; implicit-def: $vgpr7_vgpr8
.LBB95_1264:
	s_andn2_b64 vcc, exec, s[0:1]
	s_cbranch_vccnz .LBB95_1266
; %bb.1265:
	global_load_ubyte v1, v[14:15], off
	s_waitcnt vmcnt(0)
	v_cvt_f64_u32_e32 v[7:8], v1
.LBB95_1266:
.LBB95_1267:
	s_lshr_b32 s0, s16, 8
	v_mov_b32_e32 v1, s11
	s_and_b32 s18, s0, 0xff
	v_add_co_u32_e32 v14, vcc, s10, v9
	s_cmp_lt_i32 s18, 11
	v_addc_co_u32_e32 v15, vcc, 0, v1, vcc
	s_cbranch_scc1 .LBB95_1274
; %bb.1268:
	s_and_b32 s19, 0xffff, s18
	s_cmp_gt_i32 s19, 25
	s_mov_b64 s[2:3], 0
	s_cbranch_scc0 .LBB95_1276
; %bb.1269:
	s_cmp_gt_i32 s19, 28
	s_cbranch_scc0 .LBB95_1277
; %bb.1270:
	s_cmp_gt_i32 s19, 43
	;; [unrolled: 3-line block ×3, first 2 shown]
	s_cbranch_scc0 .LBB95_1280
; %bb.1272:
	s_cmp_eq_u32 s19, 46
	s_mov_b64 s[14:15], 0
	s_cbranch_scc0 .LBB95_1283
; %bb.1273:
	global_load_dword v1, v[14:15], off
	s_mov_b64 s[0:1], 0
	s_mov_b64 s[4:5], -1
	s_waitcnt vmcnt(0)
	v_lshlrev_b32_e32 v1, 16, v1
	v_cvt_f64_f32_e32 v[9:10], v1
	s_branch .LBB95_1284
.LBB95_1274:
	s_mov_b64 s[4:5], 0
                                        ; implicit-def: $vgpr9_vgpr10
	s_cbranch_execnz .LBB95_1349
.LBB95_1275:
	s_andn2_b64 vcc, exec, s[4:5]
	s_cbranch_vccnz .LBB95_2088
	s_branch .LBB95_1396
.LBB95_1276:
	s_mov_b64 s[4:5], 0
	s_mov_b64 s[0:1], 0
                                        ; implicit-def: $vgpr9_vgpr10
	s_cbranch_execnz .LBB95_1315
	s_branch .LBB95_1345
.LBB95_1277:
	s_mov_b64 s[14:15], -1
	s_mov_b64 s[4:5], 0
	s_mov_b64 s[0:1], 0
                                        ; implicit-def: $vgpr9_vgpr10
	s_branch .LBB95_1294
.LBB95_1278:
	s_mov_b64 s[14:15], -1
	s_mov_b64 s[4:5], 0
	s_mov_b64 s[0:1], 0
                                        ; implicit-def: $vgpr9_vgpr10
	s_branch .LBB95_1289
.LBB95_1279:
	s_or_b64 s[12:13], s[6:7], exec
	s_trap 2
	s_cbranch_execz .LBB95_1220
	s_branch .LBB95_1221
.LBB95_1280:
	s_mov_b64 s[14:15], -1
	s_mov_b64 s[4:5], 0
	s_mov_b64 s[0:1], 0
                                        ; implicit-def: $vgpr9_vgpr10
	s_branch .LBB95_1284
.LBB95_1281:
	s_andn2_saveexec_b64 s[16:17], s[16:17]
	s_cbranch_execz .LBB95_1007
.LBB95_1282:
	v_add_f32_e32 v0, 0x42800000, v3
	v_and_b32_e32 v0, 0xff, v0
	v_cmp_ne_u32_e32 vcc, 0, v0
	s_andn2_b64 s[14:15], s[14:15], exec
	s_and_b64 s[20:21], vcc, exec
	s_or_b64 s[14:15], s[14:15], s[20:21]
	s_or_b64 exec, exec, s[16:17]
	v_mov_b32_e32 v4, 0
	s_and_saveexec_b64 s[16:17], s[14:15]
	s_cbranch_execnz .LBB95_1008
	s_branch .LBB95_1009
.LBB95_1283:
	s_mov_b64 s[0:1], -1
                                        ; implicit-def: $vgpr9_vgpr10
	s_mov_b64 s[4:5], 0
.LBB95_1284:
	s_and_b64 vcc, exec, s[14:15]
	s_cbranch_vccz .LBB95_1288
; %bb.1285:
	s_cmp_eq_u32 s19, 44
	s_cbranch_scc0 .LBB95_1287
; %bb.1286:
	global_load_ubyte v1, v[14:15], off
	s_movk_i32 s4, 0xff
	s_waitcnt vmcnt(1)
	v_bfrev_b32_e32 v3, 4
	v_mov_b32_e32 v5, 0x7ff80000
	v_bfrev_b32_e32 v12, 28
	s_mov_b64 s[0:1], 0
	s_waitcnt vmcnt(0)
	v_lshlrev_b32_e32 v9, 23, v1
	v_cvt_f64_f32_e32 v[9:10], v9
	v_cmp_ne_u32_e32 vcc, s4, v1
	s_mov_b64 s[4:5], -1
	v_cndmask_b32_e32 v3, v3, v9, vcc
	v_cndmask_b32_e32 v5, v5, v10, vcc
	v_cmp_ne_u32_e32 vcc, 0, v1
	v_cndmask_b32_e32 v10, v12, v5, vcc
	v_cndmask_b32_e32 v9, 0, v3, vcc
	s_branch .LBB95_1288
.LBB95_1287:
	s_mov_b64 s[0:1], -1
                                        ; implicit-def: $vgpr9_vgpr10
.LBB95_1288:
	s_mov_b64 s[14:15], 0
.LBB95_1289:
	s_and_b64 vcc, exec, s[14:15]
	s_cbranch_vccz .LBB95_1293
; %bb.1290:
	s_cmp_eq_u32 s19, 29
	s_cbranch_scc0 .LBB95_1292
; %bb.1291:
	global_load_dwordx2 v[9:10], v[14:15], off
	s_mov_b64 s[0:1], 0
	s_mov_b64 s[4:5], -1
	s_mov_b64 s[14:15], 0
	s_waitcnt vmcnt(0)
	v_cvt_f64_u32_e32 v[16:17], v10
	v_cvt_f64_u32_e32 v[9:10], v9
	v_ldexp_f64 v[16:17], v[16:17], 32
	v_add_f64 v[9:10], v[16:17], v[9:10]
	s_branch .LBB95_1294
.LBB95_1292:
	s_mov_b64 s[0:1], -1
                                        ; implicit-def: $vgpr9_vgpr10
.LBB95_1293:
	s_mov_b64 s[14:15], 0
.LBB95_1294:
	s_and_b64 vcc, exec, s[14:15]
	s_cbranch_vccz .LBB95_1314
; %bb.1295:
	s_cmp_lt_i32 s19, 27
	s_cbranch_scc1 .LBB95_1298
; %bb.1296:
	s_cmp_gt_i32 s19, 27
	s_cbranch_scc0 .LBB95_1299
; %bb.1297:
	global_load_dword v1, v[14:15], off
	s_mov_b64 s[4:5], 0
	s_waitcnt vmcnt(0)
	v_cvt_f64_u32_e32 v[9:10], v1
	s_branch .LBB95_1300
.LBB95_1298:
	s_mov_b64 s[4:5], -1
                                        ; implicit-def: $vgpr9_vgpr10
	s_branch .LBB95_1303
.LBB95_1299:
	s_mov_b64 s[4:5], -1
                                        ; implicit-def: $vgpr9_vgpr10
.LBB95_1300:
	s_andn2_b64 vcc, exec, s[4:5]
	s_cbranch_vccnz .LBB95_1302
; %bb.1301:
	global_load_ushort v1, v[14:15], off
	s_waitcnt vmcnt(0)
	v_cvt_f64_u32_e32 v[9:10], v1
.LBB95_1302:
	s_mov_b64 s[4:5], 0
.LBB95_1303:
	s_andn2_b64 vcc, exec, s[4:5]
	s_cbranch_vccnz .LBB95_1313
; %bb.1304:
	global_load_ubyte v1, v[14:15], off
	s_movk_i32 s4, 0x7f
	s_waitcnt vmcnt(0)
	v_cmp_lt_i16_e32 vcc, s4, v1
	s_mov_b64 s[4:5], 0
	s_and_saveexec_b64 s[14:15], vcc
	s_xor_b64 s[14:15], exec, s[14:15]
	s_cbranch_execz .LBB95_1308
; %bb.1305:
	s_movk_i32 s4, 0x80
	v_cmp_eq_u16_e32 vcc, s4, v1
	s_mov_b64 s[4:5], -1
	s_and_saveexec_b64 s[16:17], vcc
; %bb.1306:
	s_xor_b64 s[4:5], exec, -1
; %bb.1307:
	s_or_b64 exec, exec, s[16:17]
	s_and_b64 s[4:5], s[4:5], exec
.LBB95_1308:
	s_or_saveexec_b64 s[14:15], s[14:15]
	v_bfrev_b32_e32 v9, 4
	v_mov_b32_e32 v10, 0x7ff80000
	s_xor_b64 exec, exec, s[14:15]
; %bb.1309:
	v_cmp_ne_u16_e32 vcc, 0, v1
	v_mov_b32_e32 v9, 0
	s_andn2_b64 s[4:5], s[4:5], exec
	s_and_b64 s[16:17], vcc, exec
	v_mov_b32_e32 v10, 0
	s_or_b64 s[4:5], s[4:5], s[16:17]
; %bb.1310:
	s_or_b64 exec, exec, s[14:15]
	s_and_saveexec_b64 s[14:15], s[4:5]
	s_cbranch_execz .LBB95_1312
; %bb.1311:
	v_lshlrev_b32_e32 v3, 24, v1
	v_and_b32_e32 v1, 0xffff, v1
	v_and_b32_e32 v5, 7, v1
	v_ffbh_u32_e32 v10, v5
	v_min_u32_e32 v10, 32, v10
	v_subrev_u32_e32 v12, 28, v10
	v_bfe_u32 v9, v1, 3, 4
	v_lshlrev_b32_e32 v1, v12, v1
	v_sub_u32_e32 v10, 29, v10
	v_and_b32_e32 v1, 7, v1
	v_cmp_eq_u32_e32 vcc, 0, v9
	v_cndmask_b32_e32 v9, v9, v10, vcc
	v_cndmask_b32_e32 v1, v5, v1, vcc
	v_mov_b32_e32 v5, 0x3b800000
	v_lshlrev_b32_e32 v1, 20, v1
	v_and_b32_e32 v3, 0x80000000, v3
	v_lshl_add_u32 v5, v9, 23, v5
	v_or3_b32 v1, v3, v5, v1
	v_cvt_f64_f32_e32 v[9:10], v1
.LBB95_1312:
	s_or_b64 exec, exec, s[14:15]
.LBB95_1313:
	s_mov_b64 s[4:5], -1
.LBB95_1314:
	s_branch .LBB95_1345
.LBB95_1315:
	s_cmp_gt_i32 s19, 22
	s_cbranch_scc0 .LBB95_1327
; %bb.1316:
	s_cmp_lt_i32 s19, 24
	s_cbranch_scc1 .LBB95_1328
; %bb.1317:
	s_cmp_gt_i32 s19, 24
	s_cbranch_scc0 .LBB95_1329
; %bb.1318:
	global_load_ubyte v1, v[14:15], off
	s_movk_i32 s2, 0x7f
	s_waitcnt vmcnt(0)
	v_cmp_lt_i16_e32 vcc, s2, v1
	s_mov_b64 s[2:3], 0
	s_and_saveexec_b64 s[4:5], vcc
	s_xor_b64 s[4:5], exec, s[4:5]
	s_cbranch_execz .LBB95_1322
; %bb.1319:
	s_movk_i32 s2, 0x80
	v_cmp_eq_u16_e32 vcc, s2, v1
	s_mov_b64 s[2:3], -1
	s_and_saveexec_b64 s[14:15], vcc
; %bb.1320:
	s_xor_b64 s[2:3], exec, -1
; %bb.1321:
	s_or_b64 exec, exec, s[14:15]
	s_and_b64 s[2:3], s[2:3], exec
.LBB95_1322:
	s_or_saveexec_b64 s[4:5], s[4:5]
	v_bfrev_b32_e32 v9, 4
	v_mov_b32_e32 v10, 0x7ff80000
	s_xor_b64 exec, exec, s[4:5]
; %bb.1323:
	v_cmp_ne_u16_e32 vcc, 0, v1
	v_mov_b32_e32 v9, 0
	s_andn2_b64 s[2:3], s[2:3], exec
	s_and_b64 s[14:15], vcc, exec
	v_mov_b32_e32 v10, 0
	s_or_b64 s[2:3], s[2:3], s[14:15]
; %bb.1324:
	s_or_b64 exec, exec, s[4:5]
	s_and_saveexec_b64 s[4:5], s[2:3]
	s_cbranch_execz .LBB95_1326
; %bb.1325:
	v_lshlrev_b32_e32 v3, 24, v1
	v_and_b32_e32 v1, 0xffff, v1
	v_and_b32_e32 v5, 3, v1
	v_ffbh_u32_e32 v10, v5
	v_min_u32_e32 v10, 32, v10
	v_subrev_u32_e32 v12, 29, v10
	v_bfe_u32 v9, v1, 2, 5
	v_lshlrev_b32_e32 v1, v12, v1
	v_sub_u32_e32 v10, 30, v10
	v_and_b32_e32 v1, 3, v1
	v_cmp_eq_u32_e32 vcc, 0, v9
	v_cndmask_b32_e32 v9, v9, v10, vcc
	v_cndmask_b32_e32 v1, v5, v1, vcc
	v_mov_b32_e32 v5, 0x37800000
	v_lshlrev_b32_e32 v1, 21, v1
	v_and_b32_e32 v3, 0x80000000, v3
	v_lshl_add_u32 v5, v9, 23, v5
	v_or3_b32 v1, v3, v5, v1
	v_cvt_f64_f32_e32 v[9:10], v1
.LBB95_1326:
	s_or_b64 exec, exec, s[4:5]
	s_mov_b64 s[2:3], 0
	s_branch .LBB95_1330
.LBB95_1327:
	s_mov_b64 s[2:3], -1
                                        ; implicit-def: $vgpr9_vgpr10
	s_branch .LBB95_1336
.LBB95_1328:
	s_mov_b64 s[2:3], -1
                                        ; implicit-def: $vgpr9_vgpr10
	s_branch .LBB95_1333
.LBB95_1329:
	s_mov_b64 s[2:3], -1
                                        ; implicit-def: $vgpr9_vgpr10
.LBB95_1330:
	s_and_b64 vcc, exec, s[2:3]
	s_cbranch_vccz .LBB95_1332
; %bb.1331:
	global_load_ubyte v1, v[14:15], off
	s_mov_b32 s2, 0x7f800000
	s_waitcnt vmcnt(0)
	v_lshlrev_b32_e32 v1, 24, v1
	v_and_b32_e32 v3, 0x7f000000, v1
	v_ffbh_u32_e32 v5, v3
	v_min_u32_e32 v5, 32, v5
	v_sub_u32_e64 v5, v5, 4 clamp
	v_lshlrev_b32_e32 v10, v5, v3
	v_lshlrev_b32_e32 v5, 23, v5
	v_lshrrev_b32_e32 v10, 4, v10
	v_add_u32_e32 v9, 0x1000000, v3
	v_sub_u32_e32 v5, v10, v5
	v_ashrrev_i32_e32 v9, 8, v9
	v_add_u32_e32 v5, 0x3c000000, v5
	v_and_or_b32 v5, v9, s2, v5
	v_cmp_ne_u32_e32 vcc, 0, v3
	v_cndmask_b32_e32 v3, 0, v5, vcc
	s_brev_b32 s2, 1
	v_and_or_b32 v1, v1, s2, v3
	v_cvt_f64_f32_e32 v[9:10], v1
.LBB95_1332:
	s_mov_b64 s[2:3], 0
.LBB95_1333:
	s_andn2_b64 vcc, exec, s[2:3]
	s_cbranch_vccnz .LBB95_1335
; %bb.1334:
	global_load_ubyte v1, v[14:15], off
	s_movk_i32 s2, 0x7f00
	s_brev_b32 s3, 16
	s_waitcnt vmcnt(0)
	v_lshlrev_b16_e32 v3, 8, v1
	v_lshlrev_b32_e32 v1, 25, v1
	v_lshrrev_b32_e32 v5, 4, v1
	v_and_or_b32 v9, v3, s2, 0.5
	v_or_b32_e32 v5, 0x70000000, v5
	v_add_f32_e32 v9, -0.5, v9
	v_mul_f32_e32 v5, 0x7800000, v5
	v_cmp_gt_u32_e32 vcc, s3, v1
	v_bfe_i32 v3, v3, 0, 16
	v_cndmask_b32_e32 v1, v5, v9, vcc
	s_brev_b32 s2, 1
	v_and_or_b32 v1, v3, s2, v1
	v_cvt_f64_f32_e32 v[9:10], v1
.LBB95_1335:
	s_mov_b64 s[2:3], 0
	s_mov_b64 s[4:5], -1
.LBB95_1336:
	s_andn2_b64 vcc, exec, s[2:3]
	s_mov_b64 s[2:3], 0
	s_cbranch_vccnz .LBB95_1345
; %bb.1337:
	s_cmp_gt_i32 s19, 14
	s_cbranch_scc0 .LBB95_1340
; %bb.1338:
	s_cmp_eq_u32 s19, 15
	s_cbranch_scc0 .LBB95_1341
; %bb.1339:
	global_load_ushort v1, v[14:15], off
	s_mov_b64 s[0:1], 0
	s_mov_b64 s[4:5], -1
	s_waitcnt vmcnt(0)
	v_lshlrev_b32_e32 v1, 16, v1
	v_cvt_f64_f32_e32 v[9:10], v1
	s_branch .LBB95_1342
.LBB95_1340:
	s_mov_b64 s[14:15], -1
                                        ; implicit-def: $vgpr9_vgpr10
	s_branch .LBB95_1343
.LBB95_1341:
	s_mov_b64 s[0:1], -1
                                        ; implicit-def: $vgpr9_vgpr10
.LBB95_1342:
	s_mov_b64 s[14:15], 0
.LBB95_1343:
	s_and_b64 vcc, exec, s[14:15]
	s_cbranch_vccz .LBB95_1345
; %bb.1344:
	s_cmp_lg_u32 s19, 11
	s_mov_b64 s[2:3], -1
	s_cselect_b64 s[0:1], -1, 0
.LBB95_1345:
	s_and_b64 vcc, exec, s[0:1]
	s_cbranch_vccnz .LBB95_1408
; %bb.1346:
	s_andn2_b64 vcc, exec, s[2:3]
	s_cbranch_vccnz .LBB95_1348
.LBB95_1347:
	global_load_ubyte v1, v[14:15], off
	s_waitcnt vmcnt(1)
	v_mov_b32_e32 v3, 0x3ff00000
	v_mov_b32_e32 v9, 0
	s_mov_b64 s[4:5], -1
	s_waitcnt vmcnt(0)
	v_cmp_ne_u16_e32 vcc, 0, v1
	v_cndmask_b32_e32 v10, 0, v3, vcc
.LBB95_1348:
	s_branch .LBB95_1275
.LBB95_1349:
	s_and_b32 s2, 0xffff, s18
	s_cmp_lt_i32 s2, 5
	s_cbranch_scc1 .LBB95_1354
; %bb.1350:
	s_cmp_lt_i32 s2, 8
	s_cbranch_scc1 .LBB95_1355
; %bb.1351:
	;; [unrolled: 3-line block ×3, first 2 shown]
	s_cmp_gt_i32 s2, 9
	s_cbranch_scc0 .LBB95_1357
; %bb.1353:
	global_load_dwordx2 v[9:10], v[14:15], off
	s_mov_b64 s[0:1], 0
	s_branch .LBB95_1358
.LBB95_1354:
                                        ; implicit-def: $vgpr9_vgpr10
	s_branch .LBB95_1376
.LBB95_1355:
	s_mov_b64 s[0:1], -1
                                        ; implicit-def: $vgpr9_vgpr10
	s_branch .LBB95_1364
.LBB95_1356:
	s_mov_b64 s[0:1], -1
                                        ; implicit-def: $vgpr9_vgpr10
	s_branch .LBB95_1361
.LBB95_1357:
	s_mov_b64 s[0:1], -1
                                        ; implicit-def: $vgpr9_vgpr10
.LBB95_1358:
	s_andn2_b64 vcc, exec, s[0:1]
	s_cbranch_vccnz .LBB95_1360
; %bb.1359:
	global_load_dword v1, v[14:15], off
	s_waitcnt vmcnt(0)
	v_cvt_f64_f32_e32 v[9:10], v1
.LBB95_1360:
	s_mov_b64 s[0:1], 0
.LBB95_1361:
	s_andn2_b64 vcc, exec, s[0:1]
	s_cbranch_vccnz .LBB95_1363
; %bb.1362:
	global_load_dword v1, v[14:15], off
	s_waitcnt vmcnt(0)
	v_cvt_f32_f16_e32 v1, v1
	v_cvt_f64_f32_e32 v[9:10], v1
.LBB95_1363:
	s_mov_b64 s[0:1], 0
.LBB95_1364:
	s_andn2_b64 vcc, exec, s[0:1]
	s_cbranch_vccnz .LBB95_1375
; %bb.1365:
	s_cmp_lt_i32 s2, 6
	s_cbranch_scc1 .LBB95_1368
; %bb.1366:
	s_cmp_gt_i32 s2, 6
	s_cbranch_scc0 .LBB95_1369
; %bb.1367:
	global_load_dwordx2 v[9:10], v[14:15], off
	s_mov_b64 s[0:1], 0
	s_branch .LBB95_1370
.LBB95_1368:
	s_mov_b64 s[0:1], -1
                                        ; implicit-def: $vgpr9_vgpr10
	s_branch .LBB95_1373
.LBB95_1369:
	s_mov_b64 s[0:1], -1
                                        ; implicit-def: $vgpr9_vgpr10
.LBB95_1370:
	s_andn2_b64 vcc, exec, s[0:1]
	s_cbranch_vccnz .LBB95_1372
; %bb.1371:
	global_load_dword v1, v[14:15], off
	s_waitcnt vmcnt(0)
	v_cvt_f64_f32_e32 v[9:10], v1
.LBB95_1372:
	s_mov_b64 s[0:1], 0
.LBB95_1373:
	s_andn2_b64 vcc, exec, s[0:1]
	s_cbranch_vccnz .LBB95_1375
; %bb.1374:
	global_load_ushort v1, v[14:15], off
	s_waitcnt vmcnt(0)
	v_cvt_f32_f16_e32 v1, v1
	v_cvt_f64_f32_e32 v[9:10], v1
.LBB95_1375:
	s_cbranch_execnz .LBB95_1395
.LBB95_1376:
	s_cmp_lt_i32 s2, 2
	s_cbranch_scc1 .LBB95_1380
; %bb.1377:
	s_cmp_lt_i32 s2, 3
	s_cbranch_scc1 .LBB95_1381
; %bb.1378:
	s_cmp_gt_i32 s2, 3
	s_cbranch_scc0 .LBB95_1382
; %bb.1379:
	global_load_dwordx2 v[9:10], v[14:15], off
	s_mov_b64 s[0:1], 0
	s_waitcnt vmcnt(0)
	v_cvt_f64_i32_e32 v[16:17], v10
	v_cvt_f64_u32_e32 v[9:10], v9
	v_ldexp_f64 v[16:17], v[16:17], 32
	v_add_f64 v[9:10], v[16:17], v[9:10]
	s_branch .LBB95_1383
.LBB95_1380:
	s_mov_b64 s[0:1], -1
                                        ; implicit-def: $vgpr9_vgpr10
	s_branch .LBB95_1389
.LBB95_1381:
	s_mov_b64 s[0:1], -1
                                        ; implicit-def: $vgpr9_vgpr10
	s_branch .LBB95_1386
.LBB95_1382:
	s_mov_b64 s[0:1], -1
                                        ; implicit-def: $vgpr9_vgpr10
.LBB95_1383:
	s_andn2_b64 vcc, exec, s[0:1]
	s_cbranch_vccnz .LBB95_1385
; %bb.1384:
	global_load_dword v1, v[14:15], off
	s_waitcnt vmcnt(0)
	v_cvt_f64_i32_e32 v[9:10], v1
.LBB95_1385:
	s_mov_b64 s[0:1], 0
.LBB95_1386:
	s_andn2_b64 vcc, exec, s[0:1]
	s_cbranch_vccnz .LBB95_1388
; %bb.1387:
	global_load_sshort v1, v[14:15], off
	s_waitcnt vmcnt(0)
	v_cvt_f64_i32_e32 v[9:10], v1
.LBB95_1388:
	s_mov_b64 s[0:1], 0
.LBB95_1389:
	s_andn2_b64 vcc, exec, s[0:1]
	s_cbranch_vccnz .LBB95_1395
; %bb.1390:
	s_cmp_gt_i32 s2, 0
	s_cbranch_scc0 .LBB95_1392
; %bb.1391:
	global_load_sbyte v1, v[14:15], off
	s_mov_b64 s[0:1], 0
	s_waitcnt vmcnt(0)
	v_cvt_f64_i32_e32 v[9:10], v1
	s_branch .LBB95_1393
.LBB95_1392:
	s_mov_b64 s[0:1], -1
                                        ; implicit-def: $vgpr9_vgpr10
.LBB95_1393:
	s_andn2_b64 vcc, exec, s[0:1]
	s_cbranch_vccnz .LBB95_1395
; %bb.1394:
	global_load_ubyte v1, v[14:15], off
	s_waitcnt vmcnt(0)
	v_cvt_f64_u32_e32 v[9:10], v1
.LBB95_1395:
.LBB95_1396:
	v_mov_b32_e32 v1, s11
	v_add_co_u32_e32 v14, vcc, s10, v11
	s_cmp_lt_i32 s18, 11
	v_addc_co_u32_e32 v15, vcc, 0, v1, vcc
	s_cbranch_scc1 .LBB95_1403
; %bb.1397:
	s_and_b32 s19, 0xffff, s18
	s_cmp_gt_i32 s19, 25
	s_mov_b64 s[2:3], 0
	s_cbranch_scc0 .LBB95_1405
; %bb.1398:
	s_cmp_gt_i32 s19, 28
	s_cbranch_scc0 .LBB95_1406
; %bb.1399:
	s_cmp_gt_i32 s19, 43
	s_cbranch_scc0 .LBB95_1407
; %bb.1400:
	s_cmp_gt_i32 s19, 45
	s_cbranch_scc0 .LBB95_1409
; %bb.1401:
	s_cmp_eq_u32 s19, 46
	s_mov_b64 s[14:15], 0
	s_cbranch_scc0 .LBB95_1410
; %bb.1402:
	global_load_dword v1, v[14:15], off
	s_mov_b64 s[0:1], 0
	s_mov_b64 s[4:5], -1
	s_waitcnt vmcnt(0)
	v_lshlrev_b32_e32 v1, 16, v1
	v_cvt_f64_f32_e32 v[11:12], v1
	s_branch .LBB95_1411
.LBB95_1403:
	s_mov_b64 s[4:5], 0
                                        ; implicit-def: $vgpr11_vgpr12
	s_cbranch_execnz .LBB95_1477
.LBB95_1404:
	s_andn2_b64 vcc, exec, s[4:5]
	s_cbranch_vccnz .LBB95_2088
	s_branch .LBB95_1525
.LBB95_1405:
	s_mov_b64 s[14:15], -1
	s_mov_b64 s[4:5], 0
	s_mov_b64 s[0:1], 0
                                        ; implicit-def: $vgpr11_vgpr12
	s_branch .LBB95_1442
.LBB95_1406:
	s_mov_b64 s[14:15], -1
	s_mov_b64 s[4:5], 0
	s_mov_b64 s[0:1], 0
                                        ; implicit-def: $vgpr11_vgpr12
	s_branch .LBB95_1421
.LBB95_1407:
	s_mov_b64 s[14:15], -1
	s_mov_b64 s[4:5], 0
	s_mov_b64 s[0:1], 0
                                        ; implicit-def: $vgpr11_vgpr12
	s_branch .LBB95_1416
.LBB95_1408:
	s_trap 2
	s_or_b64 s[12:13], s[12:13], exec
	s_cbranch_execz .LBB95_1347
	s_branch .LBB95_1348
.LBB95_1409:
	s_mov_b64 s[14:15], -1
	s_mov_b64 s[4:5], 0
	s_mov_b64 s[0:1], 0
                                        ; implicit-def: $vgpr11_vgpr12
	s_branch .LBB95_1411
.LBB95_1410:
	s_mov_b64 s[0:1], -1
                                        ; implicit-def: $vgpr11_vgpr12
	s_mov_b64 s[4:5], 0
.LBB95_1411:
	s_and_b64 vcc, exec, s[14:15]
	s_cbranch_vccz .LBB95_1415
; %bb.1412:
	s_cmp_eq_u32 s19, 44
	s_cbranch_scc0 .LBB95_1414
; %bb.1413:
	global_load_ubyte v1, v[14:15], off
	s_movk_i32 s4, 0xff
	s_waitcnt vmcnt(1)
	v_bfrev_b32_e32 v3, 4
	v_mov_b32_e32 v5, 0x7ff80000
	v_bfrev_b32_e32 v16, 28
	s_mov_b64 s[0:1], 0
	s_waitcnt vmcnt(0)
	v_lshlrev_b32_e32 v11, 23, v1
	v_cvt_f64_f32_e32 v[11:12], v11
	v_cmp_ne_u32_e32 vcc, s4, v1
	s_mov_b64 s[4:5], -1
	v_cndmask_b32_e32 v3, v3, v11, vcc
	v_cndmask_b32_e32 v5, v5, v12, vcc
	v_cmp_ne_u32_e32 vcc, 0, v1
	v_cndmask_b32_e32 v12, v16, v5, vcc
	v_cndmask_b32_e32 v11, 0, v3, vcc
	s_branch .LBB95_1415
.LBB95_1414:
	s_mov_b64 s[0:1], -1
                                        ; implicit-def: $vgpr11_vgpr12
.LBB95_1415:
	s_mov_b64 s[14:15], 0
.LBB95_1416:
	s_and_b64 vcc, exec, s[14:15]
	s_cbranch_vccz .LBB95_1420
; %bb.1417:
	s_cmp_eq_u32 s19, 29
	s_cbranch_scc0 .LBB95_1419
; %bb.1418:
	global_load_dwordx2 v[11:12], v[14:15], off
	s_mov_b64 s[0:1], 0
	s_mov_b64 s[4:5], -1
	s_mov_b64 s[14:15], 0
	s_waitcnt vmcnt(0)
	v_cvt_f64_u32_e32 v[16:17], v12
	v_cvt_f64_u32_e32 v[11:12], v11
	v_ldexp_f64 v[16:17], v[16:17], 32
	v_add_f64 v[11:12], v[16:17], v[11:12]
	s_branch .LBB95_1421
.LBB95_1419:
	s_mov_b64 s[0:1], -1
                                        ; implicit-def: $vgpr11_vgpr12
.LBB95_1420:
	s_mov_b64 s[14:15], 0
.LBB95_1421:
	s_and_b64 vcc, exec, s[14:15]
	s_cbranch_vccz .LBB95_1441
; %bb.1422:
	s_cmp_lt_i32 s19, 27
	s_cbranch_scc1 .LBB95_1425
; %bb.1423:
	s_cmp_gt_i32 s19, 27
	s_cbranch_scc0 .LBB95_1426
; %bb.1424:
	global_load_dword v1, v[14:15], off
	s_mov_b64 s[4:5], 0
	s_waitcnt vmcnt(0)
	v_cvt_f64_u32_e32 v[11:12], v1
	s_branch .LBB95_1427
.LBB95_1425:
	s_mov_b64 s[4:5], -1
                                        ; implicit-def: $vgpr11_vgpr12
	s_branch .LBB95_1430
.LBB95_1426:
	s_mov_b64 s[4:5], -1
                                        ; implicit-def: $vgpr11_vgpr12
.LBB95_1427:
	s_andn2_b64 vcc, exec, s[4:5]
	s_cbranch_vccnz .LBB95_1429
; %bb.1428:
	global_load_ushort v1, v[14:15], off
	s_waitcnt vmcnt(0)
	v_cvt_f64_u32_e32 v[11:12], v1
.LBB95_1429:
	s_mov_b64 s[4:5], 0
.LBB95_1430:
	s_andn2_b64 vcc, exec, s[4:5]
	s_cbranch_vccnz .LBB95_1440
; %bb.1431:
	global_load_ubyte v1, v[14:15], off
	s_movk_i32 s4, 0x7f
	s_waitcnt vmcnt(0)
	v_cmp_lt_i16_e32 vcc, s4, v1
	s_mov_b64 s[4:5], 0
	s_and_saveexec_b64 s[14:15], vcc
	s_xor_b64 s[14:15], exec, s[14:15]
	s_cbranch_execz .LBB95_1435
; %bb.1432:
	s_movk_i32 s4, 0x80
	v_cmp_eq_u16_e32 vcc, s4, v1
	s_mov_b64 s[4:5], -1
	s_and_saveexec_b64 s[16:17], vcc
; %bb.1433:
	s_xor_b64 s[4:5], exec, -1
; %bb.1434:
	s_or_b64 exec, exec, s[16:17]
	s_and_b64 s[4:5], s[4:5], exec
.LBB95_1435:
	s_or_saveexec_b64 s[14:15], s[14:15]
	v_bfrev_b32_e32 v11, 4
	v_mov_b32_e32 v12, 0x7ff80000
	s_xor_b64 exec, exec, s[14:15]
; %bb.1436:
	v_cmp_ne_u16_e32 vcc, 0, v1
	v_mov_b32_e32 v11, 0
	s_andn2_b64 s[4:5], s[4:5], exec
	s_and_b64 s[16:17], vcc, exec
	v_mov_b32_e32 v12, 0
	s_or_b64 s[4:5], s[4:5], s[16:17]
; %bb.1437:
	s_or_b64 exec, exec, s[14:15]
	s_and_saveexec_b64 s[14:15], s[4:5]
	s_cbranch_execz .LBB95_1439
; %bb.1438:
	v_lshlrev_b32_e32 v3, 24, v1
	v_and_b32_e32 v1, 0xffff, v1
	v_and_b32_e32 v5, 7, v1
	v_ffbh_u32_e32 v12, v5
	v_min_u32_e32 v12, 32, v12
	v_subrev_u32_e32 v16, 28, v12
	v_bfe_u32 v11, v1, 3, 4
	v_lshlrev_b32_e32 v1, v16, v1
	v_sub_u32_e32 v12, 29, v12
	v_and_b32_e32 v1, 7, v1
	v_cmp_eq_u32_e32 vcc, 0, v11
	v_cndmask_b32_e32 v11, v11, v12, vcc
	v_cndmask_b32_e32 v1, v5, v1, vcc
	v_mov_b32_e32 v5, 0x3b800000
	v_lshlrev_b32_e32 v1, 20, v1
	v_and_b32_e32 v3, 0x80000000, v3
	v_lshl_add_u32 v5, v11, 23, v5
	v_or3_b32 v1, v3, v5, v1
	v_cvt_f64_f32_e32 v[11:12], v1
.LBB95_1439:
	s_or_b64 exec, exec, s[14:15]
.LBB95_1440:
	s_mov_b64 s[4:5], -1
.LBB95_1441:
	s_mov_b64 s[14:15], 0
.LBB95_1442:
	s_and_b64 vcc, exec, s[14:15]
	s_cbranch_vccz .LBB95_1473
; %bb.1443:
	s_cmp_gt_i32 s19, 22
	s_cbranch_scc0 .LBB95_1455
; %bb.1444:
	s_cmp_lt_i32 s19, 24
	s_cbranch_scc1 .LBB95_1456
; %bb.1445:
	s_cmp_gt_i32 s19, 24
	s_cbranch_scc0 .LBB95_1457
; %bb.1446:
	global_load_ubyte v1, v[14:15], off
	s_movk_i32 s2, 0x7f
	s_waitcnt vmcnt(0)
	v_cmp_lt_i16_e32 vcc, s2, v1
	s_mov_b64 s[2:3], 0
	s_and_saveexec_b64 s[4:5], vcc
	s_xor_b64 s[4:5], exec, s[4:5]
	s_cbranch_execz .LBB95_1450
; %bb.1447:
	s_movk_i32 s2, 0x80
	v_cmp_eq_u16_e32 vcc, s2, v1
	s_mov_b64 s[2:3], -1
	s_and_saveexec_b64 s[14:15], vcc
; %bb.1448:
	s_xor_b64 s[2:3], exec, -1
; %bb.1449:
	s_or_b64 exec, exec, s[14:15]
	s_and_b64 s[2:3], s[2:3], exec
.LBB95_1450:
	s_or_saveexec_b64 s[4:5], s[4:5]
	v_bfrev_b32_e32 v11, 4
	v_mov_b32_e32 v12, 0x7ff80000
	s_xor_b64 exec, exec, s[4:5]
; %bb.1451:
	v_cmp_ne_u16_e32 vcc, 0, v1
	v_mov_b32_e32 v11, 0
	s_andn2_b64 s[2:3], s[2:3], exec
	s_and_b64 s[14:15], vcc, exec
	v_mov_b32_e32 v12, 0
	s_or_b64 s[2:3], s[2:3], s[14:15]
; %bb.1452:
	s_or_b64 exec, exec, s[4:5]
	s_and_saveexec_b64 s[4:5], s[2:3]
	s_cbranch_execz .LBB95_1454
; %bb.1453:
	v_lshlrev_b32_e32 v3, 24, v1
	v_and_b32_e32 v1, 0xffff, v1
	v_and_b32_e32 v5, 3, v1
	v_ffbh_u32_e32 v12, v5
	v_min_u32_e32 v12, 32, v12
	v_subrev_u32_e32 v16, 29, v12
	v_bfe_u32 v11, v1, 2, 5
	v_lshlrev_b32_e32 v1, v16, v1
	v_sub_u32_e32 v12, 30, v12
	v_and_b32_e32 v1, 3, v1
	v_cmp_eq_u32_e32 vcc, 0, v11
	v_cndmask_b32_e32 v11, v11, v12, vcc
	v_cndmask_b32_e32 v1, v5, v1, vcc
	v_mov_b32_e32 v5, 0x37800000
	v_lshlrev_b32_e32 v1, 21, v1
	v_and_b32_e32 v3, 0x80000000, v3
	v_lshl_add_u32 v5, v11, 23, v5
	v_or3_b32 v1, v3, v5, v1
	v_cvt_f64_f32_e32 v[11:12], v1
.LBB95_1454:
	s_or_b64 exec, exec, s[4:5]
	s_mov_b64 s[2:3], 0
	s_branch .LBB95_1458
.LBB95_1455:
	s_mov_b64 s[2:3], -1
                                        ; implicit-def: $vgpr11_vgpr12
	s_branch .LBB95_1464
.LBB95_1456:
	s_mov_b64 s[2:3], -1
                                        ; implicit-def: $vgpr11_vgpr12
	s_branch .LBB95_1461
.LBB95_1457:
	s_mov_b64 s[2:3], -1
                                        ; implicit-def: $vgpr11_vgpr12
.LBB95_1458:
	s_and_b64 vcc, exec, s[2:3]
	s_cbranch_vccz .LBB95_1460
; %bb.1459:
	global_load_ubyte v1, v[14:15], off
	s_mov_b32 s2, 0x7f800000
	s_waitcnt vmcnt(0)
	v_lshlrev_b32_e32 v1, 24, v1
	v_and_b32_e32 v3, 0x7f000000, v1
	v_ffbh_u32_e32 v5, v3
	v_min_u32_e32 v5, 32, v5
	v_sub_u32_e64 v5, v5, 4 clamp
	v_lshlrev_b32_e32 v12, v5, v3
	v_lshlrev_b32_e32 v5, 23, v5
	v_lshrrev_b32_e32 v12, 4, v12
	v_add_u32_e32 v11, 0x1000000, v3
	v_sub_u32_e32 v5, v12, v5
	v_ashrrev_i32_e32 v11, 8, v11
	v_add_u32_e32 v5, 0x3c000000, v5
	v_and_or_b32 v5, v11, s2, v5
	v_cmp_ne_u32_e32 vcc, 0, v3
	v_cndmask_b32_e32 v3, 0, v5, vcc
	s_brev_b32 s2, 1
	v_and_or_b32 v1, v1, s2, v3
	v_cvt_f64_f32_e32 v[11:12], v1
.LBB95_1460:
	s_mov_b64 s[2:3], 0
.LBB95_1461:
	s_andn2_b64 vcc, exec, s[2:3]
	s_cbranch_vccnz .LBB95_1463
; %bb.1462:
	global_load_ubyte v1, v[14:15], off
	s_movk_i32 s2, 0x7f00
	s_brev_b32 s3, 16
	s_waitcnt vmcnt(0)
	v_lshlrev_b16_e32 v3, 8, v1
	v_lshlrev_b32_e32 v1, 25, v1
	v_lshrrev_b32_e32 v5, 4, v1
	v_and_or_b32 v11, v3, s2, 0.5
	v_or_b32_e32 v5, 0x70000000, v5
	v_add_f32_e32 v11, -0.5, v11
	v_mul_f32_e32 v5, 0x7800000, v5
	v_cmp_gt_u32_e32 vcc, s3, v1
	v_bfe_i32 v3, v3, 0, 16
	v_cndmask_b32_e32 v1, v5, v11, vcc
	s_brev_b32 s2, 1
	v_and_or_b32 v1, v3, s2, v1
	v_cvt_f64_f32_e32 v[11:12], v1
.LBB95_1463:
	s_mov_b64 s[2:3], 0
	s_mov_b64 s[4:5], -1
.LBB95_1464:
	s_andn2_b64 vcc, exec, s[2:3]
	s_mov_b64 s[2:3], 0
	s_cbranch_vccnz .LBB95_1473
; %bb.1465:
	s_cmp_gt_i32 s19, 14
	s_cbranch_scc0 .LBB95_1468
; %bb.1466:
	s_cmp_eq_u32 s19, 15
	s_cbranch_scc0 .LBB95_1469
; %bb.1467:
	global_load_ushort v1, v[14:15], off
	s_mov_b64 s[0:1], 0
	s_mov_b64 s[4:5], -1
	s_waitcnt vmcnt(0)
	v_lshlrev_b32_e32 v1, 16, v1
	v_cvt_f64_f32_e32 v[11:12], v1
	s_branch .LBB95_1470
.LBB95_1468:
	s_mov_b64 s[14:15], -1
                                        ; implicit-def: $vgpr11_vgpr12
	s_branch .LBB95_1471
.LBB95_1469:
	s_mov_b64 s[0:1], -1
                                        ; implicit-def: $vgpr11_vgpr12
.LBB95_1470:
	s_mov_b64 s[14:15], 0
.LBB95_1471:
	s_and_b64 vcc, exec, s[14:15]
	s_cbranch_vccz .LBB95_1473
; %bb.1472:
	s_cmp_lg_u32 s19, 11
	s_mov_b64 s[2:3], -1
	s_cselect_b64 s[0:1], -1, 0
.LBB95_1473:
	s_and_b64 vcc, exec, s[0:1]
	s_cbranch_vccnz .LBB95_1536
; %bb.1474:
	s_andn2_b64 vcc, exec, s[2:3]
	s_cbranch_vccnz .LBB95_1476
.LBB95_1475:
	global_load_ubyte v1, v[14:15], off
	s_waitcnt vmcnt(1)
	v_mov_b32_e32 v3, 0x3ff00000
	v_mov_b32_e32 v11, 0
	s_mov_b64 s[4:5], -1
	s_waitcnt vmcnt(0)
	v_cmp_ne_u16_e32 vcc, 0, v1
	v_cndmask_b32_e32 v12, 0, v3, vcc
.LBB95_1476:
	s_branch .LBB95_1404
.LBB95_1477:
	s_and_b32 s2, 0xffff, s18
	s_cmp_lt_i32 s2, 5
	s_cbranch_scc1 .LBB95_1482
; %bb.1478:
	s_cmp_lt_i32 s2, 8
	s_cbranch_scc1 .LBB95_1483
; %bb.1479:
	s_cmp_lt_i32 s2, 9
	s_cbranch_scc1 .LBB95_1484
; %bb.1480:
	s_cmp_gt_i32 s2, 9
	s_cbranch_scc0 .LBB95_1485
; %bb.1481:
	global_load_dwordx2 v[11:12], v[14:15], off
	s_mov_b64 s[0:1], 0
	s_branch .LBB95_1486
.LBB95_1482:
	s_mov_b64 s[0:1], -1
                                        ; implicit-def: $vgpr11_vgpr12
	s_branch .LBB95_1504
.LBB95_1483:
	s_mov_b64 s[0:1], -1
                                        ; implicit-def: $vgpr11_vgpr12
	s_branch .LBB95_1492
.LBB95_1484:
	s_mov_b64 s[0:1], -1
                                        ; implicit-def: $vgpr11_vgpr12
	s_branch .LBB95_1489
.LBB95_1485:
	s_mov_b64 s[0:1], -1
                                        ; implicit-def: $vgpr11_vgpr12
.LBB95_1486:
	s_andn2_b64 vcc, exec, s[0:1]
	s_cbranch_vccnz .LBB95_1488
; %bb.1487:
	global_load_dword v1, v[14:15], off
	s_waitcnt vmcnt(0)
	v_cvt_f64_f32_e32 v[11:12], v1
.LBB95_1488:
	s_mov_b64 s[0:1], 0
.LBB95_1489:
	s_andn2_b64 vcc, exec, s[0:1]
	s_cbranch_vccnz .LBB95_1491
; %bb.1490:
	global_load_dword v1, v[14:15], off
	s_waitcnt vmcnt(0)
	v_cvt_f32_f16_e32 v1, v1
	v_cvt_f64_f32_e32 v[11:12], v1
.LBB95_1491:
	s_mov_b64 s[0:1], 0
.LBB95_1492:
	s_andn2_b64 vcc, exec, s[0:1]
	s_cbranch_vccnz .LBB95_1503
; %bb.1493:
	s_cmp_lt_i32 s2, 6
	s_cbranch_scc1 .LBB95_1496
; %bb.1494:
	s_cmp_gt_i32 s2, 6
	s_cbranch_scc0 .LBB95_1497
; %bb.1495:
	global_load_dwordx2 v[11:12], v[14:15], off
	s_mov_b64 s[0:1], 0
	s_branch .LBB95_1498
.LBB95_1496:
	s_mov_b64 s[0:1], -1
                                        ; implicit-def: $vgpr11_vgpr12
	s_branch .LBB95_1501
.LBB95_1497:
	s_mov_b64 s[0:1], -1
                                        ; implicit-def: $vgpr11_vgpr12
.LBB95_1498:
	s_andn2_b64 vcc, exec, s[0:1]
	s_cbranch_vccnz .LBB95_1500
; %bb.1499:
	global_load_dword v1, v[14:15], off
	s_waitcnt vmcnt(0)
	v_cvt_f64_f32_e32 v[11:12], v1
.LBB95_1500:
	s_mov_b64 s[0:1], 0
.LBB95_1501:
	s_andn2_b64 vcc, exec, s[0:1]
	s_cbranch_vccnz .LBB95_1503
; %bb.1502:
	global_load_ushort v1, v[14:15], off
	s_waitcnt vmcnt(0)
	v_cvt_f32_f16_e32 v1, v1
	v_cvt_f64_f32_e32 v[11:12], v1
.LBB95_1503:
	s_mov_b64 s[0:1], 0
.LBB95_1504:
	s_andn2_b64 vcc, exec, s[0:1]
	s_cbranch_vccnz .LBB95_1524
; %bb.1505:
	s_cmp_lt_i32 s2, 2
	s_cbranch_scc1 .LBB95_1509
; %bb.1506:
	s_cmp_lt_i32 s2, 3
	s_cbranch_scc1 .LBB95_1510
; %bb.1507:
	s_cmp_gt_i32 s2, 3
	s_cbranch_scc0 .LBB95_1511
; %bb.1508:
	global_load_dwordx2 v[11:12], v[14:15], off
	s_mov_b64 s[0:1], 0
	s_waitcnt vmcnt(0)
	v_cvt_f64_i32_e32 v[16:17], v12
	v_cvt_f64_u32_e32 v[11:12], v11
	v_ldexp_f64 v[16:17], v[16:17], 32
	v_add_f64 v[11:12], v[16:17], v[11:12]
	s_branch .LBB95_1512
.LBB95_1509:
	s_mov_b64 s[0:1], -1
                                        ; implicit-def: $vgpr11_vgpr12
	s_branch .LBB95_1518
.LBB95_1510:
	s_mov_b64 s[0:1], -1
                                        ; implicit-def: $vgpr11_vgpr12
	s_branch .LBB95_1515
.LBB95_1511:
	s_mov_b64 s[0:1], -1
                                        ; implicit-def: $vgpr11_vgpr12
.LBB95_1512:
	s_andn2_b64 vcc, exec, s[0:1]
	s_cbranch_vccnz .LBB95_1514
; %bb.1513:
	global_load_dword v1, v[14:15], off
	s_waitcnt vmcnt(0)
	v_cvt_f64_i32_e32 v[11:12], v1
.LBB95_1514:
	s_mov_b64 s[0:1], 0
.LBB95_1515:
	s_andn2_b64 vcc, exec, s[0:1]
	s_cbranch_vccnz .LBB95_1517
; %bb.1516:
	global_load_sshort v1, v[14:15], off
	s_waitcnt vmcnt(0)
	v_cvt_f64_i32_e32 v[11:12], v1
.LBB95_1517:
	s_mov_b64 s[0:1], 0
.LBB95_1518:
	s_andn2_b64 vcc, exec, s[0:1]
	s_cbranch_vccnz .LBB95_1524
; %bb.1519:
	s_cmp_gt_i32 s2, 0
	s_cbranch_scc0 .LBB95_1521
; %bb.1520:
	global_load_sbyte v1, v[14:15], off
	s_mov_b64 s[0:1], 0
	s_waitcnt vmcnt(0)
	v_cvt_f64_i32_e32 v[11:12], v1
	s_branch .LBB95_1522
.LBB95_1521:
	s_mov_b64 s[0:1], -1
                                        ; implicit-def: $vgpr11_vgpr12
.LBB95_1522:
	s_andn2_b64 vcc, exec, s[0:1]
	s_cbranch_vccnz .LBB95_1524
; %bb.1523:
	global_load_ubyte v1, v[14:15], off
	s_waitcnt vmcnt(0)
	v_cvt_f64_u32_e32 v[11:12], v1
.LBB95_1524:
.LBB95_1525:
	v_mov_b32_e32 v1, s11
	v_add_co_u32_e32 v15, vcc, s10, v13
	s_cmp_lt_i32 s18, 11
	v_addc_co_u32_e32 v16, vcc, 0, v1, vcc
	s_cbranch_scc1 .LBB95_1532
; %bb.1526:
	s_and_b32 s16, 0xffff, s18
	s_cmp_gt_i32 s16, 25
	s_mov_b64 s[2:3], 0
	s_cbranch_scc0 .LBB95_1533
; %bb.1527:
	s_cmp_gt_i32 s16, 28
	s_cbranch_scc0 .LBB95_1534
; %bb.1528:
	s_cmp_gt_i32 s16, 43
	;; [unrolled: 3-line block ×3, first 2 shown]
	s_cbranch_scc0 .LBB95_1537
; %bb.1530:
	s_cmp_eq_u32 s16, 46
	s_mov_b64 s[10:11], 0
	s_cbranch_scc0 .LBB95_1538
; %bb.1531:
	global_load_dword v1, v[15:16], off
	s_mov_b64 s[0:1], 0
	s_mov_b64 s[4:5], -1
	s_waitcnt vmcnt(0)
	v_lshlrev_b32_e32 v1, 16, v1
	v_cvt_f64_f32_e32 v[13:14], v1
	s_branch .LBB95_1539
.LBB95_1532:
	s_mov_b64 s[0:1], -1
	s_mov_b64 s[4:5], 0
                                        ; implicit-def: $vgpr13_vgpr14
	s_branch .LBB95_1605
.LBB95_1533:
	s_mov_b64 s[10:11], -1
	s_mov_b64 s[4:5], 0
	s_mov_b64 s[0:1], 0
                                        ; implicit-def: $vgpr13_vgpr14
	s_branch .LBB95_1570
.LBB95_1534:
	s_mov_b64 s[10:11], -1
	s_mov_b64 s[4:5], 0
	s_mov_b64 s[0:1], 0
                                        ; implicit-def: $vgpr13_vgpr14
	s_branch .LBB95_1549
.LBB95_1535:
	s_mov_b64 s[10:11], -1
	s_mov_b64 s[4:5], 0
	s_mov_b64 s[0:1], 0
                                        ; implicit-def: $vgpr13_vgpr14
	s_branch .LBB95_1544
.LBB95_1536:
	s_trap 2
	s_or_b64 s[12:13], s[12:13], exec
	s_cbranch_execz .LBB95_1475
	s_branch .LBB95_1476
.LBB95_1537:
	s_mov_b64 s[10:11], -1
	s_mov_b64 s[4:5], 0
	s_mov_b64 s[0:1], 0
                                        ; implicit-def: $vgpr13_vgpr14
	s_branch .LBB95_1539
.LBB95_1538:
	s_mov_b64 s[0:1], -1
                                        ; implicit-def: $vgpr13_vgpr14
	s_mov_b64 s[4:5], 0
.LBB95_1539:
	s_and_b64 vcc, exec, s[10:11]
	s_cbranch_vccz .LBB95_1543
; %bb.1540:
	s_cmp_eq_u32 s16, 44
	s_cbranch_scc0 .LBB95_1542
; %bb.1541:
	global_load_ubyte v1, v[15:16], off
	s_movk_i32 s4, 0xff
	s_waitcnt vmcnt(1)
	v_bfrev_b32_e32 v3, 4
	v_mov_b32_e32 v5, 0x7ff80000
	v_bfrev_b32_e32 v17, 28
	s_mov_b64 s[0:1], 0
	s_waitcnt vmcnt(0)
	v_lshlrev_b32_e32 v13, 23, v1
	v_cvt_f64_f32_e32 v[13:14], v13
	v_cmp_ne_u32_e32 vcc, s4, v1
	s_mov_b64 s[4:5], -1
	v_cndmask_b32_e32 v3, v3, v13, vcc
	v_cndmask_b32_e32 v5, v5, v14, vcc
	v_cmp_ne_u32_e32 vcc, 0, v1
	v_cndmask_b32_e32 v14, v17, v5, vcc
	v_cndmask_b32_e32 v13, 0, v3, vcc
	s_branch .LBB95_1543
.LBB95_1542:
	s_mov_b64 s[0:1], -1
                                        ; implicit-def: $vgpr13_vgpr14
.LBB95_1543:
	s_mov_b64 s[10:11], 0
.LBB95_1544:
	s_and_b64 vcc, exec, s[10:11]
	s_cbranch_vccz .LBB95_1548
; %bb.1545:
	s_cmp_eq_u32 s16, 29
	s_cbranch_scc0 .LBB95_1547
; %bb.1546:
	global_load_dwordx2 v[13:14], v[15:16], off
	s_mov_b64 s[0:1], 0
	s_mov_b64 s[4:5], -1
	s_mov_b64 s[10:11], 0
	s_waitcnt vmcnt(0)
	v_cvt_f64_u32_e32 v[17:18], v14
	v_cvt_f64_u32_e32 v[13:14], v13
	v_ldexp_f64 v[17:18], v[17:18], 32
	v_add_f64 v[13:14], v[17:18], v[13:14]
	s_branch .LBB95_1549
.LBB95_1547:
	s_mov_b64 s[0:1], -1
                                        ; implicit-def: $vgpr13_vgpr14
.LBB95_1548:
	s_mov_b64 s[10:11], 0
.LBB95_1549:
	s_and_b64 vcc, exec, s[10:11]
	s_cbranch_vccz .LBB95_1569
; %bb.1550:
	s_cmp_lt_i32 s16, 27
	s_cbranch_scc1 .LBB95_1553
; %bb.1551:
	s_cmp_gt_i32 s16, 27
	s_cbranch_scc0 .LBB95_1554
; %bb.1552:
	global_load_dword v1, v[15:16], off
	s_mov_b64 s[4:5], 0
	s_waitcnt vmcnt(0)
	v_cvt_f64_u32_e32 v[13:14], v1
	s_branch .LBB95_1555
.LBB95_1553:
	s_mov_b64 s[4:5], -1
                                        ; implicit-def: $vgpr13_vgpr14
	s_branch .LBB95_1558
.LBB95_1554:
	s_mov_b64 s[4:5], -1
                                        ; implicit-def: $vgpr13_vgpr14
.LBB95_1555:
	s_andn2_b64 vcc, exec, s[4:5]
	s_cbranch_vccnz .LBB95_1557
; %bb.1556:
	global_load_ushort v1, v[15:16], off
	s_waitcnt vmcnt(0)
	v_cvt_f64_u32_e32 v[13:14], v1
.LBB95_1557:
	s_mov_b64 s[4:5], 0
.LBB95_1558:
	s_andn2_b64 vcc, exec, s[4:5]
	s_cbranch_vccnz .LBB95_1568
; %bb.1559:
	global_load_ubyte v1, v[15:16], off
	s_movk_i32 s4, 0x7f
	s_waitcnt vmcnt(0)
	v_cmp_lt_i16_e32 vcc, s4, v1
	s_mov_b64 s[4:5], 0
	s_and_saveexec_b64 s[10:11], vcc
	s_xor_b64 s[10:11], exec, s[10:11]
	s_cbranch_execz .LBB95_1563
; %bb.1560:
	s_movk_i32 s4, 0x80
	v_cmp_eq_u16_e32 vcc, s4, v1
	s_mov_b64 s[4:5], -1
	s_and_saveexec_b64 s[14:15], vcc
; %bb.1561:
	s_xor_b64 s[4:5], exec, -1
; %bb.1562:
	s_or_b64 exec, exec, s[14:15]
	s_and_b64 s[4:5], s[4:5], exec
.LBB95_1563:
	s_or_saveexec_b64 s[10:11], s[10:11]
	v_bfrev_b32_e32 v13, 4
	v_mov_b32_e32 v14, 0x7ff80000
	s_xor_b64 exec, exec, s[10:11]
; %bb.1564:
	v_cmp_ne_u16_e32 vcc, 0, v1
	v_mov_b32_e32 v13, 0
	s_andn2_b64 s[4:5], s[4:5], exec
	s_and_b64 s[14:15], vcc, exec
	v_mov_b32_e32 v14, 0
	s_or_b64 s[4:5], s[4:5], s[14:15]
; %bb.1565:
	s_or_b64 exec, exec, s[10:11]
	s_and_saveexec_b64 s[10:11], s[4:5]
	s_cbranch_execz .LBB95_1567
; %bb.1566:
	v_lshlrev_b32_e32 v3, 24, v1
	v_and_b32_e32 v1, 0xffff, v1
	v_and_b32_e32 v5, 7, v1
	v_ffbh_u32_e32 v14, v5
	v_min_u32_e32 v14, 32, v14
	v_subrev_u32_e32 v17, 28, v14
	v_bfe_u32 v13, v1, 3, 4
	v_lshlrev_b32_e32 v1, v17, v1
	v_sub_u32_e32 v14, 29, v14
	v_and_b32_e32 v1, 7, v1
	v_cmp_eq_u32_e32 vcc, 0, v13
	v_cndmask_b32_e32 v13, v13, v14, vcc
	v_cndmask_b32_e32 v1, v5, v1, vcc
	v_mov_b32_e32 v5, 0x3b800000
	v_lshlrev_b32_e32 v1, 20, v1
	v_and_b32_e32 v3, 0x80000000, v3
	v_lshl_add_u32 v5, v13, 23, v5
	v_or3_b32 v1, v3, v5, v1
	v_cvt_f64_f32_e32 v[13:14], v1
.LBB95_1567:
	s_or_b64 exec, exec, s[10:11]
.LBB95_1568:
	s_mov_b64 s[4:5], -1
.LBB95_1569:
	s_mov_b64 s[10:11], 0
.LBB95_1570:
	s_and_b64 vcc, exec, s[10:11]
	s_cbranch_vccz .LBB95_1601
; %bb.1571:
	s_cmp_gt_i32 s16, 22
	s_cbranch_scc0 .LBB95_1583
; %bb.1572:
	s_cmp_lt_i32 s16, 24
	s_cbranch_scc1 .LBB95_1584
; %bb.1573:
	s_cmp_gt_i32 s16, 24
	s_cbranch_scc0 .LBB95_1585
; %bb.1574:
	global_load_ubyte v1, v[15:16], off
	s_movk_i32 s2, 0x7f
	s_waitcnt vmcnt(0)
	v_cmp_lt_i16_e32 vcc, s2, v1
	s_mov_b64 s[2:3], 0
	s_and_saveexec_b64 s[4:5], vcc
	s_xor_b64 s[4:5], exec, s[4:5]
	s_cbranch_execz .LBB95_1578
; %bb.1575:
	s_movk_i32 s2, 0x80
	v_cmp_eq_u16_e32 vcc, s2, v1
	s_mov_b64 s[2:3], -1
	s_and_saveexec_b64 s[10:11], vcc
; %bb.1576:
	s_xor_b64 s[2:3], exec, -1
; %bb.1577:
	s_or_b64 exec, exec, s[10:11]
	s_and_b64 s[2:3], s[2:3], exec
.LBB95_1578:
	s_or_saveexec_b64 s[4:5], s[4:5]
	v_bfrev_b32_e32 v13, 4
	v_mov_b32_e32 v14, 0x7ff80000
	s_xor_b64 exec, exec, s[4:5]
; %bb.1579:
	v_cmp_ne_u16_e32 vcc, 0, v1
	v_mov_b32_e32 v13, 0
	s_andn2_b64 s[2:3], s[2:3], exec
	s_and_b64 s[10:11], vcc, exec
	v_mov_b32_e32 v14, 0
	s_or_b64 s[2:3], s[2:3], s[10:11]
; %bb.1580:
	s_or_b64 exec, exec, s[4:5]
	s_and_saveexec_b64 s[4:5], s[2:3]
	s_cbranch_execz .LBB95_1582
; %bb.1581:
	v_lshlrev_b32_e32 v3, 24, v1
	v_and_b32_e32 v1, 0xffff, v1
	v_and_b32_e32 v5, 3, v1
	v_ffbh_u32_e32 v14, v5
	v_min_u32_e32 v14, 32, v14
	v_subrev_u32_e32 v17, 29, v14
	v_bfe_u32 v13, v1, 2, 5
	v_lshlrev_b32_e32 v1, v17, v1
	v_sub_u32_e32 v14, 30, v14
	v_and_b32_e32 v1, 3, v1
	v_cmp_eq_u32_e32 vcc, 0, v13
	v_cndmask_b32_e32 v13, v13, v14, vcc
	v_cndmask_b32_e32 v1, v5, v1, vcc
	v_mov_b32_e32 v5, 0x37800000
	v_lshlrev_b32_e32 v1, 21, v1
	v_and_b32_e32 v3, 0x80000000, v3
	v_lshl_add_u32 v5, v13, 23, v5
	v_or3_b32 v1, v3, v5, v1
	v_cvt_f64_f32_e32 v[13:14], v1
.LBB95_1582:
	s_or_b64 exec, exec, s[4:5]
	s_mov_b64 s[2:3], 0
	s_branch .LBB95_1586
.LBB95_1583:
	s_mov_b64 s[2:3], -1
                                        ; implicit-def: $vgpr13_vgpr14
	s_branch .LBB95_1592
.LBB95_1584:
	s_mov_b64 s[2:3], -1
                                        ; implicit-def: $vgpr13_vgpr14
	s_branch .LBB95_1589
.LBB95_1585:
	s_mov_b64 s[2:3], -1
                                        ; implicit-def: $vgpr13_vgpr14
.LBB95_1586:
	s_and_b64 vcc, exec, s[2:3]
	s_cbranch_vccz .LBB95_1588
; %bb.1587:
	global_load_ubyte v1, v[15:16], off
	s_mov_b32 s2, 0x7f800000
	s_waitcnt vmcnt(0)
	v_lshlrev_b32_e32 v1, 24, v1
	v_and_b32_e32 v3, 0x7f000000, v1
	v_ffbh_u32_e32 v5, v3
	v_min_u32_e32 v5, 32, v5
	v_sub_u32_e64 v5, v5, 4 clamp
	v_lshlrev_b32_e32 v14, v5, v3
	v_lshlrev_b32_e32 v5, 23, v5
	v_lshrrev_b32_e32 v14, 4, v14
	v_add_u32_e32 v13, 0x1000000, v3
	v_sub_u32_e32 v5, v14, v5
	v_ashrrev_i32_e32 v13, 8, v13
	v_add_u32_e32 v5, 0x3c000000, v5
	v_and_or_b32 v5, v13, s2, v5
	v_cmp_ne_u32_e32 vcc, 0, v3
	v_cndmask_b32_e32 v3, 0, v5, vcc
	s_brev_b32 s2, 1
	v_and_or_b32 v1, v1, s2, v3
	v_cvt_f64_f32_e32 v[13:14], v1
.LBB95_1588:
	s_mov_b64 s[2:3], 0
.LBB95_1589:
	s_andn2_b64 vcc, exec, s[2:3]
	s_cbranch_vccnz .LBB95_1591
; %bb.1590:
	global_load_ubyte v1, v[15:16], off
	s_movk_i32 s2, 0x7f00
	s_brev_b32 s3, 16
	s_waitcnt vmcnt(0)
	v_lshlrev_b16_e32 v3, 8, v1
	v_lshlrev_b32_e32 v1, 25, v1
	v_lshrrev_b32_e32 v5, 4, v1
	v_and_or_b32 v13, v3, s2, 0.5
	v_or_b32_e32 v5, 0x70000000, v5
	v_add_f32_e32 v13, -0.5, v13
	v_mul_f32_e32 v5, 0x7800000, v5
	v_cmp_gt_u32_e32 vcc, s3, v1
	v_bfe_i32 v3, v3, 0, 16
	v_cndmask_b32_e32 v1, v5, v13, vcc
	s_brev_b32 s2, 1
	v_and_or_b32 v1, v3, s2, v1
	v_cvt_f64_f32_e32 v[13:14], v1
.LBB95_1591:
	s_mov_b64 s[2:3], 0
	s_mov_b64 s[4:5], -1
.LBB95_1592:
	s_andn2_b64 vcc, exec, s[2:3]
	s_mov_b64 s[2:3], 0
	s_cbranch_vccnz .LBB95_1601
; %bb.1593:
	s_cmp_gt_i32 s16, 14
	s_cbranch_scc0 .LBB95_1596
; %bb.1594:
	s_cmp_eq_u32 s16, 15
	s_cbranch_scc0 .LBB95_1597
; %bb.1595:
	global_load_ushort v1, v[15:16], off
	s_mov_b64 s[0:1], 0
	s_mov_b64 s[4:5], -1
	s_waitcnt vmcnt(0)
	v_lshlrev_b32_e32 v1, 16, v1
	v_cvt_f64_f32_e32 v[13:14], v1
	s_branch .LBB95_1598
.LBB95_1596:
	s_mov_b64 s[10:11], -1
                                        ; implicit-def: $vgpr13_vgpr14
	s_branch .LBB95_1599
.LBB95_1597:
	s_mov_b64 s[0:1], -1
                                        ; implicit-def: $vgpr13_vgpr14
.LBB95_1598:
	s_mov_b64 s[10:11], 0
.LBB95_1599:
	s_and_b64 vcc, exec, s[10:11]
	s_cbranch_vccz .LBB95_1601
; %bb.1600:
	s_cmp_lg_u32 s16, 11
	s_mov_b64 s[2:3], -1
	s_cselect_b64 s[0:1], -1, 0
.LBB95_1601:
	s_and_b64 vcc, exec, s[0:1]
	s_cbranch_vccnz .LBB95_2134
; %bb.1602:
	s_andn2_b64 vcc, exec, s[2:3]
	s_cbranch_vccnz .LBB95_1604
.LBB95_1603:
	global_load_ubyte v1, v[15:16], off
	s_waitcnt vmcnt(1)
	v_mov_b32_e32 v3, 0x3ff00000
	v_mov_b32_e32 v13, 0
	s_mov_b64 s[4:5], -1
	s_waitcnt vmcnt(0)
	v_cmp_ne_u16_e32 vcc, 0, v1
	v_cndmask_b32_e32 v14, 0, v3, vcc
.LBB95_1604:
	s_mov_b64 s[0:1], 0
.LBB95_1605:
	s_and_b64 vcc, exec, s[0:1]
	s_cbranch_vccz .LBB95_1654
; %bb.1606:
	s_and_b32 s2, 0xffff, s18
	s_cmp_lt_i32 s2, 5
	s_cbranch_scc1 .LBB95_1611
; %bb.1607:
	s_cmp_lt_i32 s2, 8
	s_cbranch_scc1 .LBB95_1612
; %bb.1608:
	;; [unrolled: 3-line block ×3, first 2 shown]
	s_cmp_gt_i32 s2, 9
	s_cbranch_scc0 .LBB95_1614
; %bb.1610:
	global_load_dwordx2 v[13:14], v[15:16], off
	s_mov_b64 s[0:1], 0
	s_branch .LBB95_1615
.LBB95_1611:
	s_mov_b64 s[0:1], -1
                                        ; implicit-def: $vgpr13_vgpr14
	s_branch .LBB95_1633
.LBB95_1612:
	s_mov_b64 s[0:1], -1
                                        ; implicit-def: $vgpr13_vgpr14
	s_branch .LBB95_1621
.LBB95_1613:
	s_mov_b64 s[0:1], -1
                                        ; implicit-def: $vgpr13_vgpr14
	s_branch .LBB95_1618
.LBB95_1614:
	s_mov_b64 s[0:1], -1
                                        ; implicit-def: $vgpr13_vgpr14
.LBB95_1615:
	s_andn2_b64 vcc, exec, s[0:1]
	s_cbranch_vccnz .LBB95_1617
; %bb.1616:
	global_load_dword v1, v[15:16], off
	s_waitcnt vmcnt(0)
	v_cvt_f64_f32_e32 v[13:14], v1
.LBB95_1617:
	s_mov_b64 s[0:1], 0
.LBB95_1618:
	s_andn2_b64 vcc, exec, s[0:1]
	s_cbranch_vccnz .LBB95_1620
; %bb.1619:
	global_load_dword v1, v[15:16], off
	s_waitcnt vmcnt(0)
	v_cvt_f32_f16_e32 v1, v1
	v_cvt_f64_f32_e32 v[13:14], v1
.LBB95_1620:
	s_mov_b64 s[0:1], 0
.LBB95_1621:
	s_andn2_b64 vcc, exec, s[0:1]
	s_cbranch_vccnz .LBB95_1632
; %bb.1622:
	s_cmp_lt_i32 s2, 6
	s_cbranch_scc1 .LBB95_1625
; %bb.1623:
	s_cmp_gt_i32 s2, 6
	s_cbranch_scc0 .LBB95_1626
; %bb.1624:
	global_load_dwordx2 v[13:14], v[15:16], off
	s_mov_b64 s[0:1], 0
	s_branch .LBB95_1627
.LBB95_1625:
	s_mov_b64 s[0:1], -1
                                        ; implicit-def: $vgpr13_vgpr14
	s_branch .LBB95_1630
.LBB95_1626:
	s_mov_b64 s[0:1], -1
                                        ; implicit-def: $vgpr13_vgpr14
.LBB95_1627:
	s_andn2_b64 vcc, exec, s[0:1]
	s_cbranch_vccnz .LBB95_1629
; %bb.1628:
	global_load_dword v1, v[15:16], off
	s_waitcnt vmcnt(0)
	v_cvt_f64_f32_e32 v[13:14], v1
.LBB95_1629:
	s_mov_b64 s[0:1], 0
.LBB95_1630:
	s_andn2_b64 vcc, exec, s[0:1]
	s_cbranch_vccnz .LBB95_1632
; %bb.1631:
	global_load_ushort v1, v[15:16], off
	s_waitcnt vmcnt(0)
	v_cvt_f32_f16_e32 v1, v1
	v_cvt_f64_f32_e32 v[13:14], v1
.LBB95_1632:
	s_mov_b64 s[0:1], 0
.LBB95_1633:
	s_andn2_b64 vcc, exec, s[0:1]
	s_cbranch_vccnz .LBB95_1653
; %bb.1634:
	s_cmp_lt_i32 s2, 2
	s_cbranch_scc1 .LBB95_1638
; %bb.1635:
	s_cmp_lt_i32 s2, 3
	s_cbranch_scc1 .LBB95_1639
; %bb.1636:
	s_cmp_gt_i32 s2, 3
	s_cbranch_scc0 .LBB95_1640
; %bb.1637:
	global_load_dwordx2 v[13:14], v[15:16], off
	s_mov_b64 s[0:1], 0
	s_waitcnt vmcnt(0)
	v_cvt_f64_i32_e32 v[17:18], v14
	v_cvt_f64_u32_e32 v[13:14], v13
	v_ldexp_f64 v[17:18], v[17:18], 32
	v_add_f64 v[13:14], v[17:18], v[13:14]
	s_branch .LBB95_1641
.LBB95_1638:
	s_mov_b64 s[0:1], -1
                                        ; implicit-def: $vgpr13_vgpr14
	s_branch .LBB95_1647
.LBB95_1639:
	s_mov_b64 s[0:1], -1
                                        ; implicit-def: $vgpr13_vgpr14
	s_branch .LBB95_1644
.LBB95_1640:
	s_mov_b64 s[0:1], -1
                                        ; implicit-def: $vgpr13_vgpr14
.LBB95_1641:
	s_andn2_b64 vcc, exec, s[0:1]
	s_cbranch_vccnz .LBB95_1643
; %bb.1642:
	global_load_dword v1, v[15:16], off
	s_waitcnt vmcnt(0)
	v_cvt_f64_i32_e32 v[13:14], v1
.LBB95_1643:
	s_mov_b64 s[0:1], 0
.LBB95_1644:
	s_andn2_b64 vcc, exec, s[0:1]
	s_cbranch_vccnz .LBB95_1646
; %bb.1645:
	global_load_sshort v1, v[15:16], off
	s_waitcnt vmcnt(0)
	v_cvt_f64_i32_e32 v[13:14], v1
.LBB95_1646:
	s_mov_b64 s[0:1], 0
.LBB95_1647:
	s_andn2_b64 vcc, exec, s[0:1]
	s_cbranch_vccnz .LBB95_1653
; %bb.1648:
	s_cmp_gt_i32 s2, 0
	s_cbranch_scc0 .LBB95_1650
; %bb.1649:
	global_load_sbyte v1, v[15:16], off
	s_mov_b64 s[0:1], 0
	s_waitcnt vmcnt(0)
	v_cvt_f64_i32_e32 v[13:14], v1
	s_branch .LBB95_1651
.LBB95_1650:
	s_mov_b64 s[0:1], -1
                                        ; implicit-def: $vgpr13_vgpr14
.LBB95_1651:
	s_andn2_b64 vcc, exec, s[0:1]
	s_cbranch_vccnz .LBB95_1653
; %bb.1652:
	global_load_ubyte v1, v[15:16], off
	s_waitcnt vmcnt(0)
	v_cvt_f64_u32_e32 v[13:14], v1
.LBB95_1653:
	s_mov_b64 s[4:5], -1
.LBB95_1654:
	s_andn2_b64 vcc, exec, s[4:5]
	s_cbranch_vccnz .LBB95_2088
; %bb.1655:
	s_load_dword s0, s[34:35], 0x158
	s_load_dwordx2 s[10:11], s[34:35], 0x160
	s_load_dword s2, s[34:35], 0x168
	s_waitcnt lgkmcnt(0)
	s_cmp_eq_u32 s0, 0
	s_waitcnt vmcnt(0)
	v_cmp_eq_f64_e32 vcc, s[10:11], v[7:8]
	s_cselect_b64 s[0:1], -1, 0
	s_and_b32 s22, s2, 0xff
	s_cmp_lt_i32 s22, 11
	v_cndmask_b32_e64 v1, 0, 1, vcc
	v_cmp_neq_f64_e32 vcc, s[10:11], v[7:8]
	v_cndmask_b32_e64 v3, 0, 1, vcc
	v_cndmask_b32_e64 v1, v3, v1, s[0:1]
	v_and_b32_e32 v1, 1, v1
	v_cmp_eq_u32_e64 s[2:3], 1, v1
	v_mov_b32_e32 v1, s9
	v_add_co_u32_e32 v5, vcc, s8, v6
	v_addc_co_u32_e32 v6, vcc, 0, v1, vcc
	s_cbranch_scc1 .LBB95_1733
; %bb.1656:
	s_and_b32 s23, 0xffff, s22
	s_mov_b64 s[18:19], -1
	s_mov_b64 s[14:15], 0
	s_cmp_gt_i32 s23, 25
	s_mov_b64 s[16:17], 0
	s_mov_b64 s[4:5], 0
	s_cbranch_scc0 .LBB95_1689
; %bb.1657:
	s_cmp_gt_i32 s23, 28
	s_cbranch_scc0 .LBB95_1672
; %bb.1658:
	s_cmp_gt_i32 s23, 43
	;; [unrolled: 3-line block ×3, first 2 shown]
	s_cbranch_scc0 .LBB95_1662
; %bb.1660:
	s_mov_b64 s[4:5], -1
	s_mov_b64 s[18:19], 0
	s_cmp_eq_u32 s23, 46
	s_cbranch_scc0 .LBB95_1662
; %bb.1661:
	v_cndmask_b32_e64 v1, 0, 1.0, s[2:3]
	v_bfe_u32 v3, v1, 16, 1
	s_movk_i32 s4, 0x7fff
	v_add3_u32 v1, v1, v3, s4
	v_lshrrev_b32_e32 v1, 16, v1
	global_store_dword v[5:6], v1, off
	s_mov_b64 s[4:5], 0
	s_mov_b64 s[16:17], -1
.LBB95_1662:
	s_and_b64 vcc, exec, s[18:19]
	s_cbranch_vccz .LBB95_1667
; %bb.1663:
	s_cmp_eq_u32 s23, 44
	s_mov_b64 s[4:5], -1
	s_cbranch_scc0 .LBB95_1667
; %bb.1664:
	v_cndmask_b32_e64 v3, 0, 1.0, s[2:3]
	v_lshrrev_b32_e32 v1, 23, v3
	s_movk_i32 s4, 0xff
	v_cmp_ne_u32_e32 vcc, s4, v1
	v_mov_b32_e32 v7, 0xff
	s_and_saveexec_b64 s[16:17], vcc
; %bb.1665:
	s_mov_b32 s4, 0x3fffff
	v_and_b32_e32 v7, 0x400000, v3
	v_and_or_b32 v3, v3, s4, v1
	v_cmp_ne_u32_e32 vcc, 0, v7
	v_cmp_ne_u32_e64 s[4:5], 0, v3
	s_and_b64 s[4:5], vcc, s[4:5]
	v_cndmask_b32_e64 v3, 0, 1, s[4:5]
	v_add_u32_e32 v7, v1, v3
; %bb.1666:
	s_or_b64 exec, exec, s[16:17]
	s_mov_b64 s[4:5], 0
	s_mov_b64 s[16:17], -1
	global_store_byte v[5:6], v7, off
.LBB95_1667:
	s_mov_b64 s[18:19], 0
.LBB95_1668:
	s_and_b64 vcc, exec, s[18:19]
	s_cbranch_vccz .LBB95_1671
; %bb.1669:
	s_cmp_eq_u32 s23, 29
	s_mov_b64 s[4:5], -1
	s_cbranch_scc0 .LBB95_1671
; %bb.1670:
	s_mov_b32 s4, 0
	v_cndmask_b32_e64 v7, 0, 1, s[2:3]
	v_mov_b32_e32 v8, s4
	global_store_dwordx2 v[5:6], v[7:8], off
	s_mov_b64 s[4:5], 0
	s_mov_b64 s[16:17], -1
.LBB95_1671:
	s_mov_b64 s[18:19], 0
.LBB95_1672:
	s_and_b64 vcc, exec, s[18:19]
	s_cbranch_vccz .LBB95_1688
; %bb.1673:
	s_cmp_lt_i32 s23, 27
	s_mov_b64 s[16:17], -1
	s_cbranch_scc1 .LBB95_1679
; %bb.1674:
	s_cmp_gt_i32 s23, 27
	s_cbranch_scc0 .LBB95_1676
; %bb.1675:
	v_cndmask_b32_e64 v1, 0, 1, s[2:3]
	s_mov_b64 s[16:17], 0
	global_store_dword v[5:6], v1, off
.LBB95_1676:
	s_andn2_b64 vcc, exec, s[16:17]
	s_cbranch_vccnz .LBB95_1678
; %bb.1677:
	v_cndmask_b32_e64 v1, 0, 1, s[2:3]
	global_store_short v[5:6], v1, off
.LBB95_1678:
	s_mov_b64 s[16:17], 0
.LBB95_1679:
	s_andn2_b64 vcc, exec, s[16:17]
	s_cbranch_vccnz .LBB95_1687
; %bb.1680:
	v_cndmask_b32_e64 v3, 0, 1.0, s[2:3]
	s_mov_b32 s16, 0x43800000
	v_cmp_gt_u32_e32 vcc, s16, v3
	v_mov_b32_e32 v7, 0x80
	s_and_saveexec_b64 s[16:17], vcc
	s_cbranch_execz .LBB95_1686
; %bb.1681:
	s_mov_b32 s18, 0x3bffffff
	v_cmp_lt_u32_e32 vcc, s18, v3
	s_mov_b64 s[18:19], 0
                                        ; implicit-def: $vgpr1
	s_and_saveexec_b64 s[20:21], vcc
	s_xor_b64 s[20:21], exec, s[20:21]
	s_cbranch_execz .LBB95_2135
; %bb.1682:
	v_bfe_u32 v1, v3, 20, 1
	s_mov_b32 s24, 0x487ffff
	v_add3_u32 v1, v3, v1, s24
	s_mov_b64 s[18:19], exec
	v_lshrrev_b32_e32 v1, 20, v1
                                        ; implicit-def: $vgpr3
	s_andn2_saveexec_b64 s[20:21], s[20:21]
	s_cbranch_execnz .LBB95_2136
.LBB95_1683:
	s_or_b64 exec, exec, s[20:21]
	v_mov_b32_e32 v7, 0
	s_and_saveexec_b64 s[20:21], s[18:19]
.LBB95_1684:
	v_mov_b32_e32 v7, v1
.LBB95_1685:
	s_or_b64 exec, exec, s[20:21]
.LBB95_1686:
	s_or_b64 exec, exec, s[16:17]
	global_store_byte v[5:6], v7, off
.LBB95_1687:
	s_mov_b64 s[16:17], -1
.LBB95_1688:
	s_mov_b64 s[18:19], 0
.LBB95_1689:
	s_and_b64 vcc, exec, s[18:19]
	s_cbranch_vccz .LBB95_1729
; %bb.1690:
	s_cmp_gt_i32 s23, 22
	s_mov_b64 s[14:15], -1
	s_cbranch_scc0 .LBB95_1722
; %bb.1691:
	s_cmp_lt_i32 s23, 24
	s_cbranch_scc1 .LBB95_1711
; %bb.1692:
	s_cmp_gt_i32 s23, 24
	s_cbranch_scc0 .LBB95_1700
; %bb.1693:
	v_cndmask_b32_e64 v3, 0, 1.0, s[2:3]
	s_mov_b32 s14, 0x47800000
	v_cmp_gt_u32_e32 vcc, s14, v3
	v_mov_b32_e32 v7, 0x80
	s_and_saveexec_b64 s[14:15], vcc
	s_cbranch_execz .LBB95_1699
; %bb.1694:
	s_mov_b32 s16, 0x37ffffff
	v_cmp_lt_u32_e32 vcc, s16, v3
	s_mov_b64 s[16:17], 0
                                        ; implicit-def: $vgpr1
	s_and_saveexec_b64 s[18:19], vcc
	s_xor_b64 s[18:19], exec, s[18:19]
	s_cbranch_execz .LBB95_2138
; %bb.1695:
	v_bfe_u32 v1, v3, 21, 1
	s_mov_b32 s20, 0x88fffff
	v_add3_u32 v1, v3, v1, s20
	s_mov_b64 s[16:17], exec
	v_lshrrev_b32_e32 v1, 21, v1
                                        ; implicit-def: $vgpr3
	s_andn2_saveexec_b64 s[18:19], s[18:19]
	s_cbranch_execnz .LBB95_2139
.LBB95_1696:
	s_or_b64 exec, exec, s[18:19]
	v_mov_b32_e32 v7, 0
	s_and_saveexec_b64 s[18:19], s[16:17]
.LBB95_1697:
	v_mov_b32_e32 v7, v1
.LBB95_1698:
	s_or_b64 exec, exec, s[18:19]
.LBB95_1699:
	s_or_b64 exec, exec, s[14:15]
	s_mov_b64 s[14:15], 0
	global_store_byte v[5:6], v7, off
.LBB95_1700:
	s_and_b64 vcc, exec, s[14:15]
	s_cbranch_vccz .LBB95_1710
; %bb.1701:
	v_cndmask_b32_e64 v1, 0, 1.0, s[2:3]
	s_mov_b32 s14, 0x43f00000
	v_cmp_gt_u32_e32 vcc, s14, v1
                                        ; implicit-def: $vgpr3
	s_and_saveexec_b64 s[14:15], vcc
	s_xor_b64 s[14:15], exec, s[14:15]
	s_cbranch_execz .LBB95_1707
; %bb.1702:
	s_mov_b32 s16, 0x3c7fffff
	v_cmp_lt_u32_e32 vcc, s16, v1
                                        ; implicit-def: $vgpr3
	s_and_saveexec_b64 s[16:17], vcc
	s_xor_b64 s[16:17], exec, s[16:17]
; %bb.1703:
	v_bfe_u32 v3, v1, 20, 1
	s_mov_b32 s18, 0x407ffff
	v_add3_u32 v1, v1, v3, s18
	v_lshrrev_b32_e32 v3, 20, v1
	v_and_b32_e32 v1, 0xff00000, v1
	s_mov_b32 s18, 0x7f00000
	v_mov_b32_e32 v7, 0x7e
	v_cmp_ne_u32_e32 vcc, s18, v1
	v_cndmask_b32_e32 v3, v7, v3, vcc
                                        ; implicit-def: $vgpr1
; %bb.1704:
	s_andn2_saveexec_b64 s[16:17], s[16:17]
; %bb.1705:
	v_add_f32_e32 v3, 0x46800000, v1
; %bb.1706:
	s_or_b64 exec, exec, s[16:17]
                                        ; implicit-def: $vgpr1
.LBB95_1707:
	s_andn2_saveexec_b64 s[14:15], s[14:15]
; %bb.1708:
	s_mov_b32 s16, 0x7f800000
	v_mov_b32_e32 v3, 0x7e
	v_mov_b32_e32 v7, 0x7f
	v_cmp_lt_u32_e32 vcc, s16, v1
	v_cndmask_b32_e32 v3, v3, v7, vcc
; %bb.1709:
	s_or_b64 exec, exec, s[14:15]
	global_store_byte v[5:6], v3, off
.LBB95_1710:
	s_mov_b64 s[14:15], 0
.LBB95_1711:
	s_andn2_b64 vcc, exec, s[14:15]
	s_cbranch_vccnz .LBB95_1721
; %bb.1712:
	v_cndmask_b32_e64 v1, 0, 1.0, s[2:3]
	s_mov_b32 s14, 0x47800000
	v_cmp_gt_u32_e32 vcc, s14, v1
                                        ; implicit-def: $vgpr3
	s_and_saveexec_b64 s[14:15], vcc
	s_xor_b64 s[14:15], exec, s[14:15]
	s_cbranch_execz .LBB95_1718
; %bb.1713:
	s_mov_b32 s16, 0x387fffff
	v_cmp_lt_u32_e32 vcc, s16, v1
                                        ; implicit-def: $vgpr3
	s_and_saveexec_b64 s[16:17], vcc
	s_xor_b64 s[16:17], exec, s[16:17]
; %bb.1714:
	v_bfe_u32 v3, v1, 21, 1
	s_mov_b32 s18, 0x80fffff
	v_add3_u32 v1, v1, v3, s18
	v_lshrrev_b32_e32 v3, 21, v1
                                        ; implicit-def: $vgpr1
; %bb.1715:
	s_andn2_saveexec_b64 s[16:17], s[16:17]
; %bb.1716:
	v_add_f32_e32 v3, 0x43000000, v1
; %bb.1717:
	s_or_b64 exec, exec, s[16:17]
                                        ; implicit-def: $vgpr1
.LBB95_1718:
	s_andn2_saveexec_b64 s[14:15], s[14:15]
; %bb.1719:
	s_mov_b32 s16, 0x7f800000
	v_mov_b32_e32 v3, 0x7c
	v_mov_b32_e32 v7, 0x7f
	v_cmp_lt_u32_e32 vcc, s16, v1
	v_cndmask_b32_e32 v3, v3, v7, vcc
; %bb.1720:
	s_or_b64 exec, exec, s[14:15]
	global_store_byte v[5:6], v3, off
.LBB95_1721:
	s_mov_b64 s[14:15], 0
	s_mov_b64 s[16:17], -1
.LBB95_1722:
	s_andn2_b64 vcc, exec, s[14:15]
	s_mov_b64 s[14:15], 0
	s_cbranch_vccnz .LBB95_1729
; %bb.1723:
	s_cmp_gt_i32 s23, 14
	s_mov_b64 s[18:19], -1
	s_cbranch_scc0 .LBB95_1727
; %bb.1724:
	s_cmp_eq_u32 s23, 15
	s_mov_b64 s[4:5], -1
	s_cbranch_scc0 .LBB95_1726
; %bb.1725:
	v_cndmask_b32_e64 v1, 0, 1.0, s[2:3]
	v_bfe_u32 v3, v1, 16, 1
	s_movk_i32 s4, 0x7fff
	v_add3_u32 v1, v1, v3, s4
	global_store_short_d16_hi v[5:6], v1, off
	s_mov_b64 s[4:5], 0
	s_mov_b64 s[16:17], -1
.LBB95_1726:
	s_mov_b64 s[18:19], 0
.LBB95_1727:
	s_and_b64 vcc, exec, s[18:19]
	s_cbranch_vccz .LBB95_1729
; %bb.1728:
	s_cmp_lg_u32 s23, 11
	s_mov_b64 s[14:15], -1
	s_cselect_b64 s[4:5], -1, 0
.LBB95_1729:
	s_and_b64 vcc, exec, s[4:5]
	s_cbranch_vccnz .LBB95_2137
; %bb.1730:
	s_andn2_b64 vcc, exec, s[14:15]
	s_cbranch_vccnz .LBB95_1732
.LBB95_1731:
	v_cndmask_b32_e64 v1, 0, 1, s[2:3]
	s_mov_b64 s[16:17], -1
	global_store_byte v[5:6], v1, off
.LBB95_1732:
	s_mov_b64 s[4:5], 0
	s_branch .LBB95_1734
.LBB95_1733:
	s_mov_b64 s[4:5], -1
	s_mov_b64 s[16:17], 0
.LBB95_1734:
	s_and_b64 vcc, exec, s[4:5]
	s_cbranch_vccz .LBB95_1773
; %bb.1735:
	s_and_b32 s14, 0xffff, s22
	s_cmp_lt_i32 s14, 5
	s_mov_b64 s[4:5], -1
	s_cbranch_scc1 .LBB95_1756
; %bb.1736:
	s_cmp_lt_i32 s14, 8
	s_cbranch_scc1 .LBB95_1746
; %bb.1737:
	s_cmp_lt_i32 s14, 9
	s_cbranch_scc1 .LBB95_1743
; %bb.1738:
	s_cmp_gt_i32 s14, 9
	s_cbranch_scc0 .LBB95_1740
; %bb.1739:
	v_cndmask_b32_e64 v1, 0, 1, s[2:3]
	v_cvt_f64_u32_e32 v[15:16], v1
	v_mov_b32_e32 v17, 0
	v_mov_b32_e32 v18, v17
	s_mov_b64 s[4:5], 0
	global_store_dwordx4 v[5:6], v[15:18], off
.LBB95_1740:
	s_andn2_b64 vcc, exec, s[4:5]
	s_cbranch_vccnz .LBB95_1742
; %bb.1741:
	v_cndmask_b32_e64 v7, 0, 1.0, s[2:3]
	v_mov_b32_e32 v8, 0
	global_store_dwordx2 v[5:6], v[7:8], off
.LBB95_1742:
	s_mov_b64 s[4:5], 0
.LBB95_1743:
	s_andn2_b64 vcc, exec, s[4:5]
	s_cbranch_vccnz .LBB95_1745
; %bb.1744:
	v_cndmask_b32_e64 v1, 0, 1.0, s[2:3]
	v_cvt_f16_f32_e32 v1, v1
	global_store_dword v[5:6], v1, off
.LBB95_1745:
	s_mov_b64 s[4:5], 0
.LBB95_1746:
	s_andn2_b64 vcc, exec, s[4:5]
	s_cbranch_vccnz .LBB95_1755
; %bb.1747:
	s_cmp_lt_i32 s14, 6
	s_mov_b64 s[4:5], -1
	s_cbranch_scc1 .LBB95_1753
; %bb.1748:
	s_cmp_gt_i32 s14, 6
	s_cbranch_scc0 .LBB95_1750
; %bb.1749:
	v_cndmask_b32_e64 v1, 0, 1, s[2:3]
	v_cvt_f64_u32_e32 v[7:8], v1
	s_mov_b64 s[4:5], 0
	global_store_dwordx2 v[5:6], v[7:8], off
.LBB95_1750:
	s_andn2_b64 vcc, exec, s[4:5]
	s_cbranch_vccnz .LBB95_1752
; %bb.1751:
	v_cndmask_b32_e64 v1, 0, 1.0, s[2:3]
	global_store_dword v[5:6], v1, off
.LBB95_1752:
	s_mov_b64 s[4:5], 0
.LBB95_1753:
	s_andn2_b64 vcc, exec, s[4:5]
	s_cbranch_vccnz .LBB95_1755
; %bb.1754:
	v_cndmask_b32_e64 v1, 0, 1.0, s[2:3]
	v_cvt_f16_f32_e32 v1, v1
	global_store_short v[5:6], v1, off
.LBB95_1755:
	s_mov_b64 s[4:5], 0
.LBB95_1756:
	s_andn2_b64 vcc, exec, s[4:5]
	s_cbranch_vccnz .LBB95_1772
; %bb.1757:
	s_cmp_lt_i32 s14, 2
	s_mov_b64 s[4:5], -1
	s_cbranch_scc1 .LBB95_1767
; %bb.1758:
	s_cmp_lt_i32 s14, 3
	s_cbranch_scc1 .LBB95_1764
; %bb.1759:
	s_cmp_gt_i32 s14, 3
	s_cbranch_scc0 .LBB95_1761
; %bb.1760:
	s_mov_b32 s4, 0
	v_cndmask_b32_e64 v7, 0, 1, s[2:3]
	v_mov_b32_e32 v8, s4
	global_store_dwordx2 v[5:6], v[7:8], off
	s_mov_b64 s[4:5], 0
.LBB95_1761:
	s_andn2_b64 vcc, exec, s[4:5]
	s_cbranch_vccnz .LBB95_1763
; %bb.1762:
	v_cndmask_b32_e64 v1, 0, 1, s[2:3]
	global_store_dword v[5:6], v1, off
.LBB95_1763:
	s_mov_b64 s[4:5], 0
.LBB95_1764:
	s_andn2_b64 vcc, exec, s[4:5]
	s_cbranch_vccnz .LBB95_1766
; %bb.1765:
	v_cndmask_b32_e64 v1, 0, 1, s[2:3]
	global_store_short v[5:6], v1, off
.LBB95_1766:
	s_mov_b64 s[4:5], 0
.LBB95_1767:
	s_andn2_b64 vcc, exec, s[4:5]
	s_cbranch_vccnz .LBB95_1772
; %bb.1768:
	s_mov_b64 s[4:5], -1
	s_cmp_gt_i32 s14, 0
	v_cndmask_b32_e64 v1, 0, 1, s[2:3]
	s_cbranch_scc0 .LBB95_1770
; %bb.1769:
	global_store_byte v[5:6], v1, off
	s_mov_b64 s[4:5], 0
.LBB95_1770:
	s_andn2_b64 vcc, exec, s[4:5]
	s_cbranch_vccnz .LBB95_1772
; %bb.1771:
	global_store_byte v[5:6], v1, off
.LBB95_1772:
	s_mov_b64 s[16:17], -1
.LBB95_1773:
	s_andn2_b64 vcc, exec, s[16:17]
	s_cbranch_vccnz .LBB95_2088
; %bb.1774:
	v_cmp_eq_f64_e32 vcc, s[10:11], v[9:10]
	s_and_b32 s23, 0xffff, s22
	s_cmp_lt_i32 s23, 11
	v_cndmask_b32_e64 v1, 0, 1, vcc
	v_cmp_neq_f64_e32 vcc, s[10:11], v[9:10]
	v_cndmask_b32_e64 v3, 0, 1, vcc
	v_cndmask_b32_e64 v1, v3, v1, s[0:1]
	v_and_b32_e32 v1, 1, v1
	v_cmp_eq_u32_e64 s[2:3], 1, v1
	v_mov_b32_e32 v1, s9
	v_add_co_u32_e32 v3, vcc, s8, v4
	v_addc_co_u32_e32 v4, vcc, 0, v1, vcc
	s_cbranch_scc1 .LBB95_1852
; %bb.1775:
	s_mov_b64 s[18:19], -1
	s_mov_b64 s[14:15], 0
	s_cmp_gt_i32 s23, 25
	s_mov_b64 s[16:17], 0
	s_mov_b64 s[4:5], 0
	s_cbranch_scc0 .LBB95_1808
; %bb.1776:
	s_cmp_gt_i32 s23, 28
	s_cbranch_scc0 .LBB95_1791
; %bb.1777:
	s_cmp_gt_i32 s23, 43
	;; [unrolled: 3-line block ×3, first 2 shown]
	s_cbranch_scc0 .LBB95_1781
; %bb.1779:
	s_mov_b64 s[4:5], -1
	s_mov_b64 s[18:19], 0
	s_cmp_eq_u32 s23, 46
	s_cbranch_scc0 .LBB95_1781
; %bb.1780:
	v_cndmask_b32_e64 v1, 0, 1.0, s[2:3]
	v_bfe_u32 v5, v1, 16, 1
	s_movk_i32 s4, 0x7fff
	v_add3_u32 v1, v1, v5, s4
	v_lshrrev_b32_e32 v1, 16, v1
	global_store_dword v[3:4], v1, off
	s_mov_b64 s[4:5], 0
	s_mov_b64 s[16:17], -1
.LBB95_1781:
	s_and_b64 vcc, exec, s[18:19]
	s_cbranch_vccz .LBB95_1786
; %bb.1782:
	s_cmp_eq_u32 s23, 44
	s_mov_b64 s[4:5], -1
	s_cbranch_scc0 .LBB95_1786
; %bb.1783:
	v_cndmask_b32_e64 v5, 0, 1.0, s[2:3]
	v_lshrrev_b32_e32 v1, 23, v5
	s_movk_i32 s4, 0xff
	v_cmp_ne_u32_e32 vcc, s4, v1
	v_mov_b32_e32 v6, 0xff
	s_and_saveexec_b64 s[16:17], vcc
; %bb.1784:
	s_mov_b32 s4, 0x3fffff
	v_and_b32_e32 v6, 0x400000, v5
	v_and_or_b32 v5, v5, s4, v1
	v_cmp_ne_u32_e32 vcc, 0, v6
	v_cmp_ne_u32_e64 s[4:5], 0, v5
	s_and_b64 s[4:5], vcc, s[4:5]
	v_cndmask_b32_e64 v5, 0, 1, s[4:5]
	v_add_u32_e32 v6, v1, v5
; %bb.1785:
	s_or_b64 exec, exec, s[16:17]
	s_mov_b64 s[4:5], 0
	s_mov_b64 s[16:17], -1
	global_store_byte v[3:4], v6, off
.LBB95_1786:
	s_mov_b64 s[18:19], 0
.LBB95_1787:
	s_and_b64 vcc, exec, s[18:19]
	s_cbranch_vccz .LBB95_1790
; %bb.1788:
	s_cmp_eq_u32 s23, 29
	s_mov_b64 s[4:5], -1
	s_cbranch_scc0 .LBB95_1790
; %bb.1789:
	s_mov_b32 s4, 0
	v_cndmask_b32_e64 v5, 0, 1, s[2:3]
	v_mov_b32_e32 v6, s4
	global_store_dwordx2 v[3:4], v[5:6], off
	s_mov_b64 s[4:5], 0
	s_mov_b64 s[16:17], -1
.LBB95_1790:
	s_mov_b64 s[18:19], 0
.LBB95_1791:
	s_and_b64 vcc, exec, s[18:19]
	s_cbranch_vccz .LBB95_1807
; %bb.1792:
	s_cmp_lt_i32 s23, 27
	s_mov_b64 s[16:17], -1
	s_cbranch_scc1 .LBB95_1798
; %bb.1793:
	s_cmp_gt_i32 s23, 27
	s_cbranch_scc0 .LBB95_1795
; %bb.1794:
	v_cndmask_b32_e64 v1, 0, 1, s[2:3]
	s_mov_b64 s[16:17], 0
	global_store_dword v[3:4], v1, off
.LBB95_1795:
	s_andn2_b64 vcc, exec, s[16:17]
	s_cbranch_vccnz .LBB95_1797
; %bb.1796:
	v_cndmask_b32_e64 v1, 0, 1, s[2:3]
	global_store_short v[3:4], v1, off
.LBB95_1797:
	s_mov_b64 s[16:17], 0
.LBB95_1798:
	s_andn2_b64 vcc, exec, s[16:17]
	s_cbranch_vccnz .LBB95_1806
; %bb.1799:
	v_cndmask_b32_e64 v5, 0, 1.0, s[2:3]
	s_mov_b32 s16, 0x43800000
	v_cmp_gt_u32_e32 vcc, s16, v5
	v_mov_b32_e32 v6, 0x80
	s_and_saveexec_b64 s[16:17], vcc
	s_cbranch_execz .LBB95_1805
; %bb.1800:
	s_mov_b32 s18, 0x3bffffff
	v_cmp_lt_u32_e32 vcc, s18, v5
	s_mov_b64 s[18:19], 0
                                        ; implicit-def: $vgpr1
	s_and_saveexec_b64 s[20:21], vcc
	s_xor_b64 s[20:21], exec, s[20:21]
	s_cbranch_execz .LBB95_2140
; %bb.1801:
	v_bfe_u32 v1, v5, 20, 1
	s_mov_b32 s24, 0x487ffff
	v_add3_u32 v1, v5, v1, s24
	s_mov_b64 s[18:19], exec
	v_lshrrev_b32_e32 v1, 20, v1
                                        ; implicit-def: $vgpr5
	s_andn2_saveexec_b64 s[20:21], s[20:21]
	s_cbranch_execnz .LBB95_2141
.LBB95_1802:
	s_or_b64 exec, exec, s[20:21]
	v_mov_b32_e32 v6, 0
	s_and_saveexec_b64 s[20:21], s[18:19]
.LBB95_1803:
	v_mov_b32_e32 v6, v1
.LBB95_1804:
	s_or_b64 exec, exec, s[20:21]
.LBB95_1805:
	s_or_b64 exec, exec, s[16:17]
	global_store_byte v[3:4], v6, off
.LBB95_1806:
	s_mov_b64 s[16:17], -1
.LBB95_1807:
	s_mov_b64 s[18:19], 0
.LBB95_1808:
	s_and_b64 vcc, exec, s[18:19]
	s_cbranch_vccz .LBB95_1848
; %bb.1809:
	s_cmp_gt_i32 s23, 22
	s_mov_b64 s[14:15], -1
	s_cbranch_scc0 .LBB95_1841
; %bb.1810:
	s_cmp_lt_i32 s23, 24
	s_cbranch_scc1 .LBB95_1830
; %bb.1811:
	s_cmp_gt_i32 s23, 24
	s_cbranch_scc0 .LBB95_1819
; %bb.1812:
	v_cndmask_b32_e64 v5, 0, 1.0, s[2:3]
	s_mov_b32 s14, 0x47800000
	v_cmp_gt_u32_e32 vcc, s14, v5
	v_mov_b32_e32 v6, 0x80
	s_and_saveexec_b64 s[14:15], vcc
	s_cbranch_execz .LBB95_1818
; %bb.1813:
	s_mov_b32 s16, 0x37ffffff
	v_cmp_lt_u32_e32 vcc, s16, v5
	s_mov_b64 s[16:17], 0
                                        ; implicit-def: $vgpr1
	s_and_saveexec_b64 s[18:19], vcc
	s_xor_b64 s[18:19], exec, s[18:19]
	s_cbranch_execz .LBB95_2143
; %bb.1814:
	v_bfe_u32 v1, v5, 21, 1
	s_mov_b32 s20, 0x88fffff
	v_add3_u32 v1, v5, v1, s20
	s_mov_b64 s[16:17], exec
	v_lshrrev_b32_e32 v1, 21, v1
                                        ; implicit-def: $vgpr5
	s_andn2_saveexec_b64 s[18:19], s[18:19]
	s_cbranch_execnz .LBB95_2144
.LBB95_1815:
	s_or_b64 exec, exec, s[18:19]
	v_mov_b32_e32 v6, 0
	s_and_saveexec_b64 s[18:19], s[16:17]
.LBB95_1816:
	v_mov_b32_e32 v6, v1
.LBB95_1817:
	s_or_b64 exec, exec, s[18:19]
.LBB95_1818:
	s_or_b64 exec, exec, s[14:15]
	s_mov_b64 s[14:15], 0
	global_store_byte v[3:4], v6, off
.LBB95_1819:
	s_and_b64 vcc, exec, s[14:15]
	s_cbranch_vccz .LBB95_1829
; %bb.1820:
	v_cndmask_b32_e64 v1, 0, 1.0, s[2:3]
	s_mov_b32 s14, 0x43f00000
	v_cmp_gt_u32_e32 vcc, s14, v1
                                        ; implicit-def: $vgpr5
	s_and_saveexec_b64 s[14:15], vcc
	s_xor_b64 s[14:15], exec, s[14:15]
	s_cbranch_execz .LBB95_1826
; %bb.1821:
	s_mov_b32 s16, 0x3c7fffff
	v_cmp_lt_u32_e32 vcc, s16, v1
                                        ; implicit-def: $vgpr5
	s_and_saveexec_b64 s[16:17], vcc
	s_xor_b64 s[16:17], exec, s[16:17]
; %bb.1822:
	v_bfe_u32 v5, v1, 20, 1
	s_mov_b32 s18, 0x407ffff
	v_add3_u32 v1, v1, v5, s18
	v_lshrrev_b32_e32 v5, 20, v1
	v_and_b32_e32 v1, 0xff00000, v1
	s_mov_b32 s18, 0x7f00000
	v_mov_b32_e32 v6, 0x7e
	v_cmp_ne_u32_e32 vcc, s18, v1
	v_cndmask_b32_e32 v5, v6, v5, vcc
                                        ; implicit-def: $vgpr1
; %bb.1823:
	s_andn2_saveexec_b64 s[16:17], s[16:17]
; %bb.1824:
	v_add_f32_e32 v5, 0x46800000, v1
; %bb.1825:
	s_or_b64 exec, exec, s[16:17]
                                        ; implicit-def: $vgpr1
.LBB95_1826:
	s_andn2_saveexec_b64 s[14:15], s[14:15]
; %bb.1827:
	s_mov_b32 s16, 0x7f800000
	v_mov_b32_e32 v5, 0x7e
	v_mov_b32_e32 v6, 0x7f
	v_cmp_lt_u32_e32 vcc, s16, v1
	v_cndmask_b32_e32 v5, v5, v6, vcc
; %bb.1828:
	s_or_b64 exec, exec, s[14:15]
	global_store_byte v[3:4], v5, off
.LBB95_1829:
	s_mov_b64 s[14:15], 0
.LBB95_1830:
	s_andn2_b64 vcc, exec, s[14:15]
	s_cbranch_vccnz .LBB95_1840
; %bb.1831:
	v_cndmask_b32_e64 v1, 0, 1.0, s[2:3]
	s_mov_b32 s14, 0x47800000
	v_cmp_gt_u32_e32 vcc, s14, v1
                                        ; implicit-def: $vgpr5
	s_and_saveexec_b64 s[14:15], vcc
	s_xor_b64 s[14:15], exec, s[14:15]
	s_cbranch_execz .LBB95_1837
; %bb.1832:
	s_mov_b32 s16, 0x387fffff
	v_cmp_lt_u32_e32 vcc, s16, v1
                                        ; implicit-def: $vgpr5
	s_and_saveexec_b64 s[16:17], vcc
	s_xor_b64 s[16:17], exec, s[16:17]
; %bb.1833:
	v_bfe_u32 v5, v1, 21, 1
	s_mov_b32 s18, 0x80fffff
	v_add3_u32 v1, v1, v5, s18
	v_lshrrev_b32_e32 v5, 21, v1
                                        ; implicit-def: $vgpr1
; %bb.1834:
	s_andn2_saveexec_b64 s[16:17], s[16:17]
; %bb.1835:
	v_add_f32_e32 v5, 0x43000000, v1
; %bb.1836:
	s_or_b64 exec, exec, s[16:17]
                                        ; implicit-def: $vgpr1
.LBB95_1837:
	s_andn2_saveexec_b64 s[14:15], s[14:15]
; %bb.1838:
	s_mov_b32 s16, 0x7f800000
	v_mov_b32_e32 v5, 0x7c
	v_mov_b32_e32 v6, 0x7f
	v_cmp_lt_u32_e32 vcc, s16, v1
	v_cndmask_b32_e32 v5, v5, v6, vcc
; %bb.1839:
	s_or_b64 exec, exec, s[14:15]
	global_store_byte v[3:4], v5, off
.LBB95_1840:
	s_mov_b64 s[14:15], 0
	s_mov_b64 s[16:17], -1
.LBB95_1841:
	s_andn2_b64 vcc, exec, s[14:15]
	s_mov_b64 s[14:15], 0
	s_cbranch_vccnz .LBB95_1848
; %bb.1842:
	s_cmp_gt_i32 s23, 14
	s_mov_b64 s[18:19], -1
	s_cbranch_scc0 .LBB95_1846
; %bb.1843:
	s_cmp_eq_u32 s23, 15
	s_mov_b64 s[4:5], -1
	s_cbranch_scc0 .LBB95_1845
; %bb.1844:
	v_cndmask_b32_e64 v1, 0, 1.0, s[2:3]
	v_bfe_u32 v5, v1, 16, 1
	s_movk_i32 s4, 0x7fff
	v_add3_u32 v1, v1, v5, s4
	global_store_short_d16_hi v[3:4], v1, off
	s_mov_b64 s[4:5], 0
	s_mov_b64 s[16:17], -1
.LBB95_1845:
	s_mov_b64 s[18:19], 0
.LBB95_1846:
	s_and_b64 vcc, exec, s[18:19]
	s_cbranch_vccz .LBB95_1848
; %bb.1847:
	s_cmp_lg_u32 s23, 11
	s_mov_b64 s[14:15], -1
	s_cselect_b64 s[4:5], -1, 0
.LBB95_1848:
	s_and_b64 vcc, exec, s[4:5]
	s_cbranch_vccnz .LBB95_2142
; %bb.1849:
	s_andn2_b64 vcc, exec, s[14:15]
	s_cbranch_vccnz .LBB95_1851
.LBB95_1850:
	v_cndmask_b32_e64 v1, 0, 1, s[2:3]
	s_mov_b64 s[16:17], -1
	global_store_byte v[3:4], v1, off
.LBB95_1851:
	s_mov_b64 s[4:5], 0
	s_branch .LBB95_1853
.LBB95_1852:
	s_mov_b64 s[4:5], -1
	s_mov_b64 s[16:17], 0
.LBB95_1853:
	s_and_b64 vcc, exec, s[4:5]
	s_cbranch_vccz .LBB95_1892
; %bb.1854:
	s_cmp_lt_i32 s23, 5
	s_mov_b64 s[4:5], -1
	s_cbranch_scc1 .LBB95_1875
; %bb.1855:
	s_cmp_lt_i32 s23, 8
	s_cbranch_scc1 .LBB95_1865
; %bb.1856:
	s_cmp_lt_i32 s23, 9
	s_cbranch_scc1 .LBB95_1862
; %bb.1857:
	s_cmp_gt_i32 s23, 9
	s_cbranch_scc0 .LBB95_1859
; %bb.1858:
	v_cndmask_b32_e64 v1, 0, 1, s[2:3]
	v_cvt_f64_u32_e32 v[5:6], v1
	v_mov_b32_e32 v7, 0
	v_mov_b32_e32 v8, v7
	s_mov_b64 s[4:5], 0
	global_store_dwordx4 v[3:4], v[5:8], off
.LBB95_1859:
	s_andn2_b64 vcc, exec, s[4:5]
	s_cbranch_vccnz .LBB95_1861
; %bb.1860:
	v_cndmask_b32_e64 v5, 0, 1.0, s[2:3]
	v_mov_b32_e32 v6, 0
	global_store_dwordx2 v[3:4], v[5:6], off
.LBB95_1861:
	s_mov_b64 s[4:5], 0
.LBB95_1862:
	s_andn2_b64 vcc, exec, s[4:5]
	s_cbranch_vccnz .LBB95_1864
; %bb.1863:
	v_cndmask_b32_e64 v1, 0, 1.0, s[2:3]
	v_cvt_f16_f32_e32 v1, v1
	global_store_dword v[3:4], v1, off
.LBB95_1864:
	s_mov_b64 s[4:5], 0
.LBB95_1865:
	s_andn2_b64 vcc, exec, s[4:5]
	s_cbranch_vccnz .LBB95_1874
; %bb.1866:
	s_cmp_lt_i32 s23, 6
	s_mov_b64 s[4:5], -1
	s_cbranch_scc1 .LBB95_1872
; %bb.1867:
	s_cmp_gt_i32 s23, 6
	s_cbranch_scc0 .LBB95_1869
; %bb.1868:
	v_cndmask_b32_e64 v1, 0, 1, s[2:3]
	v_cvt_f64_u32_e32 v[5:6], v1
	s_mov_b64 s[4:5], 0
	global_store_dwordx2 v[3:4], v[5:6], off
.LBB95_1869:
	s_andn2_b64 vcc, exec, s[4:5]
	s_cbranch_vccnz .LBB95_1871
; %bb.1870:
	v_cndmask_b32_e64 v1, 0, 1.0, s[2:3]
	global_store_dword v[3:4], v1, off
.LBB95_1871:
	s_mov_b64 s[4:5], 0
.LBB95_1872:
	s_andn2_b64 vcc, exec, s[4:5]
	s_cbranch_vccnz .LBB95_1874
; %bb.1873:
	v_cndmask_b32_e64 v1, 0, 1.0, s[2:3]
	v_cvt_f16_f32_e32 v1, v1
	global_store_short v[3:4], v1, off
.LBB95_1874:
	s_mov_b64 s[4:5], 0
.LBB95_1875:
	s_andn2_b64 vcc, exec, s[4:5]
	s_cbranch_vccnz .LBB95_1891
; %bb.1876:
	s_cmp_lt_i32 s23, 2
	s_mov_b64 s[4:5], -1
	s_cbranch_scc1 .LBB95_1886
; %bb.1877:
	s_cmp_lt_i32 s23, 3
	s_cbranch_scc1 .LBB95_1883
; %bb.1878:
	s_cmp_gt_i32 s23, 3
	s_cbranch_scc0 .LBB95_1880
; %bb.1879:
	s_mov_b32 s4, 0
	v_cndmask_b32_e64 v5, 0, 1, s[2:3]
	v_mov_b32_e32 v6, s4
	global_store_dwordx2 v[3:4], v[5:6], off
	s_mov_b64 s[4:5], 0
.LBB95_1880:
	s_andn2_b64 vcc, exec, s[4:5]
	s_cbranch_vccnz .LBB95_1882
; %bb.1881:
	v_cndmask_b32_e64 v1, 0, 1, s[2:3]
	global_store_dword v[3:4], v1, off
.LBB95_1882:
	s_mov_b64 s[4:5], 0
.LBB95_1883:
	s_andn2_b64 vcc, exec, s[4:5]
	s_cbranch_vccnz .LBB95_1885
; %bb.1884:
	v_cndmask_b32_e64 v1, 0, 1, s[2:3]
	global_store_short v[3:4], v1, off
.LBB95_1885:
	s_mov_b64 s[4:5], 0
.LBB95_1886:
	s_andn2_b64 vcc, exec, s[4:5]
	s_cbranch_vccnz .LBB95_1891
; %bb.1887:
	s_mov_b64 s[4:5], -1
	s_cmp_gt_i32 s23, 0
	v_cndmask_b32_e64 v1, 0, 1, s[2:3]
	s_cbranch_scc0 .LBB95_1889
; %bb.1888:
	global_store_byte v[3:4], v1, off
	s_mov_b64 s[4:5], 0
.LBB95_1889:
	s_andn2_b64 vcc, exec, s[4:5]
	s_cbranch_vccnz .LBB95_1891
; %bb.1890:
	global_store_byte v[3:4], v1, off
.LBB95_1891:
	s_mov_b64 s[16:17], -1
.LBB95_1892:
	s_andn2_b64 vcc, exec, s[16:17]
	s_cbranch_vccnz .LBB95_2088
; %bb.1893:
	v_cmp_eq_f64_e32 vcc, s[10:11], v[11:12]
	s_cmp_lt_i32 s23, 11
	v_cndmask_b32_e64 v1, 0, 1, vcc
	v_cmp_neq_f64_e32 vcc, s[10:11], v[11:12]
	v_cndmask_b32_e64 v3, 0, 1, vcc
	v_cndmask_b32_e64 v1, v3, v1, s[0:1]
	v_and_b32_e32 v1, 1, v1
	v_cmp_eq_u32_e64 s[2:3], 1, v1
	v_mov_b32_e32 v3, s9
	v_add_co_u32_e32 v1, vcc, s8, v2
	v_addc_co_u32_e32 v2, vcc, 0, v3, vcc
	s_cbranch_scc1 .LBB95_1971
; %bb.1894:
	s_mov_b64 s[18:19], -1
	s_mov_b64 s[14:15], 0
	s_cmp_gt_i32 s23, 25
	s_mov_b64 s[16:17], 0
	s_mov_b64 s[4:5], 0
	s_cbranch_scc0 .LBB95_1927
; %bb.1895:
	s_cmp_gt_i32 s23, 28
	s_cbranch_scc0 .LBB95_1910
; %bb.1896:
	s_cmp_gt_i32 s23, 43
	;; [unrolled: 3-line block ×3, first 2 shown]
	s_cbranch_scc0 .LBB95_1900
; %bb.1898:
	s_mov_b64 s[4:5], -1
	s_mov_b64 s[18:19], 0
	s_cmp_eq_u32 s23, 46
	s_cbranch_scc0 .LBB95_1900
; %bb.1899:
	v_cndmask_b32_e64 v3, 0, 1.0, s[2:3]
	v_bfe_u32 v4, v3, 16, 1
	s_movk_i32 s4, 0x7fff
	v_add3_u32 v3, v3, v4, s4
	v_lshrrev_b32_e32 v3, 16, v3
	global_store_dword v[1:2], v3, off
	s_mov_b64 s[4:5], 0
	s_mov_b64 s[16:17], -1
.LBB95_1900:
	s_and_b64 vcc, exec, s[18:19]
	s_cbranch_vccz .LBB95_1905
; %bb.1901:
	s_cmp_eq_u32 s23, 44
	s_mov_b64 s[4:5], -1
	s_cbranch_scc0 .LBB95_1905
; %bb.1902:
	v_cndmask_b32_e64 v4, 0, 1.0, s[2:3]
	v_lshrrev_b32_e32 v3, 23, v4
	s_movk_i32 s4, 0xff
	v_cmp_ne_u32_e32 vcc, s4, v3
	v_mov_b32_e32 v5, 0xff
	s_and_saveexec_b64 s[16:17], vcc
; %bb.1903:
	s_mov_b32 s4, 0x3fffff
	v_and_b32_e32 v5, 0x400000, v4
	v_and_or_b32 v4, v4, s4, v3
	v_cmp_ne_u32_e32 vcc, 0, v5
	v_cmp_ne_u32_e64 s[4:5], 0, v4
	s_and_b64 s[4:5], vcc, s[4:5]
	v_cndmask_b32_e64 v4, 0, 1, s[4:5]
	v_add_u32_e32 v5, v3, v4
; %bb.1904:
	s_or_b64 exec, exec, s[16:17]
	s_mov_b64 s[4:5], 0
	s_mov_b64 s[16:17], -1
	global_store_byte v[1:2], v5, off
.LBB95_1905:
	s_mov_b64 s[18:19], 0
.LBB95_1906:
	s_and_b64 vcc, exec, s[18:19]
	s_cbranch_vccz .LBB95_1909
; %bb.1907:
	s_cmp_eq_u32 s23, 29
	s_mov_b64 s[4:5], -1
	s_cbranch_scc0 .LBB95_1909
; %bb.1908:
	s_mov_b32 s4, 0
	v_cndmask_b32_e64 v3, 0, 1, s[2:3]
	v_mov_b32_e32 v4, s4
	global_store_dwordx2 v[1:2], v[3:4], off
	s_mov_b64 s[4:5], 0
	s_mov_b64 s[16:17], -1
.LBB95_1909:
	s_mov_b64 s[18:19], 0
.LBB95_1910:
	s_and_b64 vcc, exec, s[18:19]
	s_cbranch_vccz .LBB95_1926
; %bb.1911:
	s_cmp_lt_i32 s23, 27
	s_mov_b64 s[16:17], -1
	s_cbranch_scc1 .LBB95_1917
; %bb.1912:
	s_cmp_gt_i32 s23, 27
	s_cbranch_scc0 .LBB95_1914
; %bb.1913:
	v_cndmask_b32_e64 v3, 0, 1, s[2:3]
	s_mov_b64 s[16:17], 0
	global_store_dword v[1:2], v3, off
.LBB95_1914:
	s_andn2_b64 vcc, exec, s[16:17]
	s_cbranch_vccnz .LBB95_1916
; %bb.1915:
	v_cndmask_b32_e64 v3, 0, 1, s[2:3]
	global_store_short v[1:2], v3, off
.LBB95_1916:
	s_mov_b64 s[16:17], 0
.LBB95_1917:
	s_andn2_b64 vcc, exec, s[16:17]
	s_cbranch_vccnz .LBB95_1925
; %bb.1918:
	v_cndmask_b32_e64 v4, 0, 1.0, s[2:3]
	s_mov_b32 s16, 0x43800000
	v_cmp_gt_u32_e32 vcc, s16, v4
	v_mov_b32_e32 v5, 0x80
	s_and_saveexec_b64 s[16:17], vcc
	s_cbranch_execz .LBB95_1924
; %bb.1919:
	s_mov_b32 s18, 0x3bffffff
	v_cmp_lt_u32_e32 vcc, s18, v4
	s_mov_b64 s[18:19], 0
                                        ; implicit-def: $vgpr3
	s_and_saveexec_b64 s[20:21], vcc
	s_xor_b64 s[20:21], exec, s[20:21]
	s_cbranch_execz .LBB95_2145
; %bb.1920:
	v_bfe_u32 v3, v4, 20, 1
	s_mov_b32 s24, 0x487ffff
	v_add3_u32 v3, v4, v3, s24
	s_mov_b64 s[18:19], exec
	v_lshrrev_b32_e32 v3, 20, v3
                                        ; implicit-def: $vgpr4
	s_andn2_saveexec_b64 s[20:21], s[20:21]
	s_cbranch_execnz .LBB95_2146
.LBB95_1921:
	s_or_b64 exec, exec, s[20:21]
	v_mov_b32_e32 v5, 0
	s_and_saveexec_b64 s[20:21], s[18:19]
.LBB95_1922:
	v_mov_b32_e32 v5, v3
.LBB95_1923:
	s_or_b64 exec, exec, s[20:21]
.LBB95_1924:
	s_or_b64 exec, exec, s[16:17]
	global_store_byte v[1:2], v5, off
.LBB95_1925:
	s_mov_b64 s[16:17], -1
.LBB95_1926:
	s_mov_b64 s[18:19], 0
.LBB95_1927:
	s_and_b64 vcc, exec, s[18:19]
	s_cbranch_vccz .LBB95_1967
; %bb.1928:
	s_cmp_gt_i32 s23, 22
	s_mov_b64 s[14:15], -1
	s_cbranch_scc0 .LBB95_1960
; %bb.1929:
	s_cmp_lt_i32 s23, 24
	s_cbranch_scc1 .LBB95_1949
; %bb.1930:
	s_cmp_gt_i32 s23, 24
	s_cbranch_scc0 .LBB95_1938
; %bb.1931:
	v_cndmask_b32_e64 v4, 0, 1.0, s[2:3]
	s_mov_b32 s14, 0x47800000
	v_cmp_gt_u32_e32 vcc, s14, v4
	v_mov_b32_e32 v5, 0x80
	s_and_saveexec_b64 s[14:15], vcc
	s_cbranch_execz .LBB95_1937
; %bb.1932:
	s_mov_b32 s16, 0x37ffffff
	v_cmp_lt_u32_e32 vcc, s16, v4
	s_mov_b64 s[16:17], 0
                                        ; implicit-def: $vgpr3
	s_and_saveexec_b64 s[18:19], vcc
	s_xor_b64 s[18:19], exec, s[18:19]
	s_cbranch_execz .LBB95_2148
; %bb.1933:
	v_bfe_u32 v3, v4, 21, 1
	s_mov_b32 s20, 0x88fffff
	v_add3_u32 v3, v4, v3, s20
	s_mov_b64 s[16:17], exec
	v_lshrrev_b32_e32 v3, 21, v3
                                        ; implicit-def: $vgpr4
	s_andn2_saveexec_b64 s[18:19], s[18:19]
	s_cbranch_execnz .LBB95_2149
.LBB95_1934:
	s_or_b64 exec, exec, s[18:19]
	v_mov_b32_e32 v5, 0
	s_and_saveexec_b64 s[18:19], s[16:17]
.LBB95_1935:
	v_mov_b32_e32 v5, v3
.LBB95_1936:
	s_or_b64 exec, exec, s[18:19]
.LBB95_1937:
	s_or_b64 exec, exec, s[14:15]
	s_mov_b64 s[14:15], 0
	global_store_byte v[1:2], v5, off
.LBB95_1938:
	s_and_b64 vcc, exec, s[14:15]
	s_cbranch_vccz .LBB95_1948
; %bb.1939:
	v_cndmask_b32_e64 v3, 0, 1.0, s[2:3]
	s_mov_b32 s14, 0x43f00000
	v_cmp_gt_u32_e32 vcc, s14, v3
                                        ; implicit-def: $vgpr4
	s_and_saveexec_b64 s[14:15], vcc
	s_xor_b64 s[14:15], exec, s[14:15]
	s_cbranch_execz .LBB95_1945
; %bb.1940:
	s_mov_b32 s16, 0x3c7fffff
	v_cmp_lt_u32_e32 vcc, s16, v3
                                        ; implicit-def: $vgpr4
	s_and_saveexec_b64 s[16:17], vcc
	s_xor_b64 s[16:17], exec, s[16:17]
; %bb.1941:
	v_bfe_u32 v4, v3, 20, 1
	s_mov_b32 s18, 0x407ffff
	v_add3_u32 v3, v3, v4, s18
	v_lshrrev_b32_e32 v4, 20, v3
	v_and_b32_e32 v3, 0xff00000, v3
	s_mov_b32 s18, 0x7f00000
	v_mov_b32_e32 v5, 0x7e
	v_cmp_ne_u32_e32 vcc, s18, v3
	v_cndmask_b32_e32 v4, v5, v4, vcc
                                        ; implicit-def: $vgpr3
; %bb.1942:
	s_andn2_saveexec_b64 s[16:17], s[16:17]
; %bb.1943:
	v_add_f32_e32 v4, 0x46800000, v3
; %bb.1944:
	s_or_b64 exec, exec, s[16:17]
                                        ; implicit-def: $vgpr3
.LBB95_1945:
	s_andn2_saveexec_b64 s[14:15], s[14:15]
; %bb.1946:
	s_mov_b32 s16, 0x7f800000
	v_mov_b32_e32 v4, 0x7e
	v_mov_b32_e32 v5, 0x7f
	v_cmp_lt_u32_e32 vcc, s16, v3
	v_cndmask_b32_e32 v4, v4, v5, vcc
; %bb.1947:
	s_or_b64 exec, exec, s[14:15]
	global_store_byte v[1:2], v4, off
.LBB95_1948:
	s_mov_b64 s[14:15], 0
.LBB95_1949:
	s_andn2_b64 vcc, exec, s[14:15]
	s_cbranch_vccnz .LBB95_1959
; %bb.1950:
	v_cndmask_b32_e64 v3, 0, 1.0, s[2:3]
	s_mov_b32 s14, 0x47800000
	v_cmp_gt_u32_e32 vcc, s14, v3
                                        ; implicit-def: $vgpr4
	s_and_saveexec_b64 s[14:15], vcc
	s_xor_b64 s[14:15], exec, s[14:15]
	s_cbranch_execz .LBB95_1956
; %bb.1951:
	s_mov_b32 s16, 0x387fffff
	v_cmp_lt_u32_e32 vcc, s16, v3
                                        ; implicit-def: $vgpr4
	s_and_saveexec_b64 s[16:17], vcc
	s_xor_b64 s[16:17], exec, s[16:17]
; %bb.1952:
	v_bfe_u32 v4, v3, 21, 1
	s_mov_b32 s18, 0x80fffff
	v_add3_u32 v3, v3, v4, s18
	v_lshrrev_b32_e32 v4, 21, v3
                                        ; implicit-def: $vgpr3
; %bb.1953:
	s_andn2_saveexec_b64 s[16:17], s[16:17]
; %bb.1954:
	v_add_f32_e32 v4, 0x43000000, v3
; %bb.1955:
	s_or_b64 exec, exec, s[16:17]
                                        ; implicit-def: $vgpr3
.LBB95_1956:
	s_andn2_saveexec_b64 s[14:15], s[14:15]
; %bb.1957:
	s_mov_b32 s16, 0x7f800000
	v_mov_b32_e32 v4, 0x7c
	v_mov_b32_e32 v5, 0x7f
	v_cmp_lt_u32_e32 vcc, s16, v3
	v_cndmask_b32_e32 v4, v4, v5, vcc
; %bb.1958:
	s_or_b64 exec, exec, s[14:15]
	global_store_byte v[1:2], v4, off
.LBB95_1959:
	s_mov_b64 s[14:15], 0
	s_mov_b64 s[16:17], -1
.LBB95_1960:
	s_andn2_b64 vcc, exec, s[14:15]
	s_mov_b64 s[14:15], 0
	s_cbranch_vccnz .LBB95_1967
; %bb.1961:
	s_cmp_gt_i32 s23, 14
	s_mov_b64 s[18:19], -1
	s_cbranch_scc0 .LBB95_1965
; %bb.1962:
	s_cmp_eq_u32 s23, 15
	s_mov_b64 s[4:5], -1
	s_cbranch_scc0 .LBB95_1964
; %bb.1963:
	v_cndmask_b32_e64 v3, 0, 1.0, s[2:3]
	v_bfe_u32 v4, v3, 16, 1
	s_movk_i32 s4, 0x7fff
	v_add3_u32 v3, v3, v4, s4
	global_store_short_d16_hi v[1:2], v3, off
	s_mov_b64 s[4:5], 0
	s_mov_b64 s[16:17], -1
.LBB95_1964:
	s_mov_b64 s[18:19], 0
.LBB95_1965:
	s_and_b64 vcc, exec, s[18:19]
	s_cbranch_vccz .LBB95_1967
; %bb.1966:
	s_cmp_lg_u32 s23, 11
	s_mov_b64 s[14:15], -1
	s_cselect_b64 s[4:5], -1, 0
.LBB95_1967:
	s_and_b64 vcc, exec, s[4:5]
	s_cbranch_vccnz .LBB95_2147
; %bb.1968:
	s_andn2_b64 vcc, exec, s[14:15]
	s_cbranch_vccnz .LBB95_1970
.LBB95_1969:
	v_cndmask_b32_e64 v3, 0, 1, s[2:3]
	s_mov_b64 s[16:17], -1
	global_store_byte v[1:2], v3, off
.LBB95_1970:
	s_mov_b64 s[4:5], 0
	s_branch .LBB95_1972
.LBB95_1971:
	s_mov_b64 s[4:5], -1
	s_mov_b64 s[16:17], 0
.LBB95_1972:
	s_and_b64 vcc, exec, s[4:5]
	s_cbranch_vccz .LBB95_2011
; %bb.1973:
	s_cmp_lt_i32 s23, 5
	s_mov_b64 s[4:5], -1
	s_cbranch_scc1 .LBB95_1994
; %bb.1974:
	s_cmp_lt_i32 s23, 8
	s_cbranch_scc1 .LBB95_1984
; %bb.1975:
	s_cmp_lt_i32 s23, 9
	s_cbranch_scc1 .LBB95_1981
; %bb.1976:
	s_cmp_gt_i32 s23, 9
	s_cbranch_scc0 .LBB95_1978
; %bb.1977:
	v_cndmask_b32_e64 v3, 0, 1, s[2:3]
	v_cvt_f64_u32_e32 v[3:4], v3
	v_mov_b32_e32 v5, 0
	v_mov_b32_e32 v6, v5
	s_mov_b64 s[4:5], 0
	global_store_dwordx4 v[1:2], v[3:6], off
.LBB95_1978:
	s_andn2_b64 vcc, exec, s[4:5]
	s_cbranch_vccnz .LBB95_1980
; %bb.1979:
	v_cndmask_b32_e64 v3, 0, 1.0, s[2:3]
	v_mov_b32_e32 v4, 0
	global_store_dwordx2 v[1:2], v[3:4], off
.LBB95_1980:
	s_mov_b64 s[4:5], 0
.LBB95_1981:
	s_andn2_b64 vcc, exec, s[4:5]
	s_cbranch_vccnz .LBB95_1983
; %bb.1982:
	v_cndmask_b32_e64 v3, 0, 1.0, s[2:3]
	v_cvt_f16_f32_e32 v3, v3
	global_store_dword v[1:2], v3, off
.LBB95_1983:
	s_mov_b64 s[4:5], 0
.LBB95_1984:
	s_andn2_b64 vcc, exec, s[4:5]
	s_cbranch_vccnz .LBB95_1993
; %bb.1985:
	s_cmp_lt_i32 s23, 6
	s_mov_b64 s[4:5], -1
	s_cbranch_scc1 .LBB95_1991
; %bb.1986:
	s_cmp_gt_i32 s23, 6
	s_cbranch_scc0 .LBB95_1988
; %bb.1987:
	v_cndmask_b32_e64 v3, 0, 1, s[2:3]
	v_cvt_f64_u32_e32 v[3:4], v3
	s_mov_b64 s[4:5], 0
	global_store_dwordx2 v[1:2], v[3:4], off
.LBB95_1988:
	s_andn2_b64 vcc, exec, s[4:5]
	s_cbranch_vccnz .LBB95_1990
; %bb.1989:
	v_cndmask_b32_e64 v3, 0, 1.0, s[2:3]
	global_store_dword v[1:2], v3, off
.LBB95_1990:
	s_mov_b64 s[4:5], 0
.LBB95_1991:
	s_andn2_b64 vcc, exec, s[4:5]
	s_cbranch_vccnz .LBB95_1993
; %bb.1992:
	v_cndmask_b32_e64 v3, 0, 1.0, s[2:3]
	v_cvt_f16_f32_e32 v3, v3
	global_store_short v[1:2], v3, off
.LBB95_1993:
	s_mov_b64 s[4:5], 0
.LBB95_1994:
	s_andn2_b64 vcc, exec, s[4:5]
	s_cbranch_vccnz .LBB95_2010
; %bb.1995:
	s_cmp_lt_i32 s23, 2
	s_mov_b64 s[4:5], -1
	s_cbranch_scc1 .LBB95_2005
; %bb.1996:
	s_cmp_lt_i32 s23, 3
	s_cbranch_scc1 .LBB95_2002
; %bb.1997:
	s_cmp_gt_i32 s23, 3
	s_cbranch_scc0 .LBB95_1999
; %bb.1998:
	s_mov_b32 s4, 0
	v_cndmask_b32_e64 v3, 0, 1, s[2:3]
	v_mov_b32_e32 v4, s4
	global_store_dwordx2 v[1:2], v[3:4], off
	s_mov_b64 s[4:5], 0
.LBB95_1999:
	s_andn2_b64 vcc, exec, s[4:5]
	s_cbranch_vccnz .LBB95_2001
; %bb.2000:
	v_cndmask_b32_e64 v3, 0, 1, s[2:3]
	global_store_dword v[1:2], v3, off
.LBB95_2001:
	s_mov_b64 s[4:5], 0
.LBB95_2002:
	s_andn2_b64 vcc, exec, s[4:5]
	s_cbranch_vccnz .LBB95_2004
; %bb.2003:
	v_cndmask_b32_e64 v3, 0, 1, s[2:3]
	global_store_short v[1:2], v3, off
.LBB95_2004:
	s_mov_b64 s[4:5], 0
.LBB95_2005:
	s_andn2_b64 vcc, exec, s[4:5]
	s_cbranch_vccnz .LBB95_2010
; %bb.2006:
	s_cmp_gt_i32 s23, 0
	s_mov_b64 s[4:5], -1
	s_cbranch_scc0 .LBB95_2008
; %bb.2007:
	v_cndmask_b32_e64 v3, 0, 1, s[2:3]
	global_store_byte v[1:2], v3, off
	s_mov_b64 s[4:5], 0
.LBB95_2008:
	s_andn2_b64 vcc, exec, s[4:5]
	s_cbranch_vccnz .LBB95_2010
; %bb.2009:
	v_cndmask_b32_e64 v3, 0, 1, s[2:3]
	global_store_byte v[1:2], v3, off
.LBB95_2010:
	s_mov_b64 s[16:17], -1
.LBB95_2011:
	s_andn2_b64 vcc, exec, s[16:17]
	s_cbranch_vccnz .LBB95_2088
; %bb.2012:
	v_cmp_eq_f64_e32 vcc, s[10:11], v[13:14]
	s_cmp_lt_i32 s23, 11
	v_cndmask_b32_e64 v1, 0, 1, vcc
	v_cmp_neq_f64_e32 vcc, s[10:11], v[13:14]
	v_cndmask_b32_e64 v2, 0, 1, vcc
	v_cndmask_b32_e64 v1, v2, v1, s[0:1]
	v_and_b32_e32 v1, 1, v1
	v_cmp_eq_u32_e64 s[2:3], 1, v1
	v_mov_b32_e32 v1, s9
	v_add_co_u32_e32 v0, vcc, s8, v0
	v_addc_co_u32_e32 v1, vcc, 0, v1, vcc
	s_cbranch_scc1 .LBB95_2133
; %bb.2013:
	s_mov_b64 s[8:9], -1
	s_mov_b64 s[4:5], 0
	s_cmp_gt_i32 s23, 25
	s_mov_b64 s[0:1], 0
	s_cbranch_scc0 .LBB95_2046
; %bb.2014:
	s_cmp_gt_i32 s23, 28
	s_cbranch_scc0 .LBB95_2030
; %bb.2015:
	s_cmp_gt_i32 s23, 43
	;; [unrolled: 3-line block ×3, first 2 shown]
	s_cbranch_scc0 .LBB95_2020
; %bb.2017:
	s_cmp_eq_u32 s23, 46
	s_mov_b64 s[0:1], -1
	s_cbranch_scc0 .LBB95_2019
; %bb.2018:
	v_cndmask_b32_e64 v2, 0, 1.0, s[2:3]
	v_bfe_u32 v3, v2, 16, 1
	s_movk_i32 s0, 0x7fff
	v_add3_u32 v2, v2, v3, s0
	v_lshrrev_b32_e32 v2, 16, v2
	global_store_dword v[0:1], v2, off
	s_mov_b64 s[0:1], 0
.LBB95_2019:
	s_mov_b64 s[8:9], 0
.LBB95_2020:
	s_and_b64 vcc, exec, s[8:9]
	s_cbranch_vccz .LBB95_2025
; %bb.2021:
	s_cmp_eq_u32 s23, 44
	s_mov_b64 s[0:1], -1
	s_cbranch_scc0 .LBB95_2025
; %bb.2022:
	v_cndmask_b32_e64 v3, 0, 1.0, s[2:3]
	v_lshrrev_b32_e32 v2, 23, v3
	s_movk_i32 s0, 0xff
	v_cmp_ne_u32_e32 vcc, s0, v2
	v_mov_b32_e32 v4, 0xff
	s_and_saveexec_b64 s[8:9], vcc
; %bb.2023:
	s_mov_b32 s0, 0x3fffff
	v_and_b32_e32 v4, 0x400000, v3
	v_and_or_b32 v3, v3, s0, v2
	v_cmp_ne_u32_e32 vcc, 0, v4
	v_cmp_ne_u32_e64 s[0:1], 0, v3
	s_and_b64 s[0:1], vcc, s[0:1]
	v_cndmask_b32_e64 v3, 0, 1, s[0:1]
	v_add_u32_e32 v4, v2, v3
; %bb.2024:
	s_or_b64 exec, exec, s[8:9]
	s_mov_b64 s[0:1], 0
	global_store_byte v[0:1], v4, off
.LBB95_2025:
	s_mov_b64 s[8:9], 0
.LBB95_2026:
	s_and_b64 vcc, exec, s[8:9]
	s_cbranch_vccz .LBB95_2029
; %bb.2027:
	s_cmp_eq_u32 s23, 29
	s_mov_b64 s[0:1], -1
	s_cbranch_scc0 .LBB95_2029
; %bb.2028:
	s_mov_b32 s0, 0
	v_cndmask_b32_e64 v2, 0, 1, s[2:3]
	v_mov_b32_e32 v3, s0
	global_store_dwordx2 v[0:1], v[2:3], off
	s_mov_b64 s[0:1], 0
.LBB95_2029:
	s_mov_b64 s[8:9], 0
.LBB95_2030:
	s_and_b64 vcc, exec, s[8:9]
	s_cbranch_vccz .LBB95_2045
; %bb.2031:
	s_cmp_lt_i32 s23, 27
	s_mov_b64 s[8:9], -1
	s_cbranch_scc1 .LBB95_2037
; %bb.2032:
	s_cmp_gt_i32 s23, 27
	s_cbranch_scc0 .LBB95_2034
; %bb.2033:
	v_cndmask_b32_e64 v2, 0, 1, s[2:3]
	global_store_dword v[0:1], v2, off
	s_mov_b64 s[8:9], 0
.LBB95_2034:
	s_andn2_b64 vcc, exec, s[8:9]
	s_cbranch_vccnz .LBB95_2036
; %bb.2035:
	v_cndmask_b32_e64 v2, 0, 1, s[2:3]
	global_store_short v[0:1], v2, off
.LBB95_2036:
	s_mov_b64 s[8:9], 0
.LBB95_2037:
	s_andn2_b64 vcc, exec, s[8:9]
	s_cbranch_vccnz .LBB95_2045
; %bb.2038:
	v_cndmask_b32_e64 v3, 0, 1.0, s[2:3]
	s_mov_b32 s8, 0x43800000
	v_cmp_gt_u32_e32 vcc, s8, v3
	v_mov_b32_e32 v4, 0x80
	s_and_saveexec_b64 s[8:9], vcc
	s_cbranch_execz .LBB95_2044
; %bb.2039:
	s_mov_b32 s10, 0x3bffffff
	v_cmp_lt_u32_e32 vcc, s10, v3
	s_mov_b64 s[10:11], 0
                                        ; implicit-def: $vgpr2
	s_and_saveexec_b64 s[14:15], vcc
	s_xor_b64 s[14:15], exec, s[14:15]
	s_cbranch_execz .LBB95_2150
; %bb.2040:
	v_bfe_u32 v2, v3, 20, 1
	s_mov_b32 s16, 0x487ffff
	v_add3_u32 v2, v3, v2, s16
	s_mov_b64 s[10:11], exec
	v_lshrrev_b32_e32 v2, 20, v2
                                        ; implicit-def: $vgpr3
	s_andn2_saveexec_b64 s[14:15], s[14:15]
	s_cbranch_execnz .LBB95_2151
.LBB95_2041:
	s_or_b64 exec, exec, s[14:15]
	v_mov_b32_e32 v4, 0
	s_and_saveexec_b64 s[14:15], s[10:11]
.LBB95_2042:
	v_mov_b32_e32 v4, v2
.LBB95_2043:
	s_or_b64 exec, exec, s[14:15]
.LBB95_2044:
	s_or_b64 exec, exec, s[8:9]
	global_store_byte v[0:1], v4, off
.LBB95_2045:
	s_mov_b64 s[8:9], 0
.LBB95_2046:
	s_and_b64 vcc, exec, s[8:9]
	s_cbranch_vccz .LBB95_2086
; %bb.2047:
	s_cmp_gt_i32 s23, 22
	s_mov_b64 s[4:5], -1
	s_cbranch_scc0 .LBB95_2079
; %bb.2048:
	s_cmp_lt_i32 s23, 24
	s_cbranch_scc1 .LBB95_2068
; %bb.2049:
	s_cmp_gt_i32 s23, 24
	s_cbranch_scc0 .LBB95_2057
; %bb.2050:
	v_cndmask_b32_e64 v3, 0, 1.0, s[2:3]
	s_mov_b32 s4, 0x47800000
	v_cmp_gt_u32_e32 vcc, s4, v3
	v_mov_b32_e32 v4, 0x80
	s_and_saveexec_b64 s[4:5], vcc
	s_cbranch_execz .LBB95_2056
; %bb.2051:
	s_mov_b32 s8, 0x37ffffff
	v_cmp_lt_u32_e32 vcc, s8, v3
	s_mov_b64 s[8:9], 0
                                        ; implicit-def: $vgpr2
	s_and_saveexec_b64 s[10:11], vcc
	s_xor_b64 s[10:11], exec, s[10:11]
	s_cbranch_execz .LBB95_2153
; %bb.2052:
	v_bfe_u32 v2, v3, 21, 1
	s_mov_b32 s14, 0x88fffff
	v_add3_u32 v2, v3, v2, s14
	s_mov_b64 s[8:9], exec
	v_lshrrev_b32_e32 v2, 21, v2
                                        ; implicit-def: $vgpr3
	s_andn2_saveexec_b64 s[10:11], s[10:11]
	s_cbranch_execnz .LBB95_2154
.LBB95_2053:
	s_or_b64 exec, exec, s[10:11]
	v_mov_b32_e32 v4, 0
	s_and_saveexec_b64 s[10:11], s[8:9]
.LBB95_2054:
	v_mov_b32_e32 v4, v2
.LBB95_2055:
	s_or_b64 exec, exec, s[10:11]
.LBB95_2056:
	s_or_b64 exec, exec, s[4:5]
	s_mov_b64 s[4:5], 0
	global_store_byte v[0:1], v4, off
.LBB95_2057:
	s_and_b64 vcc, exec, s[4:5]
	s_cbranch_vccz .LBB95_2067
; %bb.2058:
	v_cndmask_b32_e64 v2, 0, 1.0, s[2:3]
	s_mov_b32 s4, 0x43f00000
	v_cmp_gt_u32_e32 vcc, s4, v2
                                        ; implicit-def: $vgpr3
	s_and_saveexec_b64 s[4:5], vcc
	s_xor_b64 s[4:5], exec, s[4:5]
	s_cbranch_execz .LBB95_2064
; %bb.2059:
	s_mov_b32 s8, 0x3c7fffff
	v_cmp_lt_u32_e32 vcc, s8, v2
                                        ; implicit-def: $vgpr3
	s_and_saveexec_b64 s[8:9], vcc
	s_xor_b64 s[8:9], exec, s[8:9]
; %bb.2060:
	v_bfe_u32 v3, v2, 20, 1
	s_mov_b32 s10, 0x407ffff
	v_add3_u32 v2, v2, v3, s10
	v_lshrrev_b32_e32 v3, 20, v2
	v_and_b32_e32 v2, 0xff00000, v2
	s_mov_b32 s10, 0x7f00000
	v_mov_b32_e32 v4, 0x7e
	v_cmp_ne_u32_e32 vcc, s10, v2
	v_cndmask_b32_e32 v3, v4, v3, vcc
                                        ; implicit-def: $vgpr2
; %bb.2061:
	s_andn2_saveexec_b64 s[8:9], s[8:9]
; %bb.2062:
	v_add_f32_e32 v3, 0x46800000, v2
; %bb.2063:
	s_or_b64 exec, exec, s[8:9]
                                        ; implicit-def: $vgpr2
.LBB95_2064:
	s_andn2_saveexec_b64 s[4:5], s[4:5]
; %bb.2065:
	s_mov_b32 s8, 0x7f800000
	v_mov_b32_e32 v3, 0x7e
	v_mov_b32_e32 v4, 0x7f
	v_cmp_lt_u32_e32 vcc, s8, v2
	v_cndmask_b32_e32 v3, v3, v4, vcc
; %bb.2066:
	s_or_b64 exec, exec, s[4:5]
	global_store_byte v[0:1], v3, off
.LBB95_2067:
	s_mov_b64 s[4:5], 0
.LBB95_2068:
	s_andn2_b64 vcc, exec, s[4:5]
	s_cbranch_vccnz .LBB95_2078
; %bb.2069:
	v_cndmask_b32_e64 v2, 0, 1.0, s[2:3]
	s_mov_b32 s4, 0x47800000
	v_cmp_gt_u32_e32 vcc, s4, v2
                                        ; implicit-def: $vgpr3
	s_and_saveexec_b64 s[4:5], vcc
	s_xor_b64 s[4:5], exec, s[4:5]
	s_cbranch_execz .LBB95_2075
; %bb.2070:
	s_mov_b32 s8, 0x387fffff
	v_cmp_lt_u32_e32 vcc, s8, v2
                                        ; implicit-def: $vgpr3
	s_and_saveexec_b64 s[8:9], vcc
	s_xor_b64 s[8:9], exec, s[8:9]
; %bb.2071:
	v_bfe_u32 v3, v2, 21, 1
	s_mov_b32 s10, 0x80fffff
	v_add3_u32 v2, v2, v3, s10
	v_lshrrev_b32_e32 v3, 21, v2
                                        ; implicit-def: $vgpr2
; %bb.2072:
	s_andn2_saveexec_b64 s[8:9], s[8:9]
; %bb.2073:
	v_add_f32_e32 v3, 0x43000000, v2
; %bb.2074:
	s_or_b64 exec, exec, s[8:9]
                                        ; implicit-def: $vgpr2
.LBB95_2075:
	s_andn2_saveexec_b64 s[4:5], s[4:5]
; %bb.2076:
	s_mov_b32 s8, 0x7f800000
	v_mov_b32_e32 v3, 0x7c
	v_mov_b32_e32 v4, 0x7f
	v_cmp_lt_u32_e32 vcc, s8, v2
	v_cndmask_b32_e32 v3, v3, v4, vcc
; %bb.2077:
	s_or_b64 exec, exec, s[4:5]
	global_store_byte v[0:1], v3, off
.LBB95_2078:
	s_mov_b64 s[4:5], 0
.LBB95_2079:
	s_andn2_b64 vcc, exec, s[4:5]
	s_mov_b64 s[4:5], 0
	s_cbranch_vccnz .LBB95_2086
; %bb.2080:
	s_cmp_gt_i32 s23, 14
	s_mov_b64 s[8:9], -1
	s_cbranch_scc0 .LBB95_2084
; %bb.2081:
	s_cmp_eq_u32 s23, 15
	s_mov_b64 s[0:1], -1
	s_cbranch_scc0 .LBB95_2083
; %bb.2082:
	v_cndmask_b32_e64 v2, 0, 1.0, s[2:3]
	v_bfe_u32 v3, v2, 16, 1
	s_movk_i32 s0, 0x7fff
	v_add3_u32 v2, v2, v3, s0
	global_store_short_d16_hi v[0:1], v2, off
	s_mov_b64 s[0:1], 0
.LBB95_2083:
	s_mov_b64 s[8:9], 0
.LBB95_2084:
	s_and_b64 vcc, exec, s[8:9]
	s_cbranch_vccz .LBB95_2086
; %bb.2085:
	s_cmp_lg_u32 s23, 11
	s_mov_b64 s[4:5], -1
	s_cselect_b64 s[0:1], -1, 0
.LBB95_2086:
	s_and_b64 vcc, exec, s[0:1]
	s_cbranch_vccnz .LBB95_2152
.LBB95_2087:
	s_mov_b64 s[0:1], 0
	s_branch .LBB95_2089
.LBB95_2088:
	s_mov_b64 s[0:1], 0
	s_mov_b64 s[4:5], 0
                                        ; implicit-def: $sgpr2_sgpr3
                                        ; implicit-def: $vgpr0_vgpr1
                                        ; implicit-def: $sgpr22
.LBB95_2089:
	s_and_b64 s[44:45], s[4:5], exec
	s_andn2_b64 s[4:5], s[6:7], exec
	s_and_b64 s[6:7], s[12:13], exec
	s_and_b64 s[0:1], s[0:1], exec
	s_or_b64 s[6:7], s[4:5], s[6:7]
.LBB95_2090:
	s_or_b64 exec, exec, s[28:29]
	s_and_saveexec_b64 s[4:5], s[6:7]
	s_cbranch_execz .LBB95_2093
; %bb.2091:
	; divergent unreachable
	s_or_b64 exec, exec, s[4:5]
	s_and_saveexec_b64 s[4:5], s[44:45]
	s_xor_b64 s[4:5], exec, s[4:5]
	s_cbranch_execnz .LBB95_2094
.LBB95_2092:
	s_or_b64 exec, exec, s[4:5]
	s_and_saveexec_b64 s[4:5], s[0:1]
	s_cbranch_execnz .LBB95_2095
	s_branch .LBB95_2132
.LBB95_2093:
	s_or_b64 exec, exec, s[4:5]
	s_and_saveexec_b64 s[4:5], s[44:45]
	s_xor_b64 s[4:5], exec, s[4:5]
	s_cbranch_execz .LBB95_2092
.LBB95_2094:
	v_cndmask_b32_e64 v2, 0, 1, s[2:3]
	global_store_byte v[0:1], v2, off
	s_or_b64 exec, exec, s[4:5]
	s_and_saveexec_b64 s[4:5], s[0:1]
	s_cbranch_execz .LBB95_2132
.LBB95_2095:
	s_sext_i32_i16 s4, s22
	s_cmp_lt_i32 s4, 5
	s_mov_b64 s[0:1], -1
	s_cbranch_scc1 .LBB95_2116
; %bb.2096:
	s_cmp_lt_i32 s4, 8
	s_cbranch_scc1 .LBB95_2106
; %bb.2097:
	s_cmp_lt_i32 s4, 9
	s_cbranch_scc1 .LBB95_2103
; %bb.2098:
	s_cmp_gt_i32 s4, 9
	s_cbranch_scc0 .LBB95_2100
; %bb.2099:
	v_cndmask_b32_e64 v2, 0, 1, s[2:3]
	s_waitcnt vmcnt(0)
	v_cvt_f64_u32_e32 v[2:3], v2
	v_mov_b32_e32 v4, 0
	v_mov_b32_e32 v5, v4
	s_mov_b64 s[0:1], 0
	global_store_dwordx4 v[0:1], v[2:5], off
.LBB95_2100:
	s_andn2_b64 vcc, exec, s[0:1]
	s_cbranch_vccnz .LBB95_2102
; %bb.2101:
	v_cndmask_b32_e64 v2, 0, 1.0, s[2:3]
	s_waitcnt vmcnt(0)
	v_mov_b32_e32 v3, 0
	global_store_dwordx2 v[0:1], v[2:3], off
.LBB95_2102:
	s_mov_b64 s[0:1], 0
.LBB95_2103:
	s_andn2_b64 vcc, exec, s[0:1]
	s_cbranch_vccnz .LBB95_2105
; %bb.2104:
	v_cndmask_b32_e64 v2, 0, 1.0, s[2:3]
	v_cvt_f16_f32_e32 v2, v2
	global_store_dword v[0:1], v2, off
.LBB95_2105:
	s_mov_b64 s[0:1], 0
.LBB95_2106:
	s_andn2_b64 vcc, exec, s[0:1]
	s_cbranch_vccnz .LBB95_2115
; %bb.2107:
	s_sext_i32_i16 s4, s22
	s_cmp_lt_i32 s4, 6
	s_mov_b64 s[0:1], -1
	s_cbranch_scc1 .LBB95_2113
; %bb.2108:
	s_cmp_gt_i32 s4, 6
	s_cbranch_scc0 .LBB95_2110
; %bb.2109:
	v_cndmask_b32_e64 v2, 0, 1, s[2:3]
	s_waitcnt vmcnt(0)
	v_cvt_f64_u32_e32 v[2:3], v2
	s_mov_b64 s[0:1], 0
	global_store_dwordx2 v[0:1], v[2:3], off
.LBB95_2110:
	s_andn2_b64 vcc, exec, s[0:1]
	s_cbranch_vccnz .LBB95_2112
; %bb.2111:
	v_cndmask_b32_e64 v2, 0, 1.0, s[2:3]
	global_store_dword v[0:1], v2, off
.LBB95_2112:
	s_mov_b64 s[0:1], 0
.LBB95_2113:
	s_andn2_b64 vcc, exec, s[0:1]
	s_cbranch_vccnz .LBB95_2115
; %bb.2114:
	v_cndmask_b32_e64 v2, 0, 1.0, s[2:3]
	v_cvt_f16_f32_e32 v2, v2
	global_store_short v[0:1], v2, off
.LBB95_2115:
	s_mov_b64 s[0:1], 0
.LBB95_2116:
	s_andn2_b64 vcc, exec, s[0:1]
	s_cbranch_vccnz .LBB95_2132
; %bb.2117:
	s_sext_i32_i16 s4, s22
	s_cmp_lt_i32 s4, 2
	s_mov_b64 s[0:1], -1
	s_cbranch_scc1 .LBB95_2127
; %bb.2118:
	s_cmp_lt_i32 s4, 3
	s_cbranch_scc1 .LBB95_2124
; %bb.2119:
	s_cmp_gt_i32 s4, 3
	s_cbranch_scc0 .LBB95_2121
; %bb.2120:
	s_mov_b32 s0, 0
	v_cndmask_b32_e64 v2, 0, 1, s[2:3]
	s_waitcnt vmcnt(0)
	v_mov_b32_e32 v3, s0
	global_store_dwordx2 v[0:1], v[2:3], off
	s_mov_b64 s[0:1], 0
.LBB95_2121:
	s_andn2_b64 vcc, exec, s[0:1]
	s_cbranch_vccnz .LBB95_2123
; %bb.2122:
	v_cndmask_b32_e64 v2, 0, 1, s[2:3]
	global_store_dword v[0:1], v2, off
.LBB95_2123:
	s_mov_b64 s[0:1], 0
.LBB95_2124:
	s_andn2_b64 vcc, exec, s[0:1]
	s_cbranch_vccnz .LBB95_2126
; %bb.2125:
	v_cndmask_b32_e64 v2, 0, 1, s[2:3]
	global_store_short v[0:1], v2, off
.LBB95_2126:
	s_mov_b64 s[0:1], 0
.LBB95_2127:
	s_andn2_b64 vcc, exec, s[0:1]
	s_cbranch_vccnz .LBB95_2132
; %bb.2128:
	s_sext_i32_i16 s0, s22
	s_cmp_gt_i32 s0, 0
	s_mov_b64 s[0:1], -1
	s_cbranch_scc0 .LBB95_2130
; %bb.2129:
	v_cndmask_b32_e64 v2, 0, 1, s[2:3]
	global_store_byte v[0:1], v2, off
	s_mov_b64 s[0:1], 0
.LBB95_2130:
	s_andn2_b64 vcc, exec, s[0:1]
	s_cbranch_vccnz .LBB95_2132
; %bb.2131:
	v_cndmask_b32_e64 v2, 0, 1, s[2:3]
	global_store_byte v[0:1], v2, off
	s_endpgm
.LBB95_2132:
	s_endpgm
.LBB95_2133:
	s_mov_b64 s[4:5], 0
	s_mov_b64 s[0:1], -1
	s_branch .LBB95_2089
.LBB95_2134:
	s_trap 2
	s_or_b64 s[12:13], s[12:13], exec
	s_cbranch_execz .LBB95_1603
	s_branch .LBB95_1604
.LBB95_2135:
	s_andn2_saveexec_b64 s[20:21], s[20:21]
	s_cbranch_execz .LBB95_1683
.LBB95_2136:
	v_add_f32_e32 v1, 0x46000000, v3
	v_and_b32_e32 v1, 0xff, v1
	v_cmp_ne_u32_e32 vcc, 0, v1
	s_andn2_b64 s[18:19], s[18:19], exec
	s_and_b64 s[24:25], vcc, exec
	s_or_b64 s[18:19], s[18:19], s[24:25]
	s_or_b64 exec, exec, s[20:21]
	v_mov_b32_e32 v7, 0
	s_and_saveexec_b64 s[20:21], s[18:19]
	s_cbranch_execnz .LBB95_1684
	s_branch .LBB95_1685
.LBB95_2137:
	s_trap 2
	s_or_b64 s[12:13], s[12:13], exec
	s_cbranch_execz .LBB95_1731
	s_branch .LBB95_1732
.LBB95_2138:
	s_andn2_saveexec_b64 s[18:19], s[18:19]
	s_cbranch_execz .LBB95_1696
.LBB95_2139:
	v_add_f32_e32 v1, 0x42800000, v3
	v_and_b32_e32 v1, 0xff, v1
	v_cmp_ne_u32_e32 vcc, 0, v1
	s_andn2_b64 s[16:17], s[16:17], exec
	s_and_b64 s[20:21], vcc, exec
	s_or_b64 s[16:17], s[16:17], s[20:21]
	s_or_b64 exec, exec, s[18:19]
	v_mov_b32_e32 v7, 0
	s_and_saveexec_b64 s[18:19], s[16:17]
	s_cbranch_execnz .LBB95_1697
	s_branch .LBB95_1698
.LBB95_2140:
	s_andn2_saveexec_b64 s[20:21], s[20:21]
	s_cbranch_execz .LBB95_1802
.LBB95_2141:
	v_add_f32_e32 v1, 0x46000000, v5
	v_and_b32_e32 v1, 0xff, v1
	v_cmp_ne_u32_e32 vcc, 0, v1
	s_andn2_b64 s[18:19], s[18:19], exec
	s_and_b64 s[24:25], vcc, exec
	s_or_b64 s[18:19], s[18:19], s[24:25]
	s_or_b64 exec, exec, s[20:21]
	v_mov_b32_e32 v6, 0
	s_and_saveexec_b64 s[20:21], s[18:19]
	s_cbranch_execnz .LBB95_1803
	s_branch .LBB95_1804
.LBB95_2142:
	s_trap 2
	s_or_b64 s[12:13], s[12:13], exec
	s_cbranch_execz .LBB95_1850
	s_branch .LBB95_1851
.LBB95_2143:
	s_andn2_saveexec_b64 s[18:19], s[18:19]
	s_cbranch_execz .LBB95_1815
.LBB95_2144:
	v_add_f32_e32 v1, 0x42800000, v5
	v_and_b32_e32 v1, 0xff, v1
	v_cmp_ne_u32_e32 vcc, 0, v1
	s_andn2_b64 s[16:17], s[16:17], exec
	s_and_b64 s[20:21], vcc, exec
	s_or_b64 s[16:17], s[16:17], s[20:21]
	s_or_b64 exec, exec, s[18:19]
	v_mov_b32_e32 v6, 0
	s_and_saveexec_b64 s[18:19], s[16:17]
	s_cbranch_execnz .LBB95_1816
	s_branch .LBB95_1817
.LBB95_2145:
	s_andn2_saveexec_b64 s[20:21], s[20:21]
	s_cbranch_execz .LBB95_1921
.LBB95_2146:
	v_add_f32_e32 v3, 0x46000000, v4
	v_and_b32_e32 v3, 0xff, v3
	v_cmp_ne_u32_e32 vcc, 0, v3
	s_andn2_b64 s[18:19], s[18:19], exec
	s_and_b64 s[24:25], vcc, exec
	s_or_b64 s[18:19], s[18:19], s[24:25]
	s_or_b64 exec, exec, s[20:21]
	v_mov_b32_e32 v5, 0
	s_and_saveexec_b64 s[20:21], s[18:19]
	s_cbranch_execnz .LBB95_1922
	s_branch .LBB95_1923
.LBB95_2147:
	s_trap 2
	s_or_b64 s[12:13], s[12:13], exec
	s_cbranch_execz .LBB95_1969
	s_branch .LBB95_1970
.LBB95_2148:
	s_andn2_saveexec_b64 s[18:19], s[18:19]
	s_cbranch_execz .LBB95_1934
.LBB95_2149:
	v_add_f32_e32 v3, 0x42800000, v4
	v_and_b32_e32 v3, 0xff, v3
	v_cmp_ne_u32_e32 vcc, 0, v3
	s_andn2_b64 s[16:17], s[16:17], exec
	s_and_b64 s[20:21], vcc, exec
	s_or_b64 s[16:17], s[16:17], s[20:21]
	s_or_b64 exec, exec, s[18:19]
	v_mov_b32_e32 v5, 0
	s_and_saveexec_b64 s[18:19], s[16:17]
	s_cbranch_execnz .LBB95_1935
	s_branch .LBB95_1936
.LBB95_2150:
	s_andn2_saveexec_b64 s[14:15], s[14:15]
	s_cbranch_execz .LBB95_2041
.LBB95_2151:
	v_add_f32_e32 v2, 0x46000000, v3
	v_and_b32_e32 v2, 0xff, v2
	v_cmp_ne_u32_e32 vcc, 0, v2
	s_andn2_b64 s[10:11], s[10:11], exec
	s_and_b64 s[16:17], vcc, exec
	s_or_b64 s[10:11], s[10:11], s[16:17]
	s_or_b64 exec, exec, s[14:15]
	v_mov_b32_e32 v4, 0
	s_and_saveexec_b64 s[14:15], s[10:11]
	s_cbranch_execnz .LBB95_2042
	s_branch .LBB95_2043
.LBB95_2152:
	s_mov_b64 s[4:5], 0
	s_or_b64 s[12:13], s[12:13], exec
	s_trap 2
	s_branch .LBB95_2087
.LBB95_2153:
	s_andn2_saveexec_b64 s[10:11], s[10:11]
	s_cbranch_execz .LBB95_2053
.LBB95_2154:
	v_add_f32_e32 v2, 0x42800000, v3
	v_and_b32_e32 v2, 0xff, v2
	v_cmp_ne_u32_e32 vcc, 0, v2
	s_andn2_b64 s[8:9], s[8:9], exec
	s_and_b64 s[14:15], vcc, exec
	s_or_b64 s[8:9], s[8:9], s[14:15]
	s_or_b64 exec, exec, s[10:11]
	v_mov_b32_e32 v4, 0
	s_and_saveexec_b64 s[10:11], s[8:9]
	s_cbranch_execnz .LBB95_2054
	s_branch .LBB95_2055
	.section	.rodata,"a",@progbits
	.p2align	6, 0x0
	.amdhsa_kernel _ZN2at6native32elementwise_kernel_manual_unrollILi128ELi4EZNS0_15gpu_kernel_implINS0_13AUnaryFunctorIddbNS0_12_GLOBAL__N_116CompareEqFunctorIdEEEEEEvRNS_18TensorIteratorBaseERKT_EUlibE0_EEviT1_
		.amdhsa_group_segment_fixed_size 0
		.amdhsa_private_segment_fixed_size 0
		.amdhsa_kernarg_size 376
		.amdhsa_user_sgpr_count 6
		.amdhsa_user_sgpr_private_segment_buffer 1
		.amdhsa_user_sgpr_dispatch_ptr 0
		.amdhsa_user_sgpr_queue_ptr 0
		.amdhsa_user_sgpr_kernarg_segment_ptr 1
		.amdhsa_user_sgpr_dispatch_id 0
		.amdhsa_user_sgpr_flat_scratch_init 0
		.amdhsa_user_sgpr_private_segment_size 0
		.amdhsa_uses_dynamic_stack 0
		.amdhsa_system_sgpr_private_segment_wavefront_offset 0
		.amdhsa_system_sgpr_workgroup_id_x 1
		.amdhsa_system_sgpr_workgroup_id_y 0
		.amdhsa_system_sgpr_workgroup_id_z 0
		.amdhsa_system_sgpr_workgroup_info 0
		.amdhsa_system_vgpr_workitem_id 0
		.amdhsa_next_free_vgpr 19
		.amdhsa_next_free_sgpr 82
		.amdhsa_reserve_vcc 1
		.amdhsa_reserve_flat_scratch 0
		.amdhsa_float_round_mode_32 0
		.amdhsa_float_round_mode_16_64 0
		.amdhsa_float_denorm_mode_32 3
		.amdhsa_float_denorm_mode_16_64 3
		.amdhsa_dx10_clamp 1
		.amdhsa_ieee_mode 1
		.amdhsa_fp16_overflow 0
		.amdhsa_exception_fp_ieee_invalid_op 0
		.amdhsa_exception_fp_denorm_src 0
		.amdhsa_exception_fp_ieee_div_zero 0
		.amdhsa_exception_fp_ieee_overflow 0
		.amdhsa_exception_fp_ieee_underflow 0
		.amdhsa_exception_fp_ieee_inexact 0
		.amdhsa_exception_int_div_zero 0
	.end_amdhsa_kernel
	.section	.text._ZN2at6native32elementwise_kernel_manual_unrollILi128ELi4EZNS0_15gpu_kernel_implINS0_13AUnaryFunctorIddbNS0_12_GLOBAL__N_116CompareEqFunctorIdEEEEEEvRNS_18TensorIteratorBaseERKT_EUlibE0_EEviT1_,"axG",@progbits,_ZN2at6native32elementwise_kernel_manual_unrollILi128ELi4EZNS0_15gpu_kernel_implINS0_13AUnaryFunctorIddbNS0_12_GLOBAL__N_116CompareEqFunctorIdEEEEEEvRNS_18TensorIteratorBaseERKT_EUlibE0_EEviT1_,comdat
.Lfunc_end95:
	.size	_ZN2at6native32elementwise_kernel_manual_unrollILi128ELi4EZNS0_15gpu_kernel_implINS0_13AUnaryFunctorIddbNS0_12_GLOBAL__N_116CompareEqFunctorIdEEEEEEvRNS_18TensorIteratorBaseERKT_EUlibE0_EEviT1_, .Lfunc_end95-_ZN2at6native32elementwise_kernel_manual_unrollILi128ELi4EZNS0_15gpu_kernel_implINS0_13AUnaryFunctorIddbNS0_12_GLOBAL__N_116CompareEqFunctorIdEEEEEEvRNS_18TensorIteratorBaseERKT_EUlibE0_EEviT1_
                                        ; -- End function
	.set _ZN2at6native32elementwise_kernel_manual_unrollILi128ELi4EZNS0_15gpu_kernel_implINS0_13AUnaryFunctorIddbNS0_12_GLOBAL__N_116CompareEqFunctorIdEEEEEEvRNS_18TensorIteratorBaseERKT_EUlibE0_EEviT1_.num_vgpr, 19
	.set _ZN2at6native32elementwise_kernel_manual_unrollILi128ELi4EZNS0_15gpu_kernel_implINS0_13AUnaryFunctorIddbNS0_12_GLOBAL__N_116CompareEqFunctorIdEEEEEEvRNS_18TensorIteratorBaseERKT_EUlibE0_EEviT1_.num_agpr, 0
	.set _ZN2at6native32elementwise_kernel_manual_unrollILi128ELi4EZNS0_15gpu_kernel_implINS0_13AUnaryFunctorIddbNS0_12_GLOBAL__N_116CompareEqFunctorIdEEEEEEvRNS_18TensorIteratorBaseERKT_EUlibE0_EEviT1_.numbered_sgpr, 82
	.set _ZN2at6native32elementwise_kernel_manual_unrollILi128ELi4EZNS0_15gpu_kernel_implINS0_13AUnaryFunctorIddbNS0_12_GLOBAL__N_116CompareEqFunctorIdEEEEEEvRNS_18TensorIteratorBaseERKT_EUlibE0_EEviT1_.num_named_barrier, 0
	.set _ZN2at6native32elementwise_kernel_manual_unrollILi128ELi4EZNS0_15gpu_kernel_implINS0_13AUnaryFunctorIddbNS0_12_GLOBAL__N_116CompareEqFunctorIdEEEEEEvRNS_18TensorIteratorBaseERKT_EUlibE0_EEviT1_.private_seg_size, 0
	.set _ZN2at6native32elementwise_kernel_manual_unrollILi128ELi4EZNS0_15gpu_kernel_implINS0_13AUnaryFunctorIddbNS0_12_GLOBAL__N_116CompareEqFunctorIdEEEEEEvRNS_18TensorIteratorBaseERKT_EUlibE0_EEviT1_.uses_vcc, 1
	.set _ZN2at6native32elementwise_kernel_manual_unrollILi128ELi4EZNS0_15gpu_kernel_implINS0_13AUnaryFunctorIddbNS0_12_GLOBAL__N_116CompareEqFunctorIdEEEEEEvRNS_18TensorIteratorBaseERKT_EUlibE0_EEviT1_.uses_flat_scratch, 0
	.set _ZN2at6native32elementwise_kernel_manual_unrollILi128ELi4EZNS0_15gpu_kernel_implINS0_13AUnaryFunctorIddbNS0_12_GLOBAL__N_116CompareEqFunctorIdEEEEEEvRNS_18TensorIteratorBaseERKT_EUlibE0_EEviT1_.has_dyn_sized_stack, 0
	.set _ZN2at6native32elementwise_kernel_manual_unrollILi128ELi4EZNS0_15gpu_kernel_implINS0_13AUnaryFunctorIddbNS0_12_GLOBAL__N_116CompareEqFunctorIdEEEEEEvRNS_18TensorIteratorBaseERKT_EUlibE0_EEviT1_.has_recursion, 0
	.set _ZN2at6native32elementwise_kernel_manual_unrollILi128ELi4EZNS0_15gpu_kernel_implINS0_13AUnaryFunctorIddbNS0_12_GLOBAL__N_116CompareEqFunctorIdEEEEEEvRNS_18TensorIteratorBaseERKT_EUlibE0_EEviT1_.has_indirect_call, 0
	.section	.AMDGPU.csdata,"",@progbits
; Kernel info:
; codeLenInByte = 36044
; TotalNumSgprs: 86
; NumVgprs: 19
; ScratchSize: 0
; MemoryBound: 1
; FloatMode: 240
; IeeeMode: 1
; LDSByteSize: 0 bytes/workgroup (compile time only)
; SGPRBlocks: 10
; VGPRBlocks: 4
; NumSGPRsForWavesPerEU: 86
; NumVGPRsForWavesPerEU: 19
; Occupancy: 9
; WaveLimiterHint : 1
; COMPUTE_PGM_RSRC2:SCRATCH_EN: 0
; COMPUTE_PGM_RSRC2:USER_SGPR: 6
; COMPUTE_PGM_RSRC2:TRAP_HANDLER: 0
; COMPUTE_PGM_RSRC2:TGID_X_EN: 1
; COMPUTE_PGM_RSRC2:TGID_Y_EN: 0
; COMPUTE_PGM_RSRC2:TGID_Z_EN: 0
; COMPUTE_PGM_RSRC2:TIDIG_COMP_CNT: 0
	.section	.text._ZN2at6native29vectorized_elementwise_kernelILi16ENS0_13BinaryFunctorIffbNS0_12_GLOBAL__N_116CompareEqFunctorIfEEEESt5arrayIPcLm3EEEEviT0_T1_,"axG",@progbits,_ZN2at6native29vectorized_elementwise_kernelILi16ENS0_13BinaryFunctorIffbNS0_12_GLOBAL__N_116CompareEqFunctorIfEEEESt5arrayIPcLm3EEEEviT0_T1_,comdat
	.globl	_ZN2at6native29vectorized_elementwise_kernelILi16ENS0_13BinaryFunctorIffbNS0_12_GLOBAL__N_116CompareEqFunctorIfEEEESt5arrayIPcLm3EEEEviT0_T1_ ; -- Begin function _ZN2at6native29vectorized_elementwise_kernelILi16ENS0_13BinaryFunctorIffbNS0_12_GLOBAL__N_116CompareEqFunctorIfEEEESt5arrayIPcLm3EEEEviT0_T1_
	.p2align	8
	.type	_ZN2at6native29vectorized_elementwise_kernelILi16ENS0_13BinaryFunctorIffbNS0_12_GLOBAL__N_116CompareEqFunctorIfEEEESt5arrayIPcLm3EEEEviT0_T1_,@function
_ZN2at6native29vectorized_elementwise_kernelILi16ENS0_13BinaryFunctorIffbNS0_12_GLOBAL__N_116CompareEqFunctorIfEEEESt5arrayIPcLm3EEEEviT0_T1_: ; @_ZN2at6native29vectorized_elementwise_kernelILi16ENS0_13BinaryFunctorIffbNS0_12_GLOBAL__N_116CompareEqFunctorIfEEEESt5arrayIPcLm3EEEEviT0_T1_
; %bb.0:
	s_load_dwordx2 s[20:21], s[4:5], 0x0
	s_load_dwordx4 s[16:19], s[4:5], 0x8
	s_load_dwordx2 s[22:23], s[4:5], 0x18
	s_lshl_b32 s14, s6, 12
	s_mov_b64 s[0:1], -1
	s_waitcnt lgkmcnt(0)
	s_sub_i32 s20, s20, s14
	s_cmpk_gt_i32 s20, 0xfff
	s_cbranch_scc0 .LBB96_2
; %bb.1:
	s_ashr_i32 s15, s14, 31
	s_lshl_b64 s[0:1], s[14:15], 2
	s_add_u32 s2, s18, s0
	s_addc_u32 s3, s19, s1
	s_add_u32 s0, s22, s0
	v_lshlrev_b32_e32 v33, 6, v0
	s_addc_u32 s1, s23, s1
	global_load_dwordx4 v[1:4], v33, s[0:1]
	global_load_dwordx4 v[5:8], v33, s[2:3]
	global_load_dwordx4 v[9:12], v33, s[2:3] offset:16
	global_load_dwordx4 v[13:16], v33, s[0:1] offset:16
	;; [unrolled: 1-line block ×6, first 2 shown]
	s_cmp_eq_u32 s21, 0
	v_mov_b32_e32 v35, 1
	v_lshlrev_b32_e32 v34, 4, v0
	s_waitcnt vmcnt(6)
	v_cmp_eq_f32_e64 s[0:1], v5, v1
	v_cmp_eq_f32_e64 s[4:5], v7, v3
	v_cmp_neq_f32_e64 s[10:11], v7, v3
	v_cmp_eq_f32_e32 vcc, v8, v4
	v_cndmask_b32_e64 v7, 0, 1, s[0:1]
	s_waitcnt vmcnt(4)
	v_cmp_eq_f32_e64 s[0:1], v9, v13
	v_cmp_neq_f32_e64 s[6:7], v5, v1
	v_cndmask_b32_e64 v1, 0, 1, vcc
	v_cmp_neq_f32_e32 vcc, v8, v4
	v_cndmask_b32_e64 v3, 0, 1, s[4:5]
	v_cndmask_b32_e64 v4, 0, 1, s[10:11]
	v_cmp_eq_f32_e64 s[4:5], v11, v15
	v_cmp_neq_f32_e64 s[10:11], v11, v15
	v_cndmask_b32_e64 v15, 0, 1, s[0:1]
	s_waitcnt vmcnt(2)
	v_cmp_eq_f32_e64 s[0:1], v20, v24
	v_cmp_eq_f32_e64 s[2:3], v6, v2
	v_cmp_neq_f32_e64 s[8:9], v6, v2
	v_cndmask_b32_e64 v2, 0, 1, vcc
	s_cselect_b64 vcc, -1, 0
	v_cndmask_b32_e64 v33, 0, 1, s[0:1]
	v_cmp_neq_f32_e64 s[0:1], v20, v24
	v_cndmask_b32_e32 v1, v2, v1, vcc
	v_cndmask_b32_e64 v2, 0, 1, s[0:1]
	v_cmp_eq_f32_e64 s[0:1], v19, v23
	v_cndmask_b32_e64 v5, 0, 1, s[2:3]
	v_cndmask_b32_e64 v6, 0, 1, s[8:9]
	v_cmp_eq_f32_e64 s[12:13], v12, v16
	v_cndmask_b32_e32 v3, v4, v3, vcc
	v_cndmask_b32_e64 v4, 0, 1, s[0:1]
	v_cmp_neq_f32_e64 s[0:1], v19, v23
	v_cndmask_b32_e64 v8, 0, 1, s[6:7]
	v_cmp_eq_f32_e64 s[2:3], v10, v14
	v_cmp_neq_f32_e64 s[6:7], v9, v13
	v_cmp_neq_f32_e64 s[8:9], v10, v14
	v_cndmask_b32_e64 v9, 0, 1, s[12:13]
	v_cmp_neq_f32_e64 s[12:13], v12, v16
	v_cndmask_b32_e32 v5, v6, v5, vcc
	v_cndmask_b32_e64 v6, 0, 1, s[0:1]
	v_cmp_eq_f32_e64 s[0:1], v18, v22
	v_cndmask_b32_e64 v10, 0, 1, s[12:13]
	v_cndmask_b32_e64 v11, 0, 1, s[4:5]
	;; [unrolled: 1-line block ×6, first 2 shown]
	v_cndmask_b32_e32 v7, v8, v7, vcc
	v_cndmask_b32_e64 v8, 0, 1, s[0:1]
	v_cmp_neq_f32_e64 s[0:1], v18, v22
	v_cndmask_b32_e32 v9, v10, v9, vcc
	v_cndmask_b32_e64 v10, 0, 1, s[0:1]
	v_cndmask_b32_e32 v11, v12, v11, vcc
	v_cndmask_b32_e32 v12, v14, v13, vcc
	;; [unrolled: 1-line block ×6, first 2 shown]
	v_and_b32_e32 v2, 1, v7
	v_and_b32_sdwa v5, v5, v35 dst_sel:BYTE_1 dst_unused:UNUSED_PAD src0_sel:DWORD src1_sel:DWORD
	v_and_b32_e32 v3, 1, v3
	v_and_b32_sdwa v1, v1, v35 dst_sel:BYTE_1 dst_unused:UNUSED_PAD src0_sel:DWORD src1_sel:DWORD
	;; [unrolled: 2-line block ×4, first 2 shown]
	v_or_b32_e32 v2, v2, v5
	v_or_b32_sdwa v1, v3, v1 dst_sel:WORD_1 dst_unused:UNUSED_PAD src0_sel:DWORD src1_sel:DWORD
	v_or_b32_e32 v3, v7, v8
	v_or_b32_sdwa v5, v10, v9 dst_sel:WORD_1 dst_unused:UNUSED_PAD src0_sel:DWORD src1_sel:DWORD
	v_cmp_eq_f32_e64 s[0:1], v17, v21
	v_or_b32_sdwa v1, v2, v1 dst_sel:DWORD dst_unused:UNUSED_PAD src0_sel:WORD_0 src1_sel:DWORD
	v_or_b32_sdwa v2, v3, v5 dst_sel:DWORD dst_unused:UNUSED_PAD src0_sel:WORD_0 src1_sel:DWORD
	v_cndmask_b32_e64 v3, 0, 1, s[0:1]
	v_cmp_neq_f32_e64 s[0:1], v17, v21
	v_cndmask_b32_e64 v5, 0, 1, s[0:1]
	v_cndmask_b32_e32 v3, v5, v3, vcc
	v_and_b32_e32 v3, 1, v3
	v_and_b32_sdwa v5, v6, v35 dst_sel:BYTE_1 dst_unused:UNUSED_PAD src0_sel:DWORD src1_sel:DWORD
	v_or_b32_e32 v3, v3, v5
	v_and_b32_e32 v4, 1, v4
	v_and_b32_sdwa v5, v14, v35 dst_sel:BYTE_1 dst_unused:UNUSED_PAD src0_sel:DWORD src1_sel:DWORD
	v_or_b32_sdwa v4, v4, v5 dst_sel:WORD_1 dst_unused:UNUSED_PAD src0_sel:DWORD src1_sel:DWORD
	s_waitcnt vmcnt(0)
	v_cmp_eq_f32_e64 s[0:1], v28, v32
	v_or_b32_sdwa v3, v3, v4 dst_sel:DWORD dst_unused:UNUSED_PAD src0_sel:WORD_0 src1_sel:DWORD
	v_cndmask_b32_e64 v4, 0, 1, s[0:1]
	v_cmp_neq_f32_e64 s[0:1], v28, v32
	v_cndmask_b32_e64 v5, 0, 1, s[0:1]
	v_cmp_eq_f32_e64 s[0:1], v27, v31
	v_cndmask_b32_e32 v4, v5, v4, vcc
	v_cndmask_b32_e64 v5, 0, 1, s[0:1]
	v_cmp_neq_f32_e64 s[0:1], v27, v31
	v_cndmask_b32_e64 v6, 0, 1, s[0:1]
	v_cmp_eq_f32_e64 s[0:1], v26, v30
	v_cndmask_b32_e32 v5, v6, v5, vcc
	;; [unrolled: 5-line block ×3, first 2 shown]
	v_cndmask_b32_e64 v7, 0, 1, s[0:1]
	v_cmp_neq_f32_e64 s[0:1], v25, v29
	v_cndmask_b32_e64 v8, 0, 1, s[0:1]
	v_cndmask_b32_e32 v7, v8, v7, vcc
	v_and_b32_e32 v7, 1, v7
	v_and_b32_sdwa v6, v6, v35 dst_sel:BYTE_1 dst_unused:UNUSED_PAD src0_sel:DWORD src1_sel:DWORD
	v_and_b32_e32 v5, 1, v5
	v_and_b32_sdwa v4, v4, v35 dst_sel:BYTE_1 dst_unused:UNUSED_PAD src0_sel:DWORD src1_sel:DWORD
	s_add_u32 s24, s16, s14
	v_or_b32_e32 v6, v7, v6
	v_or_b32_sdwa v4, v5, v4 dst_sel:WORD_1 dst_unused:UNUSED_PAD src0_sel:DWORD src1_sel:DWORD
	s_addc_u32 s25, s17, s15
	v_or_b32_sdwa v4, v6, v4 dst_sel:DWORD dst_unused:UNUSED_PAD src0_sel:WORD_0 src1_sel:DWORD
	global_store_dwordx4 v34, v[1:4], s[24:25]
	s_mov_b64 s[0:1], 0
.LBB96_2:
	s_andn2_b64 vcc, exec, s[0:1]
	s_cbranch_vccnz .LBB96_52
; %bb.3:
	v_cmp_gt_i32_e32 vcc, s20, v0
	v_mov_b32_e32 v3, 0
	v_or_b32_e32 v1, s14, v0
	v_mov_b32_e32 v2, 0
	v_mov_b32_e32 v4, 0
	;; [unrolled: 1-line block ×3, first 2 shown]
	s_and_saveexec_b64 s[2:3], vcc
	s_cbranch_execz .LBB96_5
; %bb.4:
	v_mov_b32_e32 v2, 0
	v_lshlrev_b64 v[4:5], 2, v[1:2]
	v_mov_b32_e32 v2, s23
	v_add_co_u32_e64 v6, s[0:1], s22, v4
	v_addc_co_u32_e64 v7, s[0:1], v2, v5, s[0:1]
	v_mov_b32_e32 v2, s19
	v_add_co_u32_e64 v8, s[0:1], s18, v4
	v_addc_co_u32_e64 v9, s[0:1], v2, v5, s[0:1]
	global_load_dword v2, v[8:9], off
	global_load_dword v4, v[6:7], off
	v_or_b32_e32 v13, 0x100, v0
.LBB96_5:
	s_or_b64 exec, exec, s[2:3]
	v_cmp_gt_i32_e64 s[0:1], s20, v13
	v_mov_b32_e32 v6, 0
	s_and_saveexec_b64 s[2:3], s[0:1]
	s_cbranch_execz .LBB96_7
; %bb.6:
	v_add_u32_e32 v5, s14, v13
	v_mov_b32_e32 v6, 0
	v_lshlrev_b64 v[5:6], 2, v[5:6]
	v_mov_b32_e32 v3, s23
	v_add_co_u32_e64 v7, s[0:1], s22, v5
	v_addc_co_u32_e64 v8, s[0:1], v3, v6, s[0:1]
	v_mov_b32_e32 v3, s19
	v_add_co_u32_e64 v9, s[0:1], s18, v5
	v_addc_co_u32_e64 v10, s[0:1], v3, v6, s[0:1]
	global_load_dword v3, v[9:10], off
	global_load_dword v6, v[7:8], off
	v_add_u32_e32 v13, 0x100, v13
.LBB96_7:
	s_or_b64 exec, exec, s[2:3]
	v_cmp_gt_i32_e64 s[0:1], s20, v13
	v_mov_b32_e32 v5, 0
	v_mov_b32_e32 v7, 0
	v_mov_b32_e32 v8, 0
	s_and_saveexec_b64 s[2:3], s[0:1]
	s_cbranch_execz .LBB96_9
; %bb.8:
	v_add_u32_e32 v7, s14, v13
	v_mov_b32_e32 v8, 0
	v_lshlrev_b64 v[7:8], 2, v[7:8]
	v_mov_b32_e32 v10, s23
	v_add_co_u32_e64 v9, s[0:1], s22, v7
	v_addc_co_u32_e64 v10, s[0:1], v10, v8, s[0:1]
	v_mov_b32_e32 v12, s19
	v_add_co_u32_e64 v11, s[0:1], s18, v7
	v_addc_co_u32_e64 v12, s[0:1], v12, v8, s[0:1]
	global_load_dword v7, v[11:12], off
	global_load_dword v8, v[9:10], off
	v_add_u32_e32 v13, 0x100, v13
.LBB96_9:
	s_or_b64 exec, exec, s[2:3]
	v_cmp_gt_i32_e64 s[0:1], s20, v13
	v_mov_b32_e32 v10, 0
	s_and_saveexec_b64 s[2:3], s[0:1]
	s_cbranch_execz .LBB96_11
; %bb.10:
	v_add_u32_e32 v9, s14, v13
	v_mov_b32_e32 v10, 0
	v_lshlrev_b64 v[9:10], 2, v[9:10]
	v_mov_b32_e32 v5, s23
	v_add_co_u32_e64 v11, s[0:1], s22, v9
	v_addc_co_u32_e64 v12, s[0:1], v5, v10, s[0:1]
	v_mov_b32_e32 v5, s19
	v_add_co_u32_e64 v14, s[0:1], s18, v9
	v_addc_co_u32_e64 v15, s[0:1], v5, v10, s[0:1]
	global_load_dword v5, v[14:15], off
	global_load_dword v10, v[11:12], off
	v_add_u32_e32 v13, 0x100, v13
.LBB96_11:
	s_or_b64 exec, exec, s[2:3]
	v_cmp_gt_i32_e64 s[0:1], s20, v13
	v_mov_b32_e32 v9, 0
	v_mov_b32_e32 v11, 0
	v_mov_b32_e32 v12, 0
	s_and_saveexec_b64 s[2:3], s[0:1]
	s_cbranch_execz .LBB96_13
; %bb.12:
	v_add_u32_e32 v11, s14, v13
	v_mov_b32_e32 v12, 0
	v_lshlrev_b64 v[11:12], 2, v[11:12]
	v_mov_b32_e32 v15, s23
	v_add_co_u32_e64 v14, s[0:1], s22, v11
	v_addc_co_u32_e64 v15, s[0:1], v15, v12, s[0:1]
	v_mov_b32_e32 v17, s19
	v_add_co_u32_e64 v16, s[0:1], s18, v11
	v_addc_co_u32_e64 v17, s[0:1], v17, v12, s[0:1]
	global_load_dword v11, v[16:17], off
	global_load_dword v12, v[14:15], off
	v_add_u32_e32 v13, 0x100, v13
.LBB96_13:
	;; [unrolled: 40-line block ×7, first 2 shown]
	s_or_b64 exec, exec, s[2:3]
	v_cmp_gt_i32_e64 s[0:1], s20, v13
	v_mov_b32_e32 v34, 0
	s_and_saveexec_b64 s[2:3], s[0:1]
	s_cbranch_execz .LBB96_35
; %bb.34:
	v_add_u32_e32 v34, s14, v13
	v_mov_b32_e32 v35, 0
	v_lshlrev_b64 v[34:35], 2, v[34:35]
	v_mov_b32_e32 v13, s23
	v_add_co_u32_e64 v36, s[0:1], s22, v34
	v_addc_co_u32_e64 v37, s[0:1], v13, v35, s[0:1]
	v_mov_b32_e32 v13, s19
	v_add_co_u32_e64 v38, s[0:1], s18, v34
	v_addc_co_u32_e64 v39, s[0:1], v13, v35, s[0:1]
	global_load_dword v30, v[38:39], off
	global_load_dword v34, v[36:37], off
.LBB96_35:
	s_or_b64 exec, exec, s[2:3]
	s_cmp_eq_u32 s21, 0
	s_cselect_b64 s[0:1], -1, 0
	s_and_saveexec_b64 s[2:3], vcc
	s_cbranch_execnz .LBB96_53
; %bb.36:
	s_or_b64 exec, exec, s[2:3]
	v_cmp_gt_i32_e32 vcc, s20, v0
	s_and_saveexec_b64 s[2:3], vcc
	s_cbranch_execnz .LBB96_54
.LBB96_37:
	s_or_b64 exec, exec, s[2:3]
	v_cmp_gt_i32_e32 vcc, s20, v0
	s_and_saveexec_b64 s[2:3], vcc
	s_cbranch_execnz .LBB96_55
.LBB96_38:
	s_or_b64 exec, exec, s[2:3]
	v_cmp_gt_i32_e32 vcc, s20, v0
	s_and_saveexec_b64 s[2:3], vcc
	s_cbranch_execnz .LBB96_56
.LBB96_39:
	s_or_b64 exec, exec, s[2:3]
	v_cmp_gt_i32_e32 vcc, s20, v0
	s_and_saveexec_b64 s[2:3], vcc
	s_cbranch_execnz .LBB96_57
.LBB96_40:
	s_or_b64 exec, exec, s[2:3]
	v_cmp_gt_i32_e32 vcc, s20, v0
	s_and_saveexec_b64 s[2:3], vcc
	s_cbranch_execnz .LBB96_58
.LBB96_41:
	s_or_b64 exec, exec, s[2:3]
	v_cmp_gt_i32_e32 vcc, s20, v0
	s_and_saveexec_b64 s[2:3], vcc
	s_cbranch_execnz .LBB96_59
.LBB96_42:
	s_or_b64 exec, exec, s[2:3]
	v_cmp_gt_i32_e32 vcc, s20, v0
	s_and_saveexec_b64 s[2:3], vcc
	s_cbranch_execnz .LBB96_60
.LBB96_43:
	s_or_b64 exec, exec, s[2:3]
	v_cmp_gt_i32_e32 vcc, s20, v0
	s_and_saveexec_b64 s[2:3], vcc
	s_cbranch_execnz .LBB96_61
.LBB96_44:
	s_or_b64 exec, exec, s[2:3]
	v_cmp_gt_i32_e32 vcc, s20, v0
	s_and_saveexec_b64 s[2:3], vcc
	s_cbranch_execnz .LBB96_62
.LBB96_45:
	s_or_b64 exec, exec, s[2:3]
	v_cmp_gt_i32_e32 vcc, s20, v0
	s_and_saveexec_b64 s[2:3], vcc
	s_cbranch_execnz .LBB96_63
.LBB96_46:
	s_or_b64 exec, exec, s[2:3]
	v_cmp_gt_i32_e32 vcc, s20, v0
	s_and_saveexec_b64 s[2:3], vcc
	s_cbranch_execnz .LBB96_64
.LBB96_47:
	s_or_b64 exec, exec, s[2:3]
	v_cmp_gt_i32_e32 vcc, s20, v0
	s_and_saveexec_b64 s[2:3], vcc
	s_cbranch_execnz .LBB96_65
.LBB96_48:
	s_or_b64 exec, exec, s[2:3]
	v_cmp_gt_i32_e32 vcc, s20, v0
	s_and_saveexec_b64 s[2:3], vcc
	s_cbranch_execnz .LBB96_66
.LBB96_49:
	s_or_b64 exec, exec, s[2:3]
	v_cmp_gt_i32_e32 vcc, s20, v0
	s_and_saveexec_b64 s[2:3], vcc
	s_cbranch_execnz .LBB96_67
.LBB96_50:
	s_or_b64 exec, exec, s[2:3]
	v_cmp_gt_i32_e32 vcc, s20, v0
	s_and_saveexec_b64 s[2:3], vcc
	s_cbranch_execz .LBB96_52
.LBB96_51:
	s_waitcnt vmcnt(0)
	v_cmp_eq_f32_e32 vcc, v30, v34
	v_cndmask_b32_e64 v1, 0, 1, vcc
	v_cmp_neq_f32_e32 vcc, v30, v34
	v_cndmask_b32_e64 v2, 0, 1, vcc
	v_cndmask_b32_e64 v1, v2, v1, s[0:1]
	v_and_b32_e32 v1, 1, v1
	v_add_u32_e32 v0, s14, v0
	global_store_byte v0, v1, s[16:17]
.LBB96_52:
	s_endpgm
.LBB96_53:
	s_waitcnt vmcnt(0)
	v_cmp_eq_f32_e32 vcc, v2, v4
	v_cndmask_b32_e64 v13, 0, 1, vcc
	v_cmp_neq_f32_e32 vcc, v2, v4
	v_cndmask_b32_e64 v2, 0, 1, vcc
	v_cndmask_b32_e64 v2, v2, v13, s[0:1]
	v_or_b32_e32 v0, 0x100, v0
	v_and_b32_e32 v2, 1, v2
	global_store_byte v1, v2, s[16:17]
	s_or_b64 exec, exec, s[2:3]
	v_cmp_gt_i32_e32 vcc, s20, v0
	s_and_saveexec_b64 s[2:3], vcc
	s_cbranch_execz .LBB96_37
.LBB96_54:
	s_waitcnt vmcnt(0)
	v_cmp_eq_f32_e32 vcc, v3, v6
	v_cndmask_b32_e64 v1, 0, 1, vcc
	v_cmp_neq_f32_e32 vcc, v3, v6
	v_cndmask_b32_e64 v2, 0, 1, vcc
	v_cndmask_b32_e64 v1, v2, v1, s[0:1]
	v_and_b32_e32 v1, 1, v1
	v_add_u32_e32 v2, s14, v0
	v_add_u32_e32 v0, 0x100, v0
	global_store_byte v2, v1, s[16:17]
	s_or_b64 exec, exec, s[2:3]
	v_cmp_gt_i32_e32 vcc, s20, v0
	s_and_saveexec_b64 s[2:3], vcc
	s_cbranch_execz .LBB96_38
.LBB96_55:
	s_waitcnt vmcnt(0)
	v_cmp_eq_f32_e32 vcc, v7, v8
	v_cndmask_b32_e64 v1, 0, 1, vcc
	v_cmp_neq_f32_e32 vcc, v7, v8
	v_cndmask_b32_e64 v2, 0, 1, vcc
	v_cndmask_b32_e64 v1, v2, v1, s[0:1]
	v_and_b32_e32 v1, 1, v1
	v_add_u32_e32 v2, s14, v0
	v_add_u32_e32 v0, 0x100, v0
	global_store_byte v2, v1, s[16:17]
	s_or_b64 exec, exec, s[2:3]
	v_cmp_gt_i32_e32 vcc, s20, v0
	s_and_saveexec_b64 s[2:3], vcc
	s_cbranch_execz .LBB96_39
.LBB96_56:
	s_waitcnt vmcnt(0)
	v_cmp_eq_f32_e32 vcc, v5, v10
	v_cndmask_b32_e64 v1, 0, 1, vcc
	v_cmp_neq_f32_e32 vcc, v5, v10
	v_cndmask_b32_e64 v2, 0, 1, vcc
	v_cndmask_b32_e64 v1, v2, v1, s[0:1]
	v_and_b32_e32 v1, 1, v1
	v_add_u32_e32 v2, s14, v0
	v_add_u32_e32 v0, 0x100, v0
	global_store_byte v2, v1, s[16:17]
	s_or_b64 exec, exec, s[2:3]
	v_cmp_gt_i32_e32 vcc, s20, v0
	s_and_saveexec_b64 s[2:3], vcc
	s_cbranch_execz .LBB96_40
.LBB96_57:
	s_waitcnt vmcnt(0)
	v_cmp_eq_f32_e32 vcc, v11, v12
	v_cndmask_b32_e64 v1, 0, 1, vcc
	v_cmp_neq_f32_e32 vcc, v11, v12
	v_cndmask_b32_e64 v2, 0, 1, vcc
	v_cndmask_b32_e64 v1, v2, v1, s[0:1]
	v_and_b32_e32 v1, 1, v1
	v_add_u32_e32 v2, s14, v0
	v_add_u32_e32 v0, 0x100, v0
	global_store_byte v2, v1, s[16:17]
	s_or_b64 exec, exec, s[2:3]
	v_cmp_gt_i32_e32 vcc, s20, v0
	s_and_saveexec_b64 s[2:3], vcc
	s_cbranch_execz .LBB96_41
.LBB96_58:
	s_waitcnt vmcnt(0)
	v_cmp_eq_f32_e32 vcc, v9, v15
	v_cndmask_b32_e64 v1, 0, 1, vcc
	v_cmp_neq_f32_e32 vcc, v9, v15
	v_cndmask_b32_e64 v2, 0, 1, vcc
	v_cndmask_b32_e64 v1, v2, v1, s[0:1]
	v_and_b32_e32 v1, 1, v1
	v_add_u32_e32 v2, s14, v0
	v_add_u32_e32 v0, 0x100, v0
	global_store_byte v2, v1, s[16:17]
	s_or_b64 exec, exec, s[2:3]
	v_cmp_gt_i32_e32 vcc, s20, v0
	s_and_saveexec_b64 s[2:3], vcc
	s_cbranch_execz .LBB96_42
.LBB96_59:
	s_waitcnt vmcnt(0)
	v_cmp_eq_f32_e32 vcc, v16, v17
	v_cndmask_b32_e64 v1, 0, 1, vcc
	v_cmp_neq_f32_e32 vcc, v16, v17
	v_cndmask_b32_e64 v2, 0, 1, vcc
	v_cndmask_b32_e64 v1, v2, v1, s[0:1]
	v_and_b32_e32 v1, 1, v1
	v_add_u32_e32 v2, s14, v0
	v_add_u32_e32 v0, 0x100, v0
	global_store_byte v2, v1, s[16:17]
	s_or_b64 exec, exec, s[2:3]
	v_cmp_gt_i32_e32 vcc, s20, v0
	s_and_saveexec_b64 s[2:3], vcc
	s_cbranch_execz .LBB96_43
.LBB96_60:
	s_waitcnt vmcnt(0)
	v_cmp_eq_f32_e32 vcc, v14, v19
	v_cndmask_b32_e64 v1, 0, 1, vcc
	v_cmp_neq_f32_e32 vcc, v14, v19
	v_cndmask_b32_e64 v2, 0, 1, vcc
	v_cndmask_b32_e64 v1, v2, v1, s[0:1]
	v_and_b32_e32 v1, 1, v1
	v_add_u32_e32 v2, s14, v0
	v_add_u32_e32 v0, 0x100, v0
	global_store_byte v2, v1, s[16:17]
	s_or_b64 exec, exec, s[2:3]
	v_cmp_gt_i32_e32 vcc, s20, v0
	s_and_saveexec_b64 s[2:3], vcc
	s_cbranch_execz .LBB96_44
.LBB96_61:
	s_waitcnt vmcnt(0)
	v_cmp_eq_f32_e32 vcc, v20, v21
	v_cndmask_b32_e64 v1, 0, 1, vcc
	v_cmp_neq_f32_e32 vcc, v20, v21
	v_cndmask_b32_e64 v2, 0, 1, vcc
	v_cndmask_b32_e64 v1, v2, v1, s[0:1]
	v_and_b32_e32 v1, 1, v1
	v_add_u32_e32 v2, s14, v0
	v_add_u32_e32 v0, 0x100, v0
	global_store_byte v2, v1, s[16:17]
	s_or_b64 exec, exec, s[2:3]
	v_cmp_gt_i32_e32 vcc, s20, v0
	s_and_saveexec_b64 s[2:3], vcc
	s_cbranch_execz .LBB96_45
.LBB96_62:
	s_waitcnt vmcnt(0)
	v_cmp_eq_f32_e32 vcc, v18, v23
	v_cndmask_b32_e64 v1, 0, 1, vcc
	v_cmp_neq_f32_e32 vcc, v18, v23
	v_cndmask_b32_e64 v2, 0, 1, vcc
	v_cndmask_b32_e64 v1, v2, v1, s[0:1]
	v_and_b32_e32 v1, 1, v1
	v_add_u32_e32 v2, s14, v0
	v_add_u32_e32 v0, 0x100, v0
	global_store_byte v2, v1, s[16:17]
	s_or_b64 exec, exec, s[2:3]
	v_cmp_gt_i32_e32 vcc, s20, v0
	s_and_saveexec_b64 s[2:3], vcc
	s_cbranch_execz .LBB96_46
.LBB96_63:
	s_waitcnt vmcnt(0)
	v_cmp_eq_f32_e32 vcc, v24, v25
	v_cndmask_b32_e64 v1, 0, 1, vcc
	v_cmp_neq_f32_e32 vcc, v24, v25
	v_cndmask_b32_e64 v2, 0, 1, vcc
	v_cndmask_b32_e64 v1, v2, v1, s[0:1]
	v_and_b32_e32 v1, 1, v1
	v_add_u32_e32 v2, s14, v0
	v_add_u32_e32 v0, 0x100, v0
	global_store_byte v2, v1, s[16:17]
	s_or_b64 exec, exec, s[2:3]
	v_cmp_gt_i32_e32 vcc, s20, v0
	s_and_saveexec_b64 s[2:3], vcc
	s_cbranch_execz .LBB96_47
.LBB96_64:
	s_waitcnt vmcnt(0)
	v_cmp_eq_f32_e32 vcc, v22, v27
	v_cndmask_b32_e64 v1, 0, 1, vcc
	v_cmp_neq_f32_e32 vcc, v22, v27
	v_cndmask_b32_e64 v2, 0, 1, vcc
	v_cndmask_b32_e64 v1, v2, v1, s[0:1]
	v_and_b32_e32 v1, 1, v1
	v_add_u32_e32 v2, s14, v0
	v_add_u32_e32 v0, 0x100, v0
	global_store_byte v2, v1, s[16:17]
	s_or_b64 exec, exec, s[2:3]
	v_cmp_gt_i32_e32 vcc, s20, v0
	s_and_saveexec_b64 s[2:3], vcc
	s_cbranch_execz .LBB96_48
.LBB96_65:
	s_waitcnt vmcnt(0)
	v_cmp_eq_f32_e32 vcc, v28, v29
	v_cndmask_b32_e64 v1, 0, 1, vcc
	v_cmp_neq_f32_e32 vcc, v28, v29
	v_cndmask_b32_e64 v2, 0, 1, vcc
	v_cndmask_b32_e64 v1, v2, v1, s[0:1]
	v_and_b32_e32 v1, 1, v1
	v_add_u32_e32 v2, s14, v0
	v_add_u32_e32 v0, 0x100, v0
	global_store_byte v2, v1, s[16:17]
	s_or_b64 exec, exec, s[2:3]
	v_cmp_gt_i32_e32 vcc, s20, v0
	s_and_saveexec_b64 s[2:3], vcc
	s_cbranch_execz .LBB96_49
.LBB96_66:
	s_waitcnt vmcnt(0)
	v_cmp_eq_f32_e32 vcc, v26, v31
	v_cndmask_b32_e64 v1, 0, 1, vcc
	v_cmp_neq_f32_e32 vcc, v26, v31
	v_cndmask_b32_e64 v2, 0, 1, vcc
	v_cndmask_b32_e64 v1, v2, v1, s[0:1]
	v_and_b32_e32 v1, 1, v1
	v_add_u32_e32 v2, s14, v0
	v_add_u32_e32 v0, 0x100, v0
	global_store_byte v2, v1, s[16:17]
	s_or_b64 exec, exec, s[2:3]
	v_cmp_gt_i32_e32 vcc, s20, v0
	s_and_saveexec_b64 s[2:3], vcc
	s_cbranch_execz .LBB96_50
.LBB96_67:
	s_waitcnt vmcnt(0)
	v_cmp_eq_f32_e32 vcc, v32, v33
	v_cndmask_b32_e64 v1, 0, 1, vcc
	v_cmp_neq_f32_e32 vcc, v32, v33
	v_cndmask_b32_e64 v2, 0, 1, vcc
	v_cndmask_b32_e64 v1, v2, v1, s[0:1]
	v_and_b32_e32 v1, 1, v1
	v_add_u32_e32 v2, s14, v0
	v_add_u32_e32 v0, 0x100, v0
	global_store_byte v2, v1, s[16:17]
	s_or_b64 exec, exec, s[2:3]
	v_cmp_gt_i32_e32 vcc, s20, v0
	s_and_saveexec_b64 s[2:3], vcc
	s_cbranch_execnz .LBB96_51
	s_branch .LBB96_52
	.section	.rodata,"a",@progbits
	.p2align	6, 0x0
	.amdhsa_kernel _ZN2at6native29vectorized_elementwise_kernelILi16ENS0_13BinaryFunctorIffbNS0_12_GLOBAL__N_116CompareEqFunctorIfEEEESt5arrayIPcLm3EEEEviT0_T1_
		.amdhsa_group_segment_fixed_size 0
		.amdhsa_private_segment_fixed_size 0
		.amdhsa_kernarg_size 32
		.amdhsa_user_sgpr_count 6
		.amdhsa_user_sgpr_private_segment_buffer 1
		.amdhsa_user_sgpr_dispatch_ptr 0
		.amdhsa_user_sgpr_queue_ptr 0
		.amdhsa_user_sgpr_kernarg_segment_ptr 1
		.amdhsa_user_sgpr_dispatch_id 0
		.amdhsa_user_sgpr_flat_scratch_init 0
		.amdhsa_user_sgpr_private_segment_size 0
		.amdhsa_uses_dynamic_stack 0
		.amdhsa_system_sgpr_private_segment_wavefront_offset 0
		.amdhsa_system_sgpr_workgroup_id_x 1
		.amdhsa_system_sgpr_workgroup_id_y 0
		.amdhsa_system_sgpr_workgroup_id_z 0
		.amdhsa_system_sgpr_workgroup_info 0
		.amdhsa_system_vgpr_workitem_id 0
		.amdhsa_next_free_vgpr 40
		.amdhsa_next_free_sgpr 26
		.amdhsa_reserve_vcc 1
		.amdhsa_reserve_flat_scratch 0
		.amdhsa_float_round_mode_32 0
		.amdhsa_float_round_mode_16_64 0
		.amdhsa_float_denorm_mode_32 3
		.amdhsa_float_denorm_mode_16_64 3
		.amdhsa_dx10_clamp 1
		.amdhsa_ieee_mode 1
		.amdhsa_fp16_overflow 0
		.amdhsa_exception_fp_ieee_invalid_op 0
		.amdhsa_exception_fp_denorm_src 0
		.amdhsa_exception_fp_ieee_div_zero 0
		.amdhsa_exception_fp_ieee_overflow 0
		.amdhsa_exception_fp_ieee_underflow 0
		.amdhsa_exception_fp_ieee_inexact 0
		.amdhsa_exception_int_div_zero 0
	.end_amdhsa_kernel
	.section	.text._ZN2at6native29vectorized_elementwise_kernelILi16ENS0_13BinaryFunctorIffbNS0_12_GLOBAL__N_116CompareEqFunctorIfEEEESt5arrayIPcLm3EEEEviT0_T1_,"axG",@progbits,_ZN2at6native29vectorized_elementwise_kernelILi16ENS0_13BinaryFunctorIffbNS0_12_GLOBAL__N_116CompareEqFunctorIfEEEESt5arrayIPcLm3EEEEviT0_T1_,comdat
.Lfunc_end96:
	.size	_ZN2at6native29vectorized_elementwise_kernelILi16ENS0_13BinaryFunctorIffbNS0_12_GLOBAL__N_116CompareEqFunctorIfEEEESt5arrayIPcLm3EEEEviT0_T1_, .Lfunc_end96-_ZN2at6native29vectorized_elementwise_kernelILi16ENS0_13BinaryFunctorIffbNS0_12_GLOBAL__N_116CompareEqFunctorIfEEEESt5arrayIPcLm3EEEEviT0_T1_
                                        ; -- End function
	.set _ZN2at6native29vectorized_elementwise_kernelILi16ENS0_13BinaryFunctorIffbNS0_12_GLOBAL__N_116CompareEqFunctorIfEEEESt5arrayIPcLm3EEEEviT0_T1_.num_vgpr, 40
	.set _ZN2at6native29vectorized_elementwise_kernelILi16ENS0_13BinaryFunctorIffbNS0_12_GLOBAL__N_116CompareEqFunctorIfEEEESt5arrayIPcLm3EEEEviT0_T1_.num_agpr, 0
	.set _ZN2at6native29vectorized_elementwise_kernelILi16ENS0_13BinaryFunctorIffbNS0_12_GLOBAL__N_116CompareEqFunctorIfEEEESt5arrayIPcLm3EEEEviT0_T1_.numbered_sgpr, 26
	.set _ZN2at6native29vectorized_elementwise_kernelILi16ENS0_13BinaryFunctorIffbNS0_12_GLOBAL__N_116CompareEqFunctorIfEEEESt5arrayIPcLm3EEEEviT0_T1_.num_named_barrier, 0
	.set _ZN2at6native29vectorized_elementwise_kernelILi16ENS0_13BinaryFunctorIffbNS0_12_GLOBAL__N_116CompareEqFunctorIfEEEESt5arrayIPcLm3EEEEviT0_T1_.private_seg_size, 0
	.set _ZN2at6native29vectorized_elementwise_kernelILi16ENS0_13BinaryFunctorIffbNS0_12_GLOBAL__N_116CompareEqFunctorIfEEEESt5arrayIPcLm3EEEEviT0_T1_.uses_vcc, 1
	.set _ZN2at6native29vectorized_elementwise_kernelILi16ENS0_13BinaryFunctorIffbNS0_12_GLOBAL__N_116CompareEqFunctorIfEEEESt5arrayIPcLm3EEEEviT0_T1_.uses_flat_scratch, 0
	.set _ZN2at6native29vectorized_elementwise_kernelILi16ENS0_13BinaryFunctorIffbNS0_12_GLOBAL__N_116CompareEqFunctorIfEEEESt5arrayIPcLm3EEEEviT0_T1_.has_dyn_sized_stack, 0
	.set _ZN2at6native29vectorized_elementwise_kernelILi16ENS0_13BinaryFunctorIffbNS0_12_GLOBAL__N_116CompareEqFunctorIfEEEESt5arrayIPcLm3EEEEviT0_T1_.has_recursion, 0
	.set _ZN2at6native29vectorized_elementwise_kernelILi16ENS0_13BinaryFunctorIffbNS0_12_GLOBAL__N_116CompareEqFunctorIfEEEESt5arrayIPcLm3EEEEviT0_T1_.has_indirect_call, 0
	.section	.AMDGPU.csdata,"",@progbits
; Kernel info:
; codeLenInByte = 4116
; TotalNumSgprs: 30
; NumVgprs: 40
; ScratchSize: 0
; MemoryBound: 0
; FloatMode: 240
; IeeeMode: 1
; LDSByteSize: 0 bytes/workgroup (compile time only)
; SGPRBlocks: 3
; VGPRBlocks: 9
; NumSGPRsForWavesPerEU: 30
; NumVGPRsForWavesPerEU: 40
; Occupancy: 6
; WaveLimiterHint : 0
; COMPUTE_PGM_RSRC2:SCRATCH_EN: 0
; COMPUTE_PGM_RSRC2:USER_SGPR: 6
; COMPUTE_PGM_RSRC2:TRAP_HANDLER: 0
; COMPUTE_PGM_RSRC2:TGID_X_EN: 1
; COMPUTE_PGM_RSRC2:TGID_Y_EN: 0
; COMPUTE_PGM_RSRC2:TGID_Z_EN: 0
; COMPUTE_PGM_RSRC2:TIDIG_COMP_CNT: 0
	.section	.text._ZN2at6native29vectorized_elementwise_kernelILi8ENS0_13BinaryFunctorIffbNS0_12_GLOBAL__N_116CompareEqFunctorIfEEEESt5arrayIPcLm3EEEEviT0_T1_,"axG",@progbits,_ZN2at6native29vectorized_elementwise_kernelILi8ENS0_13BinaryFunctorIffbNS0_12_GLOBAL__N_116CompareEqFunctorIfEEEESt5arrayIPcLm3EEEEviT0_T1_,comdat
	.globl	_ZN2at6native29vectorized_elementwise_kernelILi8ENS0_13BinaryFunctorIffbNS0_12_GLOBAL__N_116CompareEqFunctorIfEEEESt5arrayIPcLm3EEEEviT0_T1_ ; -- Begin function _ZN2at6native29vectorized_elementwise_kernelILi8ENS0_13BinaryFunctorIffbNS0_12_GLOBAL__N_116CompareEqFunctorIfEEEESt5arrayIPcLm3EEEEviT0_T1_
	.p2align	8
	.type	_ZN2at6native29vectorized_elementwise_kernelILi8ENS0_13BinaryFunctorIffbNS0_12_GLOBAL__N_116CompareEqFunctorIfEEEESt5arrayIPcLm3EEEEviT0_T1_,@function
_ZN2at6native29vectorized_elementwise_kernelILi8ENS0_13BinaryFunctorIffbNS0_12_GLOBAL__N_116CompareEqFunctorIfEEEESt5arrayIPcLm3EEEEviT0_T1_: ; @_ZN2at6native29vectorized_elementwise_kernelILi8ENS0_13BinaryFunctorIffbNS0_12_GLOBAL__N_116CompareEqFunctorIfEEEESt5arrayIPcLm3EEEEviT0_T1_
; %bb.0:
	s_load_dwordx2 s[20:21], s[4:5], 0x0
	s_load_dwordx4 s[16:19], s[4:5], 0x8
	s_load_dwordx2 s[22:23], s[4:5], 0x18
	s_lshl_b32 s14, s6, 12
	s_mov_b64 s[0:1], -1
	s_waitcnt lgkmcnt(0)
	s_sub_i32 s20, s20, s14
	s_cmpk_gt_i32 s20, 0xfff
	s_cbranch_scc0 .LBB97_2
; %bb.1:
	s_ashr_i32 s15, s14, 31
	s_lshl_b64 s[0:1], s[14:15], 2
	s_add_u32 s2, s18, s0
	s_addc_u32 s3, s19, s1
	s_add_u32 s4, s22, s0
	v_lshlrev_b32_e32 v21, 5, v0
	s_addc_u32 s5, s23, s1
	global_load_dwordx4 v[1:4], v21, s[4:5]
	global_load_dwordx4 v[5:8], v21, s[2:3]
	global_load_dwordx4 v[9:12], v21, s[2:3] offset:16
	global_load_dwordx4 v[13:16], v21, s[4:5] offset:16
	v_mov_b32_e32 v17, s3
	v_add_co_u32_e32 v18, vcc, s2, v21
	v_addc_co_u32_e32 v26, vcc, 0, v17, vcc
	v_add_co_u32_e32 v25, vcc, 0x2000, v18
	v_addc_co_u32_e64 v18, s[0:1], 0, v26, vcc
	v_mov_b32_e32 v22, s5
	v_add_co_u32_e64 v21, s[0:1], s4, v21
	s_movk_i32 s6, 0x2000
	v_addc_co_u32_e64 v22, s[0:1], 0, v22, s[0:1]
	s_mov_b64 s[0:1], vcc
	v_add_co_u32_e32 v29, vcc, s6, v21
	v_mov_b32_e32 v17, v25
	v_addc_co_u32_e32 v30, vcc, 0, v22, vcc
	global_load_dwordx4 v[17:20], v[17:18], off
	v_addc_co_u32_e64 v26, vcc, 0, v26, s[0:1]
	global_load_dwordx4 v[21:24], v[29:30], off
	s_cmp_eq_u32 s21, 0
	global_load_dwordx4 v[25:28], v[25:26], off offset:16
	v_mov_b32_e32 v31, 0x100
	v_mov_b32_e32 v32, 0x10000
	;; [unrolled: 1-line block ×3, first 2 shown]
	v_or3_b32 v34, 0, 0, 0
	s_waitcnt vmcnt(5)
	v_cmp_eq_f32_e32 vcc, v5, v1
	v_cmp_neq_f32_e64 s[0:1], v5, v1
	v_cmp_eq_f32_e64 s[2:3], v6, v2
	v_cmp_neq_f32_e64 s[4:5], v6, v2
	v_cmp_eq_f32_e64 s[6:7], v7, v3
	;; [unrolled: 2-line block ×3, first 2 shown]
	v_cmp_neq_f32_e64 s[12:13], v8, v4
	global_load_dwordx4 v[1:4], v[29:30], off offset:16
	v_cndmask_b32_e64 v5, 0, 1, vcc
	v_cndmask_b32_e64 v6, 0, 1, s[0:1]
	v_cndmask_b32_e64 v7, 0, 1, s[2:3]
	;; [unrolled: 1-line block ×3, first 2 shown]
	s_cselect_b64 vcc, -1, 0
	s_waitcnt vmcnt(4)
	v_cmp_eq_f32_e64 s[0:1], v9, v13
	v_cndmask_b32_e32 v7, v8, v7, vcc
	v_cndmask_b32_e64 v8, 0, 1, s[0:1]
	v_cmp_neq_f32_e64 s[0:1], v9, v13
	v_cndmask_b32_e64 v29, 0, 1, s[6:7]
	v_cndmask_b32_e64 v30, 0, 1, s[8:9]
	;; [unrolled: 1-line block ×3, first 2 shown]
	v_cmp_eq_f32_e64 s[0:1], v10, v14
	v_cndmask_b32_e64 v35, 0, 1, s[10:11]
	v_cndmask_b32_e32 v5, v6, v5, vcc
	v_cndmask_b32_e64 v6, 0, 1, s[12:13]
	v_cndmask_b32_e32 v29, v30, v29, vcc
	v_cndmask_b32_e64 v13, 0, 1, s[0:1]
	v_cmp_neq_f32_e64 s[0:1], v10, v14
	v_and_b32_e32 v7, 1, v7
	v_cndmask_b32_e32 v6, v6, v35, vcc
	v_cndmask_b32_e32 v8, v9, v8, vcc
	v_cndmask_b32_e64 v9, 0, 1, s[0:1]
	v_and_b32_e32 v10, 1, v29
	v_cmp_eq_u32_e64 s[0:1], 1, v7
	v_and_b32_e32 v6, 1, v6
	v_cndmask_b32_e64 v7, 0, v31, s[0:1]
	v_cmp_eq_u32_e64 s[0:1], 1, v10
	v_cndmask_b32_e32 v9, v9, v13, vcc
	v_and_b32_e32 v8, 1, v8
	v_cndmask_b32_e64 v10, 0, v32, s[0:1]
	v_cmp_eq_u32_e64 s[0:1], 1, v6
	v_and_b32_e32 v5, 1, v5
	v_and_b32_e32 v9, 1, v9
	v_cndmask_b32_e64 v6, 0, v33, s[0:1]
	v_cmp_eq_u32_e64 s[0:1], 1, v8
	v_cndmask_b32_e64 v8, 0, 1, s[0:1]
	v_or_b32_e32 v5, v7, v5
	v_cmp_eq_u32_e64 s[0:1], 1, v9
	v_or3_b32 v5, v5, v10, v6
	v_cndmask_b32_e64 v6, 0, v31, s[0:1]
	v_cmp_eq_f32_e64 s[0:1], v11, v15
	v_cndmask_b32_e64 v7, 0, 1, s[0:1]
	v_cmp_neq_f32_e64 s[0:1], v11, v15
	v_cndmask_b32_e64 v9, 0, 1, s[0:1]
	v_cndmask_b32_e32 v7, v9, v7, vcc
	v_and_b32_e32 v7, 1, v7
	v_cmp_eq_u32_e64 s[0:1], 1, v7
	v_cndmask_b32_e64 v7, 0, v32, s[0:1]
	v_cmp_eq_f32_e64 s[0:1], v12, v16
	v_or3_b32 v6, v34, v8, v6
	v_cndmask_b32_e64 v8, 0, 1, s[0:1]
	v_cmp_neq_f32_e64 s[0:1], v12, v16
	v_cndmask_b32_e64 v9, 0, 1, s[0:1]
	v_cndmask_b32_e32 v8, v9, v8, vcc
	v_and_b32_e32 v8, 1, v8
	v_cmp_eq_u32_e64 s[0:1], 1, v8
	v_cndmask_b32_e64 v8, 0, v33, s[0:1]
	s_waitcnt vmcnt(2)
	v_cmp_eq_f32_e64 s[0:1], v17, v21
	v_or3_b32 v6, v6, v7, v8
	v_cndmask_b32_e64 v7, 0, 1, s[0:1]
	v_cmp_neq_f32_e64 s[0:1], v17, v21
	v_cndmask_b32_e64 v8, 0, 1, s[0:1]
	v_cmp_eq_f32_e64 s[0:1], v18, v22
	v_cndmask_b32_e32 v7, v8, v7, vcc
	v_cndmask_b32_e64 v8, 0, 1, s[0:1]
	v_cmp_neq_f32_e64 s[0:1], v18, v22
	v_cndmask_b32_e64 v9, 0, 1, s[0:1]
	v_cndmask_b32_e32 v8, v9, v8, vcc
	v_and_b32_e32 v8, 1, v8
	v_cmp_eq_u32_e64 s[0:1], 1, v8
	v_and_b32_e32 v7, 1, v7
	v_cndmask_b32_e64 v8, 0, v31, s[0:1]
	v_cmp_eq_f32_e64 s[0:1], v19, v23
	v_or_b32_e32 v7, v8, v7
	v_cndmask_b32_e64 v8, 0, 1, s[0:1]
	v_cmp_neq_f32_e64 s[0:1], v19, v23
	v_cndmask_b32_e64 v9, 0, 1, s[0:1]
	v_cndmask_b32_e32 v8, v9, v8, vcc
	v_and_b32_e32 v8, 1, v8
	v_cmp_eq_u32_e64 s[0:1], 1, v8
	v_cndmask_b32_e64 v8, 0, v32, s[0:1]
	v_cmp_eq_f32_e64 s[0:1], v20, v24
	v_cndmask_b32_e64 v9, 0, 1, s[0:1]
	v_cmp_neq_f32_e64 s[0:1], v20, v24
	v_cndmask_b32_e64 v10, 0, 1, s[0:1]
	v_cndmask_b32_e32 v9, v10, v9, vcc
	v_and_b32_e32 v9, 1, v9
	v_cmp_eq_u32_e64 s[0:1], 1, v9
	v_cndmask_b32_e64 v9, 0, v33, s[0:1]
	s_waitcnt vmcnt(0)
	v_cmp_eq_f32_e64 s[0:1], v25, v1
	v_or3_b32 v7, v7, v8, v9
	v_cndmask_b32_e64 v8, 0, 1, s[0:1]
	v_cmp_neq_f32_e64 s[0:1], v25, v1
	v_cndmask_b32_e64 v1, 0, 1, s[0:1]
	v_cndmask_b32_e32 v1, v1, v8, vcc
	v_and_b32_e32 v1, 1, v1
	v_cmp_eq_u32_e64 s[0:1], 1, v1
	v_cndmask_b32_e64 v1, 0, 1, s[0:1]
	v_cmp_eq_f32_e64 s[0:1], v26, v2
	v_cndmask_b32_e64 v8, 0, 1, s[0:1]
	v_cmp_neq_f32_e64 s[0:1], v26, v2
	v_cndmask_b32_e64 v2, 0, 1, s[0:1]
	v_cndmask_b32_e32 v2, v2, v8, vcc
	v_and_b32_e32 v2, 1, v2
	v_cmp_eq_u32_e64 s[0:1], 1, v2
	v_cndmask_b32_e64 v2, 0, v31, s[0:1]
	v_cmp_eq_f32_e64 s[0:1], v27, v3
	;; [unrolled: 8-line block ×3, first 2 shown]
	v_or3_b32 v1, v34, v1, v2
	v_cndmask_b32_e64 v2, 0, 1, s[0:1]
	v_cmp_neq_f32_e64 s[0:1], v28, v4
	v_cndmask_b32_e64 v4, 0, 1, s[0:1]
	v_cndmask_b32_e32 v2, v4, v2, vcc
	v_and_b32_e32 v2, 1, v2
	v_cmp_eq_u32_e32 vcc, 1, v2
	v_or3_b32 v5, v5, 0, 0
	v_cndmask_b32_e32 v2, 0, v33, vcc
	s_add_u32 s0, s16, s14
	v_or3_b32 v5, v5, 0, 0
	v_or3_b32 v7, v7, 0, 0
	;; [unrolled: 1-line block ×3, first 2 shown]
	s_addc_u32 s1, s17, s15
	v_lshlrev_b32_e32 v3, 3, v0
	v_or3_b32 v1, v7, 0, 0
	global_store_dwordx2 v3, v[5:6], s[0:1]
	global_store_dwordx2 v3, v[1:2], s[0:1] offset:2048
	s_mov_b64 s[0:1], 0
.LBB97_2:
	s_andn2_b64 vcc, exec, s[0:1]
	s_cbranch_vccnz .LBB97_52
; %bb.3:
	v_cmp_gt_i32_e32 vcc, s20, v0
	v_mov_b32_e32 v3, 0
	v_or_b32_e32 v1, s14, v0
	v_mov_b32_e32 v2, 0
	v_mov_b32_e32 v4, 0
	;; [unrolled: 1-line block ×3, first 2 shown]
	s_and_saveexec_b64 s[2:3], vcc
	s_cbranch_execz .LBB97_5
; %bb.4:
	v_mov_b32_e32 v2, 0
	v_lshlrev_b64 v[4:5], 2, v[1:2]
	v_mov_b32_e32 v2, s23
	v_add_co_u32_e64 v6, s[0:1], s22, v4
	v_addc_co_u32_e64 v7, s[0:1], v2, v5, s[0:1]
	v_mov_b32_e32 v2, s19
	v_add_co_u32_e64 v8, s[0:1], s18, v4
	v_addc_co_u32_e64 v9, s[0:1], v2, v5, s[0:1]
	global_load_dword v2, v[8:9], off
	global_load_dword v4, v[6:7], off
	v_or_b32_e32 v13, 0x100, v0
.LBB97_5:
	s_or_b64 exec, exec, s[2:3]
	v_cmp_gt_i32_e64 s[0:1], s20, v13
	v_mov_b32_e32 v6, 0
	s_and_saveexec_b64 s[2:3], s[0:1]
	s_cbranch_execz .LBB97_7
; %bb.6:
	v_add_u32_e32 v5, s14, v13
	v_mov_b32_e32 v6, 0
	v_lshlrev_b64 v[5:6], 2, v[5:6]
	v_mov_b32_e32 v3, s23
	v_add_co_u32_e64 v7, s[0:1], s22, v5
	v_addc_co_u32_e64 v8, s[0:1], v3, v6, s[0:1]
	v_mov_b32_e32 v3, s19
	v_add_co_u32_e64 v9, s[0:1], s18, v5
	v_addc_co_u32_e64 v10, s[0:1], v3, v6, s[0:1]
	global_load_dword v3, v[9:10], off
	global_load_dword v6, v[7:8], off
	v_add_u32_e32 v13, 0x100, v13
.LBB97_7:
	s_or_b64 exec, exec, s[2:3]
	v_cmp_gt_i32_e64 s[0:1], s20, v13
	v_mov_b32_e32 v5, 0
	v_mov_b32_e32 v7, 0
	v_mov_b32_e32 v8, 0
	s_and_saveexec_b64 s[2:3], s[0:1]
	s_cbranch_execz .LBB97_9
; %bb.8:
	v_add_u32_e32 v7, s14, v13
	v_mov_b32_e32 v8, 0
	v_lshlrev_b64 v[7:8], 2, v[7:8]
	v_mov_b32_e32 v10, s23
	v_add_co_u32_e64 v9, s[0:1], s22, v7
	v_addc_co_u32_e64 v10, s[0:1], v10, v8, s[0:1]
	v_mov_b32_e32 v12, s19
	v_add_co_u32_e64 v11, s[0:1], s18, v7
	v_addc_co_u32_e64 v12, s[0:1], v12, v8, s[0:1]
	global_load_dword v7, v[11:12], off
	global_load_dword v8, v[9:10], off
	v_add_u32_e32 v13, 0x100, v13
.LBB97_9:
	s_or_b64 exec, exec, s[2:3]
	v_cmp_gt_i32_e64 s[0:1], s20, v13
	v_mov_b32_e32 v10, 0
	s_and_saveexec_b64 s[2:3], s[0:1]
	s_cbranch_execz .LBB97_11
; %bb.10:
	v_add_u32_e32 v9, s14, v13
	v_mov_b32_e32 v10, 0
	v_lshlrev_b64 v[9:10], 2, v[9:10]
	v_mov_b32_e32 v5, s23
	v_add_co_u32_e64 v11, s[0:1], s22, v9
	v_addc_co_u32_e64 v12, s[0:1], v5, v10, s[0:1]
	v_mov_b32_e32 v5, s19
	v_add_co_u32_e64 v14, s[0:1], s18, v9
	v_addc_co_u32_e64 v15, s[0:1], v5, v10, s[0:1]
	global_load_dword v5, v[14:15], off
	global_load_dword v10, v[11:12], off
	v_add_u32_e32 v13, 0x100, v13
.LBB97_11:
	s_or_b64 exec, exec, s[2:3]
	v_cmp_gt_i32_e64 s[0:1], s20, v13
	v_mov_b32_e32 v9, 0
	v_mov_b32_e32 v11, 0
	v_mov_b32_e32 v12, 0
	s_and_saveexec_b64 s[2:3], s[0:1]
	s_cbranch_execz .LBB97_13
; %bb.12:
	v_add_u32_e32 v11, s14, v13
	v_mov_b32_e32 v12, 0
	v_lshlrev_b64 v[11:12], 2, v[11:12]
	v_mov_b32_e32 v15, s23
	v_add_co_u32_e64 v14, s[0:1], s22, v11
	v_addc_co_u32_e64 v15, s[0:1], v15, v12, s[0:1]
	v_mov_b32_e32 v17, s19
	v_add_co_u32_e64 v16, s[0:1], s18, v11
	v_addc_co_u32_e64 v17, s[0:1], v17, v12, s[0:1]
	global_load_dword v11, v[16:17], off
	global_load_dword v12, v[14:15], off
	v_add_u32_e32 v13, 0x100, v13
.LBB97_13:
	;; [unrolled: 40-line block ×7, first 2 shown]
	s_or_b64 exec, exec, s[2:3]
	v_cmp_gt_i32_e64 s[0:1], s20, v13
	v_mov_b32_e32 v34, 0
	s_and_saveexec_b64 s[2:3], s[0:1]
	s_cbranch_execz .LBB97_35
; %bb.34:
	v_add_u32_e32 v34, s14, v13
	v_mov_b32_e32 v35, 0
	v_lshlrev_b64 v[34:35], 2, v[34:35]
	v_mov_b32_e32 v13, s23
	v_add_co_u32_e64 v36, s[0:1], s22, v34
	v_addc_co_u32_e64 v37, s[0:1], v13, v35, s[0:1]
	v_mov_b32_e32 v13, s19
	v_add_co_u32_e64 v38, s[0:1], s18, v34
	v_addc_co_u32_e64 v39, s[0:1], v13, v35, s[0:1]
	global_load_dword v30, v[38:39], off
	global_load_dword v34, v[36:37], off
.LBB97_35:
	s_or_b64 exec, exec, s[2:3]
	s_cmp_eq_u32 s21, 0
	s_cselect_b64 s[0:1], -1, 0
	s_and_saveexec_b64 s[2:3], vcc
	s_cbranch_execnz .LBB97_53
; %bb.36:
	s_or_b64 exec, exec, s[2:3]
	v_cmp_gt_i32_e32 vcc, s20, v0
	s_and_saveexec_b64 s[2:3], vcc
	s_cbranch_execnz .LBB97_54
.LBB97_37:
	s_or_b64 exec, exec, s[2:3]
	v_cmp_gt_i32_e32 vcc, s20, v0
	s_and_saveexec_b64 s[2:3], vcc
	s_cbranch_execnz .LBB97_55
.LBB97_38:
	s_or_b64 exec, exec, s[2:3]
	v_cmp_gt_i32_e32 vcc, s20, v0
	s_and_saveexec_b64 s[2:3], vcc
	s_cbranch_execnz .LBB97_56
.LBB97_39:
	s_or_b64 exec, exec, s[2:3]
	v_cmp_gt_i32_e32 vcc, s20, v0
	s_and_saveexec_b64 s[2:3], vcc
	s_cbranch_execnz .LBB97_57
.LBB97_40:
	s_or_b64 exec, exec, s[2:3]
	v_cmp_gt_i32_e32 vcc, s20, v0
	s_and_saveexec_b64 s[2:3], vcc
	s_cbranch_execnz .LBB97_58
.LBB97_41:
	s_or_b64 exec, exec, s[2:3]
	v_cmp_gt_i32_e32 vcc, s20, v0
	s_and_saveexec_b64 s[2:3], vcc
	s_cbranch_execnz .LBB97_59
.LBB97_42:
	s_or_b64 exec, exec, s[2:3]
	v_cmp_gt_i32_e32 vcc, s20, v0
	s_and_saveexec_b64 s[2:3], vcc
	s_cbranch_execnz .LBB97_60
.LBB97_43:
	s_or_b64 exec, exec, s[2:3]
	v_cmp_gt_i32_e32 vcc, s20, v0
	s_and_saveexec_b64 s[2:3], vcc
	s_cbranch_execnz .LBB97_61
.LBB97_44:
	s_or_b64 exec, exec, s[2:3]
	v_cmp_gt_i32_e32 vcc, s20, v0
	s_and_saveexec_b64 s[2:3], vcc
	s_cbranch_execnz .LBB97_62
.LBB97_45:
	s_or_b64 exec, exec, s[2:3]
	v_cmp_gt_i32_e32 vcc, s20, v0
	s_and_saveexec_b64 s[2:3], vcc
	s_cbranch_execnz .LBB97_63
.LBB97_46:
	s_or_b64 exec, exec, s[2:3]
	v_cmp_gt_i32_e32 vcc, s20, v0
	s_and_saveexec_b64 s[2:3], vcc
	s_cbranch_execnz .LBB97_64
.LBB97_47:
	s_or_b64 exec, exec, s[2:3]
	v_cmp_gt_i32_e32 vcc, s20, v0
	s_and_saveexec_b64 s[2:3], vcc
	s_cbranch_execnz .LBB97_65
.LBB97_48:
	s_or_b64 exec, exec, s[2:3]
	v_cmp_gt_i32_e32 vcc, s20, v0
	s_and_saveexec_b64 s[2:3], vcc
	s_cbranch_execnz .LBB97_66
.LBB97_49:
	s_or_b64 exec, exec, s[2:3]
	v_cmp_gt_i32_e32 vcc, s20, v0
	s_and_saveexec_b64 s[2:3], vcc
	s_cbranch_execnz .LBB97_67
.LBB97_50:
	s_or_b64 exec, exec, s[2:3]
	v_cmp_gt_i32_e32 vcc, s20, v0
	s_and_saveexec_b64 s[2:3], vcc
	s_cbranch_execz .LBB97_52
.LBB97_51:
	s_waitcnt vmcnt(0)
	v_cmp_eq_f32_e32 vcc, v30, v34
	v_cndmask_b32_e64 v1, 0, 1, vcc
	v_cmp_neq_f32_e32 vcc, v30, v34
	v_cndmask_b32_e64 v2, 0, 1, vcc
	v_cndmask_b32_e64 v1, v2, v1, s[0:1]
	v_and_b32_e32 v1, 1, v1
	v_add_u32_e32 v0, s14, v0
	global_store_byte v0, v1, s[16:17]
.LBB97_52:
	s_endpgm
.LBB97_53:
	s_waitcnt vmcnt(0)
	v_cmp_eq_f32_e32 vcc, v2, v4
	v_cndmask_b32_e64 v13, 0, 1, vcc
	v_cmp_neq_f32_e32 vcc, v2, v4
	v_cndmask_b32_e64 v2, 0, 1, vcc
	v_cndmask_b32_e64 v2, v2, v13, s[0:1]
	v_or_b32_e32 v0, 0x100, v0
	v_and_b32_e32 v2, 1, v2
	global_store_byte v1, v2, s[16:17]
	s_or_b64 exec, exec, s[2:3]
	v_cmp_gt_i32_e32 vcc, s20, v0
	s_and_saveexec_b64 s[2:3], vcc
	s_cbranch_execz .LBB97_37
.LBB97_54:
	s_waitcnt vmcnt(0)
	v_cmp_eq_f32_e32 vcc, v3, v6
	v_cndmask_b32_e64 v1, 0, 1, vcc
	v_cmp_neq_f32_e32 vcc, v3, v6
	v_cndmask_b32_e64 v2, 0, 1, vcc
	v_cndmask_b32_e64 v1, v2, v1, s[0:1]
	v_and_b32_e32 v1, 1, v1
	v_add_u32_e32 v2, s14, v0
	v_add_u32_e32 v0, 0x100, v0
	global_store_byte v2, v1, s[16:17]
	s_or_b64 exec, exec, s[2:3]
	v_cmp_gt_i32_e32 vcc, s20, v0
	s_and_saveexec_b64 s[2:3], vcc
	s_cbranch_execz .LBB97_38
.LBB97_55:
	s_waitcnt vmcnt(0)
	v_cmp_eq_f32_e32 vcc, v7, v8
	v_cndmask_b32_e64 v1, 0, 1, vcc
	v_cmp_neq_f32_e32 vcc, v7, v8
	v_cndmask_b32_e64 v2, 0, 1, vcc
	v_cndmask_b32_e64 v1, v2, v1, s[0:1]
	v_and_b32_e32 v1, 1, v1
	v_add_u32_e32 v2, s14, v0
	v_add_u32_e32 v0, 0x100, v0
	global_store_byte v2, v1, s[16:17]
	s_or_b64 exec, exec, s[2:3]
	v_cmp_gt_i32_e32 vcc, s20, v0
	s_and_saveexec_b64 s[2:3], vcc
	s_cbranch_execz .LBB97_39
.LBB97_56:
	s_waitcnt vmcnt(0)
	v_cmp_eq_f32_e32 vcc, v5, v10
	v_cndmask_b32_e64 v1, 0, 1, vcc
	v_cmp_neq_f32_e32 vcc, v5, v10
	v_cndmask_b32_e64 v2, 0, 1, vcc
	v_cndmask_b32_e64 v1, v2, v1, s[0:1]
	v_and_b32_e32 v1, 1, v1
	v_add_u32_e32 v2, s14, v0
	v_add_u32_e32 v0, 0x100, v0
	global_store_byte v2, v1, s[16:17]
	s_or_b64 exec, exec, s[2:3]
	v_cmp_gt_i32_e32 vcc, s20, v0
	s_and_saveexec_b64 s[2:3], vcc
	s_cbranch_execz .LBB97_40
.LBB97_57:
	s_waitcnt vmcnt(0)
	v_cmp_eq_f32_e32 vcc, v11, v12
	v_cndmask_b32_e64 v1, 0, 1, vcc
	v_cmp_neq_f32_e32 vcc, v11, v12
	v_cndmask_b32_e64 v2, 0, 1, vcc
	v_cndmask_b32_e64 v1, v2, v1, s[0:1]
	v_and_b32_e32 v1, 1, v1
	v_add_u32_e32 v2, s14, v0
	v_add_u32_e32 v0, 0x100, v0
	global_store_byte v2, v1, s[16:17]
	s_or_b64 exec, exec, s[2:3]
	v_cmp_gt_i32_e32 vcc, s20, v0
	s_and_saveexec_b64 s[2:3], vcc
	s_cbranch_execz .LBB97_41
.LBB97_58:
	s_waitcnt vmcnt(0)
	v_cmp_eq_f32_e32 vcc, v9, v15
	v_cndmask_b32_e64 v1, 0, 1, vcc
	v_cmp_neq_f32_e32 vcc, v9, v15
	v_cndmask_b32_e64 v2, 0, 1, vcc
	v_cndmask_b32_e64 v1, v2, v1, s[0:1]
	v_and_b32_e32 v1, 1, v1
	v_add_u32_e32 v2, s14, v0
	v_add_u32_e32 v0, 0x100, v0
	global_store_byte v2, v1, s[16:17]
	s_or_b64 exec, exec, s[2:3]
	v_cmp_gt_i32_e32 vcc, s20, v0
	s_and_saveexec_b64 s[2:3], vcc
	s_cbranch_execz .LBB97_42
.LBB97_59:
	s_waitcnt vmcnt(0)
	v_cmp_eq_f32_e32 vcc, v16, v17
	v_cndmask_b32_e64 v1, 0, 1, vcc
	v_cmp_neq_f32_e32 vcc, v16, v17
	v_cndmask_b32_e64 v2, 0, 1, vcc
	v_cndmask_b32_e64 v1, v2, v1, s[0:1]
	v_and_b32_e32 v1, 1, v1
	v_add_u32_e32 v2, s14, v0
	v_add_u32_e32 v0, 0x100, v0
	global_store_byte v2, v1, s[16:17]
	s_or_b64 exec, exec, s[2:3]
	v_cmp_gt_i32_e32 vcc, s20, v0
	s_and_saveexec_b64 s[2:3], vcc
	s_cbranch_execz .LBB97_43
.LBB97_60:
	s_waitcnt vmcnt(0)
	v_cmp_eq_f32_e32 vcc, v14, v19
	v_cndmask_b32_e64 v1, 0, 1, vcc
	v_cmp_neq_f32_e32 vcc, v14, v19
	v_cndmask_b32_e64 v2, 0, 1, vcc
	v_cndmask_b32_e64 v1, v2, v1, s[0:1]
	v_and_b32_e32 v1, 1, v1
	v_add_u32_e32 v2, s14, v0
	v_add_u32_e32 v0, 0x100, v0
	global_store_byte v2, v1, s[16:17]
	s_or_b64 exec, exec, s[2:3]
	v_cmp_gt_i32_e32 vcc, s20, v0
	s_and_saveexec_b64 s[2:3], vcc
	s_cbranch_execz .LBB97_44
.LBB97_61:
	s_waitcnt vmcnt(0)
	v_cmp_eq_f32_e32 vcc, v20, v21
	v_cndmask_b32_e64 v1, 0, 1, vcc
	v_cmp_neq_f32_e32 vcc, v20, v21
	v_cndmask_b32_e64 v2, 0, 1, vcc
	v_cndmask_b32_e64 v1, v2, v1, s[0:1]
	v_and_b32_e32 v1, 1, v1
	v_add_u32_e32 v2, s14, v0
	v_add_u32_e32 v0, 0x100, v0
	global_store_byte v2, v1, s[16:17]
	s_or_b64 exec, exec, s[2:3]
	v_cmp_gt_i32_e32 vcc, s20, v0
	s_and_saveexec_b64 s[2:3], vcc
	s_cbranch_execz .LBB97_45
.LBB97_62:
	s_waitcnt vmcnt(0)
	v_cmp_eq_f32_e32 vcc, v18, v23
	v_cndmask_b32_e64 v1, 0, 1, vcc
	v_cmp_neq_f32_e32 vcc, v18, v23
	v_cndmask_b32_e64 v2, 0, 1, vcc
	v_cndmask_b32_e64 v1, v2, v1, s[0:1]
	v_and_b32_e32 v1, 1, v1
	v_add_u32_e32 v2, s14, v0
	v_add_u32_e32 v0, 0x100, v0
	global_store_byte v2, v1, s[16:17]
	s_or_b64 exec, exec, s[2:3]
	v_cmp_gt_i32_e32 vcc, s20, v0
	s_and_saveexec_b64 s[2:3], vcc
	s_cbranch_execz .LBB97_46
.LBB97_63:
	s_waitcnt vmcnt(0)
	v_cmp_eq_f32_e32 vcc, v24, v25
	v_cndmask_b32_e64 v1, 0, 1, vcc
	v_cmp_neq_f32_e32 vcc, v24, v25
	v_cndmask_b32_e64 v2, 0, 1, vcc
	v_cndmask_b32_e64 v1, v2, v1, s[0:1]
	v_and_b32_e32 v1, 1, v1
	v_add_u32_e32 v2, s14, v0
	v_add_u32_e32 v0, 0x100, v0
	global_store_byte v2, v1, s[16:17]
	s_or_b64 exec, exec, s[2:3]
	v_cmp_gt_i32_e32 vcc, s20, v0
	s_and_saveexec_b64 s[2:3], vcc
	s_cbranch_execz .LBB97_47
.LBB97_64:
	s_waitcnt vmcnt(0)
	v_cmp_eq_f32_e32 vcc, v22, v27
	v_cndmask_b32_e64 v1, 0, 1, vcc
	v_cmp_neq_f32_e32 vcc, v22, v27
	v_cndmask_b32_e64 v2, 0, 1, vcc
	v_cndmask_b32_e64 v1, v2, v1, s[0:1]
	v_and_b32_e32 v1, 1, v1
	v_add_u32_e32 v2, s14, v0
	v_add_u32_e32 v0, 0x100, v0
	global_store_byte v2, v1, s[16:17]
	s_or_b64 exec, exec, s[2:3]
	v_cmp_gt_i32_e32 vcc, s20, v0
	s_and_saveexec_b64 s[2:3], vcc
	s_cbranch_execz .LBB97_48
.LBB97_65:
	s_waitcnt vmcnt(0)
	v_cmp_eq_f32_e32 vcc, v28, v29
	v_cndmask_b32_e64 v1, 0, 1, vcc
	v_cmp_neq_f32_e32 vcc, v28, v29
	v_cndmask_b32_e64 v2, 0, 1, vcc
	v_cndmask_b32_e64 v1, v2, v1, s[0:1]
	v_and_b32_e32 v1, 1, v1
	v_add_u32_e32 v2, s14, v0
	v_add_u32_e32 v0, 0x100, v0
	global_store_byte v2, v1, s[16:17]
	s_or_b64 exec, exec, s[2:3]
	v_cmp_gt_i32_e32 vcc, s20, v0
	s_and_saveexec_b64 s[2:3], vcc
	s_cbranch_execz .LBB97_49
.LBB97_66:
	s_waitcnt vmcnt(0)
	v_cmp_eq_f32_e32 vcc, v26, v31
	v_cndmask_b32_e64 v1, 0, 1, vcc
	v_cmp_neq_f32_e32 vcc, v26, v31
	v_cndmask_b32_e64 v2, 0, 1, vcc
	v_cndmask_b32_e64 v1, v2, v1, s[0:1]
	v_and_b32_e32 v1, 1, v1
	v_add_u32_e32 v2, s14, v0
	v_add_u32_e32 v0, 0x100, v0
	global_store_byte v2, v1, s[16:17]
	s_or_b64 exec, exec, s[2:3]
	v_cmp_gt_i32_e32 vcc, s20, v0
	s_and_saveexec_b64 s[2:3], vcc
	s_cbranch_execz .LBB97_50
.LBB97_67:
	s_waitcnt vmcnt(0)
	v_cmp_eq_f32_e32 vcc, v32, v33
	v_cndmask_b32_e64 v1, 0, 1, vcc
	v_cmp_neq_f32_e32 vcc, v32, v33
	v_cndmask_b32_e64 v2, 0, 1, vcc
	v_cndmask_b32_e64 v1, v2, v1, s[0:1]
	v_and_b32_e32 v1, 1, v1
	v_add_u32_e32 v2, s14, v0
	v_add_u32_e32 v0, 0x100, v0
	global_store_byte v2, v1, s[16:17]
	s_or_b64 exec, exec, s[2:3]
	v_cmp_gt_i32_e32 vcc, s20, v0
	s_and_saveexec_b64 s[2:3], vcc
	s_cbranch_execnz .LBB97_51
	s_branch .LBB97_52
	.section	.rodata,"a",@progbits
	.p2align	6, 0x0
	.amdhsa_kernel _ZN2at6native29vectorized_elementwise_kernelILi8ENS0_13BinaryFunctorIffbNS0_12_GLOBAL__N_116CompareEqFunctorIfEEEESt5arrayIPcLm3EEEEviT0_T1_
		.amdhsa_group_segment_fixed_size 0
		.amdhsa_private_segment_fixed_size 0
		.amdhsa_kernarg_size 32
		.amdhsa_user_sgpr_count 6
		.amdhsa_user_sgpr_private_segment_buffer 1
		.amdhsa_user_sgpr_dispatch_ptr 0
		.amdhsa_user_sgpr_queue_ptr 0
		.amdhsa_user_sgpr_kernarg_segment_ptr 1
		.amdhsa_user_sgpr_dispatch_id 0
		.amdhsa_user_sgpr_flat_scratch_init 0
		.amdhsa_user_sgpr_private_segment_size 0
		.amdhsa_uses_dynamic_stack 0
		.amdhsa_system_sgpr_private_segment_wavefront_offset 0
		.amdhsa_system_sgpr_workgroup_id_x 1
		.amdhsa_system_sgpr_workgroup_id_y 0
		.amdhsa_system_sgpr_workgroup_id_z 0
		.amdhsa_system_sgpr_workgroup_info 0
		.amdhsa_system_vgpr_workitem_id 0
		.amdhsa_next_free_vgpr 40
		.amdhsa_next_free_sgpr 24
		.amdhsa_reserve_vcc 1
		.amdhsa_reserve_flat_scratch 0
		.amdhsa_float_round_mode_32 0
		.amdhsa_float_round_mode_16_64 0
		.amdhsa_float_denorm_mode_32 3
		.amdhsa_float_denorm_mode_16_64 3
		.amdhsa_dx10_clamp 1
		.amdhsa_ieee_mode 1
		.amdhsa_fp16_overflow 0
		.amdhsa_exception_fp_ieee_invalid_op 0
		.amdhsa_exception_fp_denorm_src 0
		.amdhsa_exception_fp_ieee_div_zero 0
		.amdhsa_exception_fp_ieee_overflow 0
		.amdhsa_exception_fp_ieee_underflow 0
		.amdhsa_exception_fp_ieee_inexact 0
		.amdhsa_exception_int_div_zero 0
	.end_amdhsa_kernel
	.section	.text._ZN2at6native29vectorized_elementwise_kernelILi8ENS0_13BinaryFunctorIffbNS0_12_GLOBAL__N_116CompareEqFunctorIfEEEESt5arrayIPcLm3EEEEviT0_T1_,"axG",@progbits,_ZN2at6native29vectorized_elementwise_kernelILi8ENS0_13BinaryFunctorIffbNS0_12_GLOBAL__N_116CompareEqFunctorIfEEEESt5arrayIPcLm3EEEEviT0_T1_,comdat
.Lfunc_end97:
	.size	_ZN2at6native29vectorized_elementwise_kernelILi8ENS0_13BinaryFunctorIffbNS0_12_GLOBAL__N_116CompareEqFunctorIfEEEESt5arrayIPcLm3EEEEviT0_T1_, .Lfunc_end97-_ZN2at6native29vectorized_elementwise_kernelILi8ENS0_13BinaryFunctorIffbNS0_12_GLOBAL__N_116CompareEqFunctorIfEEEESt5arrayIPcLm3EEEEviT0_T1_
                                        ; -- End function
	.set _ZN2at6native29vectorized_elementwise_kernelILi8ENS0_13BinaryFunctorIffbNS0_12_GLOBAL__N_116CompareEqFunctorIfEEEESt5arrayIPcLm3EEEEviT0_T1_.num_vgpr, 40
	.set _ZN2at6native29vectorized_elementwise_kernelILi8ENS0_13BinaryFunctorIffbNS0_12_GLOBAL__N_116CompareEqFunctorIfEEEESt5arrayIPcLm3EEEEviT0_T1_.num_agpr, 0
	.set _ZN2at6native29vectorized_elementwise_kernelILi8ENS0_13BinaryFunctorIffbNS0_12_GLOBAL__N_116CompareEqFunctorIfEEEESt5arrayIPcLm3EEEEviT0_T1_.numbered_sgpr, 24
	.set _ZN2at6native29vectorized_elementwise_kernelILi8ENS0_13BinaryFunctorIffbNS0_12_GLOBAL__N_116CompareEqFunctorIfEEEESt5arrayIPcLm3EEEEviT0_T1_.num_named_barrier, 0
	.set _ZN2at6native29vectorized_elementwise_kernelILi8ENS0_13BinaryFunctorIffbNS0_12_GLOBAL__N_116CompareEqFunctorIfEEEESt5arrayIPcLm3EEEEviT0_T1_.private_seg_size, 0
	.set _ZN2at6native29vectorized_elementwise_kernelILi8ENS0_13BinaryFunctorIffbNS0_12_GLOBAL__N_116CompareEqFunctorIfEEEESt5arrayIPcLm3EEEEviT0_T1_.uses_vcc, 1
	.set _ZN2at6native29vectorized_elementwise_kernelILi8ENS0_13BinaryFunctorIffbNS0_12_GLOBAL__N_116CompareEqFunctorIfEEEESt5arrayIPcLm3EEEEviT0_T1_.uses_flat_scratch, 0
	.set _ZN2at6native29vectorized_elementwise_kernelILi8ENS0_13BinaryFunctorIffbNS0_12_GLOBAL__N_116CompareEqFunctorIfEEEESt5arrayIPcLm3EEEEviT0_T1_.has_dyn_sized_stack, 0
	.set _ZN2at6native29vectorized_elementwise_kernelILi8ENS0_13BinaryFunctorIffbNS0_12_GLOBAL__N_116CompareEqFunctorIfEEEESt5arrayIPcLm3EEEEviT0_T1_.has_recursion, 0
	.set _ZN2at6native29vectorized_elementwise_kernelILi8ENS0_13BinaryFunctorIffbNS0_12_GLOBAL__N_116CompareEqFunctorIfEEEESt5arrayIPcLm3EEEEviT0_T1_.has_indirect_call, 0
	.section	.AMDGPU.csdata,"",@progbits
; Kernel info:
; codeLenInByte = 4424
; TotalNumSgprs: 28
; NumVgprs: 40
; ScratchSize: 0
; MemoryBound: 0
; FloatMode: 240
; IeeeMode: 1
; LDSByteSize: 0 bytes/workgroup (compile time only)
; SGPRBlocks: 3
; VGPRBlocks: 9
; NumSGPRsForWavesPerEU: 28
; NumVGPRsForWavesPerEU: 40
; Occupancy: 6
; WaveLimiterHint : 1
; COMPUTE_PGM_RSRC2:SCRATCH_EN: 0
; COMPUTE_PGM_RSRC2:USER_SGPR: 6
; COMPUTE_PGM_RSRC2:TRAP_HANDLER: 0
; COMPUTE_PGM_RSRC2:TGID_X_EN: 1
; COMPUTE_PGM_RSRC2:TGID_Y_EN: 0
; COMPUTE_PGM_RSRC2:TGID_Z_EN: 0
; COMPUTE_PGM_RSRC2:TIDIG_COMP_CNT: 0
	.section	.text._ZN2at6native29vectorized_elementwise_kernelILi4ENS0_13BinaryFunctorIffbNS0_12_GLOBAL__N_116CompareEqFunctorIfEEEESt5arrayIPcLm3EEEEviT0_T1_,"axG",@progbits,_ZN2at6native29vectorized_elementwise_kernelILi4ENS0_13BinaryFunctorIffbNS0_12_GLOBAL__N_116CompareEqFunctorIfEEEESt5arrayIPcLm3EEEEviT0_T1_,comdat
	.globl	_ZN2at6native29vectorized_elementwise_kernelILi4ENS0_13BinaryFunctorIffbNS0_12_GLOBAL__N_116CompareEqFunctorIfEEEESt5arrayIPcLm3EEEEviT0_T1_ ; -- Begin function _ZN2at6native29vectorized_elementwise_kernelILi4ENS0_13BinaryFunctorIffbNS0_12_GLOBAL__N_116CompareEqFunctorIfEEEESt5arrayIPcLm3EEEEviT0_T1_
	.p2align	8
	.type	_ZN2at6native29vectorized_elementwise_kernelILi4ENS0_13BinaryFunctorIffbNS0_12_GLOBAL__N_116CompareEqFunctorIfEEEESt5arrayIPcLm3EEEEviT0_T1_,@function
_ZN2at6native29vectorized_elementwise_kernelILi4ENS0_13BinaryFunctorIffbNS0_12_GLOBAL__N_116CompareEqFunctorIfEEEESt5arrayIPcLm3EEEEviT0_T1_: ; @_ZN2at6native29vectorized_elementwise_kernelILi4ENS0_13BinaryFunctorIffbNS0_12_GLOBAL__N_116CompareEqFunctorIfEEEESt5arrayIPcLm3EEEEviT0_T1_
; %bb.0:
	s_load_dwordx2 s[20:21], s[4:5], 0x0
	s_load_dwordx4 s[16:19], s[4:5], 0x8
	s_load_dwordx2 s[22:23], s[4:5], 0x18
	s_lshl_b32 s14, s6, 12
	s_mov_b64 s[0:1], -1
	s_waitcnt lgkmcnt(0)
	s_sub_i32 s20, s20, s14
	s_cmpk_gt_i32 s20, 0xfff
	s_cbranch_scc0 .LBB98_2
; %bb.1:
	s_ashr_i32 s15, s14, 31
	s_lshl_b64 s[0:1], s[14:15], 2
	s_add_u32 s2, s18, s0
	s_addc_u32 s3, s19, s1
	v_lshlrev_b32_e32 v13, 4, v0
	s_add_u32 s4, s22, s0
	v_mov_b32_e32 v9, s3
	v_add_co_u32_e32 v14, vcc, s2, v13
	s_addc_u32 s5, s23, s1
	global_load_dwordx4 v[1:4], v13, s[2:3]
	global_load_dwordx4 v[5:8], v13, s[4:5]
	v_addc_co_u32_e32 v30, vcc, 0, v9, vcc
	v_add_co_u32_e32 v9, vcc, 0x1000, v14
	v_addc_co_u32_e32 v10, vcc, 0, v30, vcc
	v_add_co_u32_e32 v25, vcc, 0x2000, v14
	v_mov_b32_e32 v15, s5
	v_add_co_u32_e64 v31, s[2:3], s4, v13
	s_movk_i32 s6, 0x2000
	s_mov_b64 s[0:1], vcc
	v_add_co_u32_e32 v27, vcc, 0x3000, v14
	v_addc_co_u32_e64 v32, s[2:3], 0, v15, s[2:3]
	s_mov_b64 s[2:3], vcc
	v_add_co_u32_e32 v28, vcc, s6, v31
	v_addc_co_u32_e32 v29, vcc, 0, v32, vcc
	global_load_dwordx4 v[9:12], v[9:10], off
	v_addc_co_u32_e64 v26, vcc, 0, v30, s[0:1]
	global_load_dwordx4 v[13:16], v[28:29], off offset:-4096
	global_load_dwordx4 v[17:20], v[25:26], off
	global_load_dwordx4 v[21:24], v[28:29], off
	s_movk_i32 s0, 0x3000
	v_addc_co_u32_e64 v28, vcc, 0, v30, s[2:3]
	v_add_co_u32_e32 v29, vcc, s0, v31
	v_addc_co_u32_e32 v30, vcc, 0, v32, vcc
	global_load_dwordx4 v[25:28], v[27:28], off
	s_cmp_eq_u32 s21, 0
	global_load_dwordx4 v[29:32], v[29:30], off
	v_mov_b32_e32 v33, 0x100
	v_mov_b32_e32 v34, 0x10000
	;; [unrolled: 1-line block ×3, first 2 shown]
	s_waitcnt vmcnt(6)
	v_cmp_neq_f32_e32 vcc, v1, v5
	v_cmp_eq_f32_e64 s[0:1], v2, v6
	v_cmp_neq_f32_e64 s[2:3], v2, v6
	v_cmp_eq_f32_e64 s[12:13], v1, v5
	v_cmp_eq_f32_e64 s[4:5], v3, v7
	v_cmp_neq_f32_e64 s[6:7], v3, v7
	v_cmp_eq_f32_e64 s[8:9], v4, v8
	v_cmp_neq_f32_e64 s[10:11], v4, v8
	v_cndmask_b32_e64 v1, 0, 1, s[12:13]
	v_cndmask_b32_e64 v2, 0, 1, vcc
	v_cndmask_b32_e64 v3, 0, 1, s[0:1]
	v_cndmask_b32_e64 v4, 0, 1, s[2:3]
	s_cselect_b64 vcc, -1, 0
	v_cndmask_b32_e64 v5, 0, 1, s[4:5]
	v_cndmask_b32_e64 v6, 0, 1, s[6:7]
	v_cndmask_b32_e32 v1, v2, v1, vcc
	v_cndmask_b32_e32 v2, v4, v3, vcc
	v_cndmask_b32_e64 v7, 0, 1, s[8:9]
	v_cndmask_b32_e64 v8, 0, 1, s[10:11]
	v_cndmask_b32_e32 v3, v6, v5, vcc
	v_and_b32_e32 v2, 1, v2
	v_cndmask_b32_e32 v4, v8, v7, vcc
	v_and_b32_e32 v3, 1, v3
	v_cmp_eq_u32_e64 s[0:1], 1, v2
	v_and_b32_e32 v4, 1, v4
	v_cndmask_b32_e64 v2, 0, v33, s[0:1]
	v_cmp_eq_u32_e64 s[0:1], 1, v3
	v_cndmask_b32_e64 v3, 0, v34, s[0:1]
	v_cmp_eq_u32_e64 s[0:1], 1, v4
	v_cndmask_b32_e64 v4, 0, v35, s[0:1]
	s_waitcnt vmcnt(4)
	v_cmp_eq_f32_e64 s[0:1], v9, v13
	v_and_or_b32 v1, v1, 1, v2
	v_cndmask_b32_e64 v2, 0, 1, s[0:1]
	v_cmp_neq_f32_e64 s[0:1], v9, v13
	v_cndmask_b32_e64 v5, 0, 1, s[0:1]
	v_cmp_eq_f32_e64 s[0:1], v10, v14
	v_or3_b32 v1, v1, v3, v4
	v_cndmask_b32_e64 v3, 0, 1, s[0:1]
	v_cmp_neq_f32_e64 s[0:1], v10, v14
	v_cndmask_b32_e64 v4, 0, 1, s[0:1]
	v_cndmask_b32_e32 v3, v4, v3, vcc
	v_and_b32_e32 v3, 1, v3
	v_cmp_eq_u32_e64 s[0:1], 1, v3
	v_cndmask_b32_e32 v2, v5, v2, vcc
	v_cndmask_b32_e64 v3, 0, v33, s[0:1]
	v_cmp_eq_f32_e64 s[0:1], v11, v15
	v_and_or_b32 v2, v2, 1, v3
	v_cndmask_b32_e64 v3, 0, 1, s[0:1]
	v_cmp_neq_f32_e64 s[0:1], v11, v15
	v_cndmask_b32_e64 v4, 0, 1, s[0:1]
	v_cndmask_b32_e32 v3, v4, v3, vcc
	v_and_b32_e32 v3, 1, v3
	v_cmp_eq_u32_e64 s[0:1], 1, v3
	v_cndmask_b32_e64 v3, 0, v34, s[0:1]
	v_cmp_eq_f32_e64 s[0:1], v12, v16
	v_cndmask_b32_e64 v4, 0, 1, s[0:1]
	v_cmp_neq_f32_e64 s[0:1], v12, v16
	v_cndmask_b32_e64 v5, 0, 1, s[0:1]
	v_cndmask_b32_e32 v4, v5, v4, vcc
	v_and_b32_e32 v4, 1, v4
	v_cmp_eq_u32_e64 s[0:1], 1, v4
	v_cndmask_b32_e64 v4, 0, v35, s[0:1]
	s_waitcnt vmcnt(2)
	v_cmp_eq_f32_e64 s[0:1], v17, v21
	v_or3_b32 v2, v2, v3, v4
	v_cndmask_b32_e64 v3, 0, 1, s[0:1]
	v_cmp_neq_f32_e64 s[0:1], v17, v21
	v_cndmask_b32_e64 v4, 0, 1, s[0:1]
	v_cmp_eq_f32_e64 s[0:1], v18, v22
	v_cndmask_b32_e32 v3, v4, v3, vcc
	v_cndmask_b32_e64 v4, 0, 1, s[0:1]
	v_cmp_neq_f32_e64 s[0:1], v18, v22
	v_cndmask_b32_e64 v5, 0, 1, s[0:1]
	v_cndmask_b32_e32 v4, v5, v4, vcc
	v_and_b32_e32 v4, 1, v4
	v_cmp_eq_u32_e64 s[0:1], 1, v4
	v_cndmask_b32_e64 v4, 0, v33, s[0:1]
	v_cmp_eq_f32_e64 s[0:1], v19, v23
	v_and_or_b32 v3, v3, 1, v4
	v_cndmask_b32_e64 v4, 0, 1, s[0:1]
	v_cmp_neq_f32_e64 s[0:1], v19, v23
	v_cndmask_b32_e64 v5, 0, 1, s[0:1]
	v_cndmask_b32_e32 v4, v5, v4, vcc
	v_and_b32_e32 v4, 1, v4
	v_cmp_eq_u32_e64 s[0:1], 1, v4
	v_cndmask_b32_e64 v4, 0, v34, s[0:1]
	v_cmp_eq_f32_e64 s[0:1], v20, v24
	v_cndmask_b32_e64 v5, 0, 1, s[0:1]
	v_cmp_neq_f32_e64 s[0:1], v20, v24
	v_cndmask_b32_e64 v6, 0, 1, s[0:1]
	v_cndmask_b32_e32 v5, v6, v5, vcc
	v_and_b32_e32 v5, 1, v5
	v_cmp_eq_u32_e64 s[0:1], 1, v5
	v_cndmask_b32_e64 v5, 0, v35, s[0:1]
	s_waitcnt vmcnt(0)
	v_cmp_eq_f32_e64 s[0:1], v25, v29
	v_or3_b32 v3, v3, v4, v5
	v_cndmask_b32_e64 v4, 0, 1, s[0:1]
	v_cmp_neq_f32_e64 s[0:1], v25, v29
	v_cndmask_b32_e64 v5, 0, 1, s[0:1]
	v_cmp_eq_f32_e64 s[0:1], v26, v30
	v_cndmask_b32_e32 v4, v5, v4, vcc
	v_cndmask_b32_e64 v5, 0, 1, s[0:1]
	v_cmp_neq_f32_e64 s[0:1], v26, v30
	v_cndmask_b32_e64 v6, 0, 1, s[0:1]
	v_cndmask_b32_e32 v5, v6, v5, vcc
	v_and_b32_e32 v5, 1, v5
	v_cmp_eq_u32_e64 s[0:1], 1, v5
	v_cndmask_b32_e64 v5, 0, v33, s[0:1]
	v_cmp_eq_f32_e64 s[0:1], v27, v31
	v_and_or_b32 v4, v4, 1, v5
	v_cndmask_b32_e64 v5, 0, 1, s[0:1]
	v_cmp_neq_f32_e64 s[0:1], v27, v31
	v_cndmask_b32_e64 v6, 0, 1, s[0:1]
	v_cndmask_b32_e32 v5, v6, v5, vcc
	v_and_b32_e32 v5, 1, v5
	v_cmp_eq_u32_e64 s[0:1], 1, v5
	v_cndmask_b32_e64 v5, 0, v34, s[0:1]
	v_cmp_eq_f32_e64 s[0:1], v28, v32
	v_cndmask_b32_e64 v6, 0, 1, s[0:1]
	v_cmp_neq_f32_e64 s[0:1], v28, v32
	v_cndmask_b32_e64 v7, 0, 1, s[0:1]
	v_cndmask_b32_e32 v6, v7, v6, vcc
	v_and_b32_e32 v6, 1, v6
	v_cmp_eq_u32_e32 vcc, 1, v6
	v_cndmask_b32_e32 v6, 0, v35, vcc
	s_add_u32 s0, s16, s14
	v_or3_b32 v4, v4, v5, v6
	s_addc_u32 s1, s17, s15
	v_lshlrev_b32_e32 v5, 2, v0
	global_store_dword v5, v1, s[0:1]
	global_store_dword v5, v2, s[0:1] offset:1024
	global_store_dword v5, v3, s[0:1] offset:2048
	;; [unrolled: 1-line block ×3, first 2 shown]
	s_mov_b64 s[0:1], 0
.LBB98_2:
	s_andn2_b64 vcc, exec, s[0:1]
	s_cbranch_vccnz .LBB98_52
; %bb.3:
	v_cmp_gt_i32_e32 vcc, s20, v0
	v_mov_b32_e32 v3, 0
	v_or_b32_e32 v1, s14, v0
	v_mov_b32_e32 v2, 0
	v_mov_b32_e32 v4, 0
	v_mov_b32_e32 v13, v0
	s_and_saveexec_b64 s[2:3], vcc
	s_cbranch_execz .LBB98_5
; %bb.4:
	v_mov_b32_e32 v2, 0
	v_lshlrev_b64 v[4:5], 2, v[1:2]
	v_mov_b32_e32 v2, s23
	v_add_co_u32_e64 v6, s[0:1], s22, v4
	v_addc_co_u32_e64 v7, s[0:1], v2, v5, s[0:1]
	v_mov_b32_e32 v2, s19
	v_add_co_u32_e64 v8, s[0:1], s18, v4
	v_addc_co_u32_e64 v9, s[0:1], v2, v5, s[0:1]
	global_load_dword v2, v[8:9], off
	global_load_dword v4, v[6:7], off
	v_or_b32_e32 v13, 0x100, v0
.LBB98_5:
	s_or_b64 exec, exec, s[2:3]
	v_cmp_gt_i32_e64 s[0:1], s20, v13
	v_mov_b32_e32 v6, 0
	s_and_saveexec_b64 s[2:3], s[0:1]
	s_cbranch_execz .LBB98_7
; %bb.6:
	v_add_u32_e32 v5, s14, v13
	v_mov_b32_e32 v6, 0
	v_lshlrev_b64 v[5:6], 2, v[5:6]
	v_mov_b32_e32 v3, s23
	v_add_co_u32_e64 v7, s[0:1], s22, v5
	v_addc_co_u32_e64 v8, s[0:1], v3, v6, s[0:1]
	v_mov_b32_e32 v3, s19
	v_add_co_u32_e64 v9, s[0:1], s18, v5
	v_addc_co_u32_e64 v10, s[0:1], v3, v6, s[0:1]
	global_load_dword v3, v[9:10], off
	global_load_dword v6, v[7:8], off
	v_add_u32_e32 v13, 0x100, v13
.LBB98_7:
	s_or_b64 exec, exec, s[2:3]
	v_cmp_gt_i32_e64 s[0:1], s20, v13
	v_mov_b32_e32 v5, 0
	v_mov_b32_e32 v7, 0
	v_mov_b32_e32 v8, 0
	s_and_saveexec_b64 s[2:3], s[0:1]
	s_cbranch_execz .LBB98_9
; %bb.8:
	v_add_u32_e32 v7, s14, v13
	v_mov_b32_e32 v8, 0
	v_lshlrev_b64 v[7:8], 2, v[7:8]
	v_mov_b32_e32 v10, s23
	v_add_co_u32_e64 v9, s[0:1], s22, v7
	v_addc_co_u32_e64 v10, s[0:1], v10, v8, s[0:1]
	v_mov_b32_e32 v12, s19
	v_add_co_u32_e64 v11, s[0:1], s18, v7
	v_addc_co_u32_e64 v12, s[0:1], v12, v8, s[0:1]
	global_load_dword v7, v[11:12], off
	global_load_dword v8, v[9:10], off
	v_add_u32_e32 v13, 0x100, v13
.LBB98_9:
	s_or_b64 exec, exec, s[2:3]
	v_cmp_gt_i32_e64 s[0:1], s20, v13
	v_mov_b32_e32 v10, 0
	s_and_saveexec_b64 s[2:3], s[0:1]
	s_cbranch_execz .LBB98_11
; %bb.10:
	v_add_u32_e32 v9, s14, v13
	v_mov_b32_e32 v10, 0
	v_lshlrev_b64 v[9:10], 2, v[9:10]
	v_mov_b32_e32 v5, s23
	v_add_co_u32_e64 v11, s[0:1], s22, v9
	v_addc_co_u32_e64 v12, s[0:1], v5, v10, s[0:1]
	v_mov_b32_e32 v5, s19
	v_add_co_u32_e64 v14, s[0:1], s18, v9
	v_addc_co_u32_e64 v15, s[0:1], v5, v10, s[0:1]
	global_load_dword v5, v[14:15], off
	global_load_dword v10, v[11:12], off
	v_add_u32_e32 v13, 0x100, v13
.LBB98_11:
	s_or_b64 exec, exec, s[2:3]
	v_cmp_gt_i32_e64 s[0:1], s20, v13
	v_mov_b32_e32 v9, 0
	v_mov_b32_e32 v11, 0
	v_mov_b32_e32 v12, 0
	s_and_saveexec_b64 s[2:3], s[0:1]
	s_cbranch_execz .LBB98_13
; %bb.12:
	v_add_u32_e32 v11, s14, v13
	v_mov_b32_e32 v12, 0
	v_lshlrev_b64 v[11:12], 2, v[11:12]
	v_mov_b32_e32 v15, s23
	v_add_co_u32_e64 v14, s[0:1], s22, v11
	v_addc_co_u32_e64 v15, s[0:1], v15, v12, s[0:1]
	v_mov_b32_e32 v17, s19
	v_add_co_u32_e64 v16, s[0:1], s18, v11
	v_addc_co_u32_e64 v17, s[0:1], v17, v12, s[0:1]
	global_load_dword v11, v[16:17], off
	global_load_dword v12, v[14:15], off
	v_add_u32_e32 v13, 0x100, v13
.LBB98_13:
	s_or_b64 exec, exec, s[2:3]
	v_cmp_gt_i32_e64 s[0:1], s20, v13
	v_mov_b32_e32 v15, 0
	s_and_saveexec_b64 s[2:3], s[0:1]
	s_cbranch_execz .LBB98_15
; %bb.14:
	v_add_u32_e32 v14, s14, v13
	v_mov_b32_e32 v15, 0
	v_lshlrev_b64 v[14:15], 2, v[14:15]
	v_mov_b32_e32 v9, s23
	v_add_co_u32_e64 v16, s[0:1], s22, v14
	v_addc_co_u32_e64 v17, s[0:1], v9, v15, s[0:1]
	v_mov_b32_e32 v9, s19
	v_add_co_u32_e64 v18, s[0:1], s18, v14
	v_addc_co_u32_e64 v19, s[0:1], v9, v15, s[0:1]
	global_load_dword v9, v[18:19], off
	global_load_dword v15, v[16:17], off
	v_add_u32_e32 v13, 0x100, v13
.LBB98_15:
	s_or_b64 exec, exec, s[2:3]
	v_cmp_gt_i32_e64 s[0:1], s20, v13
	v_mov_b32_e32 v14, 0
	v_mov_b32_e32 v16, 0
	v_mov_b32_e32 v17, 0
	s_and_saveexec_b64 s[2:3], s[0:1]
	s_cbranch_execz .LBB98_17
; %bb.16:
	v_add_u32_e32 v16, s14, v13
	v_mov_b32_e32 v17, 0
	v_lshlrev_b64 v[16:17], 2, v[16:17]
	v_mov_b32_e32 v19, s23
	v_add_co_u32_e64 v18, s[0:1], s22, v16
	v_addc_co_u32_e64 v19, s[0:1], v19, v17, s[0:1]
	v_mov_b32_e32 v21, s19
	v_add_co_u32_e64 v20, s[0:1], s18, v16
	v_addc_co_u32_e64 v21, s[0:1], v21, v17, s[0:1]
	global_load_dword v16, v[20:21], off
	global_load_dword v17, v[18:19], off
	v_add_u32_e32 v13, 0x100, v13
.LBB98_17:
	s_or_b64 exec, exec, s[2:3]
	v_cmp_gt_i32_e64 s[0:1], s20, v13
	v_mov_b32_e32 v19, 0
	s_and_saveexec_b64 s[2:3], s[0:1]
	s_cbranch_execz .LBB98_19
; %bb.18:
	v_add_u32_e32 v18, s14, v13
	v_mov_b32_e32 v19, 0
	v_lshlrev_b64 v[18:19], 2, v[18:19]
	v_mov_b32_e32 v14, s23
	v_add_co_u32_e64 v20, s[0:1], s22, v18
	v_addc_co_u32_e64 v21, s[0:1], v14, v19, s[0:1]
	v_mov_b32_e32 v14, s19
	v_add_co_u32_e64 v22, s[0:1], s18, v18
	v_addc_co_u32_e64 v23, s[0:1], v14, v19, s[0:1]
	global_load_dword v14, v[22:23], off
	global_load_dword v19, v[20:21], off
	v_add_u32_e32 v13, 0x100, v13
.LBB98_19:
	s_or_b64 exec, exec, s[2:3]
	v_cmp_gt_i32_e64 s[0:1], s20, v13
	v_mov_b32_e32 v18, 0
	v_mov_b32_e32 v20, 0
	v_mov_b32_e32 v21, 0
	s_and_saveexec_b64 s[2:3], s[0:1]
	s_cbranch_execz .LBB98_21
; %bb.20:
	v_add_u32_e32 v20, s14, v13
	v_mov_b32_e32 v21, 0
	v_lshlrev_b64 v[20:21], 2, v[20:21]
	v_mov_b32_e32 v23, s23
	v_add_co_u32_e64 v22, s[0:1], s22, v20
	v_addc_co_u32_e64 v23, s[0:1], v23, v21, s[0:1]
	v_mov_b32_e32 v25, s19
	v_add_co_u32_e64 v24, s[0:1], s18, v20
	v_addc_co_u32_e64 v25, s[0:1], v25, v21, s[0:1]
	global_load_dword v20, v[24:25], off
	global_load_dword v21, v[22:23], off
	v_add_u32_e32 v13, 0x100, v13
.LBB98_21:
	s_or_b64 exec, exec, s[2:3]
	v_cmp_gt_i32_e64 s[0:1], s20, v13
	v_mov_b32_e32 v23, 0
	s_and_saveexec_b64 s[2:3], s[0:1]
	s_cbranch_execz .LBB98_23
; %bb.22:
	v_add_u32_e32 v22, s14, v13
	v_mov_b32_e32 v23, 0
	v_lshlrev_b64 v[22:23], 2, v[22:23]
	v_mov_b32_e32 v18, s23
	v_add_co_u32_e64 v24, s[0:1], s22, v22
	v_addc_co_u32_e64 v25, s[0:1], v18, v23, s[0:1]
	v_mov_b32_e32 v18, s19
	v_add_co_u32_e64 v26, s[0:1], s18, v22
	v_addc_co_u32_e64 v27, s[0:1], v18, v23, s[0:1]
	global_load_dword v18, v[26:27], off
	global_load_dword v23, v[24:25], off
	v_add_u32_e32 v13, 0x100, v13
.LBB98_23:
	s_or_b64 exec, exec, s[2:3]
	v_cmp_gt_i32_e64 s[0:1], s20, v13
	v_mov_b32_e32 v22, 0
	v_mov_b32_e32 v24, 0
	v_mov_b32_e32 v25, 0
	s_and_saveexec_b64 s[2:3], s[0:1]
	s_cbranch_execz .LBB98_25
; %bb.24:
	v_add_u32_e32 v24, s14, v13
	v_mov_b32_e32 v25, 0
	v_lshlrev_b64 v[24:25], 2, v[24:25]
	v_mov_b32_e32 v27, s23
	v_add_co_u32_e64 v26, s[0:1], s22, v24
	v_addc_co_u32_e64 v27, s[0:1], v27, v25, s[0:1]
	v_mov_b32_e32 v29, s19
	v_add_co_u32_e64 v28, s[0:1], s18, v24
	v_addc_co_u32_e64 v29, s[0:1], v29, v25, s[0:1]
	global_load_dword v24, v[28:29], off
	global_load_dword v25, v[26:27], off
	v_add_u32_e32 v13, 0x100, v13
.LBB98_25:
	s_or_b64 exec, exec, s[2:3]
	v_cmp_gt_i32_e64 s[0:1], s20, v13
	v_mov_b32_e32 v27, 0
	s_and_saveexec_b64 s[2:3], s[0:1]
	s_cbranch_execz .LBB98_27
; %bb.26:
	v_add_u32_e32 v26, s14, v13
	v_mov_b32_e32 v27, 0
	v_lshlrev_b64 v[26:27], 2, v[26:27]
	v_mov_b32_e32 v22, s23
	v_add_co_u32_e64 v28, s[0:1], s22, v26
	v_addc_co_u32_e64 v29, s[0:1], v22, v27, s[0:1]
	v_mov_b32_e32 v22, s19
	v_add_co_u32_e64 v30, s[0:1], s18, v26
	v_addc_co_u32_e64 v31, s[0:1], v22, v27, s[0:1]
	global_load_dword v22, v[30:31], off
	global_load_dword v27, v[28:29], off
	v_add_u32_e32 v13, 0x100, v13
.LBB98_27:
	s_or_b64 exec, exec, s[2:3]
	v_cmp_gt_i32_e64 s[0:1], s20, v13
	v_mov_b32_e32 v26, 0
	v_mov_b32_e32 v28, 0
	v_mov_b32_e32 v29, 0
	s_and_saveexec_b64 s[2:3], s[0:1]
	s_cbranch_execz .LBB98_29
; %bb.28:
	v_add_u32_e32 v28, s14, v13
	v_mov_b32_e32 v29, 0
	v_lshlrev_b64 v[28:29], 2, v[28:29]
	v_mov_b32_e32 v31, s23
	v_add_co_u32_e64 v30, s[0:1], s22, v28
	v_addc_co_u32_e64 v31, s[0:1], v31, v29, s[0:1]
	v_mov_b32_e32 v33, s19
	v_add_co_u32_e64 v32, s[0:1], s18, v28
	v_addc_co_u32_e64 v33, s[0:1], v33, v29, s[0:1]
	global_load_dword v28, v[32:33], off
	global_load_dword v29, v[30:31], off
	v_add_u32_e32 v13, 0x100, v13
.LBB98_29:
	s_or_b64 exec, exec, s[2:3]
	v_cmp_gt_i32_e64 s[0:1], s20, v13
	v_mov_b32_e32 v31, 0
	s_and_saveexec_b64 s[2:3], s[0:1]
	s_cbranch_execz .LBB98_31
; %bb.30:
	v_add_u32_e32 v30, s14, v13
	v_mov_b32_e32 v31, 0
	v_lshlrev_b64 v[30:31], 2, v[30:31]
	v_mov_b32_e32 v26, s23
	v_add_co_u32_e64 v32, s[0:1], s22, v30
	v_addc_co_u32_e64 v33, s[0:1], v26, v31, s[0:1]
	v_mov_b32_e32 v26, s19
	v_add_co_u32_e64 v34, s[0:1], s18, v30
	v_addc_co_u32_e64 v35, s[0:1], v26, v31, s[0:1]
	global_load_dword v26, v[34:35], off
	global_load_dword v31, v[32:33], off
	v_add_u32_e32 v13, 0x100, v13
.LBB98_31:
	s_or_b64 exec, exec, s[2:3]
	v_cmp_gt_i32_e64 s[0:1], s20, v13
	v_mov_b32_e32 v30, 0
	v_mov_b32_e32 v32, 0
	v_mov_b32_e32 v33, 0
	s_and_saveexec_b64 s[2:3], s[0:1]
	s_cbranch_execz .LBB98_33
; %bb.32:
	v_add_u32_e32 v32, s14, v13
	v_mov_b32_e32 v33, 0
	v_lshlrev_b64 v[32:33], 2, v[32:33]
	v_mov_b32_e32 v35, s23
	v_add_co_u32_e64 v34, s[0:1], s22, v32
	v_addc_co_u32_e64 v35, s[0:1], v35, v33, s[0:1]
	v_mov_b32_e32 v37, s19
	v_add_co_u32_e64 v36, s[0:1], s18, v32
	v_addc_co_u32_e64 v37, s[0:1], v37, v33, s[0:1]
	global_load_dword v32, v[36:37], off
	global_load_dword v33, v[34:35], off
	v_add_u32_e32 v13, 0x100, v13
.LBB98_33:
	s_or_b64 exec, exec, s[2:3]
	v_cmp_gt_i32_e64 s[0:1], s20, v13
	v_mov_b32_e32 v34, 0
	s_and_saveexec_b64 s[2:3], s[0:1]
	s_cbranch_execz .LBB98_35
; %bb.34:
	v_add_u32_e32 v34, s14, v13
	v_mov_b32_e32 v35, 0
	v_lshlrev_b64 v[34:35], 2, v[34:35]
	v_mov_b32_e32 v13, s23
	v_add_co_u32_e64 v36, s[0:1], s22, v34
	v_addc_co_u32_e64 v37, s[0:1], v13, v35, s[0:1]
	v_mov_b32_e32 v13, s19
	v_add_co_u32_e64 v38, s[0:1], s18, v34
	v_addc_co_u32_e64 v39, s[0:1], v13, v35, s[0:1]
	global_load_dword v30, v[38:39], off
	global_load_dword v34, v[36:37], off
.LBB98_35:
	s_or_b64 exec, exec, s[2:3]
	s_cmp_eq_u32 s21, 0
	s_cselect_b64 s[0:1], -1, 0
	s_and_saveexec_b64 s[2:3], vcc
	s_cbranch_execnz .LBB98_53
; %bb.36:
	s_or_b64 exec, exec, s[2:3]
	v_cmp_gt_i32_e32 vcc, s20, v0
	s_and_saveexec_b64 s[2:3], vcc
	s_cbranch_execnz .LBB98_54
.LBB98_37:
	s_or_b64 exec, exec, s[2:3]
	v_cmp_gt_i32_e32 vcc, s20, v0
	s_and_saveexec_b64 s[2:3], vcc
	s_cbranch_execnz .LBB98_55
.LBB98_38:
	s_or_b64 exec, exec, s[2:3]
	v_cmp_gt_i32_e32 vcc, s20, v0
	s_and_saveexec_b64 s[2:3], vcc
	s_cbranch_execnz .LBB98_56
.LBB98_39:
	s_or_b64 exec, exec, s[2:3]
	v_cmp_gt_i32_e32 vcc, s20, v0
	s_and_saveexec_b64 s[2:3], vcc
	s_cbranch_execnz .LBB98_57
.LBB98_40:
	s_or_b64 exec, exec, s[2:3]
	v_cmp_gt_i32_e32 vcc, s20, v0
	s_and_saveexec_b64 s[2:3], vcc
	s_cbranch_execnz .LBB98_58
.LBB98_41:
	s_or_b64 exec, exec, s[2:3]
	v_cmp_gt_i32_e32 vcc, s20, v0
	s_and_saveexec_b64 s[2:3], vcc
	s_cbranch_execnz .LBB98_59
.LBB98_42:
	s_or_b64 exec, exec, s[2:3]
	v_cmp_gt_i32_e32 vcc, s20, v0
	s_and_saveexec_b64 s[2:3], vcc
	s_cbranch_execnz .LBB98_60
.LBB98_43:
	s_or_b64 exec, exec, s[2:3]
	v_cmp_gt_i32_e32 vcc, s20, v0
	s_and_saveexec_b64 s[2:3], vcc
	s_cbranch_execnz .LBB98_61
.LBB98_44:
	s_or_b64 exec, exec, s[2:3]
	v_cmp_gt_i32_e32 vcc, s20, v0
	s_and_saveexec_b64 s[2:3], vcc
	s_cbranch_execnz .LBB98_62
.LBB98_45:
	s_or_b64 exec, exec, s[2:3]
	v_cmp_gt_i32_e32 vcc, s20, v0
	s_and_saveexec_b64 s[2:3], vcc
	s_cbranch_execnz .LBB98_63
.LBB98_46:
	s_or_b64 exec, exec, s[2:3]
	v_cmp_gt_i32_e32 vcc, s20, v0
	s_and_saveexec_b64 s[2:3], vcc
	s_cbranch_execnz .LBB98_64
.LBB98_47:
	s_or_b64 exec, exec, s[2:3]
	v_cmp_gt_i32_e32 vcc, s20, v0
	s_and_saveexec_b64 s[2:3], vcc
	s_cbranch_execnz .LBB98_65
.LBB98_48:
	s_or_b64 exec, exec, s[2:3]
	v_cmp_gt_i32_e32 vcc, s20, v0
	s_and_saveexec_b64 s[2:3], vcc
	s_cbranch_execnz .LBB98_66
.LBB98_49:
	s_or_b64 exec, exec, s[2:3]
	v_cmp_gt_i32_e32 vcc, s20, v0
	s_and_saveexec_b64 s[2:3], vcc
	s_cbranch_execnz .LBB98_67
.LBB98_50:
	s_or_b64 exec, exec, s[2:3]
	v_cmp_gt_i32_e32 vcc, s20, v0
	s_and_saveexec_b64 s[2:3], vcc
	s_cbranch_execz .LBB98_52
.LBB98_51:
	s_waitcnt vmcnt(0)
	v_cmp_eq_f32_e32 vcc, v30, v34
	v_cndmask_b32_e64 v1, 0, 1, vcc
	v_cmp_neq_f32_e32 vcc, v30, v34
	v_cndmask_b32_e64 v2, 0, 1, vcc
	v_cndmask_b32_e64 v1, v2, v1, s[0:1]
	v_and_b32_e32 v1, 1, v1
	v_add_u32_e32 v0, s14, v0
	global_store_byte v0, v1, s[16:17]
.LBB98_52:
	s_endpgm
.LBB98_53:
	s_waitcnt vmcnt(0)
	v_cmp_eq_f32_e32 vcc, v2, v4
	v_cndmask_b32_e64 v13, 0, 1, vcc
	v_cmp_neq_f32_e32 vcc, v2, v4
	v_cndmask_b32_e64 v2, 0, 1, vcc
	v_cndmask_b32_e64 v2, v2, v13, s[0:1]
	v_or_b32_e32 v0, 0x100, v0
	v_and_b32_e32 v2, 1, v2
	global_store_byte v1, v2, s[16:17]
	s_or_b64 exec, exec, s[2:3]
	v_cmp_gt_i32_e32 vcc, s20, v0
	s_and_saveexec_b64 s[2:3], vcc
	s_cbranch_execz .LBB98_37
.LBB98_54:
	s_waitcnt vmcnt(0)
	v_cmp_eq_f32_e32 vcc, v3, v6
	v_cndmask_b32_e64 v1, 0, 1, vcc
	v_cmp_neq_f32_e32 vcc, v3, v6
	v_cndmask_b32_e64 v2, 0, 1, vcc
	v_cndmask_b32_e64 v1, v2, v1, s[0:1]
	v_and_b32_e32 v1, 1, v1
	v_add_u32_e32 v2, s14, v0
	v_add_u32_e32 v0, 0x100, v0
	global_store_byte v2, v1, s[16:17]
	s_or_b64 exec, exec, s[2:3]
	v_cmp_gt_i32_e32 vcc, s20, v0
	s_and_saveexec_b64 s[2:3], vcc
	s_cbranch_execz .LBB98_38
.LBB98_55:
	s_waitcnt vmcnt(0)
	v_cmp_eq_f32_e32 vcc, v7, v8
	v_cndmask_b32_e64 v1, 0, 1, vcc
	v_cmp_neq_f32_e32 vcc, v7, v8
	v_cndmask_b32_e64 v2, 0, 1, vcc
	v_cndmask_b32_e64 v1, v2, v1, s[0:1]
	v_and_b32_e32 v1, 1, v1
	v_add_u32_e32 v2, s14, v0
	v_add_u32_e32 v0, 0x100, v0
	global_store_byte v2, v1, s[16:17]
	s_or_b64 exec, exec, s[2:3]
	v_cmp_gt_i32_e32 vcc, s20, v0
	s_and_saveexec_b64 s[2:3], vcc
	s_cbranch_execz .LBB98_39
.LBB98_56:
	s_waitcnt vmcnt(0)
	v_cmp_eq_f32_e32 vcc, v5, v10
	v_cndmask_b32_e64 v1, 0, 1, vcc
	v_cmp_neq_f32_e32 vcc, v5, v10
	v_cndmask_b32_e64 v2, 0, 1, vcc
	v_cndmask_b32_e64 v1, v2, v1, s[0:1]
	v_and_b32_e32 v1, 1, v1
	v_add_u32_e32 v2, s14, v0
	v_add_u32_e32 v0, 0x100, v0
	global_store_byte v2, v1, s[16:17]
	s_or_b64 exec, exec, s[2:3]
	v_cmp_gt_i32_e32 vcc, s20, v0
	s_and_saveexec_b64 s[2:3], vcc
	s_cbranch_execz .LBB98_40
.LBB98_57:
	s_waitcnt vmcnt(0)
	v_cmp_eq_f32_e32 vcc, v11, v12
	v_cndmask_b32_e64 v1, 0, 1, vcc
	v_cmp_neq_f32_e32 vcc, v11, v12
	v_cndmask_b32_e64 v2, 0, 1, vcc
	v_cndmask_b32_e64 v1, v2, v1, s[0:1]
	v_and_b32_e32 v1, 1, v1
	v_add_u32_e32 v2, s14, v0
	v_add_u32_e32 v0, 0x100, v0
	global_store_byte v2, v1, s[16:17]
	s_or_b64 exec, exec, s[2:3]
	v_cmp_gt_i32_e32 vcc, s20, v0
	s_and_saveexec_b64 s[2:3], vcc
	s_cbranch_execz .LBB98_41
.LBB98_58:
	s_waitcnt vmcnt(0)
	v_cmp_eq_f32_e32 vcc, v9, v15
	v_cndmask_b32_e64 v1, 0, 1, vcc
	v_cmp_neq_f32_e32 vcc, v9, v15
	v_cndmask_b32_e64 v2, 0, 1, vcc
	v_cndmask_b32_e64 v1, v2, v1, s[0:1]
	v_and_b32_e32 v1, 1, v1
	v_add_u32_e32 v2, s14, v0
	v_add_u32_e32 v0, 0x100, v0
	global_store_byte v2, v1, s[16:17]
	s_or_b64 exec, exec, s[2:3]
	v_cmp_gt_i32_e32 vcc, s20, v0
	s_and_saveexec_b64 s[2:3], vcc
	s_cbranch_execz .LBB98_42
.LBB98_59:
	s_waitcnt vmcnt(0)
	v_cmp_eq_f32_e32 vcc, v16, v17
	v_cndmask_b32_e64 v1, 0, 1, vcc
	v_cmp_neq_f32_e32 vcc, v16, v17
	v_cndmask_b32_e64 v2, 0, 1, vcc
	v_cndmask_b32_e64 v1, v2, v1, s[0:1]
	v_and_b32_e32 v1, 1, v1
	v_add_u32_e32 v2, s14, v0
	v_add_u32_e32 v0, 0x100, v0
	global_store_byte v2, v1, s[16:17]
	s_or_b64 exec, exec, s[2:3]
	v_cmp_gt_i32_e32 vcc, s20, v0
	s_and_saveexec_b64 s[2:3], vcc
	s_cbranch_execz .LBB98_43
.LBB98_60:
	s_waitcnt vmcnt(0)
	v_cmp_eq_f32_e32 vcc, v14, v19
	v_cndmask_b32_e64 v1, 0, 1, vcc
	v_cmp_neq_f32_e32 vcc, v14, v19
	v_cndmask_b32_e64 v2, 0, 1, vcc
	v_cndmask_b32_e64 v1, v2, v1, s[0:1]
	v_and_b32_e32 v1, 1, v1
	v_add_u32_e32 v2, s14, v0
	v_add_u32_e32 v0, 0x100, v0
	global_store_byte v2, v1, s[16:17]
	s_or_b64 exec, exec, s[2:3]
	v_cmp_gt_i32_e32 vcc, s20, v0
	s_and_saveexec_b64 s[2:3], vcc
	s_cbranch_execz .LBB98_44
.LBB98_61:
	s_waitcnt vmcnt(0)
	v_cmp_eq_f32_e32 vcc, v20, v21
	v_cndmask_b32_e64 v1, 0, 1, vcc
	v_cmp_neq_f32_e32 vcc, v20, v21
	v_cndmask_b32_e64 v2, 0, 1, vcc
	v_cndmask_b32_e64 v1, v2, v1, s[0:1]
	v_and_b32_e32 v1, 1, v1
	v_add_u32_e32 v2, s14, v0
	v_add_u32_e32 v0, 0x100, v0
	global_store_byte v2, v1, s[16:17]
	s_or_b64 exec, exec, s[2:3]
	v_cmp_gt_i32_e32 vcc, s20, v0
	s_and_saveexec_b64 s[2:3], vcc
	s_cbranch_execz .LBB98_45
.LBB98_62:
	s_waitcnt vmcnt(0)
	v_cmp_eq_f32_e32 vcc, v18, v23
	v_cndmask_b32_e64 v1, 0, 1, vcc
	v_cmp_neq_f32_e32 vcc, v18, v23
	v_cndmask_b32_e64 v2, 0, 1, vcc
	v_cndmask_b32_e64 v1, v2, v1, s[0:1]
	v_and_b32_e32 v1, 1, v1
	v_add_u32_e32 v2, s14, v0
	v_add_u32_e32 v0, 0x100, v0
	global_store_byte v2, v1, s[16:17]
	s_or_b64 exec, exec, s[2:3]
	v_cmp_gt_i32_e32 vcc, s20, v0
	s_and_saveexec_b64 s[2:3], vcc
	s_cbranch_execz .LBB98_46
.LBB98_63:
	s_waitcnt vmcnt(0)
	v_cmp_eq_f32_e32 vcc, v24, v25
	v_cndmask_b32_e64 v1, 0, 1, vcc
	v_cmp_neq_f32_e32 vcc, v24, v25
	v_cndmask_b32_e64 v2, 0, 1, vcc
	v_cndmask_b32_e64 v1, v2, v1, s[0:1]
	v_and_b32_e32 v1, 1, v1
	v_add_u32_e32 v2, s14, v0
	v_add_u32_e32 v0, 0x100, v0
	global_store_byte v2, v1, s[16:17]
	s_or_b64 exec, exec, s[2:3]
	v_cmp_gt_i32_e32 vcc, s20, v0
	s_and_saveexec_b64 s[2:3], vcc
	s_cbranch_execz .LBB98_47
.LBB98_64:
	s_waitcnt vmcnt(0)
	v_cmp_eq_f32_e32 vcc, v22, v27
	v_cndmask_b32_e64 v1, 0, 1, vcc
	v_cmp_neq_f32_e32 vcc, v22, v27
	v_cndmask_b32_e64 v2, 0, 1, vcc
	v_cndmask_b32_e64 v1, v2, v1, s[0:1]
	v_and_b32_e32 v1, 1, v1
	v_add_u32_e32 v2, s14, v0
	v_add_u32_e32 v0, 0x100, v0
	global_store_byte v2, v1, s[16:17]
	s_or_b64 exec, exec, s[2:3]
	v_cmp_gt_i32_e32 vcc, s20, v0
	s_and_saveexec_b64 s[2:3], vcc
	s_cbranch_execz .LBB98_48
.LBB98_65:
	s_waitcnt vmcnt(0)
	v_cmp_eq_f32_e32 vcc, v28, v29
	v_cndmask_b32_e64 v1, 0, 1, vcc
	v_cmp_neq_f32_e32 vcc, v28, v29
	v_cndmask_b32_e64 v2, 0, 1, vcc
	v_cndmask_b32_e64 v1, v2, v1, s[0:1]
	v_and_b32_e32 v1, 1, v1
	v_add_u32_e32 v2, s14, v0
	v_add_u32_e32 v0, 0x100, v0
	global_store_byte v2, v1, s[16:17]
	s_or_b64 exec, exec, s[2:3]
	v_cmp_gt_i32_e32 vcc, s20, v0
	s_and_saveexec_b64 s[2:3], vcc
	s_cbranch_execz .LBB98_49
.LBB98_66:
	s_waitcnt vmcnt(0)
	v_cmp_eq_f32_e32 vcc, v26, v31
	v_cndmask_b32_e64 v1, 0, 1, vcc
	v_cmp_neq_f32_e32 vcc, v26, v31
	v_cndmask_b32_e64 v2, 0, 1, vcc
	v_cndmask_b32_e64 v1, v2, v1, s[0:1]
	v_and_b32_e32 v1, 1, v1
	v_add_u32_e32 v2, s14, v0
	v_add_u32_e32 v0, 0x100, v0
	global_store_byte v2, v1, s[16:17]
	s_or_b64 exec, exec, s[2:3]
	v_cmp_gt_i32_e32 vcc, s20, v0
	s_and_saveexec_b64 s[2:3], vcc
	s_cbranch_execz .LBB98_50
.LBB98_67:
	s_waitcnt vmcnt(0)
	v_cmp_eq_f32_e32 vcc, v32, v33
	v_cndmask_b32_e64 v1, 0, 1, vcc
	v_cmp_neq_f32_e32 vcc, v32, v33
	v_cndmask_b32_e64 v2, 0, 1, vcc
	v_cndmask_b32_e64 v1, v2, v1, s[0:1]
	v_and_b32_e32 v1, 1, v1
	v_add_u32_e32 v2, s14, v0
	v_add_u32_e32 v0, 0x100, v0
	global_store_byte v2, v1, s[16:17]
	s_or_b64 exec, exec, s[2:3]
	v_cmp_gt_i32_e32 vcc, s20, v0
	s_and_saveexec_b64 s[2:3], vcc
	s_cbranch_execnz .LBB98_51
	s_branch .LBB98_52
	.section	.rodata,"a",@progbits
	.p2align	6, 0x0
	.amdhsa_kernel _ZN2at6native29vectorized_elementwise_kernelILi4ENS0_13BinaryFunctorIffbNS0_12_GLOBAL__N_116CompareEqFunctorIfEEEESt5arrayIPcLm3EEEEviT0_T1_
		.amdhsa_group_segment_fixed_size 0
		.amdhsa_private_segment_fixed_size 0
		.amdhsa_kernarg_size 32
		.amdhsa_user_sgpr_count 6
		.amdhsa_user_sgpr_private_segment_buffer 1
		.amdhsa_user_sgpr_dispatch_ptr 0
		.amdhsa_user_sgpr_queue_ptr 0
		.amdhsa_user_sgpr_kernarg_segment_ptr 1
		.amdhsa_user_sgpr_dispatch_id 0
		.amdhsa_user_sgpr_flat_scratch_init 0
		.amdhsa_user_sgpr_private_segment_size 0
		.amdhsa_uses_dynamic_stack 0
		.amdhsa_system_sgpr_private_segment_wavefront_offset 0
		.amdhsa_system_sgpr_workgroup_id_x 1
		.amdhsa_system_sgpr_workgroup_id_y 0
		.amdhsa_system_sgpr_workgroup_id_z 0
		.amdhsa_system_sgpr_workgroup_info 0
		.amdhsa_system_vgpr_workitem_id 0
		.amdhsa_next_free_vgpr 40
		.amdhsa_next_free_sgpr 24
		.amdhsa_reserve_vcc 1
		.amdhsa_reserve_flat_scratch 0
		.amdhsa_float_round_mode_32 0
		.amdhsa_float_round_mode_16_64 0
		.amdhsa_float_denorm_mode_32 3
		.amdhsa_float_denorm_mode_16_64 3
		.amdhsa_dx10_clamp 1
		.amdhsa_ieee_mode 1
		.amdhsa_fp16_overflow 0
		.amdhsa_exception_fp_ieee_invalid_op 0
		.amdhsa_exception_fp_denorm_src 0
		.amdhsa_exception_fp_ieee_div_zero 0
		.amdhsa_exception_fp_ieee_overflow 0
		.amdhsa_exception_fp_ieee_underflow 0
		.amdhsa_exception_fp_ieee_inexact 0
		.amdhsa_exception_int_div_zero 0
	.end_amdhsa_kernel
	.section	.text._ZN2at6native29vectorized_elementwise_kernelILi4ENS0_13BinaryFunctorIffbNS0_12_GLOBAL__N_116CompareEqFunctorIfEEEESt5arrayIPcLm3EEEEviT0_T1_,"axG",@progbits,_ZN2at6native29vectorized_elementwise_kernelILi4ENS0_13BinaryFunctorIffbNS0_12_GLOBAL__N_116CompareEqFunctorIfEEEESt5arrayIPcLm3EEEEviT0_T1_,comdat
.Lfunc_end98:
	.size	_ZN2at6native29vectorized_elementwise_kernelILi4ENS0_13BinaryFunctorIffbNS0_12_GLOBAL__N_116CompareEqFunctorIfEEEESt5arrayIPcLm3EEEEviT0_T1_, .Lfunc_end98-_ZN2at6native29vectorized_elementwise_kernelILi4ENS0_13BinaryFunctorIffbNS0_12_GLOBAL__N_116CompareEqFunctorIfEEEESt5arrayIPcLm3EEEEviT0_T1_
                                        ; -- End function
	.set _ZN2at6native29vectorized_elementwise_kernelILi4ENS0_13BinaryFunctorIffbNS0_12_GLOBAL__N_116CompareEqFunctorIfEEEESt5arrayIPcLm3EEEEviT0_T1_.num_vgpr, 40
	.set _ZN2at6native29vectorized_elementwise_kernelILi4ENS0_13BinaryFunctorIffbNS0_12_GLOBAL__N_116CompareEqFunctorIfEEEESt5arrayIPcLm3EEEEviT0_T1_.num_agpr, 0
	.set _ZN2at6native29vectorized_elementwise_kernelILi4ENS0_13BinaryFunctorIffbNS0_12_GLOBAL__N_116CompareEqFunctorIfEEEESt5arrayIPcLm3EEEEviT0_T1_.numbered_sgpr, 24
	.set _ZN2at6native29vectorized_elementwise_kernelILi4ENS0_13BinaryFunctorIffbNS0_12_GLOBAL__N_116CompareEqFunctorIfEEEESt5arrayIPcLm3EEEEviT0_T1_.num_named_barrier, 0
	.set _ZN2at6native29vectorized_elementwise_kernelILi4ENS0_13BinaryFunctorIffbNS0_12_GLOBAL__N_116CompareEqFunctorIfEEEESt5arrayIPcLm3EEEEviT0_T1_.private_seg_size, 0
	.set _ZN2at6native29vectorized_elementwise_kernelILi4ENS0_13BinaryFunctorIffbNS0_12_GLOBAL__N_116CompareEqFunctorIfEEEESt5arrayIPcLm3EEEEviT0_T1_.uses_vcc, 1
	.set _ZN2at6native29vectorized_elementwise_kernelILi4ENS0_13BinaryFunctorIffbNS0_12_GLOBAL__N_116CompareEqFunctorIfEEEESt5arrayIPcLm3EEEEviT0_T1_.uses_flat_scratch, 0
	.set _ZN2at6native29vectorized_elementwise_kernelILi4ENS0_13BinaryFunctorIffbNS0_12_GLOBAL__N_116CompareEqFunctorIfEEEESt5arrayIPcLm3EEEEviT0_T1_.has_dyn_sized_stack, 0
	.set _ZN2at6native29vectorized_elementwise_kernelILi4ENS0_13BinaryFunctorIffbNS0_12_GLOBAL__N_116CompareEqFunctorIfEEEESt5arrayIPcLm3EEEEviT0_T1_.has_recursion, 0
	.set _ZN2at6native29vectorized_elementwise_kernelILi4ENS0_13BinaryFunctorIffbNS0_12_GLOBAL__N_116CompareEqFunctorIfEEEESt5arrayIPcLm3EEEEviT0_T1_.has_indirect_call, 0
	.section	.AMDGPU.csdata,"",@progbits
; Kernel info:
; codeLenInByte = 4392
; TotalNumSgprs: 28
; NumVgprs: 40
; ScratchSize: 0
; MemoryBound: 0
; FloatMode: 240
; IeeeMode: 1
; LDSByteSize: 0 bytes/workgroup (compile time only)
; SGPRBlocks: 3
; VGPRBlocks: 9
; NumSGPRsForWavesPerEU: 28
; NumVGPRsForWavesPerEU: 40
; Occupancy: 6
; WaveLimiterHint : 1
; COMPUTE_PGM_RSRC2:SCRATCH_EN: 0
; COMPUTE_PGM_RSRC2:USER_SGPR: 6
; COMPUTE_PGM_RSRC2:TRAP_HANDLER: 0
; COMPUTE_PGM_RSRC2:TGID_X_EN: 1
; COMPUTE_PGM_RSRC2:TGID_Y_EN: 0
; COMPUTE_PGM_RSRC2:TGID_Z_EN: 0
; COMPUTE_PGM_RSRC2:TIDIG_COMP_CNT: 0
	.section	.text._ZN2at6native29vectorized_elementwise_kernelILi2ENS0_13BinaryFunctorIffbNS0_12_GLOBAL__N_116CompareEqFunctorIfEEEESt5arrayIPcLm3EEEEviT0_T1_,"axG",@progbits,_ZN2at6native29vectorized_elementwise_kernelILi2ENS0_13BinaryFunctorIffbNS0_12_GLOBAL__N_116CompareEqFunctorIfEEEESt5arrayIPcLm3EEEEviT0_T1_,comdat
	.globl	_ZN2at6native29vectorized_elementwise_kernelILi2ENS0_13BinaryFunctorIffbNS0_12_GLOBAL__N_116CompareEqFunctorIfEEEESt5arrayIPcLm3EEEEviT0_T1_ ; -- Begin function _ZN2at6native29vectorized_elementwise_kernelILi2ENS0_13BinaryFunctorIffbNS0_12_GLOBAL__N_116CompareEqFunctorIfEEEESt5arrayIPcLm3EEEEviT0_T1_
	.p2align	8
	.type	_ZN2at6native29vectorized_elementwise_kernelILi2ENS0_13BinaryFunctorIffbNS0_12_GLOBAL__N_116CompareEqFunctorIfEEEESt5arrayIPcLm3EEEEviT0_T1_,@function
_ZN2at6native29vectorized_elementwise_kernelILi2ENS0_13BinaryFunctorIffbNS0_12_GLOBAL__N_116CompareEqFunctorIfEEEESt5arrayIPcLm3EEEEviT0_T1_: ; @_ZN2at6native29vectorized_elementwise_kernelILi2ENS0_13BinaryFunctorIffbNS0_12_GLOBAL__N_116CompareEqFunctorIfEEEESt5arrayIPcLm3EEEEviT0_T1_
; %bb.0:
	s_load_dwordx2 s[12:13], s[4:5], 0x0
	s_load_dwordx4 s[8:11], s[4:5], 0x8
	s_load_dwordx2 s[14:15], s[4:5], 0x18
	s_lshl_b32 s6, s6, 12
	s_mov_b64 s[0:1], -1
	s_waitcnt lgkmcnt(0)
	s_sub_i32 s12, s12, s6
	s_cmpk_gt_i32 s12, 0xfff
	s_cbranch_scc0 .LBB99_2
; %bb.1:
	s_ashr_i32 s7, s6, 31
	s_lshl_b64 s[0:1], s[6:7], 2
	s_add_u32 s2, s10, s0
	s_addc_u32 s3, s11, s1
	v_lshlrev_b32_e32 v12, 3, v0
	s_add_u32 s4, s14, s0
	s_addc_u32 s5, s15, s1
	global_load_dwordx2 v[1:2], v12, s[2:3]
	global_load_dwordx2 v[3:4], v12, s[4:5]
	global_load_dwordx2 v[7:8], v12, s[4:5] offset:2048
	global_load_dwordx2 v[9:10], v12, s[2:3] offset:2048
	v_mov_b32_e32 v5, s3
	v_add_co_u32_e32 v13, vcc, s2, v12
	v_addc_co_u32_e32 v28, vcc, 0, v5, vcc
	v_add_co_u32_e32 v5, vcc, 0x1000, v13
	v_addc_co_u32_e32 v6, vcc, 0, v28, vcc
	v_add_co_u32_e32 v11, vcc, 0x2000, v13
	v_mov_b32_e32 v14, s5
	v_add_co_u32_e64 v32, s[2:3], s4, v12
	s_movk_i32 s16, 0x1000
	s_mov_b64 s[0:1], vcc
	v_add_co_u32_e32 v13, vcc, 0x3000, v13
	v_addc_co_u32_e64 v33, s[2:3], 0, v14, s[2:3]
	s_movk_i32 s17, 0x2000
	s_mov_b64 s[2:3], vcc
	v_add_co_u32_e32 v14, vcc, s16, v32
	s_mov_b64 s[4:5], vcc
	v_add_co_u32_e32 v16, vcc, s17, v32
	v_addc_co_u32_e32 v17, vcc, 0, v33, vcc
	global_load_dwordx2 v[18:19], v[16:17], off offset:-4096
	global_load_dwordx2 v[20:21], v[5:6], off
	global_load_dwordx2 v[22:23], v[5:6], off offset:2048
	v_addc_co_u32_e64 v15, vcc, 0, v33, s[4:5]
	global_load_dwordx2 v[5:6], v[14:15], off offset:2048
	v_addc_co_u32_e64 v12, vcc, 0, v28, s[0:1]
	global_load_dwordx2 v[24:25], v[11:12], off
	global_load_dwordx2 v[26:27], v[16:17], off
	v_addc_co_u32_e64 v14, vcc, 0, v28, s[2:3]
	global_load_dwordx2 v[11:12], v[11:12], off offset:2048
	s_nop 0
	global_load_dwordx2 v[28:29], v[13:14], off
	global_load_dwordx2 v[30:31], v[13:14], off offset:2048
	s_movk_i32 s0, 0x3000
	global_load_dwordx2 v[15:16], v[16:17], off offset:2048
	v_add_co_u32_e32 v13, vcc, s0, v32
	v_addc_co_u32_e32 v14, vcc, 0, v33, vcc
	global_load_dwordx2 v[32:33], v[13:14], off
	global_load_dwordx2 v[34:35], v[13:14], off offset:2048
	s_cmp_eq_u32 s13, 0
	v_mov_b32_e32 v36, 0x100
	s_waitcnt vmcnt(14)
	v_cmp_eq_f32_e32 vcc, v1, v3
	v_cndmask_b32_e64 v13, 0, 1, vcc
	v_cmp_neq_f32_e32 vcc, v1, v3
	v_cndmask_b32_e64 v1, 0, 1, vcc
	v_cmp_neq_f32_e32 vcc, v2, v4
	v_cndmask_b32_e64 v3, 0, 1, vcc
	s_waitcnt vmcnt(12)
	v_cmp_eq_f32_e32 vcc, v9, v7
	v_cmp_eq_f32_e64 s[0:1], v2, v4
	v_cndmask_b32_e64 v4, 0, 1, vcc
	v_cmp_neq_f32_e32 vcc, v9, v7
	v_cndmask_b32_e64 v2, 0, 1, s[0:1]
	v_cndmask_b32_e64 v7, 0, 1, vcc
	s_cselect_b64 vcc, -1, 0
	v_cndmask_b32_e32 v2, v3, v2, vcc
	v_and_b32_e32 v2, 1, v2
	v_cndmask_b32_e32 v1, v1, v13, vcc
	v_cmp_eq_u32_e64 s[0:1], 1, v2
	v_and_b32_e32 v1, 1, v1
	v_cndmask_b32_e64 v2, 0, v36, s[0:1]
	v_cmp_eq_f32_e64 s[0:1], v10, v8
	v_or_b32_e32 v1, v2, v1
	v_cndmask_b32_e64 v2, 0, 1, s[0:1]
	v_cmp_neq_f32_e64 s[0:1], v10, v8
	v_cndmask_b32_e32 v3, v7, v4, vcc
	v_cndmask_b32_e64 v4, 0, 1, s[0:1]
	v_cndmask_b32_e32 v2, v4, v2, vcc
	v_and_b32_e32 v2, 1, v2
	v_cmp_eq_u32_e64 s[0:1], 1, v2
	v_and_b32_e32 v3, 1, v3
	v_cndmask_b32_e64 v2, 0, v36, s[0:1]
	s_waitcnt vmcnt(10)
	v_cmp_eq_f32_e64 s[0:1], v20, v18
	v_or_b32_e32 v2, v2, v3
	v_cndmask_b32_e64 v3, 0, 1, s[0:1]
	v_cmp_neq_f32_e64 s[0:1], v20, v18
	v_cndmask_b32_e64 v4, 0, 1, s[0:1]
	v_cmp_eq_f32_e64 s[0:1], v21, v19
	v_cndmask_b32_e32 v3, v4, v3, vcc
	v_cndmask_b32_e64 v4, 0, 1, s[0:1]
	v_cmp_neq_f32_e64 s[0:1], v21, v19
	v_cndmask_b32_e64 v7, 0, 1, s[0:1]
	v_cndmask_b32_e32 v4, v7, v4, vcc
	v_and_b32_e32 v4, 1, v4
	v_cmp_eq_u32_e64 s[0:1], 1, v4
	v_and_b32_e32 v3, 1, v3
	v_cndmask_b32_e64 v4, 0, v36, s[0:1]
	s_waitcnt vmcnt(8)
	v_cmp_eq_f32_e64 s[0:1], v22, v5
	v_or_b32_e32 v3, v4, v3
	v_cndmask_b32_e64 v4, 0, 1, s[0:1]
	v_cmp_neq_f32_e64 s[0:1], v22, v5
	v_cndmask_b32_e64 v5, 0, 1, s[0:1]
	v_cmp_eq_f32_e64 s[0:1], v23, v6
	v_cndmask_b32_e32 v4, v5, v4, vcc
	v_cndmask_b32_e64 v5, 0, 1, s[0:1]
	v_cmp_neq_f32_e64 s[0:1], v23, v6
	;; [unrolled: 16-line block ×6, first 2 shown]
	v_cndmask_b32_e64 v10, 0, 1, s[0:1]
	v_cndmask_b32_e32 v9, v10, v9, vcc
	v_and_b32_e32 v9, 1, v9
	v_cmp_eq_u32_e32 vcc, 1, v9
	v_and_b32_e32 v8, 1, v8
	v_cndmask_b32_e32 v9, 0, v36, vcc
	s_add_u32 s0, s8, s6
	v_or_b32_e32 v8, v9, v8
	s_addc_u32 s1, s9, s7
	v_lshlrev_b32_e32 v9, 1, v0
	global_store_short v9, v1, s[0:1]
	global_store_short v9, v2, s[0:1] offset:512
	global_store_short v9, v3, s[0:1] offset:1024
	global_store_short v9, v4, s[0:1] offset:1536
	global_store_short v9, v5, s[0:1] offset:2048
	global_store_short v9, v6, s[0:1] offset:2560
	global_store_short v9, v7, s[0:1] offset:3072
	global_store_short v9, v8, s[0:1] offset:3584
	s_mov_b64 s[0:1], 0
.LBB99_2:
	s_andn2_b64 vcc, exec, s[0:1]
	s_cbranch_vccnz .LBB99_52
; %bb.3:
	v_cmp_gt_i32_e32 vcc, s12, v0
	v_mov_b32_e32 v3, 0
	v_or_b32_e32 v1, s6, v0
	v_mov_b32_e32 v2, 0
	v_mov_b32_e32 v4, 0
	;; [unrolled: 1-line block ×3, first 2 shown]
	s_and_saveexec_b64 s[2:3], vcc
	s_cbranch_execz .LBB99_5
; %bb.4:
	v_mov_b32_e32 v2, 0
	v_lshlrev_b64 v[4:5], 2, v[1:2]
	v_mov_b32_e32 v2, s15
	v_add_co_u32_e64 v6, s[0:1], s14, v4
	v_addc_co_u32_e64 v7, s[0:1], v2, v5, s[0:1]
	v_mov_b32_e32 v2, s11
	v_add_co_u32_e64 v8, s[0:1], s10, v4
	v_addc_co_u32_e64 v9, s[0:1], v2, v5, s[0:1]
	global_load_dword v2, v[8:9], off
	global_load_dword v4, v[6:7], off
	v_or_b32_e32 v13, 0x100, v0
.LBB99_5:
	s_or_b64 exec, exec, s[2:3]
	v_cmp_gt_i32_e64 s[0:1], s12, v13
	v_mov_b32_e32 v6, 0
	s_and_saveexec_b64 s[2:3], s[0:1]
	s_cbranch_execz .LBB99_7
; %bb.6:
	v_add_u32_e32 v5, s6, v13
	v_mov_b32_e32 v6, 0
	v_lshlrev_b64 v[5:6], 2, v[5:6]
	v_mov_b32_e32 v3, s15
	v_add_co_u32_e64 v7, s[0:1], s14, v5
	v_addc_co_u32_e64 v8, s[0:1], v3, v6, s[0:1]
	v_mov_b32_e32 v3, s11
	v_add_co_u32_e64 v9, s[0:1], s10, v5
	v_addc_co_u32_e64 v10, s[0:1], v3, v6, s[0:1]
	global_load_dword v3, v[9:10], off
	global_load_dword v6, v[7:8], off
	v_add_u32_e32 v13, 0x100, v13
.LBB99_7:
	s_or_b64 exec, exec, s[2:3]
	v_cmp_gt_i32_e64 s[0:1], s12, v13
	v_mov_b32_e32 v5, 0
	v_mov_b32_e32 v7, 0
	v_mov_b32_e32 v8, 0
	s_and_saveexec_b64 s[2:3], s[0:1]
	s_cbranch_execz .LBB99_9
; %bb.8:
	v_add_u32_e32 v7, s6, v13
	v_mov_b32_e32 v8, 0
	v_lshlrev_b64 v[7:8], 2, v[7:8]
	v_mov_b32_e32 v10, s15
	v_add_co_u32_e64 v9, s[0:1], s14, v7
	v_addc_co_u32_e64 v10, s[0:1], v10, v8, s[0:1]
	v_mov_b32_e32 v12, s11
	v_add_co_u32_e64 v11, s[0:1], s10, v7
	v_addc_co_u32_e64 v12, s[0:1], v12, v8, s[0:1]
	global_load_dword v7, v[11:12], off
	global_load_dword v8, v[9:10], off
	v_add_u32_e32 v13, 0x100, v13
.LBB99_9:
	s_or_b64 exec, exec, s[2:3]
	v_cmp_gt_i32_e64 s[0:1], s12, v13
	v_mov_b32_e32 v10, 0
	s_and_saveexec_b64 s[2:3], s[0:1]
	s_cbranch_execz .LBB99_11
; %bb.10:
	v_add_u32_e32 v9, s6, v13
	v_mov_b32_e32 v10, 0
	v_lshlrev_b64 v[9:10], 2, v[9:10]
	v_mov_b32_e32 v5, s15
	v_add_co_u32_e64 v11, s[0:1], s14, v9
	v_addc_co_u32_e64 v12, s[0:1], v5, v10, s[0:1]
	v_mov_b32_e32 v5, s11
	v_add_co_u32_e64 v14, s[0:1], s10, v9
	v_addc_co_u32_e64 v15, s[0:1], v5, v10, s[0:1]
	global_load_dword v5, v[14:15], off
	global_load_dword v10, v[11:12], off
	v_add_u32_e32 v13, 0x100, v13
.LBB99_11:
	s_or_b64 exec, exec, s[2:3]
	v_cmp_gt_i32_e64 s[0:1], s12, v13
	v_mov_b32_e32 v9, 0
	v_mov_b32_e32 v11, 0
	v_mov_b32_e32 v12, 0
	s_and_saveexec_b64 s[2:3], s[0:1]
	s_cbranch_execz .LBB99_13
; %bb.12:
	v_add_u32_e32 v11, s6, v13
	v_mov_b32_e32 v12, 0
	v_lshlrev_b64 v[11:12], 2, v[11:12]
	v_mov_b32_e32 v15, s15
	v_add_co_u32_e64 v14, s[0:1], s14, v11
	v_addc_co_u32_e64 v15, s[0:1], v15, v12, s[0:1]
	v_mov_b32_e32 v17, s11
	v_add_co_u32_e64 v16, s[0:1], s10, v11
	v_addc_co_u32_e64 v17, s[0:1], v17, v12, s[0:1]
	global_load_dword v11, v[16:17], off
	global_load_dword v12, v[14:15], off
	v_add_u32_e32 v13, 0x100, v13
.LBB99_13:
	;; [unrolled: 40-line block ×7, first 2 shown]
	s_or_b64 exec, exec, s[2:3]
	v_cmp_gt_i32_e64 s[0:1], s12, v13
	v_mov_b32_e32 v34, 0
	s_and_saveexec_b64 s[2:3], s[0:1]
	s_cbranch_execz .LBB99_35
; %bb.34:
	v_add_u32_e32 v34, s6, v13
	v_mov_b32_e32 v35, 0
	v_lshlrev_b64 v[34:35], 2, v[34:35]
	v_mov_b32_e32 v13, s15
	v_add_co_u32_e64 v36, s[0:1], s14, v34
	v_addc_co_u32_e64 v37, s[0:1], v13, v35, s[0:1]
	v_mov_b32_e32 v13, s11
	v_add_co_u32_e64 v38, s[0:1], s10, v34
	v_addc_co_u32_e64 v39, s[0:1], v13, v35, s[0:1]
	global_load_dword v30, v[38:39], off
	global_load_dword v34, v[36:37], off
.LBB99_35:
	s_or_b64 exec, exec, s[2:3]
	s_cmp_eq_u32 s13, 0
	s_cselect_b64 s[0:1], -1, 0
	s_and_saveexec_b64 s[2:3], vcc
	s_cbranch_execnz .LBB99_53
; %bb.36:
	s_or_b64 exec, exec, s[2:3]
	v_cmp_gt_i32_e32 vcc, s12, v0
	s_and_saveexec_b64 s[2:3], vcc
	s_cbranch_execnz .LBB99_54
.LBB99_37:
	s_or_b64 exec, exec, s[2:3]
	v_cmp_gt_i32_e32 vcc, s12, v0
	s_and_saveexec_b64 s[2:3], vcc
	s_cbranch_execnz .LBB99_55
.LBB99_38:
	s_or_b64 exec, exec, s[2:3]
	v_cmp_gt_i32_e32 vcc, s12, v0
	s_and_saveexec_b64 s[2:3], vcc
	s_cbranch_execnz .LBB99_56
.LBB99_39:
	s_or_b64 exec, exec, s[2:3]
	v_cmp_gt_i32_e32 vcc, s12, v0
	s_and_saveexec_b64 s[2:3], vcc
	s_cbranch_execnz .LBB99_57
.LBB99_40:
	s_or_b64 exec, exec, s[2:3]
	v_cmp_gt_i32_e32 vcc, s12, v0
	s_and_saveexec_b64 s[2:3], vcc
	s_cbranch_execnz .LBB99_58
.LBB99_41:
	s_or_b64 exec, exec, s[2:3]
	v_cmp_gt_i32_e32 vcc, s12, v0
	s_and_saveexec_b64 s[2:3], vcc
	s_cbranch_execnz .LBB99_59
.LBB99_42:
	s_or_b64 exec, exec, s[2:3]
	v_cmp_gt_i32_e32 vcc, s12, v0
	s_and_saveexec_b64 s[2:3], vcc
	s_cbranch_execnz .LBB99_60
.LBB99_43:
	s_or_b64 exec, exec, s[2:3]
	v_cmp_gt_i32_e32 vcc, s12, v0
	s_and_saveexec_b64 s[2:3], vcc
	s_cbranch_execnz .LBB99_61
.LBB99_44:
	s_or_b64 exec, exec, s[2:3]
	v_cmp_gt_i32_e32 vcc, s12, v0
	s_and_saveexec_b64 s[2:3], vcc
	s_cbranch_execnz .LBB99_62
.LBB99_45:
	s_or_b64 exec, exec, s[2:3]
	v_cmp_gt_i32_e32 vcc, s12, v0
	s_and_saveexec_b64 s[2:3], vcc
	s_cbranch_execnz .LBB99_63
.LBB99_46:
	s_or_b64 exec, exec, s[2:3]
	v_cmp_gt_i32_e32 vcc, s12, v0
	s_and_saveexec_b64 s[2:3], vcc
	s_cbranch_execnz .LBB99_64
.LBB99_47:
	s_or_b64 exec, exec, s[2:3]
	v_cmp_gt_i32_e32 vcc, s12, v0
	s_and_saveexec_b64 s[2:3], vcc
	s_cbranch_execnz .LBB99_65
.LBB99_48:
	s_or_b64 exec, exec, s[2:3]
	v_cmp_gt_i32_e32 vcc, s12, v0
	s_and_saveexec_b64 s[2:3], vcc
	s_cbranch_execnz .LBB99_66
.LBB99_49:
	s_or_b64 exec, exec, s[2:3]
	v_cmp_gt_i32_e32 vcc, s12, v0
	s_and_saveexec_b64 s[2:3], vcc
	s_cbranch_execnz .LBB99_67
.LBB99_50:
	s_or_b64 exec, exec, s[2:3]
	v_cmp_gt_i32_e32 vcc, s12, v0
	s_and_saveexec_b64 s[2:3], vcc
	s_cbranch_execz .LBB99_52
.LBB99_51:
	s_waitcnt vmcnt(0)
	v_cmp_eq_f32_e32 vcc, v30, v34
	v_cndmask_b32_e64 v1, 0, 1, vcc
	v_cmp_neq_f32_e32 vcc, v30, v34
	v_cndmask_b32_e64 v2, 0, 1, vcc
	v_cndmask_b32_e64 v1, v2, v1, s[0:1]
	v_and_b32_e32 v1, 1, v1
	v_add_u32_e32 v0, s6, v0
	global_store_byte v0, v1, s[8:9]
.LBB99_52:
	s_endpgm
.LBB99_53:
	s_waitcnt vmcnt(0)
	v_cmp_eq_f32_e32 vcc, v2, v4
	v_cndmask_b32_e64 v13, 0, 1, vcc
	v_cmp_neq_f32_e32 vcc, v2, v4
	v_cndmask_b32_e64 v2, 0, 1, vcc
	v_cndmask_b32_e64 v2, v2, v13, s[0:1]
	v_or_b32_e32 v0, 0x100, v0
	v_and_b32_e32 v2, 1, v2
	global_store_byte v1, v2, s[8:9]
	s_or_b64 exec, exec, s[2:3]
	v_cmp_gt_i32_e32 vcc, s12, v0
	s_and_saveexec_b64 s[2:3], vcc
	s_cbranch_execz .LBB99_37
.LBB99_54:
	s_waitcnt vmcnt(0)
	v_cmp_eq_f32_e32 vcc, v3, v6
	v_cndmask_b32_e64 v1, 0, 1, vcc
	v_cmp_neq_f32_e32 vcc, v3, v6
	v_cndmask_b32_e64 v2, 0, 1, vcc
	v_cndmask_b32_e64 v1, v2, v1, s[0:1]
	v_and_b32_e32 v1, 1, v1
	v_add_u32_e32 v2, s6, v0
	v_add_u32_e32 v0, 0x100, v0
	global_store_byte v2, v1, s[8:9]
	s_or_b64 exec, exec, s[2:3]
	v_cmp_gt_i32_e32 vcc, s12, v0
	s_and_saveexec_b64 s[2:3], vcc
	s_cbranch_execz .LBB99_38
.LBB99_55:
	s_waitcnt vmcnt(0)
	v_cmp_eq_f32_e32 vcc, v7, v8
	v_cndmask_b32_e64 v1, 0, 1, vcc
	v_cmp_neq_f32_e32 vcc, v7, v8
	v_cndmask_b32_e64 v2, 0, 1, vcc
	v_cndmask_b32_e64 v1, v2, v1, s[0:1]
	v_and_b32_e32 v1, 1, v1
	v_add_u32_e32 v2, s6, v0
	v_add_u32_e32 v0, 0x100, v0
	global_store_byte v2, v1, s[8:9]
	s_or_b64 exec, exec, s[2:3]
	v_cmp_gt_i32_e32 vcc, s12, v0
	s_and_saveexec_b64 s[2:3], vcc
	s_cbranch_execz .LBB99_39
.LBB99_56:
	s_waitcnt vmcnt(0)
	v_cmp_eq_f32_e32 vcc, v5, v10
	v_cndmask_b32_e64 v1, 0, 1, vcc
	v_cmp_neq_f32_e32 vcc, v5, v10
	v_cndmask_b32_e64 v2, 0, 1, vcc
	v_cndmask_b32_e64 v1, v2, v1, s[0:1]
	v_and_b32_e32 v1, 1, v1
	v_add_u32_e32 v2, s6, v0
	v_add_u32_e32 v0, 0x100, v0
	global_store_byte v2, v1, s[8:9]
	s_or_b64 exec, exec, s[2:3]
	v_cmp_gt_i32_e32 vcc, s12, v0
	s_and_saveexec_b64 s[2:3], vcc
	s_cbranch_execz .LBB99_40
.LBB99_57:
	s_waitcnt vmcnt(0)
	v_cmp_eq_f32_e32 vcc, v11, v12
	v_cndmask_b32_e64 v1, 0, 1, vcc
	v_cmp_neq_f32_e32 vcc, v11, v12
	v_cndmask_b32_e64 v2, 0, 1, vcc
	v_cndmask_b32_e64 v1, v2, v1, s[0:1]
	v_and_b32_e32 v1, 1, v1
	v_add_u32_e32 v2, s6, v0
	v_add_u32_e32 v0, 0x100, v0
	global_store_byte v2, v1, s[8:9]
	s_or_b64 exec, exec, s[2:3]
	v_cmp_gt_i32_e32 vcc, s12, v0
	s_and_saveexec_b64 s[2:3], vcc
	s_cbranch_execz .LBB99_41
.LBB99_58:
	s_waitcnt vmcnt(0)
	v_cmp_eq_f32_e32 vcc, v9, v15
	v_cndmask_b32_e64 v1, 0, 1, vcc
	v_cmp_neq_f32_e32 vcc, v9, v15
	v_cndmask_b32_e64 v2, 0, 1, vcc
	v_cndmask_b32_e64 v1, v2, v1, s[0:1]
	v_and_b32_e32 v1, 1, v1
	v_add_u32_e32 v2, s6, v0
	v_add_u32_e32 v0, 0x100, v0
	global_store_byte v2, v1, s[8:9]
	s_or_b64 exec, exec, s[2:3]
	v_cmp_gt_i32_e32 vcc, s12, v0
	s_and_saveexec_b64 s[2:3], vcc
	s_cbranch_execz .LBB99_42
.LBB99_59:
	s_waitcnt vmcnt(0)
	v_cmp_eq_f32_e32 vcc, v16, v17
	v_cndmask_b32_e64 v1, 0, 1, vcc
	v_cmp_neq_f32_e32 vcc, v16, v17
	v_cndmask_b32_e64 v2, 0, 1, vcc
	v_cndmask_b32_e64 v1, v2, v1, s[0:1]
	v_and_b32_e32 v1, 1, v1
	v_add_u32_e32 v2, s6, v0
	v_add_u32_e32 v0, 0x100, v0
	global_store_byte v2, v1, s[8:9]
	s_or_b64 exec, exec, s[2:3]
	v_cmp_gt_i32_e32 vcc, s12, v0
	s_and_saveexec_b64 s[2:3], vcc
	s_cbranch_execz .LBB99_43
.LBB99_60:
	s_waitcnt vmcnt(0)
	v_cmp_eq_f32_e32 vcc, v14, v19
	v_cndmask_b32_e64 v1, 0, 1, vcc
	v_cmp_neq_f32_e32 vcc, v14, v19
	v_cndmask_b32_e64 v2, 0, 1, vcc
	v_cndmask_b32_e64 v1, v2, v1, s[0:1]
	v_and_b32_e32 v1, 1, v1
	v_add_u32_e32 v2, s6, v0
	v_add_u32_e32 v0, 0x100, v0
	global_store_byte v2, v1, s[8:9]
	s_or_b64 exec, exec, s[2:3]
	v_cmp_gt_i32_e32 vcc, s12, v0
	s_and_saveexec_b64 s[2:3], vcc
	s_cbranch_execz .LBB99_44
.LBB99_61:
	s_waitcnt vmcnt(0)
	v_cmp_eq_f32_e32 vcc, v20, v21
	v_cndmask_b32_e64 v1, 0, 1, vcc
	v_cmp_neq_f32_e32 vcc, v20, v21
	v_cndmask_b32_e64 v2, 0, 1, vcc
	v_cndmask_b32_e64 v1, v2, v1, s[0:1]
	v_and_b32_e32 v1, 1, v1
	v_add_u32_e32 v2, s6, v0
	v_add_u32_e32 v0, 0x100, v0
	global_store_byte v2, v1, s[8:9]
	s_or_b64 exec, exec, s[2:3]
	v_cmp_gt_i32_e32 vcc, s12, v0
	s_and_saveexec_b64 s[2:3], vcc
	s_cbranch_execz .LBB99_45
.LBB99_62:
	s_waitcnt vmcnt(0)
	v_cmp_eq_f32_e32 vcc, v18, v23
	v_cndmask_b32_e64 v1, 0, 1, vcc
	v_cmp_neq_f32_e32 vcc, v18, v23
	v_cndmask_b32_e64 v2, 0, 1, vcc
	v_cndmask_b32_e64 v1, v2, v1, s[0:1]
	v_and_b32_e32 v1, 1, v1
	v_add_u32_e32 v2, s6, v0
	v_add_u32_e32 v0, 0x100, v0
	global_store_byte v2, v1, s[8:9]
	s_or_b64 exec, exec, s[2:3]
	v_cmp_gt_i32_e32 vcc, s12, v0
	s_and_saveexec_b64 s[2:3], vcc
	s_cbranch_execz .LBB99_46
.LBB99_63:
	s_waitcnt vmcnt(0)
	v_cmp_eq_f32_e32 vcc, v24, v25
	v_cndmask_b32_e64 v1, 0, 1, vcc
	v_cmp_neq_f32_e32 vcc, v24, v25
	v_cndmask_b32_e64 v2, 0, 1, vcc
	v_cndmask_b32_e64 v1, v2, v1, s[0:1]
	v_and_b32_e32 v1, 1, v1
	v_add_u32_e32 v2, s6, v0
	v_add_u32_e32 v0, 0x100, v0
	global_store_byte v2, v1, s[8:9]
	s_or_b64 exec, exec, s[2:3]
	v_cmp_gt_i32_e32 vcc, s12, v0
	s_and_saveexec_b64 s[2:3], vcc
	s_cbranch_execz .LBB99_47
.LBB99_64:
	s_waitcnt vmcnt(0)
	v_cmp_eq_f32_e32 vcc, v22, v27
	v_cndmask_b32_e64 v1, 0, 1, vcc
	v_cmp_neq_f32_e32 vcc, v22, v27
	v_cndmask_b32_e64 v2, 0, 1, vcc
	v_cndmask_b32_e64 v1, v2, v1, s[0:1]
	v_and_b32_e32 v1, 1, v1
	v_add_u32_e32 v2, s6, v0
	v_add_u32_e32 v0, 0x100, v0
	global_store_byte v2, v1, s[8:9]
	s_or_b64 exec, exec, s[2:3]
	v_cmp_gt_i32_e32 vcc, s12, v0
	s_and_saveexec_b64 s[2:3], vcc
	s_cbranch_execz .LBB99_48
.LBB99_65:
	s_waitcnt vmcnt(0)
	v_cmp_eq_f32_e32 vcc, v28, v29
	v_cndmask_b32_e64 v1, 0, 1, vcc
	v_cmp_neq_f32_e32 vcc, v28, v29
	v_cndmask_b32_e64 v2, 0, 1, vcc
	v_cndmask_b32_e64 v1, v2, v1, s[0:1]
	v_and_b32_e32 v1, 1, v1
	v_add_u32_e32 v2, s6, v0
	v_add_u32_e32 v0, 0x100, v0
	global_store_byte v2, v1, s[8:9]
	s_or_b64 exec, exec, s[2:3]
	v_cmp_gt_i32_e32 vcc, s12, v0
	s_and_saveexec_b64 s[2:3], vcc
	s_cbranch_execz .LBB99_49
.LBB99_66:
	s_waitcnt vmcnt(0)
	v_cmp_eq_f32_e32 vcc, v26, v31
	v_cndmask_b32_e64 v1, 0, 1, vcc
	v_cmp_neq_f32_e32 vcc, v26, v31
	v_cndmask_b32_e64 v2, 0, 1, vcc
	v_cndmask_b32_e64 v1, v2, v1, s[0:1]
	v_and_b32_e32 v1, 1, v1
	v_add_u32_e32 v2, s6, v0
	v_add_u32_e32 v0, 0x100, v0
	global_store_byte v2, v1, s[8:9]
	s_or_b64 exec, exec, s[2:3]
	v_cmp_gt_i32_e32 vcc, s12, v0
	s_and_saveexec_b64 s[2:3], vcc
	s_cbranch_execz .LBB99_50
.LBB99_67:
	s_waitcnt vmcnt(0)
	v_cmp_eq_f32_e32 vcc, v32, v33
	v_cndmask_b32_e64 v1, 0, 1, vcc
	v_cmp_neq_f32_e32 vcc, v32, v33
	v_cndmask_b32_e64 v2, 0, 1, vcc
	v_cndmask_b32_e64 v1, v2, v1, s[0:1]
	v_and_b32_e32 v1, 1, v1
	v_add_u32_e32 v2, s6, v0
	v_add_u32_e32 v0, 0x100, v0
	global_store_byte v2, v1, s[8:9]
	s_or_b64 exec, exec, s[2:3]
	v_cmp_gt_i32_e32 vcc, s12, v0
	s_and_saveexec_b64 s[2:3], vcc
	s_cbranch_execnz .LBB99_51
	s_branch .LBB99_52
	.section	.rodata,"a",@progbits
	.p2align	6, 0x0
	.amdhsa_kernel _ZN2at6native29vectorized_elementwise_kernelILi2ENS0_13BinaryFunctorIffbNS0_12_GLOBAL__N_116CompareEqFunctorIfEEEESt5arrayIPcLm3EEEEviT0_T1_
		.amdhsa_group_segment_fixed_size 0
		.amdhsa_private_segment_fixed_size 0
		.amdhsa_kernarg_size 32
		.amdhsa_user_sgpr_count 6
		.amdhsa_user_sgpr_private_segment_buffer 1
		.amdhsa_user_sgpr_dispatch_ptr 0
		.amdhsa_user_sgpr_queue_ptr 0
		.amdhsa_user_sgpr_kernarg_segment_ptr 1
		.amdhsa_user_sgpr_dispatch_id 0
		.amdhsa_user_sgpr_flat_scratch_init 0
		.amdhsa_user_sgpr_private_segment_size 0
		.amdhsa_uses_dynamic_stack 0
		.amdhsa_system_sgpr_private_segment_wavefront_offset 0
		.amdhsa_system_sgpr_workgroup_id_x 1
		.amdhsa_system_sgpr_workgroup_id_y 0
		.amdhsa_system_sgpr_workgroup_id_z 0
		.amdhsa_system_sgpr_workgroup_info 0
		.amdhsa_system_vgpr_workitem_id 0
		.amdhsa_next_free_vgpr 40
		.amdhsa_next_free_sgpr 18
		.amdhsa_reserve_vcc 1
		.amdhsa_reserve_flat_scratch 0
		.amdhsa_float_round_mode_32 0
		.amdhsa_float_round_mode_16_64 0
		.amdhsa_float_denorm_mode_32 3
		.amdhsa_float_denorm_mode_16_64 3
		.amdhsa_dx10_clamp 1
		.amdhsa_ieee_mode 1
		.amdhsa_fp16_overflow 0
		.amdhsa_exception_fp_ieee_invalid_op 0
		.amdhsa_exception_fp_denorm_src 0
		.amdhsa_exception_fp_ieee_div_zero 0
		.amdhsa_exception_fp_ieee_overflow 0
		.amdhsa_exception_fp_ieee_underflow 0
		.amdhsa_exception_fp_ieee_inexact 0
		.amdhsa_exception_int_div_zero 0
	.end_amdhsa_kernel
	.section	.text._ZN2at6native29vectorized_elementwise_kernelILi2ENS0_13BinaryFunctorIffbNS0_12_GLOBAL__N_116CompareEqFunctorIfEEEESt5arrayIPcLm3EEEEviT0_T1_,"axG",@progbits,_ZN2at6native29vectorized_elementwise_kernelILi2ENS0_13BinaryFunctorIffbNS0_12_GLOBAL__N_116CompareEqFunctorIfEEEESt5arrayIPcLm3EEEEviT0_T1_,comdat
.Lfunc_end99:
	.size	_ZN2at6native29vectorized_elementwise_kernelILi2ENS0_13BinaryFunctorIffbNS0_12_GLOBAL__N_116CompareEqFunctorIfEEEESt5arrayIPcLm3EEEEviT0_T1_, .Lfunc_end99-_ZN2at6native29vectorized_elementwise_kernelILi2ENS0_13BinaryFunctorIffbNS0_12_GLOBAL__N_116CompareEqFunctorIfEEEESt5arrayIPcLm3EEEEviT0_T1_
                                        ; -- End function
	.set _ZN2at6native29vectorized_elementwise_kernelILi2ENS0_13BinaryFunctorIffbNS0_12_GLOBAL__N_116CompareEqFunctorIfEEEESt5arrayIPcLm3EEEEviT0_T1_.num_vgpr, 40
	.set _ZN2at6native29vectorized_elementwise_kernelILi2ENS0_13BinaryFunctorIffbNS0_12_GLOBAL__N_116CompareEqFunctorIfEEEESt5arrayIPcLm3EEEEviT0_T1_.num_agpr, 0
	.set _ZN2at6native29vectorized_elementwise_kernelILi2ENS0_13BinaryFunctorIffbNS0_12_GLOBAL__N_116CompareEqFunctorIfEEEESt5arrayIPcLm3EEEEviT0_T1_.numbered_sgpr, 18
	.set _ZN2at6native29vectorized_elementwise_kernelILi2ENS0_13BinaryFunctorIffbNS0_12_GLOBAL__N_116CompareEqFunctorIfEEEESt5arrayIPcLm3EEEEviT0_T1_.num_named_barrier, 0
	.set _ZN2at6native29vectorized_elementwise_kernelILi2ENS0_13BinaryFunctorIffbNS0_12_GLOBAL__N_116CompareEqFunctorIfEEEESt5arrayIPcLm3EEEEviT0_T1_.private_seg_size, 0
	.set _ZN2at6native29vectorized_elementwise_kernelILi2ENS0_13BinaryFunctorIffbNS0_12_GLOBAL__N_116CompareEqFunctorIfEEEESt5arrayIPcLm3EEEEviT0_T1_.uses_vcc, 1
	.set _ZN2at6native29vectorized_elementwise_kernelILi2ENS0_13BinaryFunctorIffbNS0_12_GLOBAL__N_116CompareEqFunctorIfEEEESt5arrayIPcLm3EEEEviT0_T1_.uses_flat_scratch, 0
	.set _ZN2at6native29vectorized_elementwise_kernelILi2ENS0_13BinaryFunctorIffbNS0_12_GLOBAL__N_116CompareEqFunctorIfEEEESt5arrayIPcLm3EEEEviT0_T1_.has_dyn_sized_stack, 0
	.set _ZN2at6native29vectorized_elementwise_kernelILi2ENS0_13BinaryFunctorIffbNS0_12_GLOBAL__N_116CompareEqFunctorIfEEEESt5arrayIPcLm3EEEEviT0_T1_.has_recursion, 0
	.set _ZN2at6native29vectorized_elementwise_kernelILi2ENS0_13BinaryFunctorIffbNS0_12_GLOBAL__N_116CompareEqFunctorIfEEEESt5arrayIPcLm3EEEEviT0_T1_.has_indirect_call, 0
	.section	.AMDGPU.csdata,"",@progbits
; Kernel info:
; codeLenInByte = 4416
; TotalNumSgprs: 22
; NumVgprs: 40
; ScratchSize: 0
; MemoryBound: 0
; FloatMode: 240
; IeeeMode: 1
; LDSByteSize: 0 bytes/workgroup (compile time only)
; SGPRBlocks: 2
; VGPRBlocks: 9
; NumSGPRsForWavesPerEU: 22
; NumVGPRsForWavesPerEU: 40
; Occupancy: 6
; WaveLimiterHint : 1
; COMPUTE_PGM_RSRC2:SCRATCH_EN: 0
; COMPUTE_PGM_RSRC2:USER_SGPR: 6
; COMPUTE_PGM_RSRC2:TRAP_HANDLER: 0
; COMPUTE_PGM_RSRC2:TGID_X_EN: 1
; COMPUTE_PGM_RSRC2:TGID_Y_EN: 0
; COMPUTE_PGM_RSRC2:TGID_Z_EN: 0
; COMPUTE_PGM_RSRC2:TIDIG_COMP_CNT: 0
	.section	.text._ZN2at6native27unrolled_elementwise_kernelINS0_13BinaryFunctorIffbNS0_12_GLOBAL__N_116CompareEqFunctorIfEEEESt5arrayIPcLm3EELi4E23TrivialOffsetCalculatorILi2EjESA_ILi1EjENS0_6memory15LoadWithoutCastENSD_16StoreWithoutCastEEEviT_T0_T2_T3_T4_T5_,"axG",@progbits,_ZN2at6native27unrolled_elementwise_kernelINS0_13BinaryFunctorIffbNS0_12_GLOBAL__N_116CompareEqFunctorIfEEEESt5arrayIPcLm3EELi4E23TrivialOffsetCalculatorILi2EjESA_ILi1EjENS0_6memory15LoadWithoutCastENSD_16StoreWithoutCastEEEviT_T0_T2_T3_T4_T5_,comdat
	.globl	_ZN2at6native27unrolled_elementwise_kernelINS0_13BinaryFunctorIffbNS0_12_GLOBAL__N_116CompareEqFunctorIfEEEESt5arrayIPcLm3EELi4E23TrivialOffsetCalculatorILi2EjESA_ILi1EjENS0_6memory15LoadWithoutCastENSD_16StoreWithoutCastEEEviT_T0_T2_T3_T4_T5_ ; -- Begin function _ZN2at6native27unrolled_elementwise_kernelINS0_13BinaryFunctorIffbNS0_12_GLOBAL__N_116CompareEqFunctorIfEEEESt5arrayIPcLm3EELi4E23TrivialOffsetCalculatorILi2EjESA_ILi1EjENS0_6memory15LoadWithoutCastENSD_16StoreWithoutCastEEEviT_T0_T2_T3_T4_T5_
	.p2align	8
	.type	_ZN2at6native27unrolled_elementwise_kernelINS0_13BinaryFunctorIffbNS0_12_GLOBAL__N_116CompareEqFunctorIfEEEESt5arrayIPcLm3EELi4E23TrivialOffsetCalculatorILi2EjESA_ILi1EjENS0_6memory15LoadWithoutCastENSD_16StoreWithoutCastEEEviT_T0_T2_T3_T4_T5_,@function
_ZN2at6native27unrolled_elementwise_kernelINS0_13BinaryFunctorIffbNS0_12_GLOBAL__N_116CompareEqFunctorIfEEEESt5arrayIPcLm3EELi4E23TrivialOffsetCalculatorILi2EjESA_ILi1EjENS0_6memory15LoadWithoutCastENSD_16StoreWithoutCastEEEviT_T0_T2_T3_T4_T5_: ; @_ZN2at6native27unrolled_elementwise_kernelINS0_13BinaryFunctorIffbNS0_12_GLOBAL__N_116CompareEqFunctorIfEEEESt5arrayIPcLm3EELi4E23TrivialOffsetCalculatorILi2EjESA_ILi1EjENS0_6memory15LoadWithoutCastENSD_16StoreWithoutCastEEEviT_T0_T2_T3_T4_T5_
; %bb.0:
	s_load_dwordx2 s[2:3], s[4:5], 0x0
	s_load_dwordx4 s[8:11], s[4:5], 0x8
	s_load_dwordx2 s[12:13], s[4:5], 0x18
	s_lshl_b32 s6, s6, 10
	v_mov_b32_e32 v3, 0
	s_waitcnt lgkmcnt(0)
	s_sub_i32 s7, s2, s6
	v_cmp_gt_i32_e32 vcc, s7, v0
	v_or_b32_e32 v1, s6, v0
	v_mov_b32_e32 v2, 0
	v_mov_b32_e32 v4, 0
	;; [unrolled: 1-line block ×3, first 2 shown]
	s_and_saveexec_b64 s[4:5], vcc
	s_cbranch_execz .LBB100_2
; %bb.1:
	v_mov_b32_e32 v2, 0
	v_lshlrev_b64 v[4:5], 2, v[1:2]
	v_mov_b32_e32 v2, s11
	v_add_co_u32_e64 v6, s[0:1], s10, v4
	v_addc_co_u32_e64 v7, s[0:1], v2, v5, s[0:1]
	v_mov_b32_e32 v2, s13
	v_add_co_u32_e64 v8, s[0:1], s12, v4
	v_addc_co_u32_e64 v9, s[0:1], v2, v5, s[0:1]
	global_load_dword v2, v[6:7], off
	global_load_dword v4, v[8:9], off
	v_or_b32_e32 v6, 0x100, v0
.LBB100_2:
	s_or_b64 exec, exec, s[4:5]
	v_cmp_gt_i32_e64 s[0:1], s7, v6
	v_mov_b32_e32 v5, 0
	s_and_saveexec_b64 s[4:5], s[0:1]
	s_cbranch_execz .LBB100_4
; %bb.3:
	v_add_u32_e32 v7, s6, v6
	v_mov_b32_e32 v8, 0
	v_lshlrev_b64 v[7:8], 2, v[7:8]
	v_mov_b32_e32 v3, s11
	v_add_co_u32_e64 v9, s[0:1], s10, v7
	v_addc_co_u32_e64 v10, s[0:1], v3, v8, s[0:1]
	v_mov_b32_e32 v3, s13
	v_add_co_u32_e64 v7, s[0:1], s12, v7
	v_addc_co_u32_e64 v8, s[0:1], v3, v8, s[0:1]
	global_load_dword v3, v[9:10], off
	global_load_dword v5, v[7:8], off
	v_add_u32_e32 v6, 0x100, v6
.LBB100_4:
	s_or_b64 exec, exec, s[4:5]
	v_cmp_gt_i32_e64 s[0:1], s7, v6
	v_mov_b32_e32 v7, 0
	v_mov_b32_e32 v8, 0
	;; [unrolled: 1-line block ×3, first 2 shown]
	s_and_saveexec_b64 s[4:5], s[0:1]
	s_cbranch_execz .LBB100_6
; %bb.5:
	v_add_u32_e32 v8, s6, v6
	v_mov_b32_e32 v9, 0
	v_lshlrev_b64 v[8:9], 2, v[8:9]
	v_mov_b32_e32 v11, s11
	v_add_co_u32_e64 v10, s[0:1], s10, v8
	v_addc_co_u32_e64 v11, s[0:1], v11, v9, s[0:1]
	v_mov_b32_e32 v13, s13
	v_add_co_u32_e64 v12, s[0:1], s12, v8
	v_addc_co_u32_e64 v13, s[0:1], v13, v9, s[0:1]
	global_load_dword v8, v[10:11], off
	global_load_dword v9, v[12:13], off
	v_add_u32_e32 v6, 0x100, v6
.LBB100_6:
	s_or_b64 exec, exec, s[4:5]
	v_cmp_gt_i32_e64 s[0:1], s7, v6
	v_mov_b32_e32 v10, 0
	s_and_saveexec_b64 s[4:5], s[0:1]
	s_cbranch_execz .LBB100_8
; %bb.7:
	v_add_u32_e32 v6, s6, v6
	v_mov_b32_e32 v7, 0
	v_lshlrev_b64 v[6:7], 2, v[6:7]
	v_mov_b32_e32 v10, s11
	v_add_co_u32_e64 v11, s[0:1], s10, v6
	v_addc_co_u32_e64 v12, s[0:1], v10, v7, s[0:1]
	v_mov_b32_e32 v10, s13
	v_add_co_u32_e64 v13, s[0:1], s12, v6
	v_addc_co_u32_e64 v14, s[0:1], v10, v7, s[0:1]
	global_load_dword v7, v[11:12], off
	global_load_dword v10, v[13:14], off
.LBB100_8:
	s_or_b64 exec, exec, s[4:5]
	s_waitcnt vmcnt(0)
	v_cmp_eq_f32_e64 s[0:1], v2, v4
	s_cmp_eq_u32 s3, 0
	v_cndmask_b32_e64 v6, 0, 1, s[0:1]
	v_cmp_neq_f32_e64 s[0:1], v2, v4
	v_cndmask_b32_e64 v2, 0, 1, s[0:1]
	s_cselect_b64 s[0:1], -1, 0
	v_cmp_eq_f32_e64 s[2:3], v3, v5
	v_cndmask_b32_e64 v2, v2, v6, s[0:1]
	v_cndmask_b32_e64 v6, 0, 1, s[2:3]
	v_cmp_neq_f32_e64 s[2:3], v3, v5
	v_cndmask_b32_e64 v3, 0, 1, s[2:3]
	v_cndmask_b32_e64 v4, 0, 1, vcc
	v_cndmask_b32_e64 v3, v3, v6, s[0:1]
	v_mov_b32_e32 v5, 1
	v_and_b32_e32 v2, v4, v2
	v_and_b32_sdwa v3, v3, v5 dst_sel:BYTE_1 dst_unused:UNUSED_PAD src0_sel:DWORD src1_sel:DWORD
	v_or_b32_e32 v4, 0x100, v0
	v_or_b32_e32 v3, v2, v3
	v_and_b32_e32 v3, 0xffff, v3
	v_cmp_gt_i32_e64 s[2:3], s7, v4
	v_cndmask_b32_e64 v2, v2, v3, s[2:3]
	v_cmp_eq_f32_e64 s[2:3], v8, v9
	v_cndmask_b32_e64 v6, 0, 1, s[2:3]
	v_cmp_neq_f32_e64 s[2:3], v8, v9
	v_cndmask_b32_e64 v8, 0, 1, s[2:3]
	v_cndmask_b32_e64 v6, v8, v6, s[0:1]
	v_or_b32_e32 v3, 0x200, v0
	v_and_b32_sdwa v6, v6, v5 dst_sel:WORD_1 dst_unused:UNUSED_PAD src0_sel:DWORD src1_sel:DWORD
	v_or_b32_e32 v6, v2, v6
	v_cmp_gt_i32_e64 s[2:3], s7, v3
	v_cndmask_b32_e64 v2, v2, v6, s[2:3]
	s_movk_i32 s2, 0xff
	v_and_b32_sdwa v3, v2, s2 dst_sel:DWORD dst_unused:UNUSED_PAD src0_sel:WORD_1 src1_sel:DWORD
	v_cmp_eq_f32_e64 s[2:3], v7, v10
	v_cndmask_b32_e64 v8, 0, 1, s[2:3]
	v_cmp_neq_f32_e64 s[2:3], v7, v10
	v_cndmask_b32_e64 v7, 0, 1, s[2:3]
	v_cndmask_b32_e64 v7, v7, v8, s[0:1]
	v_and_b32_sdwa v5, v7, v5 dst_sel:BYTE_1 dst_unused:UNUSED_PAD src0_sel:DWORD src1_sel:DWORD
	s_mov_b32 s4, 0xffff
	v_or_b32_e32 v6, 0x300, v0
	v_or_b32_sdwa v3, v3, v5 dst_sel:WORD_1 dst_unused:UNUSED_PAD src0_sel:DWORD src1_sel:DWORD
	v_and_or_b32 v3, v2, s4, v3
	v_cmp_gt_i32_e64 s[0:1], s7, v6
	v_cndmask_b32_e64 v2, v2, v3, s[0:1]
	s_and_saveexec_b64 s[0:1], vcc
	s_cbranch_execnz .LBB100_13
; %bb.9:
	s_or_b64 exec, exec, s[0:1]
	v_cmp_gt_i32_e32 vcc, s7, v0
	s_and_saveexec_b64 s[0:1], vcc
	s_cbranch_execnz .LBB100_14
.LBB100_10:
	s_or_b64 exec, exec, s[0:1]
	v_cmp_gt_i32_e32 vcc, s7, v0
	s_and_saveexec_b64 s[0:1], vcc
	s_cbranch_execnz .LBB100_15
.LBB100_11:
	s_or_b64 exec, exec, s[0:1]
	v_cmp_gt_i32_e32 vcc, s7, v0
	s_and_saveexec_b64 s[0:1], vcc
	s_cbranch_execnz .LBB100_16
.LBB100_12:
	s_endpgm
.LBB100_13:
	v_mov_b32_e32 v0, v4
	global_store_byte v1, v2, s[8:9]
	s_or_b64 exec, exec, s[0:1]
	v_cmp_gt_i32_e32 vcc, s7, v0
	s_and_saveexec_b64 s[0:1], vcc
	s_cbranch_execz .LBB100_10
.LBB100_14:
	v_add_u32_e32 v1, 0x100, v0
	v_add_u32_e32 v0, s6, v0
	v_lshrrev_b32_e32 v3, 8, v2
	global_store_byte v0, v3, s[8:9]
	v_mov_b32_e32 v0, v1
	s_or_b64 exec, exec, s[0:1]
	v_cmp_gt_i32_e32 vcc, s7, v0
	s_and_saveexec_b64 s[0:1], vcc
	s_cbranch_execz .LBB100_11
.LBB100_15:
	v_add_u32_e32 v1, 0x100, v0
	v_add_u32_e32 v0, s6, v0
	global_store_byte_d16_hi v0, v2, s[8:9]
	v_mov_b32_e32 v0, v1
	s_or_b64 exec, exec, s[0:1]
	v_cmp_gt_i32_e32 vcc, s7, v0
	s_and_saveexec_b64 s[0:1], vcc
	s_cbranch_execz .LBB100_12
.LBB100_16:
	v_add_u32_e32 v0, s6, v0
	v_lshrrev_b32_e32 v1, 24, v2
	global_store_byte v0, v1, s[8:9]
	s_endpgm
	.section	.rodata,"a",@progbits
	.p2align	6, 0x0
	.amdhsa_kernel _ZN2at6native27unrolled_elementwise_kernelINS0_13BinaryFunctorIffbNS0_12_GLOBAL__N_116CompareEqFunctorIfEEEESt5arrayIPcLm3EELi4E23TrivialOffsetCalculatorILi2EjESA_ILi1EjENS0_6memory15LoadWithoutCastENSD_16StoreWithoutCastEEEviT_T0_T2_T3_T4_T5_
		.amdhsa_group_segment_fixed_size 0
		.amdhsa_private_segment_fixed_size 0
		.amdhsa_kernarg_size 36
		.amdhsa_user_sgpr_count 6
		.amdhsa_user_sgpr_private_segment_buffer 1
		.amdhsa_user_sgpr_dispatch_ptr 0
		.amdhsa_user_sgpr_queue_ptr 0
		.amdhsa_user_sgpr_kernarg_segment_ptr 1
		.amdhsa_user_sgpr_dispatch_id 0
		.amdhsa_user_sgpr_flat_scratch_init 0
		.amdhsa_user_sgpr_private_segment_size 0
		.amdhsa_uses_dynamic_stack 0
		.amdhsa_system_sgpr_private_segment_wavefront_offset 0
		.amdhsa_system_sgpr_workgroup_id_x 1
		.amdhsa_system_sgpr_workgroup_id_y 0
		.amdhsa_system_sgpr_workgroup_id_z 0
		.amdhsa_system_sgpr_workgroup_info 0
		.amdhsa_system_vgpr_workitem_id 0
		.amdhsa_next_free_vgpr 15
		.amdhsa_next_free_sgpr 14
		.amdhsa_reserve_vcc 1
		.amdhsa_reserve_flat_scratch 0
		.amdhsa_float_round_mode_32 0
		.amdhsa_float_round_mode_16_64 0
		.amdhsa_float_denorm_mode_32 3
		.amdhsa_float_denorm_mode_16_64 3
		.amdhsa_dx10_clamp 1
		.amdhsa_ieee_mode 1
		.amdhsa_fp16_overflow 0
		.amdhsa_exception_fp_ieee_invalid_op 0
		.amdhsa_exception_fp_denorm_src 0
		.amdhsa_exception_fp_ieee_div_zero 0
		.amdhsa_exception_fp_ieee_overflow 0
		.amdhsa_exception_fp_ieee_underflow 0
		.amdhsa_exception_fp_ieee_inexact 0
		.amdhsa_exception_int_div_zero 0
	.end_amdhsa_kernel
	.section	.text._ZN2at6native27unrolled_elementwise_kernelINS0_13BinaryFunctorIffbNS0_12_GLOBAL__N_116CompareEqFunctorIfEEEESt5arrayIPcLm3EELi4E23TrivialOffsetCalculatorILi2EjESA_ILi1EjENS0_6memory15LoadWithoutCastENSD_16StoreWithoutCastEEEviT_T0_T2_T3_T4_T5_,"axG",@progbits,_ZN2at6native27unrolled_elementwise_kernelINS0_13BinaryFunctorIffbNS0_12_GLOBAL__N_116CompareEqFunctorIfEEEESt5arrayIPcLm3EELi4E23TrivialOffsetCalculatorILi2EjESA_ILi1EjENS0_6memory15LoadWithoutCastENSD_16StoreWithoutCastEEEviT_T0_T2_T3_T4_T5_,comdat
.Lfunc_end100:
	.size	_ZN2at6native27unrolled_elementwise_kernelINS0_13BinaryFunctorIffbNS0_12_GLOBAL__N_116CompareEqFunctorIfEEEESt5arrayIPcLm3EELi4E23TrivialOffsetCalculatorILi2EjESA_ILi1EjENS0_6memory15LoadWithoutCastENSD_16StoreWithoutCastEEEviT_T0_T2_T3_T4_T5_, .Lfunc_end100-_ZN2at6native27unrolled_elementwise_kernelINS0_13BinaryFunctorIffbNS0_12_GLOBAL__N_116CompareEqFunctorIfEEEESt5arrayIPcLm3EELi4E23TrivialOffsetCalculatorILi2EjESA_ILi1EjENS0_6memory15LoadWithoutCastENSD_16StoreWithoutCastEEEviT_T0_T2_T3_T4_T5_
                                        ; -- End function
	.set _ZN2at6native27unrolled_elementwise_kernelINS0_13BinaryFunctorIffbNS0_12_GLOBAL__N_116CompareEqFunctorIfEEEESt5arrayIPcLm3EELi4E23TrivialOffsetCalculatorILi2EjESA_ILi1EjENS0_6memory15LoadWithoutCastENSD_16StoreWithoutCastEEEviT_T0_T2_T3_T4_T5_.num_vgpr, 15
	.set _ZN2at6native27unrolled_elementwise_kernelINS0_13BinaryFunctorIffbNS0_12_GLOBAL__N_116CompareEqFunctorIfEEEESt5arrayIPcLm3EELi4E23TrivialOffsetCalculatorILi2EjESA_ILi1EjENS0_6memory15LoadWithoutCastENSD_16StoreWithoutCastEEEviT_T0_T2_T3_T4_T5_.num_agpr, 0
	.set _ZN2at6native27unrolled_elementwise_kernelINS0_13BinaryFunctorIffbNS0_12_GLOBAL__N_116CompareEqFunctorIfEEEESt5arrayIPcLm3EELi4E23TrivialOffsetCalculatorILi2EjESA_ILi1EjENS0_6memory15LoadWithoutCastENSD_16StoreWithoutCastEEEviT_T0_T2_T3_T4_T5_.numbered_sgpr, 14
	.set _ZN2at6native27unrolled_elementwise_kernelINS0_13BinaryFunctorIffbNS0_12_GLOBAL__N_116CompareEqFunctorIfEEEESt5arrayIPcLm3EELi4E23TrivialOffsetCalculatorILi2EjESA_ILi1EjENS0_6memory15LoadWithoutCastENSD_16StoreWithoutCastEEEviT_T0_T2_T3_T4_T5_.num_named_barrier, 0
	.set _ZN2at6native27unrolled_elementwise_kernelINS0_13BinaryFunctorIffbNS0_12_GLOBAL__N_116CompareEqFunctorIfEEEESt5arrayIPcLm3EELi4E23TrivialOffsetCalculatorILi2EjESA_ILi1EjENS0_6memory15LoadWithoutCastENSD_16StoreWithoutCastEEEviT_T0_T2_T3_T4_T5_.private_seg_size, 0
	.set _ZN2at6native27unrolled_elementwise_kernelINS0_13BinaryFunctorIffbNS0_12_GLOBAL__N_116CompareEqFunctorIfEEEESt5arrayIPcLm3EELi4E23TrivialOffsetCalculatorILi2EjESA_ILi1EjENS0_6memory15LoadWithoutCastENSD_16StoreWithoutCastEEEviT_T0_T2_T3_T4_T5_.uses_vcc, 1
	.set _ZN2at6native27unrolled_elementwise_kernelINS0_13BinaryFunctorIffbNS0_12_GLOBAL__N_116CompareEqFunctorIfEEEESt5arrayIPcLm3EELi4E23TrivialOffsetCalculatorILi2EjESA_ILi1EjENS0_6memory15LoadWithoutCastENSD_16StoreWithoutCastEEEviT_T0_T2_T3_T4_T5_.uses_flat_scratch, 0
	.set _ZN2at6native27unrolled_elementwise_kernelINS0_13BinaryFunctorIffbNS0_12_GLOBAL__N_116CompareEqFunctorIfEEEESt5arrayIPcLm3EELi4E23TrivialOffsetCalculatorILi2EjESA_ILi1EjENS0_6memory15LoadWithoutCastENSD_16StoreWithoutCastEEEviT_T0_T2_T3_T4_T5_.has_dyn_sized_stack, 0
	.set _ZN2at6native27unrolled_elementwise_kernelINS0_13BinaryFunctorIffbNS0_12_GLOBAL__N_116CompareEqFunctorIfEEEESt5arrayIPcLm3EELi4E23TrivialOffsetCalculatorILi2EjESA_ILi1EjENS0_6memory15LoadWithoutCastENSD_16StoreWithoutCastEEEviT_T0_T2_T3_T4_T5_.has_recursion, 0
	.set _ZN2at6native27unrolled_elementwise_kernelINS0_13BinaryFunctorIffbNS0_12_GLOBAL__N_116CompareEqFunctorIfEEEESt5arrayIPcLm3EELi4E23TrivialOffsetCalculatorILi2EjESA_ILi1EjENS0_6memory15LoadWithoutCastENSD_16StoreWithoutCastEEEviT_T0_T2_T3_T4_T5_.has_indirect_call, 0
	.section	.AMDGPU.csdata,"",@progbits
; Kernel info:
; codeLenInByte = 988
; TotalNumSgprs: 18
; NumVgprs: 15
; ScratchSize: 0
; MemoryBound: 0
; FloatMode: 240
; IeeeMode: 1
; LDSByteSize: 0 bytes/workgroup (compile time only)
; SGPRBlocks: 2
; VGPRBlocks: 3
; NumSGPRsForWavesPerEU: 18
; NumVGPRsForWavesPerEU: 15
; Occupancy: 10
; WaveLimiterHint : 0
; COMPUTE_PGM_RSRC2:SCRATCH_EN: 0
; COMPUTE_PGM_RSRC2:USER_SGPR: 6
; COMPUTE_PGM_RSRC2:TRAP_HANDLER: 0
; COMPUTE_PGM_RSRC2:TGID_X_EN: 1
; COMPUTE_PGM_RSRC2:TGID_Y_EN: 0
; COMPUTE_PGM_RSRC2:TGID_Z_EN: 0
; COMPUTE_PGM_RSRC2:TIDIG_COMP_CNT: 0
	.section	.text._ZN2at6native32elementwise_kernel_manual_unrollILi128ELi8EZNS0_22gpu_kernel_impl_nocastINS0_13BinaryFunctorIffbNS0_12_GLOBAL__N_116CompareEqFunctorIfEEEEEEvRNS_18TensorIteratorBaseERKT_EUlibE_EEviT1_,"axG",@progbits,_ZN2at6native32elementwise_kernel_manual_unrollILi128ELi8EZNS0_22gpu_kernel_impl_nocastINS0_13BinaryFunctorIffbNS0_12_GLOBAL__N_116CompareEqFunctorIfEEEEEEvRNS_18TensorIteratorBaseERKT_EUlibE_EEviT1_,comdat
	.globl	_ZN2at6native32elementwise_kernel_manual_unrollILi128ELi8EZNS0_22gpu_kernel_impl_nocastINS0_13BinaryFunctorIffbNS0_12_GLOBAL__N_116CompareEqFunctorIfEEEEEEvRNS_18TensorIteratorBaseERKT_EUlibE_EEviT1_ ; -- Begin function _ZN2at6native32elementwise_kernel_manual_unrollILi128ELi8EZNS0_22gpu_kernel_impl_nocastINS0_13BinaryFunctorIffbNS0_12_GLOBAL__N_116CompareEqFunctorIfEEEEEEvRNS_18TensorIteratorBaseERKT_EUlibE_EEviT1_
	.p2align	8
	.type	_ZN2at6native32elementwise_kernel_manual_unrollILi128ELi8EZNS0_22gpu_kernel_impl_nocastINS0_13BinaryFunctorIffbNS0_12_GLOBAL__N_116CompareEqFunctorIfEEEEEEvRNS_18TensorIteratorBaseERKT_EUlibE_EEviT1_,@function
_ZN2at6native32elementwise_kernel_manual_unrollILi128ELi8EZNS0_22gpu_kernel_impl_nocastINS0_13BinaryFunctorIffbNS0_12_GLOBAL__N_116CompareEqFunctorIfEEEEEEvRNS_18TensorIteratorBaseERKT_EUlibE_EEviT1_: ; @_ZN2at6native32elementwise_kernel_manual_unrollILi128ELi8EZNS0_22gpu_kernel_impl_nocastINS0_13BinaryFunctorIffbNS0_12_GLOBAL__N_116CompareEqFunctorIfEEEEEEvRNS_18TensorIteratorBaseERKT_EUlibE_EEviT1_
; %bb.0:
	s_load_dword s38, s[4:5], 0x0
	s_load_dword s33, s[4:5], 0x8
	s_add_u32 s2, s4, 8
	s_addc_u32 s3, s5, 0
	v_lshl_or_b32 v31, s6, 10, v0
	v_or_b32_e32 v41, 0x380, v31
	s_waitcnt lgkmcnt(0)
	s_add_i32 s36, s33, -1
	s_cmp_gt_u32 s36, 1
	v_cmp_le_i32_e32 vcc, s38, v41
	s_cselect_b64 s[16:17], -1, 0
	s_and_saveexec_b64 s[0:1], vcc
	s_xor_b64 s[18:19], exec, s[0:1]
	s_cbranch_execz .LBB101_106
; %bb.1:
	s_load_dwordx4 s[12:15], s[2:3], 0x4
	s_load_dwordx2 s[24:25], s[2:3], 0x14
	s_load_dwordx4 s[8:11], s[2:3], 0xc4
	s_load_dwordx2 s[22:23], s[2:3], 0xd4
	s_load_dword s0, s[2:3], 0x1a0
	s_cmp_lg_u32 s33, 0
	s_load_dwordx2 s[20:21], s[2:3], 0x198
	s_load_dwordx4 s[4:7], s[2:3], 0x188
	s_cselect_b64 s[28:29], -1, 0
	s_min_u32 s37, s36, 15
	s_cmp_gt_u32 s33, 1
	s_cselect_b64 s[26:27], -1, 0
	s_waitcnt lgkmcnt(0)
	s_cmp_eq_u32 s0, 0
	s_cselect_b64 s[0:1], -1, 0
	v_cmp_gt_i32_e32 vcc, s38, v31
	s_and_saveexec_b64 s[30:31], vcc
	s_cbranch_execnz .LBB101_9
; %bb.2:
	s_or_b64 exec, exec, s[30:31]
	v_cmp_gt_i32_e32 vcc, s38, v31
	s_and_saveexec_b64 s[30:31], vcc
	s_cbranch_execnz .LBB101_21
.LBB101_3:
	s_or_b64 exec, exec, s[30:31]
	v_cmp_gt_i32_e32 vcc, s38, v31
	s_and_saveexec_b64 s[30:31], vcc
	s_cbranch_execnz .LBB101_33
.LBB101_4:
	s_or_b64 exec, exec, s[30:31]
	v_cmp_gt_i32_e32 vcc, s38, v31
	s_and_saveexec_b64 s[30:31], vcc
	s_cbranch_execnz .LBB101_45
.LBB101_5:
	s_or_b64 exec, exec, s[30:31]
	v_cmp_gt_i32_e32 vcc, s38, v31
	s_and_saveexec_b64 s[30:31], vcc
	s_cbranch_execnz .LBB101_57
.LBB101_6:
	s_or_b64 exec, exec, s[30:31]
	v_cmp_gt_i32_e32 vcc, s38, v31
	s_and_saveexec_b64 s[30:31], vcc
	s_cbranch_execnz .LBB101_69
.LBB101_7:
	s_or_b64 exec, exec, s[30:31]
	v_cmp_gt_i32_e32 vcc, s38, v31
	s_and_saveexec_b64 s[30:31], vcc
	s_cbranch_execnz .LBB101_81
.LBB101_8:
	s_or_b64 exec, exec, s[30:31]
	v_cmp_gt_i32_e32 vcc, s38, v31
	s_and_saveexec_b64 s[30:31], vcc
	s_cbranch_execnz .LBB101_93
	s_branch .LBB101_105
.LBB101_9:
	s_andn2_b64 vcc, exec, s[16:17]
	s_cbranch_vccnz .LBB101_15
; %bb.10:
	s_andn2_b64 vcc, exec, s[28:29]
	s_cbranch_vccnz .LBB101_16
; %bb.11:
	s_add_i32 s34, s37, 1
	s_and_b32 s39, s34, 30
	s_add_u32 s34, s2, 0xffffffe8
	s_addc_u32 s35, s3, -1
	v_mov_b32_e32 v2, 0
	v_mov_b32_e32 v4, 0
	v_mov_b32_e32 v0, 0
	v_mov_b32_e32 v1, v31
.LBB101_12:                             ; =>This Inner Loop Header: Depth=1
	s_load_dwordx4 s[40:43], s[34:35], 0x1c
	s_load_dwordx2 s[48:49], s[34:35], 0x2c
	s_load_dwordx2 s[50:51], s[34:35], 0xec
	s_load_dwordx4 s[44:47], s[34:35], 0xdc
	s_add_u32 s34, s34, 24
	s_waitcnt lgkmcnt(0)
	v_mul_hi_u32 v3, s41, v1
	s_addc_u32 s35, s35, 0
	s_add_i32 s39, s39, -2
	s_cmp_lg_u32 s39, 0
	v_add_u32_e32 v3, v1, v3
	v_lshrrev_b32_e32 v3, s42, v3
	v_mul_lo_u32 v5, v3, s40
	v_mul_hi_u32 v6, s48, v3
	v_sub_u32_e32 v5, v1, v5
	v_add_u32_e32 v1, v3, v6
	v_lshrrev_b32_e32 v1, s49, v1
	v_mul_lo_u32 v8, v1, s43
	v_mul_lo_u32 v6, v5, s44
	;; [unrolled: 1-line block ×4, first 2 shown]
	v_sub_u32_e32 v3, v3, v8
	v_mul_lo_u32 v8, v3, s47
	v_mul_lo_u32 v9, v3, s50
	;; [unrolled: 1-line block ×3, first 2 shown]
	v_add3_u32 v0, v6, v0, v8
	v_add3_u32 v4, v7, v4, v9
	;; [unrolled: 1-line block ×3, first 2 shown]
	s_cbranch_scc1 .LBB101_12
; %bb.13:
	s_bitcmp1_b32 s37, 0
	s_cselect_b64 s[40:41], -1, 0
	s_and_b64 vcc, exec, s[40:41]
	s_cbranch_vccnz .LBB101_17
; %bb.14:
	s_load_dwordx2 s[40:41], s[34:35], 0x1c
	s_load_dword s39, s[34:35], 0x24
	s_load_dwordx2 s[42:43], s[34:35], 0xdc
	s_waitcnt lgkmcnt(0)
	v_mul_hi_u32 v3, s41, v1
	v_add_u32_e32 v3, v1, v3
	v_lshrrev_b32_e32 v3, s39, v3
	v_mul_lo_u32 v3, v3, s40
	s_load_dword s39, s[34:35], 0xe4
	v_sub_u32_e32 v3, v1, v3
	v_mad_u64_u32 v[0:1], s[34:35], v3, s42, v[0:1]
	v_mad_u64_u32 v[4:5], s[34:35], v3, s43, v[4:5]
	s_waitcnt lgkmcnt(0)
	v_mad_u64_u32 v[2:3], s[34:35], v3, s39, v[2:3]
	s_cbranch_execz .LBB101_18
	s_branch .LBB101_20
.LBB101_15:
                                        ; implicit-def: $vgpr0
                                        ; implicit-def: $vgpr4
                                        ; implicit-def: $vgpr2
	s_branch .LBB101_18
.LBB101_16:
	v_mov_b32_e32 v0, 0
	v_mov_b32_e32 v4, 0
	v_mov_b32_e32 v2, 0
.LBB101_17:
	s_cbranch_execnz .LBB101_20
.LBB101_18:
	v_mul_hi_u32 v0, s13, v31
	s_andn2_b64 vcc, exec, s[26:27]
	v_add_u32_e32 v0, v31, v0
	v_lshrrev_b32_e32 v1, s14, v0
	v_mul_lo_u32 v0, v1, s12
	v_sub_u32_e32 v2, v31, v0
	v_mul_lo_u32 v0, v2, s8
	v_mul_lo_u32 v4, v2, s9
	;; [unrolled: 1-line block ×3, first 2 shown]
	s_cbranch_vccnz .LBB101_20
; %bb.19:
	v_mul_hi_u32 v3, s24, v1
	v_add_u32_e32 v3, v1, v3
	v_lshrrev_b32_e32 v3, s25, v3
	v_mul_lo_u32 v3, v3, s15
	v_sub_u32_e32 v3, v1, v3
	v_mad_u64_u32 v[0:1], s[34:35], v3, s11, v[0:1]
	v_mad_u64_u32 v[4:5], s[34:35], v3, s22, v[4:5]
	;; [unrolled: 1-line block ×3, first 2 shown]
.LBB101_20:
	global_load_dword v1, v4, s[6:7]
	global_load_dword v3, v2, s[20:21]
	v_add_u32_e32 v31, 0x80, v31
	s_waitcnt vmcnt(0)
	v_cmp_eq_f32_e32 vcc, v1, v3
	v_cndmask_b32_e64 v2, 0, 1, vcc
	v_cmp_neq_f32_e32 vcc, v1, v3
	v_cndmask_b32_e64 v1, 0, 1, vcc
	v_cndmask_b32_e64 v1, v1, v2, s[0:1]
	v_and_b32_e32 v1, 1, v1
	global_store_byte v0, v1, s[4:5]
	s_or_b64 exec, exec, s[30:31]
	v_cmp_gt_i32_e32 vcc, s38, v31
	s_and_saveexec_b64 s[30:31], vcc
	s_cbranch_execz .LBB101_3
.LBB101_21:
	s_andn2_b64 vcc, exec, s[16:17]
	s_cbranch_vccnz .LBB101_27
; %bb.22:
	s_andn2_b64 vcc, exec, s[28:29]
	s_cbranch_vccnz .LBB101_28
; %bb.23:
	s_add_i32 s34, s37, 1
	s_and_b32 s39, s34, 30
	s_add_u32 s34, s2, 0xffffffe8
	s_addc_u32 s35, s3, -1
	v_mov_b32_e32 v2, 0
	v_mov_b32_e32 v4, 0
	;; [unrolled: 1-line block ×4, first 2 shown]
.LBB101_24:                             ; =>This Inner Loop Header: Depth=1
	s_load_dwordx4 s[40:43], s[34:35], 0x1c
	s_load_dwordx2 s[48:49], s[34:35], 0x2c
	s_load_dwordx2 s[50:51], s[34:35], 0xec
	s_load_dwordx4 s[44:47], s[34:35], 0xdc
	s_add_u32 s34, s34, 24
	s_waitcnt lgkmcnt(0)
	v_mul_hi_u32 v3, s41, v1
	s_addc_u32 s35, s35, 0
	s_add_i32 s39, s39, -2
	s_cmp_eq_u32 s39, 0
	v_add_u32_e32 v3, v1, v3
	v_lshrrev_b32_e32 v3, s42, v3
	v_mul_lo_u32 v5, v3, s40
	v_mul_hi_u32 v6, s48, v3
	v_sub_u32_e32 v5, v1, v5
	v_add_u32_e32 v1, v3, v6
	v_lshrrev_b32_e32 v1, s49, v1
	v_mul_lo_u32 v8, v1, s43
	v_mul_lo_u32 v6, v5, s44
	;; [unrolled: 1-line block ×4, first 2 shown]
	v_sub_u32_e32 v3, v3, v8
	v_mul_lo_u32 v8, v3, s47
	v_mul_lo_u32 v9, v3, s50
	;; [unrolled: 1-line block ×3, first 2 shown]
	v_add3_u32 v0, v6, v0, v8
	v_add3_u32 v4, v7, v4, v9
	;; [unrolled: 1-line block ×3, first 2 shown]
	s_cbranch_scc0 .LBB101_24
; %bb.25:
	s_bitcmp1_b32 s37, 0
	s_cselect_b64 s[40:41], -1, 0
	s_and_b64 vcc, exec, s[40:41]
	s_cbranch_vccnz .LBB101_29
; %bb.26:
	s_load_dwordx2 s[40:41], s[34:35], 0x1c
	s_load_dword s39, s[34:35], 0x24
	s_load_dwordx2 s[42:43], s[34:35], 0xdc
	s_waitcnt lgkmcnt(0)
	v_mul_hi_u32 v3, s41, v1
	v_add_u32_e32 v3, v1, v3
	v_lshrrev_b32_e32 v3, s39, v3
	v_mul_lo_u32 v3, v3, s40
	s_load_dword s39, s[34:35], 0xe4
	v_sub_u32_e32 v3, v1, v3
	v_mad_u64_u32 v[0:1], s[34:35], v3, s42, v[0:1]
	v_mad_u64_u32 v[4:5], s[34:35], v3, s43, v[4:5]
	s_waitcnt lgkmcnt(0)
	v_mad_u64_u32 v[2:3], s[34:35], v3, s39, v[2:3]
	s_branch .LBB101_29
.LBB101_27:
                                        ; implicit-def: $vgpr0
                                        ; implicit-def: $vgpr4
                                        ; implicit-def: $vgpr2
	s_branch .LBB101_30
.LBB101_28:
	v_mov_b32_e32 v0, 0
	v_mov_b32_e32 v4, 0
	;; [unrolled: 1-line block ×3, first 2 shown]
.LBB101_29:
	s_cbranch_execnz .LBB101_32
.LBB101_30:
	v_mul_hi_u32 v0, s13, v31
	s_andn2_b64 vcc, exec, s[26:27]
	v_add_u32_e32 v0, v31, v0
	v_lshrrev_b32_e32 v1, s14, v0
	v_mul_lo_u32 v0, v1, s12
	v_sub_u32_e32 v2, v31, v0
	v_mul_lo_u32 v0, v2, s8
	v_mul_lo_u32 v4, v2, s9
	;; [unrolled: 1-line block ×3, first 2 shown]
	s_cbranch_vccnz .LBB101_32
; %bb.31:
	v_mul_hi_u32 v3, s24, v1
	v_add_u32_e32 v3, v1, v3
	v_lshrrev_b32_e32 v3, s25, v3
	v_mul_lo_u32 v3, v3, s15
	v_sub_u32_e32 v3, v1, v3
	v_mad_u64_u32 v[0:1], s[34:35], v3, s11, v[0:1]
	v_mad_u64_u32 v[4:5], s[34:35], v3, s22, v[4:5]
	;; [unrolled: 1-line block ×3, first 2 shown]
.LBB101_32:
	global_load_dword v1, v4, s[6:7]
	global_load_dword v3, v2, s[20:21]
	v_add_u32_e32 v31, 0x80, v31
	s_waitcnt vmcnt(0)
	v_cmp_eq_f32_e32 vcc, v1, v3
	v_cndmask_b32_e64 v2, 0, 1, vcc
	v_cmp_neq_f32_e32 vcc, v1, v3
	v_cndmask_b32_e64 v1, 0, 1, vcc
	v_cndmask_b32_e64 v1, v1, v2, s[0:1]
	v_and_b32_e32 v1, 1, v1
	global_store_byte v0, v1, s[4:5]
	s_or_b64 exec, exec, s[30:31]
	v_cmp_gt_i32_e32 vcc, s38, v31
	s_and_saveexec_b64 s[30:31], vcc
	s_cbranch_execz .LBB101_4
.LBB101_33:
	s_andn2_b64 vcc, exec, s[16:17]
	s_cbranch_vccnz .LBB101_39
; %bb.34:
	s_andn2_b64 vcc, exec, s[28:29]
	s_cbranch_vccnz .LBB101_40
; %bb.35:
	s_add_i32 s34, s37, 1
	s_and_b32 s39, s34, 30
	s_add_u32 s34, s2, 0xffffffe8
	s_addc_u32 s35, s3, -1
	v_mov_b32_e32 v2, 0
	v_mov_b32_e32 v4, 0
	;; [unrolled: 1-line block ×4, first 2 shown]
.LBB101_36:                             ; =>This Inner Loop Header: Depth=1
	s_load_dwordx4 s[40:43], s[34:35], 0x1c
	s_load_dwordx2 s[48:49], s[34:35], 0x2c
	s_load_dwordx2 s[50:51], s[34:35], 0xec
	s_load_dwordx4 s[44:47], s[34:35], 0xdc
	s_add_u32 s34, s34, 24
	s_waitcnt lgkmcnt(0)
	v_mul_hi_u32 v3, s41, v1
	s_addc_u32 s35, s35, 0
	s_add_i32 s39, s39, -2
	s_cmp_eq_u32 s39, 0
	v_add_u32_e32 v3, v1, v3
	v_lshrrev_b32_e32 v3, s42, v3
	v_mul_lo_u32 v5, v3, s40
	v_mul_hi_u32 v6, s48, v3
	v_sub_u32_e32 v5, v1, v5
	v_add_u32_e32 v1, v3, v6
	v_lshrrev_b32_e32 v1, s49, v1
	v_mul_lo_u32 v8, v1, s43
	v_mul_lo_u32 v6, v5, s44
	;; [unrolled: 1-line block ×4, first 2 shown]
	v_sub_u32_e32 v3, v3, v8
	v_mul_lo_u32 v8, v3, s47
	v_mul_lo_u32 v9, v3, s50
	;; [unrolled: 1-line block ×3, first 2 shown]
	v_add3_u32 v0, v6, v0, v8
	v_add3_u32 v4, v7, v4, v9
	;; [unrolled: 1-line block ×3, first 2 shown]
	s_cbranch_scc0 .LBB101_36
; %bb.37:
	s_bitcmp1_b32 s37, 0
	s_cselect_b64 s[40:41], -1, 0
	s_and_b64 vcc, exec, s[40:41]
	s_cbranch_vccnz .LBB101_41
; %bb.38:
	s_load_dwordx2 s[40:41], s[34:35], 0x1c
	s_load_dword s39, s[34:35], 0x24
	s_load_dwordx2 s[42:43], s[34:35], 0xdc
	s_waitcnt lgkmcnt(0)
	v_mul_hi_u32 v3, s41, v1
	v_add_u32_e32 v3, v1, v3
	v_lshrrev_b32_e32 v3, s39, v3
	v_mul_lo_u32 v3, v3, s40
	s_load_dword s39, s[34:35], 0xe4
	v_sub_u32_e32 v3, v1, v3
	v_mad_u64_u32 v[0:1], s[34:35], v3, s42, v[0:1]
	v_mad_u64_u32 v[4:5], s[34:35], v3, s43, v[4:5]
	s_waitcnt lgkmcnt(0)
	v_mad_u64_u32 v[2:3], s[34:35], v3, s39, v[2:3]
	s_branch .LBB101_41
.LBB101_39:
                                        ; implicit-def: $vgpr0
                                        ; implicit-def: $vgpr4
                                        ; implicit-def: $vgpr2
	s_branch .LBB101_42
.LBB101_40:
	v_mov_b32_e32 v0, 0
	v_mov_b32_e32 v4, 0
	;; [unrolled: 1-line block ×3, first 2 shown]
.LBB101_41:
	s_cbranch_execnz .LBB101_44
.LBB101_42:
	v_mul_hi_u32 v0, s13, v31
	s_andn2_b64 vcc, exec, s[26:27]
	v_add_u32_e32 v0, v31, v0
	v_lshrrev_b32_e32 v1, s14, v0
	v_mul_lo_u32 v0, v1, s12
	v_sub_u32_e32 v2, v31, v0
	v_mul_lo_u32 v0, v2, s8
	v_mul_lo_u32 v4, v2, s9
	v_mul_lo_u32 v2, v2, s10
	s_cbranch_vccnz .LBB101_44
; %bb.43:
	v_mul_hi_u32 v3, s24, v1
	v_add_u32_e32 v3, v1, v3
	v_lshrrev_b32_e32 v3, s25, v3
	v_mul_lo_u32 v3, v3, s15
	v_sub_u32_e32 v3, v1, v3
	v_mad_u64_u32 v[0:1], s[34:35], v3, s11, v[0:1]
	v_mad_u64_u32 v[4:5], s[34:35], v3, s22, v[4:5]
	;; [unrolled: 1-line block ×3, first 2 shown]
.LBB101_44:
	global_load_dword v1, v4, s[6:7]
	global_load_dword v3, v2, s[20:21]
	v_add_u32_e32 v31, 0x80, v31
	s_waitcnt vmcnt(0)
	v_cmp_eq_f32_e32 vcc, v1, v3
	v_cndmask_b32_e64 v2, 0, 1, vcc
	v_cmp_neq_f32_e32 vcc, v1, v3
	v_cndmask_b32_e64 v1, 0, 1, vcc
	v_cndmask_b32_e64 v1, v1, v2, s[0:1]
	v_and_b32_e32 v1, 1, v1
	global_store_byte v0, v1, s[4:5]
	s_or_b64 exec, exec, s[30:31]
	v_cmp_gt_i32_e32 vcc, s38, v31
	s_and_saveexec_b64 s[30:31], vcc
	s_cbranch_execz .LBB101_5
.LBB101_45:
	s_andn2_b64 vcc, exec, s[16:17]
	s_cbranch_vccnz .LBB101_51
; %bb.46:
	s_andn2_b64 vcc, exec, s[28:29]
	s_cbranch_vccnz .LBB101_52
; %bb.47:
	s_add_i32 s34, s37, 1
	s_and_b32 s39, s34, 30
	s_add_u32 s34, s2, 0xffffffe8
	s_addc_u32 s35, s3, -1
	v_mov_b32_e32 v2, 0
	v_mov_b32_e32 v4, 0
	;; [unrolled: 1-line block ×4, first 2 shown]
.LBB101_48:                             ; =>This Inner Loop Header: Depth=1
	s_load_dwordx4 s[40:43], s[34:35], 0x1c
	s_load_dwordx2 s[48:49], s[34:35], 0x2c
	s_load_dwordx2 s[50:51], s[34:35], 0xec
	s_load_dwordx4 s[44:47], s[34:35], 0xdc
	s_add_u32 s34, s34, 24
	s_waitcnt lgkmcnt(0)
	v_mul_hi_u32 v3, s41, v1
	s_addc_u32 s35, s35, 0
	s_add_i32 s39, s39, -2
	s_cmp_eq_u32 s39, 0
	v_add_u32_e32 v3, v1, v3
	v_lshrrev_b32_e32 v3, s42, v3
	v_mul_lo_u32 v5, v3, s40
	v_mul_hi_u32 v6, s48, v3
	v_sub_u32_e32 v5, v1, v5
	v_add_u32_e32 v1, v3, v6
	v_lshrrev_b32_e32 v1, s49, v1
	v_mul_lo_u32 v8, v1, s43
	v_mul_lo_u32 v6, v5, s44
	;; [unrolled: 1-line block ×4, first 2 shown]
	v_sub_u32_e32 v3, v3, v8
	v_mul_lo_u32 v8, v3, s47
	v_mul_lo_u32 v9, v3, s50
	;; [unrolled: 1-line block ×3, first 2 shown]
	v_add3_u32 v0, v6, v0, v8
	v_add3_u32 v4, v7, v4, v9
	;; [unrolled: 1-line block ×3, first 2 shown]
	s_cbranch_scc0 .LBB101_48
; %bb.49:
	s_bitcmp1_b32 s37, 0
	s_cselect_b64 s[40:41], -1, 0
	s_and_b64 vcc, exec, s[40:41]
	s_cbranch_vccnz .LBB101_53
; %bb.50:
	s_load_dwordx2 s[40:41], s[34:35], 0x1c
	s_load_dword s39, s[34:35], 0x24
	s_load_dwordx2 s[42:43], s[34:35], 0xdc
	s_waitcnt lgkmcnt(0)
	v_mul_hi_u32 v3, s41, v1
	v_add_u32_e32 v3, v1, v3
	v_lshrrev_b32_e32 v3, s39, v3
	v_mul_lo_u32 v3, v3, s40
	s_load_dword s39, s[34:35], 0xe4
	v_sub_u32_e32 v3, v1, v3
	v_mad_u64_u32 v[0:1], s[34:35], v3, s42, v[0:1]
	v_mad_u64_u32 v[4:5], s[34:35], v3, s43, v[4:5]
	s_waitcnt lgkmcnt(0)
	v_mad_u64_u32 v[2:3], s[34:35], v3, s39, v[2:3]
	s_branch .LBB101_53
.LBB101_51:
                                        ; implicit-def: $vgpr0
                                        ; implicit-def: $vgpr4
                                        ; implicit-def: $vgpr2
	s_branch .LBB101_54
.LBB101_52:
	v_mov_b32_e32 v0, 0
	v_mov_b32_e32 v4, 0
	;; [unrolled: 1-line block ×3, first 2 shown]
.LBB101_53:
	s_cbranch_execnz .LBB101_56
.LBB101_54:
	v_mul_hi_u32 v0, s13, v31
	s_andn2_b64 vcc, exec, s[26:27]
	v_add_u32_e32 v0, v31, v0
	v_lshrrev_b32_e32 v1, s14, v0
	v_mul_lo_u32 v0, v1, s12
	v_sub_u32_e32 v2, v31, v0
	v_mul_lo_u32 v0, v2, s8
	v_mul_lo_u32 v4, v2, s9
	;; [unrolled: 1-line block ×3, first 2 shown]
	s_cbranch_vccnz .LBB101_56
; %bb.55:
	v_mul_hi_u32 v3, s24, v1
	v_add_u32_e32 v3, v1, v3
	v_lshrrev_b32_e32 v3, s25, v3
	v_mul_lo_u32 v3, v3, s15
	v_sub_u32_e32 v3, v1, v3
	v_mad_u64_u32 v[0:1], s[34:35], v3, s11, v[0:1]
	v_mad_u64_u32 v[4:5], s[34:35], v3, s22, v[4:5]
	;; [unrolled: 1-line block ×3, first 2 shown]
.LBB101_56:
	global_load_dword v1, v4, s[6:7]
	global_load_dword v3, v2, s[20:21]
	v_add_u32_e32 v31, 0x80, v31
	s_waitcnt vmcnt(0)
	v_cmp_eq_f32_e32 vcc, v1, v3
	v_cndmask_b32_e64 v2, 0, 1, vcc
	v_cmp_neq_f32_e32 vcc, v1, v3
	v_cndmask_b32_e64 v1, 0, 1, vcc
	v_cndmask_b32_e64 v1, v1, v2, s[0:1]
	v_and_b32_e32 v1, 1, v1
	global_store_byte v0, v1, s[4:5]
	s_or_b64 exec, exec, s[30:31]
	v_cmp_gt_i32_e32 vcc, s38, v31
	s_and_saveexec_b64 s[30:31], vcc
	s_cbranch_execz .LBB101_6
.LBB101_57:
	s_andn2_b64 vcc, exec, s[16:17]
	s_cbranch_vccnz .LBB101_63
; %bb.58:
	s_andn2_b64 vcc, exec, s[28:29]
	s_cbranch_vccnz .LBB101_64
; %bb.59:
	s_add_i32 s34, s37, 1
	s_and_b32 s39, s34, 30
	s_add_u32 s34, s2, 0xffffffe8
	s_addc_u32 s35, s3, -1
	v_mov_b32_e32 v2, 0
	v_mov_b32_e32 v4, 0
	v_mov_b32_e32 v0, 0
	v_mov_b32_e32 v1, v31
.LBB101_60:                             ; =>This Inner Loop Header: Depth=1
	s_load_dwordx4 s[40:43], s[34:35], 0x1c
	s_load_dwordx2 s[48:49], s[34:35], 0x2c
	s_load_dwordx2 s[50:51], s[34:35], 0xec
	s_load_dwordx4 s[44:47], s[34:35], 0xdc
	s_add_u32 s34, s34, 24
	s_waitcnt lgkmcnt(0)
	v_mul_hi_u32 v3, s41, v1
	s_addc_u32 s35, s35, 0
	s_add_i32 s39, s39, -2
	s_cmp_eq_u32 s39, 0
	v_add_u32_e32 v3, v1, v3
	v_lshrrev_b32_e32 v3, s42, v3
	v_mul_lo_u32 v5, v3, s40
	v_mul_hi_u32 v6, s48, v3
	v_sub_u32_e32 v5, v1, v5
	v_add_u32_e32 v1, v3, v6
	v_lshrrev_b32_e32 v1, s49, v1
	v_mul_lo_u32 v8, v1, s43
	v_mul_lo_u32 v6, v5, s44
	v_mul_lo_u32 v7, v5, s45
	v_mul_lo_u32 v5, v5, s46
	v_sub_u32_e32 v3, v3, v8
	v_mul_lo_u32 v8, v3, s47
	v_mul_lo_u32 v9, v3, s50
	;; [unrolled: 1-line block ×3, first 2 shown]
	v_add3_u32 v0, v6, v0, v8
	v_add3_u32 v4, v7, v4, v9
	;; [unrolled: 1-line block ×3, first 2 shown]
	s_cbranch_scc0 .LBB101_60
; %bb.61:
	s_bitcmp1_b32 s37, 0
	s_cselect_b64 s[40:41], -1, 0
	s_and_b64 vcc, exec, s[40:41]
	s_cbranch_vccnz .LBB101_65
; %bb.62:
	s_load_dwordx2 s[40:41], s[34:35], 0x1c
	s_load_dword s39, s[34:35], 0x24
	s_load_dwordx2 s[42:43], s[34:35], 0xdc
	s_waitcnt lgkmcnt(0)
	v_mul_hi_u32 v3, s41, v1
	v_add_u32_e32 v3, v1, v3
	v_lshrrev_b32_e32 v3, s39, v3
	v_mul_lo_u32 v3, v3, s40
	s_load_dword s39, s[34:35], 0xe4
	v_sub_u32_e32 v3, v1, v3
	v_mad_u64_u32 v[0:1], s[34:35], v3, s42, v[0:1]
	v_mad_u64_u32 v[4:5], s[34:35], v3, s43, v[4:5]
	s_waitcnt lgkmcnt(0)
	v_mad_u64_u32 v[2:3], s[34:35], v3, s39, v[2:3]
	s_branch .LBB101_65
.LBB101_63:
                                        ; implicit-def: $vgpr0
                                        ; implicit-def: $vgpr4
                                        ; implicit-def: $vgpr2
	s_branch .LBB101_66
.LBB101_64:
	v_mov_b32_e32 v0, 0
	v_mov_b32_e32 v4, 0
	;; [unrolled: 1-line block ×3, first 2 shown]
.LBB101_65:
	s_cbranch_execnz .LBB101_68
.LBB101_66:
	v_mul_hi_u32 v0, s13, v31
	s_andn2_b64 vcc, exec, s[26:27]
	v_add_u32_e32 v0, v31, v0
	v_lshrrev_b32_e32 v1, s14, v0
	v_mul_lo_u32 v0, v1, s12
	v_sub_u32_e32 v2, v31, v0
	v_mul_lo_u32 v0, v2, s8
	v_mul_lo_u32 v4, v2, s9
	;; [unrolled: 1-line block ×3, first 2 shown]
	s_cbranch_vccnz .LBB101_68
; %bb.67:
	v_mul_hi_u32 v3, s24, v1
	v_add_u32_e32 v3, v1, v3
	v_lshrrev_b32_e32 v3, s25, v3
	v_mul_lo_u32 v3, v3, s15
	v_sub_u32_e32 v3, v1, v3
	v_mad_u64_u32 v[0:1], s[34:35], v3, s11, v[0:1]
	v_mad_u64_u32 v[4:5], s[34:35], v3, s22, v[4:5]
	;; [unrolled: 1-line block ×3, first 2 shown]
.LBB101_68:
	global_load_dword v1, v4, s[6:7]
	global_load_dword v3, v2, s[20:21]
	v_add_u32_e32 v31, 0x80, v31
	s_waitcnt vmcnt(0)
	v_cmp_eq_f32_e32 vcc, v1, v3
	v_cndmask_b32_e64 v2, 0, 1, vcc
	v_cmp_neq_f32_e32 vcc, v1, v3
	v_cndmask_b32_e64 v1, 0, 1, vcc
	v_cndmask_b32_e64 v1, v1, v2, s[0:1]
	v_and_b32_e32 v1, 1, v1
	global_store_byte v0, v1, s[4:5]
	s_or_b64 exec, exec, s[30:31]
	v_cmp_gt_i32_e32 vcc, s38, v31
	s_and_saveexec_b64 s[30:31], vcc
	s_cbranch_execz .LBB101_7
.LBB101_69:
	s_andn2_b64 vcc, exec, s[16:17]
	s_cbranch_vccnz .LBB101_75
; %bb.70:
	s_andn2_b64 vcc, exec, s[28:29]
	s_cbranch_vccnz .LBB101_76
; %bb.71:
	s_add_i32 s34, s37, 1
	s_and_b32 s39, s34, 30
	s_add_u32 s34, s2, 0xffffffe8
	s_addc_u32 s35, s3, -1
	v_mov_b32_e32 v2, 0
	v_mov_b32_e32 v4, 0
	;; [unrolled: 1-line block ×4, first 2 shown]
.LBB101_72:                             ; =>This Inner Loop Header: Depth=1
	s_load_dwordx4 s[40:43], s[34:35], 0x1c
	s_load_dwordx2 s[48:49], s[34:35], 0x2c
	s_load_dwordx2 s[50:51], s[34:35], 0xec
	s_load_dwordx4 s[44:47], s[34:35], 0xdc
	s_add_u32 s34, s34, 24
	s_waitcnt lgkmcnt(0)
	v_mul_hi_u32 v3, s41, v1
	s_addc_u32 s35, s35, 0
	s_add_i32 s39, s39, -2
	s_cmp_eq_u32 s39, 0
	v_add_u32_e32 v3, v1, v3
	v_lshrrev_b32_e32 v3, s42, v3
	v_mul_lo_u32 v5, v3, s40
	v_mul_hi_u32 v6, s48, v3
	v_sub_u32_e32 v5, v1, v5
	v_add_u32_e32 v1, v3, v6
	v_lshrrev_b32_e32 v1, s49, v1
	v_mul_lo_u32 v8, v1, s43
	v_mul_lo_u32 v6, v5, s44
	;; [unrolled: 1-line block ×4, first 2 shown]
	v_sub_u32_e32 v3, v3, v8
	v_mul_lo_u32 v8, v3, s47
	v_mul_lo_u32 v9, v3, s50
	;; [unrolled: 1-line block ×3, first 2 shown]
	v_add3_u32 v0, v6, v0, v8
	v_add3_u32 v4, v7, v4, v9
	;; [unrolled: 1-line block ×3, first 2 shown]
	s_cbranch_scc0 .LBB101_72
; %bb.73:
	s_bitcmp1_b32 s37, 0
	s_cselect_b64 s[40:41], -1, 0
	s_and_b64 vcc, exec, s[40:41]
	s_cbranch_vccnz .LBB101_77
; %bb.74:
	s_load_dwordx2 s[40:41], s[34:35], 0x1c
	s_load_dword s39, s[34:35], 0x24
	s_load_dwordx2 s[42:43], s[34:35], 0xdc
	s_waitcnt lgkmcnt(0)
	v_mul_hi_u32 v3, s41, v1
	v_add_u32_e32 v3, v1, v3
	v_lshrrev_b32_e32 v3, s39, v3
	v_mul_lo_u32 v3, v3, s40
	s_load_dword s39, s[34:35], 0xe4
	v_sub_u32_e32 v3, v1, v3
	v_mad_u64_u32 v[0:1], s[34:35], v3, s42, v[0:1]
	v_mad_u64_u32 v[4:5], s[34:35], v3, s43, v[4:5]
	s_waitcnt lgkmcnt(0)
	v_mad_u64_u32 v[2:3], s[34:35], v3, s39, v[2:3]
	s_branch .LBB101_77
.LBB101_75:
                                        ; implicit-def: $vgpr0
                                        ; implicit-def: $vgpr4
                                        ; implicit-def: $vgpr2
	s_branch .LBB101_78
.LBB101_76:
	v_mov_b32_e32 v0, 0
	v_mov_b32_e32 v4, 0
	;; [unrolled: 1-line block ×3, first 2 shown]
.LBB101_77:
	s_cbranch_execnz .LBB101_80
.LBB101_78:
	v_mul_hi_u32 v0, s13, v31
	s_andn2_b64 vcc, exec, s[26:27]
	v_add_u32_e32 v0, v31, v0
	v_lshrrev_b32_e32 v1, s14, v0
	v_mul_lo_u32 v0, v1, s12
	v_sub_u32_e32 v2, v31, v0
	v_mul_lo_u32 v0, v2, s8
	v_mul_lo_u32 v4, v2, s9
	;; [unrolled: 1-line block ×3, first 2 shown]
	s_cbranch_vccnz .LBB101_80
; %bb.79:
	v_mul_hi_u32 v3, s24, v1
	v_add_u32_e32 v3, v1, v3
	v_lshrrev_b32_e32 v3, s25, v3
	v_mul_lo_u32 v3, v3, s15
	v_sub_u32_e32 v3, v1, v3
	v_mad_u64_u32 v[0:1], s[34:35], v3, s11, v[0:1]
	v_mad_u64_u32 v[4:5], s[34:35], v3, s22, v[4:5]
	v_mad_u64_u32 v[2:3], s[34:35], v3, s23, v[2:3]
.LBB101_80:
	global_load_dword v1, v4, s[6:7]
	global_load_dword v3, v2, s[20:21]
	v_add_u32_e32 v31, 0x80, v31
	s_waitcnt vmcnt(0)
	v_cmp_eq_f32_e32 vcc, v1, v3
	v_cndmask_b32_e64 v2, 0, 1, vcc
	v_cmp_neq_f32_e32 vcc, v1, v3
	v_cndmask_b32_e64 v1, 0, 1, vcc
	v_cndmask_b32_e64 v1, v1, v2, s[0:1]
	v_and_b32_e32 v1, 1, v1
	global_store_byte v0, v1, s[4:5]
	s_or_b64 exec, exec, s[30:31]
	v_cmp_gt_i32_e32 vcc, s38, v31
	s_and_saveexec_b64 s[30:31], vcc
	s_cbranch_execz .LBB101_8
.LBB101_81:
	s_andn2_b64 vcc, exec, s[16:17]
	s_cbranch_vccnz .LBB101_87
; %bb.82:
	s_andn2_b64 vcc, exec, s[28:29]
	s_cbranch_vccnz .LBB101_88
; %bb.83:
	s_add_i32 s34, s37, 1
	s_and_b32 s39, s34, 30
	s_add_u32 s34, s2, 0xffffffe8
	s_addc_u32 s35, s3, -1
	v_mov_b32_e32 v2, 0
	v_mov_b32_e32 v4, 0
	;; [unrolled: 1-line block ×4, first 2 shown]
.LBB101_84:                             ; =>This Inner Loop Header: Depth=1
	s_load_dwordx4 s[40:43], s[34:35], 0x1c
	s_load_dwordx2 s[48:49], s[34:35], 0x2c
	s_load_dwordx2 s[50:51], s[34:35], 0xec
	s_load_dwordx4 s[44:47], s[34:35], 0xdc
	s_add_u32 s34, s34, 24
	s_waitcnt lgkmcnt(0)
	v_mul_hi_u32 v3, s41, v1
	s_addc_u32 s35, s35, 0
	s_add_i32 s39, s39, -2
	s_cmp_eq_u32 s39, 0
	v_add_u32_e32 v3, v1, v3
	v_lshrrev_b32_e32 v3, s42, v3
	v_mul_lo_u32 v5, v3, s40
	v_mul_hi_u32 v6, s48, v3
	v_sub_u32_e32 v5, v1, v5
	v_add_u32_e32 v1, v3, v6
	v_lshrrev_b32_e32 v1, s49, v1
	v_mul_lo_u32 v8, v1, s43
	v_mul_lo_u32 v6, v5, s44
	;; [unrolled: 1-line block ×4, first 2 shown]
	v_sub_u32_e32 v3, v3, v8
	v_mul_lo_u32 v8, v3, s47
	v_mul_lo_u32 v9, v3, s50
	;; [unrolled: 1-line block ×3, first 2 shown]
	v_add3_u32 v0, v6, v0, v8
	v_add3_u32 v4, v7, v4, v9
	;; [unrolled: 1-line block ×3, first 2 shown]
	s_cbranch_scc0 .LBB101_84
; %bb.85:
	s_bitcmp1_b32 s37, 0
	s_cselect_b64 s[40:41], -1, 0
	s_and_b64 vcc, exec, s[40:41]
	s_cbranch_vccnz .LBB101_89
; %bb.86:
	s_load_dwordx2 s[40:41], s[34:35], 0x1c
	s_load_dword s39, s[34:35], 0x24
	s_load_dwordx2 s[42:43], s[34:35], 0xdc
	s_waitcnt lgkmcnt(0)
	v_mul_hi_u32 v3, s41, v1
	v_add_u32_e32 v3, v1, v3
	v_lshrrev_b32_e32 v3, s39, v3
	v_mul_lo_u32 v3, v3, s40
	s_load_dword s39, s[34:35], 0xe4
	v_sub_u32_e32 v3, v1, v3
	v_mad_u64_u32 v[0:1], s[34:35], v3, s42, v[0:1]
	v_mad_u64_u32 v[4:5], s[34:35], v3, s43, v[4:5]
	s_waitcnt lgkmcnt(0)
	v_mad_u64_u32 v[2:3], s[34:35], v3, s39, v[2:3]
	s_branch .LBB101_89
.LBB101_87:
                                        ; implicit-def: $vgpr0
                                        ; implicit-def: $vgpr4
                                        ; implicit-def: $vgpr2
	s_branch .LBB101_90
.LBB101_88:
	v_mov_b32_e32 v0, 0
	v_mov_b32_e32 v4, 0
	;; [unrolled: 1-line block ×3, first 2 shown]
.LBB101_89:
	s_cbranch_execnz .LBB101_92
.LBB101_90:
	v_mul_hi_u32 v0, s13, v31
	s_andn2_b64 vcc, exec, s[26:27]
	v_add_u32_e32 v0, v31, v0
	v_lshrrev_b32_e32 v1, s14, v0
	v_mul_lo_u32 v0, v1, s12
	v_sub_u32_e32 v2, v31, v0
	v_mul_lo_u32 v0, v2, s8
	v_mul_lo_u32 v4, v2, s9
	;; [unrolled: 1-line block ×3, first 2 shown]
	s_cbranch_vccnz .LBB101_92
; %bb.91:
	v_mul_hi_u32 v3, s24, v1
	v_add_u32_e32 v3, v1, v3
	v_lshrrev_b32_e32 v3, s25, v3
	v_mul_lo_u32 v3, v3, s15
	v_sub_u32_e32 v3, v1, v3
	v_mad_u64_u32 v[0:1], s[34:35], v3, s11, v[0:1]
	v_mad_u64_u32 v[4:5], s[34:35], v3, s22, v[4:5]
	;; [unrolled: 1-line block ×3, first 2 shown]
.LBB101_92:
	global_load_dword v1, v4, s[6:7]
	global_load_dword v3, v2, s[20:21]
	v_add_u32_e32 v31, 0x80, v31
	s_waitcnt vmcnt(0)
	v_cmp_eq_f32_e32 vcc, v1, v3
	v_cndmask_b32_e64 v2, 0, 1, vcc
	v_cmp_neq_f32_e32 vcc, v1, v3
	v_cndmask_b32_e64 v1, 0, 1, vcc
	v_cndmask_b32_e64 v1, v1, v2, s[0:1]
	v_and_b32_e32 v1, 1, v1
	global_store_byte v0, v1, s[4:5]
	s_or_b64 exec, exec, s[30:31]
	v_cmp_gt_i32_e32 vcc, s38, v31
	s_and_saveexec_b64 s[30:31], vcc
	s_cbranch_execz .LBB101_105
.LBB101_93:
	s_andn2_b64 vcc, exec, s[16:17]
	s_cbranch_vccnz .LBB101_99
; %bb.94:
	s_andn2_b64 vcc, exec, s[28:29]
	s_cbranch_vccnz .LBB101_100
; %bb.95:
	s_add_i32 s28, s37, 1
	s_and_b32 s34, s28, 30
	s_add_u32 s28, s2, 0xffffffe8
	s_addc_u32 s29, s3, -1
	v_mov_b32_e32 v4, 0
	v_mov_b32_e32 v2, 0
	;; [unrolled: 1-line block ×4, first 2 shown]
.LBB101_96:                             ; =>This Inner Loop Header: Depth=1
	s_load_dwordx4 s[40:43], s[28:29], 0x1c
	s_load_dwordx2 s[38:39], s[28:29], 0x2c
	s_load_dwordx2 s[48:49], s[28:29], 0xec
	s_load_dwordx4 s[44:47], s[28:29], 0xdc
	s_add_u32 s28, s28, 24
	s_waitcnt lgkmcnt(0)
	v_mul_hi_u32 v3, s41, v1
	s_addc_u32 s29, s29, 0
	s_add_i32 s34, s34, -2
	s_cmp_eq_u32 s34, 0
	v_add_u32_e32 v3, v1, v3
	v_lshrrev_b32_e32 v3, s42, v3
	v_mul_lo_u32 v5, v3, s40
	v_mul_hi_u32 v6, s38, v3
	v_sub_u32_e32 v5, v1, v5
	v_add_u32_e32 v1, v3, v6
	v_lshrrev_b32_e32 v1, s39, v1
	v_mul_lo_u32 v8, v1, s43
	v_mul_lo_u32 v6, v5, s44
	;; [unrolled: 1-line block ×4, first 2 shown]
	v_sub_u32_e32 v3, v3, v8
	v_mul_lo_u32 v8, v3, s47
	v_mul_lo_u32 v9, v3, s48
	;; [unrolled: 1-line block ×3, first 2 shown]
	v_add3_u32 v0, v6, v0, v8
	v_add3_u32 v2, v7, v2, v9
	;; [unrolled: 1-line block ×3, first 2 shown]
	s_cbranch_scc0 .LBB101_96
; %bb.97:
	s_bitcmp1_b32 s37, 0
	s_cselect_b64 s[34:35], -1, 0
	s_and_b64 vcc, exec, s[34:35]
	s_cbranch_vccnz .LBB101_101
; %bb.98:
	s_load_dwordx2 s[34:35], s[28:29], 0x1c
	s_load_dword s37, s[28:29], 0x24
	s_load_dwordx2 s[38:39], s[28:29], 0xdc
	s_waitcnt lgkmcnt(0)
	v_mul_hi_u32 v3, s35, v1
	v_add_u32_e32 v3, v1, v3
	v_lshrrev_b32_e32 v3, s37, v3
	v_mul_lo_u32 v3, v3, s34
	s_load_dword s34, s[28:29], 0xe4
	v_sub_u32_e32 v5, v1, v3
	v_mad_u64_u32 v[0:1], s[28:29], v5, s38, v[0:1]
	v_mad_u64_u32 v[2:3], s[28:29], v5, s39, v[2:3]
	s_waitcnt lgkmcnt(0)
	v_mad_u64_u32 v[4:5], s[28:29], v5, s34, v[4:5]
	s_branch .LBB101_101
.LBB101_99:
                                        ; implicit-def: $vgpr0
                                        ; implicit-def: $vgpr2
                                        ; implicit-def: $vgpr4
	s_branch .LBB101_102
.LBB101_100:
	v_mov_b32_e32 v0, 0
	v_mov_b32_e32 v2, 0
	;; [unrolled: 1-line block ×3, first 2 shown]
.LBB101_101:
	s_cbranch_execnz .LBB101_104
.LBB101_102:
	v_mul_hi_u32 v0, s13, v31
	s_andn2_b64 vcc, exec, s[26:27]
	v_add_u32_e32 v0, v31, v0
	v_lshrrev_b32_e32 v1, s14, v0
	v_mul_lo_u32 v0, v1, s12
	v_sub_u32_e32 v3, v31, v0
	v_mul_lo_u32 v0, v3, s8
	v_mul_lo_u32 v2, v3, s9
	;; [unrolled: 1-line block ×3, first 2 shown]
	s_cbranch_vccnz .LBB101_104
; %bb.103:
	v_mul_hi_u32 v3, s24, v1
	v_add_u32_e32 v3, v1, v3
	v_lshrrev_b32_e32 v3, s25, v3
	v_mul_lo_u32 v3, v3, s15
	v_sub_u32_e32 v5, v1, v3
	v_mad_u64_u32 v[0:1], s[8:9], v5, s11, v[0:1]
	v_mad_u64_u32 v[2:3], s[8:9], v5, s22, v[2:3]
	;; [unrolled: 1-line block ×3, first 2 shown]
.LBB101_104:
	global_load_dword v1, v2, s[6:7]
	global_load_dword v3, v4, s[20:21]
	s_waitcnt vmcnt(0)
	v_cmp_eq_f32_e32 vcc, v1, v3
	v_cndmask_b32_e64 v2, 0, 1, vcc
	v_cmp_neq_f32_e32 vcc, v1, v3
	v_cndmask_b32_e64 v1, 0, 1, vcc
	v_cndmask_b32_e64 v1, v1, v2, s[0:1]
	v_and_b32_e32 v1, 1, v1
	global_store_byte v0, v1, s[4:5]
.LBB101_105:
	s_or_b64 exec, exec, s[30:31]
                                        ; implicit-def: $vgpr41
                                        ; implicit-def: $vgpr31
.LBB101_106:
	s_andn2_saveexec_b64 s[0:1], s[18:19]
	s_cbranch_execz .LBB101_113
; %bb.107:
	v_cndmask_b32_e64 v0, 0, 1, s[16:17]
	v_cmp_ne_u32_e64 s[0:1], 1, v0
	s_andn2_b64 vcc, exec, s[16:17]
	s_cbranch_vccnz .LBB101_114
; %bb.108:
	s_cmp_lg_u32 s33, 0
	s_cbranch_scc0 .LBB101_115
; %bb.109:
	s_min_u32 s6, s36, 15
	s_add_i32 s4, s6, 1
	s_and_b32 s7, s4, 30
	s_add_u32 s4, s2, 0xffffffe8
	s_addc_u32 s5, s3, -1
	v_mov_b32_e32 v2, 0
	v_mov_b32_e32 v4, 0
	;; [unrolled: 1-line block ×4, first 2 shown]
.LBB101_110:                            ; =>This Inner Loop Header: Depth=1
	s_load_dwordx4 s[8:11], s[4:5], 0x1c
	s_load_dwordx2 s[16:17], s[4:5], 0x2c
	s_load_dwordx2 s[18:19], s[4:5], 0xec
	s_load_dwordx4 s[12:15], s[4:5], 0xdc
	s_add_u32 s4, s4, 24
	s_waitcnt lgkmcnt(0)
	v_mul_hi_u32 v3, s9, v1
	s_addc_u32 s5, s5, 0
	s_add_i32 s7, s7, -2
	s_cmp_lg_u32 s7, 0
	v_add_u32_e32 v3, v1, v3
	v_lshrrev_b32_e32 v3, s10, v3
	v_mul_lo_u32 v5, v3, s8
	v_mul_hi_u32 v6, s16, v3
	v_sub_u32_e32 v5, v1, v5
	v_add_u32_e32 v1, v3, v6
	v_lshrrev_b32_e32 v1, s17, v1
	v_mul_lo_u32 v8, v1, s11
	v_mul_lo_u32 v6, v5, s12
	;; [unrolled: 1-line block ×4, first 2 shown]
	v_sub_u32_e32 v3, v3, v8
	v_mul_lo_u32 v8, v3, s15
	v_mul_lo_u32 v9, v3, s18
	;; [unrolled: 1-line block ×3, first 2 shown]
	v_add3_u32 v0, v6, v0, v8
	v_add3_u32 v4, v7, v4, v9
	;; [unrolled: 1-line block ×3, first 2 shown]
	s_cbranch_scc1 .LBB101_110
; %bb.111:
	s_bitcmp1_b32 s6, 0
	s_cselect_b64 s[6:7], -1, 0
	s_and_b64 vcc, exec, s[6:7]
	s_cbranch_vccnz .LBB101_116
; %bb.112:
	s_load_dwordx2 s[6:7], s[4:5], 0x1c
	s_load_dword s10, s[4:5], 0x24
	s_load_dwordx2 s[8:9], s[4:5], 0xdc
	s_waitcnt lgkmcnt(0)
	v_mul_hi_u32 v3, s7, v1
	v_add_u32_e32 v3, v1, v3
	v_lshrrev_b32_e32 v3, s10, v3
	v_mul_lo_u32 v3, v3, s6
	s_load_dword s6, s[4:5], 0xe4
	v_sub_u32_e32 v3, v1, v3
	v_mad_u64_u32 v[0:1], s[4:5], v3, s8, v[0:1]
	v_mad_u64_u32 v[4:5], s[4:5], v3, s9, v[4:5]
	s_waitcnt lgkmcnt(0)
	v_mad_u64_u32 v[2:3], s[4:5], v3, s6, v[2:3]
	s_cbranch_execz .LBB101_117
	s_branch .LBB101_119
.LBB101_113:
	s_endpgm
.LBB101_114:
                                        ; implicit-def: $vgpr0
                                        ; implicit-def: $vgpr4
                                        ; implicit-def: $vgpr2
	s_branch .LBB101_117
.LBB101_115:
	v_mov_b32_e32 v0, 0
	v_mov_b32_e32 v4, 0
	;; [unrolled: 1-line block ×3, first 2 shown]
.LBB101_116:
	s_cbranch_execnz .LBB101_119
.LBB101_117:
	s_load_dwordx4 s[4:7], s[2:3], 0x4
	s_load_dwordx4 s[8:11], s[2:3], 0xc4
	s_cmp_lt_u32 s33, 2
	s_waitcnt lgkmcnt(0)
	v_mul_hi_u32 v0, s5, v31
	v_add_u32_e32 v0, v31, v0
	v_lshrrev_b32_e32 v1, s6, v0
	v_mul_lo_u32 v0, v1, s4
	v_sub_u32_e32 v2, v31, v0
	v_mul_lo_u32 v0, v2, s8
	v_mul_lo_u32 v4, v2, s9
	;; [unrolled: 1-line block ×3, first 2 shown]
	s_cbranch_scc1 .LBB101_119
; %bb.118:
	s_load_dwordx4 s[4:7], s[2:3], 0x10
	s_load_dwordx4 s[8:11], s[2:3], 0xd0
	s_waitcnt lgkmcnt(0)
	v_mul_hi_u32 v3, s5, v1
	v_add_u32_e32 v3, v1, v3
	v_lshrrev_b32_e32 v3, s6, v3
	v_mul_lo_u32 v3, v3, s4
	v_sub_u32_e32 v3, v1, v3
	v_mad_u64_u32 v[0:1], s[4:5], v3, s8, v[0:1]
	v_mad_u64_u32 v[4:5], s[4:5], v3, s9, v[4:5]
	v_mad_u64_u32 v[2:3], s[4:5], v3, s10, v[2:3]
.LBB101_119:
	s_and_b64 vcc, exec, s[0:1]
	v_add_u32_e32 v1, 0x80, v31
	s_cbranch_vccnz .LBB101_125
; %bb.120:
	s_cmp_lg_u32 s33, 0
	s_cbranch_scc0 .LBB101_126
; %bb.121:
	s_min_u32 s6, s36, 15
	s_add_i32 s4, s6, 1
	s_and_b32 s7, s4, 30
	s_add_u32 s4, s2, 0xffffffe8
	s_addc_u32 s5, s3, -1
	v_mov_b32_e32 v7, 0
	v_mov_b32_e32 v9, 0
	;; [unrolled: 1-line block ×4, first 2 shown]
.LBB101_122:                            ; =>This Inner Loop Header: Depth=1
	s_load_dwordx4 s[8:11], s[4:5], 0x1c
	s_load_dwordx2 s[16:17], s[4:5], 0x2c
	s_load_dwordx2 s[18:19], s[4:5], 0xec
	s_load_dwordx4 s[12:15], s[4:5], 0xdc
	s_add_u32 s4, s4, 24
	s_waitcnt lgkmcnt(0)
	v_mul_hi_u32 v6, s9, v3
	s_addc_u32 s5, s5, 0
	s_add_i32 s7, s7, -2
	s_cmp_lg_u32 s7, 0
	v_add_u32_e32 v6, v3, v6
	v_lshrrev_b32_e32 v6, s10, v6
	v_mul_lo_u32 v8, v6, s8
	v_mul_hi_u32 v10, s16, v6
	v_sub_u32_e32 v8, v3, v8
	v_add_u32_e32 v3, v6, v10
	v_lshrrev_b32_e32 v3, s17, v3
	v_mul_lo_u32 v12, v3, s11
	v_mul_lo_u32 v10, v8, s12
	;; [unrolled: 1-line block ×4, first 2 shown]
	v_sub_u32_e32 v6, v6, v12
	v_mul_lo_u32 v12, v6, s15
	v_mul_lo_u32 v13, v6, s18
	;; [unrolled: 1-line block ×3, first 2 shown]
	v_add3_u32 v5, v10, v5, v12
	v_add3_u32 v9, v11, v9, v13
	v_add3_u32 v7, v8, v7, v6
	s_cbranch_scc1 .LBB101_122
; %bb.123:
	s_bitcmp1_b32 s6, 0
	s_cselect_b64 s[6:7], -1, 0
	s_and_b64 vcc, exec, s[6:7]
	s_cbranch_vccnz .LBB101_127
; %bb.124:
	s_load_dwordx2 s[6:7], s[4:5], 0x1c
	s_load_dword s10, s[4:5], 0x24
	s_load_dwordx2 s[8:9], s[4:5], 0xdc
	s_waitcnt lgkmcnt(0)
	v_mul_hi_u32 v6, s7, v3
	v_add_u32_e32 v6, v3, v6
	v_lshrrev_b32_e32 v6, s10, v6
	v_mul_lo_u32 v6, v6, s6
	s_load_dword s6, s[4:5], 0xe4
	v_sub_u32_e32 v3, v3, v6
	v_mad_u64_u32 v[5:6], s[4:5], v3, s8, v[5:6]
	v_mad_u64_u32 v[9:10], s[4:5], v3, s9, v[9:10]
	s_waitcnt lgkmcnt(0)
	v_mad_u64_u32 v[7:8], s[4:5], v3, s6, v[7:8]
	s_cbranch_execz .LBB101_128
	s_branch .LBB101_130
.LBB101_125:
                                        ; implicit-def: $vgpr5
                                        ; implicit-def: $vgpr9
                                        ; implicit-def: $vgpr7
	s_branch .LBB101_128
.LBB101_126:
	v_mov_b32_e32 v5, 0
	v_mov_b32_e32 v9, 0
	;; [unrolled: 1-line block ×3, first 2 shown]
.LBB101_127:
	s_cbranch_execnz .LBB101_130
.LBB101_128:
	s_load_dwordx4 s[4:7], s[2:3], 0x4
	s_load_dwordx4 s[8:11], s[2:3], 0xc4
	s_cmp_lt_u32 s33, 2
	s_waitcnt lgkmcnt(0)
	v_mul_hi_u32 v3, s5, v1
	v_add_u32_e32 v3, v1, v3
	v_lshrrev_b32_e32 v3, s6, v3
	v_mul_lo_u32 v5, v3, s4
	v_sub_u32_e32 v1, v1, v5
	v_mul_lo_u32 v5, v1, s8
	v_mul_lo_u32 v9, v1, s9
	;; [unrolled: 1-line block ×3, first 2 shown]
	s_cbranch_scc1 .LBB101_130
; %bb.129:
	s_load_dwordx4 s[4:7], s[2:3], 0x10
	s_load_dwordx4 s[8:11], s[2:3], 0xd0
	s_waitcnt lgkmcnt(0)
	v_mul_hi_u32 v1, s5, v3
	v_add_u32_e32 v1, v3, v1
	v_lshrrev_b32_e32 v1, s6, v1
	v_mul_lo_u32 v1, v1, s4
	v_sub_u32_e32 v1, v3, v1
	v_mad_u64_u32 v[5:6], s[4:5], v1, s8, v[5:6]
	v_mad_u64_u32 v[9:10], s[4:5], v1, s9, v[9:10]
	;; [unrolled: 1-line block ×3, first 2 shown]
.LBB101_130:
	s_and_b64 vcc, exec, s[0:1]
	v_add_u32_e32 v1, 0x100, v31
	s_cbranch_vccnz .LBB101_136
; %bb.131:
	s_cmp_lg_u32 s33, 0
	s_cbranch_scc0 .LBB101_137
; %bb.132:
	s_min_u32 s6, s36, 15
	s_add_i32 s4, s6, 1
	s_and_b32 s7, s4, 30
	s_add_u32 s4, s2, 0xffffffe8
	s_addc_u32 s5, s3, -1
	v_mov_b32_e32 v12, 0
	v_mov_b32_e32 v14, 0
	;; [unrolled: 1-line block ×4, first 2 shown]
.LBB101_133:                            ; =>This Inner Loop Header: Depth=1
	s_load_dwordx4 s[8:11], s[4:5], 0x1c
	s_load_dwordx2 s[16:17], s[4:5], 0x2c
	s_load_dwordx2 s[18:19], s[4:5], 0xec
	s_load_dwordx4 s[12:15], s[4:5], 0xdc
	s_add_u32 s4, s4, 24
	s_waitcnt lgkmcnt(0)
	v_mul_hi_u32 v6, s9, v3
	s_addc_u32 s5, s5, 0
	s_add_i32 s7, s7, -2
	s_cmp_lg_u32 s7, 0
	v_add_u32_e32 v6, v3, v6
	v_lshrrev_b32_e32 v6, s10, v6
	v_mul_lo_u32 v8, v6, s8
	v_mul_hi_u32 v11, s16, v6
	v_sub_u32_e32 v8, v3, v8
	v_add_u32_e32 v3, v6, v11
	v_lshrrev_b32_e32 v3, s17, v3
	v_mul_lo_u32 v15, v3, s11
	v_mul_lo_u32 v11, v8, s12
	;; [unrolled: 1-line block ×4, first 2 shown]
	v_sub_u32_e32 v6, v6, v15
	v_mul_lo_u32 v15, v6, s15
	v_mul_lo_u32 v16, v6, s18
	;; [unrolled: 1-line block ×3, first 2 shown]
	v_add3_u32 v10, v11, v10, v15
	v_add3_u32 v14, v13, v14, v16
	;; [unrolled: 1-line block ×3, first 2 shown]
	s_cbranch_scc1 .LBB101_133
; %bb.134:
	s_bitcmp1_b32 s6, 0
	s_cselect_b64 s[6:7], -1, 0
	s_and_b64 vcc, exec, s[6:7]
	s_cbranch_vccnz .LBB101_138
; %bb.135:
	s_load_dwordx2 s[6:7], s[4:5], 0x1c
	s_load_dword s10, s[4:5], 0x24
	s_load_dwordx2 s[8:9], s[4:5], 0xdc
	s_waitcnt lgkmcnt(0)
	v_mul_hi_u32 v6, s7, v3
	v_add_u32_e32 v6, v3, v6
	v_lshrrev_b32_e32 v6, s10, v6
	v_mul_lo_u32 v6, v6, s6
	s_load_dword s6, s[4:5], 0xe4
	v_sub_u32_e32 v3, v3, v6
	v_mad_u64_u32 v[10:11], s[4:5], v3, s8, v[10:11]
	v_mad_u64_u32 v[14:15], s[4:5], v3, s9, v[14:15]
	s_waitcnt lgkmcnt(0)
	v_mad_u64_u32 v[12:13], s[4:5], v3, s6, v[12:13]
	s_cbranch_execz .LBB101_139
	s_branch .LBB101_141
.LBB101_136:
                                        ; implicit-def: $vgpr10
                                        ; implicit-def: $vgpr14
                                        ; implicit-def: $vgpr12
	s_branch .LBB101_139
.LBB101_137:
	v_mov_b32_e32 v10, 0
	v_mov_b32_e32 v14, 0
	;; [unrolled: 1-line block ×3, first 2 shown]
.LBB101_138:
	s_cbranch_execnz .LBB101_141
.LBB101_139:
	s_load_dwordx4 s[4:7], s[2:3], 0x4
	s_load_dwordx4 s[8:11], s[2:3], 0xc4
	s_cmp_lt_u32 s33, 2
	s_waitcnt lgkmcnt(0)
	v_mul_hi_u32 v3, s5, v1
	v_add_u32_e32 v3, v1, v3
	v_lshrrev_b32_e32 v3, s6, v3
	v_mul_lo_u32 v6, v3, s4
	v_sub_u32_e32 v1, v1, v6
	v_mul_lo_u32 v10, v1, s8
	v_mul_lo_u32 v14, v1, s9
	;; [unrolled: 1-line block ×3, first 2 shown]
	s_cbranch_scc1 .LBB101_141
; %bb.140:
	s_load_dwordx4 s[4:7], s[2:3], 0x10
	s_load_dwordx4 s[8:11], s[2:3], 0xd0
	s_waitcnt lgkmcnt(0)
	v_mul_hi_u32 v1, s5, v3
	v_add_u32_e32 v1, v3, v1
	v_lshrrev_b32_e32 v1, s6, v1
	v_mul_lo_u32 v1, v1, s4
	v_sub_u32_e32 v1, v3, v1
	v_mad_u64_u32 v[10:11], s[4:5], v1, s8, v[10:11]
	v_mad_u64_u32 v[14:15], s[4:5], v1, s9, v[14:15]
	;; [unrolled: 1-line block ×3, first 2 shown]
.LBB101_141:
	s_and_b64 vcc, exec, s[0:1]
	v_add_u32_e32 v1, 0x180, v31
	s_cbranch_vccnz .LBB101_147
; %bb.142:
	s_cmp_lg_u32 s33, 0
	s_cbranch_scc0 .LBB101_148
; %bb.143:
	s_min_u32 s6, s36, 15
	s_add_i32 s4, s6, 1
	s_and_b32 s7, s4, 30
	s_add_u32 s4, s2, 0xffffffe8
	s_addc_u32 s5, s3, -1
	v_mov_b32_e32 v17, 0
	v_mov_b32_e32 v19, 0
	;; [unrolled: 1-line block ×4, first 2 shown]
.LBB101_144:                            ; =>This Inner Loop Header: Depth=1
	s_load_dwordx4 s[8:11], s[4:5], 0x1c
	s_load_dwordx2 s[16:17], s[4:5], 0x2c
	s_load_dwordx2 s[18:19], s[4:5], 0xec
	s_load_dwordx4 s[12:15], s[4:5], 0xdc
	s_add_u32 s4, s4, 24
	s_waitcnt lgkmcnt(0)
	v_mul_hi_u32 v6, s9, v3
	s_addc_u32 s5, s5, 0
	s_add_i32 s7, s7, -2
	s_cmp_lg_u32 s7, 0
	v_add_u32_e32 v6, v3, v6
	v_lshrrev_b32_e32 v6, s10, v6
	v_mul_lo_u32 v8, v6, s8
	v_mul_hi_u32 v11, s16, v6
	v_sub_u32_e32 v8, v3, v8
	v_add_u32_e32 v3, v6, v11
	v_lshrrev_b32_e32 v3, s17, v3
	v_mul_lo_u32 v16, v3, s11
	v_mul_lo_u32 v11, v8, s12
	;; [unrolled: 1-line block ×4, first 2 shown]
	v_sub_u32_e32 v6, v6, v16
	v_mul_lo_u32 v16, v6, s15
	v_mul_lo_u32 v18, v6, s18
	;; [unrolled: 1-line block ×3, first 2 shown]
	v_add3_u32 v15, v11, v15, v16
	v_add3_u32 v19, v13, v19, v18
	;; [unrolled: 1-line block ×3, first 2 shown]
	s_cbranch_scc1 .LBB101_144
; %bb.145:
	s_bitcmp1_b32 s6, 0
	s_cselect_b64 s[6:7], -1, 0
	s_and_b64 vcc, exec, s[6:7]
	s_cbranch_vccnz .LBB101_149
; %bb.146:
	s_load_dwordx2 s[6:7], s[4:5], 0x1c
	s_load_dword s10, s[4:5], 0x24
	s_load_dwordx2 s[8:9], s[4:5], 0xdc
	s_waitcnt lgkmcnt(0)
	v_mul_hi_u32 v6, s7, v3
	v_add_u32_e32 v6, v3, v6
	v_lshrrev_b32_e32 v6, s10, v6
	v_mul_lo_u32 v6, v6, s6
	s_load_dword s6, s[4:5], 0xe4
	v_sub_u32_e32 v3, v3, v6
	v_mad_u64_u32 v[15:16], s[4:5], v3, s8, v[15:16]
	v_mad_u64_u32 v[19:20], s[4:5], v3, s9, v[19:20]
	s_waitcnt lgkmcnt(0)
	v_mad_u64_u32 v[17:18], s[4:5], v3, s6, v[17:18]
	s_cbranch_execz .LBB101_150
	s_branch .LBB101_152
.LBB101_147:
                                        ; implicit-def: $vgpr15
                                        ; implicit-def: $vgpr19
                                        ; implicit-def: $vgpr17
	s_branch .LBB101_150
.LBB101_148:
	v_mov_b32_e32 v15, 0
	v_mov_b32_e32 v19, 0
	;; [unrolled: 1-line block ×3, first 2 shown]
.LBB101_149:
	s_cbranch_execnz .LBB101_152
.LBB101_150:
	s_load_dwordx4 s[4:7], s[2:3], 0x4
	s_load_dwordx4 s[8:11], s[2:3], 0xc4
	s_cmp_lt_u32 s33, 2
	s_waitcnt lgkmcnt(0)
	v_mul_hi_u32 v3, s5, v1
	v_add_u32_e32 v3, v1, v3
	v_lshrrev_b32_e32 v3, s6, v3
	v_mul_lo_u32 v6, v3, s4
	v_sub_u32_e32 v1, v1, v6
	v_mul_lo_u32 v15, v1, s8
	v_mul_lo_u32 v19, v1, s9
	;; [unrolled: 1-line block ×3, first 2 shown]
	s_cbranch_scc1 .LBB101_152
; %bb.151:
	s_load_dwordx4 s[4:7], s[2:3], 0x10
	s_load_dwordx4 s[8:11], s[2:3], 0xd0
	s_waitcnt lgkmcnt(0)
	v_mul_hi_u32 v1, s5, v3
	v_add_u32_e32 v1, v3, v1
	v_lshrrev_b32_e32 v1, s6, v1
	v_mul_lo_u32 v1, v1, s4
	v_sub_u32_e32 v1, v3, v1
	v_mad_u64_u32 v[15:16], s[4:5], v1, s8, v[15:16]
	v_mad_u64_u32 v[19:20], s[4:5], v1, s9, v[19:20]
	;; [unrolled: 1-line block ×3, first 2 shown]
.LBB101_152:
	s_and_b64 vcc, exec, s[0:1]
	v_add_u32_e32 v1, 0x200, v31
	s_cbranch_vccnz .LBB101_158
; %bb.153:
	s_cmp_lg_u32 s33, 0
	s_cbranch_scc0 .LBB101_159
; %bb.154:
	s_min_u32 s6, s36, 15
	s_add_i32 s4, s6, 1
	s_and_b32 s7, s4, 30
	s_add_u32 s4, s2, 0xffffffe8
	s_addc_u32 s5, s3, -1
	v_mov_b32_e32 v22, 0
	v_mov_b32_e32 v24, 0
	;; [unrolled: 1-line block ×4, first 2 shown]
.LBB101_155:                            ; =>This Inner Loop Header: Depth=1
	s_load_dwordx4 s[8:11], s[4:5], 0x1c
	s_load_dwordx2 s[16:17], s[4:5], 0x2c
	s_load_dwordx2 s[18:19], s[4:5], 0xec
	s_load_dwordx4 s[12:15], s[4:5], 0xdc
	s_add_u32 s4, s4, 24
	s_waitcnt lgkmcnt(0)
	v_mul_hi_u32 v6, s9, v3
	s_addc_u32 s5, s5, 0
	s_add_i32 s7, s7, -2
	s_cmp_lg_u32 s7, 0
	v_add_u32_e32 v6, v3, v6
	v_lshrrev_b32_e32 v6, s10, v6
	v_mul_lo_u32 v8, v6, s8
	v_mul_hi_u32 v11, s16, v6
	v_sub_u32_e32 v8, v3, v8
	v_add_u32_e32 v3, v6, v11
	v_lshrrev_b32_e32 v3, s17, v3
	v_mul_lo_u32 v16, v3, s11
	v_mul_lo_u32 v11, v8, s12
	;; [unrolled: 1-line block ×4, first 2 shown]
	v_sub_u32_e32 v6, v6, v16
	v_mul_lo_u32 v16, v6, s15
	v_mul_lo_u32 v18, v6, s18
	;; [unrolled: 1-line block ×3, first 2 shown]
	v_add3_u32 v20, v11, v20, v16
	v_add3_u32 v24, v13, v24, v18
	;; [unrolled: 1-line block ×3, first 2 shown]
	s_cbranch_scc1 .LBB101_155
; %bb.156:
	s_bitcmp1_b32 s6, 0
	s_cselect_b64 s[6:7], -1, 0
	s_and_b64 vcc, exec, s[6:7]
	s_cbranch_vccnz .LBB101_160
; %bb.157:
	s_load_dwordx2 s[6:7], s[4:5], 0x1c
	s_load_dword s10, s[4:5], 0x24
	s_load_dwordx2 s[8:9], s[4:5], 0xdc
	s_waitcnt lgkmcnt(0)
	v_mul_hi_u32 v6, s7, v3
	v_add_u32_e32 v6, v3, v6
	v_lshrrev_b32_e32 v6, s10, v6
	v_mul_lo_u32 v6, v6, s6
	s_load_dword s6, s[4:5], 0xe4
	v_sub_u32_e32 v3, v3, v6
	v_mad_u64_u32 v[20:21], s[4:5], v3, s8, v[20:21]
	v_mad_u64_u32 v[24:25], s[4:5], v3, s9, v[24:25]
	s_waitcnt lgkmcnt(0)
	v_mad_u64_u32 v[22:23], s[4:5], v3, s6, v[22:23]
	s_cbranch_execz .LBB101_161
	s_branch .LBB101_163
.LBB101_158:
                                        ; implicit-def: $vgpr20
                                        ; implicit-def: $vgpr24
                                        ; implicit-def: $vgpr22
	s_branch .LBB101_161
.LBB101_159:
	v_mov_b32_e32 v20, 0
	v_mov_b32_e32 v24, 0
	;; [unrolled: 1-line block ×3, first 2 shown]
.LBB101_160:
	s_cbranch_execnz .LBB101_163
.LBB101_161:
	s_load_dwordx4 s[4:7], s[2:3], 0x4
	s_load_dwordx4 s[8:11], s[2:3], 0xc4
	s_cmp_lt_u32 s33, 2
	s_waitcnt lgkmcnt(0)
	v_mul_hi_u32 v3, s5, v1
	v_add_u32_e32 v3, v1, v3
	v_lshrrev_b32_e32 v3, s6, v3
	v_mul_lo_u32 v6, v3, s4
	v_sub_u32_e32 v1, v1, v6
	v_mul_lo_u32 v20, v1, s8
	v_mul_lo_u32 v24, v1, s9
	;; [unrolled: 1-line block ×3, first 2 shown]
	s_cbranch_scc1 .LBB101_163
; %bb.162:
	s_load_dwordx4 s[4:7], s[2:3], 0x10
	s_load_dwordx4 s[8:11], s[2:3], 0xd0
	s_waitcnt lgkmcnt(0)
	v_mul_hi_u32 v1, s5, v3
	v_add_u32_e32 v1, v3, v1
	v_lshrrev_b32_e32 v1, s6, v1
	v_mul_lo_u32 v1, v1, s4
	v_sub_u32_e32 v1, v3, v1
	v_mad_u64_u32 v[20:21], s[4:5], v1, s8, v[20:21]
	v_mad_u64_u32 v[24:25], s[4:5], v1, s9, v[24:25]
	;; [unrolled: 1-line block ×3, first 2 shown]
.LBB101_163:
	s_and_b64 vcc, exec, s[0:1]
	v_add_u32_e32 v1, 0x280, v31
	s_cbranch_vccnz .LBB101_169
; %bb.164:
	s_cmp_lg_u32 s33, 0
	s_cbranch_scc0 .LBB101_170
; %bb.165:
	s_min_u32 s6, s36, 15
	s_add_i32 s4, s6, 1
	s_and_b32 s7, s4, 30
	s_add_u32 s4, s2, 0xffffffe8
	s_addc_u32 s5, s3, -1
	v_mov_b32_e32 v27, 0
	v_mov_b32_e32 v29, 0
	;; [unrolled: 1-line block ×4, first 2 shown]
.LBB101_166:                            ; =>This Inner Loop Header: Depth=1
	s_load_dwordx4 s[8:11], s[4:5], 0x1c
	s_load_dwordx2 s[16:17], s[4:5], 0x2c
	s_load_dwordx2 s[18:19], s[4:5], 0xec
	s_load_dwordx4 s[12:15], s[4:5], 0xdc
	s_add_u32 s4, s4, 24
	s_waitcnt lgkmcnt(0)
	v_mul_hi_u32 v6, s9, v3
	s_addc_u32 s5, s5, 0
	s_add_i32 s7, s7, -2
	s_cmp_lg_u32 s7, 0
	v_add_u32_e32 v6, v3, v6
	v_lshrrev_b32_e32 v6, s10, v6
	v_mul_lo_u32 v8, v6, s8
	v_mul_hi_u32 v11, s16, v6
	v_sub_u32_e32 v8, v3, v8
	v_add_u32_e32 v3, v6, v11
	v_lshrrev_b32_e32 v3, s17, v3
	v_mul_lo_u32 v16, v3, s11
	v_mul_lo_u32 v11, v8, s12
	v_mul_lo_u32 v13, v8, s13
	v_mul_lo_u32 v8, v8, s14
	v_sub_u32_e32 v6, v6, v16
	v_mul_lo_u32 v16, v6, s15
	v_mul_lo_u32 v18, v6, s18
	v_mul_lo_u32 v6, v6, s19
	v_add3_u32 v25, v11, v25, v16
	v_add3_u32 v29, v13, v29, v18
	v_add3_u32 v27, v8, v27, v6
	s_cbranch_scc1 .LBB101_166
; %bb.167:
	s_bitcmp1_b32 s6, 0
	s_cselect_b64 s[6:7], -1, 0
	s_and_b64 vcc, exec, s[6:7]
	s_cbranch_vccnz .LBB101_171
; %bb.168:
	s_load_dwordx2 s[6:7], s[4:5], 0x1c
	s_load_dword s10, s[4:5], 0x24
	s_load_dwordx2 s[8:9], s[4:5], 0xdc
	s_waitcnt lgkmcnt(0)
	v_mul_hi_u32 v6, s7, v3
	v_add_u32_e32 v6, v3, v6
	v_lshrrev_b32_e32 v6, s10, v6
	v_mul_lo_u32 v6, v6, s6
	s_load_dword s6, s[4:5], 0xe4
	v_sub_u32_e32 v3, v3, v6
	v_mad_u64_u32 v[25:26], s[4:5], v3, s8, v[25:26]
	v_mad_u64_u32 v[29:30], s[4:5], v3, s9, v[29:30]
	s_waitcnt lgkmcnt(0)
	v_mad_u64_u32 v[27:28], s[4:5], v3, s6, v[27:28]
	s_cbranch_execz .LBB101_172
	s_branch .LBB101_174
.LBB101_169:
                                        ; implicit-def: $vgpr25
                                        ; implicit-def: $vgpr29
                                        ; implicit-def: $vgpr27
	s_branch .LBB101_172
.LBB101_170:
	v_mov_b32_e32 v25, 0
	v_mov_b32_e32 v29, 0
	v_mov_b32_e32 v27, 0
.LBB101_171:
	s_cbranch_execnz .LBB101_174
.LBB101_172:
	s_load_dwordx4 s[4:7], s[2:3], 0x4
	s_load_dwordx4 s[8:11], s[2:3], 0xc4
	s_cmp_lt_u32 s33, 2
	s_waitcnt lgkmcnt(0)
	v_mul_hi_u32 v3, s5, v1
	v_add_u32_e32 v3, v1, v3
	v_lshrrev_b32_e32 v3, s6, v3
	v_mul_lo_u32 v6, v3, s4
	v_sub_u32_e32 v1, v1, v6
	v_mul_lo_u32 v25, v1, s8
	v_mul_lo_u32 v29, v1, s9
	;; [unrolled: 1-line block ×3, first 2 shown]
	s_cbranch_scc1 .LBB101_174
; %bb.173:
	s_load_dwordx4 s[4:7], s[2:3], 0x10
	s_load_dwordx4 s[8:11], s[2:3], 0xd0
	s_waitcnt lgkmcnt(0)
	v_mul_hi_u32 v1, s5, v3
	v_add_u32_e32 v1, v3, v1
	v_lshrrev_b32_e32 v1, s6, v1
	v_mul_lo_u32 v1, v1, s4
	v_sub_u32_e32 v1, v3, v1
	v_mad_u64_u32 v[25:26], s[4:5], v1, s8, v[25:26]
	v_mad_u64_u32 v[29:30], s[4:5], v1, s9, v[29:30]
	;; [unrolled: 1-line block ×3, first 2 shown]
.LBB101_174:
	s_and_b64 vcc, exec, s[0:1]
	v_add_u32_e32 v1, 0x300, v31
	s_cbranch_vccnz .LBB101_180
; %bb.175:
	s_cmp_lg_u32 s33, 0
	s_cbranch_scc0 .LBB101_181
; %bb.176:
	s_min_u32 s6, s36, 15
	s_add_i32 s4, s6, 1
	s_and_b32 s7, s4, 30
	s_add_u32 s4, s2, 0xffffffe8
	s_addc_u32 s5, s3, -1
	v_mov_b32_e32 v34, 0
	v_mov_b32_e32 v32, 0
	;; [unrolled: 1-line block ×4, first 2 shown]
.LBB101_177:                            ; =>This Inner Loop Header: Depth=1
	s_load_dwordx4 s[8:11], s[4:5], 0x1c
	s_load_dwordx2 s[16:17], s[4:5], 0x2c
	s_load_dwordx2 s[18:19], s[4:5], 0xec
	s_load_dwordx4 s[12:15], s[4:5], 0xdc
	s_add_u32 s4, s4, 24
	s_waitcnt lgkmcnt(0)
	v_mul_hi_u32 v6, s9, v3
	s_addc_u32 s5, s5, 0
	s_add_i32 s7, s7, -2
	s_cmp_lg_u32 s7, 0
	v_add_u32_e32 v6, v3, v6
	v_lshrrev_b32_e32 v6, s10, v6
	v_mul_lo_u32 v8, v6, s8
	v_mul_hi_u32 v11, s16, v6
	v_sub_u32_e32 v8, v3, v8
	v_add_u32_e32 v3, v6, v11
	v_lshrrev_b32_e32 v3, s17, v3
	v_mul_lo_u32 v16, v3, s11
	v_mul_lo_u32 v11, v8, s12
	;; [unrolled: 1-line block ×4, first 2 shown]
	v_sub_u32_e32 v6, v6, v16
	v_mul_lo_u32 v16, v6, s15
	v_mul_lo_u32 v18, v6, s18
	;; [unrolled: 1-line block ×3, first 2 shown]
	v_add3_u32 v30, v11, v30, v16
	v_add3_u32 v32, v13, v32, v18
	;; [unrolled: 1-line block ×3, first 2 shown]
	s_cbranch_scc1 .LBB101_177
; %bb.178:
	s_bitcmp1_b32 s6, 0
	s_cselect_b64 s[6:7], -1, 0
	s_and_b64 vcc, exec, s[6:7]
	s_cbranch_vccnz .LBB101_182
; %bb.179:
	s_load_dwordx2 s[6:7], s[4:5], 0x1c
	s_load_dword s10, s[4:5], 0x24
	s_load_dwordx2 s[8:9], s[4:5], 0xdc
	s_waitcnt lgkmcnt(0)
	v_mul_hi_u32 v6, s7, v3
	v_add_u32_e32 v6, v3, v6
	v_lshrrev_b32_e32 v6, s10, v6
	v_mul_lo_u32 v6, v6, s6
	s_load_dword s6, s[4:5], 0xe4
	v_sub_u32_e32 v3, v3, v6
	v_mad_u64_u32 v[30:31], s[4:5], v3, s8, v[30:31]
	v_mad_u64_u32 v[32:33], s[4:5], v3, s9, v[32:33]
	s_waitcnt lgkmcnt(0)
	v_mad_u64_u32 v[34:35], s[4:5], v3, s6, v[34:35]
	s_cbranch_execz .LBB101_183
	s_branch .LBB101_185
.LBB101_180:
                                        ; implicit-def: $vgpr30
                                        ; implicit-def: $vgpr32
                                        ; implicit-def: $vgpr34
	s_branch .LBB101_183
.LBB101_181:
	v_mov_b32_e32 v30, 0
	v_mov_b32_e32 v32, 0
	;; [unrolled: 1-line block ×3, first 2 shown]
.LBB101_182:
	s_cbranch_execnz .LBB101_185
.LBB101_183:
	s_load_dwordx4 s[4:7], s[2:3], 0x4
	s_load_dwordx4 s[8:11], s[2:3], 0xc4
	s_cmp_lt_u32 s33, 2
	s_waitcnt lgkmcnt(0)
	v_mul_hi_u32 v3, s5, v1
	v_add_u32_e32 v3, v1, v3
	v_lshrrev_b32_e32 v3, s6, v3
	v_mul_lo_u32 v6, v3, s4
	v_sub_u32_e32 v1, v1, v6
	v_mul_lo_u32 v30, v1, s8
	v_mul_lo_u32 v32, v1, s9
	;; [unrolled: 1-line block ×3, first 2 shown]
	s_cbranch_scc1 .LBB101_185
; %bb.184:
	s_load_dwordx4 s[4:7], s[2:3], 0x10
	s_load_dwordx4 s[8:11], s[2:3], 0xd0
	s_waitcnt lgkmcnt(0)
	v_mul_hi_u32 v1, s5, v3
	v_add_u32_e32 v1, v3, v1
	v_lshrrev_b32_e32 v1, s6, v1
	v_mul_lo_u32 v1, v1, s4
	v_sub_u32_e32 v1, v3, v1
	v_mad_u64_u32 v[30:31], s[4:5], v1, s8, v[30:31]
	v_mad_u64_u32 v[32:33], s[4:5], v1, s9, v[32:33]
	;; [unrolled: 1-line block ×3, first 2 shown]
.LBB101_185:
	s_and_b64 vcc, exec, s[0:1]
	s_cbranch_vccnz .LBB101_191
; %bb.186:
	s_cmp_lg_u32 s33, 0
	s_cbranch_scc0 .LBB101_192
; %bb.187:
	s_min_u32 s4, s36, 15
	s_add_i32 s0, s4, 1
	s_and_b32 s5, s0, 30
	s_add_u32 s0, s2, 0xffffffe8
	s_addc_u32 s1, s3, -1
	v_mov_b32_e32 v39, 0
	v_mov_b32_e32 v37, 0
	;; [unrolled: 1-line block ×4, first 2 shown]
.LBB101_188:                            ; =>This Inner Loop Header: Depth=1
	s_load_dwordx4 s[8:11], s[0:1], 0x1c
	s_load_dwordx2 s[6:7], s[0:1], 0x2c
	s_load_dwordx2 s[16:17], s[0:1], 0xec
	s_load_dwordx4 s[12:15], s[0:1], 0xdc
	s_add_u32 s0, s0, 24
	s_waitcnt lgkmcnt(0)
	v_mul_hi_u32 v3, s9, v1
	s_addc_u32 s1, s1, 0
	s_add_i32 s5, s5, -2
	s_cmp_lg_u32 s5, 0
	v_add_u32_e32 v3, v1, v3
	v_lshrrev_b32_e32 v3, s10, v3
	v_mul_lo_u32 v6, v3, s8
	v_mul_hi_u32 v8, s6, v3
	v_sub_u32_e32 v6, v1, v6
	v_add_u32_e32 v1, v3, v8
	v_lshrrev_b32_e32 v1, s7, v1
	v_mul_lo_u32 v13, v1, s11
	v_mul_lo_u32 v8, v6, s12
	;; [unrolled: 1-line block ×4, first 2 shown]
	v_sub_u32_e32 v3, v3, v13
	v_mul_lo_u32 v13, v3, s15
	v_mul_lo_u32 v16, v3, s16
	;; [unrolled: 1-line block ×3, first 2 shown]
	v_add3_u32 v35, v8, v35, v13
	v_add3_u32 v37, v11, v37, v16
	;; [unrolled: 1-line block ×3, first 2 shown]
	s_cbranch_scc1 .LBB101_188
; %bb.189:
	s_bitcmp1_b32 s4, 0
	s_cselect_b64 s[4:5], -1, 0
	s_and_b64 vcc, exec, s[4:5]
	s_cbranch_vccnz .LBB101_193
; %bb.190:
	s_load_dwordx2 s[4:5], s[0:1], 0x1c
	s_load_dword s8, s[0:1], 0x24
	s_load_dwordx2 s[6:7], s[0:1], 0xdc
	s_waitcnt lgkmcnt(0)
	v_mul_hi_u32 v3, s5, v1
	v_add_u32_e32 v3, v1, v3
	v_lshrrev_b32_e32 v3, s8, v3
	v_mul_lo_u32 v3, v3, s4
	s_load_dword s4, s[0:1], 0xe4
	v_sub_u32_e32 v1, v1, v3
	v_mad_u64_u32 v[35:36], s[0:1], v1, s6, v[35:36]
	v_mad_u64_u32 v[37:38], s[0:1], v1, s7, v[37:38]
	s_waitcnt lgkmcnt(0)
	v_mad_u64_u32 v[39:40], s[0:1], v1, s4, v[39:40]
	s_cbranch_execz .LBB101_194
	s_branch .LBB101_196
.LBB101_191:
                                        ; implicit-def: $vgpr35
                                        ; implicit-def: $vgpr37
                                        ; implicit-def: $vgpr39
	s_branch .LBB101_194
.LBB101_192:
	v_mov_b32_e32 v35, 0
	v_mov_b32_e32 v37, 0
	v_mov_b32_e32 v39, 0
.LBB101_193:
	s_cbranch_execnz .LBB101_196
.LBB101_194:
	s_load_dwordx4 s[4:7], s[2:3], 0x4
	s_load_dwordx4 s[8:11], s[2:3], 0xc4
	s_cmp_lt_u32 s33, 2
	s_waitcnt lgkmcnt(0)
	v_mul_hi_u32 v1, s5, v41
	v_add_u32_e32 v1, v41, v1
	v_lshrrev_b32_e32 v1, s6, v1
	v_mul_lo_u32 v3, v1, s4
	v_sub_u32_e32 v3, v41, v3
	v_mul_lo_u32 v35, v3, s8
	v_mul_lo_u32 v37, v3, s9
	v_mul_lo_u32 v39, v3, s10
	s_cbranch_scc1 .LBB101_196
; %bb.195:
	s_load_dwordx4 s[4:7], s[2:3], 0x10
	s_load_dwordx4 s[8:11], s[2:3], 0xd0
	s_waitcnt lgkmcnt(0)
	v_mul_hi_u32 v3, s5, v1
	v_add_u32_e32 v3, v1, v3
	v_lshrrev_b32_e32 v3, s6, v3
	v_mul_lo_u32 v3, v3, s4
	v_sub_u32_e32 v1, v1, v3
	v_mad_u64_u32 v[35:36], s[0:1], v1, s8, v[35:36]
	v_mad_u64_u32 v[37:38], s[0:1], v1, s9, v[37:38]
	;; [unrolled: 1-line block ×3, first 2 shown]
.LBB101_196:
	s_load_dwordx4 s[4:7], s[2:3], 0x188
	s_load_dwordx2 s[0:1], s[2:3], 0x198
	s_waitcnt lgkmcnt(0)
	global_load_dword v1, v4, s[6:7]
	s_nop 0
	global_load_dword v3, v2, s[0:1]
	global_load_dword v6, v9, s[6:7]
	;; [unrolled: 1-line block ×7, first 2 shown]
                                        ; kill: killed $vgpr4
                                        ; kill: killed $vgpr9
                                        ; kill: killed $vgpr2
                                        ; kill: killed $vgpr14
                                        ; kill: killed $vgpr7
                                        ; kill: killed $vgpr19
                                        ; kill: killed $vgpr12
                                        ; kill: killed $vgpr17
	global_load_dword v2, v24, s[6:7]
	global_load_dword v4, v22, s[0:1]
	;; [unrolled: 1-line block ×8, first 2 shown]
	s_load_dword s0, s[2:3], 0x1a0
	s_waitcnt lgkmcnt(0)
	s_cmp_eq_u32 s0, 0
	s_waitcnt vmcnt(14)
	v_cmp_neq_f32_e32 vcc, v1, v3
	v_cmp_eq_f32_e64 s[0:1], v1, v3
	v_cndmask_b32_e64 v3, 0, 1, vcc
	s_waitcnt vmcnt(12)
	v_cmp_neq_f32_e32 vcc, v6, v8
	v_cndmask_b32_e64 v1, 0, 1, s[0:1]
	v_cmp_eq_f32_e64 s[0:1], v6, v8
	v_cndmask_b32_e64 v8, 0, 1, vcc
	s_waitcnt vmcnt(10)
	v_cmp_neq_f32_e32 vcc, v11, v13
	v_cndmask_b32_e64 v6, 0, 1, s[0:1]
	;; [unrolled: 5-line block ×3, first 2 shown]
	v_cmp_eq_f32_e64 s[0:1], v16, v18
	v_cndmask_b32_e64 v18, 0, 1, vcc
	v_cndmask_b32_e64 v16, 0, 1, s[0:1]
	s_waitcnt vmcnt(6)
	v_cmp_neq_f32_e32 vcc, v2, v4
	v_cmp_eq_f32_e64 s[0:1], v2, v4
	v_cndmask_b32_e64 v4, 0, 1, vcc
	s_waitcnt vmcnt(4)
	v_cmp_neq_f32_e32 vcc, v7, v9
	v_cndmask_b32_e64 v2, 0, 1, s[0:1]
	v_cmp_eq_f32_e64 s[0:1], v7, v9
	v_cndmask_b32_e64 v9, 0, 1, vcc
	s_waitcnt vmcnt(2)
	v_cmp_neq_f32_e32 vcc, v12, v14
	v_cndmask_b32_e64 v7, 0, 1, s[0:1]
	;; [unrolled: 5-line block ×3, first 2 shown]
	v_cmp_eq_f32_e64 s[0:1], v17, v19
	v_cndmask_b32_e64 v19, 0, 1, vcc
	s_cselect_b64 vcc, -1, 0
	v_cndmask_b32_e64 v17, 0, 1, s[0:1]
	v_cndmask_b32_e32 v1, v3, v1, vcc
	v_cndmask_b32_e32 v3, v8, v6, vcc
	;; [unrolled: 1-line block ×8, first 2 shown]
	v_and_b32_e32 v1, 1, v1
	v_and_b32_e32 v3, 1, v3
	;; [unrolled: 1-line block ×8, first 2 shown]
	global_store_byte v0, v1, s[4:5]
	global_store_byte v5, v3, s[4:5]
	;; [unrolled: 1-line block ×8, first 2 shown]
	s_endpgm
	.section	.rodata,"a",@progbits
	.p2align	6, 0x0
	.amdhsa_kernel _ZN2at6native32elementwise_kernel_manual_unrollILi128ELi8EZNS0_22gpu_kernel_impl_nocastINS0_13BinaryFunctorIffbNS0_12_GLOBAL__N_116CompareEqFunctorIfEEEEEEvRNS_18TensorIteratorBaseERKT_EUlibE_EEviT1_
		.amdhsa_group_segment_fixed_size 0
		.amdhsa_private_segment_fixed_size 0
		.amdhsa_kernarg_size 432
		.amdhsa_user_sgpr_count 6
		.amdhsa_user_sgpr_private_segment_buffer 1
		.amdhsa_user_sgpr_dispatch_ptr 0
		.amdhsa_user_sgpr_queue_ptr 0
		.amdhsa_user_sgpr_kernarg_segment_ptr 1
		.amdhsa_user_sgpr_dispatch_id 0
		.amdhsa_user_sgpr_flat_scratch_init 0
		.amdhsa_user_sgpr_private_segment_size 0
		.amdhsa_uses_dynamic_stack 0
		.amdhsa_system_sgpr_private_segment_wavefront_offset 0
		.amdhsa_system_sgpr_workgroup_id_x 1
		.amdhsa_system_sgpr_workgroup_id_y 0
		.amdhsa_system_sgpr_workgroup_id_z 0
		.amdhsa_system_sgpr_workgroup_info 0
		.amdhsa_system_vgpr_workitem_id 0
		.amdhsa_next_free_vgpr 42
		.amdhsa_next_free_sgpr 52
		.amdhsa_reserve_vcc 1
		.amdhsa_reserve_flat_scratch 0
		.amdhsa_float_round_mode_32 0
		.amdhsa_float_round_mode_16_64 0
		.amdhsa_float_denorm_mode_32 3
		.amdhsa_float_denorm_mode_16_64 3
		.amdhsa_dx10_clamp 1
		.amdhsa_ieee_mode 1
		.amdhsa_fp16_overflow 0
		.amdhsa_exception_fp_ieee_invalid_op 0
		.amdhsa_exception_fp_denorm_src 0
		.amdhsa_exception_fp_ieee_div_zero 0
		.amdhsa_exception_fp_ieee_overflow 0
		.amdhsa_exception_fp_ieee_underflow 0
		.amdhsa_exception_fp_ieee_inexact 0
		.amdhsa_exception_int_div_zero 0
	.end_amdhsa_kernel
	.section	.text._ZN2at6native32elementwise_kernel_manual_unrollILi128ELi8EZNS0_22gpu_kernel_impl_nocastINS0_13BinaryFunctorIffbNS0_12_GLOBAL__N_116CompareEqFunctorIfEEEEEEvRNS_18TensorIteratorBaseERKT_EUlibE_EEviT1_,"axG",@progbits,_ZN2at6native32elementwise_kernel_manual_unrollILi128ELi8EZNS0_22gpu_kernel_impl_nocastINS0_13BinaryFunctorIffbNS0_12_GLOBAL__N_116CompareEqFunctorIfEEEEEEvRNS_18TensorIteratorBaseERKT_EUlibE_EEviT1_,comdat
.Lfunc_end101:
	.size	_ZN2at6native32elementwise_kernel_manual_unrollILi128ELi8EZNS0_22gpu_kernel_impl_nocastINS0_13BinaryFunctorIffbNS0_12_GLOBAL__N_116CompareEqFunctorIfEEEEEEvRNS_18TensorIteratorBaseERKT_EUlibE_EEviT1_, .Lfunc_end101-_ZN2at6native32elementwise_kernel_manual_unrollILi128ELi8EZNS0_22gpu_kernel_impl_nocastINS0_13BinaryFunctorIffbNS0_12_GLOBAL__N_116CompareEqFunctorIfEEEEEEvRNS_18TensorIteratorBaseERKT_EUlibE_EEviT1_
                                        ; -- End function
	.set _ZN2at6native32elementwise_kernel_manual_unrollILi128ELi8EZNS0_22gpu_kernel_impl_nocastINS0_13BinaryFunctorIffbNS0_12_GLOBAL__N_116CompareEqFunctorIfEEEEEEvRNS_18TensorIteratorBaseERKT_EUlibE_EEviT1_.num_vgpr, 42
	.set _ZN2at6native32elementwise_kernel_manual_unrollILi128ELi8EZNS0_22gpu_kernel_impl_nocastINS0_13BinaryFunctorIffbNS0_12_GLOBAL__N_116CompareEqFunctorIfEEEEEEvRNS_18TensorIteratorBaseERKT_EUlibE_EEviT1_.num_agpr, 0
	.set _ZN2at6native32elementwise_kernel_manual_unrollILi128ELi8EZNS0_22gpu_kernel_impl_nocastINS0_13BinaryFunctorIffbNS0_12_GLOBAL__N_116CompareEqFunctorIfEEEEEEvRNS_18TensorIteratorBaseERKT_EUlibE_EEviT1_.numbered_sgpr, 52
	.set _ZN2at6native32elementwise_kernel_manual_unrollILi128ELi8EZNS0_22gpu_kernel_impl_nocastINS0_13BinaryFunctorIffbNS0_12_GLOBAL__N_116CompareEqFunctorIfEEEEEEvRNS_18TensorIteratorBaseERKT_EUlibE_EEviT1_.num_named_barrier, 0
	.set _ZN2at6native32elementwise_kernel_manual_unrollILi128ELi8EZNS0_22gpu_kernel_impl_nocastINS0_13BinaryFunctorIffbNS0_12_GLOBAL__N_116CompareEqFunctorIfEEEEEEvRNS_18TensorIteratorBaseERKT_EUlibE_EEviT1_.private_seg_size, 0
	.set _ZN2at6native32elementwise_kernel_manual_unrollILi128ELi8EZNS0_22gpu_kernel_impl_nocastINS0_13BinaryFunctorIffbNS0_12_GLOBAL__N_116CompareEqFunctorIfEEEEEEvRNS_18TensorIteratorBaseERKT_EUlibE_EEviT1_.uses_vcc, 1
	.set _ZN2at6native32elementwise_kernel_manual_unrollILi128ELi8EZNS0_22gpu_kernel_impl_nocastINS0_13BinaryFunctorIffbNS0_12_GLOBAL__N_116CompareEqFunctorIfEEEEEEvRNS_18TensorIteratorBaseERKT_EUlibE_EEviT1_.uses_flat_scratch, 0
	.set _ZN2at6native32elementwise_kernel_manual_unrollILi128ELi8EZNS0_22gpu_kernel_impl_nocastINS0_13BinaryFunctorIffbNS0_12_GLOBAL__N_116CompareEqFunctorIfEEEEEEvRNS_18TensorIteratorBaseERKT_EUlibE_EEviT1_.has_dyn_sized_stack, 0
	.set _ZN2at6native32elementwise_kernel_manual_unrollILi128ELi8EZNS0_22gpu_kernel_impl_nocastINS0_13BinaryFunctorIffbNS0_12_GLOBAL__N_116CompareEqFunctorIfEEEEEEvRNS_18TensorIteratorBaseERKT_EUlibE_EEviT1_.has_recursion, 0
	.set _ZN2at6native32elementwise_kernel_manual_unrollILi128ELi8EZNS0_22gpu_kernel_impl_nocastINS0_13BinaryFunctorIffbNS0_12_GLOBAL__N_116CompareEqFunctorIfEEEEEEvRNS_18TensorIteratorBaseERKT_EUlibE_EEviT1_.has_indirect_call, 0
	.section	.AMDGPU.csdata,"",@progbits
; Kernel info:
; codeLenInByte = 9676
; TotalNumSgprs: 56
; NumVgprs: 42
; ScratchSize: 0
; MemoryBound: 0
; FloatMode: 240
; IeeeMode: 1
; LDSByteSize: 0 bytes/workgroup (compile time only)
; SGPRBlocks: 6
; VGPRBlocks: 10
; NumSGPRsForWavesPerEU: 56
; NumVGPRsForWavesPerEU: 42
; Occupancy: 5
; WaveLimiterHint : 1
; COMPUTE_PGM_RSRC2:SCRATCH_EN: 0
; COMPUTE_PGM_RSRC2:USER_SGPR: 6
; COMPUTE_PGM_RSRC2:TRAP_HANDLER: 0
; COMPUTE_PGM_RSRC2:TGID_X_EN: 1
; COMPUTE_PGM_RSRC2:TGID_Y_EN: 0
; COMPUTE_PGM_RSRC2:TGID_Z_EN: 0
; COMPUTE_PGM_RSRC2:TIDIG_COMP_CNT: 0
	.section	.text._ZN2at6native32elementwise_kernel_manual_unrollILi128ELi4EZNS0_15gpu_kernel_implINS0_13BinaryFunctorIffbNS0_12_GLOBAL__N_116CompareEqFunctorIfEEEEEEvRNS_18TensorIteratorBaseERKT_EUlibE_EEviT1_,"axG",@progbits,_ZN2at6native32elementwise_kernel_manual_unrollILi128ELi4EZNS0_15gpu_kernel_implINS0_13BinaryFunctorIffbNS0_12_GLOBAL__N_116CompareEqFunctorIfEEEEEEvRNS_18TensorIteratorBaseERKT_EUlibE_EEviT1_,comdat
	.globl	_ZN2at6native32elementwise_kernel_manual_unrollILi128ELi4EZNS0_15gpu_kernel_implINS0_13BinaryFunctorIffbNS0_12_GLOBAL__N_116CompareEqFunctorIfEEEEEEvRNS_18TensorIteratorBaseERKT_EUlibE_EEviT1_ ; -- Begin function _ZN2at6native32elementwise_kernel_manual_unrollILi128ELi4EZNS0_15gpu_kernel_implINS0_13BinaryFunctorIffbNS0_12_GLOBAL__N_116CompareEqFunctorIfEEEEEEvRNS_18TensorIteratorBaseERKT_EUlibE_EEviT1_
	.p2align	8
	.type	_ZN2at6native32elementwise_kernel_manual_unrollILi128ELi4EZNS0_15gpu_kernel_implINS0_13BinaryFunctorIffbNS0_12_GLOBAL__N_116CompareEqFunctorIfEEEEEEvRNS_18TensorIteratorBaseERKT_EUlibE_EEviT1_,@function
_ZN2at6native32elementwise_kernel_manual_unrollILi128ELi4EZNS0_15gpu_kernel_implINS0_13BinaryFunctorIffbNS0_12_GLOBAL__N_116CompareEqFunctorIfEEEEEEvRNS_18TensorIteratorBaseERKT_EUlibE_EEviT1_: ; @_ZN2at6native32elementwise_kernel_manual_unrollILi128ELi4EZNS0_15gpu_kernel_implINS0_13BinaryFunctorIffbNS0_12_GLOBAL__N_116CompareEqFunctorIfEEEEEEvRNS_18TensorIteratorBaseERKT_EUlibE_EEviT1_
; %bb.0:
	s_load_dword s33, s[4:5], 0x30
	s_load_dword s50, s[4:5], 0x0
	s_load_dwordx4 s[8:11], s[4:5], 0x8
	s_load_dwordx2 s[16:17], s[4:5], 0x18
	s_load_dwordx4 s[12:15], s[4:5], 0x20
	v_lshl_or_b32 v2, s6, 9, v0
	v_or_b32_e32 v0, 0x180, v2
	s_waitcnt lgkmcnt(0)
	s_lshr_b32 s57, s33, 8
	s_lshr_b32 s56, s33, 16
	v_cmp_le_i32_e32 vcc, s50, v0
	s_mov_b64 s[6:7], 0
	s_mov_b64 s[20:21], 0
	s_and_saveexec_b64 s[0:1], vcc
	s_xor_b64 s[18:19], exec, s[0:1]
	s_cbranch_execz .LBB102_1544
; %bb.1:
	s_cmp_eq_u32 s15, 0
	s_cselect_b64 s[0:1], -1, 0
	v_cmp_gt_i32_e32 vcc, s50, v2
	s_mov_b64 s[2:3], -1
	s_mov_b64 s[30:31], 0
	s_mov_b64 s[24:25], 0
	s_mov_b64 s[22:23], 0
	s_and_saveexec_b64 s[26:27], vcc
	s_cbranch_execz .LBB102_383
; %bb.2:
	v_mul_lo_u32 v0, v2, s13
	v_mov_b32_e32 v1, s11
	s_and_b32 s22, s57, 0xff
	s_cmp_lt_i32 s22, 11
	v_ashrrev_i32_e32 v3, 31, v0
	v_add_co_u32_e32 v0, vcc, s10, v0
	v_addc_co_u32_e32 v1, vcc, v1, v3, vcc
	s_cbranch_scc1 .LBB102_9
; %bb.3:
	s_and_b32 s23, 0xffff, s22
	s_cmp_gt_i32 s23, 25
	s_cbranch_scc0 .LBB102_18
; %bb.4:
	s_cmp_gt_i32 s23, 28
	s_cbranch_scc0 .LBB102_28
; %bb.5:
	;; [unrolled: 3-line block ×4, first 2 shown]
	s_cmp_eq_u32 s23, 46
	s_mov_b64 s[4:5], 0
	s_cbranch_scc0 .LBB102_37
; %bb.8:
	global_load_dword v3, v[0:1], off
	s_waitcnt vmcnt(0)
	v_lshlrev_b32_e32 v3, 16, v3
	s_branch .LBB102_39
.LBB102_9:
                                        ; implicit-def: $vgpr3
	s_mov_b64 s[2:3], 0
	s_cbranch_execnz .LBB102_105
.LBB102_10:
	s_andn2_b64 vcc, exec, s[2:3]
	s_cbranch_vccnz .LBB102_152
.LBB102_11:
	v_mul_lo_u32 v0, v2, s14
	v_mov_b32_e32 v1, s17
	s_and_b32 s28, s56, 0xff
	s_cmp_lt_i32 s28, 11
	v_ashrrev_i32_e32 v4, 31, v0
	v_add_co_u32_e32 v0, vcc, s16, v0
	v_addc_co_u32_e32 v1, vcc, v1, v4, vcc
	s_cbranch_scc1 .LBB102_19
; %bb.12:
	s_and_b32 s29, 0xffff, s28
	s_cmp_gt_i32 s29, 25
	s_cbranch_scc0 .LBB102_29
; %bb.13:
	s_cmp_gt_i32 s29, 28
	s_cbranch_scc0 .LBB102_32
; %bb.14:
	s_cmp_gt_i32 s29, 43
	s_cbranch_scc0 .LBB102_35
; %bb.15:
	s_cmp_gt_i32 s29, 45
	s_cbranch_scc0 .LBB102_42
; %bb.16:
	s_cmp_eq_u32 s29, 46
	s_mov_b64 s[4:5], 0
	s_cbranch_scc0 .LBB102_153
; %bb.17:
	global_load_dword v4, v[0:1], off
	s_mov_b64 s[2:3], -1
	s_mov_b64 s[22:23], 0
	s_waitcnt vmcnt(0)
	v_lshlrev_b32_e32 v4, 16, v4
	s_branch .LBB102_155
.LBB102_18:
	s_mov_b64 s[2:3], 0
                                        ; implicit-def: $vgpr3
	s_cbranch_execnz .LBB102_70
	s_branch .LBB102_104
.LBB102_19:
	s_mov_b64 s[22:23], 0
                                        ; implicit-def: $vgpr4
	s_mov_b64 s[2:3], 0
	s_cbranch_execnz .LBB102_332
.LBB102_20:
	s_andn2_b64 vcc, exec, s[2:3]
	s_cbranch_vccnz .LBB102_380
.LBB102_21:
	s_waitcnt vmcnt(0)
	v_cmp_eq_f32_e32 vcc, v3, v4
	v_cndmask_b32_e64 v0, 0, 1, vcc
	v_cmp_neq_f32_e32 vcc, v3, v4
	v_mul_lo_u32 v3, v2, s12
	v_cndmask_b32_e64 v1, 0, 1, vcc
	v_cndmask_b32_e64 v0, v1, v0, s[0:1]
	v_and_b32_e32 v0, 1, v0
	v_cmp_eq_u32_e64 s[2:3], 1, v0
	v_ashrrev_i32_e32 v1, 31, v3
	v_mov_b32_e32 v4, s9
	s_and_b32 s36, s33, 0xff
	v_add_co_u32_e32 v0, vcc, s8, v3
	s_cmp_lt_i32 s36, 11
	v_addc_co_u32_e32 v1, vcc, v4, v1, vcc
	s_cbranch_scc1 .LBB102_30
; %bb.22:
	s_and_b32 s37, 0xffff, s36
	s_cmp_gt_i32 s37, 25
	s_cbranch_scc0 .LBB102_33
; %bb.23:
	s_cmp_gt_i32 s37, 28
	s_cbranch_scc0 .LBB102_36
; %bb.24:
	;; [unrolled: 3-line block ×4, first 2 shown]
	s_mov_b64 s[28:29], 0
	s_mov_b64 s[4:5], -1
	s_cmp_eq_u32 s37, 46
	s_mov_b64 s[20:21], 0
	s_cbranch_scc0 .LBB102_159
; %bb.27:
	v_cndmask_b32_e64 v3, 0, 1.0, s[2:3]
	v_bfe_u32 v4, v3, 16, 1
	s_movk_i32 s4, 0x7fff
	v_add3_u32 v3, v3, v4, s4
	v_lshrrev_b32_e32 v3, 16, v3
	global_store_dword v[0:1], v3, off
	s_mov_b64 s[20:21], -1
	s_mov_b64 s[4:5], 0
	s_branch .LBB102_159
.LBB102_28:
	s_mov_b64 s[4:5], -1
	s_mov_b64 s[2:3], 0
                                        ; implicit-def: $vgpr3
	s_branch .LBB102_51
.LBB102_29:
	s_mov_b64 s[4:5], -1
	s_mov_b64 s[22:23], 0
	s_mov_b64 s[2:3], 0
                                        ; implicit-def: $vgpr4
	s_branch .LBB102_296
.LBB102_30:
	s_mov_b64 s[28:29], -1
	s_mov_b64 s[4:5], 0
	s_mov_b64 s[20:21], 0
	s_branch .LBB102_228
.LBB102_31:
	s_mov_b64 s[4:5], -1
	s_mov_b64 s[2:3], 0
                                        ; implicit-def: $vgpr3
	s_branch .LBB102_46
.LBB102_32:
	s_mov_b64 s[4:5], -1
	s_mov_b64 s[22:23], 0
	s_mov_b64 s[2:3], 0
                                        ; implicit-def: $vgpr4
	s_branch .LBB102_277
.LBB102_33:
	s_mov_b64 s[28:29], -1
	s_mov_b64 s[4:5], 0
	s_mov_b64 s[20:21], 0
	s_branch .LBB102_186
.LBB102_34:
	s_mov_b64 s[4:5], -1
	s_branch .LBB102_38
.LBB102_35:
	s_mov_b64 s[4:5], -1
	s_mov_b64 s[22:23], 0
	s_mov_b64 s[2:3], 0
                                        ; implicit-def: $vgpr4
	s_branch .LBB102_272
.LBB102_36:
	s_mov_b64 s[28:29], -1
	s_mov_b64 s[4:5], 0
	s_mov_b64 s[20:21], 0
	s_branch .LBB102_169
.LBB102_37:
	s_mov_b64 s[24:25], -1
.LBB102_38:
	s_mov_b64 s[2:3], 0
                                        ; implicit-def: $vgpr3
.LBB102_39:
	s_and_b64 vcc, exec, s[4:5]
	s_cbranch_vccz .LBB102_45
; %bb.40:
	s_cmp_eq_u32 s23, 44
	s_cbranch_scc0 .LBB102_44
; %bb.41:
	global_load_ubyte v3, v[0:1], off
	s_movk_i32 s4, 0xff
	v_mov_b32_e32 v4, 0x7f800001
	v_mov_b32_e32 v5, 0x400000
	s_mov_b64 s[2:3], -1
	s_mov_b64 s[24:25], 0
	s_waitcnt vmcnt(0)
	v_lshlrev_b32_e32 v6, 23, v3
	v_cmp_ne_u32_e32 vcc, s4, v3
	v_cndmask_b32_e32 v4, v4, v6, vcc
	v_cmp_ne_u32_e32 vcc, 0, v3
	v_cndmask_b32_e32 v3, v5, v4, vcc
	s_branch .LBB102_45
.LBB102_42:
	s_mov_b64 s[4:5], -1
	s_mov_b64 s[22:23], 0
	s_branch .LBB102_154
.LBB102_43:
	s_mov_b64 s[28:29], -1
	s_mov_b64 s[4:5], 0
	s_mov_b64 s[20:21], 0
	s_branch .LBB102_165
.LBB102_44:
	s_mov_b64 s[24:25], -1
                                        ; implicit-def: $vgpr3
.LBB102_45:
	s_mov_b64 s[4:5], 0
.LBB102_46:
	s_and_b64 vcc, exec, s[4:5]
	s_cbranch_vccz .LBB102_50
; %bb.47:
	s_cmp_eq_u32 s23, 29
	s_cbranch_scc0 .LBB102_49
; %bb.48:
	global_load_dwordx2 v[3:4], v[0:1], off
	s_mov_b64 s[2:3], -1
	s_mov_b64 s[24:25], 0
	s_mov_b64 s[4:5], 0
	s_waitcnt vmcnt(0)
	v_ffbh_u32_e32 v5, v4
	v_min_u32_e32 v5, 32, v5
	v_lshlrev_b64 v[3:4], v5, v[3:4]
	v_min_u32_e32 v3, 1, v3
	v_or_b32_e32 v3, v4, v3
	v_cvt_f32_u32_e32 v3, v3
	v_sub_u32_e32 v4, 32, v5
	v_ldexp_f32 v3, v3, v4
	s_branch .LBB102_51
.LBB102_49:
	s_mov_b64 s[24:25], -1
                                        ; implicit-def: $vgpr3
.LBB102_50:
	s_mov_b64 s[4:5], 0
.LBB102_51:
	s_and_b64 vcc, exec, s[4:5]
	s_cbranch_vccz .LBB102_69
; %bb.52:
	s_cmp_lt_i32 s23, 27
	s_cbranch_scc1 .LBB102_55
; %bb.53:
	s_cmp_gt_i32 s23, 27
	s_cbranch_scc0 .LBB102_56
; %bb.54:
	global_load_dword v3, v[0:1], off
	s_mov_b64 s[2:3], 0
	s_waitcnt vmcnt(0)
	v_cvt_f32_u32_e32 v3, v3
	s_branch .LBB102_57
.LBB102_55:
	s_mov_b64 s[2:3], -1
                                        ; implicit-def: $vgpr3
	s_branch .LBB102_60
.LBB102_56:
	s_mov_b64 s[2:3], -1
                                        ; implicit-def: $vgpr3
.LBB102_57:
	s_andn2_b64 vcc, exec, s[2:3]
	s_cbranch_vccnz .LBB102_59
; %bb.58:
	global_load_ushort v3, v[0:1], off
	s_waitcnt vmcnt(0)
	v_cvt_f32_u32_e32 v3, v3
.LBB102_59:
	s_mov_b64 s[2:3], 0
.LBB102_60:
	s_andn2_b64 vcc, exec, s[2:3]
	s_cbranch_vccnz .LBB102_68
; %bb.61:
	global_load_ubyte v4, v[0:1], off
	s_movk_i32 s2, 0x7f
	s_waitcnt vmcnt(0)
	v_cmp_lt_i16_e32 vcc, s2, v4
	s_mov_b64 s[2:3], 0
	s_and_saveexec_b64 s[4:5], vcc
	s_xor_b64 s[4:5], exec, s[4:5]
	s_cbranch_execz .LBB102_81
; %bb.62:
	s_movk_i32 s2, 0x80
	v_cmp_eq_u16_e32 vcc, s2, v4
	s_mov_b64 s[2:3], -1
	s_and_saveexec_b64 s[20:21], vcc
; %bb.63:
	s_xor_b64 s[2:3], exec, -1
; %bb.64:
	s_or_b64 exec, exec, s[20:21]
	s_and_b64 s[2:3], s[2:3], exec
	s_or_saveexec_b64 s[4:5], s[4:5]
	v_mov_b32_e32 v3, 0x7f800001
	s_xor_b64 exec, exec, s[4:5]
	s_cbranch_execnz .LBB102_82
.LBB102_65:
	s_or_b64 exec, exec, s[4:5]
	s_and_saveexec_b64 s[4:5], s[2:3]
	s_cbranch_execz .LBB102_67
.LBB102_66:
	v_lshlrev_b32_e32 v3, 24, v4
	v_and_b32_e32 v4, 0xffff, v4
	v_and_b32_e32 v5, 7, v4
	v_ffbh_u32_e32 v7, v5
	v_min_u32_e32 v7, 32, v7
	v_subrev_u32_e32 v8, 28, v7
	v_bfe_u32 v6, v4, 3, 4
	v_lshlrev_b32_e32 v4, v8, v4
	v_sub_u32_e32 v7, 29, v7
	v_and_b32_e32 v4, 7, v4
	v_cmp_eq_u32_e32 vcc, 0, v6
	v_cndmask_b32_e32 v6, v6, v7, vcc
	v_cndmask_b32_e32 v4, v5, v4, vcc
	v_mov_b32_e32 v5, 0x3b800000
	v_lshlrev_b32_e32 v4, 20, v4
	v_and_b32_e32 v3, 0x80000000, v3
	v_lshl_add_u32 v5, v6, 23, v5
	v_or3_b32 v3, v3, v5, v4
.LBB102_67:
	s_or_b64 exec, exec, s[4:5]
.LBB102_68:
	s_mov_b64 s[2:3], -1
.LBB102_69:
	s_branch .LBB102_104
.LBB102_70:
	s_cmp_gt_i32 s23, 22
	s_cbranch_scc0 .LBB102_80
; %bb.71:
	s_cmp_lt_i32 s23, 24
	s_cbranch_scc1 .LBB102_83
; %bb.72:
	s_cmp_gt_i32 s23, 24
	s_cbranch_scc0 .LBB102_84
; %bb.73:
	global_load_ubyte v4, v[0:1], off
	s_movk_i32 s2, 0x7f
	s_waitcnt vmcnt(0)
	v_cmp_lt_i16_e32 vcc, s2, v4
	s_mov_b64 s[2:3], 0
	s_and_saveexec_b64 s[4:5], vcc
	s_xor_b64 s[4:5], exec, s[4:5]
	s_cbranch_execz .LBB102_96
; %bb.74:
	s_movk_i32 s2, 0x80
	v_cmp_eq_u16_e32 vcc, s2, v4
	s_mov_b64 s[2:3], -1
	s_and_saveexec_b64 s[20:21], vcc
; %bb.75:
	s_xor_b64 s[2:3], exec, -1
; %bb.76:
	s_or_b64 exec, exec, s[20:21]
	s_and_b64 s[2:3], s[2:3], exec
	s_or_saveexec_b64 s[4:5], s[4:5]
	v_mov_b32_e32 v3, 0x7f800001
	s_xor_b64 exec, exec, s[4:5]
	s_cbranch_execnz .LBB102_97
.LBB102_77:
	s_or_b64 exec, exec, s[4:5]
	s_and_saveexec_b64 s[4:5], s[2:3]
	s_cbranch_execz .LBB102_79
.LBB102_78:
	v_lshlrev_b32_e32 v3, 24, v4
	v_and_b32_e32 v4, 0xffff, v4
	v_and_b32_e32 v5, 3, v4
	v_ffbh_u32_e32 v7, v5
	v_min_u32_e32 v7, 32, v7
	v_subrev_u32_e32 v8, 29, v7
	v_bfe_u32 v6, v4, 2, 5
	v_lshlrev_b32_e32 v4, v8, v4
	v_sub_u32_e32 v7, 30, v7
	v_and_b32_e32 v4, 3, v4
	v_cmp_eq_u32_e32 vcc, 0, v6
	v_cndmask_b32_e32 v6, v6, v7, vcc
	v_cndmask_b32_e32 v4, v5, v4, vcc
	v_mov_b32_e32 v5, 0x37800000
	v_lshlrev_b32_e32 v4, 21, v4
	v_and_b32_e32 v3, 0x80000000, v3
	v_lshl_add_u32 v5, v6, 23, v5
	v_or3_b32 v3, v3, v5, v4
.LBB102_79:
	s_or_b64 exec, exec, s[4:5]
	s_mov_b64 s[2:3], 0
	s_branch .LBB102_85
.LBB102_80:
	s_mov_b64 s[4:5], -1
                                        ; implicit-def: $vgpr3
	s_branch .LBB102_91
.LBB102_81:
	s_or_saveexec_b64 s[4:5], s[4:5]
	v_mov_b32_e32 v3, 0x7f800001
	s_xor_b64 exec, exec, s[4:5]
	s_cbranch_execz .LBB102_65
.LBB102_82:
	v_cmp_ne_u16_e32 vcc, 0, v4
	s_andn2_b64 s[2:3], s[2:3], exec
	s_and_b64 s[20:21], vcc, exec
	v_mov_b32_e32 v3, 0
	s_or_b64 s[2:3], s[2:3], s[20:21]
	s_or_b64 exec, exec, s[4:5]
	s_and_saveexec_b64 s[4:5], s[2:3]
	s_cbranch_execnz .LBB102_66
	s_branch .LBB102_67
.LBB102_83:
	s_mov_b64 s[2:3], -1
                                        ; implicit-def: $vgpr3
	s_branch .LBB102_88
.LBB102_84:
	s_mov_b64 s[2:3], -1
                                        ; implicit-def: $vgpr3
.LBB102_85:
	s_and_b64 vcc, exec, s[2:3]
	s_cbranch_vccz .LBB102_87
; %bb.86:
	global_load_ubyte v3, v[0:1], off
	s_mov_b32 s2, 0x7f800000
	s_waitcnt vmcnt(0)
	v_lshlrev_b32_e32 v3, 24, v3
	v_and_b32_e32 v4, 0x7f000000, v3
	v_ffbh_u32_e32 v5, v4
	v_min_u32_e32 v5, 32, v5
	v_sub_u32_e64 v5, v5, 4 clamp
	v_lshlrev_b32_e32 v7, v5, v4
	v_lshlrev_b32_e32 v5, 23, v5
	v_lshrrev_b32_e32 v7, 4, v7
	v_add_u32_e32 v6, 0x1000000, v4
	v_sub_u32_e32 v5, v7, v5
	v_ashrrev_i32_e32 v6, 8, v6
	v_add_u32_e32 v5, 0x3c000000, v5
	v_and_or_b32 v5, v6, s2, v5
	v_cmp_ne_u32_e32 vcc, 0, v4
	v_cndmask_b32_e32 v4, 0, v5, vcc
	s_brev_b32 s2, 1
	v_and_or_b32 v3, v3, s2, v4
.LBB102_87:
	s_mov_b64 s[2:3], 0
.LBB102_88:
	s_andn2_b64 vcc, exec, s[2:3]
	s_cbranch_vccnz .LBB102_90
; %bb.89:
	global_load_ubyte v3, v[0:1], off
	s_movk_i32 s2, 0x7f00
	s_brev_b32 s3, 16
	s_waitcnt vmcnt(0)
	v_lshlrev_b16_e32 v4, 8, v3
	v_lshlrev_b32_e32 v3, 25, v3
	v_lshrrev_b32_e32 v5, 4, v3
	v_and_or_b32 v6, v4, s2, 0.5
	v_or_b32_e32 v5, 0x70000000, v5
	v_add_f32_e32 v6, -0.5, v6
	v_mul_f32_e32 v5, 0x7800000, v5
	v_cmp_gt_u32_e32 vcc, s3, v3
	v_bfe_i32 v4, v4, 0, 16
	v_cndmask_b32_e32 v3, v5, v6, vcc
	s_brev_b32 s2, 1
	v_and_or_b32 v3, v4, s2, v3
.LBB102_90:
	s_mov_b64 s[4:5], 0
	s_mov_b64 s[2:3], -1
.LBB102_91:
	s_andn2_b64 vcc, exec, s[4:5]
	s_cbranch_vccnz .LBB102_104
; %bb.92:
	s_cmp_gt_i32 s23, 14
	s_cbranch_scc0 .LBB102_95
; %bb.93:
	s_cmp_eq_u32 s23, 15
	s_cbranch_scc0 .LBB102_98
; %bb.94:
	global_load_ushort v3, v[0:1], off
	s_mov_b64 s[2:3], -1
	s_mov_b64 s[24:25], 0
	s_waitcnt vmcnt(0)
	v_lshlrev_b32_e32 v3, 16, v3
	s_branch .LBB102_99
.LBB102_95:
	s_mov_b64 s[4:5], -1
                                        ; implicit-def: $vgpr3
	s_branch .LBB102_100
.LBB102_96:
	s_or_saveexec_b64 s[4:5], s[4:5]
	v_mov_b32_e32 v3, 0x7f800001
	s_xor_b64 exec, exec, s[4:5]
	s_cbranch_execz .LBB102_77
.LBB102_97:
	v_cmp_ne_u16_e32 vcc, 0, v4
	s_andn2_b64 s[2:3], s[2:3], exec
	s_and_b64 s[20:21], vcc, exec
	v_mov_b32_e32 v3, 0
	s_or_b64 s[2:3], s[2:3], s[20:21]
	s_or_b64 exec, exec, s[4:5]
	s_and_saveexec_b64 s[4:5], s[2:3]
	s_cbranch_execnz .LBB102_78
	s_branch .LBB102_79
.LBB102_98:
	s_mov_b64 s[24:25], -1
                                        ; implicit-def: $vgpr3
.LBB102_99:
	s_mov_b64 s[4:5], 0
.LBB102_100:
	s_and_b64 vcc, exec, s[4:5]
	s_cbranch_vccz .LBB102_104
; %bb.101:
	s_cmp_eq_u32 s23, 11
	s_cbranch_scc0 .LBB102_103
; %bb.102:
	global_load_ubyte v3, v[0:1], off
	s_mov_b64 s[2:3], -1
	s_mov_b64 s[24:25], 0
	s_waitcnt vmcnt(0)
	v_cmp_ne_u16_e32 vcc, 0, v3
	v_cndmask_b32_e64 v3, 0, 1.0, vcc
	s_branch .LBB102_104
.LBB102_103:
	s_mov_b64 s[24:25], -1
                                        ; implicit-def: $vgpr3
.LBB102_104:
	s_branch .LBB102_10
.LBB102_105:
	s_and_b32 s4, 0xffff, s22
	s_cmp_lt_i32 s4, 5
	s_cbranch_scc1 .LBB102_110
; %bb.106:
	s_cmp_lt_i32 s4, 8
	s_cbranch_scc1 .LBB102_111
; %bb.107:
	;; [unrolled: 3-line block ×3, first 2 shown]
	s_cmp_gt_i32 s4, 9
	s_cbranch_scc0 .LBB102_113
; %bb.109:
	global_load_dwordx2 v[3:4], v[0:1], off
	s_mov_b64 s[2:3], 0
	s_waitcnt vmcnt(0)
	v_cvt_f32_f64_e32 v3, v[3:4]
	s_branch .LBB102_114
.LBB102_110:
                                        ; implicit-def: $vgpr3
	s_branch .LBB102_132
.LBB102_111:
	s_mov_b64 s[2:3], -1
                                        ; implicit-def: $vgpr3
	s_branch .LBB102_120
.LBB102_112:
	s_mov_b64 s[2:3], -1
                                        ; implicit-def: $vgpr3
	s_branch .LBB102_117
.LBB102_113:
	s_mov_b64 s[2:3], -1
                                        ; implicit-def: $vgpr3
.LBB102_114:
	s_andn2_b64 vcc, exec, s[2:3]
	s_cbranch_vccnz .LBB102_116
; %bb.115:
	global_load_dword v3, v[0:1], off
.LBB102_116:
	s_mov_b64 s[2:3], 0
.LBB102_117:
	s_andn2_b64 vcc, exec, s[2:3]
	s_cbranch_vccnz .LBB102_119
; %bb.118:
	global_load_dword v3, v[0:1], off
	s_waitcnt vmcnt(0)
	v_cvt_f32_f16_e32 v3, v3
.LBB102_119:
	s_mov_b64 s[2:3], 0
.LBB102_120:
	s_andn2_b64 vcc, exec, s[2:3]
	s_cbranch_vccnz .LBB102_131
; %bb.121:
	s_cmp_lt_i32 s4, 6
	s_cbranch_scc1 .LBB102_124
; %bb.122:
	s_cmp_gt_i32 s4, 6
	s_cbranch_scc0 .LBB102_125
; %bb.123:
	global_load_dwordx2 v[3:4], v[0:1], off
	s_mov_b64 s[2:3], 0
	s_waitcnt vmcnt(0)
	v_cvt_f32_f64_e32 v3, v[3:4]
	s_branch .LBB102_126
.LBB102_124:
	s_mov_b64 s[2:3], -1
                                        ; implicit-def: $vgpr3
	s_branch .LBB102_129
.LBB102_125:
	s_mov_b64 s[2:3], -1
                                        ; implicit-def: $vgpr3
.LBB102_126:
	s_andn2_b64 vcc, exec, s[2:3]
	s_cbranch_vccnz .LBB102_128
; %bb.127:
	global_load_dword v3, v[0:1], off
.LBB102_128:
	s_mov_b64 s[2:3], 0
.LBB102_129:
	s_andn2_b64 vcc, exec, s[2:3]
	s_cbranch_vccnz .LBB102_131
; %bb.130:
	global_load_ushort v3, v[0:1], off
	s_waitcnt vmcnt(0)
	v_cvt_f32_f16_e32 v3, v3
.LBB102_131:
	s_cbranch_execnz .LBB102_151
.LBB102_132:
	s_cmp_lt_i32 s4, 2
	s_cbranch_scc1 .LBB102_136
; %bb.133:
	s_cmp_lt_i32 s4, 3
	s_cbranch_scc1 .LBB102_137
; %bb.134:
	s_cmp_gt_i32 s4, 3
	s_cbranch_scc0 .LBB102_138
; %bb.135:
	global_load_dwordx2 v[3:4], v[0:1], off
	s_mov_b64 s[2:3], 0
	s_waitcnt vmcnt(0)
	v_xor_b32_e32 v6, v3, v4
	v_ffbh_i32_e32 v5, v4
	v_ashrrev_i32_e32 v6, 31, v6
	v_add_u32_e32 v5, -1, v5
	v_add_u32_e32 v6, 32, v6
	v_min_u32_e32 v5, v5, v6
	v_lshlrev_b64 v[3:4], v5, v[3:4]
	v_min_u32_e32 v3, 1, v3
	v_or_b32_e32 v3, v4, v3
	v_cvt_f32_i32_e32 v3, v3
	v_sub_u32_e32 v4, 32, v5
	v_ldexp_f32 v3, v3, v4
	s_branch .LBB102_139
.LBB102_136:
	s_mov_b64 s[2:3], -1
                                        ; implicit-def: $vgpr3
	s_branch .LBB102_145
.LBB102_137:
	s_mov_b64 s[2:3], -1
                                        ; implicit-def: $vgpr3
	s_branch .LBB102_142
.LBB102_138:
	s_mov_b64 s[2:3], -1
                                        ; implicit-def: $vgpr3
.LBB102_139:
	s_andn2_b64 vcc, exec, s[2:3]
	s_cbranch_vccnz .LBB102_141
; %bb.140:
	global_load_dword v3, v[0:1], off
	s_waitcnt vmcnt(0)
	v_cvt_f32_i32_e32 v3, v3
.LBB102_141:
	s_mov_b64 s[2:3], 0
.LBB102_142:
	s_andn2_b64 vcc, exec, s[2:3]
	s_cbranch_vccnz .LBB102_144
; %bb.143:
	global_load_sshort v3, v[0:1], off
	s_waitcnt vmcnt(0)
	v_cvt_f32_i32_e32 v3, v3
.LBB102_144:
	s_mov_b64 s[2:3], 0
.LBB102_145:
	s_andn2_b64 vcc, exec, s[2:3]
	s_cbranch_vccnz .LBB102_151
; %bb.146:
	s_cmp_gt_i32 s4, 0
	s_cbranch_scc0 .LBB102_148
; %bb.147:
	global_load_sbyte v3, v[0:1], off
	s_mov_b64 s[2:3], 0
	s_waitcnt vmcnt(0)
	v_cvt_f32_i32_e32 v3, v3
	s_branch .LBB102_149
.LBB102_148:
	s_mov_b64 s[2:3], -1
                                        ; implicit-def: $vgpr3
.LBB102_149:
	s_andn2_b64 vcc, exec, s[2:3]
	s_cbranch_vccnz .LBB102_151
; %bb.150:
	global_load_ubyte v0, v[0:1], off
	s_waitcnt vmcnt(0)
	v_cvt_f32_ubyte0_e32 v3, v0
.LBB102_151:
	s_branch .LBB102_11
.LBB102_152:
	s_mov_b64 s[4:5], 0
	s_mov_b64 s[22:23], 0
	s_branch .LBB102_381
.LBB102_153:
	s_mov_b64 s[22:23], -1
.LBB102_154:
	s_mov_b64 s[2:3], 0
                                        ; implicit-def: $vgpr4
.LBB102_155:
	s_and_b64 vcc, exec, s[4:5]
	s_cbranch_vccz .LBB102_271
; %bb.156:
	s_cmp_eq_u32 s29, 44
	s_cbranch_scc0 .LBB102_270
; %bb.157:
	global_load_ubyte v4, v[0:1], off
	s_movk_i32 s4, 0xff
	v_mov_b32_e32 v5, 0x7f800001
	v_mov_b32_e32 v6, 0x400000
	s_mov_b64 s[2:3], -1
	s_mov_b64 s[22:23], 0
	s_waitcnt vmcnt(0)
	v_lshlrev_b32_e32 v7, 23, v4
	v_cmp_ne_u32_e32 vcc, s4, v4
	v_cndmask_b32_e32 v5, v5, v7, vcc
	v_cmp_ne_u32_e32 vcc, 0, v4
	v_cndmask_b32_e32 v4, v6, v5, vcc
	s_branch .LBB102_271
.LBB102_158:
	s_mov_b64 s[28:29], -1
	s_mov_b64 s[4:5], 0
	s_mov_b64 s[20:21], 0
.LBB102_159:
	s_and_b64 vcc, exec, s[28:29]
	s_cbranch_vccz .LBB102_164
; %bb.160:
	s_cmp_eq_u32 s37, 44
	s_mov_b64 s[4:5], -1
	s_cbranch_scc0 .LBB102_164
; %bb.161:
	v_cndmask_b32_e64 v4, 0, 1.0, s[2:3]
	v_lshrrev_b32_e32 v3, 23, v4
	s_movk_i32 s4, 0xff
	v_cmp_ne_u32_e32 vcc, s4, v3
	v_mov_b32_e32 v5, 0xff
	s_and_saveexec_b64 s[20:21], vcc
; %bb.162:
	s_mov_b32 s4, 0x3fffff
	v_and_b32_e32 v5, 0x400000, v4
	v_and_or_b32 v4, v4, s4, v3
	v_cmp_ne_u32_e32 vcc, 0, v5
	v_cmp_ne_u32_e64 s[4:5], 0, v4
	s_and_b64 s[4:5], vcc, s[4:5]
	v_cndmask_b32_e64 v4, 0, 1, s[4:5]
	v_add_u32_e32 v5, v3, v4
; %bb.163:
	s_or_b64 exec, exec, s[20:21]
	s_mov_b64 s[20:21], -1
	s_mov_b64 s[4:5], 0
	global_store_byte v[0:1], v5, off
.LBB102_164:
	s_mov_b64 s[28:29], 0
.LBB102_165:
	s_and_b64 vcc, exec, s[28:29]
	s_cbranch_vccz .LBB102_168
; %bb.166:
	s_cmp_eq_u32 s37, 29
	s_mov_b64 s[4:5], -1
	s_cbranch_scc0 .LBB102_168
; %bb.167:
	s_mov_b32 s4, 0
	v_cndmask_b32_e64 v3, 0, 1, s[2:3]
	v_mov_b32_e32 v4, s4
	global_store_dwordx2 v[0:1], v[3:4], off
	s_mov_b64 s[20:21], -1
	s_mov_b64 s[4:5], 0
.LBB102_168:
	s_mov_b64 s[28:29], 0
.LBB102_169:
	s_and_b64 vcc, exec, s[28:29]
	s_cbranch_vccz .LBB102_185
; %bb.170:
	s_cmp_lt_i32 s37, 27
	s_mov_b64 s[20:21], -1
	s_cbranch_scc1 .LBB102_176
; %bb.171:
	s_cmp_gt_i32 s37, 27
	s_cbranch_scc0 .LBB102_173
; %bb.172:
	v_cndmask_b32_e64 v3, 0, 1, s[2:3]
	s_mov_b64 s[20:21], 0
	global_store_dword v[0:1], v3, off
.LBB102_173:
	s_andn2_b64 vcc, exec, s[20:21]
	s_cbranch_vccnz .LBB102_175
; %bb.174:
	v_cndmask_b32_e64 v3, 0, 1, s[2:3]
	global_store_short v[0:1], v3, off
.LBB102_175:
	s_mov_b64 s[20:21], 0
.LBB102_176:
	s_andn2_b64 vcc, exec, s[20:21]
	s_cbranch_vccnz .LBB102_184
; %bb.177:
	v_cndmask_b32_e64 v4, 0, 1.0, s[2:3]
	s_mov_b32 s20, 0x43800000
	v_cmp_gt_u32_e32 vcc, s20, v4
	v_mov_b32_e32 v5, 0x80
	s_and_saveexec_b64 s[20:21], vcc
	s_cbranch_execz .LBB102_183
; %bb.178:
	s_mov_b32 s28, 0x3bffffff
	v_cmp_lt_u32_e32 vcc, s28, v4
	s_mov_b64 s[28:29], 0
                                        ; implicit-def: $vgpr3
	s_and_saveexec_b64 s[34:35], vcc
	s_xor_b64 s[34:35], exec, s[34:35]
	s_cbranch_execz .LBB102_412
; %bb.179:
	v_bfe_u32 v3, v4, 20, 1
	s_mov_b32 s38, 0x487ffff
	v_add3_u32 v3, v4, v3, s38
	s_mov_b64 s[28:29], exec
	v_lshrrev_b32_e32 v3, 20, v3
                                        ; implicit-def: $vgpr4
	s_andn2_saveexec_b64 s[34:35], s[34:35]
	s_cbranch_execnz .LBB102_413
.LBB102_180:
	s_or_b64 exec, exec, s[34:35]
	v_mov_b32_e32 v5, 0
	s_and_saveexec_b64 s[34:35], s[28:29]
.LBB102_181:
	v_mov_b32_e32 v5, v3
.LBB102_182:
	s_or_b64 exec, exec, s[34:35]
.LBB102_183:
	s_or_b64 exec, exec, s[20:21]
	global_store_byte v[0:1], v5, off
.LBB102_184:
	s_mov_b64 s[20:21], -1
.LBB102_185:
	s_mov_b64 s[28:29], 0
.LBB102_186:
	s_and_b64 vcc, exec, s[28:29]
	s_cbranch_vccz .LBB102_227
; %bb.187:
	s_cmp_gt_i32 s37, 22
	s_mov_b64 s[28:29], -1
	s_cbranch_scc0 .LBB102_219
; %bb.188:
	s_cmp_lt_i32 s37, 24
	s_mov_b64 s[20:21], -1
	s_cbranch_scc1 .LBB102_208
; %bb.189:
	s_cmp_gt_i32 s37, 24
	s_cbranch_scc0 .LBB102_197
; %bb.190:
	v_cndmask_b32_e64 v4, 0, 1.0, s[2:3]
	s_mov_b32 s20, 0x47800000
	v_cmp_gt_u32_e32 vcc, s20, v4
	v_mov_b32_e32 v5, 0x80
	s_and_saveexec_b64 s[20:21], vcc
	s_cbranch_execz .LBB102_196
; %bb.191:
	s_mov_b32 s28, 0x37ffffff
	v_cmp_lt_u32_e32 vcc, s28, v4
	s_mov_b64 s[28:29], 0
                                        ; implicit-def: $vgpr3
	s_and_saveexec_b64 s[34:35], vcc
	s_xor_b64 s[34:35], exec, s[34:35]
	s_cbranch_execz .LBB102_531
; %bb.192:
	v_bfe_u32 v3, v4, 21, 1
	s_mov_b32 s38, 0x88fffff
	v_add3_u32 v3, v4, v3, s38
	s_mov_b64 s[28:29], exec
	v_lshrrev_b32_e32 v3, 21, v3
                                        ; implicit-def: $vgpr4
	s_andn2_saveexec_b64 s[34:35], s[34:35]
	s_cbranch_execnz .LBB102_532
.LBB102_193:
	s_or_b64 exec, exec, s[34:35]
	v_mov_b32_e32 v5, 0
	s_and_saveexec_b64 s[34:35], s[28:29]
.LBB102_194:
	v_mov_b32_e32 v5, v3
.LBB102_195:
	s_or_b64 exec, exec, s[34:35]
.LBB102_196:
	s_or_b64 exec, exec, s[20:21]
	s_mov_b64 s[20:21], 0
	global_store_byte v[0:1], v5, off
.LBB102_197:
	s_and_b64 vcc, exec, s[20:21]
	s_cbranch_vccz .LBB102_207
; %bb.198:
	v_cndmask_b32_e64 v3, 0, 1.0, s[2:3]
	s_mov_b32 s20, 0x43f00000
	v_cmp_gt_u32_e32 vcc, s20, v3
                                        ; implicit-def: $vgpr4
	s_and_saveexec_b64 s[20:21], vcc
	s_xor_b64 s[20:21], exec, s[20:21]
	s_cbranch_execz .LBB102_204
; %bb.199:
	s_mov_b32 s28, 0x3c7fffff
	v_cmp_lt_u32_e32 vcc, s28, v3
                                        ; implicit-def: $vgpr4
	s_and_saveexec_b64 s[28:29], vcc
	s_xor_b64 s[28:29], exec, s[28:29]
; %bb.200:
	v_bfe_u32 v4, v3, 20, 1
	s_mov_b32 s34, 0x407ffff
	v_add3_u32 v3, v3, v4, s34
	v_lshrrev_b32_e32 v4, 20, v3
	v_and_b32_e32 v3, 0xff00000, v3
	s_mov_b32 s34, 0x7f00000
	v_mov_b32_e32 v5, 0x7e
	v_cmp_ne_u32_e32 vcc, s34, v3
	v_cndmask_b32_e32 v4, v5, v4, vcc
                                        ; implicit-def: $vgpr3
; %bb.201:
	s_andn2_saveexec_b64 s[28:29], s[28:29]
; %bb.202:
	v_add_f32_e32 v4, 0x46800000, v3
; %bb.203:
	s_or_b64 exec, exec, s[28:29]
                                        ; implicit-def: $vgpr3
.LBB102_204:
	s_andn2_saveexec_b64 s[20:21], s[20:21]
; %bb.205:
	s_mov_b32 s28, 0x7f800000
	v_mov_b32_e32 v4, 0x7e
	v_mov_b32_e32 v5, 0x7f
	v_cmp_lt_u32_e32 vcc, s28, v3
	v_cndmask_b32_e32 v4, v4, v5, vcc
; %bb.206:
	s_or_b64 exec, exec, s[20:21]
	global_store_byte v[0:1], v4, off
.LBB102_207:
	s_mov_b64 s[20:21], 0
.LBB102_208:
	s_andn2_b64 vcc, exec, s[20:21]
	s_cbranch_vccnz .LBB102_218
; %bb.209:
	v_cndmask_b32_e64 v3, 0, 1.0, s[2:3]
	s_mov_b32 s20, 0x47800000
	v_cmp_gt_u32_e32 vcc, s20, v3
                                        ; implicit-def: $vgpr4
	s_and_saveexec_b64 s[20:21], vcc
	s_xor_b64 s[20:21], exec, s[20:21]
	s_cbranch_execz .LBB102_215
; %bb.210:
	s_mov_b32 s28, 0x387fffff
	v_cmp_lt_u32_e32 vcc, s28, v3
                                        ; implicit-def: $vgpr4
	s_and_saveexec_b64 s[28:29], vcc
	s_xor_b64 s[28:29], exec, s[28:29]
; %bb.211:
	v_bfe_u32 v4, v3, 21, 1
	s_mov_b32 s34, 0x80fffff
	v_add3_u32 v3, v3, v4, s34
	v_lshrrev_b32_e32 v4, 21, v3
                                        ; implicit-def: $vgpr3
; %bb.212:
	s_andn2_saveexec_b64 s[28:29], s[28:29]
; %bb.213:
	v_add_f32_e32 v4, 0x43000000, v3
; %bb.214:
	s_or_b64 exec, exec, s[28:29]
                                        ; implicit-def: $vgpr3
.LBB102_215:
	s_andn2_saveexec_b64 s[20:21], s[20:21]
; %bb.216:
	s_mov_b32 s28, 0x7f800000
	v_mov_b32_e32 v4, 0x7c
	v_mov_b32_e32 v5, 0x7f
	v_cmp_lt_u32_e32 vcc, s28, v3
	v_cndmask_b32_e32 v4, v4, v5, vcc
; %bb.217:
	s_or_b64 exec, exec, s[20:21]
	global_store_byte v[0:1], v4, off
.LBB102_218:
	s_mov_b64 s[28:29], 0
	s_mov_b64 s[20:21], -1
.LBB102_219:
	s_andn2_b64 vcc, exec, s[28:29]
	s_cbranch_vccnz .LBB102_227
; %bb.220:
	s_cmp_gt_i32 s37, 14
	s_mov_b64 s[28:29], -1
	s_cbranch_scc0 .LBB102_224
; %bb.221:
	s_cmp_eq_u32 s37, 15
	s_mov_b64 s[4:5], -1
	s_cbranch_scc0 .LBB102_223
; %bb.222:
	v_cndmask_b32_e64 v3, 0, 1.0, s[2:3]
	v_bfe_u32 v4, v3, 16, 1
	s_movk_i32 s4, 0x7fff
	v_add3_u32 v3, v3, v4, s4
	global_store_short_d16_hi v[0:1], v3, off
	s_mov_b64 s[20:21], -1
	s_mov_b64 s[4:5], 0
.LBB102_223:
	s_mov_b64 s[28:29], 0
.LBB102_224:
	s_and_b64 vcc, exec, s[28:29]
	s_cbranch_vccz .LBB102_227
; %bb.225:
	s_cmp_eq_u32 s37, 11
	s_mov_b64 s[4:5], -1
	s_cbranch_scc0 .LBB102_227
; %bb.226:
	v_cndmask_b32_e64 v3, 0, 1, s[2:3]
	s_mov_b64 s[20:21], -1
	s_mov_b64 s[4:5], 0
	global_store_byte v[0:1], v3, off
.LBB102_227:
	s_mov_b64 s[28:29], 0
.LBB102_228:
	s_and_b64 vcc, exec, s[28:29]
	s_cbranch_vccz .LBB102_267
; %bb.229:
	s_and_b32 s28, 0xffff, s36
	s_cmp_lt_i32 s28, 5
	s_mov_b64 s[20:21], -1
	s_cbranch_scc1 .LBB102_250
; %bb.230:
	s_cmp_lt_i32 s28, 8
	s_cbranch_scc1 .LBB102_240
; %bb.231:
	s_cmp_lt_i32 s28, 9
	s_cbranch_scc1 .LBB102_237
; %bb.232:
	s_cmp_gt_i32 s28, 9
	s_cbranch_scc0 .LBB102_234
; %bb.233:
	v_cndmask_b32_e64 v3, 0, 1, s[2:3]
	v_cvt_f64_u32_e32 v[3:4], v3
	v_mov_b32_e32 v5, 0
	v_mov_b32_e32 v6, v5
	s_mov_b64 s[20:21], 0
	global_store_dwordx4 v[0:1], v[3:6], off
.LBB102_234:
	s_andn2_b64 vcc, exec, s[20:21]
	s_cbranch_vccnz .LBB102_236
; %bb.235:
	v_cndmask_b32_e64 v3, 0, 1.0, s[2:3]
	v_mov_b32_e32 v4, 0
	global_store_dwordx2 v[0:1], v[3:4], off
.LBB102_236:
	s_mov_b64 s[20:21], 0
.LBB102_237:
	s_andn2_b64 vcc, exec, s[20:21]
	s_cbranch_vccnz .LBB102_239
; %bb.238:
	v_cndmask_b32_e64 v3, 0, 1.0, s[2:3]
	v_cvt_f16_f32_e32 v3, v3
	global_store_dword v[0:1], v3, off
.LBB102_239:
	s_mov_b64 s[20:21], 0
.LBB102_240:
	s_andn2_b64 vcc, exec, s[20:21]
	s_cbranch_vccnz .LBB102_249
; %bb.241:
	s_cmp_lt_i32 s28, 6
	s_mov_b64 s[20:21], -1
	s_cbranch_scc1 .LBB102_247
; %bb.242:
	s_cmp_gt_i32 s28, 6
	s_cbranch_scc0 .LBB102_244
; %bb.243:
	v_cndmask_b32_e64 v3, 0, 1, s[2:3]
	v_cvt_f64_u32_e32 v[3:4], v3
	s_mov_b64 s[20:21], 0
	global_store_dwordx2 v[0:1], v[3:4], off
.LBB102_244:
	s_andn2_b64 vcc, exec, s[20:21]
	s_cbranch_vccnz .LBB102_246
; %bb.245:
	v_cndmask_b32_e64 v3, 0, 1.0, s[2:3]
	global_store_dword v[0:1], v3, off
.LBB102_246:
	s_mov_b64 s[20:21], 0
.LBB102_247:
	s_andn2_b64 vcc, exec, s[20:21]
	s_cbranch_vccnz .LBB102_249
; %bb.248:
	v_cndmask_b32_e64 v3, 0, 1.0, s[2:3]
	v_cvt_f16_f32_e32 v3, v3
	global_store_short v[0:1], v3, off
.LBB102_249:
	s_mov_b64 s[20:21], 0
.LBB102_250:
	s_andn2_b64 vcc, exec, s[20:21]
	s_cbranch_vccnz .LBB102_266
; %bb.251:
	s_cmp_lt_i32 s28, 2
	s_mov_b64 s[20:21], -1
	s_cbranch_scc1 .LBB102_261
; %bb.252:
	s_cmp_lt_i32 s28, 3
	s_cbranch_scc1 .LBB102_258
; %bb.253:
	s_cmp_gt_i32 s28, 3
	s_cbranch_scc0 .LBB102_255
; %bb.254:
	s_mov_b32 s20, 0
	v_cndmask_b32_e64 v3, 0, 1, s[2:3]
	v_mov_b32_e32 v4, s20
	global_store_dwordx2 v[0:1], v[3:4], off
	s_mov_b64 s[20:21], 0
.LBB102_255:
	s_andn2_b64 vcc, exec, s[20:21]
	s_cbranch_vccnz .LBB102_257
; %bb.256:
	v_cndmask_b32_e64 v3, 0, 1, s[2:3]
	global_store_dword v[0:1], v3, off
.LBB102_257:
	s_mov_b64 s[20:21], 0
.LBB102_258:
	s_andn2_b64 vcc, exec, s[20:21]
	s_cbranch_vccnz .LBB102_260
; %bb.259:
	v_cndmask_b32_e64 v3, 0, 1, s[2:3]
	global_store_short v[0:1], v3, off
.LBB102_260:
	s_mov_b64 s[20:21], 0
.LBB102_261:
	s_andn2_b64 vcc, exec, s[20:21]
	s_cbranch_vccnz .LBB102_266
; %bb.262:
	s_mov_b64 s[20:21], -1
	s_cmp_gt_i32 s28, 0
	v_cndmask_b32_e64 v3, 0, 1, s[2:3]
	s_cbranch_scc0 .LBB102_264
; %bb.263:
	global_store_byte v[0:1], v3, off
	s_mov_b64 s[20:21], 0
.LBB102_264:
	s_andn2_b64 vcc, exec, s[20:21]
	s_cbranch_vccnz .LBB102_266
; %bb.265:
	global_store_byte v[0:1], v3, off
.LBB102_266:
	s_mov_b64 s[20:21], -1
.LBB102_267:
	s_andn2_b64 vcc, exec, s[20:21]
	s_cbranch_vccnz .LBB102_269
; %bb.268:
	v_add_u32_e32 v2, 0x80, v2
	s_mov_b64 s[2:3], -1
	s_branch .LBB102_382
.LBB102_269:
	s_mov_b64 s[2:3], 0
                                        ; implicit-def: $vgpr2
	s_branch .LBB102_382
.LBB102_270:
	s_mov_b64 s[22:23], -1
                                        ; implicit-def: $vgpr4
.LBB102_271:
	s_mov_b64 s[4:5], 0
.LBB102_272:
	s_and_b64 vcc, exec, s[4:5]
	s_cbranch_vccz .LBB102_276
; %bb.273:
	s_cmp_eq_u32 s29, 29
	s_cbranch_scc0 .LBB102_275
; %bb.274:
	global_load_dwordx2 v[4:5], v[0:1], off
	s_mov_b64 s[2:3], -1
	s_mov_b64 s[22:23], 0
	s_mov_b64 s[4:5], 0
	s_waitcnt vmcnt(0)
	v_ffbh_u32_e32 v6, v5
	v_min_u32_e32 v6, 32, v6
	v_lshlrev_b64 v[4:5], v6, v[4:5]
	v_min_u32_e32 v4, 1, v4
	v_or_b32_e32 v4, v5, v4
	v_cvt_f32_u32_e32 v4, v4
	v_sub_u32_e32 v5, 32, v6
	v_ldexp_f32 v4, v4, v5
	s_branch .LBB102_277
.LBB102_275:
	s_mov_b64 s[22:23], -1
                                        ; implicit-def: $vgpr4
.LBB102_276:
	s_mov_b64 s[4:5], 0
.LBB102_277:
	s_and_b64 vcc, exec, s[4:5]
	s_cbranch_vccz .LBB102_295
; %bb.278:
	s_cmp_lt_i32 s29, 27
	s_cbranch_scc1 .LBB102_281
; %bb.279:
	s_cmp_gt_i32 s29, 27
	s_cbranch_scc0 .LBB102_282
; %bb.280:
	global_load_dword v4, v[0:1], off
	s_mov_b64 s[2:3], 0
	s_waitcnt vmcnt(0)
	v_cvt_f32_u32_e32 v4, v4
	s_branch .LBB102_283
.LBB102_281:
	s_mov_b64 s[2:3], -1
                                        ; implicit-def: $vgpr4
	s_branch .LBB102_286
.LBB102_282:
	s_mov_b64 s[2:3], -1
                                        ; implicit-def: $vgpr4
.LBB102_283:
	s_andn2_b64 vcc, exec, s[2:3]
	s_cbranch_vccnz .LBB102_285
; %bb.284:
	global_load_ushort v4, v[0:1], off
	s_waitcnt vmcnt(0)
	v_cvt_f32_u32_e32 v4, v4
.LBB102_285:
	s_mov_b64 s[2:3], 0
.LBB102_286:
	s_andn2_b64 vcc, exec, s[2:3]
	s_cbranch_vccnz .LBB102_294
; %bb.287:
	global_load_ubyte v5, v[0:1], off
	s_movk_i32 s2, 0x7f
	s_waitcnt vmcnt(0)
	v_cmp_lt_i16_e32 vcc, s2, v5
	s_mov_b64 s[2:3], 0
	s_and_saveexec_b64 s[4:5], vcc
	s_xor_b64 s[4:5], exec, s[4:5]
	s_cbranch_execz .LBB102_308
; %bb.288:
	s_movk_i32 s2, 0x80
	v_cmp_eq_u16_e32 vcc, s2, v5
	s_mov_b64 s[2:3], -1
	s_and_saveexec_b64 s[20:21], vcc
; %bb.289:
	s_xor_b64 s[2:3], exec, -1
; %bb.290:
	s_or_b64 exec, exec, s[20:21]
	s_and_b64 s[2:3], s[2:3], exec
	s_or_saveexec_b64 s[4:5], s[4:5]
	v_mov_b32_e32 v4, 0x7f800001
	s_xor_b64 exec, exec, s[4:5]
	s_cbranch_execnz .LBB102_309
.LBB102_291:
	s_or_b64 exec, exec, s[4:5]
	s_and_saveexec_b64 s[4:5], s[2:3]
	s_cbranch_execz .LBB102_293
.LBB102_292:
	v_lshlrev_b32_e32 v4, 24, v5
	v_and_b32_e32 v5, 0xffff, v5
	v_and_b32_e32 v6, 7, v5
	v_ffbh_u32_e32 v8, v6
	v_min_u32_e32 v8, 32, v8
	v_subrev_u32_e32 v9, 28, v8
	v_bfe_u32 v7, v5, 3, 4
	v_lshlrev_b32_e32 v5, v9, v5
	v_sub_u32_e32 v8, 29, v8
	v_and_b32_e32 v5, 7, v5
	v_cmp_eq_u32_e32 vcc, 0, v7
	v_cndmask_b32_e32 v7, v7, v8, vcc
	v_cndmask_b32_e32 v5, v6, v5, vcc
	v_mov_b32_e32 v6, 0x3b800000
	v_lshlrev_b32_e32 v5, 20, v5
	v_and_b32_e32 v4, 0x80000000, v4
	v_lshl_add_u32 v6, v7, 23, v6
	v_or3_b32 v4, v4, v6, v5
.LBB102_293:
	s_or_b64 exec, exec, s[4:5]
.LBB102_294:
	s_mov_b64 s[2:3], -1
.LBB102_295:
	s_mov_b64 s[4:5], 0
.LBB102_296:
	s_and_b64 vcc, exec, s[4:5]
	s_cbranch_vccz .LBB102_331
; %bb.297:
	s_cmp_gt_i32 s29, 22
	s_cbranch_scc0 .LBB102_307
; %bb.298:
	s_cmp_lt_i32 s29, 24
	s_cbranch_scc1 .LBB102_310
; %bb.299:
	s_cmp_gt_i32 s29, 24
	s_cbranch_scc0 .LBB102_311
; %bb.300:
	global_load_ubyte v5, v[0:1], off
	s_movk_i32 s2, 0x7f
	s_waitcnt vmcnt(0)
	v_cmp_lt_i16_e32 vcc, s2, v5
	s_mov_b64 s[2:3], 0
	s_and_saveexec_b64 s[4:5], vcc
	s_xor_b64 s[4:5], exec, s[4:5]
	s_cbranch_execz .LBB102_323
; %bb.301:
	s_movk_i32 s2, 0x80
	v_cmp_eq_u16_e32 vcc, s2, v5
	s_mov_b64 s[2:3], -1
	s_and_saveexec_b64 s[20:21], vcc
; %bb.302:
	s_xor_b64 s[2:3], exec, -1
; %bb.303:
	s_or_b64 exec, exec, s[20:21]
	s_and_b64 s[2:3], s[2:3], exec
	s_or_saveexec_b64 s[4:5], s[4:5]
	v_mov_b32_e32 v4, 0x7f800001
	s_xor_b64 exec, exec, s[4:5]
	s_cbranch_execnz .LBB102_324
.LBB102_304:
	s_or_b64 exec, exec, s[4:5]
	s_and_saveexec_b64 s[4:5], s[2:3]
	s_cbranch_execz .LBB102_306
.LBB102_305:
	v_lshlrev_b32_e32 v4, 24, v5
	v_and_b32_e32 v5, 0xffff, v5
	v_and_b32_e32 v6, 3, v5
	v_ffbh_u32_e32 v8, v6
	v_min_u32_e32 v8, 32, v8
	v_subrev_u32_e32 v9, 29, v8
	v_bfe_u32 v7, v5, 2, 5
	v_lshlrev_b32_e32 v5, v9, v5
	v_sub_u32_e32 v8, 30, v8
	v_and_b32_e32 v5, 3, v5
	v_cmp_eq_u32_e32 vcc, 0, v7
	v_cndmask_b32_e32 v7, v7, v8, vcc
	v_cndmask_b32_e32 v5, v6, v5, vcc
	v_mov_b32_e32 v6, 0x37800000
	v_lshlrev_b32_e32 v5, 21, v5
	v_and_b32_e32 v4, 0x80000000, v4
	v_lshl_add_u32 v6, v7, 23, v6
	v_or3_b32 v4, v4, v6, v5
.LBB102_306:
	s_or_b64 exec, exec, s[4:5]
	s_mov_b64 s[2:3], 0
	s_branch .LBB102_312
.LBB102_307:
	s_mov_b64 s[4:5], -1
                                        ; implicit-def: $vgpr4
	s_branch .LBB102_318
.LBB102_308:
	s_or_saveexec_b64 s[4:5], s[4:5]
	v_mov_b32_e32 v4, 0x7f800001
	s_xor_b64 exec, exec, s[4:5]
	s_cbranch_execz .LBB102_291
.LBB102_309:
	v_cmp_ne_u16_e32 vcc, 0, v5
	s_andn2_b64 s[2:3], s[2:3], exec
	s_and_b64 s[20:21], vcc, exec
	v_mov_b32_e32 v4, 0
	s_or_b64 s[2:3], s[2:3], s[20:21]
	s_or_b64 exec, exec, s[4:5]
	s_and_saveexec_b64 s[4:5], s[2:3]
	s_cbranch_execnz .LBB102_292
	s_branch .LBB102_293
.LBB102_310:
	s_mov_b64 s[2:3], -1
                                        ; implicit-def: $vgpr4
	s_branch .LBB102_315
.LBB102_311:
	s_mov_b64 s[2:3], -1
                                        ; implicit-def: $vgpr4
.LBB102_312:
	s_and_b64 vcc, exec, s[2:3]
	s_cbranch_vccz .LBB102_314
; %bb.313:
	global_load_ubyte v4, v[0:1], off
	s_mov_b32 s2, 0x7f800000
	s_waitcnt vmcnt(0)
	v_lshlrev_b32_e32 v4, 24, v4
	v_and_b32_e32 v5, 0x7f000000, v4
	v_ffbh_u32_e32 v6, v5
	v_min_u32_e32 v6, 32, v6
	v_sub_u32_e64 v6, v6, 4 clamp
	v_lshlrev_b32_e32 v8, v6, v5
	v_lshlrev_b32_e32 v6, 23, v6
	v_lshrrev_b32_e32 v8, 4, v8
	v_add_u32_e32 v7, 0x1000000, v5
	v_sub_u32_e32 v6, v8, v6
	v_ashrrev_i32_e32 v7, 8, v7
	v_add_u32_e32 v6, 0x3c000000, v6
	v_and_or_b32 v6, v7, s2, v6
	v_cmp_ne_u32_e32 vcc, 0, v5
	v_cndmask_b32_e32 v5, 0, v6, vcc
	s_brev_b32 s2, 1
	v_and_or_b32 v4, v4, s2, v5
.LBB102_314:
	s_mov_b64 s[2:3], 0
.LBB102_315:
	s_andn2_b64 vcc, exec, s[2:3]
	s_cbranch_vccnz .LBB102_317
; %bb.316:
	global_load_ubyte v4, v[0:1], off
	s_movk_i32 s2, 0x7f00
	s_brev_b32 s3, 16
	s_waitcnt vmcnt(0)
	v_lshlrev_b16_e32 v5, 8, v4
	v_lshlrev_b32_e32 v4, 25, v4
	v_lshrrev_b32_e32 v6, 4, v4
	v_and_or_b32 v7, v5, s2, 0.5
	v_or_b32_e32 v6, 0x70000000, v6
	v_add_f32_e32 v7, -0.5, v7
	v_mul_f32_e32 v6, 0x7800000, v6
	v_cmp_gt_u32_e32 vcc, s3, v4
	v_bfe_i32 v5, v5, 0, 16
	v_cndmask_b32_e32 v4, v6, v7, vcc
	s_brev_b32 s2, 1
	v_and_or_b32 v4, v5, s2, v4
.LBB102_317:
	s_mov_b64 s[4:5], 0
	s_mov_b64 s[2:3], -1
.LBB102_318:
	s_andn2_b64 vcc, exec, s[4:5]
	s_cbranch_vccnz .LBB102_331
; %bb.319:
	s_cmp_gt_i32 s29, 14
	s_cbranch_scc0 .LBB102_322
; %bb.320:
	s_cmp_eq_u32 s29, 15
	s_cbranch_scc0 .LBB102_325
; %bb.321:
	global_load_ushort v4, v[0:1], off
	s_mov_b64 s[2:3], -1
	s_mov_b64 s[22:23], 0
	s_waitcnt vmcnt(0)
	v_lshlrev_b32_e32 v4, 16, v4
	s_branch .LBB102_326
.LBB102_322:
	s_mov_b64 s[4:5], -1
                                        ; implicit-def: $vgpr4
	s_branch .LBB102_327
.LBB102_323:
	s_or_saveexec_b64 s[4:5], s[4:5]
	v_mov_b32_e32 v4, 0x7f800001
	s_xor_b64 exec, exec, s[4:5]
	s_cbranch_execz .LBB102_304
.LBB102_324:
	v_cmp_ne_u16_e32 vcc, 0, v5
	s_andn2_b64 s[2:3], s[2:3], exec
	s_and_b64 s[20:21], vcc, exec
	v_mov_b32_e32 v4, 0
	s_or_b64 s[2:3], s[2:3], s[20:21]
	s_or_b64 exec, exec, s[4:5]
	s_and_saveexec_b64 s[4:5], s[2:3]
	s_cbranch_execnz .LBB102_305
	s_branch .LBB102_306
.LBB102_325:
	s_mov_b64 s[22:23], -1
                                        ; implicit-def: $vgpr4
.LBB102_326:
	s_mov_b64 s[4:5], 0
.LBB102_327:
	s_and_b64 vcc, exec, s[4:5]
	s_cbranch_vccz .LBB102_331
; %bb.328:
	s_cmp_eq_u32 s29, 11
	s_cbranch_scc0 .LBB102_330
; %bb.329:
	global_load_ubyte v4, v[0:1], off
	s_mov_b64 s[2:3], -1
	s_mov_b64 s[22:23], 0
	s_waitcnt vmcnt(0)
	v_cmp_ne_u16_e32 vcc, 0, v4
	v_cndmask_b32_e64 v4, 0, 1.0, vcc
	s_branch .LBB102_331
.LBB102_330:
	s_mov_b64 s[22:23], -1
                                        ; implicit-def: $vgpr4
.LBB102_331:
	s_branch .LBB102_20
.LBB102_332:
	s_and_b32 s4, 0xffff, s28
	s_cmp_lt_i32 s4, 5
	s_cbranch_scc1 .LBB102_337
; %bb.333:
	s_cmp_lt_i32 s4, 8
	s_cbranch_scc1 .LBB102_338
; %bb.334:
	;; [unrolled: 3-line block ×3, first 2 shown]
	s_cmp_gt_i32 s4, 9
	s_cbranch_scc0 .LBB102_340
; %bb.336:
	global_load_dwordx2 v[4:5], v[0:1], off
	s_mov_b64 s[2:3], 0
	s_waitcnt vmcnt(0)
	v_cvt_f32_f64_e32 v4, v[4:5]
	s_branch .LBB102_341
.LBB102_337:
	s_mov_b64 s[2:3], -1
                                        ; implicit-def: $vgpr4
	s_branch .LBB102_359
.LBB102_338:
	s_mov_b64 s[2:3], -1
                                        ; implicit-def: $vgpr4
	s_branch .LBB102_347
.LBB102_339:
	s_mov_b64 s[2:3], -1
                                        ; implicit-def: $vgpr4
	s_branch .LBB102_344
.LBB102_340:
	s_mov_b64 s[2:3], -1
                                        ; implicit-def: $vgpr4
.LBB102_341:
	s_andn2_b64 vcc, exec, s[2:3]
	s_cbranch_vccnz .LBB102_343
; %bb.342:
	global_load_dword v4, v[0:1], off
.LBB102_343:
	s_mov_b64 s[2:3], 0
.LBB102_344:
	s_andn2_b64 vcc, exec, s[2:3]
	s_cbranch_vccnz .LBB102_346
; %bb.345:
	global_load_dword v4, v[0:1], off
	s_waitcnt vmcnt(0)
	v_cvt_f32_f16_e32 v4, v4
.LBB102_346:
	s_mov_b64 s[2:3], 0
.LBB102_347:
	s_andn2_b64 vcc, exec, s[2:3]
	s_cbranch_vccnz .LBB102_358
; %bb.348:
	s_cmp_lt_i32 s4, 6
	s_cbranch_scc1 .LBB102_351
; %bb.349:
	s_cmp_gt_i32 s4, 6
	s_cbranch_scc0 .LBB102_352
; %bb.350:
	global_load_dwordx2 v[4:5], v[0:1], off
	s_mov_b64 s[2:3], 0
	s_waitcnt vmcnt(0)
	v_cvt_f32_f64_e32 v4, v[4:5]
	s_branch .LBB102_353
.LBB102_351:
	s_mov_b64 s[2:3], -1
                                        ; implicit-def: $vgpr4
	s_branch .LBB102_356
.LBB102_352:
	s_mov_b64 s[2:3], -1
                                        ; implicit-def: $vgpr4
.LBB102_353:
	s_andn2_b64 vcc, exec, s[2:3]
	s_cbranch_vccnz .LBB102_355
; %bb.354:
	global_load_dword v4, v[0:1], off
.LBB102_355:
	s_mov_b64 s[2:3], 0
.LBB102_356:
	s_andn2_b64 vcc, exec, s[2:3]
	s_cbranch_vccnz .LBB102_358
; %bb.357:
	global_load_ushort v4, v[0:1], off
	s_waitcnt vmcnt(0)
	v_cvt_f32_f16_e32 v4, v4
.LBB102_358:
	s_mov_b64 s[2:3], 0
.LBB102_359:
	s_andn2_b64 vcc, exec, s[2:3]
	s_cbranch_vccnz .LBB102_379
; %bb.360:
	s_cmp_lt_i32 s4, 2
	s_cbranch_scc1 .LBB102_364
; %bb.361:
	s_cmp_lt_i32 s4, 3
	s_cbranch_scc1 .LBB102_365
; %bb.362:
	s_cmp_gt_i32 s4, 3
	s_cbranch_scc0 .LBB102_366
; %bb.363:
	global_load_dwordx2 v[4:5], v[0:1], off
	s_mov_b64 s[2:3], 0
	s_waitcnt vmcnt(0)
	v_xor_b32_e32 v7, v4, v5
	v_ffbh_i32_e32 v6, v5
	v_ashrrev_i32_e32 v7, 31, v7
	v_add_u32_e32 v6, -1, v6
	v_add_u32_e32 v7, 32, v7
	v_min_u32_e32 v6, v6, v7
	v_lshlrev_b64 v[4:5], v6, v[4:5]
	v_min_u32_e32 v4, 1, v4
	v_or_b32_e32 v4, v5, v4
	v_cvt_f32_i32_e32 v4, v4
	v_sub_u32_e32 v5, 32, v6
	v_ldexp_f32 v4, v4, v5
	s_branch .LBB102_367
.LBB102_364:
	s_mov_b64 s[2:3], -1
                                        ; implicit-def: $vgpr4
	s_branch .LBB102_373
.LBB102_365:
	s_mov_b64 s[2:3], -1
                                        ; implicit-def: $vgpr4
	s_branch .LBB102_370
.LBB102_366:
	s_mov_b64 s[2:3], -1
                                        ; implicit-def: $vgpr4
.LBB102_367:
	s_andn2_b64 vcc, exec, s[2:3]
	s_cbranch_vccnz .LBB102_369
; %bb.368:
	global_load_dword v4, v[0:1], off
	s_waitcnt vmcnt(0)
	v_cvt_f32_i32_e32 v4, v4
.LBB102_369:
	s_mov_b64 s[2:3], 0
.LBB102_370:
	s_andn2_b64 vcc, exec, s[2:3]
	s_cbranch_vccnz .LBB102_372
; %bb.371:
	global_load_sshort v4, v[0:1], off
	s_waitcnt vmcnt(0)
	v_cvt_f32_i32_e32 v4, v4
.LBB102_372:
	s_mov_b64 s[2:3], 0
.LBB102_373:
	s_andn2_b64 vcc, exec, s[2:3]
	s_cbranch_vccnz .LBB102_379
; %bb.374:
	s_cmp_gt_i32 s4, 0
	s_cbranch_scc0 .LBB102_376
; %bb.375:
	global_load_sbyte v4, v[0:1], off
	s_mov_b64 s[2:3], 0
	s_waitcnt vmcnt(0)
	v_cvt_f32_i32_e32 v4, v4
	s_branch .LBB102_377
.LBB102_376:
	s_mov_b64 s[2:3], -1
                                        ; implicit-def: $vgpr4
.LBB102_377:
	s_andn2_b64 vcc, exec, s[2:3]
	s_cbranch_vccnz .LBB102_379
; %bb.378:
	global_load_ubyte v0, v[0:1], off
	s_waitcnt vmcnt(0)
	v_cvt_f32_ubyte0_e32 v4, v0
.LBB102_379:
	s_branch .LBB102_21
.LBB102_380:
	s_mov_b64 s[4:5], 0
.LBB102_381:
                                        ; implicit-def: $vgpr2
	s_mov_b64 s[2:3], 0
.LBB102_382:
	s_and_b64 s[20:21], s[4:5], exec
	s_and_b64 s[22:23], s[22:23], exec
	;; [unrolled: 1-line block ×3, first 2 shown]
	s_orn2_b64 s[2:3], s[2:3], exec
.LBB102_383:
	s_or_b64 exec, exec, s[26:27]
	s_mov_b64 s[36:37], 0
	s_mov_b64 s[34:35], 0
                                        ; implicit-def: $sgpr58
                                        ; implicit-def: $vgpr0_vgpr1
                                        ; implicit-def: $vgpr3
	s_and_saveexec_b64 s[26:27], s[2:3]
	s_cbranch_execz .LBB102_392
; %bb.384:
	v_cmp_gt_i32_e32 vcc, s50, v2
	s_mov_b64 s[2:3], -1
	s_mov_b64 s[28:29], s[24:25]
	s_mov_b64 s[30:31], s[22:23]
	;; [unrolled: 1-line block ×3, first 2 shown]
	s_and_saveexec_b64 s[36:37], vcc
	s_cbranch_execz .LBB102_773
; %bb.385:
	v_mul_lo_u32 v0, v2, s13
	v_mov_b32_e32 v1, s11
	s_and_b32 s34, s57, 0xff
	s_cmp_lt_i32 s34, 11
	s_waitcnt vmcnt(0)
	v_ashrrev_i32_e32 v3, 31, v0
	v_add_co_u32_e32 v0, vcc, s10, v0
	v_addc_co_u32_e32 v1, vcc, v1, v3, vcc
	s_cbranch_scc1 .LBB102_395
; %bb.386:
	s_and_b32 s35, 0xffff, s34
	s_cmp_gt_i32 s35, 25
	s_cbranch_scc0 .LBB102_404
; %bb.387:
	s_cmp_gt_i32 s35, 28
	s_cbranch_scc0 .LBB102_406
; %bb.388:
	;; [unrolled: 3-line block ×4, first 2 shown]
	s_cmp_eq_u32 s35, 46
	s_mov_b64 s[4:5], 0
	s_cbranch_scc0 .LBB102_414
; %bb.391:
	global_load_dword v3, v[0:1], off
	s_mov_b64 s[28:29], 0
	s_waitcnt vmcnt(0)
	v_lshlrev_b32_e32 v3, 16, v3
	s_branch .LBB102_415
.LBB102_392:
	s_or_b64 exec, exec, s[26:27]
	s_mov_b64 s[2:3], 0
	s_and_saveexec_b64 s[4:5], s[24:25]
	s_cbranch_execnz .LBB102_1248
.LBB102_393:
	s_or_b64 exec, exec, s[4:5]
	s_and_saveexec_b64 s[4:5], s[30:31]
	s_xor_b64 s[4:5], exec, s[4:5]
	s_cbranch_execz .LBB102_1249
.LBB102_394:
	global_load_ubyte v3, v[0:1], off
	s_or_b64 s[34:35], s[34:35], exec
	s_waitcnt vmcnt(0)
	v_cmp_ne_u16_e32 vcc, 0, v3
	v_cndmask_b32_e64 v3, 0, 1.0, vcc
	s_or_b64 exec, exec, s[4:5]
	s_and_saveexec_b64 s[4:5], s[36:37]
	s_cbranch_execz .LBB102_1295
	s_branch .LBB102_1250
.LBB102_395:
	s_mov_b64 s[2:3], 0
                                        ; implicit-def: $vgpr3
	s_mov_b64 s[28:29], s[24:25]
	s_cbranch_execnz .LBB102_481
.LBB102_396:
	s_andn2_b64 vcc, exec, s[2:3]
	s_cbranch_vccnz .LBB102_529
.LBB102_397:
	v_mul_lo_u32 v0, v2, s14
	v_mov_b32_e32 v1, s17
	s_and_b32 s38, s56, 0xff
	s_cmp_lt_i32 s38, 11
	v_ashrrev_i32_e32 v4, 31, v0
	v_add_co_u32_e32 v0, vcc, s16, v0
	v_addc_co_u32_e32 v1, vcc, v1, v4, vcc
	s_cbranch_scc1 .LBB102_405
; %bb.398:
	s_and_b32 s39, 0xffff, s38
	s_cmp_gt_i32 s39, 25
	s_cbranch_scc0 .LBB102_407
; %bb.399:
	s_cmp_gt_i32 s39, 28
	s_cbranch_scc0 .LBB102_409
; %bb.400:
	s_cmp_gt_i32 s39, 43
	s_cbranch_scc0 .LBB102_411
; %bb.401:
	s_cmp_gt_i32 s39, 45
	s_cbranch_scc0 .LBB102_418
; %bb.402:
	s_cmp_eq_u32 s39, 46
	s_mov_b64 s[4:5], 0
	s_cbranch_scc0 .LBB102_533
; %bb.403:
	global_load_dword v4, v[0:1], off
	s_mov_b64 s[2:3], -1
	s_mov_b64 s[30:31], 0
	s_waitcnt vmcnt(0)
	v_lshlrev_b32_e32 v4, 16, v4
	s_branch .LBB102_534
.LBB102_404:
	s_mov_b64 s[4:5], -1
	s_mov_b64 s[2:3], 0
	s_mov_b64 s[28:29], s[24:25]
                                        ; implicit-def: $vgpr3
	s_branch .LBB102_445
.LBB102_405:
	s_mov_b64 s[4:5], -1
	s_mov_b64 s[2:3], 0
                                        ; implicit-def: $vgpr4
	s_mov_b64 s[30:31], s[22:23]
	s_branch .LBB102_599
.LBB102_406:
	s_mov_b64 s[4:5], -1
	s_mov_b64 s[2:3], 0
	s_mov_b64 s[28:29], s[24:25]
                                        ; implicit-def: $vgpr3
	s_branch .LBB102_426
.LBB102_407:
	s_mov_b64 s[4:5], -1
	s_mov_b64 s[2:3], 0
	s_mov_b64 s[30:31], s[22:23]
                                        ; implicit-def: $vgpr4
	s_branch .LBB102_563
.LBB102_408:
	s_mov_b64 s[4:5], -1
	s_mov_b64 s[2:3], 0
	s_mov_b64 s[28:29], s[24:25]
                                        ; implicit-def: $vgpr3
	s_branch .LBB102_421
.LBB102_409:
	s_mov_b64 s[4:5], -1
	s_mov_b64 s[2:3], 0
	s_mov_b64 s[30:31], s[22:23]
                                        ; implicit-def: $vgpr4
	s_branch .LBB102_544
.LBB102_410:
	s_mov_b64 s[4:5], -1
	s_mov_b64 s[2:3], 0
	s_mov_b64 s[28:29], s[24:25]
                                        ; implicit-def: $vgpr3
	s_branch .LBB102_415
.LBB102_411:
	s_mov_b64 s[4:5], -1
	s_mov_b64 s[2:3], 0
	s_mov_b64 s[30:31], s[22:23]
                                        ; implicit-def: $vgpr4
	s_branch .LBB102_539
.LBB102_412:
	s_andn2_saveexec_b64 s[34:35], s[34:35]
	s_cbranch_execz .LBB102_180
.LBB102_413:
	v_add_f32_e32 v3, 0x46000000, v4
	v_and_b32_e32 v3, 0xff, v3
	v_cmp_ne_u32_e32 vcc, 0, v3
	s_andn2_b64 s[28:29], s[28:29], exec
	s_and_b64 s[38:39], vcc, exec
	s_or_b64 s[28:29], s[28:29], s[38:39]
	s_or_b64 exec, exec, s[34:35]
	v_mov_b32_e32 v5, 0
	s_and_saveexec_b64 s[34:35], s[28:29]
	s_cbranch_execnz .LBB102_181
	s_branch .LBB102_182
.LBB102_414:
	s_mov_b64 s[28:29], -1
                                        ; implicit-def: $vgpr3
	s_mov_b64 s[2:3], 0
.LBB102_415:
	s_and_b64 vcc, exec, s[4:5]
	s_cbranch_vccz .LBB102_420
; %bb.416:
	s_cmp_eq_u32 s35, 44
	s_cbranch_scc0 .LBB102_419
; %bb.417:
	global_load_ubyte v3, v[0:1], off
	s_movk_i32 s4, 0xff
	v_mov_b32_e32 v4, 0x7f800001
	v_mov_b32_e32 v5, 0x400000
	s_mov_b64 s[2:3], -1
	s_mov_b64 s[28:29], 0
	s_waitcnt vmcnt(0)
	v_lshlrev_b32_e32 v6, 23, v3
	v_cmp_ne_u32_e32 vcc, s4, v3
	v_cndmask_b32_e32 v4, v4, v6, vcc
	v_cmp_ne_u32_e32 vcc, 0, v3
	v_cndmask_b32_e32 v3, v5, v4, vcc
	s_branch .LBB102_420
.LBB102_418:
	s_mov_b64 s[4:5], -1
	s_mov_b64 s[2:3], 0
	s_mov_b64 s[30:31], s[22:23]
                                        ; implicit-def: $vgpr4
	s_branch .LBB102_534
.LBB102_419:
	s_mov_b64 s[28:29], -1
                                        ; implicit-def: $vgpr3
.LBB102_420:
	s_mov_b64 s[4:5], 0
.LBB102_421:
	s_and_b64 vcc, exec, s[4:5]
	s_cbranch_vccz .LBB102_425
; %bb.422:
	s_cmp_eq_u32 s35, 29
	s_cbranch_scc0 .LBB102_424
; %bb.423:
	global_load_dwordx2 v[3:4], v[0:1], off
	s_mov_b64 s[2:3], -1
	s_mov_b64 s[28:29], 0
	s_mov_b64 s[4:5], 0
	s_waitcnt vmcnt(0)
	v_ffbh_u32_e32 v5, v4
	v_min_u32_e32 v5, 32, v5
	v_lshlrev_b64 v[3:4], v5, v[3:4]
	v_min_u32_e32 v3, 1, v3
	v_or_b32_e32 v3, v4, v3
	v_cvt_f32_u32_e32 v3, v3
	v_sub_u32_e32 v4, 32, v5
	v_ldexp_f32 v3, v3, v4
	s_branch .LBB102_426
.LBB102_424:
	s_mov_b64 s[28:29], -1
                                        ; implicit-def: $vgpr3
.LBB102_425:
	s_mov_b64 s[4:5], 0
.LBB102_426:
	s_and_b64 vcc, exec, s[4:5]
	s_cbranch_vccz .LBB102_444
; %bb.427:
	s_cmp_lt_i32 s35, 27
	s_cbranch_scc1 .LBB102_430
; %bb.428:
	s_cmp_gt_i32 s35, 27
	s_cbranch_scc0 .LBB102_431
; %bb.429:
	global_load_dword v3, v[0:1], off
	s_mov_b64 s[2:3], 0
	s_waitcnt vmcnt(0)
	v_cvt_f32_u32_e32 v3, v3
	s_branch .LBB102_432
.LBB102_430:
	s_mov_b64 s[2:3], -1
                                        ; implicit-def: $vgpr3
	s_branch .LBB102_435
.LBB102_431:
	s_mov_b64 s[2:3], -1
                                        ; implicit-def: $vgpr3
.LBB102_432:
	s_andn2_b64 vcc, exec, s[2:3]
	s_cbranch_vccnz .LBB102_434
; %bb.433:
	global_load_ushort v3, v[0:1], off
	s_waitcnt vmcnt(0)
	v_cvt_f32_u32_e32 v3, v3
.LBB102_434:
	s_mov_b64 s[2:3], 0
.LBB102_435:
	s_andn2_b64 vcc, exec, s[2:3]
	s_cbranch_vccnz .LBB102_443
; %bb.436:
	global_load_ubyte v4, v[0:1], off
	s_movk_i32 s2, 0x7f
	s_waitcnt vmcnt(0)
	v_cmp_lt_i16_e32 vcc, s2, v4
	s_mov_b64 s[2:3], 0
	s_and_saveexec_b64 s[4:5], vcc
	s_xor_b64 s[4:5], exec, s[4:5]
	s_cbranch_execz .LBB102_457
; %bb.437:
	s_movk_i32 s2, 0x80
	v_cmp_eq_u16_e32 vcc, s2, v4
	s_mov_b64 s[2:3], -1
	s_and_saveexec_b64 s[30:31], vcc
; %bb.438:
	s_xor_b64 s[2:3], exec, -1
; %bb.439:
	s_or_b64 exec, exec, s[30:31]
	s_and_b64 s[2:3], s[2:3], exec
	s_or_saveexec_b64 s[4:5], s[4:5]
	v_mov_b32_e32 v3, 0x7f800001
	s_xor_b64 exec, exec, s[4:5]
	s_cbranch_execnz .LBB102_458
.LBB102_440:
	s_or_b64 exec, exec, s[4:5]
	s_and_saveexec_b64 s[4:5], s[2:3]
	s_cbranch_execz .LBB102_442
.LBB102_441:
	v_lshlrev_b32_e32 v3, 24, v4
	v_and_b32_e32 v4, 0xffff, v4
	v_and_b32_e32 v5, 7, v4
	v_ffbh_u32_e32 v7, v5
	v_min_u32_e32 v7, 32, v7
	v_subrev_u32_e32 v8, 28, v7
	v_bfe_u32 v6, v4, 3, 4
	v_lshlrev_b32_e32 v4, v8, v4
	v_sub_u32_e32 v7, 29, v7
	v_and_b32_e32 v4, 7, v4
	v_cmp_eq_u32_e32 vcc, 0, v6
	v_cndmask_b32_e32 v6, v6, v7, vcc
	v_cndmask_b32_e32 v4, v5, v4, vcc
	v_mov_b32_e32 v5, 0x3b800000
	v_lshlrev_b32_e32 v4, 20, v4
	v_and_b32_e32 v3, 0x80000000, v3
	v_lshl_add_u32 v5, v6, 23, v5
	v_or3_b32 v3, v3, v5, v4
.LBB102_442:
	s_or_b64 exec, exec, s[4:5]
.LBB102_443:
	s_mov_b64 s[2:3], -1
.LBB102_444:
	s_mov_b64 s[4:5], 0
.LBB102_445:
	s_and_b64 vcc, exec, s[4:5]
	s_cbranch_vccz .LBB102_480
; %bb.446:
	s_cmp_gt_i32 s35, 22
	s_cbranch_scc0 .LBB102_456
; %bb.447:
	s_cmp_lt_i32 s35, 24
	s_cbranch_scc1 .LBB102_459
; %bb.448:
	s_cmp_gt_i32 s35, 24
	s_cbranch_scc0 .LBB102_460
; %bb.449:
	global_load_ubyte v4, v[0:1], off
	s_movk_i32 s2, 0x7f
	s_waitcnt vmcnt(0)
	v_cmp_lt_i16_e32 vcc, s2, v4
	s_mov_b64 s[2:3], 0
	s_and_saveexec_b64 s[4:5], vcc
	s_xor_b64 s[4:5], exec, s[4:5]
	s_cbranch_execz .LBB102_472
; %bb.450:
	s_movk_i32 s2, 0x80
	v_cmp_eq_u16_e32 vcc, s2, v4
	s_mov_b64 s[2:3], -1
	s_and_saveexec_b64 s[30:31], vcc
; %bb.451:
	s_xor_b64 s[2:3], exec, -1
; %bb.452:
	s_or_b64 exec, exec, s[30:31]
	s_and_b64 s[2:3], s[2:3], exec
	s_or_saveexec_b64 s[4:5], s[4:5]
	v_mov_b32_e32 v3, 0x7f800001
	s_xor_b64 exec, exec, s[4:5]
	s_cbranch_execnz .LBB102_473
.LBB102_453:
	s_or_b64 exec, exec, s[4:5]
	s_and_saveexec_b64 s[4:5], s[2:3]
	s_cbranch_execz .LBB102_455
.LBB102_454:
	v_lshlrev_b32_e32 v3, 24, v4
	v_and_b32_e32 v4, 0xffff, v4
	v_and_b32_e32 v5, 3, v4
	v_ffbh_u32_e32 v7, v5
	v_min_u32_e32 v7, 32, v7
	v_subrev_u32_e32 v8, 29, v7
	v_bfe_u32 v6, v4, 2, 5
	v_lshlrev_b32_e32 v4, v8, v4
	v_sub_u32_e32 v7, 30, v7
	v_and_b32_e32 v4, 3, v4
	v_cmp_eq_u32_e32 vcc, 0, v6
	v_cndmask_b32_e32 v6, v6, v7, vcc
	v_cndmask_b32_e32 v4, v5, v4, vcc
	v_mov_b32_e32 v5, 0x37800000
	v_lshlrev_b32_e32 v4, 21, v4
	v_and_b32_e32 v3, 0x80000000, v3
	v_lshl_add_u32 v5, v6, 23, v5
	v_or3_b32 v3, v3, v5, v4
.LBB102_455:
	s_or_b64 exec, exec, s[4:5]
	s_mov_b64 s[2:3], 0
	s_branch .LBB102_461
.LBB102_456:
	s_mov_b64 s[4:5], -1
                                        ; implicit-def: $vgpr3
	s_branch .LBB102_467
.LBB102_457:
	s_or_saveexec_b64 s[4:5], s[4:5]
	v_mov_b32_e32 v3, 0x7f800001
	s_xor_b64 exec, exec, s[4:5]
	s_cbranch_execz .LBB102_440
.LBB102_458:
	v_cmp_ne_u16_e32 vcc, 0, v4
	s_andn2_b64 s[2:3], s[2:3], exec
	s_and_b64 s[30:31], vcc, exec
	v_mov_b32_e32 v3, 0
	s_or_b64 s[2:3], s[2:3], s[30:31]
	s_or_b64 exec, exec, s[4:5]
	s_and_saveexec_b64 s[4:5], s[2:3]
	s_cbranch_execnz .LBB102_441
	s_branch .LBB102_442
.LBB102_459:
	s_mov_b64 s[2:3], -1
                                        ; implicit-def: $vgpr3
	s_branch .LBB102_464
.LBB102_460:
	s_mov_b64 s[2:3], -1
                                        ; implicit-def: $vgpr3
.LBB102_461:
	s_and_b64 vcc, exec, s[2:3]
	s_cbranch_vccz .LBB102_463
; %bb.462:
	global_load_ubyte v3, v[0:1], off
	s_mov_b32 s2, 0x7f800000
	s_waitcnt vmcnt(0)
	v_lshlrev_b32_e32 v3, 24, v3
	v_and_b32_e32 v4, 0x7f000000, v3
	v_ffbh_u32_e32 v5, v4
	v_min_u32_e32 v5, 32, v5
	v_sub_u32_e64 v5, v5, 4 clamp
	v_lshlrev_b32_e32 v7, v5, v4
	v_lshlrev_b32_e32 v5, 23, v5
	v_lshrrev_b32_e32 v7, 4, v7
	v_add_u32_e32 v6, 0x1000000, v4
	v_sub_u32_e32 v5, v7, v5
	v_ashrrev_i32_e32 v6, 8, v6
	v_add_u32_e32 v5, 0x3c000000, v5
	v_and_or_b32 v5, v6, s2, v5
	v_cmp_ne_u32_e32 vcc, 0, v4
	v_cndmask_b32_e32 v4, 0, v5, vcc
	s_brev_b32 s2, 1
	v_and_or_b32 v3, v3, s2, v4
.LBB102_463:
	s_mov_b64 s[2:3], 0
.LBB102_464:
	s_andn2_b64 vcc, exec, s[2:3]
	s_cbranch_vccnz .LBB102_466
; %bb.465:
	global_load_ubyte v3, v[0:1], off
	s_movk_i32 s2, 0x7f00
	s_brev_b32 s3, 16
	s_waitcnt vmcnt(0)
	v_lshlrev_b16_e32 v4, 8, v3
	v_lshlrev_b32_e32 v3, 25, v3
	v_lshrrev_b32_e32 v5, 4, v3
	v_and_or_b32 v6, v4, s2, 0.5
	v_or_b32_e32 v5, 0x70000000, v5
	v_add_f32_e32 v6, -0.5, v6
	v_mul_f32_e32 v5, 0x7800000, v5
	v_cmp_gt_u32_e32 vcc, s3, v3
	v_bfe_i32 v4, v4, 0, 16
	v_cndmask_b32_e32 v3, v5, v6, vcc
	s_brev_b32 s2, 1
	v_and_or_b32 v3, v4, s2, v3
.LBB102_466:
	s_mov_b64 s[4:5], 0
	s_mov_b64 s[2:3], -1
.LBB102_467:
	s_andn2_b64 vcc, exec, s[4:5]
	s_cbranch_vccnz .LBB102_480
; %bb.468:
	s_cmp_gt_i32 s35, 14
	s_cbranch_scc0 .LBB102_471
; %bb.469:
	s_cmp_eq_u32 s35, 15
	s_cbranch_scc0 .LBB102_474
; %bb.470:
	global_load_ushort v3, v[0:1], off
	s_mov_b64 s[2:3], -1
	s_mov_b64 s[28:29], 0
	s_waitcnt vmcnt(0)
	v_lshlrev_b32_e32 v3, 16, v3
	s_branch .LBB102_475
.LBB102_471:
	s_mov_b64 s[4:5], -1
                                        ; implicit-def: $vgpr3
	s_branch .LBB102_476
.LBB102_472:
	s_or_saveexec_b64 s[4:5], s[4:5]
	v_mov_b32_e32 v3, 0x7f800001
	s_xor_b64 exec, exec, s[4:5]
	s_cbranch_execz .LBB102_453
.LBB102_473:
	v_cmp_ne_u16_e32 vcc, 0, v4
	s_andn2_b64 s[2:3], s[2:3], exec
	s_and_b64 s[30:31], vcc, exec
	v_mov_b32_e32 v3, 0
	s_or_b64 s[2:3], s[2:3], s[30:31]
	s_or_b64 exec, exec, s[4:5]
	s_and_saveexec_b64 s[4:5], s[2:3]
	s_cbranch_execnz .LBB102_454
	s_branch .LBB102_455
.LBB102_474:
	s_mov_b64 s[28:29], -1
                                        ; implicit-def: $vgpr3
.LBB102_475:
	s_mov_b64 s[4:5], 0
.LBB102_476:
	s_and_b64 vcc, exec, s[4:5]
	s_cbranch_vccz .LBB102_480
; %bb.477:
	s_cmp_eq_u32 s35, 11
	s_cbranch_scc0 .LBB102_479
; %bb.478:
	global_load_ubyte v3, v[0:1], off
	s_mov_b64 s[2:3], -1
	s_mov_b64 s[28:29], 0
	s_waitcnt vmcnt(0)
	v_cmp_ne_u16_e32 vcc, 0, v3
	v_cndmask_b32_e64 v3, 0, 1.0, vcc
	s_branch .LBB102_480
.LBB102_479:
	s_mov_b64 s[28:29], -1
                                        ; implicit-def: $vgpr3
.LBB102_480:
	s_branch .LBB102_396
.LBB102_481:
	s_and_b32 s4, 0xffff, s34
	s_cmp_lt_i32 s4, 5
	s_cbranch_scc1 .LBB102_486
; %bb.482:
	s_cmp_lt_i32 s4, 8
	s_cbranch_scc1 .LBB102_487
; %bb.483:
	;; [unrolled: 3-line block ×3, first 2 shown]
	s_cmp_gt_i32 s4, 9
	s_cbranch_scc0 .LBB102_489
; %bb.485:
	global_load_dwordx2 v[3:4], v[0:1], off
	s_mov_b64 s[2:3], 0
	s_waitcnt vmcnt(0)
	v_cvt_f32_f64_e32 v3, v[3:4]
	s_branch .LBB102_490
.LBB102_486:
	s_mov_b64 s[2:3], -1
                                        ; implicit-def: $vgpr3
	s_branch .LBB102_508
.LBB102_487:
	s_mov_b64 s[2:3], -1
                                        ; implicit-def: $vgpr3
	s_branch .LBB102_496
.LBB102_488:
	s_mov_b64 s[2:3], -1
                                        ; implicit-def: $vgpr3
	s_branch .LBB102_493
.LBB102_489:
	s_mov_b64 s[2:3], -1
                                        ; implicit-def: $vgpr3
.LBB102_490:
	s_andn2_b64 vcc, exec, s[2:3]
	s_cbranch_vccnz .LBB102_492
; %bb.491:
	global_load_dword v3, v[0:1], off
.LBB102_492:
	s_mov_b64 s[2:3], 0
.LBB102_493:
	s_andn2_b64 vcc, exec, s[2:3]
	s_cbranch_vccnz .LBB102_495
; %bb.494:
	global_load_dword v3, v[0:1], off
	s_waitcnt vmcnt(0)
	v_cvt_f32_f16_e32 v3, v3
.LBB102_495:
	s_mov_b64 s[2:3], 0
.LBB102_496:
	s_andn2_b64 vcc, exec, s[2:3]
	s_cbranch_vccnz .LBB102_507
; %bb.497:
	s_cmp_lt_i32 s4, 6
	s_cbranch_scc1 .LBB102_500
; %bb.498:
	s_cmp_gt_i32 s4, 6
	s_cbranch_scc0 .LBB102_501
; %bb.499:
	global_load_dwordx2 v[3:4], v[0:1], off
	s_mov_b64 s[2:3], 0
	s_waitcnt vmcnt(0)
	v_cvt_f32_f64_e32 v3, v[3:4]
	s_branch .LBB102_502
.LBB102_500:
	s_mov_b64 s[2:3], -1
                                        ; implicit-def: $vgpr3
	s_branch .LBB102_505
.LBB102_501:
	s_mov_b64 s[2:3], -1
                                        ; implicit-def: $vgpr3
.LBB102_502:
	s_andn2_b64 vcc, exec, s[2:3]
	s_cbranch_vccnz .LBB102_504
; %bb.503:
	global_load_dword v3, v[0:1], off
.LBB102_504:
	s_mov_b64 s[2:3], 0
.LBB102_505:
	s_andn2_b64 vcc, exec, s[2:3]
	s_cbranch_vccnz .LBB102_507
; %bb.506:
	global_load_ushort v3, v[0:1], off
	s_waitcnt vmcnt(0)
	v_cvt_f32_f16_e32 v3, v3
.LBB102_507:
	s_mov_b64 s[2:3], 0
.LBB102_508:
	s_andn2_b64 vcc, exec, s[2:3]
	s_cbranch_vccnz .LBB102_528
; %bb.509:
	s_cmp_lt_i32 s4, 2
	s_cbranch_scc1 .LBB102_513
; %bb.510:
	s_cmp_lt_i32 s4, 3
	s_cbranch_scc1 .LBB102_514
; %bb.511:
	s_cmp_gt_i32 s4, 3
	s_cbranch_scc0 .LBB102_515
; %bb.512:
	global_load_dwordx2 v[3:4], v[0:1], off
	s_mov_b64 s[2:3], 0
	s_waitcnt vmcnt(0)
	v_xor_b32_e32 v6, v3, v4
	v_ffbh_i32_e32 v5, v4
	v_ashrrev_i32_e32 v6, 31, v6
	v_add_u32_e32 v5, -1, v5
	v_add_u32_e32 v6, 32, v6
	v_min_u32_e32 v5, v5, v6
	v_lshlrev_b64 v[3:4], v5, v[3:4]
	v_min_u32_e32 v3, 1, v3
	v_or_b32_e32 v3, v4, v3
	v_cvt_f32_i32_e32 v3, v3
	v_sub_u32_e32 v4, 32, v5
	v_ldexp_f32 v3, v3, v4
	s_branch .LBB102_516
.LBB102_513:
	s_mov_b64 s[2:3], -1
                                        ; implicit-def: $vgpr3
	s_branch .LBB102_522
.LBB102_514:
	s_mov_b64 s[2:3], -1
                                        ; implicit-def: $vgpr3
	s_branch .LBB102_519
.LBB102_515:
	s_mov_b64 s[2:3], -1
                                        ; implicit-def: $vgpr3
.LBB102_516:
	s_andn2_b64 vcc, exec, s[2:3]
	s_cbranch_vccnz .LBB102_518
; %bb.517:
	global_load_dword v3, v[0:1], off
	s_waitcnt vmcnt(0)
	v_cvt_f32_i32_e32 v3, v3
.LBB102_518:
	s_mov_b64 s[2:3], 0
.LBB102_519:
	s_andn2_b64 vcc, exec, s[2:3]
	s_cbranch_vccnz .LBB102_521
; %bb.520:
	global_load_sshort v3, v[0:1], off
	s_waitcnt vmcnt(0)
	v_cvt_f32_i32_e32 v3, v3
.LBB102_521:
	s_mov_b64 s[2:3], 0
.LBB102_522:
	s_andn2_b64 vcc, exec, s[2:3]
	s_cbranch_vccnz .LBB102_528
; %bb.523:
	s_cmp_gt_i32 s4, 0
	s_cbranch_scc0 .LBB102_525
; %bb.524:
	global_load_sbyte v3, v[0:1], off
	s_mov_b64 s[2:3], 0
	s_waitcnt vmcnt(0)
	v_cvt_f32_i32_e32 v3, v3
	s_branch .LBB102_526
.LBB102_525:
	s_mov_b64 s[2:3], -1
                                        ; implicit-def: $vgpr3
.LBB102_526:
	s_andn2_b64 vcc, exec, s[2:3]
	s_cbranch_vccnz .LBB102_528
; %bb.527:
	global_load_ubyte v0, v[0:1], off
	s_waitcnt vmcnt(0)
	v_cvt_f32_ubyte0_e32 v3, v0
.LBB102_528:
	s_branch .LBB102_397
.LBB102_529:
	s_mov_b64 s[2:3], 0
	s_mov_b64 s[4:5], s[20:21]
	s_mov_b64 s[30:31], s[22:23]
.LBB102_530:
                                        ; implicit-def: $vgpr2
	s_branch .LBB102_772
.LBB102_531:
	s_andn2_saveexec_b64 s[34:35], s[34:35]
	s_cbranch_execz .LBB102_193
.LBB102_532:
	v_add_f32_e32 v3, 0x42800000, v4
	v_and_b32_e32 v3, 0xff, v3
	v_cmp_ne_u32_e32 vcc, 0, v3
	s_andn2_b64 s[28:29], s[28:29], exec
	s_and_b64 s[38:39], vcc, exec
	s_or_b64 s[28:29], s[28:29], s[38:39]
	s_or_b64 exec, exec, s[34:35]
	v_mov_b32_e32 v5, 0
	s_and_saveexec_b64 s[34:35], s[28:29]
	s_cbranch_execnz .LBB102_194
	s_branch .LBB102_195
.LBB102_533:
	s_mov_b64 s[30:31], -1
                                        ; implicit-def: $vgpr4
	s_mov_b64 s[2:3], 0
.LBB102_534:
	s_and_b64 vcc, exec, s[4:5]
	s_cbranch_vccz .LBB102_538
; %bb.535:
	s_cmp_eq_u32 s39, 44
	s_cbranch_scc0 .LBB102_537
; %bb.536:
	global_load_ubyte v4, v[0:1], off
	s_movk_i32 s4, 0xff
	v_mov_b32_e32 v5, 0x7f800001
	v_mov_b32_e32 v6, 0x400000
	s_mov_b64 s[2:3], -1
	s_mov_b64 s[30:31], 0
	s_waitcnt vmcnt(0)
	v_lshlrev_b32_e32 v7, 23, v4
	v_cmp_ne_u32_e32 vcc, s4, v4
	v_cndmask_b32_e32 v5, v5, v7, vcc
	v_cmp_ne_u32_e32 vcc, 0, v4
	v_cndmask_b32_e32 v4, v6, v5, vcc
	s_branch .LBB102_538
.LBB102_537:
	s_mov_b64 s[30:31], -1
                                        ; implicit-def: $vgpr4
.LBB102_538:
	s_mov_b64 s[4:5], 0
.LBB102_539:
	s_and_b64 vcc, exec, s[4:5]
	s_cbranch_vccz .LBB102_543
; %bb.540:
	s_cmp_eq_u32 s39, 29
	s_cbranch_scc0 .LBB102_542
; %bb.541:
	global_load_dwordx2 v[4:5], v[0:1], off
	s_mov_b64 s[2:3], -1
	s_mov_b64 s[30:31], 0
	s_mov_b64 s[4:5], 0
	s_waitcnt vmcnt(0)
	v_ffbh_u32_e32 v6, v5
	v_min_u32_e32 v6, 32, v6
	v_lshlrev_b64 v[4:5], v6, v[4:5]
	v_min_u32_e32 v4, 1, v4
	v_or_b32_e32 v4, v5, v4
	v_cvt_f32_u32_e32 v4, v4
	v_sub_u32_e32 v5, 32, v6
	v_ldexp_f32 v4, v4, v5
	s_branch .LBB102_544
.LBB102_542:
	s_mov_b64 s[30:31], -1
                                        ; implicit-def: $vgpr4
.LBB102_543:
	s_mov_b64 s[4:5], 0
.LBB102_544:
	s_and_b64 vcc, exec, s[4:5]
	s_cbranch_vccz .LBB102_562
; %bb.545:
	s_cmp_lt_i32 s39, 27
	s_cbranch_scc1 .LBB102_548
; %bb.546:
	s_cmp_gt_i32 s39, 27
	s_cbranch_scc0 .LBB102_549
; %bb.547:
	global_load_dword v4, v[0:1], off
	s_mov_b64 s[2:3], 0
	s_waitcnt vmcnt(0)
	v_cvt_f32_u32_e32 v4, v4
	s_branch .LBB102_550
.LBB102_548:
	s_mov_b64 s[2:3], -1
                                        ; implicit-def: $vgpr4
	s_branch .LBB102_553
.LBB102_549:
	s_mov_b64 s[2:3], -1
                                        ; implicit-def: $vgpr4
.LBB102_550:
	s_andn2_b64 vcc, exec, s[2:3]
	s_cbranch_vccnz .LBB102_552
; %bb.551:
	global_load_ushort v4, v[0:1], off
	s_waitcnt vmcnt(0)
	v_cvt_f32_u32_e32 v4, v4
.LBB102_552:
	s_mov_b64 s[2:3], 0
.LBB102_553:
	s_andn2_b64 vcc, exec, s[2:3]
	s_cbranch_vccnz .LBB102_561
; %bb.554:
	global_load_ubyte v5, v[0:1], off
	s_movk_i32 s2, 0x7f
	s_waitcnt vmcnt(0)
	v_cmp_lt_i16_e32 vcc, s2, v5
	s_mov_b64 s[2:3], 0
	s_and_saveexec_b64 s[4:5], vcc
	s_xor_b64 s[4:5], exec, s[4:5]
	s_cbranch_execz .LBB102_575
; %bb.555:
	s_movk_i32 s2, 0x80
	v_cmp_eq_u16_e32 vcc, s2, v5
	s_mov_b64 s[2:3], -1
	s_and_saveexec_b64 s[34:35], vcc
; %bb.556:
	s_xor_b64 s[2:3], exec, -1
; %bb.557:
	s_or_b64 exec, exec, s[34:35]
	s_and_b64 s[2:3], s[2:3], exec
	s_or_saveexec_b64 s[4:5], s[4:5]
	v_mov_b32_e32 v4, 0x7f800001
	s_xor_b64 exec, exec, s[4:5]
	s_cbranch_execnz .LBB102_576
.LBB102_558:
	s_or_b64 exec, exec, s[4:5]
	s_and_saveexec_b64 s[4:5], s[2:3]
	s_cbranch_execz .LBB102_560
.LBB102_559:
	v_lshlrev_b32_e32 v4, 24, v5
	v_and_b32_e32 v5, 0xffff, v5
	v_and_b32_e32 v6, 7, v5
	v_ffbh_u32_e32 v8, v6
	v_min_u32_e32 v8, 32, v8
	v_subrev_u32_e32 v9, 28, v8
	v_bfe_u32 v7, v5, 3, 4
	v_lshlrev_b32_e32 v5, v9, v5
	v_sub_u32_e32 v8, 29, v8
	v_and_b32_e32 v5, 7, v5
	v_cmp_eq_u32_e32 vcc, 0, v7
	v_cndmask_b32_e32 v7, v7, v8, vcc
	v_cndmask_b32_e32 v5, v6, v5, vcc
	v_mov_b32_e32 v6, 0x3b800000
	v_lshlrev_b32_e32 v5, 20, v5
	v_and_b32_e32 v4, 0x80000000, v4
	v_lshl_add_u32 v6, v7, 23, v6
	v_or3_b32 v4, v4, v6, v5
.LBB102_560:
	s_or_b64 exec, exec, s[4:5]
.LBB102_561:
	s_mov_b64 s[2:3], -1
.LBB102_562:
	s_mov_b64 s[4:5], 0
.LBB102_563:
	s_and_b64 vcc, exec, s[4:5]
	s_cbranch_vccz .LBB102_598
; %bb.564:
	s_cmp_gt_i32 s39, 22
	s_cbranch_scc0 .LBB102_574
; %bb.565:
	s_cmp_lt_i32 s39, 24
	s_cbranch_scc1 .LBB102_577
; %bb.566:
	s_cmp_gt_i32 s39, 24
	s_cbranch_scc0 .LBB102_578
; %bb.567:
	global_load_ubyte v5, v[0:1], off
	s_movk_i32 s2, 0x7f
	s_waitcnt vmcnt(0)
	v_cmp_lt_i16_e32 vcc, s2, v5
	s_mov_b64 s[2:3], 0
	s_and_saveexec_b64 s[4:5], vcc
	s_xor_b64 s[4:5], exec, s[4:5]
	s_cbranch_execz .LBB102_590
; %bb.568:
	s_movk_i32 s2, 0x80
	v_cmp_eq_u16_e32 vcc, s2, v5
	s_mov_b64 s[2:3], -1
	s_and_saveexec_b64 s[34:35], vcc
; %bb.569:
	s_xor_b64 s[2:3], exec, -1
; %bb.570:
	s_or_b64 exec, exec, s[34:35]
	s_and_b64 s[2:3], s[2:3], exec
	s_or_saveexec_b64 s[4:5], s[4:5]
	v_mov_b32_e32 v4, 0x7f800001
	s_xor_b64 exec, exec, s[4:5]
	s_cbranch_execnz .LBB102_591
.LBB102_571:
	s_or_b64 exec, exec, s[4:5]
	s_and_saveexec_b64 s[4:5], s[2:3]
	s_cbranch_execz .LBB102_573
.LBB102_572:
	v_lshlrev_b32_e32 v4, 24, v5
	v_and_b32_e32 v5, 0xffff, v5
	v_and_b32_e32 v6, 3, v5
	v_ffbh_u32_e32 v8, v6
	v_min_u32_e32 v8, 32, v8
	v_subrev_u32_e32 v9, 29, v8
	v_bfe_u32 v7, v5, 2, 5
	v_lshlrev_b32_e32 v5, v9, v5
	v_sub_u32_e32 v8, 30, v8
	v_and_b32_e32 v5, 3, v5
	v_cmp_eq_u32_e32 vcc, 0, v7
	v_cndmask_b32_e32 v7, v7, v8, vcc
	v_cndmask_b32_e32 v5, v6, v5, vcc
	v_mov_b32_e32 v6, 0x37800000
	v_lshlrev_b32_e32 v5, 21, v5
	v_and_b32_e32 v4, 0x80000000, v4
	v_lshl_add_u32 v6, v7, 23, v6
	v_or3_b32 v4, v4, v6, v5
.LBB102_573:
	s_or_b64 exec, exec, s[4:5]
	s_mov_b64 s[2:3], 0
	s_branch .LBB102_579
.LBB102_574:
	s_mov_b64 s[4:5], -1
                                        ; implicit-def: $vgpr4
	s_branch .LBB102_585
.LBB102_575:
	s_or_saveexec_b64 s[4:5], s[4:5]
	v_mov_b32_e32 v4, 0x7f800001
	s_xor_b64 exec, exec, s[4:5]
	s_cbranch_execz .LBB102_558
.LBB102_576:
	v_cmp_ne_u16_e32 vcc, 0, v5
	s_andn2_b64 s[2:3], s[2:3], exec
	s_and_b64 s[34:35], vcc, exec
	v_mov_b32_e32 v4, 0
	s_or_b64 s[2:3], s[2:3], s[34:35]
	s_or_b64 exec, exec, s[4:5]
	s_and_saveexec_b64 s[4:5], s[2:3]
	s_cbranch_execnz .LBB102_559
	s_branch .LBB102_560
.LBB102_577:
	s_mov_b64 s[2:3], -1
                                        ; implicit-def: $vgpr4
	s_branch .LBB102_582
.LBB102_578:
	s_mov_b64 s[2:3], -1
                                        ; implicit-def: $vgpr4
.LBB102_579:
	s_and_b64 vcc, exec, s[2:3]
	s_cbranch_vccz .LBB102_581
; %bb.580:
	global_load_ubyte v4, v[0:1], off
	s_mov_b32 s2, 0x7f800000
	s_waitcnt vmcnt(0)
	v_lshlrev_b32_e32 v4, 24, v4
	v_and_b32_e32 v5, 0x7f000000, v4
	v_ffbh_u32_e32 v6, v5
	v_min_u32_e32 v6, 32, v6
	v_sub_u32_e64 v6, v6, 4 clamp
	v_lshlrev_b32_e32 v8, v6, v5
	v_lshlrev_b32_e32 v6, 23, v6
	v_lshrrev_b32_e32 v8, 4, v8
	v_add_u32_e32 v7, 0x1000000, v5
	v_sub_u32_e32 v6, v8, v6
	v_ashrrev_i32_e32 v7, 8, v7
	v_add_u32_e32 v6, 0x3c000000, v6
	v_and_or_b32 v6, v7, s2, v6
	v_cmp_ne_u32_e32 vcc, 0, v5
	v_cndmask_b32_e32 v5, 0, v6, vcc
	s_brev_b32 s2, 1
	v_and_or_b32 v4, v4, s2, v5
.LBB102_581:
	s_mov_b64 s[2:3], 0
.LBB102_582:
	s_andn2_b64 vcc, exec, s[2:3]
	s_cbranch_vccnz .LBB102_584
; %bb.583:
	global_load_ubyte v4, v[0:1], off
	s_movk_i32 s2, 0x7f00
	s_brev_b32 s3, 16
	s_waitcnt vmcnt(0)
	v_lshlrev_b16_e32 v5, 8, v4
	v_lshlrev_b32_e32 v4, 25, v4
	v_lshrrev_b32_e32 v6, 4, v4
	v_and_or_b32 v7, v5, s2, 0.5
	v_or_b32_e32 v6, 0x70000000, v6
	v_add_f32_e32 v7, -0.5, v7
	v_mul_f32_e32 v6, 0x7800000, v6
	v_cmp_gt_u32_e32 vcc, s3, v4
	v_bfe_i32 v5, v5, 0, 16
	v_cndmask_b32_e32 v4, v6, v7, vcc
	s_brev_b32 s2, 1
	v_and_or_b32 v4, v5, s2, v4
.LBB102_584:
	s_mov_b64 s[4:5], 0
	s_mov_b64 s[2:3], -1
.LBB102_585:
	s_andn2_b64 vcc, exec, s[4:5]
	s_cbranch_vccnz .LBB102_598
; %bb.586:
	s_cmp_gt_i32 s39, 14
	s_cbranch_scc0 .LBB102_589
; %bb.587:
	s_cmp_eq_u32 s39, 15
	s_cbranch_scc0 .LBB102_592
; %bb.588:
	global_load_ushort v4, v[0:1], off
	s_mov_b64 s[2:3], -1
	s_mov_b64 s[30:31], 0
	s_waitcnt vmcnt(0)
	v_lshlrev_b32_e32 v4, 16, v4
	s_branch .LBB102_593
.LBB102_589:
	s_mov_b64 s[4:5], -1
                                        ; implicit-def: $vgpr4
	s_branch .LBB102_594
.LBB102_590:
	s_or_saveexec_b64 s[4:5], s[4:5]
	v_mov_b32_e32 v4, 0x7f800001
	s_xor_b64 exec, exec, s[4:5]
	s_cbranch_execz .LBB102_571
.LBB102_591:
	v_cmp_ne_u16_e32 vcc, 0, v5
	s_andn2_b64 s[2:3], s[2:3], exec
	s_and_b64 s[34:35], vcc, exec
	v_mov_b32_e32 v4, 0
	s_or_b64 s[2:3], s[2:3], s[34:35]
	s_or_b64 exec, exec, s[4:5]
	s_and_saveexec_b64 s[4:5], s[2:3]
	s_cbranch_execnz .LBB102_572
	s_branch .LBB102_573
.LBB102_592:
	s_mov_b64 s[30:31], -1
                                        ; implicit-def: $vgpr4
.LBB102_593:
	s_mov_b64 s[4:5], 0
.LBB102_594:
	s_and_b64 vcc, exec, s[4:5]
	s_cbranch_vccz .LBB102_598
; %bb.595:
	s_cmp_eq_u32 s39, 11
	s_cbranch_scc0 .LBB102_597
; %bb.596:
	global_load_ubyte v4, v[0:1], off
	s_mov_b64 s[2:3], -1
	s_mov_b64 s[30:31], 0
	s_waitcnt vmcnt(0)
	v_cmp_ne_u16_e32 vcc, 0, v4
	v_cndmask_b32_e64 v4, 0, 1.0, vcc
	s_branch .LBB102_598
.LBB102_597:
	s_mov_b64 s[30:31], -1
                                        ; implicit-def: $vgpr4
.LBB102_598:
	s_mov_b64 s[4:5], 0
.LBB102_599:
	s_and_b64 vcc, exec, s[4:5]
	s_cbranch_vccz .LBB102_648
; %bb.600:
	s_and_b32 s4, 0xffff, s38
	s_cmp_lt_i32 s4, 5
	s_cbranch_scc1 .LBB102_605
; %bb.601:
	s_cmp_lt_i32 s4, 8
	s_cbranch_scc1 .LBB102_606
; %bb.602:
	;; [unrolled: 3-line block ×3, first 2 shown]
	s_cmp_gt_i32 s4, 9
	s_cbranch_scc0 .LBB102_608
; %bb.604:
	global_load_dwordx2 v[4:5], v[0:1], off
	s_mov_b64 s[2:3], 0
	s_waitcnt vmcnt(0)
	v_cvt_f32_f64_e32 v4, v[4:5]
	s_branch .LBB102_609
.LBB102_605:
	s_mov_b64 s[2:3], -1
                                        ; implicit-def: $vgpr4
	s_branch .LBB102_627
.LBB102_606:
	s_mov_b64 s[2:3], -1
                                        ; implicit-def: $vgpr4
	s_branch .LBB102_615
.LBB102_607:
	s_mov_b64 s[2:3], -1
                                        ; implicit-def: $vgpr4
	s_branch .LBB102_612
.LBB102_608:
	s_mov_b64 s[2:3], -1
                                        ; implicit-def: $vgpr4
.LBB102_609:
	s_andn2_b64 vcc, exec, s[2:3]
	s_cbranch_vccnz .LBB102_611
; %bb.610:
	global_load_dword v4, v[0:1], off
.LBB102_611:
	s_mov_b64 s[2:3], 0
.LBB102_612:
	s_andn2_b64 vcc, exec, s[2:3]
	s_cbranch_vccnz .LBB102_614
; %bb.613:
	global_load_dword v4, v[0:1], off
	s_waitcnt vmcnt(0)
	v_cvt_f32_f16_e32 v4, v4
.LBB102_614:
	s_mov_b64 s[2:3], 0
.LBB102_615:
	s_andn2_b64 vcc, exec, s[2:3]
	s_cbranch_vccnz .LBB102_626
; %bb.616:
	s_cmp_lt_i32 s4, 6
	s_cbranch_scc1 .LBB102_619
; %bb.617:
	s_cmp_gt_i32 s4, 6
	s_cbranch_scc0 .LBB102_620
; %bb.618:
	global_load_dwordx2 v[4:5], v[0:1], off
	s_mov_b64 s[2:3], 0
	s_waitcnt vmcnt(0)
	v_cvt_f32_f64_e32 v4, v[4:5]
	s_branch .LBB102_621
.LBB102_619:
	s_mov_b64 s[2:3], -1
                                        ; implicit-def: $vgpr4
	s_branch .LBB102_624
.LBB102_620:
	s_mov_b64 s[2:3], -1
                                        ; implicit-def: $vgpr4
.LBB102_621:
	s_andn2_b64 vcc, exec, s[2:3]
	s_cbranch_vccnz .LBB102_623
; %bb.622:
	global_load_dword v4, v[0:1], off
.LBB102_623:
	s_mov_b64 s[2:3], 0
.LBB102_624:
	s_andn2_b64 vcc, exec, s[2:3]
	s_cbranch_vccnz .LBB102_626
; %bb.625:
	global_load_ushort v4, v[0:1], off
	s_waitcnt vmcnt(0)
	v_cvt_f32_f16_e32 v4, v4
.LBB102_626:
	s_mov_b64 s[2:3], 0
.LBB102_627:
	s_andn2_b64 vcc, exec, s[2:3]
	s_cbranch_vccnz .LBB102_647
; %bb.628:
	s_cmp_lt_i32 s4, 2
	s_cbranch_scc1 .LBB102_632
; %bb.629:
	s_cmp_lt_i32 s4, 3
	s_cbranch_scc1 .LBB102_633
; %bb.630:
	s_cmp_gt_i32 s4, 3
	s_cbranch_scc0 .LBB102_634
; %bb.631:
	global_load_dwordx2 v[4:5], v[0:1], off
	s_mov_b64 s[2:3], 0
	s_waitcnt vmcnt(0)
	v_xor_b32_e32 v7, v4, v5
	v_ffbh_i32_e32 v6, v5
	v_ashrrev_i32_e32 v7, 31, v7
	v_add_u32_e32 v6, -1, v6
	v_add_u32_e32 v7, 32, v7
	v_min_u32_e32 v6, v6, v7
	v_lshlrev_b64 v[4:5], v6, v[4:5]
	v_min_u32_e32 v4, 1, v4
	v_or_b32_e32 v4, v5, v4
	v_cvt_f32_i32_e32 v4, v4
	v_sub_u32_e32 v5, 32, v6
	v_ldexp_f32 v4, v4, v5
	s_branch .LBB102_635
.LBB102_632:
	s_mov_b64 s[2:3], -1
                                        ; implicit-def: $vgpr4
	s_branch .LBB102_641
.LBB102_633:
	s_mov_b64 s[2:3], -1
                                        ; implicit-def: $vgpr4
	s_branch .LBB102_638
.LBB102_634:
	s_mov_b64 s[2:3], -1
                                        ; implicit-def: $vgpr4
.LBB102_635:
	s_andn2_b64 vcc, exec, s[2:3]
	s_cbranch_vccnz .LBB102_637
; %bb.636:
	global_load_dword v4, v[0:1], off
	s_waitcnt vmcnt(0)
	v_cvt_f32_i32_e32 v4, v4
.LBB102_637:
	s_mov_b64 s[2:3], 0
.LBB102_638:
	s_andn2_b64 vcc, exec, s[2:3]
	s_cbranch_vccnz .LBB102_640
; %bb.639:
	global_load_sshort v4, v[0:1], off
	s_waitcnt vmcnt(0)
	v_cvt_f32_i32_e32 v4, v4
.LBB102_640:
	s_mov_b64 s[2:3], 0
.LBB102_641:
	s_andn2_b64 vcc, exec, s[2:3]
	s_cbranch_vccnz .LBB102_647
; %bb.642:
	s_cmp_gt_i32 s4, 0
	s_cbranch_scc0 .LBB102_644
; %bb.643:
	global_load_sbyte v4, v[0:1], off
	s_mov_b64 s[2:3], 0
	s_waitcnt vmcnt(0)
	v_cvt_f32_i32_e32 v4, v4
	s_branch .LBB102_645
.LBB102_644:
	s_mov_b64 s[2:3], -1
                                        ; implicit-def: $vgpr4
.LBB102_645:
	s_andn2_b64 vcc, exec, s[2:3]
	s_cbranch_vccnz .LBB102_647
; %bb.646:
	global_load_ubyte v0, v[0:1], off
	s_waitcnt vmcnt(0)
	v_cvt_f32_ubyte0_e32 v4, v0
.LBB102_647:
	s_mov_b64 s[2:3], -1
.LBB102_648:
	s_andn2_b64 vcc, exec, s[2:3]
	s_cbranch_vccnz .LBB102_656
; %bb.649:
	s_waitcnt vmcnt(0)
	v_cmp_eq_f32_e32 vcc, v3, v4
	v_cndmask_b32_e64 v0, 0, 1, vcc
	v_cmp_neq_f32_e32 vcc, v3, v4
	v_mul_lo_u32 v3, v2, s12
	v_cndmask_b32_e64 v1, 0, 1, vcc
	v_cndmask_b32_e64 v0, v1, v0, s[0:1]
	v_and_b32_e32 v0, 1, v0
	v_cmp_eq_u32_e64 s[2:3], 1, v0
	v_ashrrev_i32_e32 v1, 31, v3
	v_mov_b32_e32 v4, s9
	s_and_b32 s42, s33, 0xff
	v_add_co_u32_e32 v0, vcc, s8, v3
	s_cmp_lt_i32 s42, 11
	v_addc_co_u32_e32 v1, vcc, v4, v1, vcc
	s_cbranch_scc1 .LBB102_657
; %bb.650:
	s_and_b32 s43, 0xffff, s42
	s_cmp_gt_i32 s43, 25
	s_cbranch_scc0 .LBB102_658
; %bb.651:
	s_cmp_gt_i32 s43, 28
	s_cbranch_scc0 .LBB102_659
; %bb.652:
	;; [unrolled: 3-line block ×4, first 2 shown]
	s_mov_b64 s[38:39], 0
	s_mov_b64 s[4:5], -1
	s_cmp_eq_u32 s43, 46
	s_mov_b64 s[34:35], 0
	s_cbranch_scc0 .LBB102_662
; %bb.655:
	v_cndmask_b32_e64 v3, 0, 1.0, s[2:3]
	v_bfe_u32 v4, v3, 16, 1
	s_movk_i32 s4, 0x7fff
	v_add3_u32 v3, v3, v4, s4
	v_lshrrev_b32_e32 v3, 16, v3
	global_store_dword v[0:1], v3, off
	s_mov_b64 s[34:35], -1
	s_mov_b64 s[4:5], 0
	s_branch .LBB102_662
.LBB102_656:
	s_mov_b64 s[2:3], 0
                                        ; implicit-def: $vgpr2
	s_mov_b64 s[4:5], s[20:21]
	s_branch .LBB102_772
.LBB102_657:
	s_mov_b64 s[38:39], -1
	s_mov_b64 s[34:35], 0
	s_mov_b64 s[4:5], s[20:21]
	s_branch .LBB102_731
.LBB102_658:
	s_mov_b64 s[38:39], -1
	s_mov_b64 s[34:35], 0
	s_mov_b64 s[4:5], s[20:21]
	s_branch .LBB102_689
.LBB102_659:
	s_mov_b64 s[38:39], -1
	s_mov_b64 s[34:35], 0
	s_mov_b64 s[4:5], s[20:21]
	s_branch .LBB102_672
.LBB102_660:
	s_mov_b64 s[38:39], -1
	s_mov_b64 s[34:35], 0
	s_mov_b64 s[4:5], s[20:21]
	s_branch .LBB102_668
.LBB102_661:
	s_mov_b64 s[38:39], -1
	s_mov_b64 s[34:35], 0
	s_mov_b64 s[4:5], s[20:21]
.LBB102_662:
	s_and_b64 vcc, exec, s[38:39]
	s_cbranch_vccz .LBB102_667
; %bb.663:
	s_cmp_eq_u32 s43, 44
	s_mov_b64 s[4:5], -1
	s_cbranch_scc0 .LBB102_667
; %bb.664:
	v_cndmask_b32_e64 v4, 0, 1.0, s[2:3]
	v_lshrrev_b32_e32 v3, 23, v4
	s_movk_i32 s4, 0xff
	v_cmp_ne_u32_e32 vcc, s4, v3
	v_mov_b32_e32 v5, 0xff
	s_and_saveexec_b64 s[34:35], vcc
; %bb.665:
	s_mov_b32 s4, 0x3fffff
	v_and_b32_e32 v5, 0x400000, v4
	v_and_or_b32 v4, v4, s4, v3
	v_cmp_ne_u32_e32 vcc, 0, v5
	v_cmp_ne_u32_e64 s[4:5], 0, v4
	s_and_b64 s[4:5], vcc, s[4:5]
	v_cndmask_b32_e64 v4, 0, 1, s[4:5]
	v_add_u32_e32 v5, v3, v4
; %bb.666:
	s_or_b64 exec, exec, s[34:35]
	s_mov_b64 s[34:35], -1
	s_mov_b64 s[4:5], 0
	global_store_byte v[0:1], v5, off
.LBB102_667:
	s_mov_b64 s[38:39], 0
.LBB102_668:
	s_and_b64 vcc, exec, s[38:39]
	s_cbranch_vccz .LBB102_671
; %bb.669:
	s_cmp_eq_u32 s43, 29
	s_mov_b64 s[4:5], -1
	s_cbranch_scc0 .LBB102_671
; %bb.670:
	s_mov_b32 s4, 0
	v_cndmask_b32_e64 v3, 0, 1, s[2:3]
	v_mov_b32_e32 v4, s4
	global_store_dwordx2 v[0:1], v[3:4], off
	s_mov_b64 s[34:35], -1
	s_mov_b64 s[4:5], 0
.LBB102_671:
	s_mov_b64 s[38:39], 0
.LBB102_672:
	s_and_b64 vcc, exec, s[38:39]
	s_cbranch_vccz .LBB102_688
; %bb.673:
	s_cmp_lt_i32 s43, 27
	s_mov_b64 s[34:35], -1
	s_cbranch_scc1 .LBB102_679
; %bb.674:
	s_cmp_gt_i32 s43, 27
	s_cbranch_scc0 .LBB102_676
; %bb.675:
	v_cndmask_b32_e64 v3, 0, 1, s[2:3]
	s_mov_b64 s[34:35], 0
	global_store_dword v[0:1], v3, off
.LBB102_676:
	s_andn2_b64 vcc, exec, s[34:35]
	s_cbranch_vccnz .LBB102_678
; %bb.677:
	v_cndmask_b32_e64 v3, 0, 1, s[2:3]
	global_store_short v[0:1], v3, off
.LBB102_678:
	s_mov_b64 s[34:35], 0
.LBB102_679:
	s_andn2_b64 vcc, exec, s[34:35]
	s_cbranch_vccnz .LBB102_687
; %bb.680:
	v_cndmask_b32_e64 v4, 0, 1.0, s[2:3]
	s_mov_b32 s34, 0x43800000
	v_cmp_gt_u32_e32 vcc, s34, v4
	v_mov_b32_e32 v5, 0x80
	s_and_saveexec_b64 s[34:35], vcc
	s_cbranch_execz .LBB102_686
; %bb.681:
	s_mov_b32 s38, 0x3bffffff
	v_cmp_lt_u32_e32 vcc, s38, v4
	s_mov_b64 s[38:39], 0
                                        ; implicit-def: $vgpr3
	s_and_saveexec_b64 s[40:41], vcc
	s_xor_b64 s[40:41], exec, s[40:41]
	s_cbranch_execz .LBB102_788
; %bb.682:
	v_bfe_u32 v3, v4, 20, 1
	s_mov_b32 s44, 0x487ffff
	v_add3_u32 v3, v4, v3, s44
	s_mov_b64 s[38:39], exec
	v_lshrrev_b32_e32 v3, 20, v3
                                        ; implicit-def: $vgpr4
	s_andn2_saveexec_b64 s[40:41], s[40:41]
	s_cbranch_execnz .LBB102_789
.LBB102_683:
	s_or_b64 exec, exec, s[40:41]
	v_mov_b32_e32 v5, 0
	s_and_saveexec_b64 s[40:41], s[38:39]
.LBB102_684:
	v_mov_b32_e32 v5, v3
.LBB102_685:
	s_or_b64 exec, exec, s[40:41]
.LBB102_686:
	s_or_b64 exec, exec, s[34:35]
	global_store_byte v[0:1], v5, off
.LBB102_687:
	s_mov_b64 s[34:35], -1
.LBB102_688:
	s_mov_b64 s[38:39], 0
.LBB102_689:
	s_and_b64 vcc, exec, s[38:39]
	s_cbranch_vccz .LBB102_730
; %bb.690:
	s_cmp_gt_i32 s43, 22
	s_mov_b64 s[38:39], -1
	s_cbranch_scc0 .LBB102_722
; %bb.691:
	s_cmp_lt_i32 s43, 24
	s_mov_b64 s[34:35], -1
	s_cbranch_scc1 .LBB102_711
; %bb.692:
	s_cmp_gt_i32 s43, 24
	s_cbranch_scc0 .LBB102_700
; %bb.693:
	v_cndmask_b32_e64 v4, 0, 1.0, s[2:3]
	s_mov_b32 s34, 0x47800000
	v_cmp_gt_u32_e32 vcc, s34, v4
	v_mov_b32_e32 v5, 0x80
	s_and_saveexec_b64 s[34:35], vcc
	s_cbranch_execz .LBB102_699
; %bb.694:
	s_mov_b32 s38, 0x37ffffff
	v_cmp_lt_u32_e32 vcc, s38, v4
	s_mov_b64 s[38:39], 0
                                        ; implicit-def: $vgpr3
	s_and_saveexec_b64 s[40:41], vcc
	s_xor_b64 s[40:41], exec, s[40:41]
	s_cbranch_execz .LBB102_920
; %bb.695:
	v_bfe_u32 v3, v4, 21, 1
	s_mov_b32 s44, 0x88fffff
	v_add3_u32 v3, v4, v3, s44
	s_mov_b64 s[38:39], exec
	v_lshrrev_b32_e32 v3, 21, v3
                                        ; implicit-def: $vgpr4
	s_andn2_saveexec_b64 s[40:41], s[40:41]
	s_cbranch_execnz .LBB102_921
.LBB102_696:
	s_or_b64 exec, exec, s[40:41]
	v_mov_b32_e32 v5, 0
	s_and_saveexec_b64 s[40:41], s[38:39]
.LBB102_697:
	v_mov_b32_e32 v5, v3
.LBB102_698:
	s_or_b64 exec, exec, s[40:41]
.LBB102_699:
	s_or_b64 exec, exec, s[34:35]
	s_mov_b64 s[34:35], 0
	global_store_byte v[0:1], v5, off
.LBB102_700:
	s_and_b64 vcc, exec, s[34:35]
	s_cbranch_vccz .LBB102_710
; %bb.701:
	v_cndmask_b32_e64 v3, 0, 1.0, s[2:3]
	s_mov_b32 s34, 0x43f00000
	v_cmp_gt_u32_e32 vcc, s34, v3
                                        ; implicit-def: $vgpr4
	s_and_saveexec_b64 s[34:35], vcc
	s_xor_b64 s[34:35], exec, s[34:35]
	s_cbranch_execz .LBB102_707
; %bb.702:
	s_mov_b32 s38, 0x3c7fffff
	v_cmp_lt_u32_e32 vcc, s38, v3
                                        ; implicit-def: $vgpr4
	s_and_saveexec_b64 s[38:39], vcc
	s_xor_b64 s[38:39], exec, s[38:39]
; %bb.703:
	v_bfe_u32 v4, v3, 20, 1
	s_mov_b32 s40, 0x407ffff
	v_add3_u32 v3, v3, v4, s40
	v_lshrrev_b32_e32 v4, 20, v3
	v_and_b32_e32 v3, 0xff00000, v3
	s_mov_b32 s40, 0x7f00000
	v_mov_b32_e32 v5, 0x7e
	v_cmp_ne_u32_e32 vcc, s40, v3
	v_cndmask_b32_e32 v4, v5, v4, vcc
                                        ; implicit-def: $vgpr3
; %bb.704:
	s_andn2_saveexec_b64 s[38:39], s[38:39]
; %bb.705:
	v_add_f32_e32 v4, 0x46800000, v3
; %bb.706:
	s_or_b64 exec, exec, s[38:39]
                                        ; implicit-def: $vgpr3
.LBB102_707:
	s_andn2_saveexec_b64 s[34:35], s[34:35]
; %bb.708:
	s_mov_b32 s38, 0x7f800000
	v_mov_b32_e32 v4, 0x7e
	v_mov_b32_e32 v5, 0x7f
	v_cmp_lt_u32_e32 vcc, s38, v3
	v_cndmask_b32_e32 v4, v4, v5, vcc
; %bb.709:
	s_or_b64 exec, exec, s[34:35]
	global_store_byte v[0:1], v4, off
.LBB102_710:
	s_mov_b64 s[34:35], 0
.LBB102_711:
	s_andn2_b64 vcc, exec, s[34:35]
	s_cbranch_vccnz .LBB102_721
; %bb.712:
	v_cndmask_b32_e64 v3, 0, 1.0, s[2:3]
	s_mov_b32 s34, 0x47800000
	v_cmp_gt_u32_e32 vcc, s34, v3
                                        ; implicit-def: $vgpr4
	s_and_saveexec_b64 s[34:35], vcc
	s_xor_b64 s[34:35], exec, s[34:35]
	s_cbranch_execz .LBB102_718
; %bb.713:
	s_mov_b32 s38, 0x387fffff
	v_cmp_lt_u32_e32 vcc, s38, v3
                                        ; implicit-def: $vgpr4
	s_and_saveexec_b64 s[38:39], vcc
	s_xor_b64 s[38:39], exec, s[38:39]
; %bb.714:
	v_bfe_u32 v4, v3, 21, 1
	s_mov_b32 s40, 0x80fffff
	v_add3_u32 v3, v3, v4, s40
	v_lshrrev_b32_e32 v4, 21, v3
                                        ; implicit-def: $vgpr3
; %bb.715:
	s_andn2_saveexec_b64 s[38:39], s[38:39]
; %bb.716:
	v_add_f32_e32 v4, 0x43000000, v3
; %bb.717:
	s_or_b64 exec, exec, s[38:39]
                                        ; implicit-def: $vgpr3
.LBB102_718:
	s_andn2_saveexec_b64 s[34:35], s[34:35]
; %bb.719:
	s_mov_b32 s38, 0x7f800000
	v_mov_b32_e32 v4, 0x7c
	v_mov_b32_e32 v5, 0x7f
	v_cmp_lt_u32_e32 vcc, s38, v3
	v_cndmask_b32_e32 v4, v4, v5, vcc
; %bb.720:
	s_or_b64 exec, exec, s[34:35]
	global_store_byte v[0:1], v4, off
.LBB102_721:
	s_mov_b64 s[38:39], 0
	s_mov_b64 s[34:35], -1
.LBB102_722:
	s_andn2_b64 vcc, exec, s[38:39]
	s_cbranch_vccnz .LBB102_730
; %bb.723:
	s_cmp_gt_i32 s43, 14
	s_mov_b64 s[38:39], -1
	s_cbranch_scc0 .LBB102_727
; %bb.724:
	s_cmp_eq_u32 s43, 15
	s_mov_b64 s[4:5], -1
	s_cbranch_scc0 .LBB102_726
; %bb.725:
	v_cndmask_b32_e64 v3, 0, 1.0, s[2:3]
	v_bfe_u32 v4, v3, 16, 1
	s_movk_i32 s4, 0x7fff
	v_add3_u32 v3, v3, v4, s4
	global_store_short_d16_hi v[0:1], v3, off
	s_mov_b64 s[34:35], -1
	s_mov_b64 s[4:5], 0
.LBB102_726:
	s_mov_b64 s[38:39], 0
.LBB102_727:
	s_and_b64 vcc, exec, s[38:39]
	s_cbranch_vccz .LBB102_730
; %bb.728:
	s_cmp_eq_u32 s43, 11
	s_mov_b64 s[4:5], -1
	s_cbranch_scc0 .LBB102_730
; %bb.729:
	v_cndmask_b32_e64 v3, 0, 1, s[2:3]
	s_mov_b64 s[34:35], -1
	s_mov_b64 s[4:5], 0
	global_store_byte v[0:1], v3, off
.LBB102_730:
	s_mov_b64 s[38:39], 0
.LBB102_731:
	s_and_b64 vcc, exec, s[38:39]
	s_cbranch_vccz .LBB102_770
; %bb.732:
	s_and_b32 s38, 0xffff, s42
	s_cmp_lt_i32 s38, 5
	s_mov_b64 s[34:35], -1
	s_cbranch_scc1 .LBB102_753
; %bb.733:
	s_cmp_lt_i32 s38, 8
	s_cbranch_scc1 .LBB102_743
; %bb.734:
	s_cmp_lt_i32 s38, 9
	s_cbranch_scc1 .LBB102_740
; %bb.735:
	s_cmp_gt_i32 s38, 9
	s_cbranch_scc0 .LBB102_737
; %bb.736:
	v_cndmask_b32_e64 v3, 0, 1, s[2:3]
	v_cvt_f64_u32_e32 v[3:4], v3
	v_mov_b32_e32 v5, 0
	v_mov_b32_e32 v6, v5
	s_mov_b64 s[34:35], 0
	global_store_dwordx4 v[0:1], v[3:6], off
.LBB102_737:
	s_andn2_b64 vcc, exec, s[34:35]
	s_cbranch_vccnz .LBB102_739
; %bb.738:
	v_cndmask_b32_e64 v3, 0, 1.0, s[2:3]
	v_mov_b32_e32 v4, 0
	global_store_dwordx2 v[0:1], v[3:4], off
.LBB102_739:
	s_mov_b64 s[34:35], 0
.LBB102_740:
	s_andn2_b64 vcc, exec, s[34:35]
	s_cbranch_vccnz .LBB102_742
; %bb.741:
	v_cndmask_b32_e64 v3, 0, 1.0, s[2:3]
	v_cvt_f16_f32_e32 v3, v3
	global_store_dword v[0:1], v3, off
.LBB102_742:
	s_mov_b64 s[34:35], 0
.LBB102_743:
	s_andn2_b64 vcc, exec, s[34:35]
	s_cbranch_vccnz .LBB102_752
; %bb.744:
	s_cmp_lt_i32 s38, 6
	s_mov_b64 s[34:35], -1
	s_cbranch_scc1 .LBB102_750
; %bb.745:
	s_cmp_gt_i32 s38, 6
	s_cbranch_scc0 .LBB102_747
; %bb.746:
	v_cndmask_b32_e64 v3, 0, 1, s[2:3]
	v_cvt_f64_u32_e32 v[3:4], v3
	s_mov_b64 s[34:35], 0
	global_store_dwordx2 v[0:1], v[3:4], off
.LBB102_747:
	s_andn2_b64 vcc, exec, s[34:35]
	s_cbranch_vccnz .LBB102_749
; %bb.748:
	v_cndmask_b32_e64 v3, 0, 1.0, s[2:3]
	global_store_dword v[0:1], v3, off
.LBB102_749:
	s_mov_b64 s[34:35], 0
.LBB102_750:
	s_andn2_b64 vcc, exec, s[34:35]
	s_cbranch_vccnz .LBB102_752
; %bb.751:
	v_cndmask_b32_e64 v3, 0, 1.0, s[2:3]
	v_cvt_f16_f32_e32 v3, v3
	global_store_short v[0:1], v3, off
.LBB102_752:
	s_mov_b64 s[34:35], 0
.LBB102_753:
	s_andn2_b64 vcc, exec, s[34:35]
	s_cbranch_vccnz .LBB102_769
; %bb.754:
	s_cmp_lt_i32 s38, 2
	s_mov_b64 s[34:35], -1
	s_cbranch_scc1 .LBB102_764
; %bb.755:
	s_cmp_lt_i32 s38, 3
	s_cbranch_scc1 .LBB102_761
; %bb.756:
	s_cmp_gt_i32 s38, 3
	s_cbranch_scc0 .LBB102_758
; %bb.757:
	s_mov_b32 s34, 0
	v_cndmask_b32_e64 v3, 0, 1, s[2:3]
	v_mov_b32_e32 v4, s34
	s_mov_b64 s[34:35], 0
	global_store_dwordx2 v[0:1], v[3:4], off
.LBB102_758:
	s_andn2_b64 vcc, exec, s[34:35]
	s_cbranch_vccnz .LBB102_760
; %bb.759:
	v_cndmask_b32_e64 v3, 0, 1, s[2:3]
	global_store_dword v[0:1], v3, off
.LBB102_760:
	s_mov_b64 s[34:35], 0
.LBB102_761:
	s_andn2_b64 vcc, exec, s[34:35]
	s_cbranch_vccnz .LBB102_763
; %bb.762:
	v_cndmask_b32_e64 v3, 0, 1, s[2:3]
	global_store_short v[0:1], v3, off
.LBB102_763:
	s_mov_b64 s[34:35], 0
.LBB102_764:
	s_andn2_b64 vcc, exec, s[34:35]
	s_cbranch_vccnz .LBB102_769
; %bb.765:
	s_mov_b64 s[34:35], -1
	s_cmp_gt_i32 s38, 0
	v_cndmask_b32_e64 v3, 0, 1, s[2:3]
	s_cbranch_scc0 .LBB102_767
; %bb.766:
	s_mov_b64 s[34:35], 0
	global_store_byte v[0:1], v3, off
.LBB102_767:
	s_andn2_b64 vcc, exec, s[34:35]
	s_cbranch_vccnz .LBB102_769
; %bb.768:
	global_store_byte v[0:1], v3, off
.LBB102_769:
	s_mov_b64 s[34:35], -1
.LBB102_770:
	s_andn2_b64 vcc, exec, s[34:35]
	s_cbranch_vccnz .LBB102_783
; %bb.771:
	v_add_u32_e32 v2, 0x80, v2
	s_mov_b64 s[2:3], -1
.LBB102_772:
	s_andn2_b64 s[34:35], s[20:21], exec
	s_and_b64 s[4:5], s[4:5], exec
	s_or_b64 s[34:35], s[34:35], s[4:5]
	s_andn2_b64 s[4:5], s[22:23], exec
	s_and_b64 s[30:31], s[30:31], exec
	s_or_b64 s[30:31], s[4:5], s[30:31]
	;; [unrolled: 3-line block ×3, first 2 shown]
	s_orn2_b64 s[2:3], s[2:3], exec
.LBB102_773:
	s_or_b64 exec, exec, s[36:37]
	s_mov_b64 s[4:5], 0
	s_mov_b64 s[38:39], 0
	;; [unrolled: 1-line block ×3, first 2 shown]
                                        ; implicit-def: $sgpr58
                                        ; implicit-def: $vgpr0_vgpr1
                                        ; implicit-def: $vgpr3
	s_and_saveexec_b64 s[36:37], s[2:3]
	s_cbranch_execz .LBB102_1247
; %bb.774:
	v_cmp_gt_i32_e32 vcc, s50, v2
	s_mov_b64 s[48:49], -1
	s_mov_b64 s[2:3], s[28:29]
	s_mov_b64 s[4:5], s[30:31]
	;; [unrolled: 1-line block ×3, first 2 shown]
	s_and_saveexec_b64 s[38:39], vcc
	s_cbranch_execz .LBB102_1162
; %bb.775:
	v_mul_lo_u32 v0, v2, s13
	v_mov_b32_e32 v1, s11
	s_and_b32 s44, s57, 0xff
	s_cmp_lt_i32 s44, 11
	s_waitcnt vmcnt(0)
	v_ashrrev_i32_e32 v3, 31, v0
	v_add_co_u32_e32 v0, vcc, s10, v0
	v_addc_co_u32_e32 v1, vcc, v1, v3, vcc
	s_cbranch_scc1 .LBB102_782
; %bb.776:
	s_and_b32 s45, 0xffff, s44
	s_cmp_gt_i32 s45, 25
	s_cbranch_scc0 .LBB102_784
; %bb.777:
	s_cmp_gt_i32 s45, 28
	s_cbranch_scc0 .LBB102_785
; %bb.778:
	;; [unrolled: 3-line block ×4, first 2 shown]
	s_cmp_eq_u32 s45, 46
	s_mov_b64 s[4:5], 0
	s_cbranch_scc0 .LBB102_790
; %bb.781:
	global_load_dword v3, v[0:1], off
	s_mov_b64 s[2:3], -1
	s_waitcnt vmcnt(0)
	v_lshlrev_b32_e32 v3, 16, v3
	s_branch .LBB102_791
.LBB102_782:
	s_mov_b64 s[4:5], -1
	s_mov_b64 s[2:3], 0
                                        ; implicit-def: $vgpr3
	s_mov_b64 s[40:41], s[28:29]
	s_branch .LBB102_856
.LBB102_783:
	s_mov_b64 s[2:3], 0
	s_branch .LBB102_530
.LBB102_784:
	s_mov_b64 s[4:5], -1
	s_mov_b64 s[2:3], 0
	s_mov_b64 s[40:41], s[28:29]
                                        ; implicit-def: $vgpr3
	s_branch .LBB102_820
.LBB102_785:
	s_mov_b64 s[4:5], -1
	s_mov_b64 s[2:3], 0
	s_mov_b64 s[40:41], s[28:29]
                                        ; implicit-def: $vgpr3
	s_branch .LBB102_801
.LBB102_786:
	s_mov_b64 s[4:5], -1
	s_mov_b64 s[2:3], 0
	s_mov_b64 s[40:41], s[28:29]
                                        ; implicit-def: $vgpr3
	s_branch .LBB102_796
.LBB102_787:
	s_mov_b64 s[4:5], -1
	s_mov_b64 s[2:3], 0
	s_mov_b64 s[40:41], s[28:29]
                                        ; implicit-def: $vgpr3
	s_branch .LBB102_791
.LBB102_788:
	s_andn2_saveexec_b64 s[40:41], s[40:41]
	s_cbranch_execz .LBB102_683
.LBB102_789:
	v_add_f32_e32 v3, 0x46000000, v4
	v_and_b32_e32 v3, 0xff, v3
	v_cmp_ne_u32_e32 vcc, 0, v3
	s_andn2_b64 s[38:39], s[38:39], exec
	s_and_b64 s[44:45], vcc, exec
	s_or_b64 s[38:39], s[38:39], s[44:45]
	s_or_b64 exec, exec, s[40:41]
	v_mov_b32_e32 v5, 0
	s_and_saveexec_b64 s[40:41], s[38:39]
	s_cbranch_execnz .LBB102_684
	s_branch .LBB102_685
.LBB102_790:
	s_mov_b64 s[40:41], -1
                                        ; implicit-def: $vgpr3
	s_mov_b64 s[2:3], 0
.LBB102_791:
	s_and_b64 vcc, exec, s[4:5]
	s_cbranch_vccz .LBB102_795
; %bb.792:
	s_cmp_eq_u32 s45, 44
	s_cbranch_scc0 .LBB102_794
; %bb.793:
	global_load_ubyte v3, v[0:1], off
	s_movk_i32 s4, 0xff
	v_mov_b32_e32 v4, 0x7f800001
	v_mov_b32_e32 v5, 0x400000
	s_mov_b64 s[2:3], -1
	s_mov_b64 s[40:41], 0
	s_waitcnt vmcnt(0)
	v_lshlrev_b32_e32 v6, 23, v3
	v_cmp_ne_u32_e32 vcc, s4, v3
	v_cndmask_b32_e32 v4, v4, v6, vcc
	v_cmp_ne_u32_e32 vcc, 0, v3
	v_cndmask_b32_e32 v3, v5, v4, vcc
	s_branch .LBB102_795
.LBB102_794:
	s_mov_b64 s[40:41], -1
                                        ; implicit-def: $vgpr3
.LBB102_795:
	s_mov_b64 s[4:5], 0
.LBB102_796:
	s_and_b64 vcc, exec, s[4:5]
	s_cbranch_vccz .LBB102_800
; %bb.797:
	s_cmp_eq_u32 s45, 29
	s_cbranch_scc0 .LBB102_799
; %bb.798:
	global_load_dwordx2 v[3:4], v[0:1], off
	s_mov_b64 s[2:3], -1
	s_mov_b64 s[40:41], 0
	s_mov_b64 s[4:5], 0
	s_waitcnt vmcnt(0)
	v_ffbh_u32_e32 v5, v4
	v_min_u32_e32 v5, 32, v5
	v_lshlrev_b64 v[3:4], v5, v[3:4]
	v_min_u32_e32 v3, 1, v3
	v_or_b32_e32 v3, v4, v3
	v_cvt_f32_u32_e32 v3, v3
	v_sub_u32_e32 v4, 32, v5
	v_ldexp_f32 v3, v3, v4
	s_branch .LBB102_801
.LBB102_799:
	s_mov_b64 s[40:41], -1
                                        ; implicit-def: $vgpr3
.LBB102_800:
	s_mov_b64 s[4:5], 0
.LBB102_801:
	s_and_b64 vcc, exec, s[4:5]
	s_cbranch_vccz .LBB102_819
; %bb.802:
	s_cmp_lt_i32 s45, 27
	s_cbranch_scc1 .LBB102_805
; %bb.803:
	s_cmp_gt_i32 s45, 27
	s_cbranch_scc0 .LBB102_806
; %bb.804:
	global_load_dword v3, v[0:1], off
	s_mov_b64 s[2:3], 0
	s_waitcnt vmcnt(0)
	v_cvt_f32_u32_e32 v3, v3
	s_branch .LBB102_807
.LBB102_805:
	s_mov_b64 s[2:3], -1
                                        ; implicit-def: $vgpr3
	s_branch .LBB102_810
.LBB102_806:
	s_mov_b64 s[2:3], -1
                                        ; implicit-def: $vgpr3
.LBB102_807:
	s_andn2_b64 vcc, exec, s[2:3]
	s_cbranch_vccnz .LBB102_809
; %bb.808:
	global_load_ushort v3, v[0:1], off
	s_waitcnt vmcnt(0)
	v_cvt_f32_u32_e32 v3, v3
.LBB102_809:
	s_mov_b64 s[2:3], 0
.LBB102_810:
	s_andn2_b64 vcc, exec, s[2:3]
	s_cbranch_vccnz .LBB102_818
; %bb.811:
	global_load_ubyte v4, v[0:1], off
	s_movk_i32 s2, 0x7f
	s_waitcnt vmcnt(0)
	v_cmp_lt_i16_e32 vcc, s2, v4
	s_mov_b64 s[2:3], 0
	s_and_saveexec_b64 s[4:5], vcc
	s_xor_b64 s[4:5], exec, s[4:5]
	s_cbranch_execz .LBB102_832
; %bb.812:
	s_movk_i32 s2, 0x80
	v_cmp_eq_u16_e32 vcc, s2, v4
	s_mov_b64 s[2:3], -1
	s_and_saveexec_b64 s[42:43], vcc
; %bb.813:
	s_xor_b64 s[2:3], exec, -1
; %bb.814:
	s_or_b64 exec, exec, s[42:43]
	s_and_b64 s[2:3], s[2:3], exec
	s_or_saveexec_b64 s[4:5], s[4:5]
	v_mov_b32_e32 v3, 0x7f800001
	s_xor_b64 exec, exec, s[4:5]
	s_cbranch_execnz .LBB102_833
.LBB102_815:
	s_or_b64 exec, exec, s[4:5]
	s_and_saveexec_b64 s[4:5], s[2:3]
	s_cbranch_execz .LBB102_817
.LBB102_816:
	v_lshlrev_b32_e32 v3, 24, v4
	v_and_b32_e32 v4, 0xffff, v4
	v_and_b32_e32 v5, 7, v4
	v_ffbh_u32_e32 v7, v5
	v_min_u32_e32 v7, 32, v7
	v_subrev_u32_e32 v8, 28, v7
	v_bfe_u32 v6, v4, 3, 4
	v_lshlrev_b32_e32 v4, v8, v4
	v_sub_u32_e32 v7, 29, v7
	v_and_b32_e32 v4, 7, v4
	v_cmp_eq_u32_e32 vcc, 0, v6
	v_cndmask_b32_e32 v6, v6, v7, vcc
	v_cndmask_b32_e32 v4, v5, v4, vcc
	v_mov_b32_e32 v5, 0x3b800000
	v_lshlrev_b32_e32 v4, 20, v4
	v_and_b32_e32 v3, 0x80000000, v3
	v_lshl_add_u32 v5, v6, 23, v5
	v_or3_b32 v3, v3, v5, v4
.LBB102_817:
	s_or_b64 exec, exec, s[4:5]
.LBB102_818:
	s_mov_b64 s[2:3], -1
.LBB102_819:
	s_mov_b64 s[4:5], 0
.LBB102_820:
	s_and_b64 vcc, exec, s[4:5]
	s_cbranch_vccz .LBB102_855
; %bb.821:
	s_cmp_gt_i32 s45, 22
	s_cbranch_scc0 .LBB102_831
; %bb.822:
	s_cmp_lt_i32 s45, 24
	s_cbranch_scc1 .LBB102_834
; %bb.823:
	s_cmp_gt_i32 s45, 24
	s_cbranch_scc0 .LBB102_835
; %bb.824:
	global_load_ubyte v4, v[0:1], off
	s_movk_i32 s2, 0x7f
	s_waitcnt vmcnt(0)
	v_cmp_lt_i16_e32 vcc, s2, v4
	s_mov_b64 s[2:3], 0
	s_and_saveexec_b64 s[4:5], vcc
	s_xor_b64 s[4:5], exec, s[4:5]
	s_cbranch_execz .LBB102_847
; %bb.825:
	s_movk_i32 s2, 0x80
	v_cmp_eq_u16_e32 vcc, s2, v4
	s_mov_b64 s[2:3], -1
	s_and_saveexec_b64 s[42:43], vcc
; %bb.826:
	s_xor_b64 s[2:3], exec, -1
; %bb.827:
	s_or_b64 exec, exec, s[42:43]
	s_and_b64 s[2:3], s[2:3], exec
	s_or_saveexec_b64 s[4:5], s[4:5]
	v_mov_b32_e32 v3, 0x7f800001
	s_xor_b64 exec, exec, s[4:5]
	s_cbranch_execnz .LBB102_848
.LBB102_828:
	s_or_b64 exec, exec, s[4:5]
	s_and_saveexec_b64 s[4:5], s[2:3]
	s_cbranch_execz .LBB102_830
.LBB102_829:
	v_lshlrev_b32_e32 v3, 24, v4
	v_and_b32_e32 v4, 0xffff, v4
	v_and_b32_e32 v5, 3, v4
	v_ffbh_u32_e32 v7, v5
	v_min_u32_e32 v7, 32, v7
	v_subrev_u32_e32 v8, 29, v7
	v_bfe_u32 v6, v4, 2, 5
	v_lshlrev_b32_e32 v4, v8, v4
	v_sub_u32_e32 v7, 30, v7
	v_and_b32_e32 v4, 3, v4
	v_cmp_eq_u32_e32 vcc, 0, v6
	v_cndmask_b32_e32 v6, v6, v7, vcc
	v_cndmask_b32_e32 v4, v5, v4, vcc
	v_mov_b32_e32 v5, 0x37800000
	v_lshlrev_b32_e32 v4, 21, v4
	v_and_b32_e32 v3, 0x80000000, v3
	v_lshl_add_u32 v5, v6, 23, v5
	v_or3_b32 v3, v3, v5, v4
.LBB102_830:
	s_or_b64 exec, exec, s[4:5]
	s_mov_b64 s[2:3], 0
	s_branch .LBB102_836
.LBB102_831:
	s_mov_b64 s[4:5], -1
                                        ; implicit-def: $vgpr3
	s_branch .LBB102_842
.LBB102_832:
	s_or_saveexec_b64 s[4:5], s[4:5]
	v_mov_b32_e32 v3, 0x7f800001
	s_xor_b64 exec, exec, s[4:5]
	s_cbranch_execz .LBB102_815
.LBB102_833:
	v_cmp_ne_u16_e32 vcc, 0, v4
	s_andn2_b64 s[2:3], s[2:3], exec
	s_and_b64 s[42:43], vcc, exec
	v_mov_b32_e32 v3, 0
	s_or_b64 s[2:3], s[2:3], s[42:43]
	s_or_b64 exec, exec, s[4:5]
	s_and_saveexec_b64 s[4:5], s[2:3]
	s_cbranch_execnz .LBB102_816
	s_branch .LBB102_817
.LBB102_834:
	s_mov_b64 s[2:3], -1
                                        ; implicit-def: $vgpr3
	s_branch .LBB102_839
.LBB102_835:
	s_mov_b64 s[2:3], -1
                                        ; implicit-def: $vgpr3
.LBB102_836:
	s_and_b64 vcc, exec, s[2:3]
	s_cbranch_vccz .LBB102_838
; %bb.837:
	global_load_ubyte v3, v[0:1], off
	s_mov_b32 s2, 0x7f800000
	s_waitcnt vmcnt(0)
	v_lshlrev_b32_e32 v3, 24, v3
	v_and_b32_e32 v4, 0x7f000000, v3
	v_ffbh_u32_e32 v5, v4
	v_min_u32_e32 v5, 32, v5
	v_sub_u32_e64 v5, v5, 4 clamp
	v_lshlrev_b32_e32 v7, v5, v4
	v_lshlrev_b32_e32 v5, 23, v5
	v_lshrrev_b32_e32 v7, 4, v7
	v_add_u32_e32 v6, 0x1000000, v4
	v_sub_u32_e32 v5, v7, v5
	v_ashrrev_i32_e32 v6, 8, v6
	v_add_u32_e32 v5, 0x3c000000, v5
	v_and_or_b32 v5, v6, s2, v5
	v_cmp_ne_u32_e32 vcc, 0, v4
	v_cndmask_b32_e32 v4, 0, v5, vcc
	s_brev_b32 s2, 1
	v_and_or_b32 v3, v3, s2, v4
.LBB102_838:
	s_mov_b64 s[2:3], 0
.LBB102_839:
	s_andn2_b64 vcc, exec, s[2:3]
	s_cbranch_vccnz .LBB102_841
; %bb.840:
	global_load_ubyte v3, v[0:1], off
	s_movk_i32 s2, 0x7f00
	s_brev_b32 s3, 16
	s_waitcnt vmcnt(0)
	v_lshlrev_b16_e32 v4, 8, v3
	v_lshlrev_b32_e32 v3, 25, v3
	v_lshrrev_b32_e32 v5, 4, v3
	v_and_or_b32 v6, v4, s2, 0.5
	v_or_b32_e32 v5, 0x70000000, v5
	v_add_f32_e32 v6, -0.5, v6
	v_mul_f32_e32 v5, 0x7800000, v5
	v_cmp_gt_u32_e32 vcc, s3, v3
	v_bfe_i32 v4, v4, 0, 16
	v_cndmask_b32_e32 v3, v5, v6, vcc
	s_brev_b32 s2, 1
	v_and_or_b32 v3, v4, s2, v3
.LBB102_841:
	s_mov_b64 s[4:5], 0
	s_mov_b64 s[2:3], -1
.LBB102_842:
	s_andn2_b64 vcc, exec, s[4:5]
	s_cbranch_vccnz .LBB102_855
; %bb.843:
	s_cmp_gt_i32 s45, 14
	s_cbranch_scc0 .LBB102_846
; %bb.844:
	s_cmp_eq_u32 s45, 15
	s_cbranch_scc0 .LBB102_849
; %bb.845:
	global_load_ushort v3, v[0:1], off
	s_mov_b64 s[2:3], -1
	s_mov_b64 s[40:41], 0
	s_waitcnt vmcnt(0)
	v_lshlrev_b32_e32 v3, 16, v3
	s_branch .LBB102_850
.LBB102_846:
	s_mov_b64 s[4:5], -1
                                        ; implicit-def: $vgpr3
	s_branch .LBB102_851
.LBB102_847:
	s_or_saveexec_b64 s[4:5], s[4:5]
	v_mov_b32_e32 v3, 0x7f800001
	s_xor_b64 exec, exec, s[4:5]
	s_cbranch_execz .LBB102_828
.LBB102_848:
	v_cmp_ne_u16_e32 vcc, 0, v4
	s_andn2_b64 s[2:3], s[2:3], exec
	s_and_b64 s[42:43], vcc, exec
	v_mov_b32_e32 v3, 0
	s_or_b64 s[2:3], s[2:3], s[42:43]
	s_or_b64 exec, exec, s[4:5]
	s_and_saveexec_b64 s[4:5], s[2:3]
	s_cbranch_execnz .LBB102_829
	s_branch .LBB102_830
.LBB102_849:
	s_mov_b64 s[40:41], -1
                                        ; implicit-def: $vgpr3
.LBB102_850:
	s_mov_b64 s[4:5], 0
.LBB102_851:
	s_and_b64 vcc, exec, s[4:5]
	s_cbranch_vccz .LBB102_855
; %bb.852:
	s_cmp_eq_u32 s45, 11
	s_cbranch_scc0 .LBB102_854
; %bb.853:
	global_load_ubyte v3, v[0:1], off
	s_mov_b64 s[2:3], -1
	s_mov_b64 s[40:41], 0
	s_waitcnt vmcnt(0)
	v_cmp_ne_u16_e32 vcc, 0, v3
	v_cndmask_b32_e64 v3, 0, 1.0, vcc
	s_branch .LBB102_855
.LBB102_854:
	s_mov_b64 s[40:41], -1
                                        ; implicit-def: $vgpr3
.LBB102_855:
	s_mov_b64 s[4:5], 0
.LBB102_856:
	s_and_b64 vcc, exec, s[4:5]
	s_cbranch_vccz .LBB102_905
; %bb.857:
	s_and_b32 s4, 0xffff, s44
	s_cmp_lt_i32 s4, 5
	s_cbranch_scc1 .LBB102_862
; %bb.858:
	s_cmp_lt_i32 s4, 8
	s_cbranch_scc1 .LBB102_863
; %bb.859:
	s_cmp_lt_i32 s4, 9
	s_cbranch_scc1 .LBB102_864
; %bb.860:
	s_cmp_gt_i32 s4, 9
	s_cbranch_scc0 .LBB102_865
; %bb.861:
	global_load_dwordx2 v[3:4], v[0:1], off
	s_mov_b64 s[2:3], 0
	s_waitcnt vmcnt(0)
	v_cvt_f32_f64_e32 v3, v[3:4]
	s_branch .LBB102_866
.LBB102_862:
	s_mov_b64 s[2:3], -1
                                        ; implicit-def: $vgpr3
	s_branch .LBB102_884
.LBB102_863:
	s_mov_b64 s[2:3], -1
                                        ; implicit-def: $vgpr3
	s_branch .LBB102_872
.LBB102_864:
	s_mov_b64 s[2:3], -1
                                        ; implicit-def: $vgpr3
	s_branch .LBB102_869
.LBB102_865:
	s_mov_b64 s[2:3], -1
                                        ; implicit-def: $vgpr3
.LBB102_866:
	s_andn2_b64 vcc, exec, s[2:3]
	s_cbranch_vccnz .LBB102_868
; %bb.867:
	global_load_dword v3, v[0:1], off
.LBB102_868:
	s_mov_b64 s[2:3], 0
.LBB102_869:
	s_andn2_b64 vcc, exec, s[2:3]
	s_cbranch_vccnz .LBB102_871
; %bb.870:
	global_load_dword v3, v[0:1], off
	s_waitcnt vmcnt(0)
	v_cvt_f32_f16_e32 v3, v3
.LBB102_871:
	s_mov_b64 s[2:3], 0
.LBB102_872:
	s_andn2_b64 vcc, exec, s[2:3]
	s_cbranch_vccnz .LBB102_883
; %bb.873:
	s_cmp_lt_i32 s4, 6
	s_cbranch_scc1 .LBB102_876
; %bb.874:
	s_cmp_gt_i32 s4, 6
	s_cbranch_scc0 .LBB102_877
; %bb.875:
	global_load_dwordx2 v[3:4], v[0:1], off
	s_mov_b64 s[2:3], 0
	s_waitcnt vmcnt(0)
	v_cvt_f32_f64_e32 v3, v[3:4]
	s_branch .LBB102_878
.LBB102_876:
	s_mov_b64 s[2:3], -1
                                        ; implicit-def: $vgpr3
	s_branch .LBB102_881
.LBB102_877:
	s_mov_b64 s[2:3], -1
                                        ; implicit-def: $vgpr3
.LBB102_878:
	s_andn2_b64 vcc, exec, s[2:3]
	s_cbranch_vccnz .LBB102_880
; %bb.879:
	global_load_dword v3, v[0:1], off
.LBB102_880:
	s_mov_b64 s[2:3], 0
.LBB102_881:
	s_andn2_b64 vcc, exec, s[2:3]
	s_cbranch_vccnz .LBB102_883
; %bb.882:
	global_load_ushort v3, v[0:1], off
	s_waitcnt vmcnt(0)
	v_cvt_f32_f16_e32 v3, v3
.LBB102_883:
	s_mov_b64 s[2:3], 0
.LBB102_884:
	s_andn2_b64 vcc, exec, s[2:3]
	s_cbranch_vccnz .LBB102_904
; %bb.885:
	s_cmp_lt_i32 s4, 2
	s_cbranch_scc1 .LBB102_889
; %bb.886:
	s_cmp_lt_i32 s4, 3
	s_cbranch_scc1 .LBB102_890
; %bb.887:
	s_cmp_gt_i32 s4, 3
	s_cbranch_scc0 .LBB102_891
; %bb.888:
	global_load_dwordx2 v[3:4], v[0:1], off
	s_mov_b64 s[2:3], 0
	s_waitcnt vmcnt(0)
	v_xor_b32_e32 v6, v3, v4
	v_ffbh_i32_e32 v5, v4
	v_ashrrev_i32_e32 v6, 31, v6
	v_add_u32_e32 v5, -1, v5
	v_add_u32_e32 v6, 32, v6
	v_min_u32_e32 v5, v5, v6
	v_lshlrev_b64 v[3:4], v5, v[3:4]
	v_min_u32_e32 v3, 1, v3
	v_or_b32_e32 v3, v4, v3
	v_cvt_f32_i32_e32 v3, v3
	v_sub_u32_e32 v4, 32, v5
	v_ldexp_f32 v3, v3, v4
	s_branch .LBB102_892
.LBB102_889:
	s_mov_b64 s[2:3], -1
                                        ; implicit-def: $vgpr3
	s_branch .LBB102_898
.LBB102_890:
	s_mov_b64 s[2:3], -1
                                        ; implicit-def: $vgpr3
	s_branch .LBB102_895
.LBB102_891:
	s_mov_b64 s[2:3], -1
                                        ; implicit-def: $vgpr3
.LBB102_892:
	s_andn2_b64 vcc, exec, s[2:3]
	s_cbranch_vccnz .LBB102_894
; %bb.893:
	global_load_dword v3, v[0:1], off
	s_waitcnt vmcnt(0)
	v_cvt_f32_i32_e32 v3, v3
.LBB102_894:
	s_mov_b64 s[2:3], 0
.LBB102_895:
	s_andn2_b64 vcc, exec, s[2:3]
	s_cbranch_vccnz .LBB102_897
; %bb.896:
	global_load_sshort v3, v[0:1], off
	s_waitcnt vmcnt(0)
	v_cvt_f32_i32_e32 v3, v3
.LBB102_897:
	s_mov_b64 s[2:3], 0
.LBB102_898:
	s_andn2_b64 vcc, exec, s[2:3]
	s_cbranch_vccnz .LBB102_904
; %bb.899:
	s_cmp_gt_i32 s4, 0
	s_cbranch_scc0 .LBB102_901
; %bb.900:
	global_load_sbyte v3, v[0:1], off
	s_mov_b64 s[2:3], 0
	s_waitcnt vmcnt(0)
	v_cvt_f32_i32_e32 v3, v3
	s_branch .LBB102_902
.LBB102_901:
	s_mov_b64 s[2:3], -1
                                        ; implicit-def: $vgpr3
.LBB102_902:
	s_andn2_b64 vcc, exec, s[2:3]
	s_cbranch_vccnz .LBB102_904
; %bb.903:
	global_load_ubyte v0, v[0:1], off
	s_waitcnt vmcnt(0)
	v_cvt_f32_ubyte0_e32 v3, v0
.LBB102_904:
	s_mov_b64 s[2:3], -1
.LBB102_905:
	s_andn2_b64 vcc, exec, s[2:3]
	s_cbranch_vccnz .LBB102_913
; %bb.906:
	v_mul_lo_u32 v0, v2, s14
	v_mov_b32_e32 v1, s17
	s_and_b32 s46, s56, 0xff
	s_cmp_lt_i32 s46, 11
	v_ashrrev_i32_e32 v4, 31, v0
	v_add_co_u32_e32 v0, vcc, s16, v0
	v_addc_co_u32_e32 v1, vcc, v1, v4, vcc
	s_cbranch_scc1 .LBB102_915
; %bb.907:
	s_and_b32 s47, 0xffff, s46
	s_cmp_gt_i32 s47, 25
	s_cbranch_scc0 .LBB102_916
; %bb.908:
	s_cmp_gt_i32 s47, 28
	s_cbranch_scc0 .LBB102_917
; %bb.909:
	;; [unrolled: 3-line block ×4, first 2 shown]
	s_cmp_eq_u32 s47, 46
	s_mov_b64 s[4:5], 0
	s_cbranch_scc0 .LBB102_922
; %bb.912:
	global_load_dword v4, v[0:1], off
	s_mov_b64 s[2:3], -1
	s_mov_b64 s[42:43], 0
	s_waitcnt vmcnt(0)
	v_lshlrev_b32_e32 v4, 16, v4
	s_branch .LBB102_923
.LBB102_913:
	s_mov_b64 s[46:47], 0
	s_mov_b64 s[4:5], s[34:35]
	;; [unrolled: 1-line block ×3, first 2 shown]
.LBB102_914:
                                        ; implicit-def: $vgpr2
	s_branch .LBB102_1161
.LBB102_915:
	s_mov_b64 s[4:5], -1
	s_mov_b64 s[2:3], 0
                                        ; implicit-def: $vgpr4
	s_mov_b64 s[42:43], s[30:31]
	s_branch .LBB102_988
.LBB102_916:
	s_mov_b64 s[4:5], -1
	s_mov_b64 s[2:3], 0
	s_mov_b64 s[42:43], s[30:31]
                                        ; implicit-def: $vgpr4
	s_branch .LBB102_952
.LBB102_917:
	s_mov_b64 s[4:5], -1
	s_mov_b64 s[2:3], 0
	s_mov_b64 s[42:43], s[30:31]
                                        ; implicit-def: $vgpr4
	s_branch .LBB102_933
.LBB102_918:
	s_mov_b64 s[4:5], -1
	s_mov_b64 s[2:3], 0
	s_mov_b64 s[42:43], s[30:31]
                                        ; implicit-def: $vgpr4
	s_branch .LBB102_928
.LBB102_919:
	s_mov_b64 s[4:5], -1
	s_mov_b64 s[2:3], 0
	s_mov_b64 s[42:43], s[30:31]
                                        ; implicit-def: $vgpr4
	s_branch .LBB102_923
.LBB102_920:
	s_andn2_saveexec_b64 s[40:41], s[40:41]
	s_cbranch_execz .LBB102_696
.LBB102_921:
	v_add_f32_e32 v3, 0x42800000, v4
	v_and_b32_e32 v3, 0xff, v3
	v_cmp_ne_u32_e32 vcc, 0, v3
	s_andn2_b64 s[38:39], s[38:39], exec
	s_and_b64 s[44:45], vcc, exec
	s_or_b64 s[38:39], s[38:39], s[44:45]
	s_or_b64 exec, exec, s[40:41]
	v_mov_b32_e32 v5, 0
	s_and_saveexec_b64 s[40:41], s[38:39]
	s_cbranch_execnz .LBB102_697
	s_branch .LBB102_698
.LBB102_922:
	s_mov_b64 s[42:43], -1
                                        ; implicit-def: $vgpr4
	s_mov_b64 s[2:3], 0
.LBB102_923:
	s_and_b64 vcc, exec, s[4:5]
	s_cbranch_vccz .LBB102_927
; %bb.924:
	s_cmp_eq_u32 s47, 44
	s_cbranch_scc0 .LBB102_926
; %bb.925:
	global_load_ubyte v4, v[0:1], off
	s_movk_i32 s4, 0xff
	v_mov_b32_e32 v5, 0x7f800001
	v_mov_b32_e32 v6, 0x400000
	s_mov_b64 s[2:3], -1
	s_mov_b64 s[42:43], 0
	s_waitcnt vmcnt(0)
	v_lshlrev_b32_e32 v7, 23, v4
	v_cmp_ne_u32_e32 vcc, s4, v4
	v_cndmask_b32_e32 v5, v5, v7, vcc
	v_cmp_ne_u32_e32 vcc, 0, v4
	v_cndmask_b32_e32 v4, v6, v5, vcc
	s_branch .LBB102_927
.LBB102_926:
	s_mov_b64 s[42:43], -1
                                        ; implicit-def: $vgpr4
.LBB102_927:
	s_mov_b64 s[4:5], 0
.LBB102_928:
	s_and_b64 vcc, exec, s[4:5]
	s_cbranch_vccz .LBB102_932
; %bb.929:
	s_cmp_eq_u32 s47, 29
	s_cbranch_scc0 .LBB102_931
; %bb.930:
	global_load_dwordx2 v[4:5], v[0:1], off
	s_mov_b64 s[2:3], -1
	s_mov_b64 s[42:43], 0
	s_mov_b64 s[4:5], 0
	s_waitcnt vmcnt(0)
	v_ffbh_u32_e32 v6, v5
	v_min_u32_e32 v6, 32, v6
	v_lshlrev_b64 v[4:5], v6, v[4:5]
	v_min_u32_e32 v4, 1, v4
	v_or_b32_e32 v4, v5, v4
	v_cvt_f32_u32_e32 v4, v4
	v_sub_u32_e32 v5, 32, v6
	v_ldexp_f32 v4, v4, v5
	s_branch .LBB102_933
.LBB102_931:
	s_mov_b64 s[42:43], -1
                                        ; implicit-def: $vgpr4
.LBB102_932:
	s_mov_b64 s[4:5], 0
.LBB102_933:
	s_and_b64 vcc, exec, s[4:5]
	s_cbranch_vccz .LBB102_951
; %bb.934:
	s_cmp_lt_i32 s47, 27
	s_cbranch_scc1 .LBB102_937
; %bb.935:
	s_cmp_gt_i32 s47, 27
	s_cbranch_scc0 .LBB102_938
; %bb.936:
	global_load_dword v4, v[0:1], off
	s_mov_b64 s[2:3], 0
	s_waitcnt vmcnt(0)
	v_cvt_f32_u32_e32 v4, v4
	s_branch .LBB102_939
.LBB102_937:
	s_mov_b64 s[2:3], -1
                                        ; implicit-def: $vgpr4
	s_branch .LBB102_942
.LBB102_938:
	s_mov_b64 s[2:3], -1
                                        ; implicit-def: $vgpr4
.LBB102_939:
	s_andn2_b64 vcc, exec, s[2:3]
	s_cbranch_vccnz .LBB102_941
; %bb.940:
	global_load_ushort v4, v[0:1], off
	s_waitcnt vmcnt(0)
	v_cvt_f32_u32_e32 v4, v4
.LBB102_941:
	s_mov_b64 s[2:3], 0
.LBB102_942:
	s_andn2_b64 vcc, exec, s[2:3]
	s_cbranch_vccnz .LBB102_950
; %bb.943:
	global_load_ubyte v5, v[0:1], off
	s_movk_i32 s2, 0x7f
	s_waitcnt vmcnt(0)
	v_cmp_lt_i16_e32 vcc, s2, v5
	s_mov_b64 s[2:3], 0
	s_and_saveexec_b64 s[4:5], vcc
	s_xor_b64 s[4:5], exec, s[4:5]
	s_cbranch_execz .LBB102_964
; %bb.944:
	s_movk_i32 s2, 0x80
	v_cmp_eq_u16_e32 vcc, s2, v5
	s_mov_b64 s[2:3], -1
	s_and_saveexec_b64 s[44:45], vcc
; %bb.945:
	s_xor_b64 s[2:3], exec, -1
; %bb.946:
	s_or_b64 exec, exec, s[44:45]
	s_and_b64 s[2:3], s[2:3], exec
	s_or_saveexec_b64 s[4:5], s[4:5]
	v_mov_b32_e32 v4, 0x7f800001
	s_xor_b64 exec, exec, s[4:5]
	s_cbranch_execnz .LBB102_965
.LBB102_947:
	s_or_b64 exec, exec, s[4:5]
	s_and_saveexec_b64 s[4:5], s[2:3]
	s_cbranch_execz .LBB102_949
.LBB102_948:
	v_lshlrev_b32_e32 v4, 24, v5
	v_and_b32_e32 v5, 0xffff, v5
	v_and_b32_e32 v6, 7, v5
	v_ffbh_u32_e32 v8, v6
	v_min_u32_e32 v8, 32, v8
	v_subrev_u32_e32 v9, 28, v8
	v_bfe_u32 v7, v5, 3, 4
	v_lshlrev_b32_e32 v5, v9, v5
	v_sub_u32_e32 v8, 29, v8
	v_and_b32_e32 v5, 7, v5
	v_cmp_eq_u32_e32 vcc, 0, v7
	v_cndmask_b32_e32 v7, v7, v8, vcc
	v_cndmask_b32_e32 v5, v6, v5, vcc
	v_mov_b32_e32 v6, 0x3b800000
	v_lshlrev_b32_e32 v5, 20, v5
	v_and_b32_e32 v4, 0x80000000, v4
	v_lshl_add_u32 v6, v7, 23, v6
	v_or3_b32 v4, v4, v6, v5
.LBB102_949:
	s_or_b64 exec, exec, s[4:5]
.LBB102_950:
	s_mov_b64 s[2:3], -1
.LBB102_951:
	s_mov_b64 s[4:5], 0
.LBB102_952:
	s_and_b64 vcc, exec, s[4:5]
	s_cbranch_vccz .LBB102_987
; %bb.953:
	s_cmp_gt_i32 s47, 22
	s_cbranch_scc0 .LBB102_963
; %bb.954:
	s_cmp_lt_i32 s47, 24
	s_cbranch_scc1 .LBB102_966
; %bb.955:
	s_cmp_gt_i32 s47, 24
	s_cbranch_scc0 .LBB102_967
; %bb.956:
	global_load_ubyte v5, v[0:1], off
	s_movk_i32 s2, 0x7f
	s_waitcnt vmcnt(0)
	v_cmp_lt_i16_e32 vcc, s2, v5
	s_mov_b64 s[2:3], 0
	s_and_saveexec_b64 s[4:5], vcc
	s_xor_b64 s[4:5], exec, s[4:5]
	s_cbranch_execz .LBB102_979
; %bb.957:
	s_movk_i32 s2, 0x80
	v_cmp_eq_u16_e32 vcc, s2, v5
	s_mov_b64 s[2:3], -1
	s_and_saveexec_b64 s[44:45], vcc
; %bb.958:
	s_xor_b64 s[2:3], exec, -1
; %bb.959:
	s_or_b64 exec, exec, s[44:45]
	s_and_b64 s[2:3], s[2:3], exec
	s_or_saveexec_b64 s[4:5], s[4:5]
	v_mov_b32_e32 v4, 0x7f800001
	s_xor_b64 exec, exec, s[4:5]
	s_cbranch_execnz .LBB102_980
.LBB102_960:
	s_or_b64 exec, exec, s[4:5]
	s_and_saveexec_b64 s[4:5], s[2:3]
	s_cbranch_execz .LBB102_962
.LBB102_961:
	v_lshlrev_b32_e32 v4, 24, v5
	v_and_b32_e32 v5, 0xffff, v5
	v_and_b32_e32 v6, 3, v5
	v_ffbh_u32_e32 v8, v6
	v_min_u32_e32 v8, 32, v8
	v_subrev_u32_e32 v9, 29, v8
	v_bfe_u32 v7, v5, 2, 5
	v_lshlrev_b32_e32 v5, v9, v5
	v_sub_u32_e32 v8, 30, v8
	v_and_b32_e32 v5, 3, v5
	v_cmp_eq_u32_e32 vcc, 0, v7
	v_cndmask_b32_e32 v7, v7, v8, vcc
	v_cndmask_b32_e32 v5, v6, v5, vcc
	v_mov_b32_e32 v6, 0x37800000
	v_lshlrev_b32_e32 v5, 21, v5
	v_and_b32_e32 v4, 0x80000000, v4
	v_lshl_add_u32 v6, v7, 23, v6
	v_or3_b32 v4, v4, v6, v5
.LBB102_962:
	s_or_b64 exec, exec, s[4:5]
	s_mov_b64 s[2:3], 0
	s_branch .LBB102_968
.LBB102_963:
	s_mov_b64 s[4:5], -1
                                        ; implicit-def: $vgpr4
	s_branch .LBB102_974
.LBB102_964:
	s_or_saveexec_b64 s[4:5], s[4:5]
	v_mov_b32_e32 v4, 0x7f800001
	s_xor_b64 exec, exec, s[4:5]
	s_cbranch_execz .LBB102_947
.LBB102_965:
	v_cmp_ne_u16_e32 vcc, 0, v5
	s_andn2_b64 s[2:3], s[2:3], exec
	s_and_b64 s[44:45], vcc, exec
	v_mov_b32_e32 v4, 0
	s_or_b64 s[2:3], s[2:3], s[44:45]
	s_or_b64 exec, exec, s[4:5]
	s_and_saveexec_b64 s[4:5], s[2:3]
	s_cbranch_execnz .LBB102_948
	s_branch .LBB102_949
.LBB102_966:
	s_mov_b64 s[2:3], -1
                                        ; implicit-def: $vgpr4
	s_branch .LBB102_971
.LBB102_967:
	s_mov_b64 s[2:3], -1
                                        ; implicit-def: $vgpr4
.LBB102_968:
	s_and_b64 vcc, exec, s[2:3]
	s_cbranch_vccz .LBB102_970
; %bb.969:
	global_load_ubyte v4, v[0:1], off
	s_mov_b32 s2, 0x7f800000
	s_waitcnt vmcnt(0)
	v_lshlrev_b32_e32 v4, 24, v4
	v_and_b32_e32 v5, 0x7f000000, v4
	v_ffbh_u32_e32 v6, v5
	v_min_u32_e32 v6, 32, v6
	v_sub_u32_e64 v6, v6, 4 clamp
	v_lshlrev_b32_e32 v8, v6, v5
	v_lshlrev_b32_e32 v6, 23, v6
	v_lshrrev_b32_e32 v8, 4, v8
	v_add_u32_e32 v7, 0x1000000, v5
	v_sub_u32_e32 v6, v8, v6
	v_ashrrev_i32_e32 v7, 8, v7
	v_add_u32_e32 v6, 0x3c000000, v6
	v_and_or_b32 v6, v7, s2, v6
	v_cmp_ne_u32_e32 vcc, 0, v5
	v_cndmask_b32_e32 v5, 0, v6, vcc
	s_brev_b32 s2, 1
	v_and_or_b32 v4, v4, s2, v5
.LBB102_970:
	s_mov_b64 s[2:3], 0
.LBB102_971:
	s_andn2_b64 vcc, exec, s[2:3]
	s_cbranch_vccnz .LBB102_973
; %bb.972:
	global_load_ubyte v4, v[0:1], off
	s_movk_i32 s2, 0x7f00
	s_brev_b32 s3, 16
	s_waitcnt vmcnt(0)
	v_lshlrev_b16_e32 v5, 8, v4
	v_lshlrev_b32_e32 v4, 25, v4
	v_lshrrev_b32_e32 v6, 4, v4
	v_and_or_b32 v7, v5, s2, 0.5
	v_or_b32_e32 v6, 0x70000000, v6
	v_add_f32_e32 v7, -0.5, v7
	v_mul_f32_e32 v6, 0x7800000, v6
	v_cmp_gt_u32_e32 vcc, s3, v4
	v_bfe_i32 v5, v5, 0, 16
	v_cndmask_b32_e32 v4, v6, v7, vcc
	s_brev_b32 s2, 1
	v_and_or_b32 v4, v5, s2, v4
.LBB102_973:
	s_mov_b64 s[4:5], 0
	s_mov_b64 s[2:3], -1
.LBB102_974:
	s_andn2_b64 vcc, exec, s[4:5]
	s_cbranch_vccnz .LBB102_987
; %bb.975:
	s_cmp_gt_i32 s47, 14
	s_cbranch_scc0 .LBB102_978
; %bb.976:
	s_cmp_eq_u32 s47, 15
	s_cbranch_scc0 .LBB102_981
; %bb.977:
	global_load_ushort v4, v[0:1], off
	s_mov_b64 s[2:3], -1
	s_mov_b64 s[42:43], 0
	s_waitcnt vmcnt(0)
	v_lshlrev_b32_e32 v4, 16, v4
	s_branch .LBB102_982
.LBB102_978:
	s_mov_b64 s[4:5], -1
                                        ; implicit-def: $vgpr4
	s_branch .LBB102_983
.LBB102_979:
	s_or_saveexec_b64 s[4:5], s[4:5]
	v_mov_b32_e32 v4, 0x7f800001
	s_xor_b64 exec, exec, s[4:5]
	s_cbranch_execz .LBB102_960
.LBB102_980:
	v_cmp_ne_u16_e32 vcc, 0, v5
	s_andn2_b64 s[2:3], s[2:3], exec
	s_and_b64 s[44:45], vcc, exec
	v_mov_b32_e32 v4, 0
	s_or_b64 s[2:3], s[2:3], s[44:45]
	s_or_b64 exec, exec, s[4:5]
	s_and_saveexec_b64 s[4:5], s[2:3]
	s_cbranch_execnz .LBB102_961
	s_branch .LBB102_962
.LBB102_981:
	s_mov_b64 s[42:43], -1
                                        ; implicit-def: $vgpr4
.LBB102_982:
	s_mov_b64 s[4:5], 0
.LBB102_983:
	s_and_b64 vcc, exec, s[4:5]
	s_cbranch_vccz .LBB102_987
; %bb.984:
	s_cmp_eq_u32 s47, 11
	s_cbranch_scc0 .LBB102_986
; %bb.985:
	global_load_ubyte v4, v[0:1], off
	s_mov_b64 s[2:3], -1
	s_mov_b64 s[42:43], 0
	s_waitcnt vmcnt(0)
	v_cmp_ne_u16_e32 vcc, 0, v4
	v_cndmask_b32_e64 v4, 0, 1.0, vcc
	s_branch .LBB102_987
.LBB102_986:
	s_mov_b64 s[42:43], -1
                                        ; implicit-def: $vgpr4
.LBB102_987:
	s_mov_b64 s[4:5], 0
.LBB102_988:
	s_and_b64 vcc, exec, s[4:5]
	s_cbranch_vccz .LBB102_1037
; %bb.989:
	s_and_b32 s4, 0xffff, s46
	s_cmp_lt_i32 s4, 5
	s_cbranch_scc1 .LBB102_994
; %bb.990:
	s_cmp_lt_i32 s4, 8
	s_cbranch_scc1 .LBB102_995
; %bb.991:
	;; [unrolled: 3-line block ×3, first 2 shown]
	s_cmp_gt_i32 s4, 9
	s_cbranch_scc0 .LBB102_997
; %bb.993:
	global_load_dwordx2 v[4:5], v[0:1], off
	s_mov_b64 s[2:3], 0
	s_waitcnt vmcnt(0)
	v_cvt_f32_f64_e32 v4, v[4:5]
	s_branch .LBB102_998
.LBB102_994:
	s_mov_b64 s[2:3], -1
                                        ; implicit-def: $vgpr4
	s_branch .LBB102_1016
.LBB102_995:
	s_mov_b64 s[2:3], -1
                                        ; implicit-def: $vgpr4
	s_branch .LBB102_1004
.LBB102_996:
	s_mov_b64 s[2:3], -1
                                        ; implicit-def: $vgpr4
	s_branch .LBB102_1001
.LBB102_997:
	s_mov_b64 s[2:3], -1
                                        ; implicit-def: $vgpr4
.LBB102_998:
	s_andn2_b64 vcc, exec, s[2:3]
	s_cbranch_vccnz .LBB102_1000
; %bb.999:
	global_load_dword v4, v[0:1], off
.LBB102_1000:
	s_mov_b64 s[2:3], 0
.LBB102_1001:
	s_andn2_b64 vcc, exec, s[2:3]
	s_cbranch_vccnz .LBB102_1003
; %bb.1002:
	global_load_dword v4, v[0:1], off
	s_waitcnt vmcnt(0)
	v_cvt_f32_f16_e32 v4, v4
.LBB102_1003:
	s_mov_b64 s[2:3], 0
.LBB102_1004:
	s_andn2_b64 vcc, exec, s[2:3]
	s_cbranch_vccnz .LBB102_1015
; %bb.1005:
	s_cmp_lt_i32 s4, 6
	s_cbranch_scc1 .LBB102_1008
; %bb.1006:
	s_cmp_gt_i32 s4, 6
	s_cbranch_scc0 .LBB102_1009
; %bb.1007:
	global_load_dwordx2 v[4:5], v[0:1], off
	s_mov_b64 s[2:3], 0
	s_waitcnt vmcnt(0)
	v_cvt_f32_f64_e32 v4, v[4:5]
	s_branch .LBB102_1010
.LBB102_1008:
	s_mov_b64 s[2:3], -1
                                        ; implicit-def: $vgpr4
	s_branch .LBB102_1013
.LBB102_1009:
	s_mov_b64 s[2:3], -1
                                        ; implicit-def: $vgpr4
.LBB102_1010:
	s_andn2_b64 vcc, exec, s[2:3]
	s_cbranch_vccnz .LBB102_1012
; %bb.1011:
	global_load_dword v4, v[0:1], off
.LBB102_1012:
	s_mov_b64 s[2:3], 0
.LBB102_1013:
	s_andn2_b64 vcc, exec, s[2:3]
	s_cbranch_vccnz .LBB102_1015
; %bb.1014:
	global_load_ushort v4, v[0:1], off
	s_waitcnt vmcnt(0)
	v_cvt_f32_f16_e32 v4, v4
.LBB102_1015:
	s_mov_b64 s[2:3], 0
.LBB102_1016:
	s_andn2_b64 vcc, exec, s[2:3]
	s_cbranch_vccnz .LBB102_1036
; %bb.1017:
	s_cmp_lt_i32 s4, 2
	s_cbranch_scc1 .LBB102_1021
; %bb.1018:
	s_cmp_lt_i32 s4, 3
	s_cbranch_scc1 .LBB102_1022
; %bb.1019:
	s_cmp_gt_i32 s4, 3
	s_cbranch_scc0 .LBB102_1023
; %bb.1020:
	global_load_dwordx2 v[4:5], v[0:1], off
	s_mov_b64 s[2:3], 0
	s_waitcnt vmcnt(0)
	v_xor_b32_e32 v7, v4, v5
	v_ffbh_i32_e32 v6, v5
	v_ashrrev_i32_e32 v7, 31, v7
	v_add_u32_e32 v6, -1, v6
	v_add_u32_e32 v7, 32, v7
	v_min_u32_e32 v6, v6, v7
	v_lshlrev_b64 v[4:5], v6, v[4:5]
	v_min_u32_e32 v4, 1, v4
	v_or_b32_e32 v4, v5, v4
	v_cvt_f32_i32_e32 v4, v4
	v_sub_u32_e32 v5, 32, v6
	v_ldexp_f32 v4, v4, v5
	s_branch .LBB102_1024
.LBB102_1021:
	s_mov_b64 s[2:3], -1
                                        ; implicit-def: $vgpr4
	s_branch .LBB102_1030
.LBB102_1022:
	s_mov_b64 s[2:3], -1
                                        ; implicit-def: $vgpr4
	s_branch .LBB102_1027
.LBB102_1023:
	s_mov_b64 s[2:3], -1
                                        ; implicit-def: $vgpr4
.LBB102_1024:
	s_andn2_b64 vcc, exec, s[2:3]
	s_cbranch_vccnz .LBB102_1026
; %bb.1025:
	global_load_dword v4, v[0:1], off
	s_waitcnt vmcnt(0)
	v_cvt_f32_i32_e32 v4, v4
.LBB102_1026:
	s_mov_b64 s[2:3], 0
.LBB102_1027:
	s_andn2_b64 vcc, exec, s[2:3]
	s_cbranch_vccnz .LBB102_1029
; %bb.1028:
	global_load_sshort v4, v[0:1], off
	s_waitcnt vmcnt(0)
	v_cvt_f32_i32_e32 v4, v4
.LBB102_1029:
	s_mov_b64 s[2:3], 0
.LBB102_1030:
	s_andn2_b64 vcc, exec, s[2:3]
	s_cbranch_vccnz .LBB102_1036
; %bb.1031:
	s_cmp_gt_i32 s4, 0
	s_cbranch_scc0 .LBB102_1033
; %bb.1032:
	global_load_sbyte v4, v[0:1], off
	s_mov_b64 s[2:3], 0
	s_waitcnt vmcnt(0)
	v_cvt_f32_i32_e32 v4, v4
	s_branch .LBB102_1034
.LBB102_1033:
	s_mov_b64 s[2:3], -1
                                        ; implicit-def: $vgpr4
.LBB102_1034:
	s_andn2_b64 vcc, exec, s[2:3]
	s_cbranch_vccnz .LBB102_1036
; %bb.1035:
	global_load_ubyte v0, v[0:1], off
	s_waitcnt vmcnt(0)
	v_cvt_f32_ubyte0_e32 v4, v0
.LBB102_1036:
	s_mov_b64 s[2:3], -1
.LBB102_1037:
	s_andn2_b64 vcc, exec, s[2:3]
	s_cbranch_vccnz .LBB102_1045
; %bb.1038:
	s_waitcnt vmcnt(0)
	v_cmp_eq_f32_e32 vcc, v3, v4
	v_cndmask_b32_e64 v0, 0, 1, vcc
	v_cmp_neq_f32_e32 vcc, v3, v4
	v_mul_lo_u32 v3, v2, s12
	v_cndmask_b32_e64 v1, 0, 1, vcc
	v_cndmask_b32_e64 v0, v1, v0, s[0:1]
	v_and_b32_e32 v0, 1, v0
	v_cmp_eq_u32_e64 s[2:3], 1, v0
	v_ashrrev_i32_e32 v1, 31, v3
	v_mov_b32_e32 v4, s9
	s_and_b32 s51, s33, 0xff
	v_add_co_u32_e32 v0, vcc, s8, v3
	s_cmp_lt_i32 s51, 11
	v_addc_co_u32_e32 v1, vcc, v4, v1, vcc
	s_cbranch_scc1 .LBB102_1046
; %bb.1039:
	s_and_b32 s52, 0xffff, s51
	s_cmp_gt_i32 s52, 25
	s_cbranch_scc0 .LBB102_1047
; %bb.1040:
	s_cmp_gt_i32 s52, 28
	s_cbranch_scc0 .LBB102_1048
; %bb.1041:
	;; [unrolled: 3-line block ×4, first 2 shown]
	s_mov_b64 s[46:47], 0
	s_mov_b64 s[4:5], -1
	s_cmp_eq_u32 s52, 46
	s_mov_b64 s[44:45], 0
	s_cbranch_scc0 .LBB102_1051
; %bb.1044:
	v_cndmask_b32_e64 v3, 0, 1.0, s[2:3]
	v_bfe_u32 v4, v3, 16, 1
	s_movk_i32 s4, 0x7fff
	v_add3_u32 v3, v3, v4, s4
	v_lshrrev_b32_e32 v3, 16, v3
	global_store_dword v[0:1], v3, off
	s_mov_b64 s[44:45], -1
	s_mov_b64 s[4:5], 0
	s_branch .LBB102_1051
.LBB102_1045:
	s_mov_b64 s[46:47], 0
                                        ; implicit-def: $vgpr2
	s_mov_b64 s[4:5], s[34:35]
	s_branch .LBB102_1161
.LBB102_1046:
	s_mov_b64 s[46:47], -1
	s_mov_b64 s[44:45], 0
	s_mov_b64 s[4:5], s[34:35]
	s_branch .LBB102_1120
.LBB102_1047:
	s_mov_b64 s[46:47], -1
	s_mov_b64 s[44:45], 0
	s_mov_b64 s[4:5], s[34:35]
	s_branch .LBB102_1078
.LBB102_1048:
	s_mov_b64 s[46:47], -1
	s_mov_b64 s[44:45], 0
	s_mov_b64 s[4:5], s[34:35]
	s_branch .LBB102_1061
.LBB102_1049:
	s_mov_b64 s[46:47], -1
	s_mov_b64 s[44:45], 0
	s_mov_b64 s[4:5], s[34:35]
	s_branch .LBB102_1057
.LBB102_1050:
	s_mov_b64 s[46:47], -1
	s_mov_b64 s[44:45], 0
	s_mov_b64 s[4:5], s[34:35]
.LBB102_1051:
	s_and_b64 vcc, exec, s[46:47]
	s_cbranch_vccz .LBB102_1056
; %bb.1052:
	s_cmp_eq_u32 s52, 44
	s_mov_b64 s[4:5], -1
	s_cbranch_scc0 .LBB102_1056
; %bb.1053:
	v_cndmask_b32_e64 v4, 0, 1.0, s[2:3]
	v_lshrrev_b32_e32 v3, 23, v4
	s_movk_i32 s4, 0xff
	v_cmp_ne_u32_e32 vcc, s4, v3
	v_mov_b32_e32 v5, 0xff
	s_and_saveexec_b64 s[44:45], vcc
; %bb.1054:
	s_mov_b32 s4, 0x3fffff
	v_and_b32_e32 v5, 0x400000, v4
	v_and_or_b32 v4, v4, s4, v3
	v_cmp_ne_u32_e32 vcc, 0, v5
	v_cmp_ne_u32_e64 s[4:5], 0, v4
	s_and_b64 s[4:5], vcc, s[4:5]
	v_cndmask_b32_e64 v4, 0, 1, s[4:5]
	v_add_u32_e32 v5, v3, v4
; %bb.1055:
	s_or_b64 exec, exec, s[44:45]
	s_mov_b64 s[44:45], -1
	s_mov_b64 s[4:5], 0
	global_store_byte v[0:1], v5, off
.LBB102_1056:
	s_mov_b64 s[46:47], 0
.LBB102_1057:
	s_and_b64 vcc, exec, s[46:47]
	s_cbranch_vccz .LBB102_1060
; %bb.1058:
	s_cmp_eq_u32 s52, 29
	s_mov_b64 s[4:5], -1
	s_cbranch_scc0 .LBB102_1060
; %bb.1059:
	s_mov_b32 s4, 0
	v_cndmask_b32_e64 v3, 0, 1, s[2:3]
	v_mov_b32_e32 v4, s4
	global_store_dwordx2 v[0:1], v[3:4], off
	s_mov_b64 s[44:45], -1
	s_mov_b64 s[4:5], 0
.LBB102_1060:
	s_mov_b64 s[46:47], 0
.LBB102_1061:
	s_and_b64 vcc, exec, s[46:47]
	s_cbranch_vccz .LBB102_1077
; %bb.1062:
	s_cmp_lt_i32 s52, 27
	s_mov_b64 s[44:45], -1
	s_cbranch_scc1 .LBB102_1068
; %bb.1063:
	s_cmp_gt_i32 s52, 27
	s_cbranch_scc0 .LBB102_1065
; %bb.1064:
	v_cndmask_b32_e64 v3, 0, 1, s[2:3]
	s_mov_b64 s[44:45], 0
	global_store_dword v[0:1], v3, off
.LBB102_1065:
	s_andn2_b64 vcc, exec, s[44:45]
	s_cbranch_vccnz .LBB102_1067
; %bb.1066:
	v_cndmask_b32_e64 v3, 0, 1, s[2:3]
	global_store_short v[0:1], v3, off
.LBB102_1067:
	s_mov_b64 s[44:45], 0
.LBB102_1068:
	s_andn2_b64 vcc, exec, s[44:45]
	s_cbranch_vccnz .LBB102_1076
; %bb.1069:
	v_cndmask_b32_e64 v4, 0, 1.0, s[2:3]
	s_mov_b32 s44, 0x43800000
	v_cmp_gt_u32_e32 vcc, s44, v4
	v_mov_b32_e32 v5, 0x80
	s_and_saveexec_b64 s[44:45], vcc
	s_cbranch_execz .LBB102_1075
; %bb.1070:
	s_mov_b32 s46, 0x3bffffff
	v_cmp_lt_u32_e32 vcc, s46, v4
	s_mov_b64 s[46:47], 0
                                        ; implicit-def: $vgpr3
	s_and_saveexec_b64 s[48:49], vcc
	s_xor_b64 s[48:49], exec, s[48:49]
	s_cbranch_execz .LBB102_1177
; %bb.1071:
	v_bfe_u32 v3, v4, 20, 1
	s_mov_b32 s53, 0x487ffff
	v_add3_u32 v3, v4, v3, s53
	s_mov_b64 s[46:47], exec
	v_lshrrev_b32_e32 v3, 20, v3
                                        ; implicit-def: $vgpr4
	s_andn2_saveexec_b64 s[48:49], s[48:49]
	s_cbranch_execnz .LBB102_1178
.LBB102_1072:
	s_or_b64 exec, exec, s[48:49]
	v_mov_b32_e32 v5, 0
	s_and_saveexec_b64 s[48:49], s[46:47]
.LBB102_1073:
	v_mov_b32_e32 v5, v3
.LBB102_1074:
	s_or_b64 exec, exec, s[48:49]
.LBB102_1075:
	s_or_b64 exec, exec, s[44:45]
	global_store_byte v[0:1], v5, off
.LBB102_1076:
	s_mov_b64 s[44:45], -1
.LBB102_1077:
	s_mov_b64 s[46:47], 0
.LBB102_1078:
	s_and_b64 vcc, exec, s[46:47]
	s_cbranch_vccz .LBB102_1119
; %bb.1079:
	s_cmp_gt_i32 s52, 22
	s_mov_b64 s[46:47], -1
	s_cbranch_scc0 .LBB102_1111
; %bb.1080:
	s_cmp_lt_i32 s52, 24
	s_mov_b64 s[44:45], -1
	s_cbranch_scc1 .LBB102_1100
; %bb.1081:
	s_cmp_gt_i32 s52, 24
	s_cbranch_scc0 .LBB102_1089
; %bb.1082:
	v_cndmask_b32_e64 v4, 0, 1.0, s[2:3]
	s_mov_b32 s44, 0x47800000
	v_cmp_gt_u32_e32 vcc, s44, v4
	v_mov_b32_e32 v5, 0x80
	s_and_saveexec_b64 s[44:45], vcc
	s_cbranch_execz .LBB102_1088
; %bb.1083:
	s_mov_b32 s46, 0x37ffffff
	v_cmp_lt_u32_e32 vcc, s46, v4
	s_mov_b64 s[46:47], 0
                                        ; implicit-def: $vgpr3
	s_and_saveexec_b64 s[48:49], vcc
	s_xor_b64 s[48:49], exec, s[48:49]
	s_cbranch_execz .LBB102_2200
; %bb.1084:
	v_bfe_u32 v3, v4, 21, 1
	s_mov_b32 s53, 0x88fffff
	v_add3_u32 v3, v4, v3, s53
	s_mov_b64 s[46:47], exec
	v_lshrrev_b32_e32 v3, 21, v3
                                        ; implicit-def: $vgpr4
	s_andn2_saveexec_b64 s[48:49], s[48:49]
	s_cbranch_execnz .LBB102_2201
.LBB102_1085:
	s_or_b64 exec, exec, s[48:49]
	v_mov_b32_e32 v5, 0
	s_and_saveexec_b64 s[48:49], s[46:47]
.LBB102_1086:
	v_mov_b32_e32 v5, v3
.LBB102_1087:
	s_or_b64 exec, exec, s[48:49]
.LBB102_1088:
	s_or_b64 exec, exec, s[44:45]
	s_mov_b64 s[44:45], 0
	global_store_byte v[0:1], v5, off
.LBB102_1089:
	s_and_b64 vcc, exec, s[44:45]
	s_cbranch_vccz .LBB102_1099
; %bb.1090:
	v_cndmask_b32_e64 v3, 0, 1.0, s[2:3]
	s_mov_b32 s44, 0x43f00000
	v_cmp_gt_u32_e32 vcc, s44, v3
                                        ; implicit-def: $vgpr4
	s_and_saveexec_b64 s[44:45], vcc
	s_xor_b64 s[44:45], exec, s[44:45]
	s_cbranch_execz .LBB102_1096
; %bb.1091:
	s_mov_b32 s46, 0x3c7fffff
	v_cmp_lt_u32_e32 vcc, s46, v3
                                        ; implicit-def: $vgpr4
	s_and_saveexec_b64 s[46:47], vcc
	s_xor_b64 s[46:47], exec, s[46:47]
; %bb.1092:
	v_bfe_u32 v4, v3, 20, 1
	s_mov_b32 s48, 0x407ffff
	v_add3_u32 v3, v3, v4, s48
	v_lshrrev_b32_e32 v4, 20, v3
	v_and_b32_e32 v3, 0xff00000, v3
	s_mov_b32 s48, 0x7f00000
	v_mov_b32_e32 v5, 0x7e
	v_cmp_ne_u32_e32 vcc, s48, v3
	v_cndmask_b32_e32 v4, v5, v4, vcc
                                        ; implicit-def: $vgpr3
; %bb.1093:
	s_andn2_saveexec_b64 s[46:47], s[46:47]
; %bb.1094:
	v_add_f32_e32 v4, 0x46800000, v3
; %bb.1095:
	s_or_b64 exec, exec, s[46:47]
                                        ; implicit-def: $vgpr3
.LBB102_1096:
	s_andn2_saveexec_b64 s[44:45], s[44:45]
; %bb.1097:
	s_mov_b32 s46, 0x7f800000
	v_mov_b32_e32 v4, 0x7e
	v_mov_b32_e32 v5, 0x7f
	v_cmp_lt_u32_e32 vcc, s46, v3
	v_cndmask_b32_e32 v4, v4, v5, vcc
; %bb.1098:
	s_or_b64 exec, exec, s[44:45]
	global_store_byte v[0:1], v4, off
.LBB102_1099:
	s_mov_b64 s[44:45], 0
.LBB102_1100:
	s_andn2_b64 vcc, exec, s[44:45]
	s_cbranch_vccnz .LBB102_1110
; %bb.1101:
	v_cndmask_b32_e64 v3, 0, 1.0, s[2:3]
	s_mov_b32 s44, 0x47800000
	v_cmp_gt_u32_e32 vcc, s44, v3
                                        ; implicit-def: $vgpr4
	s_and_saveexec_b64 s[44:45], vcc
	s_xor_b64 s[44:45], exec, s[44:45]
	s_cbranch_execz .LBB102_1107
; %bb.1102:
	s_mov_b32 s46, 0x387fffff
	v_cmp_lt_u32_e32 vcc, s46, v3
                                        ; implicit-def: $vgpr4
	s_and_saveexec_b64 s[46:47], vcc
	s_xor_b64 s[46:47], exec, s[46:47]
; %bb.1103:
	v_bfe_u32 v4, v3, 21, 1
	s_mov_b32 s48, 0x80fffff
	v_add3_u32 v3, v3, v4, s48
	v_lshrrev_b32_e32 v4, 21, v3
                                        ; implicit-def: $vgpr3
; %bb.1104:
	s_andn2_saveexec_b64 s[46:47], s[46:47]
; %bb.1105:
	v_add_f32_e32 v4, 0x43000000, v3
; %bb.1106:
	s_or_b64 exec, exec, s[46:47]
                                        ; implicit-def: $vgpr3
.LBB102_1107:
	s_andn2_saveexec_b64 s[44:45], s[44:45]
; %bb.1108:
	s_mov_b32 s46, 0x7f800000
	v_mov_b32_e32 v4, 0x7c
	v_mov_b32_e32 v5, 0x7f
	v_cmp_lt_u32_e32 vcc, s46, v3
	v_cndmask_b32_e32 v4, v4, v5, vcc
; %bb.1109:
	s_or_b64 exec, exec, s[44:45]
	global_store_byte v[0:1], v4, off
.LBB102_1110:
	s_mov_b64 s[46:47], 0
	s_mov_b64 s[44:45], -1
.LBB102_1111:
	s_andn2_b64 vcc, exec, s[46:47]
	s_cbranch_vccnz .LBB102_1119
; %bb.1112:
	s_cmp_gt_i32 s52, 14
	s_mov_b64 s[46:47], -1
	s_cbranch_scc0 .LBB102_1116
; %bb.1113:
	s_cmp_eq_u32 s52, 15
	s_mov_b64 s[4:5], -1
	s_cbranch_scc0 .LBB102_1115
; %bb.1114:
	v_cndmask_b32_e64 v3, 0, 1.0, s[2:3]
	v_bfe_u32 v4, v3, 16, 1
	s_movk_i32 s4, 0x7fff
	v_add3_u32 v3, v3, v4, s4
	global_store_short_d16_hi v[0:1], v3, off
	s_mov_b64 s[44:45], -1
	s_mov_b64 s[4:5], 0
.LBB102_1115:
	s_mov_b64 s[46:47], 0
.LBB102_1116:
	s_and_b64 vcc, exec, s[46:47]
	s_cbranch_vccz .LBB102_1119
; %bb.1117:
	s_cmp_eq_u32 s52, 11
	s_mov_b64 s[4:5], -1
	s_cbranch_scc0 .LBB102_1119
; %bb.1118:
	v_cndmask_b32_e64 v3, 0, 1, s[2:3]
	s_mov_b64 s[44:45], -1
	s_mov_b64 s[4:5], 0
	global_store_byte v[0:1], v3, off
.LBB102_1119:
	s_mov_b64 s[46:47], 0
.LBB102_1120:
	s_and_b64 vcc, exec, s[46:47]
	s_cbranch_vccz .LBB102_1159
; %bb.1121:
	s_and_b32 s46, 0xffff, s51
	s_cmp_lt_i32 s46, 5
	s_mov_b64 s[44:45], -1
	s_cbranch_scc1 .LBB102_1142
; %bb.1122:
	s_cmp_lt_i32 s46, 8
	s_cbranch_scc1 .LBB102_1132
; %bb.1123:
	s_cmp_lt_i32 s46, 9
	s_cbranch_scc1 .LBB102_1129
; %bb.1124:
	s_cmp_gt_i32 s46, 9
	s_cbranch_scc0 .LBB102_1126
; %bb.1125:
	v_cndmask_b32_e64 v3, 0, 1, s[2:3]
	v_cvt_f64_u32_e32 v[3:4], v3
	v_mov_b32_e32 v5, 0
	v_mov_b32_e32 v6, v5
	s_mov_b64 s[44:45], 0
	global_store_dwordx4 v[0:1], v[3:6], off
.LBB102_1126:
	s_andn2_b64 vcc, exec, s[44:45]
	s_cbranch_vccnz .LBB102_1128
; %bb.1127:
	v_cndmask_b32_e64 v3, 0, 1.0, s[2:3]
	v_mov_b32_e32 v4, 0
	global_store_dwordx2 v[0:1], v[3:4], off
.LBB102_1128:
	s_mov_b64 s[44:45], 0
.LBB102_1129:
	s_andn2_b64 vcc, exec, s[44:45]
	s_cbranch_vccnz .LBB102_1131
; %bb.1130:
	v_cndmask_b32_e64 v3, 0, 1.0, s[2:3]
	v_cvt_f16_f32_e32 v3, v3
	global_store_dword v[0:1], v3, off
.LBB102_1131:
	s_mov_b64 s[44:45], 0
.LBB102_1132:
	s_andn2_b64 vcc, exec, s[44:45]
	s_cbranch_vccnz .LBB102_1141
; %bb.1133:
	s_cmp_lt_i32 s46, 6
	s_mov_b64 s[44:45], -1
	s_cbranch_scc1 .LBB102_1139
; %bb.1134:
	s_cmp_gt_i32 s46, 6
	s_cbranch_scc0 .LBB102_1136
; %bb.1135:
	v_cndmask_b32_e64 v3, 0, 1, s[2:3]
	v_cvt_f64_u32_e32 v[3:4], v3
	s_mov_b64 s[44:45], 0
	global_store_dwordx2 v[0:1], v[3:4], off
.LBB102_1136:
	s_andn2_b64 vcc, exec, s[44:45]
	s_cbranch_vccnz .LBB102_1138
; %bb.1137:
	v_cndmask_b32_e64 v3, 0, 1.0, s[2:3]
	global_store_dword v[0:1], v3, off
.LBB102_1138:
	s_mov_b64 s[44:45], 0
.LBB102_1139:
	s_andn2_b64 vcc, exec, s[44:45]
	s_cbranch_vccnz .LBB102_1141
; %bb.1140:
	v_cndmask_b32_e64 v3, 0, 1.0, s[2:3]
	v_cvt_f16_f32_e32 v3, v3
	global_store_short v[0:1], v3, off
.LBB102_1141:
	s_mov_b64 s[44:45], 0
.LBB102_1142:
	s_andn2_b64 vcc, exec, s[44:45]
	s_cbranch_vccnz .LBB102_1158
; %bb.1143:
	s_cmp_lt_i32 s46, 2
	s_mov_b64 s[44:45], -1
	s_cbranch_scc1 .LBB102_1153
; %bb.1144:
	s_cmp_lt_i32 s46, 3
	s_cbranch_scc1 .LBB102_1150
; %bb.1145:
	s_cmp_gt_i32 s46, 3
	s_cbranch_scc0 .LBB102_1147
; %bb.1146:
	s_mov_b32 s44, 0
	v_cndmask_b32_e64 v3, 0, 1, s[2:3]
	v_mov_b32_e32 v4, s44
	s_mov_b64 s[44:45], 0
	global_store_dwordx2 v[0:1], v[3:4], off
.LBB102_1147:
	s_andn2_b64 vcc, exec, s[44:45]
	s_cbranch_vccnz .LBB102_1149
; %bb.1148:
	v_cndmask_b32_e64 v3, 0, 1, s[2:3]
	global_store_dword v[0:1], v3, off
.LBB102_1149:
	s_mov_b64 s[44:45], 0
.LBB102_1150:
	s_andn2_b64 vcc, exec, s[44:45]
	s_cbranch_vccnz .LBB102_1152
; %bb.1151:
	v_cndmask_b32_e64 v3, 0, 1, s[2:3]
	global_store_short v[0:1], v3, off
.LBB102_1152:
	s_mov_b64 s[44:45], 0
.LBB102_1153:
	s_andn2_b64 vcc, exec, s[44:45]
	s_cbranch_vccnz .LBB102_1158
; %bb.1154:
	s_mov_b64 s[44:45], -1
	s_cmp_gt_i32 s46, 0
	v_cndmask_b32_e64 v3, 0, 1, s[2:3]
	s_cbranch_scc0 .LBB102_1156
; %bb.1155:
	s_mov_b64 s[44:45], 0
	global_store_byte v[0:1], v3, off
.LBB102_1156:
	s_andn2_b64 vcc, exec, s[44:45]
	s_cbranch_vccnz .LBB102_1158
; %bb.1157:
	global_store_byte v[0:1], v3, off
.LBB102_1158:
	s_mov_b64 s[44:45], -1
.LBB102_1159:
	s_andn2_b64 vcc, exec, s[44:45]
	s_cbranch_vccnz .LBB102_1172
; %bb.1160:
	v_add_u32_e32 v2, 0x80, v2
	s_mov_b64 s[46:47], -1
.LBB102_1161:
	s_andn2_b64 s[2:3], s[34:35], exec
	s_and_b64 s[4:5], s[4:5], exec
	s_or_b64 s[44:45], s[2:3], s[4:5]
	s_andn2_b64 s[2:3], s[30:31], exec
	s_and_b64 s[4:5], s[42:43], exec
	s_or_b64 s[4:5], s[2:3], s[4:5]
	;; [unrolled: 3-line block ×3, first 2 shown]
	s_orn2_b64 s[48:49], s[46:47], exec
.LBB102_1162:
	s_or_b64 exec, exec, s[38:39]
	s_mov_b64 s[42:43], 0
	s_mov_b64 s[46:47], 0
	;; [unrolled: 1-line block ×3, first 2 shown]
                                        ; implicit-def: $sgpr58
                                        ; implicit-def: $vgpr0_vgpr1
                                        ; implicit-def: $vgpr3
	s_and_saveexec_b64 s[38:39], s[48:49]
	s_cbranch_execz .LBB102_1246
; %bb.1163:
	v_cmp_gt_i32_e32 vcc, s50, v2
	s_mov_b64 s[48:49], 0
	s_mov_b64 s[50:51], s[2:3]
	;; [unrolled: 1-line block ×4, first 2 shown]
                                        ; implicit-def: $sgpr58
                                        ; implicit-def: $vgpr0_vgpr1
                                        ; implicit-def: $vgpr3
	s_and_saveexec_b64 s[40:41], vcc
	s_cbranch_execz .LBB102_1245
; %bb.1164:
	v_mul_lo_u32 v0, v2, s13
	v_mov_b32_e32 v1, s11
	s_and_b32 s58, s57, 0xff
	s_cmp_lt_i32 s58, 11
	s_waitcnt vmcnt(0)
	v_ashrrev_i32_e32 v3, 31, v0
	v_add_co_u32_e32 v0, vcc, s10, v0
	v_addc_co_u32_e32 v1, vcc, v1, v3, vcc
	s_cbranch_scc1 .LBB102_1171
; %bb.1165:
	s_and_b32 s54, 0xffff, s58
	s_cmp_gt_i32 s54, 25
	s_cbranch_scc0 .LBB102_1173
; %bb.1166:
	s_cmp_gt_i32 s54, 28
	s_cbranch_scc0 .LBB102_1174
; %bb.1167:
	;; [unrolled: 3-line block ×4, first 2 shown]
	s_cmp_eq_u32 s54, 46
	s_mov_b64 s[50:51], 0
	s_cbranch_scc0 .LBB102_1179
; %bb.1170:
	global_load_dword v3, v[0:1], off
	s_mov_b64 s[48:49], -1
	s_waitcnt vmcnt(0)
	v_lshlrev_b32_e32 v3, 16, v3
	s_branch .LBB102_1181
.LBB102_1171:
	s_mov_b64 s[50:51], -1
                                        ; implicit-def: $vgpr3
	s_mov_b64 s[42:43], s[2:3]
	s_branch .LBB102_1244
.LBB102_1172:
	s_mov_b64 s[46:47], 0
	s_branch .LBB102_914
.LBB102_1173:
	s_mov_b64 s[50:51], -1
	s_mov_b64 s[42:43], s[2:3]
                                        ; implicit-def: $vgpr3
	s_branch .LBB102_1210
.LBB102_1174:
	s_mov_b64 s[50:51], -1
	s_mov_b64 s[42:43], s[2:3]
                                        ; implicit-def: $vgpr3
	s_branch .LBB102_1191
.LBB102_1175:
	s_mov_b64 s[50:51], -1
	s_mov_b64 s[42:43], s[2:3]
                                        ; implicit-def: $vgpr3
	s_branch .LBB102_1186
.LBB102_1176:
	s_mov_b64 s[50:51], -1
	s_mov_b64 s[42:43], s[2:3]
	s_branch .LBB102_1180
.LBB102_1177:
	s_andn2_saveexec_b64 s[48:49], s[48:49]
	s_cbranch_execz .LBB102_1072
.LBB102_1178:
	v_add_f32_e32 v3, 0x46000000, v4
	v_and_b32_e32 v3, 0xff, v3
	v_cmp_ne_u32_e32 vcc, 0, v3
	s_andn2_b64 s[46:47], s[46:47], exec
	s_and_b64 s[54:55], vcc, exec
	s_or_b64 s[46:47], s[46:47], s[54:55]
	s_or_b64 exec, exec, s[48:49]
	v_mov_b32_e32 v5, 0
	s_and_saveexec_b64 s[48:49], s[46:47]
	s_cbranch_execnz .LBB102_1073
	s_branch .LBB102_1074
.LBB102_1179:
	s_mov_b64 s[42:43], -1
.LBB102_1180:
                                        ; implicit-def: $vgpr3
.LBB102_1181:
	s_and_b64 vcc, exec, s[50:51]
	s_cbranch_vccz .LBB102_1185
; %bb.1182:
	s_cmp_eq_u32 s54, 44
	s_cbranch_scc0 .LBB102_1184
; %bb.1183:
	global_load_ubyte v3, v[0:1], off
	s_movk_i32 s48, 0xff
	v_mov_b32_e32 v4, 0x7f800001
	v_mov_b32_e32 v5, 0x400000
	s_mov_b64 s[42:43], 0
	s_waitcnt vmcnt(0)
	v_lshlrev_b32_e32 v6, 23, v3
	v_cmp_ne_u32_e32 vcc, s48, v3
	v_cndmask_b32_e32 v4, v4, v6, vcc
	v_cmp_ne_u32_e32 vcc, 0, v3
	v_cndmask_b32_e32 v3, v5, v4, vcc
	s_mov_b64 s[48:49], -1
	s_branch .LBB102_1185
.LBB102_1184:
	s_mov_b64 s[42:43], -1
                                        ; implicit-def: $vgpr3
.LBB102_1185:
	s_mov_b64 s[50:51], 0
.LBB102_1186:
	s_and_b64 vcc, exec, s[50:51]
	s_cbranch_vccz .LBB102_1190
; %bb.1187:
	s_cmp_eq_u32 s54, 29
	s_cbranch_scc0 .LBB102_1189
; %bb.1188:
	global_load_dwordx2 v[3:4], v[0:1], off
	s_mov_b64 s[42:43], 0
	s_mov_b64 s[48:49], -1
	s_mov_b64 s[50:51], 0
	s_waitcnt vmcnt(0)
	v_ffbh_u32_e32 v5, v4
	v_min_u32_e32 v5, 32, v5
	v_lshlrev_b64 v[3:4], v5, v[3:4]
	v_min_u32_e32 v3, 1, v3
	v_or_b32_e32 v3, v4, v3
	v_cvt_f32_u32_e32 v3, v3
	v_sub_u32_e32 v4, 32, v5
	v_ldexp_f32 v3, v3, v4
	s_branch .LBB102_1191
.LBB102_1189:
	s_mov_b64 s[42:43], -1
                                        ; implicit-def: $vgpr3
.LBB102_1190:
	s_mov_b64 s[50:51], 0
.LBB102_1191:
	s_and_b64 vcc, exec, s[50:51]
	s_cbranch_vccz .LBB102_1209
; %bb.1192:
	s_cmp_lt_i32 s54, 27
	s_cbranch_scc1 .LBB102_1195
; %bb.1193:
	s_cmp_gt_i32 s54, 27
	s_cbranch_scc0 .LBB102_1196
; %bb.1194:
	global_load_dword v3, v[0:1], off
	s_mov_b64 s[48:49], 0
	s_waitcnt vmcnt(0)
	v_cvt_f32_u32_e32 v3, v3
	s_branch .LBB102_1197
.LBB102_1195:
	s_mov_b64 s[48:49], -1
                                        ; implicit-def: $vgpr3
	s_branch .LBB102_1200
.LBB102_1196:
	s_mov_b64 s[48:49], -1
                                        ; implicit-def: $vgpr3
.LBB102_1197:
	s_andn2_b64 vcc, exec, s[48:49]
	s_cbranch_vccnz .LBB102_1199
; %bb.1198:
	global_load_ushort v3, v[0:1], off
	s_waitcnt vmcnt(0)
	v_cvt_f32_u32_e32 v3, v3
.LBB102_1199:
	s_mov_b64 s[48:49], 0
.LBB102_1200:
	s_andn2_b64 vcc, exec, s[48:49]
	s_cbranch_vccnz .LBB102_1208
; %bb.1201:
	global_load_ubyte v4, v[0:1], off
	s_movk_i32 s48, 0x7f
	s_waitcnt vmcnt(0)
	v_cmp_lt_i16_e32 vcc, s48, v4
	s_mov_b64 s[48:49], 0
	s_and_saveexec_b64 s[50:51], vcc
	s_xor_b64 s[50:51], exec, s[50:51]
	s_cbranch_execz .LBB102_1222
; %bb.1202:
	s_movk_i32 s48, 0x80
	v_cmp_eq_u16_e32 vcc, s48, v4
	s_mov_b64 s[48:49], -1
	s_and_saveexec_b64 s[52:53], vcc
; %bb.1203:
	s_xor_b64 s[48:49], exec, -1
; %bb.1204:
	s_or_b64 exec, exec, s[52:53]
	s_and_b64 s[48:49], s[48:49], exec
	s_or_saveexec_b64 s[50:51], s[50:51]
	v_mov_b32_e32 v3, 0x7f800001
	s_xor_b64 exec, exec, s[50:51]
	s_cbranch_execnz .LBB102_1223
.LBB102_1205:
	s_or_b64 exec, exec, s[50:51]
	s_and_saveexec_b64 s[50:51], s[48:49]
	s_cbranch_execz .LBB102_1207
.LBB102_1206:
	v_lshlrev_b32_e32 v3, 24, v4
	v_and_b32_e32 v4, 0xffff, v4
	v_and_b32_e32 v5, 7, v4
	v_ffbh_u32_e32 v7, v5
	v_min_u32_e32 v7, 32, v7
	v_subrev_u32_e32 v8, 28, v7
	v_bfe_u32 v6, v4, 3, 4
	v_lshlrev_b32_e32 v4, v8, v4
	v_sub_u32_e32 v7, 29, v7
	v_and_b32_e32 v4, 7, v4
	v_cmp_eq_u32_e32 vcc, 0, v6
	v_cndmask_b32_e32 v6, v6, v7, vcc
	v_cndmask_b32_e32 v4, v5, v4, vcc
	v_mov_b32_e32 v5, 0x3b800000
	v_lshlrev_b32_e32 v4, 20, v4
	v_and_b32_e32 v3, 0x80000000, v3
	v_lshl_add_u32 v5, v6, 23, v5
	v_or3_b32 v3, v3, v5, v4
.LBB102_1207:
	s_or_b64 exec, exec, s[50:51]
.LBB102_1208:
	s_mov_b64 s[48:49], -1
.LBB102_1209:
	s_mov_b64 s[50:51], 0
.LBB102_1210:
	s_and_b64 vcc, exec, s[50:51]
	s_cbranch_vccz .LBB102_1243
; %bb.1211:
	s_cmp_gt_i32 s54, 22
	s_cbranch_scc0 .LBB102_1221
; %bb.1212:
	s_cmp_lt_i32 s54, 24
	s_cbranch_scc1 .LBB102_1224
; %bb.1213:
	s_cmp_gt_i32 s54, 24
	s_cbranch_scc0 .LBB102_1225
; %bb.1214:
	global_load_ubyte v4, v[0:1], off
	s_movk_i32 s46, 0x7f
	s_waitcnt vmcnt(0)
	v_cmp_lt_i16_e32 vcc, s46, v4
	s_mov_b64 s[46:47], 0
	s_and_saveexec_b64 s[48:49], vcc
	s_xor_b64 s[48:49], exec, s[48:49]
	s_cbranch_execz .LBB102_1237
; %bb.1215:
	s_movk_i32 s46, 0x80
	v_cmp_eq_u16_e32 vcc, s46, v4
	s_mov_b64 s[46:47], -1
	s_and_saveexec_b64 s[50:51], vcc
; %bb.1216:
	s_xor_b64 s[46:47], exec, -1
; %bb.1217:
	s_or_b64 exec, exec, s[50:51]
	s_and_b64 s[46:47], s[46:47], exec
	s_or_saveexec_b64 s[48:49], s[48:49]
	v_mov_b32_e32 v3, 0x7f800001
	s_xor_b64 exec, exec, s[48:49]
	s_cbranch_execnz .LBB102_1238
.LBB102_1218:
	s_or_b64 exec, exec, s[48:49]
	s_and_saveexec_b64 s[48:49], s[46:47]
	s_cbranch_execz .LBB102_1220
.LBB102_1219:
	v_lshlrev_b32_e32 v3, 24, v4
	v_and_b32_e32 v4, 0xffff, v4
	v_and_b32_e32 v5, 3, v4
	v_ffbh_u32_e32 v7, v5
	v_min_u32_e32 v7, 32, v7
	v_subrev_u32_e32 v8, 29, v7
	v_bfe_u32 v6, v4, 2, 5
	v_lshlrev_b32_e32 v4, v8, v4
	v_sub_u32_e32 v7, 30, v7
	v_and_b32_e32 v4, 3, v4
	v_cmp_eq_u32_e32 vcc, 0, v6
	v_cndmask_b32_e32 v6, v6, v7, vcc
	v_cndmask_b32_e32 v4, v5, v4, vcc
	v_mov_b32_e32 v5, 0x37800000
	v_lshlrev_b32_e32 v4, 21, v4
	v_and_b32_e32 v3, 0x80000000, v3
	v_lshl_add_u32 v5, v6, 23, v5
	v_or3_b32 v3, v3, v5, v4
.LBB102_1220:
	s_or_b64 exec, exec, s[48:49]
	s_mov_b64 s[46:47], 0
	s_branch .LBB102_1226
.LBB102_1221:
	s_mov_b64 s[46:47], -1
                                        ; implicit-def: $vgpr3
	s_branch .LBB102_1232
.LBB102_1222:
	s_or_saveexec_b64 s[50:51], s[50:51]
	v_mov_b32_e32 v3, 0x7f800001
	s_xor_b64 exec, exec, s[50:51]
	s_cbranch_execz .LBB102_1205
.LBB102_1223:
	v_cmp_ne_u16_e32 vcc, 0, v4
	s_andn2_b64 s[48:49], s[48:49], exec
	s_and_b64 s[52:53], vcc, exec
	v_mov_b32_e32 v3, 0
	s_or_b64 s[48:49], s[48:49], s[52:53]
	s_or_b64 exec, exec, s[50:51]
	s_and_saveexec_b64 s[50:51], s[48:49]
	s_cbranch_execnz .LBB102_1206
	s_branch .LBB102_1207
.LBB102_1224:
	s_mov_b64 s[46:47], -1
                                        ; implicit-def: $vgpr3
	s_branch .LBB102_1229
.LBB102_1225:
	s_mov_b64 s[46:47], -1
                                        ; implicit-def: $vgpr3
.LBB102_1226:
	s_and_b64 vcc, exec, s[46:47]
	s_cbranch_vccz .LBB102_1228
; %bb.1227:
	global_load_ubyte v3, v[0:1], off
	s_mov_b32 s46, 0x7f800000
	s_waitcnt vmcnt(0)
	v_lshlrev_b32_e32 v3, 24, v3
	v_and_b32_e32 v4, 0x7f000000, v3
	v_ffbh_u32_e32 v5, v4
	v_min_u32_e32 v5, 32, v5
	v_sub_u32_e64 v5, v5, 4 clamp
	v_lshlrev_b32_e32 v7, v5, v4
	v_lshlrev_b32_e32 v5, 23, v5
	v_lshrrev_b32_e32 v7, 4, v7
	v_add_u32_e32 v6, 0x1000000, v4
	v_sub_u32_e32 v5, v7, v5
	v_ashrrev_i32_e32 v6, 8, v6
	v_add_u32_e32 v5, 0x3c000000, v5
	v_and_or_b32 v5, v6, s46, v5
	v_cmp_ne_u32_e32 vcc, 0, v4
	v_cndmask_b32_e32 v4, 0, v5, vcc
	s_brev_b32 s46, 1
	v_and_or_b32 v3, v3, s46, v4
.LBB102_1228:
	s_mov_b64 s[46:47], 0
.LBB102_1229:
	s_andn2_b64 vcc, exec, s[46:47]
	s_cbranch_vccnz .LBB102_1231
; %bb.1230:
	global_load_ubyte v3, v[0:1], off
	s_movk_i32 s46, 0x7f00
	s_brev_b32 s47, 16
	s_waitcnt vmcnt(0)
	v_lshlrev_b16_e32 v4, 8, v3
	v_lshlrev_b32_e32 v3, 25, v3
	v_lshrrev_b32_e32 v5, 4, v3
	v_and_or_b32 v6, v4, s46, 0.5
	v_or_b32_e32 v5, 0x70000000, v5
	v_add_f32_e32 v6, -0.5, v6
	v_mul_f32_e32 v5, 0x7800000, v5
	v_cmp_gt_u32_e32 vcc, s47, v3
	v_bfe_i32 v4, v4, 0, 16
	v_cndmask_b32_e32 v3, v5, v6, vcc
	s_brev_b32 s46, 1
	v_and_or_b32 v3, v4, s46, v3
.LBB102_1231:
	s_mov_b64 s[46:47], 0
	s_mov_b64 s[48:49], -1
.LBB102_1232:
	s_andn2_b64 vcc, exec, s[46:47]
	s_mov_b64 s[46:47], 0
	s_cbranch_vccnz .LBB102_1243
; %bb.1233:
	s_cmp_gt_i32 s54, 14
	s_cbranch_scc0 .LBB102_1236
; %bb.1234:
	s_cmp_eq_u32 s54, 15
	s_cbranch_scc0 .LBB102_1239
; %bb.1235:
	global_load_ushort v3, v[0:1], off
	s_mov_b64 s[42:43], 0
	s_mov_b64 s[48:49], -1
	s_waitcnt vmcnt(0)
	v_lshlrev_b32_e32 v3, 16, v3
	s_branch .LBB102_1240
.LBB102_1236:
	s_mov_b64 s[50:51], -1
                                        ; implicit-def: $vgpr3
	s_branch .LBB102_1241
.LBB102_1237:
	s_or_saveexec_b64 s[48:49], s[48:49]
	v_mov_b32_e32 v3, 0x7f800001
	s_xor_b64 exec, exec, s[48:49]
	s_cbranch_execz .LBB102_1218
.LBB102_1238:
	v_cmp_ne_u16_e32 vcc, 0, v4
	s_andn2_b64 s[46:47], s[46:47], exec
	s_and_b64 s[50:51], vcc, exec
	v_mov_b32_e32 v3, 0
	s_or_b64 s[46:47], s[46:47], s[50:51]
	s_or_b64 exec, exec, s[48:49]
	s_and_saveexec_b64 s[48:49], s[46:47]
	s_cbranch_execnz .LBB102_1219
	s_branch .LBB102_1220
.LBB102_1239:
	s_mov_b64 s[42:43], -1
                                        ; implicit-def: $vgpr3
.LBB102_1240:
	s_mov_b64 s[50:51], 0
.LBB102_1241:
	s_and_b64 vcc, exec, s[50:51]
	s_cbranch_vccz .LBB102_1243
; %bb.1242:
	s_cmp_lg_u32 s54, 11
	s_cselect_b64 s[50:51], -1, 0
	s_andn2_b64 s[42:43], s[42:43], exec
	s_and_b64 s[50:51], s[50:51], exec
	s_mov_b64 s[46:47], -1
	s_or_b64 s[42:43], s[42:43], s[50:51]
.LBB102_1243:
	s_mov_b64 s[50:51], 0
.LBB102_1244:
	s_and_b64 s[54:55], s[48:49], exec
	s_and_b64 s[48:49], s[46:47], exec
	s_andn2_b64 s[46:47], s[2:3], exec
	s_and_b64 s[42:43], s[42:43], exec
	s_and_b64 s[52:53], s[50:51], exec
	s_or_b64 s[50:51], s[46:47], s[42:43]
.LBB102_1245:
	s_or_b64 exec, exec, s[40:41]
	s_and_b64 s[42:43], s[48:49], exec
	s_andn2_b64 s[2:3], s[2:3], exec
	s_and_b64 s[48:49], s[50:51], exec
	s_and_b64 s[40:41], s[54:55], exec
	s_and_b64 s[46:47], s[52:53], exec
	s_or_b64 s[2:3], s[2:3], s[48:49]
.LBB102_1246:
	s_or_b64 exec, exec, s[38:39]
	s_andn2_b64 s[34:35], s[34:35], exec
	s_and_b64 s[38:39], s[44:45], exec
	s_andn2_b64 s[30:31], s[30:31], exec
	s_and_b64 s[4:5], s[4:5], exec
	;; [unrolled: 2-line block ×3, first 2 shown]
	s_or_b64 s[34:35], s[34:35], s[38:39]
	s_or_b64 s[30:31], s[30:31], s[4:5]
	s_and_b64 s[40:41], s[40:41], exec
	s_and_b64 s[38:39], s[46:47], exec
	;; [unrolled: 1-line block ×3, first 2 shown]
	s_or_b64 s[28:29], s[28:29], s[2:3]
.LBB102_1247:
	s_or_b64 exec, exec, s[36:37]
	s_andn2_b64 s[2:3], s[20:21], exec
	s_and_b64 s[20:21], s[34:35], exec
	s_or_b64 s[20:21], s[2:3], s[20:21]
	s_andn2_b64 s[2:3], s[22:23], exec
	s_and_b64 s[22:23], s[30:31], exec
	s_or_b64 s[22:23], s[2:3], s[22:23]
	s_and_b64 s[30:31], s[4:5], exec
	s_andn2_b64 s[2:3], s[24:25], exec
	s_and_b64 s[4:5], s[28:29], exec
	s_and_b64 s[34:35], s[40:41], exec
	s_and_b64 s[36:37], s[38:39], exec
	s_or_b64 s[24:25], s[2:3], s[4:5]
	s_or_b64 exec, exec, s[26:27]
	s_mov_b64 s[2:3], 0
	s_and_saveexec_b64 s[4:5], s[24:25]
	s_cbranch_execz .LBB102_393
.LBB102_1248:
	s_mov_b64 s[2:3], exec
	s_andn2_b64 s[30:31], s[30:31], exec
	s_trap 2
	s_or_b64 exec, exec, s[4:5]
	s_and_saveexec_b64 s[4:5], s[30:31]
	s_xor_b64 s[4:5], exec, s[4:5]
	s_cbranch_execnz .LBB102_394
.LBB102_1249:
	s_or_b64 exec, exec, s[4:5]
	s_and_saveexec_b64 s[4:5], s[36:37]
	s_cbranch_execz .LBB102_1295
.LBB102_1250:
	s_sext_i32_i16 s24, s58
	s_cmp_lt_i32 s24, 5
	s_cbranch_scc1 .LBB102_1255
; %bb.1251:
	s_cmp_lt_i32 s24, 8
	s_cbranch_scc1 .LBB102_1256
; %bb.1252:
	;; [unrolled: 3-line block ×3, first 2 shown]
	s_cmp_gt_i32 s24, 9
	s_cbranch_scc0 .LBB102_1258
; %bb.1254:
	global_load_dwordx2 v[3:4], v[0:1], off
	s_mov_b64 s[24:25], 0
	s_waitcnt vmcnt(0)
	v_cvt_f32_f64_e32 v3, v[3:4]
	s_branch .LBB102_1259
.LBB102_1255:
                                        ; implicit-def: $vgpr3
	s_branch .LBB102_1276
.LBB102_1256:
                                        ; implicit-def: $vgpr3
	s_branch .LBB102_1265
.LBB102_1257:
	s_mov_b64 s[24:25], -1
                                        ; implicit-def: $vgpr3
	s_branch .LBB102_1262
.LBB102_1258:
	s_mov_b64 s[24:25], -1
                                        ; implicit-def: $vgpr3
.LBB102_1259:
	s_andn2_b64 vcc, exec, s[24:25]
	s_cbranch_vccnz .LBB102_1261
; %bb.1260:
	global_load_dword v3, v[0:1], off
.LBB102_1261:
	s_mov_b64 s[24:25], 0
.LBB102_1262:
	s_andn2_b64 vcc, exec, s[24:25]
	s_cbranch_vccnz .LBB102_1264
; %bb.1263:
	global_load_dword v3, v[0:1], off
	s_waitcnt vmcnt(0)
	v_cvt_f32_f16_e32 v3, v3
.LBB102_1264:
	s_cbranch_execnz .LBB102_1275
.LBB102_1265:
	s_sext_i32_i16 s24, s58
	s_cmp_lt_i32 s24, 6
	s_cbranch_scc1 .LBB102_1268
; %bb.1266:
	s_cmp_gt_i32 s24, 6
	s_cbranch_scc0 .LBB102_1269
; %bb.1267:
	global_load_dwordx2 v[3:4], v[0:1], off
	s_mov_b64 s[24:25], 0
	s_waitcnt vmcnt(0)
	v_cvt_f32_f64_e32 v3, v[3:4]
	s_branch .LBB102_1270
.LBB102_1268:
	s_mov_b64 s[24:25], -1
                                        ; implicit-def: $vgpr3
	s_branch .LBB102_1273
.LBB102_1269:
	s_mov_b64 s[24:25], -1
                                        ; implicit-def: $vgpr3
.LBB102_1270:
	s_andn2_b64 vcc, exec, s[24:25]
	s_cbranch_vccnz .LBB102_1272
; %bb.1271:
	global_load_dword v3, v[0:1], off
.LBB102_1272:
	s_mov_b64 s[24:25], 0
.LBB102_1273:
	s_andn2_b64 vcc, exec, s[24:25]
	s_cbranch_vccnz .LBB102_1275
; %bb.1274:
	global_load_ushort v3, v[0:1], off
	s_waitcnt vmcnt(0)
	v_cvt_f32_f16_e32 v3, v3
.LBB102_1275:
	s_cbranch_execnz .LBB102_1294
.LBB102_1276:
	s_sext_i32_i16 s24, s58
	s_cmp_lt_i32 s24, 2
	s_cbranch_scc1 .LBB102_1280
; %bb.1277:
	s_cmp_lt_i32 s24, 3
	s_cbranch_scc1 .LBB102_1281
; %bb.1278:
	s_cmp_gt_i32 s24, 3
	s_cbranch_scc0 .LBB102_1282
; %bb.1279:
	global_load_dwordx2 v[3:4], v[0:1], off
	s_mov_b64 s[24:25], 0
	s_waitcnt vmcnt(0)
	v_xor_b32_e32 v6, v3, v4
	v_ffbh_i32_e32 v5, v4
	v_ashrrev_i32_e32 v6, 31, v6
	v_add_u32_e32 v5, -1, v5
	v_add_u32_e32 v6, 32, v6
	v_min_u32_e32 v5, v5, v6
	v_lshlrev_b64 v[3:4], v5, v[3:4]
	v_min_u32_e32 v3, 1, v3
	v_or_b32_e32 v3, v4, v3
	v_cvt_f32_i32_e32 v3, v3
	v_sub_u32_e32 v4, 32, v5
	v_ldexp_f32 v3, v3, v4
	s_branch .LBB102_1283
.LBB102_1280:
                                        ; implicit-def: $vgpr3
	s_branch .LBB102_1289
.LBB102_1281:
	s_mov_b64 s[24:25], -1
                                        ; implicit-def: $vgpr3
	s_branch .LBB102_1286
.LBB102_1282:
	s_mov_b64 s[24:25], -1
                                        ; implicit-def: $vgpr3
.LBB102_1283:
	s_andn2_b64 vcc, exec, s[24:25]
	s_cbranch_vccnz .LBB102_1285
; %bb.1284:
	global_load_dword v3, v[0:1], off
	s_waitcnt vmcnt(0)
	v_cvt_f32_i32_e32 v3, v3
.LBB102_1285:
	s_mov_b64 s[24:25], 0
.LBB102_1286:
	s_andn2_b64 vcc, exec, s[24:25]
	s_cbranch_vccnz .LBB102_1288
; %bb.1287:
	global_load_sshort v3, v[0:1], off
	s_waitcnt vmcnt(0)
	v_cvt_f32_i32_e32 v3, v3
.LBB102_1288:
	s_cbranch_execnz .LBB102_1294
.LBB102_1289:
	s_sext_i32_i16 s24, s58
	s_cmp_gt_i32 s24, 0
	s_cbranch_scc0 .LBB102_1291
; %bb.1290:
	global_load_sbyte v3, v[0:1], off
	s_mov_b64 s[24:25], 0
	s_waitcnt vmcnt(0)
	v_cvt_f32_i32_e32 v3, v3
	s_branch .LBB102_1292
.LBB102_1291:
	s_mov_b64 s[24:25], -1
                                        ; implicit-def: $vgpr3
.LBB102_1292:
	s_andn2_b64 vcc, exec, s[24:25]
	s_cbranch_vccnz .LBB102_1294
; %bb.1293:
	global_load_ubyte v0, v[0:1], off
	s_waitcnt vmcnt(0)
	v_cvt_f32_ubyte0_e32 v3, v0
.LBB102_1294:
	s_or_b64 s[34:35], s[34:35], exec
.LBB102_1295:
	s_or_b64 exec, exec, s[4:5]
	s_mov_b64 s[26:27], 0
	s_mov_b64 s[30:31], 0
	;; [unrolled: 1-line block ×3, first 2 shown]
                                        ; implicit-def: $sgpr36
                                        ; implicit-def: $vgpr0_vgpr1
                                        ; implicit-def: $vgpr4
	s_and_saveexec_b64 s[4:5], s[34:35]
	s_cbranch_execz .LBB102_1303
; %bb.1296:
	v_mul_lo_u32 v0, v2, s14
	v_mov_b32_e32 v1, s17
	s_and_b32 s36, s56, 0xff
	s_cmp_lt_i32 s36, 11
	s_waitcnt vmcnt(0)
	v_ashrrev_i32_e32 v4, 31, v0
	v_add_co_u32_e32 v0, vcc, s16, v0
	v_addc_co_u32_e32 v1, vcc, v1, v4, vcc
	s_cbranch_scc1 .LBB102_1306
; %bb.1297:
	s_and_b32 s37, 0xffff, s36
	s_cmp_gt_i32 s37, 25
	s_cbranch_scc0 .LBB102_1307
; %bb.1298:
	s_cmp_gt_i32 s37, 28
	s_cbranch_scc0 .LBB102_1308
; %bb.1299:
	s_cmp_gt_i32 s37, 43
	s_cbranch_scc0 .LBB102_1309
; %bb.1300:
	s_cmp_gt_i32 s37, 45
	s_cbranch_scc0 .LBB102_1310
; %bb.1301:
	s_cmp_eq_u32 s37, 46
	s_cbranch_scc0 .LBB102_1311
; %bb.1302:
	global_load_dword v4, v[0:1], off
	s_mov_b64 s[24:25], 0
	s_mov_b64 s[28:29], -1
	s_waitcnt vmcnt(0)
	v_lshlrev_b32_e32 v4, 16, v4
	s_branch .LBB102_1313
.LBB102_1303:
	s_or_b64 exec, exec, s[4:5]
	s_and_saveexec_b64 s[4:5], s[22:23]
	s_cbranch_execnz .LBB102_1376
.LBB102_1304:
	s_or_b64 exec, exec, s[4:5]
	s_and_saveexec_b64 s[4:5], s[26:27]
	s_xor_b64 s[4:5], exec, s[4:5]
	s_cbranch_execz .LBB102_1377
.LBB102_1305:
	global_load_ubyte v4, v[0:1], off
	s_or_b64 s[28:29], s[28:29], exec
	s_waitcnt vmcnt(0)
	v_cmp_ne_u16_e32 vcc, 0, v4
	v_cndmask_b32_e64 v4, 0, 1.0, vcc
	s_or_b64 exec, exec, s[4:5]
	s_and_saveexec_b64 s[4:5], s[30:31]
	s_cbranch_execz .LBB102_1423
	s_branch .LBB102_1378
.LBB102_1306:
	s_mov_b64 s[30:31], -1
                                        ; implicit-def: $vgpr4
	s_mov_b64 s[24:25], s[22:23]
	s_branch .LBB102_1375
.LBB102_1307:
	s_mov_b64 s[24:25], s[22:23]
                                        ; implicit-def: $vgpr4
	s_cbranch_execnz .LBB102_1342
	s_branch .LBB102_1374
.LBB102_1308:
	s_mov_b64 s[30:31], -1
	s_mov_b64 s[24:25], s[22:23]
                                        ; implicit-def: $vgpr4
	s_branch .LBB102_1323
.LBB102_1309:
	s_mov_b64 s[30:31], -1
	s_mov_b64 s[24:25], s[22:23]
                                        ; implicit-def: $vgpr4
	s_branch .LBB102_1318
.LBB102_1310:
	s_mov_b64 s[30:31], -1
	s_mov_b64 s[24:25], s[22:23]
	s_branch .LBB102_1312
.LBB102_1311:
	s_mov_b64 s[24:25], -1
.LBB102_1312:
                                        ; implicit-def: $vgpr4
.LBB102_1313:
	s_and_b64 vcc, exec, s[30:31]
	s_cbranch_vccz .LBB102_1317
; %bb.1314:
	s_cmp_eq_u32 s37, 44
	s_cbranch_scc0 .LBB102_1316
; %bb.1315:
	global_load_ubyte v4, v[0:1], off
	s_movk_i32 s28, 0xff
	v_mov_b32_e32 v5, 0x7f800001
	v_mov_b32_e32 v6, 0x400000
	s_mov_b64 s[24:25], 0
	s_waitcnt vmcnt(0)
	v_lshlrev_b32_e32 v7, 23, v4
	v_cmp_ne_u32_e32 vcc, s28, v4
	v_cndmask_b32_e32 v5, v5, v7, vcc
	v_cmp_ne_u32_e32 vcc, 0, v4
	v_cndmask_b32_e32 v4, v6, v5, vcc
	s_mov_b64 s[28:29], -1
	s_branch .LBB102_1317
.LBB102_1316:
	s_mov_b64 s[24:25], -1
                                        ; implicit-def: $vgpr4
.LBB102_1317:
	s_mov_b64 s[30:31], 0
.LBB102_1318:
	s_and_b64 vcc, exec, s[30:31]
	s_cbranch_vccz .LBB102_1322
; %bb.1319:
	s_cmp_eq_u32 s37, 29
	s_cbranch_scc0 .LBB102_1321
; %bb.1320:
	global_load_dwordx2 v[4:5], v[0:1], off
	s_mov_b64 s[24:25], 0
	s_mov_b64 s[28:29], -1
	s_mov_b64 s[30:31], 0
	s_waitcnt vmcnt(0)
	v_ffbh_u32_e32 v6, v5
	v_min_u32_e32 v6, 32, v6
	v_lshlrev_b64 v[4:5], v6, v[4:5]
	v_min_u32_e32 v4, 1, v4
	v_or_b32_e32 v4, v5, v4
	v_cvt_f32_u32_e32 v4, v4
	v_sub_u32_e32 v5, 32, v6
	v_ldexp_f32 v4, v4, v5
	s_branch .LBB102_1323
.LBB102_1321:
	s_mov_b64 s[24:25], -1
                                        ; implicit-def: $vgpr4
.LBB102_1322:
	s_mov_b64 s[30:31], 0
.LBB102_1323:
	s_and_b64 vcc, exec, s[30:31]
	s_cbranch_vccz .LBB102_1341
; %bb.1324:
	s_cmp_lt_i32 s37, 27
	s_cbranch_scc1 .LBB102_1327
; %bb.1325:
	s_cmp_gt_i32 s37, 27
	s_cbranch_scc0 .LBB102_1328
; %bb.1326:
	global_load_dword v4, v[0:1], off
	s_mov_b64 s[28:29], 0
	s_waitcnt vmcnt(0)
	v_cvt_f32_u32_e32 v4, v4
	s_branch .LBB102_1329
.LBB102_1327:
	s_mov_b64 s[28:29], -1
                                        ; implicit-def: $vgpr4
	s_branch .LBB102_1332
.LBB102_1328:
	s_mov_b64 s[28:29], -1
                                        ; implicit-def: $vgpr4
.LBB102_1329:
	s_andn2_b64 vcc, exec, s[28:29]
	s_cbranch_vccnz .LBB102_1331
; %bb.1330:
	global_load_ushort v4, v[0:1], off
	s_waitcnt vmcnt(0)
	v_cvt_f32_u32_e32 v4, v4
.LBB102_1331:
	s_mov_b64 s[28:29], 0
.LBB102_1332:
	s_andn2_b64 vcc, exec, s[28:29]
	s_cbranch_vccnz .LBB102_1340
; %bb.1333:
	global_load_ubyte v5, v[0:1], off
	s_movk_i32 s28, 0x7f
	s_waitcnt vmcnt(0)
	v_cmp_lt_i16_e32 vcc, s28, v5
	s_mov_b64 s[28:29], 0
	s_and_saveexec_b64 s[30:31], vcc
	s_xor_b64 s[30:31], exec, s[30:31]
	s_cbranch_execz .LBB102_1353
; %bb.1334:
	s_movk_i32 s28, 0x80
	v_cmp_eq_u16_e32 vcc, s28, v5
	s_mov_b64 s[28:29], -1
	s_and_saveexec_b64 s[34:35], vcc
; %bb.1335:
	s_xor_b64 s[28:29], exec, -1
; %bb.1336:
	s_or_b64 exec, exec, s[34:35]
	s_and_b64 s[28:29], s[28:29], exec
	s_or_saveexec_b64 s[30:31], s[30:31]
	v_mov_b32_e32 v4, 0x7f800001
	s_xor_b64 exec, exec, s[30:31]
	s_cbranch_execnz .LBB102_1354
.LBB102_1337:
	s_or_b64 exec, exec, s[30:31]
	s_and_saveexec_b64 s[30:31], s[28:29]
	s_cbranch_execz .LBB102_1339
.LBB102_1338:
	v_lshlrev_b32_e32 v4, 24, v5
	v_and_b32_e32 v5, 0xffff, v5
	v_and_b32_e32 v6, 7, v5
	v_ffbh_u32_e32 v8, v6
	v_min_u32_e32 v8, 32, v8
	v_subrev_u32_e32 v9, 28, v8
	v_bfe_u32 v7, v5, 3, 4
	v_lshlrev_b32_e32 v5, v9, v5
	v_sub_u32_e32 v8, 29, v8
	v_and_b32_e32 v5, 7, v5
	v_cmp_eq_u32_e32 vcc, 0, v7
	v_cndmask_b32_e32 v7, v7, v8, vcc
	v_cndmask_b32_e32 v5, v6, v5, vcc
	v_mov_b32_e32 v6, 0x3b800000
	v_lshlrev_b32_e32 v5, 20, v5
	v_and_b32_e32 v4, 0x80000000, v4
	v_lshl_add_u32 v6, v7, 23, v6
	v_or3_b32 v4, v4, v6, v5
.LBB102_1339:
	s_or_b64 exec, exec, s[30:31]
.LBB102_1340:
	s_mov_b64 s[28:29], -1
.LBB102_1341:
	s_branch .LBB102_1374
.LBB102_1342:
	s_cmp_gt_i32 s37, 22
	s_cbranch_scc0 .LBB102_1352
; %bb.1343:
	s_cmp_lt_i32 s37, 24
	s_cbranch_scc1 .LBB102_1355
; %bb.1344:
	s_cmp_gt_i32 s37, 24
	s_cbranch_scc0 .LBB102_1356
; %bb.1345:
	global_load_ubyte v5, v[0:1], off
	s_movk_i32 s26, 0x7f
	s_waitcnt vmcnt(0)
	v_cmp_lt_i16_e32 vcc, s26, v5
	s_mov_b64 s[26:27], 0
	s_and_saveexec_b64 s[28:29], vcc
	s_xor_b64 s[28:29], exec, s[28:29]
	s_cbranch_execz .LBB102_1368
; %bb.1346:
	s_movk_i32 s26, 0x80
	v_cmp_eq_u16_e32 vcc, s26, v5
	s_mov_b64 s[26:27], -1
	s_and_saveexec_b64 s[30:31], vcc
; %bb.1347:
	s_xor_b64 s[26:27], exec, -1
; %bb.1348:
	s_or_b64 exec, exec, s[30:31]
	s_and_b64 s[26:27], s[26:27], exec
	s_or_saveexec_b64 s[28:29], s[28:29]
	v_mov_b32_e32 v4, 0x7f800001
	s_xor_b64 exec, exec, s[28:29]
	s_cbranch_execnz .LBB102_1369
.LBB102_1349:
	s_or_b64 exec, exec, s[28:29]
	s_and_saveexec_b64 s[28:29], s[26:27]
	s_cbranch_execz .LBB102_1351
.LBB102_1350:
	v_lshlrev_b32_e32 v4, 24, v5
	v_and_b32_e32 v5, 0xffff, v5
	v_and_b32_e32 v6, 3, v5
	v_ffbh_u32_e32 v8, v6
	v_min_u32_e32 v8, 32, v8
	v_subrev_u32_e32 v9, 29, v8
	v_bfe_u32 v7, v5, 2, 5
	v_lshlrev_b32_e32 v5, v9, v5
	v_sub_u32_e32 v8, 30, v8
	v_and_b32_e32 v5, 3, v5
	v_cmp_eq_u32_e32 vcc, 0, v7
	v_cndmask_b32_e32 v7, v7, v8, vcc
	v_cndmask_b32_e32 v5, v6, v5, vcc
	v_mov_b32_e32 v6, 0x37800000
	v_lshlrev_b32_e32 v5, 21, v5
	v_and_b32_e32 v4, 0x80000000, v4
	v_lshl_add_u32 v6, v7, 23, v6
	v_or3_b32 v4, v4, v6, v5
.LBB102_1351:
	s_or_b64 exec, exec, s[28:29]
	s_mov_b64 s[26:27], 0
	s_branch .LBB102_1357
.LBB102_1352:
	s_mov_b64 s[26:27], -1
                                        ; implicit-def: $vgpr4
	s_branch .LBB102_1363
.LBB102_1353:
	s_or_saveexec_b64 s[30:31], s[30:31]
	v_mov_b32_e32 v4, 0x7f800001
	s_xor_b64 exec, exec, s[30:31]
	s_cbranch_execz .LBB102_1337
.LBB102_1354:
	v_cmp_ne_u16_e32 vcc, 0, v5
	s_andn2_b64 s[28:29], s[28:29], exec
	s_and_b64 s[34:35], vcc, exec
	v_mov_b32_e32 v4, 0
	s_or_b64 s[28:29], s[28:29], s[34:35]
	s_or_b64 exec, exec, s[30:31]
	s_and_saveexec_b64 s[30:31], s[28:29]
	s_cbranch_execnz .LBB102_1338
	s_branch .LBB102_1339
.LBB102_1355:
	s_mov_b64 s[26:27], -1
                                        ; implicit-def: $vgpr4
	s_branch .LBB102_1360
.LBB102_1356:
	s_mov_b64 s[26:27], -1
                                        ; implicit-def: $vgpr4
.LBB102_1357:
	s_and_b64 vcc, exec, s[26:27]
	s_cbranch_vccz .LBB102_1359
; %bb.1358:
	global_load_ubyte v4, v[0:1], off
	s_mov_b32 s26, 0x7f800000
	s_waitcnt vmcnt(0)
	v_lshlrev_b32_e32 v4, 24, v4
	v_and_b32_e32 v5, 0x7f000000, v4
	v_ffbh_u32_e32 v6, v5
	v_min_u32_e32 v6, 32, v6
	v_sub_u32_e64 v6, v6, 4 clamp
	v_lshlrev_b32_e32 v8, v6, v5
	v_lshlrev_b32_e32 v6, 23, v6
	v_lshrrev_b32_e32 v8, 4, v8
	v_add_u32_e32 v7, 0x1000000, v5
	v_sub_u32_e32 v6, v8, v6
	v_ashrrev_i32_e32 v7, 8, v7
	v_add_u32_e32 v6, 0x3c000000, v6
	v_and_or_b32 v6, v7, s26, v6
	v_cmp_ne_u32_e32 vcc, 0, v5
	v_cndmask_b32_e32 v5, 0, v6, vcc
	s_brev_b32 s26, 1
	v_and_or_b32 v4, v4, s26, v5
.LBB102_1359:
	s_mov_b64 s[26:27], 0
.LBB102_1360:
	s_andn2_b64 vcc, exec, s[26:27]
	s_cbranch_vccnz .LBB102_1362
; %bb.1361:
	global_load_ubyte v4, v[0:1], off
	s_movk_i32 s26, 0x7f00
	s_brev_b32 s27, 16
	s_waitcnt vmcnt(0)
	v_lshlrev_b16_e32 v5, 8, v4
	v_lshlrev_b32_e32 v4, 25, v4
	v_lshrrev_b32_e32 v6, 4, v4
	v_and_or_b32 v7, v5, s26, 0.5
	v_or_b32_e32 v6, 0x70000000, v6
	v_add_f32_e32 v7, -0.5, v7
	v_mul_f32_e32 v6, 0x7800000, v6
	v_cmp_gt_u32_e32 vcc, s27, v4
	v_bfe_i32 v5, v5, 0, 16
	v_cndmask_b32_e32 v4, v6, v7, vcc
	s_brev_b32 s26, 1
	v_and_or_b32 v4, v5, s26, v4
.LBB102_1362:
	s_mov_b64 s[26:27], 0
	s_mov_b64 s[28:29], -1
.LBB102_1363:
	s_andn2_b64 vcc, exec, s[26:27]
	s_mov_b64 s[26:27], 0
	s_cbranch_vccnz .LBB102_1374
; %bb.1364:
	s_cmp_gt_i32 s37, 14
	s_cbranch_scc0 .LBB102_1367
; %bb.1365:
	s_cmp_eq_u32 s37, 15
	s_cbranch_scc0 .LBB102_1370
; %bb.1366:
	global_load_ushort v4, v[0:1], off
	s_mov_b64 s[24:25], 0
	s_mov_b64 s[28:29], -1
	s_waitcnt vmcnt(0)
	v_lshlrev_b32_e32 v4, 16, v4
	s_branch .LBB102_1371
.LBB102_1367:
	s_mov_b64 s[30:31], -1
                                        ; implicit-def: $vgpr4
	s_branch .LBB102_1372
.LBB102_1368:
	s_or_saveexec_b64 s[28:29], s[28:29]
	v_mov_b32_e32 v4, 0x7f800001
	s_xor_b64 exec, exec, s[28:29]
	s_cbranch_execz .LBB102_1349
.LBB102_1369:
	v_cmp_ne_u16_e32 vcc, 0, v5
	s_andn2_b64 s[26:27], s[26:27], exec
	s_and_b64 s[30:31], vcc, exec
	v_mov_b32_e32 v4, 0
	s_or_b64 s[26:27], s[26:27], s[30:31]
	s_or_b64 exec, exec, s[28:29]
	s_and_saveexec_b64 s[28:29], s[26:27]
	s_cbranch_execnz .LBB102_1350
	s_branch .LBB102_1351
.LBB102_1370:
	s_mov_b64 s[24:25], -1
                                        ; implicit-def: $vgpr4
.LBB102_1371:
	s_mov_b64 s[30:31], 0
.LBB102_1372:
	s_and_b64 vcc, exec, s[30:31]
	s_cbranch_vccz .LBB102_1374
; %bb.1373:
	s_cmp_lg_u32 s37, 11
	s_cselect_b64 s[30:31], -1, 0
	s_andn2_b64 s[24:25], s[24:25], exec
	s_and_b64 s[30:31], s[30:31], exec
	s_mov_b64 s[26:27], -1
	s_or_b64 s[24:25], s[24:25], s[30:31]
.LBB102_1374:
	s_mov_b64 s[30:31], 0
.LBB102_1375:
	s_andn2_b64 s[22:23], s[22:23], exec
	s_and_b64 s[24:25], s[24:25], exec
	s_and_b64 s[28:29], s[28:29], exec
	s_and_b64 s[30:31], s[30:31], exec
	s_and_b64 s[26:27], s[26:27], exec
	s_or_b64 s[22:23], s[22:23], s[24:25]
	s_or_b64 exec, exec, s[4:5]
	s_and_saveexec_b64 s[4:5], s[22:23]
	s_cbranch_execz .LBB102_1304
.LBB102_1376:
	s_or_b64 s[2:3], s[2:3], exec
	s_andn2_b64 s[26:27], s[26:27], exec
	s_trap 2
	s_or_b64 exec, exec, s[4:5]
	s_and_saveexec_b64 s[4:5], s[26:27]
	s_xor_b64 s[4:5], exec, s[4:5]
	s_cbranch_execnz .LBB102_1305
.LBB102_1377:
	s_or_b64 exec, exec, s[4:5]
	s_and_saveexec_b64 s[4:5], s[30:31]
	s_cbranch_execz .LBB102_1423
.LBB102_1378:
	s_sext_i32_i16 s22, s36
	s_cmp_lt_i32 s22, 5
	s_cbranch_scc1 .LBB102_1383
; %bb.1379:
	s_cmp_lt_i32 s22, 8
	s_cbranch_scc1 .LBB102_1384
; %bb.1380:
	;; [unrolled: 3-line block ×3, first 2 shown]
	s_cmp_gt_i32 s22, 9
	s_cbranch_scc0 .LBB102_1386
; %bb.1382:
	global_load_dwordx2 v[4:5], v[0:1], off
	s_mov_b64 s[22:23], 0
	s_waitcnt vmcnt(0)
	v_cvt_f32_f64_e32 v4, v[4:5]
	s_branch .LBB102_1387
.LBB102_1383:
                                        ; implicit-def: $vgpr4
	s_branch .LBB102_1404
.LBB102_1384:
                                        ; implicit-def: $vgpr4
	s_branch .LBB102_1393
.LBB102_1385:
	s_mov_b64 s[22:23], -1
                                        ; implicit-def: $vgpr4
	s_branch .LBB102_1390
.LBB102_1386:
	s_mov_b64 s[22:23], -1
                                        ; implicit-def: $vgpr4
.LBB102_1387:
	s_andn2_b64 vcc, exec, s[22:23]
	s_cbranch_vccnz .LBB102_1389
; %bb.1388:
	global_load_dword v4, v[0:1], off
.LBB102_1389:
	s_mov_b64 s[22:23], 0
.LBB102_1390:
	s_andn2_b64 vcc, exec, s[22:23]
	s_cbranch_vccnz .LBB102_1392
; %bb.1391:
	global_load_dword v4, v[0:1], off
	s_waitcnt vmcnt(0)
	v_cvt_f32_f16_e32 v4, v4
.LBB102_1392:
	s_cbranch_execnz .LBB102_1403
.LBB102_1393:
	s_sext_i32_i16 s22, s36
	s_cmp_lt_i32 s22, 6
	s_cbranch_scc1 .LBB102_1396
; %bb.1394:
	s_cmp_gt_i32 s22, 6
	s_cbranch_scc0 .LBB102_1397
; %bb.1395:
	global_load_dwordx2 v[4:5], v[0:1], off
	s_mov_b64 s[22:23], 0
	s_waitcnt vmcnt(0)
	v_cvt_f32_f64_e32 v4, v[4:5]
	s_branch .LBB102_1398
.LBB102_1396:
	s_mov_b64 s[22:23], -1
                                        ; implicit-def: $vgpr4
	s_branch .LBB102_1401
.LBB102_1397:
	s_mov_b64 s[22:23], -1
                                        ; implicit-def: $vgpr4
.LBB102_1398:
	s_andn2_b64 vcc, exec, s[22:23]
	s_cbranch_vccnz .LBB102_1400
; %bb.1399:
	global_load_dword v4, v[0:1], off
.LBB102_1400:
	s_mov_b64 s[22:23], 0
.LBB102_1401:
	s_andn2_b64 vcc, exec, s[22:23]
	s_cbranch_vccnz .LBB102_1403
; %bb.1402:
	global_load_ushort v4, v[0:1], off
	s_waitcnt vmcnt(0)
	v_cvt_f32_f16_e32 v4, v4
.LBB102_1403:
	s_cbranch_execnz .LBB102_1422
.LBB102_1404:
	s_sext_i32_i16 s22, s36
	s_cmp_lt_i32 s22, 2
	s_cbranch_scc1 .LBB102_1408
; %bb.1405:
	s_cmp_lt_i32 s22, 3
	s_cbranch_scc1 .LBB102_1409
; %bb.1406:
	s_cmp_gt_i32 s22, 3
	s_cbranch_scc0 .LBB102_1410
; %bb.1407:
	global_load_dwordx2 v[4:5], v[0:1], off
	s_mov_b64 s[22:23], 0
	s_waitcnt vmcnt(0)
	v_xor_b32_e32 v7, v4, v5
	v_ffbh_i32_e32 v6, v5
	v_ashrrev_i32_e32 v7, 31, v7
	v_add_u32_e32 v6, -1, v6
	v_add_u32_e32 v7, 32, v7
	v_min_u32_e32 v6, v6, v7
	v_lshlrev_b64 v[4:5], v6, v[4:5]
	v_min_u32_e32 v4, 1, v4
	v_or_b32_e32 v4, v5, v4
	v_cvt_f32_i32_e32 v4, v4
	v_sub_u32_e32 v5, 32, v6
	v_ldexp_f32 v4, v4, v5
	s_branch .LBB102_1411
.LBB102_1408:
                                        ; implicit-def: $vgpr4
	s_branch .LBB102_1417
.LBB102_1409:
	s_mov_b64 s[22:23], -1
                                        ; implicit-def: $vgpr4
	s_branch .LBB102_1414
.LBB102_1410:
	s_mov_b64 s[22:23], -1
                                        ; implicit-def: $vgpr4
.LBB102_1411:
	s_andn2_b64 vcc, exec, s[22:23]
	s_cbranch_vccnz .LBB102_1413
; %bb.1412:
	global_load_dword v4, v[0:1], off
	s_waitcnt vmcnt(0)
	v_cvt_f32_i32_e32 v4, v4
.LBB102_1413:
	s_mov_b64 s[22:23], 0
.LBB102_1414:
	s_andn2_b64 vcc, exec, s[22:23]
	s_cbranch_vccnz .LBB102_1416
; %bb.1415:
	global_load_sshort v4, v[0:1], off
	s_waitcnt vmcnt(0)
	v_cvt_f32_i32_e32 v4, v4
.LBB102_1416:
	s_cbranch_execnz .LBB102_1422
.LBB102_1417:
	s_sext_i32_i16 s22, s36
	s_cmp_gt_i32 s22, 0
	s_cbranch_scc0 .LBB102_1419
; %bb.1418:
	global_load_sbyte v4, v[0:1], off
	s_mov_b64 s[22:23], 0
	s_waitcnt vmcnt(0)
	v_cvt_f32_i32_e32 v4, v4
	s_branch .LBB102_1420
.LBB102_1419:
	s_mov_b64 s[22:23], -1
                                        ; implicit-def: $vgpr4
.LBB102_1420:
	s_andn2_b64 vcc, exec, s[22:23]
	s_cbranch_vccnz .LBB102_1422
; %bb.1421:
	global_load_ubyte v0, v[0:1], off
	s_waitcnt vmcnt(0)
	v_cvt_f32_ubyte0_e32 v4, v0
.LBB102_1422:
	s_or_b64 s[28:29], s[28:29], exec
.LBB102_1423:
	s_or_b64 exec, exec, s[4:5]
	s_mov_b64 s[26:27], 0
	s_mov_b64 s[24:25], 0
                                        ; implicit-def: $sgpr4_sgpr5
                                        ; implicit-def: $sgpr34
                                        ; implicit-def: $vgpr0_vgpr1
	s_and_saveexec_b64 s[22:23], s[28:29]
	s_cbranch_execz .LBB102_1498
; %bb.1424:
	s_waitcnt vmcnt(0)
	v_cmp_eq_f32_e32 vcc, v3, v4
	v_cndmask_b32_e64 v0, 0, 1, vcc
	v_cmp_neq_f32_e32 vcc, v3, v4
	v_mul_lo_u32 v2, v2, s12
	v_cndmask_b32_e64 v1, 0, 1, vcc
	v_cndmask_b32_e64 v0, v1, v0, s[0:1]
	v_and_b32_e32 v0, 1, v0
	v_cmp_eq_u32_e64 s[4:5], 1, v0
	v_ashrrev_i32_e32 v1, 31, v2
	v_mov_b32_e32 v3, s9
	s_and_b32 s34, s33, 0xff
	v_add_co_u32_e32 v0, vcc, s8, v2
	s_cmp_lt_i32 s34, 11
	v_addc_co_u32_e32 v1, vcc, v3, v1, vcc
	s_cbranch_scc1 .LBB102_1501
; %bb.1425:
	s_and_b32 s35, 0xffff, s34
	s_mov_b64 s[26:27], -1
	s_cmp_gt_i32 s35, 25
	s_mov_b64 s[0:1], s[20:21]
	s_cbranch_scc0 .LBB102_1458
; %bb.1426:
	s_mov_b64 s[24:25], -1
	s_cmp_gt_i32 s35, 28
	s_mov_b64 s[0:1], s[20:21]
	s_cbranch_scc0 .LBB102_1442
; %bb.1427:
	s_cmp_gt_i32 s35, 43
	s_mov_b64 s[0:1], s[20:21]
	s_cbranch_scc0 .LBB102_1438
; %bb.1428:
	;; [unrolled: 4-line block ×3, first 2 shown]
	s_cmp_eq_u32 s35, 46
	s_mov_b64 s[0:1], -1
	s_cbranch_scc0 .LBB102_1431
; %bb.1430:
	v_cndmask_b32_e64 v2, 0, 1.0, s[4:5]
	v_bfe_u32 v3, v2, 16, 1
	s_movk_i32 s0, 0x7fff
	v_add3_u32 v2, v2, v3, s0
	v_lshrrev_b32_e32 v2, 16, v2
	global_store_dword v[0:1], v2, off
	s_mov_b64 s[0:1], 0
.LBB102_1431:
	s_mov_b64 s[24:25], 0
.LBB102_1432:
	s_and_b64 vcc, exec, s[24:25]
	s_cbranch_vccz .LBB102_1437
; %bb.1433:
	s_cmp_eq_u32 s35, 44
	s_mov_b64 s[0:1], -1
	s_cbranch_scc0 .LBB102_1437
; %bb.1434:
	v_cndmask_b32_e64 v3, 0, 1.0, s[4:5]
	v_lshrrev_b32_e32 v2, 23, v3
	s_movk_i32 s0, 0xff
	v_cmp_ne_u32_e32 vcc, s0, v2
	v_mov_b32_e32 v4, 0xff
	s_and_saveexec_b64 s[24:25], vcc
; %bb.1435:
	s_mov_b32 s0, 0x3fffff
	v_and_b32_e32 v4, 0x400000, v3
	v_and_or_b32 v3, v3, s0, v2
	v_cmp_ne_u32_e32 vcc, 0, v4
	v_cmp_ne_u32_e64 s[0:1], 0, v3
	s_and_b64 s[0:1], vcc, s[0:1]
	v_cndmask_b32_e64 v3, 0, 1, s[0:1]
	v_add_u32_e32 v4, v2, v3
; %bb.1436:
	s_or_b64 exec, exec, s[24:25]
	s_mov_b64 s[0:1], 0
	global_store_byte v[0:1], v4, off
.LBB102_1437:
	s_mov_b64 s[24:25], 0
.LBB102_1438:
	s_and_b64 vcc, exec, s[24:25]
	s_cbranch_vccz .LBB102_1441
; %bb.1439:
	s_cmp_eq_u32 s35, 29
	s_mov_b64 s[0:1], -1
	s_cbranch_scc0 .LBB102_1441
; %bb.1440:
	s_mov_b32 s0, 0
	v_cndmask_b32_e64 v2, 0, 1, s[4:5]
	v_mov_b32_e32 v3, s0
	global_store_dwordx2 v[0:1], v[2:3], off
	s_mov_b64 s[0:1], 0
.LBB102_1441:
	s_mov_b64 s[24:25], 0
.LBB102_1442:
	s_and_b64 vcc, exec, s[24:25]
	s_cbranch_vccz .LBB102_1457
; %bb.1443:
	s_cmp_lt_i32 s35, 27
	s_mov_b64 s[24:25], -1
	s_cbranch_scc1 .LBB102_1449
; %bb.1444:
	s_cmp_gt_i32 s35, 27
	v_cndmask_b32_e64 v2, 0, 1, s[4:5]
	s_cbranch_scc0 .LBB102_1446
; %bb.1445:
	s_mov_b64 s[24:25], 0
	global_store_dword v[0:1], v2, off
.LBB102_1446:
	s_andn2_b64 vcc, exec, s[24:25]
	s_cbranch_vccnz .LBB102_1448
; %bb.1447:
	global_store_short v[0:1], v2, off
.LBB102_1448:
	s_mov_b64 s[24:25], 0
.LBB102_1449:
	s_andn2_b64 vcc, exec, s[24:25]
	s_cbranch_vccnz .LBB102_1457
; %bb.1450:
	v_cndmask_b32_e64 v3, 0, 1.0, s[4:5]
	s_mov_b32 s24, 0x43800000
	v_cmp_gt_u32_e32 vcc, s24, v3
	v_mov_b32_e32 v4, 0x80
	s_and_saveexec_b64 s[24:25], vcc
	s_cbranch_execz .LBB102_1456
; %bb.1451:
	s_mov_b32 s26, 0x3bffffff
	v_cmp_lt_u32_e32 vcc, s26, v3
	s_mov_b64 s[26:27], 0
                                        ; implicit-def: $vgpr2
	s_and_saveexec_b64 s[28:29], vcc
	s_xor_b64 s[28:29], exec, s[28:29]
	s_cbranch_execz .LBB102_1558
; %bb.1452:
	v_bfe_u32 v2, v3, 20, 1
	s_mov_b32 s30, 0x487ffff
	v_add3_u32 v2, v3, v2, s30
	s_mov_b64 s[26:27], exec
	v_lshrrev_b32_e32 v2, 20, v2
                                        ; implicit-def: $vgpr3
	s_andn2_saveexec_b64 s[28:29], s[28:29]
	s_cbranch_execnz .LBB102_1559
.LBB102_1453:
	s_or_b64 exec, exec, s[28:29]
	v_mov_b32_e32 v4, 0
	s_and_saveexec_b64 s[28:29], s[26:27]
.LBB102_1454:
	v_mov_b32_e32 v4, v2
.LBB102_1455:
	s_or_b64 exec, exec, s[28:29]
.LBB102_1456:
	s_or_b64 exec, exec, s[24:25]
	global_store_byte v[0:1], v4, off
.LBB102_1457:
	s_mov_b64 s[26:27], 0
.LBB102_1458:
	s_mov_b64 s[24:25], 0
	s_and_b64 vcc, exec, s[26:27]
	s_cbranch_vccz .LBB102_1502
; %bb.1459:
	s_cmp_gt_i32 s35, 22
	s_mov_b64 s[26:27], -1
	s_cbranch_scc0 .LBB102_1491
; %bb.1460:
	s_cmp_lt_i32 s35, 24
	s_cbranch_scc1 .LBB102_1480
; %bb.1461:
	s_cmp_gt_i32 s35, 24
	s_cbranch_scc0 .LBB102_1469
; %bb.1462:
	v_cndmask_b32_e64 v3, 0, 1.0, s[4:5]
	s_mov_b32 s26, 0x47800000
	v_cmp_gt_u32_e32 vcc, s26, v3
	v_mov_b32_e32 v4, 0x80
	s_and_saveexec_b64 s[26:27], vcc
	s_cbranch_execz .LBB102_1468
; %bb.1463:
	s_mov_b32 s28, 0x37ffffff
	v_cmp_lt_u32_e32 vcc, s28, v3
	s_mov_b64 s[28:29], 0
                                        ; implicit-def: $vgpr2
	s_and_saveexec_b64 s[30:31], vcc
	s_xor_b64 s[30:31], exec, s[30:31]
	s_cbranch_execz .LBB102_1683
; %bb.1464:
	v_bfe_u32 v2, v3, 21, 1
	s_mov_b32 s36, 0x88fffff
	v_add3_u32 v2, v3, v2, s36
	s_mov_b64 s[28:29], exec
	v_lshrrev_b32_e32 v2, 21, v2
                                        ; implicit-def: $vgpr3
	s_andn2_saveexec_b64 s[30:31], s[30:31]
	s_cbranch_execnz .LBB102_1684
.LBB102_1465:
	s_or_b64 exec, exec, s[30:31]
	v_mov_b32_e32 v4, 0
	s_and_saveexec_b64 s[30:31], s[28:29]
.LBB102_1466:
	v_mov_b32_e32 v4, v2
.LBB102_1467:
	s_or_b64 exec, exec, s[30:31]
.LBB102_1468:
	s_or_b64 exec, exec, s[26:27]
	s_mov_b64 s[26:27], 0
	global_store_byte v[0:1], v4, off
.LBB102_1469:
	s_and_b64 vcc, exec, s[26:27]
	s_cbranch_vccz .LBB102_1479
; %bb.1470:
	v_cndmask_b32_e64 v2, 0, 1.0, s[4:5]
	s_mov_b32 s26, 0x43f00000
	v_cmp_gt_u32_e32 vcc, s26, v2
                                        ; implicit-def: $vgpr3
	s_and_saveexec_b64 s[26:27], vcc
	s_xor_b64 s[26:27], exec, s[26:27]
	s_cbranch_execz .LBB102_1476
; %bb.1471:
	s_mov_b32 s28, 0x3c7fffff
	v_cmp_lt_u32_e32 vcc, s28, v2
                                        ; implicit-def: $vgpr3
	s_and_saveexec_b64 s[28:29], vcc
	s_xor_b64 s[28:29], exec, s[28:29]
; %bb.1472:
	v_bfe_u32 v3, v2, 20, 1
	s_mov_b32 s30, 0x407ffff
	v_add3_u32 v2, v2, v3, s30
	v_lshrrev_b32_e32 v3, 20, v2
	v_and_b32_e32 v2, 0xff00000, v2
	s_mov_b32 s30, 0x7f00000
	v_mov_b32_e32 v4, 0x7e
	v_cmp_ne_u32_e32 vcc, s30, v2
	v_cndmask_b32_e32 v3, v4, v3, vcc
                                        ; implicit-def: $vgpr2
; %bb.1473:
	s_andn2_saveexec_b64 s[28:29], s[28:29]
; %bb.1474:
	v_add_f32_e32 v3, 0x46800000, v2
; %bb.1475:
	s_or_b64 exec, exec, s[28:29]
                                        ; implicit-def: $vgpr2
.LBB102_1476:
	s_andn2_saveexec_b64 s[26:27], s[26:27]
; %bb.1477:
	s_mov_b32 s28, 0x7f800000
	v_mov_b32_e32 v3, 0x7e
	v_mov_b32_e32 v4, 0x7f
	v_cmp_lt_u32_e32 vcc, s28, v2
	v_cndmask_b32_e32 v3, v3, v4, vcc
; %bb.1478:
	s_or_b64 exec, exec, s[26:27]
	global_store_byte v[0:1], v3, off
.LBB102_1479:
	s_mov_b64 s[26:27], 0
.LBB102_1480:
	s_andn2_b64 vcc, exec, s[26:27]
	s_cbranch_vccnz .LBB102_1490
; %bb.1481:
	v_cndmask_b32_e64 v2, 0, 1.0, s[4:5]
	s_mov_b32 s26, 0x47800000
	v_cmp_gt_u32_e32 vcc, s26, v2
                                        ; implicit-def: $vgpr3
	s_and_saveexec_b64 s[26:27], vcc
	s_xor_b64 s[26:27], exec, s[26:27]
	s_cbranch_execz .LBB102_1487
; %bb.1482:
	s_mov_b32 s28, 0x387fffff
	v_cmp_lt_u32_e32 vcc, s28, v2
                                        ; implicit-def: $vgpr3
	s_and_saveexec_b64 s[28:29], vcc
	s_xor_b64 s[28:29], exec, s[28:29]
; %bb.1483:
	v_bfe_u32 v3, v2, 21, 1
	s_mov_b32 s30, 0x80fffff
	v_add3_u32 v2, v2, v3, s30
	v_lshrrev_b32_e32 v3, 21, v2
                                        ; implicit-def: $vgpr2
; %bb.1484:
	s_andn2_saveexec_b64 s[28:29], s[28:29]
; %bb.1485:
	v_add_f32_e32 v3, 0x43000000, v2
; %bb.1486:
	s_or_b64 exec, exec, s[28:29]
                                        ; implicit-def: $vgpr2
.LBB102_1487:
	s_andn2_saveexec_b64 s[26:27], s[26:27]
; %bb.1488:
	s_mov_b32 s28, 0x7f800000
	v_mov_b32_e32 v3, 0x7c
	v_mov_b32_e32 v4, 0x7f
	v_cmp_lt_u32_e32 vcc, s28, v2
	v_cndmask_b32_e32 v3, v3, v4, vcc
; %bb.1489:
	s_or_b64 exec, exec, s[26:27]
	global_store_byte v[0:1], v3, off
.LBB102_1490:
	s_mov_b64 s[26:27], 0
.LBB102_1491:
	s_andn2_b64 vcc, exec, s[26:27]
	s_mov_b64 s[26:27], 0
	s_cbranch_vccnz .LBB102_1503
; %bb.1492:
	s_cmp_gt_i32 s35, 14
	s_mov_b64 s[28:29], -1
	s_cbranch_scc0 .LBB102_1496
; %bb.1493:
	s_cmp_eq_u32 s35, 15
	s_mov_b64 s[0:1], -1
	s_cbranch_scc0 .LBB102_1495
; %bb.1494:
	v_cndmask_b32_e64 v2, 0, 1.0, s[4:5]
	v_bfe_u32 v3, v2, 16, 1
	s_movk_i32 s0, 0x7fff
	v_add3_u32 v2, v2, v3, s0
	global_store_short_d16_hi v[0:1], v2, off
	s_mov_b64 s[0:1], 0
.LBB102_1495:
	s_mov_b64 s[28:29], 0
.LBB102_1496:
	s_and_b64 vcc, exec, s[28:29]
	s_cbranch_vccz .LBB102_1503
; %bb.1497:
	s_cmp_lg_u32 s35, 11
	s_cselect_b64 s[28:29], -1, 0
	s_andn2_b64 s[0:1], s[0:1], exec
	s_and_b64 s[28:29], s[28:29], exec
	s_mov_b64 s[26:27], -1
	s_or_b64 s[0:1], s[0:1], s[28:29]
	s_branch .LBB102_1503
.LBB102_1498:
	s_or_b64 exec, exec, s[22:23]
	s_and_saveexec_b64 s[0:1], s[20:21]
	s_cbranch_execnz .LBB102_1504
.LBB102_1499:
	s_or_b64 exec, exec, s[0:1]
	s_and_saveexec_b64 s[0:1], s[26:27]
	s_xor_b64 s[0:1], exec, s[0:1]
	s_cbranch_execz .LBB102_1505
.LBB102_1500:
	v_cndmask_b32_e64 v2, 0, 1, s[4:5]
	global_store_byte v[0:1], v2, off
	s_or_b64 exec, exec, s[0:1]
	s_and_saveexec_b64 s[0:1], s[24:25]
	s_xor_b64 s[0:1], exec, s[0:1]
	s_cbranch_execz .LBB102_1543
	s_branch .LBB102_1506
.LBB102_1501:
	s_mov_b64 s[24:25], -1
	s_mov_b64 s[0:1], s[20:21]
	s_branch .LBB102_1503
.LBB102_1502:
	s_mov_b64 s[26:27], 0
.LBB102_1503:
	s_andn2_b64 s[20:21], s[20:21], exec
	s_and_b64 s[0:1], s[0:1], exec
	s_and_b64 s[24:25], s[24:25], exec
	;; [unrolled: 1-line block ×3, first 2 shown]
	s_or_b64 s[20:21], s[20:21], s[0:1]
	s_or_b64 exec, exec, s[22:23]
	s_and_saveexec_b64 s[0:1], s[20:21]
	s_cbranch_execz .LBB102_1499
.LBB102_1504:
	s_or_b64 s[2:3], s[2:3], exec
	s_andn2_b64 s[26:27], s[26:27], exec
	s_trap 2
	s_or_b64 exec, exec, s[0:1]
	s_and_saveexec_b64 s[0:1], s[26:27]
	s_xor_b64 s[0:1], exec, s[0:1]
	s_cbranch_execnz .LBB102_1500
.LBB102_1505:
	s_or_b64 exec, exec, s[0:1]
	s_and_saveexec_b64 s[0:1], s[24:25]
	s_xor_b64 s[0:1], exec, s[0:1]
	s_cbranch_execz .LBB102_1543
.LBB102_1506:
	s_sext_i32_i16 s22, s34
	s_cmp_lt_i32 s22, 5
	s_mov_b64 s[20:21], -1
	s_cbranch_scc1 .LBB102_1527
; %bb.1507:
	s_cmp_lt_i32 s22, 8
	s_cbranch_scc1 .LBB102_1517
; %bb.1508:
	s_cmp_lt_i32 s22, 9
	s_cbranch_scc1 .LBB102_1514
; %bb.1509:
	s_cmp_gt_i32 s22, 9
	s_cbranch_scc0 .LBB102_1511
; %bb.1510:
	v_cndmask_b32_e64 v2, 0, 1, s[4:5]
	s_waitcnt vmcnt(0)
	v_cvt_f64_u32_e32 v[2:3], v2
	v_mov_b32_e32 v4, 0
	v_mov_b32_e32 v5, v4
	s_mov_b64 s[20:21], 0
	global_store_dwordx4 v[0:1], v[2:5], off
.LBB102_1511:
	s_andn2_b64 vcc, exec, s[20:21]
	s_cbranch_vccnz .LBB102_1513
; %bb.1512:
	v_cndmask_b32_e64 v2, 0, 1.0, s[4:5]
	s_waitcnt vmcnt(0)
	v_mov_b32_e32 v3, 0
	global_store_dwordx2 v[0:1], v[2:3], off
.LBB102_1513:
	s_mov_b64 s[20:21], 0
.LBB102_1514:
	s_andn2_b64 vcc, exec, s[20:21]
	s_cbranch_vccnz .LBB102_1516
; %bb.1515:
	v_cndmask_b32_e64 v2, 0, 1.0, s[4:5]
	v_cvt_f16_f32_e32 v2, v2
	global_store_dword v[0:1], v2, off
.LBB102_1516:
	s_mov_b64 s[20:21], 0
.LBB102_1517:
	s_andn2_b64 vcc, exec, s[20:21]
	s_cbranch_vccnz .LBB102_1526
; %bb.1518:
	s_sext_i32_i16 s22, s34
	s_cmp_lt_i32 s22, 6
	s_mov_b64 s[20:21], -1
	s_cbranch_scc1 .LBB102_1524
; %bb.1519:
	s_cmp_gt_i32 s22, 6
	s_cbranch_scc0 .LBB102_1521
; %bb.1520:
	v_cndmask_b32_e64 v2, 0, 1, s[4:5]
	s_waitcnt vmcnt(0)
	v_cvt_f64_u32_e32 v[2:3], v2
	s_mov_b64 s[20:21], 0
	global_store_dwordx2 v[0:1], v[2:3], off
.LBB102_1521:
	s_andn2_b64 vcc, exec, s[20:21]
	s_cbranch_vccnz .LBB102_1523
; %bb.1522:
	v_cndmask_b32_e64 v2, 0, 1.0, s[4:5]
	global_store_dword v[0:1], v2, off
.LBB102_1523:
	s_mov_b64 s[20:21], 0
.LBB102_1524:
	s_andn2_b64 vcc, exec, s[20:21]
	s_cbranch_vccnz .LBB102_1526
; %bb.1525:
	v_cndmask_b32_e64 v2, 0, 1.0, s[4:5]
	v_cvt_f16_f32_e32 v2, v2
	global_store_short v[0:1], v2, off
.LBB102_1526:
	s_mov_b64 s[20:21], 0
.LBB102_1527:
	s_andn2_b64 vcc, exec, s[20:21]
	s_cbranch_vccnz .LBB102_1543
; %bb.1528:
	s_sext_i32_i16 s22, s34
	s_cmp_lt_i32 s22, 2
	s_mov_b64 s[20:21], -1
	s_cbranch_scc1 .LBB102_1538
; %bb.1529:
	s_cmp_lt_i32 s22, 3
	s_cbranch_scc1 .LBB102_1535
; %bb.1530:
	s_cmp_gt_i32 s22, 3
	s_cbranch_scc0 .LBB102_1532
; %bb.1531:
	s_mov_b32 s20, 0
	v_cndmask_b32_e64 v2, 0, 1, s[4:5]
	s_waitcnt vmcnt(0)
	v_mov_b32_e32 v3, s20
	s_mov_b64 s[20:21], 0
	global_store_dwordx2 v[0:1], v[2:3], off
.LBB102_1532:
	s_andn2_b64 vcc, exec, s[20:21]
	s_cbranch_vccnz .LBB102_1534
; %bb.1533:
	v_cndmask_b32_e64 v2, 0, 1, s[4:5]
	global_store_dword v[0:1], v2, off
.LBB102_1534:
	s_mov_b64 s[20:21], 0
.LBB102_1535:
	s_andn2_b64 vcc, exec, s[20:21]
	s_cbranch_vccnz .LBB102_1537
; %bb.1536:
	v_cndmask_b32_e64 v2, 0, 1, s[4:5]
	global_store_short v[0:1], v2, off
.LBB102_1537:
	s_mov_b64 s[20:21], 0
.LBB102_1538:
	s_andn2_b64 vcc, exec, s[20:21]
	s_cbranch_vccnz .LBB102_1543
; %bb.1539:
	s_sext_i32_i16 s22, s34
	s_mov_b64 s[20:21], -1
	s_cmp_gt_i32 s22, 0
	v_cndmask_b32_e64 v2, 0, 1, s[4:5]
	s_cbranch_scc0 .LBB102_1541
; %bb.1540:
	s_mov_b64 s[20:21], 0
	global_store_byte v[0:1], v2, off
.LBB102_1541:
	s_andn2_b64 vcc, exec, s[20:21]
	s_cbranch_vccnz .LBB102_1543
; %bb.1542:
	global_store_byte v[0:1], v2, off
.LBB102_1543:
	s_or_b64 exec, exec, s[0:1]
	s_and_b64 s[20:21], s[2:3], exec
                                        ; implicit-def: $vgpr2
.LBB102_1544:
	s_or_saveexec_b64 s[18:19], s[18:19]
	s_mov_b64 s[0:1], 0
                                        ; implicit-def: $sgpr2_sgpr3
                                        ; implicit-def: $sgpr24
                                        ; implicit-def: $vgpr0_vgpr1
	s_xor_b64 exec, exec, s[18:19]
	s_cbranch_execz .LBB102_3014
; %bb.1545:
	v_mul_lo_u32 v5, s13, v2
	v_mov_b32_e32 v1, s11
	s_and_b32 s26, s57, 0xff
	s_cmp_lt_i32 s26, 11
	s_waitcnt vmcnt(0)
	v_ashrrev_i32_e32 v3, 31, v5
	v_add_co_u32_e32 v0, vcc, s10, v5
	v_addc_co_u32_e32 v1, vcc, v1, v3, vcc
	s_cbranch_scc1 .LBB102_1552
; %bb.1546:
	s_and_b32 s24, 0xffff, s26
	s_cmp_gt_i32 s24, 25
	s_mov_b64 s[2:3], 0
	s_cbranch_scc0 .LBB102_1554
; %bb.1547:
	s_cmp_gt_i32 s24, 28
	s_cbranch_scc0 .LBB102_1555
; %bb.1548:
	s_cmp_gt_i32 s24, 43
	;; [unrolled: 3-line block ×3, first 2 shown]
	s_cbranch_scc0 .LBB102_1557
; %bb.1550:
	s_cmp_eq_u32 s24, 46
	s_cbranch_scc0 .LBB102_1560
; %bb.1551:
	global_load_dword v3, v[0:1], off
	s_mov_b64 s[4:5], -1
	s_waitcnt vmcnt(0)
	v_lshlrev_b32_e32 v3, 16, v3
	s_branch .LBB102_1561
.LBB102_1552:
	s_mov_b64 s[4:5], 0
                                        ; implicit-def: $vgpr3
	s_mov_b64 s[22:23], s[20:21]
	s_cbranch_execnz .LBB102_1624
.LBB102_1553:
	s_andn2_b64 vcc, exec, s[4:5]
	s_cbranch_vccz .LBB102_1669
	s_branch .LBB102_3012
.LBB102_1554:
	s_mov_b64 s[4:5], 0
                                        ; implicit-def: $vgpr3
	s_cbranch_execnz .LBB102_1589
	s_branch .LBB102_1620
.LBB102_1555:
	s_mov_b64 s[6:7], -1
	s_mov_b64 s[4:5], 0
                                        ; implicit-def: $vgpr3
	s_branch .LBB102_1570
.LBB102_1556:
	s_mov_b64 s[4:5], 0
                                        ; implicit-def: $vgpr3
	s_cbranch_execnz .LBB102_1566
	s_branch .LBB102_1569
.LBB102_1557:
	s_mov_b64 s[6:7], -1
	s_mov_b64 s[4:5], 0
                                        ; implicit-def: $vgpr3
	s_branch .LBB102_1561
.LBB102_1558:
	s_andn2_saveexec_b64 s[28:29], s[28:29]
	s_cbranch_execz .LBB102_1453
.LBB102_1559:
	v_add_f32_e32 v2, 0x46000000, v3
	v_and_b32_e32 v2, 0xff, v2
	v_cmp_ne_u32_e32 vcc, 0, v2
	s_andn2_b64 s[26:27], s[26:27], exec
	s_and_b64 s[30:31], vcc, exec
	s_or_b64 s[26:27], s[26:27], s[30:31]
	s_or_b64 exec, exec, s[28:29]
	v_mov_b32_e32 v4, 0
	s_and_saveexec_b64 s[28:29], s[26:27]
	s_cbranch_execnz .LBB102_1454
	s_branch .LBB102_1455
.LBB102_1560:
	s_mov_b64 s[0:1], -1
                                        ; implicit-def: $vgpr3
	s_mov_b64 s[4:5], 0
.LBB102_1561:
	s_and_b64 vcc, exec, s[6:7]
	s_cbranch_vccz .LBB102_1564
; %bb.1562:
	s_cmp_eq_u32 s24, 44
	s_cbranch_scc0 .LBB102_1565
; %bb.1563:
	global_load_ubyte v3, v[0:1], off
	s_movk_i32 s4, 0xff
	v_mov_b32_e32 v4, 0x7f800001
	v_mov_b32_e32 v6, 0x400000
	s_mov_b64 s[0:1], 0
	s_waitcnt vmcnt(0)
	v_lshlrev_b32_e32 v7, 23, v3
	v_cmp_ne_u32_e32 vcc, s4, v3
	v_cndmask_b32_e32 v4, v4, v7, vcc
	v_cmp_ne_u32_e32 vcc, 0, v3
	v_cndmask_b32_e32 v3, v6, v4, vcc
	s_mov_b64 s[4:5], -1
.LBB102_1564:
	s_branch .LBB102_1569
.LBB102_1565:
	s_mov_b64 s[0:1], -1
                                        ; implicit-def: $vgpr3
	s_branch .LBB102_1569
.LBB102_1566:
	s_cmp_eq_u32 s24, 29
	s_cbranch_scc0 .LBB102_1568
; %bb.1567:
	global_load_dwordx2 v[3:4], v[0:1], off
	s_mov_b64 s[0:1], 0
	s_mov_b64 s[4:5], -1
	s_mov_b64 s[6:7], 0
	s_waitcnt vmcnt(0)
	v_ffbh_u32_e32 v6, v4
	v_min_u32_e32 v6, 32, v6
	v_lshlrev_b64 v[3:4], v6, v[3:4]
	v_min_u32_e32 v3, 1, v3
	v_or_b32_e32 v3, v4, v3
	v_cvt_f32_u32_e32 v3, v3
	v_sub_u32_e32 v4, 32, v6
	v_ldexp_f32 v3, v3, v4
	s_branch .LBB102_1570
.LBB102_1568:
	s_mov_b64 s[0:1], -1
                                        ; implicit-def: $vgpr3
.LBB102_1569:
	s_mov_b64 s[6:7], 0
.LBB102_1570:
	s_and_b64 vcc, exec, s[6:7]
	s_cbranch_vccz .LBB102_1588
; %bb.1571:
	s_cmp_lt_i32 s24, 27
	s_cbranch_scc1 .LBB102_1574
; %bb.1572:
	s_cmp_gt_i32 s24, 27
	s_cbranch_scc0 .LBB102_1575
; %bb.1573:
	global_load_dword v3, v[0:1], off
	s_mov_b64 s[4:5], 0
	s_waitcnt vmcnt(0)
	v_cvt_f32_u32_e32 v3, v3
	s_branch .LBB102_1576
.LBB102_1574:
	s_mov_b64 s[4:5], -1
                                        ; implicit-def: $vgpr3
	s_branch .LBB102_1579
.LBB102_1575:
	s_mov_b64 s[4:5], -1
                                        ; implicit-def: $vgpr3
.LBB102_1576:
	s_andn2_b64 vcc, exec, s[4:5]
	s_cbranch_vccnz .LBB102_1578
; %bb.1577:
	global_load_ushort v3, v[0:1], off
	s_waitcnt vmcnt(0)
	v_cvt_f32_u32_e32 v3, v3
.LBB102_1578:
	s_mov_b64 s[4:5], 0
.LBB102_1579:
	s_andn2_b64 vcc, exec, s[4:5]
	s_cbranch_vccnz .LBB102_1587
; %bb.1580:
	global_load_ubyte v4, v[0:1], off
	s_movk_i32 s4, 0x7f
	s_waitcnt vmcnt(0)
	v_cmp_lt_i16_e32 vcc, s4, v4
	s_mov_b64 s[4:5], 0
	s_and_saveexec_b64 s[6:7], vcc
	s_xor_b64 s[6:7], exec, s[6:7]
	s_cbranch_execz .LBB102_1600
; %bb.1581:
	s_movk_i32 s4, 0x80
	v_cmp_eq_u16_e32 vcc, s4, v4
	s_mov_b64 s[4:5], -1
	s_and_saveexec_b64 s[22:23], vcc
; %bb.1582:
	s_xor_b64 s[4:5], exec, -1
; %bb.1583:
	s_or_b64 exec, exec, s[22:23]
	s_and_b64 s[4:5], s[4:5], exec
	s_or_saveexec_b64 s[6:7], s[6:7]
	v_mov_b32_e32 v3, 0x7f800001
	s_xor_b64 exec, exec, s[6:7]
	s_cbranch_execnz .LBB102_1601
.LBB102_1584:
	s_or_b64 exec, exec, s[6:7]
	s_and_saveexec_b64 s[6:7], s[4:5]
	s_cbranch_execz .LBB102_1586
.LBB102_1585:
	v_lshlrev_b32_e32 v3, 24, v4
	v_and_b32_e32 v4, 0xffff, v4
	v_and_b32_e32 v6, 7, v4
	v_ffbh_u32_e32 v8, v6
	v_min_u32_e32 v8, 32, v8
	v_subrev_u32_e32 v9, 28, v8
	v_bfe_u32 v7, v4, 3, 4
	v_lshlrev_b32_e32 v4, v9, v4
	v_sub_u32_e32 v8, 29, v8
	v_and_b32_e32 v4, 7, v4
	v_cmp_eq_u32_e32 vcc, 0, v7
	v_cndmask_b32_e32 v7, v7, v8, vcc
	v_cndmask_b32_e32 v4, v6, v4, vcc
	v_mov_b32_e32 v6, 0x3b800000
	v_lshlrev_b32_e32 v4, 20, v4
	v_and_b32_e32 v3, 0x80000000, v3
	v_lshl_add_u32 v6, v7, 23, v6
	v_or3_b32 v3, v3, v6, v4
.LBB102_1586:
	s_or_b64 exec, exec, s[6:7]
.LBB102_1587:
	s_mov_b64 s[4:5], -1
.LBB102_1588:
	s_branch .LBB102_1620
.LBB102_1589:
	s_cmp_gt_i32 s24, 22
	s_cbranch_scc0 .LBB102_1599
; %bb.1590:
	s_cmp_lt_i32 s24, 24
	s_cbranch_scc1 .LBB102_1602
; %bb.1591:
	s_cmp_gt_i32 s24, 24
	s_cbranch_scc0 .LBB102_1603
; %bb.1592:
	global_load_ubyte v4, v[0:1], off
	s_movk_i32 s2, 0x7f
	s_waitcnt vmcnt(0)
	v_cmp_lt_i16_e32 vcc, s2, v4
	s_mov_b64 s[2:3], 0
	s_and_saveexec_b64 s[4:5], vcc
	s_xor_b64 s[4:5], exec, s[4:5]
	s_cbranch_execz .LBB102_1614
; %bb.1593:
	s_movk_i32 s2, 0x80
	v_cmp_eq_u16_e32 vcc, s2, v4
	s_mov_b64 s[2:3], -1
	s_and_saveexec_b64 s[6:7], vcc
; %bb.1594:
	s_xor_b64 s[2:3], exec, -1
; %bb.1595:
	s_or_b64 exec, exec, s[6:7]
	s_and_b64 s[2:3], s[2:3], exec
	s_or_saveexec_b64 s[4:5], s[4:5]
	v_mov_b32_e32 v3, 0x7f800001
	s_xor_b64 exec, exec, s[4:5]
	s_cbranch_execnz .LBB102_1615
.LBB102_1596:
	s_or_b64 exec, exec, s[4:5]
	s_and_saveexec_b64 s[4:5], s[2:3]
	s_cbranch_execz .LBB102_1598
.LBB102_1597:
	v_lshlrev_b32_e32 v3, 24, v4
	v_and_b32_e32 v4, 0xffff, v4
	v_and_b32_e32 v6, 3, v4
	v_ffbh_u32_e32 v8, v6
	v_min_u32_e32 v8, 32, v8
	v_subrev_u32_e32 v9, 29, v8
	v_bfe_u32 v7, v4, 2, 5
	v_lshlrev_b32_e32 v4, v9, v4
	v_sub_u32_e32 v8, 30, v8
	v_and_b32_e32 v4, 3, v4
	v_cmp_eq_u32_e32 vcc, 0, v7
	v_cndmask_b32_e32 v7, v7, v8, vcc
	v_cndmask_b32_e32 v4, v6, v4, vcc
	v_mov_b32_e32 v6, 0x37800000
	v_lshlrev_b32_e32 v4, 21, v4
	v_and_b32_e32 v3, 0x80000000, v3
	v_lshl_add_u32 v6, v7, 23, v6
	v_or3_b32 v3, v3, v6, v4
.LBB102_1598:
	s_or_b64 exec, exec, s[4:5]
	s_mov_b64 s[2:3], 0
	s_branch .LBB102_1604
.LBB102_1599:
                                        ; implicit-def: $vgpr3
	s_mov_b64 s[2:3], 0
	s_branch .LBB102_1610
.LBB102_1600:
	s_or_saveexec_b64 s[6:7], s[6:7]
	v_mov_b32_e32 v3, 0x7f800001
	s_xor_b64 exec, exec, s[6:7]
	s_cbranch_execz .LBB102_1584
.LBB102_1601:
	v_cmp_ne_u16_e32 vcc, 0, v4
	s_andn2_b64 s[4:5], s[4:5], exec
	s_and_b64 s[22:23], vcc, exec
	v_mov_b32_e32 v3, 0
	s_or_b64 s[4:5], s[4:5], s[22:23]
	s_or_b64 exec, exec, s[6:7]
	s_and_saveexec_b64 s[6:7], s[4:5]
	s_cbranch_execnz .LBB102_1585
	s_branch .LBB102_1586
.LBB102_1602:
	s_mov_b64 s[2:3], -1
                                        ; implicit-def: $vgpr3
	s_branch .LBB102_1607
.LBB102_1603:
	s_mov_b64 s[2:3], -1
                                        ; implicit-def: $vgpr3
.LBB102_1604:
	s_and_b64 vcc, exec, s[2:3]
	s_cbranch_vccz .LBB102_1606
; %bb.1605:
	global_load_ubyte v3, v[0:1], off
	s_mov_b32 s2, 0x7f800000
	s_waitcnt vmcnt(0)
	v_lshlrev_b32_e32 v3, 24, v3
	v_and_b32_e32 v4, 0x7f000000, v3
	v_ffbh_u32_e32 v6, v4
	v_min_u32_e32 v6, 32, v6
	v_sub_u32_e64 v6, v6, 4 clamp
	v_lshlrev_b32_e32 v8, v6, v4
	v_lshlrev_b32_e32 v6, 23, v6
	v_lshrrev_b32_e32 v8, 4, v8
	v_add_u32_e32 v7, 0x1000000, v4
	v_sub_u32_e32 v6, v8, v6
	v_ashrrev_i32_e32 v7, 8, v7
	v_add_u32_e32 v6, 0x3c000000, v6
	v_and_or_b32 v6, v7, s2, v6
	v_cmp_ne_u32_e32 vcc, 0, v4
	v_cndmask_b32_e32 v4, 0, v6, vcc
	s_brev_b32 s2, 1
	v_and_or_b32 v3, v3, s2, v4
.LBB102_1606:
	s_mov_b64 s[2:3], 0
.LBB102_1607:
	s_andn2_b64 vcc, exec, s[2:3]
	s_cbranch_vccnz .LBB102_1609
; %bb.1608:
	global_load_ubyte v3, v[0:1], off
	s_movk_i32 s2, 0x7f00
	s_brev_b32 s3, 16
	s_waitcnt vmcnt(0)
	v_lshlrev_b16_e32 v4, 8, v3
	v_lshlrev_b32_e32 v3, 25, v3
	v_lshrrev_b32_e32 v6, 4, v3
	v_and_or_b32 v7, v4, s2, 0.5
	v_or_b32_e32 v6, 0x70000000, v6
	v_add_f32_e32 v7, -0.5, v7
	v_mul_f32_e32 v6, 0x7800000, v6
	v_cmp_gt_u32_e32 vcc, s3, v3
	v_bfe_i32 v4, v4, 0, 16
	v_cndmask_b32_e32 v3, v6, v7, vcc
	s_brev_b32 s2, 1
	v_and_or_b32 v3, v4, s2, v3
.LBB102_1609:
	s_mov_b64 s[4:5], -1
	s_mov_b64 s[2:3], 0
	s_cbranch_execnz .LBB102_1620
.LBB102_1610:
	s_cmp_gt_i32 s24, 14
	s_cbranch_scc0 .LBB102_1613
; %bb.1611:
	s_cmp_eq_u32 s24, 15
	s_cbranch_scc0 .LBB102_1616
; %bb.1612:
	global_load_ushort v3, v[0:1], off
	s_mov_b64 s[0:1], 0
	s_mov_b64 s[4:5], -1
	s_waitcnt vmcnt(0)
	v_lshlrev_b32_e32 v3, 16, v3
	s_branch .LBB102_1617
.LBB102_1613:
	s_mov_b64 s[6:7], -1
                                        ; implicit-def: $vgpr3
	s_branch .LBB102_1618
.LBB102_1614:
	s_or_saveexec_b64 s[4:5], s[4:5]
	v_mov_b32_e32 v3, 0x7f800001
	s_xor_b64 exec, exec, s[4:5]
	s_cbranch_execz .LBB102_1596
.LBB102_1615:
	v_cmp_ne_u16_e32 vcc, 0, v4
	s_andn2_b64 s[2:3], s[2:3], exec
	s_and_b64 s[6:7], vcc, exec
	v_mov_b32_e32 v3, 0
	s_or_b64 s[2:3], s[2:3], s[6:7]
	s_or_b64 exec, exec, s[4:5]
	s_and_saveexec_b64 s[4:5], s[2:3]
	s_cbranch_execnz .LBB102_1597
	s_branch .LBB102_1598
.LBB102_1616:
	s_mov_b64 s[0:1], -1
                                        ; implicit-def: $vgpr3
.LBB102_1617:
	s_mov_b64 s[6:7], 0
.LBB102_1618:
	s_and_b64 vcc, exec, s[6:7]
	s_cbranch_vccz .LBB102_1620
; %bb.1619:
	s_cmp_lg_u32 s24, 11
	s_mov_b64 s[2:3], -1
	s_cselect_b64 s[0:1], -1, 0
.LBB102_1620:
	s_and_b64 vcc, exec, s[0:1]
	s_mov_b64 s[22:23], s[20:21]
	s_cbranch_vccnz .LBB102_1681
; %bb.1621:
	s_andn2_b64 vcc, exec, s[2:3]
	s_cbranch_vccnz .LBB102_1623
.LBB102_1622:
	global_load_ubyte v3, v[0:1], off
	s_mov_b64 s[4:5], -1
	s_waitcnt vmcnt(0)
	v_cmp_ne_u16_e32 vcc, 0, v3
	v_cndmask_b32_e64 v3, 0, 1.0, vcc
.LBB102_1623:
	s_branch .LBB102_1553
.LBB102_1624:
	s_and_b32 s2, 0xffff, s26
	s_cmp_lt_i32 s2, 5
	s_cbranch_scc1 .LBB102_1629
; %bb.1625:
	s_cmp_lt_i32 s2, 8
	s_cbranch_scc1 .LBB102_1630
; %bb.1626:
	;; [unrolled: 3-line block ×3, first 2 shown]
	s_cmp_gt_i32 s2, 9
	s_cbranch_scc0 .LBB102_1632
; %bb.1628:
	global_load_dwordx2 v[3:4], v[0:1], off
	s_mov_b64 s[0:1], 0
	s_waitcnt vmcnt(0)
	v_cvt_f32_f64_e32 v3, v[3:4]
	s_branch .LBB102_1633
.LBB102_1629:
                                        ; implicit-def: $vgpr3
	s_branch .LBB102_1650
.LBB102_1630:
                                        ; implicit-def: $vgpr3
	s_branch .LBB102_1639
.LBB102_1631:
	s_mov_b64 s[0:1], -1
                                        ; implicit-def: $vgpr3
	s_branch .LBB102_1636
.LBB102_1632:
	s_mov_b64 s[0:1], -1
                                        ; implicit-def: $vgpr3
.LBB102_1633:
	s_andn2_b64 vcc, exec, s[0:1]
	s_cbranch_vccnz .LBB102_1635
; %bb.1634:
	global_load_dword v3, v[0:1], off
.LBB102_1635:
	s_mov_b64 s[0:1], 0
.LBB102_1636:
	s_andn2_b64 vcc, exec, s[0:1]
	s_cbranch_vccnz .LBB102_1638
; %bb.1637:
	global_load_dword v3, v[0:1], off
	s_waitcnt vmcnt(0)
	v_cvt_f32_f16_e32 v3, v3
.LBB102_1638:
	s_cbranch_execnz .LBB102_1649
.LBB102_1639:
	s_cmp_lt_i32 s2, 6
	s_cbranch_scc1 .LBB102_1642
; %bb.1640:
	s_cmp_gt_i32 s2, 6
	s_cbranch_scc0 .LBB102_1643
; %bb.1641:
	global_load_dwordx2 v[3:4], v[0:1], off
	s_mov_b64 s[0:1], 0
	s_waitcnt vmcnt(0)
	v_cvt_f32_f64_e32 v3, v[3:4]
	s_branch .LBB102_1644
.LBB102_1642:
	s_mov_b64 s[0:1], -1
                                        ; implicit-def: $vgpr3
	s_branch .LBB102_1647
.LBB102_1643:
	s_mov_b64 s[0:1], -1
                                        ; implicit-def: $vgpr3
.LBB102_1644:
	s_andn2_b64 vcc, exec, s[0:1]
	s_cbranch_vccnz .LBB102_1646
; %bb.1645:
	global_load_dword v3, v[0:1], off
.LBB102_1646:
	s_mov_b64 s[0:1], 0
.LBB102_1647:
	s_andn2_b64 vcc, exec, s[0:1]
	s_cbranch_vccnz .LBB102_1649
; %bb.1648:
	global_load_ushort v3, v[0:1], off
	s_waitcnt vmcnt(0)
	v_cvt_f32_f16_e32 v3, v3
.LBB102_1649:
	s_cbranch_execnz .LBB102_1668
.LBB102_1650:
	s_cmp_lt_i32 s2, 2
	s_cbranch_scc1 .LBB102_1654
; %bb.1651:
	s_cmp_lt_i32 s2, 3
	s_cbranch_scc1 .LBB102_1655
; %bb.1652:
	s_cmp_gt_i32 s2, 3
	s_cbranch_scc0 .LBB102_1656
; %bb.1653:
	global_load_dwordx2 v[3:4], v[0:1], off
	s_mov_b64 s[0:1], 0
	s_waitcnt vmcnt(0)
	v_xor_b32_e32 v7, v3, v4
	v_ffbh_i32_e32 v6, v4
	v_ashrrev_i32_e32 v7, 31, v7
	v_add_u32_e32 v6, -1, v6
	v_add_u32_e32 v7, 32, v7
	v_min_u32_e32 v6, v6, v7
	v_lshlrev_b64 v[3:4], v6, v[3:4]
	v_min_u32_e32 v3, 1, v3
	v_or_b32_e32 v3, v4, v3
	v_cvt_f32_i32_e32 v3, v3
	v_sub_u32_e32 v4, 32, v6
	v_ldexp_f32 v3, v3, v4
	s_branch .LBB102_1657
.LBB102_1654:
                                        ; implicit-def: $vgpr3
	s_branch .LBB102_1663
.LBB102_1655:
	s_mov_b64 s[0:1], -1
                                        ; implicit-def: $vgpr3
	s_branch .LBB102_1660
.LBB102_1656:
	s_mov_b64 s[0:1], -1
                                        ; implicit-def: $vgpr3
.LBB102_1657:
	s_andn2_b64 vcc, exec, s[0:1]
	s_cbranch_vccnz .LBB102_1659
; %bb.1658:
	global_load_dword v3, v[0:1], off
	s_waitcnt vmcnt(0)
	v_cvt_f32_i32_e32 v3, v3
.LBB102_1659:
	s_mov_b64 s[0:1], 0
.LBB102_1660:
	s_andn2_b64 vcc, exec, s[0:1]
	s_cbranch_vccnz .LBB102_1662
; %bb.1661:
	global_load_sshort v3, v[0:1], off
	s_waitcnt vmcnt(0)
	v_cvt_f32_i32_e32 v3, v3
.LBB102_1662:
	s_cbranch_execnz .LBB102_1668
.LBB102_1663:
	s_cmp_gt_i32 s2, 0
	s_cbranch_scc0 .LBB102_1665
; %bb.1664:
	global_load_sbyte v3, v[0:1], off
	s_mov_b64 s[0:1], 0
	s_waitcnt vmcnt(0)
	v_cvt_f32_i32_e32 v3, v3
	s_branch .LBB102_1666
.LBB102_1665:
	s_mov_b64 s[0:1], -1
                                        ; implicit-def: $vgpr3
.LBB102_1666:
	s_andn2_b64 vcc, exec, s[0:1]
	s_cbranch_vccnz .LBB102_1668
; %bb.1667:
	global_load_ubyte v0, v[0:1], off
	s_waitcnt vmcnt(0)
	v_cvt_f32_ubyte0_e32 v3, v0
.LBB102_1668:
.LBB102_1669:
	v_mul_lo_u32 v6, s14, v2
	v_mov_b32_e32 v1, s17
	s_and_b32 s27, s56, 0xff
	s_cmp_lt_i32 s27, 11
	v_ashrrev_i32_e32 v4, 31, v6
	v_add_co_u32_e32 v0, vcc, s16, v6
	v_addc_co_u32_e32 v1, vcc, v1, v4, vcc
	s_cbranch_scc1 .LBB102_1676
; %bb.1670:
	s_and_b32 s28, 0xffff, s27
	s_cmp_gt_i32 s28, 25
	s_mov_b64 s[2:3], 0
	s_cbranch_scc0 .LBB102_1678
; %bb.1671:
	s_cmp_gt_i32 s28, 28
	s_cbranch_scc0 .LBB102_1679
; %bb.1672:
	s_cmp_gt_i32 s28, 43
	;; [unrolled: 3-line block ×3, first 2 shown]
	s_cbranch_scc0 .LBB102_1682
; %bb.1674:
	s_cmp_eq_u32 s28, 46
	s_mov_b64 s[6:7], 0
	s_cbranch_scc0 .LBB102_1685
; %bb.1675:
	global_load_dword v4, v[0:1], off
	s_mov_b64 s[0:1], 0
	s_mov_b64 s[4:5], -1
	s_waitcnt vmcnt(0)
	v_lshlrev_b32_e32 v4, 16, v4
	s_branch .LBB102_1686
.LBB102_1676:
	s_mov_b64 s[4:5], 0
                                        ; implicit-def: $vgpr4
	s_cbranch_execnz .LBB102_1751
.LBB102_1677:
	s_andn2_b64 vcc, exec, s[4:5]
	s_cbranch_vccnz .LBB102_3012
	s_branch .LBB102_1798
.LBB102_1678:
	s_mov_b64 s[4:5], 0
	s_mov_b64 s[0:1], 0
                                        ; implicit-def: $vgpr4
	s_cbranch_execnz .LBB102_1715
	s_branch .LBB102_1747
.LBB102_1679:
	s_mov_b64 s[6:7], -1
	s_mov_b64 s[4:5], 0
	s_mov_b64 s[0:1], 0
                                        ; implicit-def: $vgpr4
	s_branch .LBB102_1696
.LBB102_1680:
	s_mov_b64 s[6:7], -1
	s_mov_b64 s[4:5], 0
	s_mov_b64 s[0:1], 0
                                        ; implicit-def: $vgpr4
	s_branch .LBB102_1691
.LBB102_1681:
	s_or_b64 s[22:23], s[20:21], exec
	s_trap 2
	s_cbranch_execz .LBB102_1622
	s_branch .LBB102_1623
.LBB102_1682:
	s_mov_b64 s[6:7], -1
	s_mov_b64 s[4:5], 0
	s_mov_b64 s[0:1], 0
                                        ; implicit-def: $vgpr4
	s_branch .LBB102_1686
.LBB102_1683:
	s_andn2_saveexec_b64 s[30:31], s[30:31]
	s_cbranch_execz .LBB102_1465
.LBB102_1684:
	v_add_f32_e32 v2, 0x42800000, v3
	v_and_b32_e32 v2, 0xff, v2
	v_cmp_ne_u32_e32 vcc, 0, v2
	s_andn2_b64 s[28:29], s[28:29], exec
	s_and_b64 s[36:37], vcc, exec
	s_or_b64 s[28:29], s[28:29], s[36:37]
	s_or_b64 exec, exec, s[30:31]
	v_mov_b32_e32 v4, 0
	s_and_saveexec_b64 s[30:31], s[28:29]
	s_cbranch_execnz .LBB102_1466
	s_branch .LBB102_1467
.LBB102_1685:
	s_mov_b64 s[0:1], -1
                                        ; implicit-def: $vgpr4
	s_mov_b64 s[4:5], 0
.LBB102_1686:
	s_and_b64 vcc, exec, s[6:7]
	s_cbranch_vccz .LBB102_1690
; %bb.1687:
	s_cmp_eq_u32 s28, 44
	s_cbranch_scc0 .LBB102_1689
; %bb.1688:
	global_load_ubyte v4, v[0:1], off
	s_movk_i32 s4, 0xff
	v_mov_b32_e32 v7, 0x7f800001
	v_mov_b32_e32 v8, 0x400000
	s_mov_b64 s[0:1], 0
	s_waitcnt vmcnt(0)
	v_lshlrev_b32_e32 v9, 23, v4
	v_cmp_ne_u32_e32 vcc, s4, v4
	v_cndmask_b32_e32 v7, v7, v9, vcc
	v_cmp_ne_u32_e32 vcc, 0, v4
	v_cndmask_b32_e32 v4, v8, v7, vcc
	s_mov_b64 s[4:5], -1
	s_branch .LBB102_1690
.LBB102_1689:
	s_mov_b64 s[0:1], -1
                                        ; implicit-def: $vgpr4
.LBB102_1690:
	s_mov_b64 s[6:7], 0
.LBB102_1691:
	s_and_b64 vcc, exec, s[6:7]
	s_cbranch_vccz .LBB102_1695
; %bb.1692:
	s_cmp_eq_u32 s28, 29
	s_cbranch_scc0 .LBB102_1694
; %bb.1693:
	global_load_dwordx2 v[7:8], v[0:1], off
	s_mov_b64 s[0:1], 0
	s_mov_b64 s[4:5], -1
	s_mov_b64 s[6:7], 0
	s_waitcnt vmcnt(0)
	v_ffbh_u32_e32 v4, v8
	v_min_u32_e32 v4, 32, v4
	v_lshlrev_b64 v[7:8], v4, v[7:8]
	v_sub_u32_e32 v4, 32, v4
	v_min_u32_e32 v7, 1, v7
	v_or_b32_e32 v7, v8, v7
	v_cvt_f32_u32_e32 v7, v7
	v_ldexp_f32 v4, v7, v4
	s_branch .LBB102_1696
.LBB102_1694:
	s_mov_b64 s[0:1], -1
                                        ; implicit-def: $vgpr4
.LBB102_1695:
	s_mov_b64 s[6:7], 0
.LBB102_1696:
	s_and_b64 vcc, exec, s[6:7]
	s_cbranch_vccz .LBB102_1714
; %bb.1697:
	s_cmp_lt_i32 s28, 27
	s_cbranch_scc1 .LBB102_1700
; %bb.1698:
	s_cmp_gt_i32 s28, 27
	s_cbranch_scc0 .LBB102_1701
; %bb.1699:
	global_load_dword v4, v[0:1], off
	s_mov_b64 s[4:5], 0
	s_waitcnt vmcnt(0)
	v_cvt_f32_u32_e32 v4, v4
	s_branch .LBB102_1702
.LBB102_1700:
	s_mov_b64 s[4:5], -1
                                        ; implicit-def: $vgpr4
	s_branch .LBB102_1705
.LBB102_1701:
	s_mov_b64 s[4:5], -1
                                        ; implicit-def: $vgpr4
.LBB102_1702:
	s_andn2_b64 vcc, exec, s[4:5]
	s_cbranch_vccnz .LBB102_1704
; %bb.1703:
	global_load_ushort v4, v[0:1], off
	s_waitcnt vmcnt(0)
	v_cvt_f32_u32_e32 v4, v4
.LBB102_1704:
	s_mov_b64 s[4:5], 0
.LBB102_1705:
	s_andn2_b64 vcc, exec, s[4:5]
	s_cbranch_vccnz .LBB102_1713
; %bb.1706:
	global_load_ubyte v7, v[0:1], off
	s_movk_i32 s4, 0x7f
	s_waitcnt vmcnt(0)
	v_cmp_lt_i16_e32 vcc, s4, v7
	s_mov_b64 s[4:5], 0
	s_and_saveexec_b64 s[6:7], vcc
	s_xor_b64 s[6:7], exec, s[6:7]
	s_cbranch_execz .LBB102_1726
; %bb.1707:
	s_movk_i32 s4, 0x80
	v_cmp_eq_u16_e32 vcc, s4, v7
	s_mov_b64 s[4:5], -1
	s_and_saveexec_b64 s[24:25], vcc
; %bb.1708:
	s_xor_b64 s[4:5], exec, -1
; %bb.1709:
	s_or_b64 exec, exec, s[24:25]
	s_and_b64 s[4:5], s[4:5], exec
	s_or_saveexec_b64 s[6:7], s[6:7]
	v_mov_b32_e32 v4, 0x7f800001
	s_xor_b64 exec, exec, s[6:7]
	s_cbranch_execnz .LBB102_1727
.LBB102_1710:
	s_or_b64 exec, exec, s[6:7]
	s_and_saveexec_b64 s[6:7], s[4:5]
	s_cbranch_execz .LBB102_1712
.LBB102_1711:
	v_lshlrev_b32_e32 v4, 24, v7
	v_and_b32_e32 v7, 0xffff, v7
	v_and_b32_e32 v8, 7, v7
	v_ffbh_u32_e32 v10, v8
	v_min_u32_e32 v10, 32, v10
	v_subrev_u32_e32 v11, 28, v10
	v_bfe_u32 v9, v7, 3, 4
	v_lshlrev_b32_e32 v7, v11, v7
	v_sub_u32_e32 v10, 29, v10
	v_and_b32_e32 v7, 7, v7
	v_cmp_eq_u32_e32 vcc, 0, v9
	v_cndmask_b32_e32 v9, v9, v10, vcc
	v_cndmask_b32_e32 v7, v8, v7, vcc
	v_mov_b32_e32 v8, 0x3b800000
	v_lshlrev_b32_e32 v7, 20, v7
	v_and_b32_e32 v4, 0x80000000, v4
	v_lshl_add_u32 v8, v9, 23, v8
	v_or3_b32 v4, v4, v8, v7
.LBB102_1712:
	s_or_b64 exec, exec, s[6:7]
.LBB102_1713:
	s_mov_b64 s[4:5], -1
.LBB102_1714:
	s_branch .LBB102_1747
.LBB102_1715:
	s_cmp_gt_i32 s28, 22
	s_cbranch_scc0 .LBB102_1725
; %bb.1716:
	s_cmp_lt_i32 s28, 24
	s_cbranch_scc1 .LBB102_1728
; %bb.1717:
	s_cmp_gt_i32 s28, 24
	s_cbranch_scc0 .LBB102_1729
; %bb.1718:
	global_load_ubyte v7, v[0:1], off
	s_movk_i32 s2, 0x7f
	s_waitcnt vmcnt(0)
	v_cmp_lt_i16_e32 vcc, s2, v7
	s_mov_b64 s[2:3], 0
	s_and_saveexec_b64 s[4:5], vcc
	s_xor_b64 s[4:5], exec, s[4:5]
	s_cbranch_execz .LBB102_1741
; %bb.1719:
	s_movk_i32 s2, 0x80
	v_cmp_eq_u16_e32 vcc, s2, v7
	s_mov_b64 s[2:3], -1
	s_and_saveexec_b64 s[6:7], vcc
; %bb.1720:
	s_xor_b64 s[2:3], exec, -1
; %bb.1721:
	s_or_b64 exec, exec, s[6:7]
	s_and_b64 s[2:3], s[2:3], exec
	s_or_saveexec_b64 s[4:5], s[4:5]
	v_mov_b32_e32 v4, 0x7f800001
	s_xor_b64 exec, exec, s[4:5]
	s_cbranch_execnz .LBB102_1742
.LBB102_1722:
	s_or_b64 exec, exec, s[4:5]
	s_and_saveexec_b64 s[4:5], s[2:3]
	s_cbranch_execz .LBB102_1724
.LBB102_1723:
	v_lshlrev_b32_e32 v4, 24, v7
	v_and_b32_e32 v7, 0xffff, v7
	v_and_b32_e32 v8, 3, v7
	v_ffbh_u32_e32 v10, v8
	v_min_u32_e32 v10, 32, v10
	v_subrev_u32_e32 v11, 29, v10
	v_bfe_u32 v9, v7, 2, 5
	v_lshlrev_b32_e32 v7, v11, v7
	v_sub_u32_e32 v10, 30, v10
	v_and_b32_e32 v7, 3, v7
	v_cmp_eq_u32_e32 vcc, 0, v9
	v_cndmask_b32_e32 v9, v9, v10, vcc
	v_cndmask_b32_e32 v7, v8, v7, vcc
	v_mov_b32_e32 v8, 0x37800000
	v_lshlrev_b32_e32 v7, 21, v7
	v_and_b32_e32 v4, 0x80000000, v4
	v_lshl_add_u32 v8, v9, 23, v8
	v_or3_b32 v4, v4, v8, v7
.LBB102_1724:
	s_or_b64 exec, exec, s[4:5]
	s_mov_b64 s[2:3], 0
	s_branch .LBB102_1730
.LBB102_1725:
	s_mov_b64 s[2:3], -1
                                        ; implicit-def: $vgpr4
	s_branch .LBB102_1736
.LBB102_1726:
	s_or_saveexec_b64 s[6:7], s[6:7]
	v_mov_b32_e32 v4, 0x7f800001
	s_xor_b64 exec, exec, s[6:7]
	s_cbranch_execz .LBB102_1710
.LBB102_1727:
	v_cmp_ne_u16_e32 vcc, 0, v7
	s_andn2_b64 s[4:5], s[4:5], exec
	s_and_b64 s[24:25], vcc, exec
	v_mov_b32_e32 v4, 0
	s_or_b64 s[4:5], s[4:5], s[24:25]
	s_or_b64 exec, exec, s[6:7]
	s_and_saveexec_b64 s[6:7], s[4:5]
	s_cbranch_execnz .LBB102_1711
	s_branch .LBB102_1712
.LBB102_1728:
	s_mov_b64 s[2:3], -1
                                        ; implicit-def: $vgpr4
	s_branch .LBB102_1733
.LBB102_1729:
	s_mov_b64 s[2:3], -1
                                        ; implicit-def: $vgpr4
.LBB102_1730:
	s_and_b64 vcc, exec, s[2:3]
	s_cbranch_vccz .LBB102_1732
; %bb.1731:
	global_load_ubyte v4, v[0:1], off
	s_mov_b32 s2, 0x7f800000
	s_waitcnt vmcnt(0)
	v_lshlrev_b32_e32 v4, 24, v4
	v_and_b32_e32 v7, 0x7f000000, v4
	v_ffbh_u32_e32 v8, v7
	v_min_u32_e32 v8, 32, v8
	v_sub_u32_e64 v8, v8, 4 clamp
	v_lshlrev_b32_e32 v10, v8, v7
	v_lshlrev_b32_e32 v8, 23, v8
	v_lshrrev_b32_e32 v10, 4, v10
	v_add_u32_e32 v9, 0x1000000, v7
	v_sub_u32_e32 v8, v10, v8
	v_ashrrev_i32_e32 v9, 8, v9
	v_add_u32_e32 v8, 0x3c000000, v8
	v_and_or_b32 v8, v9, s2, v8
	v_cmp_ne_u32_e32 vcc, 0, v7
	v_cndmask_b32_e32 v7, 0, v8, vcc
	s_brev_b32 s2, 1
	v_and_or_b32 v4, v4, s2, v7
.LBB102_1732:
	s_mov_b64 s[2:3], 0
.LBB102_1733:
	s_andn2_b64 vcc, exec, s[2:3]
	s_cbranch_vccnz .LBB102_1735
; %bb.1734:
	global_load_ubyte v4, v[0:1], off
	s_movk_i32 s2, 0x7f00
	s_brev_b32 s3, 16
	s_waitcnt vmcnt(0)
	v_lshlrev_b16_e32 v7, 8, v4
	v_lshlrev_b32_e32 v4, 25, v4
	v_lshrrev_b32_e32 v8, 4, v4
	v_and_or_b32 v9, v7, s2, 0.5
	v_or_b32_e32 v8, 0x70000000, v8
	v_add_f32_e32 v9, -0.5, v9
	v_mul_f32_e32 v8, 0x7800000, v8
	v_cmp_gt_u32_e32 vcc, s3, v4
	v_bfe_i32 v7, v7, 0, 16
	v_cndmask_b32_e32 v4, v8, v9, vcc
	s_brev_b32 s2, 1
	v_and_or_b32 v4, v7, s2, v4
.LBB102_1735:
	s_mov_b64 s[2:3], 0
	s_mov_b64 s[4:5], -1
.LBB102_1736:
	s_andn2_b64 vcc, exec, s[2:3]
	s_mov_b64 s[2:3], 0
	s_cbranch_vccnz .LBB102_1747
; %bb.1737:
	s_cmp_gt_i32 s28, 14
	s_cbranch_scc0 .LBB102_1740
; %bb.1738:
	s_cmp_eq_u32 s28, 15
	s_cbranch_scc0 .LBB102_1743
; %bb.1739:
	global_load_ushort v4, v[0:1], off
	s_mov_b64 s[0:1], 0
	s_mov_b64 s[4:5], -1
	s_waitcnt vmcnt(0)
	v_lshlrev_b32_e32 v4, 16, v4
	s_branch .LBB102_1744
.LBB102_1740:
	s_mov_b64 s[6:7], -1
                                        ; implicit-def: $vgpr4
	s_branch .LBB102_1745
.LBB102_1741:
	s_or_saveexec_b64 s[4:5], s[4:5]
	v_mov_b32_e32 v4, 0x7f800001
	s_xor_b64 exec, exec, s[4:5]
	s_cbranch_execz .LBB102_1722
.LBB102_1742:
	v_cmp_ne_u16_e32 vcc, 0, v7
	s_andn2_b64 s[2:3], s[2:3], exec
	s_and_b64 s[6:7], vcc, exec
	v_mov_b32_e32 v4, 0
	s_or_b64 s[2:3], s[2:3], s[6:7]
	s_or_b64 exec, exec, s[4:5]
	s_and_saveexec_b64 s[4:5], s[2:3]
	s_cbranch_execnz .LBB102_1723
	s_branch .LBB102_1724
.LBB102_1743:
	s_mov_b64 s[0:1], -1
                                        ; implicit-def: $vgpr4
.LBB102_1744:
	s_mov_b64 s[6:7], 0
.LBB102_1745:
	s_and_b64 vcc, exec, s[6:7]
	s_cbranch_vccz .LBB102_1747
; %bb.1746:
	s_cmp_lg_u32 s28, 11
	s_mov_b64 s[2:3], -1
	s_cselect_b64 s[0:1], -1, 0
.LBB102_1747:
	s_and_b64 vcc, exec, s[0:1]
	s_cbranch_vccnz .LBB102_1810
; %bb.1748:
	s_andn2_b64 vcc, exec, s[2:3]
	s_cbranch_vccnz .LBB102_1750
.LBB102_1749:
	global_load_ubyte v4, v[0:1], off
	s_mov_b64 s[4:5], -1
	s_waitcnt vmcnt(0)
	v_cmp_ne_u16_e32 vcc, 0, v4
	v_cndmask_b32_e64 v4, 0, 1.0, vcc
.LBB102_1750:
	s_branch .LBB102_1677
.LBB102_1751:
	s_and_b32 s2, 0xffff, s27
	s_cmp_lt_i32 s2, 5
	s_cbranch_scc1 .LBB102_1756
; %bb.1752:
	s_cmp_lt_i32 s2, 8
	s_cbranch_scc1 .LBB102_1757
; %bb.1753:
	;; [unrolled: 3-line block ×3, first 2 shown]
	s_cmp_gt_i32 s2, 9
	s_cbranch_scc0 .LBB102_1759
; %bb.1755:
	global_load_dwordx2 v[7:8], v[0:1], off
	s_mov_b64 s[0:1], 0
	s_waitcnt vmcnt(0)
	v_cvt_f32_f64_e32 v4, v[7:8]
	s_branch .LBB102_1760
.LBB102_1756:
                                        ; implicit-def: $vgpr4
	s_branch .LBB102_1778
.LBB102_1757:
	s_mov_b64 s[0:1], -1
                                        ; implicit-def: $vgpr4
	s_branch .LBB102_1766
.LBB102_1758:
	s_mov_b64 s[0:1], -1
                                        ; implicit-def: $vgpr4
	s_branch .LBB102_1763
.LBB102_1759:
	s_mov_b64 s[0:1], -1
                                        ; implicit-def: $vgpr4
.LBB102_1760:
	s_andn2_b64 vcc, exec, s[0:1]
	s_cbranch_vccnz .LBB102_1762
; %bb.1761:
	global_load_dword v4, v[0:1], off
.LBB102_1762:
	s_mov_b64 s[0:1], 0
.LBB102_1763:
	s_andn2_b64 vcc, exec, s[0:1]
	s_cbranch_vccnz .LBB102_1765
; %bb.1764:
	global_load_dword v4, v[0:1], off
	s_waitcnt vmcnt(0)
	v_cvt_f32_f16_e32 v4, v4
.LBB102_1765:
	s_mov_b64 s[0:1], 0
.LBB102_1766:
	s_andn2_b64 vcc, exec, s[0:1]
	s_cbranch_vccnz .LBB102_1777
; %bb.1767:
	s_cmp_lt_i32 s2, 6
	s_cbranch_scc1 .LBB102_1770
; %bb.1768:
	s_cmp_gt_i32 s2, 6
	s_cbranch_scc0 .LBB102_1771
; %bb.1769:
	global_load_dwordx2 v[7:8], v[0:1], off
	s_mov_b64 s[0:1], 0
	s_waitcnt vmcnt(0)
	v_cvt_f32_f64_e32 v4, v[7:8]
	s_branch .LBB102_1772
.LBB102_1770:
	s_mov_b64 s[0:1], -1
                                        ; implicit-def: $vgpr4
	s_branch .LBB102_1775
.LBB102_1771:
	s_mov_b64 s[0:1], -1
                                        ; implicit-def: $vgpr4
.LBB102_1772:
	s_andn2_b64 vcc, exec, s[0:1]
	s_cbranch_vccnz .LBB102_1774
; %bb.1773:
	global_load_dword v4, v[0:1], off
.LBB102_1774:
	s_mov_b64 s[0:1], 0
.LBB102_1775:
	s_andn2_b64 vcc, exec, s[0:1]
	s_cbranch_vccnz .LBB102_1777
; %bb.1776:
	global_load_ushort v4, v[0:1], off
	s_waitcnt vmcnt(0)
	v_cvt_f32_f16_e32 v4, v4
.LBB102_1777:
	s_cbranch_execnz .LBB102_1797
.LBB102_1778:
	s_cmp_lt_i32 s2, 2
	s_cbranch_scc1 .LBB102_1782
; %bb.1779:
	s_cmp_lt_i32 s2, 3
	s_cbranch_scc1 .LBB102_1783
; %bb.1780:
	s_cmp_gt_i32 s2, 3
	s_cbranch_scc0 .LBB102_1784
; %bb.1781:
	global_load_dwordx2 v[7:8], v[0:1], off
	s_mov_b64 s[0:1], 0
	s_waitcnt vmcnt(0)
	v_xor_b32_e32 v9, v7, v8
	v_ffbh_i32_e32 v4, v8
	v_ashrrev_i32_e32 v9, 31, v9
	v_add_u32_e32 v4, -1, v4
	v_add_u32_e32 v9, 32, v9
	v_min_u32_e32 v4, v4, v9
	v_lshlrev_b64 v[7:8], v4, v[7:8]
	v_sub_u32_e32 v4, 32, v4
	v_min_u32_e32 v7, 1, v7
	v_or_b32_e32 v7, v8, v7
	v_cvt_f32_i32_e32 v7, v7
	v_ldexp_f32 v4, v7, v4
	s_branch .LBB102_1785
.LBB102_1782:
	s_mov_b64 s[0:1], -1
                                        ; implicit-def: $vgpr4
	s_branch .LBB102_1791
.LBB102_1783:
	s_mov_b64 s[0:1], -1
                                        ; implicit-def: $vgpr4
	s_branch .LBB102_1788
.LBB102_1784:
	s_mov_b64 s[0:1], -1
                                        ; implicit-def: $vgpr4
.LBB102_1785:
	s_andn2_b64 vcc, exec, s[0:1]
	s_cbranch_vccnz .LBB102_1787
; %bb.1786:
	global_load_dword v4, v[0:1], off
	s_waitcnt vmcnt(0)
	v_cvt_f32_i32_e32 v4, v4
.LBB102_1787:
	s_mov_b64 s[0:1], 0
.LBB102_1788:
	s_andn2_b64 vcc, exec, s[0:1]
	s_cbranch_vccnz .LBB102_1790
; %bb.1789:
	global_load_sshort v4, v[0:1], off
	s_waitcnt vmcnt(0)
	v_cvt_f32_i32_e32 v4, v4
.LBB102_1790:
	s_mov_b64 s[0:1], 0
.LBB102_1791:
	s_andn2_b64 vcc, exec, s[0:1]
	s_cbranch_vccnz .LBB102_1797
; %bb.1792:
	s_cmp_gt_i32 s2, 0
	s_cbranch_scc0 .LBB102_1794
; %bb.1793:
	global_load_sbyte v4, v[0:1], off
	s_mov_b64 s[0:1], 0
	s_waitcnt vmcnt(0)
	v_cvt_f32_i32_e32 v4, v4
	s_branch .LBB102_1795
.LBB102_1794:
	s_mov_b64 s[0:1], -1
                                        ; implicit-def: $vgpr4
.LBB102_1795:
	s_andn2_b64 vcc, exec, s[0:1]
	s_cbranch_vccnz .LBB102_1797
; %bb.1796:
	global_load_ubyte v0, v[0:1], off
	s_waitcnt vmcnt(0)
	v_cvt_f32_ubyte0_e32 v4, v0
.LBB102_1797:
.LBB102_1798:
	s_lshl_b32 s13, s13, 7
	v_add_u32_e32 v7, s13, v5
	v_ashrrev_i32_e32 v1, 31, v7
	v_mov_b32_e32 v5, s11
	v_add_co_u32_e32 v0, vcc, s10, v7
	s_cmp_lt_i32 s26, 11
	v_addc_co_u32_e32 v1, vcc, v5, v1, vcc
	s_cbranch_scc1 .LBB102_1805
; %bb.1799:
	s_and_b32 s28, 0xffff, s26
	s_cmp_gt_i32 s28, 25
	s_mov_b64 s[2:3], 0
	s_cbranch_scc0 .LBB102_1807
; %bb.1800:
	s_cmp_gt_i32 s28, 28
	s_cbranch_scc0 .LBB102_1808
; %bb.1801:
	s_cmp_gt_i32 s28, 43
	;; [unrolled: 3-line block ×3, first 2 shown]
	s_cbranch_scc0 .LBB102_1811
; %bb.1803:
	s_cmp_eq_u32 s28, 46
	s_mov_b64 s[6:7], 0
	s_cbranch_scc0 .LBB102_1812
; %bb.1804:
	global_load_dword v5, v[0:1], off
	s_mov_b64 s[0:1], 0
	s_mov_b64 s[4:5], -1
	s_waitcnt vmcnt(0)
	v_lshlrev_b32_e32 v5, 16, v5
	s_branch .LBB102_1813
.LBB102_1805:
	s_mov_b64 s[4:5], 0
                                        ; implicit-def: $vgpr5
	s_cbranch_execnz .LBB102_1879
.LBB102_1806:
	s_andn2_b64 vcc, exec, s[4:5]
	s_cbranch_vccnz .LBB102_3012
	s_branch .LBB102_1927
.LBB102_1807:
	s_mov_b64 s[6:7], -1
	s_mov_b64 s[4:5], 0
	s_mov_b64 s[0:1], 0
                                        ; implicit-def: $vgpr5
	s_branch .LBB102_1842
.LBB102_1808:
	s_mov_b64 s[6:7], -1
	s_mov_b64 s[4:5], 0
	s_mov_b64 s[0:1], 0
                                        ; implicit-def: $vgpr5
	s_branch .LBB102_1823
.LBB102_1809:
	s_mov_b64 s[6:7], -1
	s_mov_b64 s[4:5], 0
	s_mov_b64 s[0:1], 0
                                        ; implicit-def: $vgpr5
	s_branch .LBB102_1818
.LBB102_1810:
	s_trap 2
	s_or_b64 s[22:23], s[22:23], exec
	s_cbranch_execz .LBB102_1749
	s_branch .LBB102_1750
.LBB102_1811:
	s_mov_b64 s[6:7], -1
	s_mov_b64 s[4:5], 0
	s_mov_b64 s[0:1], 0
                                        ; implicit-def: $vgpr5
	s_branch .LBB102_1813
.LBB102_1812:
	s_mov_b64 s[0:1], -1
                                        ; implicit-def: $vgpr5
	s_mov_b64 s[4:5], 0
.LBB102_1813:
	s_and_b64 vcc, exec, s[6:7]
	s_cbranch_vccz .LBB102_1817
; %bb.1814:
	s_cmp_eq_u32 s28, 44
	s_cbranch_scc0 .LBB102_1816
; %bb.1815:
	global_load_ubyte v5, v[0:1], off
	s_movk_i32 s4, 0xff
	v_mov_b32_e32 v8, 0x7f800001
	v_mov_b32_e32 v9, 0x400000
	s_mov_b64 s[0:1], 0
	s_waitcnt vmcnt(0)
	v_lshlrev_b32_e32 v10, 23, v5
	v_cmp_ne_u32_e32 vcc, s4, v5
	v_cndmask_b32_e32 v8, v8, v10, vcc
	v_cmp_ne_u32_e32 vcc, 0, v5
	v_cndmask_b32_e32 v5, v9, v8, vcc
	s_mov_b64 s[4:5], -1
	s_branch .LBB102_1817
.LBB102_1816:
	s_mov_b64 s[0:1], -1
                                        ; implicit-def: $vgpr5
.LBB102_1817:
	s_mov_b64 s[6:7], 0
.LBB102_1818:
	s_and_b64 vcc, exec, s[6:7]
	s_cbranch_vccz .LBB102_1822
; %bb.1819:
	s_cmp_eq_u32 s28, 29
	s_cbranch_scc0 .LBB102_1821
; %bb.1820:
	global_load_dwordx2 v[8:9], v[0:1], off
	s_mov_b64 s[0:1], 0
	s_mov_b64 s[4:5], -1
	s_mov_b64 s[6:7], 0
	s_waitcnt vmcnt(0)
	v_ffbh_u32_e32 v5, v9
	v_min_u32_e32 v5, 32, v5
	v_lshlrev_b64 v[8:9], v5, v[8:9]
	v_sub_u32_e32 v5, 32, v5
	v_min_u32_e32 v8, 1, v8
	v_or_b32_e32 v8, v9, v8
	v_cvt_f32_u32_e32 v8, v8
	v_ldexp_f32 v5, v8, v5
	s_branch .LBB102_1823
.LBB102_1821:
	s_mov_b64 s[0:1], -1
                                        ; implicit-def: $vgpr5
.LBB102_1822:
	s_mov_b64 s[6:7], 0
.LBB102_1823:
	s_and_b64 vcc, exec, s[6:7]
	s_cbranch_vccz .LBB102_1841
; %bb.1824:
	s_cmp_lt_i32 s28, 27
	s_cbranch_scc1 .LBB102_1827
; %bb.1825:
	s_cmp_gt_i32 s28, 27
	s_cbranch_scc0 .LBB102_1828
; %bb.1826:
	global_load_dword v5, v[0:1], off
	s_mov_b64 s[4:5], 0
	s_waitcnt vmcnt(0)
	v_cvt_f32_u32_e32 v5, v5
	s_branch .LBB102_1829
.LBB102_1827:
	s_mov_b64 s[4:5], -1
                                        ; implicit-def: $vgpr5
	s_branch .LBB102_1832
.LBB102_1828:
	s_mov_b64 s[4:5], -1
                                        ; implicit-def: $vgpr5
.LBB102_1829:
	s_andn2_b64 vcc, exec, s[4:5]
	s_cbranch_vccnz .LBB102_1831
; %bb.1830:
	global_load_ushort v5, v[0:1], off
	s_waitcnt vmcnt(0)
	v_cvt_f32_u32_e32 v5, v5
.LBB102_1831:
	s_mov_b64 s[4:5], 0
.LBB102_1832:
	s_andn2_b64 vcc, exec, s[4:5]
	s_cbranch_vccnz .LBB102_1840
; %bb.1833:
	global_load_ubyte v8, v[0:1], off
	s_movk_i32 s4, 0x7f
	s_waitcnt vmcnt(0)
	v_cmp_lt_i16_e32 vcc, s4, v8
	s_mov_b64 s[4:5], 0
	s_and_saveexec_b64 s[6:7], vcc
	s_xor_b64 s[6:7], exec, s[6:7]
	s_cbranch_execz .LBB102_1854
; %bb.1834:
	s_movk_i32 s4, 0x80
	v_cmp_eq_u16_e32 vcc, s4, v8
	s_mov_b64 s[4:5], -1
	s_and_saveexec_b64 s[24:25], vcc
; %bb.1835:
	s_xor_b64 s[4:5], exec, -1
; %bb.1836:
	s_or_b64 exec, exec, s[24:25]
	s_and_b64 s[4:5], s[4:5], exec
	s_or_saveexec_b64 s[6:7], s[6:7]
	v_mov_b32_e32 v5, 0x7f800001
	s_xor_b64 exec, exec, s[6:7]
	s_cbranch_execnz .LBB102_1855
.LBB102_1837:
	s_or_b64 exec, exec, s[6:7]
	s_and_saveexec_b64 s[6:7], s[4:5]
	s_cbranch_execz .LBB102_1839
.LBB102_1838:
	v_lshlrev_b32_e32 v5, 24, v8
	v_and_b32_e32 v8, 0xffff, v8
	v_and_b32_e32 v9, 7, v8
	v_ffbh_u32_e32 v11, v9
	v_min_u32_e32 v11, 32, v11
	v_subrev_u32_e32 v12, 28, v11
	v_bfe_u32 v10, v8, 3, 4
	v_lshlrev_b32_e32 v8, v12, v8
	v_sub_u32_e32 v11, 29, v11
	v_and_b32_e32 v8, 7, v8
	v_cmp_eq_u32_e32 vcc, 0, v10
	v_cndmask_b32_e32 v10, v10, v11, vcc
	v_cndmask_b32_e32 v8, v9, v8, vcc
	v_mov_b32_e32 v9, 0x3b800000
	v_lshlrev_b32_e32 v8, 20, v8
	v_and_b32_e32 v5, 0x80000000, v5
	v_lshl_add_u32 v9, v10, 23, v9
	v_or3_b32 v5, v5, v9, v8
.LBB102_1839:
	s_or_b64 exec, exec, s[6:7]
.LBB102_1840:
	s_mov_b64 s[4:5], -1
.LBB102_1841:
	s_mov_b64 s[6:7], 0
.LBB102_1842:
	s_and_b64 vcc, exec, s[6:7]
	s_cbranch_vccz .LBB102_1875
; %bb.1843:
	s_cmp_gt_i32 s28, 22
	s_cbranch_scc0 .LBB102_1853
; %bb.1844:
	s_cmp_lt_i32 s28, 24
	s_cbranch_scc1 .LBB102_1856
; %bb.1845:
	s_cmp_gt_i32 s28, 24
	s_cbranch_scc0 .LBB102_1857
; %bb.1846:
	global_load_ubyte v8, v[0:1], off
	s_movk_i32 s2, 0x7f
	s_waitcnt vmcnt(0)
	v_cmp_lt_i16_e32 vcc, s2, v8
	s_mov_b64 s[2:3], 0
	s_and_saveexec_b64 s[4:5], vcc
	s_xor_b64 s[4:5], exec, s[4:5]
	s_cbranch_execz .LBB102_1869
; %bb.1847:
	s_movk_i32 s2, 0x80
	v_cmp_eq_u16_e32 vcc, s2, v8
	s_mov_b64 s[2:3], -1
	s_and_saveexec_b64 s[6:7], vcc
; %bb.1848:
	s_xor_b64 s[2:3], exec, -1
; %bb.1849:
	s_or_b64 exec, exec, s[6:7]
	s_and_b64 s[2:3], s[2:3], exec
	s_or_saveexec_b64 s[4:5], s[4:5]
	v_mov_b32_e32 v5, 0x7f800001
	s_xor_b64 exec, exec, s[4:5]
	s_cbranch_execnz .LBB102_1870
.LBB102_1850:
	s_or_b64 exec, exec, s[4:5]
	s_and_saveexec_b64 s[4:5], s[2:3]
	s_cbranch_execz .LBB102_1852
.LBB102_1851:
	v_lshlrev_b32_e32 v5, 24, v8
	v_and_b32_e32 v8, 0xffff, v8
	v_and_b32_e32 v9, 3, v8
	v_ffbh_u32_e32 v11, v9
	v_min_u32_e32 v11, 32, v11
	v_subrev_u32_e32 v12, 29, v11
	v_bfe_u32 v10, v8, 2, 5
	v_lshlrev_b32_e32 v8, v12, v8
	v_sub_u32_e32 v11, 30, v11
	v_and_b32_e32 v8, 3, v8
	v_cmp_eq_u32_e32 vcc, 0, v10
	v_cndmask_b32_e32 v10, v10, v11, vcc
	v_cndmask_b32_e32 v8, v9, v8, vcc
	v_mov_b32_e32 v9, 0x37800000
	v_lshlrev_b32_e32 v8, 21, v8
	v_and_b32_e32 v5, 0x80000000, v5
	v_lshl_add_u32 v9, v10, 23, v9
	v_or3_b32 v5, v5, v9, v8
.LBB102_1852:
	s_or_b64 exec, exec, s[4:5]
	s_mov_b64 s[2:3], 0
	s_branch .LBB102_1858
.LBB102_1853:
	s_mov_b64 s[2:3], -1
                                        ; implicit-def: $vgpr5
	s_branch .LBB102_1864
.LBB102_1854:
	s_or_saveexec_b64 s[6:7], s[6:7]
	v_mov_b32_e32 v5, 0x7f800001
	s_xor_b64 exec, exec, s[6:7]
	s_cbranch_execz .LBB102_1837
.LBB102_1855:
	v_cmp_ne_u16_e32 vcc, 0, v8
	s_andn2_b64 s[4:5], s[4:5], exec
	s_and_b64 s[24:25], vcc, exec
	v_mov_b32_e32 v5, 0
	s_or_b64 s[4:5], s[4:5], s[24:25]
	s_or_b64 exec, exec, s[6:7]
	s_and_saveexec_b64 s[6:7], s[4:5]
	s_cbranch_execnz .LBB102_1838
	s_branch .LBB102_1839
.LBB102_1856:
	s_mov_b64 s[2:3], -1
                                        ; implicit-def: $vgpr5
	s_branch .LBB102_1861
.LBB102_1857:
	s_mov_b64 s[2:3], -1
                                        ; implicit-def: $vgpr5
.LBB102_1858:
	s_and_b64 vcc, exec, s[2:3]
	s_cbranch_vccz .LBB102_1860
; %bb.1859:
	global_load_ubyte v5, v[0:1], off
	s_mov_b32 s2, 0x7f800000
	s_waitcnt vmcnt(0)
	v_lshlrev_b32_e32 v5, 24, v5
	v_and_b32_e32 v8, 0x7f000000, v5
	v_ffbh_u32_e32 v9, v8
	v_min_u32_e32 v9, 32, v9
	v_sub_u32_e64 v9, v9, 4 clamp
	v_lshlrev_b32_e32 v11, v9, v8
	v_lshlrev_b32_e32 v9, 23, v9
	v_lshrrev_b32_e32 v11, 4, v11
	v_add_u32_e32 v10, 0x1000000, v8
	v_sub_u32_e32 v9, v11, v9
	v_ashrrev_i32_e32 v10, 8, v10
	v_add_u32_e32 v9, 0x3c000000, v9
	v_and_or_b32 v9, v10, s2, v9
	v_cmp_ne_u32_e32 vcc, 0, v8
	v_cndmask_b32_e32 v8, 0, v9, vcc
	s_brev_b32 s2, 1
	v_and_or_b32 v5, v5, s2, v8
.LBB102_1860:
	s_mov_b64 s[2:3], 0
.LBB102_1861:
	s_andn2_b64 vcc, exec, s[2:3]
	s_cbranch_vccnz .LBB102_1863
; %bb.1862:
	global_load_ubyte v5, v[0:1], off
	s_movk_i32 s2, 0x7f00
	s_brev_b32 s3, 16
	s_waitcnt vmcnt(0)
	v_lshlrev_b16_e32 v8, 8, v5
	v_lshlrev_b32_e32 v5, 25, v5
	v_lshrrev_b32_e32 v9, 4, v5
	v_and_or_b32 v10, v8, s2, 0.5
	v_or_b32_e32 v9, 0x70000000, v9
	v_add_f32_e32 v10, -0.5, v10
	v_mul_f32_e32 v9, 0x7800000, v9
	v_cmp_gt_u32_e32 vcc, s3, v5
	v_bfe_i32 v8, v8, 0, 16
	v_cndmask_b32_e32 v5, v9, v10, vcc
	s_brev_b32 s2, 1
	v_and_or_b32 v5, v8, s2, v5
.LBB102_1863:
	s_mov_b64 s[2:3], 0
	s_mov_b64 s[4:5], -1
.LBB102_1864:
	s_andn2_b64 vcc, exec, s[2:3]
	s_mov_b64 s[2:3], 0
	s_cbranch_vccnz .LBB102_1875
; %bb.1865:
	s_cmp_gt_i32 s28, 14
	s_cbranch_scc0 .LBB102_1868
; %bb.1866:
	s_cmp_eq_u32 s28, 15
	s_cbranch_scc0 .LBB102_1871
; %bb.1867:
	global_load_ushort v5, v[0:1], off
	s_mov_b64 s[0:1], 0
	s_mov_b64 s[4:5], -1
	s_waitcnt vmcnt(0)
	v_lshlrev_b32_e32 v5, 16, v5
	s_branch .LBB102_1872
.LBB102_1868:
	s_mov_b64 s[6:7], -1
                                        ; implicit-def: $vgpr5
	s_branch .LBB102_1873
.LBB102_1869:
	s_or_saveexec_b64 s[4:5], s[4:5]
	v_mov_b32_e32 v5, 0x7f800001
	s_xor_b64 exec, exec, s[4:5]
	s_cbranch_execz .LBB102_1850
.LBB102_1870:
	v_cmp_ne_u16_e32 vcc, 0, v8
	s_andn2_b64 s[2:3], s[2:3], exec
	s_and_b64 s[6:7], vcc, exec
	v_mov_b32_e32 v5, 0
	s_or_b64 s[2:3], s[2:3], s[6:7]
	s_or_b64 exec, exec, s[4:5]
	s_and_saveexec_b64 s[4:5], s[2:3]
	s_cbranch_execnz .LBB102_1851
	s_branch .LBB102_1852
.LBB102_1871:
	s_mov_b64 s[0:1], -1
                                        ; implicit-def: $vgpr5
.LBB102_1872:
	s_mov_b64 s[6:7], 0
.LBB102_1873:
	s_and_b64 vcc, exec, s[6:7]
	s_cbranch_vccz .LBB102_1875
; %bb.1874:
	s_cmp_lg_u32 s28, 11
	s_mov_b64 s[2:3], -1
	s_cselect_b64 s[0:1], -1, 0
.LBB102_1875:
	s_and_b64 vcc, exec, s[0:1]
	s_cbranch_vccnz .LBB102_1938
; %bb.1876:
	s_andn2_b64 vcc, exec, s[2:3]
	s_cbranch_vccnz .LBB102_1878
.LBB102_1877:
	global_load_ubyte v5, v[0:1], off
	s_mov_b64 s[4:5], -1
	s_waitcnt vmcnt(0)
	v_cmp_ne_u16_e32 vcc, 0, v5
	v_cndmask_b32_e64 v5, 0, 1.0, vcc
.LBB102_1878:
	s_branch .LBB102_1806
.LBB102_1879:
	s_and_b32 s2, 0xffff, s26
	s_cmp_lt_i32 s2, 5
	s_cbranch_scc1 .LBB102_1884
; %bb.1880:
	s_cmp_lt_i32 s2, 8
	s_cbranch_scc1 .LBB102_1885
; %bb.1881:
	;; [unrolled: 3-line block ×3, first 2 shown]
	s_cmp_gt_i32 s2, 9
	s_cbranch_scc0 .LBB102_1887
; %bb.1883:
	global_load_dwordx2 v[8:9], v[0:1], off
	s_mov_b64 s[0:1], 0
	s_waitcnt vmcnt(0)
	v_cvt_f32_f64_e32 v5, v[8:9]
	s_branch .LBB102_1888
.LBB102_1884:
	s_mov_b64 s[0:1], -1
                                        ; implicit-def: $vgpr5
	s_branch .LBB102_1906
.LBB102_1885:
	s_mov_b64 s[0:1], -1
                                        ; implicit-def: $vgpr5
	s_branch .LBB102_1894
.LBB102_1886:
	s_mov_b64 s[0:1], -1
                                        ; implicit-def: $vgpr5
	s_branch .LBB102_1891
.LBB102_1887:
	s_mov_b64 s[0:1], -1
                                        ; implicit-def: $vgpr5
.LBB102_1888:
	s_andn2_b64 vcc, exec, s[0:1]
	s_cbranch_vccnz .LBB102_1890
; %bb.1889:
	global_load_dword v5, v[0:1], off
.LBB102_1890:
	s_mov_b64 s[0:1], 0
.LBB102_1891:
	s_andn2_b64 vcc, exec, s[0:1]
	s_cbranch_vccnz .LBB102_1893
; %bb.1892:
	global_load_dword v5, v[0:1], off
	s_waitcnt vmcnt(0)
	v_cvt_f32_f16_e32 v5, v5
.LBB102_1893:
	s_mov_b64 s[0:1], 0
.LBB102_1894:
	s_andn2_b64 vcc, exec, s[0:1]
	s_cbranch_vccnz .LBB102_1905
; %bb.1895:
	s_cmp_lt_i32 s2, 6
	s_cbranch_scc1 .LBB102_1898
; %bb.1896:
	s_cmp_gt_i32 s2, 6
	s_cbranch_scc0 .LBB102_1899
; %bb.1897:
	global_load_dwordx2 v[8:9], v[0:1], off
	s_mov_b64 s[0:1], 0
	s_waitcnt vmcnt(0)
	v_cvt_f32_f64_e32 v5, v[8:9]
	s_branch .LBB102_1900
.LBB102_1898:
	s_mov_b64 s[0:1], -1
                                        ; implicit-def: $vgpr5
	s_branch .LBB102_1903
.LBB102_1899:
	s_mov_b64 s[0:1], -1
                                        ; implicit-def: $vgpr5
.LBB102_1900:
	s_andn2_b64 vcc, exec, s[0:1]
	s_cbranch_vccnz .LBB102_1902
; %bb.1901:
	global_load_dword v5, v[0:1], off
.LBB102_1902:
	s_mov_b64 s[0:1], 0
.LBB102_1903:
	s_andn2_b64 vcc, exec, s[0:1]
	s_cbranch_vccnz .LBB102_1905
; %bb.1904:
	global_load_ushort v5, v[0:1], off
	s_waitcnt vmcnt(0)
	v_cvt_f32_f16_e32 v5, v5
.LBB102_1905:
	s_mov_b64 s[0:1], 0
.LBB102_1906:
	s_andn2_b64 vcc, exec, s[0:1]
	s_cbranch_vccnz .LBB102_1926
; %bb.1907:
	s_cmp_lt_i32 s2, 2
	s_cbranch_scc1 .LBB102_1911
; %bb.1908:
	s_cmp_lt_i32 s2, 3
	s_cbranch_scc1 .LBB102_1912
; %bb.1909:
	s_cmp_gt_i32 s2, 3
	s_cbranch_scc0 .LBB102_1913
; %bb.1910:
	global_load_dwordx2 v[8:9], v[0:1], off
	s_mov_b64 s[0:1], 0
	s_waitcnt vmcnt(0)
	v_xor_b32_e32 v10, v8, v9
	v_ffbh_i32_e32 v5, v9
	v_ashrrev_i32_e32 v10, 31, v10
	v_add_u32_e32 v5, -1, v5
	v_add_u32_e32 v10, 32, v10
	v_min_u32_e32 v5, v5, v10
	v_lshlrev_b64 v[8:9], v5, v[8:9]
	v_sub_u32_e32 v5, 32, v5
	v_min_u32_e32 v8, 1, v8
	v_or_b32_e32 v8, v9, v8
	v_cvt_f32_i32_e32 v8, v8
	v_ldexp_f32 v5, v8, v5
	s_branch .LBB102_1914
.LBB102_1911:
	s_mov_b64 s[0:1], -1
                                        ; implicit-def: $vgpr5
	s_branch .LBB102_1920
.LBB102_1912:
	s_mov_b64 s[0:1], -1
                                        ; implicit-def: $vgpr5
	s_branch .LBB102_1917
.LBB102_1913:
	s_mov_b64 s[0:1], -1
                                        ; implicit-def: $vgpr5
.LBB102_1914:
	s_andn2_b64 vcc, exec, s[0:1]
	s_cbranch_vccnz .LBB102_1916
; %bb.1915:
	global_load_dword v5, v[0:1], off
	s_waitcnt vmcnt(0)
	v_cvt_f32_i32_e32 v5, v5
.LBB102_1916:
	s_mov_b64 s[0:1], 0
.LBB102_1917:
	s_andn2_b64 vcc, exec, s[0:1]
	s_cbranch_vccnz .LBB102_1919
; %bb.1918:
	global_load_sshort v5, v[0:1], off
	s_waitcnt vmcnt(0)
	v_cvt_f32_i32_e32 v5, v5
.LBB102_1919:
	s_mov_b64 s[0:1], 0
.LBB102_1920:
	s_andn2_b64 vcc, exec, s[0:1]
	s_cbranch_vccnz .LBB102_1926
; %bb.1921:
	s_cmp_gt_i32 s2, 0
	s_cbranch_scc0 .LBB102_1923
; %bb.1922:
	global_load_sbyte v5, v[0:1], off
	s_mov_b64 s[0:1], 0
	s_waitcnt vmcnt(0)
	v_cvt_f32_i32_e32 v5, v5
	s_branch .LBB102_1924
.LBB102_1923:
	s_mov_b64 s[0:1], -1
                                        ; implicit-def: $vgpr5
.LBB102_1924:
	s_andn2_b64 vcc, exec, s[0:1]
	s_cbranch_vccnz .LBB102_1926
; %bb.1925:
	global_load_ubyte v0, v[0:1], off
	s_waitcnt vmcnt(0)
	v_cvt_f32_ubyte0_e32 v5, v0
.LBB102_1926:
.LBB102_1927:
	s_lshl_b32 s14, s14, 7
	v_add_u32_e32 v8, s14, v6
	v_ashrrev_i32_e32 v1, 31, v8
	v_mov_b32_e32 v6, s17
	v_add_co_u32_e32 v0, vcc, s16, v8
	s_cmp_lt_i32 s27, 11
	v_addc_co_u32_e32 v1, vcc, v6, v1, vcc
	s_cbranch_scc1 .LBB102_1934
; %bb.1928:
	s_and_b32 s28, 0xffff, s27
	s_cmp_gt_i32 s28, 25
	s_mov_b64 s[2:3], 0
	s_cbranch_scc0 .LBB102_1935
; %bb.1929:
	s_cmp_gt_i32 s28, 28
	s_cbranch_scc0 .LBB102_1936
; %bb.1930:
	s_cmp_gt_i32 s28, 43
	;; [unrolled: 3-line block ×3, first 2 shown]
	s_cbranch_scc0 .LBB102_1939
; %bb.1932:
	s_cmp_eq_u32 s28, 46
	s_mov_b64 s[6:7], 0
	s_cbranch_scc0 .LBB102_1940
; %bb.1933:
	global_load_dword v6, v[0:1], off
	s_mov_b64 s[0:1], 0
	s_mov_b64 s[4:5], -1
	s_waitcnt vmcnt(0)
	v_lshlrev_b32_e32 v6, 16, v6
	s_branch .LBB102_1941
.LBB102_1934:
	s_mov_b64 s[0:1], -1
	s_mov_b64 s[4:5], 0
                                        ; implicit-def: $vgpr6
	s_branch .LBB102_2007
.LBB102_1935:
	s_mov_b64 s[6:7], -1
	s_mov_b64 s[4:5], 0
	s_mov_b64 s[0:1], 0
                                        ; implicit-def: $vgpr6
	s_branch .LBB102_1970
.LBB102_1936:
	s_mov_b64 s[6:7], -1
	s_mov_b64 s[4:5], 0
	s_mov_b64 s[0:1], 0
                                        ; implicit-def: $vgpr6
	s_branch .LBB102_1951
.LBB102_1937:
	s_mov_b64 s[6:7], -1
	s_mov_b64 s[4:5], 0
	s_mov_b64 s[0:1], 0
                                        ; implicit-def: $vgpr6
	s_branch .LBB102_1946
.LBB102_1938:
	s_trap 2
	s_or_b64 s[22:23], s[22:23], exec
	s_cbranch_execz .LBB102_1877
	s_branch .LBB102_1878
.LBB102_1939:
	s_mov_b64 s[6:7], -1
	s_mov_b64 s[4:5], 0
	s_mov_b64 s[0:1], 0
                                        ; implicit-def: $vgpr6
	s_branch .LBB102_1941
.LBB102_1940:
	s_mov_b64 s[0:1], -1
                                        ; implicit-def: $vgpr6
	s_mov_b64 s[4:5], 0
.LBB102_1941:
	s_and_b64 vcc, exec, s[6:7]
	s_cbranch_vccz .LBB102_1945
; %bb.1942:
	s_cmp_eq_u32 s28, 44
	s_cbranch_scc0 .LBB102_1944
; %bb.1943:
	global_load_ubyte v6, v[0:1], off
	s_movk_i32 s4, 0xff
	v_mov_b32_e32 v9, 0x7f800001
	v_mov_b32_e32 v10, 0x400000
	s_mov_b64 s[0:1], 0
	s_waitcnt vmcnt(0)
	v_lshlrev_b32_e32 v11, 23, v6
	v_cmp_ne_u32_e32 vcc, s4, v6
	v_cndmask_b32_e32 v9, v9, v11, vcc
	v_cmp_ne_u32_e32 vcc, 0, v6
	v_cndmask_b32_e32 v6, v10, v9, vcc
	s_mov_b64 s[4:5], -1
	s_branch .LBB102_1945
.LBB102_1944:
	s_mov_b64 s[0:1], -1
                                        ; implicit-def: $vgpr6
.LBB102_1945:
	s_mov_b64 s[6:7], 0
.LBB102_1946:
	s_and_b64 vcc, exec, s[6:7]
	s_cbranch_vccz .LBB102_1950
; %bb.1947:
	s_cmp_eq_u32 s28, 29
	s_cbranch_scc0 .LBB102_1949
; %bb.1948:
	global_load_dwordx2 v[9:10], v[0:1], off
	s_mov_b64 s[0:1], 0
	s_mov_b64 s[4:5], -1
	s_mov_b64 s[6:7], 0
	s_waitcnt vmcnt(0)
	v_ffbh_u32_e32 v6, v10
	v_min_u32_e32 v6, 32, v6
	v_lshlrev_b64 v[9:10], v6, v[9:10]
	v_sub_u32_e32 v6, 32, v6
	v_min_u32_e32 v9, 1, v9
	v_or_b32_e32 v9, v10, v9
	v_cvt_f32_u32_e32 v9, v9
	v_ldexp_f32 v6, v9, v6
	s_branch .LBB102_1951
.LBB102_1949:
	s_mov_b64 s[0:1], -1
                                        ; implicit-def: $vgpr6
.LBB102_1950:
	s_mov_b64 s[6:7], 0
.LBB102_1951:
	s_and_b64 vcc, exec, s[6:7]
	s_cbranch_vccz .LBB102_1969
; %bb.1952:
	s_cmp_lt_i32 s28, 27
	s_cbranch_scc1 .LBB102_1955
; %bb.1953:
	s_cmp_gt_i32 s28, 27
	s_cbranch_scc0 .LBB102_1956
; %bb.1954:
	global_load_dword v6, v[0:1], off
	s_mov_b64 s[4:5], 0
	s_waitcnt vmcnt(0)
	v_cvt_f32_u32_e32 v6, v6
	s_branch .LBB102_1957
.LBB102_1955:
	s_mov_b64 s[4:5], -1
                                        ; implicit-def: $vgpr6
	s_branch .LBB102_1960
.LBB102_1956:
	s_mov_b64 s[4:5], -1
                                        ; implicit-def: $vgpr6
.LBB102_1957:
	s_andn2_b64 vcc, exec, s[4:5]
	s_cbranch_vccnz .LBB102_1959
; %bb.1958:
	global_load_ushort v6, v[0:1], off
	s_waitcnt vmcnt(0)
	v_cvt_f32_u32_e32 v6, v6
.LBB102_1959:
	s_mov_b64 s[4:5], 0
.LBB102_1960:
	s_andn2_b64 vcc, exec, s[4:5]
	s_cbranch_vccnz .LBB102_1968
; %bb.1961:
	global_load_ubyte v9, v[0:1], off
	s_movk_i32 s4, 0x7f
	s_waitcnt vmcnt(0)
	v_cmp_lt_i16_e32 vcc, s4, v9
	s_mov_b64 s[4:5], 0
	s_and_saveexec_b64 s[6:7], vcc
	s_xor_b64 s[6:7], exec, s[6:7]
	s_cbranch_execz .LBB102_1982
; %bb.1962:
	s_movk_i32 s4, 0x80
	v_cmp_eq_u16_e32 vcc, s4, v9
	s_mov_b64 s[4:5], -1
	s_and_saveexec_b64 s[24:25], vcc
; %bb.1963:
	s_xor_b64 s[4:5], exec, -1
; %bb.1964:
	s_or_b64 exec, exec, s[24:25]
	s_and_b64 s[4:5], s[4:5], exec
	s_or_saveexec_b64 s[6:7], s[6:7]
	v_mov_b32_e32 v6, 0x7f800001
	s_xor_b64 exec, exec, s[6:7]
	s_cbranch_execnz .LBB102_1983
.LBB102_1965:
	s_or_b64 exec, exec, s[6:7]
	s_and_saveexec_b64 s[6:7], s[4:5]
	s_cbranch_execz .LBB102_1967
.LBB102_1966:
	v_lshlrev_b32_e32 v6, 24, v9
	v_and_b32_e32 v9, 0xffff, v9
	v_and_b32_e32 v10, 7, v9
	v_ffbh_u32_e32 v12, v10
	v_min_u32_e32 v12, 32, v12
	v_subrev_u32_e32 v13, 28, v12
	v_bfe_u32 v11, v9, 3, 4
	v_lshlrev_b32_e32 v9, v13, v9
	v_sub_u32_e32 v12, 29, v12
	v_and_b32_e32 v9, 7, v9
	v_cmp_eq_u32_e32 vcc, 0, v11
	v_cndmask_b32_e32 v11, v11, v12, vcc
	v_cndmask_b32_e32 v9, v10, v9, vcc
	v_mov_b32_e32 v10, 0x3b800000
	v_lshlrev_b32_e32 v9, 20, v9
	v_and_b32_e32 v6, 0x80000000, v6
	v_lshl_add_u32 v10, v11, 23, v10
	v_or3_b32 v6, v6, v10, v9
.LBB102_1967:
	s_or_b64 exec, exec, s[6:7]
.LBB102_1968:
	s_mov_b64 s[4:5], -1
.LBB102_1969:
	s_mov_b64 s[6:7], 0
.LBB102_1970:
	s_and_b64 vcc, exec, s[6:7]
	s_cbranch_vccz .LBB102_2003
; %bb.1971:
	s_cmp_gt_i32 s28, 22
	s_cbranch_scc0 .LBB102_1981
; %bb.1972:
	s_cmp_lt_i32 s28, 24
	s_cbranch_scc1 .LBB102_1984
; %bb.1973:
	s_cmp_gt_i32 s28, 24
	s_cbranch_scc0 .LBB102_1985
; %bb.1974:
	global_load_ubyte v9, v[0:1], off
	s_movk_i32 s2, 0x7f
	s_waitcnt vmcnt(0)
	v_cmp_lt_i16_e32 vcc, s2, v9
	s_mov_b64 s[2:3], 0
	s_and_saveexec_b64 s[4:5], vcc
	s_xor_b64 s[4:5], exec, s[4:5]
	s_cbranch_execz .LBB102_1997
; %bb.1975:
	s_movk_i32 s2, 0x80
	v_cmp_eq_u16_e32 vcc, s2, v9
	s_mov_b64 s[2:3], -1
	s_and_saveexec_b64 s[6:7], vcc
; %bb.1976:
	s_xor_b64 s[2:3], exec, -1
; %bb.1977:
	s_or_b64 exec, exec, s[6:7]
	s_and_b64 s[2:3], s[2:3], exec
	s_or_saveexec_b64 s[4:5], s[4:5]
	v_mov_b32_e32 v6, 0x7f800001
	s_xor_b64 exec, exec, s[4:5]
	s_cbranch_execnz .LBB102_1998
.LBB102_1978:
	s_or_b64 exec, exec, s[4:5]
	s_and_saveexec_b64 s[4:5], s[2:3]
	s_cbranch_execz .LBB102_1980
.LBB102_1979:
	v_lshlrev_b32_e32 v6, 24, v9
	v_and_b32_e32 v9, 0xffff, v9
	v_and_b32_e32 v10, 3, v9
	v_ffbh_u32_e32 v12, v10
	v_min_u32_e32 v12, 32, v12
	v_subrev_u32_e32 v13, 29, v12
	v_bfe_u32 v11, v9, 2, 5
	v_lshlrev_b32_e32 v9, v13, v9
	v_sub_u32_e32 v12, 30, v12
	v_and_b32_e32 v9, 3, v9
	v_cmp_eq_u32_e32 vcc, 0, v11
	v_cndmask_b32_e32 v11, v11, v12, vcc
	v_cndmask_b32_e32 v9, v10, v9, vcc
	v_mov_b32_e32 v10, 0x37800000
	v_lshlrev_b32_e32 v9, 21, v9
	v_and_b32_e32 v6, 0x80000000, v6
	v_lshl_add_u32 v10, v11, 23, v10
	v_or3_b32 v6, v6, v10, v9
.LBB102_1980:
	s_or_b64 exec, exec, s[4:5]
	s_mov_b64 s[2:3], 0
	s_branch .LBB102_1986
.LBB102_1981:
	s_mov_b64 s[2:3], -1
                                        ; implicit-def: $vgpr6
	s_branch .LBB102_1992
.LBB102_1982:
	s_or_saveexec_b64 s[6:7], s[6:7]
	v_mov_b32_e32 v6, 0x7f800001
	s_xor_b64 exec, exec, s[6:7]
	s_cbranch_execz .LBB102_1965
.LBB102_1983:
	v_cmp_ne_u16_e32 vcc, 0, v9
	s_andn2_b64 s[4:5], s[4:5], exec
	s_and_b64 s[24:25], vcc, exec
	v_mov_b32_e32 v6, 0
	s_or_b64 s[4:5], s[4:5], s[24:25]
	s_or_b64 exec, exec, s[6:7]
	s_and_saveexec_b64 s[6:7], s[4:5]
	s_cbranch_execnz .LBB102_1966
	s_branch .LBB102_1967
.LBB102_1984:
	s_mov_b64 s[2:3], -1
                                        ; implicit-def: $vgpr6
	s_branch .LBB102_1989
.LBB102_1985:
	s_mov_b64 s[2:3], -1
                                        ; implicit-def: $vgpr6
.LBB102_1986:
	s_and_b64 vcc, exec, s[2:3]
	s_cbranch_vccz .LBB102_1988
; %bb.1987:
	global_load_ubyte v6, v[0:1], off
	s_mov_b32 s2, 0x7f800000
	s_waitcnt vmcnt(0)
	v_lshlrev_b32_e32 v6, 24, v6
	v_and_b32_e32 v9, 0x7f000000, v6
	v_ffbh_u32_e32 v10, v9
	v_min_u32_e32 v10, 32, v10
	v_sub_u32_e64 v10, v10, 4 clamp
	v_lshlrev_b32_e32 v12, v10, v9
	v_lshlrev_b32_e32 v10, 23, v10
	v_lshrrev_b32_e32 v12, 4, v12
	v_add_u32_e32 v11, 0x1000000, v9
	v_sub_u32_e32 v10, v12, v10
	v_ashrrev_i32_e32 v11, 8, v11
	v_add_u32_e32 v10, 0x3c000000, v10
	v_and_or_b32 v10, v11, s2, v10
	v_cmp_ne_u32_e32 vcc, 0, v9
	v_cndmask_b32_e32 v9, 0, v10, vcc
	s_brev_b32 s2, 1
	v_and_or_b32 v6, v6, s2, v9
.LBB102_1988:
	s_mov_b64 s[2:3], 0
.LBB102_1989:
	s_andn2_b64 vcc, exec, s[2:3]
	s_cbranch_vccnz .LBB102_1991
; %bb.1990:
	global_load_ubyte v6, v[0:1], off
	s_movk_i32 s2, 0x7f00
	s_brev_b32 s3, 16
	s_waitcnt vmcnt(0)
	v_lshlrev_b16_e32 v9, 8, v6
	v_lshlrev_b32_e32 v6, 25, v6
	v_lshrrev_b32_e32 v10, 4, v6
	v_and_or_b32 v11, v9, s2, 0.5
	v_or_b32_e32 v10, 0x70000000, v10
	v_add_f32_e32 v11, -0.5, v11
	v_mul_f32_e32 v10, 0x7800000, v10
	v_cmp_gt_u32_e32 vcc, s3, v6
	v_bfe_i32 v9, v9, 0, 16
	v_cndmask_b32_e32 v6, v10, v11, vcc
	s_brev_b32 s2, 1
	v_and_or_b32 v6, v9, s2, v6
.LBB102_1991:
	s_mov_b64 s[2:3], 0
	s_mov_b64 s[4:5], -1
.LBB102_1992:
	s_andn2_b64 vcc, exec, s[2:3]
	s_mov_b64 s[2:3], 0
	s_cbranch_vccnz .LBB102_2003
; %bb.1993:
	s_cmp_gt_i32 s28, 14
	s_cbranch_scc0 .LBB102_1996
; %bb.1994:
	s_cmp_eq_u32 s28, 15
	s_cbranch_scc0 .LBB102_1999
; %bb.1995:
	global_load_ushort v6, v[0:1], off
	s_mov_b64 s[0:1], 0
	s_mov_b64 s[4:5], -1
	s_waitcnt vmcnt(0)
	v_lshlrev_b32_e32 v6, 16, v6
	s_branch .LBB102_2000
.LBB102_1996:
	s_mov_b64 s[6:7], -1
                                        ; implicit-def: $vgpr6
	s_branch .LBB102_2001
.LBB102_1997:
	s_or_saveexec_b64 s[4:5], s[4:5]
	v_mov_b32_e32 v6, 0x7f800001
	s_xor_b64 exec, exec, s[4:5]
	s_cbranch_execz .LBB102_1978
.LBB102_1998:
	v_cmp_ne_u16_e32 vcc, 0, v9
	s_andn2_b64 s[2:3], s[2:3], exec
	s_and_b64 s[6:7], vcc, exec
	v_mov_b32_e32 v6, 0
	s_or_b64 s[2:3], s[2:3], s[6:7]
	s_or_b64 exec, exec, s[4:5]
	s_and_saveexec_b64 s[4:5], s[2:3]
	s_cbranch_execnz .LBB102_1979
	s_branch .LBB102_1980
.LBB102_1999:
	s_mov_b64 s[0:1], -1
                                        ; implicit-def: $vgpr6
.LBB102_2000:
	s_mov_b64 s[6:7], 0
.LBB102_2001:
	s_and_b64 vcc, exec, s[6:7]
	s_cbranch_vccz .LBB102_2003
; %bb.2002:
	s_cmp_lg_u32 s28, 11
	s_mov_b64 s[2:3], -1
	s_cselect_b64 s[0:1], -1, 0
.LBB102_2003:
	s_and_b64 vcc, exec, s[0:1]
	s_cbranch_vccnz .LBB102_2068
; %bb.2004:
	s_andn2_b64 vcc, exec, s[2:3]
	s_cbranch_vccnz .LBB102_2006
.LBB102_2005:
	global_load_ubyte v6, v[0:1], off
	s_mov_b64 s[4:5], -1
	s_waitcnt vmcnt(0)
	v_cmp_ne_u16_e32 vcc, 0, v6
	v_cndmask_b32_e64 v6, 0, 1.0, vcc
.LBB102_2006:
	s_mov_b64 s[0:1], 0
.LBB102_2007:
	s_and_b64 vcc, exec, s[0:1]
	s_cbranch_vccz .LBB102_2056
; %bb.2008:
	s_and_b32 s2, 0xffff, s27
	s_cmp_lt_i32 s2, 5
	s_cbranch_scc1 .LBB102_2013
; %bb.2009:
	s_cmp_lt_i32 s2, 8
	s_cbranch_scc1 .LBB102_2014
; %bb.2010:
	;; [unrolled: 3-line block ×3, first 2 shown]
	s_cmp_gt_i32 s2, 9
	s_cbranch_scc0 .LBB102_2016
; %bb.2012:
	global_load_dwordx2 v[9:10], v[0:1], off
	s_mov_b64 s[0:1], 0
	s_waitcnt vmcnt(0)
	v_cvt_f32_f64_e32 v6, v[9:10]
	s_branch .LBB102_2017
.LBB102_2013:
	s_mov_b64 s[0:1], -1
                                        ; implicit-def: $vgpr6
	s_branch .LBB102_2035
.LBB102_2014:
	s_mov_b64 s[0:1], -1
                                        ; implicit-def: $vgpr6
	s_branch .LBB102_2023
.LBB102_2015:
	s_mov_b64 s[0:1], -1
                                        ; implicit-def: $vgpr6
	s_branch .LBB102_2020
.LBB102_2016:
	s_mov_b64 s[0:1], -1
                                        ; implicit-def: $vgpr6
.LBB102_2017:
	s_andn2_b64 vcc, exec, s[0:1]
	s_cbranch_vccnz .LBB102_2019
; %bb.2018:
	global_load_dword v6, v[0:1], off
.LBB102_2019:
	s_mov_b64 s[0:1], 0
.LBB102_2020:
	s_andn2_b64 vcc, exec, s[0:1]
	s_cbranch_vccnz .LBB102_2022
; %bb.2021:
	global_load_dword v6, v[0:1], off
	s_waitcnt vmcnt(0)
	v_cvt_f32_f16_e32 v6, v6
.LBB102_2022:
	s_mov_b64 s[0:1], 0
.LBB102_2023:
	s_andn2_b64 vcc, exec, s[0:1]
	s_cbranch_vccnz .LBB102_2034
; %bb.2024:
	s_cmp_lt_i32 s2, 6
	s_cbranch_scc1 .LBB102_2027
; %bb.2025:
	s_cmp_gt_i32 s2, 6
	s_cbranch_scc0 .LBB102_2028
; %bb.2026:
	global_load_dwordx2 v[9:10], v[0:1], off
	s_mov_b64 s[0:1], 0
	s_waitcnt vmcnt(0)
	v_cvt_f32_f64_e32 v6, v[9:10]
	s_branch .LBB102_2029
.LBB102_2027:
	s_mov_b64 s[0:1], -1
                                        ; implicit-def: $vgpr6
	s_branch .LBB102_2032
.LBB102_2028:
	s_mov_b64 s[0:1], -1
                                        ; implicit-def: $vgpr6
.LBB102_2029:
	s_andn2_b64 vcc, exec, s[0:1]
	s_cbranch_vccnz .LBB102_2031
; %bb.2030:
	global_load_dword v6, v[0:1], off
.LBB102_2031:
	s_mov_b64 s[0:1], 0
.LBB102_2032:
	s_andn2_b64 vcc, exec, s[0:1]
	s_cbranch_vccnz .LBB102_2034
; %bb.2033:
	global_load_ushort v6, v[0:1], off
	s_waitcnt vmcnt(0)
	v_cvt_f32_f16_e32 v6, v6
.LBB102_2034:
	s_mov_b64 s[0:1], 0
.LBB102_2035:
	s_andn2_b64 vcc, exec, s[0:1]
	s_cbranch_vccnz .LBB102_2055
; %bb.2036:
	s_cmp_lt_i32 s2, 2
	s_cbranch_scc1 .LBB102_2040
; %bb.2037:
	s_cmp_lt_i32 s2, 3
	s_cbranch_scc1 .LBB102_2041
; %bb.2038:
	s_cmp_gt_i32 s2, 3
	s_cbranch_scc0 .LBB102_2042
; %bb.2039:
	global_load_dwordx2 v[9:10], v[0:1], off
	s_mov_b64 s[0:1], 0
	s_waitcnt vmcnt(0)
	v_xor_b32_e32 v11, v9, v10
	v_ffbh_i32_e32 v6, v10
	v_ashrrev_i32_e32 v11, 31, v11
	v_add_u32_e32 v6, -1, v6
	v_add_u32_e32 v11, 32, v11
	v_min_u32_e32 v6, v6, v11
	v_lshlrev_b64 v[9:10], v6, v[9:10]
	v_sub_u32_e32 v6, 32, v6
	v_min_u32_e32 v9, 1, v9
	v_or_b32_e32 v9, v10, v9
	v_cvt_f32_i32_e32 v9, v9
	v_ldexp_f32 v6, v9, v6
	s_branch .LBB102_2043
.LBB102_2040:
	s_mov_b64 s[0:1], -1
                                        ; implicit-def: $vgpr6
	s_branch .LBB102_2049
.LBB102_2041:
	s_mov_b64 s[0:1], -1
                                        ; implicit-def: $vgpr6
	s_branch .LBB102_2046
.LBB102_2042:
	s_mov_b64 s[0:1], -1
                                        ; implicit-def: $vgpr6
.LBB102_2043:
	s_andn2_b64 vcc, exec, s[0:1]
	s_cbranch_vccnz .LBB102_2045
; %bb.2044:
	global_load_dword v6, v[0:1], off
	s_waitcnt vmcnt(0)
	v_cvt_f32_i32_e32 v6, v6
.LBB102_2045:
	s_mov_b64 s[0:1], 0
.LBB102_2046:
	s_andn2_b64 vcc, exec, s[0:1]
	s_cbranch_vccnz .LBB102_2048
; %bb.2047:
	global_load_sshort v6, v[0:1], off
	s_waitcnt vmcnt(0)
	v_cvt_f32_i32_e32 v6, v6
.LBB102_2048:
	s_mov_b64 s[0:1], 0
.LBB102_2049:
	s_andn2_b64 vcc, exec, s[0:1]
	s_cbranch_vccnz .LBB102_2055
; %bb.2050:
	s_cmp_gt_i32 s2, 0
	s_cbranch_scc0 .LBB102_2052
; %bb.2051:
	global_load_sbyte v6, v[0:1], off
	s_mov_b64 s[0:1], 0
	s_waitcnt vmcnt(0)
	v_cvt_f32_i32_e32 v6, v6
	s_branch .LBB102_2053
.LBB102_2052:
	s_mov_b64 s[0:1], -1
                                        ; implicit-def: $vgpr6
.LBB102_2053:
	s_andn2_b64 vcc, exec, s[0:1]
	s_cbranch_vccnz .LBB102_2055
; %bb.2054:
	global_load_ubyte v0, v[0:1], off
	s_waitcnt vmcnt(0)
	v_cvt_f32_ubyte0_e32 v6, v0
.LBB102_2055:
	s_mov_b64 s[4:5], -1
.LBB102_2056:
	s_andn2_b64 vcc, exec, s[4:5]
	s_cbranch_vccnz .LBB102_3012
; %bb.2057:
	v_add_u32_e32 v9, s13, v7
	v_ashrrev_i32_e32 v1, 31, v9
	v_mov_b32_e32 v7, s11
	v_add_co_u32_e32 v0, vcc, s10, v9
	s_cmp_lt_i32 s26, 11
	v_addc_co_u32_e32 v1, vcc, v7, v1, vcc
	s_cbranch_scc1 .LBB102_2064
; %bb.2058:
	s_and_b32 s28, 0xffff, s26
	s_cmp_gt_i32 s28, 25
	s_mov_b64 s[2:3], 0
	s_cbranch_scc0 .LBB102_2065
; %bb.2059:
	s_cmp_gt_i32 s28, 28
	s_cbranch_scc0 .LBB102_2066
; %bb.2060:
	s_cmp_gt_i32 s28, 43
	;; [unrolled: 3-line block ×3, first 2 shown]
	s_cbranch_scc0 .LBB102_2069
; %bb.2062:
	s_cmp_eq_u32 s28, 46
	s_mov_b64 s[6:7], 0
	s_cbranch_scc0 .LBB102_2070
; %bb.2063:
	global_load_dword v7, v[0:1], off
	s_mov_b64 s[0:1], 0
	s_mov_b64 s[4:5], -1
	s_waitcnt vmcnt(0)
	v_lshlrev_b32_e32 v7, 16, v7
	s_branch .LBB102_2071
.LBB102_2064:
	s_mov_b64 s[0:1], -1
	s_mov_b64 s[4:5], 0
                                        ; implicit-def: $vgpr7
	s_branch .LBB102_2137
.LBB102_2065:
	s_mov_b64 s[6:7], -1
	s_mov_b64 s[4:5], 0
	s_mov_b64 s[0:1], 0
                                        ; implicit-def: $vgpr7
	s_branch .LBB102_2100
.LBB102_2066:
	s_mov_b64 s[6:7], -1
	s_mov_b64 s[4:5], 0
	s_mov_b64 s[0:1], 0
                                        ; implicit-def: $vgpr7
	s_branch .LBB102_2081
.LBB102_2067:
	s_mov_b64 s[6:7], -1
	s_mov_b64 s[4:5], 0
	s_mov_b64 s[0:1], 0
                                        ; implicit-def: $vgpr7
	s_branch .LBB102_2076
.LBB102_2068:
	s_trap 2
	s_or_b64 s[22:23], s[22:23], exec
	s_cbranch_execz .LBB102_2005
	s_branch .LBB102_2006
.LBB102_2069:
	s_mov_b64 s[6:7], -1
	s_mov_b64 s[4:5], 0
	s_mov_b64 s[0:1], 0
                                        ; implicit-def: $vgpr7
	s_branch .LBB102_2071
.LBB102_2070:
	s_mov_b64 s[0:1], -1
                                        ; implicit-def: $vgpr7
	s_mov_b64 s[4:5], 0
.LBB102_2071:
	s_and_b64 vcc, exec, s[6:7]
	s_cbranch_vccz .LBB102_2075
; %bb.2072:
	s_cmp_eq_u32 s28, 44
	s_cbranch_scc0 .LBB102_2074
; %bb.2073:
	global_load_ubyte v7, v[0:1], off
	s_movk_i32 s4, 0xff
	v_mov_b32_e32 v10, 0x7f800001
	v_mov_b32_e32 v11, 0x400000
	s_mov_b64 s[0:1], 0
	s_waitcnt vmcnt(0)
	v_lshlrev_b32_e32 v12, 23, v7
	v_cmp_ne_u32_e32 vcc, s4, v7
	v_cndmask_b32_e32 v10, v10, v12, vcc
	v_cmp_ne_u32_e32 vcc, 0, v7
	v_cndmask_b32_e32 v7, v11, v10, vcc
	s_mov_b64 s[4:5], -1
	s_branch .LBB102_2075
.LBB102_2074:
	s_mov_b64 s[0:1], -1
                                        ; implicit-def: $vgpr7
.LBB102_2075:
	s_mov_b64 s[6:7], 0
.LBB102_2076:
	s_and_b64 vcc, exec, s[6:7]
	s_cbranch_vccz .LBB102_2080
; %bb.2077:
	s_cmp_eq_u32 s28, 29
	s_cbranch_scc0 .LBB102_2079
; %bb.2078:
	global_load_dwordx2 v[10:11], v[0:1], off
	s_mov_b64 s[0:1], 0
	s_mov_b64 s[4:5], -1
	s_mov_b64 s[6:7], 0
	s_waitcnt vmcnt(0)
	v_ffbh_u32_e32 v7, v11
	v_min_u32_e32 v7, 32, v7
	v_lshlrev_b64 v[10:11], v7, v[10:11]
	v_sub_u32_e32 v7, 32, v7
	v_min_u32_e32 v10, 1, v10
	v_or_b32_e32 v10, v11, v10
	v_cvt_f32_u32_e32 v10, v10
	v_ldexp_f32 v7, v10, v7
	s_branch .LBB102_2081
.LBB102_2079:
	s_mov_b64 s[0:1], -1
                                        ; implicit-def: $vgpr7
.LBB102_2080:
	s_mov_b64 s[6:7], 0
.LBB102_2081:
	s_and_b64 vcc, exec, s[6:7]
	s_cbranch_vccz .LBB102_2099
; %bb.2082:
	s_cmp_lt_i32 s28, 27
	s_cbranch_scc1 .LBB102_2085
; %bb.2083:
	s_cmp_gt_i32 s28, 27
	s_cbranch_scc0 .LBB102_2086
; %bb.2084:
	global_load_dword v7, v[0:1], off
	s_mov_b64 s[4:5], 0
	s_waitcnt vmcnt(0)
	v_cvt_f32_u32_e32 v7, v7
	s_branch .LBB102_2087
.LBB102_2085:
	s_mov_b64 s[4:5], -1
                                        ; implicit-def: $vgpr7
	s_branch .LBB102_2090
.LBB102_2086:
	s_mov_b64 s[4:5], -1
                                        ; implicit-def: $vgpr7
.LBB102_2087:
	s_andn2_b64 vcc, exec, s[4:5]
	s_cbranch_vccnz .LBB102_2089
; %bb.2088:
	global_load_ushort v7, v[0:1], off
	s_waitcnt vmcnt(0)
	v_cvt_f32_u32_e32 v7, v7
.LBB102_2089:
	s_mov_b64 s[4:5], 0
.LBB102_2090:
	s_andn2_b64 vcc, exec, s[4:5]
	s_cbranch_vccnz .LBB102_2098
; %bb.2091:
	global_load_ubyte v10, v[0:1], off
	s_movk_i32 s4, 0x7f
	s_waitcnt vmcnt(0)
	v_cmp_lt_i16_e32 vcc, s4, v10
	s_mov_b64 s[4:5], 0
	s_and_saveexec_b64 s[6:7], vcc
	s_xor_b64 s[6:7], exec, s[6:7]
	s_cbranch_execz .LBB102_2112
; %bb.2092:
	s_movk_i32 s4, 0x80
	v_cmp_eq_u16_e32 vcc, s4, v10
	s_mov_b64 s[4:5], -1
	s_and_saveexec_b64 s[24:25], vcc
; %bb.2093:
	s_xor_b64 s[4:5], exec, -1
; %bb.2094:
	s_or_b64 exec, exec, s[24:25]
	s_and_b64 s[4:5], s[4:5], exec
	s_or_saveexec_b64 s[6:7], s[6:7]
	v_mov_b32_e32 v7, 0x7f800001
	s_xor_b64 exec, exec, s[6:7]
	s_cbranch_execnz .LBB102_2113
.LBB102_2095:
	s_or_b64 exec, exec, s[6:7]
	s_and_saveexec_b64 s[6:7], s[4:5]
	s_cbranch_execz .LBB102_2097
.LBB102_2096:
	v_lshlrev_b32_e32 v7, 24, v10
	v_and_b32_e32 v10, 0xffff, v10
	v_and_b32_e32 v11, 7, v10
	v_ffbh_u32_e32 v13, v11
	v_min_u32_e32 v13, 32, v13
	v_subrev_u32_e32 v14, 28, v13
	v_bfe_u32 v12, v10, 3, 4
	v_lshlrev_b32_e32 v10, v14, v10
	v_sub_u32_e32 v13, 29, v13
	v_and_b32_e32 v10, 7, v10
	v_cmp_eq_u32_e32 vcc, 0, v12
	v_cndmask_b32_e32 v12, v12, v13, vcc
	v_cndmask_b32_e32 v10, v11, v10, vcc
	v_mov_b32_e32 v11, 0x3b800000
	v_lshlrev_b32_e32 v10, 20, v10
	v_and_b32_e32 v7, 0x80000000, v7
	v_lshl_add_u32 v11, v12, 23, v11
	v_or3_b32 v7, v7, v11, v10
.LBB102_2097:
	s_or_b64 exec, exec, s[6:7]
.LBB102_2098:
	s_mov_b64 s[4:5], -1
.LBB102_2099:
	s_mov_b64 s[6:7], 0
.LBB102_2100:
	s_and_b64 vcc, exec, s[6:7]
	s_cbranch_vccz .LBB102_2133
; %bb.2101:
	s_cmp_gt_i32 s28, 22
	s_cbranch_scc0 .LBB102_2111
; %bb.2102:
	s_cmp_lt_i32 s28, 24
	s_cbranch_scc1 .LBB102_2114
; %bb.2103:
	s_cmp_gt_i32 s28, 24
	s_cbranch_scc0 .LBB102_2115
; %bb.2104:
	global_load_ubyte v10, v[0:1], off
	s_movk_i32 s2, 0x7f
	s_waitcnt vmcnt(0)
	v_cmp_lt_i16_e32 vcc, s2, v10
	s_mov_b64 s[2:3], 0
	s_and_saveexec_b64 s[4:5], vcc
	s_xor_b64 s[4:5], exec, s[4:5]
	s_cbranch_execz .LBB102_2127
; %bb.2105:
	s_movk_i32 s2, 0x80
	v_cmp_eq_u16_e32 vcc, s2, v10
	s_mov_b64 s[2:3], -1
	s_and_saveexec_b64 s[6:7], vcc
; %bb.2106:
	s_xor_b64 s[2:3], exec, -1
; %bb.2107:
	s_or_b64 exec, exec, s[6:7]
	s_and_b64 s[2:3], s[2:3], exec
	s_or_saveexec_b64 s[4:5], s[4:5]
	v_mov_b32_e32 v7, 0x7f800001
	s_xor_b64 exec, exec, s[4:5]
	s_cbranch_execnz .LBB102_2128
.LBB102_2108:
	s_or_b64 exec, exec, s[4:5]
	s_and_saveexec_b64 s[4:5], s[2:3]
	s_cbranch_execz .LBB102_2110
.LBB102_2109:
	v_lshlrev_b32_e32 v7, 24, v10
	v_and_b32_e32 v10, 0xffff, v10
	v_and_b32_e32 v11, 3, v10
	v_ffbh_u32_e32 v13, v11
	v_min_u32_e32 v13, 32, v13
	v_subrev_u32_e32 v14, 29, v13
	v_bfe_u32 v12, v10, 2, 5
	v_lshlrev_b32_e32 v10, v14, v10
	v_sub_u32_e32 v13, 30, v13
	v_and_b32_e32 v10, 3, v10
	v_cmp_eq_u32_e32 vcc, 0, v12
	v_cndmask_b32_e32 v12, v12, v13, vcc
	v_cndmask_b32_e32 v10, v11, v10, vcc
	v_mov_b32_e32 v11, 0x37800000
	v_lshlrev_b32_e32 v10, 21, v10
	v_and_b32_e32 v7, 0x80000000, v7
	v_lshl_add_u32 v11, v12, 23, v11
	v_or3_b32 v7, v7, v11, v10
.LBB102_2110:
	s_or_b64 exec, exec, s[4:5]
	s_mov_b64 s[2:3], 0
	s_branch .LBB102_2116
.LBB102_2111:
	s_mov_b64 s[2:3], -1
                                        ; implicit-def: $vgpr7
	s_branch .LBB102_2122
.LBB102_2112:
	s_or_saveexec_b64 s[6:7], s[6:7]
	v_mov_b32_e32 v7, 0x7f800001
	s_xor_b64 exec, exec, s[6:7]
	s_cbranch_execz .LBB102_2095
.LBB102_2113:
	v_cmp_ne_u16_e32 vcc, 0, v10
	s_andn2_b64 s[4:5], s[4:5], exec
	s_and_b64 s[24:25], vcc, exec
	v_mov_b32_e32 v7, 0
	s_or_b64 s[4:5], s[4:5], s[24:25]
	s_or_b64 exec, exec, s[6:7]
	s_and_saveexec_b64 s[6:7], s[4:5]
	s_cbranch_execnz .LBB102_2096
	s_branch .LBB102_2097
.LBB102_2114:
	s_mov_b64 s[2:3], -1
                                        ; implicit-def: $vgpr7
	s_branch .LBB102_2119
.LBB102_2115:
	s_mov_b64 s[2:3], -1
                                        ; implicit-def: $vgpr7
.LBB102_2116:
	s_and_b64 vcc, exec, s[2:3]
	s_cbranch_vccz .LBB102_2118
; %bb.2117:
	global_load_ubyte v7, v[0:1], off
	s_mov_b32 s2, 0x7f800000
	s_waitcnt vmcnt(0)
	v_lshlrev_b32_e32 v7, 24, v7
	v_and_b32_e32 v10, 0x7f000000, v7
	v_ffbh_u32_e32 v11, v10
	v_min_u32_e32 v11, 32, v11
	v_sub_u32_e64 v11, v11, 4 clamp
	v_lshlrev_b32_e32 v13, v11, v10
	v_lshlrev_b32_e32 v11, 23, v11
	v_lshrrev_b32_e32 v13, 4, v13
	v_add_u32_e32 v12, 0x1000000, v10
	v_sub_u32_e32 v11, v13, v11
	v_ashrrev_i32_e32 v12, 8, v12
	v_add_u32_e32 v11, 0x3c000000, v11
	v_and_or_b32 v11, v12, s2, v11
	v_cmp_ne_u32_e32 vcc, 0, v10
	v_cndmask_b32_e32 v10, 0, v11, vcc
	s_brev_b32 s2, 1
	v_and_or_b32 v7, v7, s2, v10
.LBB102_2118:
	s_mov_b64 s[2:3], 0
.LBB102_2119:
	s_andn2_b64 vcc, exec, s[2:3]
	s_cbranch_vccnz .LBB102_2121
; %bb.2120:
	global_load_ubyte v7, v[0:1], off
	s_movk_i32 s2, 0x7f00
	s_brev_b32 s3, 16
	s_waitcnt vmcnt(0)
	v_lshlrev_b16_e32 v10, 8, v7
	v_lshlrev_b32_e32 v7, 25, v7
	v_lshrrev_b32_e32 v11, 4, v7
	v_and_or_b32 v12, v10, s2, 0.5
	v_or_b32_e32 v11, 0x70000000, v11
	v_add_f32_e32 v12, -0.5, v12
	v_mul_f32_e32 v11, 0x7800000, v11
	v_cmp_gt_u32_e32 vcc, s3, v7
	v_bfe_i32 v10, v10, 0, 16
	v_cndmask_b32_e32 v7, v11, v12, vcc
	s_brev_b32 s2, 1
	v_and_or_b32 v7, v10, s2, v7
.LBB102_2121:
	s_mov_b64 s[2:3], 0
	s_mov_b64 s[4:5], -1
.LBB102_2122:
	s_andn2_b64 vcc, exec, s[2:3]
	s_mov_b64 s[2:3], 0
	s_cbranch_vccnz .LBB102_2133
; %bb.2123:
	s_cmp_gt_i32 s28, 14
	s_cbranch_scc0 .LBB102_2126
; %bb.2124:
	s_cmp_eq_u32 s28, 15
	s_cbranch_scc0 .LBB102_2129
; %bb.2125:
	global_load_ushort v7, v[0:1], off
	s_mov_b64 s[0:1], 0
	s_mov_b64 s[4:5], -1
	s_waitcnt vmcnt(0)
	v_lshlrev_b32_e32 v7, 16, v7
	s_branch .LBB102_2130
.LBB102_2126:
	s_mov_b64 s[6:7], -1
                                        ; implicit-def: $vgpr7
	s_branch .LBB102_2131
.LBB102_2127:
	s_or_saveexec_b64 s[4:5], s[4:5]
	v_mov_b32_e32 v7, 0x7f800001
	s_xor_b64 exec, exec, s[4:5]
	s_cbranch_execz .LBB102_2108
.LBB102_2128:
	v_cmp_ne_u16_e32 vcc, 0, v10
	s_andn2_b64 s[2:3], s[2:3], exec
	s_and_b64 s[6:7], vcc, exec
	v_mov_b32_e32 v7, 0
	s_or_b64 s[2:3], s[2:3], s[6:7]
	s_or_b64 exec, exec, s[4:5]
	s_and_saveexec_b64 s[4:5], s[2:3]
	s_cbranch_execnz .LBB102_2109
	s_branch .LBB102_2110
.LBB102_2129:
	s_mov_b64 s[0:1], -1
                                        ; implicit-def: $vgpr7
.LBB102_2130:
	s_mov_b64 s[6:7], 0
.LBB102_2131:
	s_and_b64 vcc, exec, s[6:7]
	s_cbranch_vccz .LBB102_2133
; %bb.2132:
	s_cmp_lg_u32 s28, 11
	s_mov_b64 s[2:3], -1
	s_cselect_b64 s[0:1], -1, 0
.LBB102_2133:
	s_and_b64 vcc, exec, s[0:1]
	s_cbranch_vccnz .LBB102_2198
; %bb.2134:
	s_andn2_b64 vcc, exec, s[2:3]
	s_cbranch_vccnz .LBB102_2136
.LBB102_2135:
	global_load_ubyte v7, v[0:1], off
	s_mov_b64 s[4:5], -1
	s_waitcnt vmcnt(0)
	v_cmp_ne_u16_e32 vcc, 0, v7
	v_cndmask_b32_e64 v7, 0, 1.0, vcc
.LBB102_2136:
	s_mov_b64 s[0:1], 0
.LBB102_2137:
	s_and_b64 vcc, exec, s[0:1]
	s_cbranch_vccz .LBB102_2186
; %bb.2138:
	s_and_b32 s2, 0xffff, s26
	s_cmp_lt_i32 s2, 5
	s_cbranch_scc1 .LBB102_2143
; %bb.2139:
	s_cmp_lt_i32 s2, 8
	s_cbranch_scc1 .LBB102_2144
; %bb.2140:
	;; [unrolled: 3-line block ×3, first 2 shown]
	s_cmp_gt_i32 s2, 9
	s_cbranch_scc0 .LBB102_2146
; %bb.2142:
	global_load_dwordx2 v[10:11], v[0:1], off
	s_mov_b64 s[0:1], 0
	s_waitcnt vmcnt(0)
	v_cvt_f32_f64_e32 v7, v[10:11]
	s_branch .LBB102_2147
.LBB102_2143:
	s_mov_b64 s[0:1], -1
                                        ; implicit-def: $vgpr7
	s_branch .LBB102_2165
.LBB102_2144:
	s_mov_b64 s[0:1], -1
                                        ; implicit-def: $vgpr7
	s_branch .LBB102_2153
.LBB102_2145:
	s_mov_b64 s[0:1], -1
                                        ; implicit-def: $vgpr7
	s_branch .LBB102_2150
.LBB102_2146:
	s_mov_b64 s[0:1], -1
                                        ; implicit-def: $vgpr7
.LBB102_2147:
	s_andn2_b64 vcc, exec, s[0:1]
	s_cbranch_vccnz .LBB102_2149
; %bb.2148:
	global_load_dword v7, v[0:1], off
.LBB102_2149:
	s_mov_b64 s[0:1], 0
.LBB102_2150:
	s_andn2_b64 vcc, exec, s[0:1]
	s_cbranch_vccnz .LBB102_2152
; %bb.2151:
	global_load_dword v7, v[0:1], off
	s_waitcnt vmcnt(0)
	v_cvt_f32_f16_e32 v7, v7
.LBB102_2152:
	s_mov_b64 s[0:1], 0
.LBB102_2153:
	s_andn2_b64 vcc, exec, s[0:1]
	s_cbranch_vccnz .LBB102_2164
; %bb.2154:
	s_cmp_lt_i32 s2, 6
	s_cbranch_scc1 .LBB102_2157
; %bb.2155:
	s_cmp_gt_i32 s2, 6
	s_cbranch_scc0 .LBB102_2158
; %bb.2156:
	global_load_dwordx2 v[10:11], v[0:1], off
	s_mov_b64 s[0:1], 0
	s_waitcnt vmcnt(0)
	v_cvt_f32_f64_e32 v7, v[10:11]
	s_branch .LBB102_2159
.LBB102_2157:
	s_mov_b64 s[0:1], -1
                                        ; implicit-def: $vgpr7
	s_branch .LBB102_2162
.LBB102_2158:
	s_mov_b64 s[0:1], -1
                                        ; implicit-def: $vgpr7
.LBB102_2159:
	s_andn2_b64 vcc, exec, s[0:1]
	s_cbranch_vccnz .LBB102_2161
; %bb.2160:
	global_load_dword v7, v[0:1], off
.LBB102_2161:
	s_mov_b64 s[0:1], 0
.LBB102_2162:
	s_andn2_b64 vcc, exec, s[0:1]
	s_cbranch_vccnz .LBB102_2164
; %bb.2163:
	global_load_ushort v7, v[0:1], off
	s_waitcnt vmcnt(0)
	v_cvt_f32_f16_e32 v7, v7
.LBB102_2164:
	s_mov_b64 s[0:1], 0
.LBB102_2165:
	s_andn2_b64 vcc, exec, s[0:1]
	s_cbranch_vccnz .LBB102_2185
; %bb.2166:
	s_cmp_lt_i32 s2, 2
	s_cbranch_scc1 .LBB102_2170
; %bb.2167:
	s_cmp_lt_i32 s2, 3
	s_cbranch_scc1 .LBB102_2171
; %bb.2168:
	s_cmp_gt_i32 s2, 3
	s_cbranch_scc0 .LBB102_2172
; %bb.2169:
	global_load_dwordx2 v[10:11], v[0:1], off
	s_mov_b64 s[0:1], 0
	s_waitcnt vmcnt(0)
	v_xor_b32_e32 v12, v10, v11
	v_ffbh_i32_e32 v7, v11
	v_ashrrev_i32_e32 v12, 31, v12
	v_add_u32_e32 v7, -1, v7
	v_add_u32_e32 v12, 32, v12
	v_min_u32_e32 v7, v7, v12
	v_lshlrev_b64 v[10:11], v7, v[10:11]
	v_sub_u32_e32 v7, 32, v7
	v_min_u32_e32 v10, 1, v10
	v_or_b32_e32 v10, v11, v10
	v_cvt_f32_i32_e32 v10, v10
	v_ldexp_f32 v7, v10, v7
	s_branch .LBB102_2173
.LBB102_2170:
	s_mov_b64 s[0:1], -1
                                        ; implicit-def: $vgpr7
	s_branch .LBB102_2179
.LBB102_2171:
	s_mov_b64 s[0:1], -1
                                        ; implicit-def: $vgpr7
	s_branch .LBB102_2176
.LBB102_2172:
	s_mov_b64 s[0:1], -1
                                        ; implicit-def: $vgpr7
.LBB102_2173:
	s_andn2_b64 vcc, exec, s[0:1]
	s_cbranch_vccnz .LBB102_2175
; %bb.2174:
	global_load_dword v7, v[0:1], off
	s_waitcnt vmcnt(0)
	v_cvt_f32_i32_e32 v7, v7
.LBB102_2175:
	s_mov_b64 s[0:1], 0
.LBB102_2176:
	s_andn2_b64 vcc, exec, s[0:1]
	s_cbranch_vccnz .LBB102_2178
; %bb.2177:
	global_load_sshort v7, v[0:1], off
	s_waitcnt vmcnt(0)
	v_cvt_f32_i32_e32 v7, v7
.LBB102_2178:
	s_mov_b64 s[0:1], 0
.LBB102_2179:
	s_andn2_b64 vcc, exec, s[0:1]
	s_cbranch_vccnz .LBB102_2185
; %bb.2180:
	s_cmp_gt_i32 s2, 0
	s_cbranch_scc0 .LBB102_2182
; %bb.2181:
	global_load_sbyte v7, v[0:1], off
	s_mov_b64 s[0:1], 0
	s_waitcnt vmcnt(0)
	v_cvt_f32_i32_e32 v7, v7
	s_branch .LBB102_2183
.LBB102_2182:
	s_mov_b64 s[0:1], -1
                                        ; implicit-def: $vgpr7
.LBB102_2183:
	s_andn2_b64 vcc, exec, s[0:1]
	s_cbranch_vccnz .LBB102_2185
; %bb.2184:
	global_load_ubyte v0, v[0:1], off
	s_waitcnt vmcnt(0)
	v_cvt_f32_ubyte0_e32 v7, v0
.LBB102_2185:
	s_mov_b64 s[4:5], -1
.LBB102_2186:
	s_andn2_b64 vcc, exec, s[4:5]
	s_cbranch_vccnz .LBB102_3012
; %bb.2187:
	v_add_u32_e32 v10, s14, v8
	v_ashrrev_i32_e32 v1, 31, v10
	v_mov_b32_e32 v8, s17
	v_add_co_u32_e32 v0, vcc, s16, v10
	s_cmp_lt_i32 s27, 11
	v_addc_co_u32_e32 v1, vcc, v8, v1, vcc
	s_cbranch_scc1 .LBB102_2194
; %bb.2188:
	s_and_b32 s28, 0xffff, s27
	s_cmp_gt_i32 s28, 25
	s_mov_b64 s[2:3], 0
	s_cbranch_scc0 .LBB102_2195
; %bb.2189:
	s_cmp_gt_i32 s28, 28
	s_cbranch_scc0 .LBB102_2196
; %bb.2190:
	s_cmp_gt_i32 s28, 43
	;; [unrolled: 3-line block ×3, first 2 shown]
	s_cbranch_scc0 .LBB102_2199
; %bb.2192:
	s_cmp_eq_u32 s28, 46
	s_mov_b64 s[6:7], 0
	s_cbranch_scc0 .LBB102_2202
; %bb.2193:
	global_load_dword v8, v[0:1], off
	s_mov_b64 s[0:1], 0
	s_mov_b64 s[4:5], -1
	s_waitcnt vmcnt(0)
	v_lshlrev_b32_e32 v8, 16, v8
	s_branch .LBB102_2203
.LBB102_2194:
	s_mov_b64 s[0:1], -1
	s_mov_b64 s[4:5], 0
                                        ; implicit-def: $vgpr8
	s_branch .LBB102_2269
.LBB102_2195:
	s_mov_b64 s[6:7], -1
	s_mov_b64 s[4:5], 0
	s_mov_b64 s[0:1], 0
                                        ; implicit-def: $vgpr8
	s_branch .LBB102_2232
.LBB102_2196:
	s_mov_b64 s[6:7], -1
	s_mov_b64 s[4:5], 0
	s_mov_b64 s[0:1], 0
                                        ; implicit-def: $vgpr8
	s_branch .LBB102_2213
.LBB102_2197:
	s_mov_b64 s[6:7], -1
	s_mov_b64 s[4:5], 0
	s_mov_b64 s[0:1], 0
                                        ; implicit-def: $vgpr8
	s_branch .LBB102_2208
.LBB102_2198:
	s_trap 2
	s_or_b64 s[22:23], s[22:23], exec
	s_cbranch_execz .LBB102_2135
	s_branch .LBB102_2136
.LBB102_2199:
	s_mov_b64 s[6:7], -1
	s_mov_b64 s[4:5], 0
	s_mov_b64 s[0:1], 0
                                        ; implicit-def: $vgpr8
	s_branch .LBB102_2203
.LBB102_2200:
	s_andn2_saveexec_b64 s[48:49], s[48:49]
	s_cbranch_execz .LBB102_1085
.LBB102_2201:
	v_add_f32_e32 v3, 0x42800000, v4
	v_and_b32_e32 v3, 0xff, v3
	v_cmp_ne_u32_e32 vcc, 0, v3
	s_andn2_b64 s[46:47], s[46:47], exec
	s_and_b64 s[54:55], vcc, exec
	s_or_b64 s[46:47], s[46:47], s[54:55]
	s_or_b64 exec, exec, s[48:49]
	v_mov_b32_e32 v5, 0
	s_and_saveexec_b64 s[48:49], s[46:47]
	s_cbranch_execnz .LBB102_1086
	s_branch .LBB102_1087
.LBB102_2202:
	s_mov_b64 s[0:1], -1
                                        ; implicit-def: $vgpr8
	s_mov_b64 s[4:5], 0
.LBB102_2203:
	s_and_b64 vcc, exec, s[6:7]
	s_cbranch_vccz .LBB102_2207
; %bb.2204:
	s_cmp_eq_u32 s28, 44
	s_cbranch_scc0 .LBB102_2206
; %bb.2205:
	global_load_ubyte v8, v[0:1], off
	s_movk_i32 s4, 0xff
	v_mov_b32_e32 v11, 0x7f800001
	v_mov_b32_e32 v12, 0x400000
	s_mov_b64 s[0:1], 0
	s_waitcnt vmcnt(0)
	v_lshlrev_b32_e32 v13, 23, v8
	v_cmp_ne_u32_e32 vcc, s4, v8
	v_cndmask_b32_e32 v11, v11, v13, vcc
	v_cmp_ne_u32_e32 vcc, 0, v8
	v_cndmask_b32_e32 v8, v12, v11, vcc
	s_mov_b64 s[4:5], -1
	s_branch .LBB102_2207
.LBB102_2206:
	s_mov_b64 s[0:1], -1
                                        ; implicit-def: $vgpr8
.LBB102_2207:
	s_mov_b64 s[6:7], 0
.LBB102_2208:
	s_and_b64 vcc, exec, s[6:7]
	s_cbranch_vccz .LBB102_2212
; %bb.2209:
	s_cmp_eq_u32 s28, 29
	s_cbranch_scc0 .LBB102_2211
; %bb.2210:
	global_load_dwordx2 v[11:12], v[0:1], off
	s_mov_b64 s[0:1], 0
	s_mov_b64 s[4:5], -1
	s_mov_b64 s[6:7], 0
	s_waitcnt vmcnt(0)
	v_ffbh_u32_e32 v8, v12
	v_min_u32_e32 v8, 32, v8
	v_lshlrev_b64 v[11:12], v8, v[11:12]
	v_sub_u32_e32 v8, 32, v8
	v_min_u32_e32 v11, 1, v11
	v_or_b32_e32 v11, v12, v11
	v_cvt_f32_u32_e32 v11, v11
	v_ldexp_f32 v8, v11, v8
	s_branch .LBB102_2213
.LBB102_2211:
	s_mov_b64 s[0:1], -1
                                        ; implicit-def: $vgpr8
.LBB102_2212:
	s_mov_b64 s[6:7], 0
.LBB102_2213:
	s_and_b64 vcc, exec, s[6:7]
	s_cbranch_vccz .LBB102_2231
; %bb.2214:
	s_cmp_lt_i32 s28, 27
	s_cbranch_scc1 .LBB102_2217
; %bb.2215:
	s_cmp_gt_i32 s28, 27
	s_cbranch_scc0 .LBB102_2218
; %bb.2216:
	global_load_dword v8, v[0:1], off
	s_mov_b64 s[4:5], 0
	s_waitcnt vmcnt(0)
	v_cvt_f32_u32_e32 v8, v8
	s_branch .LBB102_2219
.LBB102_2217:
	s_mov_b64 s[4:5], -1
                                        ; implicit-def: $vgpr8
	s_branch .LBB102_2222
.LBB102_2218:
	s_mov_b64 s[4:5], -1
                                        ; implicit-def: $vgpr8
.LBB102_2219:
	s_andn2_b64 vcc, exec, s[4:5]
	s_cbranch_vccnz .LBB102_2221
; %bb.2220:
	global_load_ushort v8, v[0:1], off
	s_waitcnt vmcnt(0)
	v_cvt_f32_u32_e32 v8, v8
.LBB102_2221:
	s_mov_b64 s[4:5], 0
.LBB102_2222:
	s_andn2_b64 vcc, exec, s[4:5]
	s_cbranch_vccnz .LBB102_2230
; %bb.2223:
	global_load_ubyte v11, v[0:1], off
	s_movk_i32 s4, 0x7f
	s_waitcnt vmcnt(0)
	v_cmp_lt_i16_e32 vcc, s4, v11
	s_mov_b64 s[4:5], 0
	s_and_saveexec_b64 s[6:7], vcc
	s_xor_b64 s[6:7], exec, s[6:7]
	s_cbranch_execz .LBB102_2244
; %bb.2224:
	s_movk_i32 s4, 0x80
	v_cmp_eq_u16_e32 vcc, s4, v11
	s_mov_b64 s[4:5], -1
	s_and_saveexec_b64 s[24:25], vcc
; %bb.2225:
	s_xor_b64 s[4:5], exec, -1
; %bb.2226:
	s_or_b64 exec, exec, s[24:25]
	s_and_b64 s[4:5], s[4:5], exec
	s_or_saveexec_b64 s[6:7], s[6:7]
	v_mov_b32_e32 v8, 0x7f800001
	s_xor_b64 exec, exec, s[6:7]
	s_cbranch_execnz .LBB102_2245
.LBB102_2227:
	s_or_b64 exec, exec, s[6:7]
	s_and_saveexec_b64 s[6:7], s[4:5]
	s_cbranch_execz .LBB102_2229
.LBB102_2228:
	v_lshlrev_b32_e32 v8, 24, v11
	v_and_b32_e32 v11, 0xffff, v11
	v_and_b32_e32 v12, 7, v11
	v_ffbh_u32_e32 v14, v12
	v_min_u32_e32 v14, 32, v14
	v_subrev_u32_e32 v15, 28, v14
	v_bfe_u32 v13, v11, 3, 4
	v_lshlrev_b32_e32 v11, v15, v11
	v_sub_u32_e32 v14, 29, v14
	v_and_b32_e32 v11, 7, v11
	v_cmp_eq_u32_e32 vcc, 0, v13
	v_cndmask_b32_e32 v13, v13, v14, vcc
	v_cndmask_b32_e32 v11, v12, v11, vcc
	v_mov_b32_e32 v12, 0x3b800000
	v_lshlrev_b32_e32 v11, 20, v11
	v_and_b32_e32 v8, 0x80000000, v8
	v_lshl_add_u32 v12, v13, 23, v12
	v_or3_b32 v8, v8, v12, v11
.LBB102_2229:
	s_or_b64 exec, exec, s[6:7]
.LBB102_2230:
	s_mov_b64 s[4:5], -1
.LBB102_2231:
	s_mov_b64 s[6:7], 0
.LBB102_2232:
	s_and_b64 vcc, exec, s[6:7]
	s_cbranch_vccz .LBB102_2265
; %bb.2233:
	s_cmp_gt_i32 s28, 22
	s_cbranch_scc0 .LBB102_2243
; %bb.2234:
	s_cmp_lt_i32 s28, 24
	s_cbranch_scc1 .LBB102_2246
; %bb.2235:
	s_cmp_gt_i32 s28, 24
	s_cbranch_scc0 .LBB102_2247
; %bb.2236:
	global_load_ubyte v11, v[0:1], off
	s_movk_i32 s2, 0x7f
	s_waitcnt vmcnt(0)
	v_cmp_lt_i16_e32 vcc, s2, v11
	s_mov_b64 s[2:3], 0
	s_and_saveexec_b64 s[4:5], vcc
	s_xor_b64 s[4:5], exec, s[4:5]
	s_cbranch_execz .LBB102_2259
; %bb.2237:
	s_movk_i32 s2, 0x80
	v_cmp_eq_u16_e32 vcc, s2, v11
	s_mov_b64 s[2:3], -1
	s_and_saveexec_b64 s[6:7], vcc
; %bb.2238:
	s_xor_b64 s[2:3], exec, -1
; %bb.2239:
	s_or_b64 exec, exec, s[6:7]
	s_and_b64 s[2:3], s[2:3], exec
	s_or_saveexec_b64 s[4:5], s[4:5]
	v_mov_b32_e32 v8, 0x7f800001
	s_xor_b64 exec, exec, s[4:5]
	s_cbranch_execnz .LBB102_2260
.LBB102_2240:
	s_or_b64 exec, exec, s[4:5]
	s_and_saveexec_b64 s[4:5], s[2:3]
	s_cbranch_execz .LBB102_2242
.LBB102_2241:
	v_lshlrev_b32_e32 v8, 24, v11
	v_and_b32_e32 v11, 0xffff, v11
	v_and_b32_e32 v12, 3, v11
	v_ffbh_u32_e32 v14, v12
	v_min_u32_e32 v14, 32, v14
	v_subrev_u32_e32 v15, 29, v14
	v_bfe_u32 v13, v11, 2, 5
	v_lshlrev_b32_e32 v11, v15, v11
	v_sub_u32_e32 v14, 30, v14
	v_and_b32_e32 v11, 3, v11
	v_cmp_eq_u32_e32 vcc, 0, v13
	v_cndmask_b32_e32 v13, v13, v14, vcc
	v_cndmask_b32_e32 v11, v12, v11, vcc
	v_mov_b32_e32 v12, 0x37800000
	v_lshlrev_b32_e32 v11, 21, v11
	v_and_b32_e32 v8, 0x80000000, v8
	v_lshl_add_u32 v12, v13, 23, v12
	v_or3_b32 v8, v8, v12, v11
.LBB102_2242:
	s_or_b64 exec, exec, s[4:5]
	s_mov_b64 s[2:3], 0
	s_branch .LBB102_2248
.LBB102_2243:
	s_mov_b64 s[2:3], -1
                                        ; implicit-def: $vgpr8
	s_branch .LBB102_2254
.LBB102_2244:
	s_or_saveexec_b64 s[6:7], s[6:7]
	v_mov_b32_e32 v8, 0x7f800001
	s_xor_b64 exec, exec, s[6:7]
	s_cbranch_execz .LBB102_2227
.LBB102_2245:
	v_cmp_ne_u16_e32 vcc, 0, v11
	s_andn2_b64 s[4:5], s[4:5], exec
	s_and_b64 s[24:25], vcc, exec
	v_mov_b32_e32 v8, 0
	s_or_b64 s[4:5], s[4:5], s[24:25]
	s_or_b64 exec, exec, s[6:7]
	s_and_saveexec_b64 s[6:7], s[4:5]
	s_cbranch_execnz .LBB102_2228
	s_branch .LBB102_2229
.LBB102_2246:
	s_mov_b64 s[2:3], -1
                                        ; implicit-def: $vgpr8
	s_branch .LBB102_2251
.LBB102_2247:
	s_mov_b64 s[2:3], -1
                                        ; implicit-def: $vgpr8
.LBB102_2248:
	s_and_b64 vcc, exec, s[2:3]
	s_cbranch_vccz .LBB102_2250
; %bb.2249:
	global_load_ubyte v8, v[0:1], off
	s_mov_b32 s2, 0x7f800000
	s_waitcnt vmcnt(0)
	v_lshlrev_b32_e32 v8, 24, v8
	v_and_b32_e32 v11, 0x7f000000, v8
	v_ffbh_u32_e32 v12, v11
	v_min_u32_e32 v12, 32, v12
	v_sub_u32_e64 v12, v12, 4 clamp
	v_lshlrev_b32_e32 v14, v12, v11
	v_lshlrev_b32_e32 v12, 23, v12
	v_lshrrev_b32_e32 v14, 4, v14
	v_add_u32_e32 v13, 0x1000000, v11
	v_sub_u32_e32 v12, v14, v12
	v_ashrrev_i32_e32 v13, 8, v13
	v_add_u32_e32 v12, 0x3c000000, v12
	v_and_or_b32 v12, v13, s2, v12
	v_cmp_ne_u32_e32 vcc, 0, v11
	v_cndmask_b32_e32 v11, 0, v12, vcc
	s_brev_b32 s2, 1
	v_and_or_b32 v8, v8, s2, v11
.LBB102_2250:
	s_mov_b64 s[2:3], 0
.LBB102_2251:
	s_andn2_b64 vcc, exec, s[2:3]
	s_cbranch_vccnz .LBB102_2253
; %bb.2252:
	global_load_ubyte v8, v[0:1], off
	s_movk_i32 s2, 0x7f00
	s_brev_b32 s3, 16
	s_waitcnt vmcnt(0)
	v_lshlrev_b16_e32 v11, 8, v8
	v_lshlrev_b32_e32 v8, 25, v8
	v_lshrrev_b32_e32 v12, 4, v8
	v_and_or_b32 v13, v11, s2, 0.5
	v_or_b32_e32 v12, 0x70000000, v12
	v_add_f32_e32 v13, -0.5, v13
	v_mul_f32_e32 v12, 0x7800000, v12
	v_cmp_gt_u32_e32 vcc, s3, v8
	v_bfe_i32 v11, v11, 0, 16
	v_cndmask_b32_e32 v8, v12, v13, vcc
	s_brev_b32 s2, 1
	v_and_or_b32 v8, v11, s2, v8
.LBB102_2253:
	s_mov_b64 s[2:3], 0
	s_mov_b64 s[4:5], -1
.LBB102_2254:
	s_andn2_b64 vcc, exec, s[2:3]
	s_mov_b64 s[2:3], 0
	s_cbranch_vccnz .LBB102_2265
; %bb.2255:
	s_cmp_gt_i32 s28, 14
	s_cbranch_scc0 .LBB102_2258
; %bb.2256:
	s_cmp_eq_u32 s28, 15
	s_cbranch_scc0 .LBB102_2261
; %bb.2257:
	global_load_ushort v8, v[0:1], off
	s_mov_b64 s[0:1], 0
	s_mov_b64 s[4:5], -1
	s_waitcnt vmcnt(0)
	v_lshlrev_b32_e32 v8, 16, v8
	s_branch .LBB102_2262
.LBB102_2258:
	s_mov_b64 s[6:7], -1
                                        ; implicit-def: $vgpr8
	s_branch .LBB102_2263
.LBB102_2259:
	s_or_saveexec_b64 s[4:5], s[4:5]
	v_mov_b32_e32 v8, 0x7f800001
	s_xor_b64 exec, exec, s[4:5]
	s_cbranch_execz .LBB102_2240
.LBB102_2260:
	v_cmp_ne_u16_e32 vcc, 0, v11
	s_andn2_b64 s[2:3], s[2:3], exec
	s_and_b64 s[6:7], vcc, exec
	v_mov_b32_e32 v8, 0
	s_or_b64 s[2:3], s[2:3], s[6:7]
	s_or_b64 exec, exec, s[4:5]
	s_and_saveexec_b64 s[4:5], s[2:3]
	s_cbranch_execnz .LBB102_2241
	s_branch .LBB102_2242
.LBB102_2261:
	s_mov_b64 s[0:1], -1
                                        ; implicit-def: $vgpr8
.LBB102_2262:
	s_mov_b64 s[6:7], 0
.LBB102_2263:
	s_and_b64 vcc, exec, s[6:7]
	s_cbranch_vccz .LBB102_2265
; %bb.2264:
	s_cmp_lg_u32 s28, 11
	s_mov_b64 s[2:3], -1
	s_cselect_b64 s[0:1], -1, 0
.LBB102_2265:
	s_and_b64 vcc, exec, s[0:1]
	s_cbranch_vccnz .LBB102_2330
; %bb.2266:
	s_andn2_b64 vcc, exec, s[2:3]
	s_cbranch_vccnz .LBB102_2268
.LBB102_2267:
	global_load_ubyte v8, v[0:1], off
	s_mov_b64 s[4:5], -1
	s_waitcnt vmcnt(0)
	v_cmp_ne_u16_e32 vcc, 0, v8
	v_cndmask_b32_e64 v8, 0, 1.0, vcc
.LBB102_2268:
	s_mov_b64 s[0:1], 0
.LBB102_2269:
	s_and_b64 vcc, exec, s[0:1]
	s_cbranch_vccz .LBB102_2318
; %bb.2270:
	s_and_b32 s2, 0xffff, s27
	s_cmp_lt_i32 s2, 5
	s_cbranch_scc1 .LBB102_2275
; %bb.2271:
	s_cmp_lt_i32 s2, 8
	s_cbranch_scc1 .LBB102_2276
; %bb.2272:
	;; [unrolled: 3-line block ×3, first 2 shown]
	s_cmp_gt_i32 s2, 9
	s_cbranch_scc0 .LBB102_2278
; %bb.2274:
	global_load_dwordx2 v[11:12], v[0:1], off
	s_mov_b64 s[0:1], 0
	s_waitcnt vmcnt(0)
	v_cvt_f32_f64_e32 v8, v[11:12]
	s_branch .LBB102_2279
.LBB102_2275:
	s_mov_b64 s[0:1], -1
                                        ; implicit-def: $vgpr8
	s_branch .LBB102_2297
.LBB102_2276:
	s_mov_b64 s[0:1], -1
                                        ; implicit-def: $vgpr8
	s_branch .LBB102_2285
.LBB102_2277:
	s_mov_b64 s[0:1], -1
                                        ; implicit-def: $vgpr8
	s_branch .LBB102_2282
.LBB102_2278:
	s_mov_b64 s[0:1], -1
                                        ; implicit-def: $vgpr8
.LBB102_2279:
	s_andn2_b64 vcc, exec, s[0:1]
	s_cbranch_vccnz .LBB102_2281
; %bb.2280:
	global_load_dword v8, v[0:1], off
.LBB102_2281:
	s_mov_b64 s[0:1], 0
.LBB102_2282:
	s_andn2_b64 vcc, exec, s[0:1]
	s_cbranch_vccnz .LBB102_2284
; %bb.2283:
	global_load_dword v8, v[0:1], off
	s_waitcnt vmcnt(0)
	v_cvt_f32_f16_e32 v8, v8
.LBB102_2284:
	s_mov_b64 s[0:1], 0
.LBB102_2285:
	s_andn2_b64 vcc, exec, s[0:1]
	s_cbranch_vccnz .LBB102_2296
; %bb.2286:
	s_cmp_lt_i32 s2, 6
	s_cbranch_scc1 .LBB102_2289
; %bb.2287:
	s_cmp_gt_i32 s2, 6
	s_cbranch_scc0 .LBB102_2290
; %bb.2288:
	global_load_dwordx2 v[11:12], v[0:1], off
	s_mov_b64 s[0:1], 0
	s_waitcnt vmcnt(0)
	v_cvt_f32_f64_e32 v8, v[11:12]
	s_branch .LBB102_2291
.LBB102_2289:
	s_mov_b64 s[0:1], -1
                                        ; implicit-def: $vgpr8
	s_branch .LBB102_2294
.LBB102_2290:
	s_mov_b64 s[0:1], -1
                                        ; implicit-def: $vgpr8
.LBB102_2291:
	s_andn2_b64 vcc, exec, s[0:1]
	s_cbranch_vccnz .LBB102_2293
; %bb.2292:
	global_load_dword v8, v[0:1], off
.LBB102_2293:
	s_mov_b64 s[0:1], 0
.LBB102_2294:
	s_andn2_b64 vcc, exec, s[0:1]
	s_cbranch_vccnz .LBB102_2296
; %bb.2295:
	global_load_ushort v8, v[0:1], off
	s_waitcnt vmcnt(0)
	v_cvt_f32_f16_e32 v8, v8
.LBB102_2296:
	s_mov_b64 s[0:1], 0
.LBB102_2297:
	s_andn2_b64 vcc, exec, s[0:1]
	s_cbranch_vccnz .LBB102_2317
; %bb.2298:
	s_cmp_lt_i32 s2, 2
	s_cbranch_scc1 .LBB102_2302
; %bb.2299:
	s_cmp_lt_i32 s2, 3
	s_cbranch_scc1 .LBB102_2303
; %bb.2300:
	s_cmp_gt_i32 s2, 3
	s_cbranch_scc0 .LBB102_2304
; %bb.2301:
	global_load_dwordx2 v[11:12], v[0:1], off
	s_mov_b64 s[0:1], 0
	s_waitcnt vmcnt(0)
	v_xor_b32_e32 v13, v11, v12
	v_ffbh_i32_e32 v8, v12
	v_ashrrev_i32_e32 v13, 31, v13
	v_add_u32_e32 v8, -1, v8
	v_add_u32_e32 v13, 32, v13
	v_min_u32_e32 v8, v8, v13
	v_lshlrev_b64 v[11:12], v8, v[11:12]
	v_sub_u32_e32 v8, 32, v8
	v_min_u32_e32 v11, 1, v11
	v_or_b32_e32 v11, v12, v11
	v_cvt_f32_i32_e32 v11, v11
	v_ldexp_f32 v8, v11, v8
	s_branch .LBB102_2305
.LBB102_2302:
	s_mov_b64 s[0:1], -1
                                        ; implicit-def: $vgpr8
	s_branch .LBB102_2311
.LBB102_2303:
	s_mov_b64 s[0:1], -1
                                        ; implicit-def: $vgpr8
	s_branch .LBB102_2308
.LBB102_2304:
	s_mov_b64 s[0:1], -1
                                        ; implicit-def: $vgpr8
.LBB102_2305:
	s_andn2_b64 vcc, exec, s[0:1]
	s_cbranch_vccnz .LBB102_2307
; %bb.2306:
	global_load_dword v8, v[0:1], off
	s_waitcnt vmcnt(0)
	v_cvt_f32_i32_e32 v8, v8
.LBB102_2307:
	s_mov_b64 s[0:1], 0
.LBB102_2308:
	s_andn2_b64 vcc, exec, s[0:1]
	s_cbranch_vccnz .LBB102_2310
; %bb.2309:
	global_load_sshort v8, v[0:1], off
	s_waitcnt vmcnt(0)
	v_cvt_f32_i32_e32 v8, v8
.LBB102_2310:
	s_mov_b64 s[0:1], 0
.LBB102_2311:
	s_andn2_b64 vcc, exec, s[0:1]
	s_cbranch_vccnz .LBB102_2317
; %bb.2312:
	s_cmp_gt_i32 s2, 0
	s_cbranch_scc0 .LBB102_2314
; %bb.2313:
	global_load_sbyte v8, v[0:1], off
	s_mov_b64 s[0:1], 0
	s_waitcnt vmcnt(0)
	v_cvt_f32_i32_e32 v8, v8
	s_branch .LBB102_2315
.LBB102_2314:
	s_mov_b64 s[0:1], -1
                                        ; implicit-def: $vgpr8
.LBB102_2315:
	s_andn2_b64 vcc, exec, s[0:1]
	s_cbranch_vccnz .LBB102_2317
; %bb.2316:
	global_load_ubyte v0, v[0:1], off
	s_waitcnt vmcnt(0)
	v_cvt_f32_ubyte0_e32 v8, v0
.LBB102_2317:
	s_mov_b64 s[4:5], -1
.LBB102_2318:
	s_andn2_b64 vcc, exec, s[4:5]
	s_cbranch_vccnz .LBB102_3012
; %bb.2319:
	v_add_u32_e32 v0, s13, v9
	v_ashrrev_i32_e32 v1, 31, v0
	v_mov_b32_e32 v9, s11
	v_add_co_u32_e32 v0, vcc, s10, v0
	s_cmp_lt_i32 s26, 11
	v_addc_co_u32_e32 v1, vcc, v9, v1, vcc
	s_cbranch_scc1 .LBB102_2326
; %bb.2320:
	s_and_b32 s13, 0xffff, s26
	s_cmp_gt_i32 s13, 25
	s_mov_b64 s[2:3], 0
	s_cbranch_scc0 .LBB102_2327
; %bb.2321:
	s_cmp_gt_i32 s13, 28
	s_cbranch_scc0 .LBB102_2328
; %bb.2322:
	s_cmp_gt_i32 s13, 43
	;; [unrolled: 3-line block ×3, first 2 shown]
	s_cbranch_scc0 .LBB102_2331
; %bb.2324:
	s_cmp_eq_u32 s13, 46
	s_mov_b64 s[6:7], 0
	s_cbranch_scc0 .LBB102_2332
; %bb.2325:
	global_load_dword v9, v[0:1], off
	s_mov_b64 s[0:1], 0
	s_mov_b64 s[4:5], -1
	s_waitcnt vmcnt(0)
	v_lshlrev_b32_e32 v9, 16, v9
	s_branch .LBB102_2333
.LBB102_2326:
	s_mov_b64 s[0:1], -1
	s_mov_b64 s[4:5], 0
                                        ; implicit-def: $vgpr9
	s_branch .LBB102_2399
.LBB102_2327:
	s_mov_b64 s[6:7], -1
	s_mov_b64 s[4:5], 0
	s_mov_b64 s[0:1], 0
                                        ; implicit-def: $vgpr9
	s_branch .LBB102_2362
.LBB102_2328:
	s_mov_b64 s[6:7], -1
	s_mov_b64 s[4:5], 0
	s_mov_b64 s[0:1], 0
                                        ; implicit-def: $vgpr9
	s_branch .LBB102_2343
.LBB102_2329:
	s_mov_b64 s[6:7], -1
	s_mov_b64 s[4:5], 0
	s_mov_b64 s[0:1], 0
                                        ; implicit-def: $vgpr9
	s_branch .LBB102_2338
.LBB102_2330:
	s_trap 2
	s_or_b64 s[22:23], s[22:23], exec
	s_cbranch_execz .LBB102_2267
	s_branch .LBB102_2268
.LBB102_2331:
	s_mov_b64 s[6:7], -1
	s_mov_b64 s[4:5], 0
	s_mov_b64 s[0:1], 0
                                        ; implicit-def: $vgpr9
	s_branch .LBB102_2333
.LBB102_2332:
	s_mov_b64 s[0:1], -1
                                        ; implicit-def: $vgpr9
	s_mov_b64 s[4:5], 0
.LBB102_2333:
	s_and_b64 vcc, exec, s[6:7]
	s_cbranch_vccz .LBB102_2337
; %bb.2334:
	s_cmp_eq_u32 s13, 44
	s_cbranch_scc0 .LBB102_2336
; %bb.2335:
	global_load_ubyte v9, v[0:1], off
	s_movk_i32 s4, 0xff
	v_mov_b32_e32 v11, 0x7f800001
	v_mov_b32_e32 v12, 0x400000
	s_mov_b64 s[0:1], 0
	s_waitcnt vmcnt(0)
	v_lshlrev_b32_e32 v13, 23, v9
	v_cmp_ne_u32_e32 vcc, s4, v9
	v_cndmask_b32_e32 v11, v11, v13, vcc
	v_cmp_ne_u32_e32 vcc, 0, v9
	v_cndmask_b32_e32 v9, v12, v11, vcc
	s_mov_b64 s[4:5], -1
	s_branch .LBB102_2337
.LBB102_2336:
	s_mov_b64 s[0:1], -1
                                        ; implicit-def: $vgpr9
.LBB102_2337:
	s_mov_b64 s[6:7], 0
.LBB102_2338:
	s_and_b64 vcc, exec, s[6:7]
	s_cbranch_vccz .LBB102_2342
; %bb.2339:
	s_cmp_eq_u32 s13, 29
	s_cbranch_scc0 .LBB102_2341
; %bb.2340:
	global_load_dwordx2 v[11:12], v[0:1], off
	s_mov_b64 s[0:1], 0
	s_mov_b64 s[4:5], -1
	s_mov_b64 s[6:7], 0
	s_waitcnt vmcnt(0)
	v_ffbh_u32_e32 v9, v12
	v_min_u32_e32 v9, 32, v9
	v_lshlrev_b64 v[11:12], v9, v[11:12]
	v_sub_u32_e32 v9, 32, v9
	v_min_u32_e32 v11, 1, v11
	v_or_b32_e32 v11, v12, v11
	v_cvt_f32_u32_e32 v11, v11
	v_ldexp_f32 v9, v11, v9
	s_branch .LBB102_2343
.LBB102_2341:
	s_mov_b64 s[0:1], -1
                                        ; implicit-def: $vgpr9
.LBB102_2342:
	s_mov_b64 s[6:7], 0
.LBB102_2343:
	s_and_b64 vcc, exec, s[6:7]
	s_cbranch_vccz .LBB102_2361
; %bb.2344:
	s_cmp_lt_i32 s13, 27
	s_cbranch_scc1 .LBB102_2347
; %bb.2345:
	s_cmp_gt_i32 s13, 27
	s_cbranch_scc0 .LBB102_2348
; %bb.2346:
	global_load_dword v9, v[0:1], off
	s_mov_b64 s[4:5], 0
	s_waitcnt vmcnt(0)
	v_cvt_f32_u32_e32 v9, v9
	s_branch .LBB102_2349
.LBB102_2347:
	s_mov_b64 s[4:5], -1
                                        ; implicit-def: $vgpr9
	s_branch .LBB102_2352
.LBB102_2348:
	s_mov_b64 s[4:5], -1
                                        ; implicit-def: $vgpr9
.LBB102_2349:
	s_andn2_b64 vcc, exec, s[4:5]
	s_cbranch_vccnz .LBB102_2351
; %bb.2350:
	global_load_ushort v9, v[0:1], off
	s_waitcnt vmcnt(0)
	v_cvt_f32_u32_e32 v9, v9
.LBB102_2351:
	s_mov_b64 s[4:5], 0
.LBB102_2352:
	s_andn2_b64 vcc, exec, s[4:5]
	s_cbranch_vccnz .LBB102_2360
; %bb.2353:
	global_load_ubyte v11, v[0:1], off
	s_movk_i32 s4, 0x7f
	s_waitcnt vmcnt(0)
	v_cmp_lt_i16_e32 vcc, s4, v11
	s_mov_b64 s[4:5], 0
	s_and_saveexec_b64 s[6:7], vcc
	s_xor_b64 s[6:7], exec, s[6:7]
	s_cbranch_execz .LBB102_2374
; %bb.2354:
	s_movk_i32 s4, 0x80
	v_cmp_eq_u16_e32 vcc, s4, v11
	s_mov_b64 s[4:5], -1
	s_and_saveexec_b64 s[10:11], vcc
; %bb.2355:
	s_xor_b64 s[4:5], exec, -1
; %bb.2356:
	s_or_b64 exec, exec, s[10:11]
	s_and_b64 s[4:5], s[4:5], exec
	s_or_saveexec_b64 s[6:7], s[6:7]
	v_mov_b32_e32 v9, 0x7f800001
	s_xor_b64 exec, exec, s[6:7]
	s_cbranch_execnz .LBB102_2375
.LBB102_2357:
	s_or_b64 exec, exec, s[6:7]
	s_and_saveexec_b64 s[6:7], s[4:5]
	s_cbranch_execz .LBB102_2359
.LBB102_2358:
	v_lshlrev_b32_e32 v9, 24, v11
	v_and_b32_e32 v11, 0xffff, v11
	v_and_b32_e32 v12, 7, v11
	v_ffbh_u32_e32 v14, v12
	v_min_u32_e32 v14, 32, v14
	v_subrev_u32_e32 v15, 28, v14
	v_bfe_u32 v13, v11, 3, 4
	v_lshlrev_b32_e32 v11, v15, v11
	v_sub_u32_e32 v14, 29, v14
	v_and_b32_e32 v11, 7, v11
	v_cmp_eq_u32_e32 vcc, 0, v13
	v_cndmask_b32_e32 v13, v13, v14, vcc
	v_cndmask_b32_e32 v11, v12, v11, vcc
	v_mov_b32_e32 v12, 0x3b800000
	v_lshlrev_b32_e32 v11, 20, v11
	v_and_b32_e32 v9, 0x80000000, v9
	v_lshl_add_u32 v12, v13, 23, v12
	v_or3_b32 v9, v9, v12, v11
.LBB102_2359:
	s_or_b64 exec, exec, s[6:7]
.LBB102_2360:
	s_mov_b64 s[4:5], -1
.LBB102_2361:
	s_mov_b64 s[6:7], 0
.LBB102_2362:
	s_and_b64 vcc, exec, s[6:7]
	s_cbranch_vccz .LBB102_2395
; %bb.2363:
	s_cmp_gt_i32 s13, 22
	s_cbranch_scc0 .LBB102_2373
; %bb.2364:
	s_cmp_lt_i32 s13, 24
	s_cbranch_scc1 .LBB102_2376
; %bb.2365:
	s_cmp_gt_i32 s13, 24
	s_cbranch_scc0 .LBB102_2377
; %bb.2366:
	global_load_ubyte v11, v[0:1], off
	s_movk_i32 s2, 0x7f
	s_waitcnt vmcnt(0)
	v_cmp_lt_i16_e32 vcc, s2, v11
	s_mov_b64 s[2:3], 0
	s_and_saveexec_b64 s[4:5], vcc
	s_xor_b64 s[4:5], exec, s[4:5]
	s_cbranch_execz .LBB102_2389
; %bb.2367:
	s_movk_i32 s2, 0x80
	v_cmp_eq_u16_e32 vcc, s2, v11
	s_mov_b64 s[2:3], -1
	s_and_saveexec_b64 s[6:7], vcc
; %bb.2368:
	s_xor_b64 s[2:3], exec, -1
; %bb.2369:
	s_or_b64 exec, exec, s[6:7]
	s_and_b64 s[2:3], s[2:3], exec
	s_or_saveexec_b64 s[4:5], s[4:5]
	v_mov_b32_e32 v9, 0x7f800001
	s_xor_b64 exec, exec, s[4:5]
	s_cbranch_execnz .LBB102_2390
.LBB102_2370:
	s_or_b64 exec, exec, s[4:5]
	s_and_saveexec_b64 s[4:5], s[2:3]
	s_cbranch_execz .LBB102_2372
.LBB102_2371:
	v_lshlrev_b32_e32 v9, 24, v11
	v_and_b32_e32 v11, 0xffff, v11
	v_and_b32_e32 v12, 3, v11
	v_ffbh_u32_e32 v14, v12
	v_min_u32_e32 v14, 32, v14
	v_subrev_u32_e32 v15, 29, v14
	v_bfe_u32 v13, v11, 2, 5
	v_lshlrev_b32_e32 v11, v15, v11
	v_sub_u32_e32 v14, 30, v14
	v_and_b32_e32 v11, 3, v11
	v_cmp_eq_u32_e32 vcc, 0, v13
	v_cndmask_b32_e32 v13, v13, v14, vcc
	v_cndmask_b32_e32 v11, v12, v11, vcc
	v_mov_b32_e32 v12, 0x37800000
	v_lshlrev_b32_e32 v11, 21, v11
	v_and_b32_e32 v9, 0x80000000, v9
	v_lshl_add_u32 v12, v13, 23, v12
	v_or3_b32 v9, v9, v12, v11
.LBB102_2372:
	s_or_b64 exec, exec, s[4:5]
	s_mov_b64 s[2:3], 0
	s_branch .LBB102_2378
.LBB102_2373:
	s_mov_b64 s[2:3], -1
                                        ; implicit-def: $vgpr9
	s_branch .LBB102_2384
.LBB102_2374:
	s_or_saveexec_b64 s[6:7], s[6:7]
	v_mov_b32_e32 v9, 0x7f800001
	s_xor_b64 exec, exec, s[6:7]
	s_cbranch_execz .LBB102_2357
.LBB102_2375:
	v_cmp_ne_u16_e32 vcc, 0, v11
	s_andn2_b64 s[4:5], s[4:5], exec
	s_and_b64 s[10:11], vcc, exec
	v_mov_b32_e32 v9, 0
	s_or_b64 s[4:5], s[4:5], s[10:11]
	s_or_b64 exec, exec, s[6:7]
	s_and_saveexec_b64 s[6:7], s[4:5]
	s_cbranch_execnz .LBB102_2358
	s_branch .LBB102_2359
.LBB102_2376:
	s_mov_b64 s[2:3], -1
                                        ; implicit-def: $vgpr9
	s_branch .LBB102_2381
.LBB102_2377:
	s_mov_b64 s[2:3], -1
                                        ; implicit-def: $vgpr9
.LBB102_2378:
	s_and_b64 vcc, exec, s[2:3]
	s_cbranch_vccz .LBB102_2380
; %bb.2379:
	global_load_ubyte v9, v[0:1], off
	s_mov_b32 s2, 0x7f800000
	s_waitcnt vmcnt(0)
	v_lshlrev_b32_e32 v9, 24, v9
	v_and_b32_e32 v11, 0x7f000000, v9
	v_ffbh_u32_e32 v12, v11
	v_min_u32_e32 v12, 32, v12
	v_sub_u32_e64 v12, v12, 4 clamp
	v_lshlrev_b32_e32 v14, v12, v11
	v_lshlrev_b32_e32 v12, 23, v12
	v_lshrrev_b32_e32 v14, 4, v14
	v_add_u32_e32 v13, 0x1000000, v11
	v_sub_u32_e32 v12, v14, v12
	v_ashrrev_i32_e32 v13, 8, v13
	v_add_u32_e32 v12, 0x3c000000, v12
	v_and_or_b32 v12, v13, s2, v12
	v_cmp_ne_u32_e32 vcc, 0, v11
	v_cndmask_b32_e32 v11, 0, v12, vcc
	s_brev_b32 s2, 1
	v_and_or_b32 v9, v9, s2, v11
.LBB102_2380:
	s_mov_b64 s[2:3], 0
.LBB102_2381:
	s_andn2_b64 vcc, exec, s[2:3]
	s_cbranch_vccnz .LBB102_2383
; %bb.2382:
	global_load_ubyte v9, v[0:1], off
	s_movk_i32 s2, 0x7f00
	s_brev_b32 s3, 16
	s_waitcnt vmcnt(0)
	v_lshlrev_b16_e32 v11, 8, v9
	v_lshlrev_b32_e32 v9, 25, v9
	v_lshrrev_b32_e32 v12, 4, v9
	v_and_or_b32 v13, v11, s2, 0.5
	v_or_b32_e32 v12, 0x70000000, v12
	v_add_f32_e32 v13, -0.5, v13
	v_mul_f32_e32 v12, 0x7800000, v12
	v_cmp_gt_u32_e32 vcc, s3, v9
	v_bfe_i32 v11, v11, 0, 16
	v_cndmask_b32_e32 v9, v12, v13, vcc
	s_brev_b32 s2, 1
	v_and_or_b32 v9, v11, s2, v9
.LBB102_2383:
	s_mov_b64 s[2:3], 0
	s_mov_b64 s[4:5], -1
.LBB102_2384:
	s_andn2_b64 vcc, exec, s[2:3]
	s_mov_b64 s[2:3], 0
	s_cbranch_vccnz .LBB102_2395
; %bb.2385:
	s_cmp_gt_i32 s13, 14
	s_cbranch_scc0 .LBB102_2388
; %bb.2386:
	s_cmp_eq_u32 s13, 15
	s_cbranch_scc0 .LBB102_2391
; %bb.2387:
	global_load_ushort v9, v[0:1], off
	s_mov_b64 s[0:1], 0
	s_mov_b64 s[4:5], -1
	s_waitcnt vmcnt(0)
	v_lshlrev_b32_e32 v9, 16, v9
	s_branch .LBB102_2392
.LBB102_2388:
	s_mov_b64 s[6:7], -1
                                        ; implicit-def: $vgpr9
	s_branch .LBB102_2393
.LBB102_2389:
	s_or_saveexec_b64 s[4:5], s[4:5]
	v_mov_b32_e32 v9, 0x7f800001
	s_xor_b64 exec, exec, s[4:5]
	s_cbranch_execz .LBB102_2370
.LBB102_2390:
	v_cmp_ne_u16_e32 vcc, 0, v11
	s_andn2_b64 s[2:3], s[2:3], exec
	s_and_b64 s[6:7], vcc, exec
	v_mov_b32_e32 v9, 0
	s_or_b64 s[2:3], s[2:3], s[6:7]
	s_or_b64 exec, exec, s[4:5]
	s_and_saveexec_b64 s[4:5], s[2:3]
	s_cbranch_execnz .LBB102_2371
	s_branch .LBB102_2372
.LBB102_2391:
	s_mov_b64 s[0:1], -1
                                        ; implicit-def: $vgpr9
.LBB102_2392:
	s_mov_b64 s[6:7], 0
.LBB102_2393:
	s_and_b64 vcc, exec, s[6:7]
	s_cbranch_vccz .LBB102_2395
; %bb.2394:
	s_cmp_lg_u32 s13, 11
	s_mov_b64 s[2:3], -1
	s_cselect_b64 s[0:1], -1, 0
.LBB102_2395:
	s_and_b64 vcc, exec, s[0:1]
	s_cbranch_vccnz .LBB102_2460
; %bb.2396:
	s_andn2_b64 vcc, exec, s[2:3]
	s_cbranch_vccnz .LBB102_2398
.LBB102_2397:
	global_load_ubyte v9, v[0:1], off
	s_mov_b64 s[4:5], -1
	s_waitcnt vmcnt(0)
	v_cmp_ne_u16_e32 vcc, 0, v9
	v_cndmask_b32_e64 v9, 0, 1.0, vcc
.LBB102_2398:
	s_mov_b64 s[0:1], 0
.LBB102_2399:
	s_and_b64 vcc, exec, s[0:1]
	s_cbranch_vccz .LBB102_2448
; %bb.2400:
	s_and_b32 s2, 0xffff, s26
	s_cmp_lt_i32 s2, 5
	s_cbranch_scc1 .LBB102_2405
; %bb.2401:
	s_cmp_lt_i32 s2, 8
	s_cbranch_scc1 .LBB102_2406
; %bb.2402:
	;; [unrolled: 3-line block ×3, first 2 shown]
	s_cmp_gt_i32 s2, 9
	s_cbranch_scc0 .LBB102_2408
; %bb.2404:
	global_load_dwordx2 v[11:12], v[0:1], off
	s_mov_b64 s[0:1], 0
	s_waitcnt vmcnt(0)
	v_cvt_f32_f64_e32 v9, v[11:12]
	s_branch .LBB102_2409
.LBB102_2405:
	s_mov_b64 s[0:1], -1
                                        ; implicit-def: $vgpr9
	s_branch .LBB102_2427
.LBB102_2406:
	s_mov_b64 s[0:1], -1
                                        ; implicit-def: $vgpr9
	s_branch .LBB102_2415
.LBB102_2407:
	s_mov_b64 s[0:1], -1
                                        ; implicit-def: $vgpr9
	s_branch .LBB102_2412
.LBB102_2408:
	s_mov_b64 s[0:1], -1
                                        ; implicit-def: $vgpr9
.LBB102_2409:
	s_andn2_b64 vcc, exec, s[0:1]
	s_cbranch_vccnz .LBB102_2411
; %bb.2410:
	global_load_dword v9, v[0:1], off
.LBB102_2411:
	s_mov_b64 s[0:1], 0
.LBB102_2412:
	s_andn2_b64 vcc, exec, s[0:1]
	s_cbranch_vccnz .LBB102_2414
; %bb.2413:
	global_load_dword v9, v[0:1], off
	s_waitcnt vmcnt(0)
	v_cvt_f32_f16_e32 v9, v9
.LBB102_2414:
	s_mov_b64 s[0:1], 0
.LBB102_2415:
	s_andn2_b64 vcc, exec, s[0:1]
	s_cbranch_vccnz .LBB102_2426
; %bb.2416:
	s_cmp_lt_i32 s2, 6
	s_cbranch_scc1 .LBB102_2419
; %bb.2417:
	s_cmp_gt_i32 s2, 6
	s_cbranch_scc0 .LBB102_2420
; %bb.2418:
	global_load_dwordx2 v[11:12], v[0:1], off
	s_mov_b64 s[0:1], 0
	s_waitcnt vmcnt(0)
	v_cvt_f32_f64_e32 v9, v[11:12]
	s_branch .LBB102_2421
.LBB102_2419:
	s_mov_b64 s[0:1], -1
                                        ; implicit-def: $vgpr9
	s_branch .LBB102_2424
.LBB102_2420:
	s_mov_b64 s[0:1], -1
                                        ; implicit-def: $vgpr9
.LBB102_2421:
	s_andn2_b64 vcc, exec, s[0:1]
	s_cbranch_vccnz .LBB102_2423
; %bb.2422:
	global_load_dword v9, v[0:1], off
.LBB102_2423:
	s_mov_b64 s[0:1], 0
.LBB102_2424:
	s_andn2_b64 vcc, exec, s[0:1]
	s_cbranch_vccnz .LBB102_2426
; %bb.2425:
	global_load_ushort v9, v[0:1], off
	s_waitcnt vmcnt(0)
	v_cvt_f32_f16_e32 v9, v9
.LBB102_2426:
	s_mov_b64 s[0:1], 0
.LBB102_2427:
	s_andn2_b64 vcc, exec, s[0:1]
	s_cbranch_vccnz .LBB102_2447
; %bb.2428:
	s_cmp_lt_i32 s2, 2
	s_cbranch_scc1 .LBB102_2432
; %bb.2429:
	s_cmp_lt_i32 s2, 3
	s_cbranch_scc1 .LBB102_2433
; %bb.2430:
	s_cmp_gt_i32 s2, 3
	s_cbranch_scc0 .LBB102_2434
; %bb.2431:
	global_load_dwordx2 v[11:12], v[0:1], off
	s_mov_b64 s[0:1], 0
	s_waitcnt vmcnt(0)
	v_xor_b32_e32 v13, v11, v12
	v_ffbh_i32_e32 v9, v12
	v_ashrrev_i32_e32 v13, 31, v13
	v_add_u32_e32 v9, -1, v9
	v_add_u32_e32 v13, 32, v13
	v_min_u32_e32 v9, v9, v13
	v_lshlrev_b64 v[11:12], v9, v[11:12]
	v_sub_u32_e32 v9, 32, v9
	v_min_u32_e32 v11, 1, v11
	v_or_b32_e32 v11, v12, v11
	v_cvt_f32_i32_e32 v11, v11
	v_ldexp_f32 v9, v11, v9
	s_branch .LBB102_2435
.LBB102_2432:
	s_mov_b64 s[0:1], -1
                                        ; implicit-def: $vgpr9
	s_branch .LBB102_2441
.LBB102_2433:
	s_mov_b64 s[0:1], -1
                                        ; implicit-def: $vgpr9
	s_branch .LBB102_2438
.LBB102_2434:
	s_mov_b64 s[0:1], -1
                                        ; implicit-def: $vgpr9
.LBB102_2435:
	s_andn2_b64 vcc, exec, s[0:1]
	s_cbranch_vccnz .LBB102_2437
; %bb.2436:
	global_load_dword v9, v[0:1], off
	s_waitcnt vmcnt(0)
	v_cvt_f32_i32_e32 v9, v9
.LBB102_2437:
	s_mov_b64 s[0:1], 0
.LBB102_2438:
	s_andn2_b64 vcc, exec, s[0:1]
	s_cbranch_vccnz .LBB102_2440
; %bb.2439:
	global_load_sshort v9, v[0:1], off
	s_waitcnt vmcnt(0)
	v_cvt_f32_i32_e32 v9, v9
.LBB102_2440:
	s_mov_b64 s[0:1], 0
.LBB102_2441:
	s_andn2_b64 vcc, exec, s[0:1]
	s_cbranch_vccnz .LBB102_2447
; %bb.2442:
	s_cmp_gt_i32 s2, 0
	s_cbranch_scc0 .LBB102_2444
; %bb.2443:
	global_load_sbyte v9, v[0:1], off
	s_mov_b64 s[0:1], 0
	s_waitcnt vmcnt(0)
	v_cvt_f32_i32_e32 v9, v9
	s_branch .LBB102_2445
.LBB102_2444:
	s_mov_b64 s[0:1], -1
                                        ; implicit-def: $vgpr9
.LBB102_2445:
	s_andn2_b64 vcc, exec, s[0:1]
	s_cbranch_vccnz .LBB102_2447
; %bb.2446:
	global_load_ubyte v0, v[0:1], off
	s_waitcnt vmcnt(0)
	v_cvt_f32_ubyte0_e32 v9, v0
.LBB102_2447:
	s_mov_b64 s[4:5], -1
.LBB102_2448:
	s_andn2_b64 vcc, exec, s[4:5]
	s_cbranch_vccnz .LBB102_3012
; %bb.2449:
	v_add_u32_e32 v0, s14, v10
	v_ashrrev_i32_e32 v1, 31, v0
	v_mov_b32_e32 v10, s17
	v_add_co_u32_e32 v0, vcc, s16, v0
	s_cmp_lt_i32 s27, 11
	v_addc_co_u32_e32 v1, vcc, v10, v1, vcc
	s_cbranch_scc1 .LBB102_2456
; %bb.2450:
	s_and_b32 s13, 0xffff, s27
	s_cmp_gt_i32 s13, 25
	s_mov_b64 s[2:3], 0
	s_cbranch_scc0 .LBB102_2457
; %bb.2451:
	s_cmp_gt_i32 s13, 28
	s_cbranch_scc0 .LBB102_2458
; %bb.2452:
	s_cmp_gt_i32 s13, 43
	;; [unrolled: 3-line block ×3, first 2 shown]
	s_cbranch_scc0 .LBB102_2461
; %bb.2454:
	s_cmp_eq_u32 s13, 46
	s_mov_b64 s[6:7], 0
	s_cbranch_scc0 .LBB102_2462
; %bb.2455:
	global_load_dword v10, v[0:1], off
	s_mov_b64 s[0:1], 0
	s_mov_b64 s[4:5], -1
	s_waitcnt vmcnt(0)
	v_lshlrev_b32_e32 v10, 16, v10
	s_branch .LBB102_2463
.LBB102_2456:
	s_mov_b64 s[0:1], -1
	s_mov_b64 s[4:5], 0
                                        ; implicit-def: $vgpr10
	s_branch .LBB102_2529
.LBB102_2457:
	s_mov_b64 s[6:7], -1
	s_mov_b64 s[4:5], 0
	s_mov_b64 s[0:1], 0
                                        ; implicit-def: $vgpr10
	s_branch .LBB102_2492
.LBB102_2458:
	s_mov_b64 s[6:7], -1
	s_mov_b64 s[4:5], 0
	s_mov_b64 s[0:1], 0
                                        ; implicit-def: $vgpr10
	s_branch .LBB102_2473
.LBB102_2459:
	s_mov_b64 s[6:7], -1
	s_mov_b64 s[4:5], 0
	s_mov_b64 s[0:1], 0
                                        ; implicit-def: $vgpr10
	s_branch .LBB102_2468
.LBB102_2460:
	s_trap 2
	s_or_b64 s[22:23], s[22:23], exec
	s_cbranch_execz .LBB102_2397
	s_branch .LBB102_2398
.LBB102_2461:
	s_mov_b64 s[6:7], -1
	s_mov_b64 s[4:5], 0
	s_mov_b64 s[0:1], 0
                                        ; implicit-def: $vgpr10
	s_branch .LBB102_2463
.LBB102_2462:
	s_mov_b64 s[0:1], -1
                                        ; implicit-def: $vgpr10
	s_mov_b64 s[4:5], 0
.LBB102_2463:
	s_and_b64 vcc, exec, s[6:7]
	s_cbranch_vccz .LBB102_2467
; %bb.2464:
	s_cmp_eq_u32 s13, 44
	s_cbranch_scc0 .LBB102_2466
; %bb.2465:
	global_load_ubyte v10, v[0:1], off
	s_movk_i32 s4, 0xff
	v_mov_b32_e32 v11, 0x7f800001
	v_mov_b32_e32 v12, 0x400000
	s_mov_b64 s[0:1], 0
	s_waitcnt vmcnt(0)
	v_lshlrev_b32_e32 v13, 23, v10
	v_cmp_ne_u32_e32 vcc, s4, v10
	v_cndmask_b32_e32 v11, v11, v13, vcc
	v_cmp_ne_u32_e32 vcc, 0, v10
	v_cndmask_b32_e32 v10, v12, v11, vcc
	s_mov_b64 s[4:5], -1
	s_branch .LBB102_2467
.LBB102_2466:
	s_mov_b64 s[0:1], -1
                                        ; implicit-def: $vgpr10
.LBB102_2467:
	s_mov_b64 s[6:7], 0
.LBB102_2468:
	s_and_b64 vcc, exec, s[6:7]
	s_cbranch_vccz .LBB102_2472
; %bb.2469:
	s_cmp_eq_u32 s13, 29
	s_cbranch_scc0 .LBB102_2471
; %bb.2470:
	global_load_dwordx2 v[10:11], v[0:1], off
	s_mov_b64 s[0:1], 0
	s_mov_b64 s[4:5], -1
	s_mov_b64 s[6:7], 0
	s_waitcnt vmcnt(0)
	v_ffbh_u32_e32 v12, v11
	v_min_u32_e32 v12, 32, v12
	v_lshlrev_b64 v[10:11], v12, v[10:11]
	v_min_u32_e32 v10, 1, v10
	v_or_b32_e32 v10, v11, v10
	v_cvt_f32_u32_e32 v10, v10
	v_sub_u32_e32 v11, 32, v12
	v_ldexp_f32 v10, v10, v11
	s_branch .LBB102_2473
.LBB102_2471:
	s_mov_b64 s[0:1], -1
                                        ; implicit-def: $vgpr10
.LBB102_2472:
	s_mov_b64 s[6:7], 0
.LBB102_2473:
	s_and_b64 vcc, exec, s[6:7]
	s_cbranch_vccz .LBB102_2491
; %bb.2474:
	s_cmp_lt_i32 s13, 27
	s_cbranch_scc1 .LBB102_2477
; %bb.2475:
	s_cmp_gt_i32 s13, 27
	s_cbranch_scc0 .LBB102_2478
; %bb.2476:
	global_load_dword v10, v[0:1], off
	s_mov_b64 s[4:5], 0
	s_waitcnt vmcnt(0)
	v_cvt_f32_u32_e32 v10, v10
	s_branch .LBB102_2479
.LBB102_2477:
	s_mov_b64 s[4:5], -1
                                        ; implicit-def: $vgpr10
	s_branch .LBB102_2482
.LBB102_2478:
	s_mov_b64 s[4:5], -1
                                        ; implicit-def: $vgpr10
.LBB102_2479:
	s_andn2_b64 vcc, exec, s[4:5]
	s_cbranch_vccnz .LBB102_2481
; %bb.2480:
	global_load_ushort v10, v[0:1], off
	s_waitcnt vmcnt(0)
	v_cvt_f32_u32_e32 v10, v10
.LBB102_2481:
	s_mov_b64 s[4:5], 0
.LBB102_2482:
	s_andn2_b64 vcc, exec, s[4:5]
	s_cbranch_vccnz .LBB102_2490
; %bb.2483:
	global_load_ubyte v11, v[0:1], off
	s_movk_i32 s4, 0x7f
	s_waitcnt vmcnt(0)
	v_cmp_lt_i16_e32 vcc, s4, v11
	s_mov_b64 s[4:5], 0
	s_and_saveexec_b64 s[6:7], vcc
	s_xor_b64 s[6:7], exec, s[6:7]
	s_cbranch_execz .LBB102_2504
; %bb.2484:
	s_movk_i32 s4, 0x80
	v_cmp_eq_u16_e32 vcc, s4, v11
	s_mov_b64 s[4:5], -1
	s_and_saveexec_b64 s[10:11], vcc
; %bb.2485:
	s_xor_b64 s[4:5], exec, -1
; %bb.2486:
	s_or_b64 exec, exec, s[10:11]
	s_and_b64 s[4:5], s[4:5], exec
	s_or_saveexec_b64 s[6:7], s[6:7]
	v_mov_b32_e32 v10, 0x7f800001
	s_xor_b64 exec, exec, s[6:7]
	s_cbranch_execnz .LBB102_2505
.LBB102_2487:
	s_or_b64 exec, exec, s[6:7]
	s_and_saveexec_b64 s[6:7], s[4:5]
	s_cbranch_execz .LBB102_2489
.LBB102_2488:
	v_lshlrev_b32_e32 v10, 24, v11
	v_and_b32_e32 v11, 0xffff, v11
	v_and_b32_e32 v12, 7, v11
	v_ffbh_u32_e32 v14, v12
	v_min_u32_e32 v14, 32, v14
	v_subrev_u32_e32 v15, 28, v14
	v_bfe_u32 v13, v11, 3, 4
	v_lshlrev_b32_e32 v11, v15, v11
	v_sub_u32_e32 v14, 29, v14
	v_and_b32_e32 v11, 7, v11
	v_cmp_eq_u32_e32 vcc, 0, v13
	v_cndmask_b32_e32 v13, v13, v14, vcc
	v_cndmask_b32_e32 v11, v12, v11, vcc
	v_mov_b32_e32 v12, 0x3b800000
	v_lshlrev_b32_e32 v11, 20, v11
	v_and_b32_e32 v10, 0x80000000, v10
	v_lshl_add_u32 v12, v13, 23, v12
	v_or3_b32 v10, v10, v12, v11
.LBB102_2489:
	s_or_b64 exec, exec, s[6:7]
.LBB102_2490:
	s_mov_b64 s[4:5], -1
.LBB102_2491:
	s_mov_b64 s[6:7], 0
.LBB102_2492:
	s_and_b64 vcc, exec, s[6:7]
	s_cbranch_vccz .LBB102_2525
; %bb.2493:
	s_cmp_gt_i32 s13, 22
	s_cbranch_scc0 .LBB102_2503
; %bb.2494:
	s_cmp_lt_i32 s13, 24
	s_cbranch_scc1 .LBB102_2506
; %bb.2495:
	s_cmp_gt_i32 s13, 24
	s_cbranch_scc0 .LBB102_2507
; %bb.2496:
	global_load_ubyte v11, v[0:1], off
	s_movk_i32 s2, 0x7f
	s_waitcnt vmcnt(0)
	v_cmp_lt_i16_e32 vcc, s2, v11
	s_mov_b64 s[2:3], 0
	s_and_saveexec_b64 s[4:5], vcc
	s_xor_b64 s[4:5], exec, s[4:5]
	s_cbranch_execz .LBB102_2519
; %bb.2497:
	s_movk_i32 s2, 0x80
	v_cmp_eq_u16_e32 vcc, s2, v11
	s_mov_b64 s[2:3], -1
	s_and_saveexec_b64 s[6:7], vcc
; %bb.2498:
	s_xor_b64 s[2:3], exec, -1
; %bb.2499:
	s_or_b64 exec, exec, s[6:7]
	s_and_b64 s[2:3], s[2:3], exec
	s_or_saveexec_b64 s[4:5], s[4:5]
	v_mov_b32_e32 v10, 0x7f800001
	s_xor_b64 exec, exec, s[4:5]
	s_cbranch_execnz .LBB102_2520
.LBB102_2500:
	s_or_b64 exec, exec, s[4:5]
	s_and_saveexec_b64 s[4:5], s[2:3]
	s_cbranch_execz .LBB102_2502
.LBB102_2501:
	v_lshlrev_b32_e32 v10, 24, v11
	v_and_b32_e32 v11, 0xffff, v11
	v_and_b32_e32 v12, 3, v11
	v_ffbh_u32_e32 v14, v12
	v_min_u32_e32 v14, 32, v14
	v_subrev_u32_e32 v15, 29, v14
	v_bfe_u32 v13, v11, 2, 5
	v_lshlrev_b32_e32 v11, v15, v11
	v_sub_u32_e32 v14, 30, v14
	v_and_b32_e32 v11, 3, v11
	v_cmp_eq_u32_e32 vcc, 0, v13
	v_cndmask_b32_e32 v13, v13, v14, vcc
	v_cndmask_b32_e32 v11, v12, v11, vcc
	v_mov_b32_e32 v12, 0x37800000
	v_lshlrev_b32_e32 v11, 21, v11
	v_and_b32_e32 v10, 0x80000000, v10
	v_lshl_add_u32 v12, v13, 23, v12
	v_or3_b32 v10, v10, v12, v11
.LBB102_2502:
	s_or_b64 exec, exec, s[4:5]
	s_mov_b64 s[2:3], 0
	s_branch .LBB102_2508
.LBB102_2503:
	s_mov_b64 s[2:3], -1
                                        ; implicit-def: $vgpr10
	s_branch .LBB102_2514
.LBB102_2504:
	s_or_saveexec_b64 s[6:7], s[6:7]
	v_mov_b32_e32 v10, 0x7f800001
	s_xor_b64 exec, exec, s[6:7]
	s_cbranch_execz .LBB102_2487
.LBB102_2505:
	v_cmp_ne_u16_e32 vcc, 0, v11
	s_andn2_b64 s[4:5], s[4:5], exec
	s_and_b64 s[10:11], vcc, exec
	v_mov_b32_e32 v10, 0
	s_or_b64 s[4:5], s[4:5], s[10:11]
	s_or_b64 exec, exec, s[6:7]
	s_and_saveexec_b64 s[6:7], s[4:5]
	s_cbranch_execnz .LBB102_2488
	s_branch .LBB102_2489
.LBB102_2506:
	s_mov_b64 s[2:3], -1
                                        ; implicit-def: $vgpr10
	s_branch .LBB102_2511
.LBB102_2507:
	s_mov_b64 s[2:3], -1
                                        ; implicit-def: $vgpr10
.LBB102_2508:
	s_and_b64 vcc, exec, s[2:3]
	s_cbranch_vccz .LBB102_2510
; %bb.2509:
	global_load_ubyte v10, v[0:1], off
	s_mov_b32 s2, 0x7f800000
	s_waitcnt vmcnt(0)
	v_lshlrev_b32_e32 v10, 24, v10
	v_and_b32_e32 v11, 0x7f000000, v10
	v_ffbh_u32_e32 v12, v11
	v_min_u32_e32 v12, 32, v12
	v_sub_u32_e64 v12, v12, 4 clamp
	v_lshlrev_b32_e32 v14, v12, v11
	v_lshlrev_b32_e32 v12, 23, v12
	v_lshrrev_b32_e32 v14, 4, v14
	v_add_u32_e32 v13, 0x1000000, v11
	v_sub_u32_e32 v12, v14, v12
	v_ashrrev_i32_e32 v13, 8, v13
	v_add_u32_e32 v12, 0x3c000000, v12
	v_and_or_b32 v12, v13, s2, v12
	v_cmp_ne_u32_e32 vcc, 0, v11
	v_cndmask_b32_e32 v11, 0, v12, vcc
	s_brev_b32 s2, 1
	v_and_or_b32 v10, v10, s2, v11
.LBB102_2510:
	s_mov_b64 s[2:3], 0
.LBB102_2511:
	s_andn2_b64 vcc, exec, s[2:3]
	s_cbranch_vccnz .LBB102_2513
; %bb.2512:
	global_load_ubyte v10, v[0:1], off
	s_movk_i32 s2, 0x7f00
	s_brev_b32 s3, 16
	s_waitcnt vmcnt(0)
	v_lshlrev_b16_e32 v11, 8, v10
	v_lshlrev_b32_e32 v10, 25, v10
	v_lshrrev_b32_e32 v12, 4, v10
	v_and_or_b32 v13, v11, s2, 0.5
	v_or_b32_e32 v12, 0x70000000, v12
	v_add_f32_e32 v13, -0.5, v13
	v_mul_f32_e32 v12, 0x7800000, v12
	v_cmp_gt_u32_e32 vcc, s3, v10
	v_bfe_i32 v11, v11, 0, 16
	v_cndmask_b32_e32 v10, v12, v13, vcc
	s_brev_b32 s2, 1
	v_and_or_b32 v10, v11, s2, v10
.LBB102_2513:
	s_mov_b64 s[2:3], 0
	s_mov_b64 s[4:5], -1
.LBB102_2514:
	s_andn2_b64 vcc, exec, s[2:3]
	s_mov_b64 s[2:3], 0
	s_cbranch_vccnz .LBB102_2525
; %bb.2515:
	s_cmp_gt_i32 s13, 14
	s_cbranch_scc0 .LBB102_2518
; %bb.2516:
	s_cmp_eq_u32 s13, 15
	s_cbranch_scc0 .LBB102_2521
; %bb.2517:
	global_load_ushort v10, v[0:1], off
	s_mov_b64 s[0:1], 0
	s_mov_b64 s[4:5], -1
	s_waitcnt vmcnt(0)
	v_lshlrev_b32_e32 v10, 16, v10
	s_branch .LBB102_2522
.LBB102_2518:
	s_mov_b64 s[6:7], -1
                                        ; implicit-def: $vgpr10
	s_branch .LBB102_2523
.LBB102_2519:
	s_or_saveexec_b64 s[4:5], s[4:5]
	v_mov_b32_e32 v10, 0x7f800001
	s_xor_b64 exec, exec, s[4:5]
	s_cbranch_execz .LBB102_2500
.LBB102_2520:
	v_cmp_ne_u16_e32 vcc, 0, v11
	s_andn2_b64 s[2:3], s[2:3], exec
	s_and_b64 s[6:7], vcc, exec
	v_mov_b32_e32 v10, 0
	s_or_b64 s[2:3], s[2:3], s[6:7]
	s_or_b64 exec, exec, s[4:5]
	s_and_saveexec_b64 s[4:5], s[2:3]
	s_cbranch_execnz .LBB102_2501
	s_branch .LBB102_2502
.LBB102_2521:
	s_mov_b64 s[0:1], -1
                                        ; implicit-def: $vgpr10
.LBB102_2522:
	s_mov_b64 s[6:7], 0
.LBB102_2523:
	s_and_b64 vcc, exec, s[6:7]
	s_cbranch_vccz .LBB102_2525
; %bb.2524:
	s_cmp_lg_u32 s13, 11
	s_mov_b64 s[2:3], -1
	s_cselect_b64 s[0:1], -1, 0
.LBB102_2525:
	s_and_b64 vcc, exec, s[0:1]
	s_cbranch_vccnz .LBB102_3058
; %bb.2526:
	s_andn2_b64 vcc, exec, s[2:3]
	s_cbranch_vccnz .LBB102_2528
.LBB102_2527:
	global_load_ubyte v10, v[0:1], off
	s_mov_b64 s[4:5], -1
	s_waitcnt vmcnt(0)
	v_cmp_ne_u16_e32 vcc, 0, v10
	v_cndmask_b32_e64 v10, 0, 1.0, vcc
.LBB102_2528:
	s_mov_b64 s[0:1], 0
.LBB102_2529:
	s_and_b64 vcc, exec, s[0:1]
	s_cbranch_vccz .LBB102_2578
; %bb.2530:
	s_and_b32 s2, 0xffff, s27
	s_cmp_lt_i32 s2, 5
	s_cbranch_scc1 .LBB102_2535
; %bb.2531:
	s_cmp_lt_i32 s2, 8
	s_cbranch_scc1 .LBB102_2536
; %bb.2532:
	;; [unrolled: 3-line block ×3, first 2 shown]
	s_cmp_gt_i32 s2, 9
	s_cbranch_scc0 .LBB102_2538
; %bb.2534:
	global_load_dwordx2 v[10:11], v[0:1], off
	s_mov_b64 s[0:1], 0
	s_waitcnt vmcnt(0)
	v_cvt_f32_f64_e32 v10, v[10:11]
	s_branch .LBB102_2539
.LBB102_2535:
	s_mov_b64 s[0:1], -1
                                        ; implicit-def: $vgpr10
	s_branch .LBB102_2557
.LBB102_2536:
	s_mov_b64 s[0:1], -1
                                        ; implicit-def: $vgpr10
	s_branch .LBB102_2545
.LBB102_2537:
	s_mov_b64 s[0:1], -1
                                        ; implicit-def: $vgpr10
	s_branch .LBB102_2542
.LBB102_2538:
	s_mov_b64 s[0:1], -1
                                        ; implicit-def: $vgpr10
.LBB102_2539:
	s_andn2_b64 vcc, exec, s[0:1]
	s_cbranch_vccnz .LBB102_2541
; %bb.2540:
	global_load_dword v10, v[0:1], off
.LBB102_2541:
	s_mov_b64 s[0:1], 0
.LBB102_2542:
	s_andn2_b64 vcc, exec, s[0:1]
	s_cbranch_vccnz .LBB102_2544
; %bb.2543:
	global_load_dword v10, v[0:1], off
	s_waitcnt vmcnt(0)
	v_cvt_f32_f16_e32 v10, v10
.LBB102_2544:
	s_mov_b64 s[0:1], 0
.LBB102_2545:
	s_andn2_b64 vcc, exec, s[0:1]
	s_cbranch_vccnz .LBB102_2556
; %bb.2546:
	s_cmp_lt_i32 s2, 6
	s_cbranch_scc1 .LBB102_2549
; %bb.2547:
	s_cmp_gt_i32 s2, 6
	s_cbranch_scc0 .LBB102_2550
; %bb.2548:
	global_load_dwordx2 v[10:11], v[0:1], off
	s_mov_b64 s[0:1], 0
	s_waitcnt vmcnt(0)
	v_cvt_f32_f64_e32 v10, v[10:11]
	s_branch .LBB102_2551
.LBB102_2549:
	s_mov_b64 s[0:1], -1
                                        ; implicit-def: $vgpr10
	s_branch .LBB102_2554
.LBB102_2550:
	s_mov_b64 s[0:1], -1
                                        ; implicit-def: $vgpr10
.LBB102_2551:
	s_andn2_b64 vcc, exec, s[0:1]
	s_cbranch_vccnz .LBB102_2553
; %bb.2552:
	global_load_dword v10, v[0:1], off
.LBB102_2553:
	s_mov_b64 s[0:1], 0
.LBB102_2554:
	s_andn2_b64 vcc, exec, s[0:1]
	s_cbranch_vccnz .LBB102_2556
; %bb.2555:
	global_load_ushort v10, v[0:1], off
	s_waitcnt vmcnt(0)
	v_cvt_f32_f16_e32 v10, v10
.LBB102_2556:
	s_mov_b64 s[0:1], 0
.LBB102_2557:
	s_andn2_b64 vcc, exec, s[0:1]
	s_cbranch_vccnz .LBB102_2577
; %bb.2558:
	s_cmp_lt_i32 s2, 2
	s_cbranch_scc1 .LBB102_2562
; %bb.2559:
	s_cmp_lt_i32 s2, 3
	s_cbranch_scc1 .LBB102_2563
; %bb.2560:
	s_cmp_gt_i32 s2, 3
	s_cbranch_scc0 .LBB102_2564
; %bb.2561:
	global_load_dwordx2 v[10:11], v[0:1], off
	s_mov_b64 s[0:1], 0
	s_waitcnt vmcnt(0)
	v_xor_b32_e32 v13, v10, v11
	v_ffbh_i32_e32 v12, v11
	v_ashrrev_i32_e32 v13, 31, v13
	v_add_u32_e32 v12, -1, v12
	v_add_u32_e32 v13, 32, v13
	v_min_u32_e32 v12, v12, v13
	v_lshlrev_b64 v[10:11], v12, v[10:11]
	v_min_u32_e32 v10, 1, v10
	v_or_b32_e32 v10, v11, v10
	v_cvt_f32_i32_e32 v10, v10
	v_sub_u32_e32 v11, 32, v12
	v_ldexp_f32 v10, v10, v11
	s_branch .LBB102_2565
.LBB102_2562:
	s_mov_b64 s[0:1], -1
                                        ; implicit-def: $vgpr10
	s_branch .LBB102_2571
.LBB102_2563:
	s_mov_b64 s[0:1], -1
                                        ; implicit-def: $vgpr10
	s_branch .LBB102_2568
.LBB102_2564:
	s_mov_b64 s[0:1], -1
                                        ; implicit-def: $vgpr10
.LBB102_2565:
	s_andn2_b64 vcc, exec, s[0:1]
	s_cbranch_vccnz .LBB102_2567
; %bb.2566:
	global_load_dword v10, v[0:1], off
	s_waitcnt vmcnt(0)
	v_cvt_f32_i32_e32 v10, v10
.LBB102_2567:
	s_mov_b64 s[0:1], 0
.LBB102_2568:
	s_andn2_b64 vcc, exec, s[0:1]
	s_cbranch_vccnz .LBB102_2570
; %bb.2569:
	global_load_sshort v10, v[0:1], off
	s_waitcnt vmcnt(0)
	v_cvt_f32_i32_e32 v10, v10
.LBB102_2570:
	s_mov_b64 s[0:1], 0
.LBB102_2571:
	s_andn2_b64 vcc, exec, s[0:1]
	s_cbranch_vccnz .LBB102_2577
; %bb.2572:
	s_cmp_gt_i32 s2, 0
	s_cbranch_scc0 .LBB102_2574
; %bb.2573:
	global_load_sbyte v10, v[0:1], off
	s_mov_b64 s[0:1], 0
	s_waitcnt vmcnt(0)
	v_cvt_f32_i32_e32 v10, v10
	s_branch .LBB102_2575
.LBB102_2574:
	s_mov_b64 s[0:1], -1
                                        ; implicit-def: $vgpr10
.LBB102_2575:
	s_andn2_b64 vcc, exec, s[0:1]
	s_cbranch_vccnz .LBB102_2577
; %bb.2576:
	global_load_ubyte v0, v[0:1], off
	s_waitcnt vmcnt(0)
	v_cvt_f32_ubyte0_e32 v10, v0
.LBB102_2577:
	s_mov_b64 s[4:5], -1
.LBB102_2578:
	s_andn2_b64 vcc, exec, s[4:5]
	s_cbranch_vccnz .LBB102_3012
; %bb.2579:
	s_waitcnt vmcnt(0)
	v_cmp_eq_f32_e32 vcc, v3, v4
	s_cmp_eq_u32 s15, 0
	v_cndmask_b32_e64 v0, 0, 1, vcc
	v_cmp_neq_f32_e32 vcc, v3, v4
	v_mul_lo_u32 v2, s12, v2
	v_cndmask_b32_e64 v1, 0, 1, vcc
	s_cselect_b64 s[0:1], -1, 0
	v_cndmask_b32_e64 v0, v1, v0, s[0:1]
	v_and_b32_e32 v0, 1, v0
	v_cmp_eq_u32_e64 s[2:3], 1, v0
	v_ashrrev_i32_e32 v1, 31, v2
	v_mov_b32_e32 v3, s9
	s_and_b32 s24, s33, 0xff
	v_add_co_u32_e32 v0, vcc, s8, v2
	s_cmp_lt_i32 s24, 11
	v_addc_co_u32_e32 v1, vcc, v3, v1, vcc
	s_cbranch_scc1 .LBB102_2657
; %bb.2580:
	s_and_b32 s13, 0xffff, s24
	s_mov_b64 s[14:15], -1
	s_mov_b64 s[6:7], 0
	s_cmp_gt_i32 s13, 25
	s_mov_b64 s[10:11], 0
	s_mov_b64 s[4:5], 0
	s_cbranch_scc0 .LBB102_2613
; %bb.2581:
	s_cmp_gt_i32 s13, 28
	s_cbranch_scc0 .LBB102_2596
; %bb.2582:
	s_cmp_gt_i32 s13, 43
	;; [unrolled: 3-line block ×3, first 2 shown]
	s_cbranch_scc0 .LBB102_2586
; %bb.2584:
	s_mov_b64 s[4:5], -1
	s_mov_b64 s[14:15], 0
	s_cmp_eq_u32 s13, 46
	s_cbranch_scc0 .LBB102_2586
; %bb.2585:
	v_cndmask_b32_e64 v3, 0, 1.0, s[2:3]
	v_bfe_u32 v4, v3, 16, 1
	s_movk_i32 s4, 0x7fff
	v_add3_u32 v3, v3, v4, s4
	v_lshrrev_b32_e32 v3, 16, v3
	global_store_dword v[0:1], v3, off
	s_mov_b64 s[4:5], 0
	s_mov_b64 s[10:11], -1
.LBB102_2586:
	s_and_b64 vcc, exec, s[14:15]
	s_cbranch_vccz .LBB102_2591
; %bb.2587:
	s_cmp_eq_u32 s13, 44
	s_mov_b64 s[4:5], -1
	s_cbranch_scc0 .LBB102_2591
; %bb.2588:
	v_cndmask_b32_e64 v4, 0, 1.0, s[2:3]
	v_lshrrev_b32_e32 v3, 23, v4
	s_movk_i32 s4, 0xff
	v_cmp_ne_u32_e32 vcc, s4, v3
	v_mov_b32_e32 v11, 0xff
	s_and_saveexec_b64 s[10:11], vcc
; %bb.2589:
	s_mov_b32 s4, 0x3fffff
	v_and_b32_e32 v11, 0x400000, v4
	v_and_or_b32 v4, v4, s4, v3
	v_cmp_ne_u32_e32 vcc, 0, v11
	v_cmp_ne_u32_e64 s[4:5], 0, v4
	s_and_b64 s[4:5], vcc, s[4:5]
	v_cndmask_b32_e64 v4, 0, 1, s[4:5]
	v_add_u32_e32 v11, v3, v4
; %bb.2590:
	s_or_b64 exec, exec, s[10:11]
	s_mov_b64 s[4:5], 0
	s_mov_b64 s[10:11], -1
	global_store_byte v[0:1], v11, off
.LBB102_2591:
	s_mov_b64 s[14:15], 0
.LBB102_2592:
	s_and_b64 vcc, exec, s[14:15]
	s_cbranch_vccz .LBB102_2595
; %bb.2593:
	s_cmp_eq_u32 s13, 29
	s_mov_b64 s[4:5], -1
	s_cbranch_scc0 .LBB102_2595
; %bb.2594:
	s_mov_b32 s4, 0
	v_cndmask_b32_e64 v3, 0, 1, s[2:3]
	v_mov_b32_e32 v4, s4
	global_store_dwordx2 v[0:1], v[3:4], off
	s_mov_b64 s[4:5], 0
	s_mov_b64 s[10:11], -1
.LBB102_2595:
	s_mov_b64 s[14:15], 0
.LBB102_2596:
	s_and_b64 vcc, exec, s[14:15]
	s_cbranch_vccz .LBB102_2612
; %bb.2597:
	s_cmp_lt_i32 s13, 27
	s_mov_b64 s[10:11], -1
	s_cbranch_scc1 .LBB102_2603
; %bb.2598:
	s_cmp_gt_i32 s13, 27
	s_cbranch_scc0 .LBB102_2600
; %bb.2599:
	v_cndmask_b32_e64 v3, 0, 1, s[2:3]
	s_mov_b64 s[10:11], 0
	global_store_dword v[0:1], v3, off
.LBB102_2600:
	s_andn2_b64 vcc, exec, s[10:11]
	s_cbranch_vccnz .LBB102_2602
; %bb.2601:
	v_cndmask_b32_e64 v3, 0, 1, s[2:3]
	global_store_short v[0:1], v3, off
.LBB102_2602:
	s_mov_b64 s[10:11], 0
.LBB102_2603:
	s_andn2_b64 vcc, exec, s[10:11]
	s_cbranch_vccnz .LBB102_2611
; %bb.2604:
	v_cndmask_b32_e64 v4, 0, 1.0, s[2:3]
	s_mov_b32 s10, 0x43800000
	v_cmp_gt_u32_e32 vcc, s10, v4
	v_mov_b32_e32 v11, 0x80
	s_and_saveexec_b64 s[10:11], vcc
	s_cbranch_execz .LBB102_2610
; %bb.2605:
	s_mov_b32 s14, 0x3bffffff
	v_cmp_lt_u32_e32 vcc, s14, v4
	s_mov_b64 s[14:15], 0
                                        ; implicit-def: $vgpr3
	s_and_saveexec_b64 s[16:17], vcc
	s_xor_b64 s[16:17], exec, s[16:17]
	s_cbranch_execz .LBB102_3059
; %bb.2606:
	v_bfe_u32 v3, v4, 20, 1
	s_mov_b32 s25, 0x487ffff
	v_add3_u32 v3, v4, v3, s25
	s_mov_b64 s[14:15], exec
	v_lshrrev_b32_e32 v3, 20, v3
                                        ; implicit-def: $vgpr4
	s_andn2_saveexec_b64 s[16:17], s[16:17]
	s_cbranch_execnz .LBB102_3060
.LBB102_2607:
	s_or_b64 exec, exec, s[16:17]
	v_mov_b32_e32 v11, 0
	s_and_saveexec_b64 s[16:17], s[14:15]
.LBB102_2608:
	v_mov_b32_e32 v11, v3
.LBB102_2609:
	s_or_b64 exec, exec, s[16:17]
.LBB102_2610:
	s_or_b64 exec, exec, s[10:11]
	global_store_byte v[0:1], v11, off
.LBB102_2611:
	s_mov_b64 s[10:11], -1
.LBB102_2612:
	s_mov_b64 s[14:15], 0
.LBB102_2613:
	s_and_b64 vcc, exec, s[14:15]
	s_cbranch_vccz .LBB102_2653
; %bb.2614:
	s_cmp_gt_i32 s13, 22
	s_mov_b64 s[6:7], -1
	s_cbranch_scc0 .LBB102_2646
; %bb.2615:
	s_cmp_lt_i32 s13, 24
	s_cbranch_scc1 .LBB102_2635
; %bb.2616:
	s_cmp_gt_i32 s13, 24
	s_cbranch_scc0 .LBB102_2624
; %bb.2617:
	v_cndmask_b32_e64 v4, 0, 1.0, s[2:3]
	s_mov_b32 s6, 0x47800000
	v_cmp_gt_u32_e32 vcc, s6, v4
	v_mov_b32_e32 v11, 0x80
	s_and_saveexec_b64 s[6:7], vcc
	s_cbranch_execz .LBB102_2623
; %bb.2618:
	s_mov_b32 s10, 0x37ffffff
	v_cmp_lt_u32_e32 vcc, s10, v4
	s_mov_b64 s[10:11], 0
                                        ; implicit-def: $vgpr3
	s_and_saveexec_b64 s[14:15], vcc
	s_xor_b64 s[14:15], exec, s[14:15]
	s_cbranch_execz .LBB102_3062
; %bb.2619:
	v_bfe_u32 v3, v4, 21, 1
	s_mov_b32 s16, 0x88fffff
	v_add3_u32 v3, v4, v3, s16
	s_mov_b64 s[10:11], exec
	v_lshrrev_b32_e32 v3, 21, v3
                                        ; implicit-def: $vgpr4
	s_andn2_saveexec_b64 s[14:15], s[14:15]
	s_cbranch_execnz .LBB102_3063
.LBB102_2620:
	s_or_b64 exec, exec, s[14:15]
	v_mov_b32_e32 v11, 0
	s_and_saveexec_b64 s[14:15], s[10:11]
.LBB102_2621:
	v_mov_b32_e32 v11, v3
.LBB102_2622:
	s_or_b64 exec, exec, s[14:15]
.LBB102_2623:
	s_or_b64 exec, exec, s[6:7]
	s_mov_b64 s[6:7], 0
	global_store_byte v[0:1], v11, off
.LBB102_2624:
	s_and_b64 vcc, exec, s[6:7]
	s_cbranch_vccz .LBB102_2634
; %bb.2625:
	v_cndmask_b32_e64 v3, 0, 1.0, s[2:3]
	s_mov_b32 s6, 0x43f00000
	v_cmp_gt_u32_e32 vcc, s6, v3
                                        ; implicit-def: $vgpr4
	s_and_saveexec_b64 s[6:7], vcc
	s_xor_b64 s[6:7], exec, s[6:7]
	s_cbranch_execz .LBB102_2631
; %bb.2626:
	s_mov_b32 s10, 0x3c7fffff
	v_cmp_lt_u32_e32 vcc, s10, v3
                                        ; implicit-def: $vgpr4
	s_and_saveexec_b64 s[10:11], vcc
	s_xor_b64 s[10:11], exec, s[10:11]
; %bb.2627:
	v_bfe_u32 v4, v3, 20, 1
	s_mov_b32 s14, 0x407ffff
	v_add3_u32 v3, v3, v4, s14
	v_lshrrev_b32_e32 v4, 20, v3
	v_and_b32_e32 v3, 0xff00000, v3
	s_mov_b32 s14, 0x7f00000
	v_mov_b32_e32 v11, 0x7e
	v_cmp_ne_u32_e32 vcc, s14, v3
	v_cndmask_b32_e32 v4, v11, v4, vcc
                                        ; implicit-def: $vgpr3
; %bb.2628:
	s_andn2_saveexec_b64 s[10:11], s[10:11]
; %bb.2629:
	v_add_f32_e32 v4, 0x46800000, v3
; %bb.2630:
	s_or_b64 exec, exec, s[10:11]
                                        ; implicit-def: $vgpr3
.LBB102_2631:
	s_andn2_saveexec_b64 s[6:7], s[6:7]
; %bb.2632:
	s_mov_b32 s10, 0x7f800000
	v_mov_b32_e32 v4, 0x7e
	v_mov_b32_e32 v11, 0x7f
	v_cmp_lt_u32_e32 vcc, s10, v3
	v_cndmask_b32_e32 v4, v4, v11, vcc
; %bb.2633:
	s_or_b64 exec, exec, s[6:7]
	global_store_byte v[0:1], v4, off
.LBB102_2634:
	s_mov_b64 s[6:7], 0
.LBB102_2635:
	s_andn2_b64 vcc, exec, s[6:7]
	s_cbranch_vccnz .LBB102_2645
; %bb.2636:
	v_cndmask_b32_e64 v3, 0, 1.0, s[2:3]
	s_mov_b32 s6, 0x47800000
	v_cmp_gt_u32_e32 vcc, s6, v3
                                        ; implicit-def: $vgpr4
	s_and_saveexec_b64 s[6:7], vcc
	s_xor_b64 s[6:7], exec, s[6:7]
	s_cbranch_execz .LBB102_2642
; %bb.2637:
	s_mov_b32 s10, 0x387fffff
	v_cmp_lt_u32_e32 vcc, s10, v3
                                        ; implicit-def: $vgpr4
	s_and_saveexec_b64 s[10:11], vcc
	s_xor_b64 s[10:11], exec, s[10:11]
; %bb.2638:
	v_bfe_u32 v4, v3, 21, 1
	s_mov_b32 s14, 0x80fffff
	v_add3_u32 v3, v3, v4, s14
	v_lshrrev_b32_e32 v4, 21, v3
                                        ; implicit-def: $vgpr3
; %bb.2639:
	s_andn2_saveexec_b64 s[10:11], s[10:11]
; %bb.2640:
	v_add_f32_e32 v4, 0x43000000, v3
; %bb.2641:
	s_or_b64 exec, exec, s[10:11]
                                        ; implicit-def: $vgpr3
.LBB102_2642:
	s_andn2_saveexec_b64 s[6:7], s[6:7]
; %bb.2643:
	s_mov_b32 s10, 0x7f800000
	v_mov_b32_e32 v4, 0x7c
	v_mov_b32_e32 v11, 0x7f
	v_cmp_lt_u32_e32 vcc, s10, v3
	v_cndmask_b32_e32 v4, v4, v11, vcc
; %bb.2644:
	s_or_b64 exec, exec, s[6:7]
	global_store_byte v[0:1], v4, off
.LBB102_2645:
	s_mov_b64 s[6:7], 0
	s_mov_b64 s[10:11], -1
.LBB102_2646:
	s_andn2_b64 vcc, exec, s[6:7]
	s_mov_b64 s[6:7], 0
	s_cbranch_vccnz .LBB102_2653
; %bb.2647:
	s_cmp_gt_i32 s13, 14
	s_mov_b64 s[14:15], -1
	s_cbranch_scc0 .LBB102_2651
; %bb.2648:
	s_cmp_eq_u32 s13, 15
	s_mov_b64 s[4:5], -1
	s_cbranch_scc0 .LBB102_2650
; %bb.2649:
	v_cndmask_b32_e64 v3, 0, 1.0, s[2:3]
	v_bfe_u32 v4, v3, 16, 1
	s_movk_i32 s4, 0x7fff
	v_add3_u32 v3, v3, v4, s4
	global_store_short_d16_hi v[0:1], v3, off
	s_mov_b64 s[4:5], 0
	s_mov_b64 s[10:11], -1
.LBB102_2650:
	s_mov_b64 s[14:15], 0
.LBB102_2651:
	s_and_b64 vcc, exec, s[14:15]
	s_cbranch_vccz .LBB102_2653
; %bb.2652:
	s_cmp_lg_u32 s13, 11
	s_mov_b64 s[6:7], -1
	s_cselect_b64 s[4:5], -1, 0
.LBB102_2653:
	s_and_b64 vcc, exec, s[4:5]
	s_cbranch_vccnz .LBB102_3061
; %bb.2654:
	s_andn2_b64 vcc, exec, s[6:7]
	s_cbranch_vccnz .LBB102_2656
.LBB102_2655:
	v_cndmask_b32_e64 v3, 0, 1, s[2:3]
	s_mov_b64 s[10:11], -1
	global_store_byte v[0:1], v3, off
.LBB102_2656:
	s_mov_b64 s[4:5], 0
	s_branch .LBB102_2658
.LBB102_2657:
	s_mov_b64 s[4:5], -1
	s_mov_b64 s[10:11], 0
.LBB102_2658:
	s_and_b64 vcc, exec, s[4:5]
	s_cbranch_vccz .LBB102_2697
; %bb.2659:
	s_and_b32 s6, 0xffff, s24
	s_cmp_lt_i32 s6, 5
	s_mov_b64 s[4:5], -1
	s_cbranch_scc1 .LBB102_2680
; %bb.2660:
	s_cmp_lt_i32 s6, 8
	s_cbranch_scc1 .LBB102_2670
; %bb.2661:
	s_cmp_lt_i32 s6, 9
	s_cbranch_scc1 .LBB102_2667
; %bb.2662:
	s_cmp_gt_i32 s6, 9
	s_cbranch_scc0 .LBB102_2664
; %bb.2663:
	v_cndmask_b32_e64 v3, 0, 1, s[2:3]
	v_cvt_f64_u32_e32 v[11:12], v3
	v_mov_b32_e32 v13, 0
	v_mov_b32_e32 v14, v13
	s_mov_b64 s[4:5], 0
	global_store_dwordx4 v[0:1], v[11:14], off
.LBB102_2664:
	s_andn2_b64 vcc, exec, s[4:5]
	s_cbranch_vccnz .LBB102_2666
; %bb.2665:
	v_cndmask_b32_e64 v3, 0, 1.0, s[2:3]
	v_mov_b32_e32 v4, 0
	global_store_dwordx2 v[0:1], v[3:4], off
.LBB102_2666:
	s_mov_b64 s[4:5], 0
.LBB102_2667:
	s_andn2_b64 vcc, exec, s[4:5]
	s_cbranch_vccnz .LBB102_2669
; %bb.2668:
	v_cndmask_b32_e64 v3, 0, 1.0, s[2:3]
	v_cvt_f16_f32_e32 v3, v3
	global_store_dword v[0:1], v3, off
.LBB102_2669:
	s_mov_b64 s[4:5], 0
.LBB102_2670:
	s_andn2_b64 vcc, exec, s[4:5]
	s_cbranch_vccnz .LBB102_2679
; %bb.2671:
	s_cmp_lt_i32 s6, 6
	s_mov_b64 s[4:5], -1
	s_cbranch_scc1 .LBB102_2677
; %bb.2672:
	s_cmp_gt_i32 s6, 6
	s_cbranch_scc0 .LBB102_2674
; %bb.2673:
	v_cndmask_b32_e64 v3, 0, 1, s[2:3]
	v_cvt_f64_u32_e32 v[3:4], v3
	s_mov_b64 s[4:5], 0
	global_store_dwordx2 v[0:1], v[3:4], off
.LBB102_2674:
	s_andn2_b64 vcc, exec, s[4:5]
	s_cbranch_vccnz .LBB102_2676
; %bb.2675:
	v_cndmask_b32_e64 v3, 0, 1.0, s[2:3]
	global_store_dword v[0:1], v3, off
.LBB102_2676:
	s_mov_b64 s[4:5], 0
.LBB102_2677:
	s_andn2_b64 vcc, exec, s[4:5]
	s_cbranch_vccnz .LBB102_2679
; %bb.2678:
	v_cndmask_b32_e64 v3, 0, 1.0, s[2:3]
	v_cvt_f16_f32_e32 v3, v3
	global_store_short v[0:1], v3, off
.LBB102_2679:
	s_mov_b64 s[4:5], 0
.LBB102_2680:
	s_andn2_b64 vcc, exec, s[4:5]
	s_cbranch_vccnz .LBB102_2696
; %bb.2681:
	s_cmp_lt_i32 s6, 2
	s_mov_b64 s[4:5], -1
	s_cbranch_scc1 .LBB102_2691
; %bb.2682:
	s_cmp_lt_i32 s6, 3
	s_cbranch_scc1 .LBB102_2688
; %bb.2683:
	s_cmp_gt_i32 s6, 3
	s_cbranch_scc0 .LBB102_2685
; %bb.2684:
	s_mov_b32 s4, 0
	v_cndmask_b32_e64 v3, 0, 1, s[2:3]
	v_mov_b32_e32 v4, s4
	global_store_dwordx2 v[0:1], v[3:4], off
	s_mov_b64 s[4:5], 0
.LBB102_2685:
	s_andn2_b64 vcc, exec, s[4:5]
	s_cbranch_vccnz .LBB102_2687
; %bb.2686:
	v_cndmask_b32_e64 v3, 0, 1, s[2:3]
	global_store_dword v[0:1], v3, off
.LBB102_2687:
	s_mov_b64 s[4:5], 0
.LBB102_2688:
	s_andn2_b64 vcc, exec, s[4:5]
	s_cbranch_vccnz .LBB102_2690
; %bb.2689:
	v_cndmask_b32_e64 v3, 0, 1, s[2:3]
	global_store_short v[0:1], v3, off
.LBB102_2690:
	s_mov_b64 s[4:5], 0
.LBB102_2691:
	s_andn2_b64 vcc, exec, s[4:5]
	s_cbranch_vccnz .LBB102_2696
; %bb.2692:
	s_mov_b64 s[4:5], -1
	s_cmp_gt_i32 s6, 0
	v_cndmask_b32_e64 v3, 0, 1, s[2:3]
	s_cbranch_scc0 .LBB102_2694
; %bb.2693:
	global_store_byte v[0:1], v3, off
	s_mov_b64 s[4:5], 0
.LBB102_2694:
	s_andn2_b64 vcc, exec, s[4:5]
	s_cbranch_vccnz .LBB102_2696
; %bb.2695:
	global_store_byte v[0:1], v3, off
.LBB102_2696:
	s_mov_b64 s[10:11], -1
.LBB102_2697:
	s_andn2_b64 vcc, exec, s[10:11]
	s_cbranch_vccnz .LBB102_3012
; %bb.2698:
	v_cmp_eq_f32_e32 vcc, v5, v6
	v_cndmask_b32_e64 v0, 0, 1, vcc
	v_cmp_neq_f32_e32 vcc, v5, v6
	v_cndmask_b32_e64 v1, 0, 1, vcc
	v_cndmask_b32_e64 v0, v1, v0, s[0:1]
	s_lshl_b32 s16, s12, 7
	v_and_b32_e32 v0, 1, v0
	v_add_u32_e32 v2, s16, v2
	v_cmp_eq_u32_e64 s[2:3], 1, v0
	v_ashrrev_i32_e32 v1, 31, v2
	v_mov_b32_e32 v3, s9
	v_add_co_u32_e32 v0, vcc, s8, v2
	s_cmp_lt_i32 s24, 11
	v_addc_co_u32_e32 v1, vcc, v3, v1, vcc
	s_cbranch_scc1 .LBB102_2776
; %bb.2699:
	s_and_b32 s17, 0xffff, s24
	s_mov_b64 s[12:13], -1
	s_mov_b64 s[6:7], 0
	s_cmp_gt_i32 s17, 25
	s_mov_b64 s[10:11], 0
	s_mov_b64 s[4:5], 0
	s_cbranch_scc0 .LBB102_2732
; %bb.2700:
	s_cmp_gt_i32 s17, 28
	s_cbranch_scc0 .LBB102_2715
; %bb.2701:
	s_cmp_gt_i32 s17, 43
	;; [unrolled: 3-line block ×3, first 2 shown]
	s_cbranch_scc0 .LBB102_2705
; %bb.2703:
	s_mov_b64 s[4:5], -1
	s_mov_b64 s[12:13], 0
	s_cmp_eq_u32 s17, 46
	s_cbranch_scc0 .LBB102_2705
; %bb.2704:
	v_cndmask_b32_e64 v3, 0, 1.0, s[2:3]
	v_bfe_u32 v4, v3, 16, 1
	s_movk_i32 s4, 0x7fff
	v_add3_u32 v3, v3, v4, s4
	v_lshrrev_b32_e32 v3, 16, v3
	global_store_dword v[0:1], v3, off
	s_mov_b64 s[4:5], 0
	s_mov_b64 s[10:11], -1
.LBB102_2705:
	s_and_b64 vcc, exec, s[12:13]
	s_cbranch_vccz .LBB102_2710
; %bb.2706:
	s_cmp_eq_u32 s17, 44
	s_mov_b64 s[4:5], -1
	s_cbranch_scc0 .LBB102_2710
; %bb.2707:
	v_cndmask_b32_e64 v4, 0, 1.0, s[2:3]
	v_lshrrev_b32_e32 v3, 23, v4
	s_movk_i32 s4, 0xff
	v_cmp_ne_u32_e32 vcc, s4, v3
	v_mov_b32_e32 v5, 0xff
	s_and_saveexec_b64 s[10:11], vcc
; %bb.2708:
	s_mov_b32 s4, 0x3fffff
	v_and_b32_e32 v5, 0x400000, v4
	v_and_or_b32 v4, v4, s4, v3
	v_cmp_ne_u32_e32 vcc, 0, v5
	v_cmp_ne_u32_e64 s[4:5], 0, v4
	s_and_b64 s[4:5], vcc, s[4:5]
	v_cndmask_b32_e64 v4, 0, 1, s[4:5]
	v_add_u32_e32 v5, v3, v4
; %bb.2709:
	s_or_b64 exec, exec, s[10:11]
	s_mov_b64 s[4:5], 0
	s_mov_b64 s[10:11], -1
	global_store_byte v[0:1], v5, off
.LBB102_2710:
	s_mov_b64 s[12:13], 0
.LBB102_2711:
	s_and_b64 vcc, exec, s[12:13]
	s_cbranch_vccz .LBB102_2714
; %bb.2712:
	s_cmp_eq_u32 s17, 29
	s_mov_b64 s[4:5], -1
	s_cbranch_scc0 .LBB102_2714
; %bb.2713:
	s_mov_b32 s4, 0
	v_cndmask_b32_e64 v3, 0, 1, s[2:3]
	v_mov_b32_e32 v4, s4
	global_store_dwordx2 v[0:1], v[3:4], off
	s_mov_b64 s[4:5], 0
	s_mov_b64 s[10:11], -1
.LBB102_2714:
	s_mov_b64 s[12:13], 0
.LBB102_2715:
	s_and_b64 vcc, exec, s[12:13]
	s_cbranch_vccz .LBB102_2731
; %bb.2716:
	s_cmp_lt_i32 s17, 27
	s_mov_b64 s[10:11], -1
	s_cbranch_scc1 .LBB102_2722
; %bb.2717:
	s_cmp_gt_i32 s17, 27
	s_cbranch_scc0 .LBB102_2719
; %bb.2718:
	v_cndmask_b32_e64 v3, 0, 1, s[2:3]
	s_mov_b64 s[10:11], 0
	global_store_dword v[0:1], v3, off
.LBB102_2719:
	s_andn2_b64 vcc, exec, s[10:11]
	s_cbranch_vccnz .LBB102_2721
; %bb.2720:
	v_cndmask_b32_e64 v3, 0, 1, s[2:3]
	global_store_short v[0:1], v3, off
.LBB102_2721:
	s_mov_b64 s[10:11], 0
.LBB102_2722:
	s_andn2_b64 vcc, exec, s[10:11]
	s_cbranch_vccnz .LBB102_2730
; %bb.2723:
	v_cndmask_b32_e64 v4, 0, 1.0, s[2:3]
	s_mov_b32 s10, 0x43800000
	v_cmp_gt_u32_e32 vcc, s10, v4
	v_mov_b32_e32 v5, 0x80
	s_and_saveexec_b64 s[10:11], vcc
	s_cbranch_execz .LBB102_2729
; %bb.2724:
	s_mov_b32 s12, 0x3bffffff
	v_cmp_lt_u32_e32 vcc, s12, v4
	s_mov_b64 s[12:13], 0
                                        ; implicit-def: $vgpr3
	s_and_saveexec_b64 s[14:15], vcc
	s_xor_b64 s[14:15], exec, s[14:15]
	s_cbranch_execz .LBB102_3064
; %bb.2725:
	v_bfe_u32 v3, v4, 20, 1
	s_mov_b32 s25, 0x487ffff
	v_add3_u32 v3, v4, v3, s25
	s_mov_b64 s[12:13], exec
	v_lshrrev_b32_e32 v3, 20, v3
                                        ; implicit-def: $vgpr4
	s_andn2_saveexec_b64 s[14:15], s[14:15]
	s_cbranch_execnz .LBB102_3065
.LBB102_2726:
	s_or_b64 exec, exec, s[14:15]
	v_mov_b32_e32 v5, 0
	s_and_saveexec_b64 s[14:15], s[12:13]
.LBB102_2727:
	v_mov_b32_e32 v5, v3
.LBB102_2728:
	s_or_b64 exec, exec, s[14:15]
.LBB102_2729:
	s_or_b64 exec, exec, s[10:11]
	global_store_byte v[0:1], v5, off
.LBB102_2730:
	s_mov_b64 s[10:11], -1
.LBB102_2731:
	s_mov_b64 s[12:13], 0
.LBB102_2732:
	s_and_b64 vcc, exec, s[12:13]
	s_cbranch_vccz .LBB102_2772
; %bb.2733:
	s_cmp_gt_i32 s17, 22
	s_mov_b64 s[6:7], -1
	s_cbranch_scc0 .LBB102_2765
; %bb.2734:
	s_cmp_lt_i32 s17, 24
	s_cbranch_scc1 .LBB102_2754
; %bb.2735:
	s_cmp_gt_i32 s17, 24
	s_cbranch_scc0 .LBB102_2743
; %bb.2736:
	v_cndmask_b32_e64 v4, 0, 1.0, s[2:3]
	s_mov_b32 s6, 0x47800000
	v_cmp_gt_u32_e32 vcc, s6, v4
	v_mov_b32_e32 v5, 0x80
	s_and_saveexec_b64 s[6:7], vcc
	s_cbranch_execz .LBB102_2742
; %bb.2737:
	s_mov_b32 s10, 0x37ffffff
	v_cmp_lt_u32_e32 vcc, s10, v4
	s_mov_b64 s[10:11], 0
                                        ; implicit-def: $vgpr3
	s_and_saveexec_b64 s[12:13], vcc
	s_xor_b64 s[12:13], exec, s[12:13]
	s_cbranch_execz .LBB102_3067
; %bb.2738:
	v_bfe_u32 v3, v4, 21, 1
	s_mov_b32 s14, 0x88fffff
	v_add3_u32 v3, v4, v3, s14
	s_mov_b64 s[10:11], exec
	v_lshrrev_b32_e32 v3, 21, v3
                                        ; implicit-def: $vgpr4
	s_andn2_saveexec_b64 s[12:13], s[12:13]
	s_cbranch_execnz .LBB102_3068
.LBB102_2739:
	s_or_b64 exec, exec, s[12:13]
	v_mov_b32_e32 v5, 0
	s_and_saveexec_b64 s[12:13], s[10:11]
.LBB102_2740:
	v_mov_b32_e32 v5, v3
.LBB102_2741:
	s_or_b64 exec, exec, s[12:13]
.LBB102_2742:
	s_or_b64 exec, exec, s[6:7]
	s_mov_b64 s[6:7], 0
	global_store_byte v[0:1], v5, off
.LBB102_2743:
	s_and_b64 vcc, exec, s[6:7]
	s_cbranch_vccz .LBB102_2753
; %bb.2744:
	v_cndmask_b32_e64 v3, 0, 1.0, s[2:3]
	s_mov_b32 s6, 0x43f00000
	v_cmp_gt_u32_e32 vcc, s6, v3
                                        ; implicit-def: $vgpr4
	s_and_saveexec_b64 s[6:7], vcc
	s_xor_b64 s[6:7], exec, s[6:7]
	s_cbranch_execz .LBB102_2750
; %bb.2745:
	s_mov_b32 s10, 0x3c7fffff
	v_cmp_lt_u32_e32 vcc, s10, v3
                                        ; implicit-def: $vgpr4
	s_and_saveexec_b64 s[10:11], vcc
	s_xor_b64 s[10:11], exec, s[10:11]
; %bb.2746:
	v_bfe_u32 v4, v3, 20, 1
	s_mov_b32 s12, 0x407ffff
	v_add3_u32 v3, v3, v4, s12
	v_lshrrev_b32_e32 v4, 20, v3
	v_and_b32_e32 v3, 0xff00000, v3
	s_mov_b32 s12, 0x7f00000
	v_mov_b32_e32 v5, 0x7e
	v_cmp_ne_u32_e32 vcc, s12, v3
	v_cndmask_b32_e32 v4, v5, v4, vcc
                                        ; implicit-def: $vgpr3
; %bb.2747:
	s_andn2_saveexec_b64 s[10:11], s[10:11]
; %bb.2748:
	v_add_f32_e32 v4, 0x46800000, v3
; %bb.2749:
	s_or_b64 exec, exec, s[10:11]
                                        ; implicit-def: $vgpr3
.LBB102_2750:
	s_andn2_saveexec_b64 s[6:7], s[6:7]
; %bb.2751:
	s_mov_b32 s10, 0x7f800000
	v_mov_b32_e32 v4, 0x7e
	v_mov_b32_e32 v5, 0x7f
	v_cmp_lt_u32_e32 vcc, s10, v3
	v_cndmask_b32_e32 v4, v4, v5, vcc
; %bb.2752:
	s_or_b64 exec, exec, s[6:7]
	global_store_byte v[0:1], v4, off
.LBB102_2753:
	s_mov_b64 s[6:7], 0
.LBB102_2754:
	s_andn2_b64 vcc, exec, s[6:7]
	s_cbranch_vccnz .LBB102_2764
; %bb.2755:
	v_cndmask_b32_e64 v3, 0, 1.0, s[2:3]
	s_mov_b32 s6, 0x47800000
	v_cmp_gt_u32_e32 vcc, s6, v3
                                        ; implicit-def: $vgpr4
	s_and_saveexec_b64 s[6:7], vcc
	s_xor_b64 s[6:7], exec, s[6:7]
	s_cbranch_execz .LBB102_2761
; %bb.2756:
	s_mov_b32 s10, 0x387fffff
	v_cmp_lt_u32_e32 vcc, s10, v3
                                        ; implicit-def: $vgpr4
	s_and_saveexec_b64 s[10:11], vcc
	s_xor_b64 s[10:11], exec, s[10:11]
; %bb.2757:
	v_bfe_u32 v4, v3, 21, 1
	s_mov_b32 s12, 0x80fffff
	v_add3_u32 v3, v3, v4, s12
	v_lshrrev_b32_e32 v4, 21, v3
                                        ; implicit-def: $vgpr3
; %bb.2758:
	s_andn2_saveexec_b64 s[10:11], s[10:11]
; %bb.2759:
	v_add_f32_e32 v4, 0x43000000, v3
; %bb.2760:
	s_or_b64 exec, exec, s[10:11]
                                        ; implicit-def: $vgpr3
.LBB102_2761:
	s_andn2_saveexec_b64 s[6:7], s[6:7]
; %bb.2762:
	s_mov_b32 s10, 0x7f800000
	v_mov_b32_e32 v4, 0x7c
	v_mov_b32_e32 v5, 0x7f
	v_cmp_lt_u32_e32 vcc, s10, v3
	v_cndmask_b32_e32 v4, v4, v5, vcc
; %bb.2763:
	s_or_b64 exec, exec, s[6:7]
	global_store_byte v[0:1], v4, off
.LBB102_2764:
	s_mov_b64 s[6:7], 0
	s_mov_b64 s[10:11], -1
.LBB102_2765:
	s_andn2_b64 vcc, exec, s[6:7]
	s_mov_b64 s[6:7], 0
	s_cbranch_vccnz .LBB102_2772
; %bb.2766:
	s_cmp_gt_i32 s17, 14
	s_mov_b64 s[12:13], -1
	s_cbranch_scc0 .LBB102_2770
; %bb.2767:
	s_cmp_eq_u32 s17, 15
	s_mov_b64 s[4:5], -1
	s_cbranch_scc0 .LBB102_2769
; %bb.2768:
	v_cndmask_b32_e64 v3, 0, 1.0, s[2:3]
	v_bfe_u32 v4, v3, 16, 1
	s_movk_i32 s4, 0x7fff
	v_add3_u32 v3, v3, v4, s4
	global_store_short_d16_hi v[0:1], v3, off
	s_mov_b64 s[4:5], 0
	s_mov_b64 s[10:11], -1
.LBB102_2769:
	s_mov_b64 s[12:13], 0
.LBB102_2770:
	s_and_b64 vcc, exec, s[12:13]
	s_cbranch_vccz .LBB102_2772
; %bb.2771:
	s_cmp_lg_u32 s17, 11
	s_mov_b64 s[6:7], -1
	s_cselect_b64 s[4:5], -1, 0
.LBB102_2772:
	s_and_b64 vcc, exec, s[4:5]
	s_cbranch_vccnz .LBB102_3066
; %bb.2773:
	s_andn2_b64 vcc, exec, s[6:7]
	s_cbranch_vccnz .LBB102_2775
.LBB102_2774:
	v_cndmask_b32_e64 v3, 0, 1, s[2:3]
	s_mov_b64 s[10:11], -1
	global_store_byte v[0:1], v3, off
.LBB102_2775:
	s_mov_b64 s[4:5], 0
	s_branch .LBB102_2777
.LBB102_2776:
	s_mov_b64 s[4:5], -1
	s_mov_b64 s[10:11], 0
.LBB102_2777:
	s_and_b64 vcc, exec, s[4:5]
	s_cbranch_vccz .LBB102_2816
; %bb.2778:
	s_and_b32 s6, 0xffff, s24
	s_cmp_lt_i32 s6, 5
	s_mov_b64 s[4:5], -1
	s_cbranch_scc1 .LBB102_2799
; %bb.2779:
	s_cmp_lt_i32 s6, 8
	s_cbranch_scc1 .LBB102_2789
; %bb.2780:
	s_cmp_lt_i32 s6, 9
	s_cbranch_scc1 .LBB102_2786
; %bb.2781:
	s_cmp_gt_i32 s6, 9
	s_cbranch_scc0 .LBB102_2783
; %bb.2782:
	v_cndmask_b32_e64 v3, 0, 1, s[2:3]
	v_cvt_f64_u32_e32 v[3:4], v3
	v_mov_b32_e32 v5, 0
	v_mov_b32_e32 v6, v5
	s_mov_b64 s[4:5], 0
	global_store_dwordx4 v[0:1], v[3:6], off
.LBB102_2783:
	s_andn2_b64 vcc, exec, s[4:5]
	s_cbranch_vccnz .LBB102_2785
; %bb.2784:
	v_cndmask_b32_e64 v3, 0, 1.0, s[2:3]
	v_mov_b32_e32 v4, 0
	global_store_dwordx2 v[0:1], v[3:4], off
.LBB102_2785:
	s_mov_b64 s[4:5], 0
.LBB102_2786:
	s_andn2_b64 vcc, exec, s[4:5]
	s_cbranch_vccnz .LBB102_2788
; %bb.2787:
	v_cndmask_b32_e64 v3, 0, 1.0, s[2:3]
	v_cvt_f16_f32_e32 v3, v3
	global_store_dword v[0:1], v3, off
.LBB102_2788:
	s_mov_b64 s[4:5], 0
.LBB102_2789:
	s_andn2_b64 vcc, exec, s[4:5]
	s_cbranch_vccnz .LBB102_2798
; %bb.2790:
	s_cmp_lt_i32 s6, 6
	s_mov_b64 s[4:5], -1
	s_cbranch_scc1 .LBB102_2796
; %bb.2791:
	s_cmp_gt_i32 s6, 6
	s_cbranch_scc0 .LBB102_2793
; %bb.2792:
	v_cndmask_b32_e64 v3, 0, 1, s[2:3]
	v_cvt_f64_u32_e32 v[3:4], v3
	s_mov_b64 s[4:5], 0
	global_store_dwordx2 v[0:1], v[3:4], off
.LBB102_2793:
	s_andn2_b64 vcc, exec, s[4:5]
	s_cbranch_vccnz .LBB102_2795
; %bb.2794:
	v_cndmask_b32_e64 v3, 0, 1.0, s[2:3]
	global_store_dword v[0:1], v3, off
.LBB102_2795:
	s_mov_b64 s[4:5], 0
.LBB102_2796:
	s_andn2_b64 vcc, exec, s[4:5]
	s_cbranch_vccnz .LBB102_2798
; %bb.2797:
	v_cndmask_b32_e64 v3, 0, 1.0, s[2:3]
	v_cvt_f16_f32_e32 v3, v3
	global_store_short v[0:1], v3, off
.LBB102_2798:
	s_mov_b64 s[4:5], 0
.LBB102_2799:
	s_andn2_b64 vcc, exec, s[4:5]
	s_cbranch_vccnz .LBB102_2815
; %bb.2800:
	s_cmp_lt_i32 s6, 2
	s_mov_b64 s[4:5], -1
	s_cbranch_scc1 .LBB102_2810
; %bb.2801:
	s_cmp_lt_i32 s6, 3
	s_cbranch_scc1 .LBB102_2807
; %bb.2802:
	s_cmp_gt_i32 s6, 3
	s_cbranch_scc0 .LBB102_2804
; %bb.2803:
	s_mov_b32 s4, 0
	v_cndmask_b32_e64 v3, 0, 1, s[2:3]
	v_mov_b32_e32 v4, s4
	global_store_dwordx2 v[0:1], v[3:4], off
	s_mov_b64 s[4:5], 0
.LBB102_2804:
	s_andn2_b64 vcc, exec, s[4:5]
	s_cbranch_vccnz .LBB102_2806
; %bb.2805:
	v_cndmask_b32_e64 v3, 0, 1, s[2:3]
	global_store_dword v[0:1], v3, off
.LBB102_2806:
	s_mov_b64 s[4:5], 0
.LBB102_2807:
	s_andn2_b64 vcc, exec, s[4:5]
	s_cbranch_vccnz .LBB102_2809
; %bb.2808:
	v_cndmask_b32_e64 v3, 0, 1, s[2:3]
	global_store_short v[0:1], v3, off
.LBB102_2809:
	s_mov_b64 s[4:5], 0
.LBB102_2810:
	s_andn2_b64 vcc, exec, s[4:5]
	s_cbranch_vccnz .LBB102_2815
; %bb.2811:
	s_mov_b64 s[4:5], -1
	s_cmp_gt_i32 s6, 0
	v_cndmask_b32_e64 v3, 0, 1, s[2:3]
	s_cbranch_scc0 .LBB102_2813
; %bb.2812:
	global_store_byte v[0:1], v3, off
	s_mov_b64 s[4:5], 0
.LBB102_2813:
	s_andn2_b64 vcc, exec, s[4:5]
	s_cbranch_vccnz .LBB102_2815
; %bb.2814:
	global_store_byte v[0:1], v3, off
.LBB102_2815:
	s_mov_b64 s[10:11], -1
.LBB102_2816:
	s_andn2_b64 vcc, exec, s[10:11]
	s_cbranch_vccnz .LBB102_3012
; %bb.2817:
	v_cmp_eq_f32_e32 vcc, v7, v8
	v_cndmask_b32_e64 v0, 0, 1, vcc
	v_cmp_neq_f32_e32 vcc, v7, v8
	v_cndmask_b32_e64 v1, 0, 1, vcc
	v_cndmask_b32_e64 v0, v1, v0, s[0:1]
	v_and_b32_e32 v0, 1, v0
	v_add_u32_e32 v2, s16, v2
	v_cmp_eq_u32_e64 s[2:3], 1, v0
	v_ashrrev_i32_e32 v1, 31, v2
	v_mov_b32_e32 v3, s9
	v_add_co_u32_e32 v0, vcc, s8, v2
	s_cmp_lt_i32 s24, 11
	v_addc_co_u32_e32 v1, vcc, v3, v1, vcc
	s_cbranch_scc1 .LBB102_2895
; %bb.2818:
	s_and_b32 s17, 0xffff, s24
	s_mov_b64 s[12:13], -1
	s_mov_b64 s[6:7], 0
	s_cmp_gt_i32 s17, 25
	s_mov_b64 s[10:11], 0
	s_mov_b64 s[4:5], 0
	s_cbranch_scc0 .LBB102_2851
; %bb.2819:
	s_cmp_gt_i32 s17, 28
	s_cbranch_scc0 .LBB102_2834
; %bb.2820:
	s_cmp_gt_i32 s17, 43
	;; [unrolled: 3-line block ×3, first 2 shown]
	s_cbranch_scc0 .LBB102_2824
; %bb.2822:
	s_mov_b64 s[4:5], -1
	s_mov_b64 s[12:13], 0
	s_cmp_eq_u32 s17, 46
	s_cbranch_scc0 .LBB102_2824
; %bb.2823:
	v_cndmask_b32_e64 v3, 0, 1.0, s[2:3]
	v_bfe_u32 v4, v3, 16, 1
	s_movk_i32 s4, 0x7fff
	v_add3_u32 v3, v3, v4, s4
	v_lshrrev_b32_e32 v3, 16, v3
	global_store_dword v[0:1], v3, off
	s_mov_b64 s[4:5], 0
	s_mov_b64 s[10:11], -1
.LBB102_2824:
	s_and_b64 vcc, exec, s[12:13]
	s_cbranch_vccz .LBB102_2829
; %bb.2825:
	s_cmp_eq_u32 s17, 44
	s_mov_b64 s[4:5], -1
	s_cbranch_scc0 .LBB102_2829
; %bb.2826:
	v_cndmask_b32_e64 v4, 0, 1.0, s[2:3]
	v_lshrrev_b32_e32 v3, 23, v4
	s_movk_i32 s4, 0xff
	v_cmp_ne_u32_e32 vcc, s4, v3
	v_mov_b32_e32 v5, 0xff
	s_and_saveexec_b64 s[10:11], vcc
; %bb.2827:
	s_mov_b32 s4, 0x3fffff
	v_and_b32_e32 v5, 0x400000, v4
	v_and_or_b32 v4, v4, s4, v3
	v_cmp_ne_u32_e32 vcc, 0, v5
	v_cmp_ne_u32_e64 s[4:5], 0, v4
	s_and_b64 s[4:5], vcc, s[4:5]
	v_cndmask_b32_e64 v4, 0, 1, s[4:5]
	v_add_u32_e32 v5, v3, v4
; %bb.2828:
	s_or_b64 exec, exec, s[10:11]
	s_mov_b64 s[4:5], 0
	s_mov_b64 s[10:11], -1
	global_store_byte v[0:1], v5, off
.LBB102_2829:
	s_mov_b64 s[12:13], 0
.LBB102_2830:
	s_and_b64 vcc, exec, s[12:13]
	s_cbranch_vccz .LBB102_2833
; %bb.2831:
	s_cmp_eq_u32 s17, 29
	s_mov_b64 s[4:5], -1
	s_cbranch_scc0 .LBB102_2833
; %bb.2832:
	s_mov_b32 s4, 0
	v_cndmask_b32_e64 v3, 0, 1, s[2:3]
	v_mov_b32_e32 v4, s4
	global_store_dwordx2 v[0:1], v[3:4], off
	s_mov_b64 s[4:5], 0
	s_mov_b64 s[10:11], -1
.LBB102_2833:
	s_mov_b64 s[12:13], 0
.LBB102_2834:
	s_and_b64 vcc, exec, s[12:13]
	s_cbranch_vccz .LBB102_2850
; %bb.2835:
	s_cmp_lt_i32 s17, 27
	s_mov_b64 s[10:11], -1
	s_cbranch_scc1 .LBB102_2841
; %bb.2836:
	s_cmp_gt_i32 s17, 27
	s_cbranch_scc0 .LBB102_2838
; %bb.2837:
	v_cndmask_b32_e64 v3, 0, 1, s[2:3]
	s_mov_b64 s[10:11], 0
	global_store_dword v[0:1], v3, off
.LBB102_2838:
	s_andn2_b64 vcc, exec, s[10:11]
	s_cbranch_vccnz .LBB102_2840
; %bb.2839:
	v_cndmask_b32_e64 v3, 0, 1, s[2:3]
	global_store_short v[0:1], v3, off
.LBB102_2840:
	s_mov_b64 s[10:11], 0
.LBB102_2841:
	s_andn2_b64 vcc, exec, s[10:11]
	s_cbranch_vccnz .LBB102_2849
; %bb.2842:
	v_cndmask_b32_e64 v4, 0, 1.0, s[2:3]
	s_mov_b32 s10, 0x43800000
	v_cmp_gt_u32_e32 vcc, s10, v4
	v_mov_b32_e32 v5, 0x80
	s_and_saveexec_b64 s[10:11], vcc
	s_cbranch_execz .LBB102_2848
; %bb.2843:
	s_mov_b32 s12, 0x3bffffff
	v_cmp_lt_u32_e32 vcc, s12, v4
	s_mov_b64 s[12:13], 0
                                        ; implicit-def: $vgpr3
	s_and_saveexec_b64 s[14:15], vcc
	s_xor_b64 s[14:15], exec, s[14:15]
	s_cbranch_execz .LBB102_3069
; %bb.2844:
	v_bfe_u32 v3, v4, 20, 1
	s_mov_b32 s25, 0x487ffff
	v_add3_u32 v3, v4, v3, s25
	s_mov_b64 s[12:13], exec
	v_lshrrev_b32_e32 v3, 20, v3
                                        ; implicit-def: $vgpr4
	s_andn2_saveexec_b64 s[14:15], s[14:15]
	s_cbranch_execnz .LBB102_3070
.LBB102_2845:
	s_or_b64 exec, exec, s[14:15]
	v_mov_b32_e32 v5, 0
	s_and_saveexec_b64 s[14:15], s[12:13]
.LBB102_2846:
	v_mov_b32_e32 v5, v3
.LBB102_2847:
	s_or_b64 exec, exec, s[14:15]
.LBB102_2848:
	s_or_b64 exec, exec, s[10:11]
	global_store_byte v[0:1], v5, off
.LBB102_2849:
	s_mov_b64 s[10:11], -1
.LBB102_2850:
	s_mov_b64 s[12:13], 0
.LBB102_2851:
	s_and_b64 vcc, exec, s[12:13]
	s_cbranch_vccz .LBB102_2891
; %bb.2852:
	s_cmp_gt_i32 s17, 22
	s_mov_b64 s[6:7], -1
	s_cbranch_scc0 .LBB102_2884
; %bb.2853:
	s_cmp_lt_i32 s17, 24
	s_cbranch_scc1 .LBB102_2873
; %bb.2854:
	s_cmp_gt_i32 s17, 24
	s_cbranch_scc0 .LBB102_2862
; %bb.2855:
	v_cndmask_b32_e64 v4, 0, 1.0, s[2:3]
	s_mov_b32 s6, 0x47800000
	v_cmp_gt_u32_e32 vcc, s6, v4
	v_mov_b32_e32 v5, 0x80
	s_and_saveexec_b64 s[6:7], vcc
	s_cbranch_execz .LBB102_2861
; %bb.2856:
	s_mov_b32 s10, 0x37ffffff
	v_cmp_lt_u32_e32 vcc, s10, v4
	s_mov_b64 s[10:11], 0
                                        ; implicit-def: $vgpr3
	s_and_saveexec_b64 s[12:13], vcc
	s_xor_b64 s[12:13], exec, s[12:13]
	s_cbranch_execz .LBB102_3072
; %bb.2857:
	v_bfe_u32 v3, v4, 21, 1
	s_mov_b32 s14, 0x88fffff
	v_add3_u32 v3, v4, v3, s14
	s_mov_b64 s[10:11], exec
	v_lshrrev_b32_e32 v3, 21, v3
                                        ; implicit-def: $vgpr4
	s_andn2_saveexec_b64 s[12:13], s[12:13]
	s_cbranch_execnz .LBB102_3073
.LBB102_2858:
	s_or_b64 exec, exec, s[12:13]
	v_mov_b32_e32 v5, 0
	s_and_saveexec_b64 s[12:13], s[10:11]
.LBB102_2859:
	v_mov_b32_e32 v5, v3
.LBB102_2860:
	s_or_b64 exec, exec, s[12:13]
.LBB102_2861:
	s_or_b64 exec, exec, s[6:7]
	s_mov_b64 s[6:7], 0
	global_store_byte v[0:1], v5, off
.LBB102_2862:
	s_and_b64 vcc, exec, s[6:7]
	s_cbranch_vccz .LBB102_2872
; %bb.2863:
	v_cndmask_b32_e64 v3, 0, 1.0, s[2:3]
	s_mov_b32 s6, 0x43f00000
	v_cmp_gt_u32_e32 vcc, s6, v3
                                        ; implicit-def: $vgpr4
	s_and_saveexec_b64 s[6:7], vcc
	s_xor_b64 s[6:7], exec, s[6:7]
	s_cbranch_execz .LBB102_2869
; %bb.2864:
	s_mov_b32 s10, 0x3c7fffff
	v_cmp_lt_u32_e32 vcc, s10, v3
                                        ; implicit-def: $vgpr4
	s_and_saveexec_b64 s[10:11], vcc
	s_xor_b64 s[10:11], exec, s[10:11]
; %bb.2865:
	v_bfe_u32 v4, v3, 20, 1
	s_mov_b32 s12, 0x407ffff
	v_add3_u32 v3, v3, v4, s12
	v_lshrrev_b32_e32 v4, 20, v3
	v_and_b32_e32 v3, 0xff00000, v3
	s_mov_b32 s12, 0x7f00000
	v_mov_b32_e32 v5, 0x7e
	v_cmp_ne_u32_e32 vcc, s12, v3
	v_cndmask_b32_e32 v4, v5, v4, vcc
                                        ; implicit-def: $vgpr3
; %bb.2866:
	s_andn2_saveexec_b64 s[10:11], s[10:11]
; %bb.2867:
	v_add_f32_e32 v4, 0x46800000, v3
; %bb.2868:
	s_or_b64 exec, exec, s[10:11]
                                        ; implicit-def: $vgpr3
.LBB102_2869:
	s_andn2_saveexec_b64 s[6:7], s[6:7]
; %bb.2870:
	s_mov_b32 s10, 0x7f800000
	v_mov_b32_e32 v4, 0x7e
	v_mov_b32_e32 v5, 0x7f
	v_cmp_lt_u32_e32 vcc, s10, v3
	v_cndmask_b32_e32 v4, v4, v5, vcc
; %bb.2871:
	s_or_b64 exec, exec, s[6:7]
	global_store_byte v[0:1], v4, off
.LBB102_2872:
	s_mov_b64 s[6:7], 0
.LBB102_2873:
	s_andn2_b64 vcc, exec, s[6:7]
	s_cbranch_vccnz .LBB102_2883
; %bb.2874:
	v_cndmask_b32_e64 v3, 0, 1.0, s[2:3]
	s_mov_b32 s6, 0x47800000
	v_cmp_gt_u32_e32 vcc, s6, v3
                                        ; implicit-def: $vgpr4
	s_and_saveexec_b64 s[6:7], vcc
	s_xor_b64 s[6:7], exec, s[6:7]
	s_cbranch_execz .LBB102_2880
; %bb.2875:
	s_mov_b32 s10, 0x387fffff
	v_cmp_lt_u32_e32 vcc, s10, v3
                                        ; implicit-def: $vgpr4
	s_and_saveexec_b64 s[10:11], vcc
	s_xor_b64 s[10:11], exec, s[10:11]
; %bb.2876:
	v_bfe_u32 v4, v3, 21, 1
	s_mov_b32 s12, 0x80fffff
	v_add3_u32 v3, v3, v4, s12
	v_lshrrev_b32_e32 v4, 21, v3
                                        ; implicit-def: $vgpr3
; %bb.2877:
	s_andn2_saveexec_b64 s[10:11], s[10:11]
; %bb.2878:
	v_add_f32_e32 v4, 0x43000000, v3
; %bb.2879:
	s_or_b64 exec, exec, s[10:11]
                                        ; implicit-def: $vgpr3
.LBB102_2880:
	s_andn2_saveexec_b64 s[6:7], s[6:7]
; %bb.2881:
	s_mov_b32 s10, 0x7f800000
	v_mov_b32_e32 v4, 0x7c
	v_mov_b32_e32 v5, 0x7f
	v_cmp_lt_u32_e32 vcc, s10, v3
	v_cndmask_b32_e32 v4, v4, v5, vcc
; %bb.2882:
	s_or_b64 exec, exec, s[6:7]
	global_store_byte v[0:1], v4, off
.LBB102_2883:
	s_mov_b64 s[6:7], 0
	s_mov_b64 s[10:11], -1
.LBB102_2884:
	s_andn2_b64 vcc, exec, s[6:7]
	s_mov_b64 s[6:7], 0
	s_cbranch_vccnz .LBB102_2891
; %bb.2885:
	s_cmp_gt_i32 s17, 14
	s_mov_b64 s[12:13], -1
	s_cbranch_scc0 .LBB102_2889
; %bb.2886:
	s_cmp_eq_u32 s17, 15
	s_mov_b64 s[4:5], -1
	s_cbranch_scc0 .LBB102_2888
; %bb.2887:
	v_cndmask_b32_e64 v3, 0, 1.0, s[2:3]
	v_bfe_u32 v4, v3, 16, 1
	s_movk_i32 s4, 0x7fff
	v_add3_u32 v3, v3, v4, s4
	global_store_short_d16_hi v[0:1], v3, off
	s_mov_b64 s[4:5], 0
	s_mov_b64 s[10:11], -1
.LBB102_2888:
	s_mov_b64 s[12:13], 0
.LBB102_2889:
	s_and_b64 vcc, exec, s[12:13]
	s_cbranch_vccz .LBB102_2891
; %bb.2890:
	s_cmp_lg_u32 s17, 11
	s_mov_b64 s[6:7], -1
	s_cselect_b64 s[4:5], -1, 0
.LBB102_2891:
	s_and_b64 vcc, exec, s[4:5]
	s_cbranch_vccnz .LBB102_3071
; %bb.2892:
	s_andn2_b64 vcc, exec, s[6:7]
	s_cbranch_vccnz .LBB102_2894
.LBB102_2893:
	v_cndmask_b32_e64 v3, 0, 1, s[2:3]
	s_mov_b64 s[10:11], -1
	global_store_byte v[0:1], v3, off
.LBB102_2894:
	s_mov_b64 s[4:5], 0
	s_branch .LBB102_2896
.LBB102_2895:
	s_mov_b64 s[4:5], -1
	s_mov_b64 s[10:11], 0
.LBB102_2896:
	s_and_b64 vcc, exec, s[4:5]
	s_cbranch_vccz .LBB102_2935
; %bb.2897:
	s_and_b32 s6, 0xffff, s24
	s_cmp_lt_i32 s6, 5
	s_mov_b64 s[4:5], -1
	s_cbranch_scc1 .LBB102_2918
; %bb.2898:
	s_cmp_lt_i32 s6, 8
	s_cbranch_scc1 .LBB102_2908
; %bb.2899:
	s_cmp_lt_i32 s6, 9
	s_cbranch_scc1 .LBB102_2905
; %bb.2900:
	s_cmp_gt_i32 s6, 9
	s_cbranch_scc0 .LBB102_2902
; %bb.2901:
	v_cndmask_b32_e64 v3, 0, 1, s[2:3]
	v_cvt_f64_u32_e32 v[3:4], v3
	v_mov_b32_e32 v5, 0
	v_mov_b32_e32 v6, v5
	s_mov_b64 s[4:5], 0
	global_store_dwordx4 v[0:1], v[3:6], off
.LBB102_2902:
	s_andn2_b64 vcc, exec, s[4:5]
	s_cbranch_vccnz .LBB102_2904
; %bb.2903:
	v_cndmask_b32_e64 v3, 0, 1.0, s[2:3]
	v_mov_b32_e32 v4, 0
	global_store_dwordx2 v[0:1], v[3:4], off
.LBB102_2904:
	s_mov_b64 s[4:5], 0
.LBB102_2905:
	s_andn2_b64 vcc, exec, s[4:5]
	s_cbranch_vccnz .LBB102_2907
; %bb.2906:
	v_cndmask_b32_e64 v3, 0, 1.0, s[2:3]
	v_cvt_f16_f32_e32 v3, v3
	global_store_dword v[0:1], v3, off
.LBB102_2907:
	s_mov_b64 s[4:5], 0
.LBB102_2908:
	s_andn2_b64 vcc, exec, s[4:5]
	s_cbranch_vccnz .LBB102_2917
; %bb.2909:
	s_cmp_lt_i32 s6, 6
	s_mov_b64 s[4:5], -1
	s_cbranch_scc1 .LBB102_2915
; %bb.2910:
	s_cmp_gt_i32 s6, 6
	s_cbranch_scc0 .LBB102_2912
; %bb.2911:
	v_cndmask_b32_e64 v3, 0, 1, s[2:3]
	v_cvt_f64_u32_e32 v[3:4], v3
	s_mov_b64 s[4:5], 0
	global_store_dwordx2 v[0:1], v[3:4], off
.LBB102_2912:
	s_andn2_b64 vcc, exec, s[4:5]
	s_cbranch_vccnz .LBB102_2914
; %bb.2913:
	v_cndmask_b32_e64 v3, 0, 1.0, s[2:3]
	global_store_dword v[0:1], v3, off
.LBB102_2914:
	s_mov_b64 s[4:5], 0
.LBB102_2915:
	s_andn2_b64 vcc, exec, s[4:5]
	s_cbranch_vccnz .LBB102_2917
; %bb.2916:
	v_cndmask_b32_e64 v3, 0, 1.0, s[2:3]
	v_cvt_f16_f32_e32 v3, v3
	global_store_short v[0:1], v3, off
.LBB102_2917:
	s_mov_b64 s[4:5], 0
.LBB102_2918:
	s_andn2_b64 vcc, exec, s[4:5]
	s_cbranch_vccnz .LBB102_2934
; %bb.2919:
	s_cmp_lt_i32 s6, 2
	s_mov_b64 s[4:5], -1
	s_cbranch_scc1 .LBB102_2929
; %bb.2920:
	s_cmp_lt_i32 s6, 3
	s_cbranch_scc1 .LBB102_2926
; %bb.2921:
	s_cmp_gt_i32 s6, 3
	s_cbranch_scc0 .LBB102_2923
; %bb.2922:
	s_mov_b32 s4, 0
	v_cndmask_b32_e64 v3, 0, 1, s[2:3]
	v_mov_b32_e32 v4, s4
	global_store_dwordx2 v[0:1], v[3:4], off
	s_mov_b64 s[4:5], 0
.LBB102_2923:
	s_andn2_b64 vcc, exec, s[4:5]
	s_cbranch_vccnz .LBB102_2925
; %bb.2924:
	v_cndmask_b32_e64 v3, 0, 1, s[2:3]
	global_store_dword v[0:1], v3, off
.LBB102_2925:
	s_mov_b64 s[4:5], 0
.LBB102_2926:
	s_andn2_b64 vcc, exec, s[4:5]
	s_cbranch_vccnz .LBB102_2928
; %bb.2927:
	v_cndmask_b32_e64 v3, 0, 1, s[2:3]
	global_store_short v[0:1], v3, off
.LBB102_2928:
	s_mov_b64 s[4:5], 0
.LBB102_2929:
	s_andn2_b64 vcc, exec, s[4:5]
	s_cbranch_vccnz .LBB102_2934
; %bb.2930:
	s_mov_b64 s[4:5], -1
	s_cmp_gt_i32 s6, 0
	v_cndmask_b32_e64 v3, 0, 1, s[2:3]
	s_cbranch_scc0 .LBB102_2932
; %bb.2931:
	global_store_byte v[0:1], v3, off
	s_mov_b64 s[4:5], 0
.LBB102_2932:
	s_andn2_b64 vcc, exec, s[4:5]
	s_cbranch_vccnz .LBB102_2934
; %bb.2933:
	global_store_byte v[0:1], v3, off
.LBB102_2934:
	s_mov_b64 s[10:11], -1
.LBB102_2935:
	s_andn2_b64 vcc, exec, s[10:11]
	s_cbranch_vccnz .LBB102_3012
; %bb.2936:
	v_cmp_eq_f32_e32 vcc, v9, v10
	v_cndmask_b32_e64 v0, 0, 1, vcc
	v_cmp_neq_f32_e32 vcc, v9, v10
	v_cndmask_b32_e64 v1, 0, 1, vcc
	v_cndmask_b32_e64 v0, v1, v0, s[0:1]
	v_and_b32_e32 v0, 1, v0
	v_cmp_eq_u32_e64 s[2:3], 1, v0
	v_add_u32_e32 v0, s16, v2
	v_ashrrev_i32_e32 v1, 31, v0
	v_mov_b32_e32 v2, s9
	v_add_co_u32_e32 v0, vcc, s8, v0
	s_cmp_lt_i32 s24, 11
	v_addc_co_u32_e32 v1, vcc, v2, v1, vcc
	s_cbranch_scc1 .LBB102_3057
; %bb.2937:
	s_and_b32 s12, 0xffff, s24
	s_mov_b64 s[6:7], -1
	s_mov_b64 s[4:5], 0
	s_cmp_gt_i32 s12, 25
	s_mov_b64 s[0:1], 0
	s_cbranch_scc0 .LBB102_2970
; %bb.2938:
	s_cmp_gt_i32 s12, 28
	s_cbranch_scc0 .LBB102_2954
; %bb.2939:
	s_cmp_gt_i32 s12, 43
	;; [unrolled: 3-line block ×3, first 2 shown]
	s_cbranch_scc0 .LBB102_2944
; %bb.2941:
	s_cmp_eq_u32 s12, 46
	s_mov_b64 s[0:1], -1
	s_cbranch_scc0 .LBB102_2943
; %bb.2942:
	v_cndmask_b32_e64 v2, 0, 1.0, s[2:3]
	v_bfe_u32 v3, v2, 16, 1
	s_movk_i32 s0, 0x7fff
	v_add3_u32 v2, v2, v3, s0
	v_lshrrev_b32_e32 v2, 16, v2
	global_store_dword v[0:1], v2, off
	s_mov_b64 s[0:1], 0
.LBB102_2943:
	s_mov_b64 s[6:7], 0
.LBB102_2944:
	s_and_b64 vcc, exec, s[6:7]
	s_cbranch_vccz .LBB102_2949
; %bb.2945:
	s_cmp_eq_u32 s12, 44
	s_mov_b64 s[0:1], -1
	s_cbranch_scc0 .LBB102_2949
; %bb.2946:
	v_cndmask_b32_e64 v3, 0, 1.0, s[2:3]
	v_lshrrev_b32_e32 v2, 23, v3
	s_movk_i32 s0, 0xff
	v_cmp_ne_u32_e32 vcc, s0, v2
	v_mov_b32_e32 v4, 0xff
	s_and_saveexec_b64 s[6:7], vcc
; %bb.2947:
	s_mov_b32 s0, 0x3fffff
	v_and_b32_e32 v4, 0x400000, v3
	v_and_or_b32 v3, v3, s0, v2
	v_cmp_ne_u32_e32 vcc, 0, v4
	v_cmp_ne_u32_e64 s[0:1], 0, v3
	s_and_b64 s[0:1], vcc, s[0:1]
	v_cndmask_b32_e64 v3, 0, 1, s[0:1]
	v_add_u32_e32 v4, v2, v3
; %bb.2948:
	s_or_b64 exec, exec, s[6:7]
	s_mov_b64 s[0:1], 0
	global_store_byte v[0:1], v4, off
.LBB102_2949:
	s_mov_b64 s[6:7], 0
.LBB102_2950:
	s_and_b64 vcc, exec, s[6:7]
	s_cbranch_vccz .LBB102_2953
; %bb.2951:
	s_cmp_eq_u32 s12, 29
	s_mov_b64 s[0:1], -1
	s_cbranch_scc0 .LBB102_2953
; %bb.2952:
	s_mov_b32 s0, 0
	v_cndmask_b32_e64 v2, 0, 1, s[2:3]
	v_mov_b32_e32 v3, s0
	global_store_dwordx2 v[0:1], v[2:3], off
	s_mov_b64 s[0:1], 0
.LBB102_2953:
	s_mov_b64 s[6:7], 0
.LBB102_2954:
	s_and_b64 vcc, exec, s[6:7]
	s_cbranch_vccz .LBB102_2969
; %bb.2955:
	s_cmp_lt_i32 s12, 27
	s_mov_b64 s[6:7], -1
	s_cbranch_scc1 .LBB102_2961
; %bb.2956:
	s_cmp_gt_i32 s12, 27
	v_cndmask_b32_e64 v2, 0, 1, s[2:3]
	s_cbranch_scc0 .LBB102_2958
; %bb.2957:
	global_store_dword v[0:1], v2, off
	s_mov_b64 s[6:7], 0
.LBB102_2958:
	s_andn2_b64 vcc, exec, s[6:7]
	s_cbranch_vccnz .LBB102_2960
; %bb.2959:
	global_store_short v[0:1], v2, off
.LBB102_2960:
	s_mov_b64 s[6:7], 0
.LBB102_2961:
	s_andn2_b64 vcc, exec, s[6:7]
	s_cbranch_vccnz .LBB102_2969
; %bb.2962:
	v_cndmask_b32_e64 v3, 0, 1.0, s[2:3]
	s_mov_b32 s6, 0x43800000
	v_cmp_gt_u32_e32 vcc, s6, v3
	v_mov_b32_e32 v4, 0x80
	s_and_saveexec_b64 s[6:7], vcc
	s_cbranch_execz .LBB102_2968
; %bb.2963:
	s_mov_b32 s8, 0x3bffffff
	v_cmp_lt_u32_e32 vcc, s8, v3
	s_mov_b64 s[8:9], 0
                                        ; implicit-def: $vgpr2
	s_and_saveexec_b64 s[10:11], vcc
	s_xor_b64 s[10:11], exec, s[10:11]
	s_cbranch_execz .LBB102_3074
; %bb.2964:
	v_bfe_u32 v2, v3, 20, 1
	s_mov_b32 s13, 0x487ffff
	v_add3_u32 v2, v3, v2, s13
	s_mov_b64 s[8:9], exec
	v_lshrrev_b32_e32 v2, 20, v2
                                        ; implicit-def: $vgpr3
	s_andn2_saveexec_b64 s[10:11], s[10:11]
	s_cbranch_execnz .LBB102_3075
.LBB102_2965:
	s_or_b64 exec, exec, s[10:11]
	v_mov_b32_e32 v4, 0
	s_and_saveexec_b64 s[10:11], s[8:9]
.LBB102_2966:
	v_mov_b32_e32 v4, v2
.LBB102_2967:
	s_or_b64 exec, exec, s[10:11]
.LBB102_2968:
	s_or_b64 exec, exec, s[6:7]
	global_store_byte v[0:1], v4, off
.LBB102_2969:
	s_mov_b64 s[6:7], 0
.LBB102_2970:
	s_and_b64 vcc, exec, s[6:7]
	s_cbranch_vccz .LBB102_3010
; %bb.2971:
	s_cmp_gt_i32 s12, 22
	s_mov_b64 s[4:5], -1
	s_cbranch_scc0 .LBB102_3003
; %bb.2972:
	s_cmp_lt_i32 s12, 24
	s_cbranch_scc1 .LBB102_2992
; %bb.2973:
	s_cmp_gt_i32 s12, 24
	s_cbranch_scc0 .LBB102_2981
; %bb.2974:
	v_cndmask_b32_e64 v3, 0, 1.0, s[2:3]
	s_mov_b32 s4, 0x47800000
	v_cmp_gt_u32_e32 vcc, s4, v3
	v_mov_b32_e32 v4, 0x80
	s_and_saveexec_b64 s[4:5], vcc
	s_cbranch_execz .LBB102_2980
; %bb.2975:
	s_mov_b32 s6, 0x37ffffff
	v_cmp_lt_u32_e32 vcc, s6, v3
	s_mov_b64 s[6:7], 0
                                        ; implicit-def: $vgpr2
	s_and_saveexec_b64 s[8:9], vcc
	s_xor_b64 s[8:9], exec, s[8:9]
	s_cbranch_execz .LBB102_3077
; %bb.2976:
	v_bfe_u32 v2, v3, 21, 1
	s_mov_b32 s10, 0x88fffff
	v_add3_u32 v2, v3, v2, s10
	s_mov_b64 s[6:7], exec
	v_lshrrev_b32_e32 v2, 21, v2
                                        ; implicit-def: $vgpr3
	s_andn2_saveexec_b64 s[8:9], s[8:9]
	s_cbranch_execnz .LBB102_3078
.LBB102_2977:
	s_or_b64 exec, exec, s[8:9]
	v_mov_b32_e32 v4, 0
	s_and_saveexec_b64 s[8:9], s[6:7]
.LBB102_2978:
	v_mov_b32_e32 v4, v2
.LBB102_2979:
	s_or_b64 exec, exec, s[8:9]
.LBB102_2980:
	s_or_b64 exec, exec, s[4:5]
	s_mov_b64 s[4:5], 0
	global_store_byte v[0:1], v4, off
.LBB102_2981:
	s_and_b64 vcc, exec, s[4:5]
	s_cbranch_vccz .LBB102_2991
; %bb.2982:
	v_cndmask_b32_e64 v2, 0, 1.0, s[2:3]
	s_mov_b32 s4, 0x43f00000
	v_cmp_gt_u32_e32 vcc, s4, v2
                                        ; implicit-def: $vgpr3
	s_and_saveexec_b64 s[4:5], vcc
	s_xor_b64 s[4:5], exec, s[4:5]
	s_cbranch_execz .LBB102_2988
; %bb.2983:
	s_mov_b32 s6, 0x3c7fffff
	v_cmp_lt_u32_e32 vcc, s6, v2
                                        ; implicit-def: $vgpr3
	s_and_saveexec_b64 s[6:7], vcc
	s_xor_b64 s[6:7], exec, s[6:7]
; %bb.2984:
	v_bfe_u32 v3, v2, 20, 1
	s_mov_b32 s8, 0x407ffff
	v_add3_u32 v2, v2, v3, s8
	v_lshrrev_b32_e32 v3, 20, v2
	v_and_b32_e32 v2, 0xff00000, v2
	s_mov_b32 s8, 0x7f00000
	v_mov_b32_e32 v4, 0x7e
	v_cmp_ne_u32_e32 vcc, s8, v2
	v_cndmask_b32_e32 v3, v4, v3, vcc
                                        ; implicit-def: $vgpr2
; %bb.2985:
	s_andn2_saveexec_b64 s[6:7], s[6:7]
; %bb.2986:
	v_add_f32_e32 v3, 0x46800000, v2
; %bb.2987:
	s_or_b64 exec, exec, s[6:7]
                                        ; implicit-def: $vgpr2
.LBB102_2988:
	s_andn2_saveexec_b64 s[4:5], s[4:5]
; %bb.2989:
	s_mov_b32 s6, 0x7f800000
	v_mov_b32_e32 v3, 0x7e
	v_mov_b32_e32 v4, 0x7f
	v_cmp_lt_u32_e32 vcc, s6, v2
	v_cndmask_b32_e32 v3, v3, v4, vcc
; %bb.2990:
	s_or_b64 exec, exec, s[4:5]
	global_store_byte v[0:1], v3, off
.LBB102_2991:
	s_mov_b64 s[4:5], 0
.LBB102_2992:
	s_andn2_b64 vcc, exec, s[4:5]
	s_cbranch_vccnz .LBB102_3002
; %bb.2993:
	v_cndmask_b32_e64 v2, 0, 1.0, s[2:3]
	s_mov_b32 s4, 0x47800000
	v_cmp_gt_u32_e32 vcc, s4, v2
                                        ; implicit-def: $vgpr3
	s_and_saveexec_b64 s[4:5], vcc
	s_xor_b64 s[4:5], exec, s[4:5]
	s_cbranch_execz .LBB102_2999
; %bb.2994:
	s_mov_b32 s6, 0x387fffff
	v_cmp_lt_u32_e32 vcc, s6, v2
                                        ; implicit-def: $vgpr3
	s_and_saveexec_b64 s[6:7], vcc
	s_xor_b64 s[6:7], exec, s[6:7]
; %bb.2995:
	v_bfe_u32 v3, v2, 21, 1
	s_mov_b32 s8, 0x80fffff
	v_add3_u32 v2, v2, v3, s8
	v_lshrrev_b32_e32 v3, 21, v2
                                        ; implicit-def: $vgpr2
; %bb.2996:
	s_andn2_saveexec_b64 s[6:7], s[6:7]
; %bb.2997:
	v_add_f32_e32 v3, 0x43000000, v2
; %bb.2998:
	s_or_b64 exec, exec, s[6:7]
                                        ; implicit-def: $vgpr2
.LBB102_2999:
	s_andn2_saveexec_b64 s[4:5], s[4:5]
; %bb.3000:
	s_mov_b32 s6, 0x7f800000
	v_mov_b32_e32 v3, 0x7c
	v_mov_b32_e32 v4, 0x7f
	v_cmp_lt_u32_e32 vcc, s6, v2
	v_cndmask_b32_e32 v3, v3, v4, vcc
; %bb.3001:
	s_or_b64 exec, exec, s[4:5]
	global_store_byte v[0:1], v3, off
.LBB102_3002:
	s_mov_b64 s[4:5], 0
.LBB102_3003:
	s_andn2_b64 vcc, exec, s[4:5]
	s_mov_b64 s[4:5], 0
	s_cbranch_vccnz .LBB102_3010
; %bb.3004:
	s_cmp_gt_i32 s12, 14
	s_mov_b64 s[6:7], -1
	s_cbranch_scc0 .LBB102_3008
; %bb.3005:
	s_cmp_eq_u32 s12, 15
	s_mov_b64 s[0:1], -1
	s_cbranch_scc0 .LBB102_3007
; %bb.3006:
	v_cndmask_b32_e64 v2, 0, 1.0, s[2:3]
	v_bfe_u32 v3, v2, 16, 1
	s_movk_i32 s0, 0x7fff
	v_add3_u32 v2, v2, v3, s0
	global_store_short_d16_hi v[0:1], v2, off
	s_mov_b64 s[0:1], 0
.LBB102_3007:
	s_mov_b64 s[6:7], 0
.LBB102_3008:
	s_and_b64 vcc, exec, s[6:7]
	s_cbranch_vccz .LBB102_3010
; %bb.3009:
	s_cmp_lg_u32 s12, 11
	s_mov_b64 s[4:5], -1
	s_cselect_b64 s[0:1], -1, 0
.LBB102_3010:
	s_and_b64 vcc, exec, s[0:1]
	s_cbranch_vccnz .LBB102_3076
.LBB102_3011:
	s_mov_b64 s[0:1], 0
	s_branch .LBB102_3013
.LBB102_3012:
	s_mov_b64 s[0:1], 0
	s_mov_b64 s[4:5], 0
                                        ; implicit-def: $sgpr2_sgpr3
                                        ; implicit-def: $sgpr24
                                        ; implicit-def: $vgpr0_vgpr1
.LBB102_3013:
	s_and_b64 s[6:7], s[4:5], exec
	s_andn2_b64 s[4:5], s[20:21], exec
	s_and_b64 s[8:9], s[22:23], exec
	s_and_b64 s[0:1], s[0:1], exec
	s_or_b64 s[20:21], s[4:5], s[8:9]
.LBB102_3014:
	s_or_b64 exec, exec, s[18:19]
	s_and_saveexec_b64 s[4:5], s[20:21]
	s_cbranch_execz .LBB102_3017
; %bb.3015:
	; divergent unreachable
	s_or_b64 exec, exec, s[4:5]
	s_and_saveexec_b64 s[4:5], s[6:7]
	s_xor_b64 s[4:5], exec, s[4:5]
	s_cbranch_execnz .LBB102_3018
.LBB102_3016:
	s_or_b64 exec, exec, s[4:5]
	s_and_saveexec_b64 s[4:5], s[0:1]
	s_cbranch_execnz .LBB102_3019
	s_branch .LBB102_3056
.LBB102_3017:
	s_or_b64 exec, exec, s[4:5]
	s_and_saveexec_b64 s[4:5], s[6:7]
	s_xor_b64 s[4:5], exec, s[4:5]
	s_cbranch_execz .LBB102_3016
.LBB102_3018:
	v_cndmask_b32_e64 v2, 0, 1, s[2:3]
	global_store_byte v[0:1], v2, off
	s_or_b64 exec, exec, s[4:5]
	s_and_saveexec_b64 s[4:5], s[0:1]
	s_cbranch_execz .LBB102_3056
.LBB102_3019:
	s_sext_i32_i16 s4, s24
	s_cmp_lt_i32 s4, 5
	s_mov_b64 s[0:1], -1
	s_cbranch_scc1 .LBB102_3040
; %bb.3020:
	s_cmp_lt_i32 s4, 8
	s_cbranch_scc1 .LBB102_3030
; %bb.3021:
	s_cmp_lt_i32 s4, 9
	s_cbranch_scc1 .LBB102_3027
; %bb.3022:
	s_cmp_gt_i32 s4, 9
	s_cbranch_scc0 .LBB102_3024
; %bb.3023:
	v_cndmask_b32_e64 v2, 0, 1, s[2:3]
	s_waitcnt vmcnt(0)
	v_cvt_f64_u32_e32 v[2:3], v2
	v_mov_b32_e32 v4, 0
	v_mov_b32_e32 v5, v4
	s_mov_b64 s[0:1], 0
	global_store_dwordx4 v[0:1], v[2:5], off
.LBB102_3024:
	s_andn2_b64 vcc, exec, s[0:1]
	s_cbranch_vccnz .LBB102_3026
; %bb.3025:
	v_cndmask_b32_e64 v2, 0, 1.0, s[2:3]
	s_waitcnt vmcnt(0)
	v_mov_b32_e32 v3, 0
	global_store_dwordx2 v[0:1], v[2:3], off
.LBB102_3026:
	s_mov_b64 s[0:1], 0
.LBB102_3027:
	s_andn2_b64 vcc, exec, s[0:1]
	s_cbranch_vccnz .LBB102_3029
; %bb.3028:
	v_cndmask_b32_e64 v2, 0, 1.0, s[2:3]
	v_cvt_f16_f32_e32 v2, v2
	global_store_dword v[0:1], v2, off
.LBB102_3029:
	s_mov_b64 s[0:1], 0
.LBB102_3030:
	s_andn2_b64 vcc, exec, s[0:1]
	s_cbranch_vccnz .LBB102_3039
; %bb.3031:
	s_sext_i32_i16 s4, s24
	s_cmp_lt_i32 s4, 6
	s_mov_b64 s[0:1], -1
	s_cbranch_scc1 .LBB102_3037
; %bb.3032:
	s_cmp_gt_i32 s4, 6
	s_cbranch_scc0 .LBB102_3034
; %bb.3033:
	v_cndmask_b32_e64 v2, 0, 1, s[2:3]
	s_waitcnt vmcnt(0)
	v_cvt_f64_u32_e32 v[2:3], v2
	s_mov_b64 s[0:1], 0
	global_store_dwordx2 v[0:1], v[2:3], off
.LBB102_3034:
	s_andn2_b64 vcc, exec, s[0:1]
	s_cbranch_vccnz .LBB102_3036
; %bb.3035:
	v_cndmask_b32_e64 v2, 0, 1.0, s[2:3]
	global_store_dword v[0:1], v2, off
.LBB102_3036:
	s_mov_b64 s[0:1], 0
.LBB102_3037:
	s_andn2_b64 vcc, exec, s[0:1]
	s_cbranch_vccnz .LBB102_3039
; %bb.3038:
	v_cndmask_b32_e64 v2, 0, 1.0, s[2:3]
	v_cvt_f16_f32_e32 v2, v2
	global_store_short v[0:1], v2, off
.LBB102_3039:
	s_mov_b64 s[0:1], 0
.LBB102_3040:
	s_andn2_b64 vcc, exec, s[0:1]
	s_cbranch_vccnz .LBB102_3056
; %bb.3041:
	s_sext_i32_i16 s4, s24
	s_cmp_lt_i32 s4, 2
	s_mov_b64 s[0:1], -1
	s_cbranch_scc1 .LBB102_3051
; %bb.3042:
	s_cmp_lt_i32 s4, 3
	s_cbranch_scc1 .LBB102_3048
; %bb.3043:
	s_cmp_gt_i32 s4, 3
	s_cbranch_scc0 .LBB102_3045
; %bb.3044:
	s_mov_b32 s0, 0
	v_cndmask_b32_e64 v2, 0, 1, s[2:3]
	s_waitcnt vmcnt(0)
	v_mov_b32_e32 v3, s0
	global_store_dwordx2 v[0:1], v[2:3], off
	s_mov_b64 s[0:1], 0
.LBB102_3045:
	s_andn2_b64 vcc, exec, s[0:1]
	s_cbranch_vccnz .LBB102_3047
; %bb.3046:
	v_cndmask_b32_e64 v2, 0, 1, s[2:3]
	global_store_dword v[0:1], v2, off
.LBB102_3047:
	s_mov_b64 s[0:1], 0
.LBB102_3048:
	s_andn2_b64 vcc, exec, s[0:1]
	s_cbranch_vccnz .LBB102_3050
; %bb.3049:
	v_cndmask_b32_e64 v2, 0, 1, s[2:3]
	global_store_short v[0:1], v2, off
.LBB102_3050:
	s_mov_b64 s[0:1], 0
.LBB102_3051:
	s_andn2_b64 vcc, exec, s[0:1]
	s_cbranch_vccnz .LBB102_3056
; %bb.3052:
	s_sext_i32_i16 s4, s24
	s_mov_b64 s[0:1], -1
	s_cmp_gt_i32 s4, 0
	v_cndmask_b32_e64 v2, 0, 1, s[2:3]
	s_cbranch_scc0 .LBB102_3054
; %bb.3053:
	global_store_byte v[0:1], v2, off
	s_mov_b64 s[0:1], 0
.LBB102_3054:
	s_andn2_b64 vcc, exec, s[0:1]
	s_cbranch_vccnz .LBB102_3056
; %bb.3055:
	global_store_byte v[0:1], v2, off
	s_endpgm
.LBB102_3056:
	s_endpgm
.LBB102_3057:
	s_mov_b64 s[4:5], 0
	s_mov_b64 s[0:1], -1
	s_branch .LBB102_3013
.LBB102_3058:
	s_trap 2
	s_or_b64 s[22:23], s[22:23], exec
	s_cbranch_execz .LBB102_2527
	s_branch .LBB102_2528
.LBB102_3059:
	s_andn2_saveexec_b64 s[16:17], s[16:17]
	s_cbranch_execz .LBB102_2607
.LBB102_3060:
	v_add_f32_e32 v3, 0x46000000, v4
	v_and_b32_e32 v3, 0xff, v3
	v_cmp_ne_u32_e32 vcc, 0, v3
	s_andn2_b64 s[14:15], s[14:15], exec
	s_and_b64 s[26:27], vcc, exec
	s_or_b64 s[14:15], s[14:15], s[26:27]
	s_or_b64 exec, exec, s[16:17]
	v_mov_b32_e32 v11, 0
	s_and_saveexec_b64 s[16:17], s[14:15]
	s_cbranch_execnz .LBB102_2608
	s_branch .LBB102_2609
.LBB102_3061:
	s_trap 2
	s_or_b64 s[22:23], s[22:23], exec
	s_cbranch_execz .LBB102_2655
	s_branch .LBB102_2656
.LBB102_3062:
	s_andn2_saveexec_b64 s[14:15], s[14:15]
	s_cbranch_execz .LBB102_2620
.LBB102_3063:
	v_add_f32_e32 v3, 0x42800000, v4
	v_and_b32_e32 v3, 0xff, v3
	v_cmp_ne_u32_e32 vcc, 0, v3
	s_andn2_b64 s[10:11], s[10:11], exec
	s_and_b64 s[16:17], vcc, exec
	s_or_b64 s[10:11], s[10:11], s[16:17]
	s_or_b64 exec, exec, s[14:15]
	v_mov_b32_e32 v11, 0
	s_and_saveexec_b64 s[14:15], s[10:11]
	s_cbranch_execnz .LBB102_2621
	s_branch .LBB102_2622
.LBB102_3064:
	s_andn2_saveexec_b64 s[14:15], s[14:15]
	s_cbranch_execz .LBB102_2726
.LBB102_3065:
	v_add_f32_e32 v3, 0x46000000, v4
	v_and_b32_e32 v3, 0xff, v3
	v_cmp_ne_u32_e32 vcc, 0, v3
	s_andn2_b64 s[12:13], s[12:13], exec
	s_and_b64 s[26:27], vcc, exec
	s_or_b64 s[12:13], s[12:13], s[26:27]
	s_or_b64 exec, exec, s[14:15]
	v_mov_b32_e32 v5, 0
	s_and_saveexec_b64 s[14:15], s[12:13]
	s_cbranch_execnz .LBB102_2727
	s_branch .LBB102_2728
.LBB102_3066:
	s_trap 2
	s_or_b64 s[22:23], s[22:23], exec
	s_cbranch_execz .LBB102_2774
	s_branch .LBB102_2775
.LBB102_3067:
	s_andn2_saveexec_b64 s[12:13], s[12:13]
	s_cbranch_execz .LBB102_2739
.LBB102_3068:
	v_add_f32_e32 v3, 0x42800000, v4
	v_and_b32_e32 v3, 0xff, v3
	v_cmp_ne_u32_e32 vcc, 0, v3
	s_andn2_b64 s[10:11], s[10:11], exec
	s_and_b64 s[14:15], vcc, exec
	s_or_b64 s[10:11], s[10:11], s[14:15]
	s_or_b64 exec, exec, s[12:13]
	v_mov_b32_e32 v5, 0
	s_and_saveexec_b64 s[12:13], s[10:11]
	s_cbranch_execnz .LBB102_2740
	s_branch .LBB102_2741
.LBB102_3069:
	s_andn2_saveexec_b64 s[14:15], s[14:15]
	s_cbranch_execz .LBB102_2845
.LBB102_3070:
	v_add_f32_e32 v3, 0x46000000, v4
	v_and_b32_e32 v3, 0xff, v3
	v_cmp_ne_u32_e32 vcc, 0, v3
	s_andn2_b64 s[12:13], s[12:13], exec
	s_and_b64 s[26:27], vcc, exec
	s_or_b64 s[12:13], s[12:13], s[26:27]
	s_or_b64 exec, exec, s[14:15]
	v_mov_b32_e32 v5, 0
	s_and_saveexec_b64 s[14:15], s[12:13]
	s_cbranch_execnz .LBB102_2846
	s_branch .LBB102_2847
.LBB102_3071:
	s_trap 2
	s_or_b64 s[22:23], s[22:23], exec
	s_cbranch_execz .LBB102_2893
	s_branch .LBB102_2894
.LBB102_3072:
	s_andn2_saveexec_b64 s[12:13], s[12:13]
	s_cbranch_execz .LBB102_2858
.LBB102_3073:
	v_add_f32_e32 v3, 0x42800000, v4
	v_and_b32_e32 v3, 0xff, v3
	v_cmp_ne_u32_e32 vcc, 0, v3
	s_andn2_b64 s[10:11], s[10:11], exec
	s_and_b64 s[14:15], vcc, exec
	s_or_b64 s[10:11], s[10:11], s[14:15]
	s_or_b64 exec, exec, s[12:13]
	v_mov_b32_e32 v5, 0
	s_and_saveexec_b64 s[12:13], s[10:11]
	s_cbranch_execnz .LBB102_2859
	s_branch .LBB102_2860
.LBB102_3074:
	s_andn2_saveexec_b64 s[10:11], s[10:11]
	s_cbranch_execz .LBB102_2965
.LBB102_3075:
	v_add_f32_e32 v2, 0x46000000, v3
	v_and_b32_e32 v2, 0xff, v2
	v_cmp_ne_u32_e32 vcc, 0, v2
	s_andn2_b64 s[8:9], s[8:9], exec
	s_and_b64 s[14:15], vcc, exec
	s_or_b64 s[8:9], s[8:9], s[14:15]
	s_or_b64 exec, exec, s[10:11]
	v_mov_b32_e32 v4, 0
	s_and_saveexec_b64 s[10:11], s[8:9]
	s_cbranch_execnz .LBB102_2966
	s_branch .LBB102_2967
.LBB102_3076:
	s_mov_b64 s[4:5], 0
	s_or_b64 s[22:23], s[22:23], exec
	s_trap 2
	s_branch .LBB102_3011
.LBB102_3077:
	s_andn2_saveexec_b64 s[8:9], s[8:9]
	s_cbranch_execz .LBB102_2977
.LBB102_3078:
	v_add_f32_e32 v2, 0x42800000, v3
	v_and_b32_e32 v2, 0xff, v2
	v_cmp_ne_u32_e32 vcc, 0, v2
	s_andn2_b64 s[6:7], s[6:7], exec
	s_and_b64 s[10:11], vcc, exec
	s_or_b64 s[6:7], s[6:7], s[10:11]
	s_or_b64 exec, exec, s[8:9]
	v_mov_b32_e32 v4, 0
	s_and_saveexec_b64 s[8:9], s[6:7]
	s_cbranch_execnz .LBB102_2978
	s_branch .LBB102_2979
	.section	.rodata,"a",@progbits
	.p2align	6, 0x0
	.amdhsa_kernel _ZN2at6native32elementwise_kernel_manual_unrollILi128ELi4EZNS0_15gpu_kernel_implINS0_13BinaryFunctorIffbNS0_12_GLOBAL__N_116CompareEqFunctorIfEEEEEEvRNS_18TensorIteratorBaseERKT_EUlibE_EEviT1_
		.amdhsa_group_segment_fixed_size 0
		.amdhsa_private_segment_fixed_size 0
		.amdhsa_kernarg_size 56
		.amdhsa_user_sgpr_count 6
		.amdhsa_user_sgpr_private_segment_buffer 1
		.amdhsa_user_sgpr_dispatch_ptr 0
		.amdhsa_user_sgpr_queue_ptr 0
		.amdhsa_user_sgpr_kernarg_segment_ptr 1
		.amdhsa_user_sgpr_dispatch_id 0
		.amdhsa_user_sgpr_flat_scratch_init 0
		.amdhsa_user_sgpr_private_segment_size 0
		.amdhsa_uses_dynamic_stack 0
		.amdhsa_system_sgpr_private_segment_wavefront_offset 0
		.amdhsa_system_sgpr_workgroup_id_x 1
		.amdhsa_system_sgpr_workgroup_id_y 0
		.amdhsa_system_sgpr_workgroup_id_z 0
		.amdhsa_system_sgpr_workgroup_info 0
		.amdhsa_system_vgpr_workitem_id 0
		.amdhsa_next_free_vgpr 16
		.amdhsa_next_free_sgpr 59
		.amdhsa_reserve_vcc 1
		.amdhsa_reserve_flat_scratch 0
		.amdhsa_float_round_mode_32 0
		.amdhsa_float_round_mode_16_64 0
		.amdhsa_float_denorm_mode_32 3
		.amdhsa_float_denorm_mode_16_64 3
		.amdhsa_dx10_clamp 1
		.amdhsa_ieee_mode 1
		.amdhsa_fp16_overflow 0
		.amdhsa_exception_fp_ieee_invalid_op 0
		.amdhsa_exception_fp_denorm_src 0
		.amdhsa_exception_fp_ieee_div_zero 0
		.amdhsa_exception_fp_ieee_overflow 0
		.amdhsa_exception_fp_ieee_underflow 0
		.amdhsa_exception_fp_ieee_inexact 0
		.amdhsa_exception_int_div_zero 0
	.end_amdhsa_kernel
	.section	.text._ZN2at6native32elementwise_kernel_manual_unrollILi128ELi4EZNS0_15gpu_kernel_implINS0_13BinaryFunctorIffbNS0_12_GLOBAL__N_116CompareEqFunctorIfEEEEEEvRNS_18TensorIteratorBaseERKT_EUlibE_EEviT1_,"axG",@progbits,_ZN2at6native32elementwise_kernel_manual_unrollILi128ELi4EZNS0_15gpu_kernel_implINS0_13BinaryFunctorIffbNS0_12_GLOBAL__N_116CompareEqFunctorIfEEEEEEvRNS_18TensorIteratorBaseERKT_EUlibE_EEviT1_,comdat
.Lfunc_end102:
	.size	_ZN2at6native32elementwise_kernel_manual_unrollILi128ELi4EZNS0_15gpu_kernel_implINS0_13BinaryFunctorIffbNS0_12_GLOBAL__N_116CompareEqFunctorIfEEEEEEvRNS_18TensorIteratorBaseERKT_EUlibE_EEviT1_, .Lfunc_end102-_ZN2at6native32elementwise_kernel_manual_unrollILi128ELi4EZNS0_15gpu_kernel_implINS0_13BinaryFunctorIffbNS0_12_GLOBAL__N_116CompareEqFunctorIfEEEEEEvRNS_18TensorIteratorBaseERKT_EUlibE_EEviT1_
                                        ; -- End function
	.set _ZN2at6native32elementwise_kernel_manual_unrollILi128ELi4EZNS0_15gpu_kernel_implINS0_13BinaryFunctorIffbNS0_12_GLOBAL__N_116CompareEqFunctorIfEEEEEEvRNS_18TensorIteratorBaseERKT_EUlibE_EEviT1_.num_vgpr, 16
	.set _ZN2at6native32elementwise_kernel_manual_unrollILi128ELi4EZNS0_15gpu_kernel_implINS0_13BinaryFunctorIffbNS0_12_GLOBAL__N_116CompareEqFunctorIfEEEEEEvRNS_18TensorIteratorBaseERKT_EUlibE_EEviT1_.num_agpr, 0
	.set _ZN2at6native32elementwise_kernel_manual_unrollILi128ELi4EZNS0_15gpu_kernel_implINS0_13BinaryFunctorIffbNS0_12_GLOBAL__N_116CompareEqFunctorIfEEEEEEvRNS_18TensorIteratorBaseERKT_EUlibE_EEviT1_.numbered_sgpr, 59
	.set _ZN2at6native32elementwise_kernel_manual_unrollILi128ELi4EZNS0_15gpu_kernel_implINS0_13BinaryFunctorIffbNS0_12_GLOBAL__N_116CompareEqFunctorIfEEEEEEvRNS_18TensorIteratorBaseERKT_EUlibE_EEviT1_.num_named_barrier, 0
	.set _ZN2at6native32elementwise_kernel_manual_unrollILi128ELi4EZNS0_15gpu_kernel_implINS0_13BinaryFunctorIffbNS0_12_GLOBAL__N_116CompareEqFunctorIfEEEEEEvRNS_18TensorIteratorBaseERKT_EUlibE_EEviT1_.private_seg_size, 0
	.set _ZN2at6native32elementwise_kernel_manual_unrollILi128ELi4EZNS0_15gpu_kernel_implINS0_13BinaryFunctorIffbNS0_12_GLOBAL__N_116CompareEqFunctorIfEEEEEEvRNS_18TensorIteratorBaseERKT_EUlibE_EEviT1_.uses_vcc, 1
	.set _ZN2at6native32elementwise_kernel_manual_unrollILi128ELi4EZNS0_15gpu_kernel_implINS0_13BinaryFunctorIffbNS0_12_GLOBAL__N_116CompareEqFunctorIfEEEEEEvRNS_18TensorIteratorBaseERKT_EUlibE_EEviT1_.uses_flat_scratch, 0
	.set _ZN2at6native32elementwise_kernel_manual_unrollILi128ELi4EZNS0_15gpu_kernel_implINS0_13BinaryFunctorIffbNS0_12_GLOBAL__N_116CompareEqFunctorIfEEEEEEvRNS_18TensorIteratorBaseERKT_EUlibE_EEviT1_.has_dyn_sized_stack, 0
	.set _ZN2at6native32elementwise_kernel_manual_unrollILi128ELi4EZNS0_15gpu_kernel_implINS0_13BinaryFunctorIffbNS0_12_GLOBAL__N_116CompareEqFunctorIfEEEEEEvRNS_18TensorIteratorBaseERKT_EUlibE_EEviT1_.has_recursion, 0
	.set _ZN2at6native32elementwise_kernel_manual_unrollILi128ELi4EZNS0_15gpu_kernel_implINS0_13BinaryFunctorIffbNS0_12_GLOBAL__N_116CompareEqFunctorIfEEEEEEvRNS_18TensorIteratorBaseERKT_EUlibE_EEviT1_.has_indirect_call, 0
	.section	.AMDGPU.csdata,"",@progbits
; Kernel info:
; codeLenInByte = 46964
; TotalNumSgprs: 63
; NumVgprs: 16
; ScratchSize: 0
; MemoryBound: 1
; FloatMode: 240
; IeeeMode: 1
; LDSByteSize: 0 bytes/workgroup (compile time only)
; SGPRBlocks: 7
; VGPRBlocks: 3
; NumSGPRsForWavesPerEU: 63
; NumVGPRsForWavesPerEU: 16
; Occupancy: 10
; WaveLimiterHint : 0
; COMPUTE_PGM_RSRC2:SCRATCH_EN: 0
; COMPUTE_PGM_RSRC2:USER_SGPR: 6
; COMPUTE_PGM_RSRC2:TRAP_HANDLER: 0
; COMPUTE_PGM_RSRC2:TGID_X_EN: 1
; COMPUTE_PGM_RSRC2:TGID_Y_EN: 0
; COMPUTE_PGM_RSRC2:TGID_Z_EN: 0
; COMPUTE_PGM_RSRC2:TIDIG_COMP_CNT: 0
	.section	.text._ZN2at6native32elementwise_kernel_manual_unrollILi128ELi4EZNS0_15gpu_kernel_implINS0_13BinaryFunctorIffbNS0_12_GLOBAL__N_116CompareEqFunctorIfEEEEEEvRNS_18TensorIteratorBaseERKT_EUlibE0_EEviT1_,"axG",@progbits,_ZN2at6native32elementwise_kernel_manual_unrollILi128ELi4EZNS0_15gpu_kernel_implINS0_13BinaryFunctorIffbNS0_12_GLOBAL__N_116CompareEqFunctorIfEEEEEEvRNS_18TensorIteratorBaseERKT_EUlibE0_EEviT1_,comdat
	.globl	_ZN2at6native32elementwise_kernel_manual_unrollILi128ELi4EZNS0_15gpu_kernel_implINS0_13BinaryFunctorIffbNS0_12_GLOBAL__N_116CompareEqFunctorIfEEEEEEvRNS_18TensorIteratorBaseERKT_EUlibE0_EEviT1_ ; -- Begin function _ZN2at6native32elementwise_kernel_manual_unrollILi128ELi4EZNS0_15gpu_kernel_implINS0_13BinaryFunctorIffbNS0_12_GLOBAL__N_116CompareEqFunctorIfEEEEEEvRNS_18TensorIteratorBaseERKT_EUlibE0_EEviT1_
	.p2align	8
	.type	_ZN2at6native32elementwise_kernel_manual_unrollILi128ELi4EZNS0_15gpu_kernel_implINS0_13BinaryFunctorIffbNS0_12_GLOBAL__N_116CompareEqFunctorIfEEEEEEvRNS_18TensorIteratorBaseERKT_EUlibE0_EEviT1_,@function
_ZN2at6native32elementwise_kernel_manual_unrollILi128ELi4EZNS0_15gpu_kernel_implINS0_13BinaryFunctorIffbNS0_12_GLOBAL__N_116CompareEqFunctorIfEEEEEEvRNS_18TensorIteratorBaseERKT_EUlibE0_EEviT1_: ; @_ZN2at6native32elementwise_kernel_manual_unrollILi128ELi4EZNS0_15gpu_kernel_implINS0_13BinaryFunctorIffbNS0_12_GLOBAL__N_116CompareEqFunctorIfEEEEEEvRNS_18TensorIteratorBaseERKT_EUlibE0_EEviT1_
; %bb.0:
	s_load_dword s70, s[4:5], 0x0
	s_load_dword s33, s[4:5], 0x8
	s_add_u32 s24, s4, 8
	s_addc_u32 s25, s5, 0
	v_lshl_or_b32 v8, s6, 9, v0
	v_or_b32_e32 v23, 0x180, v8
	s_waitcnt lgkmcnt(0)
	s_add_i32 s72, s33, -1
	s_cmp_gt_u32 s72, 1
	v_cmp_le_i32_e32 vcc, s70, v23
	s_cselect_b64 s[28:29], -1, 0
	s_mov_b64 s[26:27], 0
	s_mov_b64 s[6:7], 0
	s_and_saveexec_b64 s[0:1], vcc
	s_xor_b64 s[30:31], exec, s[0:1]
	s_cbranch_execz .LBB103_1589
; %bb.1:
	s_cmp_lg_u32 s33, 0
	s_load_dwordx4 s[16:19], s[24:25], 0x4
	s_load_dwordx2 s[36:37], s[24:25], 0x14
	s_load_dwordx8 s[8:15], s[24:25], 0x188
	s_load_dwordx4 s[20:23], s[24:25], 0xc4
	s_load_dwordx2 s[34:35], s[24:25], 0xd4
	s_cselect_b64 s[40:41], -1, 0
	s_min_u32 s75, s72, 15
	s_cmp_gt_u32 s33, 1
	s_cselect_b64 s[38:39], -1, 0
	s_waitcnt lgkmcnt(0)
	s_lshr_b32 s74, s15, 8
	s_lshr_b32 s73, s15, 16
	s_cmp_eq_u32 s14, 0
	s_cselect_b64 s[0:1], -1, 0
	v_cmp_gt_i32_e32 vcc, s70, v8
	s_mov_b64 s[2:3], -1
	s_mov_b64 s[52:53], 0
	s_mov_b64 s[46:47], 0
	;; [unrolled: 1-line block ×4, first 2 shown]
	s_and_saveexec_b64 s[48:49], vcc
	s_cbranch_execz .LBB103_394
; %bb.2:
	s_andn2_b64 vcc, exec, s[28:29]
	s_cbranch_vccnz .LBB103_8
; %bb.3:
	s_andn2_b64 vcc, exec, s[40:41]
	s_cbranch_vccnz .LBB103_9
; %bb.4:
	s_add_i32 s2, s75, 1
	s_and_b32 s6, s2, 30
	s_add_u32 s2, s24, 0xffffffe8
	s_addc_u32 s3, s25, -1
	v_mov_b32_e32 v2, 0
	v_mov_b32_e32 v4, 0
	;; [unrolled: 1-line block ×4, first 2 shown]
.LBB103_5:                              ; =>This Inner Loop Header: Depth=1
	s_load_dwordx4 s[44:47], s[2:3], 0x1c
	s_load_dwordx2 s[42:43], s[2:3], 0x2c
	s_load_dwordx2 s[50:51], s[2:3], 0xec
	s_load_dwordx4 s[56:59], s[2:3], 0xdc
	s_add_u32 s2, s2, 24
	s_waitcnt lgkmcnt(0)
	v_mul_hi_u32 v3, s45, v1
	s_addc_u32 s3, s3, 0
	s_add_i32 s6, s6, -2
	s_cmp_lg_u32 s6, 0
	v_add_u32_e32 v3, v1, v3
	v_lshrrev_b32_e32 v3, s46, v3
	v_mul_lo_u32 v5, v3, s44
	v_mul_hi_u32 v6, s42, v3
	v_sub_u32_e32 v5, v1, v5
	v_add_u32_e32 v1, v3, v6
	v_lshrrev_b32_e32 v1, s43, v1
	v_mul_lo_u32 v9, v1, s47
	v_mul_lo_u32 v6, v5, s56
	v_mul_lo_u32 v7, v5, s57
	v_mul_lo_u32 v5, v5, s58
	v_sub_u32_e32 v3, v3, v9
	v_mul_lo_u32 v9, v3, s59
	v_mul_lo_u32 v10, v3, s50
	;; [unrolled: 1-line block ×3, first 2 shown]
	v_add3_u32 v0, v6, v0, v9
	v_add3_u32 v4, v7, v4, v10
	;; [unrolled: 1-line block ×3, first 2 shown]
	s_cbranch_scc1 .LBB103_5
; %bb.6:
	s_bitcmp1_b32 s75, 0
	s_cselect_b64 s[6:7], -1, 0
	s_and_b64 vcc, exec, s[6:7]
	s_cbranch_vccnz .LBB103_10
; %bb.7:
	s_load_dwordx2 s[6:7], s[2:3], 0x1c
	s_load_dword s14, s[2:3], 0x24
	s_load_dwordx2 s[42:43], s[2:3], 0xdc
	s_waitcnt lgkmcnt(0)
	v_mul_hi_u32 v3, s7, v1
	v_add_u32_e32 v3, v1, v3
	v_lshrrev_b32_e32 v3, s14, v3
	v_mul_lo_u32 v3, v3, s6
	s_load_dword s6, s[2:3], 0xe4
	v_sub_u32_e32 v3, v1, v3
	v_mad_u64_u32 v[0:1], s[2:3], v3, s42, v[0:1]
	v_mad_u64_u32 v[4:5], s[2:3], v3, s43, v[4:5]
	s_waitcnt lgkmcnt(0)
	v_mad_u64_u32 v[2:3], s[2:3], v3, s6, v[2:3]
	s_cbranch_execz .LBB103_11
	s_branch .LBB103_13
.LBB103_8:
                                        ; implicit-def: $vgpr0
                                        ; implicit-def: $vgpr4
                                        ; implicit-def: $vgpr2
	s_andn2_b64 vcc, exec, s[2:3]
	s_cbranch_vccz .LBB103_11
	s_branch .LBB103_13
.LBB103_9:
	v_mov_b32_e32 v0, 0
	v_mov_b32_e32 v4, 0
	;; [unrolled: 1-line block ×3, first 2 shown]
.LBB103_10:
	s_cbranch_execnz .LBB103_13
.LBB103_11:
	v_mul_hi_u32 v0, s17, v8
	s_andn2_b64 vcc, exec, s[38:39]
	v_add_u32_e32 v0, v8, v0
	v_lshrrev_b32_e32 v1, s18, v0
	v_mul_lo_u32 v0, v1, s16
	v_sub_u32_e32 v2, v8, v0
	v_mul_lo_u32 v0, v2, s20
	v_mul_lo_u32 v4, v2, s21
	;; [unrolled: 1-line block ×3, first 2 shown]
	s_cbranch_vccnz .LBB103_13
; %bb.12:
	v_mul_hi_u32 v3, s36, v1
	v_add_u32_e32 v3, v1, v3
	v_lshrrev_b32_e32 v3, s37, v3
	v_mul_lo_u32 v3, v3, s19
	v_sub_u32_e32 v3, v1, v3
	v_mad_u64_u32 v[0:1], s[2:3], v3, s23, v[0:1]
	v_mad_u64_u32 v[4:5], s[2:3], v3, s34, v[4:5]
	;; [unrolled: 1-line block ×3, first 2 shown]
.LBB103_13:
	v_mov_b32_e32 v1, s11
	s_and_b32 s14, s74, 0xff
	v_add_co_u32_e32 v3, vcc, s10, v4
	s_cmp_lt_i32 s14, 11
	v_addc_co_u32_e32 v4, vcc, 0, v1, vcc
	s_cbranch_scc1 .LBB103_20
; %bb.14:
	s_and_b32 s44, 0xffff, s14
	s_cmp_gt_i32 s44, 25
	s_cbranch_scc0 .LBB103_29
; %bb.15:
	s_cmp_gt_i32 s44, 28
	s_cbranch_scc0 .LBB103_39
; %bb.16:
	;; [unrolled: 3-line block ×4, first 2 shown]
	s_cmp_eq_u32 s44, 46
	s_mov_b64 s[6:7], 0
	s_cbranch_scc0 .LBB103_48
; %bb.19:
	global_load_dword v1, v[3:4], off
	s_mov_b64 s[2:3], -1
	s_mov_b64 s[46:47], 0
	s_waitcnt vmcnt(0)
	v_lshlrev_b32_e32 v5, 16, v1
	s_branch .LBB103_50
.LBB103_20:
	s_mov_b64 s[46:47], 0
                                        ; implicit-def: $vgpr5
	s_mov_b64 s[2:3], 0
	s_cbranch_execnz .LBB103_116
.LBB103_21:
	s_andn2_b64 vcc, exec, s[2:3]
	s_cbranch_vccnz .LBB103_163
.LBB103_22:
	v_mov_b32_e32 v3, s13
	s_and_b32 s14, s73, 0xff
	v_add_co_u32_e32 v1, vcc, s12, v2
	s_cmp_lt_i32 s14, 11
	v_addc_co_u32_e32 v2, vcc, 0, v3, vcc
	s_cbranch_scc1 .LBB103_30
; %bb.23:
	s_and_b32 s50, 0xffff, s14
	s_cmp_gt_i32 s50, 25
	s_cbranch_scc0 .LBB103_40
; %bb.24:
	s_cmp_gt_i32 s50, 28
	s_cbranch_scc0 .LBB103_43
; %bb.25:
	;; [unrolled: 3-line block ×4, first 2 shown]
	s_cmp_eq_u32 s50, 46
	s_mov_b64 s[6:7], 0
	s_cbranch_scc0 .LBB103_164
; %bb.28:
	global_load_dword v3, v[1:2], off
	s_mov_b64 s[2:3], -1
	s_mov_b64 s[44:45], 0
	s_waitcnt vmcnt(0)
	v_lshlrev_b32_e32 v3, 16, v3
	s_branch .LBB103_166
.LBB103_29:
	s_mov_b64 s[46:47], 0
	s_mov_b64 s[2:3], 0
                                        ; implicit-def: $vgpr5
	s_cbranch_execnz .LBB103_81
	s_branch .LBB103_115
.LBB103_30:
	s_mov_b64 s[44:45], 0
                                        ; implicit-def: $vgpr3
	s_mov_b64 s[2:3], 0
	s_cbranch_execnz .LBB103_343
.LBB103_31:
	s_andn2_b64 vcc, exec, s[2:3]
	s_cbranch_vccnz .LBB103_391
.LBB103_32:
	s_waitcnt vmcnt(0)
	v_cmp_eq_f32_e32 vcc, v5, v3
	v_cndmask_b32_e64 v1, 0, 1, vcc
	v_cmp_neq_f32_e32 vcc, v5, v3
	v_cndmask_b32_e64 v2, 0, 1, vcc
	v_cndmask_b32_e64 v1, v2, v1, s[0:1]
	v_and_b32_e32 v1, 1, v1
	v_cmp_eq_u32_e64 s[2:3], 1, v1
	v_mov_b32_e32 v1, s9
	s_and_b32 s14, s15, 0xff
	v_add_co_u32_e32 v0, vcc, s8, v0
	s_cmp_lt_i32 s14, 11
	v_addc_co_u32_e32 v1, vcc, 0, v1, vcc
	s_cbranch_scc1 .LBB103_41
; %bb.33:
	s_and_b32 s56, 0xffff, s14
	s_cmp_gt_i32 s56, 25
	s_cbranch_scc0 .LBB103_44
; %bb.34:
	s_cmp_gt_i32 s56, 28
	s_cbranch_scc0 .LBB103_47
; %bb.35:
	s_cmp_gt_i32 s56, 43
	s_cbranch_scc0 .LBB103_54
; %bb.36:
	s_cmp_gt_i32 s56, 45
	s_cbranch_scc0 .LBB103_169
; %bb.37:
	s_mov_b64 s[50:51], 0
	s_mov_b64 s[6:7], -1
	s_cmp_eq_u32 s56, 46
	s_mov_b64 s[42:43], 0
	s_cbranch_scc0 .LBB103_170
; %bb.38:
	v_cndmask_b32_e64 v2, 0, 1.0, s[2:3]
	v_bfe_u32 v3, v2, 16, 1
	s_movk_i32 s6, 0x7fff
	v_add3_u32 v2, v2, v3, s6
	v_lshrrev_b32_e32 v2, 16, v2
	global_store_dword v[0:1], v2, off
	s_mov_b64 s[42:43], -1
	s_mov_b64 s[6:7], 0
	s_branch .LBB103_170
.LBB103_39:
	s_mov_b64 s[6:7], -1
	s_mov_b64 s[46:47], 0
	s_mov_b64 s[2:3], 0
                                        ; implicit-def: $vgpr5
	s_branch .LBB103_62
.LBB103_40:
	s_mov_b64 s[6:7], -1
	s_mov_b64 s[44:45], 0
	s_mov_b64 s[2:3], 0
                                        ; implicit-def: $vgpr3
	s_branch .LBB103_307
.LBB103_41:
	s_mov_b64 s[50:51], -1
	s_mov_b64 s[6:7], 0
	s_mov_b64 s[42:43], 0
	s_branch .LBB103_239
.LBB103_42:
	s_mov_b64 s[6:7], -1
	s_mov_b64 s[46:47], 0
	s_mov_b64 s[2:3], 0
                                        ; implicit-def: $vgpr5
	s_branch .LBB103_57
.LBB103_43:
	s_mov_b64 s[6:7], -1
	s_mov_b64 s[44:45], 0
	s_mov_b64 s[2:3], 0
                                        ; implicit-def: $vgpr3
	s_branch .LBB103_288
.LBB103_44:
	s_mov_b64 s[50:51], -1
	s_mov_b64 s[6:7], 0
	s_mov_b64 s[42:43], 0
	s_branch .LBB103_197
.LBB103_45:
	s_mov_b64 s[6:7], -1
	s_mov_b64 s[46:47], 0
	s_branch .LBB103_49
.LBB103_46:
	s_mov_b64 s[6:7], -1
	s_mov_b64 s[44:45], 0
	s_mov_b64 s[2:3], 0
                                        ; implicit-def: $vgpr3
	s_branch .LBB103_283
.LBB103_47:
	s_mov_b64 s[50:51], -1
	s_mov_b64 s[6:7], 0
	s_mov_b64 s[42:43], 0
	s_branch .LBB103_180
.LBB103_48:
	s_mov_b64 s[46:47], -1
.LBB103_49:
	s_mov_b64 s[2:3], 0
                                        ; implicit-def: $vgpr5
.LBB103_50:
	s_and_b64 vcc, exec, s[6:7]
	s_cbranch_vccz .LBB103_56
; %bb.51:
	s_cmp_eq_u32 s44, 44
	s_cbranch_scc0 .LBB103_55
; %bb.52:
	global_load_ubyte v1, v[3:4], off
	s_movk_i32 s6, 0xff
	v_mov_b32_e32 v5, 0x7f800001
	v_mov_b32_e32 v6, 0x400000
	s_mov_b64 s[2:3], -1
	s_mov_b64 s[46:47], 0
	s_waitcnt vmcnt(0)
	v_lshlrev_b32_e32 v7, 23, v1
	v_cmp_ne_u32_e32 vcc, s6, v1
	v_cndmask_b32_e32 v5, v5, v7, vcc
	v_cmp_ne_u32_e32 vcc, 0, v1
	v_cndmask_b32_e32 v5, v6, v5, vcc
	s_branch .LBB103_56
.LBB103_53:
	s_mov_b64 s[6:7], -1
	s_mov_b64 s[44:45], 0
	s_branch .LBB103_165
.LBB103_54:
	s_mov_b64 s[50:51], -1
	s_mov_b64 s[6:7], 0
	s_mov_b64 s[42:43], 0
	s_branch .LBB103_176
.LBB103_55:
	s_mov_b64 s[46:47], -1
                                        ; implicit-def: $vgpr5
.LBB103_56:
	s_mov_b64 s[6:7], 0
.LBB103_57:
	s_and_b64 vcc, exec, s[6:7]
	s_cbranch_vccz .LBB103_61
; %bb.58:
	s_cmp_eq_u32 s44, 29
	s_cbranch_scc0 .LBB103_60
; %bb.59:
	global_load_dwordx2 v[5:6], v[3:4], off
	s_mov_b64 s[2:3], -1
	s_mov_b64 s[46:47], 0
	s_mov_b64 s[6:7], 0
	s_waitcnt vmcnt(0)
	v_ffbh_u32_e32 v1, v6
	v_min_u32_e32 v1, 32, v1
	v_lshlrev_b64 v[5:6], v1, v[5:6]
	v_sub_u32_e32 v1, 32, v1
	v_min_u32_e32 v5, 1, v5
	v_or_b32_e32 v5, v6, v5
	v_cvt_f32_u32_e32 v5, v5
	v_ldexp_f32 v5, v5, v1
	s_branch .LBB103_62
.LBB103_60:
	s_mov_b64 s[46:47], -1
                                        ; implicit-def: $vgpr5
.LBB103_61:
	s_mov_b64 s[6:7], 0
.LBB103_62:
	s_and_b64 vcc, exec, s[6:7]
	s_cbranch_vccz .LBB103_80
; %bb.63:
	s_cmp_lt_i32 s44, 27
	s_cbranch_scc1 .LBB103_66
; %bb.64:
	s_cmp_gt_i32 s44, 27
	s_cbranch_scc0 .LBB103_67
; %bb.65:
	global_load_dword v1, v[3:4], off
	s_mov_b64 s[2:3], 0
	s_waitcnt vmcnt(0)
	v_cvt_f32_u32_e32 v5, v1
	s_branch .LBB103_68
.LBB103_66:
	s_mov_b64 s[2:3], -1
                                        ; implicit-def: $vgpr5
	s_branch .LBB103_71
.LBB103_67:
	s_mov_b64 s[2:3], -1
                                        ; implicit-def: $vgpr5
.LBB103_68:
	s_andn2_b64 vcc, exec, s[2:3]
	s_cbranch_vccnz .LBB103_70
; %bb.69:
	global_load_ushort v1, v[3:4], off
	s_waitcnt vmcnt(0)
	v_cvt_f32_u32_e32 v5, v1
.LBB103_70:
	s_mov_b64 s[2:3], 0
.LBB103_71:
	s_andn2_b64 vcc, exec, s[2:3]
	s_cbranch_vccnz .LBB103_79
; %bb.72:
	global_load_ubyte v1, v[3:4], off
	s_movk_i32 s2, 0x7f
	s_waitcnt vmcnt(0)
	v_cmp_lt_i16_e32 vcc, s2, v1
	s_mov_b64 s[2:3], 0
	s_and_saveexec_b64 s[6:7], vcc
	s_xor_b64 s[6:7], exec, s[6:7]
	s_cbranch_execz .LBB103_92
; %bb.73:
	s_movk_i32 s2, 0x80
	v_cmp_eq_u16_e32 vcc, s2, v1
	s_mov_b64 s[2:3], -1
	s_and_saveexec_b64 s[42:43], vcc
; %bb.74:
	s_xor_b64 s[2:3], exec, -1
; %bb.75:
	s_or_b64 exec, exec, s[42:43]
	s_and_b64 s[2:3], s[2:3], exec
	s_or_saveexec_b64 s[6:7], s[6:7]
	v_mov_b32_e32 v5, 0x7f800001
	s_xor_b64 exec, exec, s[6:7]
	s_cbranch_execnz .LBB103_93
.LBB103_76:
	s_or_b64 exec, exec, s[6:7]
	s_and_saveexec_b64 s[6:7], s[2:3]
	s_cbranch_execz .LBB103_78
.LBB103_77:
	v_lshlrev_b32_e32 v5, 24, v1
	v_and_b32_e32 v1, 0xffff, v1
	v_and_b32_e32 v6, 7, v1
	v_ffbh_u32_e32 v9, v6
	v_min_u32_e32 v9, 32, v9
	v_subrev_u32_e32 v10, 28, v9
	v_bfe_u32 v7, v1, 3, 4
	v_lshlrev_b32_e32 v1, v10, v1
	v_sub_u32_e32 v9, 29, v9
	v_and_b32_e32 v1, 7, v1
	v_cmp_eq_u32_e32 vcc, 0, v7
	v_cndmask_b32_e32 v7, v7, v9, vcc
	v_cndmask_b32_e32 v1, v6, v1, vcc
	v_mov_b32_e32 v6, 0x3b800000
	v_lshlrev_b32_e32 v1, 20, v1
	v_and_b32_e32 v5, 0x80000000, v5
	v_lshl_add_u32 v6, v7, 23, v6
	v_or3_b32 v5, v5, v6, v1
.LBB103_78:
	s_or_b64 exec, exec, s[6:7]
.LBB103_79:
	s_mov_b64 s[2:3], -1
.LBB103_80:
	s_branch .LBB103_115
.LBB103_81:
	s_cmp_gt_i32 s44, 22
	s_cbranch_scc0 .LBB103_91
; %bb.82:
	s_cmp_lt_i32 s44, 24
	s_cbranch_scc1 .LBB103_94
; %bb.83:
	s_cmp_gt_i32 s44, 24
	s_cbranch_scc0 .LBB103_95
; %bb.84:
	global_load_ubyte v1, v[3:4], off
	s_movk_i32 s2, 0x7f
	s_waitcnt vmcnt(0)
	v_cmp_lt_i16_e32 vcc, s2, v1
	s_mov_b64 s[2:3], 0
	s_and_saveexec_b64 s[6:7], vcc
	s_xor_b64 s[6:7], exec, s[6:7]
	s_cbranch_execz .LBB103_107
; %bb.85:
	s_movk_i32 s2, 0x80
	v_cmp_eq_u16_e32 vcc, s2, v1
	s_mov_b64 s[2:3], -1
	s_and_saveexec_b64 s[42:43], vcc
; %bb.86:
	s_xor_b64 s[2:3], exec, -1
; %bb.87:
	s_or_b64 exec, exec, s[42:43]
	s_and_b64 s[2:3], s[2:3], exec
	s_or_saveexec_b64 s[6:7], s[6:7]
	v_mov_b32_e32 v5, 0x7f800001
	s_xor_b64 exec, exec, s[6:7]
	s_cbranch_execnz .LBB103_108
.LBB103_88:
	s_or_b64 exec, exec, s[6:7]
	s_and_saveexec_b64 s[6:7], s[2:3]
	s_cbranch_execz .LBB103_90
.LBB103_89:
	v_lshlrev_b32_e32 v5, 24, v1
	v_and_b32_e32 v1, 0xffff, v1
	v_and_b32_e32 v6, 3, v1
	v_ffbh_u32_e32 v9, v6
	v_min_u32_e32 v9, 32, v9
	v_subrev_u32_e32 v10, 29, v9
	v_bfe_u32 v7, v1, 2, 5
	v_lshlrev_b32_e32 v1, v10, v1
	v_sub_u32_e32 v9, 30, v9
	v_and_b32_e32 v1, 3, v1
	v_cmp_eq_u32_e32 vcc, 0, v7
	v_cndmask_b32_e32 v7, v7, v9, vcc
	v_cndmask_b32_e32 v1, v6, v1, vcc
	v_mov_b32_e32 v6, 0x37800000
	v_lshlrev_b32_e32 v1, 21, v1
	v_and_b32_e32 v5, 0x80000000, v5
	v_lshl_add_u32 v6, v7, 23, v6
	v_or3_b32 v5, v5, v6, v1
.LBB103_90:
	s_or_b64 exec, exec, s[6:7]
	s_mov_b64 s[2:3], 0
	s_branch .LBB103_96
.LBB103_91:
	s_mov_b64 s[6:7], -1
                                        ; implicit-def: $vgpr5
	s_branch .LBB103_102
.LBB103_92:
	s_or_saveexec_b64 s[6:7], s[6:7]
	v_mov_b32_e32 v5, 0x7f800001
	s_xor_b64 exec, exec, s[6:7]
	s_cbranch_execz .LBB103_76
.LBB103_93:
	v_cmp_ne_u16_e32 vcc, 0, v1
	s_andn2_b64 s[2:3], s[2:3], exec
	s_and_b64 s[42:43], vcc, exec
	v_mov_b32_e32 v5, 0
	s_or_b64 s[2:3], s[2:3], s[42:43]
	s_or_b64 exec, exec, s[6:7]
	s_and_saveexec_b64 s[6:7], s[2:3]
	s_cbranch_execnz .LBB103_77
	s_branch .LBB103_78
.LBB103_94:
	s_mov_b64 s[2:3], -1
                                        ; implicit-def: $vgpr5
	s_branch .LBB103_99
.LBB103_95:
	s_mov_b64 s[2:3], -1
                                        ; implicit-def: $vgpr5
.LBB103_96:
	s_and_b64 vcc, exec, s[2:3]
	s_cbranch_vccz .LBB103_98
; %bb.97:
	global_load_ubyte v1, v[3:4], off
	s_mov_b32 s2, 0x7f800000
	s_waitcnt vmcnt(0)
	v_lshlrev_b32_e32 v1, 24, v1
	v_and_b32_e32 v5, 0x7f000000, v1
	v_ffbh_u32_e32 v6, v5
	v_min_u32_e32 v6, 32, v6
	v_sub_u32_e64 v6, v6, 4 clamp
	v_lshlrev_b32_e32 v9, v6, v5
	v_lshlrev_b32_e32 v6, 23, v6
	v_lshrrev_b32_e32 v9, 4, v9
	v_add_u32_e32 v7, 0x1000000, v5
	v_sub_u32_e32 v6, v9, v6
	v_ashrrev_i32_e32 v7, 8, v7
	v_add_u32_e32 v6, 0x3c000000, v6
	v_and_or_b32 v6, v7, s2, v6
	v_cmp_ne_u32_e32 vcc, 0, v5
	v_cndmask_b32_e32 v5, 0, v6, vcc
	s_brev_b32 s2, 1
	v_and_or_b32 v5, v1, s2, v5
.LBB103_98:
	s_mov_b64 s[2:3], 0
.LBB103_99:
	s_andn2_b64 vcc, exec, s[2:3]
	s_cbranch_vccnz .LBB103_101
; %bb.100:
	global_load_ubyte v1, v[3:4], off
	s_movk_i32 s2, 0x7f00
	s_brev_b32 s3, 16
	s_waitcnt vmcnt(0)
	v_lshlrev_b16_e32 v5, 8, v1
	v_lshlrev_b32_e32 v1, 25, v1
	v_lshrrev_b32_e32 v6, 4, v1
	v_and_or_b32 v7, v5, s2, 0.5
	v_or_b32_e32 v6, 0x70000000, v6
	v_add_f32_e32 v7, -0.5, v7
	v_mul_f32_e32 v6, 0x7800000, v6
	v_cmp_gt_u32_e32 vcc, s3, v1
	v_bfe_i32 v5, v5, 0, 16
	v_cndmask_b32_e32 v1, v6, v7, vcc
	s_brev_b32 s2, 1
	v_and_or_b32 v5, v5, s2, v1
.LBB103_101:
	s_mov_b64 s[6:7], 0
	s_mov_b64 s[2:3], -1
.LBB103_102:
	s_andn2_b64 vcc, exec, s[6:7]
	s_cbranch_vccnz .LBB103_115
; %bb.103:
	s_cmp_gt_i32 s44, 14
	s_cbranch_scc0 .LBB103_106
; %bb.104:
	s_cmp_eq_u32 s44, 15
	s_cbranch_scc0 .LBB103_109
; %bb.105:
	global_load_ushort v1, v[3:4], off
	s_mov_b64 s[2:3], -1
	s_mov_b64 s[46:47], 0
	s_waitcnt vmcnt(0)
	v_lshlrev_b32_e32 v5, 16, v1
	s_branch .LBB103_110
.LBB103_106:
	s_mov_b64 s[6:7], -1
                                        ; implicit-def: $vgpr5
	s_branch .LBB103_111
.LBB103_107:
	s_or_saveexec_b64 s[6:7], s[6:7]
	v_mov_b32_e32 v5, 0x7f800001
	s_xor_b64 exec, exec, s[6:7]
	s_cbranch_execz .LBB103_88
.LBB103_108:
	v_cmp_ne_u16_e32 vcc, 0, v1
	s_andn2_b64 s[2:3], s[2:3], exec
	s_and_b64 s[42:43], vcc, exec
	v_mov_b32_e32 v5, 0
	s_or_b64 s[2:3], s[2:3], s[42:43]
	s_or_b64 exec, exec, s[6:7]
	s_and_saveexec_b64 s[6:7], s[2:3]
	s_cbranch_execnz .LBB103_89
	s_branch .LBB103_90
.LBB103_109:
	s_mov_b64 s[46:47], -1
                                        ; implicit-def: $vgpr5
.LBB103_110:
	s_mov_b64 s[6:7], 0
.LBB103_111:
	s_and_b64 vcc, exec, s[6:7]
	s_cbranch_vccz .LBB103_115
; %bb.112:
	s_cmp_eq_u32 s44, 11
	s_cbranch_scc0 .LBB103_114
; %bb.113:
	global_load_ubyte v1, v[3:4], off
	s_mov_b64 s[2:3], -1
	s_mov_b64 s[46:47], 0
	s_waitcnt vmcnt(0)
	v_cmp_ne_u16_e32 vcc, 0, v1
	v_cndmask_b32_e64 v5, 0, 1.0, vcc
	s_branch .LBB103_115
.LBB103_114:
	s_mov_b64 s[46:47], -1
                                        ; implicit-def: $vgpr5
.LBB103_115:
	s_branch .LBB103_21
.LBB103_116:
	s_and_b32 s6, 0xffff, s14
	s_cmp_lt_i32 s6, 5
	s_cbranch_scc1 .LBB103_121
; %bb.117:
	s_cmp_lt_i32 s6, 8
	s_cbranch_scc1 .LBB103_122
; %bb.118:
	;; [unrolled: 3-line block ×3, first 2 shown]
	s_cmp_gt_i32 s6, 9
	s_cbranch_scc0 .LBB103_124
; %bb.120:
	global_load_dwordx2 v[5:6], v[3:4], off
	s_mov_b64 s[2:3], 0
	s_waitcnt vmcnt(0)
	v_cvt_f32_f64_e32 v5, v[5:6]
	s_branch .LBB103_125
.LBB103_121:
                                        ; implicit-def: $vgpr5
	s_branch .LBB103_143
.LBB103_122:
	s_mov_b64 s[2:3], -1
                                        ; implicit-def: $vgpr5
	s_branch .LBB103_131
.LBB103_123:
	s_mov_b64 s[2:3], -1
                                        ; implicit-def: $vgpr5
	s_branch .LBB103_128
.LBB103_124:
	s_mov_b64 s[2:3], -1
                                        ; implicit-def: $vgpr5
.LBB103_125:
	s_andn2_b64 vcc, exec, s[2:3]
	s_cbranch_vccnz .LBB103_127
; %bb.126:
	global_load_dword v5, v[3:4], off
.LBB103_127:
	s_mov_b64 s[2:3], 0
.LBB103_128:
	s_andn2_b64 vcc, exec, s[2:3]
	s_cbranch_vccnz .LBB103_130
; %bb.129:
	global_load_dword v1, v[3:4], off
	s_waitcnt vmcnt(0)
	v_cvt_f32_f16_e32 v5, v1
.LBB103_130:
	s_mov_b64 s[2:3], 0
.LBB103_131:
	s_andn2_b64 vcc, exec, s[2:3]
	s_cbranch_vccnz .LBB103_142
; %bb.132:
	s_cmp_lt_i32 s6, 6
	s_cbranch_scc1 .LBB103_135
; %bb.133:
	s_cmp_gt_i32 s6, 6
	s_cbranch_scc0 .LBB103_136
; %bb.134:
	global_load_dwordx2 v[5:6], v[3:4], off
	s_mov_b64 s[2:3], 0
	s_waitcnt vmcnt(0)
	v_cvt_f32_f64_e32 v5, v[5:6]
	s_branch .LBB103_137
.LBB103_135:
	s_mov_b64 s[2:3], -1
                                        ; implicit-def: $vgpr5
	s_branch .LBB103_140
.LBB103_136:
	s_mov_b64 s[2:3], -1
                                        ; implicit-def: $vgpr5
.LBB103_137:
	s_andn2_b64 vcc, exec, s[2:3]
	s_cbranch_vccnz .LBB103_139
; %bb.138:
	global_load_dword v5, v[3:4], off
.LBB103_139:
	s_mov_b64 s[2:3], 0
.LBB103_140:
	s_andn2_b64 vcc, exec, s[2:3]
	s_cbranch_vccnz .LBB103_142
; %bb.141:
	global_load_ushort v1, v[3:4], off
	s_waitcnt vmcnt(0)
	v_cvt_f32_f16_e32 v5, v1
.LBB103_142:
	s_cbranch_execnz .LBB103_162
.LBB103_143:
	s_cmp_lt_i32 s6, 2
	s_cbranch_scc1 .LBB103_147
; %bb.144:
	s_cmp_lt_i32 s6, 3
	s_cbranch_scc1 .LBB103_148
; %bb.145:
	s_cmp_gt_i32 s6, 3
	s_cbranch_scc0 .LBB103_149
; %bb.146:
	global_load_dwordx2 v[5:6], v[3:4], off
	s_mov_b64 s[2:3], 0
	s_waitcnt vmcnt(0)
	v_xor_b32_e32 v7, v5, v6
	v_ffbh_i32_e32 v1, v6
	v_ashrrev_i32_e32 v7, 31, v7
	v_add_u32_e32 v1, -1, v1
	v_add_u32_e32 v7, 32, v7
	v_min_u32_e32 v1, v1, v7
	v_lshlrev_b64 v[5:6], v1, v[5:6]
	v_sub_u32_e32 v1, 32, v1
	v_min_u32_e32 v5, 1, v5
	v_or_b32_e32 v5, v6, v5
	v_cvt_f32_i32_e32 v5, v5
	v_ldexp_f32 v5, v5, v1
	s_branch .LBB103_150
.LBB103_147:
	s_mov_b64 s[2:3], -1
                                        ; implicit-def: $vgpr5
	s_branch .LBB103_156
.LBB103_148:
	s_mov_b64 s[2:3], -1
                                        ; implicit-def: $vgpr5
	s_branch .LBB103_153
.LBB103_149:
	s_mov_b64 s[2:3], -1
                                        ; implicit-def: $vgpr5
.LBB103_150:
	s_andn2_b64 vcc, exec, s[2:3]
	s_cbranch_vccnz .LBB103_152
; %bb.151:
	global_load_dword v1, v[3:4], off
	s_waitcnt vmcnt(0)
	v_cvt_f32_i32_e32 v5, v1
.LBB103_152:
	s_mov_b64 s[2:3], 0
.LBB103_153:
	s_andn2_b64 vcc, exec, s[2:3]
	s_cbranch_vccnz .LBB103_155
; %bb.154:
	global_load_sshort v1, v[3:4], off
	s_waitcnt vmcnt(0)
	v_cvt_f32_i32_e32 v5, v1
.LBB103_155:
	s_mov_b64 s[2:3], 0
.LBB103_156:
	s_andn2_b64 vcc, exec, s[2:3]
	s_cbranch_vccnz .LBB103_162
; %bb.157:
	s_cmp_gt_i32 s6, 0
	s_cbranch_scc0 .LBB103_159
; %bb.158:
	global_load_sbyte v1, v[3:4], off
	s_mov_b64 s[2:3], 0
	s_waitcnt vmcnt(0)
	v_cvt_f32_i32_e32 v5, v1
	s_branch .LBB103_160
.LBB103_159:
	s_mov_b64 s[2:3], -1
                                        ; implicit-def: $vgpr5
.LBB103_160:
	s_andn2_b64 vcc, exec, s[2:3]
	s_cbranch_vccnz .LBB103_162
; %bb.161:
	global_load_ubyte v1, v[3:4], off
	s_waitcnt vmcnt(0)
	v_cvt_f32_ubyte0_e32 v5, v1
.LBB103_162:
	s_branch .LBB103_22
.LBB103_163:
	s_mov_b64 s[6:7], 0
	s_mov_b64 s[44:45], 0
	s_branch .LBB103_392
.LBB103_164:
	s_mov_b64 s[44:45], -1
.LBB103_165:
	s_mov_b64 s[2:3], 0
                                        ; implicit-def: $vgpr3
.LBB103_166:
	s_and_b64 vcc, exec, s[6:7]
	s_cbranch_vccz .LBB103_282
; %bb.167:
	s_cmp_eq_u32 s50, 44
	s_cbranch_scc0 .LBB103_281
; %bb.168:
	global_load_ubyte v3, v[1:2], off
	s_movk_i32 s6, 0xff
	v_mov_b32_e32 v4, 0x7f800001
	v_mov_b32_e32 v6, 0x400000
	s_mov_b64 s[2:3], -1
	s_mov_b64 s[44:45], 0
	s_waitcnt vmcnt(0)
	v_lshlrev_b32_e32 v7, 23, v3
	v_cmp_ne_u32_e32 vcc, s6, v3
	v_cndmask_b32_e32 v4, v4, v7, vcc
	v_cmp_ne_u32_e32 vcc, 0, v3
	v_cndmask_b32_e32 v3, v6, v4, vcc
	s_branch .LBB103_282
.LBB103_169:
	s_mov_b64 s[50:51], -1
	s_mov_b64 s[6:7], 0
	s_mov_b64 s[42:43], 0
.LBB103_170:
	s_and_b64 vcc, exec, s[50:51]
	s_cbranch_vccz .LBB103_175
; %bb.171:
	s_cmp_eq_u32 s56, 44
	s_mov_b64 s[6:7], -1
	s_cbranch_scc0 .LBB103_175
; %bb.172:
	v_cndmask_b32_e64 v3, 0, 1.0, s[2:3]
	v_lshrrev_b32_e32 v2, 23, v3
	s_movk_i32 s6, 0xff
	v_cmp_ne_u32_e32 vcc, s6, v2
	v_mov_b32_e32 v4, 0xff
	s_and_saveexec_b64 s[42:43], vcc
; %bb.173:
	s_mov_b32 s6, 0x3fffff
	v_and_b32_e32 v4, 0x400000, v3
	v_and_or_b32 v3, v3, s6, v2
	v_cmp_ne_u32_e32 vcc, 0, v4
	v_cmp_ne_u32_e64 s[6:7], 0, v3
	s_and_b64 s[6:7], vcc, s[6:7]
	v_cndmask_b32_e64 v3, 0, 1, s[6:7]
	v_add_u32_e32 v4, v2, v3
; %bb.174:
	s_or_b64 exec, exec, s[42:43]
	s_mov_b64 s[42:43], -1
	s_mov_b64 s[6:7], 0
	global_store_byte v[0:1], v4, off
.LBB103_175:
	s_mov_b64 s[50:51], 0
.LBB103_176:
	s_and_b64 vcc, exec, s[50:51]
	s_cbranch_vccz .LBB103_179
; %bb.177:
	s_cmp_eq_u32 s56, 29
	s_mov_b64 s[6:7], -1
	s_cbranch_scc0 .LBB103_179
; %bb.178:
	s_mov_b32 s6, 0
	v_cndmask_b32_e64 v2, 0, 1, s[2:3]
	v_mov_b32_e32 v3, s6
	global_store_dwordx2 v[0:1], v[2:3], off
	s_mov_b64 s[42:43], -1
	s_mov_b64 s[6:7], 0
.LBB103_179:
	s_mov_b64 s[50:51], 0
.LBB103_180:
	s_and_b64 vcc, exec, s[50:51]
	s_cbranch_vccz .LBB103_196
; %bb.181:
	s_cmp_lt_i32 s56, 27
	s_mov_b64 s[42:43], -1
	s_cbranch_scc1 .LBB103_187
; %bb.182:
	s_cmp_gt_i32 s56, 27
	s_cbranch_scc0 .LBB103_184
; %bb.183:
	v_cndmask_b32_e64 v2, 0, 1, s[2:3]
	s_mov_b64 s[42:43], 0
	global_store_dword v[0:1], v2, off
.LBB103_184:
	s_andn2_b64 vcc, exec, s[42:43]
	s_cbranch_vccnz .LBB103_186
; %bb.185:
	v_cndmask_b32_e64 v2, 0, 1, s[2:3]
	global_store_short v[0:1], v2, off
.LBB103_186:
	s_mov_b64 s[42:43], 0
.LBB103_187:
	s_andn2_b64 vcc, exec, s[42:43]
	s_cbranch_vccnz .LBB103_195
; %bb.188:
	v_cndmask_b32_e64 v3, 0, 1.0, s[2:3]
	s_mov_b32 s42, 0x43800000
	v_cmp_gt_u32_e32 vcc, s42, v3
	v_mov_b32_e32 v4, 0x80
	s_and_saveexec_b64 s[42:43], vcc
	s_cbranch_execz .LBB103_194
; %bb.189:
	s_mov_b32 s50, 0x3bffffff
	v_cmp_lt_u32_e32 vcc, s50, v3
	s_mov_b64 s[50:51], 0
                                        ; implicit-def: $vgpr2
	s_and_saveexec_b64 s[54:55], vcc
	s_xor_b64 s[54:55], exec, s[54:55]
	s_cbranch_execz .LBB103_434
; %bb.190:
	v_bfe_u32 v2, v3, 20, 1
	s_mov_b32 s57, 0x487ffff
	v_add3_u32 v2, v3, v2, s57
	s_mov_b64 s[50:51], exec
	v_lshrrev_b32_e32 v2, 20, v2
                                        ; implicit-def: $vgpr3
	s_andn2_saveexec_b64 s[54:55], s[54:55]
	s_cbranch_execnz .LBB103_435
.LBB103_191:
	s_or_b64 exec, exec, s[54:55]
	v_mov_b32_e32 v4, 0
	s_and_saveexec_b64 s[54:55], s[50:51]
.LBB103_192:
	v_mov_b32_e32 v4, v2
.LBB103_193:
	s_or_b64 exec, exec, s[54:55]
.LBB103_194:
	s_or_b64 exec, exec, s[42:43]
	global_store_byte v[0:1], v4, off
.LBB103_195:
	s_mov_b64 s[42:43], -1
.LBB103_196:
	s_mov_b64 s[50:51], 0
.LBB103_197:
	s_and_b64 vcc, exec, s[50:51]
	s_cbranch_vccz .LBB103_238
; %bb.198:
	s_cmp_gt_i32 s56, 22
	s_mov_b64 s[50:51], -1
	s_cbranch_scc0 .LBB103_230
; %bb.199:
	s_cmp_lt_i32 s56, 24
	s_mov_b64 s[42:43], -1
	s_cbranch_scc1 .LBB103_219
; %bb.200:
	s_cmp_gt_i32 s56, 24
	s_cbranch_scc0 .LBB103_208
; %bb.201:
	v_cndmask_b32_e64 v3, 0, 1.0, s[2:3]
	s_mov_b32 s42, 0x47800000
	v_cmp_gt_u32_e32 vcc, s42, v3
	v_mov_b32_e32 v4, 0x80
	s_and_saveexec_b64 s[42:43], vcc
	s_cbranch_execz .LBB103_207
; %bb.202:
	s_mov_b32 s50, 0x37ffffff
	v_cmp_lt_u32_e32 vcc, s50, v3
	s_mov_b64 s[50:51], 0
                                        ; implicit-def: $vgpr2
	s_and_saveexec_b64 s[54:55], vcc
	s_xor_b64 s[54:55], exec, s[54:55]
	s_cbranch_execz .LBB103_553
; %bb.203:
	v_bfe_u32 v2, v3, 21, 1
	s_mov_b32 s57, 0x88fffff
	v_add3_u32 v2, v3, v2, s57
	s_mov_b64 s[50:51], exec
	v_lshrrev_b32_e32 v2, 21, v2
                                        ; implicit-def: $vgpr3
	s_andn2_saveexec_b64 s[54:55], s[54:55]
	s_cbranch_execnz .LBB103_554
.LBB103_204:
	s_or_b64 exec, exec, s[54:55]
	v_mov_b32_e32 v4, 0
	s_and_saveexec_b64 s[54:55], s[50:51]
.LBB103_205:
	v_mov_b32_e32 v4, v2
.LBB103_206:
	s_or_b64 exec, exec, s[54:55]
.LBB103_207:
	s_or_b64 exec, exec, s[42:43]
	s_mov_b64 s[42:43], 0
	global_store_byte v[0:1], v4, off
.LBB103_208:
	s_and_b64 vcc, exec, s[42:43]
	s_cbranch_vccz .LBB103_218
; %bb.209:
	v_cndmask_b32_e64 v2, 0, 1.0, s[2:3]
	s_mov_b32 s42, 0x43f00000
	v_cmp_gt_u32_e32 vcc, s42, v2
                                        ; implicit-def: $vgpr3
	s_and_saveexec_b64 s[42:43], vcc
	s_xor_b64 s[42:43], exec, s[42:43]
	s_cbranch_execz .LBB103_215
; %bb.210:
	s_mov_b32 s50, 0x3c7fffff
	v_cmp_lt_u32_e32 vcc, s50, v2
                                        ; implicit-def: $vgpr3
	s_and_saveexec_b64 s[50:51], vcc
	s_xor_b64 s[50:51], exec, s[50:51]
; %bb.211:
	v_bfe_u32 v3, v2, 20, 1
	s_mov_b32 s54, 0x407ffff
	v_add3_u32 v2, v2, v3, s54
	v_lshrrev_b32_e32 v3, 20, v2
	v_and_b32_e32 v2, 0xff00000, v2
	s_mov_b32 s54, 0x7f00000
	v_mov_b32_e32 v4, 0x7e
	v_cmp_ne_u32_e32 vcc, s54, v2
	v_cndmask_b32_e32 v3, v4, v3, vcc
                                        ; implicit-def: $vgpr2
; %bb.212:
	s_andn2_saveexec_b64 s[50:51], s[50:51]
; %bb.213:
	v_add_f32_e32 v3, 0x46800000, v2
; %bb.214:
	s_or_b64 exec, exec, s[50:51]
                                        ; implicit-def: $vgpr2
.LBB103_215:
	s_andn2_saveexec_b64 s[42:43], s[42:43]
; %bb.216:
	s_mov_b32 s50, 0x7f800000
	v_mov_b32_e32 v3, 0x7e
	v_mov_b32_e32 v4, 0x7f
	v_cmp_lt_u32_e32 vcc, s50, v2
	v_cndmask_b32_e32 v3, v3, v4, vcc
; %bb.217:
	s_or_b64 exec, exec, s[42:43]
	global_store_byte v[0:1], v3, off
.LBB103_218:
	s_mov_b64 s[42:43], 0
.LBB103_219:
	s_andn2_b64 vcc, exec, s[42:43]
	s_cbranch_vccnz .LBB103_229
; %bb.220:
	v_cndmask_b32_e64 v2, 0, 1.0, s[2:3]
	s_mov_b32 s42, 0x47800000
	v_cmp_gt_u32_e32 vcc, s42, v2
                                        ; implicit-def: $vgpr3
	s_and_saveexec_b64 s[42:43], vcc
	s_xor_b64 s[42:43], exec, s[42:43]
	s_cbranch_execz .LBB103_226
; %bb.221:
	s_mov_b32 s50, 0x387fffff
	v_cmp_lt_u32_e32 vcc, s50, v2
                                        ; implicit-def: $vgpr3
	s_and_saveexec_b64 s[50:51], vcc
	s_xor_b64 s[50:51], exec, s[50:51]
; %bb.222:
	v_bfe_u32 v3, v2, 21, 1
	s_mov_b32 s54, 0x80fffff
	v_add3_u32 v2, v2, v3, s54
	v_lshrrev_b32_e32 v3, 21, v2
                                        ; implicit-def: $vgpr2
; %bb.223:
	s_andn2_saveexec_b64 s[50:51], s[50:51]
; %bb.224:
	v_add_f32_e32 v3, 0x43000000, v2
; %bb.225:
	s_or_b64 exec, exec, s[50:51]
                                        ; implicit-def: $vgpr2
.LBB103_226:
	s_andn2_saveexec_b64 s[42:43], s[42:43]
; %bb.227:
	s_mov_b32 s50, 0x7f800000
	v_mov_b32_e32 v3, 0x7c
	v_mov_b32_e32 v4, 0x7f
	v_cmp_lt_u32_e32 vcc, s50, v2
	v_cndmask_b32_e32 v3, v3, v4, vcc
; %bb.228:
	s_or_b64 exec, exec, s[42:43]
	global_store_byte v[0:1], v3, off
.LBB103_229:
	s_mov_b64 s[50:51], 0
	s_mov_b64 s[42:43], -1
.LBB103_230:
	s_andn2_b64 vcc, exec, s[50:51]
	s_cbranch_vccnz .LBB103_238
; %bb.231:
	s_cmp_gt_i32 s56, 14
	s_mov_b64 s[50:51], -1
	s_cbranch_scc0 .LBB103_235
; %bb.232:
	s_cmp_eq_u32 s56, 15
	s_mov_b64 s[6:7], -1
	s_cbranch_scc0 .LBB103_234
; %bb.233:
	v_cndmask_b32_e64 v2, 0, 1.0, s[2:3]
	v_bfe_u32 v3, v2, 16, 1
	s_movk_i32 s6, 0x7fff
	v_add3_u32 v2, v2, v3, s6
	global_store_short_d16_hi v[0:1], v2, off
	s_mov_b64 s[42:43], -1
	s_mov_b64 s[6:7], 0
.LBB103_234:
	s_mov_b64 s[50:51], 0
.LBB103_235:
	s_and_b64 vcc, exec, s[50:51]
	s_cbranch_vccz .LBB103_238
; %bb.236:
	s_cmp_eq_u32 s56, 11
	s_mov_b64 s[6:7], -1
	s_cbranch_scc0 .LBB103_238
; %bb.237:
	v_cndmask_b32_e64 v2, 0, 1, s[2:3]
	s_mov_b64 s[42:43], -1
	s_mov_b64 s[6:7], 0
	global_store_byte v[0:1], v2, off
.LBB103_238:
	s_mov_b64 s[50:51], 0
.LBB103_239:
	s_and_b64 vcc, exec, s[50:51]
	s_cbranch_vccz .LBB103_278
; %bb.240:
	s_and_b32 s14, 0xffff, s14
	s_cmp_lt_i32 s14, 5
	s_mov_b64 s[42:43], -1
	s_cbranch_scc1 .LBB103_261
; %bb.241:
	s_cmp_lt_i32 s14, 8
	s_cbranch_scc1 .LBB103_251
; %bb.242:
	s_cmp_lt_i32 s14, 9
	s_cbranch_scc1 .LBB103_248
; %bb.243:
	s_cmp_gt_i32 s14, 9
	s_cbranch_scc0 .LBB103_245
; %bb.244:
	v_cndmask_b32_e64 v2, 0, 1, s[2:3]
	v_cvt_f64_u32_e32 v[2:3], v2
	v_mov_b32_e32 v4, 0
	v_mov_b32_e32 v5, v4
	s_mov_b64 s[42:43], 0
	global_store_dwordx4 v[0:1], v[2:5], off
.LBB103_245:
	s_andn2_b64 vcc, exec, s[42:43]
	s_cbranch_vccnz .LBB103_247
; %bb.246:
	v_cndmask_b32_e64 v2, 0, 1.0, s[2:3]
	v_mov_b32_e32 v3, 0
	global_store_dwordx2 v[0:1], v[2:3], off
.LBB103_247:
	s_mov_b64 s[42:43], 0
.LBB103_248:
	s_andn2_b64 vcc, exec, s[42:43]
	s_cbranch_vccnz .LBB103_250
; %bb.249:
	v_cndmask_b32_e64 v2, 0, 1.0, s[2:3]
	v_cvt_f16_f32_e32 v2, v2
	global_store_dword v[0:1], v2, off
.LBB103_250:
	s_mov_b64 s[42:43], 0
.LBB103_251:
	s_andn2_b64 vcc, exec, s[42:43]
	s_cbranch_vccnz .LBB103_260
; %bb.252:
	s_cmp_lt_i32 s14, 6
	s_mov_b64 s[42:43], -1
	s_cbranch_scc1 .LBB103_258
; %bb.253:
	s_cmp_gt_i32 s14, 6
	s_cbranch_scc0 .LBB103_255
; %bb.254:
	v_cndmask_b32_e64 v2, 0, 1, s[2:3]
	v_cvt_f64_u32_e32 v[2:3], v2
	s_mov_b64 s[42:43], 0
	global_store_dwordx2 v[0:1], v[2:3], off
.LBB103_255:
	s_andn2_b64 vcc, exec, s[42:43]
	s_cbranch_vccnz .LBB103_257
; %bb.256:
	v_cndmask_b32_e64 v2, 0, 1.0, s[2:3]
	global_store_dword v[0:1], v2, off
.LBB103_257:
	s_mov_b64 s[42:43], 0
.LBB103_258:
	s_andn2_b64 vcc, exec, s[42:43]
	s_cbranch_vccnz .LBB103_260
; %bb.259:
	v_cndmask_b32_e64 v2, 0, 1.0, s[2:3]
	v_cvt_f16_f32_e32 v2, v2
	global_store_short v[0:1], v2, off
.LBB103_260:
	s_mov_b64 s[42:43], 0
.LBB103_261:
	s_andn2_b64 vcc, exec, s[42:43]
	s_cbranch_vccnz .LBB103_277
; %bb.262:
	s_cmp_lt_i32 s14, 2
	s_mov_b64 s[42:43], -1
	s_cbranch_scc1 .LBB103_272
; %bb.263:
	s_cmp_lt_i32 s14, 3
	s_cbranch_scc1 .LBB103_269
; %bb.264:
	s_cmp_gt_i32 s14, 3
	s_cbranch_scc0 .LBB103_266
; %bb.265:
	s_mov_b32 s42, 0
	v_cndmask_b32_e64 v2, 0, 1, s[2:3]
	v_mov_b32_e32 v3, s42
	global_store_dwordx2 v[0:1], v[2:3], off
	s_mov_b64 s[42:43], 0
.LBB103_266:
	s_andn2_b64 vcc, exec, s[42:43]
	s_cbranch_vccnz .LBB103_268
; %bb.267:
	v_cndmask_b32_e64 v2, 0, 1, s[2:3]
	global_store_dword v[0:1], v2, off
.LBB103_268:
	s_mov_b64 s[42:43], 0
.LBB103_269:
	s_andn2_b64 vcc, exec, s[42:43]
	s_cbranch_vccnz .LBB103_271
; %bb.270:
	v_cndmask_b32_e64 v2, 0, 1, s[2:3]
	global_store_short v[0:1], v2, off
.LBB103_271:
	s_mov_b64 s[42:43], 0
.LBB103_272:
	s_andn2_b64 vcc, exec, s[42:43]
	s_cbranch_vccnz .LBB103_277
; %bb.273:
	s_cmp_gt_i32 s14, 0
	s_mov_b64 s[42:43], -1
	s_cbranch_scc0 .LBB103_275
; %bb.274:
	v_cndmask_b32_e64 v2, 0, 1, s[2:3]
	global_store_byte v[0:1], v2, off
	s_mov_b64 s[42:43], 0
.LBB103_275:
	s_andn2_b64 vcc, exec, s[42:43]
	s_cbranch_vccnz .LBB103_277
; %bb.276:
	v_cndmask_b32_e64 v2, 0, 1, s[2:3]
	global_store_byte v[0:1], v2, off
.LBB103_277:
	s_mov_b64 s[42:43], -1
.LBB103_278:
	s_andn2_b64 vcc, exec, s[42:43]
	s_cbranch_vccnz .LBB103_280
; %bb.279:
	v_add_u32_e32 v8, 0x80, v8
	s_mov_b64 s[2:3], -1
	s_branch .LBB103_393
.LBB103_280:
	s_mov_b64 s[2:3], 0
                                        ; implicit-def: $vgpr8
	s_branch .LBB103_393
.LBB103_281:
	s_mov_b64 s[44:45], -1
                                        ; implicit-def: $vgpr3
.LBB103_282:
	s_mov_b64 s[6:7], 0
.LBB103_283:
	s_and_b64 vcc, exec, s[6:7]
	s_cbranch_vccz .LBB103_287
; %bb.284:
	s_cmp_eq_u32 s50, 29
	s_cbranch_scc0 .LBB103_286
; %bb.285:
	global_load_dwordx2 v[3:4], v[1:2], off
	s_mov_b64 s[2:3], -1
	s_mov_b64 s[44:45], 0
	s_mov_b64 s[6:7], 0
	s_waitcnt vmcnt(0)
	v_ffbh_u32_e32 v6, v4
	v_min_u32_e32 v6, 32, v6
	v_lshlrev_b64 v[3:4], v6, v[3:4]
	v_min_u32_e32 v3, 1, v3
	v_or_b32_e32 v3, v4, v3
	v_cvt_f32_u32_e32 v3, v3
	v_sub_u32_e32 v4, 32, v6
	v_ldexp_f32 v3, v3, v4
	s_branch .LBB103_288
.LBB103_286:
	s_mov_b64 s[44:45], -1
                                        ; implicit-def: $vgpr3
.LBB103_287:
	s_mov_b64 s[6:7], 0
.LBB103_288:
	s_and_b64 vcc, exec, s[6:7]
	s_cbranch_vccz .LBB103_306
; %bb.289:
	s_cmp_lt_i32 s50, 27
	s_cbranch_scc1 .LBB103_292
; %bb.290:
	s_cmp_gt_i32 s50, 27
	s_cbranch_scc0 .LBB103_293
; %bb.291:
	global_load_dword v3, v[1:2], off
	s_mov_b64 s[2:3], 0
	s_waitcnt vmcnt(0)
	v_cvt_f32_u32_e32 v3, v3
	s_branch .LBB103_294
.LBB103_292:
	s_mov_b64 s[2:3], -1
                                        ; implicit-def: $vgpr3
	s_branch .LBB103_297
.LBB103_293:
	s_mov_b64 s[2:3], -1
                                        ; implicit-def: $vgpr3
.LBB103_294:
	s_andn2_b64 vcc, exec, s[2:3]
	s_cbranch_vccnz .LBB103_296
; %bb.295:
	global_load_ushort v3, v[1:2], off
	s_waitcnt vmcnt(0)
	v_cvt_f32_u32_e32 v3, v3
.LBB103_296:
	s_mov_b64 s[2:3], 0
.LBB103_297:
	s_andn2_b64 vcc, exec, s[2:3]
	s_cbranch_vccnz .LBB103_305
; %bb.298:
	global_load_ubyte v4, v[1:2], off
	s_movk_i32 s2, 0x7f
	s_waitcnt vmcnt(0)
	v_cmp_lt_i16_e32 vcc, s2, v4
	s_mov_b64 s[2:3], 0
	s_and_saveexec_b64 s[6:7], vcc
	s_xor_b64 s[6:7], exec, s[6:7]
	s_cbranch_execz .LBB103_319
; %bb.299:
	s_movk_i32 s2, 0x80
	v_cmp_eq_u16_e32 vcc, s2, v4
	s_mov_b64 s[2:3], -1
	s_and_saveexec_b64 s[42:43], vcc
; %bb.300:
	s_xor_b64 s[2:3], exec, -1
; %bb.301:
	s_or_b64 exec, exec, s[42:43]
	s_and_b64 s[2:3], s[2:3], exec
	s_or_saveexec_b64 s[6:7], s[6:7]
	v_mov_b32_e32 v3, 0x7f800001
	s_xor_b64 exec, exec, s[6:7]
	s_cbranch_execnz .LBB103_320
.LBB103_302:
	s_or_b64 exec, exec, s[6:7]
	s_and_saveexec_b64 s[6:7], s[2:3]
	s_cbranch_execz .LBB103_304
.LBB103_303:
	v_lshlrev_b32_e32 v3, 24, v4
	v_and_b32_e32 v4, 0xffff, v4
	v_and_b32_e32 v6, 7, v4
	v_ffbh_u32_e32 v9, v6
	v_min_u32_e32 v9, 32, v9
	v_subrev_u32_e32 v10, 28, v9
	v_bfe_u32 v7, v4, 3, 4
	v_lshlrev_b32_e32 v4, v10, v4
	v_sub_u32_e32 v9, 29, v9
	v_and_b32_e32 v4, 7, v4
	v_cmp_eq_u32_e32 vcc, 0, v7
	v_cndmask_b32_e32 v7, v7, v9, vcc
	v_cndmask_b32_e32 v4, v6, v4, vcc
	v_mov_b32_e32 v6, 0x3b800000
	v_lshlrev_b32_e32 v4, 20, v4
	v_and_b32_e32 v3, 0x80000000, v3
	v_lshl_add_u32 v6, v7, 23, v6
	v_or3_b32 v3, v3, v6, v4
.LBB103_304:
	s_or_b64 exec, exec, s[6:7]
.LBB103_305:
	s_mov_b64 s[2:3], -1
.LBB103_306:
	s_mov_b64 s[6:7], 0
.LBB103_307:
	s_and_b64 vcc, exec, s[6:7]
	s_cbranch_vccz .LBB103_342
; %bb.308:
	s_cmp_gt_i32 s50, 22
	s_cbranch_scc0 .LBB103_318
; %bb.309:
	s_cmp_lt_i32 s50, 24
	s_cbranch_scc1 .LBB103_321
; %bb.310:
	s_cmp_gt_i32 s50, 24
	s_cbranch_scc0 .LBB103_322
; %bb.311:
	global_load_ubyte v4, v[1:2], off
	s_movk_i32 s2, 0x7f
	s_waitcnt vmcnt(0)
	v_cmp_lt_i16_e32 vcc, s2, v4
	s_mov_b64 s[2:3], 0
	s_and_saveexec_b64 s[6:7], vcc
	s_xor_b64 s[6:7], exec, s[6:7]
	s_cbranch_execz .LBB103_334
; %bb.312:
	s_movk_i32 s2, 0x80
	v_cmp_eq_u16_e32 vcc, s2, v4
	s_mov_b64 s[2:3], -1
	s_and_saveexec_b64 s[42:43], vcc
; %bb.313:
	s_xor_b64 s[2:3], exec, -1
; %bb.314:
	s_or_b64 exec, exec, s[42:43]
	s_and_b64 s[2:3], s[2:3], exec
	s_or_saveexec_b64 s[6:7], s[6:7]
	v_mov_b32_e32 v3, 0x7f800001
	s_xor_b64 exec, exec, s[6:7]
	s_cbranch_execnz .LBB103_335
.LBB103_315:
	s_or_b64 exec, exec, s[6:7]
	s_and_saveexec_b64 s[6:7], s[2:3]
	s_cbranch_execz .LBB103_317
.LBB103_316:
	v_lshlrev_b32_e32 v3, 24, v4
	v_and_b32_e32 v4, 0xffff, v4
	v_and_b32_e32 v6, 3, v4
	v_ffbh_u32_e32 v9, v6
	v_min_u32_e32 v9, 32, v9
	v_subrev_u32_e32 v10, 29, v9
	v_bfe_u32 v7, v4, 2, 5
	v_lshlrev_b32_e32 v4, v10, v4
	v_sub_u32_e32 v9, 30, v9
	v_and_b32_e32 v4, 3, v4
	v_cmp_eq_u32_e32 vcc, 0, v7
	v_cndmask_b32_e32 v7, v7, v9, vcc
	v_cndmask_b32_e32 v4, v6, v4, vcc
	v_mov_b32_e32 v6, 0x37800000
	v_lshlrev_b32_e32 v4, 21, v4
	v_and_b32_e32 v3, 0x80000000, v3
	v_lshl_add_u32 v6, v7, 23, v6
	v_or3_b32 v3, v3, v6, v4
.LBB103_317:
	s_or_b64 exec, exec, s[6:7]
	s_mov_b64 s[2:3], 0
	s_branch .LBB103_323
.LBB103_318:
	s_mov_b64 s[6:7], -1
                                        ; implicit-def: $vgpr3
	s_branch .LBB103_329
.LBB103_319:
	s_or_saveexec_b64 s[6:7], s[6:7]
	v_mov_b32_e32 v3, 0x7f800001
	s_xor_b64 exec, exec, s[6:7]
	s_cbranch_execz .LBB103_302
.LBB103_320:
	v_cmp_ne_u16_e32 vcc, 0, v4
	s_andn2_b64 s[2:3], s[2:3], exec
	s_and_b64 s[42:43], vcc, exec
	v_mov_b32_e32 v3, 0
	s_or_b64 s[2:3], s[2:3], s[42:43]
	s_or_b64 exec, exec, s[6:7]
	s_and_saveexec_b64 s[6:7], s[2:3]
	s_cbranch_execnz .LBB103_303
	s_branch .LBB103_304
.LBB103_321:
	s_mov_b64 s[2:3], -1
                                        ; implicit-def: $vgpr3
	s_branch .LBB103_326
.LBB103_322:
	s_mov_b64 s[2:3], -1
                                        ; implicit-def: $vgpr3
.LBB103_323:
	s_and_b64 vcc, exec, s[2:3]
	s_cbranch_vccz .LBB103_325
; %bb.324:
	global_load_ubyte v3, v[1:2], off
	s_mov_b32 s2, 0x7f800000
	s_waitcnt vmcnt(0)
	v_lshlrev_b32_e32 v3, 24, v3
	v_and_b32_e32 v4, 0x7f000000, v3
	v_ffbh_u32_e32 v6, v4
	v_min_u32_e32 v6, 32, v6
	v_sub_u32_e64 v6, v6, 4 clamp
	v_lshlrev_b32_e32 v9, v6, v4
	v_lshlrev_b32_e32 v6, 23, v6
	v_lshrrev_b32_e32 v9, 4, v9
	v_add_u32_e32 v7, 0x1000000, v4
	v_sub_u32_e32 v6, v9, v6
	v_ashrrev_i32_e32 v7, 8, v7
	v_add_u32_e32 v6, 0x3c000000, v6
	v_and_or_b32 v6, v7, s2, v6
	v_cmp_ne_u32_e32 vcc, 0, v4
	v_cndmask_b32_e32 v4, 0, v6, vcc
	s_brev_b32 s2, 1
	v_and_or_b32 v3, v3, s2, v4
.LBB103_325:
	s_mov_b64 s[2:3], 0
.LBB103_326:
	s_andn2_b64 vcc, exec, s[2:3]
	s_cbranch_vccnz .LBB103_328
; %bb.327:
	global_load_ubyte v3, v[1:2], off
	s_movk_i32 s2, 0x7f00
	s_brev_b32 s3, 16
	s_waitcnt vmcnt(0)
	v_lshlrev_b16_e32 v4, 8, v3
	v_lshlrev_b32_e32 v3, 25, v3
	v_lshrrev_b32_e32 v6, 4, v3
	v_and_or_b32 v7, v4, s2, 0.5
	v_or_b32_e32 v6, 0x70000000, v6
	v_add_f32_e32 v7, -0.5, v7
	v_mul_f32_e32 v6, 0x7800000, v6
	v_cmp_gt_u32_e32 vcc, s3, v3
	v_bfe_i32 v4, v4, 0, 16
	v_cndmask_b32_e32 v3, v6, v7, vcc
	s_brev_b32 s2, 1
	v_and_or_b32 v3, v4, s2, v3
.LBB103_328:
	s_mov_b64 s[6:7], 0
	s_mov_b64 s[2:3], -1
.LBB103_329:
	s_andn2_b64 vcc, exec, s[6:7]
	s_cbranch_vccnz .LBB103_342
; %bb.330:
	s_cmp_gt_i32 s50, 14
	s_cbranch_scc0 .LBB103_333
; %bb.331:
	s_cmp_eq_u32 s50, 15
	s_cbranch_scc0 .LBB103_336
; %bb.332:
	global_load_ushort v3, v[1:2], off
	s_mov_b64 s[2:3], -1
	s_mov_b64 s[44:45], 0
	s_waitcnt vmcnt(0)
	v_lshlrev_b32_e32 v3, 16, v3
	s_branch .LBB103_337
.LBB103_333:
	s_mov_b64 s[6:7], -1
                                        ; implicit-def: $vgpr3
	s_branch .LBB103_338
.LBB103_334:
	s_or_saveexec_b64 s[6:7], s[6:7]
	v_mov_b32_e32 v3, 0x7f800001
	s_xor_b64 exec, exec, s[6:7]
	s_cbranch_execz .LBB103_315
.LBB103_335:
	v_cmp_ne_u16_e32 vcc, 0, v4
	s_andn2_b64 s[2:3], s[2:3], exec
	s_and_b64 s[42:43], vcc, exec
	v_mov_b32_e32 v3, 0
	s_or_b64 s[2:3], s[2:3], s[42:43]
	s_or_b64 exec, exec, s[6:7]
	s_and_saveexec_b64 s[6:7], s[2:3]
	s_cbranch_execnz .LBB103_316
	s_branch .LBB103_317
.LBB103_336:
	s_mov_b64 s[44:45], -1
                                        ; implicit-def: $vgpr3
.LBB103_337:
	s_mov_b64 s[6:7], 0
.LBB103_338:
	s_and_b64 vcc, exec, s[6:7]
	s_cbranch_vccz .LBB103_342
; %bb.339:
	s_cmp_eq_u32 s50, 11
	s_cbranch_scc0 .LBB103_341
; %bb.340:
	global_load_ubyte v3, v[1:2], off
	s_mov_b64 s[2:3], -1
	s_mov_b64 s[44:45], 0
	s_waitcnt vmcnt(0)
	v_cmp_ne_u16_e32 vcc, 0, v3
	v_cndmask_b32_e64 v3, 0, 1.0, vcc
	s_branch .LBB103_342
.LBB103_341:
	s_mov_b64 s[44:45], -1
                                        ; implicit-def: $vgpr3
.LBB103_342:
	s_branch .LBB103_31
.LBB103_343:
	s_and_b32 s6, 0xffff, s14
	s_cmp_lt_i32 s6, 5
	s_cbranch_scc1 .LBB103_348
; %bb.344:
	s_cmp_lt_i32 s6, 8
	s_cbranch_scc1 .LBB103_349
; %bb.345:
	;; [unrolled: 3-line block ×3, first 2 shown]
	s_cmp_gt_i32 s6, 9
	s_cbranch_scc0 .LBB103_351
; %bb.347:
	global_load_dwordx2 v[3:4], v[1:2], off
	s_mov_b64 s[2:3], 0
	s_waitcnt vmcnt(0)
	v_cvt_f32_f64_e32 v3, v[3:4]
	s_branch .LBB103_352
.LBB103_348:
	s_mov_b64 s[2:3], -1
                                        ; implicit-def: $vgpr3
	s_branch .LBB103_370
.LBB103_349:
	s_mov_b64 s[2:3], -1
                                        ; implicit-def: $vgpr3
	s_branch .LBB103_358
.LBB103_350:
	s_mov_b64 s[2:3], -1
                                        ; implicit-def: $vgpr3
	s_branch .LBB103_355
.LBB103_351:
	s_mov_b64 s[2:3], -1
                                        ; implicit-def: $vgpr3
.LBB103_352:
	s_andn2_b64 vcc, exec, s[2:3]
	s_cbranch_vccnz .LBB103_354
; %bb.353:
	global_load_dword v3, v[1:2], off
.LBB103_354:
	s_mov_b64 s[2:3], 0
.LBB103_355:
	s_andn2_b64 vcc, exec, s[2:3]
	s_cbranch_vccnz .LBB103_357
; %bb.356:
	global_load_dword v3, v[1:2], off
	s_waitcnt vmcnt(0)
	v_cvt_f32_f16_e32 v3, v3
.LBB103_357:
	s_mov_b64 s[2:3], 0
.LBB103_358:
	s_andn2_b64 vcc, exec, s[2:3]
	s_cbranch_vccnz .LBB103_369
; %bb.359:
	s_cmp_lt_i32 s6, 6
	s_cbranch_scc1 .LBB103_362
; %bb.360:
	s_cmp_gt_i32 s6, 6
	s_cbranch_scc0 .LBB103_363
; %bb.361:
	global_load_dwordx2 v[3:4], v[1:2], off
	s_mov_b64 s[2:3], 0
	s_waitcnt vmcnt(0)
	v_cvt_f32_f64_e32 v3, v[3:4]
	s_branch .LBB103_364
.LBB103_362:
	s_mov_b64 s[2:3], -1
                                        ; implicit-def: $vgpr3
	s_branch .LBB103_367
.LBB103_363:
	s_mov_b64 s[2:3], -1
                                        ; implicit-def: $vgpr3
.LBB103_364:
	s_andn2_b64 vcc, exec, s[2:3]
	s_cbranch_vccnz .LBB103_366
; %bb.365:
	global_load_dword v3, v[1:2], off
.LBB103_366:
	s_mov_b64 s[2:3], 0
.LBB103_367:
	s_andn2_b64 vcc, exec, s[2:3]
	s_cbranch_vccnz .LBB103_369
; %bb.368:
	global_load_ushort v3, v[1:2], off
	s_waitcnt vmcnt(0)
	v_cvt_f32_f16_e32 v3, v3
.LBB103_369:
	s_mov_b64 s[2:3], 0
.LBB103_370:
	s_andn2_b64 vcc, exec, s[2:3]
	s_cbranch_vccnz .LBB103_390
; %bb.371:
	s_cmp_lt_i32 s6, 2
	s_cbranch_scc1 .LBB103_375
; %bb.372:
	s_cmp_lt_i32 s6, 3
	s_cbranch_scc1 .LBB103_376
; %bb.373:
	s_cmp_gt_i32 s6, 3
	s_cbranch_scc0 .LBB103_377
; %bb.374:
	global_load_dwordx2 v[3:4], v[1:2], off
	s_mov_b64 s[2:3], 0
	s_waitcnt vmcnt(0)
	v_xor_b32_e32 v7, v3, v4
	v_ffbh_i32_e32 v6, v4
	v_ashrrev_i32_e32 v7, 31, v7
	v_add_u32_e32 v6, -1, v6
	v_add_u32_e32 v7, 32, v7
	v_min_u32_e32 v6, v6, v7
	v_lshlrev_b64 v[3:4], v6, v[3:4]
	v_min_u32_e32 v3, 1, v3
	v_or_b32_e32 v3, v4, v3
	v_cvt_f32_i32_e32 v3, v3
	v_sub_u32_e32 v4, 32, v6
	v_ldexp_f32 v3, v3, v4
	s_branch .LBB103_378
.LBB103_375:
	s_mov_b64 s[2:3], -1
                                        ; implicit-def: $vgpr3
	s_branch .LBB103_384
.LBB103_376:
	s_mov_b64 s[2:3], -1
                                        ; implicit-def: $vgpr3
	s_branch .LBB103_381
.LBB103_377:
	s_mov_b64 s[2:3], -1
                                        ; implicit-def: $vgpr3
.LBB103_378:
	s_andn2_b64 vcc, exec, s[2:3]
	s_cbranch_vccnz .LBB103_380
; %bb.379:
	global_load_dword v3, v[1:2], off
	s_waitcnt vmcnt(0)
	v_cvt_f32_i32_e32 v3, v3
.LBB103_380:
	s_mov_b64 s[2:3], 0
.LBB103_381:
	s_andn2_b64 vcc, exec, s[2:3]
	s_cbranch_vccnz .LBB103_383
; %bb.382:
	global_load_sshort v3, v[1:2], off
	s_waitcnt vmcnt(0)
	v_cvt_f32_i32_e32 v3, v3
.LBB103_383:
	s_mov_b64 s[2:3], 0
.LBB103_384:
	s_andn2_b64 vcc, exec, s[2:3]
	s_cbranch_vccnz .LBB103_390
; %bb.385:
	s_cmp_gt_i32 s6, 0
	s_cbranch_scc0 .LBB103_387
; %bb.386:
	global_load_sbyte v3, v[1:2], off
	s_mov_b64 s[2:3], 0
	s_waitcnt vmcnt(0)
	v_cvt_f32_i32_e32 v3, v3
	s_branch .LBB103_388
.LBB103_387:
	s_mov_b64 s[2:3], -1
                                        ; implicit-def: $vgpr3
.LBB103_388:
	s_andn2_b64 vcc, exec, s[2:3]
	s_cbranch_vccnz .LBB103_390
; %bb.389:
	global_load_ubyte v1, v[1:2], off
	s_waitcnt vmcnt(0)
	v_cvt_f32_ubyte0_e32 v3, v1
.LBB103_390:
	s_branch .LBB103_32
.LBB103_391:
	s_mov_b64 s[6:7], 0
.LBB103_392:
                                        ; implicit-def: $vgpr8
	s_mov_b64 s[2:3], 0
.LBB103_393:
	s_and_b64 s[42:43], s[6:7], exec
	s_and_b64 s[44:45], s[44:45], exec
	;; [unrolled: 1-line block ×3, first 2 shown]
	s_orn2_b64 s[2:3], s[2:3], exec
.LBB103_394:
	s_or_b64 exec, exec, s[48:49]
	s_mov_b64 s[56:57], 0
	s_mov_b64 s[54:55], 0
                                        ; implicit-def: $sgpr14
                                        ; implicit-def: $vgpr3_vgpr4
                                        ; implicit-def: $vgpr0
                                        ; implicit-def: $vgpr2
                                        ; implicit-def: $vgpr5
	s_and_saveexec_b64 s[48:49], s[2:3]
	s_cbranch_execz .LBB103_402
; %bb.395:
	v_cmp_gt_i32_e32 vcc, s70, v8
	s_mov_b64 s[2:3], -1
	s_mov_b64 s[50:51], s[46:47]
	s_mov_b64 s[52:53], s[44:45]
	;; [unrolled: 1-line block ×3, first 2 shown]
	s_and_saveexec_b64 s[56:57], vcc
	s_cbranch_execz .LBB103_795
; %bb.396:
	s_andn2_b64 vcc, exec, s[28:29]
	s_cbranch_vccnz .LBB103_405
; %bb.397:
	s_andn2_b64 vcc, exec, s[40:41]
	s_cbranch_vccnz .LBB103_406
; %bb.398:
	s_add_i32 s2, s75, 1
	s_and_b32 s6, s2, 30
	s_add_u32 s2, s24, 0xffffffe8
	s_addc_u32 s3, s25, -1
	v_mov_b32_e32 v2, 0
	v_mov_b32_e32 v4, 0
	;; [unrolled: 1-line block ×4, first 2 shown]
.LBB103_399:                            ; =>This Inner Loop Header: Depth=1
	s_load_dwordx4 s[52:55], s[2:3], 0x1c
	s_load_dwordx2 s[50:51], s[2:3], 0x2c
	s_load_dwordx2 s[58:59], s[2:3], 0xec
	s_load_dwordx4 s[60:63], s[2:3], 0xdc
	s_add_u32 s2, s2, 24
	s_waitcnt vmcnt(0) lgkmcnt(0)
	v_mul_hi_u32 v3, s53, v1
	s_addc_u32 s3, s3, 0
	s_add_i32 s6, s6, -2
	s_cmp_eq_u32 s6, 0
	v_add_u32_e32 v3, v1, v3
	v_lshrrev_b32_e32 v3, s54, v3
	v_mul_lo_u32 v5, v3, s52
	v_mul_hi_u32 v6, s50, v3
	v_sub_u32_e32 v5, v1, v5
	v_add_u32_e32 v1, v3, v6
	v_lshrrev_b32_e32 v1, s51, v1
	v_mul_lo_u32 v9, v1, s55
	v_mul_lo_u32 v6, v5, s60
	;; [unrolled: 1-line block ×4, first 2 shown]
	v_sub_u32_e32 v3, v3, v9
	v_mul_lo_u32 v9, v3, s63
	v_mul_lo_u32 v10, v3, s58
	v_mul_lo_u32 v3, v3, s59
	v_add3_u32 v0, v6, v0, v9
	v_add3_u32 v4, v7, v4, v10
	v_add3_u32 v2, v5, v2, v3
	s_cbranch_scc0 .LBB103_399
; %bb.400:
	s_bitcmp1_b32 s75, 0
	s_cselect_b64 s[6:7], -1, 0
	s_and_b64 vcc, exec, s[6:7]
	s_cbranch_vccnz .LBB103_407
; %bb.401:
	s_load_dwordx2 s[6:7], s[2:3], 0x1c
	s_load_dword s14, s[2:3], 0x24
	s_load_dwordx2 s[50:51], s[2:3], 0xdc
	s_waitcnt lgkmcnt(0)
	v_mul_hi_u32 v3, s7, v1
	v_add_u32_e32 v3, v1, v3
	v_lshrrev_b32_e32 v3, s14, v3
	v_mul_lo_u32 v3, v3, s6
	s_load_dword s6, s[2:3], 0xe4
	v_sub_u32_e32 v3, v1, v3
	v_mad_u64_u32 v[0:1], s[2:3], v3, s50, v[0:1]
	v_mad_u64_u32 v[4:5], s[2:3], v3, s51, v[4:5]
	s_waitcnt lgkmcnt(0)
	v_mad_u64_u32 v[2:3], s[2:3], v3, s6, v[2:3]
	s_branch .LBB103_407
.LBB103_402:
	s_or_b64 exec, exec, s[48:49]
	s_mov_b64 s[2:3], 0
	s_and_saveexec_b64 s[6:7], s[46:47]
	s_cbranch_execnz .LBB103_1293
.LBB103_403:
	s_or_b64 exec, exec, s[6:7]
	s_and_saveexec_b64 s[6:7], s[52:53]
	s_xor_b64 s[6:7], exec, s[6:7]
	s_cbranch_execz .LBB103_1294
.LBB103_404:
	s_waitcnt vmcnt(0)
	global_load_ubyte v1, v[3:4], off
	s_or_b64 s[54:55], s[54:55], exec
	s_waitcnt vmcnt(0)
	v_cmp_ne_u16_e32 vcc, 0, v1
	v_cndmask_b32_e64 v5, 0, 1.0, vcc
	s_or_b64 exec, exec, s[6:7]
	s_and_saveexec_b64 s[6:7], s[56:57]
	s_cbranch_execz .LBB103_1340
	s_branch .LBB103_1295
.LBB103_405:
                                        ; implicit-def: $vgpr0
                                        ; implicit-def: $vgpr4
                                        ; implicit-def: $vgpr2
	s_andn2_b64 vcc, exec, s[2:3]
	s_cbranch_vccz .LBB103_408
	s_branch .LBB103_410
.LBB103_406:
	v_mov_b32_e32 v0, 0
	v_mov_b32_e32 v4, 0
	;; [unrolled: 1-line block ×3, first 2 shown]
.LBB103_407:
	s_cbranch_execnz .LBB103_410
.LBB103_408:
	v_mul_hi_u32 v0, s17, v8
	s_andn2_b64 vcc, exec, s[38:39]
	v_add_u32_e32 v0, v8, v0
	v_lshrrev_b32_e32 v1, s18, v0
	v_mul_lo_u32 v0, v1, s16
	v_sub_u32_e32 v2, v8, v0
	v_mul_lo_u32 v0, v2, s20
	v_mul_lo_u32 v4, v2, s21
	v_mul_lo_u32 v2, v2, s22
	s_cbranch_vccnz .LBB103_410
; %bb.409:
	s_waitcnt vmcnt(0)
	v_mul_hi_u32 v3, s36, v1
	v_add_u32_e32 v3, v1, v3
	v_lshrrev_b32_e32 v3, s37, v3
	v_mul_lo_u32 v3, v3, s19
	v_sub_u32_e32 v3, v1, v3
	v_mad_u64_u32 v[0:1], s[2:3], v3, s23, v[0:1]
	v_mad_u64_u32 v[4:5], s[2:3], v3, s34, v[4:5]
	;; [unrolled: 1-line block ×3, first 2 shown]
.LBB103_410:
	v_mov_b32_e32 v1, s11
	s_and_b32 s14, s74, 0xff
	s_waitcnt vmcnt(0)
	v_add_co_u32_e32 v3, vcc, s10, v4
	s_cmp_lt_i32 s14, 11
	v_addc_co_u32_e32 v4, vcc, 0, v1, vcc
	s_cbranch_scc1 .LBB103_417
; %bb.411:
	s_and_b32 s54, 0xffff, s14
	s_cmp_gt_i32 s54, 25
	s_cbranch_scc0 .LBB103_426
; %bb.412:
	s_cmp_gt_i32 s54, 28
	s_cbranch_scc0 .LBB103_428
; %bb.413:
	;; [unrolled: 3-line block ×4, first 2 shown]
	s_cmp_eq_u32 s54, 46
	s_mov_b64 s[6:7], 0
	s_cbranch_scc0 .LBB103_436
; %bb.416:
	global_load_dword v1, v[3:4], off
	s_mov_b64 s[2:3], -1
	s_mov_b64 s[50:51], 0
	s_waitcnt vmcnt(0)
	v_lshlrev_b32_e32 v5, 16, v1
	s_branch .LBB103_437
.LBB103_417:
	s_mov_b64 s[2:3], 0
                                        ; implicit-def: $vgpr5
	s_mov_b64 s[50:51], s[46:47]
	s_cbranch_execnz .LBB103_503
.LBB103_418:
	s_andn2_b64 vcc, exec, s[2:3]
	s_cbranch_vccnz .LBB103_551
.LBB103_419:
	v_mov_b32_e32 v3, s13
	s_and_b32 s14, s73, 0xff
	v_add_co_u32_e32 v1, vcc, s12, v2
	s_cmp_lt_i32 s14, 11
	v_addc_co_u32_e32 v2, vcc, 0, v3, vcc
	s_cbranch_scc1 .LBB103_427
; %bb.420:
	s_and_b32 s58, 0xffff, s14
	s_cmp_gt_i32 s58, 25
	s_cbranch_scc0 .LBB103_429
; %bb.421:
	s_cmp_gt_i32 s58, 28
	s_cbranch_scc0 .LBB103_431
; %bb.422:
	;; [unrolled: 3-line block ×4, first 2 shown]
	s_cmp_eq_u32 s58, 46
	s_mov_b64 s[6:7], 0
	s_cbranch_scc0 .LBB103_555
; %bb.425:
	global_load_dword v3, v[1:2], off
	s_mov_b64 s[2:3], -1
	s_mov_b64 s[52:53], 0
	s_waitcnt vmcnt(0)
	v_lshlrev_b32_e32 v3, 16, v3
	s_branch .LBB103_556
.LBB103_426:
	s_mov_b64 s[6:7], -1
	s_mov_b64 s[2:3], 0
	s_mov_b64 s[50:51], s[46:47]
                                        ; implicit-def: $vgpr5
	s_branch .LBB103_467
.LBB103_427:
	s_mov_b64 s[6:7], -1
	s_mov_b64 s[2:3], 0
                                        ; implicit-def: $vgpr3
	s_mov_b64 s[52:53], s[44:45]
	s_branch .LBB103_621
.LBB103_428:
	s_mov_b64 s[6:7], -1
	s_mov_b64 s[2:3], 0
	s_mov_b64 s[50:51], s[46:47]
                                        ; implicit-def: $vgpr5
	s_branch .LBB103_448
.LBB103_429:
	s_mov_b64 s[6:7], -1
	s_mov_b64 s[2:3], 0
	s_mov_b64 s[52:53], s[44:45]
                                        ; implicit-def: $vgpr3
	s_branch .LBB103_585
.LBB103_430:
	s_mov_b64 s[6:7], -1
	s_mov_b64 s[2:3], 0
	s_mov_b64 s[50:51], s[46:47]
                                        ; implicit-def: $vgpr5
	s_branch .LBB103_443
.LBB103_431:
	s_mov_b64 s[6:7], -1
	s_mov_b64 s[2:3], 0
	s_mov_b64 s[52:53], s[44:45]
                                        ; implicit-def: $vgpr3
	s_branch .LBB103_566
.LBB103_432:
	s_mov_b64 s[6:7], -1
	s_mov_b64 s[2:3], 0
	s_mov_b64 s[50:51], s[46:47]
                                        ; implicit-def: $vgpr5
	s_branch .LBB103_437
.LBB103_433:
	s_mov_b64 s[6:7], -1
	s_mov_b64 s[2:3], 0
	s_mov_b64 s[52:53], s[44:45]
                                        ; implicit-def: $vgpr3
	s_branch .LBB103_561
.LBB103_434:
	s_andn2_saveexec_b64 s[54:55], s[54:55]
	s_cbranch_execz .LBB103_191
.LBB103_435:
	v_add_f32_e32 v2, 0x46000000, v3
	v_and_b32_e32 v2, 0xff, v2
	v_cmp_ne_u32_e32 vcc, 0, v2
	s_andn2_b64 s[50:51], s[50:51], exec
	s_and_b64 s[58:59], vcc, exec
	s_or_b64 s[50:51], s[50:51], s[58:59]
	s_or_b64 exec, exec, s[54:55]
	v_mov_b32_e32 v4, 0
	s_and_saveexec_b64 s[54:55], s[50:51]
	s_cbranch_execnz .LBB103_192
	s_branch .LBB103_193
.LBB103_436:
	s_mov_b64 s[50:51], -1
                                        ; implicit-def: $vgpr5
	s_mov_b64 s[2:3], 0
.LBB103_437:
	s_and_b64 vcc, exec, s[6:7]
	s_cbranch_vccz .LBB103_442
; %bb.438:
	s_cmp_eq_u32 s54, 44
	s_cbranch_scc0 .LBB103_441
; %bb.439:
	global_load_ubyte v1, v[3:4], off
	s_movk_i32 s6, 0xff
	v_mov_b32_e32 v5, 0x7f800001
	v_mov_b32_e32 v6, 0x400000
	s_mov_b64 s[2:3], -1
	s_mov_b64 s[50:51], 0
	s_waitcnt vmcnt(0)
	v_lshlrev_b32_e32 v7, 23, v1
	v_cmp_ne_u32_e32 vcc, s6, v1
	v_cndmask_b32_e32 v5, v5, v7, vcc
	v_cmp_ne_u32_e32 vcc, 0, v1
	v_cndmask_b32_e32 v5, v6, v5, vcc
	s_branch .LBB103_442
.LBB103_440:
	s_mov_b64 s[6:7], -1
	s_mov_b64 s[2:3], 0
	s_mov_b64 s[52:53], s[44:45]
                                        ; implicit-def: $vgpr3
	s_branch .LBB103_556
.LBB103_441:
	s_mov_b64 s[50:51], -1
                                        ; implicit-def: $vgpr5
.LBB103_442:
	s_mov_b64 s[6:7], 0
.LBB103_443:
	s_and_b64 vcc, exec, s[6:7]
	s_cbranch_vccz .LBB103_447
; %bb.444:
	s_cmp_eq_u32 s54, 29
	s_cbranch_scc0 .LBB103_446
; %bb.445:
	global_load_dwordx2 v[5:6], v[3:4], off
	s_mov_b64 s[2:3], -1
	s_mov_b64 s[50:51], 0
	s_mov_b64 s[6:7], 0
	s_waitcnt vmcnt(0)
	v_ffbh_u32_e32 v1, v6
	v_min_u32_e32 v1, 32, v1
	v_lshlrev_b64 v[5:6], v1, v[5:6]
	v_sub_u32_e32 v1, 32, v1
	v_min_u32_e32 v5, 1, v5
	v_or_b32_e32 v5, v6, v5
	v_cvt_f32_u32_e32 v5, v5
	v_ldexp_f32 v5, v5, v1
	s_branch .LBB103_448
.LBB103_446:
	s_mov_b64 s[50:51], -1
                                        ; implicit-def: $vgpr5
.LBB103_447:
	s_mov_b64 s[6:7], 0
.LBB103_448:
	s_and_b64 vcc, exec, s[6:7]
	s_cbranch_vccz .LBB103_466
; %bb.449:
	s_cmp_lt_i32 s54, 27
	s_cbranch_scc1 .LBB103_452
; %bb.450:
	s_cmp_gt_i32 s54, 27
	s_cbranch_scc0 .LBB103_453
; %bb.451:
	global_load_dword v1, v[3:4], off
	s_mov_b64 s[2:3], 0
	s_waitcnt vmcnt(0)
	v_cvt_f32_u32_e32 v5, v1
	s_branch .LBB103_454
.LBB103_452:
	s_mov_b64 s[2:3], -1
                                        ; implicit-def: $vgpr5
	s_branch .LBB103_457
.LBB103_453:
	s_mov_b64 s[2:3], -1
                                        ; implicit-def: $vgpr5
.LBB103_454:
	s_andn2_b64 vcc, exec, s[2:3]
	s_cbranch_vccnz .LBB103_456
; %bb.455:
	global_load_ushort v1, v[3:4], off
	s_waitcnt vmcnt(0)
	v_cvt_f32_u32_e32 v5, v1
.LBB103_456:
	s_mov_b64 s[2:3], 0
.LBB103_457:
	s_andn2_b64 vcc, exec, s[2:3]
	s_cbranch_vccnz .LBB103_465
; %bb.458:
	global_load_ubyte v1, v[3:4], off
	s_movk_i32 s2, 0x7f
	s_waitcnt vmcnt(0)
	v_cmp_lt_i16_e32 vcc, s2, v1
	s_mov_b64 s[2:3], 0
	s_and_saveexec_b64 s[6:7], vcc
	s_xor_b64 s[6:7], exec, s[6:7]
	s_cbranch_execz .LBB103_479
; %bb.459:
	s_movk_i32 s2, 0x80
	v_cmp_eq_u16_e32 vcc, s2, v1
	s_mov_b64 s[2:3], -1
	s_and_saveexec_b64 s[52:53], vcc
; %bb.460:
	s_xor_b64 s[2:3], exec, -1
; %bb.461:
	s_or_b64 exec, exec, s[52:53]
	s_and_b64 s[2:3], s[2:3], exec
	s_or_saveexec_b64 s[6:7], s[6:7]
	v_mov_b32_e32 v5, 0x7f800001
	s_xor_b64 exec, exec, s[6:7]
	s_cbranch_execnz .LBB103_480
.LBB103_462:
	s_or_b64 exec, exec, s[6:7]
	s_and_saveexec_b64 s[6:7], s[2:3]
	s_cbranch_execz .LBB103_464
.LBB103_463:
	v_lshlrev_b32_e32 v5, 24, v1
	v_and_b32_e32 v1, 0xffff, v1
	v_and_b32_e32 v6, 7, v1
	v_ffbh_u32_e32 v9, v6
	v_min_u32_e32 v9, 32, v9
	v_subrev_u32_e32 v10, 28, v9
	v_bfe_u32 v7, v1, 3, 4
	v_lshlrev_b32_e32 v1, v10, v1
	v_sub_u32_e32 v9, 29, v9
	v_and_b32_e32 v1, 7, v1
	v_cmp_eq_u32_e32 vcc, 0, v7
	v_cndmask_b32_e32 v7, v7, v9, vcc
	v_cndmask_b32_e32 v1, v6, v1, vcc
	v_mov_b32_e32 v6, 0x3b800000
	v_lshlrev_b32_e32 v1, 20, v1
	v_and_b32_e32 v5, 0x80000000, v5
	v_lshl_add_u32 v6, v7, 23, v6
	v_or3_b32 v5, v5, v6, v1
.LBB103_464:
	s_or_b64 exec, exec, s[6:7]
.LBB103_465:
	s_mov_b64 s[2:3], -1
.LBB103_466:
	s_mov_b64 s[6:7], 0
.LBB103_467:
	s_and_b64 vcc, exec, s[6:7]
	s_cbranch_vccz .LBB103_502
; %bb.468:
	s_cmp_gt_i32 s54, 22
	s_cbranch_scc0 .LBB103_478
; %bb.469:
	s_cmp_lt_i32 s54, 24
	s_cbranch_scc1 .LBB103_481
; %bb.470:
	s_cmp_gt_i32 s54, 24
	s_cbranch_scc0 .LBB103_482
; %bb.471:
	global_load_ubyte v1, v[3:4], off
	s_movk_i32 s2, 0x7f
	s_waitcnt vmcnt(0)
	v_cmp_lt_i16_e32 vcc, s2, v1
	s_mov_b64 s[2:3], 0
	s_and_saveexec_b64 s[6:7], vcc
	s_xor_b64 s[6:7], exec, s[6:7]
	s_cbranch_execz .LBB103_494
; %bb.472:
	s_movk_i32 s2, 0x80
	v_cmp_eq_u16_e32 vcc, s2, v1
	s_mov_b64 s[2:3], -1
	s_and_saveexec_b64 s[52:53], vcc
; %bb.473:
	s_xor_b64 s[2:3], exec, -1
; %bb.474:
	s_or_b64 exec, exec, s[52:53]
	s_and_b64 s[2:3], s[2:3], exec
	s_or_saveexec_b64 s[6:7], s[6:7]
	v_mov_b32_e32 v5, 0x7f800001
	s_xor_b64 exec, exec, s[6:7]
	s_cbranch_execnz .LBB103_495
.LBB103_475:
	s_or_b64 exec, exec, s[6:7]
	s_and_saveexec_b64 s[6:7], s[2:3]
	s_cbranch_execz .LBB103_477
.LBB103_476:
	v_lshlrev_b32_e32 v5, 24, v1
	v_and_b32_e32 v1, 0xffff, v1
	v_and_b32_e32 v6, 3, v1
	v_ffbh_u32_e32 v9, v6
	v_min_u32_e32 v9, 32, v9
	v_subrev_u32_e32 v10, 29, v9
	v_bfe_u32 v7, v1, 2, 5
	v_lshlrev_b32_e32 v1, v10, v1
	v_sub_u32_e32 v9, 30, v9
	v_and_b32_e32 v1, 3, v1
	v_cmp_eq_u32_e32 vcc, 0, v7
	v_cndmask_b32_e32 v7, v7, v9, vcc
	v_cndmask_b32_e32 v1, v6, v1, vcc
	v_mov_b32_e32 v6, 0x37800000
	v_lshlrev_b32_e32 v1, 21, v1
	v_and_b32_e32 v5, 0x80000000, v5
	v_lshl_add_u32 v6, v7, 23, v6
	v_or3_b32 v5, v5, v6, v1
.LBB103_477:
	s_or_b64 exec, exec, s[6:7]
	s_mov_b64 s[2:3], 0
	s_branch .LBB103_483
.LBB103_478:
	s_mov_b64 s[6:7], -1
                                        ; implicit-def: $vgpr5
	s_branch .LBB103_489
.LBB103_479:
	s_or_saveexec_b64 s[6:7], s[6:7]
	v_mov_b32_e32 v5, 0x7f800001
	s_xor_b64 exec, exec, s[6:7]
	s_cbranch_execz .LBB103_462
.LBB103_480:
	v_cmp_ne_u16_e32 vcc, 0, v1
	s_andn2_b64 s[2:3], s[2:3], exec
	s_and_b64 s[52:53], vcc, exec
	v_mov_b32_e32 v5, 0
	s_or_b64 s[2:3], s[2:3], s[52:53]
	s_or_b64 exec, exec, s[6:7]
	s_and_saveexec_b64 s[6:7], s[2:3]
	s_cbranch_execnz .LBB103_463
	s_branch .LBB103_464
.LBB103_481:
	s_mov_b64 s[2:3], -1
                                        ; implicit-def: $vgpr5
	s_branch .LBB103_486
.LBB103_482:
	s_mov_b64 s[2:3], -1
                                        ; implicit-def: $vgpr5
.LBB103_483:
	s_and_b64 vcc, exec, s[2:3]
	s_cbranch_vccz .LBB103_485
; %bb.484:
	global_load_ubyte v1, v[3:4], off
	s_mov_b32 s2, 0x7f800000
	s_waitcnt vmcnt(0)
	v_lshlrev_b32_e32 v1, 24, v1
	v_and_b32_e32 v5, 0x7f000000, v1
	v_ffbh_u32_e32 v6, v5
	v_min_u32_e32 v6, 32, v6
	v_sub_u32_e64 v6, v6, 4 clamp
	v_lshlrev_b32_e32 v9, v6, v5
	v_lshlrev_b32_e32 v6, 23, v6
	v_lshrrev_b32_e32 v9, 4, v9
	v_add_u32_e32 v7, 0x1000000, v5
	v_sub_u32_e32 v6, v9, v6
	v_ashrrev_i32_e32 v7, 8, v7
	v_add_u32_e32 v6, 0x3c000000, v6
	v_and_or_b32 v6, v7, s2, v6
	v_cmp_ne_u32_e32 vcc, 0, v5
	v_cndmask_b32_e32 v5, 0, v6, vcc
	s_brev_b32 s2, 1
	v_and_or_b32 v5, v1, s2, v5
.LBB103_485:
	s_mov_b64 s[2:3], 0
.LBB103_486:
	s_andn2_b64 vcc, exec, s[2:3]
	s_cbranch_vccnz .LBB103_488
; %bb.487:
	global_load_ubyte v1, v[3:4], off
	s_movk_i32 s2, 0x7f00
	s_brev_b32 s3, 16
	s_waitcnt vmcnt(0)
	v_lshlrev_b16_e32 v5, 8, v1
	v_lshlrev_b32_e32 v1, 25, v1
	v_lshrrev_b32_e32 v6, 4, v1
	v_and_or_b32 v7, v5, s2, 0.5
	v_or_b32_e32 v6, 0x70000000, v6
	v_add_f32_e32 v7, -0.5, v7
	v_mul_f32_e32 v6, 0x7800000, v6
	v_cmp_gt_u32_e32 vcc, s3, v1
	v_bfe_i32 v5, v5, 0, 16
	v_cndmask_b32_e32 v1, v6, v7, vcc
	s_brev_b32 s2, 1
	v_and_or_b32 v5, v5, s2, v1
.LBB103_488:
	s_mov_b64 s[6:7], 0
	s_mov_b64 s[2:3], -1
.LBB103_489:
	s_andn2_b64 vcc, exec, s[6:7]
	s_cbranch_vccnz .LBB103_502
; %bb.490:
	s_cmp_gt_i32 s54, 14
	s_cbranch_scc0 .LBB103_493
; %bb.491:
	s_cmp_eq_u32 s54, 15
	s_cbranch_scc0 .LBB103_496
; %bb.492:
	global_load_ushort v1, v[3:4], off
	s_mov_b64 s[2:3], -1
	s_mov_b64 s[50:51], 0
	s_waitcnt vmcnt(0)
	v_lshlrev_b32_e32 v5, 16, v1
	s_branch .LBB103_497
.LBB103_493:
	s_mov_b64 s[6:7], -1
                                        ; implicit-def: $vgpr5
	s_branch .LBB103_498
.LBB103_494:
	s_or_saveexec_b64 s[6:7], s[6:7]
	v_mov_b32_e32 v5, 0x7f800001
	s_xor_b64 exec, exec, s[6:7]
	s_cbranch_execz .LBB103_475
.LBB103_495:
	v_cmp_ne_u16_e32 vcc, 0, v1
	s_andn2_b64 s[2:3], s[2:3], exec
	s_and_b64 s[52:53], vcc, exec
	v_mov_b32_e32 v5, 0
	s_or_b64 s[2:3], s[2:3], s[52:53]
	s_or_b64 exec, exec, s[6:7]
	s_and_saveexec_b64 s[6:7], s[2:3]
	s_cbranch_execnz .LBB103_476
	s_branch .LBB103_477
.LBB103_496:
	s_mov_b64 s[50:51], -1
                                        ; implicit-def: $vgpr5
.LBB103_497:
	s_mov_b64 s[6:7], 0
.LBB103_498:
	s_and_b64 vcc, exec, s[6:7]
	s_cbranch_vccz .LBB103_502
; %bb.499:
	s_cmp_eq_u32 s54, 11
	s_cbranch_scc0 .LBB103_501
; %bb.500:
	global_load_ubyte v1, v[3:4], off
	s_mov_b64 s[2:3], -1
	s_mov_b64 s[50:51], 0
	s_waitcnt vmcnt(0)
	v_cmp_ne_u16_e32 vcc, 0, v1
	v_cndmask_b32_e64 v5, 0, 1.0, vcc
	s_branch .LBB103_502
.LBB103_501:
	s_mov_b64 s[50:51], -1
                                        ; implicit-def: $vgpr5
.LBB103_502:
	s_branch .LBB103_418
.LBB103_503:
	s_and_b32 s6, 0xffff, s14
	s_cmp_lt_i32 s6, 5
	s_cbranch_scc1 .LBB103_508
; %bb.504:
	s_cmp_lt_i32 s6, 8
	s_cbranch_scc1 .LBB103_509
; %bb.505:
	;; [unrolled: 3-line block ×3, first 2 shown]
	s_cmp_gt_i32 s6, 9
	s_cbranch_scc0 .LBB103_511
; %bb.507:
	global_load_dwordx2 v[5:6], v[3:4], off
	s_mov_b64 s[2:3], 0
	s_waitcnt vmcnt(0)
	v_cvt_f32_f64_e32 v5, v[5:6]
	s_branch .LBB103_512
.LBB103_508:
	s_mov_b64 s[2:3], -1
                                        ; implicit-def: $vgpr5
	s_branch .LBB103_530
.LBB103_509:
	s_mov_b64 s[2:3], -1
                                        ; implicit-def: $vgpr5
	s_branch .LBB103_518
.LBB103_510:
	s_mov_b64 s[2:3], -1
                                        ; implicit-def: $vgpr5
	s_branch .LBB103_515
.LBB103_511:
	s_mov_b64 s[2:3], -1
                                        ; implicit-def: $vgpr5
.LBB103_512:
	s_andn2_b64 vcc, exec, s[2:3]
	s_cbranch_vccnz .LBB103_514
; %bb.513:
	global_load_dword v5, v[3:4], off
.LBB103_514:
	s_mov_b64 s[2:3], 0
.LBB103_515:
	s_andn2_b64 vcc, exec, s[2:3]
	s_cbranch_vccnz .LBB103_517
; %bb.516:
	global_load_dword v1, v[3:4], off
	s_waitcnt vmcnt(0)
	v_cvt_f32_f16_e32 v5, v1
.LBB103_517:
	s_mov_b64 s[2:3], 0
.LBB103_518:
	s_andn2_b64 vcc, exec, s[2:3]
	s_cbranch_vccnz .LBB103_529
; %bb.519:
	s_cmp_lt_i32 s6, 6
	s_cbranch_scc1 .LBB103_522
; %bb.520:
	s_cmp_gt_i32 s6, 6
	s_cbranch_scc0 .LBB103_523
; %bb.521:
	global_load_dwordx2 v[5:6], v[3:4], off
	s_mov_b64 s[2:3], 0
	s_waitcnt vmcnt(0)
	v_cvt_f32_f64_e32 v5, v[5:6]
	s_branch .LBB103_524
.LBB103_522:
	s_mov_b64 s[2:3], -1
                                        ; implicit-def: $vgpr5
	s_branch .LBB103_527
.LBB103_523:
	s_mov_b64 s[2:3], -1
                                        ; implicit-def: $vgpr5
.LBB103_524:
	s_andn2_b64 vcc, exec, s[2:3]
	s_cbranch_vccnz .LBB103_526
; %bb.525:
	global_load_dword v5, v[3:4], off
.LBB103_526:
	s_mov_b64 s[2:3], 0
.LBB103_527:
	s_andn2_b64 vcc, exec, s[2:3]
	s_cbranch_vccnz .LBB103_529
; %bb.528:
	global_load_ushort v1, v[3:4], off
	s_waitcnt vmcnt(0)
	v_cvt_f32_f16_e32 v5, v1
.LBB103_529:
	s_mov_b64 s[2:3], 0
.LBB103_530:
	s_andn2_b64 vcc, exec, s[2:3]
	s_cbranch_vccnz .LBB103_550
; %bb.531:
	s_cmp_lt_i32 s6, 2
	s_cbranch_scc1 .LBB103_535
; %bb.532:
	s_cmp_lt_i32 s6, 3
	s_cbranch_scc1 .LBB103_536
; %bb.533:
	s_cmp_gt_i32 s6, 3
	s_cbranch_scc0 .LBB103_537
; %bb.534:
	global_load_dwordx2 v[5:6], v[3:4], off
	s_mov_b64 s[2:3], 0
	s_waitcnt vmcnt(0)
	v_xor_b32_e32 v7, v5, v6
	v_ffbh_i32_e32 v1, v6
	v_ashrrev_i32_e32 v7, 31, v7
	v_add_u32_e32 v1, -1, v1
	v_add_u32_e32 v7, 32, v7
	v_min_u32_e32 v1, v1, v7
	v_lshlrev_b64 v[5:6], v1, v[5:6]
	v_sub_u32_e32 v1, 32, v1
	v_min_u32_e32 v5, 1, v5
	v_or_b32_e32 v5, v6, v5
	v_cvt_f32_i32_e32 v5, v5
	v_ldexp_f32 v5, v5, v1
	s_branch .LBB103_538
.LBB103_535:
	s_mov_b64 s[2:3], -1
                                        ; implicit-def: $vgpr5
	s_branch .LBB103_544
.LBB103_536:
	s_mov_b64 s[2:3], -1
                                        ; implicit-def: $vgpr5
	s_branch .LBB103_541
.LBB103_537:
	s_mov_b64 s[2:3], -1
                                        ; implicit-def: $vgpr5
.LBB103_538:
	s_andn2_b64 vcc, exec, s[2:3]
	s_cbranch_vccnz .LBB103_540
; %bb.539:
	global_load_dword v1, v[3:4], off
	s_waitcnt vmcnt(0)
	v_cvt_f32_i32_e32 v5, v1
.LBB103_540:
	s_mov_b64 s[2:3], 0
.LBB103_541:
	s_andn2_b64 vcc, exec, s[2:3]
	s_cbranch_vccnz .LBB103_543
; %bb.542:
	global_load_sshort v1, v[3:4], off
	s_waitcnt vmcnt(0)
	v_cvt_f32_i32_e32 v5, v1
.LBB103_543:
	s_mov_b64 s[2:3], 0
.LBB103_544:
	s_andn2_b64 vcc, exec, s[2:3]
	s_cbranch_vccnz .LBB103_550
; %bb.545:
	s_cmp_gt_i32 s6, 0
	s_cbranch_scc0 .LBB103_547
; %bb.546:
	global_load_sbyte v1, v[3:4], off
	s_mov_b64 s[2:3], 0
	s_waitcnt vmcnt(0)
	v_cvt_f32_i32_e32 v5, v1
	s_branch .LBB103_548
.LBB103_547:
	s_mov_b64 s[2:3], -1
                                        ; implicit-def: $vgpr5
.LBB103_548:
	s_andn2_b64 vcc, exec, s[2:3]
	s_cbranch_vccnz .LBB103_550
; %bb.549:
	global_load_ubyte v1, v[3:4], off
	s_waitcnt vmcnt(0)
	v_cvt_f32_ubyte0_e32 v5, v1
.LBB103_550:
	s_branch .LBB103_419
.LBB103_551:
	s_mov_b64 s[2:3], 0
	s_mov_b64 s[6:7], s[42:43]
	;; [unrolled: 1-line block ×3, first 2 shown]
.LBB103_552:
                                        ; implicit-def: $vgpr8
	s_branch .LBB103_794
.LBB103_553:
	s_andn2_saveexec_b64 s[54:55], s[54:55]
	s_cbranch_execz .LBB103_204
.LBB103_554:
	v_add_f32_e32 v2, 0x42800000, v3
	v_and_b32_e32 v2, 0xff, v2
	v_cmp_ne_u32_e32 vcc, 0, v2
	s_andn2_b64 s[50:51], s[50:51], exec
	s_and_b64 s[58:59], vcc, exec
	s_or_b64 s[50:51], s[50:51], s[58:59]
	s_or_b64 exec, exec, s[54:55]
	v_mov_b32_e32 v4, 0
	s_and_saveexec_b64 s[54:55], s[50:51]
	s_cbranch_execnz .LBB103_205
	s_branch .LBB103_206
.LBB103_555:
	s_mov_b64 s[52:53], -1
                                        ; implicit-def: $vgpr3
	s_mov_b64 s[2:3], 0
.LBB103_556:
	s_and_b64 vcc, exec, s[6:7]
	s_cbranch_vccz .LBB103_560
; %bb.557:
	s_cmp_eq_u32 s58, 44
	s_cbranch_scc0 .LBB103_559
; %bb.558:
	global_load_ubyte v3, v[1:2], off
	s_movk_i32 s6, 0xff
	v_mov_b32_e32 v4, 0x7f800001
	v_mov_b32_e32 v6, 0x400000
	s_mov_b64 s[2:3], -1
	s_mov_b64 s[52:53], 0
	s_waitcnt vmcnt(0)
	v_lshlrev_b32_e32 v7, 23, v3
	v_cmp_ne_u32_e32 vcc, s6, v3
	v_cndmask_b32_e32 v4, v4, v7, vcc
	v_cmp_ne_u32_e32 vcc, 0, v3
	v_cndmask_b32_e32 v3, v6, v4, vcc
	s_branch .LBB103_560
.LBB103_559:
	s_mov_b64 s[52:53], -1
                                        ; implicit-def: $vgpr3
.LBB103_560:
	s_mov_b64 s[6:7], 0
.LBB103_561:
	s_and_b64 vcc, exec, s[6:7]
	s_cbranch_vccz .LBB103_565
; %bb.562:
	s_cmp_eq_u32 s58, 29
	s_cbranch_scc0 .LBB103_564
; %bb.563:
	global_load_dwordx2 v[3:4], v[1:2], off
	s_mov_b64 s[2:3], -1
	s_mov_b64 s[52:53], 0
	s_mov_b64 s[6:7], 0
	s_waitcnt vmcnt(0)
	v_ffbh_u32_e32 v6, v4
	v_min_u32_e32 v6, 32, v6
	v_lshlrev_b64 v[3:4], v6, v[3:4]
	v_min_u32_e32 v3, 1, v3
	v_or_b32_e32 v3, v4, v3
	v_cvt_f32_u32_e32 v3, v3
	v_sub_u32_e32 v4, 32, v6
	v_ldexp_f32 v3, v3, v4
	s_branch .LBB103_566
.LBB103_564:
	s_mov_b64 s[52:53], -1
                                        ; implicit-def: $vgpr3
.LBB103_565:
	s_mov_b64 s[6:7], 0
.LBB103_566:
	s_and_b64 vcc, exec, s[6:7]
	s_cbranch_vccz .LBB103_584
; %bb.567:
	s_cmp_lt_i32 s58, 27
	s_cbranch_scc1 .LBB103_570
; %bb.568:
	s_cmp_gt_i32 s58, 27
	s_cbranch_scc0 .LBB103_571
; %bb.569:
	global_load_dword v3, v[1:2], off
	s_mov_b64 s[2:3], 0
	s_waitcnt vmcnt(0)
	v_cvt_f32_u32_e32 v3, v3
	s_branch .LBB103_572
.LBB103_570:
	s_mov_b64 s[2:3], -1
                                        ; implicit-def: $vgpr3
	s_branch .LBB103_575
.LBB103_571:
	s_mov_b64 s[2:3], -1
                                        ; implicit-def: $vgpr3
.LBB103_572:
	s_andn2_b64 vcc, exec, s[2:3]
	s_cbranch_vccnz .LBB103_574
; %bb.573:
	global_load_ushort v3, v[1:2], off
	s_waitcnt vmcnt(0)
	v_cvt_f32_u32_e32 v3, v3
.LBB103_574:
	s_mov_b64 s[2:3], 0
.LBB103_575:
	s_andn2_b64 vcc, exec, s[2:3]
	s_cbranch_vccnz .LBB103_583
; %bb.576:
	global_load_ubyte v4, v[1:2], off
	s_movk_i32 s2, 0x7f
	s_waitcnt vmcnt(0)
	v_cmp_lt_i16_e32 vcc, s2, v4
	s_mov_b64 s[2:3], 0
	s_and_saveexec_b64 s[6:7], vcc
	s_xor_b64 s[6:7], exec, s[6:7]
	s_cbranch_execz .LBB103_597
; %bb.577:
	s_movk_i32 s2, 0x80
	v_cmp_eq_u16_e32 vcc, s2, v4
	s_mov_b64 s[2:3], -1
	s_and_saveexec_b64 s[54:55], vcc
; %bb.578:
	s_xor_b64 s[2:3], exec, -1
; %bb.579:
	s_or_b64 exec, exec, s[54:55]
	s_and_b64 s[2:3], s[2:3], exec
	s_or_saveexec_b64 s[6:7], s[6:7]
	v_mov_b32_e32 v3, 0x7f800001
	s_xor_b64 exec, exec, s[6:7]
	s_cbranch_execnz .LBB103_598
.LBB103_580:
	s_or_b64 exec, exec, s[6:7]
	s_and_saveexec_b64 s[6:7], s[2:3]
	s_cbranch_execz .LBB103_582
.LBB103_581:
	v_lshlrev_b32_e32 v3, 24, v4
	v_and_b32_e32 v4, 0xffff, v4
	v_and_b32_e32 v6, 7, v4
	v_ffbh_u32_e32 v9, v6
	v_min_u32_e32 v9, 32, v9
	v_subrev_u32_e32 v10, 28, v9
	v_bfe_u32 v7, v4, 3, 4
	v_lshlrev_b32_e32 v4, v10, v4
	v_sub_u32_e32 v9, 29, v9
	v_and_b32_e32 v4, 7, v4
	v_cmp_eq_u32_e32 vcc, 0, v7
	v_cndmask_b32_e32 v7, v7, v9, vcc
	v_cndmask_b32_e32 v4, v6, v4, vcc
	v_mov_b32_e32 v6, 0x3b800000
	v_lshlrev_b32_e32 v4, 20, v4
	v_and_b32_e32 v3, 0x80000000, v3
	v_lshl_add_u32 v6, v7, 23, v6
	v_or3_b32 v3, v3, v6, v4
.LBB103_582:
	s_or_b64 exec, exec, s[6:7]
.LBB103_583:
	s_mov_b64 s[2:3], -1
.LBB103_584:
	s_mov_b64 s[6:7], 0
.LBB103_585:
	s_and_b64 vcc, exec, s[6:7]
	s_cbranch_vccz .LBB103_620
; %bb.586:
	s_cmp_gt_i32 s58, 22
	s_cbranch_scc0 .LBB103_596
; %bb.587:
	s_cmp_lt_i32 s58, 24
	s_cbranch_scc1 .LBB103_599
; %bb.588:
	s_cmp_gt_i32 s58, 24
	s_cbranch_scc0 .LBB103_600
; %bb.589:
	global_load_ubyte v4, v[1:2], off
	s_movk_i32 s2, 0x7f
	s_waitcnt vmcnt(0)
	v_cmp_lt_i16_e32 vcc, s2, v4
	s_mov_b64 s[2:3], 0
	s_and_saveexec_b64 s[6:7], vcc
	s_xor_b64 s[6:7], exec, s[6:7]
	s_cbranch_execz .LBB103_612
; %bb.590:
	s_movk_i32 s2, 0x80
	v_cmp_eq_u16_e32 vcc, s2, v4
	s_mov_b64 s[2:3], -1
	s_and_saveexec_b64 s[54:55], vcc
; %bb.591:
	s_xor_b64 s[2:3], exec, -1
; %bb.592:
	s_or_b64 exec, exec, s[54:55]
	s_and_b64 s[2:3], s[2:3], exec
	s_or_saveexec_b64 s[6:7], s[6:7]
	v_mov_b32_e32 v3, 0x7f800001
	s_xor_b64 exec, exec, s[6:7]
	s_cbranch_execnz .LBB103_613
.LBB103_593:
	s_or_b64 exec, exec, s[6:7]
	s_and_saveexec_b64 s[6:7], s[2:3]
	s_cbranch_execz .LBB103_595
.LBB103_594:
	v_lshlrev_b32_e32 v3, 24, v4
	v_and_b32_e32 v4, 0xffff, v4
	v_and_b32_e32 v6, 3, v4
	v_ffbh_u32_e32 v9, v6
	v_min_u32_e32 v9, 32, v9
	v_subrev_u32_e32 v10, 29, v9
	v_bfe_u32 v7, v4, 2, 5
	v_lshlrev_b32_e32 v4, v10, v4
	v_sub_u32_e32 v9, 30, v9
	v_and_b32_e32 v4, 3, v4
	v_cmp_eq_u32_e32 vcc, 0, v7
	v_cndmask_b32_e32 v7, v7, v9, vcc
	v_cndmask_b32_e32 v4, v6, v4, vcc
	v_mov_b32_e32 v6, 0x37800000
	v_lshlrev_b32_e32 v4, 21, v4
	v_and_b32_e32 v3, 0x80000000, v3
	v_lshl_add_u32 v6, v7, 23, v6
	v_or3_b32 v3, v3, v6, v4
.LBB103_595:
	s_or_b64 exec, exec, s[6:7]
	s_mov_b64 s[2:3], 0
	s_branch .LBB103_601
.LBB103_596:
	s_mov_b64 s[6:7], -1
                                        ; implicit-def: $vgpr3
	s_branch .LBB103_607
.LBB103_597:
	s_or_saveexec_b64 s[6:7], s[6:7]
	v_mov_b32_e32 v3, 0x7f800001
	s_xor_b64 exec, exec, s[6:7]
	s_cbranch_execz .LBB103_580
.LBB103_598:
	v_cmp_ne_u16_e32 vcc, 0, v4
	s_andn2_b64 s[2:3], s[2:3], exec
	s_and_b64 s[54:55], vcc, exec
	v_mov_b32_e32 v3, 0
	s_or_b64 s[2:3], s[2:3], s[54:55]
	s_or_b64 exec, exec, s[6:7]
	s_and_saveexec_b64 s[6:7], s[2:3]
	s_cbranch_execnz .LBB103_581
	s_branch .LBB103_582
.LBB103_599:
	s_mov_b64 s[2:3], -1
                                        ; implicit-def: $vgpr3
	s_branch .LBB103_604
.LBB103_600:
	s_mov_b64 s[2:3], -1
                                        ; implicit-def: $vgpr3
.LBB103_601:
	s_and_b64 vcc, exec, s[2:3]
	s_cbranch_vccz .LBB103_603
; %bb.602:
	global_load_ubyte v3, v[1:2], off
	s_mov_b32 s2, 0x7f800000
	s_waitcnt vmcnt(0)
	v_lshlrev_b32_e32 v3, 24, v3
	v_and_b32_e32 v4, 0x7f000000, v3
	v_ffbh_u32_e32 v6, v4
	v_min_u32_e32 v6, 32, v6
	v_sub_u32_e64 v6, v6, 4 clamp
	v_lshlrev_b32_e32 v9, v6, v4
	v_lshlrev_b32_e32 v6, 23, v6
	v_lshrrev_b32_e32 v9, 4, v9
	v_add_u32_e32 v7, 0x1000000, v4
	v_sub_u32_e32 v6, v9, v6
	v_ashrrev_i32_e32 v7, 8, v7
	v_add_u32_e32 v6, 0x3c000000, v6
	v_and_or_b32 v6, v7, s2, v6
	v_cmp_ne_u32_e32 vcc, 0, v4
	v_cndmask_b32_e32 v4, 0, v6, vcc
	s_brev_b32 s2, 1
	v_and_or_b32 v3, v3, s2, v4
.LBB103_603:
	s_mov_b64 s[2:3], 0
.LBB103_604:
	s_andn2_b64 vcc, exec, s[2:3]
	s_cbranch_vccnz .LBB103_606
; %bb.605:
	global_load_ubyte v3, v[1:2], off
	s_movk_i32 s2, 0x7f00
	s_brev_b32 s3, 16
	s_waitcnt vmcnt(0)
	v_lshlrev_b16_e32 v4, 8, v3
	v_lshlrev_b32_e32 v3, 25, v3
	v_lshrrev_b32_e32 v6, 4, v3
	v_and_or_b32 v7, v4, s2, 0.5
	v_or_b32_e32 v6, 0x70000000, v6
	v_add_f32_e32 v7, -0.5, v7
	v_mul_f32_e32 v6, 0x7800000, v6
	v_cmp_gt_u32_e32 vcc, s3, v3
	v_bfe_i32 v4, v4, 0, 16
	v_cndmask_b32_e32 v3, v6, v7, vcc
	s_brev_b32 s2, 1
	v_and_or_b32 v3, v4, s2, v3
.LBB103_606:
	s_mov_b64 s[6:7], 0
	s_mov_b64 s[2:3], -1
.LBB103_607:
	s_andn2_b64 vcc, exec, s[6:7]
	s_cbranch_vccnz .LBB103_620
; %bb.608:
	s_cmp_gt_i32 s58, 14
	s_cbranch_scc0 .LBB103_611
; %bb.609:
	s_cmp_eq_u32 s58, 15
	s_cbranch_scc0 .LBB103_614
; %bb.610:
	global_load_ushort v3, v[1:2], off
	s_mov_b64 s[2:3], -1
	s_mov_b64 s[52:53], 0
	s_waitcnt vmcnt(0)
	v_lshlrev_b32_e32 v3, 16, v3
	s_branch .LBB103_615
.LBB103_611:
	s_mov_b64 s[6:7], -1
                                        ; implicit-def: $vgpr3
	s_branch .LBB103_616
.LBB103_612:
	s_or_saveexec_b64 s[6:7], s[6:7]
	v_mov_b32_e32 v3, 0x7f800001
	s_xor_b64 exec, exec, s[6:7]
	s_cbranch_execz .LBB103_593
.LBB103_613:
	v_cmp_ne_u16_e32 vcc, 0, v4
	s_andn2_b64 s[2:3], s[2:3], exec
	s_and_b64 s[54:55], vcc, exec
	v_mov_b32_e32 v3, 0
	s_or_b64 s[2:3], s[2:3], s[54:55]
	s_or_b64 exec, exec, s[6:7]
	s_and_saveexec_b64 s[6:7], s[2:3]
	s_cbranch_execnz .LBB103_594
	s_branch .LBB103_595
.LBB103_614:
	s_mov_b64 s[52:53], -1
                                        ; implicit-def: $vgpr3
.LBB103_615:
	s_mov_b64 s[6:7], 0
.LBB103_616:
	s_and_b64 vcc, exec, s[6:7]
	s_cbranch_vccz .LBB103_620
; %bb.617:
	s_cmp_eq_u32 s58, 11
	s_cbranch_scc0 .LBB103_619
; %bb.618:
	global_load_ubyte v3, v[1:2], off
	s_mov_b64 s[2:3], -1
	s_mov_b64 s[52:53], 0
	s_waitcnt vmcnt(0)
	v_cmp_ne_u16_e32 vcc, 0, v3
	v_cndmask_b32_e64 v3, 0, 1.0, vcc
	s_branch .LBB103_620
.LBB103_619:
	s_mov_b64 s[52:53], -1
                                        ; implicit-def: $vgpr3
.LBB103_620:
	s_mov_b64 s[6:7], 0
.LBB103_621:
	s_and_b64 vcc, exec, s[6:7]
	s_cbranch_vccz .LBB103_670
; %bb.622:
	s_and_b32 s6, 0xffff, s14
	s_cmp_lt_i32 s6, 5
	s_cbranch_scc1 .LBB103_627
; %bb.623:
	s_cmp_lt_i32 s6, 8
	s_cbranch_scc1 .LBB103_628
; %bb.624:
	;; [unrolled: 3-line block ×3, first 2 shown]
	s_cmp_gt_i32 s6, 9
	s_cbranch_scc0 .LBB103_630
; %bb.626:
	global_load_dwordx2 v[3:4], v[1:2], off
	s_mov_b64 s[2:3], 0
	s_waitcnt vmcnt(0)
	v_cvt_f32_f64_e32 v3, v[3:4]
	s_branch .LBB103_631
.LBB103_627:
	s_mov_b64 s[2:3], -1
                                        ; implicit-def: $vgpr3
	s_branch .LBB103_649
.LBB103_628:
	s_mov_b64 s[2:3], -1
                                        ; implicit-def: $vgpr3
	s_branch .LBB103_637
.LBB103_629:
	s_mov_b64 s[2:3], -1
                                        ; implicit-def: $vgpr3
	s_branch .LBB103_634
.LBB103_630:
	s_mov_b64 s[2:3], -1
                                        ; implicit-def: $vgpr3
.LBB103_631:
	s_andn2_b64 vcc, exec, s[2:3]
	s_cbranch_vccnz .LBB103_633
; %bb.632:
	global_load_dword v3, v[1:2], off
.LBB103_633:
	s_mov_b64 s[2:3], 0
.LBB103_634:
	s_andn2_b64 vcc, exec, s[2:3]
	s_cbranch_vccnz .LBB103_636
; %bb.635:
	global_load_dword v3, v[1:2], off
	s_waitcnt vmcnt(0)
	v_cvt_f32_f16_e32 v3, v3
.LBB103_636:
	s_mov_b64 s[2:3], 0
.LBB103_637:
	s_andn2_b64 vcc, exec, s[2:3]
	s_cbranch_vccnz .LBB103_648
; %bb.638:
	s_cmp_lt_i32 s6, 6
	s_cbranch_scc1 .LBB103_641
; %bb.639:
	s_cmp_gt_i32 s6, 6
	s_cbranch_scc0 .LBB103_642
; %bb.640:
	global_load_dwordx2 v[3:4], v[1:2], off
	s_mov_b64 s[2:3], 0
	s_waitcnt vmcnt(0)
	v_cvt_f32_f64_e32 v3, v[3:4]
	s_branch .LBB103_643
.LBB103_641:
	s_mov_b64 s[2:3], -1
                                        ; implicit-def: $vgpr3
	s_branch .LBB103_646
.LBB103_642:
	s_mov_b64 s[2:3], -1
                                        ; implicit-def: $vgpr3
.LBB103_643:
	s_andn2_b64 vcc, exec, s[2:3]
	s_cbranch_vccnz .LBB103_645
; %bb.644:
	global_load_dword v3, v[1:2], off
.LBB103_645:
	s_mov_b64 s[2:3], 0
.LBB103_646:
	s_andn2_b64 vcc, exec, s[2:3]
	s_cbranch_vccnz .LBB103_648
; %bb.647:
	global_load_ushort v3, v[1:2], off
	s_waitcnt vmcnt(0)
	v_cvt_f32_f16_e32 v3, v3
.LBB103_648:
	s_mov_b64 s[2:3], 0
.LBB103_649:
	s_andn2_b64 vcc, exec, s[2:3]
	s_cbranch_vccnz .LBB103_669
; %bb.650:
	s_cmp_lt_i32 s6, 2
	s_cbranch_scc1 .LBB103_654
; %bb.651:
	s_cmp_lt_i32 s6, 3
	s_cbranch_scc1 .LBB103_655
; %bb.652:
	s_cmp_gt_i32 s6, 3
	s_cbranch_scc0 .LBB103_656
; %bb.653:
	global_load_dwordx2 v[3:4], v[1:2], off
	s_mov_b64 s[2:3], 0
	s_waitcnt vmcnt(0)
	v_xor_b32_e32 v7, v3, v4
	v_ffbh_i32_e32 v6, v4
	v_ashrrev_i32_e32 v7, 31, v7
	v_add_u32_e32 v6, -1, v6
	v_add_u32_e32 v7, 32, v7
	v_min_u32_e32 v6, v6, v7
	v_lshlrev_b64 v[3:4], v6, v[3:4]
	v_min_u32_e32 v3, 1, v3
	v_or_b32_e32 v3, v4, v3
	v_cvt_f32_i32_e32 v3, v3
	v_sub_u32_e32 v4, 32, v6
	v_ldexp_f32 v3, v3, v4
	s_branch .LBB103_657
.LBB103_654:
	s_mov_b64 s[2:3], -1
                                        ; implicit-def: $vgpr3
	s_branch .LBB103_663
.LBB103_655:
	s_mov_b64 s[2:3], -1
                                        ; implicit-def: $vgpr3
	s_branch .LBB103_660
.LBB103_656:
	s_mov_b64 s[2:3], -1
                                        ; implicit-def: $vgpr3
.LBB103_657:
	s_andn2_b64 vcc, exec, s[2:3]
	s_cbranch_vccnz .LBB103_659
; %bb.658:
	global_load_dword v3, v[1:2], off
	s_waitcnt vmcnt(0)
	v_cvt_f32_i32_e32 v3, v3
.LBB103_659:
	s_mov_b64 s[2:3], 0
.LBB103_660:
	s_andn2_b64 vcc, exec, s[2:3]
	s_cbranch_vccnz .LBB103_662
; %bb.661:
	global_load_sshort v3, v[1:2], off
	s_waitcnt vmcnt(0)
	v_cvt_f32_i32_e32 v3, v3
.LBB103_662:
	s_mov_b64 s[2:3], 0
.LBB103_663:
	s_andn2_b64 vcc, exec, s[2:3]
	s_cbranch_vccnz .LBB103_669
; %bb.664:
	s_cmp_gt_i32 s6, 0
	s_cbranch_scc0 .LBB103_666
; %bb.665:
	global_load_sbyte v3, v[1:2], off
	s_mov_b64 s[2:3], 0
	s_waitcnt vmcnt(0)
	v_cvt_f32_i32_e32 v3, v3
	s_branch .LBB103_667
.LBB103_666:
	s_mov_b64 s[2:3], -1
                                        ; implicit-def: $vgpr3
.LBB103_667:
	s_andn2_b64 vcc, exec, s[2:3]
	s_cbranch_vccnz .LBB103_669
; %bb.668:
	global_load_ubyte v1, v[1:2], off
	s_waitcnt vmcnt(0)
	v_cvt_f32_ubyte0_e32 v3, v1
.LBB103_669:
	s_mov_b64 s[2:3], -1
.LBB103_670:
	s_andn2_b64 vcc, exec, s[2:3]
	s_cbranch_vccnz .LBB103_678
; %bb.671:
	s_waitcnt vmcnt(0)
	v_cmp_eq_f32_e32 vcc, v5, v3
	v_cndmask_b32_e64 v1, 0, 1, vcc
	v_cmp_neq_f32_e32 vcc, v5, v3
	v_cndmask_b32_e64 v2, 0, 1, vcc
	v_cndmask_b32_e64 v1, v2, v1, s[0:1]
	v_and_b32_e32 v1, 1, v1
	v_cmp_eq_u32_e64 s[2:3], 1, v1
	v_mov_b32_e32 v1, s9
	s_and_b32 s14, s15, 0xff
	v_add_co_u32_e32 v0, vcc, s8, v0
	s_cmp_lt_i32 s14, 11
	v_addc_co_u32_e32 v1, vcc, 0, v1, vcc
	s_cbranch_scc1 .LBB103_679
; %bb.672:
	s_and_b32 s62, 0xffff, s14
	s_cmp_gt_i32 s62, 25
	s_cbranch_scc0 .LBB103_680
; %bb.673:
	s_cmp_gt_i32 s62, 28
	s_cbranch_scc0 .LBB103_681
; %bb.674:
	;; [unrolled: 3-line block ×4, first 2 shown]
	s_mov_b64 s[58:59], 0
	s_mov_b64 s[6:7], -1
	s_cmp_eq_u32 s62, 46
	s_mov_b64 s[54:55], 0
	s_cbranch_scc0 .LBB103_684
; %bb.677:
	v_cndmask_b32_e64 v2, 0, 1.0, s[2:3]
	v_bfe_u32 v3, v2, 16, 1
	s_movk_i32 s6, 0x7fff
	v_add3_u32 v2, v2, v3, s6
	v_lshrrev_b32_e32 v2, 16, v2
	global_store_dword v[0:1], v2, off
	s_mov_b64 s[54:55], -1
	s_mov_b64 s[6:7], 0
	s_branch .LBB103_684
.LBB103_678:
	s_mov_b64 s[2:3], 0
                                        ; implicit-def: $vgpr8
	s_mov_b64 s[6:7], s[42:43]
	s_branch .LBB103_794
.LBB103_679:
	s_mov_b64 s[58:59], -1
	s_mov_b64 s[54:55], 0
	s_mov_b64 s[6:7], s[42:43]
	s_branch .LBB103_753
.LBB103_680:
	s_mov_b64 s[58:59], -1
	s_mov_b64 s[54:55], 0
	s_mov_b64 s[6:7], s[42:43]
	s_branch .LBB103_711
.LBB103_681:
	s_mov_b64 s[58:59], -1
	s_mov_b64 s[54:55], 0
	s_mov_b64 s[6:7], s[42:43]
	s_branch .LBB103_694
.LBB103_682:
	s_mov_b64 s[58:59], -1
	s_mov_b64 s[54:55], 0
	s_mov_b64 s[6:7], s[42:43]
	s_branch .LBB103_690
.LBB103_683:
	s_mov_b64 s[58:59], -1
	s_mov_b64 s[54:55], 0
	s_mov_b64 s[6:7], s[42:43]
.LBB103_684:
	s_and_b64 vcc, exec, s[58:59]
	s_cbranch_vccz .LBB103_689
; %bb.685:
	s_cmp_eq_u32 s62, 44
	s_mov_b64 s[6:7], -1
	s_cbranch_scc0 .LBB103_689
; %bb.686:
	v_cndmask_b32_e64 v3, 0, 1.0, s[2:3]
	v_lshrrev_b32_e32 v2, 23, v3
	s_movk_i32 s6, 0xff
	v_cmp_ne_u32_e32 vcc, s6, v2
	v_mov_b32_e32 v4, 0xff
	s_and_saveexec_b64 s[54:55], vcc
; %bb.687:
	s_mov_b32 s6, 0x3fffff
	v_and_b32_e32 v4, 0x400000, v3
	v_and_or_b32 v3, v3, s6, v2
	v_cmp_ne_u32_e32 vcc, 0, v4
	v_cmp_ne_u32_e64 s[6:7], 0, v3
	s_and_b64 s[6:7], vcc, s[6:7]
	v_cndmask_b32_e64 v3, 0, 1, s[6:7]
	v_add_u32_e32 v4, v2, v3
; %bb.688:
	s_or_b64 exec, exec, s[54:55]
	s_mov_b64 s[54:55], -1
	s_mov_b64 s[6:7], 0
	global_store_byte v[0:1], v4, off
.LBB103_689:
	s_mov_b64 s[58:59], 0
.LBB103_690:
	s_and_b64 vcc, exec, s[58:59]
	s_cbranch_vccz .LBB103_693
; %bb.691:
	s_cmp_eq_u32 s62, 29
	s_mov_b64 s[6:7], -1
	s_cbranch_scc0 .LBB103_693
; %bb.692:
	s_mov_b32 s6, 0
	v_cndmask_b32_e64 v2, 0, 1, s[2:3]
	v_mov_b32_e32 v3, s6
	global_store_dwordx2 v[0:1], v[2:3], off
	s_mov_b64 s[54:55], -1
	s_mov_b64 s[6:7], 0
.LBB103_693:
	s_mov_b64 s[58:59], 0
.LBB103_694:
	s_and_b64 vcc, exec, s[58:59]
	s_cbranch_vccz .LBB103_710
; %bb.695:
	s_cmp_lt_i32 s62, 27
	s_mov_b64 s[54:55], -1
	s_cbranch_scc1 .LBB103_701
; %bb.696:
	s_cmp_gt_i32 s62, 27
	s_cbranch_scc0 .LBB103_698
; %bb.697:
	v_cndmask_b32_e64 v2, 0, 1, s[2:3]
	s_mov_b64 s[54:55], 0
	global_store_dword v[0:1], v2, off
.LBB103_698:
	s_andn2_b64 vcc, exec, s[54:55]
	s_cbranch_vccnz .LBB103_700
; %bb.699:
	v_cndmask_b32_e64 v2, 0, 1, s[2:3]
	global_store_short v[0:1], v2, off
.LBB103_700:
	s_mov_b64 s[54:55], 0
.LBB103_701:
	s_andn2_b64 vcc, exec, s[54:55]
	s_cbranch_vccnz .LBB103_709
; %bb.702:
	v_cndmask_b32_e64 v3, 0, 1.0, s[2:3]
	s_mov_b32 s54, 0x43800000
	v_cmp_gt_u32_e32 vcc, s54, v3
	v_mov_b32_e32 v4, 0x80
	s_and_saveexec_b64 s[54:55], vcc
	s_cbranch_execz .LBB103_708
; %bb.703:
	s_mov_b32 s58, 0x3bffffff
	v_cmp_lt_u32_e32 vcc, s58, v3
	s_mov_b64 s[58:59], 0
                                        ; implicit-def: $vgpr2
	s_and_saveexec_b64 s[60:61], vcc
	s_xor_b64 s[60:61], exec, s[60:61]
	s_cbranch_execz .LBB103_822
; %bb.704:
	v_bfe_u32 v2, v3, 20, 1
	s_mov_b32 s63, 0x487ffff
	v_add3_u32 v2, v3, v2, s63
	s_mov_b64 s[58:59], exec
	v_lshrrev_b32_e32 v2, 20, v2
                                        ; implicit-def: $vgpr3
	s_andn2_saveexec_b64 s[60:61], s[60:61]
	s_cbranch_execnz .LBB103_823
.LBB103_705:
	s_or_b64 exec, exec, s[60:61]
	v_mov_b32_e32 v4, 0
	s_and_saveexec_b64 s[60:61], s[58:59]
.LBB103_706:
	v_mov_b32_e32 v4, v2
.LBB103_707:
	s_or_b64 exec, exec, s[60:61]
.LBB103_708:
	s_or_b64 exec, exec, s[54:55]
	global_store_byte v[0:1], v4, off
.LBB103_709:
	s_mov_b64 s[54:55], -1
.LBB103_710:
	s_mov_b64 s[58:59], 0
.LBB103_711:
	s_and_b64 vcc, exec, s[58:59]
	s_cbranch_vccz .LBB103_752
; %bb.712:
	s_cmp_gt_i32 s62, 22
	s_mov_b64 s[58:59], -1
	s_cbranch_scc0 .LBB103_744
; %bb.713:
	s_cmp_lt_i32 s62, 24
	s_mov_b64 s[54:55], -1
	s_cbranch_scc1 .LBB103_733
; %bb.714:
	s_cmp_gt_i32 s62, 24
	s_cbranch_scc0 .LBB103_722
; %bb.715:
	v_cndmask_b32_e64 v3, 0, 1.0, s[2:3]
	s_mov_b32 s54, 0x47800000
	v_cmp_gt_u32_e32 vcc, s54, v3
	v_mov_b32_e32 v4, 0x80
	s_and_saveexec_b64 s[54:55], vcc
	s_cbranch_execz .LBB103_721
; %bb.716:
	s_mov_b32 s58, 0x37ffffff
	v_cmp_lt_u32_e32 vcc, s58, v3
	s_mov_b64 s[58:59], 0
                                        ; implicit-def: $vgpr2
	s_and_saveexec_b64 s[60:61], vcc
	s_xor_b64 s[60:61], exec, s[60:61]
	s_cbranch_execz .LBB103_954
; %bb.717:
	v_bfe_u32 v2, v3, 21, 1
	s_mov_b32 s63, 0x88fffff
	v_add3_u32 v2, v3, v2, s63
	s_mov_b64 s[58:59], exec
	v_lshrrev_b32_e32 v2, 21, v2
                                        ; implicit-def: $vgpr3
	s_andn2_saveexec_b64 s[60:61], s[60:61]
	s_cbranch_execnz .LBB103_955
.LBB103_718:
	s_or_b64 exec, exec, s[60:61]
	v_mov_b32_e32 v4, 0
	s_and_saveexec_b64 s[60:61], s[58:59]
.LBB103_719:
	v_mov_b32_e32 v4, v2
.LBB103_720:
	s_or_b64 exec, exec, s[60:61]
.LBB103_721:
	s_or_b64 exec, exec, s[54:55]
	s_mov_b64 s[54:55], 0
	global_store_byte v[0:1], v4, off
.LBB103_722:
	s_and_b64 vcc, exec, s[54:55]
	s_cbranch_vccz .LBB103_732
; %bb.723:
	v_cndmask_b32_e64 v2, 0, 1.0, s[2:3]
	s_mov_b32 s54, 0x43f00000
	v_cmp_gt_u32_e32 vcc, s54, v2
                                        ; implicit-def: $vgpr3
	s_and_saveexec_b64 s[54:55], vcc
	s_xor_b64 s[54:55], exec, s[54:55]
	s_cbranch_execz .LBB103_729
; %bb.724:
	s_mov_b32 s58, 0x3c7fffff
	v_cmp_lt_u32_e32 vcc, s58, v2
                                        ; implicit-def: $vgpr3
	s_and_saveexec_b64 s[58:59], vcc
	s_xor_b64 s[58:59], exec, s[58:59]
; %bb.725:
	v_bfe_u32 v3, v2, 20, 1
	s_mov_b32 s60, 0x407ffff
	v_add3_u32 v2, v2, v3, s60
	v_lshrrev_b32_e32 v3, 20, v2
	v_and_b32_e32 v2, 0xff00000, v2
	s_mov_b32 s60, 0x7f00000
	v_mov_b32_e32 v4, 0x7e
	v_cmp_ne_u32_e32 vcc, s60, v2
	v_cndmask_b32_e32 v3, v4, v3, vcc
                                        ; implicit-def: $vgpr2
; %bb.726:
	s_andn2_saveexec_b64 s[58:59], s[58:59]
; %bb.727:
	v_add_f32_e32 v3, 0x46800000, v2
; %bb.728:
	s_or_b64 exec, exec, s[58:59]
                                        ; implicit-def: $vgpr2
.LBB103_729:
	s_andn2_saveexec_b64 s[54:55], s[54:55]
; %bb.730:
	s_mov_b32 s58, 0x7f800000
	v_mov_b32_e32 v3, 0x7e
	v_mov_b32_e32 v4, 0x7f
	v_cmp_lt_u32_e32 vcc, s58, v2
	v_cndmask_b32_e32 v3, v3, v4, vcc
; %bb.731:
	s_or_b64 exec, exec, s[54:55]
	global_store_byte v[0:1], v3, off
.LBB103_732:
	s_mov_b64 s[54:55], 0
.LBB103_733:
	s_andn2_b64 vcc, exec, s[54:55]
	s_cbranch_vccnz .LBB103_743
; %bb.734:
	v_cndmask_b32_e64 v2, 0, 1.0, s[2:3]
	s_mov_b32 s54, 0x47800000
	v_cmp_gt_u32_e32 vcc, s54, v2
                                        ; implicit-def: $vgpr3
	s_and_saveexec_b64 s[54:55], vcc
	s_xor_b64 s[54:55], exec, s[54:55]
	s_cbranch_execz .LBB103_740
; %bb.735:
	s_mov_b32 s58, 0x387fffff
	v_cmp_lt_u32_e32 vcc, s58, v2
                                        ; implicit-def: $vgpr3
	s_and_saveexec_b64 s[58:59], vcc
	s_xor_b64 s[58:59], exec, s[58:59]
; %bb.736:
	v_bfe_u32 v3, v2, 21, 1
	s_mov_b32 s60, 0x80fffff
	v_add3_u32 v2, v2, v3, s60
	v_lshrrev_b32_e32 v3, 21, v2
                                        ; implicit-def: $vgpr2
; %bb.737:
	s_andn2_saveexec_b64 s[58:59], s[58:59]
; %bb.738:
	v_add_f32_e32 v3, 0x43000000, v2
; %bb.739:
	s_or_b64 exec, exec, s[58:59]
                                        ; implicit-def: $vgpr2
.LBB103_740:
	s_andn2_saveexec_b64 s[54:55], s[54:55]
; %bb.741:
	s_mov_b32 s58, 0x7f800000
	v_mov_b32_e32 v3, 0x7c
	v_mov_b32_e32 v4, 0x7f
	v_cmp_lt_u32_e32 vcc, s58, v2
	v_cndmask_b32_e32 v3, v3, v4, vcc
; %bb.742:
	s_or_b64 exec, exec, s[54:55]
	global_store_byte v[0:1], v3, off
.LBB103_743:
	s_mov_b64 s[58:59], 0
	s_mov_b64 s[54:55], -1
.LBB103_744:
	s_andn2_b64 vcc, exec, s[58:59]
	s_cbranch_vccnz .LBB103_752
; %bb.745:
	s_cmp_gt_i32 s62, 14
	s_mov_b64 s[58:59], -1
	s_cbranch_scc0 .LBB103_749
; %bb.746:
	s_cmp_eq_u32 s62, 15
	s_mov_b64 s[6:7], -1
	s_cbranch_scc0 .LBB103_748
; %bb.747:
	v_cndmask_b32_e64 v2, 0, 1.0, s[2:3]
	v_bfe_u32 v3, v2, 16, 1
	s_movk_i32 s6, 0x7fff
	v_add3_u32 v2, v2, v3, s6
	global_store_short_d16_hi v[0:1], v2, off
	s_mov_b64 s[54:55], -1
	s_mov_b64 s[6:7], 0
.LBB103_748:
	s_mov_b64 s[58:59], 0
.LBB103_749:
	s_and_b64 vcc, exec, s[58:59]
	s_cbranch_vccz .LBB103_752
; %bb.750:
	s_cmp_eq_u32 s62, 11
	s_mov_b64 s[6:7], -1
	s_cbranch_scc0 .LBB103_752
; %bb.751:
	v_cndmask_b32_e64 v2, 0, 1, s[2:3]
	s_mov_b64 s[54:55], -1
	s_mov_b64 s[6:7], 0
	global_store_byte v[0:1], v2, off
.LBB103_752:
	s_mov_b64 s[58:59], 0
.LBB103_753:
	s_and_b64 vcc, exec, s[58:59]
	s_cbranch_vccz .LBB103_792
; %bb.754:
	s_and_b32 s14, 0xffff, s14
	s_cmp_lt_i32 s14, 5
	s_mov_b64 s[54:55], -1
	s_cbranch_scc1 .LBB103_775
; %bb.755:
	s_cmp_lt_i32 s14, 8
	s_cbranch_scc1 .LBB103_765
; %bb.756:
	s_cmp_lt_i32 s14, 9
	s_cbranch_scc1 .LBB103_762
; %bb.757:
	s_cmp_gt_i32 s14, 9
	s_cbranch_scc0 .LBB103_759
; %bb.758:
	v_cndmask_b32_e64 v2, 0, 1, s[2:3]
	v_cvt_f64_u32_e32 v[2:3], v2
	v_mov_b32_e32 v4, 0
	v_mov_b32_e32 v5, v4
	s_mov_b64 s[54:55], 0
	global_store_dwordx4 v[0:1], v[2:5], off
.LBB103_759:
	s_andn2_b64 vcc, exec, s[54:55]
	s_cbranch_vccnz .LBB103_761
; %bb.760:
	v_cndmask_b32_e64 v2, 0, 1.0, s[2:3]
	v_mov_b32_e32 v3, 0
	global_store_dwordx2 v[0:1], v[2:3], off
.LBB103_761:
	s_mov_b64 s[54:55], 0
.LBB103_762:
	s_andn2_b64 vcc, exec, s[54:55]
	s_cbranch_vccnz .LBB103_764
; %bb.763:
	v_cndmask_b32_e64 v2, 0, 1.0, s[2:3]
	v_cvt_f16_f32_e32 v2, v2
	global_store_dword v[0:1], v2, off
.LBB103_764:
	s_mov_b64 s[54:55], 0
.LBB103_765:
	s_andn2_b64 vcc, exec, s[54:55]
	s_cbranch_vccnz .LBB103_774
; %bb.766:
	s_cmp_lt_i32 s14, 6
	s_mov_b64 s[54:55], -1
	s_cbranch_scc1 .LBB103_772
; %bb.767:
	s_cmp_gt_i32 s14, 6
	s_cbranch_scc0 .LBB103_769
; %bb.768:
	v_cndmask_b32_e64 v2, 0, 1, s[2:3]
	v_cvt_f64_u32_e32 v[2:3], v2
	s_mov_b64 s[54:55], 0
	global_store_dwordx2 v[0:1], v[2:3], off
.LBB103_769:
	s_andn2_b64 vcc, exec, s[54:55]
	s_cbranch_vccnz .LBB103_771
; %bb.770:
	v_cndmask_b32_e64 v2, 0, 1.0, s[2:3]
	global_store_dword v[0:1], v2, off
.LBB103_771:
	s_mov_b64 s[54:55], 0
.LBB103_772:
	s_andn2_b64 vcc, exec, s[54:55]
	s_cbranch_vccnz .LBB103_774
; %bb.773:
	v_cndmask_b32_e64 v2, 0, 1.0, s[2:3]
	v_cvt_f16_f32_e32 v2, v2
	global_store_short v[0:1], v2, off
.LBB103_774:
	s_mov_b64 s[54:55], 0
.LBB103_775:
	s_andn2_b64 vcc, exec, s[54:55]
	s_cbranch_vccnz .LBB103_791
; %bb.776:
	s_cmp_lt_i32 s14, 2
	s_mov_b64 s[54:55], -1
	s_cbranch_scc1 .LBB103_786
; %bb.777:
	s_cmp_lt_i32 s14, 3
	s_cbranch_scc1 .LBB103_783
; %bb.778:
	s_cmp_gt_i32 s14, 3
	s_cbranch_scc0 .LBB103_780
; %bb.779:
	s_mov_b32 s54, 0
	v_cndmask_b32_e64 v2, 0, 1, s[2:3]
	v_mov_b32_e32 v3, s54
	s_mov_b64 s[54:55], 0
	global_store_dwordx2 v[0:1], v[2:3], off
.LBB103_780:
	s_andn2_b64 vcc, exec, s[54:55]
	s_cbranch_vccnz .LBB103_782
; %bb.781:
	v_cndmask_b32_e64 v2, 0, 1, s[2:3]
	global_store_dword v[0:1], v2, off
.LBB103_782:
	s_mov_b64 s[54:55], 0
.LBB103_783:
	s_andn2_b64 vcc, exec, s[54:55]
	s_cbranch_vccnz .LBB103_785
; %bb.784:
	v_cndmask_b32_e64 v2, 0, 1, s[2:3]
	global_store_short v[0:1], v2, off
.LBB103_785:
	s_mov_b64 s[54:55], 0
.LBB103_786:
	s_andn2_b64 vcc, exec, s[54:55]
	s_cbranch_vccnz .LBB103_791
; %bb.787:
	s_mov_b64 s[54:55], -1
	s_cmp_gt_i32 s14, 0
	v_cndmask_b32_e64 v2, 0, 1, s[2:3]
	s_cbranch_scc0 .LBB103_789
; %bb.788:
	s_mov_b64 s[54:55], 0
	global_store_byte v[0:1], v2, off
.LBB103_789:
	s_andn2_b64 vcc, exec, s[54:55]
	s_cbranch_vccnz .LBB103_791
; %bb.790:
	global_store_byte v[0:1], v2, off
.LBB103_791:
	s_mov_b64 s[54:55], -1
.LBB103_792:
	s_andn2_b64 vcc, exec, s[54:55]
	s_cbranch_vccnz .LBB103_804
; %bb.793:
	v_add_u32_e32 v8, 0x80, v8
	s_mov_b64 s[2:3], -1
.LBB103_794:
	s_andn2_b64 s[54:55], s[42:43], exec
	s_and_b64 s[6:7], s[6:7], exec
	s_or_b64 s[54:55], s[54:55], s[6:7]
	s_andn2_b64 s[6:7], s[44:45], exec
	s_and_b64 s[52:53], s[52:53], exec
	s_or_b64 s[52:53], s[6:7], s[52:53]
	;; [unrolled: 3-line block ×3, first 2 shown]
	s_orn2_b64 s[2:3], s[2:3], exec
.LBB103_795:
	s_or_b64 exec, exec, s[56:57]
	s_mov_b64 s[6:7], 0
	s_mov_b64 s[58:59], 0
	;; [unrolled: 1-line block ×3, first 2 shown]
                                        ; implicit-def: $sgpr14
                                        ; implicit-def: $vgpr3_vgpr4
                                        ; implicit-def: $vgpr0
                                        ; implicit-def: $vgpr2
                                        ; implicit-def: $vgpr5
	s_and_saveexec_b64 s[56:57], s[2:3]
	s_cbranch_execz .LBB103_1292
; %bb.796:
	v_cmp_gt_i32_e32 vcc, s70, v8
	s_mov_b64 s[68:69], -1
	s_mov_b64 s[2:3], s[50:51]
	s_mov_b64 s[6:7], s[52:53]
	;; [unrolled: 1-line block ×3, first 2 shown]
	s_and_saveexec_b64 s[58:59], vcc
	s_cbranch_execz .LBB103_1196
; %bb.797:
	s_andn2_b64 vcc, exec, s[28:29]
	s_cbranch_vccnz .LBB103_803
; %bb.798:
	s_andn2_b64 vcc, exec, s[40:41]
	s_cbranch_vccnz .LBB103_805
; %bb.799:
	s_add_i32 s2, s75, 1
	s_and_b32 s6, s2, 30
	s_add_u32 s2, s24, 0xffffffe8
	s_addc_u32 s3, s25, -1
	v_mov_b32_e32 v2, 0
	v_mov_b32_e32 v4, 0
	;; [unrolled: 1-line block ×4, first 2 shown]
.LBB103_800:                            ; =>This Inner Loop Header: Depth=1
	s_load_dwordx4 s[60:63], s[2:3], 0x1c
	s_load_dwordx2 s[68:69], s[2:3], 0x2c
	s_load_dwordx2 s[76:77], s[2:3], 0xec
	s_load_dwordx4 s[64:67], s[2:3], 0xdc
	s_add_u32 s2, s2, 24
	s_waitcnt vmcnt(0) lgkmcnt(0)
	v_mul_hi_u32 v3, s61, v1
	s_addc_u32 s3, s3, 0
	s_add_i32 s6, s6, -2
	s_cmp_eq_u32 s6, 0
	v_add_u32_e32 v3, v1, v3
	v_lshrrev_b32_e32 v3, s62, v3
	v_mul_lo_u32 v5, v3, s60
	v_mul_hi_u32 v6, s68, v3
	v_sub_u32_e32 v5, v1, v5
	v_add_u32_e32 v1, v3, v6
	v_lshrrev_b32_e32 v1, s69, v1
	v_mul_lo_u32 v9, v1, s63
	v_mul_lo_u32 v6, v5, s64
	;; [unrolled: 1-line block ×4, first 2 shown]
	v_sub_u32_e32 v3, v3, v9
	v_mul_lo_u32 v9, v3, s67
	v_mul_lo_u32 v10, v3, s76
	;; [unrolled: 1-line block ×3, first 2 shown]
	v_add3_u32 v0, v6, v0, v9
	v_add3_u32 v4, v7, v4, v10
	;; [unrolled: 1-line block ×3, first 2 shown]
	s_cbranch_scc0 .LBB103_800
; %bb.801:
	s_bitcmp1_b32 s75, 0
	s_cselect_b64 s[6:7], -1, 0
	s_and_b64 vcc, exec, s[6:7]
	s_cbranch_vccnz .LBB103_806
; %bb.802:
	s_load_dwordx2 s[6:7], s[2:3], 0x1c
	s_load_dword s14, s[2:3], 0x24
	s_load_dwordx2 s[60:61], s[2:3], 0xdc
	s_waitcnt lgkmcnt(0)
	v_mul_hi_u32 v3, s7, v1
	v_add_u32_e32 v3, v1, v3
	v_lshrrev_b32_e32 v3, s14, v3
	v_mul_lo_u32 v3, v3, s6
	s_load_dword s6, s[2:3], 0xe4
	v_sub_u32_e32 v3, v1, v3
	v_mad_u64_u32 v[0:1], s[2:3], v3, s60, v[0:1]
	v_mad_u64_u32 v[4:5], s[2:3], v3, s61, v[4:5]
	s_waitcnt lgkmcnt(0)
	v_mad_u64_u32 v[2:3], s[2:3], v3, s6, v[2:3]
	s_branch .LBB103_806
.LBB103_803:
	s_mov_b64 s[2:3], -1
                                        ; implicit-def: $vgpr0
                                        ; implicit-def: $vgpr4
                                        ; implicit-def: $vgpr2
	s_branch .LBB103_807
.LBB103_804:
	s_mov_b64 s[2:3], 0
	s_branch .LBB103_552
.LBB103_805:
	v_mov_b32_e32 v0, 0
	v_mov_b32_e32 v4, 0
	v_mov_b32_e32 v2, 0
.LBB103_806:
	s_mov_b64 s[2:3], 0
.LBB103_807:
	s_andn2_b64 vcc, exec, s[2:3]
	s_cbranch_vccnz .LBB103_810
; %bb.808:
	v_mul_hi_u32 v0, s17, v8
	s_andn2_b64 vcc, exec, s[38:39]
	v_add_u32_e32 v0, v8, v0
	v_lshrrev_b32_e32 v1, s18, v0
	v_mul_lo_u32 v0, v1, s16
	v_sub_u32_e32 v2, v8, v0
	v_mul_lo_u32 v0, v2, s20
	v_mul_lo_u32 v4, v2, s21
	v_mul_lo_u32 v2, v2, s22
	s_cbranch_vccnz .LBB103_810
; %bb.809:
	s_waitcnt vmcnt(0)
	v_mul_hi_u32 v3, s36, v1
	v_add_u32_e32 v3, v1, v3
	v_lshrrev_b32_e32 v3, s37, v3
	v_mul_lo_u32 v3, v3, s19
	v_sub_u32_e32 v3, v1, v3
	v_mad_u64_u32 v[0:1], s[2:3], v3, s23, v[0:1]
	v_mad_u64_u32 v[4:5], s[2:3], v3, s34, v[4:5]
	v_mad_u64_u32 v[2:3], s[2:3], v3, s35, v[2:3]
.LBB103_810:
	v_mov_b32_e32 v1, s11
	s_and_b32 s14, s74, 0xff
	s_waitcnt vmcnt(0)
	v_add_co_u32_e32 v3, vcc, s10, v4
	s_cmp_lt_i32 s14, 11
	v_addc_co_u32_e32 v4, vcc, 0, v1, vcc
	s_cbranch_scc1 .LBB103_817
; %bb.811:
	s_and_b32 s64, 0xffff, s14
	s_cmp_gt_i32 s64, 25
	s_cbranch_scc0 .LBB103_818
; %bb.812:
	s_cmp_gt_i32 s64, 28
	s_cbranch_scc0 .LBB103_819
; %bb.813:
	;; [unrolled: 3-line block ×4, first 2 shown]
	s_cmp_eq_u32 s64, 46
	s_mov_b64 s[6:7], 0
	s_cbranch_scc0 .LBB103_824
; %bb.816:
	global_load_dword v1, v[3:4], off
	s_mov_b64 s[2:3], -1
	s_mov_b64 s[60:61], 0
	s_waitcnt vmcnt(0)
	v_lshlrev_b32_e32 v5, 16, v1
	s_branch .LBB103_825
.LBB103_817:
	s_mov_b64 s[6:7], -1
	s_mov_b64 s[2:3], 0
                                        ; implicit-def: $vgpr5
	s_mov_b64 s[60:61], s[50:51]
	s_branch .LBB103_890
.LBB103_818:
	s_mov_b64 s[6:7], -1
	s_mov_b64 s[2:3], 0
	s_mov_b64 s[60:61], s[50:51]
                                        ; implicit-def: $vgpr5
	s_branch .LBB103_854
.LBB103_819:
	s_mov_b64 s[6:7], -1
	s_mov_b64 s[2:3], 0
	s_mov_b64 s[60:61], s[50:51]
                                        ; implicit-def: $vgpr5
	s_branch .LBB103_835
.LBB103_820:
	s_mov_b64 s[6:7], -1
	s_mov_b64 s[2:3], 0
	s_mov_b64 s[60:61], s[50:51]
                                        ; implicit-def: $vgpr5
	s_branch .LBB103_830
.LBB103_821:
	s_mov_b64 s[6:7], -1
	s_mov_b64 s[2:3], 0
	s_mov_b64 s[60:61], s[50:51]
                                        ; implicit-def: $vgpr5
	s_branch .LBB103_825
.LBB103_822:
	s_andn2_saveexec_b64 s[60:61], s[60:61]
	s_cbranch_execz .LBB103_705
.LBB103_823:
	v_add_f32_e32 v2, 0x46000000, v3
	v_and_b32_e32 v2, 0xff, v2
	v_cmp_ne_u32_e32 vcc, 0, v2
	s_andn2_b64 s[58:59], s[58:59], exec
	s_and_b64 s[64:65], vcc, exec
	s_or_b64 s[58:59], s[58:59], s[64:65]
	s_or_b64 exec, exec, s[60:61]
	v_mov_b32_e32 v4, 0
	s_and_saveexec_b64 s[60:61], s[58:59]
	s_cbranch_execnz .LBB103_706
	s_branch .LBB103_707
.LBB103_824:
	s_mov_b64 s[60:61], -1
                                        ; implicit-def: $vgpr5
	s_mov_b64 s[2:3], 0
.LBB103_825:
	s_and_b64 vcc, exec, s[6:7]
	s_cbranch_vccz .LBB103_829
; %bb.826:
	s_cmp_eq_u32 s64, 44
	s_cbranch_scc0 .LBB103_828
; %bb.827:
	global_load_ubyte v1, v[3:4], off
	s_movk_i32 s6, 0xff
	v_mov_b32_e32 v5, 0x7f800001
	v_mov_b32_e32 v6, 0x400000
	s_mov_b64 s[2:3], -1
	s_mov_b64 s[60:61], 0
	s_waitcnt vmcnt(0)
	v_lshlrev_b32_e32 v7, 23, v1
	v_cmp_ne_u32_e32 vcc, s6, v1
	v_cndmask_b32_e32 v5, v5, v7, vcc
	v_cmp_ne_u32_e32 vcc, 0, v1
	v_cndmask_b32_e32 v5, v6, v5, vcc
	s_branch .LBB103_829
.LBB103_828:
	s_mov_b64 s[60:61], -1
                                        ; implicit-def: $vgpr5
.LBB103_829:
	s_mov_b64 s[6:7], 0
.LBB103_830:
	s_and_b64 vcc, exec, s[6:7]
	s_cbranch_vccz .LBB103_834
; %bb.831:
	s_cmp_eq_u32 s64, 29
	s_cbranch_scc0 .LBB103_833
; %bb.832:
	global_load_dwordx2 v[5:6], v[3:4], off
	s_mov_b64 s[2:3], -1
	s_mov_b64 s[60:61], 0
	s_mov_b64 s[6:7], 0
	s_waitcnt vmcnt(0)
	v_ffbh_u32_e32 v1, v6
	v_min_u32_e32 v1, 32, v1
	v_lshlrev_b64 v[5:6], v1, v[5:6]
	v_sub_u32_e32 v1, 32, v1
	v_min_u32_e32 v5, 1, v5
	v_or_b32_e32 v5, v6, v5
	v_cvt_f32_u32_e32 v5, v5
	v_ldexp_f32 v5, v5, v1
	s_branch .LBB103_835
.LBB103_833:
	s_mov_b64 s[60:61], -1
                                        ; implicit-def: $vgpr5
.LBB103_834:
	s_mov_b64 s[6:7], 0
.LBB103_835:
	s_and_b64 vcc, exec, s[6:7]
	s_cbranch_vccz .LBB103_853
; %bb.836:
	s_cmp_lt_i32 s64, 27
	s_cbranch_scc1 .LBB103_839
; %bb.837:
	s_cmp_gt_i32 s64, 27
	s_cbranch_scc0 .LBB103_840
; %bb.838:
	global_load_dword v1, v[3:4], off
	s_mov_b64 s[2:3], 0
	s_waitcnt vmcnt(0)
	v_cvt_f32_u32_e32 v5, v1
	s_branch .LBB103_841
.LBB103_839:
	s_mov_b64 s[2:3], -1
                                        ; implicit-def: $vgpr5
	s_branch .LBB103_844
.LBB103_840:
	s_mov_b64 s[2:3], -1
                                        ; implicit-def: $vgpr5
.LBB103_841:
	s_andn2_b64 vcc, exec, s[2:3]
	s_cbranch_vccnz .LBB103_843
; %bb.842:
	global_load_ushort v1, v[3:4], off
	s_waitcnt vmcnt(0)
	v_cvt_f32_u32_e32 v5, v1
.LBB103_843:
	s_mov_b64 s[2:3], 0
.LBB103_844:
	s_andn2_b64 vcc, exec, s[2:3]
	s_cbranch_vccnz .LBB103_852
; %bb.845:
	global_load_ubyte v1, v[3:4], off
	s_movk_i32 s2, 0x7f
	s_waitcnt vmcnt(0)
	v_cmp_lt_i16_e32 vcc, s2, v1
	s_mov_b64 s[2:3], 0
	s_and_saveexec_b64 s[6:7], vcc
	s_xor_b64 s[6:7], exec, s[6:7]
	s_cbranch_execz .LBB103_866
; %bb.846:
	s_movk_i32 s2, 0x80
	v_cmp_eq_u16_e32 vcc, s2, v1
	s_mov_b64 s[2:3], -1
	s_and_saveexec_b64 s[62:63], vcc
; %bb.847:
	s_xor_b64 s[2:3], exec, -1
; %bb.848:
	s_or_b64 exec, exec, s[62:63]
	s_and_b64 s[2:3], s[2:3], exec
	s_or_saveexec_b64 s[6:7], s[6:7]
	v_mov_b32_e32 v5, 0x7f800001
	s_xor_b64 exec, exec, s[6:7]
	s_cbranch_execnz .LBB103_867
.LBB103_849:
	s_or_b64 exec, exec, s[6:7]
	s_and_saveexec_b64 s[6:7], s[2:3]
	s_cbranch_execz .LBB103_851
.LBB103_850:
	v_lshlrev_b32_e32 v5, 24, v1
	v_and_b32_e32 v1, 0xffff, v1
	v_and_b32_e32 v6, 7, v1
	v_ffbh_u32_e32 v9, v6
	v_min_u32_e32 v9, 32, v9
	v_subrev_u32_e32 v10, 28, v9
	v_bfe_u32 v7, v1, 3, 4
	v_lshlrev_b32_e32 v1, v10, v1
	v_sub_u32_e32 v9, 29, v9
	v_and_b32_e32 v1, 7, v1
	v_cmp_eq_u32_e32 vcc, 0, v7
	v_cndmask_b32_e32 v7, v7, v9, vcc
	v_cndmask_b32_e32 v1, v6, v1, vcc
	v_mov_b32_e32 v6, 0x3b800000
	v_lshlrev_b32_e32 v1, 20, v1
	v_and_b32_e32 v5, 0x80000000, v5
	v_lshl_add_u32 v6, v7, 23, v6
	v_or3_b32 v5, v5, v6, v1
.LBB103_851:
	s_or_b64 exec, exec, s[6:7]
.LBB103_852:
	s_mov_b64 s[2:3], -1
.LBB103_853:
	s_mov_b64 s[6:7], 0
.LBB103_854:
	s_and_b64 vcc, exec, s[6:7]
	s_cbranch_vccz .LBB103_889
; %bb.855:
	s_cmp_gt_i32 s64, 22
	s_cbranch_scc0 .LBB103_865
; %bb.856:
	s_cmp_lt_i32 s64, 24
	s_cbranch_scc1 .LBB103_868
; %bb.857:
	s_cmp_gt_i32 s64, 24
	s_cbranch_scc0 .LBB103_869
; %bb.858:
	global_load_ubyte v1, v[3:4], off
	s_movk_i32 s2, 0x7f
	s_waitcnt vmcnt(0)
	v_cmp_lt_i16_e32 vcc, s2, v1
	s_mov_b64 s[2:3], 0
	s_and_saveexec_b64 s[6:7], vcc
	s_xor_b64 s[6:7], exec, s[6:7]
	s_cbranch_execz .LBB103_881
; %bb.859:
	s_movk_i32 s2, 0x80
	v_cmp_eq_u16_e32 vcc, s2, v1
	s_mov_b64 s[2:3], -1
	s_and_saveexec_b64 s[62:63], vcc
; %bb.860:
	s_xor_b64 s[2:3], exec, -1
; %bb.861:
	s_or_b64 exec, exec, s[62:63]
	s_and_b64 s[2:3], s[2:3], exec
	s_or_saveexec_b64 s[6:7], s[6:7]
	v_mov_b32_e32 v5, 0x7f800001
	s_xor_b64 exec, exec, s[6:7]
	s_cbranch_execnz .LBB103_882
.LBB103_862:
	s_or_b64 exec, exec, s[6:7]
	s_and_saveexec_b64 s[6:7], s[2:3]
	s_cbranch_execz .LBB103_864
.LBB103_863:
	v_lshlrev_b32_e32 v5, 24, v1
	v_and_b32_e32 v1, 0xffff, v1
	v_and_b32_e32 v6, 3, v1
	v_ffbh_u32_e32 v9, v6
	v_min_u32_e32 v9, 32, v9
	v_subrev_u32_e32 v10, 29, v9
	v_bfe_u32 v7, v1, 2, 5
	v_lshlrev_b32_e32 v1, v10, v1
	v_sub_u32_e32 v9, 30, v9
	v_and_b32_e32 v1, 3, v1
	v_cmp_eq_u32_e32 vcc, 0, v7
	v_cndmask_b32_e32 v7, v7, v9, vcc
	v_cndmask_b32_e32 v1, v6, v1, vcc
	v_mov_b32_e32 v6, 0x37800000
	v_lshlrev_b32_e32 v1, 21, v1
	v_and_b32_e32 v5, 0x80000000, v5
	v_lshl_add_u32 v6, v7, 23, v6
	v_or3_b32 v5, v5, v6, v1
.LBB103_864:
	s_or_b64 exec, exec, s[6:7]
	s_mov_b64 s[2:3], 0
	s_branch .LBB103_870
.LBB103_865:
	s_mov_b64 s[6:7], -1
                                        ; implicit-def: $vgpr5
	s_branch .LBB103_876
.LBB103_866:
	s_or_saveexec_b64 s[6:7], s[6:7]
	v_mov_b32_e32 v5, 0x7f800001
	s_xor_b64 exec, exec, s[6:7]
	s_cbranch_execz .LBB103_849
.LBB103_867:
	v_cmp_ne_u16_e32 vcc, 0, v1
	s_andn2_b64 s[2:3], s[2:3], exec
	s_and_b64 s[62:63], vcc, exec
	v_mov_b32_e32 v5, 0
	s_or_b64 s[2:3], s[2:3], s[62:63]
	s_or_b64 exec, exec, s[6:7]
	s_and_saveexec_b64 s[6:7], s[2:3]
	s_cbranch_execnz .LBB103_850
	s_branch .LBB103_851
.LBB103_868:
	s_mov_b64 s[2:3], -1
                                        ; implicit-def: $vgpr5
	s_branch .LBB103_873
.LBB103_869:
	s_mov_b64 s[2:3], -1
                                        ; implicit-def: $vgpr5
.LBB103_870:
	s_and_b64 vcc, exec, s[2:3]
	s_cbranch_vccz .LBB103_872
; %bb.871:
	global_load_ubyte v1, v[3:4], off
	s_mov_b32 s2, 0x7f800000
	s_waitcnt vmcnt(0)
	v_lshlrev_b32_e32 v1, 24, v1
	v_and_b32_e32 v5, 0x7f000000, v1
	v_ffbh_u32_e32 v6, v5
	v_min_u32_e32 v6, 32, v6
	v_sub_u32_e64 v6, v6, 4 clamp
	v_lshlrev_b32_e32 v9, v6, v5
	v_lshlrev_b32_e32 v6, 23, v6
	v_lshrrev_b32_e32 v9, 4, v9
	v_add_u32_e32 v7, 0x1000000, v5
	v_sub_u32_e32 v6, v9, v6
	v_ashrrev_i32_e32 v7, 8, v7
	v_add_u32_e32 v6, 0x3c000000, v6
	v_and_or_b32 v6, v7, s2, v6
	v_cmp_ne_u32_e32 vcc, 0, v5
	v_cndmask_b32_e32 v5, 0, v6, vcc
	s_brev_b32 s2, 1
	v_and_or_b32 v5, v1, s2, v5
.LBB103_872:
	s_mov_b64 s[2:3], 0
.LBB103_873:
	s_andn2_b64 vcc, exec, s[2:3]
	s_cbranch_vccnz .LBB103_875
; %bb.874:
	global_load_ubyte v1, v[3:4], off
	s_movk_i32 s2, 0x7f00
	s_brev_b32 s3, 16
	s_waitcnt vmcnt(0)
	v_lshlrev_b16_e32 v5, 8, v1
	v_lshlrev_b32_e32 v1, 25, v1
	v_lshrrev_b32_e32 v6, 4, v1
	v_and_or_b32 v7, v5, s2, 0.5
	v_or_b32_e32 v6, 0x70000000, v6
	v_add_f32_e32 v7, -0.5, v7
	v_mul_f32_e32 v6, 0x7800000, v6
	v_cmp_gt_u32_e32 vcc, s3, v1
	v_bfe_i32 v5, v5, 0, 16
	v_cndmask_b32_e32 v1, v6, v7, vcc
	s_brev_b32 s2, 1
	v_and_or_b32 v5, v5, s2, v1
.LBB103_875:
	s_mov_b64 s[6:7], 0
	s_mov_b64 s[2:3], -1
.LBB103_876:
	s_andn2_b64 vcc, exec, s[6:7]
	s_cbranch_vccnz .LBB103_889
; %bb.877:
	s_cmp_gt_i32 s64, 14
	s_cbranch_scc0 .LBB103_880
; %bb.878:
	s_cmp_eq_u32 s64, 15
	s_cbranch_scc0 .LBB103_883
; %bb.879:
	global_load_ushort v1, v[3:4], off
	s_mov_b64 s[2:3], -1
	s_mov_b64 s[60:61], 0
	s_waitcnt vmcnt(0)
	v_lshlrev_b32_e32 v5, 16, v1
	s_branch .LBB103_884
.LBB103_880:
	s_mov_b64 s[6:7], -1
                                        ; implicit-def: $vgpr5
	s_branch .LBB103_885
.LBB103_881:
	s_or_saveexec_b64 s[6:7], s[6:7]
	v_mov_b32_e32 v5, 0x7f800001
	s_xor_b64 exec, exec, s[6:7]
	s_cbranch_execz .LBB103_862
.LBB103_882:
	v_cmp_ne_u16_e32 vcc, 0, v1
	s_andn2_b64 s[2:3], s[2:3], exec
	s_and_b64 s[62:63], vcc, exec
	v_mov_b32_e32 v5, 0
	s_or_b64 s[2:3], s[2:3], s[62:63]
	s_or_b64 exec, exec, s[6:7]
	s_and_saveexec_b64 s[6:7], s[2:3]
	s_cbranch_execnz .LBB103_863
	s_branch .LBB103_864
.LBB103_883:
	s_mov_b64 s[60:61], -1
                                        ; implicit-def: $vgpr5
.LBB103_884:
	s_mov_b64 s[6:7], 0
.LBB103_885:
	s_and_b64 vcc, exec, s[6:7]
	s_cbranch_vccz .LBB103_889
; %bb.886:
	s_cmp_eq_u32 s64, 11
	s_cbranch_scc0 .LBB103_888
; %bb.887:
	global_load_ubyte v1, v[3:4], off
	s_mov_b64 s[2:3], -1
	s_mov_b64 s[60:61], 0
	s_waitcnt vmcnt(0)
	v_cmp_ne_u16_e32 vcc, 0, v1
	v_cndmask_b32_e64 v5, 0, 1.0, vcc
	s_branch .LBB103_889
.LBB103_888:
	s_mov_b64 s[60:61], -1
                                        ; implicit-def: $vgpr5
.LBB103_889:
	s_mov_b64 s[6:7], 0
.LBB103_890:
	s_and_b64 vcc, exec, s[6:7]
	s_cbranch_vccz .LBB103_939
; %bb.891:
	s_and_b32 s6, 0xffff, s14
	s_cmp_lt_i32 s6, 5
	s_cbranch_scc1 .LBB103_896
; %bb.892:
	s_cmp_lt_i32 s6, 8
	s_cbranch_scc1 .LBB103_897
; %bb.893:
	;; [unrolled: 3-line block ×3, first 2 shown]
	s_cmp_gt_i32 s6, 9
	s_cbranch_scc0 .LBB103_899
; %bb.895:
	global_load_dwordx2 v[5:6], v[3:4], off
	s_mov_b64 s[2:3], 0
	s_waitcnt vmcnt(0)
	v_cvt_f32_f64_e32 v5, v[5:6]
	s_branch .LBB103_900
.LBB103_896:
	s_mov_b64 s[2:3], -1
                                        ; implicit-def: $vgpr5
	s_branch .LBB103_918
.LBB103_897:
	s_mov_b64 s[2:3], -1
                                        ; implicit-def: $vgpr5
	s_branch .LBB103_906
.LBB103_898:
	s_mov_b64 s[2:3], -1
                                        ; implicit-def: $vgpr5
	s_branch .LBB103_903
.LBB103_899:
	s_mov_b64 s[2:3], -1
                                        ; implicit-def: $vgpr5
.LBB103_900:
	s_andn2_b64 vcc, exec, s[2:3]
	s_cbranch_vccnz .LBB103_902
; %bb.901:
	global_load_dword v5, v[3:4], off
.LBB103_902:
	s_mov_b64 s[2:3], 0
.LBB103_903:
	s_andn2_b64 vcc, exec, s[2:3]
	s_cbranch_vccnz .LBB103_905
; %bb.904:
	global_load_dword v1, v[3:4], off
	s_waitcnt vmcnt(0)
	v_cvt_f32_f16_e32 v5, v1
.LBB103_905:
	s_mov_b64 s[2:3], 0
.LBB103_906:
	s_andn2_b64 vcc, exec, s[2:3]
	s_cbranch_vccnz .LBB103_917
; %bb.907:
	s_cmp_lt_i32 s6, 6
	s_cbranch_scc1 .LBB103_910
; %bb.908:
	s_cmp_gt_i32 s6, 6
	s_cbranch_scc0 .LBB103_911
; %bb.909:
	global_load_dwordx2 v[5:6], v[3:4], off
	s_mov_b64 s[2:3], 0
	s_waitcnt vmcnt(0)
	v_cvt_f32_f64_e32 v5, v[5:6]
	s_branch .LBB103_912
.LBB103_910:
	s_mov_b64 s[2:3], -1
                                        ; implicit-def: $vgpr5
	s_branch .LBB103_915
.LBB103_911:
	s_mov_b64 s[2:3], -1
                                        ; implicit-def: $vgpr5
.LBB103_912:
	s_andn2_b64 vcc, exec, s[2:3]
	s_cbranch_vccnz .LBB103_914
; %bb.913:
	global_load_dword v5, v[3:4], off
.LBB103_914:
	s_mov_b64 s[2:3], 0
.LBB103_915:
	s_andn2_b64 vcc, exec, s[2:3]
	s_cbranch_vccnz .LBB103_917
; %bb.916:
	global_load_ushort v1, v[3:4], off
	s_waitcnt vmcnt(0)
	v_cvt_f32_f16_e32 v5, v1
.LBB103_917:
	s_mov_b64 s[2:3], 0
.LBB103_918:
	s_andn2_b64 vcc, exec, s[2:3]
	s_cbranch_vccnz .LBB103_938
; %bb.919:
	s_cmp_lt_i32 s6, 2
	s_cbranch_scc1 .LBB103_923
; %bb.920:
	s_cmp_lt_i32 s6, 3
	s_cbranch_scc1 .LBB103_924
; %bb.921:
	s_cmp_gt_i32 s6, 3
	s_cbranch_scc0 .LBB103_925
; %bb.922:
	global_load_dwordx2 v[5:6], v[3:4], off
	s_mov_b64 s[2:3], 0
	s_waitcnt vmcnt(0)
	v_xor_b32_e32 v7, v5, v6
	v_ffbh_i32_e32 v1, v6
	v_ashrrev_i32_e32 v7, 31, v7
	v_add_u32_e32 v1, -1, v1
	v_add_u32_e32 v7, 32, v7
	v_min_u32_e32 v1, v1, v7
	v_lshlrev_b64 v[5:6], v1, v[5:6]
	v_sub_u32_e32 v1, 32, v1
	v_min_u32_e32 v5, 1, v5
	v_or_b32_e32 v5, v6, v5
	v_cvt_f32_i32_e32 v5, v5
	v_ldexp_f32 v5, v5, v1
	s_branch .LBB103_926
.LBB103_923:
	s_mov_b64 s[2:3], -1
                                        ; implicit-def: $vgpr5
	s_branch .LBB103_932
.LBB103_924:
	s_mov_b64 s[2:3], -1
                                        ; implicit-def: $vgpr5
	s_branch .LBB103_929
.LBB103_925:
	s_mov_b64 s[2:3], -1
                                        ; implicit-def: $vgpr5
.LBB103_926:
	s_andn2_b64 vcc, exec, s[2:3]
	s_cbranch_vccnz .LBB103_928
; %bb.927:
	global_load_dword v1, v[3:4], off
	s_waitcnt vmcnt(0)
	v_cvt_f32_i32_e32 v5, v1
.LBB103_928:
	s_mov_b64 s[2:3], 0
.LBB103_929:
	s_andn2_b64 vcc, exec, s[2:3]
	s_cbranch_vccnz .LBB103_931
; %bb.930:
	global_load_sshort v1, v[3:4], off
	s_waitcnt vmcnt(0)
	v_cvt_f32_i32_e32 v5, v1
.LBB103_931:
	s_mov_b64 s[2:3], 0
.LBB103_932:
	s_andn2_b64 vcc, exec, s[2:3]
	s_cbranch_vccnz .LBB103_938
; %bb.933:
	s_cmp_gt_i32 s6, 0
	s_cbranch_scc0 .LBB103_935
; %bb.934:
	global_load_sbyte v1, v[3:4], off
	s_mov_b64 s[2:3], 0
	s_waitcnt vmcnt(0)
	v_cvt_f32_i32_e32 v5, v1
	s_branch .LBB103_936
.LBB103_935:
	s_mov_b64 s[2:3], -1
                                        ; implicit-def: $vgpr5
.LBB103_936:
	s_andn2_b64 vcc, exec, s[2:3]
	s_cbranch_vccnz .LBB103_938
; %bb.937:
	global_load_ubyte v1, v[3:4], off
	s_waitcnt vmcnt(0)
	v_cvt_f32_ubyte0_e32 v5, v1
.LBB103_938:
	s_mov_b64 s[2:3], -1
.LBB103_939:
	s_andn2_b64 vcc, exec, s[2:3]
	s_cbranch_vccnz .LBB103_947
; %bb.940:
	v_mov_b32_e32 v3, s13
	s_and_b32 s14, s73, 0xff
	v_add_co_u32_e32 v1, vcc, s12, v2
	s_cmp_lt_i32 s14, 11
	v_addc_co_u32_e32 v2, vcc, 0, v3, vcc
	s_cbranch_scc1 .LBB103_949
; %bb.941:
	s_and_b32 s66, 0xffff, s14
	s_cmp_gt_i32 s66, 25
	s_cbranch_scc0 .LBB103_950
; %bb.942:
	s_cmp_gt_i32 s66, 28
	s_cbranch_scc0 .LBB103_951
; %bb.943:
	;; [unrolled: 3-line block ×4, first 2 shown]
	s_cmp_eq_u32 s66, 46
	s_mov_b64 s[6:7], 0
	s_cbranch_scc0 .LBB103_956
; %bb.946:
	global_load_dword v3, v[1:2], off
	s_mov_b64 s[2:3], -1
	s_mov_b64 s[62:63], 0
	s_waitcnt vmcnt(0)
	v_lshlrev_b32_e32 v3, 16, v3
	s_branch .LBB103_957
.LBB103_947:
	s_mov_b64 s[66:67], 0
	s_mov_b64 s[6:7], s[54:55]
	;; [unrolled: 1-line block ×3, first 2 shown]
.LBB103_948:
                                        ; implicit-def: $vgpr8
	s_branch .LBB103_1195
.LBB103_949:
	s_mov_b64 s[6:7], -1
	s_mov_b64 s[2:3], 0
                                        ; implicit-def: $vgpr3
	s_mov_b64 s[62:63], s[52:53]
	s_branch .LBB103_1022
.LBB103_950:
	s_mov_b64 s[6:7], -1
	s_mov_b64 s[2:3], 0
	s_mov_b64 s[62:63], s[52:53]
                                        ; implicit-def: $vgpr3
	s_branch .LBB103_986
.LBB103_951:
	s_mov_b64 s[6:7], -1
	s_mov_b64 s[2:3], 0
	s_mov_b64 s[62:63], s[52:53]
                                        ; implicit-def: $vgpr3
	s_branch .LBB103_967
.LBB103_952:
	s_mov_b64 s[6:7], -1
	s_mov_b64 s[2:3], 0
	s_mov_b64 s[62:63], s[52:53]
                                        ; implicit-def: $vgpr3
	s_branch .LBB103_962
.LBB103_953:
	s_mov_b64 s[6:7], -1
	s_mov_b64 s[2:3], 0
	s_mov_b64 s[62:63], s[52:53]
                                        ; implicit-def: $vgpr3
	s_branch .LBB103_957
.LBB103_954:
	s_andn2_saveexec_b64 s[60:61], s[60:61]
	s_cbranch_execz .LBB103_718
.LBB103_955:
	v_add_f32_e32 v2, 0x42800000, v3
	v_and_b32_e32 v2, 0xff, v2
	v_cmp_ne_u32_e32 vcc, 0, v2
	s_andn2_b64 s[58:59], s[58:59], exec
	s_and_b64 s[64:65], vcc, exec
	s_or_b64 s[58:59], s[58:59], s[64:65]
	s_or_b64 exec, exec, s[60:61]
	v_mov_b32_e32 v4, 0
	s_and_saveexec_b64 s[60:61], s[58:59]
	s_cbranch_execnz .LBB103_719
	s_branch .LBB103_720
.LBB103_956:
	s_mov_b64 s[62:63], -1
                                        ; implicit-def: $vgpr3
	s_mov_b64 s[2:3], 0
.LBB103_957:
	s_and_b64 vcc, exec, s[6:7]
	s_cbranch_vccz .LBB103_961
; %bb.958:
	s_cmp_eq_u32 s66, 44
	s_cbranch_scc0 .LBB103_960
; %bb.959:
	global_load_ubyte v3, v[1:2], off
	s_movk_i32 s6, 0xff
	v_mov_b32_e32 v4, 0x7f800001
	v_mov_b32_e32 v6, 0x400000
	s_mov_b64 s[2:3], -1
	s_mov_b64 s[62:63], 0
	s_waitcnt vmcnt(0)
	v_lshlrev_b32_e32 v7, 23, v3
	v_cmp_ne_u32_e32 vcc, s6, v3
	v_cndmask_b32_e32 v4, v4, v7, vcc
	v_cmp_ne_u32_e32 vcc, 0, v3
	v_cndmask_b32_e32 v3, v6, v4, vcc
	s_branch .LBB103_961
.LBB103_960:
	s_mov_b64 s[62:63], -1
                                        ; implicit-def: $vgpr3
.LBB103_961:
	s_mov_b64 s[6:7], 0
.LBB103_962:
	s_and_b64 vcc, exec, s[6:7]
	s_cbranch_vccz .LBB103_966
; %bb.963:
	s_cmp_eq_u32 s66, 29
	s_cbranch_scc0 .LBB103_965
; %bb.964:
	global_load_dwordx2 v[3:4], v[1:2], off
	s_mov_b64 s[2:3], -1
	s_mov_b64 s[62:63], 0
	s_mov_b64 s[6:7], 0
	s_waitcnt vmcnt(0)
	v_ffbh_u32_e32 v6, v4
	v_min_u32_e32 v6, 32, v6
	v_lshlrev_b64 v[3:4], v6, v[3:4]
	v_min_u32_e32 v3, 1, v3
	v_or_b32_e32 v3, v4, v3
	v_cvt_f32_u32_e32 v3, v3
	v_sub_u32_e32 v4, 32, v6
	v_ldexp_f32 v3, v3, v4
	s_branch .LBB103_967
.LBB103_965:
	s_mov_b64 s[62:63], -1
                                        ; implicit-def: $vgpr3
.LBB103_966:
	s_mov_b64 s[6:7], 0
.LBB103_967:
	s_and_b64 vcc, exec, s[6:7]
	s_cbranch_vccz .LBB103_985
; %bb.968:
	s_cmp_lt_i32 s66, 27
	s_cbranch_scc1 .LBB103_971
; %bb.969:
	s_cmp_gt_i32 s66, 27
	s_cbranch_scc0 .LBB103_972
; %bb.970:
	global_load_dword v3, v[1:2], off
	s_mov_b64 s[2:3], 0
	s_waitcnt vmcnt(0)
	v_cvt_f32_u32_e32 v3, v3
	s_branch .LBB103_973
.LBB103_971:
	s_mov_b64 s[2:3], -1
                                        ; implicit-def: $vgpr3
	s_branch .LBB103_976
.LBB103_972:
	s_mov_b64 s[2:3], -1
                                        ; implicit-def: $vgpr3
.LBB103_973:
	s_andn2_b64 vcc, exec, s[2:3]
	s_cbranch_vccnz .LBB103_975
; %bb.974:
	global_load_ushort v3, v[1:2], off
	s_waitcnt vmcnt(0)
	v_cvt_f32_u32_e32 v3, v3
.LBB103_975:
	s_mov_b64 s[2:3], 0
.LBB103_976:
	s_andn2_b64 vcc, exec, s[2:3]
	s_cbranch_vccnz .LBB103_984
; %bb.977:
	global_load_ubyte v4, v[1:2], off
	s_movk_i32 s2, 0x7f
	s_waitcnt vmcnt(0)
	v_cmp_lt_i16_e32 vcc, s2, v4
	s_mov_b64 s[2:3], 0
	s_and_saveexec_b64 s[6:7], vcc
	s_xor_b64 s[6:7], exec, s[6:7]
	s_cbranch_execz .LBB103_998
; %bb.978:
	s_movk_i32 s2, 0x80
	v_cmp_eq_u16_e32 vcc, s2, v4
	s_mov_b64 s[2:3], -1
	s_and_saveexec_b64 s[64:65], vcc
; %bb.979:
	s_xor_b64 s[2:3], exec, -1
; %bb.980:
	s_or_b64 exec, exec, s[64:65]
	s_and_b64 s[2:3], s[2:3], exec
	s_or_saveexec_b64 s[6:7], s[6:7]
	v_mov_b32_e32 v3, 0x7f800001
	s_xor_b64 exec, exec, s[6:7]
	s_cbranch_execnz .LBB103_999
.LBB103_981:
	s_or_b64 exec, exec, s[6:7]
	s_and_saveexec_b64 s[6:7], s[2:3]
	s_cbranch_execz .LBB103_983
.LBB103_982:
	v_lshlrev_b32_e32 v3, 24, v4
	v_and_b32_e32 v4, 0xffff, v4
	v_and_b32_e32 v6, 7, v4
	v_ffbh_u32_e32 v9, v6
	v_min_u32_e32 v9, 32, v9
	v_subrev_u32_e32 v10, 28, v9
	v_bfe_u32 v7, v4, 3, 4
	v_lshlrev_b32_e32 v4, v10, v4
	v_sub_u32_e32 v9, 29, v9
	v_and_b32_e32 v4, 7, v4
	v_cmp_eq_u32_e32 vcc, 0, v7
	v_cndmask_b32_e32 v7, v7, v9, vcc
	v_cndmask_b32_e32 v4, v6, v4, vcc
	v_mov_b32_e32 v6, 0x3b800000
	v_lshlrev_b32_e32 v4, 20, v4
	v_and_b32_e32 v3, 0x80000000, v3
	v_lshl_add_u32 v6, v7, 23, v6
	v_or3_b32 v3, v3, v6, v4
.LBB103_983:
	s_or_b64 exec, exec, s[6:7]
.LBB103_984:
	s_mov_b64 s[2:3], -1
.LBB103_985:
	s_mov_b64 s[6:7], 0
.LBB103_986:
	s_and_b64 vcc, exec, s[6:7]
	s_cbranch_vccz .LBB103_1021
; %bb.987:
	s_cmp_gt_i32 s66, 22
	s_cbranch_scc0 .LBB103_997
; %bb.988:
	s_cmp_lt_i32 s66, 24
	s_cbranch_scc1 .LBB103_1000
; %bb.989:
	s_cmp_gt_i32 s66, 24
	s_cbranch_scc0 .LBB103_1001
; %bb.990:
	global_load_ubyte v4, v[1:2], off
	s_movk_i32 s2, 0x7f
	s_waitcnt vmcnt(0)
	v_cmp_lt_i16_e32 vcc, s2, v4
	s_mov_b64 s[2:3], 0
	s_and_saveexec_b64 s[6:7], vcc
	s_xor_b64 s[6:7], exec, s[6:7]
	s_cbranch_execz .LBB103_1013
; %bb.991:
	s_movk_i32 s2, 0x80
	v_cmp_eq_u16_e32 vcc, s2, v4
	s_mov_b64 s[2:3], -1
	s_and_saveexec_b64 s[64:65], vcc
; %bb.992:
	s_xor_b64 s[2:3], exec, -1
; %bb.993:
	s_or_b64 exec, exec, s[64:65]
	s_and_b64 s[2:3], s[2:3], exec
	s_or_saveexec_b64 s[6:7], s[6:7]
	v_mov_b32_e32 v3, 0x7f800001
	s_xor_b64 exec, exec, s[6:7]
	s_cbranch_execnz .LBB103_1014
.LBB103_994:
	s_or_b64 exec, exec, s[6:7]
	s_and_saveexec_b64 s[6:7], s[2:3]
	s_cbranch_execz .LBB103_996
.LBB103_995:
	v_lshlrev_b32_e32 v3, 24, v4
	v_and_b32_e32 v4, 0xffff, v4
	v_and_b32_e32 v6, 3, v4
	v_ffbh_u32_e32 v9, v6
	v_min_u32_e32 v9, 32, v9
	v_subrev_u32_e32 v10, 29, v9
	v_bfe_u32 v7, v4, 2, 5
	v_lshlrev_b32_e32 v4, v10, v4
	v_sub_u32_e32 v9, 30, v9
	v_and_b32_e32 v4, 3, v4
	v_cmp_eq_u32_e32 vcc, 0, v7
	v_cndmask_b32_e32 v7, v7, v9, vcc
	v_cndmask_b32_e32 v4, v6, v4, vcc
	v_mov_b32_e32 v6, 0x37800000
	v_lshlrev_b32_e32 v4, 21, v4
	v_and_b32_e32 v3, 0x80000000, v3
	v_lshl_add_u32 v6, v7, 23, v6
	v_or3_b32 v3, v3, v6, v4
.LBB103_996:
	s_or_b64 exec, exec, s[6:7]
	s_mov_b64 s[2:3], 0
	s_branch .LBB103_1002
.LBB103_997:
	s_mov_b64 s[6:7], -1
                                        ; implicit-def: $vgpr3
	s_branch .LBB103_1008
.LBB103_998:
	s_or_saveexec_b64 s[6:7], s[6:7]
	v_mov_b32_e32 v3, 0x7f800001
	s_xor_b64 exec, exec, s[6:7]
	s_cbranch_execz .LBB103_981
.LBB103_999:
	v_cmp_ne_u16_e32 vcc, 0, v4
	s_andn2_b64 s[2:3], s[2:3], exec
	s_and_b64 s[64:65], vcc, exec
	v_mov_b32_e32 v3, 0
	s_or_b64 s[2:3], s[2:3], s[64:65]
	s_or_b64 exec, exec, s[6:7]
	s_and_saveexec_b64 s[6:7], s[2:3]
	s_cbranch_execnz .LBB103_982
	s_branch .LBB103_983
.LBB103_1000:
	s_mov_b64 s[2:3], -1
                                        ; implicit-def: $vgpr3
	s_branch .LBB103_1005
.LBB103_1001:
	s_mov_b64 s[2:3], -1
                                        ; implicit-def: $vgpr3
.LBB103_1002:
	s_and_b64 vcc, exec, s[2:3]
	s_cbranch_vccz .LBB103_1004
; %bb.1003:
	global_load_ubyte v3, v[1:2], off
	s_mov_b32 s2, 0x7f800000
	s_waitcnt vmcnt(0)
	v_lshlrev_b32_e32 v3, 24, v3
	v_and_b32_e32 v4, 0x7f000000, v3
	v_ffbh_u32_e32 v6, v4
	v_min_u32_e32 v6, 32, v6
	v_sub_u32_e64 v6, v6, 4 clamp
	v_lshlrev_b32_e32 v9, v6, v4
	v_lshlrev_b32_e32 v6, 23, v6
	v_lshrrev_b32_e32 v9, 4, v9
	v_add_u32_e32 v7, 0x1000000, v4
	v_sub_u32_e32 v6, v9, v6
	v_ashrrev_i32_e32 v7, 8, v7
	v_add_u32_e32 v6, 0x3c000000, v6
	v_and_or_b32 v6, v7, s2, v6
	v_cmp_ne_u32_e32 vcc, 0, v4
	v_cndmask_b32_e32 v4, 0, v6, vcc
	s_brev_b32 s2, 1
	v_and_or_b32 v3, v3, s2, v4
.LBB103_1004:
	s_mov_b64 s[2:3], 0
.LBB103_1005:
	s_andn2_b64 vcc, exec, s[2:3]
	s_cbranch_vccnz .LBB103_1007
; %bb.1006:
	global_load_ubyte v3, v[1:2], off
	s_movk_i32 s2, 0x7f00
	s_brev_b32 s3, 16
	s_waitcnt vmcnt(0)
	v_lshlrev_b16_e32 v4, 8, v3
	v_lshlrev_b32_e32 v3, 25, v3
	v_lshrrev_b32_e32 v6, 4, v3
	v_and_or_b32 v7, v4, s2, 0.5
	v_or_b32_e32 v6, 0x70000000, v6
	v_add_f32_e32 v7, -0.5, v7
	v_mul_f32_e32 v6, 0x7800000, v6
	v_cmp_gt_u32_e32 vcc, s3, v3
	v_bfe_i32 v4, v4, 0, 16
	v_cndmask_b32_e32 v3, v6, v7, vcc
	s_brev_b32 s2, 1
	v_and_or_b32 v3, v4, s2, v3
.LBB103_1007:
	s_mov_b64 s[6:7], 0
	s_mov_b64 s[2:3], -1
.LBB103_1008:
	s_andn2_b64 vcc, exec, s[6:7]
	s_cbranch_vccnz .LBB103_1021
; %bb.1009:
	s_cmp_gt_i32 s66, 14
	s_cbranch_scc0 .LBB103_1012
; %bb.1010:
	s_cmp_eq_u32 s66, 15
	s_cbranch_scc0 .LBB103_1015
; %bb.1011:
	global_load_ushort v3, v[1:2], off
	s_mov_b64 s[2:3], -1
	s_mov_b64 s[62:63], 0
	s_waitcnt vmcnt(0)
	v_lshlrev_b32_e32 v3, 16, v3
	s_branch .LBB103_1016
.LBB103_1012:
	s_mov_b64 s[6:7], -1
                                        ; implicit-def: $vgpr3
	s_branch .LBB103_1017
.LBB103_1013:
	s_or_saveexec_b64 s[6:7], s[6:7]
	v_mov_b32_e32 v3, 0x7f800001
	s_xor_b64 exec, exec, s[6:7]
	s_cbranch_execz .LBB103_994
.LBB103_1014:
	v_cmp_ne_u16_e32 vcc, 0, v4
	s_andn2_b64 s[2:3], s[2:3], exec
	s_and_b64 s[64:65], vcc, exec
	v_mov_b32_e32 v3, 0
	s_or_b64 s[2:3], s[2:3], s[64:65]
	s_or_b64 exec, exec, s[6:7]
	s_and_saveexec_b64 s[6:7], s[2:3]
	s_cbranch_execnz .LBB103_995
	s_branch .LBB103_996
.LBB103_1015:
	s_mov_b64 s[62:63], -1
                                        ; implicit-def: $vgpr3
.LBB103_1016:
	s_mov_b64 s[6:7], 0
.LBB103_1017:
	s_and_b64 vcc, exec, s[6:7]
	s_cbranch_vccz .LBB103_1021
; %bb.1018:
	s_cmp_eq_u32 s66, 11
	s_cbranch_scc0 .LBB103_1020
; %bb.1019:
	global_load_ubyte v3, v[1:2], off
	s_mov_b64 s[2:3], -1
	s_mov_b64 s[62:63], 0
	s_waitcnt vmcnt(0)
	v_cmp_ne_u16_e32 vcc, 0, v3
	v_cndmask_b32_e64 v3, 0, 1.0, vcc
	s_branch .LBB103_1021
.LBB103_1020:
	s_mov_b64 s[62:63], -1
                                        ; implicit-def: $vgpr3
.LBB103_1021:
	s_mov_b64 s[6:7], 0
.LBB103_1022:
	s_and_b64 vcc, exec, s[6:7]
	s_cbranch_vccz .LBB103_1071
; %bb.1023:
	s_and_b32 s6, 0xffff, s14
	s_cmp_lt_i32 s6, 5
	s_cbranch_scc1 .LBB103_1028
; %bb.1024:
	s_cmp_lt_i32 s6, 8
	s_cbranch_scc1 .LBB103_1029
; %bb.1025:
	;; [unrolled: 3-line block ×3, first 2 shown]
	s_cmp_gt_i32 s6, 9
	s_cbranch_scc0 .LBB103_1031
; %bb.1027:
	global_load_dwordx2 v[3:4], v[1:2], off
	s_mov_b64 s[2:3], 0
	s_waitcnt vmcnt(0)
	v_cvt_f32_f64_e32 v3, v[3:4]
	s_branch .LBB103_1032
.LBB103_1028:
	s_mov_b64 s[2:3], -1
                                        ; implicit-def: $vgpr3
	s_branch .LBB103_1050
.LBB103_1029:
	s_mov_b64 s[2:3], -1
                                        ; implicit-def: $vgpr3
	s_branch .LBB103_1038
.LBB103_1030:
	s_mov_b64 s[2:3], -1
                                        ; implicit-def: $vgpr3
	s_branch .LBB103_1035
.LBB103_1031:
	s_mov_b64 s[2:3], -1
                                        ; implicit-def: $vgpr3
.LBB103_1032:
	s_andn2_b64 vcc, exec, s[2:3]
	s_cbranch_vccnz .LBB103_1034
; %bb.1033:
	global_load_dword v3, v[1:2], off
.LBB103_1034:
	s_mov_b64 s[2:3], 0
.LBB103_1035:
	s_andn2_b64 vcc, exec, s[2:3]
	s_cbranch_vccnz .LBB103_1037
; %bb.1036:
	global_load_dword v3, v[1:2], off
	s_waitcnt vmcnt(0)
	v_cvt_f32_f16_e32 v3, v3
.LBB103_1037:
	s_mov_b64 s[2:3], 0
.LBB103_1038:
	s_andn2_b64 vcc, exec, s[2:3]
	s_cbranch_vccnz .LBB103_1049
; %bb.1039:
	s_cmp_lt_i32 s6, 6
	s_cbranch_scc1 .LBB103_1042
; %bb.1040:
	s_cmp_gt_i32 s6, 6
	s_cbranch_scc0 .LBB103_1043
; %bb.1041:
	global_load_dwordx2 v[3:4], v[1:2], off
	s_mov_b64 s[2:3], 0
	s_waitcnt vmcnt(0)
	v_cvt_f32_f64_e32 v3, v[3:4]
	s_branch .LBB103_1044
.LBB103_1042:
	s_mov_b64 s[2:3], -1
                                        ; implicit-def: $vgpr3
	s_branch .LBB103_1047
.LBB103_1043:
	s_mov_b64 s[2:3], -1
                                        ; implicit-def: $vgpr3
.LBB103_1044:
	s_andn2_b64 vcc, exec, s[2:3]
	s_cbranch_vccnz .LBB103_1046
; %bb.1045:
	global_load_dword v3, v[1:2], off
.LBB103_1046:
	s_mov_b64 s[2:3], 0
.LBB103_1047:
	s_andn2_b64 vcc, exec, s[2:3]
	s_cbranch_vccnz .LBB103_1049
; %bb.1048:
	global_load_ushort v3, v[1:2], off
	s_waitcnt vmcnt(0)
	v_cvt_f32_f16_e32 v3, v3
.LBB103_1049:
	s_mov_b64 s[2:3], 0
.LBB103_1050:
	s_andn2_b64 vcc, exec, s[2:3]
	s_cbranch_vccnz .LBB103_1070
; %bb.1051:
	s_cmp_lt_i32 s6, 2
	s_cbranch_scc1 .LBB103_1055
; %bb.1052:
	s_cmp_lt_i32 s6, 3
	s_cbranch_scc1 .LBB103_1056
; %bb.1053:
	s_cmp_gt_i32 s6, 3
	s_cbranch_scc0 .LBB103_1057
; %bb.1054:
	global_load_dwordx2 v[3:4], v[1:2], off
	s_mov_b64 s[2:3], 0
	s_waitcnt vmcnt(0)
	v_xor_b32_e32 v7, v3, v4
	v_ffbh_i32_e32 v6, v4
	v_ashrrev_i32_e32 v7, 31, v7
	v_add_u32_e32 v6, -1, v6
	v_add_u32_e32 v7, 32, v7
	v_min_u32_e32 v6, v6, v7
	v_lshlrev_b64 v[3:4], v6, v[3:4]
	v_min_u32_e32 v3, 1, v3
	v_or_b32_e32 v3, v4, v3
	v_cvt_f32_i32_e32 v3, v3
	v_sub_u32_e32 v4, 32, v6
	v_ldexp_f32 v3, v3, v4
	s_branch .LBB103_1058
.LBB103_1055:
	s_mov_b64 s[2:3], -1
                                        ; implicit-def: $vgpr3
	s_branch .LBB103_1064
.LBB103_1056:
	s_mov_b64 s[2:3], -1
                                        ; implicit-def: $vgpr3
	s_branch .LBB103_1061
.LBB103_1057:
	s_mov_b64 s[2:3], -1
                                        ; implicit-def: $vgpr3
.LBB103_1058:
	s_andn2_b64 vcc, exec, s[2:3]
	s_cbranch_vccnz .LBB103_1060
; %bb.1059:
	global_load_dword v3, v[1:2], off
	s_waitcnt vmcnt(0)
	v_cvt_f32_i32_e32 v3, v3
.LBB103_1060:
	s_mov_b64 s[2:3], 0
.LBB103_1061:
	s_andn2_b64 vcc, exec, s[2:3]
	s_cbranch_vccnz .LBB103_1063
; %bb.1062:
	global_load_sshort v3, v[1:2], off
	s_waitcnt vmcnt(0)
	v_cvt_f32_i32_e32 v3, v3
.LBB103_1063:
	s_mov_b64 s[2:3], 0
.LBB103_1064:
	s_andn2_b64 vcc, exec, s[2:3]
	s_cbranch_vccnz .LBB103_1070
; %bb.1065:
	s_cmp_gt_i32 s6, 0
	s_cbranch_scc0 .LBB103_1067
; %bb.1066:
	global_load_sbyte v3, v[1:2], off
	s_mov_b64 s[2:3], 0
	s_waitcnt vmcnt(0)
	v_cvt_f32_i32_e32 v3, v3
	s_branch .LBB103_1068
.LBB103_1067:
	s_mov_b64 s[2:3], -1
                                        ; implicit-def: $vgpr3
.LBB103_1068:
	s_andn2_b64 vcc, exec, s[2:3]
	s_cbranch_vccnz .LBB103_1070
; %bb.1069:
	global_load_ubyte v1, v[1:2], off
	s_waitcnt vmcnt(0)
	v_cvt_f32_ubyte0_e32 v3, v1
.LBB103_1070:
	s_mov_b64 s[2:3], -1
.LBB103_1071:
	s_andn2_b64 vcc, exec, s[2:3]
	s_cbranch_vccnz .LBB103_1079
; %bb.1072:
	s_waitcnt vmcnt(0)
	v_cmp_eq_f32_e32 vcc, v5, v3
	v_cndmask_b32_e64 v1, 0, 1, vcc
	v_cmp_neq_f32_e32 vcc, v5, v3
	v_cndmask_b32_e64 v2, 0, 1, vcc
	v_cndmask_b32_e64 v1, v2, v1, s[0:1]
	v_and_b32_e32 v1, 1, v1
	v_cmp_eq_u32_e64 s[2:3], 1, v1
	v_mov_b32_e32 v1, s9
	s_and_b32 s14, s15, 0xff
	v_add_co_u32_e32 v0, vcc, s8, v0
	s_cmp_lt_i32 s14, 11
	v_addc_co_u32_e32 v1, vcc, 0, v1, vcc
	s_cbranch_scc1 .LBB103_1080
; %bb.1073:
	s_and_b32 s71, 0xffff, s14
	s_cmp_gt_i32 s71, 25
	s_cbranch_scc0 .LBB103_1081
; %bb.1074:
	s_cmp_gt_i32 s71, 28
	s_cbranch_scc0 .LBB103_1082
; %bb.1075:
	;; [unrolled: 3-line block ×4, first 2 shown]
	s_mov_b64 s[66:67], 0
	s_mov_b64 s[6:7], -1
	s_cmp_eq_u32 s71, 46
	s_mov_b64 s[64:65], 0
	s_cbranch_scc0 .LBB103_1085
; %bb.1078:
	v_cndmask_b32_e64 v2, 0, 1.0, s[2:3]
	v_bfe_u32 v3, v2, 16, 1
	s_movk_i32 s6, 0x7fff
	v_add3_u32 v2, v2, v3, s6
	v_lshrrev_b32_e32 v2, 16, v2
	global_store_dword v[0:1], v2, off
	s_mov_b64 s[64:65], -1
	s_mov_b64 s[6:7], 0
	s_branch .LBB103_1085
.LBB103_1079:
	s_mov_b64 s[66:67], 0
                                        ; implicit-def: $vgpr8
	s_mov_b64 s[6:7], s[54:55]
	s_branch .LBB103_1195
.LBB103_1080:
	s_mov_b64 s[66:67], -1
	s_mov_b64 s[64:65], 0
	s_mov_b64 s[6:7], s[54:55]
	s_branch .LBB103_1154
.LBB103_1081:
	s_mov_b64 s[66:67], -1
	s_mov_b64 s[64:65], 0
	s_mov_b64 s[6:7], s[54:55]
	s_branch .LBB103_1112
.LBB103_1082:
	s_mov_b64 s[66:67], -1
	s_mov_b64 s[64:65], 0
	s_mov_b64 s[6:7], s[54:55]
	s_branch .LBB103_1095
.LBB103_1083:
	s_mov_b64 s[66:67], -1
	s_mov_b64 s[64:65], 0
	s_mov_b64 s[6:7], s[54:55]
	s_branch .LBB103_1091
.LBB103_1084:
	s_mov_b64 s[66:67], -1
	s_mov_b64 s[64:65], 0
	s_mov_b64 s[6:7], s[54:55]
.LBB103_1085:
	s_and_b64 vcc, exec, s[66:67]
	s_cbranch_vccz .LBB103_1090
; %bb.1086:
	s_cmp_eq_u32 s71, 44
	s_mov_b64 s[6:7], -1
	s_cbranch_scc0 .LBB103_1090
; %bb.1087:
	v_cndmask_b32_e64 v3, 0, 1.0, s[2:3]
	v_lshrrev_b32_e32 v2, 23, v3
	s_movk_i32 s6, 0xff
	v_cmp_ne_u32_e32 vcc, s6, v2
	v_mov_b32_e32 v4, 0xff
	s_and_saveexec_b64 s[64:65], vcc
; %bb.1088:
	s_mov_b32 s6, 0x3fffff
	v_and_b32_e32 v4, 0x400000, v3
	v_and_or_b32 v3, v3, s6, v2
	v_cmp_ne_u32_e32 vcc, 0, v4
	v_cmp_ne_u32_e64 s[6:7], 0, v3
	s_and_b64 s[6:7], vcc, s[6:7]
	v_cndmask_b32_e64 v3, 0, 1, s[6:7]
	v_add_u32_e32 v4, v2, v3
; %bb.1089:
	s_or_b64 exec, exec, s[64:65]
	s_mov_b64 s[64:65], -1
	s_mov_b64 s[6:7], 0
	global_store_byte v[0:1], v4, off
.LBB103_1090:
	s_mov_b64 s[66:67], 0
.LBB103_1091:
	s_and_b64 vcc, exec, s[66:67]
	s_cbranch_vccz .LBB103_1094
; %bb.1092:
	s_cmp_eq_u32 s71, 29
	s_mov_b64 s[6:7], -1
	s_cbranch_scc0 .LBB103_1094
; %bb.1093:
	s_mov_b32 s6, 0
	v_cndmask_b32_e64 v2, 0, 1, s[2:3]
	v_mov_b32_e32 v3, s6
	global_store_dwordx2 v[0:1], v[2:3], off
	s_mov_b64 s[64:65], -1
	s_mov_b64 s[6:7], 0
.LBB103_1094:
	s_mov_b64 s[66:67], 0
.LBB103_1095:
	s_and_b64 vcc, exec, s[66:67]
	s_cbranch_vccz .LBB103_1111
; %bb.1096:
	s_cmp_lt_i32 s71, 27
	s_mov_b64 s[64:65], -1
	s_cbranch_scc1 .LBB103_1102
; %bb.1097:
	s_cmp_gt_i32 s71, 27
	s_cbranch_scc0 .LBB103_1099
; %bb.1098:
	v_cndmask_b32_e64 v2, 0, 1, s[2:3]
	s_mov_b64 s[64:65], 0
	global_store_dword v[0:1], v2, off
.LBB103_1099:
	s_andn2_b64 vcc, exec, s[64:65]
	s_cbranch_vccnz .LBB103_1101
; %bb.1100:
	v_cndmask_b32_e64 v2, 0, 1, s[2:3]
	global_store_short v[0:1], v2, off
.LBB103_1101:
	s_mov_b64 s[64:65], 0
.LBB103_1102:
	s_andn2_b64 vcc, exec, s[64:65]
	s_cbranch_vccnz .LBB103_1110
; %bb.1103:
	v_cndmask_b32_e64 v3, 0, 1.0, s[2:3]
	s_mov_b32 s64, 0x43800000
	v_cmp_gt_u32_e32 vcc, s64, v3
	v_mov_b32_e32 v4, 0x80
	s_and_saveexec_b64 s[64:65], vcc
	s_cbranch_execz .LBB103_1109
; %bb.1104:
	s_mov_b32 s66, 0x3bffffff
	v_cmp_lt_u32_e32 vcc, s66, v3
	s_mov_b64 s[66:67], 0
                                        ; implicit-def: $vgpr2
	s_and_saveexec_b64 s[68:69], vcc
	s_xor_b64 s[68:69], exec, s[68:69]
	s_cbranch_execz .LBB103_1223
; %bb.1105:
	v_bfe_u32 v2, v3, 20, 1
	s_mov_b32 s76, 0x487ffff
	v_add3_u32 v2, v3, v2, s76
	s_mov_b64 s[66:67], exec
	v_lshrrev_b32_e32 v2, 20, v2
                                        ; implicit-def: $vgpr3
	s_andn2_saveexec_b64 s[68:69], s[68:69]
	s_cbranch_execnz .LBB103_1224
.LBB103_1106:
	s_or_b64 exec, exec, s[68:69]
	v_mov_b32_e32 v4, 0
	s_and_saveexec_b64 s[68:69], s[66:67]
.LBB103_1107:
	v_mov_b32_e32 v4, v2
.LBB103_1108:
	s_or_b64 exec, exec, s[68:69]
.LBB103_1109:
	s_or_b64 exec, exec, s[64:65]
	global_store_byte v[0:1], v4, off
.LBB103_1110:
	s_mov_b64 s[64:65], -1
.LBB103_1111:
	s_mov_b64 s[66:67], 0
.LBB103_1112:
	s_and_b64 vcc, exec, s[66:67]
	s_cbranch_vccz .LBB103_1153
; %bb.1113:
	s_cmp_gt_i32 s71, 22
	s_mov_b64 s[66:67], -1
	s_cbranch_scc0 .LBB103_1145
; %bb.1114:
	s_cmp_lt_i32 s71, 24
	s_mov_b64 s[64:65], -1
	s_cbranch_scc1 .LBB103_1134
; %bb.1115:
	s_cmp_gt_i32 s71, 24
	s_cbranch_scc0 .LBB103_1123
; %bb.1116:
	v_cndmask_b32_e64 v3, 0, 1.0, s[2:3]
	s_mov_b32 s64, 0x47800000
	v_cmp_gt_u32_e32 vcc, s64, v3
	v_mov_b32_e32 v4, 0x80
	s_and_saveexec_b64 s[64:65], vcc
	s_cbranch_execz .LBB103_1122
; %bb.1117:
	s_mov_b32 s66, 0x37ffffff
	v_cmp_lt_u32_e32 vcc, s66, v3
	s_mov_b64 s[66:67], 0
                                        ; implicit-def: $vgpr2
	s_and_saveexec_b64 s[68:69], vcc
	s_xor_b64 s[68:69], exec, s[68:69]
	s_cbranch_execz .LBB103_2289
; %bb.1118:
	v_bfe_u32 v2, v3, 21, 1
	s_mov_b32 s76, 0x88fffff
	v_add3_u32 v2, v3, v2, s76
	s_mov_b64 s[66:67], exec
	v_lshrrev_b32_e32 v2, 21, v2
                                        ; implicit-def: $vgpr3
	s_andn2_saveexec_b64 s[68:69], s[68:69]
	s_cbranch_execnz .LBB103_2290
.LBB103_1119:
	s_or_b64 exec, exec, s[68:69]
	v_mov_b32_e32 v4, 0
	s_and_saveexec_b64 s[68:69], s[66:67]
.LBB103_1120:
	v_mov_b32_e32 v4, v2
.LBB103_1121:
	s_or_b64 exec, exec, s[68:69]
.LBB103_1122:
	s_or_b64 exec, exec, s[64:65]
	s_mov_b64 s[64:65], 0
	global_store_byte v[0:1], v4, off
.LBB103_1123:
	s_and_b64 vcc, exec, s[64:65]
	s_cbranch_vccz .LBB103_1133
; %bb.1124:
	v_cndmask_b32_e64 v2, 0, 1.0, s[2:3]
	s_mov_b32 s64, 0x43f00000
	v_cmp_gt_u32_e32 vcc, s64, v2
                                        ; implicit-def: $vgpr3
	s_and_saveexec_b64 s[64:65], vcc
	s_xor_b64 s[64:65], exec, s[64:65]
	s_cbranch_execz .LBB103_1130
; %bb.1125:
	s_mov_b32 s66, 0x3c7fffff
	v_cmp_lt_u32_e32 vcc, s66, v2
                                        ; implicit-def: $vgpr3
	s_and_saveexec_b64 s[66:67], vcc
	s_xor_b64 s[66:67], exec, s[66:67]
; %bb.1126:
	v_bfe_u32 v3, v2, 20, 1
	s_mov_b32 s68, 0x407ffff
	v_add3_u32 v2, v2, v3, s68
	v_lshrrev_b32_e32 v3, 20, v2
	v_and_b32_e32 v2, 0xff00000, v2
	s_mov_b32 s68, 0x7f00000
	v_mov_b32_e32 v4, 0x7e
	v_cmp_ne_u32_e32 vcc, s68, v2
	v_cndmask_b32_e32 v3, v4, v3, vcc
                                        ; implicit-def: $vgpr2
; %bb.1127:
	s_andn2_saveexec_b64 s[66:67], s[66:67]
; %bb.1128:
	v_add_f32_e32 v3, 0x46800000, v2
; %bb.1129:
	s_or_b64 exec, exec, s[66:67]
                                        ; implicit-def: $vgpr2
.LBB103_1130:
	s_andn2_saveexec_b64 s[64:65], s[64:65]
; %bb.1131:
	s_mov_b32 s66, 0x7f800000
	v_mov_b32_e32 v3, 0x7e
	v_mov_b32_e32 v4, 0x7f
	v_cmp_lt_u32_e32 vcc, s66, v2
	v_cndmask_b32_e32 v3, v3, v4, vcc
; %bb.1132:
	s_or_b64 exec, exec, s[64:65]
	global_store_byte v[0:1], v3, off
.LBB103_1133:
	s_mov_b64 s[64:65], 0
.LBB103_1134:
	s_andn2_b64 vcc, exec, s[64:65]
	s_cbranch_vccnz .LBB103_1144
; %bb.1135:
	v_cndmask_b32_e64 v2, 0, 1.0, s[2:3]
	s_mov_b32 s64, 0x47800000
	v_cmp_gt_u32_e32 vcc, s64, v2
                                        ; implicit-def: $vgpr3
	s_and_saveexec_b64 s[64:65], vcc
	s_xor_b64 s[64:65], exec, s[64:65]
	s_cbranch_execz .LBB103_1141
; %bb.1136:
	s_mov_b32 s66, 0x387fffff
	v_cmp_lt_u32_e32 vcc, s66, v2
                                        ; implicit-def: $vgpr3
	s_and_saveexec_b64 s[66:67], vcc
	s_xor_b64 s[66:67], exec, s[66:67]
; %bb.1137:
	v_bfe_u32 v3, v2, 21, 1
	s_mov_b32 s68, 0x80fffff
	v_add3_u32 v2, v2, v3, s68
	v_lshrrev_b32_e32 v3, 21, v2
                                        ; implicit-def: $vgpr2
; %bb.1138:
	s_andn2_saveexec_b64 s[66:67], s[66:67]
; %bb.1139:
	v_add_f32_e32 v3, 0x43000000, v2
; %bb.1140:
	s_or_b64 exec, exec, s[66:67]
                                        ; implicit-def: $vgpr2
.LBB103_1141:
	s_andn2_saveexec_b64 s[64:65], s[64:65]
; %bb.1142:
	s_mov_b32 s66, 0x7f800000
	v_mov_b32_e32 v3, 0x7c
	v_mov_b32_e32 v4, 0x7f
	v_cmp_lt_u32_e32 vcc, s66, v2
	v_cndmask_b32_e32 v3, v3, v4, vcc
; %bb.1143:
	s_or_b64 exec, exec, s[64:65]
	global_store_byte v[0:1], v3, off
.LBB103_1144:
	s_mov_b64 s[66:67], 0
	s_mov_b64 s[64:65], -1
.LBB103_1145:
	s_andn2_b64 vcc, exec, s[66:67]
	s_cbranch_vccnz .LBB103_1153
; %bb.1146:
	s_cmp_gt_i32 s71, 14
	s_mov_b64 s[66:67], -1
	s_cbranch_scc0 .LBB103_1150
; %bb.1147:
	s_cmp_eq_u32 s71, 15
	s_mov_b64 s[6:7], -1
	s_cbranch_scc0 .LBB103_1149
; %bb.1148:
	v_cndmask_b32_e64 v2, 0, 1.0, s[2:3]
	v_bfe_u32 v3, v2, 16, 1
	s_movk_i32 s6, 0x7fff
	v_add3_u32 v2, v2, v3, s6
	global_store_short_d16_hi v[0:1], v2, off
	s_mov_b64 s[64:65], -1
	s_mov_b64 s[6:7], 0
.LBB103_1149:
	s_mov_b64 s[66:67], 0
.LBB103_1150:
	s_and_b64 vcc, exec, s[66:67]
	s_cbranch_vccz .LBB103_1153
; %bb.1151:
	s_cmp_eq_u32 s71, 11
	s_mov_b64 s[6:7], -1
	s_cbranch_scc0 .LBB103_1153
; %bb.1152:
	v_cndmask_b32_e64 v2, 0, 1, s[2:3]
	s_mov_b64 s[64:65], -1
	s_mov_b64 s[6:7], 0
	global_store_byte v[0:1], v2, off
.LBB103_1153:
	s_mov_b64 s[66:67], 0
.LBB103_1154:
	s_and_b64 vcc, exec, s[66:67]
	s_cbranch_vccz .LBB103_1193
; %bb.1155:
	s_and_b32 s14, 0xffff, s14
	s_cmp_lt_i32 s14, 5
	s_mov_b64 s[64:65], -1
	s_cbranch_scc1 .LBB103_1176
; %bb.1156:
	s_cmp_lt_i32 s14, 8
	s_cbranch_scc1 .LBB103_1166
; %bb.1157:
	s_cmp_lt_i32 s14, 9
	s_cbranch_scc1 .LBB103_1163
; %bb.1158:
	s_cmp_gt_i32 s14, 9
	s_cbranch_scc0 .LBB103_1160
; %bb.1159:
	v_cndmask_b32_e64 v2, 0, 1, s[2:3]
	v_cvt_f64_u32_e32 v[2:3], v2
	v_mov_b32_e32 v4, 0
	v_mov_b32_e32 v5, v4
	s_mov_b64 s[64:65], 0
	global_store_dwordx4 v[0:1], v[2:5], off
.LBB103_1160:
	s_andn2_b64 vcc, exec, s[64:65]
	s_cbranch_vccnz .LBB103_1162
; %bb.1161:
	v_cndmask_b32_e64 v2, 0, 1.0, s[2:3]
	v_mov_b32_e32 v3, 0
	global_store_dwordx2 v[0:1], v[2:3], off
.LBB103_1162:
	s_mov_b64 s[64:65], 0
.LBB103_1163:
	s_andn2_b64 vcc, exec, s[64:65]
	s_cbranch_vccnz .LBB103_1165
; %bb.1164:
	v_cndmask_b32_e64 v2, 0, 1.0, s[2:3]
	v_cvt_f16_f32_e32 v2, v2
	global_store_dword v[0:1], v2, off
.LBB103_1165:
	s_mov_b64 s[64:65], 0
.LBB103_1166:
	s_andn2_b64 vcc, exec, s[64:65]
	s_cbranch_vccnz .LBB103_1175
; %bb.1167:
	s_cmp_lt_i32 s14, 6
	s_mov_b64 s[64:65], -1
	s_cbranch_scc1 .LBB103_1173
; %bb.1168:
	s_cmp_gt_i32 s14, 6
	s_cbranch_scc0 .LBB103_1170
; %bb.1169:
	v_cndmask_b32_e64 v2, 0, 1, s[2:3]
	v_cvt_f64_u32_e32 v[2:3], v2
	s_mov_b64 s[64:65], 0
	global_store_dwordx2 v[0:1], v[2:3], off
.LBB103_1170:
	s_andn2_b64 vcc, exec, s[64:65]
	s_cbranch_vccnz .LBB103_1172
; %bb.1171:
	v_cndmask_b32_e64 v2, 0, 1.0, s[2:3]
	global_store_dword v[0:1], v2, off
.LBB103_1172:
	s_mov_b64 s[64:65], 0
.LBB103_1173:
	s_andn2_b64 vcc, exec, s[64:65]
	s_cbranch_vccnz .LBB103_1175
; %bb.1174:
	v_cndmask_b32_e64 v2, 0, 1.0, s[2:3]
	v_cvt_f16_f32_e32 v2, v2
	global_store_short v[0:1], v2, off
.LBB103_1175:
	s_mov_b64 s[64:65], 0
.LBB103_1176:
	s_andn2_b64 vcc, exec, s[64:65]
	s_cbranch_vccnz .LBB103_1192
; %bb.1177:
	s_cmp_lt_i32 s14, 2
	s_mov_b64 s[64:65], -1
	s_cbranch_scc1 .LBB103_1187
; %bb.1178:
	s_cmp_lt_i32 s14, 3
	s_cbranch_scc1 .LBB103_1184
; %bb.1179:
	s_cmp_gt_i32 s14, 3
	s_cbranch_scc0 .LBB103_1181
; %bb.1180:
	s_mov_b32 s64, 0
	v_cndmask_b32_e64 v2, 0, 1, s[2:3]
	v_mov_b32_e32 v3, s64
	s_mov_b64 s[64:65], 0
	global_store_dwordx2 v[0:1], v[2:3], off
.LBB103_1181:
	s_andn2_b64 vcc, exec, s[64:65]
	s_cbranch_vccnz .LBB103_1183
; %bb.1182:
	v_cndmask_b32_e64 v2, 0, 1, s[2:3]
	global_store_dword v[0:1], v2, off
.LBB103_1183:
	s_mov_b64 s[64:65], 0
.LBB103_1184:
	s_andn2_b64 vcc, exec, s[64:65]
	s_cbranch_vccnz .LBB103_1186
; %bb.1185:
	v_cndmask_b32_e64 v2, 0, 1, s[2:3]
	global_store_short v[0:1], v2, off
.LBB103_1186:
	s_mov_b64 s[64:65], 0
.LBB103_1187:
	s_andn2_b64 vcc, exec, s[64:65]
	s_cbranch_vccnz .LBB103_1192
; %bb.1188:
	s_mov_b64 s[64:65], -1
	s_cmp_gt_i32 s14, 0
	v_cndmask_b32_e64 v2, 0, 1, s[2:3]
	s_cbranch_scc0 .LBB103_1190
; %bb.1189:
	s_mov_b64 s[64:65], 0
	global_store_byte v[0:1], v2, off
.LBB103_1190:
	s_andn2_b64 vcc, exec, s[64:65]
	s_cbranch_vccnz .LBB103_1192
; %bb.1191:
	global_store_byte v[0:1], v2, off
.LBB103_1192:
	s_mov_b64 s[64:65], -1
.LBB103_1193:
	s_andn2_b64 vcc, exec, s[64:65]
	s_cbranch_vccnz .LBB103_1205
; %bb.1194:
	v_add_u32_e32 v8, 0x80, v8
	s_mov_b64 s[66:67], -1
.LBB103_1195:
	s_andn2_b64 s[2:3], s[54:55], exec
	s_and_b64 s[6:7], s[6:7], exec
	s_or_b64 s[64:65], s[2:3], s[6:7]
	s_andn2_b64 s[2:3], s[52:53], exec
	s_and_b64 s[6:7], s[62:63], exec
	s_or_b64 s[6:7], s[2:3], s[6:7]
	;; [unrolled: 3-line block ×3, first 2 shown]
	s_orn2_b64 s[68:69], s[66:67], exec
.LBB103_1196:
	s_or_b64 exec, exec, s[58:59]
	s_mov_b64 s[62:63], 0
	s_mov_b64 s[66:67], 0
	;; [unrolled: 1-line block ×3, first 2 shown]
                                        ; implicit-def: $sgpr14
                                        ; implicit-def: $vgpr3_vgpr4
                                        ; implicit-def: $vgpr0
                                        ; implicit-def: $vgpr2
                                        ; implicit-def: $vgpr5
	s_and_saveexec_b64 s[58:59], s[68:69]
	s_cbranch_execz .LBB103_1291
; %bb.1197:
	v_cmp_gt_i32_e32 vcc, s70, v8
	s_mov_b64 s[68:69], s[2:3]
	s_mov_b64 s[70:71], 0
                                        ; implicit-def: $sgpr14
                                        ; implicit-def: $vgpr3_vgpr4
                                        ; implicit-def: $vgpr0
                                        ; implicit-def: $vgpr2
                                        ; implicit-def: $vgpr5
	s_and_saveexec_b64 s[60:61], vcc
	s_cbranch_execz .LBB103_1290
; %bb.1198:
	s_andn2_b64 vcc, exec, s[28:29]
	s_cbranch_vccnz .LBB103_1204
; %bb.1199:
	s_andn2_b64 vcc, exec, s[40:41]
	s_cbranch_vccnz .LBB103_1206
; %bb.1200:
	s_add_i32 s14, s75, 1
	s_and_b32 s14, s14, 30
	s_add_u32 s40, s24, 0xffffffe8
	s_addc_u32 s41, s25, -1
	v_mov_b32_e32 v2, 0
	v_mov_b32_e32 v4, 0
	v_mov_b32_e32 v0, 0
	v_mov_b32_e32 v1, v8
.LBB103_1201:                           ; =>This Inner Loop Header: Depth=1
	s_load_dwordx4 s[68:71], s[40:41], 0x1c
	s_load_dwordx2 s[62:63], s[40:41], 0x2c
	s_load_dwordx2 s[66:67], s[40:41], 0xec
	s_load_dwordx4 s[76:79], s[40:41], 0xdc
	s_add_u32 s40, s40, 24
	s_waitcnt vmcnt(0) lgkmcnt(0)
	v_mul_hi_u32 v3, s69, v1
	s_addc_u32 s41, s41, 0
	s_add_i32 s14, s14, -2
	s_cmp_eq_u32 s14, 0
	v_add_u32_e32 v3, v1, v3
	v_lshrrev_b32_e32 v3, s70, v3
	v_mul_lo_u32 v5, v3, s68
	v_mul_hi_u32 v6, s62, v3
	v_sub_u32_e32 v5, v1, v5
	v_add_u32_e32 v1, v3, v6
	v_lshrrev_b32_e32 v1, s63, v1
	v_mul_lo_u32 v9, v1, s71
	v_mul_lo_u32 v6, v5, s76
	;; [unrolled: 1-line block ×4, first 2 shown]
	v_sub_u32_e32 v3, v3, v9
	v_mul_lo_u32 v9, v3, s79
	v_mul_lo_u32 v10, v3, s66
	;; [unrolled: 1-line block ×3, first 2 shown]
	v_add3_u32 v0, v6, v0, v9
	v_add3_u32 v4, v7, v4, v10
	v_add3_u32 v2, v5, v2, v3
	s_cbranch_scc0 .LBB103_1201
; %bb.1202:
	s_bitcmp1_b32 s75, 0
	s_cselect_b64 s[62:63], -1, 0
	s_and_b64 vcc, exec, s[62:63]
	s_cbranch_vccnz .LBB103_1207
; %bb.1203:
	s_load_dwordx2 s[62:63], s[40:41], 0x1c
	s_load_dword s14, s[40:41], 0x24
	s_load_dwordx2 s[66:67], s[40:41], 0xdc
	s_waitcnt lgkmcnt(0)
	v_mul_hi_u32 v3, s63, v1
	v_add_u32_e32 v3, v1, v3
	v_lshrrev_b32_e32 v3, s14, v3
	v_mul_lo_u32 v3, v3, s62
	s_load_dword s14, s[40:41], 0xe4
	v_sub_u32_e32 v3, v1, v3
	v_mad_u64_u32 v[0:1], s[40:41], v3, s66, v[0:1]
	v_mad_u64_u32 v[4:5], s[40:41], v3, s67, v[4:5]
	s_waitcnt lgkmcnt(0)
	v_mad_u64_u32 v[2:3], s[40:41], v3, s14, v[2:3]
	s_branch .LBB103_1207
.LBB103_1204:
	s_mov_b64 s[40:41], -1
                                        ; implicit-def: $vgpr0
                                        ; implicit-def: $vgpr4
                                        ; implicit-def: $vgpr2
	s_branch .LBB103_1208
.LBB103_1205:
	s_mov_b64 s[66:67], 0
	s_branch .LBB103_948
.LBB103_1206:
	v_mov_b32_e32 v0, 0
	v_mov_b32_e32 v4, 0
	;; [unrolled: 1-line block ×3, first 2 shown]
.LBB103_1207:
	s_mov_b64 s[40:41], 0
.LBB103_1208:
	s_andn2_b64 vcc, exec, s[40:41]
	s_cbranch_vccnz .LBB103_1211
; %bb.1209:
	v_mul_hi_u32 v0, s17, v8
	s_andn2_b64 vcc, exec, s[38:39]
	v_add_u32_e32 v0, v8, v0
	v_lshrrev_b32_e32 v1, s18, v0
	v_mul_lo_u32 v0, v1, s16
	v_sub_u32_e32 v2, v8, v0
	v_mul_lo_u32 v0, v2, s20
	v_mul_lo_u32 v4, v2, s21
	;; [unrolled: 1-line block ×3, first 2 shown]
	s_cbranch_vccnz .LBB103_1211
; %bb.1210:
	s_waitcnt vmcnt(0)
	v_mul_hi_u32 v3, s36, v1
	v_add_u32_e32 v3, v1, v3
	v_lshrrev_b32_e32 v3, s37, v3
	v_mul_lo_u32 v3, v3, s19
	v_sub_u32_e32 v3, v1, v3
	v_mad_u64_u32 v[0:1], s[16:17], v3, s23, v[0:1]
	v_mad_u64_u32 v[4:5], s[16:17], v3, s34, v[4:5]
	;; [unrolled: 1-line block ×3, first 2 shown]
.LBB103_1211:
	v_mov_b32_e32 v1, s11
	s_and_b32 s14, s74, 0xff
	s_waitcnt vmcnt(0)
	v_add_co_u32_e32 v3, vcc, s10, v4
	s_cmp_lt_i32 s14, 11
	v_addc_co_u32_e32 v4, vcc, 0, v1, vcc
	s_cbranch_scc1 .LBB103_1218
; %bb.1212:
	s_and_b32 s34, 0xffff, s14
	s_cmp_gt_i32 s34, 25
	s_mov_b64 s[16:17], 0
	s_cbranch_scc0 .LBB103_1219
; %bb.1213:
	s_cmp_gt_i32 s34, 28
	s_cbranch_scc0 .LBB103_1220
; %bb.1214:
	s_cmp_gt_i32 s34, 43
	;; [unrolled: 3-line block ×3, first 2 shown]
	s_cbranch_scc0 .LBB103_1222
; %bb.1216:
	s_cmp_eq_u32 s34, 46
	s_mov_b64 s[20:21], 0
	s_cbranch_scc0 .LBB103_1225
; %bb.1217:
	global_load_dword v1, v[3:4], off
	s_mov_b64 s[10:11], 0
	s_mov_b64 s[18:19], -1
	s_waitcnt vmcnt(0)
	v_lshlrev_b32_e32 v5, 16, v1
	s_branch .LBB103_1226
.LBB103_1218:
	s_mov_b64 s[20:21], -1
	s_mov_b64 s[18:19], 0
	s_mov_b64 s[16:17], 0
	;; [unrolled: 1-line block ×3, first 2 shown]
                                        ; implicit-def: $vgpr5
	s_branch .LBB103_1289
.LBB103_1219:
	s_mov_b64 s[20:21], -1
	s_mov_b64 s[18:19], 0
	s_mov_b64 s[10:11], s[2:3]
                                        ; implicit-def: $vgpr5
	s_branch .LBB103_1255
.LBB103_1220:
	s_mov_b64 s[20:21], -1
	s_mov_b64 s[18:19], 0
	s_mov_b64 s[10:11], s[2:3]
                                        ; implicit-def: $vgpr5
	s_branch .LBB103_1236
.LBB103_1221:
	s_mov_b64 s[20:21], -1
	s_mov_b64 s[18:19], 0
	s_mov_b64 s[10:11], s[2:3]
                                        ; implicit-def: $vgpr5
	s_branch .LBB103_1231
.LBB103_1222:
	s_mov_b64 s[20:21], -1
	s_mov_b64 s[18:19], 0
	s_mov_b64 s[10:11], s[2:3]
                                        ; implicit-def: $vgpr5
	s_branch .LBB103_1226
.LBB103_1223:
	s_andn2_saveexec_b64 s[68:69], s[68:69]
	s_cbranch_execz .LBB103_1106
.LBB103_1224:
	v_add_f32_e32 v2, 0x46000000, v3
	v_and_b32_e32 v2, 0xff, v2
	v_cmp_ne_u32_e32 vcc, 0, v2
	s_andn2_b64 s[66:67], s[66:67], exec
	s_and_b64 s[76:77], vcc, exec
	s_or_b64 s[66:67], s[66:67], s[76:77]
	s_or_b64 exec, exec, s[68:69]
	v_mov_b32_e32 v4, 0
	s_and_saveexec_b64 s[68:69], s[66:67]
	s_cbranch_execnz .LBB103_1107
	s_branch .LBB103_1108
.LBB103_1225:
	s_mov_b64 s[10:11], -1
                                        ; implicit-def: $vgpr5
	s_mov_b64 s[18:19], 0
.LBB103_1226:
	s_and_b64 vcc, exec, s[20:21]
	s_cbranch_vccz .LBB103_1230
; %bb.1227:
	s_cmp_eq_u32 s34, 44
	s_cbranch_scc0 .LBB103_1229
; %bb.1228:
	global_load_ubyte v1, v[3:4], off
	s_movk_i32 s18, 0xff
	v_mov_b32_e32 v5, 0x7f800001
	v_mov_b32_e32 v6, 0x400000
	s_mov_b64 s[10:11], 0
	s_waitcnt vmcnt(0)
	v_lshlrev_b32_e32 v7, 23, v1
	v_cmp_ne_u32_e32 vcc, s18, v1
	v_cndmask_b32_e32 v5, v5, v7, vcc
	v_cmp_ne_u32_e32 vcc, 0, v1
	v_cndmask_b32_e32 v5, v6, v5, vcc
	s_mov_b64 s[18:19], -1
	s_branch .LBB103_1230
.LBB103_1229:
	s_mov_b64 s[10:11], -1
                                        ; implicit-def: $vgpr5
.LBB103_1230:
	s_mov_b64 s[20:21], 0
.LBB103_1231:
	s_and_b64 vcc, exec, s[20:21]
	s_cbranch_vccz .LBB103_1235
; %bb.1232:
	s_cmp_eq_u32 s34, 29
	s_cbranch_scc0 .LBB103_1234
; %bb.1233:
	global_load_dwordx2 v[5:6], v[3:4], off
	s_mov_b64 s[10:11], 0
	s_mov_b64 s[18:19], -1
	s_mov_b64 s[20:21], 0
	s_waitcnt vmcnt(0)
	v_ffbh_u32_e32 v1, v6
	v_min_u32_e32 v1, 32, v1
	v_lshlrev_b64 v[5:6], v1, v[5:6]
	v_sub_u32_e32 v1, 32, v1
	v_min_u32_e32 v5, 1, v5
	v_or_b32_e32 v5, v6, v5
	v_cvt_f32_u32_e32 v5, v5
	v_ldexp_f32 v5, v5, v1
	s_branch .LBB103_1236
.LBB103_1234:
	s_mov_b64 s[10:11], -1
                                        ; implicit-def: $vgpr5
.LBB103_1235:
	s_mov_b64 s[20:21], 0
.LBB103_1236:
	s_and_b64 vcc, exec, s[20:21]
	s_cbranch_vccz .LBB103_1254
; %bb.1237:
	s_cmp_lt_i32 s34, 27
	s_cbranch_scc1 .LBB103_1240
; %bb.1238:
	s_cmp_gt_i32 s34, 27
	s_cbranch_scc0 .LBB103_1241
; %bb.1239:
	global_load_dword v1, v[3:4], off
	s_mov_b64 s[18:19], 0
	s_waitcnt vmcnt(0)
	v_cvt_f32_u32_e32 v5, v1
	s_branch .LBB103_1242
.LBB103_1240:
	s_mov_b64 s[18:19], -1
                                        ; implicit-def: $vgpr5
	s_branch .LBB103_1245
.LBB103_1241:
	s_mov_b64 s[18:19], -1
                                        ; implicit-def: $vgpr5
.LBB103_1242:
	s_andn2_b64 vcc, exec, s[18:19]
	s_cbranch_vccnz .LBB103_1244
; %bb.1243:
	global_load_ushort v1, v[3:4], off
	s_waitcnt vmcnt(0)
	v_cvt_f32_u32_e32 v5, v1
.LBB103_1244:
	s_mov_b64 s[18:19], 0
.LBB103_1245:
	s_andn2_b64 vcc, exec, s[18:19]
	s_cbranch_vccnz .LBB103_1253
; %bb.1246:
	global_load_ubyte v1, v[3:4], off
	s_movk_i32 s18, 0x7f
	s_waitcnt vmcnt(0)
	v_cmp_lt_i16_e32 vcc, s18, v1
	s_mov_b64 s[18:19], 0
	s_and_saveexec_b64 s[20:21], vcc
	s_xor_b64 s[20:21], exec, s[20:21]
	s_cbranch_execz .LBB103_1267
; %bb.1247:
	s_movk_i32 s18, 0x80
	v_cmp_eq_u16_e32 vcc, s18, v1
	s_mov_b64 s[18:19], -1
	s_and_saveexec_b64 s[22:23], vcc
; %bb.1248:
	s_xor_b64 s[18:19], exec, -1
; %bb.1249:
	s_or_b64 exec, exec, s[22:23]
	s_and_b64 s[18:19], s[18:19], exec
	s_or_saveexec_b64 s[20:21], s[20:21]
	v_mov_b32_e32 v5, 0x7f800001
	s_xor_b64 exec, exec, s[20:21]
	s_cbranch_execnz .LBB103_1268
.LBB103_1250:
	s_or_b64 exec, exec, s[20:21]
	s_and_saveexec_b64 s[20:21], s[18:19]
	s_cbranch_execz .LBB103_1252
.LBB103_1251:
	v_lshlrev_b32_e32 v5, 24, v1
	v_and_b32_e32 v1, 0xffff, v1
	v_and_b32_e32 v6, 7, v1
	v_ffbh_u32_e32 v8, v6
	v_min_u32_e32 v8, 32, v8
	v_subrev_u32_e32 v9, 28, v8
	v_bfe_u32 v7, v1, 3, 4
	v_lshlrev_b32_e32 v1, v9, v1
	v_sub_u32_e32 v8, 29, v8
	v_and_b32_e32 v1, 7, v1
	v_cmp_eq_u32_e32 vcc, 0, v7
	v_cndmask_b32_e32 v7, v7, v8, vcc
	v_cndmask_b32_e32 v1, v6, v1, vcc
	v_mov_b32_e32 v6, 0x3b800000
	v_lshlrev_b32_e32 v1, 20, v1
	v_and_b32_e32 v5, 0x80000000, v5
	v_lshl_add_u32 v6, v7, 23, v6
	v_or3_b32 v5, v5, v6, v1
.LBB103_1252:
	s_or_b64 exec, exec, s[20:21]
.LBB103_1253:
	s_mov_b64 s[18:19], -1
.LBB103_1254:
	s_mov_b64 s[20:21], 0
.LBB103_1255:
	s_and_b64 vcc, exec, s[20:21]
	s_cbranch_vccz .LBB103_1288
; %bb.1256:
	s_cmp_gt_i32 s34, 22
	s_cbranch_scc0 .LBB103_1266
; %bb.1257:
	s_cmp_lt_i32 s34, 24
	s_cbranch_scc1 .LBB103_1269
; %bb.1258:
	s_cmp_gt_i32 s34, 24
	s_cbranch_scc0 .LBB103_1270
; %bb.1259:
	global_load_ubyte v1, v[3:4], off
	s_movk_i32 s16, 0x7f
	s_waitcnt vmcnt(0)
	v_cmp_lt_i16_e32 vcc, s16, v1
	s_mov_b64 s[16:17], 0
	s_and_saveexec_b64 s[18:19], vcc
	s_xor_b64 s[18:19], exec, s[18:19]
	s_cbranch_execz .LBB103_1282
; %bb.1260:
	s_movk_i32 s16, 0x80
	v_cmp_eq_u16_e32 vcc, s16, v1
	s_mov_b64 s[16:17], -1
	s_and_saveexec_b64 s[20:21], vcc
; %bb.1261:
	s_xor_b64 s[16:17], exec, -1
; %bb.1262:
	s_or_b64 exec, exec, s[20:21]
	s_and_b64 s[16:17], s[16:17], exec
	s_or_saveexec_b64 s[18:19], s[18:19]
	v_mov_b32_e32 v5, 0x7f800001
	s_xor_b64 exec, exec, s[18:19]
	s_cbranch_execnz .LBB103_1283
.LBB103_1263:
	s_or_b64 exec, exec, s[18:19]
	s_and_saveexec_b64 s[18:19], s[16:17]
	s_cbranch_execz .LBB103_1265
.LBB103_1264:
	v_lshlrev_b32_e32 v5, 24, v1
	v_and_b32_e32 v1, 0xffff, v1
	v_and_b32_e32 v6, 3, v1
	v_ffbh_u32_e32 v8, v6
	v_min_u32_e32 v8, 32, v8
	v_subrev_u32_e32 v9, 29, v8
	v_bfe_u32 v7, v1, 2, 5
	v_lshlrev_b32_e32 v1, v9, v1
	v_sub_u32_e32 v8, 30, v8
	v_and_b32_e32 v1, 3, v1
	v_cmp_eq_u32_e32 vcc, 0, v7
	v_cndmask_b32_e32 v7, v7, v8, vcc
	v_cndmask_b32_e32 v1, v6, v1, vcc
	v_mov_b32_e32 v6, 0x37800000
	v_lshlrev_b32_e32 v1, 21, v1
	v_and_b32_e32 v5, 0x80000000, v5
	v_lshl_add_u32 v6, v7, 23, v6
	v_or3_b32 v5, v5, v6, v1
.LBB103_1265:
	s_or_b64 exec, exec, s[18:19]
	s_mov_b64 s[16:17], 0
	s_branch .LBB103_1271
.LBB103_1266:
	s_mov_b64 s[16:17], -1
                                        ; implicit-def: $vgpr5
	s_branch .LBB103_1277
.LBB103_1267:
	s_or_saveexec_b64 s[20:21], s[20:21]
	v_mov_b32_e32 v5, 0x7f800001
	s_xor_b64 exec, exec, s[20:21]
	s_cbranch_execz .LBB103_1250
.LBB103_1268:
	v_cmp_ne_u16_e32 vcc, 0, v1
	s_andn2_b64 s[18:19], s[18:19], exec
	s_and_b64 s[22:23], vcc, exec
	v_mov_b32_e32 v5, 0
	s_or_b64 s[18:19], s[18:19], s[22:23]
	s_or_b64 exec, exec, s[20:21]
	s_and_saveexec_b64 s[20:21], s[18:19]
	s_cbranch_execnz .LBB103_1251
	s_branch .LBB103_1252
.LBB103_1269:
	s_mov_b64 s[16:17], -1
                                        ; implicit-def: $vgpr5
	s_branch .LBB103_1274
.LBB103_1270:
	s_mov_b64 s[16:17], -1
                                        ; implicit-def: $vgpr5
.LBB103_1271:
	s_and_b64 vcc, exec, s[16:17]
	s_cbranch_vccz .LBB103_1273
; %bb.1272:
	global_load_ubyte v1, v[3:4], off
	s_mov_b32 s16, 0x7f800000
	s_waitcnt vmcnt(0)
	v_lshlrev_b32_e32 v1, 24, v1
	v_and_b32_e32 v5, 0x7f000000, v1
	v_ffbh_u32_e32 v6, v5
	v_min_u32_e32 v6, 32, v6
	v_sub_u32_e64 v6, v6, 4 clamp
	v_lshlrev_b32_e32 v8, v6, v5
	v_lshlrev_b32_e32 v6, 23, v6
	v_lshrrev_b32_e32 v8, 4, v8
	v_add_u32_e32 v7, 0x1000000, v5
	v_sub_u32_e32 v6, v8, v6
	v_ashrrev_i32_e32 v7, 8, v7
	v_add_u32_e32 v6, 0x3c000000, v6
	v_and_or_b32 v6, v7, s16, v6
	v_cmp_ne_u32_e32 vcc, 0, v5
	v_cndmask_b32_e32 v5, 0, v6, vcc
	s_brev_b32 s16, 1
	v_and_or_b32 v5, v1, s16, v5
.LBB103_1273:
	s_mov_b64 s[16:17], 0
.LBB103_1274:
	s_andn2_b64 vcc, exec, s[16:17]
	s_cbranch_vccnz .LBB103_1276
; %bb.1275:
	global_load_ubyte v1, v[3:4], off
	s_movk_i32 s16, 0x7f00
	s_brev_b32 s17, 16
	s_waitcnt vmcnt(0)
	v_lshlrev_b16_e32 v5, 8, v1
	v_lshlrev_b32_e32 v1, 25, v1
	v_lshrrev_b32_e32 v6, 4, v1
	v_and_or_b32 v7, v5, s16, 0.5
	v_or_b32_e32 v6, 0x70000000, v6
	v_add_f32_e32 v7, -0.5, v7
	v_mul_f32_e32 v6, 0x7800000, v6
	v_cmp_gt_u32_e32 vcc, s17, v1
	v_bfe_i32 v5, v5, 0, 16
	v_cndmask_b32_e32 v1, v6, v7, vcc
	s_brev_b32 s16, 1
	v_and_or_b32 v5, v5, s16, v1
.LBB103_1276:
	s_mov_b64 s[16:17], 0
	s_mov_b64 s[18:19], -1
.LBB103_1277:
	s_andn2_b64 vcc, exec, s[16:17]
	s_mov_b64 s[16:17], 0
	s_cbranch_vccnz .LBB103_1288
; %bb.1278:
	s_cmp_gt_i32 s34, 14
	s_cbranch_scc0 .LBB103_1281
; %bb.1279:
	s_cmp_eq_u32 s34, 15
	s_cbranch_scc0 .LBB103_1284
; %bb.1280:
	global_load_ushort v1, v[3:4], off
	s_mov_b64 s[10:11], 0
	s_mov_b64 s[18:19], -1
	s_waitcnt vmcnt(0)
	v_lshlrev_b32_e32 v5, 16, v1
	s_branch .LBB103_1285
.LBB103_1281:
	s_mov_b64 s[20:21], -1
                                        ; implicit-def: $vgpr5
	s_branch .LBB103_1286
.LBB103_1282:
	s_or_saveexec_b64 s[18:19], s[18:19]
	v_mov_b32_e32 v5, 0x7f800001
	s_xor_b64 exec, exec, s[18:19]
	s_cbranch_execz .LBB103_1263
.LBB103_1283:
	v_cmp_ne_u16_e32 vcc, 0, v1
	s_andn2_b64 s[16:17], s[16:17], exec
	s_and_b64 s[20:21], vcc, exec
	v_mov_b32_e32 v5, 0
	s_or_b64 s[16:17], s[16:17], s[20:21]
	s_or_b64 exec, exec, s[18:19]
	s_and_saveexec_b64 s[18:19], s[16:17]
	s_cbranch_execnz .LBB103_1264
	s_branch .LBB103_1265
.LBB103_1284:
	s_mov_b64 s[10:11], -1
                                        ; implicit-def: $vgpr5
.LBB103_1285:
	s_mov_b64 s[20:21], 0
.LBB103_1286:
	s_and_b64 vcc, exec, s[20:21]
	s_cbranch_vccz .LBB103_1288
; %bb.1287:
	s_cmp_lg_u32 s34, 11
	s_cselect_b64 s[20:21], -1, 0
	s_andn2_b64 s[10:11], s[10:11], exec
	s_and_b64 s[20:21], s[20:21], exec
	s_mov_b64 s[16:17], -1
	s_or_b64 s[10:11], s[10:11], s[20:21]
.LBB103_1288:
	s_mov_b64 s[20:21], 0
.LBB103_1289:
	s_and_b64 s[62:63], s[16:17], exec
	s_andn2_b64 s[16:17], s[2:3], exec
	s_and_b64 s[10:11], s[10:11], exec
	s_and_b64 s[70:71], s[18:19], exec
	s_and_b64 s[66:67], s[20:21], exec
	s_or_b64 s[68:69], s[16:17], s[10:11]
.LBB103_1290:
	s_or_b64 exec, exec, s[60:61]
	s_andn2_b64 s[2:3], s[2:3], exec
	s_and_b64 s[10:11], s[68:69], exec
	s_and_b64 s[60:61], s[70:71], exec
	;; [unrolled: 1-line block ×4, first 2 shown]
	s_or_b64 s[2:3], s[2:3], s[10:11]
.LBB103_1291:
	s_or_b64 exec, exec, s[58:59]
	s_andn2_b64 s[10:11], s[54:55], exec
	s_and_b64 s[16:17], s[64:65], exec
	s_or_b64 s[54:55], s[10:11], s[16:17]
	s_andn2_b64 s[10:11], s[52:53], exec
	s_and_b64 s[6:7], s[6:7], exec
	s_or_b64 s[52:53], s[10:11], s[6:7]
	s_andn2_b64 s[10:11], s[50:51], exec
	s_and_b64 s[2:3], s[2:3], exec
	s_and_b64 s[60:61], s[60:61], exec
	s_and_b64 s[58:59], s[66:67], exec
	s_and_b64 s[6:7], s[62:63], exec
	s_or_b64 s[50:51], s[10:11], s[2:3]
.LBB103_1292:
	s_or_b64 exec, exec, s[56:57]
	s_andn2_b64 s[2:3], s[42:43], exec
	s_and_b64 s[10:11], s[54:55], exec
	s_or_b64 s[42:43], s[2:3], s[10:11]
	s_andn2_b64 s[2:3], s[44:45], exec
	s_and_b64 s[10:11], s[52:53], exec
	s_or_b64 s[44:45], s[2:3], s[10:11]
	s_and_b64 s[52:53], s[6:7], exec
	s_andn2_b64 s[2:3], s[46:47], exec
	s_and_b64 s[6:7], s[50:51], exec
	s_and_b64 s[54:55], s[60:61], exec
	;; [unrolled: 1-line block ×3, first 2 shown]
	s_or_b64 s[46:47], s[2:3], s[6:7]
	s_or_b64 exec, exec, s[48:49]
	s_mov_b64 s[2:3], 0
	s_and_saveexec_b64 s[6:7], s[46:47]
	s_cbranch_execz .LBB103_403
.LBB103_1293:
	s_mov_b64 s[2:3], exec
	s_andn2_b64 s[52:53], s[52:53], exec
	s_trap 2
	s_or_b64 exec, exec, s[6:7]
	s_and_saveexec_b64 s[6:7], s[52:53]
	s_xor_b64 s[6:7], exec, s[6:7]
	s_cbranch_execnz .LBB103_404
.LBB103_1294:
	s_or_b64 exec, exec, s[6:7]
	s_and_saveexec_b64 s[6:7], s[56:57]
	s_cbranch_execz .LBB103_1340
.LBB103_1295:
	s_sext_i32_i16 s10, s14
	s_cmp_lt_i32 s10, 5
	s_cbranch_scc1 .LBB103_1300
; %bb.1296:
	s_cmp_lt_i32 s10, 8
	s_cbranch_scc1 .LBB103_1301
; %bb.1297:
	;; [unrolled: 3-line block ×3, first 2 shown]
	s_cmp_gt_i32 s10, 9
	s_cbranch_scc0 .LBB103_1303
; %bb.1299:
	s_waitcnt vmcnt(0)
	global_load_dwordx2 v[5:6], v[3:4], off
	s_mov_b64 s[10:11], 0
	s_waitcnt vmcnt(0)
	v_cvt_f32_f64_e32 v5, v[5:6]
	s_branch .LBB103_1304
.LBB103_1300:
                                        ; implicit-def: $vgpr5
	s_branch .LBB103_1321
.LBB103_1301:
                                        ; implicit-def: $vgpr5
	s_branch .LBB103_1310
.LBB103_1302:
	s_mov_b64 s[10:11], -1
                                        ; implicit-def: $vgpr5
	s_branch .LBB103_1307
.LBB103_1303:
	s_mov_b64 s[10:11], -1
                                        ; implicit-def: $vgpr5
.LBB103_1304:
	s_andn2_b64 vcc, exec, s[10:11]
	s_cbranch_vccnz .LBB103_1306
; %bb.1305:
	s_waitcnt vmcnt(0)
	global_load_dword v5, v[3:4], off
.LBB103_1306:
	s_mov_b64 s[10:11], 0
.LBB103_1307:
	s_andn2_b64 vcc, exec, s[10:11]
	s_cbranch_vccnz .LBB103_1309
; %bb.1308:
	s_waitcnt vmcnt(0)
	global_load_dword v1, v[3:4], off
	s_waitcnt vmcnt(0)
	v_cvt_f32_f16_e32 v5, v1
.LBB103_1309:
	s_cbranch_execnz .LBB103_1320
.LBB103_1310:
	s_sext_i32_i16 s10, s14
	s_cmp_lt_i32 s10, 6
	s_cbranch_scc1 .LBB103_1313
; %bb.1311:
	s_cmp_gt_i32 s10, 6
	s_cbranch_scc0 .LBB103_1314
; %bb.1312:
	s_waitcnt vmcnt(0)
	global_load_dwordx2 v[5:6], v[3:4], off
	s_mov_b64 s[10:11], 0
	s_waitcnt vmcnt(0)
	v_cvt_f32_f64_e32 v5, v[5:6]
	s_branch .LBB103_1315
.LBB103_1313:
	s_mov_b64 s[10:11], -1
                                        ; implicit-def: $vgpr5
	s_branch .LBB103_1318
.LBB103_1314:
	s_mov_b64 s[10:11], -1
                                        ; implicit-def: $vgpr5
.LBB103_1315:
	s_andn2_b64 vcc, exec, s[10:11]
	s_cbranch_vccnz .LBB103_1317
; %bb.1316:
	s_waitcnt vmcnt(0)
	global_load_dword v5, v[3:4], off
.LBB103_1317:
	s_mov_b64 s[10:11], 0
.LBB103_1318:
	s_andn2_b64 vcc, exec, s[10:11]
	s_cbranch_vccnz .LBB103_1320
; %bb.1319:
	s_waitcnt vmcnt(0)
	global_load_ushort v1, v[3:4], off
	s_waitcnt vmcnt(0)
	v_cvt_f32_f16_e32 v5, v1
.LBB103_1320:
	s_cbranch_execnz .LBB103_1339
.LBB103_1321:
	s_sext_i32_i16 s10, s14
	s_cmp_lt_i32 s10, 2
	s_cbranch_scc1 .LBB103_1325
; %bb.1322:
	s_cmp_lt_i32 s10, 3
	s_cbranch_scc1 .LBB103_1326
; %bb.1323:
	s_cmp_gt_i32 s10, 3
	s_cbranch_scc0 .LBB103_1327
; %bb.1324:
	s_waitcnt vmcnt(0)
	global_load_dwordx2 v[5:6], v[3:4], off
	s_mov_b64 s[10:11], 0
	s_waitcnt vmcnt(0)
	v_xor_b32_e32 v7, v5, v6
	v_ffbh_i32_e32 v1, v6
	v_ashrrev_i32_e32 v7, 31, v7
	v_add_u32_e32 v1, -1, v1
	v_add_u32_e32 v7, 32, v7
	v_min_u32_e32 v1, v1, v7
	v_lshlrev_b64 v[5:6], v1, v[5:6]
	v_sub_u32_e32 v1, 32, v1
	v_min_u32_e32 v5, 1, v5
	v_or_b32_e32 v5, v6, v5
	v_cvt_f32_i32_e32 v5, v5
	v_ldexp_f32 v5, v5, v1
	s_branch .LBB103_1328
.LBB103_1325:
                                        ; implicit-def: $vgpr5
	s_branch .LBB103_1334
.LBB103_1326:
	s_mov_b64 s[10:11], -1
                                        ; implicit-def: $vgpr5
	s_branch .LBB103_1331
.LBB103_1327:
	s_mov_b64 s[10:11], -1
                                        ; implicit-def: $vgpr5
.LBB103_1328:
	s_andn2_b64 vcc, exec, s[10:11]
	s_cbranch_vccnz .LBB103_1330
; %bb.1329:
	s_waitcnt vmcnt(0)
	global_load_dword v1, v[3:4], off
	s_waitcnt vmcnt(0)
	v_cvt_f32_i32_e32 v5, v1
.LBB103_1330:
	s_mov_b64 s[10:11], 0
.LBB103_1331:
	s_andn2_b64 vcc, exec, s[10:11]
	s_cbranch_vccnz .LBB103_1333
; %bb.1332:
	s_waitcnt vmcnt(0)
	global_load_sshort v1, v[3:4], off
	s_waitcnt vmcnt(0)
	v_cvt_f32_i32_e32 v5, v1
.LBB103_1333:
	s_cbranch_execnz .LBB103_1339
.LBB103_1334:
	s_sext_i32_i16 s10, s14
	s_cmp_gt_i32 s10, 0
	s_cbranch_scc0 .LBB103_1336
; %bb.1335:
	s_waitcnt vmcnt(0)
	global_load_sbyte v1, v[3:4], off
	s_mov_b64 s[10:11], 0
	s_waitcnt vmcnt(0)
	v_cvt_f32_i32_e32 v5, v1
	s_branch .LBB103_1337
.LBB103_1336:
	s_mov_b64 s[10:11], -1
                                        ; implicit-def: $vgpr5
.LBB103_1337:
	s_andn2_b64 vcc, exec, s[10:11]
	s_cbranch_vccnz .LBB103_1339
; %bb.1338:
	s_waitcnt vmcnt(0)
	global_load_ubyte v1, v[3:4], off
	s_waitcnt vmcnt(0)
	v_cvt_f32_ubyte0_e32 v5, v1
.LBB103_1339:
	s_or_b64 s[54:55], s[54:55], exec
.LBB103_1340:
	s_or_b64 exec, exec, s[6:7]
	s_mov_b64 s[20:21], 0
	s_mov_b64 s[18:19], 0
	;; [unrolled: 1-line block ×3, first 2 shown]
                                        ; implicit-def: $sgpr14
                                        ; implicit-def: $vgpr3_vgpr4
                                        ; implicit-def: $vgpr6
	s_and_saveexec_b64 s[6:7], s[54:55]
	s_cbranch_execz .LBB103_1348
; %bb.1341:
	v_mov_b32_e32 v1, s13
	s_and_b32 s14, s73, 0xff
	s_waitcnt vmcnt(0)
	v_add_co_u32_e32 v3, vcc, s12, v2
	s_cmp_lt_i32 s14, 11
	v_addc_co_u32_e32 v4, vcc, 0, v1, vcc
	s_cbranch_scc1 .LBB103_1351
; %bb.1342:
	s_and_b32 s22, 0xffff, s14
	s_cmp_gt_i32 s22, 25
	s_mov_b64 s[12:13], 0
	s_cbranch_scc0 .LBB103_1352
; %bb.1343:
	s_cmp_gt_i32 s22, 28
	s_cbranch_scc0 .LBB103_1353
; %bb.1344:
	s_cmp_gt_i32 s22, 43
	;; [unrolled: 3-line block ×3, first 2 shown]
	s_cbranch_scc0 .LBB103_1355
; %bb.1346:
	s_cmp_eq_u32 s22, 46
	s_cbranch_scc0 .LBB103_1356
; %bb.1347:
	global_load_dword v1, v[3:4], off
	s_mov_b64 s[10:11], 0
	s_mov_b64 s[16:17], -1
	s_waitcnt vmcnt(0)
	v_lshlrev_b32_e32 v6, 16, v1
	s_branch .LBB103_1358
.LBB103_1348:
	s_or_b64 exec, exec, s[6:7]
	s_and_saveexec_b64 s[6:7], s[44:45]
	s_cbranch_execnz .LBB103_1421
.LBB103_1349:
	s_or_b64 exec, exec, s[6:7]
	s_and_saveexec_b64 s[6:7], s[20:21]
	s_xor_b64 s[6:7], exec, s[6:7]
	s_cbranch_execz .LBB103_1422
.LBB103_1350:
	s_waitcnt vmcnt(0)
	global_load_ubyte v1, v[3:4], off
	s_or_b64 s[16:17], s[16:17], exec
	s_waitcnt vmcnt(0)
	v_cmp_ne_u16_e32 vcc, 0, v1
	v_cndmask_b32_e64 v6, 0, 1.0, vcc
	s_or_b64 exec, exec, s[6:7]
	s_and_saveexec_b64 s[6:7], s[18:19]
	s_cbranch_execz .LBB103_1468
	s_branch .LBB103_1423
.LBB103_1351:
	s_mov_b64 s[18:19], -1
                                        ; implicit-def: $vgpr6
	s_mov_b64 s[12:13], 0
	s_mov_b64 s[10:11], s[44:45]
	s_branch .LBB103_1420
.LBB103_1352:
	s_mov_b64 s[10:11], s[44:45]
                                        ; implicit-def: $vgpr6
	s_cbranch_execnz .LBB103_1387
	s_branch .LBB103_1419
.LBB103_1353:
	s_mov_b64 s[18:19], -1
	s_mov_b64 s[10:11], s[44:45]
                                        ; implicit-def: $vgpr6
	s_branch .LBB103_1368
.LBB103_1354:
	s_mov_b64 s[18:19], -1
	s_mov_b64 s[10:11], s[44:45]
                                        ; implicit-def: $vgpr6
	s_branch .LBB103_1363
.LBB103_1355:
	s_mov_b64 s[18:19], -1
	s_mov_b64 s[10:11], s[44:45]
	s_branch .LBB103_1357
.LBB103_1356:
	s_mov_b64 s[10:11], -1
.LBB103_1357:
                                        ; implicit-def: $vgpr6
.LBB103_1358:
	s_and_b64 vcc, exec, s[18:19]
	s_cbranch_vccz .LBB103_1362
; %bb.1359:
	s_cmp_eq_u32 s22, 44
	s_cbranch_scc0 .LBB103_1361
; %bb.1360:
	global_load_ubyte v1, v[3:4], off
	s_movk_i32 s16, 0xff
	v_mov_b32_e32 v2, 0x7f800001
	v_mov_b32_e32 v6, 0x400000
	s_mov_b64 s[10:11], 0
	s_waitcnt vmcnt(0)
	v_lshlrev_b32_e32 v7, 23, v1
	v_cmp_ne_u32_e32 vcc, s16, v1
	v_cndmask_b32_e32 v2, v2, v7, vcc
	v_cmp_ne_u32_e32 vcc, 0, v1
	v_cndmask_b32_e32 v6, v6, v2, vcc
	s_mov_b64 s[16:17], -1
	s_branch .LBB103_1362
.LBB103_1361:
	s_mov_b64 s[10:11], -1
                                        ; implicit-def: $vgpr6
.LBB103_1362:
	s_mov_b64 s[18:19], 0
.LBB103_1363:
	s_and_b64 vcc, exec, s[18:19]
	s_cbranch_vccz .LBB103_1367
; %bb.1364:
	s_cmp_eq_u32 s22, 29
	s_cbranch_scc0 .LBB103_1366
; %bb.1365:
	global_load_dwordx2 v[1:2], v[3:4], off
	s_mov_b64 s[10:11], 0
	s_mov_b64 s[16:17], -1
	s_mov_b64 s[18:19], 0
	s_waitcnt vmcnt(0)
	v_ffbh_u32_e32 v6, v2
	v_min_u32_e32 v6, 32, v6
	v_lshlrev_b64 v[1:2], v6, v[1:2]
	v_min_u32_e32 v1, 1, v1
	v_or_b32_e32 v1, v2, v1
	v_cvt_f32_u32_e32 v1, v1
	v_sub_u32_e32 v2, 32, v6
	v_ldexp_f32 v6, v1, v2
	s_branch .LBB103_1368
.LBB103_1366:
	s_mov_b64 s[10:11], -1
                                        ; implicit-def: $vgpr6
.LBB103_1367:
	s_mov_b64 s[18:19], 0
.LBB103_1368:
	s_and_b64 vcc, exec, s[18:19]
	s_cbranch_vccz .LBB103_1386
; %bb.1369:
	s_cmp_lt_i32 s22, 27
	s_cbranch_scc1 .LBB103_1372
; %bb.1370:
	s_cmp_gt_i32 s22, 27
	s_cbranch_scc0 .LBB103_1373
; %bb.1371:
	global_load_dword v1, v[3:4], off
	s_mov_b64 s[16:17], 0
	s_waitcnt vmcnt(0)
	v_cvt_f32_u32_e32 v6, v1
	s_branch .LBB103_1374
.LBB103_1372:
	s_mov_b64 s[16:17], -1
                                        ; implicit-def: $vgpr6
	s_branch .LBB103_1377
.LBB103_1373:
	s_mov_b64 s[16:17], -1
                                        ; implicit-def: $vgpr6
.LBB103_1374:
	s_andn2_b64 vcc, exec, s[16:17]
	s_cbranch_vccnz .LBB103_1376
; %bb.1375:
	global_load_ushort v1, v[3:4], off
	s_waitcnt vmcnt(0)
	v_cvt_f32_u32_e32 v6, v1
.LBB103_1376:
	s_mov_b64 s[16:17], 0
.LBB103_1377:
	s_andn2_b64 vcc, exec, s[16:17]
	s_cbranch_vccnz .LBB103_1385
; %bb.1378:
	global_load_ubyte v1, v[3:4], off
	s_movk_i32 s16, 0x7f
	s_waitcnt vmcnt(0)
	v_cmp_lt_i16_e32 vcc, s16, v1
	s_mov_b64 s[16:17], 0
	s_and_saveexec_b64 s[18:19], vcc
	s_xor_b64 s[18:19], exec, s[18:19]
	s_cbranch_execz .LBB103_1398
; %bb.1379:
	s_movk_i32 s16, 0x80
	v_cmp_eq_u16_e32 vcc, s16, v1
	s_mov_b64 s[16:17], -1
	s_and_saveexec_b64 s[20:21], vcc
; %bb.1380:
	s_xor_b64 s[16:17], exec, -1
; %bb.1381:
	s_or_b64 exec, exec, s[20:21]
	s_and_b64 s[16:17], s[16:17], exec
	s_or_saveexec_b64 s[18:19], s[18:19]
	v_mov_b32_e32 v6, 0x7f800001
	s_xor_b64 exec, exec, s[18:19]
	s_cbranch_execnz .LBB103_1399
.LBB103_1382:
	s_or_b64 exec, exec, s[18:19]
	s_and_saveexec_b64 s[18:19], s[16:17]
	s_cbranch_execz .LBB103_1384
.LBB103_1383:
	v_lshlrev_b32_e32 v2, 24, v1
	v_and_b32_e32 v1, 0xffff, v1
	v_and_b32_e32 v6, 7, v1
	v_ffbh_u32_e32 v8, v6
	v_min_u32_e32 v8, 32, v8
	v_subrev_u32_e32 v9, 28, v8
	v_bfe_u32 v7, v1, 3, 4
	v_lshlrev_b32_e32 v1, v9, v1
	v_sub_u32_e32 v8, 29, v8
	v_and_b32_e32 v1, 7, v1
	v_cmp_eq_u32_e32 vcc, 0, v7
	v_cndmask_b32_e32 v7, v7, v8, vcc
	v_cndmask_b32_e32 v1, v6, v1, vcc
	v_mov_b32_e32 v6, 0x3b800000
	v_lshlrev_b32_e32 v1, 20, v1
	v_and_b32_e32 v2, 0x80000000, v2
	v_lshl_add_u32 v6, v7, 23, v6
	v_or3_b32 v6, v2, v6, v1
.LBB103_1384:
	s_or_b64 exec, exec, s[18:19]
.LBB103_1385:
	s_mov_b64 s[16:17], -1
.LBB103_1386:
	s_branch .LBB103_1419
.LBB103_1387:
	s_cmp_gt_i32 s22, 22
	s_cbranch_scc0 .LBB103_1397
; %bb.1388:
	s_cmp_lt_i32 s22, 24
	s_cbranch_scc1 .LBB103_1400
; %bb.1389:
	s_cmp_gt_i32 s22, 24
	s_cbranch_scc0 .LBB103_1401
; %bb.1390:
	global_load_ubyte v1, v[3:4], off
	s_movk_i32 s12, 0x7f
	s_waitcnt vmcnt(0)
	v_cmp_lt_i16_e32 vcc, s12, v1
	s_mov_b64 s[12:13], 0
	s_and_saveexec_b64 s[16:17], vcc
	s_xor_b64 s[16:17], exec, s[16:17]
	s_cbranch_execz .LBB103_1413
; %bb.1391:
	s_movk_i32 s12, 0x80
	v_cmp_eq_u16_e32 vcc, s12, v1
	s_mov_b64 s[12:13], -1
	s_and_saveexec_b64 s[18:19], vcc
; %bb.1392:
	s_xor_b64 s[12:13], exec, -1
; %bb.1393:
	s_or_b64 exec, exec, s[18:19]
	s_and_b64 s[12:13], s[12:13], exec
	s_or_saveexec_b64 s[16:17], s[16:17]
	v_mov_b32_e32 v6, 0x7f800001
	s_xor_b64 exec, exec, s[16:17]
	s_cbranch_execnz .LBB103_1414
.LBB103_1394:
	s_or_b64 exec, exec, s[16:17]
	s_and_saveexec_b64 s[16:17], s[12:13]
	s_cbranch_execz .LBB103_1396
.LBB103_1395:
	v_lshlrev_b32_e32 v2, 24, v1
	v_and_b32_e32 v1, 0xffff, v1
	v_and_b32_e32 v6, 3, v1
	v_ffbh_u32_e32 v8, v6
	v_min_u32_e32 v8, 32, v8
	v_subrev_u32_e32 v9, 29, v8
	v_bfe_u32 v7, v1, 2, 5
	v_lshlrev_b32_e32 v1, v9, v1
	v_sub_u32_e32 v8, 30, v8
	v_and_b32_e32 v1, 3, v1
	v_cmp_eq_u32_e32 vcc, 0, v7
	v_cndmask_b32_e32 v7, v7, v8, vcc
	v_cndmask_b32_e32 v1, v6, v1, vcc
	v_mov_b32_e32 v6, 0x37800000
	v_lshlrev_b32_e32 v1, 21, v1
	v_and_b32_e32 v2, 0x80000000, v2
	v_lshl_add_u32 v6, v7, 23, v6
	v_or3_b32 v6, v2, v6, v1
.LBB103_1396:
	s_or_b64 exec, exec, s[16:17]
	s_mov_b64 s[12:13], 0
	s_branch .LBB103_1402
.LBB103_1397:
	s_mov_b64 s[12:13], -1
                                        ; implicit-def: $vgpr6
	s_branch .LBB103_1408
.LBB103_1398:
	s_or_saveexec_b64 s[18:19], s[18:19]
	v_mov_b32_e32 v6, 0x7f800001
	s_xor_b64 exec, exec, s[18:19]
	s_cbranch_execz .LBB103_1382
.LBB103_1399:
	v_cmp_ne_u16_e32 vcc, 0, v1
	s_andn2_b64 s[16:17], s[16:17], exec
	s_and_b64 s[20:21], vcc, exec
	v_mov_b32_e32 v6, 0
	s_or_b64 s[16:17], s[16:17], s[20:21]
	s_or_b64 exec, exec, s[18:19]
	s_and_saveexec_b64 s[18:19], s[16:17]
	s_cbranch_execnz .LBB103_1383
	s_branch .LBB103_1384
.LBB103_1400:
	s_mov_b64 s[12:13], -1
                                        ; implicit-def: $vgpr6
	s_branch .LBB103_1405
.LBB103_1401:
	s_mov_b64 s[12:13], -1
                                        ; implicit-def: $vgpr6
.LBB103_1402:
	s_and_b64 vcc, exec, s[12:13]
	s_cbranch_vccz .LBB103_1404
; %bb.1403:
	global_load_ubyte v1, v[3:4], off
	s_mov_b32 s12, 0x7f800000
	s_waitcnt vmcnt(0)
	v_lshlrev_b32_e32 v1, 24, v1
	v_and_b32_e32 v2, 0x7f000000, v1
	v_ffbh_u32_e32 v6, v2
	v_min_u32_e32 v6, 32, v6
	v_sub_u32_e64 v6, v6, 4 clamp
	v_lshlrev_b32_e32 v8, v6, v2
	v_lshlrev_b32_e32 v6, 23, v6
	v_lshrrev_b32_e32 v8, 4, v8
	v_add_u32_e32 v7, 0x1000000, v2
	v_sub_u32_e32 v6, v8, v6
	v_ashrrev_i32_e32 v7, 8, v7
	v_add_u32_e32 v6, 0x3c000000, v6
	v_and_or_b32 v6, v7, s12, v6
	v_cmp_ne_u32_e32 vcc, 0, v2
	v_cndmask_b32_e32 v2, 0, v6, vcc
	s_brev_b32 s12, 1
	v_and_or_b32 v6, v1, s12, v2
.LBB103_1404:
	s_mov_b64 s[12:13], 0
.LBB103_1405:
	s_andn2_b64 vcc, exec, s[12:13]
	s_cbranch_vccnz .LBB103_1407
; %bb.1406:
	global_load_ubyte v1, v[3:4], off
	s_movk_i32 s12, 0x7f00
	s_brev_b32 s13, 16
	s_waitcnt vmcnt(0)
	v_lshlrev_b16_e32 v2, 8, v1
	v_lshlrev_b32_e32 v1, 25, v1
	v_lshrrev_b32_e32 v6, 4, v1
	v_and_or_b32 v7, v2, s12, 0.5
	v_or_b32_e32 v6, 0x70000000, v6
	v_add_f32_e32 v7, -0.5, v7
	v_mul_f32_e32 v6, 0x7800000, v6
	v_cmp_gt_u32_e32 vcc, s13, v1
	v_bfe_i32 v2, v2, 0, 16
	v_cndmask_b32_e32 v1, v6, v7, vcc
	s_brev_b32 s12, 1
	v_and_or_b32 v6, v2, s12, v1
.LBB103_1407:
	s_mov_b64 s[12:13], 0
	s_mov_b64 s[16:17], -1
.LBB103_1408:
	s_andn2_b64 vcc, exec, s[12:13]
	s_mov_b64 s[12:13], 0
	s_cbranch_vccnz .LBB103_1419
; %bb.1409:
	s_cmp_gt_i32 s22, 14
	s_cbranch_scc0 .LBB103_1412
; %bb.1410:
	s_cmp_eq_u32 s22, 15
	s_cbranch_scc0 .LBB103_1415
; %bb.1411:
	global_load_ushort v1, v[3:4], off
	s_mov_b64 s[10:11], 0
	s_mov_b64 s[16:17], -1
	s_waitcnt vmcnt(0)
	v_lshlrev_b32_e32 v6, 16, v1
	s_branch .LBB103_1416
.LBB103_1412:
	s_mov_b64 s[18:19], -1
                                        ; implicit-def: $vgpr6
	s_branch .LBB103_1417
.LBB103_1413:
	s_or_saveexec_b64 s[16:17], s[16:17]
	v_mov_b32_e32 v6, 0x7f800001
	s_xor_b64 exec, exec, s[16:17]
	s_cbranch_execz .LBB103_1394
.LBB103_1414:
	v_cmp_ne_u16_e32 vcc, 0, v1
	s_andn2_b64 s[12:13], s[12:13], exec
	s_and_b64 s[18:19], vcc, exec
	v_mov_b32_e32 v6, 0
	s_or_b64 s[12:13], s[12:13], s[18:19]
	s_or_b64 exec, exec, s[16:17]
	s_and_saveexec_b64 s[16:17], s[12:13]
	s_cbranch_execnz .LBB103_1395
	s_branch .LBB103_1396
.LBB103_1415:
	s_mov_b64 s[10:11], -1
                                        ; implicit-def: $vgpr6
.LBB103_1416:
	s_mov_b64 s[18:19], 0
.LBB103_1417:
	s_and_b64 vcc, exec, s[18:19]
	s_cbranch_vccz .LBB103_1419
; %bb.1418:
	s_cmp_lg_u32 s22, 11
	s_cselect_b64 s[18:19], -1, 0
	s_andn2_b64 s[10:11], s[10:11], exec
	s_and_b64 s[18:19], s[18:19], exec
	s_mov_b64 s[12:13], -1
	s_or_b64 s[10:11], s[10:11], s[18:19]
.LBB103_1419:
	s_mov_b64 s[18:19], 0
.LBB103_1420:
	s_and_b64 s[20:21], s[12:13], exec
	s_andn2_b64 s[12:13], s[44:45], exec
	s_and_b64 s[10:11], s[10:11], exec
	s_and_b64 s[16:17], s[16:17], exec
	;; [unrolled: 1-line block ×3, first 2 shown]
	s_or_b64 s[44:45], s[12:13], s[10:11]
	s_or_b64 exec, exec, s[6:7]
	s_and_saveexec_b64 s[6:7], s[44:45]
	s_cbranch_execz .LBB103_1349
.LBB103_1421:
	s_or_b64 s[2:3], s[2:3], exec
	s_andn2_b64 s[20:21], s[20:21], exec
	s_trap 2
	s_or_b64 exec, exec, s[6:7]
	s_and_saveexec_b64 s[6:7], s[20:21]
	s_xor_b64 s[6:7], exec, s[6:7]
	s_cbranch_execnz .LBB103_1350
.LBB103_1422:
	s_or_b64 exec, exec, s[6:7]
	s_and_saveexec_b64 s[6:7], s[18:19]
	s_cbranch_execz .LBB103_1468
.LBB103_1423:
	s_sext_i32_i16 s10, s14
	s_cmp_lt_i32 s10, 5
	s_cbranch_scc1 .LBB103_1428
; %bb.1424:
	s_cmp_lt_i32 s10, 8
	s_cbranch_scc1 .LBB103_1429
; %bb.1425:
	;; [unrolled: 3-line block ×3, first 2 shown]
	s_cmp_gt_i32 s10, 9
	s_cbranch_scc0 .LBB103_1431
; %bb.1427:
	s_waitcnt vmcnt(0)
	global_load_dwordx2 v[1:2], v[3:4], off
	s_mov_b64 s[10:11], 0
	s_waitcnt vmcnt(0)
	v_cvt_f32_f64_e32 v6, v[1:2]
	s_branch .LBB103_1432
.LBB103_1428:
                                        ; implicit-def: $vgpr6
	s_branch .LBB103_1449
.LBB103_1429:
                                        ; implicit-def: $vgpr6
	s_branch .LBB103_1438
.LBB103_1430:
	s_mov_b64 s[10:11], -1
                                        ; implicit-def: $vgpr6
	s_branch .LBB103_1435
.LBB103_1431:
	s_mov_b64 s[10:11], -1
                                        ; implicit-def: $vgpr6
.LBB103_1432:
	s_andn2_b64 vcc, exec, s[10:11]
	s_cbranch_vccnz .LBB103_1434
; %bb.1433:
	s_waitcnt vmcnt(0)
	global_load_dword v6, v[3:4], off
.LBB103_1434:
	s_mov_b64 s[10:11], 0
.LBB103_1435:
	s_andn2_b64 vcc, exec, s[10:11]
	s_cbranch_vccnz .LBB103_1437
; %bb.1436:
	s_waitcnt vmcnt(0)
	global_load_dword v1, v[3:4], off
	s_waitcnt vmcnt(0)
	v_cvt_f32_f16_e32 v6, v1
.LBB103_1437:
	s_cbranch_execnz .LBB103_1448
.LBB103_1438:
	s_sext_i32_i16 s10, s14
	s_cmp_lt_i32 s10, 6
	s_cbranch_scc1 .LBB103_1441
; %bb.1439:
	s_cmp_gt_i32 s10, 6
	s_cbranch_scc0 .LBB103_1442
; %bb.1440:
	s_waitcnt vmcnt(0)
	global_load_dwordx2 v[1:2], v[3:4], off
	s_mov_b64 s[10:11], 0
	s_waitcnt vmcnt(0)
	v_cvt_f32_f64_e32 v6, v[1:2]
	s_branch .LBB103_1443
.LBB103_1441:
	s_mov_b64 s[10:11], -1
                                        ; implicit-def: $vgpr6
	s_branch .LBB103_1446
.LBB103_1442:
	s_mov_b64 s[10:11], -1
                                        ; implicit-def: $vgpr6
.LBB103_1443:
	s_andn2_b64 vcc, exec, s[10:11]
	s_cbranch_vccnz .LBB103_1445
; %bb.1444:
	s_waitcnt vmcnt(0)
	global_load_dword v6, v[3:4], off
.LBB103_1445:
	s_mov_b64 s[10:11], 0
.LBB103_1446:
	s_andn2_b64 vcc, exec, s[10:11]
	s_cbranch_vccnz .LBB103_1448
; %bb.1447:
	s_waitcnt vmcnt(0)
	global_load_ushort v1, v[3:4], off
	s_waitcnt vmcnt(0)
	v_cvt_f32_f16_e32 v6, v1
.LBB103_1448:
	s_cbranch_execnz .LBB103_1467
.LBB103_1449:
	s_sext_i32_i16 s10, s14
	s_cmp_lt_i32 s10, 2
	s_cbranch_scc1 .LBB103_1453
; %bb.1450:
	s_cmp_lt_i32 s10, 3
	s_cbranch_scc1 .LBB103_1454
; %bb.1451:
	s_cmp_gt_i32 s10, 3
	s_cbranch_scc0 .LBB103_1455
; %bb.1452:
	s_waitcnt vmcnt(0)
	global_load_dwordx2 v[1:2], v[3:4], off
	s_mov_b64 s[10:11], 0
	s_waitcnt vmcnt(0)
	v_xor_b32_e32 v7, v1, v2
	v_ffbh_i32_e32 v6, v2
	v_ashrrev_i32_e32 v7, 31, v7
	v_add_u32_e32 v6, -1, v6
	v_add_u32_e32 v7, 32, v7
	v_min_u32_e32 v6, v6, v7
	v_lshlrev_b64 v[1:2], v6, v[1:2]
	v_min_u32_e32 v1, 1, v1
	v_or_b32_e32 v1, v2, v1
	v_cvt_f32_i32_e32 v1, v1
	v_sub_u32_e32 v2, 32, v6
	v_ldexp_f32 v6, v1, v2
	s_branch .LBB103_1456
.LBB103_1453:
                                        ; implicit-def: $vgpr6
	s_branch .LBB103_1462
.LBB103_1454:
	s_mov_b64 s[10:11], -1
                                        ; implicit-def: $vgpr6
	s_branch .LBB103_1459
.LBB103_1455:
	s_mov_b64 s[10:11], -1
                                        ; implicit-def: $vgpr6
.LBB103_1456:
	s_andn2_b64 vcc, exec, s[10:11]
	s_cbranch_vccnz .LBB103_1458
; %bb.1457:
	s_waitcnt vmcnt(0)
	global_load_dword v1, v[3:4], off
	s_waitcnt vmcnt(0)
	v_cvt_f32_i32_e32 v6, v1
.LBB103_1458:
	s_mov_b64 s[10:11], 0
.LBB103_1459:
	s_andn2_b64 vcc, exec, s[10:11]
	s_cbranch_vccnz .LBB103_1461
; %bb.1460:
	s_waitcnt vmcnt(0)
	global_load_sshort v1, v[3:4], off
	s_waitcnt vmcnt(0)
	v_cvt_f32_i32_e32 v6, v1
.LBB103_1461:
	s_cbranch_execnz .LBB103_1467
.LBB103_1462:
	s_sext_i32_i16 s10, s14
	s_cmp_gt_i32 s10, 0
	s_cbranch_scc0 .LBB103_1464
; %bb.1463:
	s_waitcnt vmcnt(0)
	global_load_sbyte v1, v[3:4], off
	s_mov_b64 s[10:11], 0
	s_waitcnt vmcnt(0)
	v_cvt_f32_i32_e32 v6, v1
	s_branch .LBB103_1465
.LBB103_1464:
	s_mov_b64 s[10:11], -1
                                        ; implicit-def: $vgpr6
.LBB103_1465:
	s_andn2_b64 vcc, exec, s[10:11]
	s_cbranch_vccnz .LBB103_1467
; %bb.1466:
	s_waitcnt vmcnt(0)
	global_load_ubyte v1, v[3:4], off
	s_waitcnt vmcnt(0)
	v_cvt_f32_ubyte0_e32 v6, v1
.LBB103_1467:
	s_or_b64 s[16:17], s[16:17], exec
.LBB103_1468:
	s_or_b64 exec, exec, s[6:7]
	s_mov_b64 s[18:19], 0
	s_mov_b64 s[12:13], 0
                                        ; implicit-def: $sgpr6_sgpr7
                                        ; implicit-def: $sgpr20
                                        ; implicit-def: $vgpr1_vgpr2
	s_and_saveexec_b64 s[10:11], s[16:17]
	s_cbranch_execz .LBB103_1543
; %bb.1469:
	s_waitcnt vmcnt(0)
	v_cmp_eq_f32_e32 vcc, v5, v6
	v_cndmask_b32_e64 v1, 0, 1, vcc
	v_cmp_neq_f32_e32 vcc, v5, v6
	v_cndmask_b32_e64 v2, 0, 1, vcc
	v_cndmask_b32_e64 v1, v2, v1, s[0:1]
	v_and_b32_e32 v1, 1, v1
	v_cmp_eq_u32_e64 s[6:7], 1, v1
	v_mov_b32_e32 v2, s9
	s_and_b32 s20, s15, 0xff
	v_add_co_u32_e32 v1, vcc, s8, v0
	s_cmp_lt_i32 s20, 11
	v_addc_co_u32_e32 v2, vcc, 0, v2, vcc
	s_cbranch_scc1 .LBB103_1546
; %bb.1470:
	s_and_b32 s18, 0xffff, s20
	s_mov_b64 s[12:13], -1
	s_cmp_gt_i32 s18, 25
	s_mov_b64 s[0:1], s[42:43]
	s_cbranch_scc0 .LBB103_1503
; %bb.1471:
	s_mov_b64 s[8:9], -1
	s_cmp_gt_i32 s18, 28
	s_mov_b64 s[0:1], s[42:43]
	s_cbranch_scc0 .LBB103_1487
; %bb.1472:
	s_cmp_gt_i32 s18, 43
	s_mov_b64 s[0:1], s[42:43]
	s_cbranch_scc0 .LBB103_1483
; %bb.1473:
	;; [unrolled: 4-line block ×3, first 2 shown]
	s_cmp_eq_u32 s18, 46
	s_mov_b64 s[0:1], -1
	s_cbranch_scc0 .LBB103_1476
; %bb.1475:
	v_cndmask_b32_e64 v0, 0, 1.0, s[6:7]
	v_bfe_u32 v3, v0, 16, 1
	s_movk_i32 s0, 0x7fff
	v_add3_u32 v0, v0, v3, s0
	v_lshrrev_b32_e32 v0, 16, v0
	global_store_dword v[1:2], v0, off
	s_mov_b64 s[0:1], 0
.LBB103_1476:
	s_mov_b64 s[8:9], 0
.LBB103_1477:
	s_and_b64 vcc, exec, s[8:9]
	s_cbranch_vccz .LBB103_1482
; %bb.1478:
	s_cmp_eq_u32 s18, 44
	s_mov_b64 s[0:1], -1
	s_cbranch_scc0 .LBB103_1482
; %bb.1479:
	v_cndmask_b32_e64 v3, 0, 1.0, s[6:7]
	v_lshrrev_b32_e32 v0, 23, v3
	s_movk_i32 s0, 0xff
	v_cmp_ne_u32_e32 vcc, s0, v0
	v_mov_b32_e32 v4, 0xff
	s_and_saveexec_b64 s[8:9], vcc
; %bb.1480:
	s_mov_b32 s0, 0x3fffff
	v_and_b32_e32 v4, 0x400000, v3
	v_and_or_b32 v3, v3, s0, v0
	v_cmp_ne_u32_e32 vcc, 0, v4
	v_cmp_ne_u32_e64 s[0:1], 0, v3
	s_and_b64 s[0:1], vcc, s[0:1]
	v_cndmask_b32_e64 v3, 0, 1, s[0:1]
	v_add_u32_e32 v4, v0, v3
; %bb.1481:
	s_or_b64 exec, exec, s[8:9]
	s_mov_b64 s[0:1], 0
	global_store_byte v[1:2], v4, off
.LBB103_1482:
	s_mov_b64 s[8:9], 0
.LBB103_1483:
	s_and_b64 vcc, exec, s[8:9]
	s_cbranch_vccz .LBB103_1486
; %bb.1484:
	s_cmp_eq_u32 s18, 29
	s_mov_b64 s[0:1], -1
	s_cbranch_scc0 .LBB103_1486
; %bb.1485:
	s_mov_b32 s0, 0
	v_cndmask_b32_e64 v3, 0, 1, s[6:7]
	v_mov_b32_e32 v4, s0
	global_store_dwordx2 v[1:2], v[3:4], off
	s_mov_b64 s[0:1], 0
.LBB103_1486:
	s_mov_b64 s[8:9], 0
.LBB103_1487:
	s_and_b64 vcc, exec, s[8:9]
	s_cbranch_vccz .LBB103_1502
; %bb.1488:
	s_cmp_lt_i32 s18, 27
	s_mov_b64 s[8:9], -1
	s_cbranch_scc1 .LBB103_1494
; %bb.1489:
	s_cmp_gt_i32 s18, 27
	s_cbranch_scc0 .LBB103_1491
; %bb.1490:
	v_cndmask_b32_e64 v0, 0, 1, s[6:7]
	s_mov_b64 s[8:9], 0
	global_store_dword v[1:2], v0, off
.LBB103_1491:
	s_andn2_b64 vcc, exec, s[8:9]
	s_cbranch_vccnz .LBB103_1493
; %bb.1492:
	v_cndmask_b32_e64 v0, 0, 1, s[6:7]
	global_store_short v[1:2], v0, off
.LBB103_1493:
	s_mov_b64 s[8:9], 0
.LBB103_1494:
	s_andn2_b64 vcc, exec, s[8:9]
	s_cbranch_vccnz .LBB103_1502
; %bb.1495:
	v_cndmask_b32_e64 v3, 0, 1.0, s[6:7]
	s_mov_b32 s8, 0x43800000
	v_cmp_gt_u32_e32 vcc, s8, v3
	v_mov_b32_e32 v4, 0x80
	s_and_saveexec_b64 s[8:9], vcc
	s_cbranch_execz .LBB103_1501
; %bb.1496:
	s_mov_b32 s12, 0x3bffffff
	v_cmp_lt_u32_e32 vcc, s12, v3
	s_mov_b64 s[12:13], 0
                                        ; implicit-def: $vgpr0
	s_and_saveexec_b64 s[14:15], vcc
	s_xor_b64 s[14:15], exec, s[14:15]
	s_cbranch_execz .LBB103_1647
; %bb.1497:
	v_bfe_u32 v0, v3, 20, 1
	s_mov_b32 s16, 0x487ffff
	v_add3_u32 v0, v3, v0, s16
	s_mov_b64 s[12:13], exec
	v_lshrrev_b32_e32 v0, 20, v0
                                        ; implicit-def: $vgpr3
	s_andn2_saveexec_b64 s[14:15], s[14:15]
	s_cbranch_execnz .LBB103_1648
.LBB103_1498:
	s_or_b64 exec, exec, s[14:15]
	v_mov_b32_e32 v4, 0
	s_and_saveexec_b64 s[14:15], s[12:13]
.LBB103_1499:
	v_mov_b32_e32 v4, v0
.LBB103_1500:
	s_or_b64 exec, exec, s[14:15]
.LBB103_1501:
	s_or_b64 exec, exec, s[8:9]
	global_store_byte v[1:2], v4, off
.LBB103_1502:
	s_mov_b64 s[12:13], 0
.LBB103_1503:
	s_mov_b64 s[8:9], 0
	s_and_b64 vcc, exec, s[12:13]
	s_cbranch_vccz .LBB103_1547
; %bb.1504:
	s_cmp_gt_i32 s18, 22
	s_mov_b64 s[12:13], -1
	s_cbranch_scc0 .LBB103_1536
; %bb.1505:
	s_cmp_lt_i32 s18, 24
	s_cbranch_scc1 .LBB103_1525
; %bb.1506:
	s_cmp_gt_i32 s18, 24
	s_cbranch_scc0 .LBB103_1514
; %bb.1507:
	v_cndmask_b32_e64 v3, 0, 1.0, s[6:7]
	s_mov_b32 s12, 0x47800000
	v_cmp_gt_u32_e32 vcc, s12, v3
	v_mov_b32_e32 v4, 0x80
	s_and_saveexec_b64 s[12:13], vcc
	s_cbranch_execz .LBB103_1513
; %bb.1508:
	s_mov_b32 s14, 0x37ffffff
	v_cmp_lt_u32_e32 vcc, s14, v3
	s_mov_b64 s[14:15], 0
                                        ; implicit-def: $vgpr0
	s_and_saveexec_b64 s[16:17], vcc
	s_xor_b64 s[16:17], exec, s[16:17]
	s_cbranch_execz .LBB103_1772
; %bb.1509:
	v_bfe_u32 v0, v3, 21, 1
	s_mov_b32 s19, 0x88fffff
	v_add3_u32 v0, v3, v0, s19
	s_mov_b64 s[14:15], exec
	v_lshrrev_b32_e32 v0, 21, v0
                                        ; implicit-def: $vgpr3
	s_andn2_saveexec_b64 s[16:17], s[16:17]
	s_cbranch_execnz .LBB103_1773
.LBB103_1510:
	s_or_b64 exec, exec, s[16:17]
	v_mov_b32_e32 v4, 0
	s_and_saveexec_b64 s[16:17], s[14:15]
.LBB103_1511:
	v_mov_b32_e32 v4, v0
.LBB103_1512:
	s_or_b64 exec, exec, s[16:17]
.LBB103_1513:
	s_or_b64 exec, exec, s[12:13]
	s_mov_b64 s[12:13], 0
	global_store_byte v[1:2], v4, off
.LBB103_1514:
	s_and_b64 vcc, exec, s[12:13]
	s_cbranch_vccz .LBB103_1524
; %bb.1515:
	v_cndmask_b32_e64 v0, 0, 1.0, s[6:7]
	s_mov_b32 s12, 0x43f00000
	v_cmp_gt_u32_e32 vcc, s12, v0
                                        ; implicit-def: $vgpr3
	s_and_saveexec_b64 s[12:13], vcc
	s_xor_b64 s[12:13], exec, s[12:13]
	s_cbranch_execz .LBB103_1521
; %bb.1516:
	s_mov_b32 s14, 0x3c7fffff
	v_cmp_lt_u32_e32 vcc, s14, v0
                                        ; implicit-def: $vgpr3
	s_and_saveexec_b64 s[14:15], vcc
	s_xor_b64 s[14:15], exec, s[14:15]
; %bb.1517:
	v_bfe_u32 v3, v0, 20, 1
	s_mov_b32 s16, 0x407ffff
	v_add3_u32 v0, v0, v3, s16
	v_lshrrev_b32_e32 v3, 20, v0
	v_and_b32_e32 v0, 0xff00000, v0
	s_mov_b32 s16, 0x7f00000
	v_mov_b32_e32 v4, 0x7e
	v_cmp_ne_u32_e32 vcc, s16, v0
	v_cndmask_b32_e32 v3, v4, v3, vcc
                                        ; implicit-def: $vgpr0
; %bb.1518:
	s_andn2_saveexec_b64 s[14:15], s[14:15]
; %bb.1519:
	v_add_f32_e32 v3, 0x46800000, v0
; %bb.1520:
	s_or_b64 exec, exec, s[14:15]
                                        ; implicit-def: $vgpr0
.LBB103_1521:
	s_andn2_saveexec_b64 s[12:13], s[12:13]
; %bb.1522:
	s_mov_b32 s14, 0x7f800000
	v_mov_b32_e32 v3, 0x7e
	v_mov_b32_e32 v4, 0x7f
	v_cmp_lt_u32_e32 vcc, s14, v0
	v_cndmask_b32_e32 v3, v3, v4, vcc
; %bb.1523:
	s_or_b64 exec, exec, s[12:13]
	global_store_byte v[1:2], v3, off
.LBB103_1524:
	s_mov_b64 s[12:13], 0
.LBB103_1525:
	s_andn2_b64 vcc, exec, s[12:13]
	s_cbranch_vccnz .LBB103_1535
; %bb.1526:
	v_cndmask_b32_e64 v0, 0, 1.0, s[6:7]
	s_mov_b32 s12, 0x47800000
	v_cmp_gt_u32_e32 vcc, s12, v0
                                        ; implicit-def: $vgpr3
	s_and_saveexec_b64 s[12:13], vcc
	s_xor_b64 s[12:13], exec, s[12:13]
	s_cbranch_execz .LBB103_1532
; %bb.1527:
	s_mov_b32 s14, 0x387fffff
	v_cmp_lt_u32_e32 vcc, s14, v0
                                        ; implicit-def: $vgpr3
	s_and_saveexec_b64 s[14:15], vcc
	s_xor_b64 s[14:15], exec, s[14:15]
; %bb.1528:
	v_bfe_u32 v3, v0, 21, 1
	s_mov_b32 s16, 0x80fffff
	v_add3_u32 v0, v0, v3, s16
	v_lshrrev_b32_e32 v3, 21, v0
                                        ; implicit-def: $vgpr0
; %bb.1529:
	s_andn2_saveexec_b64 s[14:15], s[14:15]
; %bb.1530:
	v_add_f32_e32 v3, 0x43000000, v0
; %bb.1531:
	s_or_b64 exec, exec, s[14:15]
                                        ; implicit-def: $vgpr0
.LBB103_1532:
	s_andn2_saveexec_b64 s[12:13], s[12:13]
; %bb.1533:
	s_mov_b32 s14, 0x7f800000
	v_mov_b32_e32 v3, 0x7c
	v_mov_b32_e32 v4, 0x7f
	v_cmp_lt_u32_e32 vcc, s14, v0
	v_cndmask_b32_e32 v3, v3, v4, vcc
; %bb.1534:
	s_or_b64 exec, exec, s[12:13]
	global_store_byte v[1:2], v3, off
.LBB103_1535:
	s_mov_b64 s[12:13], 0
.LBB103_1536:
	s_andn2_b64 vcc, exec, s[12:13]
	s_mov_b64 s[14:15], 0
	s_cbranch_vccnz .LBB103_1548
; %bb.1537:
	s_cmp_gt_i32 s18, 14
	s_mov_b64 s[12:13], -1
	s_cbranch_scc0 .LBB103_1541
; %bb.1538:
	s_cmp_eq_u32 s18, 15
	s_mov_b64 s[0:1], -1
	s_cbranch_scc0 .LBB103_1540
; %bb.1539:
	v_cndmask_b32_e64 v0, 0, 1.0, s[6:7]
	v_bfe_u32 v3, v0, 16, 1
	s_movk_i32 s0, 0x7fff
	v_add3_u32 v0, v0, v3, s0
	global_store_short_d16_hi v[1:2], v0, off
	s_mov_b64 s[0:1], 0
.LBB103_1540:
	s_mov_b64 s[12:13], 0
.LBB103_1541:
	s_and_b64 vcc, exec, s[12:13]
	s_cbranch_vccz .LBB103_1548
; %bb.1542:
	s_cmp_lg_u32 s18, 11
	s_cselect_b64 s[12:13], -1, 0
	s_andn2_b64 s[0:1], s[0:1], exec
	s_and_b64 s[12:13], s[12:13], exec
	s_mov_b64 s[14:15], -1
	s_or_b64 s[0:1], s[0:1], s[12:13]
	s_branch .LBB103_1548
.LBB103_1543:
	s_or_b64 exec, exec, s[10:11]
	s_and_saveexec_b64 s[0:1], s[42:43]
	s_cbranch_execnz .LBB103_1549
.LBB103_1544:
	s_or_b64 exec, exec, s[0:1]
	s_and_saveexec_b64 s[0:1], s[18:19]
	s_xor_b64 s[0:1], exec, s[0:1]
	s_cbranch_execz .LBB103_1550
.LBB103_1545:
	v_cndmask_b32_e64 v0, 0, 1, s[6:7]
	global_store_byte v[1:2], v0, off
	s_or_b64 exec, exec, s[0:1]
	s_and_saveexec_b64 s[0:1], s[12:13]
	s_xor_b64 s[0:1], exec, s[0:1]
	s_cbranch_execz .LBB103_1588
	s_branch .LBB103_1551
.LBB103_1546:
	s_mov_b64 s[14:15], 0
	s_mov_b64 s[8:9], -1
	s_mov_b64 s[0:1], s[42:43]
	s_branch .LBB103_1548
.LBB103_1547:
	s_mov_b64 s[14:15], 0
.LBB103_1548:
	s_and_b64 s[12:13], s[8:9], exec
	s_andn2_b64 s[8:9], s[42:43], exec
	s_and_b64 s[0:1], s[0:1], exec
	s_and_b64 s[18:19], s[14:15], exec
	s_or_b64 s[42:43], s[8:9], s[0:1]
	s_or_b64 exec, exec, s[10:11]
	s_and_saveexec_b64 s[0:1], s[42:43]
	s_cbranch_execz .LBB103_1544
.LBB103_1549:
	s_or_b64 s[2:3], s[2:3], exec
	s_andn2_b64 s[18:19], s[18:19], exec
	s_trap 2
	s_or_b64 exec, exec, s[0:1]
	s_and_saveexec_b64 s[0:1], s[18:19]
	s_xor_b64 s[0:1], exec, s[0:1]
	s_cbranch_execnz .LBB103_1545
.LBB103_1550:
	s_or_b64 exec, exec, s[0:1]
	s_and_saveexec_b64 s[0:1], s[12:13]
	s_xor_b64 s[0:1], exec, s[0:1]
	s_cbranch_execz .LBB103_1588
.LBB103_1551:
	s_sext_i32_i16 s10, s20
	s_cmp_lt_i32 s10, 5
	s_mov_b64 s[8:9], -1
	s_cbranch_scc1 .LBB103_1572
; %bb.1552:
	s_cmp_lt_i32 s10, 8
	s_cbranch_scc1 .LBB103_1562
; %bb.1553:
	s_cmp_lt_i32 s10, 9
	s_cbranch_scc1 .LBB103_1559
; %bb.1554:
	s_cmp_gt_i32 s10, 9
	s_cbranch_scc0 .LBB103_1556
; %bb.1555:
	v_cndmask_b32_e64 v0, 0, 1, s[6:7]
	s_waitcnt vmcnt(0)
	v_cvt_f64_u32_e32 v[3:4], v0
	v_mov_b32_e32 v5, 0
	v_mov_b32_e32 v6, v5
	s_mov_b64 s[8:9], 0
	global_store_dwordx4 v[1:2], v[3:6], off
.LBB103_1556:
	s_andn2_b64 vcc, exec, s[8:9]
	s_cbranch_vccnz .LBB103_1558
; %bb.1557:
	s_waitcnt vmcnt(0)
	v_cndmask_b32_e64 v3, 0, 1.0, s[6:7]
	v_mov_b32_e32 v4, 0
	global_store_dwordx2 v[1:2], v[3:4], off
.LBB103_1558:
	s_mov_b64 s[8:9], 0
.LBB103_1559:
	s_andn2_b64 vcc, exec, s[8:9]
	s_cbranch_vccnz .LBB103_1561
; %bb.1560:
	v_cndmask_b32_e64 v0, 0, 1.0, s[6:7]
	v_cvt_f16_f32_e32 v0, v0
	global_store_dword v[1:2], v0, off
.LBB103_1561:
	s_mov_b64 s[8:9], 0
.LBB103_1562:
	s_andn2_b64 vcc, exec, s[8:9]
	s_cbranch_vccnz .LBB103_1571
; %bb.1563:
	s_sext_i32_i16 s10, s20
	s_cmp_lt_i32 s10, 6
	s_mov_b64 s[8:9], -1
	s_cbranch_scc1 .LBB103_1569
; %bb.1564:
	s_cmp_gt_i32 s10, 6
	s_cbranch_scc0 .LBB103_1566
; %bb.1565:
	v_cndmask_b32_e64 v0, 0, 1, s[6:7]
	s_waitcnt vmcnt(0)
	v_cvt_f64_u32_e32 v[3:4], v0
	s_mov_b64 s[8:9], 0
	global_store_dwordx2 v[1:2], v[3:4], off
.LBB103_1566:
	s_andn2_b64 vcc, exec, s[8:9]
	s_cbranch_vccnz .LBB103_1568
; %bb.1567:
	v_cndmask_b32_e64 v0, 0, 1.0, s[6:7]
	global_store_dword v[1:2], v0, off
.LBB103_1568:
	s_mov_b64 s[8:9], 0
.LBB103_1569:
	s_andn2_b64 vcc, exec, s[8:9]
	s_cbranch_vccnz .LBB103_1571
; %bb.1570:
	v_cndmask_b32_e64 v0, 0, 1.0, s[6:7]
	v_cvt_f16_f32_e32 v0, v0
	global_store_short v[1:2], v0, off
.LBB103_1571:
	s_mov_b64 s[8:9], 0
.LBB103_1572:
	s_andn2_b64 vcc, exec, s[8:9]
	s_cbranch_vccnz .LBB103_1588
; %bb.1573:
	s_sext_i32_i16 s10, s20
	s_cmp_lt_i32 s10, 2
	s_mov_b64 s[8:9], -1
	s_cbranch_scc1 .LBB103_1583
; %bb.1574:
	s_cmp_lt_i32 s10, 3
	s_cbranch_scc1 .LBB103_1580
; %bb.1575:
	s_cmp_gt_i32 s10, 3
	s_cbranch_scc0 .LBB103_1577
; %bb.1576:
	s_mov_b32 s8, 0
	s_waitcnt vmcnt(0)
	v_cndmask_b32_e64 v3, 0, 1, s[6:7]
	v_mov_b32_e32 v4, s8
	s_mov_b64 s[8:9], 0
	global_store_dwordx2 v[1:2], v[3:4], off
.LBB103_1577:
	s_andn2_b64 vcc, exec, s[8:9]
	s_cbranch_vccnz .LBB103_1579
; %bb.1578:
	v_cndmask_b32_e64 v0, 0, 1, s[6:7]
	global_store_dword v[1:2], v0, off
.LBB103_1579:
	s_mov_b64 s[8:9], 0
.LBB103_1580:
	s_andn2_b64 vcc, exec, s[8:9]
	s_cbranch_vccnz .LBB103_1582
; %bb.1581:
	v_cndmask_b32_e64 v0, 0, 1, s[6:7]
	global_store_short v[1:2], v0, off
.LBB103_1582:
	s_mov_b64 s[8:9], 0
.LBB103_1583:
	s_andn2_b64 vcc, exec, s[8:9]
	s_cbranch_vccnz .LBB103_1588
; %bb.1584:
	s_sext_i32_i16 s10, s20
	s_mov_b64 s[8:9], -1
	s_cmp_gt_i32 s10, 0
	v_cndmask_b32_e64 v0, 0, 1, s[6:7]
	s_cbranch_scc0 .LBB103_1586
; %bb.1585:
	s_mov_b64 s[8:9], 0
	global_store_byte v[1:2], v0, off
.LBB103_1586:
	s_andn2_b64 vcc, exec, s[8:9]
	s_cbranch_vccnz .LBB103_1588
; %bb.1587:
	global_store_byte v[1:2], v0, off
.LBB103_1588:
	s_or_b64 exec, exec, s[0:1]
	s_and_b64 s[6:7], s[2:3], exec
                                        ; implicit-def: $vgpr23
                                        ; implicit-def: $vgpr8
.LBB103_1589:
	s_or_saveexec_b64 s[12:13], s[30:31]
	s_mov_b64 s[0:1], 0
                                        ; implicit-def: $sgpr2_sgpr3
                                        ; implicit-def: $vgpr0_vgpr1
                                        ; implicit-def: $sgpr22
	s_xor_b64 exec, exec, s[12:13]
	s_cbranch_execz .LBB103_3103
; %bb.1590:
	v_cndmask_b32_e64 v0, 0, 1, s[28:29]
	v_cmp_ne_u32_e64 s[0:1], 1, v0
	s_andn2_b64 vcc, exec, s[28:29]
	s_cbranch_vccnz .LBB103_1596
; %bb.1591:
	s_cmp_lg_u32 s33, 0
	s_cbranch_scc0 .LBB103_1597
; %bb.1592:
	s_min_u32 s8, s72, 15
	s_add_i32 s2, s8, 1
	s_and_b32 s9, s2, 30
	s_add_u32 s2, s24, 0xffffffe8
	s_addc_u32 s3, s25, -1
	v_mov_b32_e32 v19, 0
	v_mov_b32_e32 v21, 0
	s_waitcnt vmcnt(0)
	v_mov_b32_e32 v6, 0
	v_mov_b32_e32 v0, v8
.LBB103_1593:                           ; =>This Inner Loop Header: Depth=1
	s_load_dwordx4 s[16:19], s[2:3], 0x1c
	s_load_dwordx2 s[10:11], s[2:3], 0x2c
	s_load_dwordx2 s[14:15], s[2:3], 0xec
	s_load_dwordx4 s[20:23], s[2:3], 0xdc
	s_add_u32 s2, s2, 24
	s_waitcnt lgkmcnt(0)
	v_mul_hi_u32 v1, s17, v0
	s_addc_u32 s3, s3, 0
	s_add_i32 s9, s9, -2
	s_cmp_lg_u32 s9, 0
	v_add_u32_e32 v1, v0, v1
	v_lshrrev_b32_e32 v1, s18, v1
	v_mul_lo_u32 v2, v1, s16
	v_mul_hi_u32 v3, s10, v1
	v_sub_u32_e32 v2, v0, v2
	v_add_u32_e32 v0, v1, v3
	v_lshrrev_b32_e32 v0, s11, v0
	v_mul_lo_u32 v5, v0, s19
	v_mul_lo_u32 v3, v2, s20
	;; [unrolled: 1-line block ×4, first 2 shown]
	v_sub_u32_e32 v1, v1, v5
	v_mul_lo_u32 v5, v1, s23
	v_mul_lo_u32 v7, v1, s14
	;; [unrolled: 1-line block ×3, first 2 shown]
	v_add3_u32 v6, v3, v6, v5
	v_add3_u32 v21, v4, v21, v7
	;; [unrolled: 1-line block ×3, first 2 shown]
	s_cbranch_scc1 .LBB103_1593
; %bb.1594:
	s_bitcmp1_b32 s8, 0
	s_cselect_b64 s[8:9], -1, 0
	s_and_b64 vcc, exec, s[8:9]
	s_cbranch_vccnz .LBB103_1598
; %bb.1595:
	s_load_dwordx2 s[8:9], s[2:3], 0x1c
	s_load_dword s14, s[2:3], 0x24
	s_load_dwordx2 s[10:11], s[2:3], 0xdc
	s_waitcnt lgkmcnt(0)
	v_mul_hi_u32 v1, s9, v0
	v_add_u32_e32 v1, v0, v1
	v_lshrrev_b32_e32 v1, s14, v1
	v_mul_lo_u32 v1, v1, s8
	s_load_dword s8, s[2:3], 0xe4
	v_sub_u32_e32 v0, v0, v1
	v_mad_u64_u32 v[6:7], s[2:3], v0, s10, v[6:7]
	v_mad_u64_u32 v[21:22], s[2:3], v0, s11, v[21:22]
	s_waitcnt lgkmcnt(0)
	v_mad_u64_u32 v[19:20], s[2:3], v0, s8, v[19:20]
	s_cbranch_execz .LBB103_1599
	s_branch .LBB103_1601
.LBB103_1596:
                                        ; implicit-def: $vgpr6
                                        ; implicit-def: $vgpr21
                                        ; implicit-def: $vgpr19
	s_branch .LBB103_1599
.LBB103_1597:
	s_waitcnt vmcnt(0)
	v_mov_b32_e32 v6, 0
	v_mov_b32_e32 v21, 0
	;; [unrolled: 1-line block ×3, first 2 shown]
.LBB103_1598:
	s_cbranch_execnz .LBB103_1601
.LBB103_1599:
	s_load_dwordx4 s[8:11], s[24:25], 0x4
	s_load_dwordx4 s[16:19], s[24:25], 0xc4
	s_cmp_lt_u32 s33, 2
	s_waitcnt lgkmcnt(0)
	v_mul_hi_u32 v0, s9, v8
	v_add_u32_e32 v0, v8, v0
	v_lshrrev_b32_e32 v0, s10, v0
	v_mul_lo_u32 v1, v0, s8
	v_sub_u32_e32 v1, v8, v1
	s_waitcnt vmcnt(0)
	v_mul_lo_u32 v6, v1, s16
	v_mul_lo_u32 v21, v1, s17
	;; [unrolled: 1-line block ×3, first 2 shown]
	s_cbranch_scc1 .LBB103_1601
; %bb.1600:
	s_load_dwordx4 s[8:11], s[24:25], 0x10
	s_load_dwordx4 s[16:19], s[24:25], 0xd0
	s_waitcnt lgkmcnt(0)
	v_mul_hi_u32 v1, s9, v0
	v_add_u32_e32 v1, v0, v1
	v_lshrrev_b32_e32 v1, s10, v1
	v_mul_lo_u32 v1, v1, s8
	v_sub_u32_e32 v0, v0, v1
	v_mad_u64_u32 v[6:7], s[2:3], v0, s16, v[6:7]
	v_mad_u64_u32 v[21:22], s[2:3], v0, s17, v[21:22]
	;; [unrolled: 1-line block ×3, first 2 shown]
.LBB103_1601:
	s_and_b64 vcc, exec, s[0:1]
	v_add_u32_e32 v0, 0x80, v8
	s_cbranch_vccnz .LBB103_1607
; %bb.1602:
	s_cmp_lg_u32 s33, 0
	s_cbranch_scc0 .LBB103_1608
; %bb.1603:
	s_min_u32 s8, s72, 15
	s_add_i32 s2, s8, 1
	s_and_b32 s9, s2, 30
	s_add_u32 s2, s24, 0xffffffe8
	s_addc_u32 s3, s25, -1
	v_mov_b32_e32 v15, 0
	v_mov_b32_e32 v17, 0
	v_mov_b32_e32 v4, 0
	v_mov_b32_e32 v1, v0
.LBB103_1604:                           ; =>This Inner Loop Header: Depth=1
	s_load_dwordx4 s[16:19], s[2:3], 0x1c
	s_load_dwordx2 s[10:11], s[2:3], 0x2c
	s_load_dwordx2 s[14:15], s[2:3], 0xec
	s_load_dwordx4 s[20:23], s[2:3], 0xdc
	s_add_u32 s2, s2, 24
	s_waitcnt lgkmcnt(0)
	v_mul_hi_u32 v2, s17, v1
	s_addc_u32 s3, s3, 0
	s_add_i32 s9, s9, -2
	s_cmp_lg_u32 s9, 0
	v_add_u32_e32 v2, v1, v2
	v_lshrrev_b32_e32 v2, s18, v2
	s_waitcnt vmcnt(0)
	v_mul_lo_u32 v3, v2, s16
	v_mul_hi_u32 v5, s10, v2
	v_sub_u32_e32 v3, v1, v3
	v_add_u32_e32 v1, v2, v5
	v_lshrrev_b32_e32 v1, s11, v1
	v_mul_lo_u32 v9, v1, s19
	v_mul_lo_u32 v5, v3, s20
	;; [unrolled: 1-line block ×4, first 2 shown]
	v_sub_u32_e32 v2, v2, v9
	v_mul_lo_u32 v9, v2, s23
	v_mul_lo_u32 v10, v2, s14
	;; [unrolled: 1-line block ×3, first 2 shown]
	v_add3_u32 v4, v5, v4, v9
	v_add3_u32 v17, v7, v17, v10
	;; [unrolled: 1-line block ×3, first 2 shown]
	s_cbranch_scc1 .LBB103_1604
; %bb.1605:
	s_bitcmp1_b32 s8, 0
	s_cselect_b64 s[8:9], -1, 0
	s_and_b64 vcc, exec, s[8:9]
	s_cbranch_vccnz .LBB103_1609
; %bb.1606:
	s_load_dwordx2 s[8:9], s[2:3], 0x1c
	s_load_dword s14, s[2:3], 0x24
	s_load_dwordx2 s[10:11], s[2:3], 0xdc
	s_waitcnt lgkmcnt(0)
	v_mul_hi_u32 v2, s9, v1
	v_add_u32_e32 v2, v1, v2
	v_lshrrev_b32_e32 v2, s14, v2
	v_mul_lo_u32 v2, v2, s8
	s_load_dword s8, s[2:3], 0xe4
	v_sub_u32_e32 v1, v1, v2
	v_mad_u64_u32 v[4:5], s[2:3], v1, s10, v[4:5]
	v_mad_u64_u32 v[17:18], s[2:3], v1, s11, v[17:18]
	s_waitcnt lgkmcnt(0)
	v_mad_u64_u32 v[15:16], s[2:3], v1, s8, v[15:16]
	s_cbranch_execz .LBB103_1610
	s_branch .LBB103_1612
.LBB103_1607:
                                        ; implicit-def: $vgpr4
                                        ; implicit-def: $vgpr17
                                        ; implicit-def: $vgpr15
	s_branch .LBB103_1610
.LBB103_1608:
	v_mov_b32_e32 v4, 0
	v_mov_b32_e32 v17, 0
	;; [unrolled: 1-line block ×3, first 2 shown]
.LBB103_1609:
	s_cbranch_execnz .LBB103_1612
.LBB103_1610:
	s_load_dwordx4 s[8:11], s[24:25], 0x4
	s_load_dwordx4 s[16:19], s[24:25], 0xc4
	s_cmp_lt_u32 s33, 2
	s_waitcnt lgkmcnt(0)
	v_mul_hi_u32 v1, s9, v0
	v_add_u32_e32 v1, v0, v1
	v_lshrrev_b32_e32 v1, s10, v1
	v_mul_lo_u32 v2, v1, s8
	v_sub_u32_e32 v0, v0, v2
	v_mul_lo_u32 v4, v0, s16
	v_mul_lo_u32 v17, v0, s17
	;; [unrolled: 1-line block ×3, first 2 shown]
	s_cbranch_scc1 .LBB103_1612
; %bb.1611:
	s_load_dwordx4 s[8:11], s[24:25], 0x10
	s_load_dwordx4 s[16:19], s[24:25], 0xd0
	s_waitcnt lgkmcnt(0)
	v_mul_hi_u32 v0, s9, v1
	v_add_u32_e32 v0, v1, v0
	v_lshrrev_b32_e32 v0, s10, v0
	v_mul_lo_u32 v0, v0, s8
	v_sub_u32_e32 v0, v1, v0
	s_waitcnt vmcnt(0)
	v_mad_u64_u32 v[4:5], s[2:3], v0, s16, v[4:5]
	v_mad_u64_u32 v[17:18], s[2:3], v0, s17, v[17:18]
	;; [unrolled: 1-line block ×3, first 2 shown]
.LBB103_1612:
	s_and_b64 vcc, exec, s[0:1]
	v_add_u32_e32 v0, 0x100, v8
	s_cbranch_vccnz .LBB103_1618
; %bb.1613:
	s_cmp_lg_u32 s33, 0
	s_cbranch_scc0 .LBB103_1619
; %bb.1614:
	s_min_u32 s8, s72, 15
	s_add_i32 s2, s8, 1
	s_and_b32 s9, s2, 30
	s_add_u32 s2, s24, 0xffffffe8
	s_addc_u32 s3, s25, -1
	v_mov_b32_e32 v11, 0
	v_mov_b32_e32 v13, 0
	;; [unrolled: 1-line block ×4, first 2 shown]
.LBB103_1615:                           ; =>This Inner Loop Header: Depth=1
	s_load_dwordx4 s[16:19], s[2:3], 0x1c
	s_load_dwordx2 s[10:11], s[2:3], 0x2c
	s_load_dwordx2 s[14:15], s[2:3], 0xec
	s_load_dwordx4 s[20:23], s[2:3], 0xdc
	s_add_u32 s2, s2, 24
	s_waitcnt vmcnt(0) lgkmcnt(0)
	v_mul_hi_u32 v3, s17, v1
	s_addc_u32 s3, s3, 0
	s_add_i32 s9, s9, -2
	s_cmp_lg_u32 s9, 0
	v_add_u32_e32 v3, v1, v3
	v_lshrrev_b32_e32 v3, s18, v3
	v_mul_lo_u32 v5, v3, s16
	v_mul_hi_u32 v7, s10, v3
	v_sub_u32_e32 v5, v1, v5
	v_add_u32_e32 v1, v3, v7
	v_lshrrev_b32_e32 v1, s11, v1
	v_mul_lo_u32 v9, v1, s19
	v_mul_lo_u32 v7, v5, s20
	;; [unrolled: 1-line block ×4, first 2 shown]
	v_sub_u32_e32 v3, v3, v9
	v_mul_lo_u32 v9, v3, s23
	v_mul_lo_u32 v10, v3, s14
	v_mul_lo_u32 v3, v3, s15
	v_add3_u32 v2, v7, v2, v9
	v_add3_u32 v13, v8, v13, v10
	;; [unrolled: 1-line block ×3, first 2 shown]
	s_cbranch_scc1 .LBB103_1615
; %bb.1616:
	s_bitcmp1_b32 s8, 0
	s_cselect_b64 s[8:9], -1, 0
	s_and_b64 vcc, exec, s[8:9]
	s_cbranch_vccnz .LBB103_1620
; %bb.1617:
	s_load_dwordx2 s[8:9], s[2:3], 0x1c
	s_load_dword s14, s[2:3], 0x24
	s_load_dwordx2 s[10:11], s[2:3], 0xdc
	s_waitcnt lgkmcnt(0)
	v_mul_hi_u32 v3, s9, v1
	v_add_u32_e32 v3, v1, v3
	v_lshrrev_b32_e32 v3, s14, v3
	v_mul_lo_u32 v3, v3, s8
	s_load_dword s8, s[2:3], 0xe4
	v_sub_u32_e32 v1, v1, v3
	v_mad_u64_u32 v[2:3], s[2:3], v1, s10, v[2:3]
	v_mad_u64_u32 v[13:14], s[2:3], v1, s11, v[13:14]
	s_waitcnt lgkmcnt(0)
	v_mad_u64_u32 v[11:12], s[2:3], v1, s8, v[11:12]
	s_cbranch_execz .LBB103_1621
	s_branch .LBB103_1623
.LBB103_1618:
                                        ; implicit-def: $vgpr2
                                        ; implicit-def: $vgpr13
                                        ; implicit-def: $vgpr11
	s_branch .LBB103_1621
.LBB103_1619:
	v_mov_b32_e32 v2, 0
	v_mov_b32_e32 v13, 0
	;; [unrolled: 1-line block ×3, first 2 shown]
.LBB103_1620:
	s_cbranch_execnz .LBB103_1623
.LBB103_1621:
	s_load_dwordx4 s[8:11], s[24:25], 0x4
	s_load_dwordx4 s[16:19], s[24:25], 0xc4
	s_cmp_lt_u32 s33, 2
	s_waitcnt lgkmcnt(0)
	v_mul_hi_u32 v1, s9, v0
	v_add_u32_e32 v1, v0, v1
	v_lshrrev_b32_e32 v1, s10, v1
	v_mul_lo_u32 v2, v1, s8
	v_sub_u32_e32 v0, v0, v2
	v_mul_lo_u32 v2, v0, s16
	v_mul_lo_u32 v13, v0, s17
	v_mul_lo_u32 v11, v0, s18
	s_cbranch_scc1 .LBB103_1623
; %bb.1622:
	s_load_dwordx4 s[8:11], s[24:25], 0x10
	s_load_dwordx4 s[16:19], s[24:25], 0xd0
	s_waitcnt lgkmcnt(0)
	v_mul_hi_u32 v0, s9, v1
	v_add_u32_e32 v0, v1, v0
	v_lshrrev_b32_e32 v0, s10, v0
	v_mul_lo_u32 v0, v0, s8
	v_sub_u32_e32 v0, v1, v0
	s_waitcnt vmcnt(0)
	v_mad_u64_u32 v[2:3], s[2:3], v0, s16, v[2:3]
	v_mad_u64_u32 v[13:14], s[2:3], v0, s17, v[13:14]
	;; [unrolled: 1-line block ×3, first 2 shown]
.LBB103_1623:
	s_and_b64 vcc, exec, s[0:1]
	s_cbranch_vccnz .LBB103_1629
; %bb.1624:
	s_cmp_lg_u32 s33, 0
	s_cbranch_scc0 .LBB103_1630
; %bb.1625:
	s_min_u32 s2, s72, 15
	s_add_i32 s0, s2, 1
	s_and_b32 s3, s0, 30
	s_add_u32 s0, s24, 0xffffffe8
	s_addc_u32 s1, s25, -1
	v_mov_b32_e32 v7, 0
	v_mov_b32_e32 v9, 0
	;; [unrolled: 1-line block ×4, first 2 shown]
.LBB103_1626:                           ; =>This Inner Loop Header: Depth=1
	s_load_dwordx4 s[8:11], s[0:1], 0x1c
	s_load_dwordx2 s[14:15], s[0:1], 0x2c
	s_load_dwordx2 s[20:21], s[0:1], 0xec
	s_load_dwordx4 s[16:19], s[0:1], 0xdc
	s_add_u32 s0, s0, 24
	s_waitcnt vmcnt(0) lgkmcnt(0)
	v_mul_hi_u32 v3, s9, v1
	s_addc_u32 s1, s1, 0
	s_add_i32 s3, s3, -2
	s_cmp_lg_u32 s3, 0
	v_add_u32_e32 v3, v1, v3
	v_lshrrev_b32_e32 v3, s10, v3
	v_mul_lo_u32 v5, v3, s8
	v_mul_hi_u32 v8, s14, v3
	v_sub_u32_e32 v5, v1, v5
	v_add_u32_e32 v1, v3, v8
	v_lshrrev_b32_e32 v1, s15, v1
	v_mul_lo_u32 v12, v1, s11
	v_mul_lo_u32 v8, v5, s16
	;; [unrolled: 1-line block ×4, first 2 shown]
	v_sub_u32_e32 v3, v3, v12
	v_mul_lo_u32 v12, v3, s19
	v_mul_lo_u32 v14, v3, s20
	;; [unrolled: 1-line block ×3, first 2 shown]
	v_add3_u32 v0, v8, v0, v12
	v_add3_u32 v9, v10, v9, v14
	;; [unrolled: 1-line block ×3, first 2 shown]
	s_cbranch_scc1 .LBB103_1626
; %bb.1627:
	s_bitcmp1_b32 s2, 0
	s_cselect_b64 s[2:3], -1, 0
	s_and_b64 vcc, exec, s[2:3]
	s_cbranch_vccnz .LBB103_1631
; %bb.1628:
	s_load_dwordx2 s[2:3], s[0:1], 0x1c
	s_load_dword s10, s[0:1], 0x24
	s_load_dwordx2 s[8:9], s[0:1], 0xdc
	s_waitcnt lgkmcnt(0)
	v_mul_hi_u32 v3, s3, v1
	v_add_u32_e32 v3, v1, v3
	v_lshrrev_b32_e32 v3, s10, v3
	v_mul_lo_u32 v3, v3, s2
	s_load_dword s2, s[0:1], 0xe4
	v_sub_u32_e32 v3, v1, v3
	v_mad_u64_u32 v[0:1], s[0:1], v3, s8, v[0:1]
	v_mad_u64_u32 v[9:10], s[0:1], v3, s9, v[9:10]
	s_waitcnt lgkmcnt(0)
	v_mad_u64_u32 v[7:8], s[0:1], v3, s2, v[7:8]
	s_cbranch_execz .LBB103_1632
	s_branch .LBB103_1634
.LBB103_1629:
                                        ; implicit-def: $vgpr0
                                        ; implicit-def: $vgpr9
                                        ; implicit-def: $vgpr7
	s_branch .LBB103_1632
.LBB103_1630:
	v_mov_b32_e32 v0, 0
	v_mov_b32_e32 v9, 0
	;; [unrolled: 1-line block ×3, first 2 shown]
.LBB103_1631:
	s_cbranch_execnz .LBB103_1634
.LBB103_1632:
	s_load_dwordx4 s[0:3], s[24:25], 0x4
	s_load_dwordx4 s[8:11], s[24:25], 0xc4
	s_cmp_lt_u32 s33, 2
	s_waitcnt lgkmcnt(0)
	v_mul_hi_u32 v0, s1, v23
	v_add_u32_e32 v0, v23, v0
	v_lshrrev_b32_e32 v1, s2, v0
	v_mul_lo_u32 v0, v1, s0
	s_waitcnt vmcnt(0)
	v_sub_u32_e32 v3, v23, v0
	v_mul_lo_u32 v0, v3, s8
	v_mul_lo_u32 v9, v3, s9
	;; [unrolled: 1-line block ×3, first 2 shown]
	s_cbranch_scc1 .LBB103_1634
; %bb.1633:
	s_load_dwordx4 s[0:3], s[24:25], 0x10
	s_load_dwordx4 s[8:11], s[24:25], 0xd0
	s_waitcnt lgkmcnt(0)
	v_mul_hi_u32 v3, s1, v1
	v_add_u32_e32 v3, v1, v3
	v_lshrrev_b32_e32 v3, s2, v3
	v_mul_lo_u32 v3, v3, s0
	v_sub_u32_e32 v3, v1, v3
	v_mad_u64_u32 v[0:1], s[0:1], v3, s8, v[0:1]
	v_mad_u64_u32 v[9:10], s[0:1], v3, s9, v[9:10]
	;; [unrolled: 1-line block ×3, first 2 shown]
.LBB103_1634:
	s_load_dwordx4 s[8:11], s[24:25], 0x188
	s_load_dword s23, s[4:5], 0x1ac
	s_waitcnt lgkmcnt(0)
	v_mov_b32_e32 v1, s11
	s_bfe_u32 s18, s23, 0x80008
	v_add_co_u32_e32 v20, vcc, s10, v21
	s_cmp_lt_i32 s18, 11
	v_addc_co_u32_e32 v21, vcc, 0, v1, vcc
	s_cbranch_scc1 .LBB103_1641
; %bb.1635:
	s_and_b32 s19, 0xffff, s18
	s_cmp_gt_i32 s19, 25
	s_mov_b64 s[2:3], 0
	s_cbranch_scc0 .LBB103_1643
; %bb.1636:
	s_cmp_gt_i32 s19, 28
	s_cbranch_scc0 .LBB103_1644
; %bb.1637:
	s_cmp_gt_i32 s19, 43
	;; [unrolled: 3-line block ×3, first 2 shown]
	s_cbranch_scc0 .LBB103_1646
; %bb.1639:
	s_cmp_eq_u32 s19, 46
	s_mov_b64 s[14:15], 0
	s_cbranch_scc0 .LBB103_1649
; %bb.1640:
	global_load_dword v1, v[20:21], off
	s_mov_b64 s[0:1], 0
	s_mov_b64 s[4:5], -1
	s_waitcnt vmcnt(0)
	v_lshlrev_b32_e32 v1, 16, v1
	s_branch .LBB103_1650
.LBB103_1641:
	s_mov_b64 s[4:5], 0
                                        ; implicit-def: $vgpr1
	s_mov_b64 s[14:15], s[6:7]
	s_cbranch_execnz .LBB103_1713
.LBB103_1642:
	s_andn2_b64 vcc, exec, s[4:5]
	s_cbranch_vccz .LBB103_1758
	s_branch .LBB103_3101
.LBB103_1643:
	s_mov_b64 s[4:5], 0
	s_mov_b64 s[0:1], 0
                                        ; implicit-def: $vgpr1
	s_cbranch_execnz .LBB103_1678
	s_branch .LBB103_1709
.LBB103_1644:
	s_mov_b64 s[14:15], -1
	s_mov_b64 s[4:5], 0
	s_mov_b64 s[0:1], 0
                                        ; implicit-def: $vgpr1
	s_branch .LBB103_1659
.LBB103_1645:
	s_mov_b64 s[4:5], 0
	s_mov_b64 s[0:1], 0
                                        ; implicit-def: $vgpr1
	s_cbranch_execnz .LBB103_1655
	s_branch .LBB103_1658
.LBB103_1646:
	s_mov_b64 s[14:15], -1
	s_mov_b64 s[4:5], 0
	s_mov_b64 s[0:1], 0
                                        ; implicit-def: $vgpr1
	s_branch .LBB103_1650
.LBB103_1647:
	s_andn2_saveexec_b64 s[14:15], s[14:15]
	s_cbranch_execz .LBB103_1498
.LBB103_1648:
	v_add_f32_e32 v0, 0x46000000, v3
	v_and_b32_e32 v0, 0xff, v0
	v_cmp_ne_u32_e32 vcc, 0, v0
	s_andn2_b64 s[12:13], s[12:13], exec
	s_and_b64 s[16:17], vcc, exec
	s_or_b64 s[12:13], s[12:13], s[16:17]
	s_or_b64 exec, exec, s[14:15]
	v_mov_b32_e32 v4, 0
	s_and_saveexec_b64 s[14:15], s[12:13]
	s_cbranch_execnz .LBB103_1499
	s_branch .LBB103_1500
.LBB103_1649:
	s_mov_b64 s[0:1], -1
                                        ; implicit-def: $vgpr1
	s_mov_b64 s[4:5], 0
.LBB103_1650:
	s_and_b64 vcc, exec, s[14:15]
	s_cbranch_vccz .LBB103_1653
; %bb.1651:
	s_cmp_eq_u32 s19, 44
	s_cbranch_scc0 .LBB103_1654
; %bb.1652:
	global_load_ubyte v1, v[20:21], off
	s_movk_i32 s4, 0xff
	s_waitcnt vmcnt(1)
	v_mov_b32_e32 v3, 0x7f800001
	v_mov_b32_e32 v5, 0x400000
	s_mov_b64 s[0:1], 0
	s_waitcnt vmcnt(0)
	v_lshlrev_b32_e32 v8, 23, v1
	v_cmp_ne_u32_e32 vcc, s4, v1
	v_cndmask_b32_e32 v3, v3, v8, vcc
	v_cmp_ne_u32_e32 vcc, 0, v1
	v_cndmask_b32_e32 v1, v5, v3, vcc
	s_mov_b64 s[4:5], -1
.LBB103_1653:
	s_branch .LBB103_1658
.LBB103_1654:
	s_mov_b64 s[0:1], -1
                                        ; implicit-def: $vgpr1
	s_branch .LBB103_1658
.LBB103_1655:
	s_cmp_eq_u32 s19, 29
	s_cbranch_scc0 .LBB103_1657
; %bb.1656:
	global_load_dwordx2 v[22:23], v[20:21], off
	s_mov_b64 s[0:1], 0
	s_mov_b64 s[4:5], -1
	s_mov_b64 s[14:15], 0
	s_waitcnt vmcnt(0)
	v_ffbh_u32_e32 v1, v23
	v_min_u32_e32 v1, 32, v1
	v_lshlrev_b64 v[22:23], v1, v[22:23]
	v_sub_u32_e32 v1, 32, v1
	v_min_u32_e32 v3, 1, v22
	v_or_b32_e32 v3, v23, v3
	v_cvt_f32_u32_e32 v3, v3
	v_ldexp_f32 v1, v3, v1
	s_branch .LBB103_1659
.LBB103_1657:
	s_mov_b64 s[0:1], -1
                                        ; implicit-def: $vgpr1
.LBB103_1658:
	s_mov_b64 s[14:15], 0
.LBB103_1659:
	s_and_b64 vcc, exec, s[14:15]
	s_cbranch_vccz .LBB103_1677
; %bb.1660:
	s_cmp_lt_i32 s19, 27
	s_cbranch_scc1 .LBB103_1663
; %bb.1661:
	s_cmp_gt_i32 s19, 27
	s_cbranch_scc0 .LBB103_1664
; %bb.1662:
	global_load_dword v1, v[20:21], off
	s_mov_b64 s[4:5], 0
	s_waitcnt vmcnt(0)
	v_cvt_f32_u32_e32 v1, v1
	s_branch .LBB103_1665
.LBB103_1663:
	s_mov_b64 s[4:5], -1
                                        ; implicit-def: $vgpr1
	s_branch .LBB103_1668
.LBB103_1664:
	s_mov_b64 s[4:5], -1
                                        ; implicit-def: $vgpr1
.LBB103_1665:
	s_andn2_b64 vcc, exec, s[4:5]
	s_cbranch_vccnz .LBB103_1667
; %bb.1666:
	global_load_ushort v1, v[20:21], off
	s_waitcnt vmcnt(0)
	v_cvt_f32_u32_e32 v1, v1
.LBB103_1667:
	s_mov_b64 s[4:5], 0
.LBB103_1668:
	s_andn2_b64 vcc, exec, s[4:5]
	s_cbranch_vccnz .LBB103_1676
; %bb.1669:
	global_load_ubyte v3, v[20:21], off
	s_movk_i32 s4, 0x7f
	s_waitcnt vmcnt(0)
	v_cmp_lt_i16_e32 vcc, s4, v3
	s_mov_b64 s[4:5], 0
	s_and_saveexec_b64 s[14:15], vcc
	s_xor_b64 s[14:15], exec, s[14:15]
	s_cbranch_execz .LBB103_1689
; %bb.1670:
	s_movk_i32 s4, 0x80
	v_cmp_eq_u16_e32 vcc, s4, v3
	s_mov_b64 s[4:5], -1
	s_and_saveexec_b64 s[16:17], vcc
; %bb.1671:
	s_xor_b64 s[4:5], exec, -1
; %bb.1672:
	s_or_b64 exec, exec, s[16:17]
	s_and_b64 s[4:5], s[4:5], exec
	s_or_saveexec_b64 s[14:15], s[14:15]
	v_mov_b32_e32 v1, 0x7f800001
	s_xor_b64 exec, exec, s[14:15]
	s_cbranch_execnz .LBB103_1690
.LBB103_1673:
	s_or_b64 exec, exec, s[14:15]
	s_and_saveexec_b64 s[14:15], s[4:5]
	s_cbranch_execz .LBB103_1675
.LBB103_1674:
	v_lshlrev_b32_e32 v1, 24, v3
	v_and_b32_e32 v3, 0xffff, v3
	v_and_b32_e32 v5, 7, v3
	v_ffbh_u32_e32 v10, v5
	v_min_u32_e32 v10, 32, v10
	v_subrev_u32_e32 v12, 28, v10
	v_bfe_u32 v8, v3, 3, 4
	v_lshlrev_b32_e32 v3, v12, v3
	v_sub_u32_e32 v10, 29, v10
	v_and_b32_e32 v3, 7, v3
	v_cmp_eq_u32_e32 vcc, 0, v8
	v_cndmask_b32_e32 v8, v8, v10, vcc
	v_cndmask_b32_e32 v3, v5, v3, vcc
	v_mov_b32_e32 v5, 0x3b800000
	v_lshlrev_b32_e32 v3, 20, v3
	v_and_b32_e32 v1, 0x80000000, v1
	v_lshl_add_u32 v5, v8, 23, v5
	v_or3_b32 v1, v1, v5, v3
.LBB103_1675:
	s_or_b64 exec, exec, s[14:15]
.LBB103_1676:
	s_mov_b64 s[4:5], -1
.LBB103_1677:
	s_branch .LBB103_1709
.LBB103_1678:
	s_cmp_gt_i32 s19, 22
	s_cbranch_scc0 .LBB103_1688
; %bb.1679:
	s_cmp_lt_i32 s19, 24
	s_cbranch_scc1 .LBB103_1691
; %bb.1680:
	s_cmp_gt_i32 s19, 24
	s_cbranch_scc0 .LBB103_1692
; %bb.1681:
	global_load_ubyte v3, v[20:21], off
	s_movk_i32 s2, 0x7f
	s_waitcnt vmcnt(0)
	v_cmp_lt_i16_e32 vcc, s2, v3
	s_mov_b64 s[2:3], 0
	s_and_saveexec_b64 s[4:5], vcc
	s_xor_b64 s[4:5], exec, s[4:5]
	s_cbranch_execz .LBB103_1703
; %bb.1682:
	s_movk_i32 s2, 0x80
	v_cmp_eq_u16_e32 vcc, s2, v3
	s_mov_b64 s[2:3], -1
	s_and_saveexec_b64 s[14:15], vcc
; %bb.1683:
	s_xor_b64 s[2:3], exec, -1
; %bb.1684:
	s_or_b64 exec, exec, s[14:15]
	s_and_b64 s[2:3], s[2:3], exec
	s_or_saveexec_b64 s[4:5], s[4:5]
	v_mov_b32_e32 v1, 0x7f800001
	s_xor_b64 exec, exec, s[4:5]
	s_cbranch_execnz .LBB103_1704
.LBB103_1685:
	s_or_b64 exec, exec, s[4:5]
	s_and_saveexec_b64 s[4:5], s[2:3]
	s_cbranch_execz .LBB103_1687
.LBB103_1686:
	v_lshlrev_b32_e32 v1, 24, v3
	v_and_b32_e32 v3, 0xffff, v3
	v_and_b32_e32 v5, 3, v3
	v_ffbh_u32_e32 v10, v5
	v_min_u32_e32 v10, 32, v10
	v_subrev_u32_e32 v12, 29, v10
	v_bfe_u32 v8, v3, 2, 5
	v_lshlrev_b32_e32 v3, v12, v3
	v_sub_u32_e32 v10, 30, v10
	v_and_b32_e32 v3, 3, v3
	v_cmp_eq_u32_e32 vcc, 0, v8
	v_cndmask_b32_e32 v8, v8, v10, vcc
	v_cndmask_b32_e32 v3, v5, v3, vcc
	v_mov_b32_e32 v5, 0x37800000
	v_lshlrev_b32_e32 v3, 21, v3
	v_and_b32_e32 v1, 0x80000000, v1
	v_lshl_add_u32 v5, v8, 23, v5
	v_or3_b32 v1, v1, v5, v3
.LBB103_1687:
	s_or_b64 exec, exec, s[4:5]
	s_mov_b64 s[2:3], 0
	s_branch .LBB103_1693
.LBB103_1688:
                                        ; implicit-def: $vgpr1
	s_mov_b64 s[2:3], 0
	s_branch .LBB103_1699
.LBB103_1689:
	s_or_saveexec_b64 s[14:15], s[14:15]
	v_mov_b32_e32 v1, 0x7f800001
	s_xor_b64 exec, exec, s[14:15]
	s_cbranch_execz .LBB103_1673
.LBB103_1690:
	v_cmp_ne_u16_e32 vcc, 0, v3
	s_andn2_b64 s[4:5], s[4:5], exec
	s_and_b64 s[16:17], vcc, exec
	v_mov_b32_e32 v1, 0
	s_or_b64 s[4:5], s[4:5], s[16:17]
	s_or_b64 exec, exec, s[14:15]
	s_and_saveexec_b64 s[14:15], s[4:5]
	s_cbranch_execnz .LBB103_1674
	s_branch .LBB103_1675
.LBB103_1691:
	s_mov_b64 s[2:3], -1
                                        ; implicit-def: $vgpr1
	s_branch .LBB103_1696
.LBB103_1692:
	s_mov_b64 s[2:3], -1
                                        ; implicit-def: $vgpr1
.LBB103_1693:
	s_and_b64 vcc, exec, s[2:3]
	s_cbranch_vccz .LBB103_1695
; %bb.1694:
	global_load_ubyte v1, v[20:21], off
	s_mov_b32 s2, 0x7f800000
	s_waitcnt vmcnt(0)
	v_lshlrev_b32_e32 v1, 24, v1
	v_and_b32_e32 v3, 0x7f000000, v1
	v_ffbh_u32_e32 v5, v3
	v_min_u32_e32 v5, 32, v5
	v_sub_u32_e64 v5, v5, 4 clamp
	v_lshlrev_b32_e32 v10, v5, v3
	v_lshlrev_b32_e32 v5, 23, v5
	v_lshrrev_b32_e32 v10, 4, v10
	v_add_u32_e32 v8, 0x1000000, v3
	v_sub_u32_e32 v5, v10, v5
	v_ashrrev_i32_e32 v8, 8, v8
	v_add_u32_e32 v5, 0x3c000000, v5
	v_and_or_b32 v5, v8, s2, v5
	v_cmp_ne_u32_e32 vcc, 0, v3
	v_cndmask_b32_e32 v3, 0, v5, vcc
	s_brev_b32 s2, 1
	v_and_or_b32 v1, v1, s2, v3
.LBB103_1695:
	s_mov_b64 s[2:3], 0
.LBB103_1696:
	s_andn2_b64 vcc, exec, s[2:3]
	s_cbranch_vccnz .LBB103_1698
; %bb.1697:
	global_load_ubyte v1, v[20:21], off
	s_movk_i32 s2, 0x7f00
	s_brev_b32 s3, 16
	s_waitcnt vmcnt(0)
	v_lshlrev_b16_e32 v3, 8, v1
	v_lshlrev_b32_e32 v1, 25, v1
	v_lshrrev_b32_e32 v5, 4, v1
	v_and_or_b32 v8, v3, s2, 0.5
	v_or_b32_e32 v5, 0x70000000, v5
	v_add_f32_e32 v8, -0.5, v8
	v_mul_f32_e32 v5, 0x7800000, v5
	v_cmp_gt_u32_e32 vcc, s3, v1
	v_bfe_i32 v3, v3, 0, 16
	v_cndmask_b32_e32 v1, v5, v8, vcc
	s_brev_b32 s2, 1
	v_and_or_b32 v1, v3, s2, v1
.LBB103_1698:
	s_mov_b64 s[4:5], -1
	s_mov_b64 s[2:3], 0
	s_cbranch_execnz .LBB103_1709
.LBB103_1699:
	s_cmp_gt_i32 s19, 14
	s_cbranch_scc0 .LBB103_1702
; %bb.1700:
	s_cmp_eq_u32 s19, 15
	s_cbranch_scc0 .LBB103_1705
; %bb.1701:
	global_load_ushort v1, v[20:21], off
	s_mov_b64 s[0:1], 0
	s_mov_b64 s[4:5], -1
	s_waitcnt vmcnt(0)
	v_lshlrev_b32_e32 v1, 16, v1
	s_branch .LBB103_1706
.LBB103_1702:
	s_mov_b64 s[14:15], -1
                                        ; implicit-def: $vgpr1
	s_branch .LBB103_1707
.LBB103_1703:
	s_or_saveexec_b64 s[4:5], s[4:5]
	v_mov_b32_e32 v1, 0x7f800001
	s_xor_b64 exec, exec, s[4:5]
	s_cbranch_execz .LBB103_1685
.LBB103_1704:
	v_cmp_ne_u16_e32 vcc, 0, v3
	s_andn2_b64 s[2:3], s[2:3], exec
	s_and_b64 s[14:15], vcc, exec
	v_mov_b32_e32 v1, 0
	s_or_b64 s[2:3], s[2:3], s[14:15]
	s_or_b64 exec, exec, s[4:5]
	s_and_saveexec_b64 s[4:5], s[2:3]
	s_cbranch_execnz .LBB103_1686
	s_branch .LBB103_1687
.LBB103_1705:
	s_mov_b64 s[0:1], -1
                                        ; implicit-def: $vgpr1
.LBB103_1706:
	s_mov_b64 s[14:15], 0
.LBB103_1707:
	s_and_b64 vcc, exec, s[14:15]
	s_cbranch_vccz .LBB103_1709
; %bb.1708:
	s_cmp_lg_u32 s19, 11
	s_mov_b64 s[2:3], -1
	s_cselect_b64 s[0:1], -1, 0
.LBB103_1709:
	s_and_b64 vcc, exec, s[0:1]
	s_mov_b64 s[14:15], s[6:7]
	s_cbranch_vccnz .LBB103_1770
; %bb.1710:
	s_andn2_b64 vcc, exec, s[2:3]
	s_cbranch_vccnz .LBB103_1712
.LBB103_1711:
	global_load_ubyte v1, v[20:21], off
	s_mov_b64 s[4:5], -1
	s_waitcnt vmcnt(0)
	v_cmp_ne_u16_e32 vcc, 0, v1
	v_cndmask_b32_e64 v1, 0, 1.0, vcc
.LBB103_1712:
	s_branch .LBB103_1642
.LBB103_1713:
	s_and_b32 s2, 0xffff, s18
	s_cmp_lt_i32 s2, 5
	s_cbranch_scc1 .LBB103_1718
; %bb.1714:
	s_cmp_lt_i32 s2, 8
	s_cbranch_scc1 .LBB103_1719
; %bb.1715:
	;; [unrolled: 3-line block ×3, first 2 shown]
	s_cmp_gt_i32 s2, 9
	s_cbranch_scc0 .LBB103_1721
; %bb.1717:
	global_load_dwordx2 v[22:23], v[20:21], off
	s_mov_b64 s[0:1], 0
	s_waitcnt vmcnt(0)
	v_cvt_f32_f64_e32 v1, v[22:23]
	s_branch .LBB103_1722
.LBB103_1718:
                                        ; implicit-def: $vgpr1
	s_branch .LBB103_1739
.LBB103_1719:
                                        ; implicit-def: $vgpr1
	s_branch .LBB103_1728
.LBB103_1720:
	s_mov_b64 s[0:1], -1
                                        ; implicit-def: $vgpr1
	s_branch .LBB103_1725
.LBB103_1721:
	s_mov_b64 s[0:1], -1
                                        ; implicit-def: $vgpr1
.LBB103_1722:
	s_andn2_b64 vcc, exec, s[0:1]
	s_cbranch_vccnz .LBB103_1724
; %bb.1723:
	global_load_dword v1, v[20:21], off
.LBB103_1724:
	s_mov_b64 s[0:1], 0
.LBB103_1725:
	s_andn2_b64 vcc, exec, s[0:1]
	s_cbranch_vccnz .LBB103_1727
; %bb.1726:
	global_load_dword v1, v[20:21], off
	s_waitcnt vmcnt(0)
	v_cvt_f32_f16_e32 v1, v1
.LBB103_1727:
	s_cbranch_execnz .LBB103_1738
.LBB103_1728:
	s_cmp_lt_i32 s2, 6
	s_cbranch_scc1 .LBB103_1731
; %bb.1729:
	s_cmp_gt_i32 s2, 6
	s_cbranch_scc0 .LBB103_1732
; %bb.1730:
	global_load_dwordx2 v[22:23], v[20:21], off
	s_mov_b64 s[0:1], 0
	s_waitcnt vmcnt(0)
	v_cvt_f32_f64_e32 v1, v[22:23]
	s_branch .LBB103_1733
.LBB103_1731:
	s_mov_b64 s[0:1], -1
                                        ; implicit-def: $vgpr1
	s_branch .LBB103_1736
.LBB103_1732:
	s_mov_b64 s[0:1], -1
                                        ; implicit-def: $vgpr1
.LBB103_1733:
	s_andn2_b64 vcc, exec, s[0:1]
	s_cbranch_vccnz .LBB103_1735
; %bb.1734:
	global_load_dword v1, v[20:21], off
.LBB103_1735:
	s_mov_b64 s[0:1], 0
.LBB103_1736:
	s_andn2_b64 vcc, exec, s[0:1]
	s_cbranch_vccnz .LBB103_1738
; %bb.1737:
	global_load_ushort v1, v[20:21], off
	s_waitcnt vmcnt(0)
	v_cvt_f32_f16_e32 v1, v1
.LBB103_1738:
	s_cbranch_execnz .LBB103_1757
.LBB103_1739:
	s_cmp_lt_i32 s2, 2
	s_cbranch_scc1 .LBB103_1743
; %bb.1740:
	s_cmp_lt_i32 s2, 3
	s_cbranch_scc1 .LBB103_1744
; %bb.1741:
	s_cmp_gt_i32 s2, 3
	s_cbranch_scc0 .LBB103_1745
; %bb.1742:
	global_load_dwordx2 v[22:23], v[20:21], off
	s_mov_b64 s[0:1], 0
	s_waitcnt vmcnt(0)
	v_xor_b32_e32 v3, v22, v23
	v_ffbh_i32_e32 v1, v23
	v_ashrrev_i32_e32 v3, 31, v3
	v_add_u32_e32 v1, -1, v1
	v_add_u32_e32 v3, 32, v3
	v_min_u32_e32 v1, v1, v3
	v_lshlrev_b64 v[22:23], v1, v[22:23]
	v_sub_u32_e32 v1, 32, v1
	v_min_u32_e32 v3, 1, v22
	v_or_b32_e32 v3, v23, v3
	v_cvt_f32_i32_e32 v3, v3
	v_ldexp_f32 v1, v3, v1
	s_branch .LBB103_1746
.LBB103_1743:
                                        ; implicit-def: $vgpr1
	s_branch .LBB103_1752
.LBB103_1744:
	s_mov_b64 s[0:1], -1
                                        ; implicit-def: $vgpr1
	s_branch .LBB103_1749
.LBB103_1745:
	s_mov_b64 s[0:1], -1
                                        ; implicit-def: $vgpr1
.LBB103_1746:
	s_andn2_b64 vcc, exec, s[0:1]
	s_cbranch_vccnz .LBB103_1748
; %bb.1747:
	global_load_dword v1, v[20:21], off
	s_waitcnt vmcnt(0)
	v_cvt_f32_i32_e32 v1, v1
.LBB103_1748:
	s_mov_b64 s[0:1], 0
.LBB103_1749:
	s_andn2_b64 vcc, exec, s[0:1]
	s_cbranch_vccnz .LBB103_1751
; %bb.1750:
	global_load_sshort v1, v[20:21], off
	s_waitcnt vmcnt(0)
	v_cvt_f32_i32_e32 v1, v1
.LBB103_1751:
	s_cbranch_execnz .LBB103_1757
.LBB103_1752:
	s_cmp_gt_i32 s2, 0
	s_cbranch_scc0 .LBB103_1754
; %bb.1753:
	global_load_sbyte v1, v[20:21], off
	s_mov_b64 s[0:1], 0
	s_waitcnt vmcnt(0)
	v_cvt_f32_i32_e32 v1, v1
	s_branch .LBB103_1755
.LBB103_1754:
	s_mov_b64 s[0:1], -1
                                        ; implicit-def: $vgpr1
.LBB103_1755:
	s_andn2_b64 vcc, exec, s[0:1]
	s_cbranch_vccnz .LBB103_1757
; %bb.1756:
	global_load_ubyte v1, v[20:21], off
	s_waitcnt vmcnt(0)
	v_cvt_f32_ubyte0_e32 v1, v1
.LBB103_1757:
.LBB103_1758:
	s_load_dwordx2 s[0:1], s[24:25], 0x198
	s_bfe_u32 s22, s23, 0x80010
	s_cmp_lt_i32 s22, 11
	s_waitcnt vmcnt(0) lgkmcnt(0)
	v_mov_b32_e32 v3, s1
	v_add_co_u32_e32 v18, vcc, s0, v19
	v_addc_co_u32_e32 v19, vcc, 0, v3, vcc
	s_cbranch_scc1 .LBB103_1765
; %bb.1759:
	s_and_b32 s26, 0xffff, s22
	s_cmp_gt_i32 s26, 25
	s_mov_b64 s[4:5], 0
	s_cbranch_scc0 .LBB103_1767
; %bb.1760:
	s_cmp_gt_i32 s26, 28
	s_cbranch_scc0 .LBB103_1768
; %bb.1761:
	s_cmp_gt_i32 s26, 43
	;; [unrolled: 3-line block ×3, first 2 shown]
	s_cbranch_scc0 .LBB103_1771
; %bb.1763:
	s_cmp_eq_u32 s26, 46
	s_mov_b64 s[18:19], 0
	s_cbranch_scc0 .LBB103_1774
; %bb.1764:
	global_load_dword v3, v[18:19], off
	s_mov_b64 s[2:3], 0
	s_mov_b64 s[16:17], -1
	s_waitcnt vmcnt(0)
	v_lshlrev_b32_e32 v3, 16, v3
	s_branch .LBB103_1775
.LBB103_1765:
	s_mov_b64 s[16:17], 0
                                        ; implicit-def: $vgpr3
	s_cbranch_execnz .LBB103_1840
.LBB103_1766:
	s_andn2_b64 vcc, exec, s[16:17]
	s_cbranch_vccnz .LBB103_3101
	s_branch .LBB103_1887
.LBB103_1767:
	s_mov_b64 s[16:17], 0
	s_mov_b64 s[2:3], 0
                                        ; implicit-def: $vgpr3
	s_cbranch_execnz .LBB103_1804
	s_branch .LBB103_1836
.LBB103_1768:
	s_mov_b64 s[18:19], -1
	s_mov_b64 s[16:17], 0
	s_mov_b64 s[2:3], 0
                                        ; implicit-def: $vgpr3
	s_branch .LBB103_1785
.LBB103_1769:
	s_mov_b64 s[18:19], -1
	s_mov_b64 s[16:17], 0
	s_mov_b64 s[2:3], 0
                                        ; implicit-def: $vgpr3
	s_branch .LBB103_1780
.LBB103_1770:
	s_or_b64 s[14:15], s[6:7], exec
	s_trap 2
	s_cbranch_execz .LBB103_1711
	s_branch .LBB103_1712
.LBB103_1771:
	s_mov_b64 s[18:19], -1
	s_mov_b64 s[16:17], 0
	s_mov_b64 s[2:3], 0
                                        ; implicit-def: $vgpr3
	s_branch .LBB103_1775
.LBB103_1772:
	s_andn2_saveexec_b64 s[16:17], s[16:17]
	s_cbranch_execz .LBB103_1510
.LBB103_1773:
	v_add_f32_e32 v0, 0x42800000, v3
	v_and_b32_e32 v0, 0xff, v0
	v_cmp_ne_u32_e32 vcc, 0, v0
	s_andn2_b64 s[14:15], s[14:15], exec
	s_and_b64 s[22:23], vcc, exec
	s_or_b64 s[14:15], s[14:15], s[22:23]
	s_or_b64 exec, exec, s[16:17]
	v_mov_b32_e32 v4, 0
	s_and_saveexec_b64 s[16:17], s[14:15]
	s_cbranch_execnz .LBB103_1511
	s_branch .LBB103_1512
.LBB103_1774:
	s_mov_b64 s[2:3], -1
                                        ; implicit-def: $vgpr3
	s_mov_b64 s[16:17], 0
.LBB103_1775:
	s_and_b64 vcc, exec, s[18:19]
	s_cbranch_vccz .LBB103_1779
; %bb.1776:
	s_cmp_eq_u32 s26, 44
	s_cbranch_scc0 .LBB103_1778
; %bb.1777:
	global_load_ubyte v3, v[18:19], off
	s_movk_i32 s16, 0xff
	v_mov_b32_e32 v5, 0x7f800001
	v_mov_b32_e32 v8, 0x400000
	s_mov_b64 s[2:3], 0
	s_waitcnt vmcnt(0)
	v_lshlrev_b32_e32 v10, 23, v3
	v_cmp_ne_u32_e32 vcc, s16, v3
	v_cndmask_b32_e32 v5, v5, v10, vcc
	v_cmp_ne_u32_e32 vcc, 0, v3
	v_cndmask_b32_e32 v3, v8, v5, vcc
	s_mov_b64 s[16:17], -1
	s_branch .LBB103_1779
.LBB103_1778:
	s_mov_b64 s[2:3], -1
                                        ; implicit-def: $vgpr3
.LBB103_1779:
	s_mov_b64 s[18:19], 0
.LBB103_1780:
	s_and_b64 vcc, exec, s[18:19]
	s_cbranch_vccz .LBB103_1784
; %bb.1781:
	s_cmp_eq_u32 s26, 29
	s_cbranch_scc0 .LBB103_1783
; %bb.1782:
	global_load_dwordx2 v[20:21], v[18:19], off
	s_mov_b64 s[2:3], 0
	s_mov_b64 s[16:17], -1
	s_mov_b64 s[18:19], 0
	s_waitcnt vmcnt(0)
	v_ffbh_u32_e32 v3, v21
	v_min_u32_e32 v3, 32, v3
	v_lshlrev_b64 v[20:21], v3, v[20:21]
	v_sub_u32_e32 v3, 32, v3
	v_min_u32_e32 v5, 1, v20
	v_or_b32_e32 v5, v21, v5
	v_cvt_f32_u32_e32 v5, v5
	v_ldexp_f32 v3, v5, v3
	s_branch .LBB103_1785
.LBB103_1783:
	s_mov_b64 s[2:3], -1
                                        ; implicit-def: $vgpr3
.LBB103_1784:
	s_mov_b64 s[18:19], 0
.LBB103_1785:
	s_and_b64 vcc, exec, s[18:19]
	s_cbranch_vccz .LBB103_1803
; %bb.1786:
	s_cmp_lt_i32 s26, 27
	s_cbranch_scc1 .LBB103_1789
; %bb.1787:
	s_cmp_gt_i32 s26, 27
	s_cbranch_scc0 .LBB103_1790
; %bb.1788:
	global_load_dword v3, v[18:19], off
	s_mov_b64 s[16:17], 0
	s_waitcnt vmcnt(0)
	v_cvt_f32_u32_e32 v3, v3
	s_branch .LBB103_1791
.LBB103_1789:
	s_mov_b64 s[16:17], -1
                                        ; implicit-def: $vgpr3
	s_branch .LBB103_1794
.LBB103_1790:
	s_mov_b64 s[16:17], -1
                                        ; implicit-def: $vgpr3
.LBB103_1791:
	s_andn2_b64 vcc, exec, s[16:17]
	s_cbranch_vccnz .LBB103_1793
; %bb.1792:
	global_load_ushort v3, v[18:19], off
	s_waitcnt vmcnt(0)
	v_cvt_f32_u32_e32 v3, v3
.LBB103_1793:
	s_mov_b64 s[16:17], 0
.LBB103_1794:
	s_andn2_b64 vcc, exec, s[16:17]
	s_cbranch_vccnz .LBB103_1802
; %bb.1795:
	global_load_ubyte v5, v[18:19], off
	s_movk_i32 s16, 0x7f
	s_waitcnt vmcnt(0)
	v_cmp_lt_i16_e32 vcc, s16, v5
	s_mov_b64 s[16:17], 0
	s_and_saveexec_b64 s[18:19], vcc
	s_xor_b64 s[18:19], exec, s[18:19]
	s_cbranch_execz .LBB103_1815
; %bb.1796:
	s_movk_i32 s16, 0x80
	v_cmp_eq_u16_e32 vcc, s16, v5
	s_mov_b64 s[16:17], -1
	s_and_saveexec_b64 s[20:21], vcc
; %bb.1797:
	s_xor_b64 s[16:17], exec, -1
; %bb.1798:
	s_or_b64 exec, exec, s[20:21]
	s_and_b64 s[16:17], s[16:17], exec
	s_or_saveexec_b64 s[18:19], s[18:19]
	v_mov_b32_e32 v3, 0x7f800001
	s_xor_b64 exec, exec, s[18:19]
	s_cbranch_execnz .LBB103_1816
.LBB103_1799:
	s_or_b64 exec, exec, s[18:19]
	s_and_saveexec_b64 s[18:19], s[16:17]
	s_cbranch_execz .LBB103_1801
.LBB103_1800:
	v_lshlrev_b32_e32 v3, 24, v5
	v_and_b32_e32 v5, 0xffff, v5
	v_and_b32_e32 v8, 7, v5
	v_ffbh_u32_e32 v12, v8
	v_min_u32_e32 v12, 32, v12
	v_subrev_u32_e32 v14, 28, v12
	v_bfe_u32 v10, v5, 3, 4
	v_lshlrev_b32_e32 v5, v14, v5
	v_sub_u32_e32 v12, 29, v12
	v_and_b32_e32 v5, 7, v5
	v_cmp_eq_u32_e32 vcc, 0, v10
	v_cndmask_b32_e32 v10, v10, v12, vcc
	v_cndmask_b32_e32 v5, v8, v5, vcc
	v_mov_b32_e32 v8, 0x3b800000
	v_lshlrev_b32_e32 v5, 20, v5
	v_and_b32_e32 v3, 0x80000000, v3
	v_lshl_add_u32 v8, v10, 23, v8
	v_or3_b32 v3, v3, v8, v5
.LBB103_1801:
	s_or_b64 exec, exec, s[18:19]
.LBB103_1802:
	s_mov_b64 s[16:17], -1
.LBB103_1803:
	s_branch .LBB103_1836
.LBB103_1804:
	s_cmp_gt_i32 s26, 22
	s_cbranch_scc0 .LBB103_1814
; %bb.1805:
	s_cmp_lt_i32 s26, 24
	s_cbranch_scc1 .LBB103_1817
; %bb.1806:
	s_cmp_gt_i32 s26, 24
	s_cbranch_scc0 .LBB103_1818
; %bb.1807:
	global_load_ubyte v5, v[18:19], off
	s_movk_i32 s4, 0x7f
	s_waitcnt vmcnt(0)
	v_cmp_lt_i16_e32 vcc, s4, v5
	s_mov_b64 s[4:5], 0
	s_and_saveexec_b64 s[16:17], vcc
	s_xor_b64 s[16:17], exec, s[16:17]
	s_cbranch_execz .LBB103_1830
; %bb.1808:
	s_movk_i32 s4, 0x80
	v_cmp_eq_u16_e32 vcc, s4, v5
	s_mov_b64 s[4:5], -1
	s_and_saveexec_b64 s[18:19], vcc
; %bb.1809:
	s_xor_b64 s[4:5], exec, -1
; %bb.1810:
	s_or_b64 exec, exec, s[18:19]
	s_and_b64 s[4:5], s[4:5], exec
	s_or_saveexec_b64 s[16:17], s[16:17]
	v_mov_b32_e32 v3, 0x7f800001
	s_xor_b64 exec, exec, s[16:17]
	s_cbranch_execnz .LBB103_1831
.LBB103_1811:
	s_or_b64 exec, exec, s[16:17]
	s_and_saveexec_b64 s[16:17], s[4:5]
	s_cbranch_execz .LBB103_1813
.LBB103_1812:
	v_lshlrev_b32_e32 v3, 24, v5
	v_and_b32_e32 v5, 0xffff, v5
	v_and_b32_e32 v8, 3, v5
	v_ffbh_u32_e32 v12, v8
	v_min_u32_e32 v12, 32, v12
	v_subrev_u32_e32 v14, 29, v12
	v_bfe_u32 v10, v5, 2, 5
	v_lshlrev_b32_e32 v5, v14, v5
	v_sub_u32_e32 v12, 30, v12
	v_and_b32_e32 v5, 3, v5
	v_cmp_eq_u32_e32 vcc, 0, v10
	v_cndmask_b32_e32 v10, v10, v12, vcc
	v_cndmask_b32_e32 v5, v8, v5, vcc
	v_mov_b32_e32 v8, 0x37800000
	v_lshlrev_b32_e32 v5, 21, v5
	v_and_b32_e32 v3, 0x80000000, v3
	v_lshl_add_u32 v8, v10, 23, v8
	v_or3_b32 v3, v3, v8, v5
.LBB103_1813:
	s_or_b64 exec, exec, s[16:17]
	s_mov_b64 s[4:5], 0
	s_branch .LBB103_1819
.LBB103_1814:
	s_mov_b64 s[4:5], -1
                                        ; implicit-def: $vgpr3
	s_branch .LBB103_1825
.LBB103_1815:
	s_or_saveexec_b64 s[18:19], s[18:19]
	v_mov_b32_e32 v3, 0x7f800001
	s_xor_b64 exec, exec, s[18:19]
	s_cbranch_execz .LBB103_1799
.LBB103_1816:
	v_cmp_ne_u16_e32 vcc, 0, v5
	s_andn2_b64 s[16:17], s[16:17], exec
	s_and_b64 s[20:21], vcc, exec
	v_mov_b32_e32 v3, 0
	s_or_b64 s[16:17], s[16:17], s[20:21]
	s_or_b64 exec, exec, s[18:19]
	s_and_saveexec_b64 s[18:19], s[16:17]
	s_cbranch_execnz .LBB103_1800
	s_branch .LBB103_1801
.LBB103_1817:
	s_mov_b64 s[4:5], -1
                                        ; implicit-def: $vgpr3
	s_branch .LBB103_1822
.LBB103_1818:
	s_mov_b64 s[4:5], -1
                                        ; implicit-def: $vgpr3
.LBB103_1819:
	s_and_b64 vcc, exec, s[4:5]
	s_cbranch_vccz .LBB103_1821
; %bb.1820:
	global_load_ubyte v3, v[18:19], off
	s_mov_b32 s4, 0x7f800000
	s_waitcnt vmcnt(0)
	v_lshlrev_b32_e32 v3, 24, v3
	v_and_b32_e32 v5, 0x7f000000, v3
	v_ffbh_u32_e32 v8, v5
	v_min_u32_e32 v8, 32, v8
	v_sub_u32_e64 v8, v8, 4 clamp
	v_lshlrev_b32_e32 v12, v8, v5
	v_lshlrev_b32_e32 v8, 23, v8
	v_lshrrev_b32_e32 v12, 4, v12
	v_add_u32_e32 v10, 0x1000000, v5
	v_sub_u32_e32 v8, v12, v8
	v_ashrrev_i32_e32 v10, 8, v10
	v_add_u32_e32 v8, 0x3c000000, v8
	v_and_or_b32 v8, v10, s4, v8
	v_cmp_ne_u32_e32 vcc, 0, v5
	v_cndmask_b32_e32 v5, 0, v8, vcc
	s_brev_b32 s4, 1
	v_and_or_b32 v3, v3, s4, v5
.LBB103_1821:
	s_mov_b64 s[4:5], 0
.LBB103_1822:
	s_andn2_b64 vcc, exec, s[4:5]
	s_cbranch_vccnz .LBB103_1824
; %bb.1823:
	global_load_ubyte v3, v[18:19], off
	s_movk_i32 s4, 0x7f00
	s_brev_b32 s5, 16
	s_waitcnt vmcnt(0)
	v_lshlrev_b16_e32 v5, 8, v3
	v_lshlrev_b32_e32 v3, 25, v3
	v_lshrrev_b32_e32 v8, 4, v3
	v_and_or_b32 v10, v5, s4, 0.5
	v_or_b32_e32 v8, 0x70000000, v8
	v_add_f32_e32 v10, -0.5, v10
	v_mul_f32_e32 v8, 0x7800000, v8
	v_cmp_gt_u32_e32 vcc, s5, v3
	v_bfe_i32 v5, v5, 0, 16
	v_cndmask_b32_e32 v3, v8, v10, vcc
	s_brev_b32 s4, 1
	v_and_or_b32 v3, v5, s4, v3
.LBB103_1824:
	s_mov_b64 s[4:5], 0
	s_mov_b64 s[16:17], -1
.LBB103_1825:
	s_andn2_b64 vcc, exec, s[4:5]
	s_mov_b64 s[4:5], 0
	s_cbranch_vccnz .LBB103_1836
; %bb.1826:
	s_cmp_gt_i32 s26, 14
	s_cbranch_scc0 .LBB103_1829
; %bb.1827:
	s_cmp_eq_u32 s26, 15
	s_cbranch_scc0 .LBB103_1832
; %bb.1828:
	global_load_ushort v3, v[18:19], off
	s_mov_b64 s[2:3], 0
	s_mov_b64 s[16:17], -1
	s_waitcnt vmcnt(0)
	v_lshlrev_b32_e32 v3, 16, v3
	s_branch .LBB103_1833
.LBB103_1829:
	s_mov_b64 s[18:19], -1
                                        ; implicit-def: $vgpr3
	s_branch .LBB103_1834
.LBB103_1830:
	s_or_saveexec_b64 s[16:17], s[16:17]
	v_mov_b32_e32 v3, 0x7f800001
	s_xor_b64 exec, exec, s[16:17]
	s_cbranch_execz .LBB103_1811
.LBB103_1831:
	v_cmp_ne_u16_e32 vcc, 0, v5
	s_andn2_b64 s[4:5], s[4:5], exec
	s_and_b64 s[18:19], vcc, exec
	v_mov_b32_e32 v3, 0
	s_or_b64 s[4:5], s[4:5], s[18:19]
	s_or_b64 exec, exec, s[16:17]
	s_and_saveexec_b64 s[16:17], s[4:5]
	s_cbranch_execnz .LBB103_1812
	s_branch .LBB103_1813
.LBB103_1832:
	s_mov_b64 s[2:3], -1
                                        ; implicit-def: $vgpr3
.LBB103_1833:
	s_mov_b64 s[18:19], 0
.LBB103_1834:
	s_and_b64 vcc, exec, s[18:19]
	s_cbranch_vccz .LBB103_1836
; %bb.1835:
	s_cmp_lg_u32 s26, 11
	s_mov_b64 s[4:5], -1
	s_cselect_b64 s[2:3], -1, 0
.LBB103_1836:
	s_and_b64 vcc, exec, s[2:3]
	s_cbranch_vccnz .LBB103_1899
; %bb.1837:
	s_andn2_b64 vcc, exec, s[4:5]
	s_cbranch_vccnz .LBB103_1839
.LBB103_1838:
	global_load_ubyte v3, v[18:19], off
	s_mov_b64 s[16:17], -1
	s_waitcnt vmcnt(0)
	v_cmp_ne_u16_e32 vcc, 0, v3
	v_cndmask_b32_e64 v3, 0, 1.0, vcc
.LBB103_1839:
	s_branch .LBB103_1766
.LBB103_1840:
	s_and_b32 s4, 0xffff, s22
	s_cmp_lt_i32 s4, 5
	s_cbranch_scc1 .LBB103_1845
; %bb.1841:
	s_cmp_lt_i32 s4, 8
	s_cbranch_scc1 .LBB103_1846
; %bb.1842:
	;; [unrolled: 3-line block ×3, first 2 shown]
	s_cmp_gt_i32 s4, 9
	s_cbranch_scc0 .LBB103_1848
; %bb.1844:
	global_load_dwordx2 v[20:21], v[18:19], off
	s_mov_b64 s[2:3], 0
	s_waitcnt vmcnt(0)
	v_cvt_f32_f64_e32 v3, v[20:21]
	s_branch .LBB103_1849
.LBB103_1845:
                                        ; implicit-def: $vgpr3
	s_branch .LBB103_1867
.LBB103_1846:
	s_mov_b64 s[2:3], -1
                                        ; implicit-def: $vgpr3
	s_branch .LBB103_1855
.LBB103_1847:
	s_mov_b64 s[2:3], -1
                                        ; implicit-def: $vgpr3
	s_branch .LBB103_1852
.LBB103_1848:
	s_mov_b64 s[2:3], -1
                                        ; implicit-def: $vgpr3
.LBB103_1849:
	s_andn2_b64 vcc, exec, s[2:3]
	s_cbranch_vccnz .LBB103_1851
; %bb.1850:
	global_load_dword v3, v[18:19], off
.LBB103_1851:
	s_mov_b64 s[2:3], 0
.LBB103_1852:
	s_andn2_b64 vcc, exec, s[2:3]
	s_cbranch_vccnz .LBB103_1854
; %bb.1853:
	global_load_dword v3, v[18:19], off
	s_waitcnt vmcnt(0)
	v_cvt_f32_f16_e32 v3, v3
.LBB103_1854:
	s_mov_b64 s[2:3], 0
.LBB103_1855:
	s_andn2_b64 vcc, exec, s[2:3]
	s_cbranch_vccnz .LBB103_1866
; %bb.1856:
	s_cmp_lt_i32 s4, 6
	s_cbranch_scc1 .LBB103_1859
; %bb.1857:
	s_cmp_gt_i32 s4, 6
	s_cbranch_scc0 .LBB103_1860
; %bb.1858:
	global_load_dwordx2 v[20:21], v[18:19], off
	s_mov_b64 s[2:3], 0
	s_waitcnt vmcnt(0)
	v_cvt_f32_f64_e32 v3, v[20:21]
	s_branch .LBB103_1861
.LBB103_1859:
	s_mov_b64 s[2:3], -1
                                        ; implicit-def: $vgpr3
	s_branch .LBB103_1864
.LBB103_1860:
	s_mov_b64 s[2:3], -1
                                        ; implicit-def: $vgpr3
.LBB103_1861:
	s_andn2_b64 vcc, exec, s[2:3]
	s_cbranch_vccnz .LBB103_1863
; %bb.1862:
	global_load_dword v3, v[18:19], off
.LBB103_1863:
	s_mov_b64 s[2:3], 0
.LBB103_1864:
	s_andn2_b64 vcc, exec, s[2:3]
	s_cbranch_vccnz .LBB103_1866
; %bb.1865:
	global_load_ushort v3, v[18:19], off
	s_waitcnt vmcnt(0)
	v_cvt_f32_f16_e32 v3, v3
.LBB103_1866:
	s_cbranch_execnz .LBB103_1886
.LBB103_1867:
	s_cmp_lt_i32 s4, 2
	s_cbranch_scc1 .LBB103_1871
; %bb.1868:
	s_cmp_lt_i32 s4, 3
	s_cbranch_scc1 .LBB103_1872
; %bb.1869:
	s_cmp_gt_i32 s4, 3
	s_cbranch_scc0 .LBB103_1873
; %bb.1870:
	global_load_dwordx2 v[20:21], v[18:19], off
	s_mov_b64 s[2:3], 0
	s_waitcnt vmcnt(0)
	v_xor_b32_e32 v5, v20, v21
	v_ffbh_i32_e32 v3, v21
	v_ashrrev_i32_e32 v5, 31, v5
	v_add_u32_e32 v3, -1, v3
	v_add_u32_e32 v5, 32, v5
	v_min_u32_e32 v3, v3, v5
	v_lshlrev_b64 v[20:21], v3, v[20:21]
	v_sub_u32_e32 v3, 32, v3
	v_min_u32_e32 v5, 1, v20
	v_or_b32_e32 v5, v21, v5
	v_cvt_f32_i32_e32 v5, v5
	v_ldexp_f32 v3, v5, v3
	s_branch .LBB103_1874
.LBB103_1871:
	s_mov_b64 s[2:3], -1
                                        ; implicit-def: $vgpr3
	s_branch .LBB103_1880
.LBB103_1872:
	s_mov_b64 s[2:3], -1
                                        ; implicit-def: $vgpr3
	s_branch .LBB103_1877
.LBB103_1873:
	s_mov_b64 s[2:3], -1
                                        ; implicit-def: $vgpr3
.LBB103_1874:
	s_andn2_b64 vcc, exec, s[2:3]
	s_cbranch_vccnz .LBB103_1876
; %bb.1875:
	global_load_dword v3, v[18:19], off
	s_waitcnt vmcnt(0)
	v_cvt_f32_i32_e32 v3, v3
.LBB103_1876:
	s_mov_b64 s[2:3], 0
.LBB103_1877:
	s_andn2_b64 vcc, exec, s[2:3]
	s_cbranch_vccnz .LBB103_1879
; %bb.1878:
	global_load_sshort v3, v[18:19], off
	s_waitcnt vmcnt(0)
	v_cvt_f32_i32_e32 v3, v3
.LBB103_1879:
	s_mov_b64 s[2:3], 0
.LBB103_1880:
	s_andn2_b64 vcc, exec, s[2:3]
	s_cbranch_vccnz .LBB103_1886
; %bb.1881:
	s_cmp_gt_i32 s4, 0
	s_cbranch_scc0 .LBB103_1883
; %bb.1882:
	global_load_sbyte v3, v[18:19], off
	s_mov_b64 s[2:3], 0
	s_waitcnt vmcnt(0)
	v_cvt_f32_i32_e32 v3, v3
	s_branch .LBB103_1884
.LBB103_1883:
	s_mov_b64 s[2:3], -1
                                        ; implicit-def: $vgpr3
.LBB103_1884:
	s_andn2_b64 vcc, exec, s[2:3]
	s_cbranch_vccnz .LBB103_1886
; %bb.1885:
	global_load_ubyte v3, v[18:19], off
	s_waitcnt vmcnt(0)
	v_cvt_f32_ubyte0_e32 v3, v3
.LBB103_1886:
.LBB103_1887:
	s_lshr_b32 s2, s23, 8
	v_mov_b32_e32 v5, s11
	s_and_b32 s22, s2, 0xff
	v_add_co_u32_e32 v16, vcc, s10, v17
	s_cmp_lt_i32 s22, 11
	v_addc_co_u32_e32 v17, vcc, 0, v5, vcc
	s_cbranch_scc1 .LBB103_1894
; %bb.1888:
	s_and_b32 s26, 0xffff, s22
	s_cmp_gt_i32 s26, 25
	s_mov_b64 s[4:5], 0
	s_cbranch_scc0 .LBB103_1896
; %bb.1889:
	s_cmp_gt_i32 s26, 28
	s_cbranch_scc0 .LBB103_1897
; %bb.1890:
	s_cmp_gt_i32 s26, 43
	;; [unrolled: 3-line block ×3, first 2 shown]
	s_cbranch_scc0 .LBB103_1900
; %bb.1892:
	s_cmp_eq_u32 s26, 46
	s_mov_b64 s[18:19], 0
	s_cbranch_scc0 .LBB103_1901
; %bb.1893:
	global_load_dword v5, v[16:17], off
	s_mov_b64 s[2:3], 0
	s_mov_b64 s[16:17], -1
	s_waitcnt vmcnt(0)
	v_lshlrev_b32_e32 v18, 16, v5
	s_branch .LBB103_1902
.LBB103_1894:
	s_mov_b64 s[16:17], 0
                                        ; implicit-def: $vgpr18
	s_cbranch_execnz .LBB103_1968
.LBB103_1895:
	s_andn2_b64 vcc, exec, s[16:17]
	s_cbranch_vccnz .LBB103_3101
	s_branch .LBB103_2016
.LBB103_1896:
	s_mov_b64 s[18:19], -1
	s_mov_b64 s[16:17], 0
	s_mov_b64 s[2:3], 0
                                        ; implicit-def: $vgpr18
	s_branch .LBB103_1931
.LBB103_1897:
	s_mov_b64 s[18:19], -1
	s_mov_b64 s[16:17], 0
	s_mov_b64 s[2:3], 0
                                        ; implicit-def: $vgpr18
	s_branch .LBB103_1912
.LBB103_1898:
	s_mov_b64 s[18:19], -1
	s_mov_b64 s[16:17], 0
	s_mov_b64 s[2:3], 0
                                        ; implicit-def: $vgpr18
	s_branch .LBB103_1907
.LBB103_1899:
	s_trap 2
	s_or_b64 s[14:15], s[14:15], exec
	s_cbranch_execz .LBB103_1838
	s_branch .LBB103_1839
.LBB103_1900:
	s_mov_b64 s[18:19], -1
	s_mov_b64 s[16:17], 0
	s_mov_b64 s[2:3], 0
                                        ; implicit-def: $vgpr18
	s_branch .LBB103_1902
.LBB103_1901:
	s_mov_b64 s[2:3], -1
                                        ; implicit-def: $vgpr18
	s_mov_b64 s[16:17], 0
.LBB103_1902:
	s_and_b64 vcc, exec, s[18:19]
	s_cbranch_vccz .LBB103_1906
; %bb.1903:
	s_cmp_eq_u32 s26, 44
	s_cbranch_scc0 .LBB103_1905
; %bb.1904:
	global_load_ubyte v5, v[16:17], off
	s_movk_i32 s16, 0xff
	v_mov_b32_e32 v8, 0x7f800001
	v_mov_b32_e32 v10, 0x400000
	s_mov_b64 s[2:3], 0
	s_waitcnt vmcnt(0)
	v_lshlrev_b32_e32 v12, 23, v5
	v_cmp_ne_u32_e32 vcc, s16, v5
	v_cndmask_b32_e32 v8, v8, v12, vcc
	v_cmp_ne_u32_e32 vcc, 0, v5
	v_cndmask_b32_e32 v18, v10, v8, vcc
	s_mov_b64 s[16:17], -1
	s_branch .LBB103_1906
.LBB103_1905:
	s_mov_b64 s[2:3], -1
                                        ; implicit-def: $vgpr18
.LBB103_1906:
	s_mov_b64 s[18:19], 0
.LBB103_1907:
	s_and_b64 vcc, exec, s[18:19]
	s_cbranch_vccz .LBB103_1911
; %bb.1908:
	s_cmp_eq_u32 s26, 29
	s_cbranch_scc0 .LBB103_1910
; %bb.1909:
	global_load_dwordx2 v[18:19], v[16:17], off
	s_mov_b64 s[2:3], 0
	s_mov_b64 s[16:17], -1
	s_mov_b64 s[18:19], 0
	s_waitcnt vmcnt(0)
	v_ffbh_u32_e32 v5, v19
	v_min_u32_e32 v5, 32, v5
	v_lshlrev_b64 v[18:19], v5, v[18:19]
	v_sub_u32_e32 v5, 32, v5
	v_min_u32_e32 v8, 1, v18
	v_or_b32_e32 v8, v19, v8
	v_cvt_f32_u32_e32 v8, v8
	v_ldexp_f32 v18, v8, v5
	s_branch .LBB103_1912
.LBB103_1910:
	s_mov_b64 s[2:3], -1
                                        ; implicit-def: $vgpr18
.LBB103_1911:
	s_mov_b64 s[18:19], 0
.LBB103_1912:
	s_and_b64 vcc, exec, s[18:19]
	s_cbranch_vccz .LBB103_1930
; %bb.1913:
	s_cmp_lt_i32 s26, 27
	s_cbranch_scc1 .LBB103_1916
; %bb.1914:
	s_cmp_gt_i32 s26, 27
	s_cbranch_scc0 .LBB103_1917
; %bb.1915:
	global_load_dword v5, v[16:17], off
	s_mov_b64 s[16:17], 0
	s_waitcnt vmcnt(0)
	v_cvt_f32_u32_e32 v18, v5
	s_branch .LBB103_1918
.LBB103_1916:
	s_mov_b64 s[16:17], -1
                                        ; implicit-def: $vgpr18
	s_branch .LBB103_1921
.LBB103_1917:
	s_mov_b64 s[16:17], -1
                                        ; implicit-def: $vgpr18
.LBB103_1918:
	s_andn2_b64 vcc, exec, s[16:17]
	s_cbranch_vccnz .LBB103_1920
; %bb.1919:
	global_load_ushort v5, v[16:17], off
	s_waitcnt vmcnt(0)
	v_cvt_f32_u32_e32 v18, v5
.LBB103_1920:
	s_mov_b64 s[16:17], 0
.LBB103_1921:
	s_andn2_b64 vcc, exec, s[16:17]
	s_cbranch_vccnz .LBB103_1929
; %bb.1922:
	global_load_ubyte v5, v[16:17], off
	s_movk_i32 s16, 0x7f
	s_waitcnt vmcnt(0)
	v_cmp_lt_i16_e32 vcc, s16, v5
	s_mov_b64 s[16:17], 0
	s_and_saveexec_b64 s[18:19], vcc
	s_xor_b64 s[18:19], exec, s[18:19]
	s_cbranch_execz .LBB103_1943
; %bb.1923:
	s_movk_i32 s16, 0x80
	v_cmp_eq_u16_e32 vcc, s16, v5
	s_mov_b64 s[16:17], -1
	s_and_saveexec_b64 s[20:21], vcc
; %bb.1924:
	s_xor_b64 s[16:17], exec, -1
; %bb.1925:
	s_or_b64 exec, exec, s[20:21]
	s_and_b64 s[16:17], s[16:17], exec
	s_or_saveexec_b64 s[18:19], s[18:19]
	v_mov_b32_e32 v18, 0x7f800001
	s_xor_b64 exec, exec, s[18:19]
	s_cbranch_execnz .LBB103_1944
.LBB103_1926:
	s_or_b64 exec, exec, s[18:19]
	s_and_saveexec_b64 s[18:19], s[16:17]
	s_cbranch_execz .LBB103_1928
.LBB103_1927:
	v_lshlrev_b32_e32 v8, 24, v5
	v_and_b32_e32 v5, 0xffff, v5
	v_and_b32_e32 v10, 7, v5
	v_ffbh_u32_e32 v14, v10
	v_min_u32_e32 v14, 32, v14
	v_subrev_u32_e32 v18, 28, v14
	v_bfe_u32 v12, v5, 3, 4
	v_lshlrev_b32_e32 v5, v18, v5
	v_sub_u32_e32 v14, 29, v14
	v_and_b32_e32 v5, 7, v5
	v_cmp_eq_u32_e32 vcc, 0, v12
	v_cndmask_b32_e32 v12, v12, v14, vcc
	v_cndmask_b32_e32 v5, v10, v5, vcc
	v_mov_b32_e32 v10, 0x3b800000
	v_lshlrev_b32_e32 v5, 20, v5
	v_and_b32_e32 v8, 0x80000000, v8
	v_lshl_add_u32 v10, v12, 23, v10
	v_or3_b32 v18, v8, v10, v5
.LBB103_1928:
	s_or_b64 exec, exec, s[18:19]
.LBB103_1929:
	s_mov_b64 s[16:17], -1
.LBB103_1930:
	s_mov_b64 s[18:19], 0
.LBB103_1931:
	s_and_b64 vcc, exec, s[18:19]
	s_cbranch_vccz .LBB103_1964
; %bb.1932:
	s_cmp_gt_i32 s26, 22
	s_cbranch_scc0 .LBB103_1942
; %bb.1933:
	s_cmp_lt_i32 s26, 24
	s_cbranch_scc1 .LBB103_1945
; %bb.1934:
	s_cmp_gt_i32 s26, 24
	s_cbranch_scc0 .LBB103_1946
; %bb.1935:
	global_load_ubyte v5, v[16:17], off
	s_movk_i32 s4, 0x7f
	s_waitcnt vmcnt(0)
	v_cmp_lt_i16_e32 vcc, s4, v5
	s_mov_b64 s[4:5], 0
	s_and_saveexec_b64 s[16:17], vcc
	s_xor_b64 s[16:17], exec, s[16:17]
	s_cbranch_execz .LBB103_1958
; %bb.1936:
	s_movk_i32 s4, 0x80
	v_cmp_eq_u16_e32 vcc, s4, v5
	s_mov_b64 s[4:5], -1
	s_and_saveexec_b64 s[18:19], vcc
; %bb.1937:
	s_xor_b64 s[4:5], exec, -1
; %bb.1938:
	s_or_b64 exec, exec, s[18:19]
	s_and_b64 s[4:5], s[4:5], exec
	s_or_saveexec_b64 s[16:17], s[16:17]
	v_mov_b32_e32 v18, 0x7f800001
	s_xor_b64 exec, exec, s[16:17]
	s_cbranch_execnz .LBB103_1959
.LBB103_1939:
	s_or_b64 exec, exec, s[16:17]
	s_and_saveexec_b64 s[16:17], s[4:5]
	s_cbranch_execz .LBB103_1941
.LBB103_1940:
	v_lshlrev_b32_e32 v8, 24, v5
	v_and_b32_e32 v5, 0xffff, v5
	v_and_b32_e32 v10, 3, v5
	v_ffbh_u32_e32 v14, v10
	v_min_u32_e32 v14, 32, v14
	v_subrev_u32_e32 v18, 29, v14
	v_bfe_u32 v12, v5, 2, 5
	v_lshlrev_b32_e32 v5, v18, v5
	v_sub_u32_e32 v14, 30, v14
	v_and_b32_e32 v5, 3, v5
	v_cmp_eq_u32_e32 vcc, 0, v12
	v_cndmask_b32_e32 v12, v12, v14, vcc
	v_cndmask_b32_e32 v5, v10, v5, vcc
	v_mov_b32_e32 v10, 0x37800000
	v_lshlrev_b32_e32 v5, 21, v5
	v_and_b32_e32 v8, 0x80000000, v8
	v_lshl_add_u32 v10, v12, 23, v10
	v_or3_b32 v18, v8, v10, v5
.LBB103_1941:
	s_or_b64 exec, exec, s[16:17]
	s_mov_b64 s[4:5], 0
	s_branch .LBB103_1947
.LBB103_1942:
	s_mov_b64 s[4:5], -1
                                        ; implicit-def: $vgpr18
	s_branch .LBB103_1953
.LBB103_1943:
	s_or_saveexec_b64 s[18:19], s[18:19]
	v_mov_b32_e32 v18, 0x7f800001
	s_xor_b64 exec, exec, s[18:19]
	s_cbranch_execz .LBB103_1926
.LBB103_1944:
	v_cmp_ne_u16_e32 vcc, 0, v5
	s_andn2_b64 s[16:17], s[16:17], exec
	s_and_b64 s[20:21], vcc, exec
	v_mov_b32_e32 v18, 0
	s_or_b64 s[16:17], s[16:17], s[20:21]
	s_or_b64 exec, exec, s[18:19]
	s_and_saveexec_b64 s[18:19], s[16:17]
	s_cbranch_execnz .LBB103_1927
	s_branch .LBB103_1928
.LBB103_1945:
	s_mov_b64 s[4:5], -1
                                        ; implicit-def: $vgpr18
	s_branch .LBB103_1950
.LBB103_1946:
	s_mov_b64 s[4:5], -1
                                        ; implicit-def: $vgpr18
.LBB103_1947:
	s_and_b64 vcc, exec, s[4:5]
	s_cbranch_vccz .LBB103_1949
; %bb.1948:
	global_load_ubyte v5, v[16:17], off
	s_mov_b32 s4, 0x7f800000
	s_waitcnt vmcnt(0)
	v_lshlrev_b32_e32 v5, 24, v5
	v_and_b32_e32 v8, 0x7f000000, v5
	v_ffbh_u32_e32 v10, v8
	v_min_u32_e32 v10, 32, v10
	v_sub_u32_e64 v10, v10, 4 clamp
	v_lshlrev_b32_e32 v14, v10, v8
	v_lshlrev_b32_e32 v10, 23, v10
	v_lshrrev_b32_e32 v14, 4, v14
	v_add_u32_e32 v12, 0x1000000, v8
	v_sub_u32_e32 v10, v14, v10
	v_ashrrev_i32_e32 v12, 8, v12
	v_add_u32_e32 v10, 0x3c000000, v10
	v_and_or_b32 v10, v12, s4, v10
	v_cmp_ne_u32_e32 vcc, 0, v8
	v_cndmask_b32_e32 v8, 0, v10, vcc
	s_brev_b32 s4, 1
	v_and_or_b32 v18, v5, s4, v8
.LBB103_1949:
	s_mov_b64 s[4:5], 0
.LBB103_1950:
	s_andn2_b64 vcc, exec, s[4:5]
	s_cbranch_vccnz .LBB103_1952
; %bb.1951:
	global_load_ubyte v5, v[16:17], off
	s_movk_i32 s4, 0x7f00
	s_brev_b32 s5, 16
	s_waitcnt vmcnt(0)
	v_lshlrev_b16_e32 v8, 8, v5
	v_lshlrev_b32_e32 v5, 25, v5
	v_lshrrev_b32_e32 v10, 4, v5
	v_and_or_b32 v12, v8, s4, 0.5
	v_or_b32_e32 v10, 0x70000000, v10
	v_add_f32_e32 v12, -0.5, v12
	v_mul_f32_e32 v10, 0x7800000, v10
	v_cmp_gt_u32_e32 vcc, s5, v5
	v_bfe_i32 v8, v8, 0, 16
	v_cndmask_b32_e32 v5, v10, v12, vcc
	s_brev_b32 s4, 1
	v_and_or_b32 v18, v8, s4, v5
.LBB103_1952:
	s_mov_b64 s[4:5], 0
	s_mov_b64 s[16:17], -1
.LBB103_1953:
	s_andn2_b64 vcc, exec, s[4:5]
	s_mov_b64 s[4:5], 0
	s_cbranch_vccnz .LBB103_1964
; %bb.1954:
	s_cmp_gt_i32 s26, 14
	s_cbranch_scc0 .LBB103_1957
; %bb.1955:
	s_cmp_eq_u32 s26, 15
	s_cbranch_scc0 .LBB103_1960
; %bb.1956:
	global_load_ushort v5, v[16:17], off
	s_mov_b64 s[2:3], 0
	s_mov_b64 s[16:17], -1
	s_waitcnt vmcnt(0)
	v_lshlrev_b32_e32 v18, 16, v5
	s_branch .LBB103_1961
.LBB103_1957:
	s_mov_b64 s[18:19], -1
                                        ; implicit-def: $vgpr18
	s_branch .LBB103_1962
.LBB103_1958:
	s_or_saveexec_b64 s[16:17], s[16:17]
	v_mov_b32_e32 v18, 0x7f800001
	s_xor_b64 exec, exec, s[16:17]
	s_cbranch_execz .LBB103_1939
.LBB103_1959:
	v_cmp_ne_u16_e32 vcc, 0, v5
	s_andn2_b64 s[4:5], s[4:5], exec
	s_and_b64 s[18:19], vcc, exec
	v_mov_b32_e32 v18, 0
	s_or_b64 s[4:5], s[4:5], s[18:19]
	s_or_b64 exec, exec, s[16:17]
	s_and_saveexec_b64 s[16:17], s[4:5]
	s_cbranch_execnz .LBB103_1940
	s_branch .LBB103_1941
.LBB103_1960:
	s_mov_b64 s[2:3], -1
                                        ; implicit-def: $vgpr18
.LBB103_1961:
	s_mov_b64 s[18:19], 0
.LBB103_1962:
	s_and_b64 vcc, exec, s[18:19]
	s_cbranch_vccz .LBB103_1964
; %bb.1963:
	s_cmp_lg_u32 s26, 11
	s_mov_b64 s[4:5], -1
	s_cselect_b64 s[2:3], -1, 0
.LBB103_1964:
	s_and_b64 vcc, exec, s[2:3]
	s_cbranch_vccnz .LBB103_2027
; %bb.1965:
	s_andn2_b64 vcc, exec, s[4:5]
	s_cbranch_vccnz .LBB103_1967
.LBB103_1966:
	global_load_ubyte v5, v[16:17], off
	s_mov_b64 s[16:17], -1
	s_waitcnt vmcnt(0)
	v_cmp_ne_u16_e32 vcc, 0, v5
	v_cndmask_b32_e64 v18, 0, 1.0, vcc
.LBB103_1967:
	s_branch .LBB103_1895
.LBB103_1968:
	s_and_b32 s4, 0xffff, s22
	s_cmp_lt_i32 s4, 5
	s_cbranch_scc1 .LBB103_1973
; %bb.1969:
	s_cmp_lt_i32 s4, 8
	s_cbranch_scc1 .LBB103_1974
; %bb.1970:
	;; [unrolled: 3-line block ×3, first 2 shown]
	s_cmp_gt_i32 s4, 9
	s_cbranch_scc0 .LBB103_1976
; %bb.1972:
	global_load_dwordx2 v[18:19], v[16:17], off
	s_mov_b64 s[2:3], 0
	s_waitcnt vmcnt(0)
	v_cvt_f32_f64_e32 v18, v[18:19]
	s_branch .LBB103_1977
.LBB103_1973:
	s_mov_b64 s[2:3], -1
                                        ; implicit-def: $vgpr18
	s_branch .LBB103_1995
.LBB103_1974:
	s_mov_b64 s[2:3], -1
                                        ; implicit-def: $vgpr18
	s_branch .LBB103_1983
.LBB103_1975:
	s_mov_b64 s[2:3], -1
                                        ; implicit-def: $vgpr18
	s_branch .LBB103_1980
.LBB103_1976:
	s_mov_b64 s[2:3], -1
                                        ; implicit-def: $vgpr18
.LBB103_1977:
	s_andn2_b64 vcc, exec, s[2:3]
	s_cbranch_vccnz .LBB103_1979
; %bb.1978:
	global_load_dword v18, v[16:17], off
.LBB103_1979:
	s_mov_b64 s[2:3], 0
.LBB103_1980:
	s_andn2_b64 vcc, exec, s[2:3]
	s_cbranch_vccnz .LBB103_1982
; %bb.1981:
	global_load_dword v5, v[16:17], off
	s_waitcnt vmcnt(0)
	v_cvt_f32_f16_e32 v18, v5
.LBB103_1982:
	s_mov_b64 s[2:3], 0
.LBB103_1983:
	s_andn2_b64 vcc, exec, s[2:3]
	s_cbranch_vccnz .LBB103_1994
; %bb.1984:
	s_cmp_lt_i32 s4, 6
	s_cbranch_scc1 .LBB103_1987
; %bb.1985:
	s_cmp_gt_i32 s4, 6
	s_cbranch_scc0 .LBB103_1988
; %bb.1986:
	global_load_dwordx2 v[18:19], v[16:17], off
	s_mov_b64 s[2:3], 0
	s_waitcnt vmcnt(0)
	v_cvt_f32_f64_e32 v18, v[18:19]
	s_branch .LBB103_1989
.LBB103_1987:
	s_mov_b64 s[2:3], -1
                                        ; implicit-def: $vgpr18
	s_branch .LBB103_1992
.LBB103_1988:
	s_mov_b64 s[2:3], -1
                                        ; implicit-def: $vgpr18
.LBB103_1989:
	s_andn2_b64 vcc, exec, s[2:3]
	s_cbranch_vccnz .LBB103_1991
; %bb.1990:
	global_load_dword v18, v[16:17], off
.LBB103_1991:
	s_mov_b64 s[2:3], 0
.LBB103_1992:
	s_andn2_b64 vcc, exec, s[2:3]
	s_cbranch_vccnz .LBB103_1994
; %bb.1993:
	global_load_ushort v5, v[16:17], off
	s_waitcnt vmcnt(0)
	v_cvt_f32_f16_e32 v18, v5
.LBB103_1994:
	s_mov_b64 s[2:3], 0
.LBB103_1995:
	s_andn2_b64 vcc, exec, s[2:3]
	s_cbranch_vccnz .LBB103_2015
; %bb.1996:
	s_cmp_lt_i32 s4, 2
	s_cbranch_scc1 .LBB103_2000
; %bb.1997:
	s_cmp_lt_i32 s4, 3
	s_cbranch_scc1 .LBB103_2001
; %bb.1998:
	s_cmp_gt_i32 s4, 3
	s_cbranch_scc0 .LBB103_2002
; %bb.1999:
	global_load_dwordx2 v[18:19], v[16:17], off
	s_mov_b64 s[2:3], 0
	s_waitcnt vmcnt(0)
	v_xor_b32_e32 v8, v18, v19
	v_ffbh_i32_e32 v5, v19
	v_ashrrev_i32_e32 v8, 31, v8
	v_add_u32_e32 v5, -1, v5
	v_add_u32_e32 v8, 32, v8
	v_min_u32_e32 v5, v5, v8
	v_lshlrev_b64 v[18:19], v5, v[18:19]
	v_sub_u32_e32 v5, 32, v5
	v_min_u32_e32 v8, 1, v18
	v_or_b32_e32 v8, v19, v8
	v_cvt_f32_i32_e32 v8, v8
	v_ldexp_f32 v18, v8, v5
	s_branch .LBB103_2003
.LBB103_2000:
	s_mov_b64 s[2:3], -1
                                        ; implicit-def: $vgpr18
	s_branch .LBB103_2009
.LBB103_2001:
	s_mov_b64 s[2:3], -1
                                        ; implicit-def: $vgpr18
	s_branch .LBB103_2006
.LBB103_2002:
	s_mov_b64 s[2:3], -1
                                        ; implicit-def: $vgpr18
.LBB103_2003:
	s_andn2_b64 vcc, exec, s[2:3]
	s_cbranch_vccnz .LBB103_2005
; %bb.2004:
	global_load_dword v5, v[16:17], off
	s_waitcnt vmcnt(0)
	v_cvt_f32_i32_e32 v18, v5
.LBB103_2005:
	s_mov_b64 s[2:3], 0
.LBB103_2006:
	s_andn2_b64 vcc, exec, s[2:3]
	s_cbranch_vccnz .LBB103_2008
; %bb.2007:
	global_load_sshort v5, v[16:17], off
	s_waitcnt vmcnt(0)
	v_cvt_f32_i32_e32 v18, v5
.LBB103_2008:
	s_mov_b64 s[2:3], 0
.LBB103_2009:
	s_andn2_b64 vcc, exec, s[2:3]
	s_cbranch_vccnz .LBB103_2015
; %bb.2010:
	s_cmp_gt_i32 s4, 0
	s_cbranch_scc0 .LBB103_2012
; %bb.2011:
	global_load_sbyte v5, v[16:17], off
	s_mov_b64 s[2:3], 0
	s_waitcnt vmcnt(0)
	v_cvt_f32_i32_e32 v18, v5
	s_branch .LBB103_2013
.LBB103_2012:
	s_mov_b64 s[2:3], -1
                                        ; implicit-def: $vgpr18
.LBB103_2013:
	s_andn2_b64 vcc, exec, s[2:3]
	s_cbranch_vccnz .LBB103_2015
; %bb.2014:
	global_load_ubyte v5, v[16:17], off
	s_waitcnt vmcnt(0)
	v_cvt_f32_ubyte0_e32 v18, v5
.LBB103_2015:
.LBB103_2016:
	s_lshr_b32 s2, s23, 16
	v_mov_b32_e32 v5, s1
	s_and_b32 s23, s2, 0xff
	v_add_co_u32_e32 v14, vcc, s0, v15
	s_cmp_lt_i32 s23, 11
	v_addc_co_u32_e32 v15, vcc, 0, v5, vcc
	s_cbranch_scc1 .LBB103_2023
; %bb.2017:
	s_and_b32 s26, 0xffff, s23
	s_cmp_gt_i32 s26, 25
	s_mov_b64 s[4:5], 0
	s_cbranch_scc0 .LBB103_2024
; %bb.2018:
	s_cmp_gt_i32 s26, 28
	s_cbranch_scc0 .LBB103_2025
; %bb.2019:
	s_cmp_gt_i32 s26, 43
	s_cbranch_scc0 .LBB103_2026
; %bb.2020:
	s_cmp_gt_i32 s26, 45
	s_cbranch_scc0 .LBB103_2028
; %bb.2021:
	s_cmp_eq_u32 s26, 46
	s_mov_b64 s[18:19], 0
	s_cbranch_scc0 .LBB103_2029
; %bb.2022:
	global_load_dword v5, v[14:15], off
	s_mov_b64 s[2:3], 0
	s_mov_b64 s[16:17], -1
	s_waitcnt vmcnt(0)
	v_lshlrev_b32_e32 v16, 16, v5
	s_branch .LBB103_2030
.LBB103_2023:
	s_mov_b64 s[2:3], -1
	s_mov_b64 s[16:17], 0
                                        ; implicit-def: $vgpr16
	s_branch .LBB103_2096
.LBB103_2024:
	s_mov_b64 s[18:19], -1
	s_mov_b64 s[16:17], 0
	s_mov_b64 s[2:3], 0
                                        ; implicit-def: $vgpr16
	s_branch .LBB103_2059
.LBB103_2025:
	s_mov_b64 s[18:19], -1
	s_mov_b64 s[16:17], 0
	s_mov_b64 s[2:3], 0
                                        ; implicit-def: $vgpr16
	s_branch .LBB103_2040
.LBB103_2026:
	s_mov_b64 s[18:19], -1
	s_mov_b64 s[16:17], 0
	s_mov_b64 s[2:3], 0
                                        ; implicit-def: $vgpr16
	s_branch .LBB103_2035
.LBB103_2027:
	s_trap 2
	s_or_b64 s[14:15], s[14:15], exec
	s_cbranch_execz .LBB103_1966
	s_branch .LBB103_1967
.LBB103_2028:
	s_mov_b64 s[18:19], -1
	s_mov_b64 s[16:17], 0
	s_mov_b64 s[2:3], 0
                                        ; implicit-def: $vgpr16
	s_branch .LBB103_2030
.LBB103_2029:
	s_mov_b64 s[2:3], -1
                                        ; implicit-def: $vgpr16
	s_mov_b64 s[16:17], 0
.LBB103_2030:
	s_and_b64 vcc, exec, s[18:19]
	s_cbranch_vccz .LBB103_2034
; %bb.2031:
	s_cmp_eq_u32 s26, 44
	s_cbranch_scc0 .LBB103_2033
; %bb.2032:
	global_load_ubyte v5, v[14:15], off
	s_movk_i32 s16, 0xff
	v_mov_b32_e32 v8, 0x7f800001
	v_mov_b32_e32 v10, 0x400000
	s_mov_b64 s[2:3], 0
	s_waitcnt vmcnt(0)
	v_lshlrev_b32_e32 v12, 23, v5
	v_cmp_ne_u32_e32 vcc, s16, v5
	v_cndmask_b32_e32 v8, v8, v12, vcc
	v_cmp_ne_u32_e32 vcc, 0, v5
	v_cndmask_b32_e32 v16, v10, v8, vcc
	s_mov_b64 s[16:17], -1
	s_branch .LBB103_2034
.LBB103_2033:
	s_mov_b64 s[2:3], -1
                                        ; implicit-def: $vgpr16
.LBB103_2034:
	s_mov_b64 s[18:19], 0
.LBB103_2035:
	s_and_b64 vcc, exec, s[18:19]
	s_cbranch_vccz .LBB103_2039
; %bb.2036:
	s_cmp_eq_u32 s26, 29
	s_cbranch_scc0 .LBB103_2038
; %bb.2037:
	global_load_dwordx2 v[16:17], v[14:15], off
	s_mov_b64 s[2:3], 0
	s_mov_b64 s[16:17], -1
	s_mov_b64 s[18:19], 0
	s_waitcnt vmcnt(0)
	v_ffbh_u32_e32 v5, v17
	v_min_u32_e32 v5, 32, v5
	v_lshlrev_b64 v[16:17], v5, v[16:17]
	v_sub_u32_e32 v5, 32, v5
	v_min_u32_e32 v8, 1, v16
	v_or_b32_e32 v8, v17, v8
	v_cvt_f32_u32_e32 v8, v8
	v_ldexp_f32 v16, v8, v5
	s_branch .LBB103_2040
.LBB103_2038:
	s_mov_b64 s[2:3], -1
                                        ; implicit-def: $vgpr16
.LBB103_2039:
	s_mov_b64 s[18:19], 0
.LBB103_2040:
	s_and_b64 vcc, exec, s[18:19]
	s_cbranch_vccz .LBB103_2058
; %bb.2041:
	s_cmp_lt_i32 s26, 27
	s_cbranch_scc1 .LBB103_2044
; %bb.2042:
	s_cmp_gt_i32 s26, 27
	s_cbranch_scc0 .LBB103_2045
; %bb.2043:
	global_load_dword v5, v[14:15], off
	s_mov_b64 s[16:17], 0
	s_waitcnt vmcnt(0)
	v_cvt_f32_u32_e32 v16, v5
	s_branch .LBB103_2046
.LBB103_2044:
	s_mov_b64 s[16:17], -1
                                        ; implicit-def: $vgpr16
	s_branch .LBB103_2049
.LBB103_2045:
	s_mov_b64 s[16:17], -1
                                        ; implicit-def: $vgpr16
.LBB103_2046:
	s_andn2_b64 vcc, exec, s[16:17]
	s_cbranch_vccnz .LBB103_2048
; %bb.2047:
	global_load_ushort v5, v[14:15], off
	s_waitcnt vmcnt(0)
	v_cvt_f32_u32_e32 v16, v5
.LBB103_2048:
	s_mov_b64 s[16:17], 0
.LBB103_2049:
	s_andn2_b64 vcc, exec, s[16:17]
	s_cbranch_vccnz .LBB103_2057
; %bb.2050:
	global_load_ubyte v5, v[14:15], off
	s_movk_i32 s16, 0x7f
	s_waitcnt vmcnt(0)
	v_cmp_lt_i16_e32 vcc, s16, v5
	s_mov_b64 s[16:17], 0
	s_and_saveexec_b64 s[18:19], vcc
	s_xor_b64 s[18:19], exec, s[18:19]
	s_cbranch_execz .LBB103_2071
; %bb.2051:
	s_movk_i32 s16, 0x80
	v_cmp_eq_u16_e32 vcc, s16, v5
	s_mov_b64 s[16:17], -1
	s_and_saveexec_b64 s[20:21], vcc
; %bb.2052:
	s_xor_b64 s[16:17], exec, -1
; %bb.2053:
	s_or_b64 exec, exec, s[20:21]
	s_and_b64 s[16:17], s[16:17], exec
	s_or_saveexec_b64 s[18:19], s[18:19]
	v_mov_b32_e32 v16, 0x7f800001
	s_xor_b64 exec, exec, s[18:19]
	s_cbranch_execnz .LBB103_2072
.LBB103_2054:
	s_or_b64 exec, exec, s[18:19]
	s_and_saveexec_b64 s[18:19], s[16:17]
	s_cbranch_execz .LBB103_2056
.LBB103_2055:
	v_lshlrev_b32_e32 v8, 24, v5
	v_and_b32_e32 v5, 0xffff, v5
	v_and_b32_e32 v10, 7, v5
	v_ffbh_u32_e32 v16, v10
	v_min_u32_e32 v16, 32, v16
	v_subrev_u32_e32 v17, 28, v16
	v_bfe_u32 v12, v5, 3, 4
	v_lshlrev_b32_e32 v5, v17, v5
	v_sub_u32_e32 v16, 29, v16
	v_and_b32_e32 v5, 7, v5
	v_cmp_eq_u32_e32 vcc, 0, v12
	v_cndmask_b32_e32 v12, v12, v16, vcc
	v_cndmask_b32_e32 v5, v10, v5, vcc
	v_mov_b32_e32 v10, 0x3b800000
	v_lshlrev_b32_e32 v5, 20, v5
	v_and_b32_e32 v8, 0x80000000, v8
	v_lshl_add_u32 v10, v12, 23, v10
	v_or3_b32 v16, v8, v10, v5
.LBB103_2056:
	s_or_b64 exec, exec, s[18:19]
.LBB103_2057:
	s_mov_b64 s[16:17], -1
.LBB103_2058:
	s_mov_b64 s[18:19], 0
.LBB103_2059:
	s_and_b64 vcc, exec, s[18:19]
	s_cbranch_vccz .LBB103_2092
; %bb.2060:
	s_cmp_gt_i32 s26, 22
	s_cbranch_scc0 .LBB103_2070
; %bb.2061:
	s_cmp_lt_i32 s26, 24
	s_cbranch_scc1 .LBB103_2073
; %bb.2062:
	s_cmp_gt_i32 s26, 24
	s_cbranch_scc0 .LBB103_2074
; %bb.2063:
	global_load_ubyte v5, v[14:15], off
	s_movk_i32 s4, 0x7f
	s_waitcnt vmcnt(0)
	v_cmp_lt_i16_e32 vcc, s4, v5
	s_mov_b64 s[4:5], 0
	s_and_saveexec_b64 s[16:17], vcc
	s_xor_b64 s[16:17], exec, s[16:17]
	s_cbranch_execz .LBB103_2086
; %bb.2064:
	s_movk_i32 s4, 0x80
	v_cmp_eq_u16_e32 vcc, s4, v5
	s_mov_b64 s[4:5], -1
	s_and_saveexec_b64 s[18:19], vcc
; %bb.2065:
	s_xor_b64 s[4:5], exec, -1
; %bb.2066:
	s_or_b64 exec, exec, s[18:19]
	s_and_b64 s[4:5], s[4:5], exec
	s_or_saveexec_b64 s[16:17], s[16:17]
	v_mov_b32_e32 v16, 0x7f800001
	s_xor_b64 exec, exec, s[16:17]
	s_cbranch_execnz .LBB103_2087
.LBB103_2067:
	s_or_b64 exec, exec, s[16:17]
	s_and_saveexec_b64 s[16:17], s[4:5]
	s_cbranch_execz .LBB103_2069
.LBB103_2068:
	v_lshlrev_b32_e32 v8, 24, v5
	v_and_b32_e32 v5, 0xffff, v5
	v_and_b32_e32 v10, 3, v5
	v_ffbh_u32_e32 v16, v10
	v_min_u32_e32 v16, 32, v16
	v_subrev_u32_e32 v17, 29, v16
	v_bfe_u32 v12, v5, 2, 5
	v_lshlrev_b32_e32 v5, v17, v5
	v_sub_u32_e32 v16, 30, v16
	v_and_b32_e32 v5, 3, v5
	v_cmp_eq_u32_e32 vcc, 0, v12
	v_cndmask_b32_e32 v12, v12, v16, vcc
	v_cndmask_b32_e32 v5, v10, v5, vcc
	v_mov_b32_e32 v10, 0x37800000
	v_lshlrev_b32_e32 v5, 21, v5
	v_and_b32_e32 v8, 0x80000000, v8
	v_lshl_add_u32 v10, v12, 23, v10
	v_or3_b32 v16, v8, v10, v5
.LBB103_2069:
	s_or_b64 exec, exec, s[16:17]
	s_mov_b64 s[4:5], 0
	s_branch .LBB103_2075
.LBB103_2070:
	s_mov_b64 s[4:5], -1
                                        ; implicit-def: $vgpr16
	s_branch .LBB103_2081
.LBB103_2071:
	s_or_saveexec_b64 s[18:19], s[18:19]
	v_mov_b32_e32 v16, 0x7f800001
	s_xor_b64 exec, exec, s[18:19]
	s_cbranch_execz .LBB103_2054
.LBB103_2072:
	v_cmp_ne_u16_e32 vcc, 0, v5
	s_andn2_b64 s[16:17], s[16:17], exec
	s_and_b64 s[20:21], vcc, exec
	v_mov_b32_e32 v16, 0
	s_or_b64 s[16:17], s[16:17], s[20:21]
	s_or_b64 exec, exec, s[18:19]
	s_and_saveexec_b64 s[18:19], s[16:17]
	s_cbranch_execnz .LBB103_2055
	s_branch .LBB103_2056
.LBB103_2073:
	s_mov_b64 s[4:5], -1
                                        ; implicit-def: $vgpr16
	s_branch .LBB103_2078
.LBB103_2074:
	s_mov_b64 s[4:5], -1
                                        ; implicit-def: $vgpr16
.LBB103_2075:
	s_and_b64 vcc, exec, s[4:5]
	s_cbranch_vccz .LBB103_2077
; %bb.2076:
	global_load_ubyte v5, v[14:15], off
	s_mov_b32 s4, 0x7f800000
	s_waitcnt vmcnt(0)
	v_lshlrev_b32_e32 v5, 24, v5
	v_and_b32_e32 v8, 0x7f000000, v5
	v_ffbh_u32_e32 v10, v8
	v_min_u32_e32 v10, 32, v10
	v_sub_u32_e64 v10, v10, 4 clamp
	v_lshlrev_b32_e32 v16, v10, v8
	v_lshlrev_b32_e32 v10, 23, v10
	v_lshrrev_b32_e32 v16, 4, v16
	v_add_u32_e32 v12, 0x1000000, v8
	v_sub_u32_e32 v10, v16, v10
	v_ashrrev_i32_e32 v12, 8, v12
	v_add_u32_e32 v10, 0x3c000000, v10
	v_and_or_b32 v10, v12, s4, v10
	v_cmp_ne_u32_e32 vcc, 0, v8
	v_cndmask_b32_e32 v8, 0, v10, vcc
	s_brev_b32 s4, 1
	v_and_or_b32 v16, v5, s4, v8
.LBB103_2077:
	s_mov_b64 s[4:5], 0
.LBB103_2078:
	s_andn2_b64 vcc, exec, s[4:5]
	s_cbranch_vccnz .LBB103_2080
; %bb.2079:
	global_load_ubyte v5, v[14:15], off
	s_movk_i32 s4, 0x7f00
	s_brev_b32 s5, 16
	s_waitcnt vmcnt(0)
	v_lshlrev_b16_e32 v8, 8, v5
	v_lshlrev_b32_e32 v5, 25, v5
	v_lshrrev_b32_e32 v10, 4, v5
	v_and_or_b32 v12, v8, s4, 0.5
	v_or_b32_e32 v10, 0x70000000, v10
	v_add_f32_e32 v12, -0.5, v12
	v_mul_f32_e32 v10, 0x7800000, v10
	v_cmp_gt_u32_e32 vcc, s5, v5
	v_bfe_i32 v8, v8, 0, 16
	v_cndmask_b32_e32 v5, v10, v12, vcc
	s_brev_b32 s4, 1
	v_and_or_b32 v16, v8, s4, v5
.LBB103_2080:
	s_mov_b64 s[4:5], 0
	s_mov_b64 s[16:17], -1
.LBB103_2081:
	s_andn2_b64 vcc, exec, s[4:5]
	s_mov_b64 s[4:5], 0
	s_cbranch_vccnz .LBB103_2092
; %bb.2082:
	s_cmp_gt_i32 s26, 14
	s_cbranch_scc0 .LBB103_2085
; %bb.2083:
	s_cmp_eq_u32 s26, 15
	s_cbranch_scc0 .LBB103_2088
; %bb.2084:
	global_load_ushort v5, v[14:15], off
	s_mov_b64 s[2:3], 0
	s_mov_b64 s[16:17], -1
	s_waitcnt vmcnt(0)
	v_lshlrev_b32_e32 v16, 16, v5
	s_branch .LBB103_2089
.LBB103_2085:
	s_mov_b64 s[18:19], -1
                                        ; implicit-def: $vgpr16
	s_branch .LBB103_2090
.LBB103_2086:
	s_or_saveexec_b64 s[16:17], s[16:17]
	v_mov_b32_e32 v16, 0x7f800001
	s_xor_b64 exec, exec, s[16:17]
	s_cbranch_execz .LBB103_2067
.LBB103_2087:
	v_cmp_ne_u16_e32 vcc, 0, v5
	s_andn2_b64 s[4:5], s[4:5], exec
	s_and_b64 s[18:19], vcc, exec
	v_mov_b32_e32 v16, 0
	s_or_b64 s[4:5], s[4:5], s[18:19]
	s_or_b64 exec, exec, s[16:17]
	s_and_saveexec_b64 s[16:17], s[4:5]
	s_cbranch_execnz .LBB103_2068
	s_branch .LBB103_2069
.LBB103_2088:
	s_mov_b64 s[2:3], -1
                                        ; implicit-def: $vgpr16
.LBB103_2089:
	s_mov_b64 s[18:19], 0
.LBB103_2090:
	s_and_b64 vcc, exec, s[18:19]
	s_cbranch_vccz .LBB103_2092
; %bb.2091:
	s_cmp_lg_u32 s26, 11
	s_mov_b64 s[4:5], -1
	s_cselect_b64 s[2:3], -1, 0
.LBB103_2092:
	s_and_b64 vcc, exec, s[2:3]
	s_cbranch_vccnz .LBB103_2157
; %bb.2093:
	s_andn2_b64 vcc, exec, s[4:5]
	s_cbranch_vccnz .LBB103_2095
.LBB103_2094:
	global_load_ubyte v5, v[14:15], off
	s_mov_b64 s[16:17], -1
	s_waitcnt vmcnt(0)
	v_cmp_ne_u16_e32 vcc, 0, v5
	v_cndmask_b32_e64 v16, 0, 1.0, vcc
.LBB103_2095:
	s_mov_b64 s[2:3], 0
.LBB103_2096:
	s_and_b64 vcc, exec, s[2:3]
	s_cbranch_vccz .LBB103_2145
; %bb.2097:
	s_and_b32 s4, 0xffff, s23
	s_cmp_lt_i32 s4, 5
	s_cbranch_scc1 .LBB103_2102
; %bb.2098:
	s_cmp_lt_i32 s4, 8
	s_cbranch_scc1 .LBB103_2103
; %bb.2099:
	;; [unrolled: 3-line block ×3, first 2 shown]
	s_cmp_gt_i32 s4, 9
	s_cbranch_scc0 .LBB103_2105
; %bb.2101:
	global_load_dwordx2 v[16:17], v[14:15], off
	s_mov_b64 s[2:3], 0
	s_waitcnt vmcnt(0)
	v_cvt_f32_f64_e32 v16, v[16:17]
	s_branch .LBB103_2106
.LBB103_2102:
	s_mov_b64 s[2:3], -1
                                        ; implicit-def: $vgpr16
	s_branch .LBB103_2124
.LBB103_2103:
	s_mov_b64 s[2:3], -1
                                        ; implicit-def: $vgpr16
	s_branch .LBB103_2112
.LBB103_2104:
	s_mov_b64 s[2:3], -1
                                        ; implicit-def: $vgpr16
	s_branch .LBB103_2109
.LBB103_2105:
	s_mov_b64 s[2:3], -1
                                        ; implicit-def: $vgpr16
.LBB103_2106:
	s_andn2_b64 vcc, exec, s[2:3]
	s_cbranch_vccnz .LBB103_2108
; %bb.2107:
	global_load_dword v16, v[14:15], off
.LBB103_2108:
	s_mov_b64 s[2:3], 0
.LBB103_2109:
	s_andn2_b64 vcc, exec, s[2:3]
	s_cbranch_vccnz .LBB103_2111
; %bb.2110:
	global_load_dword v5, v[14:15], off
	s_waitcnt vmcnt(0)
	v_cvt_f32_f16_e32 v16, v5
.LBB103_2111:
	s_mov_b64 s[2:3], 0
.LBB103_2112:
	s_andn2_b64 vcc, exec, s[2:3]
	s_cbranch_vccnz .LBB103_2123
; %bb.2113:
	s_cmp_lt_i32 s4, 6
	s_cbranch_scc1 .LBB103_2116
; %bb.2114:
	s_cmp_gt_i32 s4, 6
	s_cbranch_scc0 .LBB103_2117
; %bb.2115:
	global_load_dwordx2 v[16:17], v[14:15], off
	s_mov_b64 s[2:3], 0
	s_waitcnt vmcnt(0)
	v_cvt_f32_f64_e32 v16, v[16:17]
	s_branch .LBB103_2118
.LBB103_2116:
	s_mov_b64 s[2:3], -1
                                        ; implicit-def: $vgpr16
	s_branch .LBB103_2121
.LBB103_2117:
	s_mov_b64 s[2:3], -1
                                        ; implicit-def: $vgpr16
.LBB103_2118:
	s_andn2_b64 vcc, exec, s[2:3]
	s_cbranch_vccnz .LBB103_2120
; %bb.2119:
	global_load_dword v16, v[14:15], off
.LBB103_2120:
	s_mov_b64 s[2:3], 0
.LBB103_2121:
	s_andn2_b64 vcc, exec, s[2:3]
	s_cbranch_vccnz .LBB103_2123
; %bb.2122:
	global_load_ushort v5, v[14:15], off
	s_waitcnt vmcnt(0)
	v_cvt_f32_f16_e32 v16, v5
.LBB103_2123:
	s_mov_b64 s[2:3], 0
.LBB103_2124:
	s_andn2_b64 vcc, exec, s[2:3]
	s_cbranch_vccnz .LBB103_2144
; %bb.2125:
	s_cmp_lt_i32 s4, 2
	s_cbranch_scc1 .LBB103_2129
; %bb.2126:
	s_cmp_lt_i32 s4, 3
	s_cbranch_scc1 .LBB103_2130
; %bb.2127:
	s_cmp_gt_i32 s4, 3
	s_cbranch_scc0 .LBB103_2131
; %bb.2128:
	global_load_dwordx2 v[16:17], v[14:15], off
	s_mov_b64 s[2:3], 0
	s_waitcnt vmcnt(0)
	v_xor_b32_e32 v8, v16, v17
	v_ffbh_i32_e32 v5, v17
	v_ashrrev_i32_e32 v8, 31, v8
	v_add_u32_e32 v5, -1, v5
	v_add_u32_e32 v8, 32, v8
	v_min_u32_e32 v5, v5, v8
	v_lshlrev_b64 v[16:17], v5, v[16:17]
	v_sub_u32_e32 v5, 32, v5
	v_min_u32_e32 v8, 1, v16
	v_or_b32_e32 v8, v17, v8
	v_cvt_f32_i32_e32 v8, v8
	v_ldexp_f32 v16, v8, v5
	s_branch .LBB103_2132
.LBB103_2129:
	s_mov_b64 s[2:3], -1
                                        ; implicit-def: $vgpr16
	s_branch .LBB103_2138
.LBB103_2130:
	s_mov_b64 s[2:3], -1
                                        ; implicit-def: $vgpr16
	s_branch .LBB103_2135
.LBB103_2131:
	s_mov_b64 s[2:3], -1
                                        ; implicit-def: $vgpr16
.LBB103_2132:
	s_andn2_b64 vcc, exec, s[2:3]
	s_cbranch_vccnz .LBB103_2134
; %bb.2133:
	global_load_dword v5, v[14:15], off
	s_waitcnt vmcnt(0)
	v_cvt_f32_i32_e32 v16, v5
.LBB103_2134:
	s_mov_b64 s[2:3], 0
.LBB103_2135:
	s_andn2_b64 vcc, exec, s[2:3]
	s_cbranch_vccnz .LBB103_2137
; %bb.2136:
	global_load_sshort v5, v[14:15], off
	s_waitcnt vmcnt(0)
	v_cvt_f32_i32_e32 v16, v5
.LBB103_2137:
	s_mov_b64 s[2:3], 0
.LBB103_2138:
	s_andn2_b64 vcc, exec, s[2:3]
	s_cbranch_vccnz .LBB103_2144
; %bb.2139:
	s_cmp_gt_i32 s4, 0
	s_cbranch_scc0 .LBB103_2141
; %bb.2140:
	global_load_sbyte v5, v[14:15], off
	s_mov_b64 s[2:3], 0
	s_waitcnt vmcnt(0)
	v_cvt_f32_i32_e32 v16, v5
	s_branch .LBB103_2142
.LBB103_2141:
	s_mov_b64 s[2:3], -1
                                        ; implicit-def: $vgpr16
.LBB103_2142:
	s_andn2_b64 vcc, exec, s[2:3]
	s_cbranch_vccnz .LBB103_2144
; %bb.2143:
	global_load_ubyte v5, v[14:15], off
	s_waitcnt vmcnt(0)
	v_cvt_f32_ubyte0_e32 v16, v5
.LBB103_2144:
	s_mov_b64 s[16:17], -1
.LBB103_2145:
	s_andn2_b64 vcc, exec, s[16:17]
	s_cbranch_vccnz .LBB103_3101
; %bb.2146:
	v_mov_b32_e32 v5, s11
	v_add_co_u32_e32 v12, vcc, s10, v13
	s_cmp_lt_i32 s22, 11
	v_addc_co_u32_e32 v13, vcc, 0, v5, vcc
	s_cbranch_scc1 .LBB103_2153
; %bb.2147:
	s_and_b32 s26, 0xffff, s22
	s_cmp_gt_i32 s26, 25
	s_mov_b64 s[4:5], 0
	s_cbranch_scc0 .LBB103_2154
; %bb.2148:
	s_cmp_gt_i32 s26, 28
	s_cbranch_scc0 .LBB103_2155
; %bb.2149:
	s_cmp_gt_i32 s26, 43
	;; [unrolled: 3-line block ×3, first 2 shown]
	s_cbranch_scc0 .LBB103_2158
; %bb.2151:
	s_cmp_eq_u32 s26, 46
	s_mov_b64 s[18:19], 0
	s_cbranch_scc0 .LBB103_2159
; %bb.2152:
	global_load_dword v5, v[12:13], off
	s_mov_b64 s[2:3], 0
	s_mov_b64 s[16:17], -1
	s_waitcnt vmcnt(0)
	v_lshlrev_b32_e32 v14, 16, v5
	s_branch .LBB103_2160
.LBB103_2153:
	s_mov_b64 s[2:3], -1
	s_mov_b64 s[16:17], 0
                                        ; implicit-def: $vgpr14
	s_branch .LBB103_2226
.LBB103_2154:
	s_mov_b64 s[18:19], -1
	s_mov_b64 s[16:17], 0
	s_mov_b64 s[2:3], 0
                                        ; implicit-def: $vgpr14
	s_branch .LBB103_2189
.LBB103_2155:
	s_mov_b64 s[18:19], -1
	s_mov_b64 s[16:17], 0
	s_mov_b64 s[2:3], 0
                                        ; implicit-def: $vgpr14
	s_branch .LBB103_2170
.LBB103_2156:
	s_mov_b64 s[18:19], -1
	s_mov_b64 s[16:17], 0
	s_mov_b64 s[2:3], 0
                                        ; implicit-def: $vgpr14
	s_branch .LBB103_2165
.LBB103_2157:
	s_trap 2
	s_or_b64 s[14:15], s[14:15], exec
	s_cbranch_execz .LBB103_2094
	s_branch .LBB103_2095
.LBB103_2158:
	s_mov_b64 s[18:19], -1
	s_mov_b64 s[16:17], 0
	s_mov_b64 s[2:3], 0
                                        ; implicit-def: $vgpr14
	s_branch .LBB103_2160
.LBB103_2159:
	s_mov_b64 s[2:3], -1
                                        ; implicit-def: $vgpr14
	s_mov_b64 s[16:17], 0
.LBB103_2160:
	s_and_b64 vcc, exec, s[18:19]
	s_cbranch_vccz .LBB103_2164
; %bb.2161:
	s_cmp_eq_u32 s26, 44
	s_cbranch_scc0 .LBB103_2163
; %bb.2162:
	global_load_ubyte v5, v[12:13], off
	s_movk_i32 s16, 0xff
	v_mov_b32_e32 v8, 0x7f800001
	v_mov_b32_e32 v10, 0x400000
	s_mov_b64 s[2:3], 0
	s_waitcnt vmcnt(0)
	v_lshlrev_b32_e32 v14, 23, v5
	v_cmp_ne_u32_e32 vcc, s16, v5
	v_cndmask_b32_e32 v8, v8, v14, vcc
	v_cmp_ne_u32_e32 vcc, 0, v5
	v_cndmask_b32_e32 v14, v10, v8, vcc
	s_mov_b64 s[16:17], -1
	s_branch .LBB103_2164
.LBB103_2163:
	s_mov_b64 s[2:3], -1
                                        ; implicit-def: $vgpr14
.LBB103_2164:
	s_mov_b64 s[18:19], 0
.LBB103_2165:
	s_and_b64 vcc, exec, s[18:19]
	s_cbranch_vccz .LBB103_2169
; %bb.2166:
	s_cmp_eq_u32 s26, 29
	s_cbranch_scc0 .LBB103_2168
; %bb.2167:
	global_load_dwordx2 v[14:15], v[12:13], off
	s_mov_b64 s[2:3], 0
	s_mov_b64 s[16:17], -1
	s_mov_b64 s[18:19], 0
	s_waitcnt vmcnt(0)
	v_ffbh_u32_e32 v5, v15
	v_min_u32_e32 v5, 32, v5
	v_lshlrev_b64 v[14:15], v5, v[14:15]
	v_sub_u32_e32 v5, 32, v5
	v_min_u32_e32 v8, 1, v14
	v_or_b32_e32 v8, v15, v8
	v_cvt_f32_u32_e32 v8, v8
	v_ldexp_f32 v14, v8, v5
	s_branch .LBB103_2170
.LBB103_2168:
	s_mov_b64 s[2:3], -1
                                        ; implicit-def: $vgpr14
.LBB103_2169:
	s_mov_b64 s[18:19], 0
.LBB103_2170:
	s_and_b64 vcc, exec, s[18:19]
	s_cbranch_vccz .LBB103_2188
; %bb.2171:
	s_cmp_lt_i32 s26, 27
	s_cbranch_scc1 .LBB103_2174
; %bb.2172:
	s_cmp_gt_i32 s26, 27
	s_cbranch_scc0 .LBB103_2175
; %bb.2173:
	global_load_dword v5, v[12:13], off
	s_mov_b64 s[16:17], 0
	s_waitcnt vmcnt(0)
	v_cvt_f32_u32_e32 v14, v5
	s_branch .LBB103_2176
.LBB103_2174:
	s_mov_b64 s[16:17], -1
                                        ; implicit-def: $vgpr14
	s_branch .LBB103_2179
.LBB103_2175:
	s_mov_b64 s[16:17], -1
                                        ; implicit-def: $vgpr14
.LBB103_2176:
	s_andn2_b64 vcc, exec, s[16:17]
	s_cbranch_vccnz .LBB103_2178
; %bb.2177:
	global_load_ushort v5, v[12:13], off
	s_waitcnt vmcnt(0)
	v_cvt_f32_u32_e32 v14, v5
.LBB103_2178:
	s_mov_b64 s[16:17], 0
.LBB103_2179:
	s_andn2_b64 vcc, exec, s[16:17]
	s_cbranch_vccnz .LBB103_2187
; %bb.2180:
	global_load_ubyte v5, v[12:13], off
	s_movk_i32 s16, 0x7f
	s_waitcnt vmcnt(0)
	v_cmp_lt_i16_e32 vcc, s16, v5
	s_mov_b64 s[16:17], 0
	s_and_saveexec_b64 s[18:19], vcc
	s_xor_b64 s[18:19], exec, s[18:19]
	s_cbranch_execz .LBB103_2201
; %bb.2181:
	s_movk_i32 s16, 0x80
	v_cmp_eq_u16_e32 vcc, s16, v5
	s_mov_b64 s[16:17], -1
	s_and_saveexec_b64 s[20:21], vcc
; %bb.2182:
	s_xor_b64 s[16:17], exec, -1
; %bb.2183:
	s_or_b64 exec, exec, s[20:21]
	s_and_b64 s[16:17], s[16:17], exec
	s_or_saveexec_b64 s[18:19], s[18:19]
	v_mov_b32_e32 v14, 0x7f800001
	s_xor_b64 exec, exec, s[18:19]
	s_cbranch_execnz .LBB103_2202
.LBB103_2184:
	s_or_b64 exec, exec, s[18:19]
	s_and_saveexec_b64 s[18:19], s[16:17]
	s_cbranch_execz .LBB103_2186
.LBB103_2185:
	v_lshlrev_b32_e32 v8, 24, v5
	v_and_b32_e32 v5, 0xffff, v5
	v_and_b32_e32 v10, 7, v5
	v_ffbh_u32_e32 v15, v10
	v_min_u32_e32 v15, 32, v15
	v_subrev_u32_e32 v17, 28, v15
	v_bfe_u32 v14, v5, 3, 4
	v_lshlrev_b32_e32 v5, v17, v5
	v_sub_u32_e32 v15, 29, v15
	v_and_b32_e32 v5, 7, v5
	v_cmp_eq_u32_e32 vcc, 0, v14
	v_cndmask_b32_e32 v14, v14, v15, vcc
	v_cndmask_b32_e32 v5, v10, v5, vcc
	v_mov_b32_e32 v10, 0x3b800000
	v_lshlrev_b32_e32 v5, 20, v5
	v_and_b32_e32 v8, 0x80000000, v8
	v_lshl_add_u32 v10, v14, 23, v10
	v_or3_b32 v14, v8, v10, v5
.LBB103_2186:
	s_or_b64 exec, exec, s[18:19]
.LBB103_2187:
	s_mov_b64 s[16:17], -1
.LBB103_2188:
	s_mov_b64 s[18:19], 0
.LBB103_2189:
	s_and_b64 vcc, exec, s[18:19]
	s_cbranch_vccz .LBB103_2222
; %bb.2190:
	s_cmp_gt_i32 s26, 22
	s_cbranch_scc0 .LBB103_2200
; %bb.2191:
	s_cmp_lt_i32 s26, 24
	s_cbranch_scc1 .LBB103_2203
; %bb.2192:
	s_cmp_gt_i32 s26, 24
	s_cbranch_scc0 .LBB103_2204
; %bb.2193:
	global_load_ubyte v5, v[12:13], off
	s_movk_i32 s4, 0x7f
	s_waitcnt vmcnt(0)
	v_cmp_lt_i16_e32 vcc, s4, v5
	s_mov_b64 s[4:5], 0
	s_and_saveexec_b64 s[16:17], vcc
	s_xor_b64 s[16:17], exec, s[16:17]
	s_cbranch_execz .LBB103_2216
; %bb.2194:
	s_movk_i32 s4, 0x80
	v_cmp_eq_u16_e32 vcc, s4, v5
	s_mov_b64 s[4:5], -1
	s_and_saveexec_b64 s[18:19], vcc
; %bb.2195:
	s_xor_b64 s[4:5], exec, -1
; %bb.2196:
	s_or_b64 exec, exec, s[18:19]
	s_and_b64 s[4:5], s[4:5], exec
	s_or_saveexec_b64 s[16:17], s[16:17]
	v_mov_b32_e32 v14, 0x7f800001
	s_xor_b64 exec, exec, s[16:17]
	s_cbranch_execnz .LBB103_2217
.LBB103_2197:
	s_or_b64 exec, exec, s[16:17]
	s_and_saveexec_b64 s[16:17], s[4:5]
	s_cbranch_execz .LBB103_2199
.LBB103_2198:
	v_lshlrev_b32_e32 v8, 24, v5
	v_and_b32_e32 v5, 0xffff, v5
	v_and_b32_e32 v10, 3, v5
	v_ffbh_u32_e32 v15, v10
	v_min_u32_e32 v15, 32, v15
	v_subrev_u32_e32 v17, 29, v15
	v_bfe_u32 v14, v5, 2, 5
	v_lshlrev_b32_e32 v5, v17, v5
	v_sub_u32_e32 v15, 30, v15
	v_and_b32_e32 v5, 3, v5
	v_cmp_eq_u32_e32 vcc, 0, v14
	v_cndmask_b32_e32 v14, v14, v15, vcc
	v_cndmask_b32_e32 v5, v10, v5, vcc
	v_mov_b32_e32 v10, 0x37800000
	v_lshlrev_b32_e32 v5, 21, v5
	v_and_b32_e32 v8, 0x80000000, v8
	v_lshl_add_u32 v10, v14, 23, v10
	v_or3_b32 v14, v8, v10, v5
.LBB103_2199:
	s_or_b64 exec, exec, s[16:17]
	s_mov_b64 s[4:5], 0
	s_branch .LBB103_2205
.LBB103_2200:
	s_mov_b64 s[4:5], -1
                                        ; implicit-def: $vgpr14
	s_branch .LBB103_2211
.LBB103_2201:
	s_or_saveexec_b64 s[18:19], s[18:19]
	v_mov_b32_e32 v14, 0x7f800001
	s_xor_b64 exec, exec, s[18:19]
	s_cbranch_execz .LBB103_2184
.LBB103_2202:
	v_cmp_ne_u16_e32 vcc, 0, v5
	s_andn2_b64 s[16:17], s[16:17], exec
	s_and_b64 s[20:21], vcc, exec
	v_mov_b32_e32 v14, 0
	s_or_b64 s[16:17], s[16:17], s[20:21]
	s_or_b64 exec, exec, s[18:19]
	s_and_saveexec_b64 s[18:19], s[16:17]
	s_cbranch_execnz .LBB103_2185
	s_branch .LBB103_2186
.LBB103_2203:
	s_mov_b64 s[4:5], -1
                                        ; implicit-def: $vgpr14
	s_branch .LBB103_2208
.LBB103_2204:
	s_mov_b64 s[4:5], -1
                                        ; implicit-def: $vgpr14
.LBB103_2205:
	s_and_b64 vcc, exec, s[4:5]
	s_cbranch_vccz .LBB103_2207
; %bb.2206:
	global_load_ubyte v5, v[12:13], off
	s_mov_b32 s4, 0x7f800000
	s_waitcnt vmcnt(0)
	v_lshlrev_b32_e32 v5, 24, v5
	v_and_b32_e32 v8, 0x7f000000, v5
	v_ffbh_u32_e32 v10, v8
	v_min_u32_e32 v10, 32, v10
	v_sub_u32_e64 v10, v10, 4 clamp
	v_lshlrev_b32_e32 v15, v10, v8
	v_lshlrev_b32_e32 v10, 23, v10
	v_lshrrev_b32_e32 v15, 4, v15
	v_add_u32_e32 v14, 0x1000000, v8
	v_sub_u32_e32 v10, v15, v10
	v_ashrrev_i32_e32 v14, 8, v14
	v_add_u32_e32 v10, 0x3c000000, v10
	v_and_or_b32 v10, v14, s4, v10
	v_cmp_ne_u32_e32 vcc, 0, v8
	v_cndmask_b32_e32 v8, 0, v10, vcc
	s_brev_b32 s4, 1
	v_and_or_b32 v14, v5, s4, v8
.LBB103_2207:
	s_mov_b64 s[4:5], 0
.LBB103_2208:
	s_andn2_b64 vcc, exec, s[4:5]
	s_cbranch_vccnz .LBB103_2210
; %bb.2209:
	global_load_ubyte v5, v[12:13], off
	s_movk_i32 s4, 0x7f00
	s_brev_b32 s5, 16
	s_waitcnt vmcnt(0)
	v_lshlrev_b16_e32 v8, 8, v5
	v_lshlrev_b32_e32 v5, 25, v5
	v_lshrrev_b32_e32 v10, 4, v5
	v_and_or_b32 v14, v8, s4, 0.5
	v_or_b32_e32 v10, 0x70000000, v10
	v_add_f32_e32 v14, -0.5, v14
	v_mul_f32_e32 v10, 0x7800000, v10
	v_cmp_gt_u32_e32 vcc, s5, v5
	v_bfe_i32 v8, v8, 0, 16
	v_cndmask_b32_e32 v5, v10, v14, vcc
	s_brev_b32 s4, 1
	v_and_or_b32 v14, v8, s4, v5
.LBB103_2210:
	s_mov_b64 s[4:5], 0
	s_mov_b64 s[16:17], -1
.LBB103_2211:
	s_andn2_b64 vcc, exec, s[4:5]
	s_mov_b64 s[4:5], 0
	s_cbranch_vccnz .LBB103_2222
; %bb.2212:
	s_cmp_gt_i32 s26, 14
	s_cbranch_scc0 .LBB103_2215
; %bb.2213:
	s_cmp_eq_u32 s26, 15
	s_cbranch_scc0 .LBB103_2218
; %bb.2214:
	global_load_ushort v5, v[12:13], off
	s_mov_b64 s[2:3], 0
	s_mov_b64 s[16:17], -1
	s_waitcnt vmcnt(0)
	v_lshlrev_b32_e32 v14, 16, v5
	s_branch .LBB103_2219
.LBB103_2215:
	s_mov_b64 s[18:19], -1
                                        ; implicit-def: $vgpr14
	s_branch .LBB103_2220
.LBB103_2216:
	s_or_saveexec_b64 s[16:17], s[16:17]
	v_mov_b32_e32 v14, 0x7f800001
	s_xor_b64 exec, exec, s[16:17]
	s_cbranch_execz .LBB103_2197
.LBB103_2217:
	v_cmp_ne_u16_e32 vcc, 0, v5
	s_andn2_b64 s[4:5], s[4:5], exec
	s_and_b64 s[18:19], vcc, exec
	v_mov_b32_e32 v14, 0
	s_or_b64 s[4:5], s[4:5], s[18:19]
	s_or_b64 exec, exec, s[16:17]
	s_and_saveexec_b64 s[16:17], s[4:5]
	s_cbranch_execnz .LBB103_2198
	s_branch .LBB103_2199
.LBB103_2218:
	s_mov_b64 s[2:3], -1
                                        ; implicit-def: $vgpr14
.LBB103_2219:
	s_mov_b64 s[18:19], 0
.LBB103_2220:
	s_and_b64 vcc, exec, s[18:19]
	s_cbranch_vccz .LBB103_2222
; %bb.2221:
	s_cmp_lg_u32 s26, 11
	s_mov_b64 s[4:5], -1
	s_cselect_b64 s[2:3], -1, 0
.LBB103_2222:
	s_and_b64 vcc, exec, s[2:3]
	s_cbranch_vccnz .LBB103_2287
; %bb.2223:
	s_andn2_b64 vcc, exec, s[4:5]
	s_cbranch_vccnz .LBB103_2225
.LBB103_2224:
	global_load_ubyte v5, v[12:13], off
	s_mov_b64 s[16:17], -1
	s_waitcnt vmcnt(0)
	v_cmp_ne_u16_e32 vcc, 0, v5
	v_cndmask_b32_e64 v14, 0, 1.0, vcc
.LBB103_2225:
	s_mov_b64 s[2:3], 0
.LBB103_2226:
	s_and_b64 vcc, exec, s[2:3]
	s_cbranch_vccz .LBB103_2275
; %bb.2227:
	s_and_b32 s4, 0xffff, s22
	s_cmp_lt_i32 s4, 5
	s_cbranch_scc1 .LBB103_2232
; %bb.2228:
	s_cmp_lt_i32 s4, 8
	s_cbranch_scc1 .LBB103_2233
; %bb.2229:
	;; [unrolled: 3-line block ×3, first 2 shown]
	s_cmp_gt_i32 s4, 9
	s_cbranch_scc0 .LBB103_2235
; %bb.2231:
	global_load_dwordx2 v[14:15], v[12:13], off
	s_mov_b64 s[2:3], 0
	s_waitcnt vmcnt(0)
	v_cvt_f32_f64_e32 v14, v[14:15]
	s_branch .LBB103_2236
.LBB103_2232:
	s_mov_b64 s[2:3], -1
                                        ; implicit-def: $vgpr14
	s_branch .LBB103_2254
.LBB103_2233:
	s_mov_b64 s[2:3], -1
                                        ; implicit-def: $vgpr14
	s_branch .LBB103_2242
.LBB103_2234:
	s_mov_b64 s[2:3], -1
                                        ; implicit-def: $vgpr14
	s_branch .LBB103_2239
.LBB103_2235:
	s_mov_b64 s[2:3], -1
                                        ; implicit-def: $vgpr14
.LBB103_2236:
	s_andn2_b64 vcc, exec, s[2:3]
	s_cbranch_vccnz .LBB103_2238
; %bb.2237:
	global_load_dword v14, v[12:13], off
.LBB103_2238:
	s_mov_b64 s[2:3], 0
.LBB103_2239:
	s_andn2_b64 vcc, exec, s[2:3]
	s_cbranch_vccnz .LBB103_2241
; %bb.2240:
	global_load_dword v5, v[12:13], off
	s_waitcnt vmcnt(0)
	v_cvt_f32_f16_e32 v14, v5
.LBB103_2241:
	s_mov_b64 s[2:3], 0
.LBB103_2242:
	s_andn2_b64 vcc, exec, s[2:3]
	s_cbranch_vccnz .LBB103_2253
; %bb.2243:
	s_cmp_lt_i32 s4, 6
	s_cbranch_scc1 .LBB103_2246
; %bb.2244:
	s_cmp_gt_i32 s4, 6
	s_cbranch_scc0 .LBB103_2247
; %bb.2245:
	global_load_dwordx2 v[14:15], v[12:13], off
	s_mov_b64 s[2:3], 0
	s_waitcnt vmcnt(0)
	v_cvt_f32_f64_e32 v14, v[14:15]
	s_branch .LBB103_2248
.LBB103_2246:
	s_mov_b64 s[2:3], -1
                                        ; implicit-def: $vgpr14
	s_branch .LBB103_2251
.LBB103_2247:
	s_mov_b64 s[2:3], -1
                                        ; implicit-def: $vgpr14
.LBB103_2248:
	s_andn2_b64 vcc, exec, s[2:3]
	s_cbranch_vccnz .LBB103_2250
; %bb.2249:
	global_load_dword v14, v[12:13], off
.LBB103_2250:
	s_mov_b64 s[2:3], 0
.LBB103_2251:
	s_andn2_b64 vcc, exec, s[2:3]
	s_cbranch_vccnz .LBB103_2253
; %bb.2252:
	global_load_ushort v5, v[12:13], off
	s_waitcnt vmcnt(0)
	v_cvt_f32_f16_e32 v14, v5
.LBB103_2253:
	s_mov_b64 s[2:3], 0
.LBB103_2254:
	s_andn2_b64 vcc, exec, s[2:3]
	s_cbranch_vccnz .LBB103_2274
; %bb.2255:
	s_cmp_lt_i32 s4, 2
	s_cbranch_scc1 .LBB103_2259
; %bb.2256:
	s_cmp_lt_i32 s4, 3
	s_cbranch_scc1 .LBB103_2260
; %bb.2257:
	s_cmp_gt_i32 s4, 3
	s_cbranch_scc0 .LBB103_2261
; %bb.2258:
	global_load_dwordx2 v[14:15], v[12:13], off
	s_mov_b64 s[2:3], 0
	s_waitcnt vmcnt(0)
	v_xor_b32_e32 v8, v14, v15
	v_ffbh_i32_e32 v5, v15
	v_ashrrev_i32_e32 v8, 31, v8
	v_add_u32_e32 v5, -1, v5
	v_add_u32_e32 v8, 32, v8
	v_min_u32_e32 v5, v5, v8
	v_lshlrev_b64 v[14:15], v5, v[14:15]
	v_sub_u32_e32 v5, 32, v5
	v_min_u32_e32 v8, 1, v14
	v_or_b32_e32 v8, v15, v8
	v_cvt_f32_i32_e32 v8, v8
	v_ldexp_f32 v14, v8, v5
	s_branch .LBB103_2262
.LBB103_2259:
	s_mov_b64 s[2:3], -1
                                        ; implicit-def: $vgpr14
	s_branch .LBB103_2268
.LBB103_2260:
	s_mov_b64 s[2:3], -1
                                        ; implicit-def: $vgpr14
	s_branch .LBB103_2265
.LBB103_2261:
	s_mov_b64 s[2:3], -1
                                        ; implicit-def: $vgpr14
.LBB103_2262:
	s_andn2_b64 vcc, exec, s[2:3]
	s_cbranch_vccnz .LBB103_2264
; %bb.2263:
	global_load_dword v5, v[12:13], off
	s_waitcnt vmcnt(0)
	v_cvt_f32_i32_e32 v14, v5
.LBB103_2264:
	s_mov_b64 s[2:3], 0
.LBB103_2265:
	s_andn2_b64 vcc, exec, s[2:3]
	s_cbranch_vccnz .LBB103_2267
; %bb.2266:
	global_load_sshort v5, v[12:13], off
	s_waitcnt vmcnt(0)
	v_cvt_f32_i32_e32 v14, v5
.LBB103_2267:
	s_mov_b64 s[2:3], 0
.LBB103_2268:
	s_andn2_b64 vcc, exec, s[2:3]
	s_cbranch_vccnz .LBB103_2274
; %bb.2269:
	s_cmp_gt_i32 s4, 0
	s_cbranch_scc0 .LBB103_2271
; %bb.2270:
	global_load_sbyte v5, v[12:13], off
	s_mov_b64 s[2:3], 0
	s_waitcnt vmcnt(0)
	v_cvt_f32_i32_e32 v14, v5
	s_branch .LBB103_2272
.LBB103_2271:
	s_mov_b64 s[2:3], -1
                                        ; implicit-def: $vgpr14
.LBB103_2272:
	s_andn2_b64 vcc, exec, s[2:3]
	s_cbranch_vccnz .LBB103_2274
; %bb.2273:
	global_load_ubyte v5, v[12:13], off
	s_waitcnt vmcnt(0)
	v_cvt_f32_ubyte0_e32 v14, v5
.LBB103_2274:
	s_mov_b64 s[16:17], -1
.LBB103_2275:
	s_andn2_b64 vcc, exec, s[16:17]
	s_cbranch_vccnz .LBB103_3101
; %bb.2276:
	v_mov_b32_e32 v5, s1
	v_add_co_u32_e32 v10, vcc, s0, v11
	s_cmp_lt_i32 s23, 11
	v_addc_co_u32_e32 v11, vcc, 0, v5, vcc
	s_cbranch_scc1 .LBB103_2283
; %bb.2277:
	s_and_b32 s26, 0xffff, s23
	s_cmp_gt_i32 s26, 25
	s_mov_b64 s[4:5], 0
	s_cbranch_scc0 .LBB103_2284
; %bb.2278:
	s_cmp_gt_i32 s26, 28
	s_cbranch_scc0 .LBB103_2285
; %bb.2279:
	s_cmp_gt_i32 s26, 43
	;; [unrolled: 3-line block ×3, first 2 shown]
	s_cbranch_scc0 .LBB103_2288
; %bb.2281:
	s_cmp_eq_u32 s26, 46
	s_mov_b64 s[18:19], 0
	s_cbranch_scc0 .LBB103_2291
; %bb.2282:
	global_load_dword v5, v[10:11], off
	s_mov_b64 s[2:3], 0
	s_mov_b64 s[16:17], -1
	s_waitcnt vmcnt(0)
	v_lshlrev_b32_e32 v12, 16, v5
	s_branch .LBB103_2292
.LBB103_2283:
	s_mov_b64 s[2:3], -1
	s_mov_b64 s[16:17], 0
                                        ; implicit-def: $vgpr12
	s_branch .LBB103_2358
.LBB103_2284:
	s_mov_b64 s[18:19], -1
	s_mov_b64 s[16:17], 0
	s_mov_b64 s[2:3], 0
                                        ; implicit-def: $vgpr12
	s_branch .LBB103_2321
.LBB103_2285:
	s_mov_b64 s[18:19], -1
	s_mov_b64 s[16:17], 0
	s_mov_b64 s[2:3], 0
                                        ; implicit-def: $vgpr12
	s_branch .LBB103_2302
.LBB103_2286:
	s_mov_b64 s[18:19], -1
	s_mov_b64 s[16:17], 0
	s_mov_b64 s[2:3], 0
                                        ; implicit-def: $vgpr12
	s_branch .LBB103_2297
.LBB103_2287:
	s_trap 2
	s_or_b64 s[14:15], s[14:15], exec
	s_cbranch_execz .LBB103_2224
	s_branch .LBB103_2225
.LBB103_2288:
	s_mov_b64 s[18:19], -1
	s_mov_b64 s[16:17], 0
	s_mov_b64 s[2:3], 0
                                        ; implicit-def: $vgpr12
	s_branch .LBB103_2292
.LBB103_2289:
	s_andn2_saveexec_b64 s[68:69], s[68:69]
	s_cbranch_execz .LBB103_1119
.LBB103_2290:
	v_add_f32_e32 v2, 0x42800000, v3
	v_and_b32_e32 v2, 0xff, v2
	v_cmp_ne_u32_e32 vcc, 0, v2
	s_andn2_b64 s[66:67], s[66:67], exec
	s_and_b64 s[76:77], vcc, exec
	s_or_b64 s[66:67], s[66:67], s[76:77]
	s_or_b64 exec, exec, s[68:69]
	v_mov_b32_e32 v4, 0
	s_and_saveexec_b64 s[68:69], s[66:67]
	s_cbranch_execnz .LBB103_1120
	s_branch .LBB103_1121
.LBB103_2291:
	s_mov_b64 s[2:3], -1
                                        ; implicit-def: $vgpr12
	s_mov_b64 s[16:17], 0
.LBB103_2292:
	s_and_b64 vcc, exec, s[18:19]
	s_cbranch_vccz .LBB103_2296
; %bb.2293:
	s_cmp_eq_u32 s26, 44
	s_cbranch_scc0 .LBB103_2295
; %bb.2294:
	global_load_ubyte v5, v[10:11], off
	s_movk_i32 s16, 0xff
	v_mov_b32_e32 v8, 0x7f800001
	v_mov_b32_e32 v12, 0x400000
	s_mov_b64 s[2:3], 0
	s_waitcnt vmcnt(0)
	v_lshlrev_b32_e32 v13, 23, v5
	v_cmp_ne_u32_e32 vcc, s16, v5
	v_cndmask_b32_e32 v8, v8, v13, vcc
	v_cmp_ne_u32_e32 vcc, 0, v5
	v_cndmask_b32_e32 v12, v12, v8, vcc
	s_mov_b64 s[16:17], -1
	s_branch .LBB103_2296
.LBB103_2295:
	s_mov_b64 s[2:3], -1
                                        ; implicit-def: $vgpr12
.LBB103_2296:
	s_mov_b64 s[18:19], 0
.LBB103_2297:
	s_and_b64 vcc, exec, s[18:19]
	s_cbranch_vccz .LBB103_2301
; %bb.2298:
	s_cmp_eq_u32 s26, 29
	s_cbranch_scc0 .LBB103_2300
; %bb.2299:
	global_load_dwordx2 v[12:13], v[10:11], off
	s_mov_b64 s[2:3], 0
	s_mov_b64 s[16:17], -1
	s_mov_b64 s[18:19], 0
	s_waitcnt vmcnt(0)
	v_ffbh_u32_e32 v5, v13
	v_min_u32_e32 v5, 32, v5
	v_lshlrev_b64 v[12:13], v5, v[12:13]
	v_sub_u32_e32 v5, 32, v5
	v_min_u32_e32 v8, 1, v12
	v_or_b32_e32 v8, v13, v8
	v_cvt_f32_u32_e32 v8, v8
	v_ldexp_f32 v12, v8, v5
	s_branch .LBB103_2302
.LBB103_2300:
	s_mov_b64 s[2:3], -1
                                        ; implicit-def: $vgpr12
.LBB103_2301:
	s_mov_b64 s[18:19], 0
.LBB103_2302:
	s_and_b64 vcc, exec, s[18:19]
	s_cbranch_vccz .LBB103_2320
; %bb.2303:
	s_cmp_lt_i32 s26, 27
	s_cbranch_scc1 .LBB103_2306
; %bb.2304:
	s_cmp_gt_i32 s26, 27
	s_cbranch_scc0 .LBB103_2307
; %bb.2305:
	global_load_dword v5, v[10:11], off
	s_mov_b64 s[16:17], 0
	s_waitcnt vmcnt(0)
	v_cvt_f32_u32_e32 v12, v5
	s_branch .LBB103_2308
.LBB103_2306:
	s_mov_b64 s[16:17], -1
                                        ; implicit-def: $vgpr12
	s_branch .LBB103_2311
.LBB103_2307:
	s_mov_b64 s[16:17], -1
                                        ; implicit-def: $vgpr12
.LBB103_2308:
	s_andn2_b64 vcc, exec, s[16:17]
	s_cbranch_vccnz .LBB103_2310
; %bb.2309:
	global_load_ushort v5, v[10:11], off
	s_waitcnt vmcnt(0)
	v_cvt_f32_u32_e32 v12, v5
.LBB103_2310:
	s_mov_b64 s[16:17], 0
.LBB103_2311:
	s_andn2_b64 vcc, exec, s[16:17]
	s_cbranch_vccnz .LBB103_2319
; %bb.2312:
	global_load_ubyte v5, v[10:11], off
	s_movk_i32 s16, 0x7f
	s_waitcnt vmcnt(0)
	v_cmp_lt_i16_e32 vcc, s16, v5
	s_mov_b64 s[16:17], 0
	s_and_saveexec_b64 s[18:19], vcc
	s_xor_b64 s[18:19], exec, s[18:19]
	s_cbranch_execz .LBB103_2333
; %bb.2313:
	s_movk_i32 s16, 0x80
	v_cmp_eq_u16_e32 vcc, s16, v5
	s_mov_b64 s[16:17], -1
	s_and_saveexec_b64 s[20:21], vcc
; %bb.2314:
	s_xor_b64 s[16:17], exec, -1
; %bb.2315:
	s_or_b64 exec, exec, s[20:21]
	s_and_b64 s[16:17], s[16:17], exec
	s_or_saveexec_b64 s[18:19], s[18:19]
	v_mov_b32_e32 v12, 0x7f800001
	s_xor_b64 exec, exec, s[18:19]
	s_cbranch_execnz .LBB103_2334
.LBB103_2316:
	s_or_b64 exec, exec, s[18:19]
	s_and_saveexec_b64 s[18:19], s[16:17]
	s_cbranch_execz .LBB103_2318
.LBB103_2317:
	v_lshlrev_b32_e32 v8, 24, v5
	v_and_b32_e32 v5, 0xffff, v5
	v_and_b32_e32 v12, 7, v5
	v_ffbh_u32_e32 v15, v12
	v_min_u32_e32 v15, 32, v15
	v_subrev_u32_e32 v17, 28, v15
	v_bfe_u32 v13, v5, 3, 4
	v_lshlrev_b32_e32 v5, v17, v5
	v_sub_u32_e32 v15, 29, v15
	v_and_b32_e32 v5, 7, v5
	v_cmp_eq_u32_e32 vcc, 0, v13
	v_cndmask_b32_e32 v13, v13, v15, vcc
	v_cndmask_b32_e32 v5, v12, v5, vcc
	v_mov_b32_e32 v12, 0x3b800000
	v_lshlrev_b32_e32 v5, 20, v5
	v_and_b32_e32 v8, 0x80000000, v8
	v_lshl_add_u32 v12, v13, 23, v12
	v_or3_b32 v12, v8, v12, v5
.LBB103_2318:
	s_or_b64 exec, exec, s[18:19]
.LBB103_2319:
	s_mov_b64 s[16:17], -1
.LBB103_2320:
	s_mov_b64 s[18:19], 0
.LBB103_2321:
	s_and_b64 vcc, exec, s[18:19]
	s_cbranch_vccz .LBB103_2354
; %bb.2322:
	s_cmp_gt_i32 s26, 22
	s_cbranch_scc0 .LBB103_2332
; %bb.2323:
	s_cmp_lt_i32 s26, 24
	s_cbranch_scc1 .LBB103_2335
; %bb.2324:
	s_cmp_gt_i32 s26, 24
	s_cbranch_scc0 .LBB103_2336
; %bb.2325:
	global_load_ubyte v5, v[10:11], off
	s_movk_i32 s4, 0x7f
	s_waitcnt vmcnt(0)
	v_cmp_lt_i16_e32 vcc, s4, v5
	s_mov_b64 s[4:5], 0
	s_and_saveexec_b64 s[16:17], vcc
	s_xor_b64 s[16:17], exec, s[16:17]
	s_cbranch_execz .LBB103_2348
; %bb.2326:
	s_movk_i32 s4, 0x80
	v_cmp_eq_u16_e32 vcc, s4, v5
	s_mov_b64 s[4:5], -1
	s_and_saveexec_b64 s[18:19], vcc
; %bb.2327:
	s_xor_b64 s[4:5], exec, -1
; %bb.2328:
	s_or_b64 exec, exec, s[18:19]
	s_and_b64 s[4:5], s[4:5], exec
	s_or_saveexec_b64 s[16:17], s[16:17]
	v_mov_b32_e32 v12, 0x7f800001
	s_xor_b64 exec, exec, s[16:17]
	s_cbranch_execnz .LBB103_2349
.LBB103_2329:
	s_or_b64 exec, exec, s[16:17]
	s_and_saveexec_b64 s[16:17], s[4:5]
	s_cbranch_execz .LBB103_2331
.LBB103_2330:
	v_lshlrev_b32_e32 v8, 24, v5
	v_and_b32_e32 v5, 0xffff, v5
	v_and_b32_e32 v12, 3, v5
	v_ffbh_u32_e32 v15, v12
	v_min_u32_e32 v15, 32, v15
	v_subrev_u32_e32 v17, 29, v15
	v_bfe_u32 v13, v5, 2, 5
	v_lshlrev_b32_e32 v5, v17, v5
	v_sub_u32_e32 v15, 30, v15
	v_and_b32_e32 v5, 3, v5
	v_cmp_eq_u32_e32 vcc, 0, v13
	v_cndmask_b32_e32 v13, v13, v15, vcc
	v_cndmask_b32_e32 v5, v12, v5, vcc
	v_mov_b32_e32 v12, 0x37800000
	v_lshlrev_b32_e32 v5, 21, v5
	v_and_b32_e32 v8, 0x80000000, v8
	v_lshl_add_u32 v12, v13, 23, v12
	v_or3_b32 v12, v8, v12, v5
.LBB103_2331:
	s_or_b64 exec, exec, s[16:17]
	s_mov_b64 s[4:5], 0
	s_branch .LBB103_2337
.LBB103_2332:
	s_mov_b64 s[4:5], -1
                                        ; implicit-def: $vgpr12
	s_branch .LBB103_2343
.LBB103_2333:
	s_or_saveexec_b64 s[18:19], s[18:19]
	v_mov_b32_e32 v12, 0x7f800001
	s_xor_b64 exec, exec, s[18:19]
	s_cbranch_execz .LBB103_2316
.LBB103_2334:
	v_cmp_ne_u16_e32 vcc, 0, v5
	s_andn2_b64 s[16:17], s[16:17], exec
	s_and_b64 s[20:21], vcc, exec
	v_mov_b32_e32 v12, 0
	s_or_b64 s[16:17], s[16:17], s[20:21]
	s_or_b64 exec, exec, s[18:19]
	s_and_saveexec_b64 s[18:19], s[16:17]
	s_cbranch_execnz .LBB103_2317
	s_branch .LBB103_2318
.LBB103_2335:
	s_mov_b64 s[4:5], -1
                                        ; implicit-def: $vgpr12
	s_branch .LBB103_2340
.LBB103_2336:
	s_mov_b64 s[4:5], -1
                                        ; implicit-def: $vgpr12
.LBB103_2337:
	s_and_b64 vcc, exec, s[4:5]
	s_cbranch_vccz .LBB103_2339
; %bb.2338:
	global_load_ubyte v5, v[10:11], off
	s_mov_b32 s4, 0x7f800000
	s_waitcnt vmcnt(0)
	v_lshlrev_b32_e32 v5, 24, v5
	v_and_b32_e32 v8, 0x7f000000, v5
	v_ffbh_u32_e32 v12, v8
	v_min_u32_e32 v12, 32, v12
	v_sub_u32_e64 v12, v12, 4 clamp
	v_lshlrev_b32_e32 v15, v12, v8
	v_lshlrev_b32_e32 v12, 23, v12
	v_lshrrev_b32_e32 v15, 4, v15
	v_add_u32_e32 v13, 0x1000000, v8
	v_sub_u32_e32 v12, v15, v12
	v_ashrrev_i32_e32 v13, 8, v13
	v_add_u32_e32 v12, 0x3c000000, v12
	v_and_or_b32 v12, v13, s4, v12
	v_cmp_ne_u32_e32 vcc, 0, v8
	v_cndmask_b32_e32 v8, 0, v12, vcc
	s_brev_b32 s4, 1
	v_and_or_b32 v12, v5, s4, v8
.LBB103_2339:
	s_mov_b64 s[4:5], 0
.LBB103_2340:
	s_andn2_b64 vcc, exec, s[4:5]
	s_cbranch_vccnz .LBB103_2342
; %bb.2341:
	global_load_ubyte v5, v[10:11], off
	s_movk_i32 s4, 0x7f00
	s_brev_b32 s5, 16
	s_waitcnt vmcnt(0)
	v_lshlrev_b16_e32 v8, 8, v5
	v_lshlrev_b32_e32 v5, 25, v5
	v_lshrrev_b32_e32 v12, 4, v5
	v_and_or_b32 v13, v8, s4, 0.5
	v_or_b32_e32 v12, 0x70000000, v12
	v_add_f32_e32 v13, -0.5, v13
	v_mul_f32_e32 v12, 0x7800000, v12
	v_cmp_gt_u32_e32 vcc, s5, v5
	v_bfe_i32 v8, v8, 0, 16
	v_cndmask_b32_e32 v5, v12, v13, vcc
	s_brev_b32 s4, 1
	v_and_or_b32 v12, v8, s4, v5
.LBB103_2342:
	s_mov_b64 s[4:5], 0
	s_mov_b64 s[16:17], -1
.LBB103_2343:
	s_andn2_b64 vcc, exec, s[4:5]
	s_mov_b64 s[4:5], 0
	s_cbranch_vccnz .LBB103_2354
; %bb.2344:
	s_cmp_gt_i32 s26, 14
	s_cbranch_scc0 .LBB103_2347
; %bb.2345:
	s_cmp_eq_u32 s26, 15
	s_cbranch_scc0 .LBB103_2350
; %bb.2346:
	global_load_ushort v5, v[10:11], off
	s_mov_b64 s[2:3], 0
	s_mov_b64 s[16:17], -1
	s_waitcnt vmcnt(0)
	v_lshlrev_b32_e32 v12, 16, v5
	s_branch .LBB103_2351
.LBB103_2347:
	s_mov_b64 s[18:19], -1
                                        ; implicit-def: $vgpr12
	s_branch .LBB103_2352
.LBB103_2348:
	s_or_saveexec_b64 s[16:17], s[16:17]
	v_mov_b32_e32 v12, 0x7f800001
	s_xor_b64 exec, exec, s[16:17]
	s_cbranch_execz .LBB103_2329
.LBB103_2349:
	v_cmp_ne_u16_e32 vcc, 0, v5
	s_andn2_b64 s[4:5], s[4:5], exec
	s_and_b64 s[18:19], vcc, exec
	v_mov_b32_e32 v12, 0
	s_or_b64 s[4:5], s[4:5], s[18:19]
	s_or_b64 exec, exec, s[16:17]
	s_and_saveexec_b64 s[16:17], s[4:5]
	s_cbranch_execnz .LBB103_2330
	s_branch .LBB103_2331
.LBB103_2350:
	s_mov_b64 s[2:3], -1
                                        ; implicit-def: $vgpr12
.LBB103_2351:
	s_mov_b64 s[18:19], 0
.LBB103_2352:
	s_and_b64 vcc, exec, s[18:19]
	s_cbranch_vccz .LBB103_2354
; %bb.2353:
	s_cmp_lg_u32 s26, 11
	s_mov_b64 s[4:5], -1
	s_cselect_b64 s[2:3], -1, 0
.LBB103_2354:
	s_and_b64 vcc, exec, s[2:3]
	s_cbranch_vccnz .LBB103_2419
; %bb.2355:
	s_andn2_b64 vcc, exec, s[4:5]
	s_cbranch_vccnz .LBB103_2357
.LBB103_2356:
	global_load_ubyte v5, v[10:11], off
	s_mov_b64 s[16:17], -1
	s_waitcnt vmcnt(0)
	v_cmp_ne_u16_e32 vcc, 0, v5
	v_cndmask_b32_e64 v12, 0, 1.0, vcc
.LBB103_2357:
	s_mov_b64 s[2:3], 0
.LBB103_2358:
	s_and_b64 vcc, exec, s[2:3]
	s_cbranch_vccz .LBB103_2407
; %bb.2359:
	s_and_b32 s4, 0xffff, s23
	s_cmp_lt_i32 s4, 5
	s_cbranch_scc1 .LBB103_2364
; %bb.2360:
	s_cmp_lt_i32 s4, 8
	s_cbranch_scc1 .LBB103_2365
; %bb.2361:
	;; [unrolled: 3-line block ×3, first 2 shown]
	s_cmp_gt_i32 s4, 9
	s_cbranch_scc0 .LBB103_2367
; %bb.2363:
	global_load_dwordx2 v[12:13], v[10:11], off
	s_mov_b64 s[2:3], 0
	s_waitcnt vmcnt(0)
	v_cvt_f32_f64_e32 v12, v[12:13]
	s_branch .LBB103_2368
.LBB103_2364:
	s_mov_b64 s[2:3], -1
                                        ; implicit-def: $vgpr12
	s_branch .LBB103_2386
.LBB103_2365:
	s_mov_b64 s[2:3], -1
                                        ; implicit-def: $vgpr12
	s_branch .LBB103_2374
.LBB103_2366:
	s_mov_b64 s[2:3], -1
                                        ; implicit-def: $vgpr12
	s_branch .LBB103_2371
.LBB103_2367:
	s_mov_b64 s[2:3], -1
                                        ; implicit-def: $vgpr12
.LBB103_2368:
	s_andn2_b64 vcc, exec, s[2:3]
	s_cbranch_vccnz .LBB103_2370
; %bb.2369:
	global_load_dword v12, v[10:11], off
.LBB103_2370:
	s_mov_b64 s[2:3], 0
.LBB103_2371:
	s_andn2_b64 vcc, exec, s[2:3]
	s_cbranch_vccnz .LBB103_2373
; %bb.2372:
	global_load_dword v5, v[10:11], off
	s_waitcnt vmcnt(0)
	v_cvt_f32_f16_e32 v12, v5
.LBB103_2373:
	s_mov_b64 s[2:3], 0
.LBB103_2374:
	s_andn2_b64 vcc, exec, s[2:3]
	s_cbranch_vccnz .LBB103_2385
; %bb.2375:
	s_cmp_lt_i32 s4, 6
	s_cbranch_scc1 .LBB103_2378
; %bb.2376:
	s_cmp_gt_i32 s4, 6
	s_cbranch_scc0 .LBB103_2379
; %bb.2377:
	global_load_dwordx2 v[12:13], v[10:11], off
	s_mov_b64 s[2:3], 0
	s_waitcnt vmcnt(0)
	v_cvt_f32_f64_e32 v12, v[12:13]
	s_branch .LBB103_2380
.LBB103_2378:
	s_mov_b64 s[2:3], -1
                                        ; implicit-def: $vgpr12
	s_branch .LBB103_2383
.LBB103_2379:
	s_mov_b64 s[2:3], -1
                                        ; implicit-def: $vgpr12
.LBB103_2380:
	s_andn2_b64 vcc, exec, s[2:3]
	s_cbranch_vccnz .LBB103_2382
; %bb.2381:
	global_load_dword v12, v[10:11], off
.LBB103_2382:
	s_mov_b64 s[2:3], 0
.LBB103_2383:
	s_andn2_b64 vcc, exec, s[2:3]
	s_cbranch_vccnz .LBB103_2385
; %bb.2384:
	global_load_ushort v5, v[10:11], off
	s_waitcnt vmcnt(0)
	v_cvt_f32_f16_e32 v12, v5
.LBB103_2385:
	s_mov_b64 s[2:3], 0
.LBB103_2386:
	s_andn2_b64 vcc, exec, s[2:3]
	s_cbranch_vccnz .LBB103_2406
; %bb.2387:
	s_cmp_lt_i32 s4, 2
	s_cbranch_scc1 .LBB103_2391
; %bb.2388:
	s_cmp_lt_i32 s4, 3
	s_cbranch_scc1 .LBB103_2392
; %bb.2389:
	s_cmp_gt_i32 s4, 3
	s_cbranch_scc0 .LBB103_2393
; %bb.2390:
	global_load_dwordx2 v[12:13], v[10:11], off
	s_mov_b64 s[2:3], 0
	s_waitcnt vmcnt(0)
	v_xor_b32_e32 v8, v12, v13
	v_ffbh_i32_e32 v5, v13
	v_ashrrev_i32_e32 v8, 31, v8
	v_add_u32_e32 v5, -1, v5
	v_add_u32_e32 v8, 32, v8
	v_min_u32_e32 v5, v5, v8
	v_lshlrev_b64 v[12:13], v5, v[12:13]
	v_sub_u32_e32 v5, 32, v5
	v_min_u32_e32 v8, 1, v12
	v_or_b32_e32 v8, v13, v8
	v_cvt_f32_i32_e32 v8, v8
	v_ldexp_f32 v12, v8, v5
	s_branch .LBB103_2394
.LBB103_2391:
	s_mov_b64 s[2:3], -1
                                        ; implicit-def: $vgpr12
	s_branch .LBB103_2400
.LBB103_2392:
	s_mov_b64 s[2:3], -1
                                        ; implicit-def: $vgpr12
	s_branch .LBB103_2397
.LBB103_2393:
	s_mov_b64 s[2:3], -1
                                        ; implicit-def: $vgpr12
.LBB103_2394:
	s_andn2_b64 vcc, exec, s[2:3]
	s_cbranch_vccnz .LBB103_2396
; %bb.2395:
	global_load_dword v5, v[10:11], off
	s_waitcnt vmcnt(0)
	v_cvt_f32_i32_e32 v12, v5
.LBB103_2396:
	s_mov_b64 s[2:3], 0
.LBB103_2397:
	s_andn2_b64 vcc, exec, s[2:3]
	s_cbranch_vccnz .LBB103_2399
; %bb.2398:
	global_load_sshort v5, v[10:11], off
	s_waitcnt vmcnt(0)
	v_cvt_f32_i32_e32 v12, v5
.LBB103_2399:
	s_mov_b64 s[2:3], 0
.LBB103_2400:
	s_andn2_b64 vcc, exec, s[2:3]
	s_cbranch_vccnz .LBB103_2406
; %bb.2401:
	s_cmp_gt_i32 s4, 0
	s_cbranch_scc0 .LBB103_2403
; %bb.2402:
	global_load_sbyte v5, v[10:11], off
	s_mov_b64 s[2:3], 0
	s_waitcnt vmcnt(0)
	v_cvt_f32_i32_e32 v12, v5
	s_branch .LBB103_2404
.LBB103_2403:
	s_mov_b64 s[2:3], -1
                                        ; implicit-def: $vgpr12
.LBB103_2404:
	s_andn2_b64 vcc, exec, s[2:3]
	s_cbranch_vccnz .LBB103_2406
; %bb.2405:
	global_load_ubyte v5, v[10:11], off
	s_waitcnt vmcnt(0)
	v_cvt_f32_ubyte0_e32 v12, v5
.LBB103_2406:
	s_mov_b64 s[16:17], -1
.LBB103_2407:
	s_andn2_b64 vcc, exec, s[16:17]
	s_cbranch_vccnz .LBB103_3101
; %bb.2408:
	v_mov_b32_e32 v5, s11
	v_add_co_u32_e32 v8, vcc, s10, v9
	s_cmp_lt_i32 s22, 11
	v_addc_co_u32_e32 v9, vcc, 0, v5, vcc
	s_cbranch_scc1 .LBB103_2415
; %bb.2409:
	s_and_b32 s20, 0xffff, s22
	s_cmp_gt_i32 s20, 25
	s_mov_b64 s[4:5], 0
	s_cbranch_scc0 .LBB103_2416
; %bb.2410:
	s_cmp_gt_i32 s20, 28
	s_cbranch_scc0 .LBB103_2417
; %bb.2411:
	s_cmp_gt_i32 s20, 43
	s_cbranch_scc0 .LBB103_2418
; %bb.2412:
	s_cmp_gt_i32 s20, 45
	s_cbranch_scc0 .LBB103_2420
; %bb.2413:
	s_cmp_eq_u32 s20, 46
	s_mov_b64 s[16:17], 0
	s_cbranch_scc0 .LBB103_2421
; %bb.2414:
	global_load_dword v5, v[8:9], off
	s_mov_b64 s[2:3], 0
	s_mov_b64 s[10:11], -1
	s_waitcnt vmcnt(0)
	v_lshlrev_b32_e32 v10, 16, v5
	s_branch .LBB103_2422
.LBB103_2415:
	s_mov_b64 s[2:3], -1
	s_mov_b64 s[10:11], 0
                                        ; implicit-def: $vgpr10
	s_branch .LBB103_2488
.LBB103_2416:
	s_mov_b64 s[16:17], -1
	s_mov_b64 s[10:11], 0
	s_mov_b64 s[2:3], 0
                                        ; implicit-def: $vgpr10
	s_branch .LBB103_2451
.LBB103_2417:
	s_mov_b64 s[16:17], -1
	s_mov_b64 s[10:11], 0
	s_mov_b64 s[2:3], 0
                                        ; implicit-def: $vgpr10
	s_branch .LBB103_2432
.LBB103_2418:
	s_mov_b64 s[16:17], -1
	s_mov_b64 s[10:11], 0
	s_mov_b64 s[2:3], 0
                                        ; implicit-def: $vgpr10
	s_branch .LBB103_2427
.LBB103_2419:
	s_trap 2
	s_or_b64 s[14:15], s[14:15], exec
	s_cbranch_execz .LBB103_2356
	s_branch .LBB103_2357
.LBB103_2420:
	s_mov_b64 s[16:17], -1
	s_mov_b64 s[10:11], 0
	s_mov_b64 s[2:3], 0
                                        ; implicit-def: $vgpr10
	s_branch .LBB103_2422
.LBB103_2421:
	s_mov_b64 s[2:3], -1
                                        ; implicit-def: $vgpr10
	s_mov_b64 s[10:11], 0
.LBB103_2422:
	s_and_b64 vcc, exec, s[16:17]
	s_cbranch_vccz .LBB103_2426
; %bb.2423:
	s_cmp_eq_u32 s20, 44
	s_cbranch_scc0 .LBB103_2425
; %bb.2424:
	global_load_ubyte v5, v[8:9], off
	s_movk_i32 s10, 0xff
	v_mov_b32_e32 v10, 0x7f800001
	v_mov_b32_e32 v11, 0x400000
	s_mov_b64 s[2:3], 0
	s_waitcnt vmcnt(0)
	v_lshlrev_b32_e32 v13, 23, v5
	v_cmp_ne_u32_e32 vcc, s10, v5
	v_cndmask_b32_e32 v10, v10, v13, vcc
	v_cmp_ne_u32_e32 vcc, 0, v5
	v_cndmask_b32_e32 v10, v11, v10, vcc
	s_mov_b64 s[10:11], -1
	s_branch .LBB103_2426
.LBB103_2425:
	s_mov_b64 s[2:3], -1
                                        ; implicit-def: $vgpr10
.LBB103_2426:
	s_mov_b64 s[16:17], 0
.LBB103_2427:
	s_and_b64 vcc, exec, s[16:17]
	s_cbranch_vccz .LBB103_2431
; %bb.2428:
	s_cmp_eq_u32 s20, 29
	s_cbranch_scc0 .LBB103_2430
; %bb.2429:
	global_load_dwordx2 v[10:11], v[8:9], off
	s_mov_b64 s[2:3], 0
	s_mov_b64 s[10:11], -1
	s_mov_b64 s[16:17], 0
	s_waitcnt vmcnt(0)
	v_ffbh_u32_e32 v5, v11
	v_min_u32_e32 v5, 32, v5
	v_lshlrev_b64 v[10:11], v5, v[10:11]
	v_sub_u32_e32 v5, 32, v5
	v_min_u32_e32 v10, 1, v10
	v_or_b32_e32 v10, v11, v10
	v_cvt_f32_u32_e32 v10, v10
	v_ldexp_f32 v10, v10, v5
	s_branch .LBB103_2432
.LBB103_2430:
	s_mov_b64 s[2:3], -1
                                        ; implicit-def: $vgpr10
.LBB103_2431:
	s_mov_b64 s[16:17], 0
.LBB103_2432:
	s_and_b64 vcc, exec, s[16:17]
	s_cbranch_vccz .LBB103_2450
; %bb.2433:
	s_cmp_lt_i32 s20, 27
	s_cbranch_scc1 .LBB103_2436
; %bb.2434:
	s_cmp_gt_i32 s20, 27
	s_cbranch_scc0 .LBB103_2437
; %bb.2435:
	global_load_dword v5, v[8:9], off
	s_mov_b64 s[10:11], 0
	s_waitcnt vmcnt(0)
	v_cvt_f32_u32_e32 v10, v5
	s_branch .LBB103_2438
.LBB103_2436:
	s_mov_b64 s[10:11], -1
                                        ; implicit-def: $vgpr10
	s_branch .LBB103_2441
.LBB103_2437:
	s_mov_b64 s[10:11], -1
                                        ; implicit-def: $vgpr10
.LBB103_2438:
	s_andn2_b64 vcc, exec, s[10:11]
	s_cbranch_vccnz .LBB103_2440
; %bb.2439:
	global_load_ushort v5, v[8:9], off
	s_waitcnt vmcnt(0)
	v_cvt_f32_u32_e32 v10, v5
.LBB103_2440:
	s_mov_b64 s[10:11], 0
.LBB103_2441:
	s_andn2_b64 vcc, exec, s[10:11]
	s_cbranch_vccnz .LBB103_2449
; %bb.2442:
	global_load_ubyte v5, v[8:9], off
	s_movk_i32 s10, 0x7f
	s_waitcnt vmcnt(0)
	v_cmp_lt_i16_e32 vcc, s10, v5
	s_mov_b64 s[10:11], 0
	s_and_saveexec_b64 s[16:17], vcc
	s_xor_b64 s[16:17], exec, s[16:17]
	s_cbranch_execz .LBB103_2463
; %bb.2443:
	s_movk_i32 s10, 0x80
	v_cmp_eq_u16_e32 vcc, s10, v5
	s_mov_b64 s[10:11], -1
	s_and_saveexec_b64 s[18:19], vcc
; %bb.2444:
	s_xor_b64 s[10:11], exec, -1
; %bb.2445:
	s_or_b64 exec, exec, s[18:19]
	s_and_b64 s[10:11], s[10:11], exec
	s_or_saveexec_b64 s[16:17], s[16:17]
	v_mov_b32_e32 v10, 0x7f800001
	s_xor_b64 exec, exec, s[16:17]
	s_cbranch_execnz .LBB103_2464
.LBB103_2446:
	s_or_b64 exec, exec, s[16:17]
	s_and_saveexec_b64 s[16:17], s[10:11]
	s_cbranch_execz .LBB103_2448
.LBB103_2447:
	v_lshlrev_b32_e32 v10, 24, v5
	v_and_b32_e32 v5, 0xffff, v5
	v_and_b32_e32 v11, 7, v5
	v_ffbh_u32_e32 v15, v11
	v_min_u32_e32 v15, 32, v15
	v_subrev_u32_e32 v17, 28, v15
	v_bfe_u32 v13, v5, 3, 4
	v_lshlrev_b32_e32 v5, v17, v5
	v_sub_u32_e32 v15, 29, v15
	v_and_b32_e32 v5, 7, v5
	v_cmp_eq_u32_e32 vcc, 0, v13
	v_cndmask_b32_e32 v13, v13, v15, vcc
	v_cndmask_b32_e32 v5, v11, v5, vcc
	v_mov_b32_e32 v11, 0x3b800000
	v_lshlrev_b32_e32 v5, 20, v5
	v_and_b32_e32 v10, 0x80000000, v10
	v_lshl_add_u32 v11, v13, 23, v11
	v_or3_b32 v10, v10, v11, v5
.LBB103_2448:
	s_or_b64 exec, exec, s[16:17]
.LBB103_2449:
	s_mov_b64 s[10:11], -1
.LBB103_2450:
	s_mov_b64 s[16:17], 0
.LBB103_2451:
	s_and_b64 vcc, exec, s[16:17]
	s_cbranch_vccz .LBB103_2484
; %bb.2452:
	s_cmp_gt_i32 s20, 22
	s_cbranch_scc0 .LBB103_2462
; %bb.2453:
	s_cmp_lt_i32 s20, 24
	s_cbranch_scc1 .LBB103_2465
; %bb.2454:
	s_cmp_gt_i32 s20, 24
	s_cbranch_scc0 .LBB103_2466
; %bb.2455:
	global_load_ubyte v5, v[8:9], off
	s_movk_i32 s4, 0x7f
	s_waitcnt vmcnt(0)
	v_cmp_lt_i16_e32 vcc, s4, v5
	s_mov_b64 s[4:5], 0
	s_and_saveexec_b64 s[10:11], vcc
	s_xor_b64 s[10:11], exec, s[10:11]
	s_cbranch_execz .LBB103_2478
; %bb.2456:
	s_movk_i32 s4, 0x80
	v_cmp_eq_u16_e32 vcc, s4, v5
	s_mov_b64 s[4:5], -1
	s_and_saveexec_b64 s[16:17], vcc
; %bb.2457:
	s_xor_b64 s[4:5], exec, -1
; %bb.2458:
	s_or_b64 exec, exec, s[16:17]
	s_and_b64 s[4:5], s[4:5], exec
	s_or_saveexec_b64 s[10:11], s[10:11]
	v_mov_b32_e32 v10, 0x7f800001
	s_xor_b64 exec, exec, s[10:11]
	s_cbranch_execnz .LBB103_2479
.LBB103_2459:
	s_or_b64 exec, exec, s[10:11]
	s_and_saveexec_b64 s[10:11], s[4:5]
	s_cbranch_execz .LBB103_2461
.LBB103_2460:
	v_lshlrev_b32_e32 v10, 24, v5
	v_and_b32_e32 v5, 0xffff, v5
	v_and_b32_e32 v11, 3, v5
	v_ffbh_u32_e32 v15, v11
	v_min_u32_e32 v15, 32, v15
	v_subrev_u32_e32 v17, 29, v15
	v_bfe_u32 v13, v5, 2, 5
	v_lshlrev_b32_e32 v5, v17, v5
	v_sub_u32_e32 v15, 30, v15
	v_and_b32_e32 v5, 3, v5
	v_cmp_eq_u32_e32 vcc, 0, v13
	v_cndmask_b32_e32 v13, v13, v15, vcc
	v_cndmask_b32_e32 v5, v11, v5, vcc
	v_mov_b32_e32 v11, 0x37800000
	v_lshlrev_b32_e32 v5, 21, v5
	v_and_b32_e32 v10, 0x80000000, v10
	v_lshl_add_u32 v11, v13, 23, v11
	v_or3_b32 v10, v10, v11, v5
.LBB103_2461:
	s_or_b64 exec, exec, s[10:11]
	s_mov_b64 s[4:5], 0
	s_branch .LBB103_2467
.LBB103_2462:
	s_mov_b64 s[4:5], -1
                                        ; implicit-def: $vgpr10
	s_branch .LBB103_2473
.LBB103_2463:
	s_or_saveexec_b64 s[16:17], s[16:17]
	v_mov_b32_e32 v10, 0x7f800001
	s_xor_b64 exec, exec, s[16:17]
	s_cbranch_execz .LBB103_2446
.LBB103_2464:
	v_cmp_ne_u16_e32 vcc, 0, v5
	s_andn2_b64 s[10:11], s[10:11], exec
	s_and_b64 s[18:19], vcc, exec
	v_mov_b32_e32 v10, 0
	s_or_b64 s[10:11], s[10:11], s[18:19]
	s_or_b64 exec, exec, s[16:17]
	s_and_saveexec_b64 s[16:17], s[10:11]
	s_cbranch_execnz .LBB103_2447
	s_branch .LBB103_2448
.LBB103_2465:
	s_mov_b64 s[4:5], -1
                                        ; implicit-def: $vgpr10
	s_branch .LBB103_2470
.LBB103_2466:
	s_mov_b64 s[4:5], -1
                                        ; implicit-def: $vgpr10
.LBB103_2467:
	s_and_b64 vcc, exec, s[4:5]
	s_cbranch_vccz .LBB103_2469
; %bb.2468:
	global_load_ubyte v5, v[8:9], off
	s_mov_b32 s4, 0x7f800000
	s_waitcnt vmcnt(0)
	v_lshlrev_b32_e32 v5, 24, v5
	v_and_b32_e32 v10, 0x7f000000, v5
	v_ffbh_u32_e32 v11, v10
	v_min_u32_e32 v11, 32, v11
	v_sub_u32_e64 v11, v11, 4 clamp
	v_lshlrev_b32_e32 v15, v11, v10
	v_lshlrev_b32_e32 v11, 23, v11
	v_lshrrev_b32_e32 v15, 4, v15
	v_add_u32_e32 v13, 0x1000000, v10
	v_sub_u32_e32 v11, v15, v11
	v_ashrrev_i32_e32 v13, 8, v13
	v_add_u32_e32 v11, 0x3c000000, v11
	v_and_or_b32 v11, v13, s4, v11
	v_cmp_ne_u32_e32 vcc, 0, v10
	v_cndmask_b32_e32 v10, 0, v11, vcc
	s_brev_b32 s4, 1
	v_and_or_b32 v10, v5, s4, v10
.LBB103_2469:
	s_mov_b64 s[4:5], 0
.LBB103_2470:
	s_andn2_b64 vcc, exec, s[4:5]
	s_cbranch_vccnz .LBB103_2472
; %bb.2471:
	global_load_ubyte v5, v[8:9], off
	s_movk_i32 s4, 0x7f00
	s_brev_b32 s5, 16
	s_waitcnt vmcnt(0)
	v_lshlrev_b16_e32 v10, 8, v5
	v_lshlrev_b32_e32 v5, 25, v5
	v_lshrrev_b32_e32 v11, 4, v5
	v_and_or_b32 v13, v10, s4, 0.5
	v_or_b32_e32 v11, 0x70000000, v11
	v_add_f32_e32 v13, -0.5, v13
	v_mul_f32_e32 v11, 0x7800000, v11
	v_cmp_gt_u32_e32 vcc, s5, v5
	v_bfe_i32 v10, v10, 0, 16
	v_cndmask_b32_e32 v5, v11, v13, vcc
	s_brev_b32 s4, 1
	v_and_or_b32 v10, v10, s4, v5
.LBB103_2472:
	s_mov_b64 s[4:5], 0
	s_mov_b64 s[10:11], -1
.LBB103_2473:
	s_andn2_b64 vcc, exec, s[4:5]
	s_mov_b64 s[4:5], 0
	s_cbranch_vccnz .LBB103_2484
; %bb.2474:
	s_cmp_gt_i32 s20, 14
	s_cbranch_scc0 .LBB103_2477
; %bb.2475:
	s_cmp_eq_u32 s20, 15
	s_cbranch_scc0 .LBB103_2480
; %bb.2476:
	global_load_ushort v5, v[8:9], off
	s_mov_b64 s[2:3], 0
	s_mov_b64 s[10:11], -1
	s_waitcnt vmcnt(0)
	v_lshlrev_b32_e32 v10, 16, v5
	s_branch .LBB103_2481
.LBB103_2477:
	s_mov_b64 s[16:17], -1
                                        ; implicit-def: $vgpr10
	s_branch .LBB103_2482
.LBB103_2478:
	s_or_saveexec_b64 s[10:11], s[10:11]
	v_mov_b32_e32 v10, 0x7f800001
	s_xor_b64 exec, exec, s[10:11]
	s_cbranch_execz .LBB103_2459
.LBB103_2479:
	v_cmp_ne_u16_e32 vcc, 0, v5
	s_andn2_b64 s[4:5], s[4:5], exec
	s_and_b64 s[16:17], vcc, exec
	v_mov_b32_e32 v10, 0
	s_or_b64 s[4:5], s[4:5], s[16:17]
	s_or_b64 exec, exec, s[10:11]
	s_and_saveexec_b64 s[10:11], s[4:5]
	s_cbranch_execnz .LBB103_2460
	s_branch .LBB103_2461
.LBB103_2480:
	s_mov_b64 s[2:3], -1
                                        ; implicit-def: $vgpr10
.LBB103_2481:
	s_mov_b64 s[16:17], 0
.LBB103_2482:
	s_and_b64 vcc, exec, s[16:17]
	s_cbranch_vccz .LBB103_2484
; %bb.2483:
	s_cmp_lg_u32 s20, 11
	s_mov_b64 s[4:5], -1
	s_cselect_b64 s[2:3], -1, 0
.LBB103_2484:
	s_and_b64 vcc, exec, s[2:3]
	s_cbranch_vccnz .LBB103_2549
; %bb.2485:
	s_andn2_b64 vcc, exec, s[4:5]
	s_cbranch_vccnz .LBB103_2487
.LBB103_2486:
	global_load_ubyte v5, v[8:9], off
	s_mov_b64 s[10:11], -1
	s_waitcnt vmcnt(0)
	v_cmp_ne_u16_e32 vcc, 0, v5
	v_cndmask_b32_e64 v10, 0, 1.0, vcc
.LBB103_2487:
	s_mov_b64 s[2:3], 0
.LBB103_2488:
	s_and_b64 vcc, exec, s[2:3]
	s_cbranch_vccz .LBB103_2537
; %bb.2489:
	s_and_b32 s4, 0xffff, s22
	s_cmp_lt_i32 s4, 5
	s_cbranch_scc1 .LBB103_2494
; %bb.2490:
	s_cmp_lt_i32 s4, 8
	s_cbranch_scc1 .LBB103_2495
; %bb.2491:
	;; [unrolled: 3-line block ×3, first 2 shown]
	s_cmp_gt_i32 s4, 9
	s_cbranch_scc0 .LBB103_2497
; %bb.2493:
	global_load_dwordx2 v[10:11], v[8:9], off
	s_mov_b64 s[2:3], 0
	s_waitcnt vmcnt(0)
	v_cvt_f32_f64_e32 v10, v[10:11]
	s_branch .LBB103_2498
.LBB103_2494:
	s_mov_b64 s[2:3], -1
                                        ; implicit-def: $vgpr10
	s_branch .LBB103_2516
.LBB103_2495:
	s_mov_b64 s[2:3], -1
                                        ; implicit-def: $vgpr10
	s_branch .LBB103_2504
.LBB103_2496:
	s_mov_b64 s[2:3], -1
                                        ; implicit-def: $vgpr10
	s_branch .LBB103_2501
.LBB103_2497:
	s_mov_b64 s[2:3], -1
                                        ; implicit-def: $vgpr10
.LBB103_2498:
	s_andn2_b64 vcc, exec, s[2:3]
	s_cbranch_vccnz .LBB103_2500
; %bb.2499:
	global_load_dword v10, v[8:9], off
.LBB103_2500:
	s_mov_b64 s[2:3], 0
.LBB103_2501:
	s_andn2_b64 vcc, exec, s[2:3]
	s_cbranch_vccnz .LBB103_2503
; %bb.2502:
	global_load_dword v5, v[8:9], off
	s_waitcnt vmcnt(0)
	v_cvt_f32_f16_e32 v10, v5
.LBB103_2503:
	s_mov_b64 s[2:3], 0
.LBB103_2504:
	s_andn2_b64 vcc, exec, s[2:3]
	s_cbranch_vccnz .LBB103_2515
; %bb.2505:
	s_cmp_lt_i32 s4, 6
	s_cbranch_scc1 .LBB103_2508
; %bb.2506:
	s_cmp_gt_i32 s4, 6
	s_cbranch_scc0 .LBB103_2509
; %bb.2507:
	global_load_dwordx2 v[10:11], v[8:9], off
	s_mov_b64 s[2:3], 0
	s_waitcnt vmcnt(0)
	v_cvt_f32_f64_e32 v10, v[10:11]
	s_branch .LBB103_2510
.LBB103_2508:
	s_mov_b64 s[2:3], -1
                                        ; implicit-def: $vgpr10
	s_branch .LBB103_2513
.LBB103_2509:
	s_mov_b64 s[2:3], -1
                                        ; implicit-def: $vgpr10
.LBB103_2510:
	s_andn2_b64 vcc, exec, s[2:3]
	s_cbranch_vccnz .LBB103_2512
; %bb.2511:
	global_load_dword v10, v[8:9], off
.LBB103_2512:
	s_mov_b64 s[2:3], 0
.LBB103_2513:
	s_andn2_b64 vcc, exec, s[2:3]
	s_cbranch_vccnz .LBB103_2515
; %bb.2514:
	global_load_ushort v5, v[8:9], off
	s_waitcnt vmcnt(0)
	v_cvt_f32_f16_e32 v10, v5
.LBB103_2515:
	s_mov_b64 s[2:3], 0
.LBB103_2516:
	s_andn2_b64 vcc, exec, s[2:3]
	s_cbranch_vccnz .LBB103_2536
; %bb.2517:
	s_cmp_lt_i32 s4, 2
	s_cbranch_scc1 .LBB103_2521
; %bb.2518:
	s_cmp_lt_i32 s4, 3
	s_cbranch_scc1 .LBB103_2522
; %bb.2519:
	s_cmp_gt_i32 s4, 3
	s_cbranch_scc0 .LBB103_2523
; %bb.2520:
	global_load_dwordx2 v[10:11], v[8:9], off
	s_mov_b64 s[2:3], 0
	s_waitcnt vmcnt(0)
	v_xor_b32_e32 v13, v10, v11
	v_ffbh_i32_e32 v5, v11
	v_ashrrev_i32_e32 v13, 31, v13
	v_add_u32_e32 v5, -1, v5
	v_add_u32_e32 v13, 32, v13
	v_min_u32_e32 v5, v5, v13
	v_lshlrev_b64 v[10:11], v5, v[10:11]
	v_sub_u32_e32 v5, 32, v5
	v_min_u32_e32 v10, 1, v10
	v_or_b32_e32 v10, v11, v10
	v_cvt_f32_i32_e32 v10, v10
	v_ldexp_f32 v10, v10, v5
	s_branch .LBB103_2524
.LBB103_2521:
	s_mov_b64 s[2:3], -1
                                        ; implicit-def: $vgpr10
	s_branch .LBB103_2530
.LBB103_2522:
	s_mov_b64 s[2:3], -1
                                        ; implicit-def: $vgpr10
	s_branch .LBB103_2527
.LBB103_2523:
	s_mov_b64 s[2:3], -1
                                        ; implicit-def: $vgpr10
.LBB103_2524:
	s_andn2_b64 vcc, exec, s[2:3]
	s_cbranch_vccnz .LBB103_2526
; %bb.2525:
	global_load_dword v5, v[8:9], off
	s_waitcnt vmcnt(0)
	v_cvt_f32_i32_e32 v10, v5
.LBB103_2526:
	s_mov_b64 s[2:3], 0
.LBB103_2527:
	s_andn2_b64 vcc, exec, s[2:3]
	s_cbranch_vccnz .LBB103_2529
; %bb.2528:
	global_load_sshort v5, v[8:9], off
	s_waitcnt vmcnt(0)
	v_cvt_f32_i32_e32 v10, v5
.LBB103_2529:
	s_mov_b64 s[2:3], 0
.LBB103_2530:
	s_andn2_b64 vcc, exec, s[2:3]
	s_cbranch_vccnz .LBB103_2536
; %bb.2531:
	s_cmp_gt_i32 s4, 0
	s_cbranch_scc0 .LBB103_2533
; %bb.2532:
	global_load_sbyte v5, v[8:9], off
	s_mov_b64 s[2:3], 0
	s_waitcnt vmcnt(0)
	v_cvt_f32_i32_e32 v10, v5
	s_branch .LBB103_2534
.LBB103_2533:
	s_mov_b64 s[2:3], -1
                                        ; implicit-def: $vgpr10
.LBB103_2534:
	s_andn2_b64 vcc, exec, s[2:3]
	s_cbranch_vccnz .LBB103_2536
; %bb.2535:
	global_load_ubyte v5, v[8:9], off
	s_waitcnt vmcnt(0)
	v_cvt_f32_ubyte0_e32 v10, v5
.LBB103_2536:
	s_mov_b64 s[10:11], -1
.LBB103_2537:
	s_andn2_b64 vcc, exec, s[10:11]
	s_cbranch_vccnz .LBB103_3101
; %bb.2538:
	v_mov_b32_e32 v5, s1
	v_add_co_u32_e32 v7, vcc, s0, v7
	s_cmp_lt_i32 s23, 11
	v_addc_co_u32_e32 v8, vcc, 0, v5, vcc
	s_cbranch_scc1 .LBB103_2545
; %bb.2539:
	s_and_b32 s18, 0xffff, s23
	s_cmp_gt_i32 s18, 25
	s_mov_b64 s[2:3], 0
	s_cbranch_scc0 .LBB103_2546
; %bb.2540:
	s_cmp_gt_i32 s18, 28
	s_cbranch_scc0 .LBB103_2547
; %bb.2541:
	s_cmp_gt_i32 s18, 43
	;; [unrolled: 3-line block ×3, first 2 shown]
	s_cbranch_scc0 .LBB103_2550
; %bb.2543:
	s_cmp_eq_u32 s18, 46
	s_mov_b64 s[10:11], 0
	s_cbranch_scc0 .LBB103_2551
; %bb.2544:
	global_load_dword v5, v[7:8], off
	s_mov_b64 s[0:1], 0
	s_mov_b64 s[4:5], -1
	s_waitcnt vmcnt(0)
	v_lshlrev_b32_e32 v9, 16, v5
	s_branch .LBB103_2552
.LBB103_2545:
	s_mov_b64 s[0:1], -1
	s_mov_b64 s[4:5], 0
                                        ; implicit-def: $vgpr9
	s_branch .LBB103_2618
.LBB103_2546:
	s_mov_b64 s[10:11], -1
	s_mov_b64 s[4:5], 0
	s_mov_b64 s[0:1], 0
                                        ; implicit-def: $vgpr9
	s_branch .LBB103_2581
.LBB103_2547:
	s_mov_b64 s[10:11], -1
	s_mov_b64 s[4:5], 0
	s_mov_b64 s[0:1], 0
                                        ; implicit-def: $vgpr9
	s_branch .LBB103_2562
.LBB103_2548:
	s_mov_b64 s[10:11], -1
	s_mov_b64 s[4:5], 0
	s_mov_b64 s[0:1], 0
                                        ; implicit-def: $vgpr9
	s_branch .LBB103_2557
.LBB103_2549:
	s_trap 2
	s_or_b64 s[14:15], s[14:15], exec
	s_cbranch_execz .LBB103_2486
	s_branch .LBB103_2487
.LBB103_2550:
	s_mov_b64 s[10:11], -1
	s_mov_b64 s[4:5], 0
	s_mov_b64 s[0:1], 0
                                        ; implicit-def: $vgpr9
	s_branch .LBB103_2552
.LBB103_2551:
	s_mov_b64 s[0:1], -1
                                        ; implicit-def: $vgpr9
	s_mov_b64 s[4:5], 0
.LBB103_2552:
	s_and_b64 vcc, exec, s[10:11]
	s_cbranch_vccz .LBB103_2556
; %bb.2553:
	s_cmp_eq_u32 s18, 44
	s_cbranch_scc0 .LBB103_2555
; %bb.2554:
	global_load_ubyte v5, v[7:8], off
	s_movk_i32 s4, 0xff
	v_mov_b32_e32 v9, 0x7f800001
	v_mov_b32_e32 v11, 0x400000
	s_mov_b64 s[0:1], 0
	s_waitcnt vmcnt(0)
	v_lshlrev_b32_e32 v13, 23, v5
	v_cmp_ne_u32_e32 vcc, s4, v5
	v_cndmask_b32_e32 v9, v9, v13, vcc
	v_cmp_ne_u32_e32 vcc, 0, v5
	v_cndmask_b32_e32 v9, v11, v9, vcc
	s_mov_b64 s[4:5], -1
	s_branch .LBB103_2556
.LBB103_2555:
	s_mov_b64 s[0:1], -1
                                        ; implicit-def: $vgpr9
.LBB103_2556:
	s_mov_b64 s[10:11], 0
.LBB103_2557:
	s_and_b64 vcc, exec, s[10:11]
	s_cbranch_vccz .LBB103_2561
; %bb.2558:
	s_cmp_eq_u32 s18, 29
	s_cbranch_scc0 .LBB103_2560
; %bb.2559:
	global_load_dwordx2 v[19:20], v[7:8], off
	s_mov_b64 s[0:1], 0
	s_mov_b64 s[4:5], -1
	s_mov_b64 s[10:11], 0
	s_waitcnt vmcnt(0)
	v_ffbh_u32_e32 v5, v20
	v_min_u32_e32 v5, 32, v5
	v_lshlrev_b64 v[19:20], v5, v[19:20]
	v_sub_u32_e32 v5, 32, v5
	v_min_u32_e32 v9, 1, v19
	v_or_b32_e32 v9, v20, v9
	v_cvt_f32_u32_e32 v9, v9
	v_ldexp_f32 v9, v9, v5
	s_branch .LBB103_2562
.LBB103_2560:
	s_mov_b64 s[0:1], -1
                                        ; implicit-def: $vgpr9
.LBB103_2561:
	s_mov_b64 s[10:11], 0
.LBB103_2562:
	s_and_b64 vcc, exec, s[10:11]
	s_cbranch_vccz .LBB103_2580
; %bb.2563:
	s_cmp_lt_i32 s18, 27
	s_cbranch_scc1 .LBB103_2566
; %bb.2564:
	s_cmp_gt_i32 s18, 27
	s_cbranch_scc0 .LBB103_2567
; %bb.2565:
	global_load_dword v5, v[7:8], off
	s_mov_b64 s[4:5], 0
	s_waitcnt vmcnt(0)
	v_cvt_f32_u32_e32 v9, v5
	s_branch .LBB103_2568
.LBB103_2566:
	s_mov_b64 s[4:5], -1
                                        ; implicit-def: $vgpr9
	s_branch .LBB103_2571
.LBB103_2567:
	s_mov_b64 s[4:5], -1
                                        ; implicit-def: $vgpr9
.LBB103_2568:
	s_andn2_b64 vcc, exec, s[4:5]
	s_cbranch_vccnz .LBB103_2570
; %bb.2569:
	global_load_ushort v5, v[7:8], off
	s_waitcnt vmcnt(0)
	v_cvt_f32_u32_e32 v9, v5
.LBB103_2570:
	s_mov_b64 s[4:5], 0
.LBB103_2571:
	s_andn2_b64 vcc, exec, s[4:5]
	s_cbranch_vccnz .LBB103_2579
; %bb.2572:
	global_load_ubyte v5, v[7:8], off
	s_movk_i32 s4, 0x7f
	s_waitcnt vmcnt(0)
	v_cmp_lt_i16_e32 vcc, s4, v5
	s_mov_b64 s[4:5], 0
	s_and_saveexec_b64 s[10:11], vcc
	s_xor_b64 s[10:11], exec, s[10:11]
	s_cbranch_execz .LBB103_2593
; %bb.2573:
	s_movk_i32 s4, 0x80
	v_cmp_eq_u16_e32 vcc, s4, v5
	s_mov_b64 s[4:5], -1
	s_and_saveexec_b64 s[16:17], vcc
; %bb.2574:
	s_xor_b64 s[4:5], exec, -1
; %bb.2575:
	s_or_b64 exec, exec, s[16:17]
	s_and_b64 s[4:5], s[4:5], exec
	s_or_saveexec_b64 s[10:11], s[10:11]
	v_mov_b32_e32 v9, 0x7f800001
	s_xor_b64 exec, exec, s[10:11]
	s_cbranch_execnz .LBB103_2594
.LBB103_2576:
	s_or_b64 exec, exec, s[10:11]
	s_and_saveexec_b64 s[10:11], s[4:5]
	s_cbranch_execz .LBB103_2578
.LBB103_2577:
	v_lshlrev_b32_e32 v9, 24, v5
	v_and_b32_e32 v5, 0xffff, v5
	v_and_b32_e32 v11, 7, v5
	v_ffbh_u32_e32 v15, v11
	v_min_u32_e32 v15, 32, v15
	v_subrev_u32_e32 v17, 28, v15
	v_bfe_u32 v13, v5, 3, 4
	v_lshlrev_b32_e32 v5, v17, v5
	v_sub_u32_e32 v15, 29, v15
	v_and_b32_e32 v5, 7, v5
	v_cmp_eq_u32_e32 vcc, 0, v13
	v_cndmask_b32_e32 v13, v13, v15, vcc
	v_cndmask_b32_e32 v5, v11, v5, vcc
	v_mov_b32_e32 v11, 0x3b800000
	v_lshlrev_b32_e32 v5, 20, v5
	v_and_b32_e32 v9, 0x80000000, v9
	v_lshl_add_u32 v11, v13, 23, v11
	v_or3_b32 v9, v9, v11, v5
.LBB103_2578:
	s_or_b64 exec, exec, s[10:11]
.LBB103_2579:
	s_mov_b64 s[4:5], -1
.LBB103_2580:
	s_mov_b64 s[10:11], 0
.LBB103_2581:
	s_and_b64 vcc, exec, s[10:11]
	s_cbranch_vccz .LBB103_2614
; %bb.2582:
	s_cmp_gt_i32 s18, 22
	s_cbranch_scc0 .LBB103_2592
; %bb.2583:
	s_cmp_lt_i32 s18, 24
	s_cbranch_scc1 .LBB103_2595
; %bb.2584:
	s_cmp_gt_i32 s18, 24
	s_cbranch_scc0 .LBB103_2596
; %bb.2585:
	global_load_ubyte v5, v[7:8], off
	s_movk_i32 s2, 0x7f
	s_waitcnt vmcnt(0)
	v_cmp_lt_i16_e32 vcc, s2, v5
	s_mov_b64 s[2:3], 0
	s_and_saveexec_b64 s[4:5], vcc
	s_xor_b64 s[4:5], exec, s[4:5]
	s_cbranch_execz .LBB103_2608
; %bb.2586:
	s_movk_i32 s2, 0x80
	v_cmp_eq_u16_e32 vcc, s2, v5
	s_mov_b64 s[2:3], -1
	s_and_saveexec_b64 s[10:11], vcc
; %bb.2587:
	s_xor_b64 s[2:3], exec, -1
; %bb.2588:
	s_or_b64 exec, exec, s[10:11]
	s_and_b64 s[2:3], s[2:3], exec
	s_or_saveexec_b64 s[4:5], s[4:5]
	v_mov_b32_e32 v9, 0x7f800001
	s_xor_b64 exec, exec, s[4:5]
	s_cbranch_execnz .LBB103_2609
.LBB103_2589:
	s_or_b64 exec, exec, s[4:5]
	s_and_saveexec_b64 s[4:5], s[2:3]
	s_cbranch_execz .LBB103_2591
.LBB103_2590:
	v_lshlrev_b32_e32 v9, 24, v5
	v_and_b32_e32 v5, 0xffff, v5
	v_and_b32_e32 v11, 3, v5
	v_ffbh_u32_e32 v15, v11
	v_min_u32_e32 v15, 32, v15
	v_subrev_u32_e32 v17, 29, v15
	v_bfe_u32 v13, v5, 2, 5
	v_lshlrev_b32_e32 v5, v17, v5
	v_sub_u32_e32 v15, 30, v15
	v_and_b32_e32 v5, 3, v5
	v_cmp_eq_u32_e32 vcc, 0, v13
	v_cndmask_b32_e32 v13, v13, v15, vcc
	v_cndmask_b32_e32 v5, v11, v5, vcc
	v_mov_b32_e32 v11, 0x37800000
	v_lshlrev_b32_e32 v5, 21, v5
	v_and_b32_e32 v9, 0x80000000, v9
	v_lshl_add_u32 v11, v13, 23, v11
	v_or3_b32 v9, v9, v11, v5
.LBB103_2591:
	s_or_b64 exec, exec, s[4:5]
	s_mov_b64 s[2:3], 0
	s_branch .LBB103_2597
.LBB103_2592:
	s_mov_b64 s[2:3], -1
                                        ; implicit-def: $vgpr9
	s_branch .LBB103_2603
.LBB103_2593:
	s_or_saveexec_b64 s[10:11], s[10:11]
	v_mov_b32_e32 v9, 0x7f800001
	s_xor_b64 exec, exec, s[10:11]
	s_cbranch_execz .LBB103_2576
.LBB103_2594:
	v_cmp_ne_u16_e32 vcc, 0, v5
	s_andn2_b64 s[4:5], s[4:5], exec
	s_and_b64 s[16:17], vcc, exec
	v_mov_b32_e32 v9, 0
	s_or_b64 s[4:5], s[4:5], s[16:17]
	s_or_b64 exec, exec, s[10:11]
	s_and_saveexec_b64 s[10:11], s[4:5]
	s_cbranch_execnz .LBB103_2577
	s_branch .LBB103_2578
.LBB103_2595:
	s_mov_b64 s[2:3], -1
                                        ; implicit-def: $vgpr9
	s_branch .LBB103_2600
.LBB103_2596:
	s_mov_b64 s[2:3], -1
                                        ; implicit-def: $vgpr9
.LBB103_2597:
	s_and_b64 vcc, exec, s[2:3]
	s_cbranch_vccz .LBB103_2599
; %bb.2598:
	global_load_ubyte v5, v[7:8], off
	s_mov_b32 s2, 0x7f800000
	s_waitcnt vmcnt(0)
	v_lshlrev_b32_e32 v5, 24, v5
	v_and_b32_e32 v9, 0x7f000000, v5
	v_ffbh_u32_e32 v11, v9
	v_min_u32_e32 v11, 32, v11
	v_sub_u32_e64 v11, v11, 4 clamp
	v_lshlrev_b32_e32 v15, v11, v9
	v_lshlrev_b32_e32 v11, 23, v11
	v_lshrrev_b32_e32 v15, 4, v15
	v_add_u32_e32 v13, 0x1000000, v9
	v_sub_u32_e32 v11, v15, v11
	v_ashrrev_i32_e32 v13, 8, v13
	v_add_u32_e32 v11, 0x3c000000, v11
	v_and_or_b32 v11, v13, s2, v11
	v_cmp_ne_u32_e32 vcc, 0, v9
	v_cndmask_b32_e32 v9, 0, v11, vcc
	s_brev_b32 s2, 1
	v_and_or_b32 v9, v5, s2, v9
.LBB103_2599:
	s_mov_b64 s[2:3], 0
.LBB103_2600:
	s_andn2_b64 vcc, exec, s[2:3]
	s_cbranch_vccnz .LBB103_2602
; %bb.2601:
	global_load_ubyte v5, v[7:8], off
	s_movk_i32 s2, 0x7f00
	s_brev_b32 s3, 16
	s_waitcnt vmcnt(0)
	v_lshlrev_b16_e32 v9, 8, v5
	v_lshlrev_b32_e32 v5, 25, v5
	v_lshrrev_b32_e32 v11, 4, v5
	v_and_or_b32 v13, v9, s2, 0.5
	v_or_b32_e32 v11, 0x70000000, v11
	v_add_f32_e32 v13, -0.5, v13
	v_mul_f32_e32 v11, 0x7800000, v11
	v_cmp_gt_u32_e32 vcc, s3, v5
	v_bfe_i32 v9, v9, 0, 16
	v_cndmask_b32_e32 v5, v11, v13, vcc
	s_brev_b32 s2, 1
	v_and_or_b32 v9, v9, s2, v5
.LBB103_2602:
	s_mov_b64 s[2:3], 0
	s_mov_b64 s[4:5], -1
.LBB103_2603:
	s_andn2_b64 vcc, exec, s[2:3]
	s_mov_b64 s[2:3], 0
	s_cbranch_vccnz .LBB103_2614
; %bb.2604:
	s_cmp_gt_i32 s18, 14
	s_cbranch_scc0 .LBB103_2607
; %bb.2605:
	s_cmp_eq_u32 s18, 15
	s_cbranch_scc0 .LBB103_2610
; %bb.2606:
	global_load_ushort v5, v[7:8], off
	s_mov_b64 s[0:1], 0
	s_mov_b64 s[4:5], -1
	s_waitcnt vmcnt(0)
	v_lshlrev_b32_e32 v9, 16, v5
	s_branch .LBB103_2611
.LBB103_2607:
	s_mov_b64 s[10:11], -1
                                        ; implicit-def: $vgpr9
	s_branch .LBB103_2612
.LBB103_2608:
	s_or_saveexec_b64 s[4:5], s[4:5]
	v_mov_b32_e32 v9, 0x7f800001
	s_xor_b64 exec, exec, s[4:5]
	s_cbranch_execz .LBB103_2589
.LBB103_2609:
	v_cmp_ne_u16_e32 vcc, 0, v5
	s_andn2_b64 s[2:3], s[2:3], exec
	s_and_b64 s[10:11], vcc, exec
	v_mov_b32_e32 v9, 0
	s_or_b64 s[2:3], s[2:3], s[10:11]
	s_or_b64 exec, exec, s[4:5]
	s_and_saveexec_b64 s[4:5], s[2:3]
	s_cbranch_execnz .LBB103_2590
	s_branch .LBB103_2591
.LBB103_2610:
	s_mov_b64 s[0:1], -1
                                        ; implicit-def: $vgpr9
.LBB103_2611:
	s_mov_b64 s[10:11], 0
.LBB103_2612:
	s_and_b64 vcc, exec, s[10:11]
	s_cbranch_vccz .LBB103_2614
; %bb.2613:
	s_cmp_lg_u32 s18, 11
	s_mov_b64 s[2:3], -1
	s_cselect_b64 s[0:1], -1, 0
.LBB103_2614:
	s_and_b64 vcc, exec, s[0:1]
	s_cbranch_vccnz .LBB103_3147
; %bb.2615:
	s_andn2_b64 vcc, exec, s[2:3]
	s_cbranch_vccnz .LBB103_2617
.LBB103_2616:
	global_load_ubyte v5, v[7:8], off
	s_mov_b64 s[4:5], -1
	s_waitcnt vmcnt(0)
	v_cmp_ne_u16_e32 vcc, 0, v5
	v_cndmask_b32_e64 v9, 0, 1.0, vcc
.LBB103_2617:
	s_mov_b64 s[0:1], 0
.LBB103_2618:
	s_and_b64 vcc, exec, s[0:1]
	s_cbranch_vccz .LBB103_2667
; %bb.2619:
	s_and_b32 s2, 0xffff, s23
	s_cmp_lt_i32 s2, 5
	s_cbranch_scc1 .LBB103_2624
; %bb.2620:
	s_cmp_lt_i32 s2, 8
	s_cbranch_scc1 .LBB103_2625
; %bb.2621:
	;; [unrolled: 3-line block ×3, first 2 shown]
	s_cmp_gt_i32 s2, 9
	s_cbranch_scc0 .LBB103_2627
; %bb.2623:
	global_load_dwordx2 v[19:20], v[7:8], off
	s_mov_b64 s[0:1], 0
	s_waitcnt vmcnt(0)
	v_cvt_f32_f64_e32 v9, v[19:20]
	s_branch .LBB103_2628
.LBB103_2624:
	s_mov_b64 s[0:1], -1
                                        ; implicit-def: $vgpr9
	s_branch .LBB103_2646
.LBB103_2625:
	s_mov_b64 s[0:1], -1
                                        ; implicit-def: $vgpr9
	s_branch .LBB103_2634
.LBB103_2626:
	s_mov_b64 s[0:1], -1
                                        ; implicit-def: $vgpr9
	s_branch .LBB103_2631
.LBB103_2627:
	s_mov_b64 s[0:1], -1
                                        ; implicit-def: $vgpr9
.LBB103_2628:
	s_andn2_b64 vcc, exec, s[0:1]
	s_cbranch_vccnz .LBB103_2630
; %bb.2629:
	global_load_dword v9, v[7:8], off
.LBB103_2630:
	s_mov_b64 s[0:1], 0
.LBB103_2631:
	s_andn2_b64 vcc, exec, s[0:1]
	s_cbranch_vccnz .LBB103_2633
; %bb.2632:
	global_load_dword v5, v[7:8], off
	s_waitcnt vmcnt(0)
	v_cvt_f32_f16_e32 v9, v5
.LBB103_2633:
	s_mov_b64 s[0:1], 0
.LBB103_2634:
	s_andn2_b64 vcc, exec, s[0:1]
	s_cbranch_vccnz .LBB103_2645
; %bb.2635:
	s_cmp_lt_i32 s2, 6
	s_cbranch_scc1 .LBB103_2638
; %bb.2636:
	s_cmp_gt_i32 s2, 6
	s_cbranch_scc0 .LBB103_2639
; %bb.2637:
	global_load_dwordx2 v[19:20], v[7:8], off
	s_mov_b64 s[0:1], 0
	s_waitcnt vmcnt(0)
	v_cvt_f32_f64_e32 v9, v[19:20]
	s_branch .LBB103_2640
.LBB103_2638:
	s_mov_b64 s[0:1], -1
                                        ; implicit-def: $vgpr9
	s_branch .LBB103_2643
.LBB103_2639:
	s_mov_b64 s[0:1], -1
                                        ; implicit-def: $vgpr9
.LBB103_2640:
	s_andn2_b64 vcc, exec, s[0:1]
	s_cbranch_vccnz .LBB103_2642
; %bb.2641:
	global_load_dword v9, v[7:8], off
.LBB103_2642:
	s_mov_b64 s[0:1], 0
.LBB103_2643:
	s_andn2_b64 vcc, exec, s[0:1]
	s_cbranch_vccnz .LBB103_2645
; %bb.2644:
	global_load_ushort v5, v[7:8], off
	s_waitcnt vmcnt(0)
	v_cvt_f32_f16_e32 v9, v5
.LBB103_2645:
	s_mov_b64 s[0:1], 0
.LBB103_2646:
	s_andn2_b64 vcc, exec, s[0:1]
	s_cbranch_vccnz .LBB103_2666
; %bb.2647:
	s_cmp_lt_i32 s2, 2
	s_cbranch_scc1 .LBB103_2651
; %bb.2648:
	s_cmp_lt_i32 s2, 3
	s_cbranch_scc1 .LBB103_2652
; %bb.2649:
	s_cmp_gt_i32 s2, 3
	s_cbranch_scc0 .LBB103_2653
; %bb.2650:
	global_load_dwordx2 v[19:20], v[7:8], off
	s_mov_b64 s[0:1], 0
	s_waitcnt vmcnt(0)
	v_xor_b32_e32 v9, v19, v20
	v_ffbh_i32_e32 v5, v20
	v_ashrrev_i32_e32 v9, 31, v9
	v_add_u32_e32 v5, -1, v5
	v_add_u32_e32 v9, 32, v9
	v_min_u32_e32 v5, v5, v9
	v_lshlrev_b64 v[19:20], v5, v[19:20]
	v_sub_u32_e32 v5, 32, v5
	v_min_u32_e32 v9, 1, v19
	v_or_b32_e32 v9, v20, v9
	v_cvt_f32_i32_e32 v9, v9
	v_ldexp_f32 v9, v9, v5
	s_branch .LBB103_2654
.LBB103_2651:
	s_mov_b64 s[0:1], -1
                                        ; implicit-def: $vgpr9
	s_branch .LBB103_2660
.LBB103_2652:
	s_mov_b64 s[0:1], -1
                                        ; implicit-def: $vgpr9
	s_branch .LBB103_2657
.LBB103_2653:
	s_mov_b64 s[0:1], -1
                                        ; implicit-def: $vgpr9
.LBB103_2654:
	s_andn2_b64 vcc, exec, s[0:1]
	s_cbranch_vccnz .LBB103_2656
; %bb.2655:
	global_load_dword v5, v[7:8], off
	s_waitcnt vmcnt(0)
	v_cvt_f32_i32_e32 v9, v5
.LBB103_2656:
	s_mov_b64 s[0:1], 0
.LBB103_2657:
	s_andn2_b64 vcc, exec, s[0:1]
	s_cbranch_vccnz .LBB103_2659
; %bb.2658:
	global_load_sshort v5, v[7:8], off
	s_waitcnt vmcnt(0)
	v_cvt_f32_i32_e32 v9, v5
.LBB103_2659:
	s_mov_b64 s[0:1], 0
.LBB103_2660:
	s_andn2_b64 vcc, exec, s[0:1]
	s_cbranch_vccnz .LBB103_2666
; %bb.2661:
	s_cmp_gt_i32 s2, 0
	s_cbranch_scc0 .LBB103_2663
; %bb.2662:
	global_load_sbyte v5, v[7:8], off
	s_mov_b64 s[0:1], 0
	s_waitcnt vmcnt(0)
	v_cvt_f32_i32_e32 v9, v5
	s_branch .LBB103_2664
.LBB103_2663:
	s_mov_b64 s[0:1], -1
                                        ; implicit-def: $vgpr9
.LBB103_2664:
	s_andn2_b64 vcc, exec, s[0:1]
	s_cbranch_vccnz .LBB103_2666
; %bb.2665:
	global_load_ubyte v5, v[7:8], off
	s_waitcnt vmcnt(0)
	v_cvt_f32_ubyte0_e32 v9, v5
.LBB103_2666:
	s_mov_b64 s[4:5], -1
.LBB103_2667:
	s_andn2_b64 vcc, exec, s[4:5]
	s_cbranch_vccnz .LBB103_3101
; %bb.2668:
	s_load_dwordx2 s[2:3], s[24:25], 0x1a0
	s_waitcnt vmcnt(0)
	v_cmp_eq_f32_e32 vcc, v1, v3
	v_cndmask_b32_e64 v5, 0, 1, vcc
	v_cmp_neq_f32_e32 vcc, v1, v3
	v_cndmask_b32_e64 v1, 0, 1, vcc
	s_waitcnt lgkmcnt(0)
	s_cmp_eq_u32 s2, 0
	s_cselect_b64 s[0:1], -1, 0
	v_cndmask_b32_e64 v1, v1, v5, s[0:1]
	v_and_b32_e32 v1, 1, v1
	s_and_b32 s22, s3, 0xff
	v_cmp_eq_u32_e64 s[2:3], 1, v1
	v_mov_b32_e32 v1, s9
	v_add_co_u32_e32 v5, vcc, s8, v6
	s_cmp_lt_i32 s22, 11
	v_addc_co_u32_e32 v6, vcc, 0, v1, vcc
	s_cbranch_scc1 .LBB103_2746
; %bb.2669:
	s_and_b32 s23, 0xffff, s22
	s_mov_b64 s[18:19], -1
	s_mov_b64 s[10:11], 0
	s_cmp_gt_i32 s23, 25
	s_mov_b64 s[16:17], 0
	s_mov_b64 s[4:5], 0
	s_cbranch_scc0 .LBB103_2702
; %bb.2670:
	s_cmp_gt_i32 s23, 28
	s_cbranch_scc0 .LBB103_2685
; %bb.2671:
	s_cmp_gt_i32 s23, 43
	;; [unrolled: 3-line block ×3, first 2 shown]
	s_cbranch_scc0 .LBB103_2675
; %bb.2673:
	s_mov_b64 s[4:5], -1
	s_mov_b64 s[18:19], 0
	s_cmp_eq_u32 s23, 46
	s_cbranch_scc0 .LBB103_2675
; %bb.2674:
	v_cndmask_b32_e64 v1, 0, 1.0, s[2:3]
	v_bfe_u32 v3, v1, 16, 1
	s_movk_i32 s4, 0x7fff
	v_add3_u32 v1, v1, v3, s4
	v_lshrrev_b32_e32 v1, 16, v1
	global_store_dword v[5:6], v1, off
	s_mov_b64 s[4:5], 0
	s_mov_b64 s[16:17], -1
.LBB103_2675:
	s_and_b64 vcc, exec, s[18:19]
	s_cbranch_vccz .LBB103_2680
; %bb.2676:
	s_cmp_eq_u32 s23, 44
	s_mov_b64 s[4:5], -1
	s_cbranch_scc0 .LBB103_2680
; %bb.2677:
	v_cndmask_b32_e64 v3, 0, 1.0, s[2:3]
	v_lshrrev_b32_e32 v1, 23, v3
	s_movk_i32 s4, 0xff
	v_cmp_ne_u32_e32 vcc, s4, v1
	v_mov_b32_e32 v7, 0xff
	s_and_saveexec_b64 s[16:17], vcc
; %bb.2678:
	s_mov_b32 s4, 0x3fffff
	v_and_b32_e32 v7, 0x400000, v3
	v_and_or_b32 v3, v3, s4, v1
	v_cmp_ne_u32_e32 vcc, 0, v7
	v_cmp_ne_u32_e64 s[4:5], 0, v3
	s_and_b64 s[4:5], vcc, s[4:5]
	v_cndmask_b32_e64 v3, 0, 1, s[4:5]
	v_add_u32_e32 v7, v1, v3
; %bb.2679:
	s_or_b64 exec, exec, s[16:17]
	s_mov_b64 s[4:5], 0
	s_mov_b64 s[16:17], -1
	global_store_byte v[5:6], v7, off
.LBB103_2680:
	s_mov_b64 s[18:19], 0
.LBB103_2681:
	s_and_b64 vcc, exec, s[18:19]
	s_cbranch_vccz .LBB103_2684
; %bb.2682:
	s_cmp_eq_u32 s23, 29
	s_mov_b64 s[4:5], -1
	s_cbranch_scc0 .LBB103_2684
; %bb.2683:
	s_mov_b32 s4, 0
	v_cndmask_b32_e64 v7, 0, 1, s[2:3]
	v_mov_b32_e32 v8, s4
	global_store_dwordx2 v[5:6], v[7:8], off
	s_mov_b64 s[4:5], 0
	s_mov_b64 s[16:17], -1
.LBB103_2684:
	s_mov_b64 s[18:19], 0
.LBB103_2685:
	s_and_b64 vcc, exec, s[18:19]
	s_cbranch_vccz .LBB103_2701
; %bb.2686:
	s_cmp_lt_i32 s23, 27
	s_mov_b64 s[16:17], -1
	s_cbranch_scc1 .LBB103_2692
; %bb.2687:
	s_cmp_gt_i32 s23, 27
	s_cbranch_scc0 .LBB103_2689
; %bb.2688:
	v_cndmask_b32_e64 v1, 0, 1, s[2:3]
	s_mov_b64 s[16:17], 0
	global_store_dword v[5:6], v1, off
.LBB103_2689:
	s_andn2_b64 vcc, exec, s[16:17]
	s_cbranch_vccnz .LBB103_2691
; %bb.2690:
	v_cndmask_b32_e64 v1, 0, 1, s[2:3]
	global_store_short v[5:6], v1, off
.LBB103_2691:
	s_mov_b64 s[16:17], 0
.LBB103_2692:
	s_andn2_b64 vcc, exec, s[16:17]
	s_cbranch_vccnz .LBB103_2700
; %bb.2693:
	v_cndmask_b32_e64 v3, 0, 1.0, s[2:3]
	s_mov_b32 s16, 0x43800000
	v_cmp_gt_u32_e32 vcc, s16, v3
	v_mov_b32_e32 v7, 0x80
	s_and_saveexec_b64 s[16:17], vcc
	s_cbranch_execz .LBB103_2699
; %bb.2694:
	s_mov_b32 s18, 0x3bffffff
	v_cmp_lt_u32_e32 vcc, s18, v3
	s_mov_b64 s[18:19], 0
                                        ; implicit-def: $vgpr1
	s_and_saveexec_b64 s[20:21], vcc
	s_xor_b64 s[20:21], exec, s[20:21]
	s_cbranch_execz .LBB103_3148
; %bb.2695:
	v_bfe_u32 v1, v3, 20, 1
	s_mov_b32 s24, 0x487ffff
	v_add3_u32 v1, v3, v1, s24
	s_mov_b64 s[18:19], exec
	v_lshrrev_b32_e32 v1, 20, v1
                                        ; implicit-def: $vgpr3
	s_andn2_saveexec_b64 s[20:21], s[20:21]
	s_cbranch_execnz .LBB103_3149
.LBB103_2696:
	s_or_b64 exec, exec, s[20:21]
	v_mov_b32_e32 v7, 0
	s_and_saveexec_b64 s[20:21], s[18:19]
.LBB103_2697:
	v_mov_b32_e32 v7, v1
.LBB103_2698:
	s_or_b64 exec, exec, s[20:21]
.LBB103_2699:
	s_or_b64 exec, exec, s[16:17]
	global_store_byte v[5:6], v7, off
.LBB103_2700:
	s_mov_b64 s[16:17], -1
.LBB103_2701:
	s_mov_b64 s[18:19], 0
.LBB103_2702:
	s_and_b64 vcc, exec, s[18:19]
	s_cbranch_vccz .LBB103_2742
; %bb.2703:
	s_cmp_gt_i32 s23, 22
	s_mov_b64 s[10:11], -1
	s_cbranch_scc0 .LBB103_2735
; %bb.2704:
	s_cmp_lt_i32 s23, 24
	s_cbranch_scc1 .LBB103_2724
; %bb.2705:
	s_cmp_gt_i32 s23, 24
	s_cbranch_scc0 .LBB103_2713
; %bb.2706:
	v_cndmask_b32_e64 v3, 0, 1.0, s[2:3]
	s_mov_b32 s10, 0x47800000
	v_cmp_gt_u32_e32 vcc, s10, v3
	v_mov_b32_e32 v7, 0x80
	s_and_saveexec_b64 s[10:11], vcc
	s_cbranch_execz .LBB103_2712
; %bb.2707:
	s_mov_b32 s16, 0x37ffffff
	v_cmp_lt_u32_e32 vcc, s16, v3
	s_mov_b64 s[16:17], 0
                                        ; implicit-def: $vgpr1
	s_and_saveexec_b64 s[18:19], vcc
	s_xor_b64 s[18:19], exec, s[18:19]
	s_cbranch_execz .LBB103_3151
; %bb.2708:
	v_bfe_u32 v1, v3, 21, 1
	s_mov_b32 s20, 0x88fffff
	v_add3_u32 v1, v3, v1, s20
	s_mov_b64 s[16:17], exec
	v_lshrrev_b32_e32 v1, 21, v1
                                        ; implicit-def: $vgpr3
	s_andn2_saveexec_b64 s[18:19], s[18:19]
	s_cbranch_execnz .LBB103_3152
.LBB103_2709:
	s_or_b64 exec, exec, s[18:19]
	v_mov_b32_e32 v7, 0
	s_and_saveexec_b64 s[18:19], s[16:17]
.LBB103_2710:
	v_mov_b32_e32 v7, v1
.LBB103_2711:
	s_or_b64 exec, exec, s[18:19]
.LBB103_2712:
	s_or_b64 exec, exec, s[10:11]
	s_mov_b64 s[10:11], 0
	global_store_byte v[5:6], v7, off
.LBB103_2713:
	s_and_b64 vcc, exec, s[10:11]
	s_cbranch_vccz .LBB103_2723
; %bb.2714:
	v_cndmask_b32_e64 v1, 0, 1.0, s[2:3]
	s_mov_b32 s10, 0x43f00000
	v_cmp_gt_u32_e32 vcc, s10, v1
                                        ; implicit-def: $vgpr3
	s_and_saveexec_b64 s[10:11], vcc
	s_xor_b64 s[10:11], exec, s[10:11]
	s_cbranch_execz .LBB103_2720
; %bb.2715:
	s_mov_b32 s16, 0x3c7fffff
	v_cmp_lt_u32_e32 vcc, s16, v1
                                        ; implicit-def: $vgpr3
	s_and_saveexec_b64 s[16:17], vcc
	s_xor_b64 s[16:17], exec, s[16:17]
; %bb.2716:
	v_bfe_u32 v3, v1, 20, 1
	s_mov_b32 s18, 0x407ffff
	v_add3_u32 v1, v1, v3, s18
	v_lshrrev_b32_e32 v3, 20, v1
	v_and_b32_e32 v1, 0xff00000, v1
	s_mov_b32 s18, 0x7f00000
	v_mov_b32_e32 v7, 0x7e
	v_cmp_ne_u32_e32 vcc, s18, v1
	v_cndmask_b32_e32 v3, v7, v3, vcc
                                        ; implicit-def: $vgpr1
; %bb.2717:
	s_andn2_saveexec_b64 s[16:17], s[16:17]
; %bb.2718:
	v_add_f32_e32 v3, 0x46800000, v1
; %bb.2719:
	s_or_b64 exec, exec, s[16:17]
                                        ; implicit-def: $vgpr1
.LBB103_2720:
	s_andn2_saveexec_b64 s[10:11], s[10:11]
; %bb.2721:
	s_mov_b32 s16, 0x7f800000
	v_mov_b32_e32 v3, 0x7e
	v_mov_b32_e32 v7, 0x7f
	v_cmp_lt_u32_e32 vcc, s16, v1
	v_cndmask_b32_e32 v3, v3, v7, vcc
; %bb.2722:
	s_or_b64 exec, exec, s[10:11]
	global_store_byte v[5:6], v3, off
.LBB103_2723:
	s_mov_b64 s[10:11], 0
.LBB103_2724:
	s_andn2_b64 vcc, exec, s[10:11]
	s_cbranch_vccnz .LBB103_2734
; %bb.2725:
	v_cndmask_b32_e64 v1, 0, 1.0, s[2:3]
	s_mov_b32 s10, 0x47800000
	v_cmp_gt_u32_e32 vcc, s10, v1
                                        ; implicit-def: $vgpr3
	s_and_saveexec_b64 s[10:11], vcc
	s_xor_b64 s[10:11], exec, s[10:11]
	s_cbranch_execz .LBB103_2731
; %bb.2726:
	s_mov_b32 s16, 0x387fffff
	v_cmp_lt_u32_e32 vcc, s16, v1
                                        ; implicit-def: $vgpr3
	s_and_saveexec_b64 s[16:17], vcc
	s_xor_b64 s[16:17], exec, s[16:17]
; %bb.2727:
	v_bfe_u32 v3, v1, 21, 1
	s_mov_b32 s18, 0x80fffff
	v_add3_u32 v1, v1, v3, s18
	v_lshrrev_b32_e32 v3, 21, v1
                                        ; implicit-def: $vgpr1
; %bb.2728:
	s_andn2_saveexec_b64 s[16:17], s[16:17]
; %bb.2729:
	v_add_f32_e32 v3, 0x43000000, v1
; %bb.2730:
	s_or_b64 exec, exec, s[16:17]
                                        ; implicit-def: $vgpr1
.LBB103_2731:
	s_andn2_saveexec_b64 s[10:11], s[10:11]
; %bb.2732:
	s_mov_b32 s16, 0x7f800000
	v_mov_b32_e32 v3, 0x7c
	v_mov_b32_e32 v7, 0x7f
	v_cmp_lt_u32_e32 vcc, s16, v1
	v_cndmask_b32_e32 v3, v3, v7, vcc
; %bb.2733:
	s_or_b64 exec, exec, s[10:11]
	global_store_byte v[5:6], v3, off
.LBB103_2734:
	s_mov_b64 s[10:11], 0
	s_mov_b64 s[16:17], -1
.LBB103_2735:
	s_andn2_b64 vcc, exec, s[10:11]
	s_mov_b64 s[10:11], 0
	s_cbranch_vccnz .LBB103_2742
; %bb.2736:
	s_cmp_gt_i32 s23, 14
	s_mov_b64 s[18:19], -1
	s_cbranch_scc0 .LBB103_2740
; %bb.2737:
	s_cmp_eq_u32 s23, 15
	s_mov_b64 s[4:5], -1
	s_cbranch_scc0 .LBB103_2739
; %bb.2738:
	v_cndmask_b32_e64 v1, 0, 1.0, s[2:3]
	v_bfe_u32 v3, v1, 16, 1
	s_movk_i32 s4, 0x7fff
	v_add3_u32 v1, v1, v3, s4
	global_store_short_d16_hi v[5:6], v1, off
	s_mov_b64 s[4:5], 0
	s_mov_b64 s[16:17], -1
.LBB103_2739:
	s_mov_b64 s[18:19], 0
.LBB103_2740:
	s_and_b64 vcc, exec, s[18:19]
	s_cbranch_vccz .LBB103_2742
; %bb.2741:
	s_cmp_lg_u32 s23, 11
	s_mov_b64 s[10:11], -1
	s_cselect_b64 s[4:5], -1, 0
.LBB103_2742:
	s_and_b64 vcc, exec, s[4:5]
	s_cbranch_vccnz .LBB103_3150
; %bb.2743:
	s_andn2_b64 vcc, exec, s[10:11]
	s_cbranch_vccnz .LBB103_2745
.LBB103_2744:
	v_cndmask_b32_e64 v1, 0, 1, s[2:3]
	s_mov_b64 s[16:17], -1
	global_store_byte v[5:6], v1, off
.LBB103_2745:
	s_mov_b64 s[4:5], 0
	s_branch .LBB103_2747
.LBB103_2746:
	s_mov_b64 s[4:5], -1
	s_mov_b64 s[16:17], 0
.LBB103_2747:
	s_and_b64 vcc, exec, s[4:5]
	s_cbranch_vccz .LBB103_2786
; %bb.2748:
	s_and_b32 s10, 0xffff, s22
	s_cmp_lt_i32 s10, 5
	s_mov_b64 s[4:5], -1
	s_cbranch_scc1 .LBB103_2769
; %bb.2749:
	s_cmp_lt_i32 s10, 8
	s_cbranch_scc1 .LBB103_2759
; %bb.2750:
	s_cmp_lt_i32 s10, 9
	s_cbranch_scc1 .LBB103_2756
; %bb.2751:
	s_cmp_gt_i32 s10, 9
	s_cbranch_scc0 .LBB103_2753
; %bb.2752:
	v_cndmask_b32_e64 v1, 0, 1, s[2:3]
	v_cvt_f64_u32_e32 v[19:20], v1
	v_mov_b32_e32 v21, 0
	v_mov_b32_e32 v22, v21
	s_mov_b64 s[4:5], 0
	global_store_dwordx4 v[5:6], v[19:22], off
.LBB103_2753:
	s_andn2_b64 vcc, exec, s[4:5]
	s_cbranch_vccnz .LBB103_2755
; %bb.2754:
	v_cndmask_b32_e64 v7, 0, 1.0, s[2:3]
	v_mov_b32_e32 v8, 0
	global_store_dwordx2 v[5:6], v[7:8], off
.LBB103_2755:
	s_mov_b64 s[4:5], 0
.LBB103_2756:
	s_andn2_b64 vcc, exec, s[4:5]
	s_cbranch_vccnz .LBB103_2758
; %bb.2757:
	v_cndmask_b32_e64 v1, 0, 1.0, s[2:3]
	v_cvt_f16_f32_e32 v1, v1
	global_store_dword v[5:6], v1, off
.LBB103_2758:
	s_mov_b64 s[4:5], 0
.LBB103_2759:
	s_andn2_b64 vcc, exec, s[4:5]
	s_cbranch_vccnz .LBB103_2768
; %bb.2760:
	s_cmp_lt_i32 s10, 6
	s_mov_b64 s[4:5], -1
	s_cbranch_scc1 .LBB103_2766
; %bb.2761:
	s_cmp_gt_i32 s10, 6
	s_cbranch_scc0 .LBB103_2763
; %bb.2762:
	v_cndmask_b32_e64 v1, 0, 1, s[2:3]
	v_cvt_f64_u32_e32 v[7:8], v1
	s_mov_b64 s[4:5], 0
	global_store_dwordx2 v[5:6], v[7:8], off
.LBB103_2763:
	s_andn2_b64 vcc, exec, s[4:5]
	s_cbranch_vccnz .LBB103_2765
; %bb.2764:
	v_cndmask_b32_e64 v1, 0, 1.0, s[2:3]
	global_store_dword v[5:6], v1, off
.LBB103_2765:
	s_mov_b64 s[4:5], 0
.LBB103_2766:
	s_andn2_b64 vcc, exec, s[4:5]
	s_cbranch_vccnz .LBB103_2768
; %bb.2767:
	v_cndmask_b32_e64 v1, 0, 1.0, s[2:3]
	v_cvt_f16_f32_e32 v1, v1
	global_store_short v[5:6], v1, off
.LBB103_2768:
	s_mov_b64 s[4:5], 0
.LBB103_2769:
	s_andn2_b64 vcc, exec, s[4:5]
	s_cbranch_vccnz .LBB103_2785
; %bb.2770:
	s_cmp_lt_i32 s10, 2
	s_mov_b64 s[4:5], -1
	s_cbranch_scc1 .LBB103_2780
; %bb.2771:
	s_cmp_lt_i32 s10, 3
	s_cbranch_scc1 .LBB103_2777
; %bb.2772:
	s_cmp_gt_i32 s10, 3
	s_cbranch_scc0 .LBB103_2774
; %bb.2773:
	s_mov_b32 s4, 0
	v_cndmask_b32_e64 v7, 0, 1, s[2:3]
	v_mov_b32_e32 v8, s4
	global_store_dwordx2 v[5:6], v[7:8], off
	s_mov_b64 s[4:5], 0
.LBB103_2774:
	s_andn2_b64 vcc, exec, s[4:5]
	s_cbranch_vccnz .LBB103_2776
; %bb.2775:
	v_cndmask_b32_e64 v1, 0, 1, s[2:3]
	global_store_dword v[5:6], v1, off
.LBB103_2776:
	s_mov_b64 s[4:5], 0
.LBB103_2777:
	s_andn2_b64 vcc, exec, s[4:5]
	s_cbranch_vccnz .LBB103_2779
; %bb.2778:
	v_cndmask_b32_e64 v1, 0, 1, s[2:3]
	global_store_short v[5:6], v1, off
.LBB103_2779:
	s_mov_b64 s[4:5], 0
.LBB103_2780:
	s_andn2_b64 vcc, exec, s[4:5]
	s_cbranch_vccnz .LBB103_2785
; %bb.2781:
	s_mov_b64 s[4:5], -1
	s_cmp_gt_i32 s10, 0
	v_cndmask_b32_e64 v1, 0, 1, s[2:3]
	s_cbranch_scc0 .LBB103_2783
; %bb.2782:
	global_store_byte v[5:6], v1, off
	s_mov_b64 s[4:5], 0
.LBB103_2783:
	s_andn2_b64 vcc, exec, s[4:5]
	s_cbranch_vccnz .LBB103_2785
; %bb.2784:
	global_store_byte v[5:6], v1, off
.LBB103_2785:
	s_mov_b64 s[16:17], -1
.LBB103_2786:
	s_andn2_b64 vcc, exec, s[16:17]
	s_cbranch_vccnz .LBB103_3101
; %bb.2787:
	v_cmp_eq_f32_e32 vcc, v18, v16
	v_cndmask_b32_e64 v1, 0, 1, vcc
	v_cmp_neq_f32_e32 vcc, v18, v16
	v_cndmask_b32_e64 v3, 0, 1, vcc
	v_cndmask_b32_e64 v1, v3, v1, s[0:1]
	v_and_b32_e32 v1, 1, v1
	v_cmp_eq_u32_e64 s[2:3], 1, v1
	v_mov_b32_e32 v1, s9
	s_and_b32 s23, 0xffff, s22
	v_add_co_u32_e32 v3, vcc, s8, v4
	s_cmp_lt_i32 s23, 11
	v_addc_co_u32_e32 v4, vcc, 0, v1, vcc
	s_cbranch_scc1 .LBB103_2865
; %bb.2788:
	s_mov_b64 s[18:19], -1
	s_mov_b64 s[10:11], 0
	s_cmp_gt_i32 s23, 25
	s_mov_b64 s[16:17], 0
	s_mov_b64 s[4:5], 0
	s_cbranch_scc0 .LBB103_2821
; %bb.2789:
	s_cmp_gt_i32 s23, 28
	s_cbranch_scc0 .LBB103_2804
; %bb.2790:
	s_cmp_gt_i32 s23, 43
	;; [unrolled: 3-line block ×3, first 2 shown]
	s_cbranch_scc0 .LBB103_2794
; %bb.2792:
	s_mov_b64 s[4:5], -1
	s_mov_b64 s[18:19], 0
	s_cmp_eq_u32 s23, 46
	s_cbranch_scc0 .LBB103_2794
; %bb.2793:
	v_cndmask_b32_e64 v1, 0, 1.0, s[2:3]
	v_bfe_u32 v5, v1, 16, 1
	s_movk_i32 s4, 0x7fff
	v_add3_u32 v1, v1, v5, s4
	v_lshrrev_b32_e32 v1, 16, v1
	global_store_dword v[3:4], v1, off
	s_mov_b64 s[4:5], 0
	s_mov_b64 s[16:17], -1
.LBB103_2794:
	s_and_b64 vcc, exec, s[18:19]
	s_cbranch_vccz .LBB103_2799
; %bb.2795:
	s_cmp_eq_u32 s23, 44
	s_mov_b64 s[4:5], -1
	s_cbranch_scc0 .LBB103_2799
; %bb.2796:
	v_cndmask_b32_e64 v5, 0, 1.0, s[2:3]
	v_lshrrev_b32_e32 v1, 23, v5
	s_movk_i32 s4, 0xff
	v_cmp_ne_u32_e32 vcc, s4, v1
	v_mov_b32_e32 v6, 0xff
	s_and_saveexec_b64 s[16:17], vcc
; %bb.2797:
	s_mov_b32 s4, 0x3fffff
	v_and_b32_e32 v6, 0x400000, v5
	v_and_or_b32 v5, v5, s4, v1
	v_cmp_ne_u32_e32 vcc, 0, v6
	v_cmp_ne_u32_e64 s[4:5], 0, v5
	s_and_b64 s[4:5], vcc, s[4:5]
	v_cndmask_b32_e64 v5, 0, 1, s[4:5]
	v_add_u32_e32 v6, v1, v5
; %bb.2798:
	s_or_b64 exec, exec, s[16:17]
	s_mov_b64 s[4:5], 0
	s_mov_b64 s[16:17], -1
	global_store_byte v[3:4], v6, off
.LBB103_2799:
	s_mov_b64 s[18:19], 0
.LBB103_2800:
	s_and_b64 vcc, exec, s[18:19]
	s_cbranch_vccz .LBB103_2803
; %bb.2801:
	s_cmp_eq_u32 s23, 29
	s_mov_b64 s[4:5], -1
	s_cbranch_scc0 .LBB103_2803
; %bb.2802:
	s_mov_b32 s4, 0
	v_cndmask_b32_e64 v5, 0, 1, s[2:3]
	v_mov_b32_e32 v6, s4
	global_store_dwordx2 v[3:4], v[5:6], off
	s_mov_b64 s[4:5], 0
	s_mov_b64 s[16:17], -1
.LBB103_2803:
	s_mov_b64 s[18:19], 0
.LBB103_2804:
	s_and_b64 vcc, exec, s[18:19]
	s_cbranch_vccz .LBB103_2820
; %bb.2805:
	s_cmp_lt_i32 s23, 27
	s_mov_b64 s[16:17], -1
	s_cbranch_scc1 .LBB103_2811
; %bb.2806:
	s_cmp_gt_i32 s23, 27
	s_cbranch_scc0 .LBB103_2808
; %bb.2807:
	v_cndmask_b32_e64 v1, 0, 1, s[2:3]
	s_mov_b64 s[16:17], 0
	global_store_dword v[3:4], v1, off
.LBB103_2808:
	s_andn2_b64 vcc, exec, s[16:17]
	s_cbranch_vccnz .LBB103_2810
; %bb.2809:
	v_cndmask_b32_e64 v1, 0, 1, s[2:3]
	global_store_short v[3:4], v1, off
.LBB103_2810:
	s_mov_b64 s[16:17], 0
.LBB103_2811:
	s_andn2_b64 vcc, exec, s[16:17]
	s_cbranch_vccnz .LBB103_2819
; %bb.2812:
	v_cndmask_b32_e64 v5, 0, 1.0, s[2:3]
	s_mov_b32 s16, 0x43800000
	v_cmp_gt_u32_e32 vcc, s16, v5
	v_mov_b32_e32 v6, 0x80
	s_and_saveexec_b64 s[16:17], vcc
	s_cbranch_execz .LBB103_2818
; %bb.2813:
	s_mov_b32 s18, 0x3bffffff
	v_cmp_lt_u32_e32 vcc, s18, v5
	s_mov_b64 s[18:19], 0
                                        ; implicit-def: $vgpr1
	s_and_saveexec_b64 s[20:21], vcc
	s_xor_b64 s[20:21], exec, s[20:21]
	s_cbranch_execz .LBB103_3153
; %bb.2814:
	v_bfe_u32 v1, v5, 20, 1
	s_mov_b32 s24, 0x487ffff
	v_add3_u32 v1, v5, v1, s24
	s_mov_b64 s[18:19], exec
	v_lshrrev_b32_e32 v1, 20, v1
                                        ; implicit-def: $vgpr5
	s_andn2_saveexec_b64 s[20:21], s[20:21]
	s_cbranch_execnz .LBB103_3154
.LBB103_2815:
	s_or_b64 exec, exec, s[20:21]
	v_mov_b32_e32 v6, 0
	s_and_saveexec_b64 s[20:21], s[18:19]
.LBB103_2816:
	v_mov_b32_e32 v6, v1
.LBB103_2817:
	s_or_b64 exec, exec, s[20:21]
.LBB103_2818:
	s_or_b64 exec, exec, s[16:17]
	global_store_byte v[3:4], v6, off
.LBB103_2819:
	s_mov_b64 s[16:17], -1
.LBB103_2820:
	s_mov_b64 s[18:19], 0
.LBB103_2821:
	s_and_b64 vcc, exec, s[18:19]
	s_cbranch_vccz .LBB103_2861
; %bb.2822:
	s_cmp_gt_i32 s23, 22
	s_mov_b64 s[10:11], -1
	s_cbranch_scc0 .LBB103_2854
; %bb.2823:
	s_cmp_lt_i32 s23, 24
	s_cbranch_scc1 .LBB103_2843
; %bb.2824:
	s_cmp_gt_i32 s23, 24
	s_cbranch_scc0 .LBB103_2832
; %bb.2825:
	v_cndmask_b32_e64 v5, 0, 1.0, s[2:3]
	s_mov_b32 s10, 0x47800000
	v_cmp_gt_u32_e32 vcc, s10, v5
	v_mov_b32_e32 v6, 0x80
	s_and_saveexec_b64 s[10:11], vcc
	s_cbranch_execz .LBB103_2831
; %bb.2826:
	s_mov_b32 s16, 0x37ffffff
	v_cmp_lt_u32_e32 vcc, s16, v5
	s_mov_b64 s[16:17], 0
                                        ; implicit-def: $vgpr1
	s_and_saveexec_b64 s[18:19], vcc
	s_xor_b64 s[18:19], exec, s[18:19]
	s_cbranch_execz .LBB103_3156
; %bb.2827:
	v_bfe_u32 v1, v5, 21, 1
	s_mov_b32 s20, 0x88fffff
	v_add3_u32 v1, v5, v1, s20
	s_mov_b64 s[16:17], exec
	v_lshrrev_b32_e32 v1, 21, v1
                                        ; implicit-def: $vgpr5
	s_andn2_saveexec_b64 s[18:19], s[18:19]
	s_cbranch_execnz .LBB103_3157
.LBB103_2828:
	s_or_b64 exec, exec, s[18:19]
	v_mov_b32_e32 v6, 0
	s_and_saveexec_b64 s[18:19], s[16:17]
.LBB103_2829:
	v_mov_b32_e32 v6, v1
.LBB103_2830:
	s_or_b64 exec, exec, s[18:19]
.LBB103_2831:
	s_or_b64 exec, exec, s[10:11]
	s_mov_b64 s[10:11], 0
	global_store_byte v[3:4], v6, off
.LBB103_2832:
	s_and_b64 vcc, exec, s[10:11]
	s_cbranch_vccz .LBB103_2842
; %bb.2833:
	v_cndmask_b32_e64 v1, 0, 1.0, s[2:3]
	s_mov_b32 s10, 0x43f00000
	v_cmp_gt_u32_e32 vcc, s10, v1
                                        ; implicit-def: $vgpr5
	s_and_saveexec_b64 s[10:11], vcc
	s_xor_b64 s[10:11], exec, s[10:11]
	s_cbranch_execz .LBB103_2839
; %bb.2834:
	s_mov_b32 s16, 0x3c7fffff
	v_cmp_lt_u32_e32 vcc, s16, v1
                                        ; implicit-def: $vgpr5
	s_and_saveexec_b64 s[16:17], vcc
	s_xor_b64 s[16:17], exec, s[16:17]
; %bb.2835:
	v_bfe_u32 v5, v1, 20, 1
	s_mov_b32 s18, 0x407ffff
	v_add3_u32 v1, v1, v5, s18
	v_lshrrev_b32_e32 v5, 20, v1
	v_and_b32_e32 v1, 0xff00000, v1
	s_mov_b32 s18, 0x7f00000
	v_mov_b32_e32 v6, 0x7e
	v_cmp_ne_u32_e32 vcc, s18, v1
	v_cndmask_b32_e32 v5, v6, v5, vcc
                                        ; implicit-def: $vgpr1
; %bb.2836:
	s_andn2_saveexec_b64 s[16:17], s[16:17]
; %bb.2837:
	v_add_f32_e32 v5, 0x46800000, v1
; %bb.2838:
	s_or_b64 exec, exec, s[16:17]
                                        ; implicit-def: $vgpr1
.LBB103_2839:
	s_andn2_saveexec_b64 s[10:11], s[10:11]
; %bb.2840:
	s_mov_b32 s16, 0x7f800000
	v_mov_b32_e32 v5, 0x7e
	v_mov_b32_e32 v6, 0x7f
	v_cmp_lt_u32_e32 vcc, s16, v1
	v_cndmask_b32_e32 v5, v5, v6, vcc
; %bb.2841:
	s_or_b64 exec, exec, s[10:11]
	global_store_byte v[3:4], v5, off
.LBB103_2842:
	s_mov_b64 s[10:11], 0
.LBB103_2843:
	s_andn2_b64 vcc, exec, s[10:11]
	s_cbranch_vccnz .LBB103_2853
; %bb.2844:
	v_cndmask_b32_e64 v1, 0, 1.0, s[2:3]
	s_mov_b32 s10, 0x47800000
	v_cmp_gt_u32_e32 vcc, s10, v1
                                        ; implicit-def: $vgpr5
	s_and_saveexec_b64 s[10:11], vcc
	s_xor_b64 s[10:11], exec, s[10:11]
	s_cbranch_execz .LBB103_2850
; %bb.2845:
	s_mov_b32 s16, 0x387fffff
	v_cmp_lt_u32_e32 vcc, s16, v1
                                        ; implicit-def: $vgpr5
	s_and_saveexec_b64 s[16:17], vcc
	s_xor_b64 s[16:17], exec, s[16:17]
; %bb.2846:
	v_bfe_u32 v5, v1, 21, 1
	s_mov_b32 s18, 0x80fffff
	v_add3_u32 v1, v1, v5, s18
	v_lshrrev_b32_e32 v5, 21, v1
                                        ; implicit-def: $vgpr1
; %bb.2847:
	s_andn2_saveexec_b64 s[16:17], s[16:17]
; %bb.2848:
	v_add_f32_e32 v5, 0x43000000, v1
; %bb.2849:
	s_or_b64 exec, exec, s[16:17]
                                        ; implicit-def: $vgpr1
.LBB103_2850:
	s_andn2_saveexec_b64 s[10:11], s[10:11]
; %bb.2851:
	s_mov_b32 s16, 0x7f800000
	v_mov_b32_e32 v5, 0x7c
	v_mov_b32_e32 v6, 0x7f
	v_cmp_lt_u32_e32 vcc, s16, v1
	v_cndmask_b32_e32 v5, v5, v6, vcc
; %bb.2852:
	s_or_b64 exec, exec, s[10:11]
	global_store_byte v[3:4], v5, off
.LBB103_2853:
	s_mov_b64 s[10:11], 0
	s_mov_b64 s[16:17], -1
.LBB103_2854:
	s_andn2_b64 vcc, exec, s[10:11]
	s_mov_b64 s[10:11], 0
	s_cbranch_vccnz .LBB103_2861
; %bb.2855:
	s_cmp_gt_i32 s23, 14
	s_mov_b64 s[18:19], -1
	s_cbranch_scc0 .LBB103_2859
; %bb.2856:
	s_cmp_eq_u32 s23, 15
	s_mov_b64 s[4:5], -1
	s_cbranch_scc0 .LBB103_2858
; %bb.2857:
	v_cndmask_b32_e64 v1, 0, 1.0, s[2:3]
	v_bfe_u32 v5, v1, 16, 1
	s_movk_i32 s4, 0x7fff
	v_add3_u32 v1, v1, v5, s4
	global_store_short_d16_hi v[3:4], v1, off
	s_mov_b64 s[4:5], 0
	s_mov_b64 s[16:17], -1
.LBB103_2858:
	s_mov_b64 s[18:19], 0
.LBB103_2859:
	s_and_b64 vcc, exec, s[18:19]
	s_cbranch_vccz .LBB103_2861
; %bb.2860:
	s_cmp_lg_u32 s23, 11
	s_mov_b64 s[10:11], -1
	s_cselect_b64 s[4:5], -1, 0
.LBB103_2861:
	s_and_b64 vcc, exec, s[4:5]
	s_cbranch_vccnz .LBB103_3155
; %bb.2862:
	s_andn2_b64 vcc, exec, s[10:11]
	s_cbranch_vccnz .LBB103_2864
.LBB103_2863:
	v_cndmask_b32_e64 v1, 0, 1, s[2:3]
	s_mov_b64 s[16:17], -1
	global_store_byte v[3:4], v1, off
.LBB103_2864:
	s_mov_b64 s[4:5], 0
	s_branch .LBB103_2866
.LBB103_2865:
	s_mov_b64 s[4:5], -1
	s_mov_b64 s[16:17], 0
.LBB103_2866:
	s_and_b64 vcc, exec, s[4:5]
	s_cbranch_vccz .LBB103_2905
; %bb.2867:
	s_cmp_lt_i32 s23, 5
	s_mov_b64 s[4:5], -1
	s_cbranch_scc1 .LBB103_2888
; %bb.2868:
	s_cmp_lt_i32 s23, 8
	s_cbranch_scc1 .LBB103_2878
; %bb.2869:
	s_cmp_lt_i32 s23, 9
	s_cbranch_scc1 .LBB103_2875
; %bb.2870:
	s_cmp_gt_i32 s23, 9
	s_cbranch_scc0 .LBB103_2872
; %bb.2871:
	v_cndmask_b32_e64 v1, 0, 1, s[2:3]
	v_cvt_f64_u32_e32 v[5:6], v1
	v_mov_b32_e32 v7, 0
	v_mov_b32_e32 v8, v7
	s_mov_b64 s[4:5], 0
	global_store_dwordx4 v[3:4], v[5:8], off
.LBB103_2872:
	s_andn2_b64 vcc, exec, s[4:5]
	s_cbranch_vccnz .LBB103_2874
; %bb.2873:
	v_cndmask_b32_e64 v5, 0, 1.0, s[2:3]
	v_mov_b32_e32 v6, 0
	global_store_dwordx2 v[3:4], v[5:6], off
.LBB103_2874:
	s_mov_b64 s[4:5], 0
.LBB103_2875:
	s_andn2_b64 vcc, exec, s[4:5]
	s_cbranch_vccnz .LBB103_2877
; %bb.2876:
	v_cndmask_b32_e64 v1, 0, 1.0, s[2:3]
	v_cvt_f16_f32_e32 v1, v1
	global_store_dword v[3:4], v1, off
.LBB103_2877:
	s_mov_b64 s[4:5], 0
.LBB103_2878:
	s_andn2_b64 vcc, exec, s[4:5]
	s_cbranch_vccnz .LBB103_2887
; %bb.2879:
	s_cmp_lt_i32 s23, 6
	s_mov_b64 s[4:5], -1
	s_cbranch_scc1 .LBB103_2885
; %bb.2880:
	s_cmp_gt_i32 s23, 6
	s_cbranch_scc0 .LBB103_2882
; %bb.2881:
	v_cndmask_b32_e64 v1, 0, 1, s[2:3]
	v_cvt_f64_u32_e32 v[5:6], v1
	s_mov_b64 s[4:5], 0
	global_store_dwordx2 v[3:4], v[5:6], off
.LBB103_2882:
	s_andn2_b64 vcc, exec, s[4:5]
	s_cbranch_vccnz .LBB103_2884
; %bb.2883:
	v_cndmask_b32_e64 v1, 0, 1.0, s[2:3]
	global_store_dword v[3:4], v1, off
.LBB103_2884:
	s_mov_b64 s[4:5], 0
.LBB103_2885:
	s_andn2_b64 vcc, exec, s[4:5]
	s_cbranch_vccnz .LBB103_2887
; %bb.2886:
	v_cndmask_b32_e64 v1, 0, 1.0, s[2:3]
	v_cvt_f16_f32_e32 v1, v1
	global_store_short v[3:4], v1, off
.LBB103_2887:
	s_mov_b64 s[4:5], 0
.LBB103_2888:
	s_andn2_b64 vcc, exec, s[4:5]
	s_cbranch_vccnz .LBB103_2904
; %bb.2889:
	s_cmp_lt_i32 s23, 2
	s_mov_b64 s[4:5], -1
	s_cbranch_scc1 .LBB103_2899
; %bb.2890:
	s_cmp_lt_i32 s23, 3
	s_cbranch_scc1 .LBB103_2896
; %bb.2891:
	s_cmp_gt_i32 s23, 3
	s_cbranch_scc0 .LBB103_2893
; %bb.2892:
	s_mov_b32 s4, 0
	v_cndmask_b32_e64 v5, 0, 1, s[2:3]
	v_mov_b32_e32 v6, s4
	global_store_dwordx2 v[3:4], v[5:6], off
	s_mov_b64 s[4:5], 0
.LBB103_2893:
	s_andn2_b64 vcc, exec, s[4:5]
	s_cbranch_vccnz .LBB103_2895
; %bb.2894:
	v_cndmask_b32_e64 v1, 0, 1, s[2:3]
	global_store_dword v[3:4], v1, off
.LBB103_2895:
	s_mov_b64 s[4:5], 0
.LBB103_2896:
	s_andn2_b64 vcc, exec, s[4:5]
	s_cbranch_vccnz .LBB103_2898
; %bb.2897:
	v_cndmask_b32_e64 v1, 0, 1, s[2:3]
	global_store_short v[3:4], v1, off
.LBB103_2898:
	s_mov_b64 s[4:5], 0
.LBB103_2899:
	s_andn2_b64 vcc, exec, s[4:5]
	s_cbranch_vccnz .LBB103_2904
; %bb.2900:
	s_mov_b64 s[4:5], -1
	s_cmp_gt_i32 s23, 0
	v_cndmask_b32_e64 v1, 0, 1, s[2:3]
	s_cbranch_scc0 .LBB103_2902
; %bb.2901:
	global_store_byte v[3:4], v1, off
	s_mov_b64 s[4:5], 0
.LBB103_2902:
	s_andn2_b64 vcc, exec, s[4:5]
	s_cbranch_vccnz .LBB103_2904
; %bb.2903:
	global_store_byte v[3:4], v1, off
.LBB103_2904:
	s_mov_b64 s[16:17], -1
.LBB103_2905:
	s_andn2_b64 vcc, exec, s[16:17]
	s_cbranch_vccnz .LBB103_3101
; %bb.2906:
	v_cmp_eq_f32_e32 vcc, v14, v12
	v_cndmask_b32_e64 v1, 0, 1, vcc
	v_cmp_neq_f32_e32 vcc, v14, v12
	v_cndmask_b32_e64 v3, 0, 1, vcc
	v_cndmask_b32_e64 v1, v3, v1, s[0:1]
	v_and_b32_e32 v1, 1, v1
	v_cmp_eq_u32_e64 s[2:3], 1, v1
	v_mov_b32_e32 v3, s9
	v_add_co_u32_e32 v1, vcc, s8, v2
	s_cmp_lt_i32 s23, 11
	v_addc_co_u32_e32 v2, vcc, 0, v3, vcc
	s_cbranch_scc1 .LBB103_2984
; %bb.2907:
	s_mov_b64 s[18:19], -1
	s_mov_b64 s[10:11], 0
	s_cmp_gt_i32 s23, 25
	s_mov_b64 s[16:17], 0
	s_mov_b64 s[4:5], 0
	s_cbranch_scc0 .LBB103_2940
; %bb.2908:
	s_cmp_gt_i32 s23, 28
	s_cbranch_scc0 .LBB103_2923
; %bb.2909:
	s_cmp_gt_i32 s23, 43
	;; [unrolled: 3-line block ×3, first 2 shown]
	s_cbranch_scc0 .LBB103_2913
; %bb.2911:
	s_mov_b64 s[4:5], -1
	s_mov_b64 s[18:19], 0
	s_cmp_eq_u32 s23, 46
	s_cbranch_scc0 .LBB103_2913
; %bb.2912:
	v_cndmask_b32_e64 v3, 0, 1.0, s[2:3]
	v_bfe_u32 v4, v3, 16, 1
	s_movk_i32 s4, 0x7fff
	v_add3_u32 v3, v3, v4, s4
	v_lshrrev_b32_e32 v3, 16, v3
	global_store_dword v[1:2], v3, off
	s_mov_b64 s[4:5], 0
	s_mov_b64 s[16:17], -1
.LBB103_2913:
	s_and_b64 vcc, exec, s[18:19]
	s_cbranch_vccz .LBB103_2918
; %bb.2914:
	s_cmp_eq_u32 s23, 44
	s_mov_b64 s[4:5], -1
	s_cbranch_scc0 .LBB103_2918
; %bb.2915:
	v_cndmask_b32_e64 v4, 0, 1.0, s[2:3]
	v_lshrrev_b32_e32 v3, 23, v4
	s_movk_i32 s4, 0xff
	v_cmp_ne_u32_e32 vcc, s4, v3
	v_mov_b32_e32 v5, 0xff
	s_and_saveexec_b64 s[16:17], vcc
; %bb.2916:
	s_mov_b32 s4, 0x3fffff
	v_and_b32_e32 v5, 0x400000, v4
	v_and_or_b32 v4, v4, s4, v3
	v_cmp_ne_u32_e32 vcc, 0, v5
	v_cmp_ne_u32_e64 s[4:5], 0, v4
	s_and_b64 s[4:5], vcc, s[4:5]
	v_cndmask_b32_e64 v4, 0, 1, s[4:5]
	v_add_u32_e32 v5, v3, v4
; %bb.2917:
	s_or_b64 exec, exec, s[16:17]
	s_mov_b64 s[4:5], 0
	s_mov_b64 s[16:17], -1
	global_store_byte v[1:2], v5, off
.LBB103_2918:
	s_mov_b64 s[18:19], 0
.LBB103_2919:
	s_and_b64 vcc, exec, s[18:19]
	s_cbranch_vccz .LBB103_2922
; %bb.2920:
	s_cmp_eq_u32 s23, 29
	s_mov_b64 s[4:5], -1
	s_cbranch_scc0 .LBB103_2922
; %bb.2921:
	s_mov_b32 s4, 0
	v_cndmask_b32_e64 v3, 0, 1, s[2:3]
	v_mov_b32_e32 v4, s4
	global_store_dwordx2 v[1:2], v[3:4], off
	s_mov_b64 s[4:5], 0
	s_mov_b64 s[16:17], -1
.LBB103_2922:
	s_mov_b64 s[18:19], 0
.LBB103_2923:
	s_and_b64 vcc, exec, s[18:19]
	s_cbranch_vccz .LBB103_2939
; %bb.2924:
	s_cmp_lt_i32 s23, 27
	s_mov_b64 s[16:17], -1
	s_cbranch_scc1 .LBB103_2930
; %bb.2925:
	s_cmp_gt_i32 s23, 27
	s_cbranch_scc0 .LBB103_2927
; %bb.2926:
	v_cndmask_b32_e64 v3, 0, 1, s[2:3]
	s_mov_b64 s[16:17], 0
	global_store_dword v[1:2], v3, off
.LBB103_2927:
	s_andn2_b64 vcc, exec, s[16:17]
	s_cbranch_vccnz .LBB103_2929
; %bb.2928:
	v_cndmask_b32_e64 v3, 0, 1, s[2:3]
	global_store_short v[1:2], v3, off
.LBB103_2929:
	s_mov_b64 s[16:17], 0
.LBB103_2930:
	s_andn2_b64 vcc, exec, s[16:17]
	s_cbranch_vccnz .LBB103_2938
; %bb.2931:
	v_cndmask_b32_e64 v4, 0, 1.0, s[2:3]
	s_mov_b32 s16, 0x43800000
	v_cmp_gt_u32_e32 vcc, s16, v4
	v_mov_b32_e32 v5, 0x80
	s_and_saveexec_b64 s[16:17], vcc
	s_cbranch_execz .LBB103_2937
; %bb.2932:
	s_mov_b32 s18, 0x3bffffff
	v_cmp_lt_u32_e32 vcc, s18, v4
	s_mov_b64 s[18:19], 0
                                        ; implicit-def: $vgpr3
	s_and_saveexec_b64 s[20:21], vcc
	s_xor_b64 s[20:21], exec, s[20:21]
	s_cbranch_execz .LBB103_3158
; %bb.2933:
	v_bfe_u32 v3, v4, 20, 1
	s_mov_b32 s24, 0x487ffff
	v_add3_u32 v3, v4, v3, s24
	s_mov_b64 s[18:19], exec
	v_lshrrev_b32_e32 v3, 20, v3
                                        ; implicit-def: $vgpr4
	s_andn2_saveexec_b64 s[20:21], s[20:21]
	s_cbranch_execnz .LBB103_3159
.LBB103_2934:
	s_or_b64 exec, exec, s[20:21]
	v_mov_b32_e32 v5, 0
	s_and_saveexec_b64 s[20:21], s[18:19]
.LBB103_2935:
	v_mov_b32_e32 v5, v3
.LBB103_2936:
	s_or_b64 exec, exec, s[20:21]
.LBB103_2937:
	s_or_b64 exec, exec, s[16:17]
	global_store_byte v[1:2], v5, off
.LBB103_2938:
	s_mov_b64 s[16:17], -1
.LBB103_2939:
	s_mov_b64 s[18:19], 0
.LBB103_2940:
	s_and_b64 vcc, exec, s[18:19]
	s_cbranch_vccz .LBB103_2980
; %bb.2941:
	s_cmp_gt_i32 s23, 22
	s_mov_b64 s[10:11], -1
	s_cbranch_scc0 .LBB103_2973
; %bb.2942:
	s_cmp_lt_i32 s23, 24
	s_cbranch_scc1 .LBB103_2962
; %bb.2943:
	s_cmp_gt_i32 s23, 24
	s_cbranch_scc0 .LBB103_2951
; %bb.2944:
	v_cndmask_b32_e64 v4, 0, 1.0, s[2:3]
	s_mov_b32 s10, 0x47800000
	v_cmp_gt_u32_e32 vcc, s10, v4
	v_mov_b32_e32 v5, 0x80
	s_and_saveexec_b64 s[10:11], vcc
	s_cbranch_execz .LBB103_2950
; %bb.2945:
	s_mov_b32 s16, 0x37ffffff
	v_cmp_lt_u32_e32 vcc, s16, v4
	s_mov_b64 s[16:17], 0
                                        ; implicit-def: $vgpr3
	s_and_saveexec_b64 s[18:19], vcc
	s_xor_b64 s[18:19], exec, s[18:19]
	s_cbranch_execz .LBB103_3161
; %bb.2946:
	v_bfe_u32 v3, v4, 21, 1
	s_mov_b32 s20, 0x88fffff
	v_add3_u32 v3, v4, v3, s20
	s_mov_b64 s[16:17], exec
	v_lshrrev_b32_e32 v3, 21, v3
                                        ; implicit-def: $vgpr4
	s_andn2_saveexec_b64 s[18:19], s[18:19]
	s_cbranch_execnz .LBB103_3162
.LBB103_2947:
	s_or_b64 exec, exec, s[18:19]
	v_mov_b32_e32 v5, 0
	s_and_saveexec_b64 s[18:19], s[16:17]
.LBB103_2948:
	v_mov_b32_e32 v5, v3
.LBB103_2949:
	s_or_b64 exec, exec, s[18:19]
.LBB103_2950:
	s_or_b64 exec, exec, s[10:11]
	s_mov_b64 s[10:11], 0
	global_store_byte v[1:2], v5, off
.LBB103_2951:
	s_and_b64 vcc, exec, s[10:11]
	s_cbranch_vccz .LBB103_2961
; %bb.2952:
	v_cndmask_b32_e64 v3, 0, 1.0, s[2:3]
	s_mov_b32 s10, 0x43f00000
	v_cmp_gt_u32_e32 vcc, s10, v3
                                        ; implicit-def: $vgpr4
	s_and_saveexec_b64 s[10:11], vcc
	s_xor_b64 s[10:11], exec, s[10:11]
	s_cbranch_execz .LBB103_2958
; %bb.2953:
	s_mov_b32 s16, 0x3c7fffff
	v_cmp_lt_u32_e32 vcc, s16, v3
                                        ; implicit-def: $vgpr4
	s_and_saveexec_b64 s[16:17], vcc
	s_xor_b64 s[16:17], exec, s[16:17]
; %bb.2954:
	v_bfe_u32 v4, v3, 20, 1
	s_mov_b32 s18, 0x407ffff
	v_add3_u32 v3, v3, v4, s18
	v_lshrrev_b32_e32 v4, 20, v3
	v_and_b32_e32 v3, 0xff00000, v3
	s_mov_b32 s18, 0x7f00000
	v_mov_b32_e32 v5, 0x7e
	v_cmp_ne_u32_e32 vcc, s18, v3
	v_cndmask_b32_e32 v4, v5, v4, vcc
                                        ; implicit-def: $vgpr3
; %bb.2955:
	s_andn2_saveexec_b64 s[16:17], s[16:17]
; %bb.2956:
	v_add_f32_e32 v4, 0x46800000, v3
; %bb.2957:
	s_or_b64 exec, exec, s[16:17]
                                        ; implicit-def: $vgpr3
.LBB103_2958:
	s_andn2_saveexec_b64 s[10:11], s[10:11]
; %bb.2959:
	s_mov_b32 s16, 0x7f800000
	v_mov_b32_e32 v4, 0x7e
	v_mov_b32_e32 v5, 0x7f
	v_cmp_lt_u32_e32 vcc, s16, v3
	v_cndmask_b32_e32 v4, v4, v5, vcc
; %bb.2960:
	s_or_b64 exec, exec, s[10:11]
	global_store_byte v[1:2], v4, off
.LBB103_2961:
	s_mov_b64 s[10:11], 0
.LBB103_2962:
	s_andn2_b64 vcc, exec, s[10:11]
	s_cbranch_vccnz .LBB103_2972
; %bb.2963:
	v_cndmask_b32_e64 v3, 0, 1.0, s[2:3]
	s_mov_b32 s10, 0x47800000
	v_cmp_gt_u32_e32 vcc, s10, v3
                                        ; implicit-def: $vgpr4
	s_and_saveexec_b64 s[10:11], vcc
	s_xor_b64 s[10:11], exec, s[10:11]
	s_cbranch_execz .LBB103_2969
; %bb.2964:
	s_mov_b32 s16, 0x387fffff
	v_cmp_lt_u32_e32 vcc, s16, v3
                                        ; implicit-def: $vgpr4
	s_and_saveexec_b64 s[16:17], vcc
	s_xor_b64 s[16:17], exec, s[16:17]
; %bb.2965:
	v_bfe_u32 v4, v3, 21, 1
	s_mov_b32 s18, 0x80fffff
	v_add3_u32 v3, v3, v4, s18
	v_lshrrev_b32_e32 v4, 21, v3
                                        ; implicit-def: $vgpr3
; %bb.2966:
	s_andn2_saveexec_b64 s[16:17], s[16:17]
; %bb.2967:
	v_add_f32_e32 v4, 0x43000000, v3
; %bb.2968:
	s_or_b64 exec, exec, s[16:17]
                                        ; implicit-def: $vgpr3
.LBB103_2969:
	s_andn2_saveexec_b64 s[10:11], s[10:11]
; %bb.2970:
	s_mov_b32 s16, 0x7f800000
	v_mov_b32_e32 v4, 0x7c
	v_mov_b32_e32 v5, 0x7f
	v_cmp_lt_u32_e32 vcc, s16, v3
	v_cndmask_b32_e32 v4, v4, v5, vcc
; %bb.2971:
	s_or_b64 exec, exec, s[10:11]
	global_store_byte v[1:2], v4, off
.LBB103_2972:
	s_mov_b64 s[10:11], 0
	s_mov_b64 s[16:17], -1
.LBB103_2973:
	s_andn2_b64 vcc, exec, s[10:11]
	s_mov_b64 s[10:11], 0
	s_cbranch_vccnz .LBB103_2980
; %bb.2974:
	s_cmp_gt_i32 s23, 14
	s_mov_b64 s[18:19], -1
	s_cbranch_scc0 .LBB103_2978
; %bb.2975:
	s_cmp_eq_u32 s23, 15
	s_mov_b64 s[4:5], -1
	s_cbranch_scc0 .LBB103_2977
; %bb.2976:
	v_cndmask_b32_e64 v3, 0, 1.0, s[2:3]
	v_bfe_u32 v4, v3, 16, 1
	s_movk_i32 s4, 0x7fff
	v_add3_u32 v3, v3, v4, s4
	global_store_short_d16_hi v[1:2], v3, off
	s_mov_b64 s[4:5], 0
	s_mov_b64 s[16:17], -1
.LBB103_2977:
	s_mov_b64 s[18:19], 0
.LBB103_2978:
	s_and_b64 vcc, exec, s[18:19]
	s_cbranch_vccz .LBB103_2980
; %bb.2979:
	s_cmp_lg_u32 s23, 11
	s_mov_b64 s[10:11], -1
	s_cselect_b64 s[4:5], -1, 0
.LBB103_2980:
	s_and_b64 vcc, exec, s[4:5]
	s_cbranch_vccnz .LBB103_3160
; %bb.2981:
	s_andn2_b64 vcc, exec, s[10:11]
	s_cbranch_vccnz .LBB103_2983
.LBB103_2982:
	v_cndmask_b32_e64 v3, 0, 1, s[2:3]
	s_mov_b64 s[16:17], -1
	global_store_byte v[1:2], v3, off
.LBB103_2983:
	s_mov_b64 s[4:5], 0
	s_branch .LBB103_2985
.LBB103_2984:
	s_mov_b64 s[4:5], -1
	s_mov_b64 s[16:17], 0
.LBB103_2985:
	s_and_b64 vcc, exec, s[4:5]
	s_cbranch_vccz .LBB103_3024
; %bb.2986:
	s_cmp_lt_i32 s23, 5
	s_mov_b64 s[4:5], -1
	s_cbranch_scc1 .LBB103_3007
; %bb.2987:
	s_cmp_lt_i32 s23, 8
	s_cbranch_scc1 .LBB103_2997
; %bb.2988:
	s_cmp_lt_i32 s23, 9
	s_cbranch_scc1 .LBB103_2994
; %bb.2989:
	s_cmp_gt_i32 s23, 9
	s_cbranch_scc0 .LBB103_2991
; %bb.2990:
	v_cndmask_b32_e64 v3, 0, 1, s[2:3]
	v_cvt_f64_u32_e32 v[3:4], v3
	v_mov_b32_e32 v5, 0
	v_mov_b32_e32 v6, v5
	s_mov_b64 s[4:5], 0
	global_store_dwordx4 v[1:2], v[3:6], off
.LBB103_2991:
	s_andn2_b64 vcc, exec, s[4:5]
	s_cbranch_vccnz .LBB103_2993
; %bb.2992:
	v_cndmask_b32_e64 v3, 0, 1.0, s[2:3]
	v_mov_b32_e32 v4, 0
	global_store_dwordx2 v[1:2], v[3:4], off
.LBB103_2993:
	s_mov_b64 s[4:5], 0
.LBB103_2994:
	s_andn2_b64 vcc, exec, s[4:5]
	s_cbranch_vccnz .LBB103_2996
; %bb.2995:
	v_cndmask_b32_e64 v3, 0, 1.0, s[2:3]
	v_cvt_f16_f32_e32 v3, v3
	global_store_dword v[1:2], v3, off
.LBB103_2996:
	s_mov_b64 s[4:5], 0
.LBB103_2997:
	s_andn2_b64 vcc, exec, s[4:5]
	s_cbranch_vccnz .LBB103_3006
; %bb.2998:
	s_cmp_lt_i32 s23, 6
	s_mov_b64 s[4:5], -1
	s_cbranch_scc1 .LBB103_3004
; %bb.2999:
	s_cmp_gt_i32 s23, 6
	s_cbranch_scc0 .LBB103_3001
; %bb.3000:
	v_cndmask_b32_e64 v3, 0, 1, s[2:3]
	v_cvt_f64_u32_e32 v[3:4], v3
	s_mov_b64 s[4:5], 0
	global_store_dwordx2 v[1:2], v[3:4], off
.LBB103_3001:
	s_andn2_b64 vcc, exec, s[4:5]
	s_cbranch_vccnz .LBB103_3003
; %bb.3002:
	v_cndmask_b32_e64 v3, 0, 1.0, s[2:3]
	global_store_dword v[1:2], v3, off
.LBB103_3003:
	s_mov_b64 s[4:5], 0
.LBB103_3004:
	s_andn2_b64 vcc, exec, s[4:5]
	s_cbranch_vccnz .LBB103_3006
; %bb.3005:
	v_cndmask_b32_e64 v3, 0, 1.0, s[2:3]
	v_cvt_f16_f32_e32 v3, v3
	global_store_short v[1:2], v3, off
.LBB103_3006:
	s_mov_b64 s[4:5], 0
.LBB103_3007:
	s_andn2_b64 vcc, exec, s[4:5]
	s_cbranch_vccnz .LBB103_3023
; %bb.3008:
	s_cmp_lt_i32 s23, 2
	s_mov_b64 s[4:5], -1
	s_cbranch_scc1 .LBB103_3018
; %bb.3009:
	s_cmp_lt_i32 s23, 3
	s_cbranch_scc1 .LBB103_3015
; %bb.3010:
	s_cmp_gt_i32 s23, 3
	s_cbranch_scc0 .LBB103_3012
; %bb.3011:
	s_mov_b32 s4, 0
	v_cndmask_b32_e64 v3, 0, 1, s[2:3]
	v_mov_b32_e32 v4, s4
	global_store_dwordx2 v[1:2], v[3:4], off
	s_mov_b64 s[4:5], 0
.LBB103_3012:
	s_andn2_b64 vcc, exec, s[4:5]
	s_cbranch_vccnz .LBB103_3014
; %bb.3013:
	v_cndmask_b32_e64 v3, 0, 1, s[2:3]
	global_store_dword v[1:2], v3, off
.LBB103_3014:
	s_mov_b64 s[4:5], 0
.LBB103_3015:
	s_andn2_b64 vcc, exec, s[4:5]
	s_cbranch_vccnz .LBB103_3017
; %bb.3016:
	v_cndmask_b32_e64 v3, 0, 1, s[2:3]
	global_store_short v[1:2], v3, off
.LBB103_3017:
	s_mov_b64 s[4:5], 0
.LBB103_3018:
	s_andn2_b64 vcc, exec, s[4:5]
	s_cbranch_vccnz .LBB103_3023
; %bb.3019:
	s_cmp_gt_i32 s23, 0
	s_mov_b64 s[4:5], -1
	s_cbranch_scc0 .LBB103_3021
; %bb.3020:
	v_cndmask_b32_e64 v3, 0, 1, s[2:3]
	global_store_byte v[1:2], v3, off
	s_mov_b64 s[4:5], 0
.LBB103_3021:
	s_andn2_b64 vcc, exec, s[4:5]
	s_cbranch_vccnz .LBB103_3023
; %bb.3022:
	v_cndmask_b32_e64 v3, 0, 1, s[2:3]
	global_store_byte v[1:2], v3, off
.LBB103_3023:
	s_mov_b64 s[16:17], -1
.LBB103_3024:
	s_andn2_b64 vcc, exec, s[16:17]
	s_cbranch_vccnz .LBB103_3101
; %bb.3025:
	v_cmp_eq_f32_e32 vcc, v10, v9
	v_cndmask_b32_e64 v1, 0, 1, vcc
	v_cmp_neq_f32_e32 vcc, v10, v9
	v_cndmask_b32_e64 v2, 0, 1, vcc
	v_cndmask_b32_e64 v1, v2, v1, s[0:1]
	v_and_b32_e32 v1, 1, v1
	v_cmp_eq_u32_e64 s[2:3], 1, v1
	v_mov_b32_e32 v1, s9
	v_add_co_u32_e32 v0, vcc, s8, v0
	s_cmp_lt_i32 s23, 11
	v_addc_co_u32_e32 v1, vcc, 0, v1, vcc
	s_cbranch_scc1 .LBB103_3146
; %bb.3026:
	s_mov_b64 s[8:9], -1
	s_mov_b64 s[4:5], 0
	s_cmp_gt_i32 s23, 25
	s_mov_b64 s[0:1], 0
	s_cbranch_scc0 .LBB103_3059
; %bb.3027:
	s_cmp_gt_i32 s23, 28
	s_cbranch_scc0 .LBB103_3043
; %bb.3028:
	s_cmp_gt_i32 s23, 43
	s_cbranch_scc0 .LBB103_3039
; %bb.3029:
	s_cmp_gt_i32 s23, 45
	s_cbranch_scc0 .LBB103_3033
; %bb.3030:
	s_cmp_eq_u32 s23, 46
	s_mov_b64 s[0:1], -1
	s_cbranch_scc0 .LBB103_3032
; %bb.3031:
	v_cndmask_b32_e64 v2, 0, 1.0, s[2:3]
	v_bfe_u32 v3, v2, 16, 1
	s_movk_i32 s0, 0x7fff
	v_add3_u32 v2, v2, v3, s0
	v_lshrrev_b32_e32 v2, 16, v2
	global_store_dword v[0:1], v2, off
	s_mov_b64 s[0:1], 0
.LBB103_3032:
	s_mov_b64 s[8:9], 0
.LBB103_3033:
	s_and_b64 vcc, exec, s[8:9]
	s_cbranch_vccz .LBB103_3038
; %bb.3034:
	s_cmp_eq_u32 s23, 44
	s_mov_b64 s[0:1], -1
	s_cbranch_scc0 .LBB103_3038
; %bb.3035:
	v_cndmask_b32_e64 v3, 0, 1.0, s[2:3]
	v_lshrrev_b32_e32 v2, 23, v3
	s_movk_i32 s0, 0xff
	v_cmp_ne_u32_e32 vcc, s0, v2
	v_mov_b32_e32 v4, 0xff
	s_and_saveexec_b64 s[8:9], vcc
; %bb.3036:
	s_mov_b32 s0, 0x3fffff
	v_and_b32_e32 v4, 0x400000, v3
	v_and_or_b32 v3, v3, s0, v2
	v_cmp_ne_u32_e32 vcc, 0, v4
	v_cmp_ne_u32_e64 s[0:1], 0, v3
	s_and_b64 s[0:1], vcc, s[0:1]
	v_cndmask_b32_e64 v3, 0, 1, s[0:1]
	v_add_u32_e32 v4, v2, v3
; %bb.3037:
	s_or_b64 exec, exec, s[8:9]
	s_mov_b64 s[0:1], 0
	global_store_byte v[0:1], v4, off
.LBB103_3038:
	s_mov_b64 s[8:9], 0
.LBB103_3039:
	s_and_b64 vcc, exec, s[8:9]
	s_cbranch_vccz .LBB103_3042
; %bb.3040:
	s_cmp_eq_u32 s23, 29
	s_mov_b64 s[0:1], -1
	s_cbranch_scc0 .LBB103_3042
; %bb.3041:
	s_mov_b32 s0, 0
	v_cndmask_b32_e64 v2, 0, 1, s[2:3]
	v_mov_b32_e32 v3, s0
	global_store_dwordx2 v[0:1], v[2:3], off
	s_mov_b64 s[0:1], 0
.LBB103_3042:
	s_mov_b64 s[8:9], 0
.LBB103_3043:
	s_and_b64 vcc, exec, s[8:9]
	s_cbranch_vccz .LBB103_3058
; %bb.3044:
	s_cmp_lt_i32 s23, 27
	s_mov_b64 s[8:9], -1
	s_cbranch_scc1 .LBB103_3050
; %bb.3045:
	s_cmp_gt_i32 s23, 27
	v_cndmask_b32_e64 v2, 0, 1, s[2:3]
	s_cbranch_scc0 .LBB103_3047
; %bb.3046:
	global_store_dword v[0:1], v2, off
	s_mov_b64 s[8:9], 0
.LBB103_3047:
	s_andn2_b64 vcc, exec, s[8:9]
	s_cbranch_vccnz .LBB103_3049
; %bb.3048:
	global_store_short v[0:1], v2, off
.LBB103_3049:
	s_mov_b64 s[8:9], 0
.LBB103_3050:
	s_andn2_b64 vcc, exec, s[8:9]
	s_cbranch_vccnz .LBB103_3058
; %bb.3051:
	v_cndmask_b32_e64 v3, 0, 1.0, s[2:3]
	s_mov_b32 s8, 0x43800000
	v_cmp_gt_u32_e32 vcc, s8, v3
	v_mov_b32_e32 v4, 0x80
	s_and_saveexec_b64 s[8:9], vcc
	s_cbranch_execz .LBB103_3057
; %bb.3052:
	s_mov_b32 s10, 0x3bffffff
	v_cmp_lt_u32_e32 vcc, s10, v3
	s_mov_b64 s[10:11], 0
                                        ; implicit-def: $vgpr2
	s_and_saveexec_b64 s[16:17], vcc
	s_xor_b64 s[16:17], exec, s[16:17]
	s_cbranch_execz .LBB103_3163
; %bb.3053:
	v_bfe_u32 v2, v3, 20, 1
	s_mov_b32 s18, 0x487ffff
	v_add3_u32 v2, v3, v2, s18
	s_mov_b64 s[10:11], exec
	v_lshrrev_b32_e32 v2, 20, v2
                                        ; implicit-def: $vgpr3
	s_andn2_saveexec_b64 s[16:17], s[16:17]
	s_cbranch_execnz .LBB103_3164
.LBB103_3054:
	s_or_b64 exec, exec, s[16:17]
	v_mov_b32_e32 v4, 0
	s_and_saveexec_b64 s[16:17], s[10:11]
.LBB103_3055:
	v_mov_b32_e32 v4, v2
.LBB103_3056:
	s_or_b64 exec, exec, s[16:17]
.LBB103_3057:
	s_or_b64 exec, exec, s[8:9]
	global_store_byte v[0:1], v4, off
.LBB103_3058:
	s_mov_b64 s[8:9], 0
.LBB103_3059:
	s_and_b64 vcc, exec, s[8:9]
	s_cbranch_vccz .LBB103_3099
; %bb.3060:
	s_cmp_gt_i32 s23, 22
	s_mov_b64 s[4:5], -1
	s_cbranch_scc0 .LBB103_3092
; %bb.3061:
	s_cmp_lt_i32 s23, 24
	s_cbranch_scc1 .LBB103_3081
; %bb.3062:
	s_cmp_gt_i32 s23, 24
	s_cbranch_scc0 .LBB103_3070
; %bb.3063:
	v_cndmask_b32_e64 v3, 0, 1.0, s[2:3]
	s_mov_b32 s4, 0x47800000
	v_cmp_gt_u32_e32 vcc, s4, v3
	v_mov_b32_e32 v4, 0x80
	s_and_saveexec_b64 s[4:5], vcc
	s_cbranch_execz .LBB103_3069
; %bb.3064:
	s_mov_b32 s8, 0x37ffffff
	v_cmp_lt_u32_e32 vcc, s8, v3
	s_mov_b64 s[8:9], 0
                                        ; implicit-def: $vgpr2
	s_and_saveexec_b64 s[10:11], vcc
	s_xor_b64 s[10:11], exec, s[10:11]
	s_cbranch_execz .LBB103_3166
; %bb.3065:
	v_bfe_u32 v2, v3, 21, 1
	s_mov_b32 s16, 0x88fffff
	v_add3_u32 v2, v3, v2, s16
	s_mov_b64 s[8:9], exec
	v_lshrrev_b32_e32 v2, 21, v2
                                        ; implicit-def: $vgpr3
	s_andn2_saveexec_b64 s[10:11], s[10:11]
	s_cbranch_execnz .LBB103_3167
.LBB103_3066:
	s_or_b64 exec, exec, s[10:11]
	v_mov_b32_e32 v4, 0
	s_and_saveexec_b64 s[10:11], s[8:9]
.LBB103_3067:
	v_mov_b32_e32 v4, v2
.LBB103_3068:
	s_or_b64 exec, exec, s[10:11]
.LBB103_3069:
	s_or_b64 exec, exec, s[4:5]
	s_mov_b64 s[4:5], 0
	global_store_byte v[0:1], v4, off
.LBB103_3070:
	s_and_b64 vcc, exec, s[4:5]
	s_cbranch_vccz .LBB103_3080
; %bb.3071:
	v_cndmask_b32_e64 v2, 0, 1.0, s[2:3]
	s_mov_b32 s4, 0x43f00000
	v_cmp_gt_u32_e32 vcc, s4, v2
                                        ; implicit-def: $vgpr3
	s_and_saveexec_b64 s[4:5], vcc
	s_xor_b64 s[4:5], exec, s[4:5]
	s_cbranch_execz .LBB103_3077
; %bb.3072:
	s_mov_b32 s8, 0x3c7fffff
	v_cmp_lt_u32_e32 vcc, s8, v2
                                        ; implicit-def: $vgpr3
	s_and_saveexec_b64 s[8:9], vcc
	s_xor_b64 s[8:9], exec, s[8:9]
; %bb.3073:
	v_bfe_u32 v3, v2, 20, 1
	s_mov_b32 s10, 0x407ffff
	v_add3_u32 v2, v2, v3, s10
	v_lshrrev_b32_e32 v3, 20, v2
	v_and_b32_e32 v2, 0xff00000, v2
	s_mov_b32 s10, 0x7f00000
	v_mov_b32_e32 v4, 0x7e
	v_cmp_ne_u32_e32 vcc, s10, v2
	v_cndmask_b32_e32 v3, v4, v3, vcc
                                        ; implicit-def: $vgpr2
; %bb.3074:
	s_andn2_saveexec_b64 s[8:9], s[8:9]
; %bb.3075:
	v_add_f32_e32 v3, 0x46800000, v2
; %bb.3076:
	s_or_b64 exec, exec, s[8:9]
                                        ; implicit-def: $vgpr2
.LBB103_3077:
	s_andn2_saveexec_b64 s[4:5], s[4:5]
; %bb.3078:
	s_mov_b32 s8, 0x7f800000
	v_mov_b32_e32 v3, 0x7e
	v_mov_b32_e32 v4, 0x7f
	v_cmp_lt_u32_e32 vcc, s8, v2
	v_cndmask_b32_e32 v3, v3, v4, vcc
; %bb.3079:
	s_or_b64 exec, exec, s[4:5]
	global_store_byte v[0:1], v3, off
.LBB103_3080:
	s_mov_b64 s[4:5], 0
.LBB103_3081:
	s_andn2_b64 vcc, exec, s[4:5]
	s_cbranch_vccnz .LBB103_3091
; %bb.3082:
	v_cndmask_b32_e64 v2, 0, 1.0, s[2:3]
	s_mov_b32 s4, 0x47800000
	v_cmp_gt_u32_e32 vcc, s4, v2
                                        ; implicit-def: $vgpr3
	s_and_saveexec_b64 s[4:5], vcc
	s_xor_b64 s[4:5], exec, s[4:5]
	s_cbranch_execz .LBB103_3088
; %bb.3083:
	s_mov_b32 s8, 0x387fffff
	v_cmp_lt_u32_e32 vcc, s8, v2
                                        ; implicit-def: $vgpr3
	s_and_saveexec_b64 s[8:9], vcc
	s_xor_b64 s[8:9], exec, s[8:9]
; %bb.3084:
	v_bfe_u32 v3, v2, 21, 1
	s_mov_b32 s10, 0x80fffff
	v_add3_u32 v2, v2, v3, s10
	v_lshrrev_b32_e32 v3, 21, v2
                                        ; implicit-def: $vgpr2
; %bb.3085:
	s_andn2_saveexec_b64 s[8:9], s[8:9]
; %bb.3086:
	v_add_f32_e32 v3, 0x43000000, v2
; %bb.3087:
	s_or_b64 exec, exec, s[8:9]
                                        ; implicit-def: $vgpr2
.LBB103_3088:
	s_andn2_saveexec_b64 s[4:5], s[4:5]
; %bb.3089:
	s_mov_b32 s8, 0x7f800000
	v_mov_b32_e32 v3, 0x7c
	v_mov_b32_e32 v4, 0x7f
	v_cmp_lt_u32_e32 vcc, s8, v2
	v_cndmask_b32_e32 v3, v3, v4, vcc
; %bb.3090:
	s_or_b64 exec, exec, s[4:5]
	global_store_byte v[0:1], v3, off
.LBB103_3091:
	s_mov_b64 s[4:5], 0
.LBB103_3092:
	s_andn2_b64 vcc, exec, s[4:5]
	s_mov_b64 s[4:5], 0
	s_cbranch_vccnz .LBB103_3099
; %bb.3093:
	s_cmp_gt_i32 s23, 14
	s_mov_b64 s[8:9], -1
	s_cbranch_scc0 .LBB103_3097
; %bb.3094:
	s_cmp_eq_u32 s23, 15
	s_mov_b64 s[0:1], -1
	s_cbranch_scc0 .LBB103_3096
; %bb.3095:
	v_cndmask_b32_e64 v2, 0, 1.0, s[2:3]
	v_bfe_u32 v3, v2, 16, 1
	s_movk_i32 s0, 0x7fff
	v_add3_u32 v2, v2, v3, s0
	global_store_short_d16_hi v[0:1], v2, off
	s_mov_b64 s[0:1], 0
.LBB103_3096:
	s_mov_b64 s[8:9], 0
.LBB103_3097:
	s_and_b64 vcc, exec, s[8:9]
	s_cbranch_vccz .LBB103_3099
; %bb.3098:
	s_cmp_lg_u32 s23, 11
	s_mov_b64 s[4:5], -1
	s_cselect_b64 s[0:1], -1, 0
.LBB103_3099:
	s_and_b64 vcc, exec, s[0:1]
	s_cbranch_vccnz .LBB103_3165
.LBB103_3100:
	s_mov_b64 s[0:1], 0
	s_branch .LBB103_3102
.LBB103_3101:
	s_mov_b64 s[0:1], 0
	s_mov_b64 s[4:5], 0
                                        ; implicit-def: $sgpr2_sgpr3
                                        ; implicit-def: $vgpr0_vgpr1
                                        ; implicit-def: $sgpr22
.LBB103_3102:
	s_and_b64 s[26:27], s[4:5], exec
	s_andn2_b64 s[4:5], s[6:7], exec
	s_and_b64 s[6:7], s[14:15], exec
	s_and_b64 s[0:1], s[0:1], exec
	s_or_b64 s[6:7], s[4:5], s[6:7]
.LBB103_3103:
	s_or_b64 exec, exec, s[12:13]
	s_and_saveexec_b64 s[4:5], s[6:7]
	s_cbranch_execz .LBB103_3106
; %bb.3104:
	; divergent unreachable
	s_or_b64 exec, exec, s[4:5]
	s_and_saveexec_b64 s[4:5], s[26:27]
	s_xor_b64 s[4:5], exec, s[4:5]
	s_cbranch_execnz .LBB103_3107
.LBB103_3105:
	s_or_b64 exec, exec, s[4:5]
	s_and_saveexec_b64 s[4:5], s[0:1]
	s_cbranch_execnz .LBB103_3108
	s_branch .LBB103_3145
.LBB103_3106:
	s_or_b64 exec, exec, s[4:5]
	s_and_saveexec_b64 s[4:5], s[26:27]
	s_xor_b64 s[4:5], exec, s[4:5]
	s_cbranch_execz .LBB103_3105
.LBB103_3107:
	v_cndmask_b32_e64 v2, 0, 1, s[2:3]
	s_waitcnt vmcnt(0)
	global_store_byte v[0:1], v2, off
	s_or_b64 exec, exec, s[4:5]
	s_and_saveexec_b64 s[4:5], s[0:1]
	s_cbranch_execz .LBB103_3145
.LBB103_3108:
	s_sext_i32_i16 s4, s22
	s_cmp_lt_i32 s4, 5
	s_mov_b64 s[0:1], -1
	s_cbranch_scc1 .LBB103_3129
; %bb.3109:
	s_cmp_lt_i32 s4, 8
	s_cbranch_scc1 .LBB103_3119
; %bb.3110:
	s_cmp_lt_i32 s4, 9
	s_cbranch_scc1 .LBB103_3116
; %bb.3111:
	s_cmp_gt_i32 s4, 9
	s_cbranch_scc0 .LBB103_3113
; %bb.3112:
	v_cndmask_b32_e64 v2, 0, 1, s[2:3]
	s_waitcnt vmcnt(0)
	v_cvt_f64_u32_e32 v[2:3], v2
	v_mov_b32_e32 v4, 0
	v_mov_b32_e32 v5, v4
	s_mov_b64 s[0:1], 0
	global_store_dwordx4 v[0:1], v[2:5], off
.LBB103_3113:
	s_andn2_b64 vcc, exec, s[0:1]
	s_cbranch_vccnz .LBB103_3115
; %bb.3114:
	v_cndmask_b32_e64 v2, 0, 1.0, s[2:3]
	s_waitcnt vmcnt(0)
	v_mov_b32_e32 v3, 0
	global_store_dwordx2 v[0:1], v[2:3], off
.LBB103_3115:
	s_mov_b64 s[0:1], 0
.LBB103_3116:
	s_andn2_b64 vcc, exec, s[0:1]
	s_cbranch_vccnz .LBB103_3118
; %bb.3117:
	v_cndmask_b32_e64 v2, 0, 1.0, s[2:3]
	v_cvt_f16_f32_e32 v2, v2
	s_waitcnt vmcnt(0)
	global_store_dword v[0:1], v2, off
.LBB103_3118:
	s_mov_b64 s[0:1], 0
.LBB103_3119:
	s_andn2_b64 vcc, exec, s[0:1]
	s_cbranch_vccnz .LBB103_3128
; %bb.3120:
	s_sext_i32_i16 s4, s22
	s_cmp_lt_i32 s4, 6
	s_mov_b64 s[0:1], -1
	s_cbranch_scc1 .LBB103_3126
; %bb.3121:
	s_cmp_gt_i32 s4, 6
	s_cbranch_scc0 .LBB103_3123
; %bb.3122:
	v_cndmask_b32_e64 v2, 0, 1, s[2:3]
	s_waitcnt vmcnt(0)
	v_cvt_f64_u32_e32 v[2:3], v2
	s_mov_b64 s[0:1], 0
	global_store_dwordx2 v[0:1], v[2:3], off
.LBB103_3123:
	s_andn2_b64 vcc, exec, s[0:1]
	s_cbranch_vccnz .LBB103_3125
; %bb.3124:
	v_cndmask_b32_e64 v2, 0, 1.0, s[2:3]
	s_waitcnt vmcnt(0)
	global_store_dword v[0:1], v2, off
.LBB103_3125:
	s_mov_b64 s[0:1], 0
.LBB103_3126:
	s_andn2_b64 vcc, exec, s[0:1]
	s_cbranch_vccnz .LBB103_3128
; %bb.3127:
	v_cndmask_b32_e64 v2, 0, 1.0, s[2:3]
	v_cvt_f16_f32_e32 v2, v2
	s_waitcnt vmcnt(0)
	global_store_short v[0:1], v2, off
.LBB103_3128:
	s_mov_b64 s[0:1], 0
.LBB103_3129:
	s_andn2_b64 vcc, exec, s[0:1]
	s_cbranch_vccnz .LBB103_3145
; %bb.3130:
	s_sext_i32_i16 s4, s22
	s_cmp_lt_i32 s4, 2
	s_mov_b64 s[0:1], -1
	s_cbranch_scc1 .LBB103_3140
; %bb.3131:
	s_cmp_lt_i32 s4, 3
	s_cbranch_scc1 .LBB103_3137
; %bb.3132:
	s_cmp_gt_i32 s4, 3
	s_cbranch_scc0 .LBB103_3134
; %bb.3133:
	s_mov_b32 s0, 0
	v_cndmask_b32_e64 v2, 0, 1, s[2:3]
	s_waitcnt vmcnt(0)
	v_mov_b32_e32 v3, s0
	global_store_dwordx2 v[0:1], v[2:3], off
	s_mov_b64 s[0:1], 0
.LBB103_3134:
	s_andn2_b64 vcc, exec, s[0:1]
	s_cbranch_vccnz .LBB103_3136
; %bb.3135:
	v_cndmask_b32_e64 v2, 0, 1, s[2:3]
	s_waitcnt vmcnt(0)
	global_store_dword v[0:1], v2, off
.LBB103_3136:
	s_mov_b64 s[0:1], 0
.LBB103_3137:
	s_andn2_b64 vcc, exec, s[0:1]
	s_cbranch_vccnz .LBB103_3139
; %bb.3138:
	v_cndmask_b32_e64 v2, 0, 1, s[2:3]
	s_waitcnt vmcnt(0)
	global_store_short v[0:1], v2, off
.LBB103_3139:
	s_mov_b64 s[0:1], 0
.LBB103_3140:
	s_andn2_b64 vcc, exec, s[0:1]
	s_cbranch_vccnz .LBB103_3145
; %bb.3141:
	s_sext_i32_i16 s0, s22
	s_cmp_gt_i32 s0, 0
	s_mov_b64 s[0:1], -1
	s_cbranch_scc0 .LBB103_3143
; %bb.3142:
	v_cndmask_b32_e64 v2, 0, 1, s[2:3]
	s_waitcnt vmcnt(0)
	global_store_byte v[0:1], v2, off
	s_mov_b64 s[0:1], 0
.LBB103_3143:
	s_andn2_b64 vcc, exec, s[0:1]
	s_cbranch_vccnz .LBB103_3145
; %bb.3144:
	v_cndmask_b32_e64 v2, 0, 1, s[2:3]
	s_waitcnt vmcnt(0)
	global_store_byte v[0:1], v2, off
	s_endpgm
.LBB103_3145:
	s_endpgm
.LBB103_3146:
	s_mov_b64 s[4:5], 0
	s_mov_b64 s[0:1], -1
	s_branch .LBB103_3102
.LBB103_3147:
	s_trap 2
	s_or_b64 s[14:15], s[14:15], exec
	s_cbranch_execz .LBB103_2616
	s_branch .LBB103_2617
.LBB103_3148:
	s_andn2_saveexec_b64 s[20:21], s[20:21]
	s_cbranch_execz .LBB103_2696
.LBB103_3149:
	v_add_f32_e32 v1, 0x46000000, v3
	v_and_b32_e32 v1, 0xff, v1
	v_cmp_ne_u32_e32 vcc, 0, v1
	s_andn2_b64 s[18:19], s[18:19], exec
	s_and_b64 s[24:25], vcc, exec
	s_or_b64 s[18:19], s[18:19], s[24:25]
	s_or_b64 exec, exec, s[20:21]
	v_mov_b32_e32 v7, 0
	s_and_saveexec_b64 s[20:21], s[18:19]
	s_cbranch_execnz .LBB103_2697
	s_branch .LBB103_2698
.LBB103_3150:
	s_trap 2
	s_or_b64 s[14:15], s[14:15], exec
	s_cbranch_execz .LBB103_2744
	s_branch .LBB103_2745
.LBB103_3151:
	s_andn2_saveexec_b64 s[18:19], s[18:19]
	s_cbranch_execz .LBB103_2709
.LBB103_3152:
	v_add_f32_e32 v1, 0x42800000, v3
	v_and_b32_e32 v1, 0xff, v1
	v_cmp_ne_u32_e32 vcc, 0, v1
	s_andn2_b64 s[16:17], s[16:17], exec
	s_and_b64 s[20:21], vcc, exec
	s_or_b64 s[16:17], s[16:17], s[20:21]
	s_or_b64 exec, exec, s[18:19]
	v_mov_b32_e32 v7, 0
	s_and_saveexec_b64 s[18:19], s[16:17]
	s_cbranch_execnz .LBB103_2710
	s_branch .LBB103_2711
.LBB103_3153:
	s_andn2_saveexec_b64 s[20:21], s[20:21]
	s_cbranch_execz .LBB103_2815
.LBB103_3154:
	v_add_f32_e32 v1, 0x46000000, v5
	v_and_b32_e32 v1, 0xff, v1
	v_cmp_ne_u32_e32 vcc, 0, v1
	s_andn2_b64 s[18:19], s[18:19], exec
	s_and_b64 s[24:25], vcc, exec
	s_or_b64 s[18:19], s[18:19], s[24:25]
	s_or_b64 exec, exec, s[20:21]
	v_mov_b32_e32 v6, 0
	s_and_saveexec_b64 s[20:21], s[18:19]
	s_cbranch_execnz .LBB103_2816
	s_branch .LBB103_2817
.LBB103_3155:
	s_trap 2
	s_or_b64 s[14:15], s[14:15], exec
	s_cbranch_execz .LBB103_2863
	s_branch .LBB103_2864
.LBB103_3156:
	s_andn2_saveexec_b64 s[18:19], s[18:19]
	s_cbranch_execz .LBB103_2828
.LBB103_3157:
	v_add_f32_e32 v1, 0x42800000, v5
	v_and_b32_e32 v1, 0xff, v1
	v_cmp_ne_u32_e32 vcc, 0, v1
	s_andn2_b64 s[16:17], s[16:17], exec
	s_and_b64 s[20:21], vcc, exec
	s_or_b64 s[16:17], s[16:17], s[20:21]
	s_or_b64 exec, exec, s[18:19]
	v_mov_b32_e32 v6, 0
	s_and_saveexec_b64 s[18:19], s[16:17]
	s_cbranch_execnz .LBB103_2829
	s_branch .LBB103_2830
.LBB103_3158:
	s_andn2_saveexec_b64 s[20:21], s[20:21]
	s_cbranch_execz .LBB103_2934
.LBB103_3159:
	v_add_f32_e32 v3, 0x46000000, v4
	v_and_b32_e32 v3, 0xff, v3
	v_cmp_ne_u32_e32 vcc, 0, v3
	s_andn2_b64 s[18:19], s[18:19], exec
	s_and_b64 s[24:25], vcc, exec
	s_or_b64 s[18:19], s[18:19], s[24:25]
	s_or_b64 exec, exec, s[20:21]
	v_mov_b32_e32 v5, 0
	s_and_saveexec_b64 s[20:21], s[18:19]
	s_cbranch_execnz .LBB103_2935
	s_branch .LBB103_2936
.LBB103_3160:
	s_trap 2
	s_or_b64 s[14:15], s[14:15], exec
	s_cbranch_execz .LBB103_2982
	s_branch .LBB103_2983
.LBB103_3161:
	s_andn2_saveexec_b64 s[18:19], s[18:19]
	s_cbranch_execz .LBB103_2947
.LBB103_3162:
	v_add_f32_e32 v3, 0x42800000, v4
	v_and_b32_e32 v3, 0xff, v3
	v_cmp_ne_u32_e32 vcc, 0, v3
	s_andn2_b64 s[16:17], s[16:17], exec
	s_and_b64 s[20:21], vcc, exec
	s_or_b64 s[16:17], s[16:17], s[20:21]
	s_or_b64 exec, exec, s[18:19]
	v_mov_b32_e32 v5, 0
	s_and_saveexec_b64 s[18:19], s[16:17]
	s_cbranch_execnz .LBB103_2948
	s_branch .LBB103_2949
.LBB103_3163:
	s_andn2_saveexec_b64 s[16:17], s[16:17]
	s_cbranch_execz .LBB103_3054
.LBB103_3164:
	v_add_f32_e32 v2, 0x46000000, v3
	v_and_b32_e32 v2, 0xff, v2
	v_cmp_ne_u32_e32 vcc, 0, v2
	s_andn2_b64 s[10:11], s[10:11], exec
	s_and_b64 s[18:19], vcc, exec
	s_or_b64 s[10:11], s[10:11], s[18:19]
	s_or_b64 exec, exec, s[16:17]
	v_mov_b32_e32 v4, 0
	s_and_saveexec_b64 s[16:17], s[10:11]
	s_cbranch_execnz .LBB103_3055
	s_branch .LBB103_3056
.LBB103_3165:
	s_mov_b64 s[4:5], 0
	s_or_b64 s[14:15], s[14:15], exec
	s_trap 2
	s_branch .LBB103_3100
.LBB103_3166:
	s_andn2_saveexec_b64 s[10:11], s[10:11]
	s_cbranch_execz .LBB103_3066
.LBB103_3167:
	v_add_f32_e32 v2, 0x42800000, v3
	v_and_b32_e32 v2, 0xff, v2
	v_cmp_ne_u32_e32 vcc, 0, v2
	s_andn2_b64 s[8:9], s[8:9], exec
	s_and_b64 s[16:17], vcc, exec
	s_or_b64 s[8:9], s[8:9], s[16:17]
	s_or_b64 exec, exec, s[10:11]
	v_mov_b32_e32 v4, 0
	s_and_saveexec_b64 s[10:11], s[8:9]
	s_cbranch_execnz .LBB103_3067
	s_branch .LBB103_3068
	.section	.rodata,"a",@progbits
	.p2align	6, 0x0
	.amdhsa_kernel _ZN2at6native32elementwise_kernel_manual_unrollILi128ELi4EZNS0_15gpu_kernel_implINS0_13BinaryFunctorIffbNS0_12_GLOBAL__N_116CompareEqFunctorIfEEEEEEvRNS_18TensorIteratorBaseERKT_EUlibE0_EEviT1_
		.amdhsa_group_segment_fixed_size 0
		.amdhsa_private_segment_fixed_size 0
		.amdhsa_kernarg_size 432
		.amdhsa_user_sgpr_count 6
		.amdhsa_user_sgpr_private_segment_buffer 1
		.amdhsa_user_sgpr_dispatch_ptr 0
		.amdhsa_user_sgpr_queue_ptr 0
		.amdhsa_user_sgpr_kernarg_segment_ptr 1
		.amdhsa_user_sgpr_dispatch_id 0
		.amdhsa_user_sgpr_flat_scratch_init 0
		.amdhsa_user_sgpr_private_segment_size 0
		.amdhsa_uses_dynamic_stack 0
		.amdhsa_system_sgpr_private_segment_wavefront_offset 0
		.amdhsa_system_sgpr_workgroup_id_x 1
		.amdhsa_system_sgpr_workgroup_id_y 0
		.amdhsa_system_sgpr_workgroup_id_z 0
		.amdhsa_system_sgpr_workgroup_info 0
		.amdhsa_system_vgpr_workitem_id 0
		.amdhsa_next_free_vgpr 24
		.amdhsa_next_free_sgpr 80
		.amdhsa_reserve_vcc 1
		.amdhsa_reserve_flat_scratch 0
		.amdhsa_float_round_mode_32 0
		.amdhsa_float_round_mode_16_64 0
		.amdhsa_float_denorm_mode_32 3
		.amdhsa_float_denorm_mode_16_64 3
		.amdhsa_dx10_clamp 1
		.amdhsa_ieee_mode 1
		.amdhsa_fp16_overflow 0
		.amdhsa_exception_fp_ieee_invalid_op 0
		.amdhsa_exception_fp_denorm_src 0
		.amdhsa_exception_fp_ieee_div_zero 0
		.amdhsa_exception_fp_ieee_overflow 0
		.amdhsa_exception_fp_ieee_underflow 0
		.amdhsa_exception_fp_ieee_inexact 0
		.amdhsa_exception_int_div_zero 0
	.end_amdhsa_kernel
	.section	.text._ZN2at6native32elementwise_kernel_manual_unrollILi128ELi4EZNS0_15gpu_kernel_implINS0_13BinaryFunctorIffbNS0_12_GLOBAL__N_116CompareEqFunctorIfEEEEEEvRNS_18TensorIteratorBaseERKT_EUlibE0_EEviT1_,"axG",@progbits,_ZN2at6native32elementwise_kernel_manual_unrollILi128ELi4EZNS0_15gpu_kernel_implINS0_13BinaryFunctorIffbNS0_12_GLOBAL__N_116CompareEqFunctorIfEEEEEEvRNS_18TensorIteratorBaseERKT_EUlibE0_EEviT1_,comdat
.Lfunc_end103:
	.size	_ZN2at6native32elementwise_kernel_manual_unrollILi128ELi4EZNS0_15gpu_kernel_implINS0_13BinaryFunctorIffbNS0_12_GLOBAL__N_116CompareEqFunctorIfEEEEEEvRNS_18TensorIteratorBaseERKT_EUlibE0_EEviT1_, .Lfunc_end103-_ZN2at6native32elementwise_kernel_manual_unrollILi128ELi4EZNS0_15gpu_kernel_implINS0_13BinaryFunctorIffbNS0_12_GLOBAL__N_116CompareEqFunctorIfEEEEEEvRNS_18TensorIteratorBaseERKT_EUlibE0_EEviT1_
                                        ; -- End function
	.set _ZN2at6native32elementwise_kernel_manual_unrollILi128ELi4EZNS0_15gpu_kernel_implINS0_13BinaryFunctorIffbNS0_12_GLOBAL__N_116CompareEqFunctorIfEEEEEEvRNS_18TensorIteratorBaseERKT_EUlibE0_EEviT1_.num_vgpr, 24
	.set _ZN2at6native32elementwise_kernel_manual_unrollILi128ELi4EZNS0_15gpu_kernel_implINS0_13BinaryFunctorIffbNS0_12_GLOBAL__N_116CompareEqFunctorIfEEEEEEvRNS_18TensorIteratorBaseERKT_EUlibE0_EEviT1_.num_agpr, 0
	.set _ZN2at6native32elementwise_kernel_manual_unrollILi128ELi4EZNS0_15gpu_kernel_implINS0_13BinaryFunctorIffbNS0_12_GLOBAL__N_116CompareEqFunctorIfEEEEEEvRNS_18TensorIteratorBaseERKT_EUlibE0_EEviT1_.numbered_sgpr, 80
	.set _ZN2at6native32elementwise_kernel_manual_unrollILi128ELi4EZNS0_15gpu_kernel_implINS0_13BinaryFunctorIffbNS0_12_GLOBAL__N_116CompareEqFunctorIfEEEEEEvRNS_18TensorIteratorBaseERKT_EUlibE0_EEviT1_.num_named_barrier, 0
	.set _ZN2at6native32elementwise_kernel_manual_unrollILi128ELi4EZNS0_15gpu_kernel_implINS0_13BinaryFunctorIffbNS0_12_GLOBAL__N_116CompareEqFunctorIfEEEEEEvRNS_18TensorIteratorBaseERKT_EUlibE0_EEviT1_.private_seg_size, 0
	.set _ZN2at6native32elementwise_kernel_manual_unrollILi128ELi4EZNS0_15gpu_kernel_implINS0_13BinaryFunctorIffbNS0_12_GLOBAL__N_116CompareEqFunctorIfEEEEEEvRNS_18TensorIteratorBaseERKT_EUlibE0_EEviT1_.uses_vcc, 1
	.set _ZN2at6native32elementwise_kernel_manual_unrollILi128ELi4EZNS0_15gpu_kernel_implINS0_13BinaryFunctorIffbNS0_12_GLOBAL__N_116CompareEqFunctorIfEEEEEEvRNS_18TensorIteratorBaseERKT_EUlibE0_EEviT1_.uses_flat_scratch, 0
	.set _ZN2at6native32elementwise_kernel_manual_unrollILi128ELi4EZNS0_15gpu_kernel_implINS0_13BinaryFunctorIffbNS0_12_GLOBAL__N_116CompareEqFunctorIfEEEEEEvRNS_18TensorIteratorBaseERKT_EUlibE0_EEviT1_.has_dyn_sized_stack, 0
	.set _ZN2at6native32elementwise_kernel_manual_unrollILi128ELi4EZNS0_15gpu_kernel_implINS0_13BinaryFunctorIffbNS0_12_GLOBAL__N_116CompareEqFunctorIfEEEEEEvRNS_18TensorIteratorBaseERKT_EUlibE0_EEviT1_.has_recursion, 0
	.set _ZN2at6native32elementwise_kernel_manual_unrollILi128ELi4EZNS0_15gpu_kernel_implINS0_13BinaryFunctorIffbNS0_12_GLOBAL__N_116CompareEqFunctorIfEEEEEEvRNS_18TensorIteratorBaseERKT_EUlibE0_EEviT1_.has_indirect_call, 0
	.section	.AMDGPU.csdata,"",@progbits
; Kernel info:
; codeLenInByte = 51208
; TotalNumSgprs: 84
; NumVgprs: 24
; ScratchSize: 0
; MemoryBound: 1
; FloatMode: 240
; IeeeMode: 1
; LDSByteSize: 0 bytes/workgroup (compile time only)
; SGPRBlocks: 10
; VGPRBlocks: 5
; NumSGPRsForWavesPerEU: 84
; NumVGPRsForWavesPerEU: 24
; Occupancy: 9
; WaveLimiterHint : 1
; COMPUTE_PGM_RSRC2:SCRATCH_EN: 0
; COMPUTE_PGM_RSRC2:USER_SGPR: 6
; COMPUTE_PGM_RSRC2:TRAP_HANDLER: 0
; COMPUTE_PGM_RSRC2:TGID_X_EN: 1
; COMPUTE_PGM_RSRC2:TGID_Y_EN: 0
; COMPUTE_PGM_RSRC2:TGID_Z_EN: 0
; COMPUTE_PGM_RSRC2:TIDIG_COMP_CNT: 0
	.section	.text._ZN2at6native29vectorized_elementwise_kernelILi16ENS0_13AUnaryFunctorIffbNS0_12_GLOBAL__N_116CompareEqFunctorIfEEEESt5arrayIPcLm2EEEEviT0_T1_,"axG",@progbits,_ZN2at6native29vectorized_elementwise_kernelILi16ENS0_13AUnaryFunctorIffbNS0_12_GLOBAL__N_116CompareEqFunctorIfEEEESt5arrayIPcLm2EEEEviT0_T1_,comdat
	.globl	_ZN2at6native29vectorized_elementwise_kernelILi16ENS0_13AUnaryFunctorIffbNS0_12_GLOBAL__N_116CompareEqFunctorIfEEEESt5arrayIPcLm2EEEEviT0_T1_ ; -- Begin function _ZN2at6native29vectorized_elementwise_kernelILi16ENS0_13AUnaryFunctorIffbNS0_12_GLOBAL__N_116CompareEqFunctorIfEEEESt5arrayIPcLm2EEEEviT0_T1_
	.p2align	8
	.type	_ZN2at6native29vectorized_elementwise_kernelILi16ENS0_13AUnaryFunctorIffbNS0_12_GLOBAL__N_116CompareEqFunctorIfEEEESt5arrayIPcLm2EEEEviT0_T1_,@function
_ZN2at6native29vectorized_elementwise_kernelILi16ENS0_13AUnaryFunctorIffbNS0_12_GLOBAL__N_116CompareEqFunctorIfEEEESt5arrayIPcLm2EEEEviT0_T1_: ; @_ZN2at6native29vectorized_elementwise_kernelILi16ENS0_13AUnaryFunctorIffbNS0_12_GLOBAL__N_116CompareEqFunctorIfEEEESt5arrayIPcLm2EEEEviT0_T1_
; %bb.0:
	s_load_dwordx8 s[36:43], s[4:5], 0x0
	s_lshl_b32 s44, s6, 12
	s_mov_b64 s[0:1], -1
	s_waitcnt lgkmcnt(0)
	s_sub_i32 s33, s36, s44
	s_cmpk_gt_i32 s33, 0xfff
	s_cbranch_scc0 .LBB104_2
; %bb.1:
	s_ashr_i32 s45, s44, 31
	s_lshl_b64 s[0:1], s[44:45], 2
	s_add_u32 s0, s42, s0
	s_addc_u32 s1, s43, s1
	v_lshlrev_b32_e32 v13, 6, v0
	global_load_dwordx4 v[1:4], v13, s[0:1]
	global_load_dwordx4 v[5:8], v13, s[0:1] offset:32
	global_load_dwordx4 v[9:12], v13, s[0:1] offset:16
	s_cmp_eq_u32 s37, 0
	global_load_dwordx4 v[13:16], v13, s[0:1] offset:48
	v_mov_b32_e32 v18, 1
	v_lshlrev_b32_e32 v17, 4, v0
	s_waitcnt vmcnt(3)
	v_cmp_eq_f32_e64 s[34:35], s38, v3
	v_cmp_eq_f32_e64 s[22:23], s38, v1
	v_cmp_neq_f32_e64 s[30:31], s38, v1
	v_cndmask_b32_e64 v1, 0, 1, s[34:35]
	v_cmp_neq_f32_e64 s[34:35], s38, v3
	v_cmp_eq_f32_e32 vcc, s38, v4
	v_cndmask_b32_e64 v3, 0, 1, s[34:35]
	v_cmp_eq_f32_e64 s[34:35], s38, v2
	v_cndmask_b32_e64 v19, 0, 1, vcc
	s_waitcnt vmcnt(2)
	v_cmp_eq_f32_e32 vcc, s38, v5
	v_cmp_eq_f32_e64 s[0:1], s38, v6
	v_cmp_neq_f32_e64 s[6:7], s38, v5
	v_cmp_neq_f32_e64 s[8:9], s38, v6
	;; [unrolled: 1-line block ×3, first 2 shown]
	v_cndmask_b32_e64 v5, 0, 1, s[34:35]
	v_cmp_neq_f32_e64 s[34:35], s38, v2
	v_cndmask_b32_e64 v6, 0, 1, s[22:23]
	s_waitcnt vmcnt(1)
	v_cmp_eq_f32_e64 s[22:23], s38, v12
	v_cmp_eq_f32_e64 s[4:5], s38, v8
	v_cmp_neq_f32_e64 s[12:13], s38, v8
	v_cndmask_b32_e64 v4, 0, 1, s[14:15]
	s_cselect_b64 s[14:15], -1, 0
	v_cmp_eq_f32_e64 s[16:17], s38, v9
	v_cmp_eq_f32_e64 s[18:19], s38, v10
	;; [unrolled: 1-line block ×3, first 2 shown]
	v_cmp_neq_f32_e64 s[24:25], s38, v9
	v_cmp_neq_f32_e64 s[26:27], s38, v10
	;; [unrolled: 1-line block ×3, first 2 shown]
	v_cndmask_b32_e64 v2, 0, 1, s[34:35]
	v_cndmask_b32_e64 v8, 0, 1, s[22:23]
	v_cmp_neq_f32_e64 s[22:23], s38, v12
	v_cndmask_b32_e64 v9, 0, 1, s[22:23]
	v_cndmask_b32_e64 v10, 0, 1, s[20:21]
	v_cndmask_b32_e64 v11, 0, 1, s[28:29]
	v_cndmask_b32_e64 v12, 0, 1, s[18:19]
	v_cndmask_b32_e64 v4, v4, v19, s[14:15]
	v_cndmask_b32_e64 v19, 0, 1, s[26:27]
	v_cndmask_b32_e64 v1, v3, v1, s[14:15]
	v_cndmask_b32_e64 v3, 0, 1, s[16:17]
	v_cndmask_b32_e64 v2, v2, v5, s[14:15]
	v_cndmask_b32_e64 v5, 0, 1, s[24:25]
	v_cmp_eq_f32_e64 s[2:3], s38, v7
	v_cmp_neq_f32_e64 s[10:11], s38, v7
	v_cndmask_b32_e64 v7, 0, 1, s[30:31]
	v_cndmask_b32_e64 v8, v9, v8, s[14:15]
	v_cndmask_b32_e64 v10, v11, v10, s[14:15]
	v_cndmask_b32_e64 v12, v19, v12, s[14:15]
	v_cndmask_b32_e64 v3, v5, v3, s[14:15]
	v_cndmask_b32_e64 v6, v7, v6, s[14:15]
	v_cndmask_b32_e64 v11, 0, 1, s[2:3]
	v_cndmask_b32_e64 v19, 0, 1, s[10:11]
	v_and_b32_e32 v3, 1, v3
	v_and_b32_sdwa v12, v12, v18 dst_sel:BYTE_1 dst_unused:UNUSED_PAD src0_sel:DWORD src1_sel:DWORD
	v_and_b32_e32 v10, 1, v10
	v_and_b32_sdwa v8, v8, v18 dst_sel:BYTE_1 dst_unused:UNUSED_PAD src0_sel:DWORD src1_sel:DWORD
	v_cndmask_b32_e64 v11, v19, v11, s[14:15]
	v_cndmask_b32_e64 v19, 0, 1, vcc
	v_and_b32_e32 v6, 1, v6
	v_and_b32_sdwa v2, v2, v18 dst_sel:BYTE_1 dst_unused:UNUSED_PAD src0_sel:DWORD src1_sel:DWORD
	v_or_b32_e32 v3, v3, v12
	v_or_b32_sdwa v8, v10, v8 dst_sel:WORD_1 dst_unused:UNUSED_PAD src0_sel:DWORD src1_sel:DWORD
	s_waitcnt vmcnt(0)
	v_cmp_eq_f32_e32 vcc, s38, v16
	v_and_b32_e32 v1, 1, v1
	v_and_b32_sdwa v4, v4, v18 dst_sel:BYTE_1 dst_unused:UNUSED_PAD src0_sel:DWORD src1_sel:DWORD
	v_or_b32_e32 v6, v6, v2
	v_or_b32_sdwa v2, v3, v8 dst_sel:DWORD dst_unused:UNUSED_PAD src0_sel:WORD_0 src1_sel:DWORD
	v_cndmask_b32_e64 v3, 0, 1, vcc
	v_cmp_neq_f32_e32 vcc, s38, v16
	v_or_b32_sdwa v1, v1, v4 dst_sel:WORD_1 dst_unused:UNUSED_PAD src0_sel:DWORD src1_sel:DWORD
	v_cndmask_b32_e64 v4, 0, 1, vcc
	v_cmp_eq_f32_e32 vcc, s38, v15
	v_cndmask_b32_e64 v3, v4, v3, s[14:15]
	v_cndmask_b32_e64 v4, 0, 1, vcc
	v_cmp_neq_f32_e32 vcc, s38, v15
	v_or_b32_sdwa v1, v6, v1 dst_sel:DWORD dst_unused:UNUSED_PAD src0_sel:WORD_0 src1_sel:DWORD
	v_cndmask_b32_e64 v6, 0, 1, vcc
	v_cmp_eq_f32_e32 vcc, s38, v14
	v_cndmask_b32_e64 v4, v6, v4, s[14:15]
	v_cndmask_b32_e64 v6, 0, 1, vcc
	v_cmp_neq_f32_e32 vcc, s38, v14
	v_cndmask_b32_e64 v8, 0, 1, vcc
	v_cmp_eq_f32_e32 vcc, s38, v13
	v_cndmask_b32_e64 v6, v8, v6, s[14:15]
	v_cndmask_b32_e64 v8, 0, 1, vcc
	v_cmp_neq_f32_e32 vcc, s38, v13
	v_cndmask_b32_e64 v7, 0, 1, s[4:5]
	v_cndmask_b32_e64 v9, 0, 1, s[12:13]
	v_cndmask_b32_e64 v10, 0, 1, vcc
	v_cndmask_b32_e64 v5, 0, 1, s[0:1]
	v_cndmask_b32_e64 v7, v9, v7, s[14:15]
	;; [unrolled: 1-line block ×6, first 2 shown]
	v_and_b32_e32 v8, 1, v8
	v_and_b32_sdwa v6, v6, v18 dst_sel:BYTE_1 dst_unused:UNUSED_PAD src0_sel:DWORD src1_sel:DWORD
	v_and_b32_e32 v4, 1, v4
	v_and_b32_sdwa v3, v3, v18 dst_sel:BYTE_1 dst_unused:UNUSED_PAD src0_sel:DWORD src1_sel:DWORD
	v_cndmask_b32_e64 v9, v9, v19, s[14:15]
	v_or_b32_e32 v6, v8, v6
	v_or_b32_sdwa v3, v4, v3 dst_sel:WORD_1 dst_unused:UNUSED_PAD src0_sel:DWORD src1_sel:DWORD
	v_or_b32_sdwa v4, v6, v3 dst_sel:DWORD dst_unused:UNUSED_PAD src0_sel:WORD_0 src1_sel:DWORD
	v_and_b32_e32 v3, 1, v9
	v_and_b32_sdwa v5, v5, v18 dst_sel:BYTE_1 dst_unused:UNUSED_PAD src0_sel:DWORD src1_sel:DWORD
	v_or_b32_e32 v3, v3, v5
	v_and_b32_e32 v5, 1, v11
	v_and_b32_sdwa v6, v7, v18 dst_sel:BYTE_1 dst_unused:UNUSED_PAD src0_sel:DWORD src1_sel:DWORD
	s_add_u32 s46, s40, s44
	v_or_b32_sdwa v5, v5, v6 dst_sel:WORD_1 dst_unused:UNUSED_PAD src0_sel:DWORD src1_sel:DWORD
	s_addc_u32 s47, s41, s45
	v_or_b32_sdwa v3, v3, v5 dst_sel:DWORD dst_unused:UNUSED_PAD src0_sel:WORD_0 src1_sel:DWORD
	global_store_dwordx4 v17, v[1:4], s[46:47]
	s_mov_b64 s[0:1], 0
.LBB104_2:
	s_andn2_b64 vcc, exec, s[0:1]
	s_cbranch_vccnz .LBB104_52
; %bb.3:
	v_cmp_gt_i32_e32 vcc, s33, v0
	v_mov_b32_e32 v3, 0
	v_or_b32_e32 v1, s44, v0
	v_mov_b32_e32 v4, 0
	v_mov_b32_e32 v8, v0
	s_and_saveexec_b64 s[2:3], vcc
	s_cbranch_execz .LBB104_5
; %bb.4:
	v_mov_b32_e32 v2, 0
	v_lshlrev_b64 v[4:5], 2, v[1:2]
	v_mov_b32_e32 v2, s43
	v_add_co_u32_e64 v4, s[0:1], s42, v4
	v_addc_co_u32_e64 v5, s[0:1], v2, v5, s[0:1]
	global_load_dword v4, v[4:5], off
	v_or_b32_e32 v8, 0x100, v0
.LBB104_5:
	s_or_b64 exec, exec, s[2:3]
	v_cmp_gt_i32_e64 s[0:1], s33, v8
	s_and_saveexec_b64 s[2:3], s[0:1]
	s_cbranch_execz .LBB104_7
; %bb.6:
	v_add_u32_e32 v2, s44, v8
	v_mov_b32_e32 v3, 0
	v_lshlrev_b64 v[2:3], 2, v[2:3]
	v_mov_b32_e32 v5, s43
	v_add_co_u32_e64 v2, s[0:1], s42, v2
	v_addc_co_u32_e64 v3, s[0:1], v5, v3, s[0:1]
	global_load_dword v3, v[2:3], off
	v_add_u32_e32 v8, 0x100, v8
.LBB104_7:
	s_or_b64 exec, exec, s[2:3]
	v_cmp_gt_i32_e64 s[0:1], s33, v8
	v_mov_b32_e32 v2, 0
	v_mov_b32_e32 v6, 0
	s_and_saveexec_b64 s[2:3], s[0:1]
	s_cbranch_execz .LBB104_9
; %bb.8:
	v_add_u32_e32 v5, s44, v8
	v_mov_b32_e32 v6, 0
	v_lshlrev_b64 v[5:6], 2, v[5:6]
	v_mov_b32_e32 v7, s43
	v_add_co_u32_e64 v5, s[0:1], s42, v5
	v_addc_co_u32_e64 v6, s[0:1], v7, v6, s[0:1]
	global_load_dword v6, v[5:6], off
	v_add_u32_e32 v8, 0x100, v8
.LBB104_9:
	s_or_b64 exec, exec, s[2:3]
	v_cmp_gt_i32_e64 s[0:1], s33, v8
	s_and_saveexec_b64 s[2:3], s[0:1]
	s_cbranch_execz .LBB104_11
; %bb.10:
	v_add_u32_e32 v9, s44, v8
	v_mov_b32_e32 v10, 0
	v_lshlrev_b64 v[9:10], 2, v[9:10]
	v_mov_b32_e32 v2, s43
	v_add_co_u32_e64 v9, s[0:1], s42, v9
	v_addc_co_u32_e64 v10, s[0:1], v2, v10, s[0:1]
	global_load_dword v2, v[9:10], off
	v_add_u32_e32 v8, 0x100, v8
.LBB104_11:
	s_or_b64 exec, exec, s[2:3]
	v_cmp_gt_i32_e64 s[0:1], s33, v8
	v_mov_b32_e32 v5, 0
	v_mov_b32_e32 v9, 0
	s_and_saveexec_b64 s[2:3], s[0:1]
	s_cbranch_execz .LBB104_13
; %bb.12:
	v_add_u32_e32 v9, s44, v8
	v_mov_b32_e32 v10, 0
	v_lshlrev_b64 v[9:10], 2, v[9:10]
	v_mov_b32_e32 v7, s43
	v_add_co_u32_e64 v9, s[0:1], s42, v9
	v_addc_co_u32_e64 v10, s[0:1], v7, v10, s[0:1]
	global_load_dword v9, v[9:10], off
	v_add_u32_e32 v8, 0x100, v8
.LBB104_13:
	;; [unrolled: 30-line block ×7, first 2 shown]
	s_or_b64 exec, exec, s[2:3]
	v_cmp_gt_i32_e64 s[0:1], s33, v8
	s_and_saveexec_b64 s[2:3], s[0:1]
	s_cbranch_execz .LBB104_35
; %bb.34:
	v_add_u32_e32 v19, s44, v8
	v_mov_b32_e32 v20, 0
	v_lshlrev_b64 v[19:20], 2, v[19:20]
	v_mov_b32_e32 v8, s43
	v_add_co_u32_e64 v19, s[0:1], s42, v19
	v_addc_co_u32_e64 v20, s[0:1], v8, v20, s[0:1]
	global_load_dword v16, v[19:20], off
.LBB104_35:
	s_or_b64 exec, exec, s[2:3]
	s_cmp_eq_u32 s37, 0
	s_cselect_b64 s[0:1], -1, 0
	s_and_saveexec_b64 s[2:3], vcc
	s_cbranch_execnz .LBB104_53
; %bb.36:
	s_or_b64 exec, exec, s[2:3]
	v_cmp_gt_i32_e32 vcc, s33, v0
	s_and_saveexec_b64 s[2:3], vcc
	s_cbranch_execnz .LBB104_54
.LBB104_37:
	s_or_b64 exec, exec, s[2:3]
	v_cmp_gt_i32_e32 vcc, s33, v0
	s_and_saveexec_b64 s[2:3], vcc
	s_cbranch_execnz .LBB104_55
.LBB104_38:
	s_or_b64 exec, exec, s[2:3]
	v_cmp_gt_i32_e32 vcc, s33, v0
	s_and_saveexec_b64 s[2:3], vcc
	s_cbranch_execnz .LBB104_56
.LBB104_39:
	s_or_b64 exec, exec, s[2:3]
	v_cmp_gt_i32_e32 vcc, s33, v0
	s_and_saveexec_b64 s[2:3], vcc
	s_cbranch_execnz .LBB104_57
.LBB104_40:
	s_or_b64 exec, exec, s[2:3]
	v_cmp_gt_i32_e32 vcc, s33, v0
	s_and_saveexec_b64 s[2:3], vcc
	s_cbranch_execnz .LBB104_58
.LBB104_41:
	s_or_b64 exec, exec, s[2:3]
	v_cmp_gt_i32_e32 vcc, s33, v0
	s_and_saveexec_b64 s[2:3], vcc
	s_cbranch_execnz .LBB104_59
.LBB104_42:
	s_or_b64 exec, exec, s[2:3]
	v_cmp_gt_i32_e32 vcc, s33, v0
	s_and_saveexec_b64 s[2:3], vcc
	s_cbranch_execnz .LBB104_60
.LBB104_43:
	s_or_b64 exec, exec, s[2:3]
	v_cmp_gt_i32_e32 vcc, s33, v0
	s_and_saveexec_b64 s[2:3], vcc
	s_cbranch_execnz .LBB104_61
.LBB104_44:
	s_or_b64 exec, exec, s[2:3]
	v_cmp_gt_i32_e32 vcc, s33, v0
	s_and_saveexec_b64 s[2:3], vcc
	s_cbranch_execnz .LBB104_62
.LBB104_45:
	s_or_b64 exec, exec, s[2:3]
	v_cmp_gt_i32_e32 vcc, s33, v0
	s_and_saveexec_b64 s[2:3], vcc
	s_cbranch_execnz .LBB104_63
.LBB104_46:
	s_or_b64 exec, exec, s[2:3]
	v_cmp_gt_i32_e32 vcc, s33, v0
	s_and_saveexec_b64 s[2:3], vcc
	s_cbranch_execnz .LBB104_64
.LBB104_47:
	s_or_b64 exec, exec, s[2:3]
	v_cmp_gt_i32_e32 vcc, s33, v0
	s_and_saveexec_b64 s[2:3], vcc
	s_cbranch_execnz .LBB104_65
.LBB104_48:
	s_or_b64 exec, exec, s[2:3]
	v_cmp_gt_i32_e32 vcc, s33, v0
	s_and_saveexec_b64 s[2:3], vcc
	s_cbranch_execnz .LBB104_66
.LBB104_49:
	s_or_b64 exec, exec, s[2:3]
	v_cmp_gt_i32_e32 vcc, s33, v0
	s_and_saveexec_b64 s[2:3], vcc
	s_cbranch_execnz .LBB104_67
.LBB104_50:
	s_or_b64 exec, exec, s[2:3]
	v_cmp_gt_i32_e32 vcc, s33, v0
	s_and_saveexec_b64 s[2:3], vcc
	s_cbranch_execz .LBB104_52
.LBB104_51:
	s_waitcnt vmcnt(0)
	v_cmp_eq_f32_e32 vcc, s38, v16
	v_cndmask_b32_e64 v1, 0, 1, vcc
	v_cmp_neq_f32_e32 vcc, s38, v16
	v_cndmask_b32_e64 v2, 0, 1, vcc
	v_cndmask_b32_e64 v1, v2, v1, s[0:1]
	v_and_b32_e32 v1, 1, v1
	v_add_u32_e32 v0, s44, v0
	global_store_byte v0, v1, s[40:41]
.LBB104_52:
	s_endpgm
.LBB104_53:
	s_waitcnt vmcnt(0)
	v_cmp_eq_f32_e32 vcc, s38, v4
	v_cndmask_b32_e64 v8, 0, 1, vcc
	v_cmp_neq_f32_e32 vcc, s38, v4
	v_cndmask_b32_e64 v4, 0, 1, vcc
	v_cndmask_b32_e64 v4, v4, v8, s[0:1]
	v_or_b32_e32 v0, 0x100, v0
	v_and_b32_e32 v4, 1, v4
	global_store_byte v1, v4, s[40:41]
	s_or_b64 exec, exec, s[2:3]
	v_cmp_gt_i32_e32 vcc, s33, v0
	s_and_saveexec_b64 s[2:3], vcc
	s_cbranch_execz .LBB104_37
.LBB104_54:
	s_waitcnt vmcnt(0)
	v_cmp_eq_f32_e32 vcc, s38, v3
	v_cndmask_b32_e64 v1, 0, 1, vcc
	v_cmp_neq_f32_e32 vcc, s38, v3
	v_cndmask_b32_e64 v3, 0, 1, vcc
	v_cndmask_b32_e64 v1, v3, v1, s[0:1]
	v_and_b32_e32 v1, 1, v1
	v_add_u32_e32 v3, s44, v0
	v_add_u32_e32 v0, 0x100, v0
	global_store_byte v3, v1, s[40:41]
	s_or_b64 exec, exec, s[2:3]
	v_cmp_gt_i32_e32 vcc, s33, v0
	s_and_saveexec_b64 s[2:3], vcc
	s_cbranch_execz .LBB104_38
.LBB104_55:
	s_waitcnt vmcnt(0)
	v_cmp_eq_f32_e32 vcc, s38, v6
	v_cndmask_b32_e64 v1, 0, 1, vcc
	v_cmp_neq_f32_e32 vcc, s38, v6
	v_cndmask_b32_e64 v3, 0, 1, vcc
	v_cndmask_b32_e64 v1, v3, v1, s[0:1]
	v_and_b32_e32 v1, 1, v1
	v_add_u32_e32 v3, s44, v0
	v_add_u32_e32 v0, 0x100, v0
	global_store_byte v3, v1, s[40:41]
	s_or_b64 exec, exec, s[2:3]
	v_cmp_gt_i32_e32 vcc, s33, v0
	s_and_saveexec_b64 s[2:3], vcc
	s_cbranch_execz .LBB104_39
.LBB104_56:
	s_waitcnt vmcnt(0)
	v_cmp_eq_f32_e32 vcc, s38, v2
	v_cndmask_b32_e64 v1, 0, 1, vcc
	v_cmp_neq_f32_e32 vcc, s38, v2
	v_cndmask_b32_e64 v2, 0, 1, vcc
	v_cndmask_b32_e64 v1, v2, v1, s[0:1]
	v_and_b32_e32 v1, 1, v1
	v_add_u32_e32 v2, s44, v0
	v_add_u32_e32 v0, 0x100, v0
	global_store_byte v2, v1, s[40:41]
	s_or_b64 exec, exec, s[2:3]
	v_cmp_gt_i32_e32 vcc, s33, v0
	s_and_saveexec_b64 s[2:3], vcc
	s_cbranch_execz .LBB104_40
.LBB104_57:
	s_waitcnt vmcnt(0)
	v_cmp_eq_f32_e32 vcc, s38, v9
	v_cndmask_b32_e64 v1, 0, 1, vcc
	v_cmp_neq_f32_e32 vcc, s38, v9
	v_cndmask_b32_e64 v2, 0, 1, vcc
	v_cndmask_b32_e64 v1, v2, v1, s[0:1]
	v_and_b32_e32 v1, 1, v1
	v_add_u32_e32 v2, s44, v0
	v_add_u32_e32 v0, 0x100, v0
	global_store_byte v2, v1, s[40:41]
	s_or_b64 exec, exec, s[2:3]
	v_cmp_gt_i32_e32 vcc, s33, v0
	s_and_saveexec_b64 s[2:3], vcc
	s_cbranch_execz .LBB104_41
.LBB104_58:
	s_waitcnt vmcnt(0)
	v_cmp_eq_f32_e32 vcc, s38, v5
	v_cndmask_b32_e64 v1, 0, 1, vcc
	v_cmp_neq_f32_e32 vcc, s38, v5
	v_cndmask_b32_e64 v2, 0, 1, vcc
	v_cndmask_b32_e64 v1, v2, v1, s[0:1]
	v_and_b32_e32 v1, 1, v1
	v_add_u32_e32 v2, s44, v0
	v_add_u32_e32 v0, 0x100, v0
	global_store_byte v2, v1, s[40:41]
	s_or_b64 exec, exec, s[2:3]
	v_cmp_gt_i32_e32 vcc, s33, v0
	s_and_saveexec_b64 s[2:3], vcc
	s_cbranch_execz .LBB104_42
.LBB104_59:
	s_waitcnt vmcnt(0)
	v_cmp_eq_f32_e32 vcc, s38, v11
	v_cndmask_b32_e64 v1, 0, 1, vcc
	v_cmp_neq_f32_e32 vcc, s38, v11
	v_cndmask_b32_e64 v2, 0, 1, vcc
	v_cndmask_b32_e64 v1, v2, v1, s[0:1]
	v_and_b32_e32 v1, 1, v1
	v_add_u32_e32 v2, s44, v0
	v_add_u32_e32 v0, 0x100, v0
	global_store_byte v2, v1, s[40:41]
	s_or_b64 exec, exec, s[2:3]
	v_cmp_gt_i32_e32 vcc, s33, v0
	s_and_saveexec_b64 s[2:3], vcc
	s_cbranch_execz .LBB104_43
.LBB104_60:
	s_waitcnt vmcnt(0)
	v_cmp_eq_f32_e32 vcc, s38, v7
	v_cndmask_b32_e64 v1, 0, 1, vcc
	v_cmp_neq_f32_e32 vcc, s38, v7
	v_cndmask_b32_e64 v2, 0, 1, vcc
	v_cndmask_b32_e64 v1, v2, v1, s[0:1]
	v_and_b32_e32 v1, 1, v1
	v_add_u32_e32 v2, s44, v0
	v_add_u32_e32 v0, 0x100, v0
	global_store_byte v2, v1, s[40:41]
	s_or_b64 exec, exec, s[2:3]
	v_cmp_gt_i32_e32 vcc, s33, v0
	s_and_saveexec_b64 s[2:3], vcc
	s_cbranch_execz .LBB104_44
.LBB104_61:
	s_waitcnt vmcnt(0)
	v_cmp_eq_f32_e32 vcc, s38, v13
	v_cndmask_b32_e64 v1, 0, 1, vcc
	v_cmp_neq_f32_e32 vcc, s38, v13
	v_cndmask_b32_e64 v2, 0, 1, vcc
	v_cndmask_b32_e64 v1, v2, v1, s[0:1]
	v_and_b32_e32 v1, 1, v1
	v_add_u32_e32 v2, s44, v0
	v_add_u32_e32 v0, 0x100, v0
	global_store_byte v2, v1, s[40:41]
	s_or_b64 exec, exec, s[2:3]
	v_cmp_gt_i32_e32 vcc, s33, v0
	s_and_saveexec_b64 s[2:3], vcc
	s_cbranch_execz .LBB104_45
.LBB104_62:
	s_waitcnt vmcnt(0)
	v_cmp_eq_f32_e32 vcc, s38, v10
	v_cndmask_b32_e64 v1, 0, 1, vcc
	v_cmp_neq_f32_e32 vcc, s38, v10
	v_cndmask_b32_e64 v2, 0, 1, vcc
	v_cndmask_b32_e64 v1, v2, v1, s[0:1]
	v_and_b32_e32 v1, 1, v1
	v_add_u32_e32 v2, s44, v0
	v_add_u32_e32 v0, 0x100, v0
	global_store_byte v2, v1, s[40:41]
	s_or_b64 exec, exec, s[2:3]
	v_cmp_gt_i32_e32 vcc, s33, v0
	s_and_saveexec_b64 s[2:3], vcc
	s_cbranch_execz .LBB104_46
.LBB104_63:
	s_waitcnt vmcnt(0)
	v_cmp_eq_f32_e32 vcc, s38, v15
	v_cndmask_b32_e64 v1, 0, 1, vcc
	v_cmp_neq_f32_e32 vcc, s38, v15
	v_cndmask_b32_e64 v2, 0, 1, vcc
	v_cndmask_b32_e64 v1, v2, v1, s[0:1]
	v_and_b32_e32 v1, 1, v1
	v_add_u32_e32 v2, s44, v0
	v_add_u32_e32 v0, 0x100, v0
	global_store_byte v2, v1, s[40:41]
	s_or_b64 exec, exec, s[2:3]
	v_cmp_gt_i32_e32 vcc, s33, v0
	s_and_saveexec_b64 s[2:3], vcc
	s_cbranch_execz .LBB104_47
.LBB104_64:
	s_waitcnt vmcnt(0)
	v_cmp_eq_f32_e32 vcc, s38, v12
	v_cndmask_b32_e64 v1, 0, 1, vcc
	v_cmp_neq_f32_e32 vcc, s38, v12
	v_cndmask_b32_e64 v2, 0, 1, vcc
	v_cndmask_b32_e64 v1, v2, v1, s[0:1]
	v_and_b32_e32 v1, 1, v1
	v_add_u32_e32 v2, s44, v0
	v_add_u32_e32 v0, 0x100, v0
	global_store_byte v2, v1, s[40:41]
	s_or_b64 exec, exec, s[2:3]
	v_cmp_gt_i32_e32 vcc, s33, v0
	s_and_saveexec_b64 s[2:3], vcc
	s_cbranch_execz .LBB104_48
.LBB104_65:
	s_waitcnt vmcnt(0)
	v_cmp_eq_f32_e32 vcc, s38, v17
	v_cndmask_b32_e64 v1, 0, 1, vcc
	v_cmp_neq_f32_e32 vcc, s38, v17
	v_cndmask_b32_e64 v2, 0, 1, vcc
	v_cndmask_b32_e64 v1, v2, v1, s[0:1]
	v_and_b32_e32 v1, 1, v1
	v_add_u32_e32 v2, s44, v0
	v_add_u32_e32 v0, 0x100, v0
	global_store_byte v2, v1, s[40:41]
	s_or_b64 exec, exec, s[2:3]
	v_cmp_gt_i32_e32 vcc, s33, v0
	s_and_saveexec_b64 s[2:3], vcc
	s_cbranch_execz .LBB104_49
.LBB104_66:
	s_waitcnt vmcnt(0)
	v_cmp_eq_f32_e32 vcc, s38, v14
	v_cndmask_b32_e64 v1, 0, 1, vcc
	v_cmp_neq_f32_e32 vcc, s38, v14
	v_cndmask_b32_e64 v2, 0, 1, vcc
	v_cndmask_b32_e64 v1, v2, v1, s[0:1]
	v_and_b32_e32 v1, 1, v1
	v_add_u32_e32 v2, s44, v0
	v_add_u32_e32 v0, 0x100, v0
	global_store_byte v2, v1, s[40:41]
	s_or_b64 exec, exec, s[2:3]
	v_cmp_gt_i32_e32 vcc, s33, v0
	s_and_saveexec_b64 s[2:3], vcc
	s_cbranch_execz .LBB104_50
.LBB104_67:
	s_waitcnt vmcnt(0)
	v_cmp_eq_f32_e32 vcc, s38, v18
	v_cndmask_b32_e64 v1, 0, 1, vcc
	v_cmp_neq_f32_e32 vcc, s38, v18
	v_cndmask_b32_e64 v2, 0, 1, vcc
	v_cndmask_b32_e64 v1, v2, v1, s[0:1]
	v_and_b32_e32 v1, 1, v1
	v_add_u32_e32 v2, s44, v0
	v_add_u32_e32 v0, 0x100, v0
	global_store_byte v2, v1, s[40:41]
	s_or_b64 exec, exec, s[2:3]
	v_cmp_gt_i32_e32 vcc, s33, v0
	s_and_saveexec_b64 s[2:3], vcc
	s_cbranch_execnz .LBB104_51
	s_branch .LBB104_52
	.section	.rodata,"a",@progbits
	.p2align	6, 0x0
	.amdhsa_kernel _ZN2at6native29vectorized_elementwise_kernelILi16ENS0_13AUnaryFunctorIffbNS0_12_GLOBAL__N_116CompareEqFunctorIfEEEESt5arrayIPcLm2EEEEviT0_T1_
		.amdhsa_group_segment_fixed_size 0
		.amdhsa_private_segment_fixed_size 0
		.amdhsa_kernarg_size 32
		.amdhsa_user_sgpr_count 6
		.amdhsa_user_sgpr_private_segment_buffer 1
		.amdhsa_user_sgpr_dispatch_ptr 0
		.amdhsa_user_sgpr_queue_ptr 0
		.amdhsa_user_sgpr_kernarg_segment_ptr 1
		.amdhsa_user_sgpr_dispatch_id 0
		.amdhsa_user_sgpr_flat_scratch_init 0
		.amdhsa_user_sgpr_private_segment_size 0
		.amdhsa_uses_dynamic_stack 0
		.amdhsa_system_sgpr_private_segment_wavefront_offset 0
		.amdhsa_system_sgpr_workgroup_id_x 1
		.amdhsa_system_sgpr_workgroup_id_y 0
		.amdhsa_system_sgpr_workgroup_id_z 0
		.amdhsa_system_sgpr_workgroup_info 0
		.amdhsa_system_vgpr_workitem_id 0
		.amdhsa_next_free_vgpr 21
		.amdhsa_next_free_sgpr 48
		.amdhsa_reserve_vcc 1
		.amdhsa_reserve_flat_scratch 0
		.amdhsa_float_round_mode_32 0
		.amdhsa_float_round_mode_16_64 0
		.amdhsa_float_denorm_mode_32 3
		.amdhsa_float_denorm_mode_16_64 3
		.amdhsa_dx10_clamp 1
		.amdhsa_ieee_mode 1
		.amdhsa_fp16_overflow 0
		.amdhsa_exception_fp_ieee_invalid_op 0
		.amdhsa_exception_fp_denorm_src 0
		.amdhsa_exception_fp_ieee_div_zero 0
		.amdhsa_exception_fp_ieee_overflow 0
		.amdhsa_exception_fp_ieee_underflow 0
		.amdhsa_exception_fp_ieee_inexact 0
		.amdhsa_exception_int_div_zero 0
	.end_amdhsa_kernel
	.section	.text._ZN2at6native29vectorized_elementwise_kernelILi16ENS0_13AUnaryFunctorIffbNS0_12_GLOBAL__N_116CompareEqFunctorIfEEEESt5arrayIPcLm2EEEEviT0_T1_,"axG",@progbits,_ZN2at6native29vectorized_elementwise_kernelILi16ENS0_13AUnaryFunctorIffbNS0_12_GLOBAL__N_116CompareEqFunctorIfEEEESt5arrayIPcLm2EEEEviT0_T1_,comdat
.Lfunc_end104:
	.size	_ZN2at6native29vectorized_elementwise_kernelILi16ENS0_13AUnaryFunctorIffbNS0_12_GLOBAL__N_116CompareEqFunctorIfEEEESt5arrayIPcLm2EEEEviT0_T1_, .Lfunc_end104-_ZN2at6native29vectorized_elementwise_kernelILi16ENS0_13AUnaryFunctorIffbNS0_12_GLOBAL__N_116CompareEqFunctorIfEEEESt5arrayIPcLm2EEEEviT0_T1_
                                        ; -- End function
	.set _ZN2at6native29vectorized_elementwise_kernelILi16ENS0_13AUnaryFunctorIffbNS0_12_GLOBAL__N_116CompareEqFunctorIfEEEESt5arrayIPcLm2EEEEviT0_T1_.num_vgpr, 21
	.set _ZN2at6native29vectorized_elementwise_kernelILi16ENS0_13AUnaryFunctorIffbNS0_12_GLOBAL__N_116CompareEqFunctorIfEEEESt5arrayIPcLm2EEEEviT0_T1_.num_agpr, 0
	.set _ZN2at6native29vectorized_elementwise_kernelILi16ENS0_13AUnaryFunctorIffbNS0_12_GLOBAL__N_116CompareEqFunctorIfEEEESt5arrayIPcLm2EEEEviT0_T1_.numbered_sgpr, 48
	.set _ZN2at6native29vectorized_elementwise_kernelILi16ENS0_13AUnaryFunctorIffbNS0_12_GLOBAL__N_116CompareEqFunctorIfEEEESt5arrayIPcLm2EEEEviT0_T1_.num_named_barrier, 0
	.set _ZN2at6native29vectorized_elementwise_kernelILi16ENS0_13AUnaryFunctorIffbNS0_12_GLOBAL__N_116CompareEqFunctorIfEEEESt5arrayIPcLm2EEEEviT0_T1_.private_seg_size, 0
	.set _ZN2at6native29vectorized_elementwise_kernelILi16ENS0_13AUnaryFunctorIffbNS0_12_GLOBAL__N_116CompareEqFunctorIfEEEESt5arrayIPcLm2EEEEviT0_T1_.uses_vcc, 1
	.set _ZN2at6native29vectorized_elementwise_kernelILi16ENS0_13AUnaryFunctorIffbNS0_12_GLOBAL__N_116CompareEqFunctorIfEEEESt5arrayIPcLm2EEEEviT0_T1_.uses_flat_scratch, 0
	.set _ZN2at6native29vectorized_elementwise_kernelILi16ENS0_13AUnaryFunctorIffbNS0_12_GLOBAL__N_116CompareEqFunctorIfEEEESt5arrayIPcLm2EEEEviT0_T1_.has_dyn_sized_stack, 0
	.set _ZN2at6native29vectorized_elementwise_kernelILi16ENS0_13AUnaryFunctorIffbNS0_12_GLOBAL__N_116CompareEqFunctorIfEEEESt5arrayIPcLm2EEEEviT0_T1_.has_recursion, 0
	.set _ZN2at6native29vectorized_elementwise_kernelILi16ENS0_13AUnaryFunctorIffbNS0_12_GLOBAL__N_116CompareEqFunctorIfEEEESt5arrayIPcLm2EEEEviT0_T1_.has_indirect_call, 0
	.section	.AMDGPU.csdata,"",@progbits
; Kernel info:
; codeLenInByte = 3580
; TotalNumSgprs: 52
; NumVgprs: 21
; ScratchSize: 0
; MemoryBound: 0
; FloatMode: 240
; IeeeMode: 1
; LDSByteSize: 0 bytes/workgroup (compile time only)
; SGPRBlocks: 6
; VGPRBlocks: 5
; NumSGPRsForWavesPerEU: 52
; NumVGPRsForWavesPerEU: 21
; Occupancy: 10
; WaveLimiterHint : 0
; COMPUTE_PGM_RSRC2:SCRATCH_EN: 0
; COMPUTE_PGM_RSRC2:USER_SGPR: 6
; COMPUTE_PGM_RSRC2:TRAP_HANDLER: 0
; COMPUTE_PGM_RSRC2:TGID_X_EN: 1
; COMPUTE_PGM_RSRC2:TGID_Y_EN: 0
; COMPUTE_PGM_RSRC2:TGID_Z_EN: 0
; COMPUTE_PGM_RSRC2:TIDIG_COMP_CNT: 0
	.section	.text._ZN2at6native29vectorized_elementwise_kernelILi8ENS0_13AUnaryFunctorIffbNS0_12_GLOBAL__N_116CompareEqFunctorIfEEEESt5arrayIPcLm2EEEEviT0_T1_,"axG",@progbits,_ZN2at6native29vectorized_elementwise_kernelILi8ENS0_13AUnaryFunctorIffbNS0_12_GLOBAL__N_116CompareEqFunctorIfEEEESt5arrayIPcLm2EEEEviT0_T1_,comdat
	.globl	_ZN2at6native29vectorized_elementwise_kernelILi8ENS0_13AUnaryFunctorIffbNS0_12_GLOBAL__N_116CompareEqFunctorIfEEEESt5arrayIPcLm2EEEEviT0_T1_ ; -- Begin function _ZN2at6native29vectorized_elementwise_kernelILi8ENS0_13AUnaryFunctorIffbNS0_12_GLOBAL__N_116CompareEqFunctorIfEEEESt5arrayIPcLm2EEEEviT0_T1_
	.p2align	8
	.type	_ZN2at6native29vectorized_elementwise_kernelILi8ENS0_13AUnaryFunctorIffbNS0_12_GLOBAL__N_116CompareEqFunctorIfEEEESt5arrayIPcLm2EEEEviT0_T1_,@function
_ZN2at6native29vectorized_elementwise_kernelILi8ENS0_13AUnaryFunctorIffbNS0_12_GLOBAL__N_116CompareEqFunctorIfEEEESt5arrayIPcLm2EEEEviT0_T1_: ; @_ZN2at6native29vectorized_elementwise_kernelILi8ENS0_13AUnaryFunctorIffbNS0_12_GLOBAL__N_116CompareEqFunctorIfEEEESt5arrayIPcLm2EEEEviT0_T1_
; %bb.0:
	s_load_dwordx8 s[24:31], s[4:5], 0x0
	s_lshl_b32 s22, s6, 12
	s_mov_b64 s[0:1], -1
	s_waitcnt lgkmcnt(0)
	s_sub_i32 s24, s24, s22
	s_cmpk_gt_i32 s24, 0xfff
	s_cbranch_scc0 .LBB105_2
; %bb.1:
	s_ashr_i32 s23, s22, 31
	s_lshl_b64 s[0:1], s[22:23], 2
	s_add_u32 s0, s30, s0
	s_addc_u32 s1, s31, s1
	v_lshlrev_b32_e32 v9, 5, v0
	global_load_dwordx4 v[1:4], v9, s[0:1] offset:16
	global_load_dwordx4 v[5:8], v9, s[0:1]
	v_mov_b32_e32 v10, s1
	v_add_co_u32_e32 v9, vcc, s0, v9
	v_addc_co_u32_e32 v14, vcc, 0, v10, vcc
	v_add_co_u32_e32 v13, vcc, 0x2000, v9
	v_addc_co_u32_e64 v10, s[0:1], 0, v14, vcc
	v_mov_b32_e32 v9, v13
	global_load_dwordx4 v[9:12], v[9:10], off
	v_addc_co_u32_e32 v14, vcc, 0, v14, vcc
	global_load_dwordx4 v[13:16], v[13:14], off offset:16
	s_cmp_eq_u32 s25, 0
	v_mov_b32_e32 v17, 0x100
	v_mov_b32_e32 v18, 0x10000
	;; [unrolled: 1-line block ×3, first 2 shown]
	s_waitcnt vmcnt(3)
	v_cmp_eq_f32_e64 s[0:1], s26, v1
	s_waitcnt vmcnt(2)
	v_cmp_eq_f32_e32 vcc, s26, v5
	v_cmp_neq_f32_e64 s[2:3], s26, v1
	v_cndmask_b32_e64 v1, 0, 1, vcc
	v_cmp_neq_f32_e32 vcc, s26, v5
	v_cmp_eq_f32_e64 s[4:5], s26, v2
	v_cmp_neq_f32_e64 s[6:7], s26, v2
	v_cndmask_b32_e64 v2, 0, 1, vcc
	v_cmp_eq_f32_e32 vcc, s26, v6
	v_cmp_eq_f32_e64 s[8:9], s26, v3
	v_cmp_neq_f32_e64 s[10:11], s26, v3
	v_cndmask_b32_e64 v3, 0, 1, vcc
	v_cmp_neq_f32_e32 vcc, s26, v6
	v_cmp_eq_f32_e64 s[12:13], s26, v4
	v_cmp_neq_f32_e64 s[14:15], s26, v4
	v_cndmask_b32_e64 v4, 0, 1, vcc
	v_cmp_neq_f32_e32 vcc, s26, v7
	v_cmp_eq_f32_e64 s[16:17], s26, v8
	v_cmp_neq_f32_e64 s[18:19], s26, v8
	v_cmp_eq_f32_e64 s[20:21], s26, v7
	v_cndmask_b32_e64 v6, 0, 1, vcc
	s_cselect_b64 vcc, -1, 0
	v_cndmask_b32_e64 v5, 0, 1, s[20:21]
	v_cndmask_b32_e64 v7, 0, 1, s[16:17]
	;; [unrolled: 1-line block ×3, first 2 shown]
	v_cndmask_b32_e32 v1, v2, v1, vcc
	v_cndmask_b32_e64 v2, 0, 1, s[0:1]
	v_cndmask_b32_e32 v3, v4, v3, vcc
	v_cndmask_b32_e64 v4, 0, 1, s[2:3]
	;; [unrolled: 2-line block ×4, first 2 shown]
	v_cndmask_b32_e32 v2, v4, v2, vcc
	v_and_b32_e32 v3, 1, v3
	v_cndmask_b32_e32 v6, v8, v6, vcc
	v_cmp_eq_u32_e64 s[0:1], 1, v3
	v_and_b32_e32 v2, 1, v2
	v_cndmask_b32_e64 v3, 0, v17, s[0:1]
	v_and_b32_e32 v6, 1, v6
	v_cmp_eq_u32_e64 s[0:1], 1, v2
	v_cndmask_b32_e64 v4, 0, 1, s[8:9]
	v_cndmask_b32_e64 v8, 0, 1, s[10:11]
	v_cndmask_b32_e64 v2, 0, 1, s[0:1]
	v_cmp_eq_u32_e64 s[0:1], 1, v6
	v_cndmask_b32_e32 v4, v8, v4, vcc
	v_or3_b32 v8, 0, 0, 0
	v_and_b32_e32 v1, 1, v1
	v_cndmask_b32_e64 v6, 0, v17, s[0:1]
	v_and_b32_e32 v5, 1, v5
	v_or_b32_e32 v1, v3, v1
	v_cndmask_b32_e64 v3, 0, 1, s[12:13]
	v_or3_b32 v2, v8, v2, v6
	v_cndmask_b32_e64 v6, 0, 1, s[14:15]
	v_and_b32_e32 v7, 1, v7
	v_cmp_eq_u32_e64 s[0:1], 1, v5
	v_and_b32_e32 v4, 1, v4
	v_cndmask_b32_e64 v5, 0, v18, s[0:1]
	v_cmp_eq_u32_e64 s[0:1], 1, v7
	v_cndmask_b32_e32 v3, v6, v3, vcc
	v_cndmask_b32_e64 v7, 0, v19, s[0:1]
	v_cmp_eq_u32_e64 s[0:1], 1, v4
	v_and_b32_e32 v3, 1, v3
	v_cndmask_b32_e64 v4, 0, v18, s[0:1]
	v_cmp_eq_u32_e64 s[0:1], 1, v3
	v_cndmask_b32_e64 v3, 0, v19, s[0:1]
	s_waitcnt vmcnt(1)
	v_cmp_eq_f32_e64 s[0:1], s26, v9
	v_or3_b32 v2, v2, v4, v3
	v_cndmask_b32_e64 v3, 0, 1, s[0:1]
	v_cmp_neq_f32_e64 s[0:1], s26, v9
	v_cndmask_b32_e64 v4, 0, 1, s[0:1]
	v_cmp_eq_f32_e64 s[0:1], s26, v10
	v_cndmask_b32_e32 v3, v4, v3, vcc
	v_cndmask_b32_e64 v4, 0, 1, s[0:1]
	v_cmp_neq_f32_e64 s[0:1], s26, v10
	v_or3_b32 v1, v1, v5, v7
	v_cndmask_b32_e64 v5, 0, 1, s[0:1]
	v_cndmask_b32_e32 v4, v5, v4, vcc
	v_and_b32_e32 v4, 1, v4
	v_cmp_eq_u32_e64 s[0:1], 1, v4
	v_and_b32_e32 v3, 1, v3
	v_cndmask_b32_e64 v4, 0, v17, s[0:1]
	v_cmp_eq_f32_e64 s[0:1], s26, v11
	v_or_b32_e32 v3, v4, v3
	v_cndmask_b32_e64 v4, 0, 1, s[0:1]
	v_cmp_neq_f32_e64 s[0:1], s26, v11
	v_cndmask_b32_e64 v5, 0, 1, s[0:1]
	v_cndmask_b32_e32 v4, v5, v4, vcc
	v_and_b32_e32 v4, 1, v4
	v_cmp_eq_u32_e64 s[0:1], 1, v4
	v_cndmask_b32_e64 v4, 0, v18, s[0:1]
	v_cmp_eq_f32_e64 s[0:1], s26, v12
	v_cndmask_b32_e64 v5, 0, 1, s[0:1]
	v_cmp_neq_f32_e64 s[0:1], s26, v12
	v_cndmask_b32_e64 v6, 0, 1, s[0:1]
	v_cndmask_b32_e32 v5, v6, v5, vcc
	v_and_b32_e32 v5, 1, v5
	v_cmp_eq_u32_e64 s[0:1], 1, v5
	v_cndmask_b32_e64 v5, 0, v19, s[0:1]
	s_waitcnt vmcnt(0)
	v_cmp_eq_f32_e64 s[0:1], s26, v13
	v_or3_b32 v3, v3, v4, v5
	v_cndmask_b32_e64 v4, 0, 1, s[0:1]
	v_cmp_neq_f32_e64 s[0:1], s26, v13
	v_cndmask_b32_e64 v5, 0, 1, s[0:1]
	v_cndmask_b32_e32 v4, v5, v4, vcc
	v_and_b32_e32 v4, 1, v4
	v_cmp_eq_u32_e64 s[0:1], 1, v4
	v_cndmask_b32_e64 v4, 0, 1, s[0:1]
	v_cmp_eq_f32_e64 s[0:1], s26, v14
	v_cndmask_b32_e64 v5, 0, 1, s[0:1]
	v_cmp_neq_f32_e64 s[0:1], s26, v14
	v_cndmask_b32_e64 v6, 0, 1, s[0:1]
	v_cndmask_b32_e32 v5, v6, v5, vcc
	v_and_b32_e32 v5, 1, v5
	v_cmp_eq_u32_e64 s[0:1], 1, v5
	v_cndmask_b32_e64 v5, 0, v17, s[0:1]
	v_cmp_eq_f32_e64 s[0:1], s26, v15
	v_cndmask_b32_e64 v6, 0, 1, s[0:1]
	v_cmp_neq_f32_e64 s[0:1], s26, v15
	v_cndmask_b32_e64 v7, 0, 1, s[0:1]
	v_cndmask_b32_e32 v6, v7, v6, vcc
	v_and_b32_e32 v6, 1, v6
	v_cmp_eq_u32_e64 s[0:1], 1, v6
	v_cndmask_b32_e64 v6, 0, v18, s[0:1]
	v_cmp_eq_f32_e64 s[0:1], s26, v16
	v_or3_b32 v4, v8, v4, v5
	v_cndmask_b32_e64 v5, 0, 1, s[0:1]
	v_cmp_neq_f32_e64 s[0:1], s26, v16
	v_cndmask_b32_e64 v7, 0, 1, s[0:1]
	v_cndmask_b32_e32 v5, v7, v5, vcc
	v_and_b32_e32 v5, 1, v5
	v_cmp_eq_u32_e32 vcc, 1, v5
	v_or3_b32 v1, v1, 0, 0
	v_cndmask_b32_e32 v5, 0, v19, vcc
	s_add_u32 s0, s28, s22
	v_or3_b32 v1, v1, 0, 0
	v_or3_b32 v3, v3, 0, 0
	;; [unrolled: 1-line block ×3, first 2 shown]
	s_addc_u32 s1, s29, s23
	v_lshlrev_b32_e32 v5, 3, v0
	v_or3_b32 v3, v3, 0, 0
	global_store_dwordx2 v5, v[1:2], s[0:1]
	global_store_dwordx2 v5, v[3:4], s[0:1] offset:2048
	s_mov_b64 s[0:1], 0
.LBB105_2:
	s_andn2_b64 vcc, exec, s[0:1]
	s_cbranch_vccnz .LBB105_52
; %bb.3:
	v_cmp_gt_i32_e32 vcc, s24, v0
	v_mov_b32_e32 v3, 0
	v_or_b32_e32 v1, s22, v0
	v_mov_b32_e32 v4, 0
	v_mov_b32_e32 v8, v0
	s_and_saveexec_b64 s[2:3], vcc
	s_cbranch_execz .LBB105_5
; %bb.4:
	v_mov_b32_e32 v2, 0
	v_lshlrev_b64 v[4:5], 2, v[1:2]
	v_mov_b32_e32 v2, s31
	v_add_co_u32_e64 v4, s[0:1], s30, v4
	v_addc_co_u32_e64 v5, s[0:1], v2, v5, s[0:1]
	global_load_dword v4, v[4:5], off
	v_or_b32_e32 v8, 0x100, v0
.LBB105_5:
	s_or_b64 exec, exec, s[2:3]
	v_cmp_gt_i32_e64 s[0:1], s24, v8
	s_and_saveexec_b64 s[2:3], s[0:1]
	s_cbranch_execz .LBB105_7
; %bb.6:
	v_add_u32_e32 v2, s22, v8
	v_mov_b32_e32 v3, 0
	v_lshlrev_b64 v[2:3], 2, v[2:3]
	v_mov_b32_e32 v5, s31
	v_add_co_u32_e64 v2, s[0:1], s30, v2
	v_addc_co_u32_e64 v3, s[0:1], v5, v3, s[0:1]
	global_load_dword v3, v[2:3], off
	v_add_u32_e32 v8, 0x100, v8
.LBB105_7:
	s_or_b64 exec, exec, s[2:3]
	v_cmp_gt_i32_e64 s[0:1], s24, v8
	v_mov_b32_e32 v2, 0
	v_mov_b32_e32 v6, 0
	s_and_saveexec_b64 s[2:3], s[0:1]
	s_cbranch_execz .LBB105_9
; %bb.8:
	v_add_u32_e32 v5, s22, v8
	v_mov_b32_e32 v6, 0
	v_lshlrev_b64 v[5:6], 2, v[5:6]
	v_mov_b32_e32 v7, s31
	v_add_co_u32_e64 v5, s[0:1], s30, v5
	v_addc_co_u32_e64 v6, s[0:1], v7, v6, s[0:1]
	global_load_dword v6, v[5:6], off
	v_add_u32_e32 v8, 0x100, v8
.LBB105_9:
	s_or_b64 exec, exec, s[2:3]
	v_cmp_gt_i32_e64 s[0:1], s24, v8
	s_and_saveexec_b64 s[2:3], s[0:1]
	s_cbranch_execz .LBB105_11
; %bb.10:
	v_add_u32_e32 v9, s22, v8
	v_mov_b32_e32 v10, 0
	v_lshlrev_b64 v[9:10], 2, v[9:10]
	v_mov_b32_e32 v2, s31
	v_add_co_u32_e64 v9, s[0:1], s30, v9
	v_addc_co_u32_e64 v10, s[0:1], v2, v10, s[0:1]
	global_load_dword v2, v[9:10], off
	v_add_u32_e32 v8, 0x100, v8
.LBB105_11:
	s_or_b64 exec, exec, s[2:3]
	v_cmp_gt_i32_e64 s[0:1], s24, v8
	v_mov_b32_e32 v5, 0
	v_mov_b32_e32 v9, 0
	s_and_saveexec_b64 s[2:3], s[0:1]
	s_cbranch_execz .LBB105_13
; %bb.12:
	v_add_u32_e32 v9, s22, v8
	v_mov_b32_e32 v10, 0
	v_lshlrev_b64 v[9:10], 2, v[9:10]
	v_mov_b32_e32 v7, s31
	v_add_co_u32_e64 v9, s[0:1], s30, v9
	v_addc_co_u32_e64 v10, s[0:1], v7, v10, s[0:1]
	global_load_dword v9, v[9:10], off
	v_add_u32_e32 v8, 0x100, v8
.LBB105_13:
	;; [unrolled: 30-line block ×7, first 2 shown]
	s_or_b64 exec, exec, s[2:3]
	v_cmp_gt_i32_e64 s[0:1], s24, v8
	s_and_saveexec_b64 s[2:3], s[0:1]
	s_cbranch_execz .LBB105_35
; %bb.34:
	v_add_u32_e32 v19, s22, v8
	v_mov_b32_e32 v20, 0
	v_lshlrev_b64 v[19:20], 2, v[19:20]
	v_mov_b32_e32 v8, s31
	v_add_co_u32_e64 v19, s[0:1], s30, v19
	v_addc_co_u32_e64 v20, s[0:1], v8, v20, s[0:1]
	global_load_dword v16, v[19:20], off
.LBB105_35:
	s_or_b64 exec, exec, s[2:3]
	s_cmp_eq_u32 s25, 0
	s_cselect_b64 s[0:1], -1, 0
	s_and_saveexec_b64 s[2:3], vcc
	s_cbranch_execnz .LBB105_53
; %bb.36:
	s_or_b64 exec, exec, s[2:3]
	v_cmp_gt_i32_e32 vcc, s24, v0
	s_and_saveexec_b64 s[2:3], vcc
	s_cbranch_execnz .LBB105_54
.LBB105_37:
	s_or_b64 exec, exec, s[2:3]
	v_cmp_gt_i32_e32 vcc, s24, v0
	s_and_saveexec_b64 s[2:3], vcc
	s_cbranch_execnz .LBB105_55
.LBB105_38:
	s_or_b64 exec, exec, s[2:3]
	v_cmp_gt_i32_e32 vcc, s24, v0
	s_and_saveexec_b64 s[2:3], vcc
	s_cbranch_execnz .LBB105_56
.LBB105_39:
	s_or_b64 exec, exec, s[2:3]
	v_cmp_gt_i32_e32 vcc, s24, v0
	s_and_saveexec_b64 s[2:3], vcc
	s_cbranch_execnz .LBB105_57
.LBB105_40:
	s_or_b64 exec, exec, s[2:3]
	v_cmp_gt_i32_e32 vcc, s24, v0
	s_and_saveexec_b64 s[2:3], vcc
	s_cbranch_execnz .LBB105_58
.LBB105_41:
	s_or_b64 exec, exec, s[2:3]
	v_cmp_gt_i32_e32 vcc, s24, v0
	s_and_saveexec_b64 s[2:3], vcc
	s_cbranch_execnz .LBB105_59
.LBB105_42:
	s_or_b64 exec, exec, s[2:3]
	v_cmp_gt_i32_e32 vcc, s24, v0
	s_and_saveexec_b64 s[2:3], vcc
	s_cbranch_execnz .LBB105_60
.LBB105_43:
	s_or_b64 exec, exec, s[2:3]
	v_cmp_gt_i32_e32 vcc, s24, v0
	s_and_saveexec_b64 s[2:3], vcc
	s_cbranch_execnz .LBB105_61
.LBB105_44:
	s_or_b64 exec, exec, s[2:3]
	v_cmp_gt_i32_e32 vcc, s24, v0
	s_and_saveexec_b64 s[2:3], vcc
	s_cbranch_execnz .LBB105_62
.LBB105_45:
	s_or_b64 exec, exec, s[2:3]
	v_cmp_gt_i32_e32 vcc, s24, v0
	s_and_saveexec_b64 s[2:3], vcc
	s_cbranch_execnz .LBB105_63
.LBB105_46:
	s_or_b64 exec, exec, s[2:3]
	v_cmp_gt_i32_e32 vcc, s24, v0
	s_and_saveexec_b64 s[2:3], vcc
	s_cbranch_execnz .LBB105_64
.LBB105_47:
	s_or_b64 exec, exec, s[2:3]
	v_cmp_gt_i32_e32 vcc, s24, v0
	s_and_saveexec_b64 s[2:3], vcc
	s_cbranch_execnz .LBB105_65
.LBB105_48:
	s_or_b64 exec, exec, s[2:3]
	v_cmp_gt_i32_e32 vcc, s24, v0
	s_and_saveexec_b64 s[2:3], vcc
	s_cbranch_execnz .LBB105_66
.LBB105_49:
	s_or_b64 exec, exec, s[2:3]
	v_cmp_gt_i32_e32 vcc, s24, v0
	s_and_saveexec_b64 s[2:3], vcc
	s_cbranch_execnz .LBB105_67
.LBB105_50:
	s_or_b64 exec, exec, s[2:3]
	v_cmp_gt_i32_e32 vcc, s24, v0
	s_and_saveexec_b64 s[2:3], vcc
	s_cbranch_execz .LBB105_52
.LBB105_51:
	s_waitcnt vmcnt(0)
	v_cmp_eq_f32_e32 vcc, s26, v16
	v_cndmask_b32_e64 v1, 0, 1, vcc
	v_cmp_neq_f32_e32 vcc, s26, v16
	v_cndmask_b32_e64 v2, 0, 1, vcc
	v_cndmask_b32_e64 v1, v2, v1, s[0:1]
	v_and_b32_e32 v1, 1, v1
	v_add_u32_e32 v0, s22, v0
	global_store_byte v0, v1, s[28:29]
.LBB105_52:
	s_endpgm
.LBB105_53:
	s_waitcnt vmcnt(0)
	v_cmp_eq_f32_e32 vcc, s26, v4
	v_cndmask_b32_e64 v8, 0, 1, vcc
	v_cmp_neq_f32_e32 vcc, s26, v4
	v_cndmask_b32_e64 v4, 0, 1, vcc
	v_cndmask_b32_e64 v4, v4, v8, s[0:1]
	v_or_b32_e32 v0, 0x100, v0
	v_and_b32_e32 v4, 1, v4
	global_store_byte v1, v4, s[28:29]
	s_or_b64 exec, exec, s[2:3]
	v_cmp_gt_i32_e32 vcc, s24, v0
	s_and_saveexec_b64 s[2:3], vcc
	s_cbranch_execz .LBB105_37
.LBB105_54:
	s_waitcnt vmcnt(0)
	v_cmp_eq_f32_e32 vcc, s26, v3
	v_cndmask_b32_e64 v1, 0, 1, vcc
	v_cmp_neq_f32_e32 vcc, s26, v3
	v_cndmask_b32_e64 v3, 0, 1, vcc
	v_cndmask_b32_e64 v1, v3, v1, s[0:1]
	v_and_b32_e32 v1, 1, v1
	v_add_u32_e32 v3, s22, v0
	v_add_u32_e32 v0, 0x100, v0
	global_store_byte v3, v1, s[28:29]
	s_or_b64 exec, exec, s[2:3]
	v_cmp_gt_i32_e32 vcc, s24, v0
	s_and_saveexec_b64 s[2:3], vcc
	s_cbranch_execz .LBB105_38
.LBB105_55:
	s_waitcnt vmcnt(0)
	v_cmp_eq_f32_e32 vcc, s26, v6
	v_cndmask_b32_e64 v1, 0, 1, vcc
	v_cmp_neq_f32_e32 vcc, s26, v6
	v_cndmask_b32_e64 v3, 0, 1, vcc
	v_cndmask_b32_e64 v1, v3, v1, s[0:1]
	v_and_b32_e32 v1, 1, v1
	v_add_u32_e32 v3, s22, v0
	v_add_u32_e32 v0, 0x100, v0
	global_store_byte v3, v1, s[28:29]
	s_or_b64 exec, exec, s[2:3]
	v_cmp_gt_i32_e32 vcc, s24, v0
	s_and_saveexec_b64 s[2:3], vcc
	s_cbranch_execz .LBB105_39
.LBB105_56:
	s_waitcnt vmcnt(0)
	v_cmp_eq_f32_e32 vcc, s26, v2
	v_cndmask_b32_e64 v1, 0, 1, vcc
	v_cmp_neq_f32_e32 vcc, s26, v2
	v_cndmask_b32_e64 v2, 0, 1, vcc
	v_cndmask_b32_e64 v1, v2, v1, s[0:1]
	v_and_b32_e32 v1, 1, v1
	v_add_u32_e32 v2, s22, v0
	v_add_u32_e32 v0, 0x100, v0
	global_store_byte v2, v1, s[28:29]
	s_or_b64 exec, exec, s[2:3]
	v_cmp_gt_i32_e32 vcc, s24, v0
	s_and_saveexec_b64 s[2:3], vcc
	s_cbranch_execz .LBB105_40
.LBB105_57:
	s_waitcnt vmcnt(0)
	v_cmp_eq_f32_e32 vcc, s26, v9
	v_cndmask_b32_e64 v1, 0, 1, vcc
	v_cmp_neq_f32_e32 vcc, s26, v9
	v_cndmask_b32_e64 v2, 0, 1, vcc
	v_cndmask_b32_e64 v1, v2, v1, s[0:1]
	v_and_b32_e32 v1, 1, v1
	v_add_u32_e32 v2, s22, v0
	v_add_u32_e32 v0, 0x100, v0
	global_store_byte v2, v1, s[28:29]
	s_or_b64 exec, exec, s[2:3]
	v_cmp_gt_i32_e32 vcc, s24, v0
	s_and_saveexec_b64 s[2:3], vcc
	s_cbranch_execz .LBB105_41
.LBB105_58:
	s_waitcnt vmcnt(0)
	v_cmp_eq_f32_e32 vcc, s26, v5
	v_cndmask_b32_e64 v1, 0, 1, vcc
	v_cmp_neq_f32_e32 vcc, s26, v5
	v_cndmask_b32_e64 v2, 0, 1, vcc
	v_cndmask_b32_e64 v1, v2, v1, s[0:1]
	v_and_b32_e32 v1, 1, v1
	v_add_u32_e32 v2, s22, v0
	v_add_u32_e32 v0, 0x100, v0
	global_store_byte v2, v1, s[28:29]
	s_or_b64 exec, exec, s[2:3]
	v_cmp_gt_i32_e32 vcc, s24, v0
	s_and_saveexec_b64 s[2:3], vcc
	s_cbranch_execz .LBB105_42
.LBB105_59:
	s_waitcnt vmcnt(0)
	v_cmp_eq_f32_e32 vcc, s26, v11
	v_cndmask_b32_e64 v1, 0, 1, vcc
	v_cmp_neq_f32_e32 vcc, s26, v11
	v_cndmask_b32_e64 v2, 0, 1, vcc
	v_cndmask_b32_e64 v1, v2, v1, s[0:1]
	v_and_b32_e32 v1, 1, v1
	v_add_u32_e32 v2, s22, v0
	v_add_u32_e32 v0, 0x100, v0
	global_store_byte v2, v1, s[28:29]
	s_or_b64 exec, exec, s[2:3]
	v_cmp_gt_i32_e32 vcc, s24, v0
	s_and_saveexec_b64 s[2:3], vcc
	s_cbranch_execz .LBB105_43
.LBB105_60:
	s_waitcnt vmcnt(0)
	v_cmp_eq_f32_e32 vcc, s26, v7
	v_cndmask_b32_e64 v1, 0, 1, vcc
	v_cmp_neq_f32_e32 vcc, s26, v7
	v_cndmask_b32_e64 v2, 0, 1, vcc
	v_cndmask_b32_e64 v1, v2, v1, s[0:1]
	v_and_b32_e32 v1, 1, v1
	v_add_u32_e32 v2, s22, v0
	v_add_u32_e32 v0, 0x100, v0
	global_store_byte v2, v1, s[28:29]
	s_or_b64 exec, exec, s[2:3]
	v_cmp_gt_i32_e32 vcc, s24, v0
	s_and_saveexec_b64 s[2:3], vcc
	s_cbranch_execz .LBB105_44
.LBB105_61:
	s_waitcnt vmcnt(0)
	v_cmp_eq_f32_e32 vcc, s26, v13
	v_cndmask_b32_e64 v1, 0, 1, vcc
	v_cmp_neq_f32_e32 vcc, s26, v13
	v_cndmask_b32_e64 v2, 0, 1, vcc
	v_cndmask_b32_e64 v1, v2, v1, s[0:1]
	v_and_b32_e32 v1, 1, v1
	v_add_u32_e32 v2, s22, v0
	v_add_u32_e32 v0, 0x100, v0
	global_store_byte v2, v1, s[28:29]
	s_or_b64 exec, exec, s[2:3]
	v_cmp_gt_i32_e32 vcc, s24, v0
	s_and_saveexec_b64 s[2:3], vcc
	s_cbranch_execz .LBB105_45
.LBB105_62:
	s_waitcnt vmcnt(0)
	v_cmp_eq_f32_e32 vcc, s26, v10
	v_cndmask_b32_e64 v1, 0, 1, vcc
	v_cmp_neq_f32_e32 vcc, s26, v10
	v_cndmask_b32_e64 v2, 0, 1, vcc
	v_cndmask_b32_e64 v1, v2, v1, s[0:1]
	v_and_b32_e32 v1, 1, v1
	v_add_u32_e32 v2, s22, v0
	v_add_u32_e32 v0, 0x100, v0
	global_store_byte v2, v1, s[28:29]
	s_or_b64 exec, exec, s[2:3]
	v_cmp_gt_i32_e32 vcc, s24, v0
	s_and_saveexec_b64 s[2:3], vcc
	s_cbranch_execz .LBB105_46
.LBB105_63:
	s_waitcnt vmcnt(0)
	v_cmp_eq_f32_e32 vcc, s26, v15
	v_cndmask_b32_e64 v1, 0, 1, vcc
	v_cmp_neq_f32_e32 vcc, s26, v15
	v_cndmask_b32_e64 v2, 0, 1, vcc
	v_cndmask_b32_e64 v1, v2, v1, s[0:1]
	v_and_b32_e32 v1, 1, v1
	v_add_u32_e32 v2, s22, v0
	v_add_u32_e32 v0, 0x100, v0
	global_store_byte v2, v1, s[28:29]
	s_or_b64 exec, exec, s[2:3]
	v_cmp_gt_i32_e32 vcc, s24, v0
	s_and_saveexec_b64 s[2:3], vcc
	s_cbranch_execz .LBB105_47
.LBB105_64:
	s_waitcnt vmcnt(0)
	v_cmp_eq_f32_e32 vcc, s26, v12
	v_cndmask_b32_e64 v1, 0, 1, vcc
	v_cmp_neq_f32_e32 vcc, s26, v12
	v_cndmask_b32_e64 v2, 0, 1, vcc
	v_cndmask_b32_e64 v1, v2, v1, s[0:1]
	v_and_b32_e32 v1, 1, v1
	v_add_u32_e32 v2, s22, v0
	v_add_u32_e32 v0, 0x100, v0
	global_store_byte v2, v1, s[28:29]
	s_or_b64 exec, exec, s[2:3]
	v_cmp_gt_i32_e32 vcc, s24, v0
	s_and_saveexec_b64 s[2:3], vcc
	s_cbranch_execz .LBB105_48
.LBB105_65:
	s_waitcnt vmcnt(0)
	v_cmp_eq_f32_e32 vcc, s26, v17
	v_cndmask_b32_e64 v1, 0, 1, vcc
	v_cmp_neq_f32_e32 vcc, s26, v17
	v_cndmask_b32_e64 v2, 0, 1, vcc
	v_cndmask_b32_e64 v1, v2, v1, s[0:1]
	v_and_b32_e32 v1, 1, v1
	v_add_u32_e32 v2, s22, v0
	v_add_u32_e32 v0, 0x100, v0
	global_store_byte v2, v1, s[28:29]
	s_or_b64 exec, exec, s[2:3]
	v_cmp_gt_i32_e32 vcc, s24, v0
	s_and_saveexec_b64 s[2:3], vcc
	s_cbranch_execz .LBB105_49
.LBB105_66:
	s_waitcnt vmcnt(0)
	v_cmp_eq_f32_e32 vcc, s26, v14
	v_cndmask_b32_e64 v1, 0, 1, vcc
	v_cmp_neq_f32_e32 vcc, s26, v14
	v_cndmask_b32_e64 v2, 0, 1, vcc
	v_cndmask_b32_e64 v1, v2, v1, s[0:1]
	v_and_b32_e32 v1, 1, v1
	v_add_u32_e32 v2, s22, v0
	v_add_u32_e32 v0, 0x100, v0
	global_store_byte v2, v1, s[28:29]
	s_or_b64 exec, exec, s[2:3]
	v_cmp_gt_i32_e32 vcc, s24, v0
	s_and_saveexec_b64 s[2:3], vcc
	s_cbranch_execz .LBB105_50
.LBB105_67:
	s_waitcnt vmcnt(0)
	v_cmp_eq_f32_e32 vcc, s26, v18
	v_cndmask_b32_e64 v1, 0, 1, vcc
	v_cmp_neq_f32_e32 vcc, s26, v18
	v_cndmask_b32_e64 v2, 0, 1, vcc
	v_cndmask_b32_e64 v1, v2, v1, s[0:1]
	v_and_b32_e32 v1, 1, v1
	v_add_u32_e32 v2, s22, v0
	v_add_u32_e32 v0, 0x100, v0
	global_store_byte v2, v1, s[28:29]
	s_or_b64 exec, exec, s[2:3]
	v_cmp_gt_i32_e32 vcc, s24, v0
	s_and_saveexec_b64 s[2:3], vcc
	s_cbranch_execnz .LBB105_51
	s_branch .LBB105_52
	.section	.rodata,"a",@progbits
	.p2align	6, 0x0
	.amdhsa_kernel _ZN2at6native29vectorized_elementwise_kernelILi8ENS0_13AUnaryFunctorIffbNS0_12_GLOBAL__N_116CompareEqFunctorIfEEEESt5arrayIPcLm2EEEEviT0_T1_
		.amdhsa_group_segment_fixed_size 0
		.amdhsa_private_segment_fixed_size 0
		.amdhsa_kernarg_size 32
		.amdhsa_user_sgpr_count 6
		.amdhsa_user_sgpr_private_segment_buffer 1
		.amdhsa_user_sgpr_dispatch_ptr 0
		.amdhsa_user_sgpr_queue_ptr 0
		.amdhsa_user_sgpr_kernarg_segment_ptr 1
		.amdhsa_user_sgpr_dispatch_id 0
		.amdhsa_user_sgpr_flat_scratch_init 0
		.amdhsa_user_sgpr_private_segment_size 0
		.amdhsa_uses_dynamic_stack 0
		.amdhsa_system_sgpr_private_segment_wavefront_offset 0
		.amdhsa_system_sgpr_workgroup_id_x 1
		.amdhsa_system_sgpr_workgroup_id_y 0
		.amdhsa_system_sgpr_workgroup_id_z 0
		.amdhsa_system_sgpr_workgroup_info 0
		.amdhsa_system_vgpr_workitem_id 0
		.amdhsa_next_free_vgpr 21
		.amdhsa_next_free_sgpr 32
		.amdhsa_reserve_vcc 1
		.amdhsa_reserve_flat_scratch 0
		.amdhsa_float_round_mode_32 0
		.amdhsa_float_round_mode_16_64 0
		.amdhsa_float_denorm_mode_32 3
		.amdhsa_float_denorm_mode_16_64 3
		.amdhsa_dx10_clamp 1
		.amdhsa_ieee_mode 1
		.amdhsa_fp16_overflow 0
		.amdhsa_exception_fp_ieee_invalid_op 0
		.amdhsa_exception_fp_denorm_src 0
		.amdhsa_exception_fp_ieee_div_zero 0
		.amdhsa_exception_fp_ieee_overflow 0
		.amdhsa_exception_fp_ieee_underflow 0
		.amdhsa_exception_fp_ieee_inexact 0
		.amdhsa_exception_int_div_zero 0
	.end_amdhsa_kernel
	.section	.text._ZN2at6native29vectorized_elementwise_kernelILi8ENS0_13AUnaryFunctorIffbNS0_12_GLOBAL__N_116CompareEqFunctorIfEEEESt5arrayIPcLm2EEEEviT0_T1_,"axG",@progbits,_ZN2at6native29vectorized_elementwise_kernelILi8ENS0_13AUnaryFunctorIffbNS0_12_GLOBAL__N_116CompareEqFunctorIfEEEESt5arrayIPcLm2EEEEviT0_T1_,comdat
.Lfunc_end105:
	.size	_ZN2at6native29vectorized_elementwise_kernelILi8ENS0_13AUnaryFunctorIffbNS0_12_GLOBAL__N_116CompareEqFunctorIfEEEESt5arrayIPcLm2EEEEviT0_T1_, .Lfunc_end105-_ZN2at6native29vectorized_elementwise_kernelILi8ENS0_13AUnaryFunctorIffbNS0_12_GLOBAL__N_116CompareEqFunctorIfEEEESt5arrayIPcLm2EEEEviT0_T1_
                                        ; -- End function
	.set _ZN2at6native29vectorized_elementwise_kernelILi8ENS0_13AUnaryFunctorIffbNS0_12_GLOBAL__N_116CompareEqFunctorIfEEEESt5arrayIPcLm2EEEEviT0_T1_.num_vgpr, 21
	.set _ZN2at6native29vectorized_elementwise_kernelILi8ENS0_13AUnaryFunctorIffbNS0_12_GLOBAL__N_116CompareEqFunctorIfEEEESt5arrayIPcLm2EEEEviT0_T1_.num_agpr, 0
	.set _ZN2at6native29vectorized_elementwise_kernelILi8ENS0_13AUnaryFunctorIffbNS0_12_GLOBAL__N_116CompareEqFunctorIfEEEESt5arrayIPcLm2EEEEviT0_T1_.numbered_sgpr, 32
	.set _ZN2at6native29vectorized_elementwise_kernelILi8ENS0_13AUnaryFunctorIffbNS0_12_GLOBAL__N_116CompareEqFunctorIfEEEESt5arrayIPcLm2EEEEviT0_T1_.num_named_barrier, 0
	.set _ZN2at6native29vectorized_elementwise_kernelILi8ENS0_13AUnaryFunctorIffbNS0_12_GLOBAL__N_116CompareEqFunctorIfEEEESt5arrayIPcLm2EEEEviT0_T1_.private_seg_size, 0
	.set _ZN2at6native29vectorized_elementwise_kernelILi8ENS0_13AUnaryFunctorIffbNS0_12_GLOBAL__N_116CompareEqFunctorIfEEEESt5arrayIPcLm2EEEEviT0_T1_.uses_vcc, 1
	.set _ZN2at6native29vectorized_elementwise_kernelILi8ENS0_13AUnaryFunctorIffbNS0_12_GLOBAL__N_116CompareEqFunctorIfEEEESt5arrayIPcLm2EEEEviT0_T1_.uses_flat_scratch, 0
	.set _ZN2at6native29vectorized_elementwise_kernelILi8ENS0_13AUnaryFunctorIffbNS0_12_GLOBAL__N_116CompareEqFunctorIfEEEESt5arrayIPcLm2EEEEviT0_T1_.has_dyn_sized_stack, 0
	.set _ZN2at6native29vectorized_elementwise_kernelILi8ENS0_13AUnaryFunctorIffbNS0_12_GLOBAL__N_116CompareEqFunctorIfEEEESt5arrayIPcLm2EEEEviT0_T1_.has_recursion, 0
	.set _ZN2at6native29vectorized_elementwise_kernelILi8ENS0_13AUnaryFunctorIffbNS0_12_GLOBAL__N_116CompareEqFunctorIfEEEESt5arrayIPcLm2EEEEviT0_T1_.has_indirect_call, 0
	.section	.AMDGPU.csdata,"",@progbits
; Kernel info:
; codeLenInByte = 3800
; TotalNumSgprs: 36
; NumVgprs: 21
; ScratchSize: 0
; MemoryBound: 0
; FloatMode: 240
; IeeeMode: 1
; LDSByteSize: 0 bytes/workgroup (compile time only)
; SGPRBlocks: 4
; VGPRBlocks: 5
; NumSGPRsForWavesPerEU: 36
; NumVGPRsForWavesPerEU: 21
; Occupancy: 10
; WaveLimiterHint : 1
; COMPUTE_PGM_RSRC2:SCRATCH_EN: 0
; COMPUTE_PGM_RSRC2:USER_SGPR: 6
; COMPUTE_PGM_RSRC2:TRAP_HANDLER: 0
; COMPUTE_PGM_RSRC2:TGID_X_EN: 1
; COMPUTE_PGM_RSRC2:TGID_Y_EN: 0
; COMPUTE_PGM_RSRC2:TGID_Z_EN: 0
; COMPUTE_PGM_RSRC2:TIDIG_COMP_CNT: 0
	.section	.text._ZN2at6native29vectorized_elementwise_kernelILi4ENS0_13AUnaryFunctorIffbNS0_12_GLOBAL__N_116CompareEqFunctorIfEEEESt5arrayIPcLm2EEEEviT0_T1_,"axG",@progbits,_ZN2at6native29vectorized_elementwise_kernelILi4ENS0_13AUnaryFunctorIffbNS0_12_GLOBAL__N_116CompareEqFunctorIfEEEESt5arrayIPcLm2EEEEviT0_T1_,comdat
	.globl	_ZN2at6native29vectorized_elementwise_kernelILi4ENS0_13AUnaryFunctorIffbNS0_12_GLOBAL__N_116CompareEqFunctorIfEEEESt5arrayIPcLm2EEEEviT0_T1_ ; -- Begin function _ZN2at6native29vectorized_elementwise_kernelILi4ENS0_13AUnaryFunctorIffbNS0_12_GLOBAL__N_116CompareEqFunctorIfEEEESt5arrayIPcLm2EEEEviT0_T1_
	.p2align	8
	.type	_ZN2at6native29vectorized_elementwise_kernelILi4ENS0_13AUnaryFunctorIffbNS0_12_GLOBAL__N_116CompareEqFunctorIfEEEESt5arrayIPcLm2EEEEviT0_T1_,@function
_ZN2at6native29vectorized_elementwise_kernelILi4ENS0_13AUnaryFunctorIffbNS0_12_GLOBAL__N_116CompareEqFunctorIfEEEESt5arrayIPcLm2EEEEviT0_T1_: ; @_ZN2at6native29vectorized_elementwise_kernelILi4ENS0_13AUnaryFunctorIffbNS0_12_GLOBAL__N_116CompareEqFunctorIfEEEESt5arrayIPcLm2EEEEviT0_T1_
; %bb.0:
	s_load_dwordx8 s[16:23], s[4:5], 0x0
	s_lshl_b32 s24, s6, 12
	s_mov_b64 s[0:1], -1
	s_waitcnt lgkmcnt(0)
	s_sub_i32 s16, s16, s24
	s_cmpk_gt_i32 s16, 0xfff
	s_cbranch_scc0 .LBB106_2
; %bb.1:
	s_ashr_i32 s25, s24, 31
	s_lshl_b64 s[0:1], s[24:25], 2
	s_add_u32 s0, s22, s0
	s_addc_u32 s1, s23, s1
	v_lshlrev_b32_e32 v5, 4, v0
	global_load_dwordx4 v[1:4], v5, s[0:1]
	v_mov_b32_e32 v6, s1
	v_add_co_u32_e32 v13, vcc, s0, v5
	v_addc_co_u32_e32 v14, vcc, 0, v6, vcc
	v_add_co_u32_e32 v5, vcc, 0x1000, v13
	v_addc_co_u32_e32 v6, vcc, 0, v14, vcc
	global_load_dwordx4 v[5:8], v[5:6], off
	v_add_co_u32_e32 v9, vcc, 0x2000, v13
	v_addc_co_u32_e32 v10, vcc, 0, v14, vcc
	global_load_dwordx4 v[9:12], v[9:10], off
	;; [unrolled: 3-line block ×3, first 2 shown]
	s_cmp_eq_u32 s17, 0
	v_mov_b32_e32 v17, 0x100
	v_mov_b32_e32 v18, 0x10000
	s_waitcnt vmcnt(3)
	v_cmp_eq_f32_e32 vcc, s18, v1
	v_cndmask_b32_e64 v19, 0, 1, vcc
	v_cmp_eq_f32_e32 vcc, s18, v2
	v_cmp_neq_f32_e64 s[0:1], s18, v2
	v_cmp_neq_f32_e64 s[10:11], s18, v1
	v_cmp_eq_f32_e64 s[2:3], s18, v3
	v_cmp_neq_f32_e64 s[4:5], s18, v3
	v_cndmask_b32_e64 v1, 0, 1, s[10:11]
	v_cndmask_b32_e64 v2, 0, 1, vcc
	v_cndmask_b32_e64 v3, 0, 1, s[0:1]
	s_cselect_b64 vcc, -1, 0
	v_cmp_eq_f32_e64 s[6:7], s18, v4
	v_cmp_neq_f32_e64 s[8:9], s18, v4
	v_cndmask_b32_e64 v4, 0, 1, s[2:3]
	v_cndmask_b32_e32 v1, v1, v19, vcc
	v_cndmask_b32_e64 v19, 0, 1, s[4:5]
	v_cndmask_b32_e32 v2, v3, v2, vcc
	;; [unrolled: 2-line block ×3, first 2 shown]
	v_cndmask_b32_e64 v19, 0, 1, s[8:9]
	v_and_b32_e32 v2, 1, v2
	v_cndmask_b32_e32 v3, v19, v3, vcc
	v_and_b32_e32 v4, 1, v4
	v_cmp_eq_u32_e64 s[0:1], 1, v2
	v_and_b32_e32 v3, 1, v3
	v_cndmask_b32_e64 v2, 0, v17, s[0:1]
	v_cmp_eq_u32_e64 s[0:1], 1, v4
	v_mov_b32_e32 v19, 0x1000000
	v_cndmask_b32_e64 v4, 0, v18, s[0:1]
	v_cmp_eq_u32_e64 s[0:1], 1, v3
	v_cndmask_b32_e64 v3, 0, v19, s[0:1]
	s_waitcnt vmcnt(2)
	v_cmp_neq_f32_e64 s[0:1], s18, v5
	v_cmp_eq_f32_e64 s[2:3], s18, v6
	v_cmp_neq_f32_e64 s[4:5], s18, v6
	v_cmp_eq_f32_e64 s[14:15], s18, v5
	v_cmp_eq_f32_e64 s[6:7], s18, v7
	v_cmp_neq_f32_e64 s[8:9], s18, v7
	v_cmp_eq_f32_e64 s[10:11], s18, v8
	v_cmp_neq_f32_e64 s[12:13], s18, v8
	v_cndmask_b32_e64 v5, 0, 1, s[14:15]
	v_cndmask_b32_e64 v6, 0, 1, s[0:1]
	;; [unrolled: 1-line block ×4, first 2 shown]
	v_and_or_b32 v1, v1, 1, v2
	v_cndmask_b32_e64 v2, 0, 1, s[6:7]
	v_cndmask_b32_e32 v5, v6, v5, vcc
	v_cndmask_b32_e64 v6, 0, 1, s[8:9]
	v_cndmask_b32_e32 v7, v8, v7, vcc
	;; [unrolled: 2-line block ×3, first 2 shown]
	v_cndmask_b32_e64 v6, 0, 1, s[12:13]
	v_or3_b32 v1, v1, v4, v3
	v_and_b32_e32 v3, 1, v7
	v_cndmask_b32_e32 v6, v6, v8, vcc
	v_and_b32_e32 v2, 1, v2
	v_cmp_eq_u32_e64 s[0:1], 1, v3
	v_cndmask_b32_e64 v3, 0, v17, s[0:1]
	v_cmp_eq_u32_e64 s[0:1], 1, v2
	v_and_b32_e32 v4, 1, v6
	v_cndmask_b32_e64 v2, 0, v18, s[0:1]
	v_cmp_eq_u32_e64 s[0:1], 1, v4
	v_and_or_b32 v3, v5, 1, v3
	v_cndmask_b32_e64 v4, 0, v19, s[0:1]
	s_waitcnt vmcnt(1)
	v_cmp_eq_f32_e64 s[0:1], s18, v9
	v_or3_b32 v2, v3, v2, v4
	v_cndmask_b32_e64 v3, 0, 1, s[0:1]
	v_cmp_neq_f32_e64 s[0:1], s18, v9
	v_cndmask_b32_e64 v4, 0, 1, s[0:1]
	v_cmp_eq_f32_e64 s[0:1], s18, v10
	v_cndmask_b32_e32 v3, v4, v3, vcc
	v_cndmask_b32_e64 v4, 0, 1, s[0:1]
	v_cmp_neq_f32_e64 s[0:1], s18, v10
	v_cndmask_b32_e64 v5, 0, 1, s[0:1]
	v_cndmask_b32_e32 v4, v5, v4, vcc
	v_and_b32_e32 v4, 1, v4
	v_cmp_eq_u32_e64 s[0:1], 1, v4
	v_cndmask_b32_e64 v4, 0, v17, s[0:1]
	v_cmp_eq_f32_e64 s[0:1], s18, v11
	v_and_or_b32 v3, v3, 1, v4
	v_cndmask_b32_e64 v4, 0, 1, s[0:1]
	v_cmp_neq_f32_e64 s[0:1], s18, v11
	v_cndmask_b32_e64 v5, 0, 1, s[0:1]
	v_cndmask_b32_e32 v4, v5, v4, vcc
	v_and_b32_e32 v4, 1, v4
	v_cmp_eq_u32_e64 s[0:1], 1, v4
	v_cndmask_b32_e64 v4, 0, v18, s[0:1]
	v_cmp_eq_f32_e64 s[0:1], s18, v12
	v_cndmask_b32_e64 v5, 0, 1, s[0:1]
	v_cmp_neq_f32_e64 s[0:1], s18, v12
	v_cndmask_b32_e64 v6, 0, 1, s[0:1]
	v_cndmask_b32_e32 v5, v6, v5, vcc
	v_and_b32_e32 v5, 1, v5
	v_cmp_eq_u32_e64 s[0:1], 1, v5
	v_cndmask_b32_e64 v5, 0, v19, s[0:1]
	s_waitcnt vmcnt(0)
	v_cmp_eq_f32_e64 s[0:1], s18, v13
	v_or3_b32 v3, v3, v4, v5
	v_cndmask_b32_e64 v4, 0, 1, s[0:1]
	v_cmp_neq_f32_e64 s[0:1], s18, v13
	v_cndmask_b32_e64 v5, 0, 1, s[0:1]
	v_cmp_eq_f32_e64 s[0:1], s18, v14
	v_cndmask_b32_e32 v4, v5, v4, vcc
	v_cndmask_b32_e64 v5, 0, 1, s[0:1]
	v_cmp_neq_f32_e64 s[0:1], s18, v14
	v_cndmask_b32_e64 v6, 0, 1, s[0:1]
	v_cndmask_b32_e32 v5, v6, v5, vcc
	v_and_b32_e32 v5, 1, v5
	v_cmp_eq_u32_e64 s[0:1], 1, v5
	v_cndmask_b32_e64 v5, 0, v17, s[0:1]
	v_cmp_eq_f32_e64 s[0:1], s18, v15
	v_and_or_b32 v4, v4, 1, v5
	v_cndmask_b32_e64 v5, 0, 1, s[0:1]
	v_cmp_neq_f32_e64 s[0:1], s18, v15
	v_cndmask_b32_e64 v6, 0, 1, s[0:1]
	v_cndmask_b32_e32 v5, v6, v5, vcc
	v_and_b32_e32 v5, 1, v5
	v_cmp_eq_u32_e64 s[0:1], 1, v5
	v_cndmask_b32_e64 v5, 0, v18, s[0:1]
	v_cmp_eq_f32_e64 s[0:1], s18, v16
	v_cndmask_b32_e64 v6, 0, 1, s[0:1]
	v_cmp_neq_f32_e64 s[0:1], s18, v16
	v_cndmask_b32_e64 v7, 0, 1, s[0:1]
	v_cndmask_b32_e32 v6, v7, v6, vcc
	v_and_b32_e32 v6, 1, v6
	v_cmp_eq_u32_e32 vcc, 1, v6
	v_cndmask_b32_e32 v6, 0, v19, vcc
	s_add_u32 s0, s20, s24
	v_or3_b32 v4, v4, v5, v6
	s_addc_u32 s1, s21, s25
	v_lshlrev_b32_e32 v5, 2, v0
	global_store_dword v5, v1, s[0:1]
	global_store_dword v5, v2, s[0:1] offset:1024
	global_store_dword v5, v3, s[0:1] offset:2048
	;; [unrolled: 1-line block ×3, first 2 shown]
	s_mov_b64 s[0:1], 0
.LBB106_2:
	s_andn2_b64 vcc, exec, s[0:1]
	s_cbranch_vccnz .LBB106_52
; %bb.3:
	v_cmp_gt_i32_e32 vcc, s16, v0
	v_mov_b32_e32 v3, 0
	v_or_b32_e32 v1, s24, v0
	v_mov_b32_e32 v4, 0
	v_mov_b32_e32 v8, v0
	s_and_saveexec_b64 s[2:3], vcc
	s_cbranch_execz .LBB106_5
; %bb.4:
	v_mov_b32_e32 v2, 0
	v_lshlrev_b64 v[4:5], 2, v[1:2]
	v_mov_b32_e32 v2, s23
	v_add_co_u32_e64 v4, s[0:1], s22, v4
	v_addc_co_u32_e64 v5, s[0:1], v2, v5, s[0:1]
	global_load_dword v4, v[4:5], off
	v_or_b32_e32 v8, 0x100, v0
.LBB106_5:
	s_or_b64 exec, exec, s[2:3]
	v_cmp_gt_i32_e64 s[0:1], s16, v8
	s_and_saveexec_b64 s[2:3], s[0:1]
	s_cbranch_execz .LBB106_7
; %bb.6:
	v_add_u32_e32 v2, s24, v8
	v_mov_b32_e32 v3, 0
	v_lshlrev_b64 v[2:3], 2, v[2:3]
	v_mov_b32_e32 v5, s23
	v_add_co_u32_e64 v2, s[0:1], s22, v2
	v_addc_co_u32_e64 v3, s[0:1], v5, v3, s[0:1]
	global_load_dword v3, v[2:3], off
	v_add_u32_e32 v8, 0x100, v8
.LBB106_7:
	s_or_b64 exec, exec, s[2:3]
	v_cmp_gt_i32_e64 s[0:1], s16, v8
	v_mov_b32_e32 v2, 0
	v_mov_b32_e32 v6, 0
	s_and_saveexec_b64 s[2:3], s[0:1]
	s_cbranch_execz .LBB106_9
; %bb.8:
	v_add_u32_e32 v5, s24, v8
	v_mov_b32_e32 v6, 0
	v_lshlrev_b64 v[5:6], 2, v[5:6]
	v_mov_b32_e32 v7, s23
	v_add_co_u32_e64 v5, s[0:1], s22, v5
	v_addc_co_u32_e64 v6, s[0:1], v7, v6, s[0:1]
	global_load_dword v6, v[5:6], off
	v_add_u32_e32 v8, 0x100, v8
.LBB106_9:
	s_or_b64 exec, exec, s[2:3]
	v_cmp_gt_i32_e64 s[0:1], s16, v8
	s_and_saveexec_b64 s[2:3], s[0:1]
	s_cbranch_execz .LBB106_11
; %bb.10:
	v_add_u32_e32 v9, s24, v8
	v_mov_b32_e32 v10, 0
	v_lshlrev_b64 v[9:10], 2, v[9:10]
	v_mov_b32_e32 v2, s23
	v_add_co_u32_e64 v9, s[0:1], s22, v9
	v_addc_co_u32_e64 v10, s[0:1], v2, v10, s[0:1]
	global_load_dword v2, v[9:10], off
	v_add_u32_e32 v8, 0x100, v8
.LBB106_11:
	s_or_b64 exec, exec, s[2:3]
	v_cmp_gt_i32_e64 s[0:1], s16, v8
	v_mov_b32_e32 v5, 0
	v_mov_b32_e32 v9, 0
	s_and_saveexec_b64 s[2:3], s[0:1]
	s_cbranch_execz .LBB106_13
; %bb.12:
	v_add_u32_e32 v9, s24, v8
	v_mov_b32_e32 v10, 0
	v_lshlrev_b64 v[9:10], 2, v[9:10]
	v_mov_b32_e32 v7, s23
	v_add_co_u32_e64 v9, s[0:1], s22, v9
	v_addc_co_u32_e64 v10, s[0:1], v7, v10, s[0:1]
	global_load_dword v9, v[9:10], off
	v_add_u32_e32 v8, 0x100, v8
.LBB106_13:
	;; [unrolled: 30-line block ×7, first 2 shown]
	s_or_b64 exec, exec, s[2:3]
	v_cmp_gt_i32_e64 s[0:1], s16, v8
	s_and_saveexec_b64 s[2:3], s[0:1]
	s_cbranch_execz .LBB106_35
; %bb.34:
	v_add_u32_e32 v19, s24, v8
	v_mov_b32_e32 v20, 0
	v_lshlrev_b64 v[19:20], 2, v[19:20]
	v_mov_b32_e32 v8, s23
	v_add_co_u32_e64 v19, s[0:1], s22, v19
	v_addc_co_u32_e64 v20, s[0:1], v8, v20, s[0:1]
	global_load_dword v16, v[19:20], off
.LBB106_35:
	s_or_b64 exec, exec, s[2:3]
	s_cmp_eq_u32 s17, 0
	s_cselect_b64 s[0:1], -1, 0
	s_and_saveexec_b64 s[2:3], vcc
	s_cbranch_execnz .LBB106_53
; %bb.36:
	s_or_b64 exec, exec, s[2:3]
	v_cmp_gt_i32_e32 vcc, s16, v0
	s_and_saveexec_b64 s[2:3], vcc
	s_cbranch_execnz .LBB106_54
.LBB106_37:
	s_or_b64 exec, exec, s[2:3]
	v_cmp_gt_i32_e32 vcc, s16, v0
	s_and_saveexec_b64 s[2:3], vcc
	s_cbranch_execnz .LBB106_55
.LBB106_38:
	s_or_b64 exec, exec, s[2:3]
	v_cmp_gt_i32_e32 vcc, s16, v0
	s_and_saveexec_b64 s[2:3], vcc
	s_cbranch_execnz .LBB106_56
.LBB106_39:
	s_or_b64 exec, exec, s[2:3]
	v_cmp_gt_i32_e32 vcc, s16, v0
	s_and_saveexec_b64 s[2:3], vcc
	s_cbranch_execnz .LBB106_57
.LBB106_40:
	s_or_b64 exec, exec, s[2:3]
	v_cmp_gt_i32_e32 vcc, s16, v0
	s_and_saveexec_b64 s[2:3], vcc
	s_cbranch_execnz .LBB106_58
.LBB106_41:
	s_or_b64 exec, exec, s[2:3]
	v_cmp_gt_i32_e32 vcc, s16, v0
	s_and_saveexec_b64 s[2:3], vcc
	s_cbranch_execnz .LBB106_59
.LBB106_42:
	s_or_b64 exec, exec, s[2:3]
	v_cmp_gt_i32_e32 vcc, s16, v0
	s_and_saveexec_b64 s[2:3], vcc
	s_cbranch_execnz .LBB106_60
.LBB106_43:
	s_or_b64 exec, exec, s[2:3]
	v_cmp_gt_i32_e32 vcc, s16, v0
	s_and_saveexec_b64 s[2:3], vcc
	s_cbranch_execnz .LBB106_61
.LBB106_44:
	s_or_b64 exec, exec, s[2:3]
	v_cmp_gt_i32_e32 vcc, s16, v0
	s_and_saveexec_b64 s[2:3], vcc
	s_cbranch_execnz .LBB106_62
.LBB106_45:
	s_or_b64 exec, exec, s[2:3]
	v_cmp_gt_i32_e32 vcc, s16, v0
	s_and_saveexec_b64 s[2:3], vcc
	s_cbranch_execnz .LBB106_63
.LBB106_46:
	s_or_b64 exec, exec, s[2:3]
	v_cmp_gt_i32_e32 vcc, s16, v0
	s_and_saveexec_b64 s[2:3], vcc
	s_cbranch_execnz .LBB106_64
.LBB106_47:
	s_or_b64 exec, exec, s[2:3]
	v_cmp_gt_i32_e32 vcc, s16, v0
	s_and_saveexec_b64 s[2:3], vcc
	s_cbranch_execnz .LBB106_65
.LBB106_48:
	s_or_b64 exec, exec, s[2:3]
	v_cmp_gt_i32_e32 vcc, s16, v0
	s_and_saveexec_b64 s[2:3], vcc
	s_cbranch_execnz .LBB106_66
.LBB106_49:
	s_or_b64 exec, exec, s[2:3]
	v_cmp_gt_i32_e32 vcc, s16, v0
	s_and_saveexec_b64 s[2:3], vcc
	s_cbranch_execnz .LBB106_67
.LBB106_50:
	s_or_b64 exec, exec, s[2:3]
	v_cmp_gt_i32_e32 vcc, s16, v0
	s_and_saveexec_b64 s[2:3], vcc
	s_cbranch_execz .LBB106_52
.LBB106_51:
	s_waitcnt vmcnt(0)
	v_cmp_eq_f32_e32 vcc, s18, v16
	v_cndmask_b32_e64 v1, 0, 1, vcc
	v_cmp_neq_f32_e32 vcc, s18, v16
	v_cndmask_b32_e64 v2, 0, 1, vcc
	v_cndmask_b32_e64 v1, v2, v1, s[0:1]
	v_and_b32_e32 v1, 1, v1
	v_add_u32_e32 v0, s24, v0
	global_store_byte v0, v1, s[20:21]
.LBB106_52:
	s_endpgm
.LBB106_53:
	s_waitcnt vmcnt(0)
	v_cmp_eq_f32_e32 vcc, s18, v4
	v_cndmask_b32_e64 v8, 0, 1, vcc
	v_cmp_neq_f32_e32 vcc, s18, v4
	v_cndmask_b32_e64 v4, 0, 1, vcc
	v_cndmask_b32_e64 v4, v4, v8, s[0:1]
	v_or_b32_e32 v0, 0x100, v0
	v_and_b32_e32 v4, 1, v4
	global_store_byte v1, v4, s[20:21]
	s_or_b64 exec, exec, s[2:3]
	v_cmp_gt_i32_e32 vcc, s16, v0
	s_and_saveexec_b64 s[2:3], vcc
	s_cbranch_execz .LBB106_37
.LBB106_54:
	s_waitcnt vmcnt(0)
	v_cmp_eq_f32_e32 vcc, s18, v3
	v_cndmask_b32_e64 v1, 0, 1, vcc
	v_cmp_neq_f32_e32 vcc, s18, v3
	v_cndmask_b32_e64 v3, 0, 1, vcc
	v_cndmask_b32_e64 v1, v3, v1, s[0:1]
	v_and_b32_e32 v1, 1, v1
	v_add_u32_e32 v3, s24, v0
	v_add_u32_e32 v0, 0x100, v0
	global_store_byte v3, v1, s[20:21]
	s_or_b64 exec, exec, s[2:3]
	v_cmp_gt_i32_e32 vcc, s16, v0
	s_and_saveexec_b64 s[2:3], vcc
	s_cbranch_execz .LBB106_38
.LBB106_55:
	s_waitcnt vmcnt(0)
	v_cmp_eq_f32_e32 vcc, s18, v6
	v_cndmask_b32_e64 v1, 0, 1, vcc
	v_cmp_neq_f32_e32 vcc, s18, v6
	v_cndmask_b32_e64 v3, 0, 1, vcc
	v_cndmask_b32_e64 v1, v3, v1, s[0:1]
	v_and_b32_e32 v1, 1, v1
	v_add_u32_e32 v3, s24, v0
	v_add_u32_e32 v0, 0x100, v0
	global_store_byte v3, v1, s[20:21]
	s_or_b64 exec, exec, s[2:3]
	v_cmp_gt_i32_e32 vcc, s16, v0
	s_and_saveexec_b64 s[2:3], vcc
	s_cbranch_execz .LBB106_39
.LBB106_56:
	s_waitcnt vmcnt(0)
	v_cmp_eq_f32_e32 vcc, s18, v2
	v_cndmask_b32_e64 v1, 0, 1, vcc
	v_cmp_neq_f32_e32 vcc, s18, v2
	v_cndmask_b32_e64 v2, 0, 1, vcc
	v_cndmask_b32_e64 v1, v2, v1, s[0:1]
	v_and_b32_e32 v1, 1, v1
	v_add_u32_e32 v2, s24, v0
	v_add_u32_e32 v0, 0x100, v0
	global_store_byte v2, v1, s[20:21]
	s_or_b64 exec, exec, s[2:3]
	v_cmp_gt_i32_e32 vcc, s16, v0
	s_and_saveexec_b64 s[2:3], vcc
	s_cbranch_execz .LBB106_40
.LBB106_57:
	s_waitcnt vmcnt(0)
	v_cmp_eq_f32_e32 vcc, s18, v9
	v_cndmask_b32_e64 v1, 0, 1, vcc
	v_cmp_neq_f32_e32 vcc, s18, v9
	v_cndmask_b32_e64 v2, 0, 1, vcc
	v_cndmask_b32_e64 v1, v2, v1, s[0:1]
	v_and_b32_e32 v1, 1, v1
	v_add_u32_e32 v2, s24, v0
	v_add_u32_e32 v0, 0x100, v0
	global_store_byte v2, v1, s[20:21]
	s_or_b64 exec, exec, s[2:3]
	v_cmp_gt_i32_e32 vcc, s16, v0
	s_and_saveexec_b64 s[2:3], vcc
	s_cbranch_execz .LBB106_41
.LBB106_58:
	s_waitcnt vmcnt(0)
	v_cmp_eq_f32_e32 vcc, s18, v5
	v_cndmask_b32_e64 v1, 0, 1, vcc
	v_cmp_neq_f32_e32 vcc, s18, v5
	v_cndmask_b32_e64 v2, 0, 1, vcc
	v_cndmask_b32_e64 v1, v2, v1, s[0:1]
	v_and_b32_e32 v1, 1, v1
	v_add_u32_e32 v2, s24, v0
	v_add_u32_e32 v0, 0x100, v0
	global_store_byte v2, v1, s[20:21]
	s_or_b64 exec, exec, s[2:3]
	v_cmp_gt_i32_e32 vcc, s16, v0
	s_and_saveexec_b64 s[2:3], vcc
	s_cbranch_execz .LBB106_42
.LBB106_59:
	s_waitcnt vmcnt(0)
	v_cmp_eq_f32_e32 vcc, s18, v11
	v_cndmask_b32_e64 v1, 0, 1, vcc
	v_cmp_neq_f32_e32 vcc, s18, v11
	v_cndmask_b32_e64 v2, 0, 1, vcc
	v_cndmask_b32_e64 v1, v2, v1, s[0:1]
	v_and_b32_e32 v1, 1, v1
	v_add_u32_e32 v2, s24, v0
	v_add_u32_e32 v0, 0x100, v0
	global_store_byte v2, v1, s[20:21]
	s_or_b64 exec, exec, s[2:3]
	v_cmp_gt_i32_e32 vcc, s16, v0
	s_and_saveexec_b64 s[2:3], vcc
	s_cbranch_execz .LBB106_43
.LBB106_60:
	s_waitcnt vmcnt(0)
	v_cmp_eq_f32_e32 vcc, s18, v7
	v_cndmask_b32_e64 v1, 0, 1, vcc
	v_cmp_neq_f32_e32 vcc, s18, v7
	v_cndmask_b32_e64 v2, 0, 1, vcc
	v_cndmask_b32_e64 v1, v2, v1, s[0:1]
	v_and_b32_e32 v1, 1, v1
	v_add_u32_e32 v2, s24, v0
	v_add_u32_e32 v0, 0x100, v0
	global_store_byte v2, v1, s[20:21]
	s_or_b64 exec, exec, s[2:3]
	v_cmp_gt_i32_e32 vcc, s16, v0
	s_and_saveexec_b64 s[2:3], vcc
	s_cbranch_execz .LBB106_44
.LBB106_61:
	s_waitcnt vmcnt(0)
	v_cmp_eq_f32_e32 vcc, s18, v13
	v_cndmask_b32_e64 v1, 0, 1, vcc
	v_cmp_neq_f32_e32 vcc, s18, v13
	v_cndmask_b32_e64 v2, 0, 1, vcc
	v_cndmask_b32_e64 v1, v2, v1, s[0:1]
	v_and_b32_e32 v1, 1, v1
	v_add_u32_e32 v2, s24, v0
	v_add_u32_e32 v0, 0x100, v0
	global_store_byte v2, v1, s[20:21]
	s_or_b64 exec, exec, s[2:3]
	v_cmp_gt_i32_e32 vcc, s16, v0
	s_and_saveexec_b64 s[2:3], vcc
	s_cbranch_execz .LBB106_45
.LBB106_62:
	s_waitcnt vmcnt(0)
	v_cmp_eq_f32_e32 vcc, s18, v10
	v_cndmask_b32_e64 v1, 0, 1, vcc
	v_cmp_neq_f32_e32 vcc, s18, v10
	v_cndmask_b32_e64 v2, 0, 1, vcc
	v_cndmask_b32_e64 v1, v2, v1, s[0:1]
	v_and_b32_e32 v1, 1, v1
	v_add_u32_e32 v2, s24, v0
	v_add_u32_e32 v0, 0x100, v0
	global_store_byte v2, v1, s[20:21]
	s_or_b64 exec, exec, s[2:3]
	v_cmp_gt_i32_e32 vcc, s16, v0
	s_and_saveexec_b64 s[2:3], vcc
	s_cbranch_execz .LBB106_46
.LBB106_63:
	s_waitcnt vmcnt(0)
	v_cmp_eq_f32_e32 vcc, s18, v15
	v_cndmask_b32_e64 v1, 0, 1, vcc
	v_cmp_neq_f32_e32 vcc, s18, v15
	v_cndmask_b32_e64 v2, 0, 1, vcc
	v_cndmask_b32_e64 v1, v2, v1, s[0:1]
	v_and_b32_e32 v1, 1, v1
	v_add_u32_e32 v2, s24, v0
	v_add_u32_e32 v0, 0x100, v0
	global_store_byte v2, v1, s[20:21]
	s_or_b64 exec, exec, s[2:3]
	v_cmp_gt_i32_e32 vcc, s16, v0
	s_and_saveexec_b64 s[2:3], vcc
	s_cbranch_execz .LBB106_47
.LBB106_64:
	s_waitcnt vmcnt(0)
	v_cmp_eq_f32_e32 vcc, s18, v12
	v_cndmask_b32_e64 v1, 0, 1, vcc
	v_cmp_neq_f32_e32 vcc, s18, v12
	v_cndmask_b32_e64 v2, 0, 1, vcc
	v_cndmask_b32_e64 v1, v2, v1, s[0:1]
	v_and_b32_e32 v1, 1, v1
	v_add_u32_e32 v2, s24, v0
	v_add_u32_e32 v0, 0x100, v0
	global_store_byte v2, v1, s[20:21]
	s_or_b64 exec, exec, s[2:3]
	v_cmp_gt_i32_e32 vcc, s16, v0
	s_and_saveexec_b64 s[2:3], vcc
	s_cbranch_execz .LBB106_48
.LBB106_65:
	s_waitcnt vmcnt(0)
	v_cmp_eq_f32_e32 vcc, s18, v17
	v_cndmask_b32_e64 v1, 0, 1, vcc
	v_cmp_neq_f32_e32 vcc, s18, v17
	v_cndmask_b32_e64 v2, 0, 1, vcc
	v_cndmask_b32_e64 v1, v2, v1, s[0:1]
	v_and_b32_e32 v1, 1, v1
	v_add_u32_e32 v2, s24, v0
	v_add_u32_e32 v0, 0x100, v0
	global_store_byte v2, v1, s[20:21]
	s_or_b64 exec, exec, s[2:3]
	v_cmp_gt_i32_e32 vcc, s16, v0
	s_and_saveexec_b64 s[2:3], vcc
	s_cbranch_execz .LBB106_49
.LBB106_66:
	s_waitcnt vmcnt(0)
	v_cmp_eq_f32_e32 vcc, s18, v14
	v_cndmask_b32_e64 v1, 0, 1, vcc
	v_cmp_neq_f32_e32 vcc, s18, v14
	v_cndmask_b32_e64 v2, 0, 1, vcc
	v_cndmask_b32_e64 v1, v2, v1, s[0:1]
	v_and_b32_e32 v1, 1, v1
	v_add_u32_e32 v2, s24, v0
	v_add_u32_e32 v0, 0x100, v0
	global_store_byte v2, v1, s[20:21]
	s_or_b64 exec, exec, s[2:3]
	v_cmp_gt_i32_e32 vcc, s16, v0
	s_and_saveexec_b64 s[2:3], vcc
	s_cbranch_execz .LBB106_50
.LBB106_67:
	s_waitcnt vmcnt(0)
	v_cmp_eq_f32_e32 vcc, s18, v18
	v_cndmask_b32_e64 v1, 0, 1, vcc
	v_cmp_neq_f32_e32 vcc, s18, v18
	v_cndmask_b32_e64 v2, 0, 1, vcc
	v_cndmask_b32_e64 v1, v2, v1, s[0:1]
	v_and_b32_e32 v1, 1, v1
	v_add_u32_e32 v2, s24, v0
	v_add_u32_e32 v0, 0x100, v0
	global_store_byte v2, v1, s[20:21]
	s_or_b64 exec, exec, s[2:3]
	v_cmp_gt_i32_e32 vcc, s16, v0
	s_and_saveexec_b64 s[2:3], vcc
	s_cbranch_execnz .LBB106_51
	s_branch .LBB106_52
	.section	.rodata,"a",@progbits
	.p2align	6, 0x0
	.amdhsa_kernel _ZN2at6native29vectorized_elementwise_kernelILi4ENS0_13AUnaryFunctorIffbNS0_12_GLOBAL__N_116CompareEqFunctorIfEEEESt5arrayIPcLm2EEEEviT0_T1_
		.amdhsa_group_segment_fixed_size 0
		.amdhsa_private_segment_fixed_size 0
		.amdhsa_kernarg_size 32
		.amdhsa_user_sgpr_count 6
		.amdhsa_user_sgpr_private_segment_buffer 1
		.amdhsa_user_sgpr_dispatch_ptr 0
		.amdhsa_user_sgpr_queue_ptr 0
		.amdhsa_user_sgpr_kernarg_segment_ptr 1
		.amdhsa_user_sgpr_dispatch_id 0
		.amdhsa_user_sgpr_flat_scratch_init 0
		.amdhsa_user_sgpr_private_segment_size 0
		.amdhsa_uses_dynamic_stack 0
		.amdhsa_system_sgpr_private_segment_wavefront_offset 0
		.amdhsa_system_sgpr_workgroup_id_x 1
		.amdhsa_system_sgpr_workgroup_id_y 0
		.amdhsa_system_sgpr_workgroup_id_z 0
		.amdhsa_system_sgpr_workgroup_info 0
		.amdhsa_system_vgpr_workitem_id 0
		.amdhsa_next_free_vgpr 21
		.amdhsa_next_free_sgpr 26
		.amdhsa_reserve_vcc 1
		.amdhsa_reserve_flat_scratch 0
		.amdhsa_float_round_mode_32 0
		.amdhsa_float_round_mode_16_64 0
		.amdhsa_float_denorm_mode_32 3
		.amdhsa_float_denorm_mode_16_64 3
		.amdhsa_dx10_clamp 1
		.amdhsa_ieee_mode 1
		.amdhsa_fp16_overflow 0
		.amdhsa_exception_fp_ieee_invalid_op 0
		.amdhsa_exception_fp_denorm_src 0
		.amdhsa_exception_fp_ieee_div_zero 0
		.amdhsa_exception_fp_ieee_overflow 0
		.amdhsa_exception_fp_ieee_underflow 0
		.amdhsa_exception_fp_ieee_inexact 0
		.amdhsa_exception_int_div_zero 0
	.end_amdhsa_kernel
	.section	.text._ZN2at6native29vectorized_elementwise_kernelILi4ENS0_13AUnaryFunctorIffbNS0_12_GLOBAL__N_116CompareEqFunctorIfEEEESt5arrayIPcLm2EEEEviT0_T1_,"axG",@progbits,_ZN2at6native29vectorized_elementwise_kernelILi4ENS0_13AUnaryFunctorIffbNS0_12_GLOBAL__N_116CompareEqFunctorIfEEEESt5arrayIPcLm2EEEEviT0_T1_,comdat
.Lfunc_end106:
	.size	_ZN2at6native29vectorized_elementwise_kernelILi4ENS0_13AUnaryFunctorIffbNS0_12_GLOBAL__N_116CompareEqFunctorIfEEEESt5arrayIPcLm2EEEEviT0_T1_, .Lfunc_end106-_ZN2at6native29vectorized_elementwise_kernelILi4ENS0_13AUnaryFunctorIffbNS0_12_GLOBAL__N_116CompareEqFunctorIfEEEESt5arrayIPcLm2EEEEviT0_T1_
                                        ; -- End function
	.set _ZN2at6native29vectorized_elementwise_kernelILi4ENS0_13AUnaryFunctorIffbNS0_12_GLOBAL__N_116CompareEqFunctorIfEEEESt5arrayIPcLm2EEEEviT0_T1_.num_vgpr, 21
	.set _ZN2at6native29vectorized_elementwise_kernelILi4ENS0_13AUnaryFunctorIffbNS0_12_GLOBAL__N_116CompareEqFunctorIfEEEESt5arrayIPcLm2EEEEviT0_T1_.num_agpr, 0
	.set _ZN2at6native29vectorized_elementwise_kernelILi4ENS0_13AUnaryFunctorIffbNS0_12_GLOBAL__N_116CompareEqFunctorIfEEEESt5arrayIPcLm2EEEEviT0_T1_.numbered_sgpr, 26
	.set _ZN2at6native29vectorized_elementwise_kernelILi4ENS0_13AUnaryFunctorIffbNS0_12_GLOBAL__N_116CompareEqFunctorIfEEEESt5arrayIPcLm2EEEEviT0_T1_.num_named_barrier, 0
	.set _ZN2at6native29vectorized_elementwise_kernelILi4ENS0_13AUnaryFunctorIffbNS0_12_GLOBAL__N_116CompareEqFunctorIfEEEESt5arrayIPcLm2EEEEviT0_T1_.private_seg_size, 0
	.set _ZN2at6native29vectorized_elementwise_kernelILi4ENS0_13AUnaryFunctorIffbNS0_12_GLOBAL__N_116CompareEqFunctorIfEEEESt5arrayIPcLm2EEEEviT0_T1_.uses_vcc, 1
	.set _ZN2at6native29vectorized_elementwise_kernelILi4ENS0_13AUnaryFunctorIffbNS0_12_GLOBAL__N_116CompareEqFunctorIfEEEESt5arrayIPcLm2EEEEviT0_T1_.uses_flat_scratch, 0
	.set _ZN2at6native29vectorized_elementwise_kernelILi4ENS0_13AUnaryFunctorIffbNS0_12_GLOBAL__N_116CompareEqFunctorIfEEEESt5arrayIPcLm2EEEEviT0_T1_.has_dyn_sized_stack, 0
	.set _ZN2at6native29vectorized_elementwise_kernelILi4ENS0_13AUnaryFunctorIffbNS0_12_GLOBAL__N_116CompareEqFunctorIfEEEESt5arrayIPcLm2EEEEviT0_T1_.has_recursion, 0
	.set _ZN2at6native29vectorized_elementwise_kernelILi4ENS0_13AUnaryFunctorIffbNS0_12_GLOBAL__N_116CompareEqFunctorIfEEEESt5arrayIPcLm2EEEEviT0_T1_.has_indirect_call, 0
	.section	.AMDGPU.csdata,"",@progbits
; Kernel info:
; codeLenInByte = 3760
; TotalNumSgprs: 30
; NumVgprs: 21
; ScratchSize: 0
; MemoryBound: 0
; FloatMode: 240
; IeeeMode: 1
; LDSByteSize: 0 bytes/workgroup (compile time only)
; SGPRBlocks: 3
; VGPRBlocks: 5
; NumSGPRsForWavesPerEU: 30
; NumVGPRsForWavesPerEU: 21
; Occupancy: 10
; WaveLimiterHint : 1
; COMPUTE_PGM_RSRC2:SCRATCH_EN: 0
; COMPUTE_PGM_RSRC2:USER_SGPR: 6
; COMPUTE_PGM_RSRC2:TRAP_HANDLER: 0
; COMPUTE_PGM_RSRC2:TGID_X_EN: 1
; COMPUTE_PGM_RSRC2:TGID_Y_EN: 0
; COMPUTE_PGM_RSRC2:TGID_Z_EN: 0
; COMPUTE_PGM_RSRC2:TIDIG_COMP_CNT: 0
	.section	.text._ZN2at6native29vectorized_elementwise_kernelILi2ENS0_13AUnaryFunctorIffbNS0_12_GLOBAL__N_116CompareEqFunctorIfEEEESt5arrayIPcLm2EEEEviT0_T1_,"axG",@progbits,_ZN2at6native29vectorized_elementwise_kernelILi2ENS0_13AUnaryFunctorIffbNS0_12_GLOBAL__N_116CompareEqFunctorIfEEEESt5arrayIPcLm2EEEEviT0_T1_,comdat
	.globl	_ZN2at6native29vectorized_elementwise_kernelILi2ENS0_13AUnaryFunctorIffbNS0_12_GLOBAL__N_116CompareEqFunctorIfEEEESt5arrayIPcLm2EEEEviT0_T1_ ; -- Begin function _ZN2at6native29vectorized_elementwise_kernelILi2ENS0_13AUnaryFunctorIffbNS0_12_GLOBAL__N_116CompareEqFunctorIfEEEESt5arrayIPcLm2EEEEviT0_T1_
	.p2align	8
	.type	_ZN2at6native29vectorized_elementwise_kernelILi2ENS0_13AUnaryFunctorIffbNS0_12_GLOBAL__N_116CompareEqFunctorIfEEEESt5arrayIPcLm2EEEEviT0_T1_,@function
_ZN2at6native29vectorized_elementwise_kernelILi2ENS0_13AUnaryFunctorIffbNS0_12_GLOBAL__N_116CompareEqFunctorIfEEEESt5arrayIPcLm2EEEEviT0_T1_: ; @_ZN2at6native29vectorized_elementwise_kernelILi2ENS0_13AUnaryFunctorIffbNS0_12_GLOBAL__N_116CompareEqFunctorIfEEEESt5arrayIPcLm2EEEEviT0_T1_
; %bb.0:
	s_load_dwordx8 s[8:15], s[4:5], 0x0
	s_lshl_b32 s16, s6, 12
	s_mov_b64 s[0:1], -1
	s_waitcnt lgkmcnt(0)
	s_sub_i32 s8, s8, s16
	s_cmpk_gt_i32 s8, 0xfff
	s_cbranch_scc0 .LBB107_2
; %bb.1:
	s_ashr_i32 s17, s16, 31
	s_lshl_b64 s[0:1], s[16:17], 2
	s_add_u32 s0, s14, s0
	s_addc_u32 s1, s15, s1
	v_lshlrev_b32_e32 v5, 3, v0
	global_load_dwordx2 v[1:2], v5, s[0:1]
	global_load_dwordx2 v[3:4], v5, s[0:1] offset:2048
	v_mov_b32_e32 v6, s1
	v_add_co_u32_e32 v13, vcc, s0, v5
	v_addc_co_u32_e32 v14, vcc, 0, v6, vcc
	v_add_co_u32_e32 v5, vcc, 0x1000, v13
	v_addc_co_u32_e32 v6, vcc, 0, v14, vcc
	global_load_dwordx2 v[7:8], v[5:6], off
	global_load_dwordx2 v[9:10], v[5:6], off offset:2048
	v_add_co_u32_e32 v5, vcc, 0x2000, v13
	v_addc_co_u32_e32 v6, vcc, 0, v14, vcc
	global_load_dwordx2 v[11:12], v[5:6], off
	v_add_co_u32_e32 v13, vcc, 0x3000, v13
	global_load_dwordx2 v[5:6], v[5:6], off offset:2048
	v_addc_co_u32_e32 v14, vcc, 0, v14, vcc
	global_load_dwordx2 v[15:16], v[13:14], off
	global_load_dwordx2 v[17:18], v[13:14], off offset:2048
	s_cmp_eq_u32 s9, 0
	v_mov_b32_e32 v19, 0x100
	s_waitcnt vmcnt(7)
	v_cmp_eq_f32_e32 vcc, s10, v1
	v_cndmask_b32_e64 v13, 0, 1, vcc
	v_cmp_neq_f32_e32 vcc, s10, v1
	v_cndmask_b32_e64 v1, 0, 1, vcc
	v_cmp_neq_f32_e32 vcc, s10, v2
	v_cmp_eq_f32_e64 s[0:1], s10, v2
	v_cndmask_b32_e64 v14, 0, 1, vcc
	s_waitcnt vmcnt(6)
	v_cmp_neq_f32_e32 vcc, s10, v3
	v_cndmask_b32_e64 v2, 0, 1, s[0:1]
	v_cmp_eq_f32_e64 s[0:1], s10, v4
	v_cmp_neq_f32_e64 s[2:3], s10, v4
	v_cmp_eq_f32_e64 s[4:5], s10, v3
	v_cndmask_b32_e64 v4, 0, 1, vcc
	s_cselect_b64 vcc, -1, 0
	v_cndmask_b32_e64 v3, 0, 1, s[4:5]
	v_cndmask_b32_e32 v1, v1, v13, vcc
	v_cndmask_b32_e64 v13, 0, 1, s[0:1]
	v_cndmask_b32_e32 v2, v14, v2, vcc
	;; [unrolled: 2-line block ×3, first 2 shown]
	v_cndmask_b32_e32 v4, v14, v13, vcc
	v_and_b32_e32 v2, 1, v2
	v_and_b32_e32 v4, 1, v4
	v_cmp_eq_u32_e64 s[0:1], 1, v2
	v_cndmask_b32_e64 v2, 0, v19, s[0:1]
	v_cmp_eq_u32_e64 s[0:1], 1, v4
	v_cndmask_b32_e64 v4, 0, v19, s[0:1]
	s_waitcnt vmcnt(5)
	v_cmp_eq_f32_e64 s[0:1], s10, v7
	v_cndmask_b32_e64 v13, 0, 1, s[0:1]
	v_cmp_neq_f32_e64 s[0:1], s10, v7
	v_cndmask_b32_e64 v7, 0, 1, s[0:1]
	v_cmp_neq_f32_e64 s[0:1], s10, v8
	v_cmp_eq_f32_e64 s[2:3], s10, v8
	v_and_b32_e32 v1, 1, v1
	v_and_b32_e32 v3, 1, v3
	v_cndmask_b32_e64 v8, 0, 1, s[2:3]
	v_cndmask_b32_e64 v14, 0, 1, s[0:1]
	s_waitcnt vmcnt(4)
	v_cmp_eq_f32_e64 s[2:3], s10, v10
	v_cmp_neq_f32_e64 s[4:5], s10, v10
	v_or_b32_e32 v1, v2, v1
	v_cndmask_b32_e64 v2, 0, 1, s[2:3]
	v_or_b32_e32 v3, v4, v3
	v_cndmask_b32_e64 v4, 0, 1, s[4:5]
	v_cndmask_b32_e32 v7, v7, v13, vcc
	v_cndmask_b32_e32 v8, v14, v8, vcc
	v_cmp_neq_f32_e64 s[0:1], s10, v9
	v_cndmask_b32_e32 v2, v4, v2, vcc
	v_and_b32_e32 v4, 1, v7
	v_and_b32_e32 v7, 1, v8
	v_cmp_eq_f32_e64 s[6:7], s10, v9
	v_cndmask_b32_e64 v10, 0, 1, s[0:1]
	v_cmp_eq_u32_e64 s[0:1], 1, v7
	v_and_b32_e32 v2, 1, v2
	v_cndmask_b32_e64 v9, 0, 1, s[6:7]
	v_cndmask_b32_e64 v7, 0, v19, s[0:1]
	v_cmp_eq_u32_e64 s[0:1], 1, v2
	v_cndmask_b32_e32 v9, v10, v9, vcc
	v_cndmask_b32_e64 v2, 0, v19, s[0:1]
	s_waitcnt vmcnt(3)
	v_cmp_eq_f32_e64 s[0:1], s10, v11
	v_and_b32_e32 v8, 1, v9
	v_or_b32_e32 v4, v7, v4
	v_cndmask_b32_e64 v7, 0, 1, s[0:1]
	v_cmp_neq_f32_e64 s[0:1], s10, v11
	v_or_b32_e32 v2, v2, v8
	v_cndmask_b32_e64 v8, 0, 1, s[0:1]
	v_cmp_eq_f32_e64 s[0:1], s10, v12
	v_cndmask_b32_e32 v7, v8, v7, vcc
	v_cndmask_b32_e64 v8, 0, 1, s[0:1]
	v_cmp_neq_f32_e64 s[0:1], s10, v12
	v_cndmask_b32_e64 v9, 0, 1, s[0:1]
	v_cndmask_b32_e32 v8, v9, v8, vcc
	v_and_b32_e32 v8, 1, v8
	v_cmp_eq_u32_e64 s[0:1], 1, v8
	v_and_b32_e32 v7, 1, v7
	v_cndmask_b32_e64 v8, 0, v19, s[0:1]
	s_waitcnt vmcnt(2)
	v_cmp_eq_f32_e64 s[0:1], s10, v5
	v_or_b32_e32 v7, v8, v7
	v_cndmask_b32_e64 v8, 0, 1, s[0:1]
	v_cmp_neq_f32_e64 s[0:1], s10, v5
	v_cndmask_b32_e64 v5, 0, 1, s[0:1]
	v_cmp_eq_f32_e64 s[0:1], s10, v6
	v_cndmask_b32_e32 v5, v5, v8, vcc
	v_cndmask_b32_e64 v8, 0, 1, s[0:1]
	v_cmp_neq_f32_e64 s[0:1], s10, v6
	v_cndmask_b32_e64 v6, 0, 1, s[0:1]
	v_cndmask_b32_e32 v6, v6, v8, vcc
	v_and_b32_e32 v6, 1, v6
	v_cmp_eq_u32_e64 s[0:1], 1, v6
	v_and_b32_e32 v5, 1, v5
	v_cndmask_b32_e64 v6, 0, v19, s[0:1]
	s_waitcnt vmcnt(1)
	v_cmp_eq_f32_e64 s[0:1], s10, v15
	v_or_b32_e32 v5, v6, v5
	v_cndmask_b32_e64 v6, 0, 1, s[0:1]
	v_cmp_neq_f32_e64 s[0:1], s10, v15
	;; [unrolled: 16-line block ×3, first 2 shown]
	v_cndmask_b32_e64 v9, 0, 1, s[0:1]
	v_cmp_eq_f32_e64 s[0:1], s10, v18
	v_cndmask_b32_e32 v8, v9, v8, vcc
	v_cndmask_b32_e64 v9, 0, 1, s[0:1]
	v_cmp_neq_f32_e64 s[0:1], s10, v18
	v_cndmask_b32_e64 v10, 0, 1, s[0:1]
	v_cndmask_b32_e32 v9, v10, v9, vcc
	v_and_b32_e32 v9, 1, v9
	v_cmp_eq_u32_e32 vcc, 1, v9
	v_and_b32_e32 v8, 1, v8
	v_cndmask_b32_e32 v9, 0, v19, vcc
	s_add_u32 s0, s12, s16
	v_or_b32_e32 v8, v9, v8
	s_addc_u32 s1, s13, s17
	v_lshlrev_b32_e32 v9, 1, v0
	global_store_short v9, v1, s[0:1]
	global_store_short v9, v3, s[0:1] offset:512
	global_store_short v9, v4, s[0:1] offset:1024
	;; [unrolled: 1-line block ×7, first 2 shown]
	s_mov_b64 s[0:1], 0
.LBB107_2:
	s_andn2_b64 vcc, exec, s[0:1]
	s_cbranch_vccnz .LBB107_52
; %bb.3:
	v_cmp_gt_i32_e32 vcc, s8, v0
	v_mov_b32_e32 v3, 0
	v_or_b32_e32 v1, s16, v0
	v_mov_b32_e32 v4, 0
	v_mov_b32_e32 v8, v0
	s_and_saveexec_b64 s[2:3], vcc
	s_cbranch_execz .LBB107_5
; %bb.4:
	v_mov_b32_e32 v2, 0
	v_lshlrev_b64 v[4:5], 2, v[1:2]
	v_mov_b32_e32 v2, s15
	v_add_co_u32_e64 v4, s[0:1], s14, v4
	v_addc_co_u32_e64 v5, s[0:1], v2, v5, s[0:1]
	global_load_dword v4, v[4:5], off
	v_or_b32_e32 v8, 0x100, v0
.LBB107_5:
	s_or_b64 exec, exec, s[2:3]
	v_cmp_gt_i32_e64 s[0:1], s8, v8
	s_and_saveexec_b64 s[2:3], s[0:1]
	s_cbranch_execz .LBB107_7
; %bb.6:
	v_add_u32_e32 v2, s16, v8
	v_mov_b32_e32 v3, 0
	v_lshlrev_b64 v[2:3], 2, v[2:3]
	v_mov_b32_e32 v5, s15
	v_add_co_u32_e64 v2, s[0:1], s14, v2
	v_addc_co_u32_e64 v3, s[0:1], v5, v3, s[0:1]
	global_load_dword v3, v[2:3], off
	v_add_u32_e32 v8, 0x100, v8
.LBB107_7:
	s_or_b64 exec, exec, s[2:3]
	v_cmp_gt_i32_e64 s[0:1], s8, v8
	v_mov_b32_e32 v2, 0
	v_mov_b32_e32 v6, 0
	s_and_saveexec_b64 s[2:3], s[0:1]
	s_cbranch_execz .LBB107_9
; %bb.8:
	v_add_u32_e32 v5, s16, v8
	v_mov_b32_e32 v6, 0
	v_lshlrev_b64 v[5:6], 2, v[5:6]
	v_mov_b32_e32 v7, s15
	v_add_co_u32_e64 v5, s[0:1], s14, v5
	v_addc_co_u32_e64 v6, s[0:1], v7, v6, s[0:1]
	global_load_dword v6, v[5:6], off
	v_add_u32_e32 v8, 0x100, v8
.LBB107_9:
	s_or_b64 exec, exec, s[2:3]
	v_cmp_gt_i32_e64 s[0:1], s8, v8
	s_and_saveexec_b64 s[2:3], s[0:1]
	s_cbranch_execz .LBB107_11
; %bb.10:
	v_add_u32_e32 v9, s16, v8
	v_mov_b32_e32 v10, 0
	v_lshlrev_b64 v[9:10], 2, v[9:10]
	v_mov_b32_e32 v2, s15
	v_add_co_u32_e64 v9, s[0:1], s14, v9
	v_addc_co_u32_e64 v10, s[0:1], v2, v10, s[0:1]
	global_load_dword v2, v[9:10], off
	v_add_u32_e32 v8, 0x100, v8
.LBB107_11:
	s_or_b64 exec, exec, s[2:3]
	v_cmp_gt_i32_e64 s[0:1], s8, v8
	v_mov_b32_e32 v5, 0
	v_mov_b32_e32 v9, 0
	s_and_saveexec_b64 s[2:3], s[0:1]
	s_cbranch_execz .LBB107_13
; %bb.12:
	v_add_u32_e32 v9, s16, v8
	v_mov_b32_e32 v10, 0
	v_lshlrev_b64 v[9:10], 2, v[9:10]
	v_mov_b32_e32 v7, s15
	v_add_co_u32_e64 v9, s[0:1], s14, v9
	v_addc_co_u32_e64 v10, s[0:1], v7, v10, s[0:1]
	global_load_dword v9, v[9:10], off
	v_add_u32_e32 v8, 0x100, v8
.LBB107_13:
	;; [unrolled: 30-line block ×7, first 2 shown]
	s_or_b64 exec, exec, s[2:3]
	v_cmp_gt_i32_e64 s[0:1], s8, v8
	s_and_saveexec_b64 s[2:3], s[0:1]
	s_cbranch_execz .LBB107_35
; %bb.34:
	v_add_u32_e32 v19, s16, v8
	v_mov_b32_e32 v20, 0
	v_lshlrev_b64 v[19:20], 2, v[19:20]
	v_mov_b32_e32 v8, s15
	v_add_co_u32_e64 v19, s[0:1], s14, v19
	v_addc_co_u32_e64 v20, s[0:1], v8, v20, s[0:1]
	global_load_dword v16, v[19:20], off
.LBB107_35:
	s_or_b64 exec, exec, s[2:3]
	s_cmp_eq_u32 s9, 0
	s_cselect_b64 s[0:1], -1, 0
	s_and_saveexec_b64 s[2:3], vcc
	s_cbranch_execnz .LBB107_53
; %bb.36:
	s_or_b64 exec, exec, s[2:3]
	v_cmp_gt_i32_e32 vcc, s8, v0
	s_and_saveexec_b64 s[2:3], vcc
	s_cbranch_execnz .LBB107_54
.LBB107_37:
	s_or_b64 exec, exec, s[2:3]
	v_cmp_gt_i32_e32 vcc, s8, v0
	s_and_saveexec_b64 s[2:3], vcc
	s_cbranch_execnz .LBB107_55
.LBB107_38:
	s_or_b64 exec, exec, s[2:3]
	v_cmp_gt_i32_e32 vcc, s8, v0
	s_and_saveexec_b64 s[2:3], vcc
	s_cbranch_execnz .LBB107_56
.LBB107_39:
	s_or_b64 exec, exec, s[2:3]
	v_cmp_gt_i32_e32 vcc, s8, v0
	s_and_saveexec_b64 s[2:3], vcc
	s_cbranch_execnz .LBB107_57
.LBB107_40:
	s_or_b64 exec, exec, s[2:3]
	v_cmp_gt_i32_e32 vcc, s8, v0
	s_and_saveexec_b64 s[2:3], vcc
	s_cbranch_execnz .LBB107_58
.LBB107_41:
	s_or_b64 exec, exec, s[2:3]
	v_cmp_gt_i32_e32 vcc, s8, v0
	s_and_saveexec_b64 s[2:3], vcc
	s_cbranch_execnz .LBB107_59
.LBB107_42:
	s_or_b64 exec, exec, s[2:3]
	v_cmp_gt_i32_e32 vcc, s8, v0
	s_and_saveexec_b64 s[2:3], vcc
	s_cbranch_execnz .LBB107_60
.LBB107_43:
	s_or_b64 exec, exec, s[2:3]
	v_cmp_gt_i32_e32 vcc, s8, v0
	s_and_saveexec_b64 s[2:3], vcc
	s_cbranch_execnz .LBB107_61
.LBB107_44:
	s_or_b64 exec, exec, s[2:3]
	v_cmp_gt_i32_e32 vcc, s8, v0
	s_and_saveexec_b64 s[2:3], vcc
	s_cbranch_execnz .LBB107_62
.LBB107_45:
	s_or_b64 exec, exec, s[2:3]
	v_cmp_gt_i32_e32 vcc, s8, v0
	s_and_saveexec_b64 s[2:3], vcc
	s_cbranch_execnz .LBB107_63
.LBB107_46:
	s_or_b64 exec, exec, s[2:3]
	v_cmp_gt_i32_e32 vcc, s8, v0
	s_and_saveexec_b64 s[2:3], vcc
	s_cbranch_execnz .LBB107_64
.LBB107_47:
	s_or_b64 exec, exec, s[2:3]
	v_cmp_gt_i32_e32 vcc, s8, v0
	s_and_saveexec_b64 s[2:3], vcc
	s_cbranch_execnz .LBB107_65
.LBB107_48:
	s_or_b64 exec, exec, s[2:3]
	v_cmp_gt_i32_e32 vcc, s8, v0
	s_and_saveexec_b64 s[2:3], vcc
	s_cbranch_execnz .LBB107_66
.LBB107_49:
	s_or_b64 exec, exec, s[2:3]
	v_cmp_gt_i32_e32 vcc, s8, v0
	s_and_saveexec_b64 s[2:3], vcc
	s_cbranch_execnz .LBB107_67
.LBB107_50:
	s_or_b64 exec, exec, s[2:3]
	v_cmp_gt_i32_e32 vcc, s8, v0
	s_and_saveexec_b64 s[2:3], vcc
	s_cbranch_execz .LBB107_52
.LBB107_51:
	s_waitcnt vmcnt(0)
	v_cmp_eq_f32_e32 vcc, s10, v16
	v_cndmask_b32_e64 v1, 0, 1, vcc
	v_cmp_neq_f32_e32 vcc, s10, v16
	v_cndmask_b32_e64 v2, 0, 1, vcc
	v_cndmask_b32_e64 v1, v2, v1, s[0:1]
	v_and_b32_e32 v1, 1, v1
	v_add_u32_e32 v0, s16, v0
	global_store_byte v0, v1, s[12:13]
.LBB107_52:
	s_endpgm
.LBB107_53:
	s_waitcnt vmcnt(0)
	v_cmp_eq_f32_e32 vcc, s10, v4
	v_cndmask_b32_e64 v8, 0, 1, vcc
	v_cmp_neq_f32_e32 vcc, s10, v4
	v_cndmask_b32_e64 v4, 0, 1, vcc
	v_cndmask_b32_e64 v4, v4, v8, s[0:1]
	v_or_b32_e32 v0, 0x100, v0
	v_and_b32_e32 v4, 1, v4
	global_store_byte v1, v4, s[12:13]
	s_or_b64 exec, exec, s[2:3]
	v_cmp_gt_i32_e32 vcc, s8, v0
	s_and_saveexec_b64 s[2:3], vcc
	s_cbranch_execz .LBB107_37
.LBB107_54:
	s_waitcnt vmcnt(0)
	v_cmp_eq_f32_e32 vcc, s10, v3
	v_cndmask_b32_e64 v1, 0, 1, vcc
	v_cmp_neq_f32_e32 vcc, s10, v3
	v_cndmask_b32_e64 v3, 0, 1, vcc
	v_cndmask_b32_e64 v1, v3, v1, s[0:1]
	v_and_b32_e32 v1, 1, v1
	v_add_u32_e32 v3, s16, v0
	v_add_u32_e32 v0, 0x100, v0
	global_store_byte v3, v1, s[12:13]
	s_or_b64 exec, exec, s[2:3]
	v_cmp_gt_i32_e32 vcc, s8, v0
	s_and_saveexec_b64 s[2:3], vcc
	s_cbranch_execz .LBB107_38
.LBB107_55:
	s_waitcnt vmcnt(0)
	v_cmp_eq_f32_e32 vcc, s10, v6
	v_cndmask_b32_e64 v1, 0, 1, vcc
	v_cmp_neq_f32_e32 vcc, s10, v6
	v_cndmask_b32_e64 v3, 0, 1, vcc
	v_cndmask_b32_e64 v1, v3, v1, s[0:1]
	v_and_b32_e32 v1, 1, v1
	v_add_u32_e32 v3, s16, v0
	v_add_u32_e32 v0, 0x100, v0
	global_store_byte v3, v1, s[12:13]
	s_or_b64 exec, exec, s[2:3]
	v_cmp_gt_i32_e32 vcc, s8, v0
	s_and_saveexec_b64 s[2:3], vcc
	s_cbranch_execz .LBB107_39
.LBB107_56:
	s_waitcnt vmcnt(0)
	v_cmp_eq_f32_e32 vcc, s10, v2
	v_cndmask_b32_e64 v1, 0, 1, vcc
	v_cmp_neq_f32_e32 vcc, s10, v2
	v_cndmask_b32_e64 v2, 0, 1, vcc
	v_cndmask_b32_e64 v1, v2, v1, s[0:1]
	v_and_b32_e32 v1, 1, v1
	v_add_u32_e32 v2, s16, v0
	v_add_u32_e32 v0, 0x100, v0
	global_store_byte v2, v1, s[12:13]
	s_or_b64 exec, exec, s[2:3]
	v_cmp_gt_i32_e32 vcc, s8, v0
	s_and_saveexec_b64 s[2:3], vcc
	s_cbranch_execz .LBB107_40
.LBB107_57:
	s_waitcnt vmcnt(0)
	v_cmp_eq_f32_e32 vcc, s10, v9
	v_cndmask_b32_e64 v1, 0, 1, vcc
	v_cmp_neq_f32_e32 vcc, s10, v9
	v_cndmask_b32_e64 v2, 0, 1, vcc
	v_cndmask_b32_e64 v1, v2, v1, s[0:1]
	v_and_b32_e32 v1, 1, v1
	v_add_u32_e32 v2, s16, v0
	v_add_u32_e32 v0, 0x100, v0
	global_store_byte v2, v1, s[12:13]
	s_or_b64 exec, exec, s[2:3]
	v_cmp_gt_i32_e32 vcc, s8, v0
	s_and_saveexec_b64 s[2:3], vcc
	s_cbranch_execz .LBB107_41
.LBB107_58:
	s_waitcnt vmcnt(0)
	v_cmp_eq_f32_e32 vcc, s10, v5
	v_cndmask_b32_e64 v1, 0, 1, vcc
	v_cmp_neq_f32_e32 vcc, s10, v5
	v_cndmask_b32_e64 v2, 0, 1, vcc
	v_cndmask_b32_e64 v1, v2, v1, s[0:1]
	v_and_b32_e32 v1, 1, v1
	v_add_u32_e32 v2, s16, v0
	v_add_u32_e32 v0, 0x100, v0
	global_store_byte v2, v1, s[12:13]
	s_or_b64 exec, exec, s[2:3]
	v_cmp_gt_i32_e32 vcc, s8, v0
	s_and_saveexec_b64 s[2:3], vcc
	s_cbranch_execz .LBB107_42
.LBB107_59:
	s_waitcnt vmcnt(0)
	v_cmp_eq_f32_e32 vcc, s10, v11
	v_cndmask_b32_e64 v1, 0, 1, vcc
	v_cmp_neq_f32_e32 vcc, s10, v11
	v_cndmask_b32_e64 v2, 0, 1, vcc
	v_cndmask_b32_e64 v1, v2, v1, s[0:1]
	v_and_b32_e32 v1, 1, v1
	v_add_u32_e32 v2, s16, v0
	v_add_u32_e32 v0, 0x100, v0
	global_store_byte v2, v1, s[12:13]
	s_or_b64 exec, exec, s[2:3]
	v_cmp_gt_i32_e32 vcc, s8, v0
	s_and_saveexec_b64 s[2:3], vcc
	s_cbranch_execz .LBB107_43
.LBB107_60:
	s_waitcnt vmcnt(0)
	v_cmp_eq_f32_e32 vcc, s10, v7
	v_cndmask_b32_e64 v1, 0, 1, vcc
	v_cmp_neq_f32_e32 vcc, s10, v7
	v_cndmask_b32_e64 v2, 0, 1, vcc
	v_cndmask_b32_e64 v1, v2, v1, s[0:1]
	v_and_b32_e32 v1, 1, v1
	v_add_u32_e32 v2, s16, v0
	v_add_u32_e32 v0, 0x100, v0
	global_store_byte v2, v1, s[12:13]
	s_or_b64 exec, exec, s[2:3]
	v_cmp_gt_i32_e32 vcc, s8, v0
	s_and_saveexec_b64 s[2:3], vcc
	s_cbranch_execz .LBB107_44
.LBB107_61:
	s_waitcnt vmcnt(0)
	v_cmp_eq_f32_e32 vcc, s10, v13
	v_cndmask_b32_e64 v1, 0, 1, vcc
	v_cmp_neq_f32_e32 vcc, s10, v13
	v_cndmask_b32_e64 v2, 0, 1, vcc
	v_cndmask_b32_e64 v1, v2, v1, s[0:1]
	v_and_b32_e32 v1, 1, v1
	v_add_u32_e32 v2, s16, v0
	v_add_u32_e32 v0, 0x100, v0
	global_store_byte v2, v1, s[12:13]
	s_or_b64 exec, exec, s[2:3]
	v_cmp_gt_i32_e32 vcc, s8, v0
	s_and_saveexec_b64 s[2:3], vcc
	s_cbranch_execz .LBB107_45
.LBB107_62:
	s_waitcnt vmcnt(0)
	v_cmp_eq_f32_e32 vcc, s10, v10
	v_cndmask_b32_e64 v1, 0, 1, vcc
	v_cmp_neq_f32_e32 vcc, s10, v10
	v_cndmask_b32_e64 v2, 0, 1, vcc
	v_cndmask_b32_e64 v1, v2, v1, s[0:1]
	v_and_b32_e32 v1, 1, v1
	v_add_u32_e32 v2, s16, v0
	v_add_u32_e32 v0, 0x100, v0
	global_store_byte v2, v1, s[12:13]
	s_or_b64 exec, exec, s[2:3]
	v_cmp_gt_i32_e32 vcc, s8, v0
	s_and_saveexec_b64 s[2:3], vcc
	s_cbranch_execz .LBB107_46
.LBB107_63:
	s_waitcnt vmcnt(0)
	v_cmp_eq_f32_e32 vcc, s10, v15
	v_cndmask_b32_e64 v1, 0, 1, vcc
	v_cmp_neq_f32_e32 vcc, s10, v15
	v_cndmask_b32_e64 v2, 0, 1, vcc
	v_cndmask_b32_e64 v1, v2, v1, s[0:1]
	v_and_b32_e32 v1, 1, v1
	v_add_u32_e32 v2, s16, v0
	v_add_u32_e32 v0, 0x100, v0
	global_store_byte v2, v1, s[12:13]
	s_or_b64 exec, exec, s[2:3]
	v_cmp_gt_i32_e32 vcc, s8, v0
	s_and_saveexec_b64 s[2:3], vcc
	s_cbranch_execz .LBB107_47
.LBB107_64:
	s_waitcnt vmcnt(0)
	v_cmp_eq_f32_e32 vcc, s10, v12
	v_cndmask_b32_e64 v1, 0, 1, vcc
	v_cmp_neq_f32_e32 vcc, s10, v12
	v_cndmask_b32_e64 v2, 0, 1, vcc
	v_cndmask_b32_e64 v1, v2, v1, s[0:1]
	v_and_b32_e32 v1, 1, v1
	v_add_u32_e32 v2, s16, v0
	v_add_u32_e32 v0, 0x100, v0
	global_store_byte v2, v1, s[12:13]
	s_or_b64 exec, exec, s[2:3]
	v_cmp_gt_i32_e32 vcc, s8, v0
	s_and_saveexec_b64 s[2:3], vcc
	s_cbranch_execz .LBB107_48
.LBB107_65:
	s_waitcnt vmcnt(0)
	v_cmp_eq_f32_e32 vcc, s10, v17
	v_cndmask_b32_e64 v1, 0, 1, vcc
	v_cmp_neq_f32_e32 vcc, s10, v17
	v_cndmask_b32_e64 v2, 0, 1, vcc
	v_cndmask_b32_e64 v1, v2, v1, s[0:1]
	v_and_b32_e32 v1, 1, v1
	v_add_u32_e32 v2, s16, v0
	v_add_u32_e32 v0, 0x100, v0
	global_store_byte v2, v1, s[12:13]
	s_or_b64 exec, exec, s[2:3]
	v_cmp_gt_i32_e32 vcc, s8, v0
	s_and_saveexec_b64 s[2:3], vcc
	s_cbranch_execz .LBB107_49
.LBB107_66:
	s_waitcnt vmcnt(0)
	v_cmp_eq_f32_e32 vcc, s10, v14
	v_cndmask_b32_e64 v1, 0, 1, vcc
	v_cmp_neq_f32_e32 vcc, s10, v14
	v_cndmask_b32_e64 v2, 0, 1, vcc
	v_cndmask_b32_e64 v1, v2, v1, s[0:1]
	v_and_b32_e32 v1, 1, v1
	v_add_u32_e32 v2, s16, v0
	v_add_u32_e32 v0, 0x100, v0
	global_store_byte v2, v1, s[12:13]
	s_or_b64 exec, exec, s[2:3]
	v_cmp_gt_i32_e32 vcc, s8, v0
	s_and_saveexec_b64 s[2:3], vcc
	s_cbranch_execz .LBB107_50
.LBB107_67:
	s_waitcnt vmcnt(0)
	v_cmp_eq_f32_e32 vcc, s10, v18
	v_cndmask_b32_e64 v1, 0, 1, vcc
	v_cmp_neq_f32_e32 vcc, s10, v18
	v_cndmask_b32_e64 v2, 0, 1, vcc
	v_cndmask_b32_e64 v1, v2, v1, s[0:1]
	v_and_b32_e32 v1, 1, v1
	v_add_u32_e32 v2, s16, v0
	v_add_u32_e32 v0, 0x100, v0
	global_store_byte v2, v1, s[12:13]
	s_or_b64 exec, exec, s[2:3]
	v_cmp_gt_i32_e32 vcc, s8, v0
	s_and_saveexec_b64 s[2:3], vcc
	s_cbranch_execnz .LBB107_51
	s_branch .LBB107_52
	.section	.rodata,"a",@progbits
	.p2align	6, 0x0
	.amdhsa_kernel _ZN2at6native29vectorized_elementwise_kernelILi2ENS0_13AUnaryFunctorIffbNS0_12_GLOBAL__N_116CompareEqFunctorIfEEEESt5arrayIPcLm2EEEEviT0_T1_
		.amdhsa_group_segment_fixed_size 0
		.amdhsa_private_segment_fixed_size 0
		.amdhsa_kernarg_size 32
		.amdhsa_user_sgpr_count 6
		.amdhsa_user_sgpr_private_segment_buffer 1
		.amdhsa_user_sgpr_dispatch_ptr 0
		.amdhsa_user_sgpr_queue_ptr 0
		.amdhsa_user_sgpr_kernarg_segment_ptr 1
		.amdhsa_user_sgpr_dispatch_id 0
		.amdhsa_user_sgpr_flat_scratch_init 0
		.amdhsa_user_sgpr_private_segment_size 0
		.amdhsa_uses_dynamic_stack 0
		.amdhsa_system_sgpr_private_segment_wavefront_offset 0
		.amdhsa_system_sgpr_workgroup_id_x 1
		.amdhsa_system_sgpr_workgroup_id_y 0
		.amdhsa_system_sgpr_workgroup_id_z 0
		.amdhsa_system_sgpr_workgroup_info 0
		.amdhsa_system_vgpr_workitem_id 0
		.amdhsa_next_free_vgpr 21
		.amdhsa_next_free_sgpr 18
		.amdhsa_reserve_vcc 1
		.amdhsa_reserve_flat_scratch 0
		.amdhsa_float_round_mode_32 0
		.amdhsa_float_round_mode_16_64 0
		.amdhsa_float_denorm_mode_32 3
		.amdhsa_float_denorm_mode_16_64 3
		.amdhsa_dx10_clamp 1
		.amdhsa_ieee_mode 1
		.amdhsa_fp16_overflow 0
		.amdhsa_exception_fp_ieee_invalid_op 0
		.amdhsa_exception_fp_denorm_src 0
		.amdhsa_exception_fp_ieee_div_zero 0
		.amdhsa_exception_fp_ieee_overflow 0
		.amdhsa_exception_fp_ieee_underflow 0
		.amdhsa_exception_fp_ieee_inexact 0
		.amdhsa_exception_int_div_zero 0
	.end_amdhsa_kernel
	.section	.text._ZN2at6native29vectorized_elementwise_kernelILi2ENS0_13AUnaryFunctorIffbNS0_12_GLOBAL__N_116CompareEqFunctorIfEEEESt5arrayIPcLm2EEEEviT0_T1_,"axG",@progbits,_ZN2at6native29vectorized_elementwise_kernelILi2ENS0_13AUnaryFunctorIffbNS0_12_GLOBAL__N_116CompareEqFunctorIfEEEESt5arrayIPcLm2EEEEviT0_T1_,comdat
.Lfunc_end107:
	.size	_ZN2at6native29vectorized_elementwise_kernelILi2ENS0_13AUnaryFunctorIffbNS0_12_GLOBAL__N_116CompareEqFunctorIfEEEESt5arrayIPcLm2EEEEviT0_T1_, .Lfunc_end107-_ZN2at6native29vectorized_elementwise_kernelILi2ENS0_13AUnaryFunctorIffbNS0_12_GLOBAL__N_116CompareEqFunctorIfEEEESt5arrayIPcLm2EEEEviT0_T1_
                                        ; -- End function
	.set _ZN2at6native29vectorized_elementwise_kernelILi2ENS0_13AUnaryFunctorIffbNS0_12_GLOBAL__N_116CompareEqFunctorIfEEEESt5arrayIPcLm2EEEEviT0_T1_.num_vgpr, 21
	.set _ZN2at6native29vectorized_elementwise_kernelILi2ENS0_13AUnaryFunctorIffbNS0_12_GLOBAL__N_116CompareEqFunctorIfEEEESt5arrayIPcLm2EEEEviT0_T1_.num_agpr, 0
	.set _ZN2at6native29vectorized_elementwise_kernelILi2ENS0_13AUnaryFunctorIffbNS0_12_GLOBAL__N_116CompareEqFunctorIfEEEESt5arrayIPcLm2EEEEviT0_T1_.numbered_sgpr, 18
	.set _ZN2at6native29vectorized_elementwise_kernelILi2ENS0_13AUnaryFunctorIffbNS0_12_GLOBAL__N_116CompareEqFunctorIfEEEESt5arrayIPcLm2EEEEviT0_T1_.num_named_barrier, 0
	.set _ZN2at6native29vectorized_elementwise_kernelILi2ENS0_13AUnaryFunctorIffbNS0_12_GLOBAL__N_116CompareEqFunctorIfEEEESt5arrayIPcLm2EEEEviT0_T1_.private_seg_size, 0
	.set _ZN2at6native29vectorized_elementwise_kernelILi2ENS0_13AUnaryFunctorIffbNS0_12_GLOBAL__N_116CompareEqFunctorIfEEEESt5arrayIPcLm2EEEEviT0_T1_.uses_vcc, 1
	.set _ZN2at6native29vectorized_elementwise_kernelILi2ENS0_13AUnaryFunctorIffbNS0_12_GLOBAL__N_116CompareEqFunctorIfEEEESt5arrayIPcLm2EEEEviT0_T1_.uses_flat_scratch, 0
	.set _ZN2at6native29vectorized_elementwise_kernelILi2ENS0_13AUnaryFunctorIffbNS0_12_GLOBAL__N_116CompareEqFunctorIfEEEESt5arrayIPcLm2EEEEviT0_T1_.has_dyn_sized_stack, 0
	.set _ZN2at6native29vectorized_elementwise_kernelILi2ENS0_13AUnaryFunctorIffbNS0_12_GLOBAL__N_116CompareEqFunctorIfEEEESt5arrayIPcLm2EEEEviT0_T1_.has_recursion, 0
	.set _ZN2at6native29vectorized_elementwise_kernelILi2ENS0_13AUnaryFunctorIffbNS0_12_GLOBAL__N_116CompareEqFunctorIfEEEESt5arrayIPcLm2EEEEviT0_T1_.has_indirect_call, 0
	.section	.AMDGPU.csdata,"",@progbits
; Kernel info:
; codeLenInByte = 3736
; TotalNumSgprs: 22
; NumVgprs: 21
; ScratchSize: 0
; MemoryBound: 0
; FloatMode: 240
; IeeeMode: 1
; LDSByteSize: 0 bytes/workgroup (compile time only)
; SGPRBlocks: 2
; VGPRBlocks: 5
; NumSGPRsForWavesPerEU: 22
; NumVGPRsForWavesPerEU: 21
; Occupancy: 10
; WaveLimiterHint : 1
; COMPUTE_PGM_RSRC2:SCRATCH_EN: 0
; COMPUTE_PGM_RSRC2:USER_SGPR: 6
; COMPUTE_PGM_RSRC2:TRAP_HANDLER: 0
; COMPUTE_PGM_RSRC2:TGID_X_EN: 1
; COMPUTE_PGM_RSRC2:TGID_Y_EN: 0
; COMPUTE_PGM_RSRC2:TGID_Z_EN: 0
; COMPUTE_PGM_RSRC2:TIDIG_COMP_CNT: 0
	.section	.text._ZN2at6native27unrolled_elementwise_kernelINS0_13AUnaryFunctorIffbNS0_12_GLOBAL__N_116CompareEqFunctorIfEEEESt5arrayIPcLm2EELi4E23TrivialOffsetCalculatorILi1EjESB_NS0_6memory15LoadWithoutCastENSC_16StoreWithoutCastEEEviT_T0_T2_T3_T4_T5_,"axG",@progbits,_ZN2at6native27unrolled_elementwise_kernelINS0_13AUnaryFunctorIffbNS0_12_GLOBAL__N_116CompareEqFunctorIfEEEESt5arrayIPcLm2EELi4E23TrivialOffsetCalculatorILi1EjESB_NS0_6memory15LoadWithoutCastENSC_16StoreWithoutCastEEEviT_T0_T2_T3_T4_T5_,comdat
	.globl	_ZN2at6native27unrolled_elementwise_kernelINS0_13AUnaryFunctorIffbNS0_12_GLOBAL__N_116CompareEqFunctorIfEEEESt5arrayIPcLm2EELi4E23TrivialOffsetCalculatorILi1EjESB_NS0_6memory15LoadWithoutCastENSC_16StoreWithoutCastEEEviT_T0_T2_T3_T4_T5_ ; -- Begin function _ZN2at6native27unrolled_elementwise_kernelINS0_13AUnaryFunctorIffbNS0_12_GLOBAL__N_116CompareEqFunctorIfEEEESt5arrayIPcLm2EELi4E23TrivialOffsetCalculatorILi1EjESB_NS0_6memory15LoadWithoutCastENSC_16StoreWithoutCastEEEviT_T0_T2_T3_T4_T5_
	.p2align	8
	.type	_ZN2at6native27unrolled_elementwise_kernelINS0_13AUnaryFunctorIffbNS0_12_GLOBAL__N_116CompareEqFunctorIfEEEESt5arrayIPcLm2EELi4E23TrivialOffsetCalculatorILi1EjESB_NS0_6memory15LoadWithoutCastENSC_16StoreWithoutCastEEEviT_T0_T2_T3_T4_T5_,@function
_ZN2at6native27unrolled_elementwise_kernelINS0_13AUnaryFunctorIffbNS0_12_GLOBAL__N_116CompareEqFunctorIfEEEESt5arrayIPcLm2EELi4E23TrivialOffsetCalculatorILi1EjESB_NS0_6memory15LoadWithoutCastENSC_16StoreWithoutCastEEEviT_T0_T2_T3_T4_T5_: ; @_ZN2at6native27unrolled_elementwise_kernelINS0_13AUnaryFunctorIffbNS0_12_GLOBAL__N_116CompareEqFunctorIfEEEESt5arrayIPcLm2EELi4E23TrivialOffsetCalculatorILi1EjESB_NS0_6memory15LoadWithoutCastENSC_16StoreWithoutCastEEEviT_T0_T2_T3_T4_T5_
; %bb.0:
	s_load_dwordx8 s[8:15], s[4:5], 0x0
	s_lshl_b32 s4, s6, 10
	v_mov_b32_e32 v3, 0
	v_or_b32_e32 v1, s4, v0
	v_mov_b32_e32 v2, 0
	s_waitcnt lgkmcnt(0)
	s_sub_i32 s5, s8, s4
	v_cmp_gt_i32_e32 vcc, s5, v0
	v_mov_b32_e32 v5, v0
	s_and_saveexec_b64 s[2:3], vcc
	s_cbranch_execz .LBB108_2
; %bb.1:
	v_mov_b32_e32 v2, 0
	v_lshlrev_b64 v[4:5], 2, v[1:2]
	v_mov_b32_e32 v2, s15
	v_add_co_u32_e64 v4, s[0:1], s14, v4
	v_addc_co_u32_e64 v5, s[0:1], v2, v5, s[0:1]
	global_load_dword v2, v[4:5], off
	v_or_b32_e32 v5, 0x100, v0
.LBB108_2:
	s_or_b64 exec, exec, s[2:3]
	v_cmp_gt_i32_e64 s[0:1], s5, v5
	s_and_saveexec_b64 s[2:3], s[0:1]
	s_cbranch_execz .LBB108_4
; %bb.3:
	v_add_u32_e32 v3, s4, v5
	v_mov_b32_e32 v4, 0
	v_lshlrev_b64 v[3:4], 2, v[3:4]
	v_mov_b32_e32 v6, s15
	v_add_co_u32_e64 v3, s[0:1], s14, v3
	v_addc_co_u32_e64 v4, s[0:1], v6, v4, s[0:1]
	global_load_dword v3, v[3:4], off
	v_add_u32_e32 v5, 0x100, v5
.LBB108_4:
	s_or_b64 exec, exec, s[2:3]
	v_cmp_gt_i32_e64 s[0:1], s5, v5
	v_mov_b32_e32 v4, 0
	v_mov_b32_e32 v6, 0
	s_and_saveexec_b64 s[2:3], s[0:1]
	s_cbranch_execz .LBB108_6
; %bb.5:
	v_add_u32_e32 v6, s4, v5
	v_mov_b32_e32 v7, 0
	v_lshlrev_b64 v[6:7], 2, v[6:7]
	v_mov_b32_e32 v8, s15
	v_add_co_u32_e64 v6, s[0:1], s14, v6
	v_addc_co_u32_e64 v7, s[0:1], v8, v7, s[0:1]
	global_load_dword v6, v[6:7], off
	v_add_u32_e32 v5, 0x100, v5
.LBB108_6:
	s_or_b64 exec, exec, s[2:3]
	v_cmp_gt_i32_e64 s[0:1], s5, v5
	s_and_saveexec_b64 s[2:3], s[0:1]
	s_cbranch_execz .LBB108_8
; %bb.7:
	v_add_u32_e32 v4, s4, v5
	v_mov_b32_e32 v5, 0
	v_lshlrev_b64 v[4:5], 2, v[4:5]
	v_mov_b32_e32 v7, s15
	v_add_co_u32_e64 v4, s[0:1], s14, v4
	v_addc_co_u32_e64 v5, s[0:1], v7, v5, s[0:1]
	global_load_dword v4, v[4:5], off
.LBB108_8:
	s_or_b64 exec, exec, s[2:3]
	s_waitcnt vmcnt(0)
	v_cmp_eq_f32_e64 s[0:1], s10, v2
	v_cmp_eq_f32_e64 s[2:3], s10, v3
	s_cmp_eq_u32 s9, 0
	v_cndmask_b32_e64 v5, 0, 1, s[0:1]
	v_cmp_neq_f32_e64 s[0:1], s10, v2
	v_cndmask_b32_e64 v7, 0, 1, s[2:3]
	v_cmp_neq_f32_e64 s[2:3], s10, v3
	v_cndmask_b32_e64 v2, 0, 1, s[0:1]
	s_cselect_b64 s[0:1], -1, 0
	v_cndmask_b32_e64 v3, 0, 1, s[2:3]
	v_cndmask_b32_e64 v2, v2, v5, s[0:1]
	v_cndmask_b32_e64 v5, 0, 1, vcc
	v_cndmask_b32_e64 v3, v3, v7, s[0:1]
	v_mov_b32_e32 v7, 1
	v_and_b32_e32 v2, v5, v2
	v_and_b32_sdwa v3, v3, v7 dst_sel:BYTE_1 dst_unused:UNUSED_PAD src0_sel:DWORD src1_sel:DWORD
	v_or_b32_e32 v5, 0x100, v0
	v_or_b32_e32 v3, v2, v3
	v_and_b32_e32 v3, 0xffff, v3
	v_cmp_gt_i32_e64 s[2:3], s5, v5
	v_cndmask_b32_e64 v2, v2, v3, s[2:3]
	v_cmp_eq_f32_e64 s[2:3], s10, v6
	v_cndmask_b32_e64 v8, 0, 1, s[2:3]
	v_cmp_neq_f32_e64 s[2:3], s10, v6
	v_cndmask_b32_e64 v6, 0, 1, s[2:3]
	v_cndmask_b32_e64 v6, v6, v8, s[0:1]
	v_or_b32_e32 v3, 0x200, v0
	v_and_b32_sdwa v6, v6, v7 dst_sel:WORD_1 dst_unused:UNUSED_PAD src0_sel:DWORD src1_sel:DWORD
	v_or_b32_e32 v6, v2, v6
	v_cmp_gt_i32_e64 s[2:3], s5, v3
	v_cndmask_b32_e64 v2, v2, v6, s[2:3]
	s_movk_i32 s2, 0xff
	v_and_b32_sdwa v3, v2, s2 dst_sel:DWORD dst_unused:UNUSED_PAD src0_sel:WORD_1 src1_sel:DWORD
	v_cmp_eq_f32_e64 s[2:3], s10, v4
	v_cndmask_b32_e64 v8, 0, 1, s[2:3]
	v_cmp_neq_f32_e64 s[2:3], s10, v4
	v_cndmask_b32_e64 v4, 0, 1, s[2:3]
	v_cndmask_b32_e64 v4, v4, v8, s[0:1]
	v_and_b32_sdwa v4, v4, v7 dst_sel:BYTE_1 dst_unused:UNUSED_PAD src0_sel:DWORD src1_sel:DWORD
	s_mov_b32 s6, 0xffff
	v_or_b32_e32 v6, 0x300, v0
	v_or_b32_sdwa v3, v3, v4 dst_sel:WORD_1 dst_unused:UNUSED_PAD src0_sel:DWORD src1_sel:DWORD
	v_and_or_b32 v3, v2, s6, v3
	v_cmp_gt_i32_e64 s[0:1], s5, v6
	v_cndmask_b32_e64 v2, v2, v3, s[0:1]
	s_and_saveexec_b64 s[0:1], vcc
	s_cbranch_execnz .LBB108_13
; %bb.9:
	s_or_b64 exec, exec, s[0:1]
	v_cmp_gt_i32_e32 vcc, s5, v0
	s_and_saveexec_b64 s[0:1], vcc
	s_cbranch_execnz .LBB108_14
.LBB108_10:
	s_or_b64 exec, exec, s[0:1]
	v_cmp_gt_i32_e32 vcc, s5, v0
	s_and_saveexec_b64 s[0:1], vcc
	s_cbranch_execnz .LBB108_15
.LBB108_11:
	s_or_b64 exec, exec, s[0:1]
	v_cmp_gt_i32_e32 vcc, s5, v0
	s_and_saveexec_b64 s[0:1], vcc
	s_cbranch_execnz .LBB108_16
.LBB108_12:
	s_endpgm
.LBB108_13:
	v_mov_b32_e32 v0, v5
	global_store_byte v1, v2, s[12:13]
	s_or_b64 exec, exec, s[0:1]
	v_cmp_gt_i32_e32 vcc, s5, v0
	s_and_saveexec_b64 s[0:1], vcc
	s_cbranch_execz .LBB108_10
.LBB108_14:
	v_add_u32_e32 v1, 0x100, v0
	v_add_u32_e32 v0, s4, v0
	v_lshrrev_b32_e32 v3, 8, v2
	global_store_byte v0, v3, s[12:13]
	v_mov_b32_e32 v0, v1
	s_or_b64 exec, exec, s[0:1]
	v_cmp_gt_i32_e32 vcc, s5, v0
	s_and_saveexec_b64 s[0:1], vcc
	s_cbranch_execz .LBB108_11
.LBB108_15:
	v_add_u32_e32 v1, 0x100, v0
	v_add_u32_e32 v0, s4, v0
	global_store_byte_d16_hi v0, v2, s[12:13]
	v_mov_b32_e32 v0, v1
	s_or_b64 exec, exec, s[0:1]
	v_cmp_gt_i32_e32 vcc, s5, v0
	s_and_saveexec_b64 s[0:1], vcc
	s_cbranch_execz .LBB108_12
.LBB108_16:
	v_add_u32_e32 v0, s4, v0
	v_lshrrev_b32_e32 v1, 24, v2
	global_store_byte v0, v1, s[12:13]
	s_endpgm
	.section	.rodata,"a",@progbits
	.p2align	6, 0x0
	.amdhsa_kernel _ZN2at6native27unrolled_elementwise_kernelINS0_13AUnaryFunctorIffbNS0_12_GLOBAL__N_116CompareEqFunctorIfEEEESt5arrayIPcLm2EELi4E23TrivialOffsetCalculatorILi1EjESB_NS0_6memory15LoadWithoutCastENSC_16StoreWithoutCastEEEviT_T0_T2_T3_T4_T5_
		.amdhsa_group_segment_fixed_size 0
		.amdhsa_private_segment_fixed_size 0
		.amdhsa_kernarg_size 36
		.amdhsa_user_sgpr_count 6
		.amdhsa_user_sgpr_private_segment_buffer 1
		.amdhsa_user_sgpr_dispatch_ptr 0
		.amdhsa_user_sgpr_queue_ptr 0
		.amdhsa_user_sgpr_kernarg_segment_ptr 1
		.amdhsa_user_sgpr_dispatch_id 0
		.amdhsa_user_sgpr_flat_scratch_init 0
		.amdhsa_user_sgpr_private_segment_size 0
		.amdhsa_uses_dynamic_stack 0
		.amdhsa_system_sgpr_private_segment_wavefront_offset 0
		.amdhsa_system_sgpr_workgroup_id_x 1
		.amdhsa_system_sgpr_workgroup_id_y 0
		.amdhsa_system_sgpr_workgroup_id_z 0
		.amdhsa_system_sgpr_workgroup_info 0
		.amdhsa_system_vgpr_workitem_id 0
		.amdhsa_next_free_vgpr 9
		.amdhsa_next_free_sgpr 16
		.amdhsa_reserve_vcc 1
		.amdhsa_reserve_flat_scratch 0
		.amdhsa_float_round_mode_32 0
		.amdhsa_float_round_mode_16_64 0
		.amdhsa_float_denorm_mode_32 3
		.amdhsa_float_denorm_mode_16_64 3
		.amdhsa_dx10_clamp 1
		.amdhsa_ieee_mode 1
		.amdhsa_fp16_overflow 0
		.amdhsa_exception_fp_ieee_invalid_op 0
		.amdhsa_exception_fp_denorm_src 0
		.amdhsa_exception_fp_ieee_div_zero 0
		.amdhsa_exception_fp_ieee_overflow 0
		.amdhsa_exception_fp_ieee_underflow 0
		.amdhsa_exception_fp_ieee_inexact 0
		.amdhsa_exception_int_div_zero 0
	.end_amdhsa_kernel
	.section	.text._ZN2at6native27unrolled_elementwise_kernelINS0_13AUnaryFunctorIffbNS0_12_GLOBAL__N_116CompareEqFunctorIfEEEESt5arrayIPcLm2EELi4E23TrivialOffsetCalculatorILi1EjESB_NS0_6memory15LoadWithoutCastENSC_16StoreWithoutCastEEEviT_T0_T2_T3_T4_T5_,"axG",@progbits,_ZN2at6native27unrolled_elementwise_kernelINS0_13AUnaryFunctorIffbNS0_12_GLOBAL__N_116CompareEqFunctorIfEEEESt5arrayIPcLm2EELi4E23TrivialOffsetCalculatorILi1EjESB_NS0_6memory15LoadWithoutCastENSC_16StoreWithoutCastEEEviT_T0_T2_T3_T4_T5_,comdat
.Lfunc_end108:
	.size	_ZN2at6native27unrolled_elementwise_kernelINS0_13AUnaryFunctorIffbNS0_12_GLOBAL__N_116CompareEqFunctorIfEEEESt5arrayIPcLm2EELi4E23TrivialOffsetCalculatorILi1EjESB_NS0_6memory15LoadWithoutCastENSC_16StoreWithoutCastEEEviT_T0_T2_T3_T4_T5_, .Lfunc_end108-_ZN2at6native27unrolled_elementwise_kernelINS0_13AUnaryFunctorIffbNS0_12_GLOBAL__N_116CompareEqFunctorIfEEEESt5arrayIPcLm2EELi4E23TrivialOffsetCalculatorILi1EjESB_NS0_6memory15LoadWithoutCastENSC_16StoreWithoutCastEEEviT_T0_T2_T3_T4_T5_
                                        ; -- End function
	.set _ZN2at6native27unrolled_elementwise_kernelINS0_13AUnaryFunctorIffbNS0_12_GLOBAL__N_116CompareEqFunctorIfEEEESt5arrayIPcLm2EELi4E23TrivialOffsetCalculatorILi1EjESB_NS0_6memory15LoadWithoutCastENSC_16StoreWithoutCastEEEviT_T0_T2_T3_T4_T5_.num_vgpr, 9
	.set _ZN2at6native27unrolled_elementwise_kernelINS0_13AUnaryFunctorIffbNS0_12_GLOBAL__N_116CompareEqFunctorIfEEEESt5arrayIPcLm2EELi4E23TrivialOffsetCalculatorILi1EjESB_NS0_6memory15LoadWithoutCastENSC_16StoreWithoutCastEEEviT_T0_T2_T3_T4_T5_.num_agpr, 0
	.set _ZN2at6native27unrolled_elementwise_kernelINS0_13AUnaryFunctorIffbNS0_12_GLOBAL__N_116CompareEqFunctorIfEEEESt5arrayIPcLm2EELi4E23TrivialOffsetCalculatorILi1EjESB_NS0_6memory15LoadWithoutCastENSC_16StoreWithoutCastEEEviT_T0_T2_T3_T4_T5_.numbered_sgpr, 16
	.set _ZN2at6native27unrolled_elementwise_kernelINS0_13AUnaryFunctorIffbNS0_12_GLOBAL__N_116CompareEqFunctorIfEEEESt5arrayIPcLm2EELi4E23TrivialOffsetCalculatorILi1EjESB_NS0_6memory15LoadWithoutCastENSC_16StoreWithoutCastEEEviT_T0_T2_T3_T4_T5_.num_named_barrier, 0
	.set _ZN2at6native27unrolled_elementwise_kernelINS0_13AUnaryFunctorIffbNS0_12_GLOBAL__N_116CompareEqFunctorIfEEEESt5arrayIPcLm2EELi4E23TrivialOffsetCalculatorILi1EjESB_NS0_6memory15LoadWithoutCastENSC_16StoreWithoutCastEEEviT_T0_T2_T3_T4_T5_.private_seg_size, 0
	.set _ZN2at6native27unrolled_elementwise_kernelINS0_13AUnaryFunctorIffbNS0_12_GLOBAL__N_116CompareEqFunctorIfEEEESt5arrayIPcLm2EELi4E23TrivialOffsetCalculatorILi1EjESB_NS0_6memory15LoadWithoutCastENSC_16StoreWithoutCastEEEviT_T0_T2_T3_T4_T5_.uses_vcc, 1
	.set _ZN2at6native27unrolled_elementwise_kernelINS0_13AUnaryFunctorIffbNS0_12_GLOBAL__N_116CompareEqFunctorIfEEEESt5arrayIPcLm2EELi4E23TrivialOffsetCalculatorILi1EjESB_NS0_6memory15LoadWithoutCastENSC_16StoreWithoutCastEEEviT_T0_T2_T3_T4_T5_.uses_flat_scratch, 0
	.set _ZN2at6native27unrolled_elementwise_kernelINS0_13AUnaryFunctorIffbNS0_12_GLOBAL__N_116CompareEqFunctorIfEEEESt5arrayIPcLm2EELi4E23TrivialOffsetCalculatorILi1EjESB_NS0_6memory15LoadWithoutCastENSC_16StoreWithoutCastEEEviT_T0_T2_T3_T4_T5_.has_dyn_sized_stack, 0
	.set _ZN2at6native27unrolled_elementwise_kernelINS0_13AUnaryFunctorIffbNS0_12_GLOBAL__N_116CompareEqFunctorIfEEEESt5arrayIPcLm2EELi4E23TrivialOffsetCalculatorILi1EjESB_NS0_6memory15LoadWithoutCastENSC_16StoreWithoutCastEEEviT_T0_T2_T3_T4_T5_.has_recursion, 0
	.set _ZN2at6native27unrolled_elementwise_kernelINS0_13AUnaryFunctorIffbNS0_12_GLOBAL__N_116CompareEqFunctorIfEEEESt5arrayIPcLm2EELi4E23TrivialOffsetCalculatorILi1EjESB_NS0_6memory15LoadWithoutCastENSC_16StoreWithoutCastEEEviT_T0_T2_T3_T4_T5_.has_indirect_call, 0
	.section	.AMDGPU.csdata,"",@progbits
; Kernel info:
; codeLenInByte = 844
; TotalNumSgprs: 20
; NumVgprs: 9
; ScratchSize: 0
; MemoryBound: 0
; FloatMode: 240
; IeeeMode: 1
; LDSByteSize: 0 bytes/workgroup (compile time only)
; SGPRBlocks: 2
; VGPRBlocks: 2
; NumSGPRsForWavesPerEU: 20
; NumVGPRsForWavesPerEU: 9
; Occupancy: 10
; WaveLimiterHint : 0
; COMPUTE_PGM_RSRC2:SCRATCH_EN: 0
; COMPUTE_PGM_RSRC2:USER_SGPR: 6
; COMPUTE_PGM_RSRC2:TRAP_HANDLER: 0
; COMPUTE_PGM_RSRC2:TGID_X_EN: 1
; COMPUTE_PGM_RSRC2:TGID_Y_EN: 0
; COMPUTE_PGM_RSRC2:TGID_Z_EN: 0
; COMPUTE_PGM_RSRC2:TIDIG_COMP_CNT: 0
	.section	.text._ZN2at6native32elementwise_kernel_manual_unrollILi128ELi8EZNS0_22gpu_kernel_impl_nocastINS0_13AUnaryFunctorIffbNS0_12_GLOBAL__N_116CompareEqFunctorIfEEEEEEvRNS_18TensorIteratorBaseERKT_EUlibE_EEviT1_,"axG",@progbits,_ZN2at6native32elementwise_kernel_manual_unrollILi128ELi8EZNS0_22gpu_kernel_impl_nocastINS0_13AUnaryFunctorIffbNS0_12_GLOBAL__N_116CompareEqFunctorIfEEEEEEvRNS_18TensorIteratorBaseERKT_EUlibE_EEviT1_,comdat
	.globl	_ZN2at6native32elementwise_kernel_manual_unrollILi128ELi8EZNS0_22gpu_kernel_impl_nocastINS0_13AUnaryFunctorIffbNS0_12_GLOBAL__N_116CompareEqFunctorIfEEEEEEvRNS_18TensorIteratorBaseERKT_EUlibE_EEviT1_ ; -- Begin function _ZN2at6native32elementwise_kernel_manual_unrollILi128ELi8EZNS0_22gpu_kernel_impl_nocastINS0_13AUnaryFunctorIffbNS0_12_GLOBAL__N_116CompareEqFunctorIfEEEEEEvRNS_18TensorIteratorBaseERKT_EUlibE_EEviT1_
	.p2align	8
	.type	_ZN2at6native32elementwise_kernel_manual_unrollILi128ELi8EZNS0_22gpu_kernel_impl_nocastINS0_13AUnaryFunctorIffbNS0_12_GLOBAL__N_116CompareEqFunctorIfEEEEEEvRNS_18TensorIteratorBaseERKT_EUlibE_EEviT1_,@function
_ZN2at6native32elementwise_kernel_manual_unrollILi128ELi8EZNS0_22gpu_kernel_impl_nocastINS0_13AUnaryFunctorIffbNS0_12_GLOBAL__N_116CompareEqFunctorIfEEEEEEvRNS_18TensorIteratorBaseERKT_EUlibE_EEviT1_: ; @_ZN2at6native32elementwise_kernel_manual_unrollILi128ELi8EZNS0_22gpu_kernel_impl_nocastINS0_13AUnaryFunctorIffbNS0_12_GLOBAL__N_116CompareEqFunctorIfEEEEEEvRNS_18TensorIteratorBaseERKT_EUlibE_EEviT1_
; %bb.0:
	s_load_dword s59, s[4:5], 0x0
	s_load_dword s33, s[4:5], 0x8
	s_add_u32 s34, s4, 8
	s_addc_u32 s35, s5, 0
	v_lshl_or_b32 v19, s6, 10, v0
	v_or_b32_e32 v25, 0x380, v19
	s_waitcnt lgkmcnt(0)
	s_add_i32 s58, s33, -1
	s_cmp_gt_u32 s58, 1
	v_cmp_le_i32_e32 vcc, s59, v25
	s_cselect_b64 s[2:3], -1, 0
	s_and_saveexec_b64 s[0:1], vcc
	s_xor_b64 s[40:41], exec, s[0:1]
	s_cbranch_execz .LBB109_7
; %bb.1:
	s_load_dwordx4 s[24:27], s[34:35], 0x4
	s_load_dwordx2 s[44:45], s[34:35], 0x14
	s_load_dwordx2 s[42:43], s[34:35], 0x158
	s_cmp_lg_u32 s33, 0
	s_cselect_b64 s[50:51], -1, 0
	s_add_u32 s48, s34, 0xc4
	s_load_dwordx4 s[28:31], s[34:35], 0xc4
	s_load_dwordx4 s[20:23], s[34:35], 0x148
	s_addc_u32 s49, s35, 0
	s_min_u32 s60, s58, 15
	s_cmp_gt_u32 s33, 1
	s_cselect_b64 s[46:47], -1, 0
	s_waitcnt lgkmcnt(0)
	s_cmp_eq_u32 s42, 0
	s_cselect_b64 s[0:1], -1, 0
	v_cmp_gt_i32_e32 vcc, s59, v19
	s_and_saveexec_b64 s[52:53], vcc
	s_cbranch_execz .LBB109_14
; %bb.2:
	s_andn2_b64 vcc, exec, s[2:3]
	s_cbranch_vccnz .LBB109_21
; %bb.3:
	s_andn2_b64 vcc, exec, s[50:51]
	s_cbranch_vccnz .LBB109_129
; %bb.4:
	s_add_i32 s61, s60, 1
	s_cmp_eq_u32 s58, 2
	s_cbranch_scc1 .LBB109_131
; %bb.5:
	s_and_b32 s42, s61, 28
	v_mov_b32_e32 v2, 0
	s_mov_b32 s62, 0
	s_mov_b64 s[54:55], s[34:35]
	s_mov_b64 s[56:57], s[48:49]
	v_mov_b32_e32 v0, 0
	v_mov_b32_e32 v1, v19
.LBB109_6:                              ; =>This Inner Loop Header: Depth=1
	s_load_dwordx8 s[12:19], s[54:55], 0x4
	s_load_dwordx4 s[36:39], s[54:55], 0x24
	s_load_dwordx8 s[4:11], s[56:57], 0x0
	s_add_u32 s54, s54, 48
	s_addc_u32 s55, s55, 0
	s_waitcnt lgkmcnt(0)
	v_mul_hi_u32 v3, s13, v1
	s_add_i32 s62, s62, 4
	s_add_u32 s56, s56, 32
	s_addc_u32 s57, s57, 0
	v_add_u32_e32 v3, v1, v3
	v_lshrrev_b32_e32 v3, s14, v3
	v_mul_lo_u32 v4, v3, s12
	v_mul_hi_u32 v5, s16, v3
	s_cmp_lg_u32 s42, s62
	v_sub_u32_e32 v1, v1, v4
	v_add_u32_e32 v4, v3, v5
	v_mul_lo_u32 v5, v1, s4
	v_mul_lo_u32 v6, v1, s5
	v_lshrrev_b32_e32 v1, s17, v4
	v_mul_lo_u32 v4, v1, s15
	v_mul_hi_u32 v7, s19, v1
	v_sub_u32_e32 v3, v3, v4
	v_add_u32_e32 v4, v1, v7
	v_lshrrev_b32_e32 v4, s36, v4
	v_mul_hi_u32 v8, s38, v4
	v_mul_lo_u32 v9, v4, s18
	v_mul_lo_u32 v7, v3, s6
	;; [unrolled: 1-line block ×3, first 2 shown]
	v_sub_u32_e32 v9, v1, v9
	v_add_u32_e32 v1, v4, v8
	v_lshrrev_b32_e32 v1, s39, v1
	v_mul_lo_u32 v8, v1, s37
	v_mul_lo_u32 v10, v9, s8
	v_mul_lo_u32 v9, v9, s9
	v_add3_u32 v0, v5, v0, v7
	v_sub_u32_e32 v4, v4, v8
	v_mul_lo_u32 v8, v4, s10
	v_mul_lo_u32 v4, v4, s11
	v_add3_u32 v2, v6, v2, v3
	v_add3_u32 v0, v10, v0, v8
	;; [unrolled: 1-line block ×3, first 2 shown]
	s_cbranch_scc1 .LBB109_6
	s_branch .LBB109_132
.LBB109_7:
	s_andn2_saveexec_b64 s[0:1], s[40:41]
	s_cbranch_execz .LBB109_221
.LBB109_8:
	v_cndmask_b32_e64 v0, 0, 1, s[2:3]
	v_cmp_ne_u32_e64 s[0:1], 1, v0
	s_andn2_b64 vcc, exec, s[2:3]
	s_cbranch_vccnz .LBB109_20
; %bb.9:
	s_cmp_lg_u32 s33, 0
	s_mov_b32 s26, 0
	s_cbranch_scc0 .LBB109_23
; %bb.10:
	s_min_u32 s27, s58, 15
	s_add_i32 s27, s27, 1
	s_cmp_eq_u32 s58, 2
	s_cbranch_scc1 .LBB109_24
; %bb.11:
	s_and_b32 s26, s27, 28
	s_add_u32 s2, s34, 0xc4
	s_addc_u32 s3, s35, 0
	v_mov_b32_e32 v2, 0
	s_mov_b32 s28, 0
	s_mov_b64 s[24:25], s[34:35]
	v_mov_b32_e32 v0, 0
	v_mov_b32_e32 v1, v19
.LBB109_12:                             ; =>This Inner Loop Header: Depth=1
	s_load_dwordx8 s[12:19], s[24:25], 0x4
	s_load_dwordx4 s[20:23], s[24:25], 0x24
	s_load_dwordx8 s[4:11], s[2:3], 0x0
	s_add_u32 s24, s24, 48
	s_addc_u32 s25, s25, 0
	s_waitcnt lgkmcnt(0)
	v_mul_hi_u32 v3, s13, v1
	s_add_i32 s28, s28, 4
	s_add_u32 s2, s2, 32
	s_addc_u32 s3, s3, 0
	v_add_u32_e32 v3, v1, v3
	v_lshrrev_b32_e32 v3, s14, v3
	v_mul_lo_u32 v4, v3, s12
	v_mul_hi_u32 v5, s16, v3
	s_cmp_lg_u32 s26, s28
	v_sub_u32_e32 v1, v1, v4
	v_add_u32_e32 v4, v3, v5
	v_mul_lo_u32 v5, v1, s4
	v_mul_lo_u32 v6, v1, s5
	v_lshrrev_b32_e32 v1, s17, v4
	v_mul_lo_u32 v4, v1, s15
	v_mul_hi_u32 v7, s19, v1
	v_sub_u32_e32 v3, v3, v4
	v_add_u32_e32 v4, v1, v7
	v_lshrrev_b32_e32 v4, s20, v4
	v_mul_hi_u32 v8, s22, v4
	v_mul_lo_u32 v9, v4, s18
	v_mul_lo_u32 v7, v3, s6
	;; [unrolled: 1-line block ×3, first 2 shown]
	v_sub_u32_e32 v9, v1, v9
	v_add_u32_e32 v1, v4, v8
	v_lshrrev_b32_e32 v1, s23, v1
	v_mul_lo_u32 v8, v1, s21
	v_mul_lo_u32 v10, v9, s8
	v_mul_lo_u32 v9, v9, s9
	v_add3_u32 v0, v5, v0, v7
	v_sub_u32_e32 v4, v4, v8
	v_mul_lo_u32 v8, v4, s10
	v_mul_lo_u32 v4, v4, s11
	v_add3_u32 v2, v6, v2, v3
	v_add3_u32 v0, v10, v0, v8
	;; [unrolled: 1-line block ×3, first 2 shown]
	s_cbranch_scc1 .LBB109_12
; %bb.13:
	s_and_b32 s6, s27, 3
	s_cmp_eq_u32 s6, 0
	s_cbranch_scc0 .LBB109_25
	s_branch .LBB109_27
.LBB109_14:
	s_or_b64 exec, exec, s[52:53]
	v_cmp_gt_i32_e32 vcc, s59, v19
	s_and_saveexec_b64 s[52:53], vcc
	s_cbranch_execz .LBB109_139
.LBB109_15:
	s_andn2_b64 vcc, exec, s[2:3]
	s_cbranch_vccnz .LBB109_22
; %bb.16:
	s_andn2_b64 vcc, exec, s[50:51]
	s_cbranch_vccnz .LBB109_130
; %bb.17:
	s_add_i32 s61, s60, 1
	s_cmp_eq_u32 s58, 2
	s_cbranch_scc1 .LBB109_147
; %bb.18:
	s_and_b32 s42, s61, 28
	v_mov_b32_e32 v2, 0
	s_mov_b32 s62, 0
	s_mov_b64 s[54:55], s[34:35]
	s_mov_b64 s[56:57], s[48:49]
	v_mov_b32_e32 v0, 0
	v_mov_b32_e32 v1, v19
.LBB109_19:                             ; =>This Inner Loop Header: Depth=1
	s_load_dwordx8 s[12:19], s[54:55], 0x4
	s_load_dwordx4 s[36:39], s[54:55], 0x24
	s_load_dwordx8 s[4:11], s[56:57], 0x0
	s_add_u32 s54, s54, 48
	s_addc_u32 s55, s55, 0
	s_waitcnt lgkmcnt(0)
	v_mul_hi_u32 v3, s13, v1
	s_add_i32 s62, s62, 4
	s_add_u32 s56, s56, 32
	s_addc_u32 s57, s57, 0
	v_add_u32_e32 v3, v1, v3
	v_lshrrev_b32_e32 v3, s14, v3
	v_mul_lo_u32 v4, v3, s12
	v_mul_hi_u32 v5, s16, v3
	s_cmp_eq_u32 s42, s62
	v_sub_u32_e32 v1, v1, v4
	v_add_u32_e32 v4, v3, v5
	v_mul_lo_u32 v5, v1, s4
	v_mul_lo_u32 v6, v1, s5
	v_lshrrev_b32_e32 v1, s17, v4
	v_mul_lo_u32 v4, v1, s15
	v_mul_hi_u32 v7, s19, v1
	v_sub_u32_e32 v3, v3, v4
	v_add_u32_e32 v4, v1, v7
	v_lshrrev_b32_e32 v4, s36, v4
	v_mul_hi_u32 v8, s38, v4
	v_mul_lo_u32 v9, v4, s18
	v_mul_lo_u32 v7, v3, s6
	;; [unrolled: 1-line block ×3, first 2 shown]
	v_sub_u32_e32 v9, v1, v9
	v_add_u32_e32 v1, v4, v8
	v_lshrrev_b32_e32 v1, s39, v1
	v_mul_lo_u32 v8, v1, s37
	v_mul_lo_u32 v10, v9, s8
	;; [unrolled: 1-line block ×3, first 2 shown]
	v_add3_u32 v0, v5, v0, v7
	v_sub_u32_e32 v4, v4, v8
	v_mul_lo_u32 v8, v4, s10
	v_mul_lo_u32 v4, v4, s11
	v_add3_u32 v2, v6, v2, v3
	v_add3_u32 v0, v10, v0, v8
	;; [unrolled: 1-line block ×3, first 2 shown]
	s_cbranch_scc0 .LBB109_19
	s_branch .LBB109_148
.LBB109_20:
                                        ; implicit-def: $vgpr0
                                        ; implicit-def: $vgpr2
	s_branch .LBB109_28
.LBB109_21:
                                        ; implicit-def: $vgpr0
                                        ; implicit-def: $vgpr2
	s_branch .LBB109_136
.LBB109_22:
                                        ; implicit-def: $vgpr0
                                        ; implicit-def: $vgpr2
	s_branch .LBB109_152
.LBB109_23:
	v_mov_b32_e32 v0, 0
	v_mov_b32_e32 v2, 0
	s_branch .LBB109_27
.LBB109_24:
	v_mov_b32_e32 v0, 0
	v_mov_b32_e32 v2, 0
	;; [unrolled: 1-line block ×3, first 2 shown]
	s_and_b32 s6, s27, 3
	s_cmp_eq_u32 s6, 0
	s_cbranch_scc1 .LBB109_27
.LBB109_25:
	s_lshl_b32 s2, s26, 3
	s_add_u32 s2, s34, s2
	s_addc_u32 s3, s35, 0
	s_add_u32 s2, s2, 0xc4
	s_addc_u32 s3, s3, 0
	s_mul_i32 s4, s26, 12
	s_add_u32 s4, s34, s4
	s_addc_u32 s5, s35, 0
.LBB109_26:                             ; =>This Inner Loop Header: Depth=1
	s_load_dwordx2 s[8:9], s[4:5], 0x4
	s_load_dword s7, s[4:5], 0xc
	s_load_dwordx2 s[10:11], s[2:3], 0x0
	s_add_u32 s4, s4, 12
	s_addc_u32 s5, s5, 0
	s_waitcnt lgkmcnt(0)
	v_mul_hi_u32 v4, s9, v1
	s_add_u32 s2, s2, 8
	s_addc_u32 s3, s3, 0
	s_add_i32 s6, s6, -1
	v_add_u32_e32 v4, v1, v4
	v_lshrrev_b32_e32 v4, s7, v4
	v_mul_lo_u32 v5, v4, s8
	s_cmp_lg_u32 s6, 0
	v_sub_u32_e32 v5, v1, v5
	v_mad_u64_u32 v[0:1], s[8:9], v5, s10, v[0:1]
	v_mad_u64_u32 v[2:3], s[8:9], v5, s11, v[2:3]
	v_mov_b32_e32 v1, v4
	s_cbranch_scc1 .LBB109_26
.LBB109_27:
	s_cbranch_execnz .LBB109_30
.LBB109_28:
	s_load_dwordx4 s[4:7], s[34:35], 0x4
	s_load_dwordx2 s[2:3], s[34:35], 0xc4
	s_cmp_lt_u32 s33, 2
	s_waitcnt lgkmcnt(0)
	v_mul_hi_u32 v0, s5, v19
	v_add_u32_e32 v0, v19, v0
	v_lshrrev_b32_e32 v1, s6, v0
	v_mul_lo_u32 v0, v1, s4
	v_sub_u32_e32 v2, v19, v0
	v_mul_lo_u32 v0, v2, s2
	v_mul_lo_u32 v2, v2, s3
	s_cbranch_scc1 .LBB109_30
; %bb.29:
	s_load_dwordx4 s[4:7], s[34:35], 0x10
	s_load_dwordx2 s[2:3], s[34:35], 0xcc
	s_waitcnt lgkmcnt(0)
	v_mul_hi_u32 v3, s5, v1
	v_add_u32_e32 v3, v1, v3
	v_lshrrev_b32_e32 v3, s6, v3
	v_mul_lo_u32 v3, v3, s4
	v_sub_u32_e32 v3, v1, v3
	v_mad_u64_u32 v[0:1], s[4:5], v3, s2, v[0:1]
	v_mad_u64_u32 v[2:3], s[2:3], v3, s3, v[2:3]
.LBB109_30:
	s_and_b64 vcc, exec, s[0:1]
	v_add_u32_e32 v1, 0x80, v19
	s_cbranch_vccnz .LBB109_36
; %bb.31:
	s_cmp_lg_u32 s33, 0
	s_mov_b32 s26, 0
	s_cbranch_scc0 .LBB109_37
; %bb.32:
	s_min_u32 s27, s58, 15
	s_add_i32 s27, s27, 1
	s_cmp_eq_u32 s58, 2
	s_cbranch_scc1 .LBB109_38
; %bb.33:
	s_and_b32 s26, s27, 28
	s_add_u32 s2, s34, 0xc4
	s_addc_u32 s3, s35, 0
	v_mov_b32_e32 v5, 0
	s_mov_b32 s28, 0
	s_mov_b64 s[24:25], s[34:35]
	v_mov_b32_e32 v3, 0
	v_mov_b32_e32 v4, v1
.LBB109_34:                             ; =>This Inner Loop Header: Depth=1
	s_load_dwordx8 s[12:19], s[24:25], 0x4
	s_load_dwordx4 s[20:23], s[24:25], 0x24
	s_load_dwordx8 s[4:11], s[2:3], 0x0
	s_add_u32 s24, s24, 48
	s_addc_u32 s25, s25, 0
	s_waitcnt lgkmcnt(0)
	v_mul_hi_u32 v6, s13, v4
	s_add_i32 s28, s28, 4
	s_add_u32 s2, s2, 32
	s_addc_u32 s3, s3, 0
	v_add_u32_e32 v6, v4, v6
	v_lshrrev_b32_e32 v6, s14, v6
	v_mul_lo_u32 v7, v6, s12
	v_mul_hi_u32 v8, s16, v6
	s_cmp_lg_u32 s26, s28
	v_sub_u32_e32 v4, v4, v7
	v_add_u32_e32 v7, v6, v8
	v_mul_lo_u32 v8, v4, s4
	v_mul_lo_u32 v9, v4, s5
	v_lshrrev_b32_e32 v4, s17, v7
	v_mul_lo_u32 v7, v4, s15
	v_mul_hi_u32 v10, s19, v4
	v_sub_u32_e32 v6, v6, v7
	v_add_u32_e32 v7, v4, v10
	v_lshrrev_b32_e32 v7, s20, v7
	v_mul_hi_u32 v11, s22, v7
	v_mul_lo_u32 v12, v7, s18
	v_mul_lo_u32 v10, v6, s6
	;; [unrolled: 1-line block ×3, first 2 shown]
	v_sub_u32_e32 v12, v4, v12
	v_add_u32_e32 v4, v7, v11
	v_lshrrev_b32_e32 v4, s23, v4
	v_mul_lo_u32 v11, v4, s21
	v_mul_lo_u32 v13, v12, s8
	;; [unrolled: 1-line block ×3, first 2 shown]
	v_add3_u32 v3, v8, v3, v10
	v_sub_u32_e32 v7, v7, v11
	v_mul_lo_u32 v11, v7, s10
	v_mul_lo_u32 v7, v7, s11
	v_add3_u32 v5, v9, v5, v6
	v_add3_u32 v3, v13, v3, v11
	;; [unrolled: 1-line block ×3, first 2 shown]
	s_cbranch_scc1 .LBB109_34
; %bb.35:
	s_and_b32 s6, s27, 3
	s_cmp_eq_u32 s6, 0
	s_cbranch_scc0 .LBB109_39
	s_branch .LBB109_41
.LBB109_36:
                                        ; implicit-def: $vgpr3
                                        ; implicit-def: $vgpr5
	s_branch .LBB109_42
.LBB109_37:
	v_mov_b32_e32 v3, 0
	v_mov_b32_e32 v5, 0
	s_branch .LBB109_41
.LBB109_38:
	v_mov_b32_e32 v3, 0
	v_mov_b32_e32 v5, 0
	v_mov_b32_e32 v4, v1
	s_and_b32 s6, s27, 3
	s_cmp_eq_u32 s6, 0
	s_cbranch_scc1 .LBB109_41
.LBB109_39:
	s_lshl_b32 s2, s26, 3
	s_add_u32 s2, s34, s2
	s_addc_u32 s3, s35, 0
	s_add_u32 s2, s2, 0xc4
	s_addc_u32 s3, s3, 0
	s_mul_i32 s4, s26, 12
	s_add_u32 s4, s34, s4
	s_addc_u32 s5, s35, 0
.LBB109_40:                             ; =>This Inner Loop Header: Depth=1
	s_load_dwordx2 s[8:9], s[4:5], 0x4
	s_load_dword s7, s[4:5], 0xc
	s_load_dwordx2 s[10:11], s[2:3], 0x0
	s_add_u32 s4, s4, 12
	s_addc_u32 s5, s5, 0
	s_waitcnt lgkmcnt(0)
	v_mul_hi_u32 v7, s9, v4
	s_add_u32 s2, s2, 8
	s_addc_u32 s3, s3, 0
	s_add_i32 s6, s6, -1
	v_add_u32_e32 v7, v4, v7
	v_lshrrev_b32_e32 v7, s7, v7
	v_mul_lo_u32 v8, v7, s8
	s_cmp_lg_u32 s6, 0
	v_sub_u32_e32 v8, v4, v8
	v_mad_u64_u32 v[3:4], s[8:9], v8, s10, v[3:4]
	v_mad_u64_u32 v[5:6], s[8:9], v8, s11, v[5:6]
	v_mov_b32_e32 v4, v7
	s_cbranch_scc1 .LBB109_40
.LBB109_41:
	s_cbranch_execnz .LBB109_44
.LBB109_42:
	s_load_dwordx4 s[4:7], s[34:35], 0x4
	s_load_dwordx2 s[2:3], s[34:35], 0xc4
	s_cmp_lt_u32 s33, 2
	s_waitcnt lgkmcnt(0)
	v_mul_hi_u32 v3, s5, v1
	v_add_u32_e32 v3, v1, v3
	v_lshrrev_b32_e32 v4, s6, v3
	v_mul_lo_u32 v3, v4, s4
	v_sub_u32_e32 v1, v1, v3
	v_mul_lo_u32 v3, v1, s2
	v_mul_lo_u32 v5, v1, s3
	s_cbranch_scc1 .LBB109_44
; %bb.43:
	s_load_dwordx4 s[4:7], s[34:35], 0x10
	s_load_dwordx2 s[2:3], s[34:35], 0xcc
	s_waitcnt lgkmcnt(0)
	v_mul_hi_u32 v1, s5, v4
	v_add_u32_e32 v1, v4, v1
	v_lshrrev_b32_e32 v1, s6, v1
	v_mul_lo_u32 v1, v1, s4
	v_sub_u32_e32 v1, v4, v1
	v_mad_u64_u32 v[3:4], s[4:5], v1, s2, v[3:4]
	v_mad_u64_u32 v[5:6], s[2:3], v1, s3, v[5:6]
.LBB109_44:
	s_and_b64 vcc, exec, s[0:1]
	v_add_u32_e32 v1, 0x100, v19
	s_cbranch_vccnz .LBB109_50
; %bb.45:
	s_cmp_lg_u32 s33, 0
	s_mov_b32 s26, 0
	s_cbranch_scc0 .LBB109_51
; %bb.46:
	s_min_u32 s27, s58, 15
	s_add_i32 s27, s27, 1
	s_cmp_eq_u32 s58, 2
	s_cbranch_scc1 .LBB109_52
; %bb.47:
	s_and_b32 s26, s27, 28
	s_add_u32 s2, s34, 0xc4
	s_addc_u32 s3, s35, 0
	v_mov_b32_e32 v8, 0
	s_mov_b32 s28, 0
	s_mov_b64 s[24:25], s[34:35]
	v_mov_b32_e32 v6, 0
	v_mov_b32_e32 v4, v1
.LBB109_48:                             ; =>This Inner Loop Header: Depth=1
	s_load_dwordx8 s[12:19], s[24:25], 0x4
	s_load_dwordx4 s[20:23], s[24:25], 0x24
	s_load_dwordx8 s[4:11], s[2:3], 0x0
	s_add_u32 s24, s24, 48
	s_addc_u32 s25, s25, 0
	s_waitcnt lgkmcnt(0)
	v_mul_hi_u32 v7, s13, v4
	s_add_i32 s28, s28, 4
	s_add_u32 s2, s2, 32
	s_addc_u32 s3, s3, 0
	v_add_u32_e32 v7, v4, v7
	v_lshrrev_b32_e32 v7, s14, v7
	v_mul_lo_u32 v9, v7, s12
	v_mul_hi_u32 v10, s16, v7
	s_cmp_lg_u32 s26, s28
	v_sub_u32_e32 v4, v4, v9
	v_add_u32_e32 v9, v7, v10
	v_mul_lo_u32 v10, v4, s4
	v_mul_lo_u32 v11, v4, s5
	v_lshrrev_b32_e32 v4, s17, v9
	v_mul_lo_u32 v9, v4, s15
	v_mul_hi_u32 v12, s19, v4
	v_sub_u32_e32 v7, v7, v9
	v_add_u32_e32 v9, v4, v12
	v_lshrrev_b32_e32 v9, s20, v9
	v_mul_hi_u32 v13, s22, v9
	v_mul_lo_u32 v14, v9, s18
	v_mul_lo_u32 v12, v7, s6
	;; [unrolled: 1-line block ×3, first 2 shown]
	v_sub_u32_e32 v14, v4, v14
	v_add_u32_e32 v4, v9, v13
	v_lshrrev_b32_e32 v4, s23, v4
	v_mul_lo_u32 v13, v4, s21
	v_mul_lo_u32 v15, v14, s8
	;; [unrolled: 1-line block ×3, first 2 shown]
	v_add3_u32 v6, v10, v6, v12
	v_sub_u32_e32 v9, v9, v13
	v_mul_lo_u32 v13, v9, s10
	v_mul_lo_u32 v9, v9, s11
	v_add3_u32 v7, v11, v8, v7
	v_add3_u32 v6, v15, v6, v13
	;; [unrolled: 1-line block ×3, first 2 shown]
	s_cbranch_scc1 .LBB109_48
; %bb.49:
	s_and_b32 s6, s27, 3
	s_cmp_eq_u32 s6, 0
	s_cbranch_scc0 .LBB109_53
	s_branch .LBB109_55
.LBB109_50:
                                        ; implicit-def: $vgpr6
                                        ; implicit-def: $vgpr8
	s_branch .LBB109_56
.LBB109_51:
	v_mov_b32_e32 v6, 0
	v_mov_b32_e32 v8, 0
	s_branch .LBB109_55
.LBB109_52:
	v_mov_b32_e32 v6, 0
	v_mov_b32_e32 v8, 0
	;; [unrolled: 1-line block ×3, first 2 shown]
	s_and_b32 s6, s27, 3
	s_cmp_eq_u32 s6, 0
	s_cbranch_scc1 .LBB109_55
.LBB109_53:
	s_lshl_b32 s2, s26, 3
	s_add_u32 s2, s34, s2
	s_addc_u32 s3, s35, 0
	s_add_u32 s2, s2, 0xc4
	s_addc_u32 s3, s3, 0
	s_mul_i32 s4, s26, 12
	s_add_u32 s4, s34, s4
	s_addc_u32 s5, s35, 0
.LBB109_54:                             ; =>This Inner Loop Header: Depth=1
	s_load_dwordx2 s[8:9], s[4:5], 0x4
	s_load_dword s7, s[4:5], 0xc
	s_load_dwordx2 s[10:11], s[2:3], 0x0
	s_add_u32 s4, s4, 12
	s_addc_u32 s5, s5, 0
	s_waitcnt lgkmcnt(0)
	v_mul_hi_u32 v7, s9, v4
	s_add_u32 s2, s2, 8
	s_addc_u32 s3, s3, 0
	s_add_i32 s6, s6, -1
	v_add_u32_e32 v7, v4, v7
	v_lshrrev_b32_e32 v10, s7, v7
	v_mul_lo_u32 v7, v10, s8
	s_cmp_lg_u32 s6, 0
	v_sub_u32_e32 v4, v4, v7
	v_mad_u64_u32 v[6:7], s[8:9], v4, s10, v[6:7]
	v_mad_u64_u32 v[8:9], s[8:9], v4, s11, v[8:9]
	v_mov_b32_e32 v4, v10
	s_cbranch_scc1 .LBB109_54
.LBB109_55:
	s_cbranch_execnz .LBB109_58
.LBB109_56:
	s_load_dwordx4 s[4:7], s[34:35], 0x4
	s_load_dwordx2 s[2:3], s[34:35], 0xc4
	s_cmp_lt_u32 s33, 2
	s_waitcnt lgkmcnt(0)
	v_mul_hi_u32 v4, s5, v1
	v_add_u32_e32 v4, v1, v4
	v_lshrrev_b32_e32 v4, s6, v4
	v_mul_lo_u32 v6, v4, s4
	v_sub_u32_e32 v1, v1, v6
	v_mul_lo_u32 v6, v1, s2
	v_mul_lo_u32 v8, v1, s3
	s_cbranch_scc1 .LBB109_58
; %bb.57:
	s_load_dwordx4 s[4:7], s[34:35], 0x10
	s_load_dwordx2 s[2:3], s[34:35], 0xcc
	s_waitcnt lgkmcnt(0)
	v_mul_hi_u32 v1, s5, v4
	v_add_u32_e32 v1, v4, v1
	v_lshrrev_b32_e32 v1, s6, v1
	v_mul_lo_u32 v1, v1, s4
	v_sub_u32_e32 v1, v4, v1
	v_mad_u64_u32 v[6:7], s[4:5], v1, s2, v[6:7]
	v_mad_u64_u32 v[8:9], s[2:3], v1, s3, v[8:9]
.LBB109_58:
	s_and_b64 vcc, exec, s[0:1]
	v_add_u32_e32 v1, 0x180, v19
	s_cbranch_vccnz .LBB109_64
; %bb.59:
	s_cmp_lg_u32 s33, 0
	s_mov_b32 s26, 0
	s_cbranch_scc0 .LBB109_65
; %bb.60:
	s_min_u32 s27, s58, 15
	s_add_i32 s27, s27, 1
	s_cmp_eq_u32 s58, 2
	s_cbranch_scc1 .LBB109_66
; %bb.61:
	s_and_b32 s26, s27, 28
	s_add_u32 s2, s34, 0xc4
	s_addc_u32 s3, s35, 0
	v_mov_b32_e32 v11, 0
	s_mov_b32 s28, 0
	s_mov_b64 s[24:25], s[34:35]
	v_mov_b32_e32 v9, 0
	v_mov_b32_e32 v4, v1
.LBB109_62:                             ; =>This Inner Loop Header: Depth=1
	s_load_dwordx8 s[12:19], s[24:25], 0x4
	s_load_dwordx4 s[20:23], s[24:25], 0x24
	s_load_dwordx8 s[4:11], s[2:3], 0x0
	s_add_u32 s24, s24, 48
	s_addc_u32 s25, s25, 0
	s_waitcnt lgkmcnt(0)
	v_mul_hi_u32 v7, s13, v4
	s_add_i32 s28, s28, 4
	s_add_u32 s2, s2, 32
	s_addc_u32 s3, s3, 0
	v_add_u32_e32 v7, v4, v7
	v_lshrrev_b32_e32 v7, s14, v7
	v_mul_lo_u32 v10, v7, s12
	v_mul_hi_u32 v12, s16, v7
	s_cmp_lg_u32 s26, s28
	v_sub_u32_e32 v4, v4, v10
	v_add_u32_e32 v10, v7, v12
	v_mul_lo_u32 v12, v4, s4
	v_mul_lo_u32 v13, v4, s5
	v_lshrrev_b32_e32 v4, s17, v10
	v_mul_lo_u32 v10, v4, s15
	v_mul_hi_u32 v14, s19, v4
	v_sub_u32_e32 v7, v7, v10
	v_add_u32_e32 v10, v4, v14
	v_lshrrev_b32_e32 v10, s20, v10
	v_mul_hi_u32 v15, s22, v10
	v_mul_lo_u32 v16, v10, s18
	v_mul_lo_u32 v14, v7, s6
	;; [unrolled: 1-line block ×3, first 2 shown]
	v_sub_u32_e32 v16, v4, v16
	v_add_u32_e32 v4, v10, v15
	v_lshrrev_b32_e32 v4, s23, v4
	v_mul_lo_u32 v15, v4, s21
	v_mul_lo_u32 v17, v16, s8
	;; [unrolled: 1-line block ×3, first 2 shown]
	v_add3_u32 v9, v12, v9, v14
	v_sub_u32_e32 v10, v10, v15
	v_mul_lo_u32 v15, v10, s10
	v_mul_lo_u32 v10, v10, s11
	v_add3_u32 v7, v13, v11, v7
	v_add3_u32 v9, v17, v9, v15
	;; [unrolled: 1-line block ×3, first 2 shown]
	s_cbranch_scc1 .LBB109_62
; %bb.63:
	s_and_b32 s6, s27, 3
	s_cmp_eq_u32 s6, 0
	s_cbranch_scc0 .LBB109_67
	s_branch .LBB109_69
.LBB109_64:
                                        ; implicit-def: $vgpr9
                                        ; implicit-def: $vgpr11
	s_branch .LBB109_70
.LBB109_65:
	v_mov_b32_e32 v9, 0
	v_mov_b32_e32 v11, 0
	s_branch .LBB109_69
.LBB109_66:
	v_mov_b32_e32 v9, 0
	v_mov_b32_e32 v11, 0
	;; [unrolled: 1-line block ×3, first 2 shown]
	s_and_b32 s6, s27, 3
	s_cmp_eq_u32 s6, 0
	s_cbranch_scc1 .LBB109_69
.LBB109_67:
	s_lshl_b32 s2, s26, 3
	s_add_u32 s2, s34, s2
	s_addc_u32 s3, s35, 0
	s_add_u32 s2, s2, 0xc4
	s_addc_u32 s3, s3, 0
	s_mul_i32 s4, s26, 12
	s_add_u32 s4, s34, s4
	s_addc_u32 s5, s35, 0
.LBB109_68:                             ; =>This Inner Loop Header: Depth=1
	s_load_dwordx2 s[8:9], s[4:5], 0x4
	s_load_dword s7, s[4:5], 0xc
	s_load_dwordx2 s[10:11], s[2:3], 0x0
	s_add_u32 s4, s4, 12
	s_addc_u32 s5, s5, 0
	s_waitcnt lgkmcnt(0)
	v_mul_hi_u32 v7, s9, v4
	s_add_u32 s2, s2, 8
	s_addc_u32 s3, s3, 0
	s_add_i32 s6, s6, -1
	v_add_u32_e32 v7, v4, v7
	v_lshrrev_b32_e32 v7, s7, v7
	v_mul_lo_u32 v10, v7, s8
	s_cmp_lg_u32 s6, 0
	v_sub_u32_e32 v4, v4, v10
	v_mad_u64_u32 v[9:10], s[8:9], v4, s10, v[9:10]
	v_mad_u64_u32 v[11:12], s[8:9], v4, s11, v[11:12]
	v_mov_b32_e32 v4, v7
	s_cbranch_scc1 .LBB109_68
.LBB109_69:
	s_cbranch_execnz .LBB109_72
.LBB109_70:
	s_load_dwordx4 s[4:7], s[34:35], 0x4
	s_load_dwordx2 s[2:3], s[34:35], 0xc4
	s_cmp_lt_u32 s33, 2
	s_waitcnt lgkmcnt(0)
	v_mul_hi_u32 v4, s5, v1
	v_add_u32_e32 v4, v1, v4
	v_lshrrev_b32_e32 v4, s6, v4
	v_mul_lo_u32 v7, v4, s4
	v_sub_u32_e32 v1, v1, v7
	v_mul_lo_u32 v9, v1, s2
	v_mul_lo_u32 v11, v1, s3
	s_cbranch_scc1 .LBB109_72
; %bb.71:
	s_load_dwordx4 s[4:7], s[34:35], 0x10
	s_load_dwordx2 s[2:3], s[34:35], 0xcc
	s_waitcnt lgkmcnt(0)
	v_mul_hi_u32 v1, s5, v4
	v_add_u32_e32 v1, v4, v1
	v_lshrrev_b32_e32 v1, s6, v1
	v_mul_lo_u32 v1, v1, s4
	v_sub_u32_e32 v1, v4, v1
	v_mad_u64_u32 v[9:10], s[4:5], v1, s2, v[9:10]
	v_mad_u64_u32 v[11:12], s[2:3], v1, s3, v[11:12]
.LBB109_72:
	s_and_b64 vcc, exec, s[0:1]
	v_add_u32_e32 v1, 0x200, v19
	s_cbranch_vccnz .LBB109_78
; %bb.73:
	s_cmp_lg_u32 s33, 0
	s_mov_b32 s26, 0
	s_cbranch_scc0 .LBB109_79
; %bb.74:
	s_min_u32 s27, s58, 15
	s_add_i32 s27, s27, 1
	s_cmp_eq_u32 s58, 2
	s_cbranch_scc1 .LBB109_80
; %bb.75:
	s_and_b32 s26, s27, 28
	s_add_u32 s2, s34, 0xc4
	s_addc_u32 s3, s35, 0
	v_mov_b32_e32 v14, 0
	s_mov_b32 s28, 0
	s_mov_b64 s[24:25], s[34:35]
	v_mov_b32_e32 v12, 0
	v_mov_b32_e32 v4, v1
.LBB109_76:                             ; =>This Inner Loop Header: Depth=1
	s_load_dwordx8 s[12:19], s[24:25], 0x4
	s_load_dwordx4 s[20:23], s[24:25], 0x24
	s_load_dwordx8 s[4:11], s[2:3], 0x0
	s_add_u32 s24, s24, 48
	s_addc_u32 s25, s25, 0
	s_waitcnt lgkmcnt(0)
	v_mul_hi_u32 v7, s13, v4
	s_add_i32 s28, s28, 4
	s_add_u32 s2, s2, 32
	s_addc_u32 s3, s3, 0
	v_add_u32_e32 v7, v4, v7
	v_lshrrev_b32_e32 v7, s14, v7
	v_mul_lo_u32 v10, v7, s12
	v_mul_hi_u32 v13, s16, v7
	s_cmp_lg_u32 s26, s28
	v_sub_u32_e32 v4, v4, v10
	v_add_u32_e32 v10, v7, v13
	v_mul_lo_u32 v13, v4, s4
	v_mul_lo_u32 v15, v4, s5
	v_lshrrev_b32_e32 v4, s17, v10
	v_mul_lo_u32 v10, v4, s15
	v_mul_hi_u32 v16, s19, v4
	v_sub_u32_e32 v7, v7, v10
	v_add_u32_e32 v10, v4, v16
	v_lshrrev_b32_e32 v10, s20, v10
	v_mul_hi_u32 v17, s22, v10
	v_mul_lo_u32 v18, v10, s18
	v_mul_lo_u32 v16, v7, s6
	;; [unrolled: 1-line block ×3, first 2 shown]
	v_sub_u32_e32 v18, v4, v18
	v_add_u32_e32 v4, v10, v17
	v_lshrrev_b32_e32 v4, s23, v4
	v_mul_lo_u32 v17, v4, s21
	v_mul_lo_u32 v20, v18, s8
	;; [unrolled: 1-line block ×3, first 2 shown]
	v_add3_u32 v12, v13, v12, v16
	v_sub_u32_e32 v10, v10, v17
	v_mul_lo_u32 v17, v10, s10
	v_mul_lo_u32 v10, v10, s11
	v_add3_u32 v7, v15, v14, v7
	v_add3_u32 v12, v20, v12, v17
	;; [unrolled: 1-line block ×3, first 2 shown]
	s_cbranch_scc1 .LBB109_76
; %bb.77:
	s_and_b32 s6, s27, 3
	s_cmp_eq_u32 s6, 0
	s_cbranch_scc0 .LBB109_81
	s_branch .LBB109_83
.LBB109_78:
                                        ; implicit-def: $vgpr12
                                        ; implicit-def: $vgpr14
	s_branch .LBB109_84
.LBB109_79:
	v_mov_b32_e32 v12, 0
	v_mov_b32_e32 v14, 0
	s_branch .LBB109_83
.LBB109_80:
	v_mov_b32_e32 v12, 0
	v_mov_b32_e32 v14, 0
	;; [unrolled: 1-line block ×3, first 2 shown]
	s_and_b32 s6, s27, 3
	s_cmp_eq_u32 s6, 0
	s_cbranch_scc1 .LBB109_83
.LBB109_81:
	s_lshl_b32 s2, s26, 3
	s_add_u32 s2, s34, s2
	s_addc_u32 s3, s35, 0
	s_add_u32 s2, s2, 0xc4
	s_addc_u32 s3, s3, 0
	s_mul_i32 s4, s26, 12
	s_add_u32 s4, s34, s4
	s_addc_u32 s5, s35, 0
.LBB109_82:                             ; =>This Inner Loop Header: Depth=1
	s_load_dwordx2 s[8:9], s[4:5], 0x4
	s_load_dword s7, s[4:5], 0xc
	s_load_dwordx2 s[10:11], s[2:3], 0x0
	s_add_u32 s4, s4, 12
	s_addc_u32 s5, s5, 0
	s_waitcnt lgkmcnt(0)
	v_mul_hi_u32 v7, s9, v4
	s_add_u32 s2, s2, 8
	s_addc_u32 s3, s3, 0
	s_add_i32 s6, s6, -1
	v_add_u32_e32 v7, v4, v7
	v_lshrrev_b32_e32 v7, s7, v7
	v_mul_lo_u32 v10, v7, s8
	s_cmp_lg_u32 s6, 0
	v_sub_u32_e32 v4, v4, v10
	v_mad_u64_u32 v[12:13], s[8:9], v4, s10, v[12:13]
	v_mad_u64_u32 v[14:15], s[8:9], v4, s11, v[14:15]
	v_mov_b32_e32 v4, v7
	s_cbranch_scc1 .LBB109_82
.LBB109_83:
	s_cbranch_execnz .LBB109_86
.LBB109_84:
	s_load_dwordx4 s[4:7], s[34:35], 0x4
	s_load_dwordx2 s[2:3], s[34:35], 0xc4
	s_cmp_lt_u32 s33, 2
	s_waitcnt lgkmcnt(0)
	v_mul_hi_u32 v4, s5, v1
	v_add_u32_e32 v4, v1, v4
	v_lshrrev_b32_e32 v4, s6, v4
	v_mul_lo_u32 v7, v4, s4
	v_sub_u32_e32 v1, v1, v7
	v_mul_lo_u32 v12, v1, s2
	v_mul_lo_u32 v14, v1, s3
	s_cbranch_scc1 .LBB109_86
; %bb.85:
	s_load_dwordx4 s[4:7], s[34:35], 0x10
	s_load_dwordx2 s[2:3], s[34:35], 0xcc
	s_waitcnt lgkmcnt(0)
	v_mul_hi_u32 v1, s5, v4
	v_add_u32_e32 v1, v4, v1
	v_lshrrev_b32_e32 v1, s6, v1
	v_mul_lo_u32 v1, v1, s4
	v_sub_u32_e32 v1, v4, v1
	v_mad_u64_u32 v[12:13], s[4:5], v1, s2, v[12:13]
	v_mad_u64_u32 v[14:15], s[2:3], v1, s3, v[14:15]
.LBB109_86:
	s_and_b64 vcc, exec, s[0:1]
	v_add_u32_e32 v1, 0x280, v19
	s_cbranch_vccnz .LBB109_92
; %bb.87:
	s_cmp_lg_u32 s33, 0
	s_mov_b32 s26, 0
	s_cbranch_scc0 .LBB109_93
; %bb.88:
	s_min_u32 s27, s58, 15
	s_add_i32 s27, s27, 1
	s_cmp_eq_u32 s58, 2
	s_cbranch_scc1 .LBB109_94
; %bb.89:
	s_and_b32 s26, s27, 28
	s_add_u32 s2, s34, 0xc4
	s_addc_u32 s3, s35, 0
	v_mov_b32_e32 v17, 0
	s_mov_b32 s28, 0
	s_mov_b64 s[24:25], s[34:35]
	v_mov_b32_e32 v15, 0
	v_mov_b32_e32 v4, v1
.LBB109_90:                             ; =>This Inner Loop Header: Depth=1
	s_load_dwordx8 s[12:19], s[24:25], 0x4
	s_load_dwordx4 s[20:23], s[24:25], 0x24
	s_load_dwordx8 s[4:11], s[2:3], 0x0
	s_add_u32 s24, s24, 48
	s_addc_u32 s25, s25, 0
	s_waitcnt lgkmcnt(0)
	v_mul_hi_u32 v7, s13, v4
	s_add_i32 s28, s28, 4
	s_add_u32 s2, s2, 32
	s_addc_u32 s3, s3, 0
	v_add_u32_e32 v7, v4, v7
	v_lshrrev_b32_e32 v7, s14, v7
	v_mul_lo_u32 v10, v7, s12
	v_mul_hi_u32 v13, s16, v7
	s_cmp_lg_u32 s26, s28
	v_sub_u32_e32 v4, v4, v10
	v_add_u32_e32 v10, v7, v13
	v_mul_lo_u32 v13, v4, s4
	v_mul_lo_u32 v16, v4, s5
	v_lshrrev_b32_e32 v4, s17, v10
	v_mul_lo_u32 v10, v4, s15
	v_mul_hi_u32 v18, s19, v4
	v_sub_u32_e32 v7, v7, v10
	v_add_u32_e32 v10, v4, v18
	v_lshrrev_b32_e32 v10, s20, v10
	v_mul_hi_u32 v20, s22, v10
	v_mul_lo_u32 v21, v10, s18
	v_mul_lo_u32 v18, v7, s6
	;; [unrolled: 1-line block ×3, first 2 shown]
	v_sub_u32_e32 v21, v4, v21
	v_add_u32_e32 v4, v10, v20
	v_lshrrev_b32_e32 v4, s23, v4
	v_mul_lo_u32 v20, v4, s21
	v_mul_lo_u32 v22, v21, s8
	;; [unrolled: 1-line block ×3, first 2 shown]
	v_add3_u32 v13, v13, v15, v18
	v_sub_u32_e32 v10, v10, v20
	v_mul_lo_u32 v20, v10, s10
	v_mul_lo_u32 v10, v10, s11
	v_add3_u32 v7, v16, v17, v7
	v_add3_u32 v15, v22, v13, v20
	;; [unrolled: 1-line block ×3, first 2 shown]
	s_cbranch_scc1 .LBB109_90
; %bb.91:
	s_and_b32 s6, s27, 3
	s_cmp_eq_u32 s6, 0
	s_cbranch_scc0 .LBB109_95
	s_branch .LBB109_97
.LBB109_92:
                                        ; implicit-def: $vgpr15
                                        ; implicit-def: $vgpr17
	s_branch .LBB109_98
.LBB109_93:
	v_mov_b32_e32 v15, 0
	v_mov_b32_e32 v17, 0
	s_branch .LBB109_97
.LBB109_94:
	v_mov_b32_e32 v15, 0
	v_mov_b32_e32 v17, 0
	;; [unrolled: 1-line block ×3, first 2 shown]
	s_and_b32 s6, s27, 3
	s_cmp_eq_u32 s6, 0
	s_cbranch_scc1 .LBB109_97
.LBB109_95:
	s_lshl_b32 s2, s26, 3
	s_add_u32 s2, s34, s2
	s_addc_u32 s3, s35, 0
	s_add_u32 s2, s2, 0xc4
	s_addc_u32 s3, s3, 0
	s_mul_i32 s4, s26, 12
	s_add_u32 s4, s34, s4
	s_addc_u32 s5, s35, 0
.LBB109_96:                             ; =>This Inner Loop Header: Depth=1
	s_load_dwordx2 s[8:9], s[4:5], 0x4
	s_load_dword s7, s[4:5], 0xc
	s_load_dwordx2 s[10:11], s[2:3], 0x0
	s_add_u32 s4, s4, 12
	s_addc_u32 s5, s5, 0
	s_waitcnt lgkmcnt(0)
	v_mul_hi_u32 v7, s9, v4
	s_add_u32 s2, s2, 8
	s_addc_u32 s3, s3, 0
	s_add_i32 s6, s6, -1
	v_add_u32_e32 v7, v4, v7
	v_lshrrev_b32_e32 v7, s7, v7
	v_mul_lo_u32 v10, v7, s8
	s_cmp_lg_u32 s6, 0
	v_sub_u32_e32 v4, v4, v10
	v_mad_u64_u32 v[15:16], s[8:9], v4, s10, v[15:16]
	v_mad_u64_u32 v[17:18], s[8:9], v4, s11, v[17:18]
	v_mov_b32_e32 v4, v7
	s_cbranch_scc1 .LBB109_96
.LBB109_97:
	s_cbranch_execnz .LBB109_100
.LBB109_98:
	s_load_dwordx4 s[4:7], s[34:35], 0x4
	s_load_dwordx2 s[2:3], s[34:35], 0xc4
	s_cmp_lt_u32 s33, 2
	s_waitcnt lgkmcnt(0)
	v_mul_hi_u32 v4, s5, v1
	v_add_u32_e32 v4, v1, v4
	v_lshrrev_b32_e32 v4, s6, v4
	v_mul_lo_u32 v7, v4, s4
	v_sub_u32_e32 v1, v1, v7
	v_mul_lo_u32 v15, v1, s2
	v_mul_lo_u32 v17, v1, s3
	s_cbranch_scc1 .LBB109_100
; %bb.99:
	s_load_dwordx4 s[4:7], s[34:35], 0x10
	s_load_dwordx2 s[2:3], s[34:35], 0xcc
	s_waitcnt lgkmcnt(0)
	v_mul_hi_u32 v1, s5, v4
	v_add_u32_e32 v1, v4, v1
	v_lshrrev_b32_e32 v1, s6, v1
	v_mul_lo_u32 v1, v1, s4
	v_sub_u32_e32 v1, v4, v1
	v_mad_u64_u32 v[15:16], s[4:5], v1, s2, v[15:16]
	v_mad_u64_u32 v[17:18], s[2:3], v1, s3, v[17:18]
.LBB109_100:
	s_and_b64 vcc, exec, s[0:1]
	v_add_u32_e32 v1, 0x300, v19
	s_cbranch_vccnz .LBB109_106
; %bb.101:
	s_cmp_lg_u32 s33, 0
	s_mov_b32 s26, 0
	s_cbranch_scc0 .LBB109_107
; %bb.102:
	s_min_u32 s27, s58, 15
	s_add_i32 s27, s27, 1
	s_cmp_eq_u32 s58, 2
	s_cbranch_scc1 .LBB109_108
; %bb.103:
	s_and_b32 s26, s27, 28
	s_add_u32 s2, s34, 0xc4
	s_addc_u32 s3, s35, 0
	v_mov_b32_e32 v20, 0
	s_mov_b32 s28, 0
	s_mov_b64 s[24:25], s[34:35]
	v_mov_b32_e32 v18, 0
	v_mov_b32_e32 v4, v1
.LBB109_104:                            ; =>This Inner Loop Header: Depth=1
	s_load_dwordx8 s[12:19], s[24:25], 0x4
	s_load_dwordx4 s[20:23], s[24:25], 0x24
	s_load_dwordx8 s[4:11], s[2:3], 0x0
	s_add_u32 s24, s24, 48
	s_addc_u32 s25, s25, 0
	s_waitcnt lgkmcnt(0)
	v_mul_hi_u32 v7, s13, v4
	s_add_i32 s28, s28, 4
	s_add_u32 s2, s2, 32
	s_addc_u32 s3, s3, 0
	v_add_u32_e32 v7, v4, v7
	v_lshrrev_b32_e32 v7, s14, v7
	v_mul_lo_u32 v10, v7, s12
	v_mul_hi_u32 v13, s16, v7
	s_cmp_lg_u32 s26, s28
	v_sub_u32_e32 v4, v4, v10
	v_add_u32_e32 v10, v7, v13
	v_mul_lo_u32 v13, v4, s4
	v_mul_lo_u32 v16, v4, s5
	v_lshrrev_b32_e32 v4, s17, v10
	v_mul_lo_u32 v10, v4, s15
	v_mul_hi_u32 v19, s19, v4
	v_sub_u32_e32 v7, v7, v10
	v_add_u32_e32 v10, v4, v19
	v_lshrrev_b32_e32 v10, s20, v10
	v_mul_hi_u32 v21, s22, v10
	v_mul_lo_u32 v22, v10, s18
	v_mul_lo_u32 v19, v7, s6
	;; [unrolled: 1-line block ×3, first 2 shown]
	v_sub_u32_e32 v22, v4, v22
	v_add_u32_e32 v4, v10, v21
	v_lshrrev_b32_e32 v4, s23, v4
	v_mul_lo_u32 v21, v4, s21
	v_mul_lo_u32 v23, v22, s8
	;; [unrolled: 1-line block ×3, first 2 shown]
	v_add3_u32 v13, v13, v18, v19
	v_sub_u32_e32 v10, v10, v21
	v_mul_lo_u32 v21, v10, s10
	v_mul_lo_u32 v10, v10, s11
	v_add3_u32 v7, v16, v20, v7
	v_add3_u32 v18, v23, v13, v21
	;; [unrolled: 1-line block ×3, first 2 shown]
	s_cbranch_scc1 .LBB109_104
; %bb.105:
	s_and_b32 s6, s27, 3
	s_cmp_eq_u32 s6, 0
	s_cbranch_scc0 .LBB109_109
	s_branch .LBB109_111
.LBB109_106:
                                        ; implicit-def: $vgpr18
                                        ; implicit-def: $vgpr20
	s_branch .LBB109_112
.LBB109_107:
	v_mov_b32_e32 v18, 0
	v_mov_b32_e32 v20, 0
	s_branch .LBB109_111
.LBB109_108:
	v_mov_b32_e32 v18, 0
	v_mov_b32_e32 v20, 0
	;; [unrolled: 1-line block ×3, first 2 shown]
	s_and_b32 s6, s27, 3
	s_cmp_eq_u32 s6, 0
	s_cbranch_scc1 .LBB109_111
.LBB109_109:
	s_lshl_b32 s2, s26, 3
	s_add_u32 s2, s34, s2
	s_addc_u32 s3, s35, 0
	s_add_u32 s2, s2, 0xc4
	s_addc_u32 s3, s3, 0
	s_mul_i32 s4, s26, 12
	s_add_u32 s4, s34, s4
	s_addc_u32 s5, s35, 0
.LBB109_110:                            ; =>This Inner Loop Header: Depth=1
	s_load_dwordx2 s[8:9], s[4:5], 0x4
	s_load_dword s7, s[4:5], 0xc
	s_load_dwordx2 s[10:11], s[2:3], 0x0
	s_add_u32 s4, s4, 12
	s_addc_u32 s5, s5, 0
	s_waitcnt lgkmcnt(0)
	v_mul_hi_u32 v7, s9, v4
	s_add_u32 s2, s2, 8
	s_addc_u32 s3, s3, 0
	s_add_i32 s6, s6, -1
	v_add_u32_e32 v7, v4, v7
	v_lshrrev_b32_e32 v7, s7, v7
	v_mul_lo_u32 v10, v7, s8
	s_cmp_lg_u32 s6, 0
	v_sub_u32_e32 v4, v4, v10
	v_mad_u64_u32 v[18:19], s[8:9], v4, s10, v[18:19]
	v_mad_u64_u32 v[20:21], s[8:9], v4, s11, v[20:21]
	v_mov_b32_e32 v4, v7
	s_cbranch_scc1 .LBB109_110
.LBB109_111:
	s_cbranch_execnz .LBB109_114
.LBB109_112:
	s_load_dwordx4 s[4:7], s[34:35], 0x4
	s_load_dwordx2 s[2:3], s[34:35], 0xc4
	s_cmp_lt_u32 s33, 2
	s_waitcnt lgkmcnt(0)
	v_mul_hi_u32 v4, s5, v1
	v_add_u32_e32 v4, v1, v4
	v_lshrrev_b32_e32 v4, s6, v4
	v_mul_lo_u32 v7, v4, s4
	v_sub_u32_e32 v1, v1, v7
	v_mul_lo_u32 v18, v1, s2
	v_mul_lo_u32 v20, v1, s3
	s_cbranch_scc1 .LBB109_114
; %bb.113:
	s_load_dwordx4 s[4:7], s[34:35], 0x10
	s_load_dwordx2 s[2:3], s[34:35], 0xcc
	s_waitcnt lgkmcnt(0)
	v_mul_hi_u32 v1, s5, v4
	v_add_u32_e32 v1, v4, v1
	v_lshrrev_b32_e32 v1, s6, v1
	v_mul_lo_u32 v1, v1, s4
	v_sub_u32_e32 v1, v4, v1
	v_mad_u64_u32 v[18:19], s[4:5], v1, s2, v[18:19]
	v_mad_u64_u32 v[20:21], s[2:3], v1, s3, v[20:21]
.LBB109_114:
	s_and_b64 vcc, exec, s[0:1]
	s_cbranch_vccnz .LBB109_120
; %bb.115:
	s_cmp_lg_u32 s33, 0
	s_mov_b32 s24, 0
	s_cbranch_scc0 .LBB109_121
; %bb.116:
	s_min_u32 s25, s58, 15
	s_add_i32 s25, s25, 1
	s_cmp_eq_u32 s58, 2
	s_cbranch_scc1 .LBB109_122
; %bb.117:
	s_and_b32 s24, s25, 28
	s_add_u32 s20, s34, 0xc4
	s_addc_u32 s21, s35, 0
	v_mov_b32_e32 v23, 0
	s_mov_b32 s26, 0
	s_mov_b64 s[22:23], s[34:35]
	v_mov_b32_e32 v21, 0
	v_mov_b32_e32 v1, v25
.LBB109_118:                            ; =>This Inner Loop Header: Depth=1
	s_load_dwordx8 s[8:15], s[22:23], 0x4
	s_load_dwordx4 s[16:19], s[22:23], 0x24
	s_load_dwordx8 s[0:7], s[20:21], 0x0
	s_add_u32 s22, s22, 48
	s_addc_u32 s23, s23, 0
	s_waitcnt lgkmcnt(0)
	v_mul_hi_u32 v4, s9, v1
	s_add_i32 s26, s26, 4
	s_add_u32 s20, s20, 32
	s_addc_u32 s21, s21, 0
	v_add_u32_e32 v4, v1, v4
	v_lshrrev_b32_e32 v4, s10, v4
	v_mul_lo_u32 v7, v4, s8
	v_mul_hi_u32 v10, s12, v4
	s_cmp_lg_u32 s24, s26
	v_sub_u32_e32 v1, v1, v7
	v_add_u32_e32 v7, v4, v10
	v_mul_lo_u32 v10, v1, s0
	v_mul_lo_u32 v13, v1, s1
	v_lshrrev_b32_e32 v1, s13, v7
	v_mul_lo_u32 v7, v1, s11
	v_mul_hi_u32 v16, s15, v1
	v_sub_u32_e32 v4, v4, v7
	v_add_u32_e32 v7, v1, v16
	v_lshrrev_b32_e32 v7, s16, v7
	v_mul_hi_u32 v19, s18, v7
	v_mul_lo_u32 v22, v7, s14
	v_mul_lo_u32 v16, v4, s2
	;; [unrolled: 1-line block ×3, first 2 shown]
	v_sub_u32_e32 v22, v1, v22
	v_add_u32_e32 v1, v7, v19
	v_lshrrev_b32_e32 v1, s19, v1
	v_mul_lo_u32 v19, v1, s17
	v_mul_lo_u32 v24, v22, s4
	;; [unrolled: 1-line block ×3, first 2 shown]
	v_add3_u32 v10, v10, v21, v16
	v_sub_u32_e32 v7, v7, v19
	v_mul_lo_u32 v19, v7, s6
	v_mul_lo_u32 v7, v7, s7
	v_add3_u32 v4, v13, v23, v4
	v_add3_u32 v21, v24, v10, v19
	;; [unrolled: 1-line block ×3, first 2 shown]
	s_cbranch_scc1 .LBB109_118
; %bb.119:
	s_and_b32 s4, s25, 3
	s_cmp_eq_u32 s4, 0
	s_cbranch_scc0 .LBB109_123
	s_branch .LBB109_125
.LBB109_120:
                                        ; implicit-def: $vgpr21
                                        ; implicit-def: $vgpr23
	s_branch .LBB109_126
.LBB109_121:
	v_mov_b32_e32 v21, 0
	v_mov_b32_e32 v23, 0
	s_branch .LBB109_125
.LBB109_122:
	v_mov_b32_e32 v21, 0
	v_mov_b32_e32 v23, 0
	;; [unrolled: 1-line block ×3, first 2 shown]
	s_and_b32 s4, s25, 3
	s_cmp_eq_u32 s4, 0
	s_cbranch_scc1 .LBB109_125
.LBB109_123:
	s_lshl_b32 s0, s24, 3
	s_add_u32 s0, s34, s0
	s_addc_u32 s1, s35, 0
	s_add_u32 s0, s0, 0xc4
	s_addc_u32 s1, s1, 0
	s_mul_i32 s2, s24, 12
	s_add_u32 s2, s34, s2
	s_addc_u32 s3, s35, 0
.LBB109_124:                            ; =>This Inner Loop Header: Depth=1
	s_load_dwordx2 s[6:7], s[2:3], 0x4
	s_load_dword s5, s[2:3], 0xc
	s_load_dwordx2 s[8:9], s[0:1], 0x0
	s_add_u32 s2, s2, 12
	s_addc_u32 s3, s3, 0
	s_waitcnt lgkmcnt(0)
	v_mul_hi_u32 v4, s7, v1
	s_add_u32 s0, s0, 8
	s_addc_u32 s1, s1, 0
	s_add_i32 s4, s4, -1
	v_add_u32_e32 v4, v1, v4
	v_lshrrev_b32_e32 v4, s5, v4
	v_mul_lo_u32 v7, v4, s6
	s_cmp_lg_u32 s4, 0
	v_sub_u32_e32 v1, v1, v7
	v_mad_u64_u32 v[21:22], s[6:7], v1, s8, v[21:22]
	v_mad_u64_u32 v[23:24], s[6:7], v1, s9, v[23:24]
	v_mov_b32_e32 v1, v4
	s_cbranch_scc1 .LBB109_124
.LBB109_125:
	s_cbranch_execnz .LBB109_128
.LBB109_126:
	s_load_dwordx4 s[0:3], s[34:35], 0x4
	s_load_dwordx2 s[4:5], s[34:35], 0xc4
	s_cmp_lt_u32 s33, 2
	s_waitcnt lgkmcnt(0)
	v_mul_hi_u32 v1, s1, v25
	v_add_u32_e32 v1, v25, v1
	v_lshrrev_b32_e32 v1, s2, v1
	v_mul_lo_u32 v4, v1, s0
	v_sub_u32_e32 v4, v25, v4
	v_mul_lo_u32 v21, v4, s4
	v_mul_lo_u32 v23, v4, s5
	s_cbranch_scc1 .LBB109_128
; %bb.127:
	s_load_dwordx4 s[0:3], s[34:35], 0x10
	s_load_dwordx2 s[4:5], s[34:35], 0xcc
	s_waitcnt lgkmcnt(0)
	v_mul_hi_u32 v4, s1, v1
	v_add_u32_e32 v4, v1, v4
	v_lshrrev_b32_e32 v4, s2, v4
	v_mul_lo_u32 v4, v4, s0
	v_sub_u32_e32 v1, v1, v4
	v_mad_u64_u32 v[21:22], s[0:1], v1, s4, v[21:22]
	v_mad_u64_u32 v[23:24], s[0:1], v1, s5, v[23:24]
.LBB109_128:
	s_load_dwordx4 s[4:7], s[34:35], 0x148
	s_load_dwordx2 s[8:9], s[34:35], 0x158
	s_waitcnt lgkmcnt(0)
	global_load_dword v1, v2, s[6:7]
	global_load_dword v4, v5, s[6:7]
	;; [unrolled: 1-line block ×8, first 2 shown]
	s_cmp_eq_u32 s8, 0
	s_waitcnt vmcnt(7)
	v_cmp_neq_f32_e32 vcc, s9, v1
	v_cmp_eq_f32_e64 s[0:1], s9, v1
	v_cndmask_b32_e64 v1, 0, 1, s[0:1]
	v_cndmask_b32_e64 v2, 0, 1, vcc
	s_cselect_b64 vcc, -1, 0
	s_waitcnt vmcnt(6)
	v_cmp_neq_f32_e64 s[0:1], s9, v4
	v_cmp_eq_f32_e64 s[2:3], s9, v4
	v_cndmask_b32_e32 v1, v2, v1, vcc
	v_cndmask_b32_e64 v2, 0, 1, s[2:3]
	v_cndmask_b32_e64 v4, 0, 1, s[0:1]
	s_waitcnt vmcnt(5)
	v_cmp_neq_f32_e64 s[0:1], s9, v7
	v_cmp_eq_f32_e64 s[2:3], s9, v7
	v_cndmask_b32_e32 v2, v4, v2, vcc
	v_cndmask_b32_e64 v4, 0, 1, s[2:3]
	v_cndmask_b32_e64 v5, 0, 1, s[0:1]
	;; [unrolled: 6-line block ×7, first 2 shown]
	v_cndmask_b32_e32 v11, v13, v11, vcc
	v_and_b32_e32 v1, 1, v1
	v_and_b32_e32 v2, 1, v2
	;; [unrolled: 1-line block ×8, first 2 shown]
	global_store_byte v0, v1, s[4:5]
	global_store_byte v3, v2, s[4:5]
	;; [unrolled: 1-line block ×8, first 2 shown]
	s_endpgm
.LBB109_129:
	v_mov_b32_e32 v0, 0
	v_mov_b32_e32 v2, 0
	s_branch .LBB109_135
.LBB109_130:
	v_mov_b32_e32 v0, 0
	v_mov_b32_e32 v2, 0
	s_branch .LBB109_151
.LBB109_131:
	s_mov_b32 s42, 0
	v_mov_b32_e32 v0, 0
	v_mov_b32_e32 v2, 0
	;; [unrolled: 1-line block ×3, first 2 shown]
.LBB109_132:
	s_and_b32 s8, s61, 3
	s_cmp_eq_u32 s8, 0
	s_cbranch_scc1 .LBB109_135
; %bb.133:
	s_lshl_b32 s4, s42, 3
	s_add_u32 s4, s34, s4
	s_addc_u32 s5, s35, 0
	s_add_u32 s4, s4, 0xc4
	s_addc_u32 s5, s5, 0
	s_mul_i32 s6, s42, 12
	s_add_u32 s6, s34, s6
	s_addc_u32 s7, s35, 0
.LBB109_134:                            ; =>This Inner Loop Header: Depth=1
	s_load_dwordx2 s[10:11], s[6:7], 0x4
	s_load_dword s9, s[6:7], 0xc
	s_load_dwordx2 s[12:13], s[4:5], 0x0
	s_add_u32 s6, s6, 12
	s_addc_u32 s7, s7, 0
	s_waitcnt lgkmcnt(0)
	v_mul_hi_u32 v3, s11, v1
	s_add_u32 s4, s4, 8
	s_addc_u32 s5, s5, 0
	s_add_i32 s8, s8, -1
	v_add_u32_e32 v3, v1, v3
	v_lshrrev_b32_e32 v4, s9, v3
	v_mul_lo_u32 v3, v4, s10
	s_cmp_lg_u32 s8, 0
	v_sub_u32_e32 v3, v1, v3
	v_mad_u64_u32 v[0:1], s[10:11], v3, s12, v[0:1]
	v_mad_u64_u32 v[2:3], s[10:11], v3, s13, v[2:3]
	v_mov_b32_e32 v1, v4
	s_cbranch_scc1 .LBB109_134
.LBB109_135:
	s_cbranch_execnz .LBB109_138
.LBB109_136:
	v_mul_hi_u32 v0, s25, v19
	s_andn2_b64 vcc, exec, s[46:47]
	v_add_u32_e32 v0, v19, v0
	v_lshrrev_b32_e32 v1, s26, v0
	v_mul_lo_u32 v0, v1, s24
	v_sub_u32_e32 v2, v19, v0
	v_mul_lo_u32 v0, v2, s28
	v_mul_lo_u32 v2, v2, s29
	s_cbranch_vccnz .LBB109_138
; %bb.137:
	v_mul_hi_u32 v3, s44, v1
	v_add_u32_e32 v3, v1, v3
	v_lshrrev_b32_e32 v3, s45, v3
	v_mul_lo_u32 v3, v3, s27
	v_sub_u32_e32 v3, v1, v3
	v_mad_u64_u32 v[0:1], s[4:5], v3, s30, v[0:1]
	v_mad_u64_u32 v[2:3], s[4:5], v3, s31, v[2:3]
.LBB109_138:
	global_load_dword v1, v2, s[22:23]
	v_add_u32_e32 v19, 0x80, v19
	s_waitcnt vmcnt(0)
	v_cmp_eq_f32_e32 vcc, s43, v1
	v_cndmask_b32_e64 v2, 0, 1, vcc
	v_cmp_neq_f32_e32 vcc, s43, v1
	v_cndmask_b32_e64 v1, 0, 1, vcc
	v_cndmask_b32_e64 v1, v1, v2, s[0:1]
	v_and_b32_e32 v1, 1, v1
	global_store_byte v0, v1, s[20:21]
	s_or_b64 exec, exec, s[52:53]
	v_cmp_gt_i32_e32 vcc, s59, v19
	s_and_saveexec_b64 s[52:53], vcc
	s_cbranch_execnz .LBB109_15
.LBB109_139:
	s_or_b64 exec, exec, s[52:53]
	v_cmp_gt_i32_e32 vcc, s59, v19
	s_and_saveexec_b64 s[52:53], vcc
	s_cbranch_execz .LBB109_155
.LBB109_140:
	s_andn2_b64 vcc, exec, s[2:3]
	s_cbranch_vccnz .LBB109_145
; %bb.141:
	s_andn2_b64 vcc, exec, s[50:51]
	s_cbranch_vccnz .LBB109_146
; %bb.142:
	s_add_i32 s61, s60, 1
	s_cmp_eq_u32 s58, 2
	s_cbranch_scc1 .LBB109_163
; %bb.143:
	s_and_b32 s42, s61, 28
	v_mov_b32_e32 v2, 0
	s_mov_b32 s62, 0
	s_mov_b64 s[54:55], s[34:35]
	s_mov_b64 s[56:57], s[48:49]
	v_mov_b32_e32 v0, 0
	v_mov_b32_e32 v1, v19
.LBB109_144:                            ; =>This Inner Loop Header: Depth=1
	s_load_dwordx8 s[12:19], s[54:55], 0x4
	s_load_dwordx4 s[36:39], s[54:55], 0x24
	s_load_dwordx8 s[4:11], s[56:57], 0x0
	s_add_u32 s54, s54, 48
	s_addc_u32 s55, s55, 0
	s_waitcnt lgkmcnt(0)
	v_mul_hi_u32 v3, s13, v1
	s_add_i32 s62, s62, 4
	s_add_u32 s56, s56, 32
	s_addc_u32 s57, s57, 0
	v_add_u32_e32 v3, v1, v3
	v_lshrrev_b32_e32 v3, s14, v3
	v_mul_lo_u32 v4, v3, s12
	v_mul_hi_u32 v5, s16, v3
	s_cmp_eq_u32 s42, s62
	v_sub_u32_e32 v1, v1, v4
	v_add_u32_e32 v4, v3, v5
	v_mul_lo_u32 v5, v1, s4
	v_mul_lo_u32 v6, v1, s5
	v_lshrrev_b32_e32 v1, s17, v4
	v_mul_lo_u32 v4, v1, s15
	v_mul_hi_u32 v7, s19, v1
	v_sub_u32_e32 v3, v3, v4
	v_add_u32_e32 v4, v1, v7
	v_lshrrev_b32_e32 v4, s36, v4
	v_mul_hi_u32 v8, s38, v4
	v_mul_lo_u32 v9, v4, s18
	v_mul_lo_u32 v7, v3, s6
	;; [unrolled: 1-line block ×3, first 2 shown]
	v_sub_u32_e32 v9, v1, v9
	v_add_u32_e32 v1, v4, v8
	v_lshrrev_b32_e32 v1, s39, v1
	v_mul_lo_u32 v8, v1, s37
	v_mul_lo_u32 v10, v9, s8
	;; [unrolled: 1-line block ×3, first 2 shown]
	v_add3_u32 v0, v5, v0, v7
	v_sub_u32_e32 v4, v4, v8
	v_mul_lo_u32 v8, v4, s10
	v_mul_lo_u32 v4, v4, s11
	v_add3_u32 v2, v6, v2, v3
	v_add3_u32 v0, v10, v0, v8
	;; [unrolled: 1-line block ×3, first 2 shown]
	s_cbranch_scc0 .LBB109_144
	s_branch .LBB109_164
.LBB109_145:
                                        ; implicit-def: $vgpr0
                                        ; implicit-def: $vgpr2
	s_branch .LBB109_168
.LBB109_146:
	v_mov_b32_e32 v0, 0
	v_mov_b32_e32 v2, 0
	s_branch .LBB109_167
.LBB109_147:
	s_mov_b32 s42, 0
	v_mov_b32_e32 v0, 0
	v_mov_b32_e32 v2, 0
	;; [unrolled: 1-line block ×3, first 2 shown]
.LBB109_148:
	s_and_b32 s8, s61, 3
	s_cmp_eq_u32 s8, 0
	s_cbranch_scc1 .LBB109_151
; %bb.149:
	s_lshl_b32 s4, s42, 3
	s_add_u32 s4, s34, s4
	s_addc_u32 s5, s35, 0
	s_add_u32 s4, s4, 0xc4
	s_addc_u32 s5, s5, 0
	s_mul_i32 s6, s42, 12
	s_add_u32 s6, s34, s6
	s_addc_u32 s7, s35, 0
.LBB109_150:                            ; =>This Inner Loop Header: Depth=1
	s_load_dwordx2 s[10:11], s[6:7], 0x4
	s_load_dword s9, s[6:7], 0xc
	s_load_dwordx2 s[12:13], s[4:5], 0x0
	s_add_u32 s6, s6, 12
	s_addc_u32 s7, s7, 0
	s_waitcnt lgkmcnt(0)
	v_mul_hi_u32 v3, s11, v1
	s_add_u32 s4, s4, 8
	s_addc_u32 s5, s5, 0
	s_add_i32 s8, s8, -1
	v_add_u32_e32 v3, v1, v3
	v_lshrrev_b32_e32 v4, s9, v3
	v_mul_lo_u32 v3, v4, s10
	s_cmp_lg_u32 s8, 0
	v_sub_u32_e32 v3, v1, v3
	v_mad_u64_u32 v[0:1], s[10:11], v3, s12, v[0:1]
	v_mad_u64_u32 v[2:3], s[10:11], v3, s13, v[2:3]
	v_mov_b32_e32 v1, v4
	s_cbranch_scc1 .LBB109_150
.LBB109_151:
	s_cbranch_execnz .LBB109_154
.LBB109_152:
	v_mul_hi_u32 v0, s25, v19
	s_andn2_b64 vcc, exec, s[46:47]
	v_add_u32_e32 v0, v19, v0
	v_lshrrev_b32_e32 v1, s26, v0
	v_mul_lo_u32 v0, v1, s24
	v_sub_u32_e32 v2, v19, v0
	v_mul_lo_u32 v0, v2, s28
	v_mul_lo_u32 v2, v2, s29
	s_cbranch_vccnz .LBB109_154
; %bb.153:
	v_mul_hi_u32 v3, s44, v1
	v_add_u32_e32 v3, v1, v3
	v_lshrrev_b32_e32 v3, s45, v3
	v_mul_lo_u32 v3, v3, s27
	v_sub_u32_e32 v3, v1, v3
	v_mad_u64_u32 v[0:1], s[4:5], v3, s30, v[0:1]
	v_mad_u64_u32 v[2:3], s[4:5], v3, s31, v[2:3]
.LBB109_154:
	global_load_dword v1, v2, s[22:23]
	v_add_u32_e32 v19, 0x80, v19
	s_waitcnt vmcnt(0)
	v_cmp_eq_f32_e32 vcc, s43, v1
	v_cndmask_b32_e64 v2, 0, 1, vcc
	v_cmp_neq_f32_e32 vcc, s43, v1
	v_cndmask_b32_e64 v1, 0, 1, vcc
	v_cndmask_b32_e64 v1, v1, v2, s[0:1]
	v_and_b32_e32 v1, 1, v1
	global_store_byte v0, v1, s[20:21]
	s_or_b64 exec, exec, s[52:53]
	v_cmp_gt_i32_e32 vcc, s59, v19
	s_and_saveexec_b64 s[52:53], vcc
	s_cbranch_execnz .LBB109_140
.LBB109_155:
	s_or_b64 exec, exec, s[52:53]
	v_cmp_gt_i32_e32 vcc, s59, v19
	s_and_saveexec_b64 s[52:53], vcc
	s_cbranch_execz .LBB109_171
.LBB109_156:
	s_andn2_b64 vcc, exec, s[2:3]
	s_cbranch_vccnz .LBB109_161
; %bb.157:
	s_andn2_b64 vcc, exec, s[50:51]
	s_cbranch_vccnz .LBB109_162
; %bb.158:
	s_add_i32 s61, s60, 1
	s_cmp_eq_u32 s58, 2
	s_cbranch_scc1 .LBB109_179
; %bb.159:
	s_and_b32 s42, s61, 28
	v_mov_b32_e32 v2, 0
	s_mov_b32 s62, 0
	s_mov_b64 s[54:55], s[34:35]
	s_mov_b64 s[56:57], s[48:49]
	v_mov_b32_e32 v0, 0
	v_mov_b32_e32 v1, v19
.LBB109_160:                            ; =>This Inner Loop Header: Depth=1
	s_load_dwordx8 s[12:19], s[54:55], 0x4
	s_load_dwordx4 s[36:39], s[54:55], 0x24
	s_load_dwordx8 s[4:11], s[56:57], 0x0
	s_add_u32 s54, s54, 48
	s_addc_u32 s55, s55, 0
	s_waitcnt lgkmcnt(0)
	v_mul_hi_u32 v3, s13, v1
	s_add_i32 s62, s62, 4
	s_add_u32 s56, s56, 32
	s_addc_u32 s57, s57, 0
	v_add_u32_e32 v3, v1, v3
	v_lshrrev_b32_e32 v3, s14, v3
	v_mul_lo_u32 v4, v3, s12
	v_mul_hi_u32 v5, s16, v3
	s_cmp_eq_u32 s42, s62
	v_sub_u32_e32 v1, v1, v4
	v_add_u32_e32 v4, v3, v5
	v_mul_lo_u32 v5, v1, s4
	v_mul_lo_u32 v6, v1, s5
	v_lshrrev_b32_e32 v1, s17, v4
	v_mul_lo_u32 v4, v1, s15
	v_mul_hi_u32 v7, s19, v1
	v_sub_u32_e32 v3, v3, v4
	v_add_u32_e32 v4, v1, v7
	v_lshrrev_b32_e32 v4, s36, v4
	v_mul_hi_u32 v8, s38, v4
	v_mul_lo_u32 v9, v4, s18
	v_mul_lo_u32 v7, v3, s6
	;; [unrolled: 1-line block ×3, first 2 shown]
	v_sub_u32_e32 v9, v1, v9
	v_add_u32_e32 v1, v4, v8
	v_lshrrev_b32_e32 v1, s39, v1
	v_mul_lo_u32 v8, v1, s37
	v_mul_lo_u32 v10, v9, s8
	;; [unrolled: 1-line block ×3, first 2 shown]
	v_add3_u32 v0, v5, v0, v7
	v_sub_u32_e32 v4, v4, v8
	v_mul_lo_u32 v8, v4, s10
	v_mul_lo_u32 v4, v4, s11
	v_add3_u32 v2, v6, v2, v3
	v_add3_u32 v0, v10, v0, v8
	v_add3_u32 v2, v9, v2, v4
	s_cbranch_scc0 .LBB109_160
	s_branch .LBB109_180
.LBB109_161:
                                        ; implicit-def: $vgpr0
                                        ; implicit-def: $vgpr2
	s_branch .LBB109_184
.LBB109_162:
	v_mov_b32_e32 v0, 0
	v_mov_b32_e32 v2, 0
	s_branch .LBB109_183
.LBB109_163:
	s_mov_b32 s42, 0
	v_mov_b32_e32 v0, 0
	v_mov_b32_e32 v2, 0
	;; [unrolled: 1-line block ×3, first 2 shown]
.LBB109_164:
	s_and_b32 s8, s61, 3
	s_cmp_eq_u32 s8, 0
	s_cbranch_scc1 .LBB109_167
; %bb.165:
	s_lshl_b32 s4, s42, 3
	s_add_u32 s4, s34, s4
	s_addc_u32 s5, s35, 0
	s_add_u32 s4, s4, 0xc4
	s_addc_u32 s5, s5, 0
	s_mul_i32 s6, s42, 12
	s_add_u32 s6, s34, s6
	s_addc_u32 s7, s35, 0
.LBB109_166:                            ; =>This Inner Loop Header: Depth=1
	s_load_dwordx2 s[10:11], s[6:7], 0x4
	s_load_dword s9, s[6:7], 0xc
	s_load_dwordx2 s[12:13], s[4:5], 0x0
	s_add_u32 s6, s6, 12
	s_addc_u32 s7, s7, 0
	s_waitcnt lgkmcnt(0)
	v_mul_hi_u32 v3, s11, v1
	s_add_u32 s4, s4, 8
	s_addc_u32 s5, s5, 0
	s_add_i32 s8, s8, -1
	v_add_u32_e32 v3, v1, v3
	v_lshrrev_b32_e32 v4, s9, v3
	v_mul_lo_u32 v3, v4, s10
	s_cmp_lg_u32 s8, 0
	v_sub_u32_e32 v3, v1, v3
	v_mad_u64_u32 v[0:1], s[10:11], v3, s12, v[0:1]
	v_mad_u64_u32 v[2:3], s[10:11], v3, s13, v[2:3]
	v_mov_b32_e32 v1, v4
	s_cbranch_scc1 .LBB109_166
.LBB109_167:
	s_cbranch_execnz .LBB109_170
.LBB109_168:
	v_mul_hi_u32 v0, s25, v19
	s_andn2_b64 vcc, exec, s[46:47]
	v_add_u32_e32 v0, v19, v0
	v_lshrrev_b32_e32 v1, s26, v0
	v_mul_lo_u32 v0, v1, s24
	v_sub_u32_e32 v2, v19, v0
	v_mul_lo_u32 v0, v2, s28
	v_mul_lo_u32 v2, v2, s29
	s_cbranch_vccnz .LBB109_170
; %bb.169:
	v_mul_hi_u32 v3, s44, v1
	v_add_u32_e32 v3, v1, v3
	v_lshrrev_b32_e32 v3, s45, v3
	v_mul_lo_u32 v3, v3, s27
	v_sub_u32_e32 v3, v1, v3
	v_mad_u64_u32 v[0:1], s[4:5], v3, s30, v[0:1]
	v_mad_u64_u32 v[2:3], s[4:5], v3, s31, v[2:3]
.LBB109_170:
	global_load_dword v1, v2, s[22:23]
	v_add_u32_e32 v19, 0x80, v19
	s_waitcnt vmcnt(0)
	v_cmp_eq_f32_e32 vcc, s43, v1
	v_cndmask_b32_e64 v2, 0, 1, vcc
	v_cmp_neq_f32_e32 vcc, s43, v1
	v_cndmask_b32_e64 v1, 0, 1, vcc
	v_cndmask_b32_e64 v1, v1, v2, s[0:1]
	v_and_b32_e32 v1, 1, v1
	global_store_byte v0, v1, s[20:21]
	s_or_b64 exec, exec, s[52:53]
	v_cmp_gt_i32_e32 vcc, s59, v19
	s_and_saveexec_b64 s[52:53], vcc
	s_cbranch_execnz .LBB109_156
.LBB109_171:
	s_or_b64 exec, exec, s[52:53]
	v_cmp_gt_i32_e32 vcc, s59, v19
	s_and_saveexec_b64 s[52:53], vcc
	s_cbranch_execz .LBB109_187
.LBB109_172:
	s_andn2_b64 vcc, exec, s[2:3]
	s_cbranch_vccnz .LBB109_177
; %bb.173:
	s_andn2_b64 vcc, exec, s[50:51]
	s_cbranch_vccnz .LBB109_178
; %bb.174:
	s_add_i32 s61, s60, 1
	s_cmp_eq_u32 s58, 2
	s_cbranch_scc1 .LBB109_195
; %bb.175:
	s_and_b32 s42, s61, 28
	v_mov_b32_e32 v2, 0
	s_mov_b32 s62, 0
	s_mov_b64 s[54:55], s[34:35]
	s_mov_b64 s[56:57], s[48:49]
	v_mov_b32_e32 v0, 0
	v_mov_b32_e32 v1, v19
.LBB109_176:                            ; =>This Inner Loop Header: Depth=1
	s_load_dwordx8 s[12:19], s[54:55], 0x4
	s_load_dwordx4 s[36:39], s[54:55], 0x24
	s_load_dwordx8 s[4:11], s[56:57], 0x0
	s_add_u32 s54, s54, 48
	s_addc_u32 s55, s55, 0
	s_waitcnt lgkmcnt(0)
	v_mul_hi_u32 v3, s13, v1
	s_add_i32 s62, s62, 4
	s_add_u32 s56, s56, 32
	s_addc_u32 s57, s57, 0
	v_add_u32_e32 v3, v1, v3
	v_lshrrev_b32_e32 v3, s14, v3
	v_mul_lo_u32 v4, v3, s12
	v_mul_hi_u32 v5, s16, v3
	s_cmp_eq_u32 s42, s62
	v_sub_u32_e32 v1, v1, v4
	v_add_u32_e32 v4, v3, v5
	v_mul_lo_u32 v5, v1, s4
	v_mul_lo_u32 v6, v1, s5
	v_lshrrev_b32_e32 v1, s17, v4
	v_mul_lo_u32 v4, v1, s15
	v_mul_hi_u32 v7, s19, v1
	v_sub_u32_e32 v3, v3, v4
	v_add_u32_e32 v4, v1, v7
	v_lshrrev_b32_e32 v4, s36, v4
	v_mul_hi_u32 v8, s38, v4
	v_mul_lo_u32 v9, v4, s18
	v_mul_lo_u32 v7, v3, s6
	;; [unrolled: 1-line block ×3, first 2 shown]
	v_sub_u32_e32 v9, v1, v9
	v_add_u32_e32 v1, v4, v8
	v_lshrrev_b32_e32 v1, s39, v1
	v_mul_lo_u32 v8, v1, s37
	v_mul_lo_u32 v10, v9, s8
	;; [unrolled: 1-line block ×3, first 2 shown]
	v_add3_u32 v0, v5, v0, v7
	v_sub_u32_e32 v4, v4, v8
	v_mul_lo_u32 v8, v4, s10
	v_mul_lo_u32 v4, v4, s11
	v_add3_u32 v2, v6, v2, v3
	v_add3_u32 v0, v10, v0, v8
	v_add3_u32 v2, v9, v2, v4
	s_cbranch_scc0 .LBB109_176
	s_branch .LBB109_196
.LBB109_177:
                                        ; implicit-def: $vgpr0
                                        ; implicit-def: $vgpr2
	s_branch .LBB109_200
.LBB109_178:
	v_mov_b32_e32 v0, 0
	v_mov_b32_e32 v2, 0
	s_branch .LBB109_199
.LBB109_179:
	s_mov_b32 s42, 0
	v_mov_b32_e32 v0, 0
	v_mov_b32_e32 v2, 0
	;; [unrolled: 1-line block ×3, first 2 shown]
.LBB109_180:
	s_and_b32 s8, s61, 3
	s_cmp_eq_u32 s8, 0
	s_cbranch_scc1 .LBB109_183
; %bb.181:
	s_lshl_b32 s4, s42, 3
	s_add_u32 s4, s34, s4
	s_addc_u32 s5, s35, 0
	s_add_u32 s4, s4, 0xc4
	s_addc_u32 s5, s5, 0
	s_mul_i32 s6, s42, 12
	s_add_u32 s6, s34, s6
	s_addc_u32 s7, s35, 0
.LBB109_182:                            ; =>This Inner Loop Header: Depth=1
	s_load_dwordx2 s[10:11], s[6:7], 0x4
	s_load_dword s9, s[6:7], 0xc
	s_load_dwordx2 s[12:13], s[4:5], 0x0
	s_add_u32 s6, s6, 12
	s_addc_u32 s7, s7, 0
	s_waitcnt lgkmcnt(0)
	v_mul_hi_u32 v3, s11, v1
	s_add_u32 s4, s4, 8
	s_addc_u32 s5, s5, 0
	s_add_i32 s8, s8, -1
	v_add_u32_e32 v3, v1, v3
	v_lshrrev_b32_e32 v4, s9, v3
	v_mul_lo_u32 v3, v4, s10
	s_cmp_lg_u32 s8, 0
	v_sub_u32_e32 v3, v1, v3
	v_mad_u64_u32 v[0:1], s[10:11], v3, s12, v[0:1]
	v_mad_u64_u32 v[2:3], s[10:11], v3, s13, v[2:3]
	v_mov_b32_e32 v1, v4
	s_cbranch_scc1 .LBB109_182
.LBB109_183:
	s_cbranch_execnz .LBB109_186
.LBB109_184:
	v_mul_hi_u32 v0, s25, v19
	s_andn2_b64 vcc, exec, s[46:47]
	v_add_u32_e32 v0, v19, v0
	v_lshrrev_b32_e32 v1, s26, v0
	v_mul_lo_u32 v0, v1, s24
	v_sub_u32_e32 v2, v19, v0
	v_mul_lo_u32 v0, v2, s28
	v_mul_lo_u32 v2, v2, s29
	s_cbranch_vccnz .LBB109_186
; %bb.185:
	v_mul_hi_u32 v3, s44, v1
	v_add_u32_e32 v3, v1, v3
	v_lshrrev_b32_e32 v3, s45, v3
	v_mul_lo_u32 v3, v3, s27
	v_sub_u32_e32 v3, v1, v3
	v_mad_u64_u32 v[0:1], s[4:5], v3, s30, v[0:1]
	v_mad_u64_u32 v[2:3], s[4:5], v3, s31, v[2:3]
.LBB109_186:
	global_load_dword v1, v2, s[22:23]
	v_add_u32_e32 v19, 0x80, v19
	s_waitcnt vmcnt(0)
	v_cmp_eq_f32_e32 vcc, s43, v1
	v_cndmask_b32_e64 v2, 0, 1, vcc
	v_cmp_neq_f32_e32 vcc, s43, v1
	v_cndmask_b32_e64 v1, 0, 1, vcc
	v_cndmask_b32_e64 v1, v1, v2, s[0:1]
	v_and_b32_e32 v1, 1, v1
	global_store_byte v0, v1, s[20:21]
	s_or_b64 exec, exec, s[52:53]
	v_cmp_gt_i32_e32 vcc, s59, v19
	s_and_saveexec_b64 s[52:53], vcc
	s_cbranch_execnz .LBB109_172
.LBB109_187:
	s_or_b64 exec, exec, s[52:53]
	v_cmp_gt_i32_e32 vcc, s59, v19
	s_and_saveexec_b64 s[52:53], vcc
	s_cbranch_execz .LBB109_203
.LBB109_188:
	s_andn2_b64 vcc, exec, s[2:3]
	s_cbranch_vccnz .LBB109_193
; %bb.189:
	s_andn2_b64 vcc, exec, s[50:51]
	s_cbranch_vccnz .LBB109_194
; %bb.190:
	s_add_i32 s61, s60, 1
	s_cmp_eq_u32 s58, 2
	s_cbranch_scc1 .LBB109_211
; %bb.191:
	s_and_b32 s42, s61, 28
	v_mov_b32_e32 v2, 0
	s_mov_b32 s62, 0
	s_mov_b64 s[54:55], s[34:35]
	s_mov_b64 s[56:57], s[48:49]
	v_mov_b32_e32 v0, 0
	v_mov_b32_e32 v1, v19
.LBB109_192:                            ; =>This Inner Loop Header: Depth=1
	s_load_dwordx8 s[12:19], s[54:55], 0x4
	s_load_dwordx4 s[36:39], s[54:55], 0x24
	s_load_dwordx8 s[4:11], s[56:57], 0x0
	s_add_u32 s54, s54, 48
	s_addc_u32 s55, s55, 0
	s_waitcnt lgkmcnt(0)
	v_mul_hi_u32 v3, s13, v1
	s_add_i32 s62, s62, 4
	s_add_u32 s56, s56, 32
	s_addc_u32 s57, s57, 0
	v_add_u32_e32 v3, v1, v3
	v_lshrrev_b32_e32 v3, s14, v3
	v_mul_lo_u32 v4, v3, s12
	v_mul_hi_u32 v5, s16, v3
	s_cmp_eq_u32 s42, s62
	v_sub_u32_e32 v1, v1, v4
	v_add_u32_e32 v4, v3, v5
	v_mul_lo_u32 v5, v1, s4
	v_mul_lo_u32 v6, v1, s5
	v_lshrrev_b32_e32 v1, s17, v4
	v_mul_lo_u32 v4, v1, s15
	v_mul_hi_u32 v7, s19, v1
	v_sub_u32_e32 v3, v3, v4
	v_add_u32_e32 v4, v1, v7
	v_lshrrev_b32_e32 v4, s36, v4
	v_mul_hi_u32 v8, s38, v4
	v_mul_lo_u32 v9, v4, s18
	v_mul_lo_u32 v7, v3, s6
	;; [unrolled: 1-line block ×3, first 2 shown]
	v_sub_u32_e32 v9, v1, v9
	v_add_u32_e32 v1, v4, v8
	v_lshrrev_b32_e32 v1, s39, v1
	v_mul_lo_u32 v8, v1, s37
	v_mul_lo_u32 v10, v9, s8
	;; [unrolled: 1-line block ×3, first 2 shown]
	v_add3_u32 v0, v5, v0, v7
	v_sub_u32_e32 v4, v4, v8
	v_mul_lo_u32 v8, v4, s10
	v_mul_lo_u32 v4, v4, s11
	v_add3_u32 v2, v6, v2, v3
	v_add3_u32 v0, v10, v0, v8
	;; [unrolled: 1-line block ×3, first 2 shown]
	s_cbranch_scc0 .LBB109_192
	s_branch .LBB109_212
.LBB109_193:
                                        ; implicit-def: $vgpr0
                                        ; implicit-def: $vgpr2
	s_branch .LBB109_216
.LBB109_194:
	v_mov_b32_e32 v0, 0
	v_mov_b32_e32 v2, 0
	s_branch .LBB109_215
.LBB109_195:
	s_mov_b32 s42, 0
	v_mov_b32_e32 v0, 0
	v_mov_b32_e32 v2, 0
	;; [unrolled: 1-line block ×3, first 2 shown]
.LBB109_196:
	s_and_b32 s8, s61, 3
	s_cmp_eq_u32 s8, 0
	s_cbranch_scc1 .LBB109_199
; %bb.197:
	s_lshl_b32 s4, s42, 3
	s_add_u32 s4, s34, s4
	s_addc_u32 s5, s35, 0
	s_add_u32 s4, s4, 0xc4
	s_addc_u32 s5, s5, 0
	s_mul_i32 s6, s42, 12
	s_add_u32 s6, s34, s6
	s_addc_u32 s7, s35, 0
.LBB109_198:                            ; =>This Inner Loop Header: Depth=1
	s_load_dwordx2 s[10:11], s[6:7], 0x4
	s_load_dword s9, s[6:7], 0xc
	s_load_dwordx2 s[12:13], s[4:5], 0x0
	s_add_u32 s6, s6, 12
	s_addc_u32 s7, s7, 0
	s_waitcnt lgkmcnt(0)
	v_mul_hi_u32 v3, s11, v1
	s_add_u32 s4, s4, 8
	s_addc_u32 s5, s5, 0
	s_add_i32 s8, s8, -1
	v_add_u32_e32 v3, v1, v3
	v_lshrrev_b32_e32 v4, s9, v3
	v_mul_lo_u32 v3, v4, s10
	s_cmp_lg_u32 s8, 0
	v_sub_u32_e32 v3, v1, v3
	v_mad_u64_u32 v[0:1], s[10:11], v3, s12, v[0:1]
	v_mad_u64_u32 v[2:3], s[10:11], v3, s13, v[2:3]
	v_mov_b32_e32 v1, v4
	s_cbranch_scc1 .LBB109_198
.LBB109_199:
	s_cbranch_execnz .LBB109_202
.LBB109_200:
	v_mul_hi_u32 v0, s25, v19
	s_andn2_b64 vcc, exec, s[46:47]
	v_add_u32_e32 v0, v19, v0
	v_lshrrev_b32_e32 v1, s26, v0
	v_mul_lo_u32 v0, v1, s24
	v_sub_u32_e32 v2, v19, v0
	v_mul_lo_u32 v0, v2, s28
	v_mul_lo_u32 v2, v2, s29
	s_cbranch_vccnz .LBB109_202
; %bb.201:
	v_mul_hi_u32 v3, s44, v1
	v_add_u32_e32 v3, v1, v3
	v_lshrrev_b32_e32 v3, s45, v3
	v_mul_lo_u32 v3, v3, s27
	v_sub_u32_e32 v3, v1, v3
	v_mad_u64_u32 v[0:1], s[4:5], v3, s30, v[0:1]
	v_mad_u64_u32 v[2:3], s[4:5], v3, s31, v[2:3]
.LBB109_202:
	global_load_dword v1, v2, s[22:23]
	v_add_u32_e32 v19, 0x80, v19
	s_waitcnt vmcnt(0)
	v_cmp_eq_f32_e32 vcc, s43, v1
	v_cndmask_b32_e64 v2, 0, 1, vcc
	v_cmp_neq_f32_e32 vcc, s43, v1
	v_cndmask_b32_e64 v1, 0, 1, vcc
	v_cndmask_b32_e64 v1, v1, v2, s[0:1]
	v_and_b32_e32 v1, 1, v1
	global_store_byte v0, v1, s[20:21]
	s_or_b64 exec, exec, s[52:53]
	v_cmp_gt_i32_e32 vcc, s59, v19
	s_and_saveexec_b64 s[52:53], vcc
	s_cbranch_execnz .LBB109_188
.LBB109_203:
	s_or_b64 exec, exec, s[52:53]
	v_cmp_gt_i32_e32 vcc, s59, v19
	s_and_saveexec_b64 s[52:53], vcc
	s_cbranch_execz .LBB109_219
.LBB109_204:
	s_andn2_b64 vcc, exec, s[2:3]
	s_cbranch_vccnz .LBB109_209
; %bb.205:
	s_andn2_b64 vcc, exec, s[50:51]
	s_cbranch_vccnz .LBB109_210
; %bb.206:
	s_add_i32 s61, s60, 1
	s_cmp_eq_u32 s58, 2
	s_cbranch_scc1 .LBB109_222
; %bb.207:
	s_and_b32 s42, s61, 28
	v_mov_b32_e32 v2, 0
	s_mov_b32 s62, 0
	s_mov_b64 s[54:55], s[34:35]
	s_mov_b64 s[56:57], s[48:49]
	v_mov_b32_e32 v0, 0
	v_mov_b32_e32 v1, v19
.LBB109_208:                            ; =>This Inner Loop Header: Depth=1
	s_load_dwordx8 s[12:19], s[54:55], 0x4
	s_load_dwordx4 s[36:39], s[54:55], 0x24
	s_load_dwordx8 s[4:11], s[56:57], 0x0
	s_add_u32 s54, s54, 48
	s_addc_u32 s55, s55, 0
	s_waitcnt lgkmcnt(0)
	v_mul_hi_u32 v3, s13, v1
	s_add_i32 s62, s62, 4
	s_add_u32 s56, s56, 32
	s_addc_u32 s57, s57, 0
	v_add_u32_e32 v3, v1, v3
	v_lshrrev_b32_e32 v3, s14, v3
	v_mul_lo_u32 v4, v3, s12
	v_mul_hi_u32 v5, s16, v3
	s_cmp_eq_u32 s42, s62
	v_sub_u32_e32 v1, v1, v4
	v_add_u32_e32 v4, v3, v5
	v_mul_lo_u32 v5, v1, s4
	v_mul_lo_u32 v6, v1, s5
	v_lshrrev_b32_e32 v1, s17, v4
	v_mul_lo_u32 v4, v1, s15
	v_mul_hi_u32 v7, s19, v1
	v_sub_u32_e32 v3, v3, v4
	v_add_u32_e32 v4, v1, v7
	v_lshrrev_b32_e32 v4, s36, v4
	v_mul_hi_u32 v8, s38, v4
	v_mul_lo_u32 v9, v4, s18
	v_mul_lo_u32 v7, v3, s6
	;; [unrolled: 1-line block ×3, first 2 shown]
	v_sub_u32_e32 v9, v1, v9
	v_add_u32_e32 v1, v4, v8
	v_lshrrev_b32_e32 v1, s39, v1
	v_mul_lo_u32 v8, v1, s37
	v_mul_lo_u32 v10, v9, s8
	;; [unrolled: 1-line block ×3, first 2 shown]
	v_add3_u32 v0, v5, v0, v7
	v_sub_u32_e32 v4, v4, v8
	v_mul_lo_u32 v8, v4, s10
	v_mul_lo_u32 v4, v4, s11
	v_add3_u32 v2, v6, v2, v3
	v_add3_u32 v0, v10, v0, v8
	;; [unrolled: 1-line block ×3, first 2 shown]
	s_cbranch_scc0 .LBB109_208
	s_branch .LBB109_223
.LBB109_209:
                                        ; implicit-def: $vgpr0
                                        ; implicit-def: $vgpr2
	s_branch .LBB109_227
.LBB109_210:
	v_mov_b32_e32 v0, 0
	v_mov_b32_e32 v2, 0
	s_branch .LBB109_226
.LBB109_211:
	s_mov_b32 s42, 0
	v_mov_b32_e32 v0, 0
	v_mov_b32_e32 v2, 0
	;; [unrolled: 1-line block ×3, first 2 shown]
.LBB109_212:
	s_and_b32 s8, s61, 3
	s_cmp_eq_u32 s8, 0
	s_cbranch_scc1 .LBB109_215
; %bb.213:
	s_lshl_b32 s4, s42, 3
	s_add_u32 s4, s34, s4
	s_addc_u32 s5, s35, 0
	s_add_u32 s4, s4, 0xc4
	s_addc_u32 s5, s5, 0
	s_mul_i32 s6, s42, 12
	s_add_u32 s6, s34, s6
	s_addc_u32 s7, s35, 0
.LBB109_214:                            ; =>This Inner Loop Header: Depth=1
	s_load_dwordx2 s[10:11], s[6:7], 0x4
	s_load_dword s9, s[6:7], 0xc
	s_load_dwordx2 s[12:13], s[4:5], 0x0
	s_add_u32 s6, s6, 12
	s_addc_u32 s7, s7, 0
	s_waitcnt lgkmcnt(0)
	v_mul_hi_u32 v3, s11, v1
	s_add_u32 s4, s4, 8
	s_addc_u32 s5, s5, 0
	s_add_i32 s8, s8, -1
	v_add_u32_e32 v3, v1, v3
	v_lshrrev_b32_e32 v4, s9, v3
	v_mul_lo_u32 v3, v4, s10
	s_cmp_lg_u32 s8, 0
	v_sub_u32_e32 v3, v1, v3
	v_mad_u64_u32 v[0:1], s[10:11], v3, s12, v[0:1]
	v_mad_u64_u32 v[2:3], s[10:11], v3, s13, v[2:3]
	v_mov_b32_e32 v1, v4
	s_cbranch_scc1 .LBB109_214
.LBB109_215:
	s_cbranch_execnz .LBB109_218
.LBB109_216:
	v_mul_hi_u32 v0, s25, v19
	s_andn2_b64 vcc, exec, s[46:47]
	v_add_u32_e32 v0, v19, v0
	v_lshrrev_b32_e32 v1, s26, v0
	v_mul_lo_u32 v0, v1, s24
	v_sub_u32_e32 v2, v19, v0
	v_mul_lo_u32 v0, v2, s28
	v_mul_lo_u32 v2, v2, s29
	s_cbranch_vccnz .LBB109_218
; %bb.217:
	v_mul_hi_u32 v3, s44, v1
	v_add_u32_e32 v3, v1, v3
	v_lshrrev_b32_e32 v3, s45, v3
	v_mul_lo_u32 v3, v3, s27
	v_sub_u32_e32 v3, v1, v3
	v_mad_u64_u32 v[0:1], s[4:5], v3, s30, v[0:1]
	v_mad_u64_u32 v[2:3], s[4:5], v3, s31, v[2:3]
.LBB109_218:
	global_load_dword v1, v2, s[22:23]
	v_add_u32_e32 v19, 0x80, v19
	s_waitcnt vmcnt(0)
	v_cmp_eq_f32_e32 vcc, s43, v1
	v_cndmask_b32_e64 v2, 0, 1, vcc
	v_cmp_neq_f32_e32 vcc, s43, v1
	v_cndmask_b32_e64 v1, 0, 1, vcc
	v_cndmask_b32_e64 v1, v1, v2, s[0:1]
	v_and_b32_e32 v1, 1, v1
	global_store_byte v0, v1, s[20:21]
	s_or_b64 exec, exec, s[52:53]
	v_cmp_gt_i32_e32 vcc, s59, v19
	s_and_saveexec_b64 s[52:53], vcc
	s_cbranch_execnz .LBB109_204
.LBB109_219:
	s_or_b64 exec, exec, s[52:53]
	v_cmp_gt_i32_e32 vcc, s59, v19
	s_and_saveexec_b64 s[52:53], vcc
	s_cbranch_execnz .LBB109_230
.LBB109_220:
	s_or_b64 exec, exec, s[52:53]
                                        ; implicit-def: $vgpr25
                                        ; implicit-def: $vgpr19
	s_andn2_saveexec_b64 s[0:1], s[40:41]
	s_cbranch_execnz .LBB109_8
.LBB109_221:
	s_endpgm
.LBB109_222:
	s_mov_b32 s42, 0
	v_mov_b32_e32 v0, 0
	v_mov_b32_e32 v2, 0
	;; [unrolled: 1-line block ×3, first 2 shown]
.LBB109_223:
	s_and_b32 s8, s61, 3
	s_cmp_eq_u32 s8, 0
	s_cbranch_scc1 .LBB109_226
; %bb.224:
	s_lshl_b32 s4, s42, 3
	s_add_u32 s4, s34, s4
	s_addc_u32 s5, s35, 0
	s_add_u32 s4, s4, 0xc4
	s_addc_u32 s5, s5, 0
	s_mul_i32 s6, s42, 12
	s_add_u32 s6, s34, s6
	s_addc_u32 s7, s35, 0
.LBB109_225:                            ; =>This Inner Loop Header: Depth=1
	s_load_dwordx2 s[10:11], s[6:7], 0x4
	s_load_dword s9, s[6:7], 0xc
	s_load_dwordx2 s[12:13], s[4:5], 0x0
	s_add_u32 s6, s6, 12
	s_addc_u32 s7, s7, 0
	s_waitcnt lgkmcnt(0)
	v_mul_hi_u32 v3, s11, v1
	s_add_u32 s4, s4, 8
	s_addc_u32 s5, s5, 0
	s_add_i32 s8, s8, -1
	v_add_u32_e32 v3, v1, v3
	v_lshrrev_b32_e32 v4, s9, v3
	v_mul_lo_u32 v3, v4, s10
	s_cmp_lg_u32 s8, 0
	v_sub_u32_e32 v3, v1, v3
	v_mad_u64_u32 v[0:1], s[10:11], v3, s12, v[0:1]
	v_mad_u64_u32 v[2:3], s[10:11], v3, s13, v[2:3]
	v_mov_b32_e32 v1, v4
	s_cbranch_scc1 .LBB109_225
.LBB109_226:
	s_cbranch_execnz .LBB109_229
.LBB109_227:
	v_mul_hi_u32 v0, s25, v19
	s_andn2_b64 vcc, exec, s[46:47]
	v_add_u32_e32 v0, v19, v0
	v_lshrrev_b32_e32 v1, s26, v0
	v_mul_lo_u32 v0, v1, s24
	v_sub_u32_e32 v2, v19, v0
	v_mul_lo_u32 v0, v2, s28
	v_mul_lo_u32 v2, v2, s29
	s_cbranch_vccnz .LBB109_229
; %bb.228:
	v_mul_hi_u32 v3, s44, v1
	v_add_u32_e32 v3, v1, v3
	v_lshrrev_b32_e32 v3, s45, v3
	v_mul_lo_u32 v3, v3, s27
	v_sub_u32_e32 v3, v1, v3
	v_mad_u64_u32 v[0:1], s[4:5], v3, s30, v[0:1]
	v_mad_u64_u32 v[2:3], s[4:5], v3, s31, v[2:3]
.LBB109_229:
	global_load_dword v1, v2, s[22:23]
	v_add_u32_e32 v19, 0x80, v19
	s_waitcnt vmcnt(0)
	v_cmp_eq_f32_e32 vcc, s43, v1
	v_cndmask_b32_e64 v2, 0, 1, vcc
	v_cmp_neq_f32_e32 vcc, s43, v1
	v_cndmask_b32_e64 v1, 0, 1, vcc
	v_cndmask_b32_e64 v1, v1, v2, s[0:1]
	v_and_b32_e32 v1, 1, v1
	global_store_byte v0, v1, s[20:21]
	s_or_b64 exec, exec, s[52:53]
	v_cmp_gt_i32_e32 vcc, s59, v19
	s_and_saveexec_b64 s[52:53], vcc
	s_cbranch_execz .LBB109_220
.LBB109_230:
	s_andn2_b64 vcc, exec, s[2:3]
	s_cbranch_vccnz .LBB109_235
; %bb.231:
	s_andn2_b64 vcc, exec, s[50:51]
	s_cbranch_vccnz .LBB109_236
; %bb.232:
	s_add_i32 s60, s60, 1
	s_cmp_eq_u32 s58, 2
	s_cbranch_scc1 .LBB109_237
; %bb.233:
	s_and_b32 s42, s60, 28
	v_mov_b32_e32 v2, 0
	s_mov_b32 s54, 0
	s_mov_b64 s[50:51], s[34:35]
	v_mov_b32_e32 v0, 0
	v_mov_b32_e32 v1, v19
.LBB109_234:                            ; =>This Inner Loop Header: Depth=1
	s_load_dwordx8 s[12:19], s[50:51], 0x4
	s_load_dwordx4 s[36:39], s[50:51], 0x24
	s_load_dwordx8 s[4:11], s[48:49], 0x0
	s_add_u32 s50, s50, 48
	s_addc_u32 s51, s51, 0
	s_waitcnt lgkmcnt(0)
	v_mul_hi_u32 v3, s13, v1
	s_add_i32 s54, s54, 4
	s_add_u32 s48, s48, 32
	s_addc_u32 s49, s49, 0
	v_add_u32_e32 v3, v1, v3
	v_lshrrev_b32_e32 v3, s14, v3
	v_mul_lo_u32 v4, v3, s12
	v_mul_hi_u32 v5, s16, v3
	s_cmp_eq_u32 s42, s54
	v_sub_u32_e32 v1, v1, v4
	v_add_u32_e32 v4, v3, v5
	v_mul_lo_u32 v5, v1, s4
	v_mul_lo_u32 v6, v1, s5
	v_lshrrev_b32_e32 v1, s17, v4
	v_mul_lo_u32 v4, v1, s15
	v_mul_hi_u32 v7, s19, v1
	v_sub_u32_e32 v3, v3, v4
	v_add_u32_e32 v4, v1, v7
	v_lshrrev_b32_e32 v4, s36, v4
	v_mul_hi_u32 v8, s38, v4
	v_mul_lo_u32 v9, v4, s18
	v_mul_lo_u32 v7, v3, s6
	;; [unrolled: 1-line block ×3, first 2 shown]
	v_sub_u32_e32 v9, v1, v9
	v_add_u32_e32 v1, v4, v8
	v_lshrrev_b32_e32 v1, s39, v1
	v_mul_lo_u32 v8, v1, s37
	v_mul_lo_u32 v10, v9, s8
	;; [unrolled: 1-line block ×3, first 2 shown]
	v_add3_u32 v0, v5, v0, v7
	v_sub_u32_e32 v4, v4, v8
	v_mul_lo_u32 v8, v4, s10
	v_mul_lo_u32 v4, v4, s11
	v_add3_u32 v2, v6, v2, v3
	v_add3_u32 v0, v10, v0, v8
	;; [unrolled: 1-line block ×3, first 2 shown]
	s_cbranch_scc0 .LBB109_234
	s_branch .LBB109_238
.LBB109_235:
                                        ; implicit-def: $vgpr0
                                        ; implicit-def: $vgpr2
	s_branch .LBB109_242
.LBB109_236:
	v_mov_b32_e32 v0, 0
	v_mov_b32_e32 v2, 0
	s_branch .LBB109_241
.LBB109_237:
	s_mov_b32 s42, 0
	v_mov_b32_e32 v0, 0
	v_mov_b32_e32 v2, 0
	;; [unrolled: 1-line block ×3, first 2 shown]
.LBB109_238:
	s_and_b32 s8, s60, 3
	s_cmp_eq_u32 s8, 0
	s_cbranch_scc1 .LBB109_241
; %bb.239:
	s_lshl_b32 s4, s42, 3
	s_add_u32 s4, s34, s4
	s_addc_u32 s5, s35, 0
	s_add_u32 s4, s4, 0xc4
	s_addc_u32 s5, s5, 0
	s_mul_i32 s6, s42, 12
	s_add_u32 s6, s34, s6
	s_addc_u32 s7, s35, 0
.LBB109_240:                            ; =>This Inner Loop Header: Depth=1
	s_load_dwordx2 s[10:11], s[6:7], 0x4
	s_load_dword s9, s[6:7], 0xc
	s_load_dwordx2 s[12:13], s[4:5], 0x0
	s_add_u32 s6, s6, 12
	s_addc_u32 s7, s7, 0
	s_waitcnt lgkmcnt(0)
	v_mul_hi_u32 v3, s11, v1
	s_add_u32 s4, s4, 8
	s_addc_u32 s5, s5, 0
	s_add_i32 s8, s8, -1
	v_add_u32_e32 v3, v1, v3
	v_lshrrev_b32_e32 v4, s9, v3
	v_mul_lo_u32 v3, v4, s10
	s_cmp_lg_u32 s8, 0
	v_sub_u32_e32 v3, v1, v3
	v_mad_u64_u32 v[0:1], s[10:11], v3, s12, v[0:1]
	v_mad_u64_u32 v[2:3], s[10:11], v3, s13, v[2:3]
	v_mov_b32_e32 v1, v4
	s_cbranch_scc1 .LBB109_240
.LBB109_241:
	s_cbranch_execnz .LBB109_244
.LBB109_242:
	v_mul_hi_u32 v0, s25, v19
	s_andn2_b64 vcc, exec, s[46:47]
	v_add_u32_e32 v0, v19, v0
	v_lshrrev_b32_e32 v1, s26, v0
	v_mul_lo_u32 v0, v1, s24
	v_sub_u32_e32 v2, v19, v0
	v_mul_lo_u32 v0, v2, s28
	v_mul_lo_u32 v2, v2, s29
	s_cbranch_vccnz .LBB109_244
; %bb.243:
	v_mul_hi_u32 v3, s44, v1
	v_add_u32_e32 v3, v1, v3
	v_lshrrev_b32_e32 v3, s45, v3
	v_mul_lo_u32 v3, v3, s27
	v_sub_u32_e32 v3, v1, v3
	v_mad_u64_u32 v[0:1], s[4:5], v3, s30, v[0:1]
	v_mad_u64_u32 v[2:3], s[4:5], v3, s31, v[2:3]
.LBB109_244:
	global_load_dword v1, v2, s[22:23]
	s_waitcnt vmcnt(0)
	v_cmp_eq_f32_e32 vcc, s43, v1
	v_cndmask_b32_e64 v2, 0, 1, vcc
	v_cmp_neq_f32_e32 vcc, s43, v1
	v_cndmask_b32_e64 v1, 0, 1, vcc
	v_cndmask_b32_e64 v1, v1, v2, s[0:1]
	v_and_b32_e32 v1, 1, v1
	global_store_byte v0, v1, s[20:21]
	s_or_b64 exec, exec, s[52:53]
                                        ; implicit-def: $vgpr25
                                        ; implicit-def: $vgpr19
	s_andn2_saveexec_b64 s[0:1], s[40:41]
	s_cbranch_execz .LBB109_221
	s_branch .LBB109_8
	.section	.rodata,"a",@progbits
	.p2align	6, 0x0
	.amdhsa_kernel _ZN2at6native32elementwise_kernel_manual_unrollILi128ELi8EZNS0_22gpu_kernel_impl_nocastINS0_13AUnaryFunctorIffbNS0_12_GLOBAL__N_116CompareEqFunctorIfEEEEEEvRNS_18TensorIteratorBaseERKT_EUlibE_EEviT1_
		.amdhsa_group_segment_fixed_size 0
		.amdhsa_private_segment_fixed_size 0
		.amdhsa_kernarg_size 360
		.amdhsa_user_sgpr_count 6
		.amdhsa_user_sgpr_private_segment_buffer 1
		.amdhsa_user_sgpr_dispatch_ptr 0
		.amdhsa_user_sgpr_queue_ptr 0
		.amdhsa_user_sgpr_kernarg_segment_ptr 1
		.amdhsa_user_sgpr_dispatch_id 0
		.amdhsa_user_sgpr_flat_scratch_init 0
		.amdhsa_user_sgpr_private_segment_size 0
		.amdhsa_uses_dynamic_stack 0
		.amdhsa_system_sgpr_private_segment_wavefront_offset 0
		.amdhsa_system_sgpr_workgroup_id_x 1
		.amdhsa_system_sgpr_workgroup_id_y 0
		.amdhsa_system_sgpr_workgroup_id_z 0
		.amdhsa_system_sgpr_workgroup_info 0
		.amdhsa_system_vgpr_workitem_id 0
		.amdhsa_next_free_vgpr 26
		.amdhsa_next_free_sgpr 63
		.amdhsa_reserve_vcc 1
		.amdhsa_reserve_flat_scratch 0
		.amdhsa_float_round_mode_32 0
		.amdhsa_float_round_mode_16_64 0
		.amdhsa_float_denorm_mode_32 3
		.amdhsa_float_denorm_mode_16_64 3
		.amdhsa_dx10_clamp 1
		.amdhsa_ieee_mode 1
		.amdhsa_fp16_overflow 0
		.amdhsa_exception_fp_ieee_invalid_op 0
		.amdhsa_exception_fp_denorm_src 0
		.amdhsa_exception_fp_ieee_div_zero 0
		.amdhsa_exception_fp_ieee_overflow 0
		.amdhsa_exception_fp_ieee_underflow 0
		.amdhsa_exception_fp_ieee_inexact 0
		.amdhsa_exception_int_div_zero 0
	.end_amdhsa_kernel
	.section	.text._ZN2at6native32elementwise_kernel_manual_unrollILi128ELi8EZNS0_22gpu_kernel_impl_nocastINS0_13AUnaryFunctorIffbNS0_12_GLOBAL__N_116CompareEqFunctorIfEEEEEEvRNS_18TensorIteratorBaseERKT_EUlibE_EEviT1_,"axG",@progbits,_ZN2at6native32elementwise_kernel_manual_unrollILi128ELi8EZNS0_22gpu_kernel_impl_nocastINS0_13AUnaryFunctorIffbNS0_12_GLOBAL__N_116CompareEqFunctorIfEEEEEEvRNS_18TensorIteratorBaseERKT_EUlibE_EEviT1_,comdat
.Lfunc_end109:
	.size	_ZN2at6native32elementwise_kernel_manual_unrollILi128ELi8EZNS0_22gpu_kernel_impl_nocastINS0_13AUnaryFunctorIffbNS0_12_GLOBAL__N_116CompareEqFunctorIfEEEEEEvRNS_18TensorIteratorBaseERKT_EUlibE_EEviT1_, .Lfunc_end109-_ZN2at6native32elementwise_kernel_manual_unrollILi128ELi8EZNS0_22gpu_kernel_impl_nocastINS0_13AUnaryFunctorIffbNS0_12_GLOBAL__N_116CompareEqFunctorIfEEEEEEvRNS_18TensorIteratorBaseERKT_EUlibE_EEviT1_
                                        ; -- End function
	.set _ZN2at6native32elementwise_kernel_manual_unrollILi128ELi8EZNS0_22gpu_kernel_impl_nocastINS0_13AUnaryFunctorIffbNS0_12_GLOBAL__N_116CompareEqFunctorIfEEEEEEvRNS_18TensorIteratorBaseERKT_EUlibE_EEviT1_.num_vgpr, 26
	.set _ZN2at6native32elementwise_kernel_manual_unrollILi128ELi8EZNS0_22gpu_kernel_impl_nocastINS0_13AUnaryFunctorIffbNS0_12_GLOBAL__N_116CompareEqFunctorIfEEEEEEvRNS_18TensorIteratorBaseERKT_EUlibE_EEviT1_.num_agpr, 0
	.set _ZN2at6native32elementwise_kernel_manual_unrollILi128ELi8EZNS0_22gpu_kernel_impl_nocastINS0_13AUnaryFunctorIffbNS0_12_GLOBAL__N_116CompareEqFunctorIfEEEEEEvRNS_18TensorIteratorBaseERKT_EUlibE_EEviT1_.numbered_sgpr, 63
	.set _ZN2at6native32elementwise_kernel_manual_unrollILi128ELi8EZNS0_22gpu_kernel_impl_nocastINS0_13AUnaryFunctorIffbNS0_12_GLOBAL__N_116CompareEqFunctorIfEEEEEEvRNS_18TensorIteratorBaseERKT_EUlibE_EEviT1_.num_named_barrier, 0
	.set _ZN2at6native32elementwise_kernel_manual_unrollILi128ELi8EZNS0_22gpu_kernel_impl_nocastINS0_13AUnaryFunctorIffbNS0_12_GLOBAL__N_116CompareEqFunctorIfEEEEEEvRNS_18TensorIteratorBaseERKT_EUlibE_EEviT1_.private_seg_size, 0
	.set _ZN2at6native32elementwise_kernel_manual_unrollILi128ELi8EZNS0_22gpu_kernel_impl_nocastINS0_13AUnaryFunctorIffbNS0_12_GLOBAL__N_116CompareEqFunctorIfEEEEEEvRNS_18TensorIteratorBaseERKT_EUlibE_EEviT1_.uses_vcc, 1
	.set _ZN2at6native32elementwise_kernel_manual_unrollILi128ELi8EZNS0_22gpu_kernel_impl_nocastINS0_13AUnaryFunctorIffbNS0_12_GLOBAL__N_116CompareEqFunctorIfEEEEEEvRNS_18TensorIteratorBaseERKT_EUlibE_EEviT1_.uses_flat_scratch, 0
	.set _ZN2at6native32elementwise_kernel_manual_unrollILi128ELi8EZNS0_22gpu_kernel_impl_nocastINS0_13AUnaryFunctorIffbNS0_12_GLOBAL__N_116CompareEqFunctorIfEEEEEEvRNS_18TensorIteratorBaseERKT_EUlibE_EEviT1_.has_dyn_sized_stack, 0
	.set _ZN2at6native32elementwise_kernel_manual_unrollILi128ELi8EZNS0_22gpu_kernel_impl_nocastINS0_13AUnaryFunctorIffbNS0_12_GLOBAL__N_116CompareEqFunctorIfEEEEEEvRNS_18TensorIteratorBaseERKT_EUlibE_EEviT1_.has_recursion, 0
	.set _ZN2at6native32elementwise_kernel_manual_unrollILi128ELi8EZNS0_22gpu_kernel_impl_nocastINS0_13AUnaryFunctorIffbNS0_12_GLOBAL__N_116CompareEqFunctorIfEEEEEEvRNS_18TensorIteratorBaseERKT_EUlibE_EEviT1_.has_indirect_call, 0
	.section	.AMDGPU.csdata,"",@progbits
; Kernel info:
; codeLenInByte = 11744
; TotalNumSgprs: 67
; NumVgprs: 26
; ScratchSize: 0
; MemoryBound: 0
; FloatMode: 240
; IeeeMode: 1
; LDSByteSize: 0 bytes/workgroup (compile time only)
; SGPRBlocks: 8
; VGPRBlocks: 6
; NumSGPRsForWavesPerEU: 67
; NumVGPRsForWavesPerEU: 26
; Occupancy: 9
; WaveLimiterHint : 1
; COMPUTE_PGM_RSRC2:SCRATCH_EN: 0
; COMPUTE_PGM_RSRC2:USER_SGPR: 6
; COMPUTE_PGM_RSRC2:TRAP_HANDLER: 0
; COMPUTE_PGM_RSRC2:TGID_X_EN: 1
; COMPUTE_PGM_RSRC2:TGID_Y_EN: 0
; COMPUTE_PGM_RSRC2:TGID_Z_EN: 0
; COMPUTE_PGM_RSRC2:TIDIG_COMP_CNT: 0
	.section	.text._ZN2at6native32elementwise_kernel_manual_unrollILi128ELi4EZNS0_15gpu_kernel_implINS0_13AUnaryFunctorIffbNS0_12_GLOBAL__N_116CompareEqFunctorIfEEEEEEvRNS_18TensorIteratorBaseERKT_EUlibE_EEviT1_,"axG",@progbits,_ZN2at6native32elementwise_kernel_manual_unrollILi128ELi4EZNS0_15gpu_kernel_implINS0_13AUnaryFunctorIffbNS0_12_GLOBAL__N_116CompareEqFunctorIfEEEEEEvRNS_18TensorIteratorBaseERKT_EUlibE_EEviT1_,comdat
	.globl	_ZN2at6native32elementwise_kernel_manual_unrollILi128ELi4EZNS0_15gpu_kernel_implINS0_13AUnaryFunctorIffbNS0_12_GLOBAL__N_116CompareEqFunctorIfEEEEEEvRNS_18TensorIteratorBaseERKT_EUlibE_EEviT1_ ; -- Begin function _ZN2at6native32elementwise_kernel_manual_unrollILi128ELi4EZNS0_15gpu_kernel_implINS0_13AUnaryFunctorIffbNS0_12_GLOBAL__N_116CompareEqFunctorIfEEEEEEvRNS_18TensorIteratorBaseERKT_EUlibE_EEviT1_
	.p2align	8
	.type	_ZN2at6native32elementwise_kernel_manual_unrollILi128ELi4EZNS0_15gpu_kernel_implINS0_13AUnaryFunctorIffbNS0_12_GLOBAL__N_116CompareEqFunctorIfEEEEEEvRNS_18TensorIteratorBaseERKT_EUlibE_EEviT1_,@function
_ZN2at6native32elementwise_kernel_manual_unrollILi128ELi4EZNS0_15gpu_kernel_implINS0_13AUnaryFunctorIffbNS0_12_GLOBAL__N_116CompareEqFunctorIfEEEEEEvRNS_18TensorIteratorBaseERKT_EUlibE_EEviT1_: ; @_ZN2at6native32elementwise_kernel_manual_unrollILi128ELi4EZNS0_15gpu_kernel_implINS0_13AUnaryFunctorIffbNS0_12_GLOBAL__N_116CompareEqFunctorIfEEEEEEvRNS_18TensorIteratorBaseERKT_EUlibE_EEviT1_
; %bb.0:
	s_load_dword s33, s[4:5], 0x28
	s_load_dword s42, s[4:5], 0x0
	s_load_dwordx8 s[8:15], s[4:5], 0x8
	v_lshl_or_b32 v2, s6, 9, v0
	v_or_b32_e32 v0, 0x180, v2
	s_waitcnt lgkmcnt(0)
	s_bfe_u32 s46, s33, 0x80008
	v_cmp_le_i32_e32 vcc, s42, v0
	s_mov_b64 s[6:7], 0
	s_mov_b64 s[18:19], 0
	s_and_saveexec_b64 s[0:1], vcc
	s_xor_b64 s[16:17], exec, s[0:1]
	s_cbranch_execz .LBB110_1027
; %bb.1:
	s_cmp_eq_u32 s14, 0
	s_cselect_b64 s[0:1], -1, 0
	v_cmp_gt_i32_e32 vcc, s42, v2
	s_mov_b64 s[2:3], -1
	s_mov_b64 s[26:27], 0
	s_mov_b64 s[20:21], 0
	s_and_saveexec_b64 s[22:23], vcc
	s_cbranch_execz .LBB110_252
; %bb.2:
	v_mul_lo_u32 v0, v2, s13
	v_mov_b32_e32 v1, s11
	s_and_b32 s24, 0xffff, s46
	s_cmp_lt_i32 s24, 11
	v_ashrrev_i32_e32 v3, 31, v0
	v_add_co_u32_e32 v0, vcc, s10, v0
	v_addc_co_u32_e32 v1, vcc, v1, v3, vcc
	s_cbranch_scc1 .LBB110_9
; %bb.3:
	s_cmp_gt_i32 s24, 25
	s_cbranch_scc0 .LBB110_18
; %bb.4:
	s_cmp_gt_i32 s24, 28
	s_cbranch_scc0 .LBB110_22
	;; [unrolled: 3-line block ×4, first 2 shown]
; %bb.7:
	s_cmp_eq_u32 s24, 46
	s_mov_b64 s[4:5], 0
	s_cbranch_scc0 .LBB110_28
; %bb.8:
	global_load_dword v3, v[0:1], off
	s_waitcnt vmcnt(0)
	v_lshlrev_b32_e32 v3, 16, v3
	s_branch .LBB110_30
.LBB110_9:
                                        ; implicit-def: $vgpr3
	s_mov_b64 s[2:3], 0
	s_cbranch_execnz .LBB110_203
.LBB110_10:
	s_andn2_b64 vcc, exec, s[2:3]
	s_cbranch_vccnz .LBB110_250
.LBB110_11:
	s_waitcnt vmcnt(0)
	v_cmp_eq_f32_e32 vcc, s15, v3
	v_cndmask_b32_e64 v0, 0, 1, vcc
	v_cmp_neq_f32_e32 vcc, s15, v3
	v_mul_lo_u32 v3, v2, s12
	v_cndmask_b32_e64 v1, 0, 1, vcc
	v_cndmask_b32_e64 v0, v1, v0, s[0:1]
	v_and_b32_e32 v0, 1, v0
	v_cmp_eq_u32_e64 s[2:3], 1, v0
	v_ashrrev_i32_e32 v1, 31, v3
	v_mov_b32_e32 v4, s9
	s_and_b32 s30, s33, 0xff
	v_add_co_u32_e32 v0, vcc, s8, v3
	s_cmp_lt_i32 s30, 11
	v_addc_co_u32_e32 v1, vcc, v4, v1, vcc
	s_cbranch_scc1 .LBB110_19
; %bb.12:
	s_and_b32 s31, 0xffff, s30
	s_cmp_gt_i32 s31, 25
	s_cbranch_scc0 .LBB110_23
; %bb.13:
	s_cmp_gt_i32 s31, 28
	s_cbranch_scc0 .LBB110_25
; %bb.14:
	;; [unrolled: 3-line block ×4, first 2 shown]
	s_mov_b64 s[24:25], 0
	s_mov_b64 s[4:5], -1
	s_cmp_eq_u32 s31, 46
	s_mov_b64 s[18:19], 0
	s_cbranch_scc0 .LBB110_34
; %bb.17:
	v_cndmask_b32_e64 v3, 0, 1.0, s[2:3]
	v_bfe_u32 v4, v3, 16, 1
	s_movk_i32 s4, 0x7fff
	v_add3_u32 v3, v3, v4, s4
	v_lshrrev_b32_e32 v3, 16, v3
	global_store_dword v[0:1], v3, off
	s_mov_b64 s[18:19], -1
	s_mov_b64 s[4:5], 0
	s_branch .LBB110_34
.LBB110_18:
	s_mov_b64 s[2:3], 0
                                        ; implicit-def: $vgpr3
	s_cbranch_execnz .LBB110_168
	s_branch .LBB110_202
.LBB110_19:
	s_mov_b64 s[4:5], 0
	s_mov_b64 s[18:19], 0
	s_cbranch_execnz .LBB110_103
.LBB110_20:
	s_andn2_b64 vcc, exec, s[18:19]
	s_cbranch_vccnz .LBB110_141
.LBB110_21:
	v_add_u32_e32 v2, 0x80, v2
	s_mov_b64 s[2:3], -1
	s_branch .LBB110_251
.LBB110_22:
	s_mov_b64 s[4:5], -1
	s_mov_b64 s[2:3], 0
                                        ; implicit-def: $vgpr3
	s_branch .LBB110_149
.LBB110_23:
	s_mov_b64 s[24:25], -1
	s_mov_b64 s[4:5], 0
	s_mov_b64 s[18:19], 0
	s_branch .LBB110_61
.LBB110_24:
	s_mov_b64 s[4:5], -1
	s_mov_b64 s[2:3], 0
                                        ; implicit-def: $vgpr3
	s_branch .LBB110_144
.LBB110_25:
	s_mov_b64 s[24:25], -1
	s_mov_b64 s[4:5], 0
	s_mov_b64 s[18:19], 0
	s_branch .LBB110_44
.LBB110_26:
	s_mov_b64 s[4:5], -1
	s_branch .LBB110_29
.LBB110_27:
	s_mov_b64 s[24:25], -1
	s_mov_b64 s[4:5], 0
	s_mov_b64 s[18:19], 0
	s_branch .LBB110_40
.LBB110_28:
	s_mov_b64 s[20:21], -1
.LBB110_29:
	s_mov_b64 s[2:3], 0
                                        ; implicit-def: $vgpr3
.LBB110_30:
	s_and_b64 vcc, exec, s[4:5]
	s_cbranch_vccz .LBB110_143
; %bb.31:
	s_cmp_eq_u32 s24, 44
	s_cbranch_scc0 .LBB110_142
; %bb.32:
	global_load_ubyte v3, v[0:1], off
	s_movk_i32 s4, 0xff
	v_mov_b32_e32 v4, 0x7f800001
	v_mov_b32_e32 v5, 0x400000
	s_mov_b64 s[2:3], -1
	s_mov_b64 s[20:21], 0
	s_waitcnt vmcnt(0)
	v_lshlrev_b32_e32 v6, 23, v3
	v_cmp_ne_u32_e32 vcc, s4, v3
	v_cndmask_b32_e32 v4, v4, v6, vcc
	v_cmp_ne_u32_e32 vcc, 0, v3
	v_cndmask_b32_e32 v3, v5, v4, vcc
	s_branch .LBB110_143
.LBB110_33:
	s_mov_b64 s[24:25], -1
	s_mov_b64 s[4:5], 0
	s_mov_b64 s[18:19], 0
.LBB110_34:
	s_and_b64 vcc, exec, s[24:25]
	s_cbranch_vccz .LBB110_39
; %bb.35:
	s_cmp_eq_u32 s31, 44
	s_mov_b64 s[4:5], -1
	s_cbranch_scc0 .LBB110_39
; %bb.36:
	v_cndmask_b32_e64 v4, 0, 1.0, s[2:3]
	v_lshrrev_b32_e32 v3, 23, v4
	s_movk_i32 s4, 0xff
	v_cmp_ne_u32_e32 vcc, s4, v3
	v_mov_b32_e32 v5, 0xff
	s_and_saveexec_b64 s[18:19], vcc
; %bb.37:
	s_mov_b32 s4, 0x3fffff
	v_and_b32_e32 v5, 0x400000, v4
	v_and_or_b32 v4, v4, s4, v3
	v_cmp_ne_u32_e32 vcc, 0, v5
	v_cmp_ne_u32_e64 s[4:5], 0, v4
	s_and_b64 s[4:5], vcc, s[4:5]
	v_cndmask_b32_e64 v4, 0, 1, s[4:5]
	v_add_u32_e32 v5, v3, v4
; %bb.38:
	s_or_b64 exec, exec, s[18:19]
	s_mov_b64 s[18:19], -1
	s_mov_b64 s[4:5], 0
	global_store_byte v[0:1], v5, off
.LBB110_39:
	s_mov_b64 s[24:25], 0
.LBB110_40:
	s_and_b64 vcc, exec, s[24:25]
	s_cbranch_vccz .LBB110_43
; %bb.41:
	s_cmp_eq_u32 s31, 29
	s_mov_b64 s[4:5], -1
	s_cbranch_scc0 .LBB110_43
; %bb.42:
	s_mov_b32 s4, 0
	v_cndmask_b32_e64 v3, 0, 1, s[2:3]
	v_mov_b32_e32 v4, s4
	global_store_dwordx2 v[0:1], v[3:4], off
	s_mov_b64 s[18:19], -1
	s_mov_b64 s[4:5], 0
.LBB110_43:
	s_mov_b64 s[24:25], 0
.LBB110_44:
	s_and_b64 vcc, exec, s[24:25]
	s_cbranch_vccz .LBB110_60
; %bb.45:
	s_cmp_lt_i32 s31, 27
	s_mov_b64 s[18:19], -1
	s_cbranch_scc1 .LBB110_51
; %bb.46:
	s_cmp_gt_i32 s31, 27
	s_cbranch_scc0 .LBB110_48
; %bb.47:
	v_cndmask_b32_e64 v3, 0, 1, s[2:3]
	s_mov_b64 s[18:19], 0
	global_store_dword v[0:1], v3, off
.LBB110_48:
	s_andn2_b64 vcc, exec, s[18:19]
	s_cbranch_vccnz .LBB110_50
; %bb.49:
	v_cndmask_b32_e64 v3, 0, 1, s[2:3]
	global_store_short v[0:1], v3, off
.LBB110_50:
	s_mov_b64 s[18:19], 0
.LBB110_51:
	s_andn2_b64 vcc, exec, s[18:19]
	s_cbranch_vccnz .LBB110_59
; %bb.52:
	v_cndmask_b32_e64 v4, 0, 1.0, s[2:3]
	s_mov_b32 s18, 0x43800000
	v_cmp_gt_u32_e32 vcc, s18, v4
	v_mov_b32_e32 v5, 0x80
	s_and_saveexec_b64 s[18:19], vcc
	s_cbranch_execz .LBB110_58
; %bb.53:
	s_mov_b32 s24, 0x3bffffff
	v_cmp_lt_u32_e32 vcc, s24, v4
	s_mov_b64 s[24:25], 0
                                        ; implicit-def: $vgpr3
	s_and_saveexec_b64 s[28:29], vcc
	s_xor_b64 s[28:29], exec, s[28:29]
	s_cbranch_execz .LBB110_279
; %bb.54:
	v_bfe_u32 v3, v4, 20, 1
	s_mov_b32 s34, 0x487ffff
	v_add3_u32 v3, v4, v3, s34
	s_mov_b64 s[24:25], exec
	v_lshrrev_b32_e32 v3, 20, v3
                                        ; implicit-def: $vgpr4
	s_andn2_saveexec_b64 s[28:29], s[28:29]
	s_cbranch_execnz .LBB110_280
.LBB110_55:
	s_or_b64 exec, exec, s[28:29]
	v_mov_b32_e32 v5, 0
	s_and_saveexec_b64 s[28:29], s[24:25]
.LBB110_56:
	v_mov_b32_e32 v5, v3
.LBB110_57:
	s_or_b64 exec, exec, s[28:29]
.LBB110_58:
	s_or_b64 exec, exec, s[18:19]
	global_store_byte v[0:1], v5, off
.LBB110_59:
	s_mov_b64 s[18:19], -1
.LBB110_60:
	s_mov_b64 s[24:25], 0
.LBB110_61:
	s_and_b64 vcc, exec, s[24:25]
	s_cbranch_vccz .LBB110_102
; %bb.62:
	s_cmp_gt_i32 s31, 22
	s_mov_b64 s[24:25], -1
	s_cbranch_scc0 .LBB110_94
; %bb.63:
	s_cmp_lt_i32 s31, 24
	s_mov_b64 s[18:19], -1
	s_cbranch_scc1 .LBB110_83
; %bb.64:
	s_cmp_gt_i32 s31, 24
	s_cbranch_scc0 .LBB110_72
; %bb.65:
	v_cndmask_b32_e64 v4, 0, 1.0, s[2:3]
	s_mov_b32 s18, 0x47800000
	v_cmp_gt_u32_e32 vcc, s18, v4
	v_mov_b32_e32 v5, 0x80
	s_and_saveexec_b64 s[18:19], vcc
	s_cbranch_execz .LBB110_71
; %bb.66:
	s_mov_b32 s24, 0x37ffffff
	v_cmp_lt_u32_e32 vcc, s24, v4
	s_mov_b64 s[24:25], 0
                                        ; implicit-def: $vgpr3
	s_and_saveexec_b64 s[28:29], vcc
	s_xor_b64 s[28:29], exec, s[28:29]
	s_cbranch_execz .LBB110_283
; %bb.67:
	v_bfe_u32 v3, v4, 21, 1
	s_mov_b32 s34, 0x88fffff
	v_add3_u32 v3, v4, v3, s34
	s_mov_b64 s[24:25], exec
	v_lshrrev_b32_e32 v3, 21, v3
                                        ; implicit-def: $vgpr4
	s_andn2_saveexec_b64 s[28:29], s[28:29]
	s_cbranch_execnz .LBB110_284
.LBB110_68:
	s_or_b64 exec, exec, s[28:29]
	v_mov_b32_e32 v5, 0
	s_and_saveexec_b64 s[28:29], s[24:25]
.LBB110_69:
	v_mov_b32_e32 v5, v3
.LBB110_70:
	s_or_b64 exec, exec, s[28:29]
.LBB110_71:
	s_or_b64 exec, exec, s[18:19]
	s_mov_b64 s[18:19], 0
	global_store_byte v[0:1], v5, off
.LBB110_72:
	s_and_b64 vcc, exec, s[18:19]
	s_cbranch_vccz .LBB110_82
; %bb.73:
	v_cndmask_b32_e64 v3, 0, 1.0, s[2:3]
	s_mov_b32 s18, 0x43f00000
	v_cmp_gt_u32_e32 vcc, s18, v3
                                        ; implicit-def: $vgpr4
	s_and_saveexec_b64 s[18:19], vcc
	s_xor_b64 s[18:19], exec, s[18:19]
	s_cbranch_execz .LBB110_79
; %bb.74:
	s_mov_b32 s24, 0x3c7fffff
	v_cmp_lt_u32_e32 vcc, s24, v3
                                        ; implicit-def: $vgpr4
	s_and_saveexec_b64 s[24:25], vcc
	s_xor_b64 s[24:25], exec, s[24:25]
; %bb.75:
	v_bfe_u32 v4, v3, 20, 1
	s_mov_b32 s28, 0x407ffff
	v_add3_u32 v3, v3, v4, s28
	v_lshrrev_b32_e32 v4, 20, v3
	v_and_b32_e32 v3, 0xff00000, v3
	s_mov_b32 s28, 0x7f00000
	v_mov_b32_e32 v5, 0x7e
	v_cmp_ne_u32_e32 vcc, s28, v3
	v_cndmask_b32_e32 v4, v5, v4, vcc
                                        ; implicit-def: $vgpr3
; %bb.76:
	s_andn2_saveexec_b64 s[24:25], s[24:25]
; %bb.77:
	v_add_f32_e32 v4, 0x46800000, v3
; %bb.78:
	s_or_b64 exec, exec, s[24:25]
                                        ; implicit-def: $vgpr3
.LBB110_79:
	s_andn2_saveexec_b64 s[18:19], s[18:19]
; %bb.80:
	s_mov_b32 s24, 0x7f800000
	v_mov_b32_e32 v4, 0x7e
	v_mov_b32_e32 v5, 0x7f
	v_cmp_lt_u32_e32 vcc, s24, v3
	v_cndmask_b32_e32 v4, v4, v5, vcc
; %bb.81:
	s_or_b64 exec, exec, s[18:19]
	global_store_byte v[0:1], v4, off
.LBB110_82:
	s_mov_b64 s[18:19], 0
.LBB110_83:
	s_andn2_b64 vcc, exec, s[18:19]
	s_cbranch_vccnz .LBB110_93
; %bb.84:
	v_cndmask_b32_e64 v3, 0, 1.0, s[2:3]
	s_mov_b32 s18, 0x47800000
	v_cmp_gt_u32_e32 vcc, s18, v3
                                        ; implicit-def: $vgpr4
	s_and_saveexec_b64 s[18:19], vcc
	s_xor_b64 s[18:19], exec, s[18:19]
	s_cbranch_execz .LBB110_90
; %bb.85:
	s_mov_b32 s24, 0x387fffff
	v_cmp_lt_u32_e32 vcc, s24, v3
                                        ; implicit-def: $vgpr4
	s_and_saveexec_b64 s[24:25], vcc
	s_xor_b64 s[24:25], exec, s[24:25]
; %bb.86:
	v_bfe_u32 v4, v3, 21, 1
	s_mov_b32 s28, 0x80fffff
	v_add3_u32 v3, v3, v4, s28
	v_lshrrev_b32_e32 v4, 21, v3
                                        ; implicit-def: $vgpr3
; %bb.87:
	s_andn2_saveexec_b64 s[24:25], s[24:25]
; %bb.88:
	v_add_f32_e32 v4, 0x43000000, v3
; %bb.89:
	s_or_b64 exec, exec, s[24:25]
                                        ; implicit-def: $vgpr3
.LBB110_90:
	s_andn2_saveexec_b64 s[18:19], s[18:19]
; %bb.91:
	s_mov_b32 s24, 0x7f800000
	v_mov_b32_e32 v4, 0x7c
	v_mov_b32_e32 v5, 0x7f
	v_cmp_lt_u32_e32 vcc, s24, v3
	v_cndmask_b32_e32 v4, v4, v5, vcc
; %bb.92:
	s_or_b64 exec, exec, s[18:19]
	global_store_byte v[0:1], v4, off
.LBB110_93:
	s_mov_b64 s[24:25], 0
	s_mov_b64 s[18:19], -1
.LBB110_94:
	s_andn2_b64 vcc, exec, s[24:25]
	s_cbranch_vccnz .LBB110_102
; %bb.95:
	s_cmp_gt_i32 s31, 14
	s_mov_b64 s[24:25], -1
	s_cbranch_scc0 .LBB110_99
; %bb.96:
	s_cmp_eq_u32 s31, 15
	s_mov_b64 s[4:5], -1
	s_cbranch_scc0 .LBB110_98
; %bb.97:
	v_cndmask_b32_e64 v3, 0, 1.0, s[2:3]
	v_bfe_u32 v4, v3, 16, 1
	s_movk_i32 s4, 0x7fff
	v_add3_u32 v3, v3, v4, s4
	global_store_short_d16_hi v[0:1], v3, off
	s_mov_b64 s[18:19], -1
	s_mov_b64 s[4:5], 0
.LBB110_98:
	s_mov_b64 s[24:25], 0
.LBB110_99:
	s_and_b64 vcc, exec, s[24:25]
	s_cbranch_vccz .LBB110_102
; %bb.100:
	s_cmp_eq_u32 s31, 11
	s_mov_b64 s[4:5], -1
	s_cbranch_scc0 .LBB110_102
; %bb.101:
	v_cndmask_b32_e64 v3, 0, 1, s[2:3]
	s_mov_b64 s[18:19], -1
	s_mov_b64 s[4:5], 0
	global_store_byte v[0:1], v3, off
.LBB110_102:
	s_branch .LBB110_20
.LBB110_103:
	s_and_b32 s24, 0xffff, s30
	s_cmp_lt_i32 s24, 5
	s_mov_b64 s[18:19], -1
	s_cbranch_scc1 .LBB110_124
; %bb.104:
	s_cmp_lt_i32 s24, 8
	s_cbranch_scc1 .LBB110_114
; %bb.105:
	s_cmp_lt_i32 s24, 9
	s_cbranch_scc1 .LBB110_111
; %bb.106:
	s_cmp_gt_i32 s24, 9
	s_cbranch_scc0 .LBB110_108
; %bb.107:
	v_cndmask_b32_e64 v3, 0, 1, s[2:3]
	v_cvt_f64_u32_e32 v[3:4], v3
	v_mov_b32_e32 v5, 0
	v_mov_b32_e32 v6, v5
	s_mov_b64 s[18:19], 0
	global_store_dwordx4 v[0:1], v[3:6], off
.LBB110_108:
	s_andn2_b64 vcc, exec, s[18:19]
	s_cbranch_vccnz .LBB110_110
; %bb.109:
	v_cndmask_b32_e64 v3, 0, 1.0, s[2:3]
	v_mov_b32_e32 v4, 0
	global_store_dwordx2 v[0:1], v[3:4], off
.LBB110_110:
	s_mov_b64 s[18:19], 0
.LBB110_111:
	s_andn2_b64 vcc, exec, s[18:19]
	s_cbranch_vccnz .LBB110_113
; %bb.112:
	v_cndmask_b32_e64 v3, 0, 1.0, s[2:3]
	v_cvt_f16_f32_e32 v3, v3
	global_store_dword v[0:1], v3, off
.LBB110_113:
	s_mov_b64 s[18:19], 0
.LBB110_114:
	s_andn2_b64 vcc, exec, s[18:19]
	s_cbranch_vccnz .LBB110_123
; %bb.115:
	s_cmp_lt_i32 s24, 6
	s_mov_b64 s[18:19], -1
	s_cbranch_scc1 .LBB110_121
; %bb.116:
	s_cmp_gt_i32 s24, 6
	s_cbranch_scc0 .LBB110_118
; %bb.117:
	v_cndmask_b32_e64 v3, 0, 1, s[2:3]
	v_cvt_f64_u32_e32 v[3:4], v3
	s_mov_b64 s[18:19], 0
	global_store_dwordx2 v[0:1], v[3:4], off
.LBB110_118:
	s_andn2_b64 vcc, exec, s[18:19]
	s_cbranch_vccnz .LBB110_120
; %bb.119:
	v_cndmask_b32_e64 v3, 0, 1.0, s[2:3]
	global_store_dword v[0:1], v3, off
.LBB110_120:
	s_mov_b64 s[18:19], 0
.LBB110_121:
	s_andn2_b64 vcc, exec, s[18:19]
	s_cbranch_vccnz .LBB110_123
; %bb.122:
	v_cndmask_b32_e64 v3, 0, 1.0, s[2:3]
	v_cvt_f16_f32_e32 v3, v3
	global_store_short v[0:1], v3, off
.LBB110_123:
	s_mov_b64 s[18:19], 0
.LBB110_124:
	s_andn2_b64 vcc, exec, s[18:19]
	s_cbranch_vccnz .LBB110_140
; %bb.125:
	s_cmp_lt_i32 s24, 2
	s_mov_b64 s[18:19], -1
	s_cbranch_scc1 .LBB110_135
; %bb.126:
	s_cmp_lt_i32 s24, 3
	s_cbranch_scc1 .LBB110_132
; %bb.127:
	s_cmp_gt_i32 s24, 3
	s_cbranch_scc0 .LBB110_129
; %bb.128:
	s_mov_b32 s18, 0
	v_cndmask_b32_e64 v3, 0, 1, s[2:3]
	v_mov_b32_e32 v4, s18
	global_store_dwordx2 v[0:1], v[3:4], off
	s_mov_b64 s[18:19], 0
.LBB110_129:
	s_andn2_b64 vcc, exec, s[18:19]
	s_cbranch_vccnz .LBB110_131
; %bb.130:
	v_cndmask_b32_e64 v3, 0, 1, s[2:3]
	global_store_dword v[0:1], v3, off
.LBB110_131:
	s_mov_b64 s[18:19], 0
.LBB110_132:
	s_andn2_b64 vcc, exec, s[18:19]
	s_cbranch_vccnz .LBB110_134
; %bb.133:
	v_cndmask_b32_e64 v3, 0, 1, s[2:3]
	global_store_short v[0:1], v3, off
.LBB110_134:
	s_mov_b64 s[18:19], 0
.LBB110_135:
	s_andn2_b64 vcc, exec, s[18:19]
	s_cbranch_vccnz .LBB110_140
; %bb.136:
	s_mov_b64 s[18:19], -1
	s_cmp_gt_i32 s24, 0
	v_cndmask_b32_e64 v3, 0, 1, s[2:3]
	s_cbranch_scc0 .LBB110_138
; %bb.137:
	global_store_byte v[0:1], v3, off
	s_mov_b64 s[18:19], 0
.LBB110_138:
	s_andn2_b64 vcc, exec, s[18:19]
	s_cbranch_vccnz .LBB110_140
; %bb.139:
	global_store_byte v[0:1], v3, off
.LBB110_140:
	s_branch .LBB110_21
.LBB110_141:
	s_mov_b64 s[2:3], 0
                                        ; implicit-def: $vgpr2
	s_branch .LBB110_251
.LBB110_142:
	s_mov_b64 s[20:21], -1
                                        ; implicit-def: $vgpr3
.LBB110_143:
	s_mov_b64 s[4:5], 0
.LBB110_144:
	s_and_b64 vcc, exec, s[4:5]
	s_cbranch_vccz .LBB110_148
; %bb.145:
	s_cmp_eq_u32 s24, 29
	s_cbranch_scc0 .LBB110_147
; %bb.146:
	global_load_dwordx2 v[3:4], v[0:1], off
	s_mov_b64 s[2:3], -1
	s_mov_b64 s[20:21], 0
	s_mov_b64 s[4:5], 0
	s_waitcnt vmcnt(0)
	v_ffbh_u32_e32 v5, v4
	v_min_u32_e32 v5, 32, v5
	v_lshlrev_b64 v[3:4], v5, v[3:4]
	v_min_u32_e32 v3, 1, v3
	v_or_b32_e32 v3, v4, v3
	v_cvt_f32_u32_e32 v3, v3
	v_sub_u32_e32 v4, 32, v5
	v_ldexp_f32 v3, v3, v4
	s_branch .LBB110_149
.LBB110_147:
	s_mov_b64 s[20:21], -1
                                        ; implicit-def: $vgpr3
.LBB110_148:
	s_mov_b64 s[4:5], 0
.LBB110_149:
	s_and_b64 vcc, exec, s[4:5]
	s_cbranch_vccz .LBB110_167
; %bb.150:
	s_cmp_lt_i32 s24, 27
	s_cbranch_scc1 .LBB110_153
; %bb.151:
	s_cmp_gt_i32 s24, 27
	s_cbranch_scc0 .LBB110_154
; %bb.152:
	global_load_dword v3, v[0:1], off
	s_mov_b64 s[2:3], 0
	s_waitcnt vmcnt(0)
	v_cvt_f32_u32_e32 v3, v3
	s_branch .LBB110_155
.LBB110_153:
	s_mov_b64 s[2:3], -1
                                        ; implicit-def: $vgpr3
	s_branch .LBB110_158
.LBB110_154:
	s_mov_b64 s[2:3], -1
                                        ; implicit-def: $vgpr3
.LBB110_155:
	s_andn2_b64 vcc, exec, s[2:3]
	s_cbranch_vccnz .LBB110_157
; %bb.156:
	global_load_ushort v3, v[0:1], off
	s_waitcnt vmcnt(0)
	v_cvt_f32_u32_e32 v3, v3
.LBB110_157:
	s_mov_b64 s[2:3], 0
.LBB110_158:
	s_andn2_b64 vcc, exec, s[2:3]
	s_cbranch_vccnz .LBB110_166
; %bb.159:
	global_load_ubyte v4, v[0:1], off
	s_movk_i32 s2, 0x7f
	s_waitcnt vmcnt(0)
	v_cmp_lt_i16_e32 vcc, s2, v4
	s_mov_b64 s[2:3], 0
	s_and_saveexec_b64 s[4:5], vcc
	s_xor_b64 s[4:5], exec, s[4:5]
	s_cbranch_execz .LBB110_179
; %bb.160:
	s_movk_i32 s2, 0x80
	v_cmp_eq_u16_e32 vcc, s2, v4
	s_mov_b64 s[2:3], -1
	s_and_saveexec_b64 s[18:19], vcc
; %bb.161:
	s_xor_b64 s[2:3], exec, -1
; %bb.162:
	s_or_b64 exec, exec, s[18:19]
	s_and_b64 s[2:3], s[2:3], exec
	s_or_saveexec_b64 s[4:5], s[4:5]
	v_mov_b32_e32 v3, 0x7f800001
	s_xor_b64 exec, exec, s[4:5]
	s_cbranch_execnz .LBB110_180
.LBB110_163:
	s_or_b64 exec, exec, s[4:5]
	s_and_saveexec_b64 s[4:5], s[2:3]
	s_cbranch_execz .LBB110_165
.LBB110_164:
	v_lshlrev_b32_e32 v3, 24, v4
	v_and_b32_e32 v4, 0xffff, v4
	v_and_b32_e32 v5, 7, v4
	v_ffbh_u32_e32 v7, v5
	v_min_u32_e32 v7, 32, v7
	v_subrev_u32_e32 v8, 28, v7
	v_bfe_u32 v6, v4, 3, 4
	v_lshlrev_b32_e32 v4, v8, v4
	v_sub_u32_e32 v7, 29, v7
	v_and_b32_e32 v4, 7, v4
	v_cmp_eq_u32_e32 vcc, 0, v6
	v_cndmask_b32_e32 v6, v6, v7, vcc
	v_cndmask_b32_e32 v4, v5, v4, vcc
	v_mov_b32_e32 v5, 0x3b800000
	v_lshlrev_b32_e32 v4, 20, v4
	v_and_b32_e32 v3, 0x80000000, v3
	v_lshl_add_u32 v5, v6, 23, v5
	v_or3_b32 v3, v3, v5, v4
.LBB110_165:
	s_or_b64 exec, exec, s[4:5]
.LBB110_166:
	s_mov_b64 s[2:3], -1
.LBB110_167:
	s_branch .LBB110_202
.LBB110_168:
	s_cmp_gt_i32 s24, 22
	s_cbranch_scc0 .LBB110_178
; %bb.169:
	s_cmp_lt_i32 s24, 24
	s_cbranch_scc1 .LBB110_181
; %bb.170:
	s_cmp_gt_i32 s24, 24
	s_cbranch_scc0 .LBB110_182
; %bb.171:
	global_load_ubyte v4, v[0:1], off
	s_movk_i32 s2, 0x7f
	s_waitcnt vmcnt(0)
	v_cmp_lt_i16_e32 vcc, s2, v4
	s_mov_b64 s[2:3], 0
	s_and_saveexec_b64 s[4:5], vcc
	s_xor_b64 s[4:5], exec, s[4:5]
	s_cbranch_execz .LBB110_194
; %bb.172:
	s_movk_i32 s2, 0x80
	v_cmp_eq_u16_e32 vcc, s2, v4
	s_mov_b64 s[2:3], -1
	s_and_saveexec_b64 s[18:19], vcc
; %bb.173:
	s_xor_b64 s[2:3], exec, -1
; %bb.174:
	s_or_b64 exec, exec, s[18:19]
	s_and_b64 s[2:3], s[2:3], exec
	s_or_saveexec_b64 s[4:5], s[4:5]
	v_mov_b32_e32 v3, 0x7f800001
	s_xor_b64 exec, exec, s[4:5]
	s_cbranch_execnz .LBB110_195
.LBB110_175:
	s_or_b64 exec, exec, s[4:5]
	s_and_saveexec_b64 s[4:5], s[2:3]
	s_cbranch_execz .LBB110_177
.LBB110_176:
	v_lshlrev_b32_e32 v3, 24, v4
	v_and_b32_e32 v4, 0xffff, v4
	v_and_b32_e32 v5, 3, v4
	v_ffbh_u32_e32 v7, v5
	v_min_u32_e32 v7, 32, v7
	v_subrev_u32_e32 v8, 29, v7
	v_bfe_u32 v6, v4, 2, 5
	v_lshlrev_b32_e32 v4, v8, v4
	v_sub_u32_e32 v7, 30, v7
	v_and_b32_e32 v4, 3, v4
	v_cmp_eq_u32_e32 vcc, 0, v6
	v_cndmask_b32_e32 v6, v6, v7, vcc
	v_cndmask_b32_e32 v4, v5, v4, vcc
	v_mov_b32_e32 v5, 0x37800000
	v_lshlrev_b32_e32 v4, 21, v4
	v_and_b32_e32 v3, 0x80000000, v3
	v_lshl_add_u32 v5, v6, 23, v5
	v_or3_b32 v3, v3, v5, v4
.LBB110_177:
	s_or_b64 exec, exec, s[4:5]
	s_mov_b64 s[2:3], 0
	s_branch .LBB110_183
.LBB110_178:
	s_mov_b64 s[4:5], -1
                                        ; implicit-def: $vgpr3
	s_branch .LBB110_189
.LBB110_179:
	s_or_saveexec_b64 s[4:5], s[4:5]
	v_mov_b32_e32 v3, 0x7f800001
	s_xor_b64 exec, exec, s[4:5]
	s_cbranch_execz .LBB110_163
.LBB110_180:
	v_cmp_ne_u16_e32 vcc, 0, v4
	s_andn2_b64 s[2:3], s[2:3], exec
	s_and_b64 s[18:19], vcc, exec
	v_mov_b32_e32 v3, 0
	s_or_b64 s[2:3], s[2:3], s[18:19]
	s_or_b64 exec, exec, s[4:5]
	s_and_saveexec_b64 s[4:5], s[2:3]
	s_cbranch_execnz .LBB110_164
	s_branch .LBB110_165
.LBB110_181:
	s_mov_b64 s[2:3], -1
                                        ; implicit-def: $vgpr3
	s_branch .LBB110_186
.LBB110_182:
	s_mov_b64 s[2:3], -1
                                        ; implicit-def: $vgpr3
.LBB110_183:
	s_and_b64 vcc, exec, s[2:3]
	s_cbranch_vccz .LBB110_185
; %bb.184:
	global_load_ubyte v3, v[0:1], off
	s_mov_b32 s2, 0x7f800000
	s_waitcnt vmcnt(0)
	v_lshlrev_b32_e32 v3, 24, v3
	v_and_b32_e32 v4, 0x7f000000, v3
	v_ffbh_u32_e32 v5, v4
	v_min_u32_e32 v5, 32, v5
	v_sub_u32_e64 v5, v5, 4 clamp
	v_lshlrev_b32_e32 v7, v5, v4
	v_lshlrev_b32_e32 v5, 23, v5
	v_lshrrev_b32_e32 v7, 4, v7
	v_add_u32_e32 v6, 0x1000000, v4
	v_sub_u32_e32 v5, v7, v5
	v_ashrrev_i32_e32 v6, 8, v6
	v_add_u32_e32 v5, 0x3c000000, v5
	v_and_or_b32 v5, v6, s2, v5
	v_cmp_ne_u32_e32 vcc, 0, v4
	v_cndmask_b32_e32 v4, 0, v5, vcc
	s_brev_b32 s2, 1
	v_and_or_b32 v3, v3, s2, v4
.LBB110_185:
	s_mov_b64 s[2:3], 0
.LBB110_186:
	s_andn2_b64 vcc, exec, s[2:3]
	s_cbranch_vccnz .LBB110_188
; %bb.187:
	global_load_ubyte v3, v[0:1], off
	s_movk_i32 s2, 0x7f00
	s_brev_b32 s3, 16
	s_waitcnt vmcnt(0)
	v_lshlrev_b16_e32 v4, 8, v3
	v_lshlrev_b32_e32 v3, 25, v3
	v_lshrrev_b32_e32 v5, 4, v3
	v_and_or_b32 v6, v4, s2, 0.5
	v_or_b32_e32 v5, 0x70000000, v5
	v_add_f32_e32 v6, -0.5, v6
	v_mul_f32_e32 v5, 0x7800000, v5
	v_cmp_gt_u32_e32 vcc, s3, v3
	v_bfe_i32 v4, v4, 0, 16
	v_cndmask_b32_e32 v3, v5, v6, vcc
	s_brev_b32 s2, 1
	v_and_or_b32 v3, v4, s2, v3
.LBB110_188:
	s_mov_b64 s[4:5], 0
	s_mov_b64 s[2:3], -1
.LBB110_189:
	s_andn2_b64 vcc, exec, s[4:5]
	s_cbranch_vccnz .LBB110_202
; %bb.190:
	s_cmp_gt_i32 s24, 14
	s_cbranch_scc0 .LBB110_193
; %bb.191:
	s_cmp_eq_u32 s24, 15
	s_cbranch_scc0 .LBB110_196
; %bb.192:
	global_load_ushort v3, v[0:1], off
	s_mov_b64 s[2:3], -1
	s_mov_b64 s[20:21], 0
	s_waitcnt vmcnt(0)
	v_lshlrev_b32_e32 v3, 16, v3
	s_branch .LBB110_197
.LBB110_193:
	s_mov_b64 s[4:5], -1
                                        ; implicit-def: $vgpr3
	s_branch .LBB110_198
.LBB110_194:
	s_or_saveexec_b64 s[4:5], s[4:5]
	v_mov_b32_e32 v3, 0x7f800001
	s_xor_b64 exec, exec, s[4:5]
	s_cbranch_execz .LBB110_175
.LBB110_195:
	v_cmp_ne_u16_e32 vcc, 0, v4
	s_andn2_b64 s[2:3], s[2:3], exec
	s_and_b64 s[18:19], vcc, exec
	v_mov_b32_e32 v3, 0
	s_or_b64 s[2:3], s[2:3], s[18:19]
	s_or_b64 exec, exec, s[4:5]
	s_and_saveexec_b64 s[4:5], s[2:3]
	s_cbranch_execnz .LBB110_176
	s_branch .LBB110_177
.LBB110_196:
	s_mov_b64 s[20:21], -1
                                        ; implicit-def: $vgpr3
.LBB110_197:
	s_mov_b64 s[4:5], 0
.LBB110_198:
	s_and_b64 vcc, exec, s[4:5]
	s_cbranch_vccz .LBB110_202
; %bb.199:
	s_cmp_eq_u32 s24, 11
	s_cbranch_scc0 .LBB110_201
; %bb.200:
	global_load_ubyte v3, v[0:1], off
	s_mov_b64 s[2:3], -1
	s_mov_b64 s[20:21], 0
	s_waitcnt vmcnt(0)
	v_cmp_ne_u16_e32 vcc, 0, v3
	v_cndmask_b32_e64 v3, 0, 1.0, vcc
	s_branch .LBB110_202
.LBB110_201:
	s_mov_b64 s[20:21], -1
                                        ; implicit-def: $vgpr3
.LBB110_202:
	s_branch .LBB110_10
.LBB110_203:
	s_cmp_lt_i32 s24, 5
	s_cbranch_scc1 .LBB110_208
; %bb.204:
	s_cmp_lt_i32 s24, 8
	s_cbranch_scc1 .LBB110_209
; %bb.205:
	;; [unrolled: 3-line block ×3, first 2 shown]
	s_cmp_gt_i32 s24, 9
	s_cbranch_scc0 .LBB110_211
; %bb.207:
	global_load_dwordx2 v[3:4], v[0:1], off
	s_mov_b64 s[2:3], 0
	s_waitcnt vmcnt(0)
	v_cvt_f32_f64_e32 v3, v[3:4]
	s_branch .LBB110_212
.LBB110_208:
                                        ; implicit-def: $vgpr3
	s_branch .LBB110_230
.LBB110_209:
	s_mov_b64 s[2:3], -1
                                        ; implicit-def: $vgpr3
	s_branch .LBB110_218
.LBB110_210:
	s_mov_b64 s[2:3], -1
                                        ; implicit-def: $vgpr3
	s_branch .LBB110_215
.LBB110_211:
	s_mov_b64 s[2:3], -1
                                        ; implicit-def: $vgpr3
.LBB110_212:
	s_andn2_b64 vcc, exec, s[2:3]
	s_cbranch_vccnz .LBB110_214
; %bb.213:
	global_load_dword v3, v[0:1], off
.LBB110_214:
	s_mov_b64 s[2:3], 0
.LBB110_215:
	s_andn2_b64 vcc, exec, s[2:3]
	s_cbranch_vccnz .LBB110_217
; %bb.216:
	global_load_dword v3, v[0:1], off
	s_waitcnt vmcnt(0)
	v_cvt_f32_f16_e32 v3, v3
.LBB110_217:
	s_mov_b64 s[2:3], 0
.LBB110_218:
	s_andn2_b64 vcc, exec, s[2:3]
	s_cbranch_vccnz .LBB110_229
; %bb.219:
	s_cmp_lt_i32 s24, 6
	s_cbranch_scc1 .LBB110_222
; %bb.220:
	s_cmp_gt_i32 s24, 6
	s_cbranch_scc0 .LBB110_223
; %bb.221:
	global_load_dwordx2 v[3:4], v[0:1], off
	s_mov_b64 s[2:3], 0
	s_waitcnt vmcnt(0)
	v_cvt_f32_f64_e32 v3, v[3:4]
	s_branch .LBB110_224
.LBB110_222:
	s_mov_b64 s[2:3], -1
                                        ; implicit-def: $vgpr3
	s_branch .LBB110_227
.LBB110_223:
	s_mov_b64 s[2:3], -1
                                        ; implicit-def: $vgpr3
.LBB110_224:
	s_andn2_b64 vcc, exec, s[2:3]
	s_cbranch_vccnz .LBB110_226
; %bb.225:
	global_load_dword v3, v[0:1], off
.LBB110_226:
	s_mov_b64 s[2:3], 0
.LBB110_227:
	s_andn2_b64 vcc, exec, s[2:3]
	s_cbranch_vccnz .LBB110_229
; %bb.228:
	global_load_ushort v3, v[0:1], off
	s_waitcnt vmcnt(0)
	v_cvt_f32_f16_e32 v3, v3
.LBB110_229:
	s_cbranch_execnz .LBB110_249
.LBB110_230:
	s_cmp_lt_i32 s24, 2
	s_cbranch_scc1 .LBB110_234
; %bb.231:
	s_cmp_lt_i32 s24, 3
	s_cbranch_scc1 .LBB110_235
; %bb.232:
	s_cmp_gt_i32 s24, 3
	s_cbranch_scc0 .LBB110_236
; %bb.233:
	global_load_dwordx2 v[3:4], v[0:1], off
	s_mov_b64 s[2:3], 0
	s_waitcnt vmcnt(0)
	v_xor_b32_e32 v6, v3, v4
	v_ffbh_i32_e32 v5, v4
	v_ashrrev_i32_e32 v6, 31, v6
	v_add_u32_e32 v5, -1, v5
	v_add_u32_e32 v6, 32, v6
	v_min_u32_e32 v5, v5, v6
	v_lshlrev_b64 v[3:4], v5, v[3:4]
	v_min_u32_e32 v3, 1, v3
	v_or_b32_e32 v3, v4, v3
	v_cvt_f32_i32_e32 v3, v3
	v_sub_u32_e32 v4, 32, v5
	v_ldexp_f32 v3, v3, v4
	s_branch .LBB110_237
.LBB110_234:
	s_mov_b64 s[2:3], -1
                                        ; implicit-def: $vgpr3
	s_branch .LBB110_243
.LBB110_235:
	s_mov_b64 s[2:3], -1
                                        ; implicit-def: $vgpr3
	s_branch .LBB110_240
.LBB110_236:
	s_mov_b64 s[2:3], -1
                                        ; implicit-def: $vgpr3
.LBB110_237:
	s_andn2_b64 vcc, exec, s[2:3]
	s_cbranch_vccnz .LBB110_239
; %bb.238:
	global_load_dword v3, v[0:1], off
	s_waitcnt vmcnt(0)
	v_cvt_f32_i32_e32 v3, v3
.LBB110_239:
	s_mov_b64 s[2:3], 0
.LBB110_240:
	s_andn2_b64 vcc, exec, s[2:3]
	s_cbranch_vccnz .LBB110_242
; %bb.241:
	global_load_sshort v3, v[0:1], off
	s_waitcnt vmcnt(0)
	v_cvt_f32_i32_e32 v3, v3
.LBB110_242:
	s_mov_b64 s[2:3], 0
.LBB110_243:
	s_andn2_b64 vcc, exec, s[2:3]
	s_cbranch_vccnz .LBB110_249
; %bb.244:
	s_cmp_gt_i32 s24, 0
	s_cbranch_scc0 .LBB110_246
; %bb.245:
	global_load_sbyte v3, v[0:1], off
	s_mov_b64 s[2:3], 0
	s_waitcnt vmcnt(0)
	v_cvt_f32_i32_e32 v3, v3
	s_branch .LBB110_247
.LBB110_246:
	s_mov_b64 s[2:3], -1
                                        ; implicit-def: $vgpr3
.LBB110_247:
	s_andn2_b64 vcc, exec, s[2:3]
	s_cbranch_vccnz .LBB110_249
; %bb.248:
	global_load_ubyte v0, v[0:1], off
	s_waitcnt vmcnt(0)
	v_cvt_f32_ubyte0_e32 v3, v0
.LBB110_249:
	s_branch .LBB110_11
.LBB110_250:
	s_mov_b64 s[4:5], 0
                                        ; implicit-def: $vgpr2
	s_mov_b64 s[2:3], 0
.LBB110_251:
	s_and_b64 s[18:19], s[4:5], exec
	s_and_b64 s[20:21], s[20:21], exec
	s_orn2_b64 s[2:3], s[2:3], exec
.LBB110_252:
	s_or_b64 exec, exec, s[22:23]
	s_mov_b64 s[30:31], 0
	s_mov_b64 s[28:29], 0
                                        ; implicit-def: $vgpr0_vgpr1
                                        ; implicit-def: $vgpr3
	s_and_saveexec_b64 s[22:23], s[2:3]
	s_cbranch_execz .LBB110_261
; %bb.253:
	v_cmp_gt_i32_e32 vcc, s42, v2
	s_mov_b64 s[2:3], -1
	s_mov_b64 s[24:25], s[20:21]
	s_mov_b64 s[26:27], s[18:19]
	s_and_saveexec_b64 s[28:29], vcc
	s_cbranch_execz .LBB110_513
; %bb.254:
	v_mul_lo_u32 v0, v2, s13
	v_mov_b32_e32 v1, s11
	s_and_b32 s30, 0xffff, s46
	s_cmp_lt_i32 s30, 11
	s_waitcnt vmcnt(0)
	v_ashrrev_i32_e32 v3, 31, v0
	v_add_co_u32_e32 v0, vcc, s10, v0
	v_addc_co_u32_e32 v1, vcc, v1, v3, vcc
	s_cbranch_scc1 .LBB110_264
; %bb.255:
	s_cmp_gt_i32 s30, 25
	s_cbranch_scc0 .LBB110_273
; %bb.256:
	s_cmp_gt_i32 s30, 28
	s_cbranch_scc0 .LBB110_275
	;; [unrolled: 3-line block ×4, first 2 shown]
; %bb.259:
	s_cmp_eq_u32 s30, 46
	s_mov_b64 s[4:5], 0
	s_cbranch_scc0 .LBB110_285
; %bb.260:
	global_load_dword v3, v[0:1], off
	s_mov_b64 s[24:25], 0
	s_waitcnt vmcnt(0)
	v_lshlrev_b32_e32 v3, 16, v3
	s_branch .LBB110_286
.LBB110_261:
	s_or_b64 exec, exec, s[22:23]
	s_mov_b64 s[2:3], 0
	s_and_saveexec_b64 s[4:5], s[20:21]
	s_cbranch_execnz .LBB110_859
.LBB110_262:
	s_or_b64 exec, exec, s[4:5]
	s_and_saveexec_b64 s[4:5], s[26:27]
	s_xor_b64 s[4:5], exec, s[4:5]
	s_cbranch_execz .LBB110_860
.LBB110_263:
	global_load_ubyte v3, v[0:1], off
	s_or_b64 s[28:29], s[28:29], exec
	s_waitcnt vmcnt(0)
	v_cmp_ne_u16_e32 vcc, 0, v3
	v_cndmask_b32_e64 v3, 0, 1.0, vcc
	s_or_b64 exec, exec, s[4:5]
	s_and_saveexec_b64 s[4:5], s[30:31]
	s_cbranch_execz .LBB110_906
	s_branch .LBB110_861
.LBB110_264:
	s_mov_b64 s[2:3], 0
                                        ; implicit-def: $vgpr3
	s_mov_b64 s[24:25], s[20:21]
	s_cbranch_execnz .LBB110_463
.LBB110_265:
	s_andn2_b64 vcc, exec, s[2:3]
	s_cbranch_vccnz .LBB110_511
.LBB110_266:
	s_waitcnt vmcnt(0)
	v_cmp_eq_f32_e32 vcc, s15, v3
	v_cndmask_b32_e64 v0, 0, 1, vcc
	v_cmp_neq_f32_e32 vcc, s15, v3
	v_mul_lo_u32 v3, v2, s12
	v_cndmask_b32_e64 v1, 0, 1, vcc
	v_cndmask_b32_e64 v0, v1, v0, s[0:1]
	v_and_b32_e32 v0, 1, v0
	v_cmp_eq_u32_e64 s[2:3], 1, v0
	v_ashrrev_i32_e32 v1, 31, v3
	v_mov_b32_e32 v4, s9
	s_and_b32 s36, s33, 0xff
	v_add_co_u32_e32 v0, vcc, s8, v3
	s_cmp_lt_i32 s36, 11
	v_addc_co_u32_e32 v1, vcc, v4, v1, vcc
	s_cbranch_scc1 .LBB110_274
; %bb.267:
	s_and_b32 s37, 0xffff, s36
	s_cmp_gt_i32 s37, 25
	s_cbranch_scc0 .LBB110_276
; %bb.268:
	s_cmp_gt_i32 s37, 28
	s_cbranch_scc0 .LBB110_278
; %bb.269:
	;; [unrolled: 3-line block ×4, first 2 shown]
	s_mov_b64 s[30:31], 0
	s_mov_b64 s[4:5], -1
	s_cmp_eq_u32 s37, 46
	s_mov_b64 s[26:27], 0
	s_cbranch_scc0 .LBB110_290
; %bb.272:
	v_cndmask_b32_e64 v3, 0, 1.0, s[2:3]
	v_bfe_u32 v4, v3, 16, 1
	s_movk_i32 s4, 0x7fff
	v_add3_u32 v3, v3, v4, s4
	v_lshrrev_b32_e32 v3, 16, v3
	global_store_dword v[0:1], v3, off
	s_mov_b64 s[26:27], -1
	s_mov_b64 s[4:5], 0
	s_branch .LBB110_290
.LBB110_273:
	s_mov_b64 s[4:5], -1
	s_mov_b64 s[2:3], 0
	s_mov_b64 s[24:25], s[20:21]
                                        ; implicit-def: $vgpr3
	s_branch .LBB110_427
.LBB110_274:
	s_mov_b64 s[30:31], -1
	s_mov_b64 s[26:27], 0
	s_mov_b64 s[4:5], s[18:19]
	s_branch .LBB110_359
.LBB110_275:
	s_mov_b64 s[4:5], -1
	s_mov_b64 s[2:3], 0
	s_mov_b64 s[24:25], s[20:21]
                                        ; implicit-def: $vgpr3
	s_branch .LBB110_408
.LBB110_276:
	s_mov_b64 s[30:31], -1
	s_mov_b64 s[26:27], 0
	s_mov_b64 s[4:5], s[18:19]
	s_branch .LBB110_317
.LBB110_277:
	s_mov_b64 s[4:5], -1
	s_mov_b64 s[2:3], 0
	s_mov_b64 s[24:25], s[20:21]
                                        ; implicit-def: $vgpr3
	s_branch .LBB110_403
.LBB110_278:
	s_mov_b64 s[30:31], -1
	s_mov_b64 s[26:27], 0
	s_mov_b64 s[4:5], s[18:19]
	s_branch .LBB110_300
.LBB110_279:
	s_andn2_saveexec_b64 s[28:29], s[28:29]
	s_cbranch_execz .LBB110_55
.LBB110_280:
	v_add_f32_e32 v3, 0x46000000, v4
	v_and_b32_e32 v3, 0xff, v3
	v_cmp_ne_u32_e32 vcc, 0, v3
	s_andn2_b64 s[24:25], s[24:25], exec
	s_and_b64 s[34:35], vcc, exec
	s_or_b64 s[24:25], s[24:25], s[34:35]
	s_or_b64 exec, exec, s[28:29]
	v_mov_b32_e32 v5, 0
	s_and_saveexec_b64 s[28:29], s[24:25]
	s_cbranch_execnz .LBB110_56
	s_branch .LBB110_57
.LBB110_281:
	s_mov_b64 s[4:5], -1
	s_mov_b64 s[2:3], 0
	s_mov_b64 s[24:25], s[20:21]
                                        ; implicit-def: $vgpr3
	s_branch .LBB110_286
.LBB110_282:
	s_mov_b64 s[30:31], -1
	s_mov_b64 s[26:27], 0
	s_mov_b64 s[4:5], s[18:19]
	s_branch .LBB110_296
.LBB110_283:
	s_andn2_saveexec_b64 s[28:29], s[28:29]
	s_cbranch_execz .LBB110_68
.LBB110_284:
	v_add_f32_e32 v3, 0x42800000, v4
	v_and_b32_e32 v3, 0xff, v3
	v_cmp_ne_u32_e32 vcc, 0, v3
	s_andn2_b64 s[24:25], s[24:25], exec
	s_and_b64 s[34:35], vcc, exec
	s_or_b64 s[24:25], s[24:25], s[34:35]
	s_or_b64 exec, exec, s[28:29]
	v_mov_b32_e32 v5, 0
	s_and_saveexec_b64 s[28:29], s[24:25]
	s_cbranch_execnz .LBB110_69
	s_branch .LBB110_70
.LBB110_285:
	s_mov_b64 s[24:25], -1
                                        ; implicit-def: $vgpr3
	s_mov_b64 s[2:3], 0
.LBB110_286:
	s_and_b64 vcc, exec, s[4:5]
	s_cbranch_vccz .LBB110_402
; %bb.287:
	s_cmp_eq_u32 s30, 44
	s_cbranch_scc0 .LBB110_401
; %bb.288:
	global_load_ubyte v3, v[0:1], off
	s_movk_i32 s4, 0xff
	v_mov_b32_e32 v4, 0x7f800001
	v_mov_b32_e32 v5, 0x400000
	s_mov_b64 s[2:3], -1
	s_mov_b64 s[24:25], 0
	s_waitcnt vmcnt(0)
	v_lshlrev_b32_e32 v6, 23, v3
	v_cmp_ne_u32_e32 vcc, s4, v3
	v_cndmask_b32_e32 v4, v4, v6, vcc
	v_cmp_ne_u32_e32 vcc, 0, v3
	v_cndmask_b32_e32 v3, v5, v4, vcc
	s_branch .LBB110_402
.LBB110_289:
	s_mov_b64 s[30:31], -1
	s_mov_b64 s[26:27], 0
	s_mov_b64 s[4:5], s[18:19]
.LBB110_290:
	s_and_b64 vcc, exec, s[30:31]
	s_cbranch_vccz .LBB110_295
; %bb.291:
	s_cmp_eq_u32 s37, 44
	s_mov_b64 s[4:5], -1
	s_cbranch_scc0 .LBB110_295
; %bb.292:
	v_cndmask_b32_e64 v4, 0, 1.0, s[2:3]
	v_lshrrev_b32_e32 v3, 23, v4
	s_movk_i32 s4, 0xff
	v_cmp_ne_u32_e32 vcc, s4, v3
	v_mov_b32_e32 v5, 0xff
	s_and_saveexec_b64 s[26:27], vcc
; %bb.293:
	s_mov_b32 s4, 0x3fffff
	v_and_b32_e32 v5, 0x400000, v4
	v_and_or_b32 v4, v4, s4, v3
	v_cmp_ne_u32_e32 vcc, 0, v5
	v_cmp_ne_u32_e64 s[4:5], 0, v4
	s_and_b64 s[4:5], vcc, s[4:5]
	v_cndmask_b32_e64 v4, 0, 1, s[4:5]
	v_add_u32_e32 v5, v3, v4
; %bb.294:
	s_or_b64 exec, exec, s[26:27]
	s_mov_b64 s[26:27], -1
	s_mov_b64 s[4:5], 0
	global_store_byte v[0:1], v5, off
.LBB110_295:
	s_mov_b64 s[30:31], 0
.LBB110_296:
	s_and_b64 vcc, exec, s[30:31]
	s_cbranch_vccz .LBB110_299
; %bb.297:
	s_cmp_eq_u32 s37, 29
	s_mov_b64 s[4:5], -1
	s_cbranch_scc0 .LBB110_299
; %bb.298:
	s_mov_b32 s4, 0
	v_cndmask_b32_e64 v3, 0, 1, s[2:3]
	v_mov_b32_e32 v4, s4
	global_store_dwordx2 v[0:1], v[3:4], off
	s_mov_b64 s[26:27], -1
	s_mov_b64 s[4:5], 0
.LBB110_299:
	s_mov_b64 s[30:31], 0
.LBB110_300:
	s_and_b64 vcc, exec, s[30:31]
	s_cbranch_vccz .LBB110_316
; %bb.301:
	s_cmp_lt_i32 s37, 27
	s_mov_b64 s[26:27], -1
	s_cbranch_scc1 .LBB110_307
; %bb.302:
	s_cmp_gt_i32 s37, 27
	s_cbranch_scc0 .LBB110_304
; %bb.303:
	v_cndmask_b32_e64 v3, 0, 1, s[2:3]
	s_mov_b64 s[26:27], 0
	global_store_dword v[0:1], v3, off
.LBB110_304:
	s_andn2_b64 vcc, exec, s[26:27]
	s_cbranch_vccnz .LBB110_306
; %bb.305:
	v_cndmask_b32_e64 v3, 0, 1, s[2:3]
	global_store_short v[0:1], v3, off
.LBB110_306:
	s_mov_b64 s[26:27], 0
.LBB110_307:
	s_andn2_b64 vcc, exec, s[26:27]
	s_cbranch_vccnz .LBB110_315
; %bb.308:
	v_cndmask_b32_e64 v4, 0, 1.0, s[2:3]
	s_mov_b32 s26, 0x43800000
	v_cmp_gt_u32_e32 vcc, s26, v4
	v_mov_b32_e32 v5, 0x80
	s_and_saveexec_b64 s[26:27], vcc
	s_cbranch_execz .LBB110_314
; %bb.309:
	s_mov_b32 s30, 0x3bffffff
	v_cmp_lt_u32_e32 vcc, s30, v4
	s_mov_b64 s[30:31], 0
                                        ; implicit-def: $vgpr3
	s_and_saveexec_b64 s[34:35], vcc
	s_xor_b64 s[34:35], exec, s[34:35]
	s_cbranch_execz .LBB110_526
; %bb.310:
	v_bfe_u32 v3, v4, 20, 1
	s_mov_b32 s38, 0x487ffff
	v_add3_u32 v3, v4, v3, s38
	s_mov_b64 s[30:31], exec
	v_lshrrev_b32_e32 v3, 20, v3
                                        ; implicit-def: $vgpr4
	s_andn2_saveexec_b64 s[34:35], s[34:35]
	s_cbranch_execnz .LBB110_527
.LBB110_311:
	s_or_b64 exec, exec, s[34:35]
	v_mov_b32_e32 v5, 0
	s_and_saveexec_b64 s[34:35], s[30:31]
.LBB110_312:
	v_mov_b32_e32 v5, v3
.LBB110_313:
	s_or_b64 exec, exec, s[34:35]
.LBB110_314:
	s_or_b64 exec, exec, s[26:27]
	global_store_byte v[0:1], v5, off
.LBB110_315:
	s_mov_b64 s[26:27], -1
.LBB110_316:
	s_mov_b64 s[30:31], 0
.LBB110_317:
	s_and_b64 vcc, exec, s[30:31]
	s_cbranch_vccz .LBB110_358
; %bb.318:
	s_cmp_gt_i32 s37, 22
	s_mov_b64 s[30:31], -1
	s_cbranch_scc0 .LBB110_350
; %bb.319:
	s_cmp_lt_i32 s37, 24
	s_mov_b64 s[26:27], -1
	s_cbranch_scc1 .LBB110_339
; %bb.320:
	s_cmp_gt_i32 s37, 24
	s_cbranch_scc0 .LBB110_328
; %bb.321:
	v_cndmask_b32_e64 v4, 0, 1.0, s[2:3]
	s_mov_b32 s26, 0x47800000
	v_cmp_gt_u32_e32 vcc, s26, v4
	v_mov_b32_e32 v5, 0x80
	s_and_saveexec_b64 s[26:27], vcc
	s_cbranch_execz .LBB110_327
; %bb.322:
	s_mov_b32 s30, 0x37ffffff
	v_cmp_lt_u32_e32 vcc, s30, v4
	s_mov_b64 s[30:31], 0
                                        ; implicit-def: $vgpr3
	s_and_saveexec_b64 s[34:35], vcc
	s_xor_b64 s[34:35], exec, s[34:35]
	s_cbranch_execz .LBB110_529
; %bb.323:
	v_bfe_u32 v3, v4, 21, 1
	s_mov_b32 s38, 0x88fffff
	v_add3_u32 v3, v4, v3, s38
	s_mov_b64 s[30:31], exec
	v_lshrrev_b32_e32 v3, 21, v3
                                        ; implicit-def: $vgpr4
	s_andn2_saveexec_b64 s[34:35], s[34:35]
	s_cbranch_execnz .LBB110_530
.LBB110_324:
	s_or_b64 exec, exec, s[34:35]
	v_mov_b32_e32 v5, 0
	s_and_saveexec_b64 s[34:35], s[30:31]
.LBB110_325:
	v_mov_b32_e32 v5, v3
.LBB110_326:
	s_or_b64 exec, exec, s[34:35]
.LBB110_327:
	s_or_b64 exec, exec, s[26:27]
	s_mov_b64 s[26:27], 0
	global_store_byte v[0:1], v5, off
.LBB110_328:
	s_and_b64 vcc, exec, s[26:27]
	s_cbranch_vccz .LBB110_338
; %bb.329:
	v_cndmask_b32_e64 v3, 0, 1.0, s[2:3]
	s_mov_b32 s26, 0x43f00000
	v_cmp_gt_u32_e32 vcc, s26, v3
                                        ; implicit-def: $vgpr4
	s_and_saveexec_b64 s[26:27], vcc
	s_xor_b64 s[26:27], exec, s[26:27]
	s_cbranch_execz .LBB110_335
; %bb.330:
	s_mov_b32 s30, 0x3c7fffff
	v_cmp_lt_u32_e32 vcc, s30, v3
                                        ; implicit-def: $vgpr4
	s_and_saveexec_b64 s[30:31], vcc
	s_xor_b64 s[30:31], exec, s[30:31]
; %bb.331:
	v_bfe_u32 v4, v3, 20, 1
	s_mov_b32 s34, 0x407ffff
	v_add3_u32 v3, v3, v4, s34
	v_lshrrev_b32_e32 v4, 20, v3
	v_and_b32_e32 v3, 0xff00000, v3
	s_mov_b32 s34, 0x7f00000
	v_mov_b32_e32 v5, 0x7e
	v_cmp_ne_u32_e32 vcc, s34, v3
	v_cndmask_b32_e32 v4, v5, v4, vcc
                                        ; implicit-def: $vgpr3
; %bb.332:
	s_andn2_saveexec_b64 s[30:31], s[30:31]
; %bb.333:
	v_add_f32_e32 v4, 0x46800000, v3
; %bb.334:
	s_or_b64 exec, exec, s[30:31]
                                        ; implicit-def: $vgpr3
.LBB110_335:
	s_andn2_saveexec_b64 s[26:27], s[26:27]
; %bb.336:
	s_mov_b32 s30, 0x7f800000
	v_mov_b32_e32 v4, 0x7e
	v_mov_b32_e32 v5, 0x7f
	v_cmp_lt_u32_e32 vcc, s30, v3
	v_cndmask_b32_e32 v4, v4, v5, vcc
; %bb.337:
	s_or_b64 exec, exec, s[26:27]
	global_store_byte v[0:1], v4, off
.LBB110_338:
	s_mov_b64 s[26:27], 0
.LBB110_339:
	s_andn2_b64 vcc, exec, s[26:27]
	s_cbranch_vccnz .LBB110_349
; %bb.340:
	v_cndmask_b32_e64 v3, 0, 1.0, s[2:3]
	s_mov_b32 s26, 0x47800000
	v_cmp_gt_u32_e32 vcc, s26, v3
                                        ; implicit-def: $vgpr4
	s_and_saveexec_b64 s[26:27], vcc
	s_xor_b64 s[26:27], exec, s[26:27]
	s_cbranch_execz .LBB110_346
; %bb.341:
	s_mov_b32 s30, 0x387fffff
	v_cmp_lt_u32_e32 vcc, s30, v3
                                        ; implicit-def: $vgpr4
	s_and_saveexec_b64 s[30:31], vcc
	s_xor_b64 s[30:31], exec, s[30:31]
; %bb.342:
	v_bfe_u32 v4, v3, 21, 1
	s_mov_b32 s34, 0x80fffff
	v_add3_u32 v3, v3, v4, s34
	v_lshrrev_b32_e32 v4, 21, v3
                                        ; implicit-def: $vgpr3
; %bb.343:
	s_andn2_saveexec_b64 s[30:31], s[30:31]
; %bb.344:
	v_add_f32_e32 v4, 0x43000000, v3
; %bb.345:
	s_or_b64 exec, exec, s[30:31]
                                        ; implicit-def: $vgpr3
.LBB110_346:
	s_andn2_saveexec_b64 s[26:27], s[26:27]
; %bb.347:
	s_mov_b32 s30, 0x7f800000
	v_mov_b32_e32 v4, 0x7c
	v_mov_b32_e32 v5, 0x7f
	v_cmp_lt_u32_e32 vcc, s30, v3
	v_cndmask_b32_e32 v4, v4, v5, vcc
; %bb.348:
	s_or_b64 exec, exec, s[26:27]
	global_store_byte v[0:1], v4, off
.LBB110_349:
	s_mov_b64 s[30:31], 0
	s_mov_b64 s[26:27], -1
.LBB110_350:
	s_andn2_b64 vcc, exec, s[30:31]
	s_cbranch_vccnz .LBB110_358
; %bb.351:
	s_cmp_gt_i32 s37, 14
	s_mov_b64 s[30:31], -1
	s_cbranch_scc0 .LBB110_355
; %bb.352:
	s_cmp_eq_u32 s37, 15
	s_mov_b64 s[4:5], -1
	s_cbranch_scc0 .LBB110_354
; %bb.353:
	v_cndmask_b32_e64 v3, 0, 1.0, s[2:3]
	v_bfe_u32 v4, v3, 16, 1
	s_movk_i32 s4, 0x7fff
	v_add3_u32 v3, v3, v4, s4
	global_store_short_d16_hi v[0:1], v3, off
	s_mov_b64 s[26:27], -1
	s_mov_b64 s[4:5], 0
.LBB110_354:
	s_mov_b64 s[30:31], 0
.LBB110_355:
	s_and_b64 vcc, exec, s[30:31]
	s_cbranch_vccz .LBB110_358
; %bb.356:
	s_cmp_eq_u32 s37, 11
	s_mov_b64 s[4:5], -1
	s_cbranch_scc0 .LBB110_358
; %bb.357:
	v_cndmask_b32_e64 v3, 0, 1, s[2:3]
	s_mov_b64 s[26:27], -1
	s_mov_b64 s[4:5], 0
	global_store_byte v[0:1], v3, off
.LBB110_358:
	s_mov_b64 s[30:31], 0
.LBB110_359:
	s_and_b64 vcc, exec, s[30:31]
	s_cbranch_vccz .LBB110_398
; %bb.360:
	s_and_b32 s30, 0xffff, s36
	s_cmp_lt_i32 s30, 5
	s_mov_b64 s[26:27], -1
	s_cbranch_scc1 .LBB110_381
; %bb.361:
	s_cmp_lt_i32 s30, 8
	s_cbranch_scc1 .LBB110_371
; %bb.362:
	s_cmp_lt_i32 s30, 9
	s_cbranch_scc1 .LBB110_368
; %bb.363:
	s_cmp_gt_i32 s30, 9
	s_cbranch_scc0 .LBB110_365
; %bb.364:
	v_cndmask_b32_e64 v3, 0, 1, s[2:3]
	v_cvt_f64_u32_e32 v[3:4], v3
	v_mov_b32_e32 v5, 0
	v_mov_b32_e32 v6, v5
	s_mov_b64 s[26:27], 0
	global_store_dwordx4 v[0:1], v[3:6], off
.LBB110_365:
	s_andn2_b64 vcc, exec, s[26:27]
	s_cbranch_vccnz .LBB110_367
; %bb.366:
	v_cndmask_b32_e64 v3, 0, 1.0, s[2:3]
	v_mov_b32_e32 v4, 0
	global_store_dwordx2 v[0:1], v[3:4], off
.LBB110_367:
	s_mov_b64 s[26:27], 0
.LBB110_368:
	s_andn2_b64 vcc, exec, s[26:27]
	s_cbranch_vccnz .LBB110_370
; %bb.369:
	v_cndmask_b32_e64 v3, 0, 1.0, s[2:3]
	v_cvt_f16_f32_e32 v3, v3
	global_store_dword v[0:1], v3, off
.LBB110_370:
	s_mov_b64 s[26:27], 0
.LBB110_371:
	s_andn2_b64 vcc, exec, s[26:27]
	s_cbranch_vccnz .LBB110_380
; %bb.372:
	s_cmp_lt_i32 s30, 6
	s_mov_b64 s[26:27], -1
	s_cbranch_scc1 .LBB110_378
; %bb.373:
	s_cmp_gt_i32 s30, 6
	s_cbranch_scc0 .LBB110_375
; %bb.374:
	v_cndmask_b32_e64 v3, 0, 1, s[2:3]
	v_cvt_f64_u32_e32 v[3:4], v3
	s_mov_b64 s[26:27], 0
	global_store_dwordx2 v[0:1], v[3:4], off
.LBB110_375:
	s_andn2_b64 vcc, exec, s[26:27]
	s_cbranch_vccnz .LBB110_377
; %bb.376:
	v_cndmask_b32_e64 v3, 0, 1.0, s[2:3]
	global_store_dword v[0:1], v3, off
.LBB110_377:
	s_mov_b64 s[26:27], 0
.LBB110_378:
	s_andn2_b64 vcc, exec, s[26:27]
	s_cbranch_vccnz .LBB110_380
; %bb.379:
	v_cndmask_b32_e64 v3, 0, 1.0, s[2:3]
	v_cvt_f16_f32_e32 v3, v3
	global_store_short v[0:1], v3, off
.LBB110_380:
	s_mov_b64 s[26:27], 0
.LBB110_381:
	s_andn2_b64 vcc, exec, s[26:27]
	s_cbranch_vccnz .LBB110_397
; %bb.382:
	s_cmp_lt_i32 s30, 2
	s_mov_b64 s[26:27], -1
	s_cbranch_scc1 .LBB110_392
; %bb.383:
	s_cmp_lt_i32 s30, 3
	s_cbranch_scc1 .LBB110_389
; %bb.384:
	s_cmp_gt_i32 s30, 3
	s_cbranch_scc0 .LBB110_386
; %bb.385:
	s_mov_b32 s26, 0
	v_cndmask_b32_e64 v3, 0, 1, s[2:3]
	v_mov_b32_e32 v4, s26
	s_mov_b64 s[26:27], 0
	global_store_dwordx2 v[0:1], v[3:4], off
.LBB110_386:
	s_andn2_b64 vcc, exec, s[26:27]
	s_cbranch_vccnz .LBB110_388
; %bb.387:
	v_cndmask_b32_e64 v3, 0, 1, s[2:3]
	global_store_dword v[0:1], v3, off
.LBB110_388:
	s_mov_b64 s[26:27], 0
.LBB110_389:
	s_andn2_b64 vcc, exec, s[26:27]
	s_cbranch_vccnz .LBB110_391
; %bb.390:
	v_cndmask_b32_e64 v3, 0, 1, s[2:3]
	global_store_short v[0:1], v3, off
.LBB110_391:
	s_mov_b64 s[26:27], 0
.LBB110_392:
	s_andn2_b64 vcc, exec, s[26:27]
	s_cbranch_vccnz .LBB110_397
; %bb.393:
	s_mov_b64 s[26:27], -1
	s_cmp_gt_i32 s30, 0
	v_cndmask_b32_e64 v3, 0, 1, s[2:3]
	s_cbranch_scc0 .LBB110_395
; %bb.394:
	s_mov_b64 s[26:27], 0
	global_store_byte v[0:1], v3, off
.LBB110_395:
	s_andn2_b64 vcc, exec, s[26:27]
	s_cbranch_vccnz .LBB110_397
; %bb.396:
	global_store_byte v[0:1], v3, off
.LBB110_397:
	s_mov_b64 s[26:27], -1
.LBB110_398:
	s_andn2_b64 vcc, exec, s[26:27]
	s_cbranch_vccnz .LBB110_400
; %bb.399:
	v_add_u32_e32 v2, 0x80, v2
	s_mov_b64 s[2:3], -1
	s_branch .LBB110_512
.LBB110_400:
	s_mov_b64 s[2:3], 0
                                        ; implicit-def: $vgpr2
	s_branch .LBB110_512
.LBB110_401:
	s_mov_b64 s[24:25], -1
                                        ; implicit-def: $vgpr3
.LBB110_402:
	s_mov_b64 s[4:5], 0
.LBB110_403:
	s_and_b64 vcc, exec, s[4:5]
	s_cbranch_vccz .LBB110_407
; %bb.404:
	s_cmp_eq_u32 s30, 29
	s_cbranch_scc0 .LBB110_406
; %bb.405:
	global_load_dwordx2 v[3:4], v[0:1], off
	s_mov_b64 s[2:3], -1
	s_mov_b64 s[24:25], 0
	s_mov_b64 s[4:5], 0
	s_waitcnt vmcnt(0)
	v_ffbh_u32_e32 v5, v4
	v_min_u32_e32 v5, 32, v5
	v_lshlrev_b64 v[3:4], v5, v[3:4]
	v_min_u32_e32 v3, 1, v3
	v_or_b32_e32 v3, v4, v3
	v_cvt_f32_u32_e32 v3, v3
	v_sub_u32_e32 v4, 32, v5
	v_ldexp_f32 v3, v3, v4
	s_branch .LBB110_408
.LBB110_406:
	s_mov_b64 s[24:25], -1
                                        ; implicit-def: $vgpr3
.LBB110_407:
	s_mov_b64 s[4:5], 0
.LBB110_408:
	s_and_b64 vcc, exec, s[4:5]
	s_cbranch_vccz .LBB110_426
; %bb.409:
	s_cmp_lt_i32 s30, 27
	s_cbranch_scc1 .LBB110_412
; %bb.410:
	s_cmp_gt_i32 s30, 27
	s_cbranch_scc0 .LBB110_413
; %bb.411:
	global_load_dword v3, v[0:1], off
	s_mov_b64 s[2:3], 0
	s_waitcnt vmcnt(0)
	v_cvt_f32_u32_e32 v3, v3
	s_branch .LBB110_414
.LBB110_412:
	s_mov_b64 s[2:3], -1
                                        ; implicit-def: $vgpr3
	s_branch .LBB110_417
.LBB110_413:
	s_mov_b64 s[2:3], -1
                                        ; implicit-def: $vgpr3
.LBB110_414:
	s_andn2_b64 vcc, exec, s[2:3]
	s_cbranch_vccnz .LBB110_416
; %bb.415:
	global_load_ushort v3, v[0:1], off
	s_waitcnt vmcnt(0)
	v_cvt_f32_u32_e32 v3, v3
.LBB110_416:
	s_mov_b64 s[2:3], 0
.LBB110_417:
	s_andn2_b64 vcc, exec, s[2:3]
	s_cbranch_vccnz .LBB110_425
; %bb.418:
	global_load_ubyte v4, v[0:1], off
	s_movk_i32 s2, 0x7f
	s_waitcnt vmcnt(0)
	v_cmp_lt_i16_e32 vcc, s2, v4
	s_mov_b64 s[2:3], 0
	s_and_saveexec_b64 s[4:5], vcc
	s_xor_b64 s[4:5], exec, s[4:5]
	s_cbranch_execz .LBB110_439
; %bb.419:
	s_movk_i32 s2, 0x80
	v_cmp_eq_u16_e32 vcc, s2, v4
	s_mov_b64 s[2:3], -1
	s_and_saveexec_b64 s[26:27], vcc
; %bb.420:
	s_xor_b64 s[2:3], exec, -1
; %bb.421:
	s_or_b64 exec, exec, s[26:27]
	s_and_b64 s[2:3], s[2:3], exec
	s_or_saveexec_b64 s[4:5], s[4:5]
	v_mov_b32_e32 v3, 0x7f800001
	s_xor_b64 exec, exec, s[4:5]
	s_cbranch_execnz .LBB110_440
.LBB110_422:
	s_or_b64 exec, exec, s[4:5]
	s_and_saveexec_b64 s[4:5], s[2:3]
	s_cbranch_execz .LBB110_424
.LBB110_423:
	v_lshlrev_b32_e32 v3, 24, v4
	v_and_b32_e32 v4, 0xffff, v4
	v_and_b32_e32 v5, 7, v4
	v_ffbh_u32_e32 v7, v5
	v_min_u32_e32 v7, 32, v7
	v_subrev_u32_e32 v8, 28, v7
	v_bfe_u32 v6, v4, 3, 4
	v_lshlrev_b32_e32 v4, v8, v4
	v_sub_u32_e32 v7, 29, v7
	v_and_b32_e32 v4, 7, v4
	v_cmp_eq_u32_e32 vcc, 0, v6
	v_cndmask_b32_e32 v6, v6, v7, vcc
	v_cndmask_b32_e32 v4, v5, v4, vcc
	v_mov_b32_e32 v5, 0x3b800000
	v_lshlrev_b32_e32 v4, 20, v4
	v_and_b32_e32 v3, 0x80000000, v3
	v_lshl_add_u32 v5, v6, 23, v5
	v_or3_b32 v3, v3, v5, v4
.LBB110_424:
	s_or_b64 exec, exec, s[4:5]
.LBB110_425:
	s_mov_b64 s[2:3], -1
.LBB110_426:
	s_mov_b64 s[4:5], 0
.LBB110_427:
	s_and_b64 vcc, exec, s[4:5]
	s_cbranch_vccz .LBB110_462
; %bb.428:
	s_cmp_gt_i32 s30, 22
	s_cbranch_scc0 .LBB110_438
; %bb.429:
	s_cmp_lt_i32 s30, 24
	s_cbranch_scc1 .LBB110_441
; %bb.430:
	s_cmp_gt_i32 s30, 24
	s_cbranch_scc0 .LBB110_442
; %bb.431:
	global_load_ubyte v4, v[0:1], off
	s_movk_i32 s2, 0x7f
	s_waitcnt vmcnt(0)
	v_cmp_lt_i16_e32 vcc, s2, v4
	s_mov_b64 s[2:3], 0
	s_and_saveexec_b64 s[4:5], vcc
	s_xor_b64 s[4:5], exec, s[4:5]
	s_cbranch_execz .LBB110_454
; %bb.432:
	s_movk_i32 s2, 0x80
	v_cmp_eq_u16_e32 vcc, s2, v4
	s_mov_b64 s[2:3], -1
	s_and_saveexec_b64 s[26:27], vcc
; %bb.433:
	s_xor_b64 s[2:3], exec, -1
; %bb.434:
	s_or_b64 exec, exec, s[26:27]
	s_and_b64 s[2:3], s[2:3], exec
	s_or_saveexec_b64 s[4:5], s[4:5]
	v_mov_b32_e32 v3, 0x7f800001
	s_xor_b64 exec, exec, s[4:5]
	s_cbranch_execnz .LBB110_455
.LBB110_435:
	s_or_b64 exec, exec, s[4:5]
	s_and_saveexec_b64 s[4:5], s[2:3]
	s_cbranch_execz .LBB110_437
.LBB110_436:
	v_lshlrev_b32_e32 v3, 24, v4
	v_and_b32_e32 v4, 0xffff, v4
	v_and_b32_e32 v5, 3, v4
	v_ffbh_u32_e32 v7, v5
	v_min_u32_e32 v7, 32, v7
	v_subrev_u32_e32 v8, 29, v7
	v_bfe_u32 v6, v4, 2, 5
	v_lshlrev_b32_e32 v4, v8, v4
	v_sub_u32_e32 v7, 30, v7
	v_and_b32_e32 v4, 3, v4
	v_cmp_eq_u32_e32 vcc, 0, v6
	v_cndmask_b32_e32 v6, v6, v7, vcc
	v_cndmask_b32_e32 v4, v5, v4, vcc
	v_mov_b32_e32 v5, 0x37800000
	v_lshlrev_b32_e32 v4, 21, v4
	v_and_b32_e32 v3, 0x80000000, v3
	v_lshl_add_u32 v5, v6, 23, v5
	v_or3_b32 v3, v3, v5, v4
.LBB110_437:
	s_or_b64 exec, exec, s[4:5]
	s_mov_b64 s[2:3], 0
	s_branch .LBB110_443
.LBB110_438:
	s_mov_b64 s[4:5], -1
                                        ; implicit-def: $vgpr3
	s_branch .LBB110_449
.LBB110_439:
	s_or_saveexec_b64 s[4:5], s[4:5]
	v_mov_b32_e32 v3, 0x7f800001
	s_xor_b64 exec, exec, s[4:5]
	s_cbranch_execz .LBB110_422
.LBB110_440:
	v_cmp_ne_u16_e32 vcc, 0, v4
	s_andn2_b64 s[2:3], s[2:3], exec
	s_and_b64 s[26:27], vcc, exec
	v_mov_b32_e32 v3, 0
	s_or_b64 s[2:3], s[2:3], s[26:27]
	s_or_b64 exec, exec, s[4:5]
	s_and_saveexec_b64 s[4:5], s[2:3]
	s_cbranch_execnz .LBB110_423
	s_branch .LBB110_424
.LBB110_441:
	s_mov_b64 s[2:3], -1
                                        ; implicit-def: $vgpr3
	s_branch .LBB110_446
.LBB110_442:
	s_mov_b64 s[2:3], -1
                                        ; implicit-def: $vgpr3
.LBB110_443:
	s_and_b64 vcc, exec, s[2:3]
	s_cbranch_vccz .LBB110_445
; %bb.444:
	global_load_ubyte v3, v[0:1], off
	s_mov_b32 s2, 0x7f800000
	s_waitcnt vmcnt(0)
	v_lshlrev_b32_e32 v3, 24, v3
	v_and_b32_e32 v4, 0x7f000000, v3
	v_ffbh_u32_e32 v5, v4
	v_min_u32_e32 v5, 32, v5
	v_sub_u32_e64 v5, v5, 4 clamp
	v_lshlrev_b32_e32 v7, v5, v4
	v_lshlrev_b32_e32 v5, 23, v5
	v_lshrrev_b32_e32 v7, 4, v7
	v_add_u32_e32 v6, 0x1000000, v4
	v_sub_u32_e32 v5, v7, v5
	v_ashrrev_i32_e32 v6, 8, v6
	v_add_u32_e32 v5, 0x3c000000, v5
	v_and_or_b32 v5, v6, s2, v5
	v_cmp_ne_u32_e32 vcc, 0, v4
	v_cndmask_b32_e32 v4, 0, v5, vcc
	s_brev_b32 s2, 1
	v_and_or_b32 v3, v3, s2, v4
.LBB110_445:
	s_mov_b64 s[2:3], 0
.LBB110_446:
	s_andn2_b64 vcc, exec, s[2:3]
	s_cbranch_vccnz .LBB110_448
; %bb.447:
	global_load_ubyte v3, v[0:1], off
	s_movk_i32 s2, 0x7f00
	s_brev_b32 s3, 16
	s_waitcnt vmcnt(0)
	v_lshlrev_b16_e32 v4, 8, v3
	v_lshlrev_b32_e32 v3, 25, v3
	v_lshrrev_b32_e32 v5, 4, v3
	v_and_or_b32 v6, v4, s2, 0.5
	v_or_b32_e32 v5, 0x70000000, v5
	v_add_f32_e32 v6, -0.5, v6
	v_mul_f32_e32 v5, 0x7800000, v5
	v_cmp_gt_u32_e32 vcc, s3, v3
	v_bfe_i32 v4, v4, 0, 16
	v_cndmask_b32_e32 v3, v5, v6, vcc
	s_brev_b32 s2, 1
	v_and_or_b32 v3, v4, s2, v3
.LBB110_448:
	s_mov_b64 s[4:5], 0
	s_mov_b64 s[2:3], -1
.LBB110_449:
	s_andn2_b64 vcc, exec, s[4:5]
	s_cbranch_vccnz .LBB110_462
; %bb.450:
	s_cmp_gt_i32 s30, 14
	s_cbranch_scc0 .LBB110_453
; %bb.451:
	s_cmp_eq_u32 s30, 15
	s_cbranch_scc0 .LBB110_456
; %bb.452:
	global_load_ushort v3, v[0:1], off
	s_mov_b64 s[2:3], -1
	s_mov_b64 s[24:25], 0
	s_waitcnt vmcnt(0)
	v_lshlrev_b32_e32 v3, 16, v3
	s_branch .LBB110_457
.LBB110_453:
	s_mov_b64 s[4:5], -1
                                        ; implicit-def: $vgpr3
	s_branch .LBB110_458
.LBB110_454:
	s_or_saveexec_b64 s[4:5], s[4:5]
	v_mov_b32_e32 v3, 0x7f800001
	s_xor_b64 exec, exec, s[4:5]
	s_cbranch_execz .LBB110_435
.LBB110_455:
	v_cmp_ne_u16_e32 vcc, 0, v4
	s_andn2_b64 s[2:3], s[2:3], exec
	s_and_b64 s[26:27], vcc, exec
	v_mov_b32_e32 v3, 0
	s_or_b64 s[2:3], s[2:3], s[26:27]
	s_or_b64 exec, exec, s[4:5]
	s_and_saveexec_b64 s[4:5], s[2:3]
	s_cbranch_execnz .LBB110_436
	s_branch .LBB110_437
.LBB110_456:
	s_mov_b64 s[24:25], -1
                                        ; implicit-def: $vgpr3
.LBB110_457:
	s_mov_b64 s[4:5], 0
.LBB110_458:
	s_and_b64 vcc, exec, s[4:5]
	s_cbranch_vccz .LBB110_462
; %bb.459:
	s_cmp_eq_u32 s30, 11
	s_cbranch_scc0 .LBB110_461
; %bb.460:
	global_load_ubyte v3, v[0:1], off
	s_mov_b64 s[2:3], -1
	s_mov_b64 s[24:25], 0
	s_waitcnt vmcnt(0)
	v_cmp_ne_u16_e32 vcc, 0, v3
	v_cndmask_b32_e64 v3, 0, 1.0, vcc
	s_branch .LBB110_462
.LBB110_461:
	s_mov_b64 s[24:25], -1
                                        ; implicit-def: $vgpr3
.LBB110_462:
	s_branch .LBB110_265
.LBB110_463:
	s_cmp_lt_i32 s30, 5
	s_cbranch_scc1 .LBB110_468
; %bb.464:
	s_cmp_lt_i32 s30, 8
	s_cbranch_scc1 .LBB110_469
; %bb.465:
	;; [unrolled: 3-line block ×3, first 2 shown]
	s_cmp_gt_i32 s30, 9
	s_cbranch_scc0 .LBB110_471
; %bb.467:
	global_load_dwordx2 v[3:4], v[0:1], off
	s_mov_b64 s[2:3], 0
	s_waitcnt vmcnt(0)
	v_cvt_f32_f64_e32 v3, v[3:4]
	s_branch .LBB110_472
.LBB110_468:
	s_mov_b64 s[2:3], -1
                                        ; implicit-def: $vgpr3
	s_branch .LBB110_490
.LBB110_469:
	s_mov_b64 s[2:3], -1
                                        ; implicit-def: $vgpr3
	s_branch .LBB110_478
.LBB110_470:
	s_mov_b64 s[2:3], -1
                                        ; implicit-def: $vgpr3
	s_branch .LBB110_475
.LBB110_471:
	s_mov_b64 s[2:3], -1
                                        ; implicit-def: $vgpr3
.LBB110_472:
	s_andn2_b64 vcc, exec, s[2:3]
	s_cbranch_vccnz .LBB110_474
; %bb.473:
	global_load_dword v3, v[0:1], off
.LBB110_474:
	s_mov_b64 s[2:3], 0
.LBB110_475:
	s_andn2_b64 vcc, exec, s[2:3]
	s_cbranch_vccnz .LBB110_477
; %bb.476:
	global_load_dword v3, v[0:1], off
	s_waitcnt vmcnt(0)
	v_cvt_f32_f16_e32 v3, v3
.LBB110_477:
	s_mov_b64 s[2:3], 0
.LBB110_478:
	s_andn2_b64 vcc, exec, s[2:3]
	s_cbranch_vccnz .LBB110_489
; %bb.479:
	s_cmp_lt_i32 s30, 6
	s_cbranch_scc1 .LBB110_482
; %bb.480:
	s_cmp_gt_i32 s30, 6
	s_cbranch_scc0 .LBB110_483
; %bb.481:
	global_load_dwordx2 v[3:4], v[0:1], off
	s_mov_b64 s[2:3], 0
	s_waitcnt vmcnt(0)
	v_cvt_f32_f64_e32 v3, v[3:4]
	s_branch .LBB110_484
.LBB110_482:
	s_mov_b64 s[2:3], -1
                                        ; implicit-def: $vgpr3
	s_branch .LBB110_487
.LBB110_483:
	s_mov_b64 s[2:3], -1
                                        ; implicit-def: $vgpr3
.LBB110_484:
	s_andn2_b64 vcc, exec, s[2:3]
	s_cbranch_vccnz .LBB110_486
; %bb.485:
	global_load_dword v3, v[0:1], off
.LBB110_486:
	s_mov_b64 s[2:3], 0
.LBB110_487:
	s_andn2_b64 vcc, exec, s[2:3]
	s_cbranch_vccnz .LBB110_489
; %bb.488:
	global_load_ushort v3, v[0:1], off
	s_waitcnt vmcnt(0)
	v_cvt_f32_f16_e32 v3, v3
.LBB110_489:
	s_mov_b64 s[2:3], 0
.LBB110_490:
	s_andn2_b64 vcc, exec, s[2:3]
	s_cbranch_vccnz .LBB110_510
; %bb.491:
	s_cmp_lt_i32 s30, 2
	s_cbranch_scc1 .LBB110_495
; %bb.492:
	s_cmp_lt_i32 s30, 3
	s_cbranch_scc1 .LBB110_496
; %bb.493:
	s_cmp_gt_i32 s30, 3
	s_cbranch_scc0 .LBB110_497
; %bb.494:
	global_load_dwordx2 v[3:4], v[0:1], off
	s_mov_b64 s[2:3], 0
	s_waitcnt vmcnt(0)
	v_xor_b32_e32 v6, v3, v4
	v_ffbh_i32_e32 v5, v4
	v_ashrrev_i32_e32 v6, 31, v6
	v_add_u32_e32 v5, -1, v5
	v_add_u32_e32 v6, 32, v6
	v_min_u32_e32 v5, v5, v6
	v_lshlrev_b64 v[3:4], v5, v[3:4]
	v_min_u32_e32 v3, 1, v3
	v_or_b32_e32 v3, v4, v3
	v_cvt_f32_i32_e32 v3, v3
	v_sub_u32_e32 v4, 32, v5
	v_ldexp_f32 v3, v3, v4
	s_branch .LBB110_498
.LBB110_495:
	s_mov_b64 s[2:3], -1
                                        ; implicit-def: $vgpr3
	s_branch .LBB110_504
.LBB110_496:
	s_mov_b64 s[2:3], -1
                                        ; implicit-def: $vgpr3
	s_branch .LBB110_501
.LBB110_497:
	s_mov_b64 s[2:3], -1
                                        ; implicit-def: $vgpr3
.LBB110_498:
	s_andn2_b64 vcc, exec, s[2:3]
	s_cbranch_vccnz .LBB110_500
; %bb.499:
	global_load_dword v3, v[0:1], off
	s_waitcnt vmcnt(0)
	v_cvt_f32_i32_e32 v3, v3
.LBB110_500:
	s_mov_b64 s[2:3], 0
.LBB110_501:
	s_andn2_b64 vcc, exec, s[2:3]
	s_cbranch_vccnz .LBB110_503
; %bb.502:
	global_load_sshort v3, v[0:1], off
	s_waitcnt vmcnt(0)
	v_cvt_f32_i32_e32 v3, v3
.LBB110_503:
	s_mov_b64 s[2:3], 0
.LBB110_504:
	s_andn2_b64 vcc, exec, s[2:3]
	s_cbranch_vccnz .LBB110_510
; %bb.505:
	s_cmp_gt_i32 s30, 0
	s_cbranch_scc0 .LBB110_507
; %bb.506:
	global_load_sbyte v3, v[0:1], off
	s_mov_b64 s[2:3], 0
	s_waitcnt vmcnt(0)
	v_cvt_f32_i32_e32 v3, v3
	s_branch .LBB110_508
.LBB110_507:
	s_mov_b64 s[2:3], -1
                                        ; implicit-def: $vgpr3
.LBB110_508:
	s_andn2_b64 vcc, exec, s[2:3]
	s_cbranch_vccnz .LBB110_510
; %bb.509:
	global_load_ubyte v0, v[0:1], off
	s_waitcnt vmcnt(0)
	v_cvt_f32_ubyte0_e32 v3, v0
.LBB110_510:
	s_branch .LBB110_266
.LBB110_511:
	s_mov_b64 s[2:3], 0
                                        ; implicit-def: $vgpr2
	s_mov_b64 s[4:5], s[18:19]
.LBB110_512:
	s_andn2_b64 s[26:27], s[18:19], exec
	s_and_b64 s[4:5], s[4:5], exec
	s_or_b64 s[26:27], s[26:27], s[4:5]
	s_andn2_b64 s[4:5], s[20:21], exec
	s_and_b64 s[24:25], s[24:25], exec
	s_or_b64 s[24:25], s[4:5], s[24:25]
	s_orn2_b64 s[2:3], s[2:3], exec
.LBB110_513:
	s_or_b64 exec, exec, s[28:29]
	s_mov_b64 s[4:5], 0
	s_mov_b64 s[30:31], 0
	;; [unrolled: 1-line block ×3, first 2 shown]
                                        ; implicit-def: $vgpr0_vgpr1
                                        ; implicit-def: $vgpr3
	s_and_saveexec_b64 s[28:29], s[2:3]
	s_cbranch_execz .LBB110_858
; %bb.514:
	v_cmp_gt_i32_e32 vcc, s42, v2
	s_mov_b64 s[38:39], -1
	s_mov_b64 s[2:3], s[24:25]
	s_mov_b64 s[4:5], s[26:27]
	s_and_saveexec_b64 s[30:31], vcc
	s_cbranch_execz .LBB110_772
; %bb.515:
	v_mul_lo_u32 v0, v2, s13
	v_mov_b32_e32 v1, s11
	s_and_b32 s38, 0xffff, s46
	s_cmp_lt_i32 s38, 11
	s_waitcnt vmcnt(0)
	v_ashrrev_i32_e32 v3, 31, v0
	v_add_co_u32_e32 v0, vcc, s10, v0
	v_addc_co_u32_e32 v1, vcc, v1, v3, vcc
	s_cbranch_scc1 .LBB110_522
; %bb.516:
	s_cmp_gt_i32 s38, 25
	s_cbranch_scc0 .LBB110_523
; %bb.517:
	s_cmp_gt_i32 s38, 28
	s_cbranch_scc0 .LBB110_524
	;; [unrolled: 3-line block ×4, first 2 shown]
; %bb.520:
	s_cmp_eq_u32 s38, 46
	s_mov_b64 s[4:5], 0
	s_cbranch_scc0 .LBB110_531
; %bb.521:
	global_load_dword v3, v[0:1], off
	s_mov_b64 s[2:3], -1
	s_waitcnt vmcnt(0)
	v_lshlrev_b32_e32 v3, 16, v3
	s_branch .LBB110_532
.LBB110_522:
	s_mov_b64 s[4:5], -1
	s_mov_b64 s[2:3], 0
                                        ; implicit-def: $vgpr3
	s_mov_b64 s[34:35], s[24:25]
	s_branch .LBB110_597
.LBB110_523:
	s_mov_b64 s[4:5], -1
	s_mov_b64 s[2:3], 0
	s_mov_b64 s[34:35], s[24:25]
                                        ; implicit-def: $vgpr3
	s_branch .LBB110_561
.LBB110_524:
	s_mov_b64 s[4:5], -1
	s_mov_b64 s[2:3], 0
	s_mov_b64 s[34:35], s[24:25]
                                        ; implicit-def: $vgpr3
	s_branch .LBB110_542
.LBB110_525:
	s_mov_b64 s[4:5], -1
	s_mov_b64 s[2:3], 0
	s_mov_b64 s[34:35], s[24:25]
                                        ; implicit-def: $vgpr3
	s_branch .LBB110_537
.LBB110_526:
	s_andn2_saveexec_b64 s[34:35], s[34:35]
	s_cbranch_execz .LBB110_311
.LBB110_527:
	v_add_f32_e32 v3, 0x46000000, v4
	v_and_b32_e32 v3, 0xff, v3
	v_cmp_ne_u32_e32 vcc, 0, v3
	s_andn2_b64 s[30:31], s[30:31], exec
	s_and_b64 s[38:39], vcc, exec
	s_or_b64 s[30:31], s[30:31], s[38:39]
	s_or_b64 exec, exec, s[34:35]
	v_mov_b32_e32 v5, 0
	s_and_saveexec_b64 s[34:35], s[30:31]
	s_cbranch_execnz .LBB110_312
	s_branch .LBB110_313
.LBB110_528:
	s_mov_b64 s[4:5], -1
	s_mov_b64 s[2:3], 0
	s_mov_b64 s[34:35], s[24:25]
                                        ; implicit-def: $vgpr3
	s_branch .LBB110_532
.LBB110_529:
	s_andn2_saveexec_b64 s[34:35], s[34:35]
	s_cbranch_execz .LBB110_324
.LBB110_530:
	v_add_f32_e32 v3, 0x42800000, v4
	v_and_b32_e32 v3, 0xff, v3
	v_cmp_ne_u32_e32 vcc, 0, v3
	s_andn2_b64 s[30:31], s[30:31], exec
	s_and_b64 s[38:39], vcc, exec
	s_or_b64 s[30:31], s[30:31], s[38:39]
	s_or_b64 exec, exec, s[34:35]
	v_mov_b32_e32 v5, 0
	s_and_saveexec_b64 s[34:35], s[30:31]
	s_cbranch_execnz .LBB110_325
	s_branch .LBB110_326
.LBB110_531:
	s_mov_b64 s[34:35], -1
                                        ; implicit-def: $vgpr3
	s_mov_b64 s[2:3], 0
.LBB110_532:
	s_and_b64 vcc, exec, s[4:5]
	s_cbranch_vccz .LBB110_536
; %bb.533:
	s_cmp_eq_u32 s38, 44
	s_cbranch_scc0 .LBB110_535
; %bb.534:
	global_load_ubyte v3, v[0:1], off
	s_movk_i32 s4, 0xff
	v_mov_b32_e32 v4, 0x7f800001
	v_mov_b32_e32 v5, 0x400000
	s_mov_b64 s[2:3], -1
	s_mov_b64 s[34:35], 0
	s_waitcnt vmcnt(0)
	v_lshlrev_b32_e32 v6, 23, v3
	v_cmp_ne_u32_e32 vcc, s4, v3
	v_cndmask_b32_e32 v4, v4, v6, vcc
	v_cmp_ne_u32_e32 vcc, 0, v3
	v_cndmask_b32_e32 v3, v5, v4, vcc
	s_branch .LBB110_536
.LBB110_535:
	s_mov_b64 s[34:35], -1
                                        ; implicit-def: $vgpr3
.LBB110_536:
	s_mov_b64 s[4:5], 0
.LBB110_537:
	s_and_b64 vcc, exec, s[4:5]
	s_cbranch_vccz .LBB110_541
; %bb.538:
	s_cmp_eq_u32 s38, 29
	s_cbranch_scc0 .LBB110_540
; %bb.539:
	global_load_dwordx2 v[3:4], v[0:1], off
	s_mov_b64 s[2:3], -1
	s_mov_b64 s[34:35], 0
	s_mov_b64 s[4:5], 0
	s_waitcnt vmcnt(0)
	v_ffbh_u32_e32 v5, v4
	v_min_u32_e32 v5, 32, v5
	v_lshlrev_b64 v[3:4], v5, v[3:4]
	v_min_u32_e32 v3, 1, v3
	v_or_b32_e32 v3, v4, v3
	v_cvt_f32_u32_e32 v3, v3
	v_sub_u32_e32 v4, 32, v5
	v_ldexp_f32 v3, v3, v4
	s_branch .LBB110_542
.LBB110_540:
	s_mov_b64 s[34:35], -1
                                        ; implicit-def: $vgpr3
.LBB110_541:
	s_mov_b64 s[4:5], 0
.LBB110_542:
	s_and_b64 vcc, exec, s[4:5]
	s_cbranch_vccz .LBB110_560
; %bb.543:
	s_cmp_lt_i32 s38, 27
	s_cbranch_scc1 .LBB110_546
; %bb.544:
	s_cmp_gt_i32 s38, 27
	s_cbranch_scc0 .LBB110_547
; %bb.545:
	global_load_dword v3, v[0:1], off
	s_mov_b64 s[2:3], 0
	s_waitcnt vmcnt(0)
	v_cvt_f32_u32_e32 v3, v3
	s_branch .LBB110_548
.LBB110_546:
	s_mov_b64 s[2:3], -1
                                        ; implicit-def: $vgpr3
	s_branch .LBB110_551
.LBB110_547:
	s_mov_b64 s[2:3], -1
                                        ; implicit-def: $vgpr3
.LBB110_548:
	s_andn2_b64 vcc, exec, s[2:3]
	s_cbranch_vccnz .LBB110_550
; %bb.549:
	global_load_ushort v3, v[0:1], off
	s_waitcnt vmcnt(0)
	v_cvt_f32_u32_e32 v3, v3
.LBB110_550:
	s_mov_b64 s[2:3], 0
.LBB110_551:
	s_andn2_b64 vcc, exec, s[2:3]
	s_cbranch_vccnz .LBB110_559
; %bb.552:
	global_load_ubyte v4, v[0:1], off
	s_movk_i32 s2, 0x7f
	s_waitcnt vmcnt(0)
	v_cmp_lt_i16_e32 vcc, s2, v4
	s_mov_b64 s[2:3], 0
	s_and_saveexec_b64 s[4:5], vcc
	s_xor_b64 s[4:5], exec, s[4:5]
	s_cbranch_execz .LBB110_573
; %bb.553:
	s_movk_i32 s2, 0x80
	v_cmp_eq_u16_e32 vcc, s2, v4
	s_mov_b64 s[2:3], -1
	s_and_saveexec_b64 s[36:37], vcc
; %bb.554:
	s_xor_b64 s[2:3], exec, -1
; %bb.555:
	s_or_b64 exec, exec, s[36:37]
	s_and_b64 s[2:3], s[2:3], exec
	s_or_saveexec_b64 s[4:5], s[4:5]
	v_mov_b32_e32 v3, 0x7f800001
	s_xor_b64 exec, exec, s[4:5]
	s_cbranch_execnz .LBB110_574
.LBB110_556:
	s_or_b64 exec, exec, s[4:5]
	s_and_saveexec_b64 s[4:5], s[2:3]
	s_cbranch_execz .LBB110_558
.LBB110_557:
	v_lshlrev_b32_e32 v3, 24, v4
	v_and_b32_e32 v4, 0xffff, v4
	v_and_b32_e32 v5, 7, v4
	v_ffbh_u32_e32 v7, v5
	v_min_u32_e32 v7, 32, v7
	v_subrev_u32_e32 v8, 28, v7
	v_bfe_u32 v6, v4, 3, 4
	v_lshlrev_b32_e32 v4, v8, v4
	v_sub_u32_e32 v7, 29, v7
	v_and_b32_e32 v4, 7, v4
	v_cmp_eq_u32_e32 vcc, 0, v6
	v_cndmask_b32_e32 v6, v6, v7, vcc
	v_cndmask_b32_e32 v4, v5, v4, vcc
	v_mov_b32_e32 v5, 0x3b800000
	v_lshlrev_b32_e32 v4, 20, v4
	v_and_b32_e32 v3, 0x80000000, v3
	v_lshl_add_u32 v5, v6, 23, v5
	v_or3_b32 v3, v3, v5, v4
.LBB110_558:
	s_or_b64 exec, exec, s[4:5]
.LBB110_559:
	s_mov_b64 s[2:3], -1
.LBB110_560:
	s_mov_b64 s[4:5], 0
.LBB110_561:
	s_and_b64 vcc, exec, s[4:5]
	s_cbranch_vccz .LBB110_596
; %bb.562:
	s_cmp_gt_i32 s38, 22
	s_cbranch_scc0 .LBB110_572
; %bb.563:
	s_cmp_lt_i32 s38, 24
	s_cbranch_scc1 .LBB110_575
; %bb.564:
	s_cmp_gt_i32 s38, 24
	s_cbranch_scc0 .LBB110_576
; %bb.565:
	global_load_ubyte v4, v[0:1], off
	s_movk_i32 s2, 0x7f
	s_waitcnt vmcnt(0)
	v_cmp_lt_i16_e32 vcc, s2, v4
	s_mov_b64 s[2:3], 0
	s_and_saveexec_b64 s[4:5], vcc
	s_xor_b64 s[4:5], exec, s[4:5]
	s_cbranch_execz .LBB110_588
; %bb.566:
	s_movk_i32 s2, 0x80
	v_cmp_eq_u16_e32 vcc, s2, v4
	s_mov_b64 s[2:3], -1
	s_and_saveexec_b64 s[36:37], vcc
; %bb.567:
	s_xor_b64 s[2:3], exec, -1
; %bb.568:
	s_or_b64 exec, exec, s[36:37]
	s_and_b64 s[2:3], s[2:3], exec
	s_or_saveexec_b64 s[4:5], s[4:5]
	v_mov_b32_e32 v3, 0x7f800001
	s_xor_b64 exec, exec, s[4:5]
	s_cbranch_execnz .LBB110_589
.LBB110_569:
	s_or_b64 exec, exec, s[4:5]
	s_and_saveexec_b64 s[4:5], s[2:3]
	s_cbranch_execz .LBB110_571
.LBB110_570:
	v_lshlrev_b32_e32 v3, 24, v4
	v_and_b32_e32 v4, 0xffff, v4
	v_and_b32_e32 v5, 3, v4
	v_ffbh_u32_e32 v7, v5
	v_min_u32_e32 v7, 32, v7
	v_subrev_u32_e32 v8, 29, v7
	v_bfe_u32 v6, v4, 2, 5
	v_lshlrev_b32_e32 v4, v8, v4
	v_sub_u32_e32 v7, 30, v7
	v_and_b32_e32 v4, 3, v4
	v_cmp_eq_u32_e32 vcc, 0, v6
	v_cndmask_b32_e32 v6, v6, v7, vcc
	v_cndmask_b32_e32 v4, v5, v4, vcc
	v_mov_b32_e32 v5, 0x37800000
	v_lshlrev_b32_e32 v4, 21, v4
	v_and_b32_e32 v3, 0x80000000, v3
	v_lshl_add_u32 v5, v6, 23, v5
	v_or3_b32 v3, v3, v5, v4
.LBB110_571:
	s_or_b64 exec, exec, s[4:5]
	s_mov_b64 s[2:3], 0
	s_branch .LBB110_577
.LBB110_572:
	s_mov_b64 s[4:5], -1
                                        ; implicit-def: $vgpr3
	s_branch .LBB110_583
.LBB110_573:
	s_or_saveexec_b64 s[4:5], s[4:5]
	v_mov_b32_e32 v3, 0x7f800001
	s_xor_b64 exec, exec, s[4:5]
	s_cbranch_execz .LBB110_556
.LBB110_574:
	v_cmp_ne_u16_e32 vcc, 0, v4
	s_andn2_b64 s[2:3], s[2:3], exec
	s_and_b64 s[36:37], vcc, exec
	v_mov_b32_e32 v3, 0
	s_or_b64 s[2:3], s[2:3], s[36:37]
	s_or_b64 exec, exec, s[4:5]
	s_and_saveexec_b64 s[4:5], s[2:3]
	s_cbranch_execnz .LBB110_557
	s_branch .LBB110_558
.LBB110_575:
	s_mov_b64 s[2:3], -1
                                        ; implicit-def: $vgpr3
	s_branch .LBB110_580
.LBB110_576:
	s_mov_b64 s[2:3], -1
                                        ; implicit-def: $vgpr3
.LBB110_577:
	s_and_b64 vcc, exec, s[2:3]
	s_cbranch_vccz .LBB110_579
; %bb.578:
	global_load_ubyte v3, v[0:1], off
	s_mov_b32 s2, 0x7f800000
	s_waitcnt vmcnt(0)
	v_lshlrev_b32_e32 v3, 24, v3
	v_and_b32_e32 v4, 0x7f000000, v3
	v_ffbh_u32_e32 v5, v4
	v_min_u32_e32 v5, 32, v5
	v_sub_u32_e64 v5, v5, 4 clamp
	v_lshlrev_b32_e32 v7, v5, v4
	v_lshlrev_b32_e32 v5, 23, v5
	v_lshrrev_b32_e32 v7, 4, v7
	v_add_u32_e32 v6, 0x1000000, v4
	v_sub_u32_e32 v5, v7, v5
	v_ashrrev_i32_e32 v6, 8, v6
	v_add_u32_e32 v5, 0x3c000000, v5
	v_and_or_b32 v5, v6, s2, v5
	v_cmp_ne_u32_e32 vcc, 0, v4
	v_cndmask_b32_e32 v4, 0, v5, vcc
	s_brev_b32 s2, 1
	v_and_or_b32 v3, v3, s2, v4
.LBB110_579:
	s_mov_b64 s[2:3], 0
.LBB110_580:
	s_andn2_b64 vcc, exec, s[2:3]
	s_cbranch_vccnz .LBB110_582
; %bb.581:
	global_load_ubyte v3, v[0:1], off
	s_movk_i32 s2, 0x7f00
	s_brev_b32 s3, 16
	s_waitcnt vmcnt(0)
	v_lshlrev_b16_e32 v4, 8, v3
	v_lshlrev_b32_e32 v3, 25, v3
	v_lshrrev_b32_e32 v5, 4, v3
	v_and_or_b32 v6, v4, s2, 0.5
	v_or_b32_e32 v5, 0x70000000, v5
	v_add_f32_e32 v6, -0.5, v6
	v_mul_f32_e32 v5, 0x7800000, v5
	v_cmp_gt_u32_e32 vcc, s3, v3
	v_bfe_i32 v4, v4, 0, 16
	v_cndmask_b32_e32 v3, v5, v6, vcc
	s_brev_b32 s2, 1
	v_and_or_b32 v3, v4, s2, v3
.LBB110_582:
	s_mov_b64 s[4:5], 0
	s_mov_b64 s[2:3], -1
.LBB110_583:
	s_andn2_b64 vcc, exec, s[4:5]
	s_cbranch_vccnz .LBB110_596
; %bb.584:
	s_cmp_gt_i32 s38, 14
	s_cbranch_scc0 .LBB110_587
; %bb.585:
	s_cmp_eq_u32 s38, 15
	s_cbranch_scc0 .LBB110_590
; %bb.586:
	global_load_ushort v3, v[0:1], off
	s_mov_b64 s[2:3], -1
	s_mov_b64 s[34:35], 0
	s_waitcnt vmcnt(0)
	v_lshlrev_b32_e32 v3, 16, v3
	s_branch .LBB110_591
.LBB110_587:
	s_mov_b64 s[4:5], -1
                                        ; implicit-def: $vgpr3
	s_branch .LBB110_592
.LBB110_588:
	s_or_saveexec_b64 s[4:5], s[4:5]
	v_mov_b32_e32 v3, 0x7f800001
	s_xor_b64 exec, exec, s[4:5]
	s_cbranch_execz .LBB110_569
.LBB110_589:
	v_cmp_ne_u16_e32 vcc, 0, v4
	s_andn2_b64 s[2:3], s[2:3], exec
	s_and_b64 s[36:37], vcc, exec
	v_mov_b32_e32 v3, 0
	s_or_b64 s[2:3], s[2:3], s[36:37]
	s_or_b64 exec, exec, s[4:5]
	s_and_saveexec_b64 s[4:5], s[2:3]
	s_cbranch_execnz .LBB110_570
	s_branch .LBB110_571
.LBB110_590:
	s_mov_b64 s[34:35], -1
                                        ; implicit-def: $vgpr3
.LBB110_591:
	s_mov_b64 s[4:5], 0
.LBB110_592:
	s_and_b64 vcc, exec, s[4:5]
	s_cbranch_vccz .LBB110_596
; %bb.593:
	s_cmp_eq_u32 s38, 11
	s_cbranch_scc0 .LBB110_595
; %bb.594:
	global_load_ubyte v3, v[0:1], off
	s_mov_b64 s[2:3], -1
	s_mov_b64 s[34:35], 0
	s_waitcnt vmcnt(0)
	v_cmp_ne_u16_e32 vcc, 0, v3
	v_cndmask_b32_e64 v3, 0, 1.0, vcc
	s_branch .LBB110_596
.LBB110_595:
	s_mov_b64 s[34:35], -1
                                        ; implicit-def: $vgpr3
.LBB110_596:
	s_mov_b64 s[4:5], 0
.LBB110_597:
	s_and_b64 vcc, exec, s[4:5]
	s_cbranch_vccz .LBB110_646
; %bb.598:
	s_cmp_lt_i32 s38, 5
	s_cbranch_scc1 .LBB110_603
; %bb.599:
	s_cmp_lt_i32 s38, 8
	s_cbranch_scc1 .LBB110_604
	;; [unrolled: 3-line block ×3, first 2 shown]
; %bb.601:
	s_cmp_gt_i32 s38, 9
	s_cbranch_scc0 .LBB110_606
; %bb.602:
	global_load_dwordx2 v[3:4], v[0:1], off
	s_mov_b64 s[2:3], 0
	s_waitcnt vmcnt(0)
	v_cvt_f32_f64_e32 v3, v[3:4]
	s_branch .LBB110_607
.LBB110_603:
	s_mov_b64 s[2:3], -1
                                        ; implicit-def: $vgpr3
	s_branch .LBB110_625
.LBB110_604:
	s_mov_b64 s[2:3], -1
                                        ; implicit-def: $vgpr3
	s_branch .LBB110_613
.LBB110_605:
	s_mov_b64 s[2:3], -1
                                        ; implicit-def: $vgpr3
	s_branch .LBB110_610
.LBB110_606:
	s_mov_b64 s[2:3], -1
                                        ; implicit-def: $vgpr3
.LBB110_607:
	s_andn2_b64 vcc, exec, s[2:3]
	s_cbranch_vccnz .LBB110_609
; %bb.608:
	global_load_dword v3, v[0:1], off
.LBB110_609:
	s_mov_b64 s[2:3], 0
.LBB110_610:
	s_andn2_b64 vcc, exec, s[2:3]
	s_cbranch_vccnz .LBB110_612
; %bb.611:
	global_load_dword v3, v[0:1], off
	s_waitcnt vmcnt(0)
	v_cvt_f32_f16_e32 v3, v3
.LBB110_612:
	s_mov_b64 s[2:3], 0
.LBB110_613:
	s_andn2_b64 vcc, exec, s[2:3]
	s_cbranch_vccnz .LBB110_624
; %bb.614:
	s_cmp_lt_i32 s38, 6
	s_cbranch_scc1 .LBB110_617
; %bb.615:
	s_cmp_gt_i32 s38, 6
	s_cbranch_scc0 .LBB110_618
; %bb.616:
	global_load_dwordx2 v[3:4], v[0:1], off
	s_mov_b64 s[2:3], 0
	s_waitcnt vmcnt(0)
	v_cvt_f32_f64_e32 v3, v[3:4]
	s_branch .LBB110_619
.LBB110_617:
	s_mov_b64 s[2:3], -1
                                        ; implicit-def: $vgpr3
	s_branch .LBB110_622
.LBB110_618:
	s_mov_b64 s[2:3], -1
                                        ; implicit-def: $vgpr3
.LBB110_619:
	s_andn2_b64 vcc, exec, s[2:3]
	s_cbranch_vccnz .LBB110_621
; %bb.620:
	global_load_dword v3, v[0:1], off
.LBB110_621:
	s_mov_b64 s[2:3], 0
.LBB110_622:
	s_andn2_b64 vcc, exec, s[2:3]
	s_cbranch_vccnz .LBB110_624
; %bb.623:
	global_load_ushort v3, v[0:1], off
	s_waitcnt vmcnt(0)
	v_cvt_f32_f16_e32 v3, v3
.LBB110_624:
	s_mov_b64 s[2:3], 0
.LBB110_625:
	s_andn2_b64 vcc, exec, s[2:3]
	s_cbranch_vccnz .LBB110_645
; %bb.626:
	s_cmp_lt_i32 s38, 2
	s_cbranch_scc1 .LBB110_630
; %bb.627:
	s_cmp_lt_i32 s38, 3
	s_cbranch_scc1 .LBB110_631
; %bb.628:
	s_cmp_gt_i32 s38, 3
	s_cbranch_scc0 .LBB110_632
; %bb.629:
	global_load_dwordx2 v[3:4], v[0:1], off
	s_mov_b64 s[2:3], 0
	s_waitcnt vmcnt(0)
	v_xor_b32_e32 v6, v3, v4
	v_ffbh_i32_e32 v5, v4
	v_ashrrev_i32_e32 v6, 31, v6
	v_add_u32_e32 v5, -1, v5
	v_add_u32_e32 v6, 32, v6
	v_min_u32_e32 v5, v5, v6
	v_lshlrev_b64 v[3:4], v5, v[3:4]
	v_min_u32_e32 v3, 1, v3
	v_or_b32_e32 v3, v4, v3
	v_cvt_f32_i32_e32 v3, v3
	v_sub_u32_e32 v4, 32, v5
	v_ldexp_f32 v3, v3, v4
	s_branch .LBB110_633
.LBB110_630:
	s_mov_b64 s[2:3], -1
                                        ; implicit-def: $vgpr3
	s_branch .LBB110_639
.LBB110_631:
	s_mov_b64 s[2:3], -1
                                        ; implicit-def: $vgpr3
	s_branch .LBB110_636
.LBB110_632:
	s_mov_b64 s[2:3], -1
                                        ; implicit-def: $vgpr3
.LBB110_633:
	s_andn2_b64 vcc, exec, s[2:3]
	s_cbranch_vccnz .LBB110_635
; %bb.634:
	global_load_dword v3, v[0:1], off
	s_waitcnt vmcnt(0)
	v_cvt_f32_i32_e32 v3, v3
.LBB110_635:
	s_mov_b64 s[2:3], 0
.LBB110_636:
	s_andn2_b64 vcc, exec, s[2:3]
	s_cbranch_vccnz .LBB110_638
; %bb.637:
	global_load_sshort v3, v[0:1], off
	s_waitcnt vmcnt(0)
	v_cvt_f32_i32_e32 v3, v3
.LBB110_638:
	s_mov_b64 s[2:3], 0
.LBB110_639:
	s_andn2_b64 vcc, exec, s[2:3]
	s_cbranch_vccnz .LBB110_645
; %bb.640:
	s_cmp_gt_i32 s38, 0
	s_cbranch_scc0 .LBB110_642
; %bb.641:
	global_load_sbyte v3, v[0:1], off
	s_mov_b64 s[2:3], 0
	s_waitcnt vmcnt(0)
	v_cvt_f32_i32_e32 v3, v3
	s_branch .LBB110_643
.LBB110_642:
	s_mov_b64 s[2:3], -1
                                        ; implicit-def: $vgpr3
.LBB110_643:
	s_andn2_b64 vcc, exec, s[2:3]
	s_cbranch_vccnz .LBB110_645
; %bb.644:
	global_load_ubyte v0, v[0:1], off
	s_waitcnt vmcnt(0)
	v_cvt_f32_ubyte0_e32 v3, v0
.LBB110_645:
	s_mov_b64 s[2:3], -1
.LBB110_646:
	s_andn2_b64 vcc, exec, s[2:3]
	s_cbranch_vccnz .LBB110_654
; %bb.647:
	s_waitcnt vmcnt(0)
	v_cmp_eq_f32_e32 vcc, s15, v3
	v_cndmask_b32_e64 v0, 0, 1, vcc
	v_cmp_neq_f32_e32 vcc, s15, v3
	v_mul_lo_u32 v3, v2, s12
	v_cndmask_b32_e64 v1, 0, 1, vcc
	v_cndmask_b32_e64 v0, v1, v0, s[0:1]
	v_and_b32_e32 v0, 1, v0
	v_cmp_eq_u32_e64 s[2:3], 1, v0
	v_ashrrev_i32_e32 v1, 31, v3
	v_mov_b32_e32 v4, s9
	s_and_b32 s43, s33, 0xff
	v_add_co_u32_e32 v0, vcc, s8, v3
	s_cmp_lt_i32 s43, 11
	v_addc_co_u32_e32 v1, vcc, v4, v1, vcc
	s_cbranch_scc1 .LBB110_655
; %bb.648:
	s_and_b32 s44, 0xffff, s43
	s_cmp_gt_i32 s44, 25
	s_cbranch_scc0 .LBB110_656
; %bb.649:
	s_cmp_gt_i32 s44, 28
	s_cbranch_scc0 .LBB110_657
; %bb.650:
	s_cmp_gt_i32 s44, 43
	s_cbranch_scc0 .LBB110_658
; %bb.651:
	s_cmp_gt_i32 s44, 45
	s_cbranch_scc0 .LBB110_659
; %bb.652:
	s_mov_b64 s[38:39], 0
	s_mov_b64 s[4:5], -1
	s_cmp_eq_u32 s44, 46
	s_mov_b64 s[36:37], 0
	s_cbranch_scc0 .LBB110_660
; %bb.653:
	v_cndmask_b32_e64 v3, 0, 1.0, s[2:3]
	v_bfe_u32 v4, v3, 16, 1
	s_movk_i32 s4, 0x7fff
	v_add3_u32 v3, v3, v4, s4
	v_lshrrev_b32_e32 v3, 16, v3
	global_store_dword v[0:1], v3, off
	s_mov_b64 s[36:37], -1
	s_mov_b64 s[4:5], 0
	s_branch .LBB110_660
.LBB110_654:
	s_mov_b64 s[36:37], 0
                                        ; implicit-def: $vgpr2
	s_mov_b64 s[4:5], s[26:27]
	s_branch .LBB110_771
.LBB110_655:
	s_mov_b64 s[38:39], -1
	s_mov_b64 s[36:37], 0
	s_mov_b64 s[4:5], s[26:27]
	s_branch .LBB110_729
.LBB110_656:
	s_mov_b64 s[38:39], -1
	s_mov_b64 s[36:37], 0
	s_mov_b64 s[4:5], s[26:27]
	s_branch .LBB110_687
.LBB110_657:
	s_mov_b64 s[38:39], -1
	s_mov_b64 s[36:37], 0
	s_mov_b64 s[4:5], s[26:27]
	s_branch .LBB110_670
.LBB110_658:
	s_mov_b64 s[38:39], -1
	s_mov_b64 s[36:37], 0
	s_mov_b64 s[4:5], s[26:27]
	s_branch .LBB110_666
.LBB110_659:
	s_mov_b64 s[38:39], -1
	s_mov_b64 s[36:37], 0
	s_mov_b64 s[4:5], s[26:27]
.LBB110_660:
	s_and_b64 vcc, exec, s[38:39]
	s_cbranch_vccz .LBB110_665
; %bb.661:
	s_cmp_eq_u32 s44, 44
	s_mov_b64 s[4:5], -1
	s_cbranch_scc0 .LBB110_665
; %bb.662:
	v_cndmask_b32_e64 v4, 0, 1.0, s[2:3]
	v_lshrrev_b32_e32 v3, 23, v4
	s_movk_i32 s4, 0xff
	v_cmp_ne_u32_e32 vcc, s4, v3
	v_mov_b32_e32 v5, 0xff
	s_and_saveexec_b64 s[36:37], vcc
; %bb.663:
	s_mov_b32 s4, 0x3fffff
	v_and_b32_e32 v5, 0x400000, v4
	v_and_or_b32 v4, v4, s4, v3
	v_cmp_ne_u32_e32 vcc, 0, v5
	v_cmp_ne_u32_e64 s[4:5], 0, v4
	s_and_b64 s[4:5], vcc, s[4:5]
	v_cndmask_b32_e64 v4, 0, 1, s[4:5]
	v_add_u32_e32 v5, v3, v4
; %bb.664:
	s_or_b64 exec, exec, s[36:37]
	s_mov_b64 s[36:37], -1
	s_mov_b64 s[4:5], 0
	global_store_byte v[0:1], v5, off
.LBB110_665:
	s_mov_b64 s[38:39], 0
.LBB110_666:
	s_and_b64 vcc, exec, s[38:39]
	s_cbranch_vccz .LBB110_669
; %bb.667:
	s_cmp_eq_u32 s44, 29
	s_mov_b64 s[4:5], -1
	s_cbranch_scc0 .LBB110_669
; %bb.668:
	s_mov_b32 s4, 0
	v_cndmask_b32_e64 v3, 0, 1, s[2:3]
	v_mov_b32_e32 v4, s4
	global_store_dwordx2 v[0:1], v[3:4], off
	s_mov_b64 s[36:37], -1
	s_mov_b64 s[4:5], 0
.LBB110_669:
	s_mov_b64 s[38:39], 0
.LBB110_670:
	s_and_b64 vcc, exec, s[38:39]
	s_cbranch_vccz .LBB110_686
; %bb.671:
	s_cmp_lt_i32 s44, 27
	s_mov_b64 s[36:37], -1
	s_cbranch_scc1 .LBB110_677
; %bb.672:
	s_cmp_gt_i32 s44, 27
	s_cbranch_scc0 .LBB110_674
; %bb.673:
	v_cndmask_b32_e64 v3, 0, 1, s[2:3]
	s_mov_b64 s[36:37], 0
	global_store_dword v[0:1], v3, off
.LBB110_674:
	s_andn2_b64 vcc, exec, s[36:37]
	s_cbranch_vccnz .LBB110_676
; %bb.675:
	v_cndmask_b32_e64 v3, 0, 1, s[2:3]
	global_store_short v[0:1], v3, off
.LBB110_676:
	s_mov_b64 s[36:37], 0
.LBB110_677:
	s_andn2_b64 vcc, exec, s[36:37]
	s_cbranch_vccnz .LBB110_685
; %bb.678:
	v_cndmask_b32_e64 v4, 0, 1.0, s[2:3]
	s_mov_b32 s36, 0x43800000
	v_cmp_gt_u32_e32 vcc, s36, v4
	v_mov_b32_e32 v5, 0x80
	s_and_saveexec_b64 s[36:37], vcc
	s_cbranch_execz .LBB110_684
; %bb.679:
	s_mov_b32 s38, 0x3bffffff
	v_cmp_lt_u32_e32 vcc, s38, v4
	s_mov_b64 s[38:39], 0
                                        ; implicit-def: $vgpr3
	s_and_saveexec_b64 s[40:41], vcc
	s_xor_b64 s[40:41], exec, s[40:41]
	s_cbranch_execz .LBB110_785
; %bb.680:
	v_bfe_u32 v3, v4, 20, 1
	s_mov_b32 s45, 0x487ffff
	v_add3_u32 v3, v4, v3, s45
	s_mov_b64 s[38:39], exec
	v_lshrrev_b32_e32 v3, 20, v3
                                        ; implicit-def: $vgpr4
	s_andn2_saveexec_b64 s[40:41], s[40:41]
	s_cbranch_execnz .LBB110_786
.LBB110_681:
	s_or_b64 exec, exec, s[40:41]
	v_mov_b32_e32 v5, 0
	s_and_saveexec_b64 s[40:41], s[38:39]
.LBB110_682:
	v_mov_b32_e32 v5, v3
.LBB110_683:
	s_or_b64 exec, exec, s[40:41]
.LBB110_684:
	s_or_b64 exec, exec, s[36:37]
	global_store_byte v[0:1], v5, off
.LBB110_685:
	s_mov_b64 s[36:37], -1
.LBB110_686:
	s_mov_b64 s[38:39], 0
.LBB110_687:
	s_and_b64 vcc, exec, s[38:39]
	s_cbranch_vccz .LBB110_728
; %bb.688:
	s_cmp_gt_i32 s44, 22
	s_mov_b64 s[38:39], -1
	s_cbranch_scc0 .LBB110_720
; %bb.689:
	s_cmp_lt_i32 s44, 24
	s_mov_b64 s[36:37], -1
	s_cbranch_scc1 .LBB110_709
; %bb.690:
	s_cmp_gt_i32 s44, 24
	s_cbranch_scc0 .LBB110_698
; %bb.691:
	v_cndmask_b32_e64 v4, 0, 1.0, s[2:3]
	s_mov_b32 s36, 0x47800000
	v_cmp_gt_u32_e32 vcc, s36, v4
	v_mov_b32_e32 v5, 0x80
	s_and_saveexec_b64 s[36:37], vcc
	s_cbranch_execz .LBB110_697
; %bb.692:
	s_mov_b32 s38, 0x37ffffff
	v_cmp_lt_u32_e32 vcc, s38, v4
	s_mov_b64 s[38:39], 0
                                        ; implicit-def: $vgpr3
	s_and_saveexec_b64 s[40:41], vcc
	s_xor_b64 s[40:41], exec, s[40:41]
	s_cbranch_execz .LBB110_788
; %bb.693:
	v_bfe_u32 v3, v4, 21, 1
	s_mov_b32 s45, 0x88fffff
	v_add3_u32 v3, v4, v3, s45
	s_mov_b64 s[38:39], exec
	v_lshrrev_b32_e32 v3, 21, v3
                                        ; implicit-def: $vgpr4
	s_andn2_saveexec_b64 s[40:41], s[40:41]
	s_cbranch_execnz .LBB110_789
.LBB110_694:
	s_or_b64 exec, exec, s[40:41]
	v_mov_b32_e32 v5, 0
	s_and_saveexec_b64 s[40:41], s[38:39]
.LBB110_695:
	v_mov_b32_e32 v5, v3
.LBB110_696:
	s_or_b64 exec, exec, s[40:41]
.LBB110_697:
	s_or_b64 exec, exec, s[36:37]
	s_mov_b64 s[36:37], 0
	global_store_byte v[0:1], v5, off
.LBB110_698:
	s_and_b64 vcc, exec, s[36:37]
	s_cbranch_vccz .LBB110_708
; %bb.699:
	v_cndmask_b32_e64 v3, 0, 1.0, s[2:3]
	s_mov_b32 s36, 0x43f00000
	v_cmp_gt_u32_e32 vcc, s36, v3
                                        ; implicit-def: $vgpr4
	s_and_saveexec_b64 s[36:37], vcc
	s_xor_b64 s[36:37], exec, s[36:37]
	s_cbranch_execz .LBB110_705
; %bb.700:
	s_mov_b32 s38, 0x3c7fffff
	v_cmp_lt_u32_e32 vcc, s38, v3
                                        ; implicit-def: $vgpr4
	s_and_saveexec_b64 s[38:39], vcc
	s_xor_b64 s[38:39], exec, s[38:39]
; %bb.701:
	v_bfe_u32 v4, v3, 20, 1
	s_mov_b32 s40, 0x407ffff
	v_add3_u32 v3, v3, v4, s40
	v_lshrrev_b32_e32 v4, 20, v3
	v_and_b32_e32 v3, 0xff00000, v3
	s_mov_b32 s40, 0x7f00000
	v_mov_b32_e32 v5, 0x7e
	v_cmp_ne_u32_e32 vcc, s40, v3
	v_cndmask_b32_e32 v4, v5, v4, vcc
                                        ; implicit-def: $vgpr3
; %bb.702:
	s_andn2_saveexec_b64 s[38:39], s[38:39]
; %bb.703:
	v_add_f32_e32 v4, 0x46800000, v3
; %bb.704:
	s_or_b64 exec, exec, s[38:39]
                                        ; implicit-def: $vgpr3
.LBB110_705:
	s_andn2_saveexec_b64 s[36:37], s[36:37]
; %bb.706:
	s_mov_b32 s38, 0x7f800000
	v_mov_b32_e32 v4, 0x7e
	v_mov_b32_e32 v5, 0x7f
	v_cmp_lt_u32_e32 vcc, s38, v3
	v_cndmask_b32_e32 v4, v4, v5, vcc
; %bb.707:
	s_or_b64 exec, exec, s[36:37]
	global_store_byte v[0:1], v4, off
.LBB110_708:
	s_mov_b64 s[36:37], 0
.LBB110_709:
	s_andn2_b64 vcc, exec, s[36:37]
	s_cbranch_vccnz .LBB110_719
; %bb.710:
	v_cndmask_b32_e64 v3, 0, 1.0, s[2:3]
	s_mov_b32 s36, 0x47800000
	v_cmp_gt_u32_e32 vcc, s36, v3
                                        ; implicit-def: $vgpr4
	s_and_saveexec_b64 s[36:37], vcc
	s_xor_b64 s[36:37], exec, s[36:37]
	s_cbranch_execz .LBB110_716
; %bb.711:
	s_mov_b32 s38, 0x387fffff
	v_cmp_lt_u32_e32 vcc, s38, v3
                                        ; implicit-def: $vgpr4
	s_and_saveexec_b64 s[38:39], vcc
	s_xor_b64 s[38:39], exec, s[38:39]
; %bb.712:
	v_bfe_u32 v4, v3, 21, 1
	s_mov_b32 s40, 0x80fffff
	v_add3_u32 v3, v3, v4, s40
	v_lshrrev_b32_e32 v4, 21, v3
                                        ; implicit-def: $vgpr3
; %bb.713:
	s_andn2_saveexec_b64 s[38:39], s[38:39]
; %bb.714:
	v_add_f32_e32 v4, 0x43000000, v3
; %bb.715:
	s_or_b64 exec, exec, s[38:39]
                                        ; implicit-def: $vgpr3
.LBB110_716:
	s_andn2_saveexec_b64 s[36:37], s[36:37]
; %bb.717:
	s_mov_b32 s38, 0x7f800000
	v_mov_b32_e32 v4, 0x7c
	v_mov_b32_e32 v5, 0x7f
	v_cmp_lt_u32_e32 vcc, s38, v3
	v_cndmask_b32_e32 v4, v4, v5, vcc
; %bb.718:
	s_or_b64 exec, exec, s[36:37]
	global_store_byte v[0:1], v4, off
.LBB110_719:
	s_mov_b64 s[38:39], 0
	s_mov_b64 s[36:37], -1
.LBB110_720:
	s_andn2_b64 vcc, exec, s[38:39]
	s_cbranch_vccnz .LBB110_728
; %bb.721:
	s_cmp_gt_i32 s44, 14
	s_mov_b64 s[38:39], -1
	s_cbranch_scc0 .LBB110_725
; %bb.722:
	s_cmp_eq_u32 s44, 15
	s_mov_b64 s[4:5], -1
	s_cbranch_scc0 .LBB110_724
; %bb.723:
	v_cndmask_b32_e64 v3, 0, 1.0, s[2:3]
	v_bfe_u32 v4, v3, 16, 1
	s_movk_i32 s4, 0x7fff
	v_add3_u32 v3, v3, v4, s4
	global_store_short_d16_hi v[0:1], v3, off
	s_mov_b64 s[36:37], -1
	s_mov_b64 s[4:5], 0
.LBB110_724:
	s_mov_b64 s[38:39], 0
.LBB110_725:
	s_and_b64 vcc, exec, s[38:39]
	s_cbranch_vccz .LBB110_728
; %bb.726:
	s_cmp_eq_u32 s44, 11
	s_mov_b64 s[4:5], -1
	s_cbranch_scc0 .LBB110_728
; %bb.727:
	v_cndmask_b32_e64 v3, 0, 1, s[2:3]
	s_mov_b64 s[36:37], -1
	s_mov_b64 s[4:5], 0
	global_store_byte v[0:1], v3, off
.LBB110_728:
	s_mov_b64 s[38:39], 0
.LBB110_729:
	s_and_b64 vcc, exec, s[38:39]
	s_cbranch_vccz .LBB110_768
; %bb.730:
	s_and_b32 s38, 0xffff, s43
	s_cmp_lt_i32 s38, 5
	s_mov_b64 s[36:37], -1
	s_cbranch_scc1 .LBB110_751
; %bb.731:
	s_cmp_lt_i32 s38, 8
	s_cbranch_scc1 .LBB110_741
; %bb.732:
	s_cmp_lt_i32 s38, 9
	s_cbranch_scc1 .LBB110_738
; %bb.733:
	s_cmp_gt_i32 s38, 9
	s_cbranch_scc0 .LBB110_735
; %bb.734:
	v_cndmask_b32_e64 v3, 0, 1, s[2:3]
	v_cvt_f64_u32_e32 v[3:4], v3
	v_mov_b32_e32 v5, 0
	v_mov_b32_e32 v6, v5
	s_mov_b64 s[36:37], 0
	global_store_dwordx4 v[0:1], v[3:6], off
.LBB110_735:
	s_andn2_b64 vcc, exec, s[36:37]
	s_cbranch_vccnz .LBB110_737
; %bb.736:
	v_cndmask_b32_e64 v3, 0, 1.0, s[2:3]
	v_mov_b32_e32 v4, 0
	global_store_dwordx2 v[0:1], v[3:4], off
.LBB110_737:
	s_mov_b64 s[36:37], 0
.LBB110_738:
	s_andn2_b64 vcc, exec, s[36:37]
	s_cbranch_vccnz .LBB110_740
; %bb.739:
	v_cndmask_b32_e64 v3, 0, 1.0, s[2:3]
	v_cvt_f16_f32_e32 v3, v3
	global_store_dword v[0:1], v3, off
.LBB110_740:
	s_mov_b64 s[36:37], 0
.LBB110_741:
	s_andn2_b64 vcc, exec, s[36:37]
	s_cbranch_vccnz .LBB110_750
; %bb.742:
	s_cmp_lt_i32 s38, 6
	s_mov_b64 s[36:37], -1
	s_cbranch_scc1 .LBB110_748
; %bb.743:
	s_cmp_gt_i32 s38, 6
	s_cbranch_scc0 .LBB110_745
; %bb.744:
	v_cndmask_b32_e64 v3, 0, 1, s[2:3]
	v_cvt_f64_u32_e32 v[3:4], v3
	s_mov_b64 s[36:37], 0
	global_store_dwordx2 v[0:1], v[3:4], off
.LBB110_745:
	s_andn2_b64 vcc, exec, s[36:37]
	s_cbranch_vccnz .LBB110_747
; %bb.746:
	v_cndmask_b32_e64 v3, 0, 1.0, s[2:3]
	global_store_dword v[0:1], v3, off
.LBB110_747:
	s_mov_b64 s[36:37], 0
.LBB110_748:
	s_andn2_b64 vcc, exec, s[36:37]
	s_cbranch_vccnz .LBB110_750
; %bb.749:
	v_cndmask_b32_e64 v3, 0, 1.0, s[2:3]
	v_cvt_f16_f32_e32 v3, v3
	global_store_short v[0:1], v3, off
.LBB110_750:
	s_mov_b64 s[36:37], 0
.LBB110_751:
	s_andn2_b64 vcc, exec, s[36:37]
	s_cbranch_vccnz .LBB110_767
; %bb.752:
	s_cmp_lt_i32 s38, 2
	s_mov_b64 s[36:37], -1
	s_cbranch_scc1 .LBB110_762
; %bb.753:
	s_cmp_lt_i32 s38, 3
	s_cbranch_scc1 .LBB110_759
; %bb.754:
	s_cmp_gt_i32 s38, 3
	s_cbranch_scc0 .LBB110_756
; %bb.755:
	s_mov_b32 s36, 0
	v_cndmask_b32_e64 v3, 0, 1, s[2:3]
	v_mov_b32_e32 v4, s36
	s_mov_b64 s[36:37], 0
	global_store_dwordx2 v[0:1], v[3:4], off
.LBB110_756:
	s_andn2_b64 vcc, exec, s[36:37]
	s_cbranch_vccnz .LBB110_758
; %bb.757:
	v_cndmask_b32_e64 v3, 0, 1, s[2:3]
	global_store_dword v[0:1], v3, off
.LBB110_758:
	s_mov_b64 s[36:37], 0
.LBB110_759:
	s_andn2_b64 vcc, exec, s[36:37]
	s_cbranch_vccnz .LBB110_761
; %bb.760:
	v_cndmask_b32_e64 v3, 0, 1, s[2:3]
	global_store_short v[0:1], v3, off
.LBB110_761:
	s_mov_b64 s[36:37], 0
.LBB110_762:
	s_andn2_b64 vcc, exec, s[36:37]
	s_cbranch_vccnz .LBB110_767
; %bb.763:
	s_mov_b64 s[36:37], -1
	s_cmp_gt_i32 s38, 0
	v_cndmask_b32_e64 v3, 0, 1, s[2:3]
	s_cbranch_scc0 .LBB110_765
; %bb.764:
	s_mov_b64 s[36:37], 0
	global_store_byte v[0:1], v3, off
.LBB110_765:
	s_andn2_b64 vcc, exec, s[36:37]
	s_cbranch_vccnz .LBB110_767
; %bb.766:
	global_store_byte v[0:1], v3, off
.LBB110_767:
	s_mov_b64 s[36:37], -1
.LBB110_768:
	s_andn2_b64 vcc, exec, s[36:37]
	s_cbranch_vccnz .LBB110_770
; %bb.769:
	v_add_u32_e32 v2, 0x80, v2
	s_mov_b64 s[36:37], -1
	s_branch .LBB110_771
.LBB110_770:
	s_mov_b64 s[36:37], 0
                                        ; implicit-def: $vgpr2
.LBB110_771:
	s_andn2_b64 s[2:3], s[26:27], exec
	s_and_b64 s[4:5], s[4:5], exec
	s_or_b64 s[4:5], s[2:3], s[4:5]
	s_andn2_b64 s[2:3], s[24:25], exec
	s_and_b64 s[34:35], s[34:35], exec
	s_or_b64 s[2:3], s[2:3], s[34:35]
	s_orn2_b64 s[38:39], s[36:37], exec
.LBB110_772:
	s_or_b64 exec, exec, s[30:31]
	s_mov_b64 s[36:37], 0
	s_mov_b64 s[40:41], 0
	;; [unrolled: 1-line block ×3, first 2 shown]
                                        ; implicit-def: $vgpr0_vgpr1
                                        ; implicit-def: $vgpr3
	s_and_saveexec_b64 s[30:31], s[38:39]
	s_cbranch_execz .LBB110_857
; %bb.773:
	v_cmp_gt_i32_e32 vcc, s42, v2
	s_mov_b64 s[38:39], 0
	s_mov_b64 s[42:43], s[2:3]
	s_mov_b64 s[44:45], 0
                                        ; implicit-def: $vgpr0_vgpr1
                                        ; implicit-def: $vgpr3
	s_and_saveexec_b64 s[34:35], vcc
	s_cbranch_execz .LBB110_856
; %bb.774:
	v_mul_lo_u32 v0, v2, s13
	v_mov_b32_e32 v1, s11
	s_and_b32 s47, 0xffff, s46
	s_cmp_lt_i32 s47, 11
	s_waitcnt vmcnt(0)
	v_ashrrev_i32_e32 v3, 31, v0
	v_add_co_u32_e32 v0, vcc, s10, v0
	v_addc_co_u32_e32 v1, vcc, v1, v3, vcc
	s_cbranch_scc1 .LBB110_781
; %bb.775:
	s_cmp_gt_i32 s47, 25
	s_cbranch_scc0 .LBB110_782
; %bb.776:
	s_cmp_gt_i32 s47, 28
	s_cbranch_scc0 .LBB110_783
	;; [unrolled: 3-line block ×4, first 2 shown]
; %bb.779:
	s_cmp_eq_u32 s47, 46
	s_mov_b64 s[42:43], 0
	s_cbranch_scc0 .LBB110_790
; %bb.780:
	global_load_dword v3, v[0:1], off
	s_mov_b64 s[40:41], -1
	s_waitcnt vmcnt(0)
	v_lshlrev_b32_e32 v3, 16, v3
	s_branch .LBB110_792
.LBB110_781:
	s_mov_b64 s[42:43], -1
                                        ; implicit-def: $vgpr3
	s_mov_b64 s[36:37], s[2:3]
	s_branch .LBB110_855
.LBB110_782:
	s_mov_b64 s[42:43], -1
	s_mov_b64 s[36:37], s[2:3]
                                        ; implicit-def: $vgpr3
	s_branch .LBB110_821
.LBB110_783:
	s_mov_b64 s[42:43], -1
	s_mov_b64 s[36:37], s[2:3]
                                        ; implicit-def: $vgpr3
	s_branch .LBB110_802
.LBB110_784:
	s_mov_b64 s[42:43], -1
	s_mov_b64 s[36:37], s[2:3]
                                        ; implicit-def: $vgpr3
	s_branch .LBB110_797
.LBB110_785:
	s_andn2_saveexec_b64 s[40:41], s[40:41]
	s_cbranch_execz .LBB110_681
.LBB110_786:
	v_add_f32_e32 v3, 0x46000000, v4
	v_and_b32_e32 v3, 0xff, v3
	v_cmp_ne_u32_e32 vcc, 0, v3
	s_andn2_b64 s[38:39], s[38:39], exec
	s_and_b64 s[48:49], vcc, exec
	s_or_b64 s[38:39], s[38:39], s[48:49]
	s_or_b64 exec, exec, s[40:41]
	v_mov_b32_e32 v5, 0
	s_and_saveexec_b64 s[40:41], s[38:39]
	s_cbranch_execnz .LBB110_682
	s_branch .LBB110_683
.LBB110_787:
	s_mov_b64 s[42:43], -1
	s_mov_b64 s[36:37], s[2:3]
	s_branch .LBB110_791
.LBB110_788:
	s_andn2_saveexec_b64 s[40:41], s[40:41]
	s_cbranch_execz .LBB110_694
.LBB110_789:
	v_add_f32_e32 v3, 0x42800000, v4
	v_and_b32_e32 v3, 0xff, v3
	v_cmp_ne_u32_e32 vcc, 0, v3
	s_andn2_b64 s[38:39], s[38:39], exec
	s_and_b64 s[48:49], vcc, exec
	s_or_b64 s[38:39], s[38:39], s[48:49]
	s_or_b64 exec, exec, s[40:41]
	v_mov_b32_e32 v5, 0
	s_and_saveexec_b64 s[40:41], s[38:39]
	s_cbranch_execnz .LBB110_695
	s_branch .LBB110_696
.LBB110_790:
	s_mov_b64 s[36:37], -1
.LBB110_791:
                                        ; implicit-def: $vgpr3
.LBB110_792:
	s_and_b64 vcc, exec, s[42:43]
	s_cbranch_vccz .LBB110_796
; %bb.793:
	s_cmp_eq_u32 s47, 44
	s_cbranch_scc0 .LBB110_795
; %bb.794:
	global_load_ubyte v3, v[0:1], off
	s_movk_i32 s40, 0xff
	v_mov_b32_e32 v4, 0x7f800001
	v_mov_b32_e32 v5, 0x400000
	s_mov_b64 s[36:37], 0
	s_waitcnt vmcnt(0)
	v_lshlrev_b32_e32 v6, 23, v3
	v_cmp_ne_u32_e32 vcc, s40, v3
	v_cndmask_b32_e32 v4, v4, v6, vcc
	v_cmp_ne_u32_e32 vcc, 0, v3
	v_cndmask_b32_e32 v3, v5, v4, vcc
	s_mov_b64 s[40:41], -1
	s_branch .LBB110_796
.LBB110_795:
	s_mov_b64 s[36:37], -1
                                        ; implicit-def: $vgpr3
.LBB110_796:
	s_mov_b64 s[42:43], 0
.LBB110_797:
	s_and_b64 vcc, exec, s[42:43]
	s_cbranch_vccz .LBB110_801
; %bb.798:
	s_cmp_eq_u32 s47, 29
	s_cbranch_scc0 .LBB110_800
; %bb.799:
	global_load_dwordx2 v[3:4], v[0:1], off
	s_mov_b64 s[36:37], 0
	s_mov_b64 s[40:41], -1
	s_mov_b64 s[42:43], 0
	s_waitcnt vmcnt(0)
	v_ffbh_u32_e32 v5, v4
	v_min_u32_e32 v5, 32, v5
	v_lshlrev_b64 v[3:4], v5, v[3:4]
	v_min_u32_e32 v3, 1, v3
	v_or_b32_e32 v3, v4, v3
	v_cvt_f32_u32_e32 v3, v3
	v_sub_u32_e32 v4, 32, v5
	v_ldexp_f32 v3, v3, v4
	s_branch .LBB110_802
.LBB110_800:
	s_mov_b64 s[36:37], -1
                                        ; implicit-def: $vgpr3
.LBB110_801:
	s_mov_b64 s[42:43], 0
.LBB110_802:
	s_and_b64 vcc, exec, s[42:43]
	s_cbranch_vccz .LBB110_820
; %bb.803:
	s_cmp_lt_i32 s47, 27
	s_cbranch_scc1 .LBB110_806
; %bb.804:
	s_cmp_gt_i32 s47, 27
	s_cbranch_scc0 .LBB110_807
; %bb.805:
	global_load_dword v3, v[0:1], off
	s_mov_b64 s[40:41], 0
	s_waitcnt vmcnt(0)
	v_cvt_f32_u32_e32 v3, v3
	s_branch .LBB110_808
.LBB110_806:
	s_mov_b64 s[40:41], -1
                                        ; implicit-def: $vgpr3
	s_branch .LBB110_811
.LBB110_807:
	s_mov_b64 s[40:41], -1
                                        ; implicit-def: $vgpr3
.LBB110_808:
	s_andn2_b64 vcc, exec, s[40:41]
	s_cbranch_vccnz .LBB110_810
; %bb.809:
	global_load_ushort v3, v[0:1], off
	s_waitcnt vmcnt(0)
	v_cvt_f32_u32_e32 v3, v3
.LBB110_810:
	s_mov_b64 s[40:41], 0
.LBB110_811:
	s_andn2_b64 vcc, exec, s[40:41]
	s_cbranch_vccnz .LBB110_819
; %bb.812:
	global_load_ubyte v4, v[0:1], off
	s_movk_i32 s40, 0x7f
	s_waitcnt vmcnt(0)
	v_cmp_lt_i16_e32 vcc, s40, v4
	s_mov_b64 s[40:41], 0
	s_and_saveexec_b64 s[42:43], vcc
	s_xor_b64 s[42:43], exec, s[42:43]
	s_cbranch_execz .LBB110_833
; %bb.813:
	s_movk_i32 s40, 0x80
	v_cmp_eq_u16_e32 vcc, s40, v4
	s_mov_b64 s[40:41], -1
	s_and_saveexec_b64 s[44:45], vcc
; %bb.814:
	s_xor_b64 s[40:41], exec, -1
; %bb.815:
	s_or_b64 exec, exec, s[44:45]
	s_and_b64 s[40:41], s[40:41], exec
	s_or_saveexec_b64 s[42:43], s[42:43]
	v_mov_b32_e32 v3, 0x7f800001
	s_xor_b64 exec, exec, s[42:43]
	s_cbranch_execnz .LBB110_834
.LBB110_816:
	s_or_b64 exec, exec, s[42:43]
	s_and_saveexec_b64 s[42:43], s[40:41]
	s_cbranch_execz .LBB110_818
.LBB110_817:
	v_lshlrev_b32_e32 v3, 24, v4
	v_and_b32_e32 v4, 0xffff, v4
	v_and_b32_e32 v5, 7, v4
	v_ffbh_u32_e32 v7, v5
	v_min_u32_e32 v7, 32, v7
	v_subrev_u32_e32 v8, 28, v7
	v_bfe_u32 v6, v4, 3, 4
	v_lshlrev_b32_e32 v4, v8, v4
	v_sub_u32_e32 v7, 29, v7
	v_and_b32_e32 v4, 7, v4
	v_cmp_eq_u32_e32 vcc, 0, v6
	v_cndmask_b32_e32 v6, v6, v7, vcc
	v_cndmask_b32_e32 v4, v5, v4, vcc
	v_mov_b32_e32 v5, 0x3b800000
	v_lshlrev_b32_e32 v4, 20, v4
	v_and_b32_e32 v3, 0x80000000, v3
	v_lshl_add_u32 v5, v6, 23, v5
	v_or3_b32 v3, v3, v5, v4
.LBB110_818:
	s_or_b64 exec, exec, s[42:43]
.LBB110_819:
	s_mov_b64 s[40:41], -1
.LBB110_820:
	s_mov_b64 s[42:43], 0
.LBB110_821:
	s_and_b64 vcc, exec, s[42:43]
	s_cbranch_vccz .LBB110_854
; %bb.822:
	s_cmp_gt_i32 s47, 22
	s_cbranch_scc0 .LBB110_832
; %bb.823:
	s_cmp_lt_i32 s47, 24
	s_cbranch_scc1 .LBB110_835
; %bb.824:
	s_cmp_gt_i32 s47, 24
	s_cbranch_scc0 .LBB110_836
; %bb.825:
	global_load_ubyte v4, v[0:1], off
	s_movk_i32 s38, 0x7f
	s_waitcnt vmcnt(0)
	v_cmp_lt_i16_e32 vcc, s38, v4
	s_mov_b64 s[38:39], 0
	s_and_saveexec_b64 s[40:41], vcc
	s_xor_b64 s[40:41], exec, s[40:41]
	s_cbranch_execz .LBB110_848
; %bb.826:
	s_movk_i32 s38, 0x80
	v_cmp_eq_u16_e32 vcc, s38, v4
	s_mov_b64 s[38:39], -1
	s_and_saveexec_b64 s[42:43], vcc
; %bb.827:
	s_xor_b64 s[38:39], exec, -1
; %bb.828:
	s_or_b64 exec, exec, s[42:43]
	s_and_b64 s[38:39], s[38:39], exec
	s_or_saveexec_b64 s[40:41], s[40:41]
	v_mov_b32_e32 v3, 0x7f800001
	s_xor_b64 exec, exec, s[40:41]
	s_cbranch_execnz .LBB110_849
.LBB110_829:
	s_or_b64 exec, exec, s[40:41]
	s_and_saveexec_b64 s[40:41], s[38:39]
	s_cbranch_execz .LBB110_831
.LBB110_830:
	v_lshlrev_b32_e32 v3, 24, v4
	v_and_b32_e32 v4, 0xffff, v4
	v_and_b32_e32 v5, 3, v4
	v_ffbh_u32_e32 v7, v5
	v_min_u32_e32 v7, 32, v7
	v_subrev_u32_e32 v8, 29, v7
	v_bfe_u32 v6, v4, 2, 5
	v_lshlrev_b32_e32 v4, v8, v4
	v_sub_u32_e32 v7, 30, v7
	v_and_b32_e32 v4, 3, v4
	v_cmp_eq_u32_e32 vcc, 0, v6
	v_cndmask_b32_e32 v6, v6, v7, vcc
	v_cndmask_b32_e32 v4, v5, v4, vcc
	v_mov_b32_e32 v5, 0x37800000
	v_lshlrev_b32_e32 v4, 21, v4
	v_and_b32_e32 v3, 0x80000000, v3
	v_lshl_add_u32 v5, v6, 23, v5
	v_or3_b32 v3, v3, v5, v4
.LBB110_831:
	s_or_b64 exec, exec, s[40:41]
	s_mov_b64 s[38:39], 0
	s_branch .LBB110_837
.LBB110_832:
	s_mov_b64 s[38:39], -1
                                        ; implicit-def: $vgpr3
	s_branch .LBB110_843
.LBB110_833:
	s_or_saveexec_b64 s[42:43], s[42:43]
	v_mov_b32_e32 v3, 0x7f800001
	s_xor_b64 exec, exec, s[42:43]
	s_cbranch_execz .LBB110_816
.LBB110_834:
	v_cmp_ne_u16_e32 vcc, 0, v4
	s_andn2_b64 s[40:41], s[40:41], exec
	s_and_b64 s[44:45], vcc, exec
	v_mov_b32_e32 v3, 0
	s_or_b64 s[40:41], s[40:41], s[44:45]
	s_or_b64 exec, exec, s[42:43]
	s_and_saveexec_b64 s[42:43], s[40:41]
	s_cbranch_execnz .LBB110_817
	s_branch .LBB110_818
.LBB110_835:
	s_mov_b64 s[38:39], -1
                                        ; implicit-def: $vgpr3
	s_branch .LBB110_840
.LBB110_836:
	s_mov_b64 s[38:39], -1
                                        ; implicit-def: $vgpr3
.LBB110_837:
	s_and_b64 vcc, exec, s[38:39]
	s_cbranch_vccz .LBB110_839
; %bb.838:
	global_load_ubyte v3, v[0:1], off
	s_mov_b32 s38, 0x7f800000
	s_waitcnt vmcnt(0)
	v_lshlrev_b32_e32 v3, 24, v3
	v_and_b32_e32 v4, 0x7f000000, v3
	v_ffbh_u32_e32 v5, v4
	v_min_u32_e32 v5, 32, v5
	v_sub_u32_e64 v5, v5, 4 clamp
	v_lshlrev_b32_e32 v7, v5, v4
	v_lshlrev_b32_e32 v5, 23, v5
	v_lshrrev_b32_e32 v7, 4, v7
	v_add_u32_e32 v6, 0x1000000, v4
	v_sub_u32_e32 v5, v7, v5
	v_ashrrev_i32_e32 v6, 8, v6
	v_add_u32_e32 v5, 0x3c000000, v5
	v_and_or_b32 v5, v6, s38, v5
	v_cmp_ne_u32_e32 vcc, 0, v4
	v_cndmask_b32_e32 v4, 0, v5, vcc
	s_brev_b32 s38, 1
	v_and_or_b32 v3, v3, s38, v4
.LBB110_839:
	s_mov_b64 s[38:39], 0
.LBB110_840:
	s_andn2_b64 vcc, exec, s[38:39]
	s_cbranch_vccnz .LBB110_842
; %bb.841:
	global_load_ubyte v3, v[0:1], off
	s_movk_i32 s38, 0x7f00
	s_brev_b32 s39, 16
	s_waitcnt vmcnt(0)
	v_lshlrev_b16_e32 v4, 8, v3
	v_lshlrev_b32_e32 v3, 25, v3
	v_lshrrev_b32_e32 v5, 4, v3
	v_and_or_b32 v6, v4, s38, 0.5
	v_or_b32_e32 v5, 0x70000000, v5
	v_add_f32_e32 v6, -0.5, v6
	v_mul_f32_e32 v5, 0x7800000, v5
	v_cmp_gt_u32_e32 vcc, s39, v3
	v_bfe_i32 v4, v4, 0, 16
	v_cndmask_b32_e32 v3, v5, v6, vcc
	s_brev_b32 s38, 1
	v_and_or_b32 v3, v4, s38, v3
.LBB110_842:
	s_mov_b64 s[38:39], 0
	s_mov_b64 s[40:41], -1
.LBB110_843:
	s_andn2_b64 vcc, exec, s[38:39]
	s_mov_b64 s[38:39], 0
	s_cbranch_vccnz .LBB110_854
; %bb.844:
	s_cmp_gt_i32 s47, 14
	s_cbranch_scc0 .LBB110_847
; %bb.845:
	s_cmp_eq_u32 s47, 15
	s_cbranch_scc0 .LBB110_850
; %bb.846:
	global_load_ushort v3, v[0:1], off
	s_mov_b64 s[36:37], 0
	s_mov_b64 s[40:41], -1
	s_waitcnt vmcnt(0)
	v_lshlrev_b32_e32 v3, 16, v3
	s_branch .LBB110_851
.LBB110_847:
	s_mov_b64 s[42:43], -1
                                        ; implicit-def: $vgpr3
	s_branch .LBB110_852
.LBB110_848:
	s_or_saveexec_b64 s[40:41], s[40:41]
	v_mov_b32_e32 v3, 0x7f800001
	s_xor_b64 exec, exec, s[40:41]
	s_cbranch_execz .LBB110_829
.LBB110_849:
	v_cmp_ne_u16_e32 vcc, 0, v4
	s_andn2_b64 s[38:39], s[38:39], exec
	s_and_b64 s[42:43], vcc, exec
	v_mov_b32_e32 v3, 0
	s_or_b64 s[38:39], s[38:39], s[42:43]
	s_or_b64 exec, exec, s[40:41]
	s_and_saveexec_b64 s[40:41], s[38:39]
	s_cbranch_execnz .LBB110_830
	s_branch .LBB110_831
.LBB110_850:
	s_mov_b64 s[36:37], -1
                                        ; implicit-def: $vgpr3
.LBB110_851:
	s_mov_b64 s[42:43], 0
.LBB110_852:
	s_and_b64 vcc, exec, s[42:43]
	s_cbranch_vccz .LBB110_854
; %bb.853:
	s_cmp_lg_u32 s47, 11
	s_cselect_b64 s[42:43], -1, 0
	s_andn2_b64 s[36:37], s[36:37], exec
	s_and_b64 s[42:43], s[42:43], exec
	s_mov_b64 s[38:39], -1
	s_or_b64 s[36:37], s[36:37], s[42:43]
.LBB110_854:
	s_mov_b64 s[42:43], 0
.LBB110_855:
	s_and_b64 s[44:45], s[40:41], exec
	s_and_b64 s[40:41], s[42:43], exec
	s_andn2_b64 s[42:43], s[2:3], exec
	s_and_b64 s[36:37], s[36:37], exec
	s_and_b64 s[38:39], s[38:39], exec
	s_or_b64 s[42:43], s[42:43], s[36:37]
.LBB110_856:
	s_or_b64 exec, exec, s[34:35]
	s_and_b64 s[36:37], s[38:39], exec
	s_andn2_b64 s[2:3], s[2:3], exec
	s_and_b64 s[38:39], s[42:43], exec
	s_and_b64 s[34:35], s[44:45], exec
	;; [unrolled: 1-line block ×3, first 2 shown]
	s_or_b64 s[2:3], s[2:3], s[38:39]
.LBB110_857:
	s_or_b64 exec, exec, s[30:31]
	s_andn2_b64 s[26:27], s[26:27], exec
	s_and_b64 s[4:5], s[4:5], exec
	s_andn2_b64 s[24:25], s[24:25], exec
	s_and_b64 s[2:3], s[2:3], exec
	s_or_b64 s[26:27], s[26:27], s[4:5]
	s_and_b64 s[34:35], s[34:35], exec
	s_and_b64 s[30:31], s[40:41], exec
	;; [unrolled: 1-line block ×3, first 2 shown]
	s_or_b64 s[24:25], s[24:25], s[2:3]
.LBB110_858:
	s_or_b64 exec, exec, s[28:29]
	s_andn2_b64 s[2:3], s[18:19], exec
	s_and_b64 s[18:19], s[26:27], exec
	s_or_b64 s[18:19], s[2:3], s[18:19]
	s_and_b64 s[26:27], s[4:5], exec
	s_andn2_b64 s[2:3], s[20:21], exec
	s_and_b64 s[4:5], s[24:25], exec
	s_and_b64 s[28:29], s[34:35], exec
	;; [unrolled: 1-line block ×3, first 2 shown]
	s_or_b64 s[20:21], s[2:3], s[4:5]
	s_or_b64 exec, exec, s[22:23]
	s_mov_b64 s[2:3], 0
	s_and_saveexec_b64 s[4:5], s[20:21]
	s_cbranch_execz .LBB110_262
.LBB110_859:
	s_mov_b64 s[2:3], exec
	s_andn2_b64 s[26:27], s[26:27], exec
	s_trap 2
	s_or_b64 exec, exec, s[4:5]
	s_and_saveexec_b64 s[4:5], s[26:27]
	s_xor_b64 s[4:5], exec, s[4:5]
	s_cbranch_execnz .LBB110_263
.LBB110_860:
	s_or_b64 exec, exec, s[4:5]
	s_and_saveexec_b64 s[4:5], s[30:31]
	s_cbranch_execz .LBB110_906
.LBB110_861:
	s_sext_i32_i16 s20, s46
	s_cmp_lt_i32 s20, 5
	s_cbranch_scc1 .LBB110_866
; %bb.862:
	s_cmp_lt_i32 s20, 8
	s_cbranch_scc1 .LBB110_867
; %bb.863:
	;; [unrolled: 3-line block ×3, first 2 shown]
	s_cmp_gt_i32 s20, 9
	s_cbranch_scc0 .LBB110_869
; %bb.865:
	global_load_dwordx2 v[3:4], v[0:1], off
	s_mov_b64 s[20:21], 0
	s_waitcnt vmcnt(0)
	v_cvt_f32_f64_e32 v3, v[3:4]
	s_branch .LBB110_870
.LBB110_866:
                                        ; implicit-def: $vgpr3
	s_branch .LBB110_887
.LBB110_867:
                                        ; implicit-def: $vgpr3
	s_branch .LBB110_876
.LBB110_868:
	s_mov_b64 s[20:21], -1
                                        ; implicit-def: $vgpr3
	s_branch .LBB110_873
.LBB110_869:
	s_mov_b64 s[20:21], -1
                                        ; implicit-def: $vgpr3
.LBB110_870:
	s_andn2_b64 vcc, exec, s[20:21]
	s_cbranch_vccnz .LBB110_872
; %bb.871:
	global_load_dword v3, v[0:1], off
.LBB110_872:
	s_mov_b64 s[20:21], 0
.LBB110_873:
	s_andn2_b64 vcc, exec, s[20:21]
	s_cbranch_vccnz .LBB110_875
; %bb.874:
	global_load_dword v3, v[0:1], off
	s_waitcnt vmcnt(0)
	v_cvt_f32_f16_e32 v3, v3
.LBB110_875:
	s_cbranch_execnz .LBB110_886
.LBB110_876:
	s_sext_i32_i16 s20, s46
	s_cmp_lt_i32 s20, 6
	s_cbranch_scc1 .LBB110_879
; %bb.877:
	s_cmp_gt_i32 s20, 6
	s_cbranch_scc0 .LBB110_880
; %bb.878:
	global_load_dwordx2 v[3:4], v[0:1], off
	s_mov_b64 s[20:21], 0
	s_waitcnt vmcnt(0)
	v_cvt_f32_f64_e32 v3, v[3:4]
	s_branch .LBB110_881
.LBB110_879:
	s_mov_b64 s[20:21], -1
                                        ; implicit-def: $vgpr3
	s_branch .LBB110_884
.LBB110_880:
	s_mov_b64 s[20:21], -1
                                        ; implicit-def: $vgpr3
.LBB110_881:
	s_andn2_b64 vcc, exec, s[20:21]
	s_cbranch_vccnz .LBB110_883
; %bb.882:
	global_load_dword v3, v[0:1], off
.LBB110_883:
	s_mov_b64 s[20:21], 0
.LBB110_884:
	s_andn2_b64 vcc, exec, s[20:21]
	s_cbranch_vccnz .LBB110_886
; %bb.885:
	global_load_ushort v3, v[0:1], off
	s_waitcnt vmcnt(0)
	v_cvt_f32_f16_e32 v3, v3
.LBB110_886:
	s_cbranch_execnz .LBB110_905
.LBB110_887:
	s_sext_i32_i16 s20, s46
	s_cmp_lt_i32 s20, 2
	s_cbranch_scc1 .LBB110_891
; %bb.888:
	s_cmp_lt_i32 s20, 3
	s_cbranch_scc1 .LBB110_892
; %bb.889:
	s_cmp_gt_i32 s20, 3
	s_cbranch_scc0 .LBB110_893
; %bb.890:
	global_load_dwordx2 v[3:4], v[0:1], off
	s_mov_b64 s[20:21], 0
	s_waitcnt vmcnt(0)
	v_xor_b32_e32 v6, v3, v4
	v_ffbh_i32_e32 v5, v4
	v_ashrrev_i32_e32 v6, 31, v6
	v_add_u32_e32 v5, -1, v5
	v_add_u32_e32 v6, 32, v6
	v_min_u32_e32 v5, v5, v6
	v_lshlrev_b64 v[3:4], v5, v[3:4]
	v_min_u32_e32 v3, 1, v3
	v_or_b32_e32 v3, v4, v3
	v_cvt_f32_i32_e32 v3, v3
	v_sub_u32_e32 v4, 32, v5
	v_ldexp_f32 v3, v3, v4
	s_branch .LBB110_894
.LBB110_891:
                                        ; implicit-def: $vgpr3
	s_branch .LBB110_900
.LBB110_892:
	s_mov_b64 s[20:21], -1
                                        ; implicit-def: $vgpr3
	s_branch .LBB110_897
.LBB110_893:
	s_mov_b64 s[20:21], -1
                                        ; implicit-def: $vgpr3
.LBB110_894:
	s_andn2_b64 vcc, exec, s[20:21]
	s_cbranch_vccnz .LBB110_896
; %bb.895:
	global_load_dword v3, v[0:1], off
	s_waitcnt vmcnt(0)
	v_cvt_f32_i32_e32 v3, v3
.LBB110_896:
	s_mov_b64 s[20:21], 0
.LBB110_897:
	s_andn2_b64 vcc, exec, s[20:21]
	s_cbranch_vccnz .LBB110_899
; %bb.898:
	global_load_sshort v3, v[0:1], off
	s_waitcnt vmcnt(0)
	v_cvt_f32_i32_e32 v3, v3
.LBB110_899:
	s_cbranch_execnz .LBB110_905
.LBB110_900:
	s_sext_i32_i16 s20, s46
	s_cmp_gt_i32 s20, 0
	s_cbranch_scc0 .LBB110_902
; %bb.901:
	global_load_sbyte v3, v[0:1], off
	s_mov_b64 s[20:21], 0
	s_waitcnt vmcnt(0)
	v_cvt_f32_i32_e32 v3, v3
	s_branch .LBB110_903
.LBB110_902:
	s_mov_b64 s[20:21], -1
                                        ; implicit-def: $vgpr3
.LBB110_903:
	s_andn2_b64 vcc, exec, s[20:21]
	s_cbranch_vccnz .LBB110_905
; %bb.904:
	global_load_ubyte v0, v[0:1], off
	s_waitcnt vmcnt(0)
	v_cvt_f32_ubyte0_e32 v3, v0
.LBB110_905:
	s_or_b64 s[28:29], s[28:29], exec
.LBB110_906:
	s_or_b64 exec, exec, s[4:5]
	s_mov_b64 s[24:25], 0
	s_mov_b64 s[22:23], 0
                                        ; implicit-def: $sgpr4_sgpr5
                                        ; implicit-def: $sgpr30
                                        ; implicit-def: $vgpr0_vgpr1
	s_and_saveexec_b64 s[20:21], s[28:29]
	s_cbranch_execz .LBB110_981
; %bb.907:
	s_waitcnt vmcnt(0)
	v_cmp_eq_f32_e32 vcc, s15, v3
	v_cndmask_b32_e64 v0, 0, 1, vcc
	v_cmp_neq_f32_e32 vcc, s15, v3
	v_mul_lo_u32 v2, v2, s12
	v_cndmask_b32_e64 v1, 0, 1, vcc
	v_cndmask_b32_e64 v0, v1, v0, s[0:1]
	v_and_b32_e32 v0, 1, v0
	v_cmp_eq_u32_e64 s[4:5], 1, v0
	v_ashrrev_i32_e32 v1, 31, v2
	v_mov_b32_e32 v3, s9
	s_and_b32 s30, s33, 0xff
	v_add_co_u32_e32 v0, vcc, s8, v2
	s_cmp_lt_i32 s30, 11
	v_addc_co_u32_e32 v1, vcc, v3, v1, vcc
	s_cbranch_scc1 .LBB110_984
; %bb.908:
	s_and_b32 s31, 0xffff, s30
	s_mov_b64 s[24:25], -1
	s_cmp_gt_i32 s31, 25
	s_mov_b64 s[0:1], s[18:19]
	s_cbranch_scc0 .LBB110_941
; %bb.909:
	s_mov_b64 s[22:23], -1
	s_cmp_gt_i32 s31, 28
	s_mov_b64 s[0:1], s[18:19]
	s_cbranch_scc0 .LBB110_925
; %bb.910:
	s_cmp_gt_i32 s31, 43
	s_mov_b64 s[0:1], s[18:19]
	s_cbranch_scc0 .LBB110_921
; %bb.911:
	;; [unrolled: 4-line block ×3, first 2 shown]
	s_cmp_eq_u32 s31, 46
	s_mov_b64 s[0:1], -1
	s_cbranch_scc0 .LBB110_914
; %bb.913:
	v_cndmask_b32_e64 v2, 0, 1.0, s[4:5]
	v_bfe_u32 v3, v2, 16, 1
	s_movk_i32 s0, 0x7fff
	v_add3_u32 v2, v2, v3, s0
	v_lshrrev_b32_e32 v2, 16, v2
	global_store_dword v[0:1], v2, off
	s_mov_b64 s[0:1], 0
.LBB110_914:
	s_mov_b64 s[22:23], 0
.LBB110_915:
	s_and_b64 vcc, exec, s[22:23]
	s_cbranch_vccz .LBB110_920
; %bb.916:
	s_cmp_eq_u32 s31, 44
	s_mov_b64 s[0:1], -1
	s_cbranch_scc0 .LBB110_920
; %bb.917:
	v_cndmask_b32_e64 v3, 0, 1.0, s[4:5]
	v_lshrrev_b32_e32 v2, 23, v3
	s_movk_i32 s0, 0xff
	v_cmp_ne_u32_e32 vcc, s0, v2
	v_mov_b32_e32 v4, 0xff
	s_and_saveexec_b64 s[22:23], vcc
; %bb.918:
	s_mov_b32 s0, 0x3fffff
	v_and_b32_e32 v4, 0x400000, v3
	v_and_or_b32 v3, v3, s0, v2
	v_cmp_ne_u32_e32 vcc, 0, v4
	v_cmp_ne_u32_e64 s[0:1], 0, v3
	s_and_b64 s[0:1], vcc, s[0:1]
	v_cndmask_b32_e64 v3, 0, 1, s[0:1]
	v_add_u32_e32 v4, v2, v3
; %bb.919:
	s_or_b64 exec, exec, s[22:23]
	s_mov_b64 s[0:1], 0
	global_store_byte v[0:1], v4, off
.LBB110_920:
	s_mov_b64 s[22:23], 0
.LBB110_921:
	s_and_b64 vcc, exec, s[22:23]
	s_cbranch_vccz .LBB110_924
; %bb.922:
	s_cmp_eq_u32 s31, 29
	s_mov_b64 s[0:1], -1
	s_cbranch_scc0 .LBB110_924
; %bb.923:
	s_mov_b32 s0, 0
	v_cndmask_b32_e64 v2, 0, 1, s[4:5]
	v_mov_b32_e32 v3, s0
	global_store_dwordx2 v[0:1], v[2:3], off
	s_mov_b64 s[0:1], 0
.LBB110_924:
	s_mov_b64 s[22:23], 0
.LBB110_925:
	s_and_b64 vcc, exec, s[22:23]
	s_cbranch_vccz .LBB110_940
; %bb.926:
	s_cmp_lt_i32 s31, 27
	s_mov_b64 s[22:23], -1
	s_cbranch_scc1 .LBB110_932
; %bb.927:
	s_cmp_gt_i32 s31, 27
	v_cndmask_b32_e64 v2, 0, 1, s[4:5]
	s_cbranch_scc0 .LBB110_929
; %bb.928:
	s_mov_b64 s[22:23], 0
	global_store_dword v[0:1], v2, off
.LBB110_929:
	s_andn2_b64 vcc, exec, s[22:23]
	s_cbranch_vccnz .LBB110_931
; %bb.930:
	global_store_short v[0:1], v2, off
.LBB110_931:
	s_mov_b64 s[22:23], 0
.LBB110_932:
	s_andn2_b64 vcc, exec, s[22:23]
	s_cbranch_vccnz .LBB110_940
; %bb.933:
	v_cndmask_b32_e64 v3, 0, 1.0, s[4:5]
	s_mov_b32 s22, 0x43800000
	v_cmp_gt_u32_e32 vcc, s22, v3
	v_mov_b32_e32 v4, 0x80
	s_and_saveexec_b64 s[22:23], vcc
	s_cbranch_execz .LBB110_939
; %bb.934:
	s_mov_b32 s24, 0x3bffffff
	v_cmp_lt_u32_e32 vcc, s24, v3
	s_mov_b64 s[24:25], 0
                                        ; implicit-def: $vgpr2
	s_and_saveexec_b64 s[26:27], vcc
	s_xor_b64 s[26:27], exec, s[26:27]
	s_cbranch_execz .LBB110_1041
; %bb.935:
	v_bfe_u32 v2, v3, 20, 1
	s_mov_b32 s28, 0x487ffff
	v_add3_u32 v2, v3, v2, s28
	s_mov_b64 s[24:25], exec
	v_lshrrev_b32_e32 v2, 20, v2
                                        ; implicit-def: $vgpr3
	s_andn2_saveexec_b64 s[26:27], s[26:27]
	s_cbranch_execnz .LBB110_1042
.LBB110_936:
	s_or_b64 exec, exec, s[26:27]
	v_mov_b32_e32 v4, 0
	s_and_saveexec_b64 s[26:27], s[24:25]
.LBB110_937:
	v_mov_b32_e32 v4, v2
.LBB110_938:
	s_or_b64 exec, exec, s[26:27]
.LBB110_939:
	s_or_b64 exec, exec, s[22:23]
	global_store_byte v[0:1], v4, off
.LBB110_940:
	s_mov_b64 s[24:25], 0
.LBB110_941:
	s_mov_b64 s[22:23], 0
	s_and_b64 vcc, exec, s[24:25]
	s_cbranch_vccz .LBB110_985
; %bb.942:
	s_cmp_gt_i32 s31, 22
	s_mov_b64 s[24:25], -1
	s_cbranch_scc0 .LBB110_974
; %bb.943:
	s_cmp_lt_i32 s31, 24
	s_cbranch_scc1 .LBB110_963
; %bb.944:
	s_cmp_gt_i32 s31, 24
	s_cbranch_scc0 .LBB110_952
; %bb.945:
	v_cndmask_b32_e64 v3, 0, 1.0, s[4:5]
	s_mov_b32 s24, 0x47800000
	v_cmp_gt_u32_e32 vcc, s24, v3
	v_mov_b32_e32 v4, 0x80
	s_and_saveexec_b64 s[24:25], vcc
	s_cbranch_execz .LBB110_951
; %bb.946:
	s_mov_b32 s26, 0x37ffffff
	v_cmp_lt_u32_e32 vcc, s26, v3
	s_mov_b64 s[26:27], 0
                                        ; implicit-def: $vgpr2
	s_and_saveexec_b64 s[28:29], vcc
	s_xor_b64 s[28:29], exec, s[28:29]
	s_cbranch_execz .LBB110_1166
; %bb.947:
	v_bfe_u32 v2, v3, 21, 1
	s_mov_b32 s34, 0x88fffff
	v_add3_u32 v2, v3, v2, s34
	s_mov_b64 s[26:27], exec
	v_lshrrev_b32_e32 v2, 21, v2
                                        ; implicit-def: $vgpr3
	s_andn2_saveexec_b64 s[28:29], s[28:29]
	s_cbranch_execnz .LBB110_1167
.LBB110_948:
	s_or_b64 exec, exec, s[28:29]
	v_mov_b32_e32 v4, 0
	s_and_saveexec_b64 s[28:29], s[26:27]
.LBB110_949:
	v_mov_b32_e32 v4, v2
.LBB110_950:
	s_or_b64 exec, exec, s[28:29]
.LBB110_951:
	s_or_b64 exec, exec, s[24:25]
	s_mov_b64 s[24:25], 0
	global_store_byte v[0:1], v4, off
.LBB110_952:
	s_and_b64 vcc, exec, s[24:25]
	s_cbranch_vccz .LBB110_962
; %bb.953:
	v_cndmask_b32_e64 v2, 0, 1.0, s[4:5]
	s_mov_b32 s24, 0x43f00000
	v_cmp_gt_u32_e32 vcc, s24, v2
                                        ; implicit-def: $vgpr3
	s_and_saveexec_b64 s[24:25], vcc
	s_xor_b64 s[24:25], exec, s[24:25]
	s_cbranch_execz .LBB110_959
; %bb.954:
	s_mov_b32 s26, 0x3c7fffff
	v_cmp_lt_u32_e32 vcc, s26, v2
                                        ; implicit-def: $vgpr3
	s_and_saveexec_b64 s[26:27], vcc
	s_xor_b64 s[26:27], exec, s[26:27]
; %bb.955:
	v_bfe_u32 v3, v2, 20, 1
	s_mov_b32 s28, 0x407ffff
	v_add3_u32 v2, v2, v3, s28
	v_lshrrev_b32_e32 v3, 20, v2
	v_and_b32_e32 v2, 0xff00000, v2
	s_mov_b32 s28, 0x7f00000
	v_mov_b32_e32 v4, 0x7e
	v_cmp_ne_u32_e32 vcc, s28, v2
	v_cndmask_b32_e32 v3, v4, v3, vcc
                                        ; implicit-def: $vgpr2
; %bb.956:
	s_andn2_saveexec_b64 s[26:27], s[26:27]
; %bb.957:
	v_add_f32_e32 v3, 0x46800000, v2
; %bb.958:
	s_or_b64 exec, exec, s[26:27]
                                        ; implicit-def: $vgpr2
.LBB110_959:
	s_andn2_saveexec_b64 s[24:25], s[24:25]
; %bb.960:
	s_mov_b32 s26, 0x7f800000
	v_mov_b32_e32 v3, 0x7e
	v_mov_b32_e32 v4, 0x7f
	v_cmp_lt_u32_e32 vcc, s26, v2
	v_cndmask_b32_e32 v3, v3, v4, vcc
; %bb.961:
	s_or_b64 exec, exec, s[24:25]
	global_store_byte v[0:1], v3, off
.LBB110_962:
	s_mov_b64 s[24:25], 0
.LBB110_963:
	s_andn2_b64 vcc, exec, s[24:25]
	s_cbranch_vccnz .LBB110_973
; %bb.964:
	v_cndmask_b32_e64 v2, 0, 1.0, s[4:5]
	s_mov_b32 s24, 0x47800000
	v_cmp_gt_u32_e32 vcc, s24, v2
                                        ; implicit-def: $vgpr3
	s_and_saveexec_b64 s[24:25], vcc
	s_xor_b64 s[24:25], exec, s[24:25]
	s_cbranch_execz .LBB110_970
; %bb.965:
	s_mov_b32 s26, 0x387fffff
	v_cmp_lt_u32_e32 vcc, s26, v2
                                        ; implicit-def: $vgpr3
	s_and_saveexec_b64 s[26:27], vcc
	s_xor_b64 s[26:27], exec, s[26:27]
; %bb.966:
	v_bfe_u32 v3, v2, 21, 1
	s_mov_b32 s28, 0x80fffff
	v_add3_u32 v2, v2, v3, s28
	v_lshrrev_b32_e32 v3, 21, v2
                                        ; implicit-def: $vgpr2
; %bb.967:
	s_andn2_saveexec_b64 s[26:27], s[26:27]
; %bb.968:
	v_add_f32_e32 v3, 0x43000000, v2
; %bb.969:
	s_or_b64 exec, exec, s[26:27]
                                        ; implicit-def: $vgpr2
.LBB110_970:
	s_andn2_saveexec_b64 s[24:25], s[24:25]
; %bb.971:
	s_mov_b32 s26, 0x7f800000
	v_mov_b32_e32 v3, 0x7c
	v_mov_b32_e32 v4, 0x7f
	v_cmp_lt_u32_e32 vcc, s26, v2
	v_cndmask_b32_e32 v3, v3, v4, vcc
; %bb.972:
	s_or_b64 exec, exec, s[24:25]
	global_store_byte v[0:1], v3, off
.LBB110_973:
	s_mov_b64 s[24:25], 0
.LBB110_974:
	s_andn2_b64 vcc, exec, s[24:25]
	s_mov_b64 s[24:25], 0
	s_cbranch_vccnz .LBB110_986
; %bb.975:
	s_cmp_gt_i32 s31, 14
	s_mov_b64 s[26:27], -1
	s_cbranch_scc0 .LBB110_979
; %bb.976:
	s_cmp_eq_u32 s31, 15
	s_mov_b64 s[0:1], -1
	s_cbranch_scc0 .LBB110_978
; %bb.977:
	v_cndmask_b32_e64 v2, 0, 1.0, s[4:5]
	v_bfe_u32 v3, v2, 16, 1
	s_movk_i32 s0, 0x7fff
	v_add3_u32 v2, v2, v3, s0
	global_store_short_d16_hi v[0:1], v2, off
	s_mov_b64 s[0:1], 0
.LBB110_978:
	s_mov_b64 s[26:27], 0
.LBB110_979:
	s_and_b64 vcc, exec, s[26:27]
	s_cbranch_vccz .LBB110_986
; %bb.980:
	s_cmp_lg_u32 s31, 11
	s_cselect_b64 s[26:27], -1, 0
	s_andn2_b64 s[0:1], s[0:1], exec
	s_and_b64 s[26:27], s[26:27], exec
	s_mov_b64 s[24:25], -1
	s_or_b64 s[0:1], s[0:1], s[26:27]
	s_branch .LBB110_986
.LBB110_981:
	s_or_b64 exec, exec, s[20:21]
	s_and_saveexec_b64 s[0:1], s[18:19]
	s_cbranch_execnz .LBB110_987
.LBB110_982:
	s_or_b64 exec, exec, s[0:1]
	s_and_saveexec_b64 s[0:1], s[24:25]
	s_xor_b64 s[0:1], exec, s[0:1]
	s_cbranch_execz .LBB110_988
.LBB110_983:
	v_cndmask_b32_e64 v2, 0, 1, s[4:5]
	global_store_byte v[0:1], v2, off
	s_or_b64 exec, exec, s[0:1]
	s_and_saveexec_b64 s[0:1], s[22:23]
	s_xor_b64 s[0:1], exec, s[0:1]
	s_cbranch_execz .LBB110_1026
	s_branch .LBB110_989
.LBB110_984:
	s_mov_b64 s[22:23], -1
	s_mov_b64 s[0:1], s[18:19]
	s_branch .LBB110_986
.LBB110_985:
	s_mov_b64 s[24:25], 0
.LBB110_986:
	s_andn2_b64 s[18:19], s[18:19], exec
	s_and_b64 s[0:1], s[0:1], exec
	s_and_b64 s[22:23], s[22:23], exec
	;; [unrolled: 1-line block ×3, first 2 shown]
	s_or_b64 s[18:19], s[18:19], s[0:1]
	s_or_b64 exec, exec, s[20:21]
	s_and_saveexec_b64 s[0:1], s[18:19]
	s_cbranch_execz .LBB110_982
.LBB110_987:
	s_or_b64 s[2:3], s[2:3], exec
	s_andn2_b64 s[24:25], s[24:25], exec
	s_trap 2
	s_or_b64 exec, exec, s[0:1]
	s_and_saveexec_b64 s[0:1], s[24:25]
	s_xor_b64 s[0:1], exec, s[0:1]
	s_cbranch_execnz .LBB110_983
.LBB110_988:
	s_or_b64 exec, exec, s[0:1]
	s_and_saveexec_b64 s[0:1], s[22:23]
	s_xor_b64 s[0:1], exec, s[0:1]
	s_cbranch_execz .LBB110_1026
.LBB110_989:
	s_sext_i32_i16 s20, s30
	s_cmp_lt_i32 s20, 5
	s_mov_b64 s[18:19], -1
	s_cbranch_scc1 .LBB110_1010
; %bb.990:
	s_cmp_lt_i32 s20, 8
	s_cbranch_scc1 .LBB110_1000
; %bb.991:
	s_cmp_lt_i32 s20, 9
	s_cbranch_scc1 .LBB110_997
; %bb.992:
	s_cmp_gt_i32 s20, 9
	s_cbranch_scc0 .LBB110_994
; %bb.993:
	v_cndmask_b32_e64 v2, 0, 1, s[4:5]
	s_waitcnt vmcnt(0)
	v_cvt_f64_u32_e32 v[2:3], v2
	v_mov_b32_e32 v4, 0
	v_mov_b32_e32 v5, v4
	s_mov_b64 s[18:19], 0
	global_store_dwordx4 v[0:1], v[2:5], off
.LBB110_994:
	s_andn2_b64 vcc, exec, s[18:19]
	s_cbranch_vccnz .LBB110_996
; %bb.995:
	v_cndmask_b32_e64 v2, 0, 1.0, s[4:5]
	s_waitcnt vmcnt(0)
	v_mov_b32_e32 v3, 0
	global_store_dwordx2 v[0:1], v[2:3], off
.LBB110_996:
	s_mov_b64 s[18:19], 0
.LBB110_997:
	s_andn2_b64 vcc, exec, s[18:19]
	s_cbranch_vccnz .LBB110_999
; %bb.998:
	v_cndmask_b32_e64 v2, 0, 1.0, s[4:5]
	v_cvt_f16_f32_e32 v2, v2
	global_store_dword v[0:1], v2, off
.LBB110_999:
	s_mov_b64 s[18:19], 0
.LBB110_1000:
	s_andn2_b64 vcc, exec, s[18:19]
	s_cbranch_vccnz .LBB110_1009
; %bb.1001:
	s_sext_i32_i16 s20, s30
	s_cmp_lt_i32 s20, 6
	s_mov_b64 s[18:19], -1
	s_cbranch_scc1 .LBB110_1007
; %bb.1002:
	s_cmp_gt_i32 s20, 6
	s_cbranch_scc0 .LBB110_1004
; %bb.1003:
	v_cndmask_b32_e64 v2, 0, 1, s[4:5]
	s_waitcnt vmcnt(0)
	v_cvt_f64_u32_e32 v[2:3], v2
	s_mov_b64 s[18:19], 0
	global_store_dwordx2 v[0:1], v[2:3], off
.LBB110_1004:
	s_andn2_b64 vcc, exec, s[18:19]
	s_cbranch_vccnz .LBB110_1006
; %bb.1005:
	v_cndmask_b32_e64 v2, 0, 1.0, s[4:5]
	global_store_dword v[0:1], v2, off
.LBB110_1006:
	s_mov_b64 s[18:19], 0
.LBB110_1007:
	s_andn2_b64 vcc, exec, s[18:19]
	s_cbranch_vccnz .LBB110_1009
; %bb.1008:
	v_cndmask_b32_e64 v2, 0, 1.0, s[4:5]
	v_cvt_f16_f32_e32 v2, v2
	global_store_short v[0:1], v2, off
.LBB110_1009:
	s_mov_b64 s[18:19], 0
.LBB110_1010:
	s_andn2_b64 vcc, exec, s[18:19]
	s_cbranch_vccnz .LBB110_1026
; %bb.1011:
	s_sext_i32_i16 s20, s30
	s_cmp_lt_i32 s20, 2
	s_mov_b64 s[18:19], -1
	s_cbranch_scc1 .LBB110_1021
; %bb.1012:
	s_cmp_lt_i32 s20, 3
	s_cbranch_scc1 .LBB110_1018
; %bb.1013:
	s_cmp_gt_i32 s20, 3
	s_cbranch_scc0 .LBB110_1015
; %bb.1014:
	s_mov_b32 s18, 0
	v_cndmask_b32_e64 v2, 0, 1, s[4:5]
	s_waitcnt vmcnt(0)
	v_mov_b32_e32 v3, s18
	s_mov_b64 s[18:19], 0
	global_store_dwordx2 v[0:1], v[2:3], off
.LBB110_1015:
	s_andn2_b64 vcc, exec, s[18:19]
	s_cbranch_vccnz .LBB110_1017
; %bb.1016:
	v_cndmask_b32_e64 v2, 0, 1, s[4:5]
	global_store_dword v[0:1], v2, off
.LBB110_1017:
	s_mov_b64 s[18:19], 0
.LBB110_1018:
	s_andn2_b64 vcc, exec, s[18:19]
	s_cbranch_vccnz .LBB110_1020
; %bb.1019:
	v_cndmask_b32_e64 v2, 0, 1, s[4:5]
	global_store_short v[0:1], v2, off
.LBB110_1020:
	s_mov_b64 s[18:19], 0
.LBB110_1021:
	s_andn2_b64 vcc, exec, s[18:19]
	s_cbranch_vccnz .LBB110_1026
; %bb.1022:
	s_sext_i32_i16 s20, s30
	s_mov_b64 s[18:19], -1
	s_cmp_gt_i32 s20, 0
	v_cndmask_b32_e64 v2, 0, 1, s[4:5]
	s_cbranch_scc0 .LBB110_1024
; %bb.1023:
	s_mov_b64 s[18:19], 0
	global_store_byte v[0:1], v2, off
.LBB110_1024:
	s_andn2_b64 vcc, exec, s[18:19]
	s_cbranch_vccnz .LBB110_1026
; %bb.1025:
	global_store_byte v[0:1], v2, off
.LBB110_1026:
	s_or_b64 exec, exec, s[0:1]
	s_and_b64 s[18:19], s[2:3], exec
                                        ; implicit-def: $vgpr2
.LBB110_1027:
	s_or_saveexec_b64 s[16:17], s[16:17]
	s_mov_b64 s[0:1], 0
                                        ; implicit-def: $sgpr2_sgpr3
                                        ; implicit-def: $sgpr26
                                        ; implicit-def: $vgpr0_vgpr1
	s_xor_b64 exec, exec, s[16:17]
	s_cbranch_execz .LBB110_1975
; %bb.1028:
	v_mul_lo_u32 v4, s13, v2
	v_mov_b32_e32 v1, s11
	s_and_b32 s24, 0xffff, s46
	s_cmp_lt_i32 s24, 11
	s_waitcnt vmcnt(0)
	v_ashrrev_i32_e32 v3, 31, v4
	v_add_co_u32_e32 v0, vcc, s10, v4
	v_addc_co_u32_e32 v1, vcc, v1, v3, vcc
	s_cbranch_scc1 .LBB110_1035
; %bb.1029:
	s_cmp_gt_i32 s24, 25
	s_mov_b64 s[2:3], 0
	s_cbranch_scc0 .LBB110_1037
; %bb.1030:
	s_cmp_gt_i32 s24, 28
	s_cbranch_scc0 .LBB110_1038
; %bb.1031:
	s_cmp_gt_i32 s24, 43
	;; [unrolled: 3-line block ×3, first 2 shown]
	s_cbranch_scc0 .LBB110_1040
; %bb.1033:
	s_cmp_eq_u32 s24, 46
	s_cbranch_scc0 .LBB110_1043
; %bb.1034:
	global_load_dword v3, v[0:1], off
	s_mov_b64 s[4:5], -1
	s_waitcnt vmcnt(0)
	v_lshlrev_b32_e32 v3, 16, v3
	s_branch .LBB110_1044
.LBB110_1035:
	s_mov_b64 s[4:5], 0
                                        ; implicit-def: $vgpr3
	s_mov_b64 s[20:21], s[18:19]
	s_cbranch_execnz .LBB110_1107
.LBB110_1036:
	s_andn2_b64 vcc, exec, s[4:5]
	s_cbranch_vccz .LBB110_1152
	s_branch .LBB110_1973
.LBB110_1037:
	s_mov_b64 s[4:5], 0
                                        ; implicit-def: $vgpr3
	s_cbranch_execnz .LBB110_1072
	s_branch .LBB110_1103
.LBB110_1038:
	s_mov_b64 s[6:7], -1
	s_mov_b64 s[4:5], 0
                                        ; implicit-def: $vgpr3
	s_branch .LBB110_1053
.LBB110_1039:
	s_mov_b64 s[4:5], 0
                                        ; implicit-def: $vgpr3
	s_cbranch_execnz .LBB110_1049
	s_branch .LBB110_1052
.LBB110_1040:
	s_mov_b64 s[6:7], -1
	s_mov_b64 s[4:5], 0
                                        ; implicit-def: $vgpr3
	s_branch .LBB110_1044
.LBB110_1041:
	s_andn2_saveexec_b64 s[26:27], s[26:27]
	s_cbranch_execz .LBB110_936
.LBB110_1042:
	v_add_f32_e32 v2, 0x46000000, v3
	v_and_b32_e32 v2, 0xff, v2
	v_cmp_ne_u32_e32 vcc, 0, v2
	s_andn2_b64 s[24:25], s[24:25], exec
	s_and_b64 s[28:29], vcc, exec
	s_or_b64 s[24:25], s[24:25], s[28:29]
	s_or_b64 exec, exec, s[26:27]
	v_mov_b32_e32 v4, 0
	s_and_saveexec_b64 s[26:27], s[24:25]
	s_cbranch_execnz .LBB110_937
	s_branch .LBB110_938
.LBB110_1043:
	s_mov_b64 s[0:1], -1
                                        ; implicit-def: $vgpr3
	s_mov_b64 s[4:5], 0
.LBB110_1044:
	s_and_b64 vcc, exec, s[6:7]
	s_cbranch_vccz .LBB110_1047
; %bb.1045:
	s_cmp_eq_u32 s24, 44
	s_cbranch_scc0 .LBB110_1048
; %bb.1046:
	global_load_ubyte v3, v[0:1], off
	s_movk_i32 s4, 0xff
	v_mov_b32_e32 v5, 0x7f800001
	v_mov_b32_e32 v6, 0x400000
	s_mov_b64 s[0:1], 0
	s_waitcnt vmcnt(0)
	v_lshlrev_b32_e32 v7, 23, v3
	v_cmp_ne_u32_e32 vcc, s4, v3
	v_cndmask_b32_e32 v5, v5, v7, vcc
	v_cmp_ne_u32_e32 vcc, 0, v3
	v_cndmask_b32_e32 v3, v6, v5, vcc
	s_mov_b64 s[4:5], -1
.LBB110_1047:
	s_branch .LBB110_1052
.LBB110_1048:
	s_mov_b64 s[0:1], -1
                                        ; implicit-def: $vgpr3
	s_branch .LBB110_1052
.LBB110_1049:
	s_cmp_eq_u32 s24, 29
	s_cbranch_scc0 .LBB110_1051
; %bb.1050:
	global_load_dwordx2 v[5:6], v[0:1], off
	s_mov_b64 s[0:1], 0
	s_mov_b64 s[4:5], -1
	s_mov_b64 s[6:7], 0
	s_waitcnt vmcnt(0)
	v_ffbh_u32_e32 v3, v6
	v_min_u32_e32 v3, 32, v3
	v_lshlrev_b64 v[5:6], v3, v[5:6]
	v_sub_u32_e32 v3, 32, v3
	v_min_u32_e32 v5, 1, v5
	v_or_b32_e32 v5, v6, v5
	v_cvt_f32_u32_e32 v5, v5
	v_ldexp_f32 v3, v5, v3
	s_branch .LBB110_1053
.LBB110_1051:
	s_mov_b64 s[0:1], -1
                                        ; implicit-def: $vgpr3
.LBB110_1052:
	s_mov_b64 s[6:7], 0
.LBB110_1053:
	s_and_b64 vcc, exec, s[6:7]
	s_cbranch_vccz .LBB110_1071
; %bb.1054:
	s_cmp_lt_i32 s24, 27
	s_cbranch_scc1 .LBB110_1057
; %bb.1055:
	s_cmp_gt_i32 s24, 27
	s_cbranch_scc0 .LBB110_1058
; %bb.1056:
	global_load_dword v3, v[0:1], off
	s_mov_b64 s[4:5], 0
	s_waitcnt vmcnt(0)
	v_cvt_f32_u32_e32 v3, v3
	s_branch .LBB110_1059
.LBB110_1057:
	s_mov_b64 s[4:5], -1
                                        ; implicit-def: $vgpr3
	s_branch .LBB110_1062
.LBB110_1058:
	s_mov_b64 s[4:5], -1
                                        ; implicit-def: $vgpr3
.LBB110_1059:
	s_andn2_b64 vcc, exec, s[4:5]
	s_cbranch_vccnz .LBB110_1061
; %bb.1060:
	global_load_ushort v3, v[0:1], off
	s_waitcnt vmcnt(0)
	v_cvt_f32_u32_e32 v3, v3
.LBB110_1061:
	s_mov_b64 s[4:5], 0
.LBB110_1062:
	s_andn2_b64 vcc, exec, s[4:5]
	s_cbranch_vccnz .LBB110_1070
; %bb.1063:
	global_load_ubyte v5, v[0:1], off
	s_movk_i32 s4, 0x7f
	s_waitcnt vmcnt(0)
	v_cmp_lt_i16_e32 vcc, s4, v5
	s_mov_b64 s[4:5], 0
	s_and_saveexec_b64 s[6:7], vcc
	s_xor_b64 s[6:7], exec, s[6:7]
	s_cbranch_execz .LBB110_1083
; %bb.1064:
	s_movk_i32 s4, 0x80
	v_cmp_eq_u16_e32 vcc, s4, v5
	s_mov_b64 s[4:5], -1
	s_and_saveexec_b64 s[20:21], vcc
; %bb.1065:
	s_xor_b64 s[4:5], exec, -1
; %bb.1066:
	s_or_b64 exec, exec, s[20:21]
	s_and_b64 s[4:5], s[4:5], exec
	s_or_saveexec_b64 s[6:7], s[6:7]
	v_mov_b32_e32 v3, 0x7f800001
	s_xor_b64 exec, exec, s[6:7]
	s_cbranch_execnz .LBB110_1084
.LBB110_1067:
	s_or_b64 exec, exec, s[6:7]
	s_and_saveexec_b64 s[6:7], s[4:5]
	s_cbranch_execz .LBB110_1069
.LBB110_1068:
	v_lshlrev_b32_e32 v3, 24, v5
	v_and_b32_e32 v5, 0xffff, v5
	v_and_b32_e32 v6, 7, v5
	v_ffbh_u32_e32 v8, v6
	v_min_u32_e32 v8, 32, v8
	v_subrev_u32_e32 v9, 28, v8
	v_bfe_u32 v7, v5, 3, 4
	v_lshlrev_b32_e32 v5, v9, v5
	v_sub_u32_e32 v8, 29, v8
	v_and_b32_e32 v5, 7, v5
	v_cmp_eq_u32_e32 vcc, 0, v7
	v_cndmask_b32_e32 v7, v7, v8, vcc
	v_cndmask_b32_e32 v5, v6, v5, vcc
	v_mov_b32_e32 v6, 0x3b800000
	v_lshlrev_b32_e32 v5, 20, v5
	v_and_b32_e32 v3, 0x80000000, v3
	v_lshl_add_u32 v6, v7, 23, v6
	v_or3_b32 v3, v3, v6, v5
.LBB110_1069:
	s_or_b64 exec, exec, s[6:7]
.LBB110_1070:
	s_mov_b64 s[4:5], -1
.LBB110_1071:
	s_branch .LBB110_1103
.LBB110_1072:
	s_cmp_gt_i32 s24, 22
	s_cbranch_scc0 .LBB110_1082
; %bb.1073:
	s_cmp_lt_i32 s24, 24
	s_cbranch_scc1 .LBB110_1085
; %bb.1074:
	s_cmp_gt_i32 s24, 24
	s_cbranch_scc0 .LBB110_1086
; %bb.1075:
	global_load_ubyte v5, v[0:1], off
	s_movk_i32 s2, 0x7f
	s_waitcnt vmcnt(0)
	v_cmp_lt_i16_e32 vcc, s2, v5
	s_mov_b64 s[2:3], 0
	s_and_saveexec_b64 s[4:5], vcc
	s_xor_b64 s[4:5], exec, s[4:5]
	s_cbranch_execz .LBB110_1097
; %bb.1076:
	s_movk_i32 s2, 0x80
	v_cmp_eq_u16_e32 vcc, s2, v5
	s_mov_b64 s[2:3], -1
	s_and_saveexec_b64 s[6:7], vcc
; %bb.1077:
	s_xor_b64 s[2:3], exec, -1
; %bb.1078:
	s_or_b64 exec, exec, s[6:7]
	s_and_b64 s[2:3], s[2:3], exec
	s_or_saveexec_b64 s[4:5], s[4:5]
	v_mov_b32_e32 v3, 0x7f800001
	s_xor_b64 exec, exec, s[4:5]
	s_cbranch_execnz .LBB110_1098
.LBB110_1079:
	s_or_b64 exec, exec, s[4:5]
	s_and_saveexec_b64 s[4:5], s[2:3]
	s_cbranch_execz .LBB110_1081
.LBB110_1080:
	v_lshlrev_b32_e32 v3, 24, v5
	v_and_b32_e32 v5, 0xffff, v5
	v_and_b32_e32 v6, 3, v5
	v_ffbh_u32_e32 v8, v6
	v_min_u32_e32 v8, 32, v8
	v_subrev_u32_e32 v9, 29, v8
	v_bfe_u32 v7, v5, 2, 5
	v_lshlrev_b32_e32 v5, v9, v5
	v_sub_u32_e32 v8, 30, v8
	v_and_b32_e32 v5, 3, v5
	v_cmp_eq_u32_e32 vcc, 0, v7
	v_cndmask_b32_e32 v7, v7, v8, vcc
	v_cndmask_b32_e32 v5, v6, v5, vcc
	v_mov_b32_e32 v6, 0x37800000
	v_lshlrev_b32_e32 v5, 21, v5
	v_and_b32_e32 v3, 0x80000000, v3
	v_lshl_add_u32 v6, v7, 23, v6
	v_or3_b32 v3, v3, v6, v5
.LBB110_1081:
	s_or_b64 exec, exec, s[4:5]
	s_mov_b64 s[2:3], 0
	s_branch .LBB110_1087
.LBB110_1082:
                                        ; implicit-def: $vgpr3
	s_mov_b64 s[2:3], 0
	s_branch .LBB110_1093
.LBB110_1083:
	s_or_saveexec_b64 s[6:7], s[6:7]
	v_mov_b32_e32 v3, 0x7f800001
	s_xor_b64 exec, exec, s[6:7]
	s_cbranch_execz .LBB110_1067
.LBB110_1084:
	v_cmp_ne_u16_e32 vcc, 0, v5
	s_andn2_b64 s[4:5], s[4:5], exec
	s_and_b64 s[20:21], vcc, exec
	v_mov_b32_e32 v3, 0
	s_or_b64 s[4:5], s[4:5], s[20:21]
	s_or_b64 exec, exec, s[6:7]
	s_and_saveexec_b64 s[6:7], s[4:5]
	s_cbranch_execnz .LBB110_1068
	s_branch .LBB110_1069
.LBB110_1085:
	s_mov_b64 s[2:3], -1
                                        ; implicit-def: $vgpr3
	s_branch .LBB110_1090
.LBB110_1086:
	s_mov_b64 s[2:3], -1
                                        ; implicit-def: $vgpr3
.LBB110_1087:
	s_and_b64 vcc, exec, s[2:3]
	s_cbranch_vccz .LBB110_1089
; %bb.1088:
	global_load_ubyte v3, v[0:1], off
	s_mov_b32 s2, 0x7f800000
	s_waitcnt vmcnt(0)
	v_lshlrev_b32_e32 v3, 24, v3
	v_and_b32_e32 v5, 0x7f000000, v3
	v_ffbh_u32_e32 v6, v5
	v_min_u32_e32 v6, 32, v6
	v_sub_u32_e64 v6, v6, 4 clamp
	v_lshlrev_b32_e32 v8, v6, v5
	v_lshlrev_b32_e32 v6, 23, v6
	v_lshrrev_b32_e32 v8, 4, v8
	v_add_u32_e32 v7, 0x1000000, v5
	v_sub_u32_e32 v6, v8, v6
	v_ashrrev_i32_e32 v7, 8, v7
	v_add_u32_e32 v6, 0x3c000000, v6
	v_and_or_b32 v6, v7, s2, v6
	v_cmp_ne_u32_e32 vcc, 0, v5
	v_cndmask_b32_e32 v5, 0, v6, vcc
	s_brev_b32 s2, 1
	v_and_or_b32 v3, v3, s2, v5
.LBB110_1089:
	s_mov_b64 s[2:3], 0
.LBB110_1090:
	s_andn2_b64 vcc, exec, s[2:3]
	s_cbranch_vccnz .LBB110_1092
; %bb.1091:
	global_load_ubyte v3, v[0:1], off
	s_movk_i32 s2, 0x7f00
	s_brev_b32 s3, 16
	s_waitcnt vmcnt(0)
	v_lshlrev_b16_e32 v5, 8, v3
	v_lshlrev_b32_e32 v3, 25, v3
	v_lshrrev_b32_e32 v6, 4, v3
	v_and_or_b32 v7, v5, s2, 0.5
	v_or_b32_e32 v6, 0x70000000, v6
	v_add_f32_e32 v7, -0.5, v7
	v_mul_f32_e32 v6, 0x7800000, v6
	v_cmp_gt_u32_e32 vcc, s3, v3
	v_bfe_i32 v5, v5, 0, 16
	v_cndmask_b32_e32 v3, v6, v7, vcc
	s_brev_b32 s2, 1
	v_and_or_b32 v3, v5, s2, v3
.LBB110_1092:
	s_mov_b64 s[4:5], -1
	s_mov_b64 s[2:3], 0
	s_cbranch_execnz .LBB110_1103
.LBB110_1093:
	s_cmp_gt_i32 s24, 14
	s_cbranch_scc0 .LBB110_1096
; %bb.1094:
	s_cmp_eq_u32 s24, 15
	s_cbranch_scc0 .LBB110_1099
; %bb.1095:
	global_load_ushort v3, v[0:1], off
	s_mov_b64 s[0:1], 0
	s_mov_b64 s[4:5], -1
	s_waitcnt vmcnt(0)
	v_lshlrev_b32_e32 v3, 16, v3
	s_branch .LBB110_1100
.LBB110_1096:
	s_mov_b64 s[6:7], -1
                                        ; implicit-def: $vgpr3
	s_branch .LBB110_1101
.LBB110_1097:
	s_or_saveexec_b64 s[4:5], s[4:5]
	v_mov_b32_e32 v3, 0x7f800001
	s_xor_b64 exec, exec, s[4:5]
	s_cbranch_execz .LBB110_1079
.LBB110_1098:
	v_cmp_ne_u16_e32 vcc, 0, v5
	s_andn2_b64 s[2:3], s[2:3], exec
	s_and_b64 s[6:7], vcc, exec
	v_mov_b32_e32 v3, 0
	s_or_b64 s[2:3], s[2:3], s[6:7]
	s_or_b64 exec, exec, s[4:5]
	s_and_saveexec_b64 s[4:5], s[2:3]
	s_cbranch_execnz .LBB110_1080
	s_branch .LBB110_1081
.LBB110_1099:
	s_mov_b64 s[0:1], -1
                                        ; implicit-def: $vgpr3
.LBB110_1100:
	s_mov_b64 s[6:7], 0
.LBB110_1101:
	s_and_b64 vcc, exec, s[6:7]
	s_cbranch_vccz .LBB110_1103
; %bb.1102:
	s_cmp_lg_u32 s24, 11
	s_mov_b64 s[2:3], -1
	s_cselect_b64 s[0:1], -1, 0
.LBB110_1103:
	s_and_b64 vcc, exec, s[0:1]
	s_mov_b64 s[20:21], s[18:19]
	s_cbranch_vccnz .LBB110_1164
; %bb.1104:
	s_andn2_b64 vcc, exec, s[2:3]
	s_cbranch_vccnz .LBB110_1106
.LBB110_1105:
	global_load_ubyte v3, v[0:1], off
	s_mov_b64 s[4:5], -1
	s_waitcnt vmcnt(0)
	v_cmp_ne_u16_e32 vcc, 0, v3
	v_cndmask_b32_e64 v3, 0, 1.0, vcc
.LBB110_1106:
	s_branch .LBB110_1036
.LBB110_1107:
	s_cmp_lt_i32 s24, 5
	s_cbranch_scc1 .LBB110_1112
; %bb.1108:
	s_cmp_lt_i32 s24, 8
	s_cbranch_scc1 .LBB110_1113
; %bb.1109:
	s_cmp_lt_i32 s24, 9
	s_cbranch_scc1 .LBB110_1114
; %bb.1110:
	s_cmp_gt_i32 s24, 9
	s_cbranch_scc0 .LBB110_1115
; %bb.1111:
	global_load_dwordx2 v[5:6], v[0:1], off
	s_mov_b64 s[0:1], 0
	s_waitcnt vmcnt(0)
	v_cvt_f32_f64_e32 v3, v[5:6]
	s_branch .LBB110_1116
.LBB110_1112:
                                        ; implicit-def: $vgpr3
	s_branch .LBB110_1133
.LBB110_1113:
                                        ; implicit-def: $vgpr3
	s_branch .LBB110_1122
.LBB110_1114:
	s_mov_b64 s[0:1], -1
                                        ; implicit-def: $vgpr3
	s_branch .LBB110_1119
.LBB110_1115:
	s_mov_b64 s[0:1], -1
                                        ; implicit-def: $vgpr3
.LBB110_1116:
	s_andn2_b64 vcc, exec, s[0:1]
	s_cbranch_vccnz .LBB110_1118
; %bb.1117:
	global_load_dword v3, v[0:1], off
.LBB110_1118:
	s_mov_b64 s[0:1], 0
.LBB110_1119:
	s_andn2_b64 vcc, exec, s[0:1]
	s_cbranch_vccnz .LBB110_1121
; %bb.1120:
	global_load_dword v3, v[0:1], off
	s_waitcnt vmcnt(0)
	v_cvt_f32_f16_e32 v3, v3
.LBB110_1121:
	s_cbranch_execnz .LBB110_1132
.LBB110_1122:
	s_cmp_lt_i32 s24, 6
	s_cbranch_scc1 .LBB110_1125
; %bb.1123:
	s_cmp_gt_i32 s24, 6
	s_cbranch_scc0 .LBB110_1126
; %bb.1124:
	global_load_dwordx2 v[5:6], v[0:1], off
	s_mov_b64 s[0:1], 0
	s_waitcnt vmcnt(0)
	v_cvt_f32_f64_e32 v3, v[5:6]
	s_branch .LBB110_1127
.LBB110_1125:
	s_mov_b64 s[0:1], -1
                                        ; implicit-def: $vgpr3
	s_branch .LBB110_1130
.LBB110_1126:
	s_mov_b64 s[0:1], -1
                                        ; implicit-def: $vgpr3
.LBB110_1127:
	s_andn2_b64 vcc, exec, s[0:1]
	s_cbranch_vccnz .LBB110_1129
; %bb.1128:
	global_load_dword v3, v[0:1], off
.LBB110_1129:
	s_mov_b64 s[0:1], 0
.LBB110_1130:
	s_andn2_b64 vcc, exec, s[0:1]
	s_cbranch_vccnz .LBB110_1132
; %bb.1131:
	global_load_ushort v3, v[0:1], off
	s_waitcnt vmcnt(0)
	v_cvt_f32_f16_e32 v3, v3
.LBB110_1132:
	s_cbranch_execnz .LBB110_1151
.LBB110_1133:
	s_cmp_lt_i32 s24, 2
	s_cbranch_scc1 .LBB110_1137
; %bb.1134:
	s_cmp_lt_i32 s24, 3
	s_cbranch_scc1 .LBB110_1138
; %bb.1135:
	s_cmp_gt_i32 s24, 3
	s_cbranch_scc0 .LBB110_1139
; %bb.1136:
	global_load_dwordx2 v[5:6], v[0:1], off
	s_mov_b64 s[0:1], 0
	s_waitcnt vmcnt(0)
	v_xor_b32_e32 v7, v5, v6
	v_ffbh_i32_e32 v3, v6
	v_ashrrev_i32_e32 v7, 31, v7
	v_add_u32_e32 v3, -1, v3
	v_add_u32_e32 v7, 32, v7
	v_min_u32_e32 v3, v3, v7
	v_lshlrev_b64 v[5:6], v3, v[5:6]
	v_sub_u32_e32 v3, 32, v3
	v_min_u32_e32 v5, 1, v5
	v_or_b32_e32 v5, v6, v5
	v_cvt_f32_i32_e32 v5, v5
	v_ldexp_f32 v3, v5, v3
	s_branch .LBB110_1140
.LBB110_1137:
                                        ; implicit-def: $vgpr3
	s_branch .LBB110_1146
.LBB110_1138:
	s_mov_b64 s[0:1], -1
                                        ; implicit-def: $vgpr3
	s_branch .LBB110_1143
.LBB110_1139:
	s_mov_b64 s[0:1], -1
                                        ; implicit-def: $vgpr3
.LBB110_1140:
	s_andn2_b64 vcc, exec, s[0:1]
	s_cbranch_vccnz .LBB110_1142
; %bb.1141:
	global_load_dword v3, v[0:1], off
	s_waitcnt vmcnt(0)
	v_cvt_f32_i32_e32 v3, v3
.LBB110_1142:
	s_mov_b64 s[0:1], 0
.LBB110_1143:
	s_andn2_b64 vcc, exec, s[0:1]
	s_cbranch_vccnz .LBB110_1145
; %bb.1144:
	global_load_sshort v3, v[0:1], off
	s_waitcnt vmcnt(0)
	v_cvt_f32_i32_e32 v3, v3
.LBB110_1145:
	s_cbranch_execnz .LBB110_1151
.LBB110_1146:
	s_cmp_gt_i32 s24, 0
	s_cbranch_scc0 .LBB110_1148
; %bb.1147:
	global_load_sbyte v3, v[0:1], off
	s_mov_b64 s[0:1], 0
	s_waitcnt vmcnt(0)
	v_cvt_f32_i32_e32 v3, v3
	s_branch .LBB110_1149
.LBB110_1148:
	s_mov_b64 s[0:1], -1
                                        ; implicit-def: $vgpr3
.LBB110_1149:
	s_andn2_b64 vcc, exec, s[0:1]
	s_cbranch_vccnz .LBB110_1151
; %bb.1150:
	global_load_ubyte v0, v[0:1], off
	s_waitcnt vmcnt(0)
	v_cvt_f32_ubyte0_e32 v3, v0
.LBB110_1151:
.LBB110_1152:
	s_lshl_b32 s13, s13, 7
	v_add_u32_e32 v5, s13, v4
	v_ashrrev_i32_e32 v1, 31, v5
	v_mov_b32_e32 v4, s11
	v_add_co_u32_e32 v0, vcc, s10, v5
	s_cmp_lt_i32 s24, 11
	v_addc_co_u32_e32 v1, vcc, v4, v1, vcc
	s_cbranch_scc1 .LBB110_1159
; %bb.1153:
	s_cmp_gt_i32 s24, 25
	s_mov_b64 s[2:3], 0
	s_cbranch_scc0 .LBB110_1161
; %bb.1154:
	s_cmp_gt_i32 s24, 28
	s_cbranch_scc0 .LBB110_1162
; %bb.1155:
	s_cmp_gt_i32 s24, 43
	;; [unrolled: 3-line block ×3, first 2 shown]
	s_cbranch_scc0 .LBB110_1165
; %bb.1157:
	s_cmp_eq_u32 s24, 46
	s_mov_b64 s[6:7], 0
	s_cbranch_scc0 .LBB110_1168
; %bb.1158:
	global_load_dword v4, v[0:1], off
	s_mov_b64 s[0:1], 0
	s_mov_b64 s[4:5], -1
	s_waitcnt vmcnt(0)
	v_lshlrev_b32_e32 v4, 16, v4
	s_branch .LBB110_1169
.LBB110_1159:
	s_mov_b64 s[4:5], 0
                                        ; implicit-def: $vgpr4
	s_cbranch_execnz .LBB110_1234
.LBB110_1160:
	s_andn2_b64 vcc, exec, s[4:5]
	s_cbranch_vccnz .LBB110_1973
	s_branch .LBB110_1281
.LBB110_1161:
	s_mov_b64 s[4:5], 0
	s_mov_b64 s[0:1], 0
                                        ; implicit-def: $vgpr4
	s_cbranch_execnz .LBB110_1198
	s_branch .LBB110_1230
.LBB110_1162:
	s_mov_b64 s[6:7], -1
	s_mov_b64 s[4:5], 0
	s_mov_b64 s[0:1], 0
                                        ; implicit-def: $vgpr4
	s_branch .LBB110_1179
.LBB110_1163:
	s_mov_b64 s[6:7], -1
	s_mov_b64 s[4:5], 0
	s_mov_b64 s[0:1], 0
                                        ; implicit-def: $vgpr4
	s_branch .LBB110_1174
.LBB110_1164:
	s_or_b64 s[20:21], s[18:19], exec
	s_trap 2
	s_cbranch_execz .LBB110_1105
	s_branch .LBB110_1106
.LBB110_1165:
	s_mov_b64 s[6:7], -1
	s_mov_b64 s[4:5], 0
	s_mov_b64 s[0:1], 0
                                        ; implicit-def: $vgpr4
	s_branch .LBB110_1169
.LBB110_1166:
	s_andn2_saveexec_b64 s[28:29], s[28:29]
	s_cbranch_execz .LBB110_948
.LBB110_1167:
	v_add_f32_e32 v2, 0x42800000, v3
	v_and_b32_e32 v2, 0xff, v2
	v_cmp_ne_u32_e32 vcc, 0, v2
	s_andn2_b64 s[26:27], s[26:27], exec
	s_and_b64 s[34:35], vcc, exec
	s_or_b64 s[26:27], s[26:27], s[34:35]
	s_or_b64 exec, exec, s[28:29]
	v_mov_b32_e32 v4, 0
	s_and_saveexec_b64 s[28:29], s[26:27]
	s_cbranch_execnz .LBB110_949
	s_branch .LBB110_950
.LBB110_1168:
	s_mov_b64 s[0:1], -1
                                        ; implicit-def: $vgpr4
	s_mov_b64 s[4:5], 0
.LBB110_1169:
	s_and_b64 vcc, exec, s[6:7]
	s_cbranch_vccz .LBB110_1173
; %bb.1170:
	s_cmp_eq_u32 s24, 44
	s_cbranch_scc0 .LBB110_1172
; %bb.1171:
	global_load_ubyte v4, v[0:1], off
	s_movk_i32 s4, 0xff
	v_mov_b32_e32 v6, 0x7f800001
	v_mov_b32_e32 v7, 0x400000
	s_mov_b64 s[0:1], 0
	s_waitcnt vmcnt(0)
	v_lshlrev_b32_e32 v8, 23, v4
	v_cmp_ne_u32_e32 vcc, s4, v4
	v_cndmask_b32_e32 v6, v6, v8, vcc
	v_cmp_ne_u32_e32 vcc, 0, v4
	v_cndmask_b32_e32 v4, v7, v6, vcc
	s_mov_b64 s[4:5], -1
	s_branch .LBB110_1173
.LBB110_1172:
	s_mov_b64 s[0:1], -1
                                        ; implicit-def: $vgpr4
.LBB110_1173:
	s_mov_b64 s[6:7], 0
.LBB110_1174:
	s_and_b64 vcc, exec, s[6:7]
	s_cbranch_vccz .LBB110_1178
; %bb.1175:
	s_cmp_eq_u32 s24, 29
	s_cbranch_scc0 .LBB110_1177
; %bb.1176:
	global_load_dwordx2 v[6:7], v[0:1], off
	s_mov_b64 s[0:1], 0
	s_mov_b64 s[4:5], -1
	s_mov_b64 s[6:7], 0
	s_waitcnt vmcnt(0)
	v_ffbh_u32_e32 v4, v7
	v_min_u32_e32 v4, 32, v4
	v_lshlrev_b64 v[6:7], v4, v[6:7]
	v_sub_u32_e32 v4, 32, v4
	v_min_u32_e32 v6, 1, v6
	v_or_b32_e32 v6, v7, v6
	v_cvt_f32_u32_e32 v6, v6
	v_ldexp_f32 v4, v6, v4
	s_branch .LBB110_1179
.LBB110_1177:
	s_mov_b64 s[0:1], -1
                                        ; implicit-def: $vgpr4
.LBB110_1178:
	s_mov_b64 s[6:7], 0
.LBB110_1179:
	s_and_b64 vcc, exec, s[6:7]
	s_cbranch_vccz .LBB110_1197
; %bb.1180:
	s_cmp_lt_i32 s24, 27
	s_cbranch_scc1 .LBB110_1183
; %bb.1181:
	s_cmp_gt_i32 s24, 27
	s_cbranch_scc0 .LBB110_1184
; %bb.1182:
	global_load_dword v4, v[0:1], off
	s_mov_b64 s[4:5], 0
	s_waitcnt vmcnt(0)
	v_cvt_f32_u32_e32 v4, v4
	s_branch .LBB110_1185
.LBB110_1183:
	s_mov_b64 s[4:5], -1
                                        ; implicit-def: $vgpr4
	s_branch .LBB110_1188
.LBB110_1184:
	s_mov_b64 s[4:5], -1
                                        ; implicit-def: $vgpr4
.LBB110_1185:
	s_andn2_b64 vcc, exec, s[4:5]
	s_cbranch_vccnz .LBB110_1187
; %bb.1186:
	global_load_ushort v4, v[0:1], off
	s_waitcnt vmcnt(0)
	v_cvt_f32_u32_e32 v4, v4
.LBB110_1187:
	s_mov_b64 s[4:5], 0
.LBB110_1188:
	s_andn2_b64 vcc, exec, s[4:5]
	s_cbranch_vccnz .LBB110_1196
; %bb.1189:
	global_load_ubyte v6, v[0:1], off
	s_movk_i32 s4, 0x7f
	s_waitcnt vmcnt(0)
	v_cmp_lt_i16_e32 vcc, s4, v6
	s_mov_b64 s[4:5], 0
	s_and_saveexec_b64 s[6:7], vcc
	s_xor_b64 s[6:7], exec, s[6:7]
	s_cbranch_execz .LBB110_1209
; %bb.1190:
	s_movk_i32 s4, 0x80
	v_cmp_eq_u16_e32 vcc, s4, v6
	s_mov_b64 s[4:5], -1
	s_and_saveexec_b64 s[22:23], vcc
; %bb.1191:
	s_xor_b64 s[4:5], exec, -1
; %bb.1192:
	s_or_b64 exec, exec, s[22:23]
	s_and_b64 s[4:5], s[4:5], exec
	s_or_saveexec_b64 s[6:7], s[6:7]
	v_mov_b32_e32 v4, 0x7f800001
	s_xor_b64 exec, exec, s[6:7]
	s_cbranch_execnz .LBB110_1210
.LBB110_1193:
	s_or_b64 exec, exec, s[6:7]
	s_and_saveexec_b64 s[6:7], s[4:5]
	s_cbranch_execz .LBB110_1195
.LBB110_1194:
	v_lshlrev_b32_e32 v4, 24, v6
	v_and_b32_e32 v6, 0xffff, v6
	v_and_b32_e32 v7, 7, v6
	v_ffbh_u32_e32 v9, v7
	v_min_u32_e32 v9, 32, v9
	v_subrev_u32_e32 v10, 28, v9
	v_bfe_u32 v8, v6, 3, 4
	v_lshlrev_b32_e32 v6, v10, v6
	v_sub_u32_e32 v9, 29, v9
	v_and_b32_e32 v6, 7, v6
	v_cmp_eq_u32_e32 vcc, 0, v8
	v_cndmask_b32_e32 v8, v8, v9, vcc
	v_cndmask_b32_e32 v6, v7, v6, vcc
	v_mov_b32_e32 v7, 0x3b800000
	v_lshlrev_b32_e32 v6, 20, v6
	v_and_b32_e32 v4, 0x80000000, v4
	v_lshl_add_u32 v7, v8, 23, v7
	v_or3_b32 v4, v4, v7, v6
.LBB110_1195:
	s_or_b64 exec, exec, s[6:7]
.LBB110_1196:
	s_mov_b64 s[4:5], -1
.LBB110_1197:
	s_branch .LBB110_1230
.LBB110_1198:
	s_cmp_gt_i32 s24, 22
	s_cbranch_scc0 .LBB110_1208
; %bb.1199:
	s_cmp_lt_i32 s24, 24
	s_cbranch_scc1 .LBB110_1211
; %bb.1200:
	s_cmp_gt_i32 s24, 24
	s_cbranch_scc0 .LBB110_1212
; %bb.1201:
	global_load_ubyte v6, v[0:1], off
	s_movk_i32 s2, 0x7f
	s_waitcnt vmcnt(0)
	v_cmp_lt_i16_e32 vcc, s2, v6
	s_mov_b64 s[2:3], 0
	s_and_saveexec_b64 s[4:5], vcc
	s_xor_b64 s[4:5], exec, s[4:5]
	s_cbranch_execz .LBB110_1224
; %bb.1202:
	s_movk_i32 s2, 0x80
	v_cmp_eq_u16_e32 vcc, s2, v6
	s_mov_b64 s[2:3], -1
	s_and_saveexec_b64 s[6:7], vcc
; %bb.1203:
	s_xor_b64 s[2:3], exec, -1
; %bb.1204:
	s_or_b64 exec, exec, s[6:7]
	s_and_b64 s[2:3], s[2:3], exec
	s_or_saveexec_b64 s[4:5], s[4:5]
	v_mov_b32_e32 v4, 0x7f800001
	s_xor_b64 exec, exec, s[4:5]
	s_cbranch_execnz .LBB110_1225
.LBB110_1205:
	s_or_b64 exec, exec, s[4:5]
	s_and_saveexec_b64 s[4:5], s[2:3]
	s_cbranch_execz .LBB110_1207
.LBB110_1206:
	v_lshlrev_b32_e32 v4, 24, v6
	v_and_b32_e32 v6, 0xffff, v6
	v_and_b32_e32 v7, 3, v6
	v_ffbh_u32_e32 v9, v7
	v_min_u32_e32 v9, 32, v9
	v_subrev_u32_e32 v10, 29, v9
	v_bfe_u32 v8, v6, 2, 5
	v_lshlrev_b32_e32 v6, v10, v6
	v_sub_u32_e32 v9, 30, v9
	v_and_b32_e32 v6, 3, v6
	v_cmp_eq_u32_e32 vcc, 0, v8
	v_cndmask_b32_e32 v8, v8, v9, vcc
	v_cndmask_b32_e32 v6, v7, v6, vcc
	v_mov_b32_e32 v7, 0x37800000
	v_lshlrev_b32_e32 v6, 21, v6
	v_and_b32_e32 v4, 0x80000000, v4
	v_lshl_add_u32 v7, v8, 23, v7
	v_or3_b32 v4, v4, v7, v6
.LBB110_1207:
	s_or_b64 exec, exec, s[4:5]
	s_mov_b64 s[2:3], 0
	s_branch .LBB110_1213
.LBB110_1208:
	s_mov_b64 s[2:3], -1
                                        ; implicit-def: $vgpr4
	s_branch .LBB110_1219
.LBB110_1209:
	s_or_saveexec_b64 s[6:7], s[6:7]
	v_mov_b32_e32 v4, 0x7f800001
	s_xor_b64 exec, exec, s[6:7]
	s_cbranch_execz .LBB110_1193
.LBB110_1210:
	v_cmp_ne_u16_e32 vcc, 0, v6
	s_andn2_b64 s[4:5], s[4:5], exec
	s_and_b64 s[22:23], vcc, exec
	v_mov_b32_e32 v4, 0
	s_or_b64 s[4:5], s[4:5], s[22:23]
	s_or_b64 exec, exec, s[6:7]
	s_and_saveexec_b64 s[6:7], s[4:5]
	s_cbranch_execnz .LBB110_1194
	s_branch .LBB110_1195
.LBB110_1211:
	s_mov_b64 s[2:3], -1
                                        ; implicit-def: $vgpr4
	s_branch .LBB110_1216
.LBB110_1212:
	s_mov_b64 s[2:3], -1
                                        ; implicit-def: $vgpr4
.LBB110_1213:
	s_and_b64 vcc, exec, s[2:3]
	s_cbranch_vccz .LBB110_1215
; %bb.1214:
	global_load_ubyte v4, v[0:1], off
	s_mov_b32 s2, 0x7f800000
	s_waitcnt vmcnt(0)
	v_lshlrev_b32_e32 v4, 24, v4
	v_and_b32_e32 v6, 0x7f000000, v4
	v_ffbh_u32_e32 v7, v6
	v_min_u32_e32 v7, 32, v7
	v_sub_u32_e64 v7, v7, 4 clamp
	v_lshlrev_b32_e32 v9, v7, v6
	v_lshlrev_b32_e32 v7, 23, v7
	v_lshrrev_b32_e32 v9, 4, v9
	v_add_u32_e32 v8, 0x1000000, v6
	v_sub_u32_e32 v7, v9, v7
	v_ashrrev_i32_e32 v8, 8, v8
	v_add_u32_e32 v7, 0x3c000000, v7
	v_and_or_b32 v7, v8, s2, v7
	v_cmp_ne_u32_e32 vcc, 0, v6
	v_cndmask_b32_e32 v6, 0, v7, vcc
	s_brev_b32 s2, 1
	v_and_or_b32 v4, v4, s2, v6
.LBB110_1215:
	s_mov_b64 s[2:3], 0
.LBB110_1216:
	s_andn2_b64 vcc, exec, s[2:3]
	s_cbranch_vccnz .LBB110_1218
; %bb.1217:
	global_load_ubyte v4, v[0:1], off
	s_movk_i32 s2, 0x7f00
	s_brev_b32 s3, 16
	s_waitcnt vmcnt(0)
	v_lshlrev_b16_e32 v6, 8, v4
	v_lshlrev_b32_e32 v4, 25, v4
	v_lshrrev_b32_e32 v7, 4, v4
	v_and_or_b32 v8, v6, s2, 0.5
	v_or_b32_e32 v7, 0x70000000, v7
	v_add_f32_e32 v8, -0.5, v8
	v_mul_f32_e32 v7, 0x7800000, v7
	v_cmp_gt_u32_e32 vcc, s3, v4
	v_bfe_i32 v6, v6, 0, 16
	v_cndmask_b32_e32 v4, v7, v8, vcc
	s_brev_b32 s2, 1
	v_and_or_b32 v4, v6, s2, v4
.LBB110_1218:
	s_mov_b64 s[2:3], 0
	s_mov_b64 s[4:5], -1
.LBB110_1219:
	s_andn2_b64 vcc, exec, s[2:3]
	s_mov_b64 s[2:3], 0
	s_cbranch_vccnz .LBB110_1230
; %bb.1220:
	s_cmp_gt_i32 s24, 14
	s_cbranch_scc0 .LBB110_1223
; %bb.1221:
	s_cmp_eq_u32 s24, 15
	s_cbranch_scc0 .LBB110_1226
; %bb.1222:
	global_load_ushort v4, v[0:1], off
	s_mov_b64 s[0:1], 0
	s_mov_b64 s[4:5], -1
	s_waitcnt vmcnt(0)
	v_lshlrev_b32_e32 v4, 16, v4
	s_branch .LBB110_1227
.LBB110_1223:
	s_mov_b64 s[6:7], -1
                                        ; implicit-def: $vgpr4
	s_branch .LBB110_1228
.LBB110_1224:
	s_or_saveexec_b64 s[4:5], s[4:5]
	v_mov_b32_e32 v4, 0x7f800001
	s_xor_b64 exec, exec, s[4:5]
	s_cbranch_execz .LBB110_1205
.LBB110_1225:
	v_cmp_ne_u16_e32 vcc, 0, v6
	s_andn2_b64 s[2:3], s[2:3], exec
	s_and_b64 s[6:7], vcc, exec
	v_mov_b32_e32 v4, 0
	s_or_b64 s[2:3], s[2:3], s[6:7]
	s_or_b64 exec, exec, s[4:5]
	s_and_saveexec_b64 s[4:5], s[2:3]
	s_cbranch_execnz .LBB110_1206
	s_branch .LBB110_1207
.LBB110_1226:
	s_mov_b64 s[0:1], -1
                                        ; implicit-def: $vgpr4
.LBB110_1227:
	s_mov_b64 s[6:7], 0
.LBB110_1228:
	s_and_b64 vcc, exec, s[6:7]
	s_cbranch_vccz .LBB110_1230
; %bb.1229:
	s_cmp_lg_u32 s24, 11
	s_mov_b64 s[2:3], -1
	s_cselect_b64 s[0:1], -1, 0
.LBB110_1230:
	s_and_b64 vcc, exec, s[0:1]
	s_cbranch_vccnz .LBB110_1293
; %bb.1231:
	s_andn2_b64 vcc, exec, s[2:3]
	s_cbranch_vccnz .LBB110_1233
.LBB110_1232:
	global_load_ubyte v4, v[0:1], off
	s_mov_b64 s[4:5], -1
	s_waitcnt vmcnt(0)
	v_cmp_ne_u16_e32 vcc, 0, v4
	v_cndmask_b32_e64 v4, 0, 1.0, vcc
.LBB110_1233:
	s_branch .LBB110_1160
.LBB110_1234:
	s_cmp_lt_i32 s24, 5
	s_cbranch_scc1 .LBB110_1239
; %bb.1235:
	s_cmp_lt_i32 s24, 8
	s_cbranch_scc1 .LBB110_1240
; %bb.1236:
	;; [unrolled: 3-line block ×3, first 2 shown]
	s_cmp_gt_i32 s24, 9
	s_cbranch_scc0 .LBB110_1242
; %bb.1238:
	global_load_dwordx2 v[6:7], v[0:1], off
	s_mov_b64 s[0:1], 0
	s_waitcnt vmcnt(0)
	v_cvt_f32_f64_e32 v4, v[6:7]
	s_branch .LBB110_1243
.LBB110_1239:
                                        ; implicit-def: $vgpr4
	s_branch .LBB110_1261
.LBB110_1240:
	s_mov_b64 s[0:1], -1
                                        ; implicit-def: $vgpr4
	s_branch .LBB110_1249
.LBB110_1241:
	s_mov_b64 s[0:1], -1
                                        ; implicit-def: $vgpr4
	s_branch .LBB110_1246
.LBB110_1242:
	s_mov_b64 s[0:1], -1
                                        ; implicit-def: $vgpr4
.LBB110_1243:
	s_andn2_b64 vcc, exec, s[0:1]
	s_cbranch_vccnz .LBB110_1245
; %bb.1244:
	global_load_dword v4, v[0:1], off
.LBB110_1245:
	s_mov_b64 s[0:1], 0
.LBB110_1246:
	s_andn2_b64 vcc, exec, s[0:1]
	s_cbranch_vccnz .LBB110_1248
; %bb.1247:
	global_load_dword v4, v[0:1], off
	s_waitcnt vmcnt(0)
	v_cvt_f32_f16_e32 v4, v4
.LBB110_1248:
	s_mov_b64 s[0:1], 0
.LBB110_1249:
	s_andn2_b64 vcc, exec, s[0:1]
	s_cbranch_vccnz .LBB110_1260
; %bb.1250:
	s_cmp_lt_i32 s24, 6
	s_cbranch_scc1 .LBB110_1253
; %bb.1251:
	s_cmp_gt_i32 s24, 6
	s_cbranch_scc0 .LBB110_1254
; %bb.1252:
	global_load_dwordx2 v[6:7], v[0:1], off
	s_mov_b64 s[0:1], 0
	s_waitcnt vmcnt(0)
	v_cvt_f32_f64_e32 v4, v[6:7]
	s_branch .LBB110_1255
.LBB110_1253:
	s_mov_b64 s[0:1], -1
                                        ; implicit-def: $vgpr4
	s_branch .LBB110_1258
.LBB110_1254:
	s_mov_b64 s[0:1], -1
                                        ; implicit-def: $vgpr4
.LBB110_1255:
	s_andn2_b64 vcc, exec, s[0:1]
	s_cbranch_vccnz .LBB110_1257
; %bb.1256:
	global_load_dword v4, v[0:1], off
.LBB110_1257:
	s_mov_b64 s[0:1], 0
.LBB110_1258:
	s_andn2_b64 vcc, exec, s[0:1]
	s_cbranch_vccnz .LBB110_1260
; %bb.1259:
	global_load_ushort v4, v[0:1], off
	s_waitcnt vmcnt(0)
	v_cvt_f32_f16_e32 v4, v4
.LBB110_1260:
	s_cbranch_execnz .LBB110_1280
.LBB110_1261:
	s_cmp_lt_i32 s24, 2
	s_cbranch_scc1 .LBB110_1265
; %bb.1262:
	s_cmp_lt_i32 s24, 3
	s_cbranch_scc1 .LBB110_1266
; %bb.1263:
	s_cmp_gt_i32 s24, 3
	s_cbranch_scc0 .LBB110_1267
; %bb.1264:
	global_load_dwordx2 v[6:7], v[0:1], off
	s_mov_b64 s[0:1], 0
	s_waitcnt vmcnt(0)
	v_xor_b32_e32 v8, v6, v7
	v_ffbh_i32_e32 v4, v7
	v_ashrrev_i32_e32 v8, 31, v8
	v_add_u32_e32 v4, -1, v4
	v_add_u32_e32 v8, 32, v8
	v_min_u32_e32 v4, v4, v8
	v_lshlrev_b64 v[6:7], v4, v[6:7]
	v_sub_u32_e32 v4, 32, v4
	v_min_u32_e32 v6, 1, v6
	v_or_b32_e32 v6, v7, v6
	v_cvt_f32_i32_e32 v6, v6
	v_ldexp_f32 v4, v6, v4
	s_branch .LBB110_1268
.LBB110_1265:
	s_mov_b64 s[0:1], -1
                                        ; implicit-def: $vgpr4
	s_branch .LBB110_1274
.LBB110_1266:
	s_mov_b64 s[0:1], -1
                                        ; implicit-def: $vgpr4
	s_branch .LBB110_1271
.LBB110_1267:
	s_mov_b64 s[0:1], -1
                                        ; implicit-def: $vgpr4
.LBB110_1268:
	s_andn2_b64 vcc, exec, s[0:1]
	s_cbranch_vccnz .LBB110_1270
; %bb.1269:
	global_load_dword v4, v[0:1], off
	s_waitcnt vmcnt(0)
	v_cvt_f32_i32_e32 v4, v4
.LBB110_1270:
	s_mov_b64 s[0:1], 0
.LBB110_1271:
	s_andn2_b64 vcc, exec, s[0:1]
	s_cbranch_vccnz .LBB110_1273
; %bb.1272:
	global_load_sshort v4, v[0:1], off
	s_waitcnt vmcnt(0)
	v_cvt_f32_i32_e32 v4, v4
.LBB110_1273:
	s_mov_b64 s[0:1], 0
.LBB110_1274:
	s_andn2_b64 vcc, exec, s[0:1]
	s_cbranch_vccnz .LBB110_1280
; %bb.1275:
	s_cmp_gt_i32 s24, 0
	s_cbranch_scc0 .LBB110_1277
; %bb.1276:
	global_load_sbyte v4, v[0:1], off
	s_mov_b64 s[0:1], 0
	s_waitcnt vmcnt(0)
	v_cvt_f32_i32_e32 v4, v4
	s_branch .LBB110_1278
.LBB110_1277:
	s_mov_b64 s[0:1], -1
                                        ; implicit-def: $vgpr4
.LBB110_1278:
	s_andn2_b64 vcc, exec, s[0:1]
	s_cbranch_vccnz .LBB110_1280
; %bb.1279:
	global_load_ubyte v0, v[0:1], off
	s_waitcnt vmcnt(0)
	v_cvt_f32_ubyte0_e32 v4, v0
.LBB110_1280:
.LBB110_1281:
	v_add_u32_e32 v6, s13, v5
	v_ashrrev_i32_e32 v1, 31, v6
	v_mov_b32_e32 v5, s11
	v_add_co_u32_e32 v0, vcc, s10, v6
	s_cmp_lt_i32 s24, 11
	v_addc_co_u32_e32 v1, vcc, v5, v1, vcc
	s_cbranch_scc1 .LBB110_1288
; %bb.1282:
	s_cmp_gt_i32 s24, 25
	s_mov_b64 s[2:3], 0
	s_cbranch_scc0 .LBB110_1290
; %bb.1283:
	s_cmp_gt_i32 s24, 28
	s_cbranch_scc0 .LBB110_1291
; %bb.1284:
	s_cmp_gt_i32 s24, 43
	;; [unrolled: 3-line block ×3, first 2 shown]
	s_cbranch_scc0 .LBB110_1294
; %bb.1286:
	s_cmp_eq_u32 s24, 46
	s_mov_b64 s[6:7], 0
	s_cbranch_scc0 .LBB110_1295
; %bb.1287:
	global_load_dword v5, v[0:1], off
	s_mov_b64 s[0:1], 0
	s_mov_b64 s[4:5], -1
	s_waitcnt vmcnt(0)
	v_lshlrev_b32_e32 v5, 16, v5
	s_branch .LBB110_1296
.LBB110_1288:
	s_mov_b64 s[4:5], 0
                                        ; implicit-def: $vgpr5
	s_cbranch_execnz .LBB110_1362
.LBB110_1289:
	s_andn2_b64 vcc, exec, s[4:5]
	s_cbranch_vccnz .LBB110_1973
	s_branch .LBB110_1410
.LBB110_1290:
	s_mov_b64 s[6:7], -1
	s_mov_b64 s[4:5], 0
	s_mov_b64 s[0:1], 0
                                        ; implicit-def: $vgpr5
	s_branch .LBB110_1325
.LBB110_1291:
	s_mov_b64 s[6:7], -1
	s_mov_b64 s[4:5], 0
	s_mov_b64 s[0:1], 0
                                        ; implicit-def: $vgpr5
	s_branch .LBB110_1306
.LBB110_1292:
	s_mov_b64 s[6:7], -1
	s_mov_b64 s[4:5], 0
	s_mov_b64 s[0:1], 0
                                        ; implicit-def: $vgpr5
	s_branch .LBB110_1301
.LBB110_1293:
	s_trap 2
	s_or_b64 s[20:21], s[20:21], exec
	s_cbranch_execz .LBB110_1232
	s_branch .LBB110_1233
.LBB110_1294:
	s_mov_b64 s[6:7], -1
	s_mov_b64 s[4:5], 0
	s_mov_b64 s[0:1], 0
                                        ; implicit-def: $vgpr5
	s_branch .LBB110_1296
.LBB110_1295:
	s_mov_b64 s[0:1], -1
                                        ; implicit-def: $vgpr5
	s_mov_b64 s[4:5], 0
.LBB110_1296:
	s_and_b64 vcc, exec, s[6:7]
	s_cbranch_vccz .LBB110_1300
; %bb.1297:
	s_cmp_eq_u32 s24, 44
	s_cbranch_scc0 .LBB110_1299
; %bb.1298:
	global_load_ubyte v5, v[0:1], off
	s_movk_i32 s4, 0xff
	v_mov_b32_e32 v7, 0x7f800001
	v_mov_b32_e32 v8, 0x400000
	s_mov_b64 s[0:1], 0
	s_waitcnt vmcnt(0)
	v_lshlrev_b32_e32 v9, 23, v5
	v_cmp_ne_u32_e32 vcc, s4, v5
	v_cndmask_b32_e32 v7, v7, v9, vcc
	v_cmp_ne_u32_e32 vcc, 0, v5
	v_cndmask_b32_e32 v5, v8, v7, vcc
	s_mov_b64 s[4:5], -1
	s_branch .LBB110_1300
.LBB110_1299:
	s_mov_b64 s[0:1], -1
                                        ; implicit-def: $vgpr5
.LBB110_1300:
	s_mov_b64 s[6:7], 0
.LBB110_1301:
	s_and_b64 vcc, exec, s[6:7]
	s_cbranch_vccz .LBB110_1305
; %bb.1302:
	s_cmp_eq_u32 s24, 29
	s_cbranch_scc0 .LBB110_1304
; %bb.1303:
	global_load_dwordx2 v[7:8], v[0:1], off
	s_mov_b64 s[0:1], 0
	s_mov_b64 s[4:5], -1
	s_mov_b64 s[6:7], 0
	s_waitcnt vmcnt(0)
	v_ffbh_u32_e32 v5, v8
	v_min_u32_e32 v5, 32, v5
	v_lshlrev_b64 v[7:8], v5, v[7:8]
	v_sub_u32_e32 v5, 32, v5
	v_min_u32_e32 v7, 1, v7
	v_or_b32_e32 v7, v8, v7
	v_cvt_f32_u32_e32 v7, v7
	v_ldexp_f32 v5, v7, v5
	s_branch .LBB110_1306
.LBB110_1304:
	s_mov_b64 s[0:1], -1
                                        ; implicit-def: $vgpr5
.LBB110_1305:
	s_mov_b64 s[6:7], 0
.LBB110_1306:
	s_and_b64 vcc, exec, s[6:7]
	s_cbranch_vccz .LBB110_1324
; %bb.1307:
	s_cmp_lt_i32 s24, 27
	s_cbranch_scc1 .LBB110_1310
; %bb.1308:
	s_cmp_gt_i32 s24, 27
	s_cbranch_scc0 .LBB110_1311
; %bb.1309:
	global_load_dword v5, v[0:1], off
	s_mov_b64 s[4:5], 0
	s_waitcnt vmcnt(0)
	v_cvt_f32_u32_e32 v5, v5
	s_branch .LBB110_1312
.LBB110_1310:
	s_mov_b64 s[4:5], -1
                                        ; implicit-def: $vgpr5
	s_branch .LBB110_1315
.LBB110_1311:
	s_mov_b64 s[4:5], -1
                                        ; implicit-def: $vgpr5
.LBB110_1312:
	s_andn2_b64 vcc, exec, s[4:5]
	s_cbranch_vccnz .LBB110_1314
; %bb.1313:
	global_load_ushort v5, v[0:1], off
	s_waitcnt vmcnt(0)
	v_cvt_f32_u32_e32 v5, v5
.LBB110_1314:
	s_mov_b64 s[4:5], 0
.LBB110_1315:
	s_andn2_b64 vcc, exec, s[4:5]
	s_cbranch_vccnz .LBB110_1323
; %bb.1316:
	global_load_ubyte v7, v[0:1], off
	s_movk_i32 s4, 0x7f
	s_waitcnt vmcnt(0)
	v_cmp_lt_i16_e32 vcc, s4, v7
	s_mov_b64 s[4:5], 0
	s_and_saveexec_b64 s[6:7], vcc
	s_xor_b64 s[6:7], exec, s[6:7]
	s_cbranch_execz .LBB110_1337
; %bb.1317:
	s_movk_i32 s4, 0x80
	v_cmp_eq_u16_e32 vcc, s4, v7
	s_mov_b64 s[4:5], -1
	s_and_saveexec_b64 s[22:23], vcc
; %bb.1318:
	s_xor_b64 s[4:5], exec, -1
; %bb.1319:
	s_or_b64 exec, exec, s[22:23]
	s_and_b64 s[4:5], s[4:5], exec
	s_or_saveexec_b64 s[6:7], s[6:7]
	v_mov_b32_e32 v5, 0x7f800001
	s_xor_b64 exec, exec, s[6:7]
	s_cbranch_execnz .LBB110_1338
.LBB110_1320:
	s_or_b64 exec, exec, s[6:7]
	s_and_saveexec_b64 s[6:7], s[4:5]
	s_cbranch_execz .LBB110_1322
.LBB110_1321:
	v_lshlrev_b32_e32 v5, 24, v7
	v_and_b32_e32 v7, 0xffff, v7
	v_and_b32_e32 v8, 7, v7
	v_ffbh_u32_e32 v10, v8
	v_min_u32_e32 v10, 32, v10
	v_subrev_u32_e32 v11, 28, v10
	v_bfe_u32 v9, v7, 3, 4
	v_lshlrev_b32_e32 v7, v11, v7
	v_sub_u32_e32 v10, 29, v10
	v_and_b32_e32 v7, 7, v7
	v_cmp_eq_u32_e32 vcc, 0, v9
	v_cndmask_b32_e32 v9, v9, v10, vcc
	v_cndmask_b32_e32 v7, v8, v7, vcc
	v_mov_b32_e32 v8, 0x3b800000
	v_lshlrev_b32_e32 v7, 20, v7
	v_and_b32_e32 v5, 0x80000000, v5
	v_lshl_add_u32 v8, v9, 23, v8
	v_or3_b32 v5, v5, v8, v7
.LBB110_1322:
	s_or_b64 exec, exec, s[6:7]
.LBB110_1323:
	s_mov_b64 s[4:5], -1
.LBB110_1324:
	s_mov_b64 s[6:7], 0
.LBB110_1325:
	s_and_b64 vcc, exec, s[6:7]
	s_cbranch_vccz .LBB110_1358
; %bb.1326:
	s_cmp_gt_i32 s24, 22
	s_cbranch_scc0 .LBB110_1336
; %bb.1327:
	s_cmp_lt_i32 s24, 24
	s_cbranch_scc1 .LBB110_1339
; %bb.1328:
	s_cmp_gt_i32 s24, 24
	s_cbranch_scc0 .LBB110_1340
; %bb.1329:
	global_load_ubyte v7, v[0:1], off
	s_movk_i32 s2, 0x7f
	s_waitcnt vmcnt(0)
	v_cmp_lt_i16_e32 vcc, s2, v7
	s_mov_b64 s[2:3], 0
	s_and_saveexec_b64 s[4:5], vcc
	s_xor_b64 s[4:5], exec, s[4:5]
	s_cbranch_execz .LBB110_1352
; %bb.1330:
	s_movk_i32 s2, 0x80
	v_cmp_eq_u16_e32 vcc, s2, v7
	s_mov_b64 s[2:3], -1
	s_and_saveexec_b64 s[6:7], vcc
; %bb.1331:
	s_xor_b64 s[2:3], exec, -1
; %bb.1332:
	s_or_b64 exec, exec, s[6:7]
	s_and_b64 s[2:3], s[2:3], exec
	s_or_saveexec_b64 s[4:5], s[4:5]
	v_mov_b32_e32 v5, 0x7f800001
	s_xor_b64 exec, exec, s[4:5]
	s_cbranch_execnz .LBB110_1353
.LBB110_1333:
	s_or_b64 exec, exec, s[4:5]
	s_and_saveexec_b64 s[4:5], s[2:3]
	s_cbranch_execz .LBB110_1335
.LBB110_1334:
	v_lshlrev_b32_e32 v5, 24, v7
	v_and_b32_e32 v7, 0xffff, v7
	v_and_b32_e32 v8, 3, v7
	v_ffbh_u32_e32 v10, v8
	v_min_u32_e32 v10, 32, v10
	v_subrev_u32_e32 v11, 29, v10
	v_bfe_u32 v9, v7, 2, 5
	v_lshlrev_b32_e32 v7, v11, v7
	v_sub_u32_e32 v10, 30, v10
	v_and_b32_e32 v7, 3, v7
	v_cmp_eq_u32_e32 vcc, 0, v9
	v_cndmask_b32_e32 v9, v9, v10, vcc
	v_cndmask_b32_e32 v7, v8, v7, vcc
	v_mov_b32_e32 v8, 0x37800000
	v_lshlrev_b32_e32 v7, 21, v7
	v_and_b32_e32 v5, 0x80000000, v5
	v_lshl_add_u32 v8, v9, 23, v8
	v_or3_b32 v5, v5, v8, v7
.LBB110_1335:
	s_or_b64 exec, exec, s[4:5]
	s_mov_b64 s[2:3], 0
	s_branch .LBB110_1341
.LBB110_1336:
	s_mov_b64 s[2:3], -1
                                        ; implicit-def: $vgpr5
	s_branch .LBB110_1347
.LBB110_1337:
	s_or_saveexec_b64 s[6:7], s[6:7]
	v_mov_b32_e32 v5, 0x7f800001
	s_xor_b64 exec, exec, s[6:7]
	s_cbranch_execz .LBB110_1320
.LBB110_1338:
	v_cmp_ne_u16_e32 vcc, 0, v7
	s_andn2_b64 s[4:5], s[4:5], exec
	s_and_b64 s[22:23], vcc, exec
	v_mov_b32_e32 v5, 0
	s_or_b64 s[4:5], s[4:5], s[22:23]
	s_or_b64 exec, exec, s[6:7]
	s_and_saveexec_b64 s[6:7], s[4:5]
	s_cbranch_execnz .LBB110_1321
	s_branch .LBB110_1322
.LBB110_1339:
	s_mov_b64 s[2:3], -1
                                        ; implicit-def: $vgpr5
	s_branch .LBB110_1344
.LBB110_1340:
	s_mov_b64 s[2:3], -1
                                        ; implicit-def: $vgpr5
.LBB110_1341:
	s_and_b64 vcc, exec, s[2:3]
	s_cbranch_vccz .LBB110_1343
; %bb.1342:
	global_load_ubyte v5, v[0:1], off
	s_mov_b32 s2, 0x7f800000
	s_waitcnt vmcnt(0)
	v_lshlrev_b32_e32 v5, 24, v5
	v_and_b32_e32 v7, 0x7f000000, v5
	v_ffbh_u32_e32 v8, v7
	v_min_u32_e32 v8, 32, v8
	v_sub_u32_e64 v8, v8, 4 clamp
	v_lshlrev_b32_e32 v10, v8, v7
	v_lshlrev_b32_e32 v8, 23, v8
	v_lshrrev_b32_e32 v10, 4, v10
	v_add_u32_e32 v9, 0x1000000, v7
	v_sub_u32_e32 v8, v10, v8
	v_ashrrev_i32_e32 v9, 8, v9
	v_add_u32_e32 v8, 0x3c000000, v8
	v_and_or_b32 v8, v9, s2, v8
	v_cmp_ne_u32_e32 vcc, 0, v7
	v_cndmask_b32_e32 v7, 0, v8, vcc
	s_brev_b32 s2, 1
	v_and_or_b32 v5, v5, s2, v7
.LBB110_1343:
	s_mov_b64 s[2:3], 0
.LBB110_1344:
	s_andn2_b64 vcc, exec, s[2:3]
	s_cbranch_vccnz .LBB110_1346
; %bb.1345:
	global_load_ubyte v5, v[0:1], off
	s_movk_i32 s2, 0x7f00
	s_brev_b32 s3, 16
	s_waitcnt vmcnt(0)
	v_lshlrev_b16_e32 v7, 8, v5
	v_lshlrev_b32_e32 v5, 25, v5
	v_lshrrev_b32_e32 v8, 4, v5
	v_and_or_b32 v9, v7, s2, 0.5
	v_or_b32_e32 v8, 0x70000000, v8
	v_add_f32_e32 v9, -0.5, v9
	v_mul_f32_e32 v8, 0x7800000, v8
	v_cmp_gt_u32_e32 vcc, s3, v5
	v_bfe_i32 v7, v7, 0, 16
	v_cndmask_b32_e32 v5, v8, v9, vcc
	s_brev_b32 s2, 1
	v_and_or_b32 v5, v7, s2, v5
.LBB110_1346:
	s_mov_b64 s[2:3], 0
	s_mov_b64 s[4:5], -1
.LBB110_1347:
	s_andn2_b64 vcc, exec, s[2:3]
	s_mov_b64 s[2:3], 0
	s_cbranch_vccnz .LBB110_1358
; %bb.1348:
	s_cmp_gt_i32 s24, 14
	s_cbranch_scc0 .LBB110_1351
; %bb.1349:
	s_cmp_eq_u32 s24, 15
	s_cbranch_scc0 .LBB110_1354
; %bb.1350:
	global_load_ushort v5, v[0:1], off
	s_mov_b64 s[0:1], 0
	s_mov_b64 s[4:5], -1
	s_waitcnt vmcnt(0)
	v_lshlrev_b32_e32 v5, 16, v5
	s_branch .LBB110_1355
.LBB110_1351:
	s_mov_b64 s[6:7], -1
                                        ; implicit-def: $vgpr5
	s_branch .LBB110_1356
.LBB110_1352:
	s_or_saveexec_b64 s[4:5], s[4:5]
	v_mov_b32_e32 v5, 0x7f800001
	s_xor_b64 exec, exec, s[4:5]
	s_cbranch_execz .LBB110_1333
.LBB110_1353:
	v_cmp_ne_u16_e32 vcc, 0, v7
	s_andn2_b64 s[2:3], s[2:3], exec
	s_and_b64 s[6:7], vcc, exec
	v_mov_b32_e32 v5, 0
	s_or_b64 s[2:3], s[2:3], s[6:7]
	s_or_b64 exec, exec, s[4:5]
	s_and_saveexec_b64 s[4:5], s[2:3]
	s_cbranch_execnz .LBB110_1334
	s_branch .LBB110_1335
.LBB110_1354:
	s_mov_b64 s[0:1], -1
                                        ; implicit-def: $vgpr5
.LBB110_1355:
	s_mov_b64 s[6:7], 0
.LBB110_1356:
	s_and_b64 vcc, exec, s[6:7]
	s_cbranch_vccz .LBB110_1358
; %bb.1357:
	s_cmp_lg_u32 s24, 11
	s_mov_b64 s[2:3], -1
	s_cselect_b64 s[0:1], -1, 0
.LBB110_1358:
	s_and_b64 vcc, exec, s[0:1]
	s_cbranch_vccnz .LBB110_1421
; %bb.1359:
	s_andn2_b64 vcc, exec, s[2:3]
	s_cbranch_vccnz .LBB110_1361
.LBB110_1360:
	global_load_ubyte v5, v[0:1], off
	s_mov_b64 s[4:5], -1
	s_waitcnt vmcnt(0)
	v_cmp_ne_u16_e32 vcc, 0, v5
	v_cndmask_b32_e64 v5, 0, 1.0, vcc
.LBB110_1361:
	s_branch .LBB110_1289
.LBB110_1362:
	s_cmp_lt_i32 s24, 5
	s_cbranch_scc1 .LBB110_1367
; %bb.1363:
	s_cmp_lt_i32 s24, 8
	s_cbranch_scc1 .LBB110_1368
; %bb.1364:
	;; [unrolled: 3-line block ×3, first 2 shown]
	s_cmp_gt_i32 s24, 9
	s_cbranch_scc0 .LBB110_1370
; %bb.1366:
	global_load_dwordx2 v[7:8], v[0:1], off
	s_mov_b64 s[0:1], 0
	s_waitcnt vmcnt(0)
	v_cvt_f32_f64_e32 v5, v[7:8]
	s_branch .LBB110_1371
.LBB110_1367:
	s_mov_b64 s[0:1], -1
                                        ; implicit-def: $vgpr5
	s_branch .LBB110_1389
.LBB110_1368:
	s_mov_b64 s[0:1], -1
                                        ; implicit-def: $vgpr5
	s_branch .LBB110_1377
.LBB110_1369:
	s_mov_b64 s[0:1], -1
                                        ; implicit-def: $vgpr5
	s_branch .LBB110_1374
.LBB110_1370:
	s_mov_b64 s[0:1], -1
                                        ; implicit-def: $vgpr5
.LBB110_1371:
	s_andn2_b64 vcc, exec, s[0:1]
	s_cbranch_vccnz .LBB110_1373
; %bb.1372:
	global_load_dword v5, v[0:1], off
.LBB110_1373:
	s_mov_b64 s[0:1], 0
.LBB110_1374:
	s_andn2_b64 vcc, exec, s[0:1]
	s_cbranch_vccnz .LBB110_1376
; %bb.1375:
	global_load_dword v5, v[0:1], off
	s_waitcnt vmcnt(0)
	v_cvt_f32_f16_e32 v5, v5
.LBB110_1376:
	s_mov_b64 s[0:1], 0
.LBB110_1377:
	s_andn2_b64 vcc, exec, s[0:1]
	s_cbranch_vccnz .LBB110_1388
; %bb.1378:
	s_cmp_lt_i32 s24, 6
	s_cbranch_scc1 .LBB110_1381
; %bb.1379:
	s_cmp_gt_i32 s24, 6
	s_cbranch_scc0 .LBB110_1382
; %bb.1380:
	global_load_dwordx2 v[7:8], v[0:1], off
	s_mov_b64 s[0:1], 0
	s_waitcnt vmcnt(0)
	v_cvt_f32_f64_e32 v5, v[7:8]
	s_branch .LBB110_1383
.LBB110_1381:
	s_mov_b64 s[0:1], -1
                                        ; implicit-def: $vgpr5
	s_branch .LBB110_1386
.LBB110_1382:
	s_mov_b64 s[0:1], -1
                                        ; implicit-def: $vgpr5
.LBB110_1383:
	s_andn2_b64 vcc, exec, s[0:1]
	s_cbranch_vccnz .LBB110_1385
; %bb.1384:
	global_load_dword v5, v[0:1], off
.LBB110_1385:
	s_mov_b64 s[0:1], 0
.LBB110_1386:
	s_andn2_b64 vcc, exec, s[0:1]
	s_cbranch_vccnz .LBB110_1388
; %bb.1387:
	global_load_ushort v5, v[0:1], off
	s_waitcnt vmcnt(0)
	v_cvt_f32_f16_e32 v5, v5
.LBB110_1388:
	s_mov_b64 s[0:1], 0
.LBB110_1389:
	s_andn2_b64 vcc, exec, s[0:1]
	s_cbranch_vccnz .LBB110_1409
; %bb.1390:
	s_cmp_lt_i32 s24, 2
	s_cbranch_scc1 .LBB110_1394
; %bb.1391:
	s_cmp_lt_i32 s24, 3
	s_cbranch_scc1 .LBB110_1395
; %bb.1392:
	s_cmp_gt_i32 s24, 3
	s_cbranch_scc0 .LBB110_1396
; %bb.1393:
	global_load_dwordx2 v[7:8], v[0:1], off
	s_mov_b64 s[0:1], 0
	s_waitcnt vmcnt(0)
	v_xor_b32_e32 v9, v7, v8
	v_ffbh_i32_e32 v5, v8
	v_ashrrev_i32_e32 v9, 31, v9
	v_add_u32_e32 v5, -1, v5
	v_add_u32_e32 v9, 32, v9
	v_min_u32_e32 v5, v5, v9
	v_lshlrev_b64 v[7:8], v5, v[7:8]
	v_sub_u32_e32 v5, 32, v5
	v_min_u32_e32 v7, 1, v7
	v_or_b32_e32 v7, v8, v7
	v_cvt_f32_i32_e32 v7, v7
	v_ldexp_f32 v5, v7, v5
	s_branch .LBB110_1397
.LBB110_1394:
	s_mov_b64 s[0:1], -1
                                        ; implicit-def: $vgpr5
	s_branch .LBB110_1403
.LBB110_1395:
	s_mov_b64 s[0:1], -1
                                        ; implicit-def: $vgpr5
	s_branch .LBB110_1400
.LBB110_1396:
	s_mov_b64 s[0:1], -1
                                        ; implicit-def: $vgpr5
.LBB110_1397:
	s_andn2_b64 vcc, exec, s[0:1]
	s_cbranch_vccnz .LBB110_1399
; %bb.1398:
	global_load_dword v5, v[0:1], off
	s_waitcnt vmcnt(0)
	v_cvt_f32_i32_e32 v5, v5
.LBB110_1399:
	s_mov_b64 s[0:1], 0
.LBB110_1400:
	s_andn2_b64 vcc, exec, s[0:1]
	s_cbranch_vccnz .LBB110_1402
; %bb.1401:
	global_load_sshort v5, v[0:1], off
	s_waitcnt vmcnt(0)
	v_cvt_f32_i32_e32 v5, v5
.LBB110_1402:
	s_mov_b64 s[0:1], 0
.LBB110_1403:
	s_andn2_b64 vcc, exec, s[0:1]
	s_cbranch_vccnz .LBB110_1409
; %bb.1404:
	s_cmp_gt_i32 s24, 0
	s_cbranch_scc0 .LBB110_1406
; %bb.1405:
	global_load_sbyte v5, v[0:1], off
	s_mov_b64 s[0:1], 0
	s_waitcnt vmcnt(0)
	v_cvt_f32_i32_e32 v5, v5
	s_branch .LBB110_1407
.LBB110_1406:
	s_mov_b64 s[0:1], -1
                                        ; implicit-def: $vgpr5
.LBB110_1407:
	s_andn2_b64 vcc, exec, s[0:1]
	s_cbranch_vccnz .LBB110_1409
; %bb.1408:
	global_load_ubyte v0, v[0:1], off
	s_waitcnt vmcnt(0)
	v_cvt_f32_ubyte0_e32 v5, v0
.LBB110_1409:
.LBB110_1410:
	v_add_u32_e32 v0, s13, v6
	v_ashrrev_i32_e32 v1, 31, v0
	v_mov_b32_e32 v6, s11
	v_add_co_u32_e32 v0, vcc, s10, v0
	s_cmp_lt_i32 s24, 11
	v_addc_co_u32_e32 v1, vcc, v6, v1, vcc
	s_cbranch_scc1 .LBB110_1417
; %bb.1411:
	s_cmp_gt_i32 s24, 25
	s_mov_b64 s[2:3], 0
	s_cbranch_scc0 .LBB110_1418
; %bb.1412:
	s_cmp_gt_i32 s24, 28
	s_cbranch_scc0 .LBB110_1419
; %bb.1413:
	s_cmp_gt_i32 s24, 43
	;; [unrolled: 3-line block ×3, first 2 shown]
	s_cbranch_scc0 .LBB110_1422
; %bb.1415:
	s_cmp_eq_u32 s24, 46
	s_mov_b64 s[6:7], 0
	s_cbranch_scc0 .LBB110_1423
; %bb.1416:
	global_load_dword v6, v[0:1], off
	s_mov_b64 s[0:1], 0
	s_mov_b64 s[4:5], -1
	s_waitcnt vmcnt(0)
	v_lshlrev_b32_e32 v6, 16, v6
	s_branch .LBB110_1424
.LBB110_1417:
	s_mov_b64 s[0:1], -1
	s_mov_b64 s[4:5], 0
                                        ; implicit-def: $vgpr6
	s_branch .LBB110_1490
.LBB110_1418:
	s_mov_b64 s[6:7], -1
	s_mov_b64 s[4:5], 0
	s_mov_b64 s[0:1], 0
                                        ; implicit-def: $vgpr6
	s_branch .LBB110_1453
.LBB110_1419:
	s_mov_b64 s[6:7], -1
	s_mov_b64 s[4:5], 0
	s_mov_b64 s[0:1], 0
                                        ; implicit-def: $vgpr6
	s_branch .LBB110_1434
.LBB110_1420:
	s_mov_b64 s[6:7], -1
	s_mov_b64 s[4:5], 0
	s_mov_b64 s[0:1], 0
                                        ; implicit-def: $vgpr6
	s_branch .LBB110_1429
.LBB110_1421:
	s_trap 2
	s_or_b64 s[20:21], s[20:21], exec
	s_cbranch_execz .LBB110_1360
	s_branch .LBB110_1361
.LBB110_1422:
	s_mov_b64 s[6:7], -1
	s_mov_b64 s[4:5], 0
	s_mov_b64 s[0:1], 0
                                        ; implicit-def: $vgpr6
	s_branch .LBB110_1424
.LBB110_1423:
	s_mov_b64 s[0:1], -1
                                        ; implicit-def: $vgpr6
	s_mov_b64 s[4:5], 0
.LBB110_1424:
	s_and_b64 vcc, exec, s[6:7]
	s_cbranch_vccz .LBB110_1428
; %bb.1425:
	s_cmp_eq_u32 s24, 44
	s_cbranch_scc0 .LBB110_1427
; %bb.1426:
	global_load_ubyte v6, v[0:1], off
	s_movk_i32 s4, 0xff
	v_mov_b32_e32 v7, 0x7f800001
	v_mov_b32_e32 v8, 0x400000
	s_mov_b64 s[0:1], 0
	s_waitcnt vmcnt(0)
	v_lshlrev_b32_e32 v9, 23, v6
	v_cmp_ne_u32_e32 vcc, s4, v6
	v_cndmask_b32_e32 v7, v7, v9, vcc
	v_cmp_ne_u32_e32 vcc, 0, v6
	v_cndmask_b32_e32 v6, v8, v7, vcc
	s_mov_b64 s[4:5], -1
	s_branch .LBB110_1428
.LBB110_1427:
	s_mov_b64 s[0:1], -1
                                        ; implicit-def: $vgpr6
.LBB110_1428:
	s_mov_b64 s[6:7], 0
.LBB110_1429:
	s_and_b64 vcc, exec, s[6:7]
	s_cbranch_vccz .LBB110_1433
; %bb.1430:
	s_cmp_eq_u32 s24, 29
	s_cbranch_scc0 .LBB110_1432
; %bb.1431:
	global_load_dwordx2 v[6:7], v[0:1], off
	s_mov_b64 s[0:1], 0
	s_mov_b64 s[4:5], -1
	s_mov_b64 s[6:7], 0
	s_waitcnt vmcnt(0)
	v_ffbh_u32_e32 v8, v7
	v_min_u32_e32 v8, 32, v8
	v_lshlrev_b64 v[6:7], v8, v[6:7]
	v_min_u32_e32 v6, 1, v6
	v_or_b32_e32 v6, v7, v6
	v_cvt_f32_u32_e32 v6, v6
	v_sub_u32_e32 v7, 32, v8
	v_ldexp_f32 v6, v6, v7
	s_branch .LBB110_1434
.LBB110_1432:
	s_mov_b64 s[0:1], -1
                                        ; implicit-def: $vgpr6
.LBB110_1433:
	s_mov_b64 s[6:7], 0
.LBB110_1434:
	s_and_b64 vcc, exec, s[6:7]
	s_cbranch_vccz .LBB110_1452
; %bb.1435:
	s_cmp_lt_i32 s24, 27
	s_cbranch_scc1 .LBB110_1438
; %bb.1436:
	s_cmp_gt_i32 s24, 27
	s_cbranch_scc0 .LBB110_1439
; %bb.1437:
	global_load_dword v6, v[0:1], off
	s_mov_b64 s[4:5], 0
	s_waitcnt vmcnt(0)
	v_cvt_f32_u32_e32 v6, v6
	s_branch .LBB110_1440
.LBB110_1438:
	s_mov_b64 s[4:5], -1
                                        ; implicit-def: $vgpr6
	s_branch .LBB110_1443
.LBB110_1439:
	s_mov_b64 s[4:5], -1
                                        ; implicit-def: $vgpr6
.LBB110_1440:
	s_andn2_b64 vcc, exec, s[4:5]
	s_cbranch_vccnz .LBB110_1442
; %bb.1441:
	global_load_ushort v6, v[0:1], off
	s_waitcnt vmcnt(0)
	v_cvt_f32_u32_e32 v6, v6
.LBB110_1442:
	s_mov_b64 s[4:5], 0
.LBB110_1443:
	s_andn2_b64 vcc, exec, s[4:5]
	s_cbranch_vccnz .LBB110_1451
; %bb.1444:
	global_load_ubyte v7, v[0:1], off
	s_movk_i32 s4, 0x7f
	s_waitcnt vmcnt(0)
	v_cmp_lt_i16_e32 vcc, s4, v7
	s_mov_b64 s[4:5], 0
	s_and_saveexec_b64 s[6:7], vcc
	s_xor_b64 s[6:7], exec, s[6:7]
	s_cbranch_execz .LBB110_1465
; %bb.1445:
	s_movk_i32 s4, 0x80
	v_cmp_eq_u16_e32 vcc, s4, v7
	s_mov_b64 s[4:5], -1
	s_and_saveexec_b64 s[10:11], vcc
; %bb.1446:
	s_xor_b64 s[4:5], exec, -1
; %bb.1447:
	s_or_b64 exec, exec, s[10:11]
	s_and_b64 s[4:5], s[4:5], exec
	s_or_saveexec_b64 s[6:7], s[6:7]
	v_mov_b32_e32 v6, 0x7f800001
	s_xor_b64 exec, exec, s[6:7]
	s_cbranch_execnz .LBB110_1466
.LBB110_1448:
	s_or_b64 exec, exec, s[6:7]
	s_and_saveexec_b64 s[6:7], s[4:5]
	s_cbranch_execz .LBB110_1450
.LBB110_1449:
	v_lshlrev_b32_e32 v6, 24, v7
	v_and_b32_e32 v7, 0xffff, v7
	v_and_b32_e32 v8, 7, v7
	v_ffbh_u32_e32 v10, v8
	v_min_u32_e32 v10, 32, v10
	v_subrev_u32_e32 v11, 28, v10
	v_bfe_u32 v9, v7, 3, 4
	v_lshlrev_b32_e32 v7, v11, v7
	v_sub_u32_e32 v10, 29, v10
	v_and_b32_e32 v7, 7, v7
	v_cmp_eq_u32_e32 vcc, 0, v9
	v_cndmask_b32_e32 v9, v9, v10, vcc
	v_cndmask_b32_e32 v7, v8, v7, vcc
	v_mov_b32_e32 v8, 0x3b800000
	v_lshlrev_b32_e32 v7, 20, v7
	v_and_b32_e32 v6, 0x80000000, v6
	v_lshl_add_u32 v8, v9, 23, v8
	v_or3_b32 v6, v6, v8, v7
.LBB110_1450:
	s_or_b64 exec, exec, s[6:7]
.LBB110_1451:
	s_mov_b64 s[4:5], -1
.LBB110_1452:
	s_mov_b64 s[6:7], 0
.LBB110_1453:
	s_and_b64 vcc, exec, s[6:7]
	s_cbranch_vccz .LBB110_1486
; %bb.1454:
	s_cmp_gt_i32 s24, 22
	s_cbranch_scc0 .LBB110_1464
; %bb.1455:
	s_cmp_lt_i32 s24, 24
	s_cbranch_scc1 .LBB110_1467
; %bb.1456:
	s_cmp_gt_i32 s24, 24
	s_cbranch_scc0 .LBB110_1468
; %bb.1457:
	global_load_ubyte v7, v[0:1], off
	s_movk_i32 s2, 0x7f
	s_waitcnt vmcnt(0)
	v_cmp_lt_i16_e32 vcc, s2, v7
	s_mov_b64 s[2:3], 0
	s_and_saveexec_b64 s[4:5], vcc
	s_xor_b64 s[4:5], exec, s[4:5]
	s_cbranch_execz .LBB110_1480
; %bb.1458:
	s_movk_i32 s2, 0x80
	v_cmp_eq_u16_e32 vcc, s2, v7
	s_mov_b64 s[2:3], -1
	s_and_saveexec_b64 s[6:7], vcc
; %bb.1459:
	s_xor_b64 s[2:3], exec, -1
; %bb.1460:
	s_or_b64 exec, exec, s[6:7]
	s_and_b64 s[2:3], s[2:3], exec
	s_or_saveexec_b64 s[4:5], s[4:5]
	v_mov_b32_e32 v6, 0x7f800001
	s_xor_b64 exec, exec, s[4:5]
	s_cbranch_execnz .LBB110_1481
.LBB110_1461:
	s_or_b64 exec, exec, s[4:5]
	s_and_saveexec_b64 s[4:5], s[2:3]
	s_cbranch_execz .LBB110_1463
.LBB110_1462:
	v_lshlrev_b32_e32 v6, 24, v7
	v_and_b32_e32 v7, 0xffff, v7
	v_and_b32_e32 v8, 3, v7
	v_ffbh_u32_e32 v10, v8
	v_min_u32_e32 v10, 32, v10
	v_subrev_u32_e32 v11, 29, v10
	v_bfe_u32 v9, v7, 2, 5
	v_lshlrev_b32_e32 v7, v11, v7
	v_sub_u32_e32 v10, 30, v10
	v_and_b32_e32 v7, 3, v7
	v_cmp_eq_u32_e32 vcc, 0, v9
	v_cndmask_b32_e32 v9, v9, v10, vcc
	v_cndmask_b32_e32 v7, v8, v7, vcc
	v_mov_b32_e32 v8, 0x37800000
	v_lshlrev_b32_e32 v7, 21, v7
	v_and_b32_e32 v6, 0x80000000, v6
	v_lshl_add_u32 v8, v9, 23, v8
	v_or3_b32 v6, v6, v8, v7
.LBB110_1463:
	s_or_b64 exec, exec, s[4:5]
	s_mov_b64 s[2:3], 0
	s_branch .LBB110_1469
.LBB110_1464:
	s_mov_b64 s[2:3], -1
                                        ; implicit-def: $vgpr6
	s_branch .LBB110_1475
.LBB110_1465:
	s_or_saveexec_b64 s[6:7], s[6:7]
	v_mov_b32_e32 v6, 0x7f800001
	s_xor_b64 exec, exec, s[6:7]
	s_cbranch_execz .LBB110_1448
.LBB110_1466:
	v_cmp_ne_u16_e32 vcc, 0, v7
	s_andn2_b64 s[4:5], s[4:5], exec
	s_and_b64 s[10:11], vcc, exec
	v_mov_b32_e32 v6, 0
	s_or_b64 s[4:5], s[4:5], s[10:11]
	s_or_b64 exec, exec, s[6:7]
	s_and_saveexec_b64 s[6:7], s[4:5]
	s_cbranch_execnz .LBB110_1449
	s_branch .LBB110_1450
.LBB110_1467:
	s_mov_b64 s[2:3], -1
                                        ; implicit-def: $vgpr6
	s_branch .LBB110_1472
.LBB110_1468:
	s_mov_b64 s[2:3], -1
                                        ; implicit-def: $vgpr6
.LBB110_1469:
	s_and_b64 vcc, exec, s[2:3]
	s_cbranch_vccz .LBB110_1471
; %bb.1470:
	global_load_ubyte v6, v[0:1], off
	s_mov_b32 s2, 0x7f800000
	s_waitcnt vmcnt(0)
	v_lshlrev_b32_e32 v6, 24, v6
	v_and_b32_e32 v7, 0x7f000000, v6
	v_ffbh_u32_e32 v8, v7
	v_min_u32_e32 v8, 32, v8
	v_sub_u32_e64 v8, v8, 4 clamp
	v_lshlrev_b32_e32 v10, v8, v7
	v_lshlrev_b32_e32 v8, 23, v8
	v_lshrrev_b32_e32 v10, 4, v10
	v_add_u32_e32 v9, 0x1000000, v7
	v_sub_u32_e32 v8, v10, v8
	v_ashrrev_i32_e32 v9, 8, v9
	v_add_u32_e32 v8, 0x3c000000, v8
	v_and_or_b32 v8, v9, s2, v8
	v_cmp_ne_u32_e32 vcc, 0, v7
	v_cndmask_b32_e32 v7, 0, v8, vcc
	s_brev_b32 s2, 1
	v_and_or_b32 v6, v6, s2, v7
.LBB110_1471:
	s_mov_b64 s[2:3], 0
.LBB110_1472:
	s_andn2_b64 vcc, exec, s[2:3]
	s_cbranch_vccnz .LBB110_1474
; %bb.1473:
	global_load_ubyte v6, v[0:1], off
	s_movk_i32 s2, 0x7f00
	s_brev_b32 s3, 16
	s_waitcnt vmcnt(0)
	v_lshlrev_b16_e32 v7, 8, v6
	v_lshlrev_b32_e32 v6, 25, v6
	v_lshrrev_b32_e32 v8, 4, v6
	v_and_or_b32 v9, v7, s2, 0.5
	v_or_b32_e32 v8, 0x70000000, v8
	v_add_f32_e32 v9, -0.5, v9
	v_mul_f32_e32 v8, 0x7800000, v8
	v_cmp_gt_u32_e32 vcc, s3, v6
	v_bfe_i32 v7, v7, 0, 16
	v_cndmask_b32_e32 v6, v8, v9, vcc
	s_brev_b32 s2, 1
	v_and_or_b32 v6, v7, s2, v6
.LBB110_1474:
	s_mov_b64 s[2:3], 0
	s_mov_b64 s[4:5], -1
.LBB110_1475:
	s_andn2_b64 vcc, exec, s[2:3]
	s_mov_b64 s[2:3], 0
	s_cbranch_vccnz .LBB110_1486
; %bb.1476:
	s_cmp_gt_i32 s24, 14
	s_cbranch_scc0 .LBB110_1479
; %bb.1477:
	s_cmp_eq_u32 s24, 15
	s_cbranch_scc0 .LBB110_1482
; %bb.1478:
	global_load_ushort v6, v[0:1], off
	s_mov_b64 s[0:1], 0
	s_mov_b64 s[4:5], -1
	s_waitcnt vmcnt(0)
	v_lshlrev_b32_e32 v6, 16, v6
	s_branch .LBB110_1483
.LBB110_1479:
	s_mov_b64 s[6:7], -1
                                        ; implicit-def: $vgpr6
	s_branch .LBB110_1484
.LBB110_1480:
	s_or_saveexec_b64 s[4:5], s[4:5]
	v_mov_b32_e32 v6, 0x7f800001
	s_xor_b64 exec, exec, s[4:5]
	s_cbranch_execz .LBB110_1461
.LBB110_1481:
	v_cmp_ne_u16_e32 vcc, 0, v7
	s_andn2_b64 s[2:3], s[2:3], exec
	s_and_b64 s[6:7], vcc, exec
	v_mov_b32_e32 v6, 0
	s_or_b64 s[2:3], s[2:3], s[6:7]
	s_or_b64 exec, exec, s[4:5]
	s_and_saveexec_b64 s[4:5], s[2:3]
	s_cbranch_execnz .LBB110_1462
	s_branch .LBB110_1463
.LBB110_1482:
	s_mov_b64 s[0:1], -1
                                        ; implicit-def: $vgpr6
.LBB110_1483:
	s_mov_b64 s[6:7], 0
.LBB110_1484:
	s_and_b64 vcc, exec, s[6:7]
	s_cbranch_vccz .LBB110_1486
; %bb.1485:
	s_cmp_lg_u32 s24, 11
	s_mov_b64 s[2:3], -1
	s_cselect_b64 s[0:1], -1, 0
.LBB110_1486:
	s_and_b64 vcc, exec, s[0:1]
	s_cbranch_vccnz .LBB110_2019
; %bb.1487:
	s_andn2_b64 vcc, exec, s[2:3]
	s_cbranch_vccnz .LBB110_1489
.LBB110_1488:
	global_load_ubyte v6, v[0:1], off
	s_mov_b64 s[4:5], -1
	s_waitcnt vmcnt(0)
	v_cmp_ne_u16_e32 vcc, 0, v6
	v_cndmask_b32_e64 v6, 0, 1.0, vcc
.LBB110_1489:
	s_mov_b64 s[0:1], 0
.LBB110_1490:
	s_and_b64 vcc, exec, s[0:1]
	s_cbranch_vccz .LBB110_1539
; %bb.1491:
	s_cmp_lt_i32 s24, 5
	s_cbranch_scc1 .LBB110_1496
; %bb.1492:
	s_cmp_lt_i32 s24, 8
	s_cbranch_scc1 .LBB110_1497
	;; [unrolled: 3-line block ×3, first 2 shown]
; %bb.1494:
	s_cmp_gt_i32 s24, 9
	s_cbranch_scc0 .LBB110_1499
; %bb.1495:
	global_load_dwordx2 v[6:7], v[0:1], off
	s_mov_b64 s[0:1], 0
	s_waitcnt vmcnt(0)
	v_cvt_f32_f64_e32 v6, v[6:7]
	s_branch .LBB110_1500
.LBB110_1496:
	s_mov_b64 s[0:1], -1
                                        ; implicit-def: $vgpr6
	s_branch .LBB110_1518
.LBB110_1497:
	s_mov_b64 s[0:1], -1
                                        ; implicit-def: $vgpr6
	s_branch .LBB110_1506
.LBB110_1498:
	s_mov_b64 s[0:1], -1
                                        ; implicit-def: $vgpr6
	s_branch .LBB110_1503
.LBB110_1499:
	s_mov_b64 s[0:1], -1
                                        ; implicit-def: $vgpr6
.LBB110_1500:
	s_andn2_b64 vcc, exec, s[0:1]
	s_cbranch_vccnz .LBB110_1502
; %bb.1501:
	global_load_dword v6, v[0:1], off
.LBB110_1502:
	s_mov_b64 s[0:1], 0
.LBB110_1503:
	s_andn2_b64 vcc, exec, s[0:1]
	s_cbranch_vccnz .LBB110_1505
; %bb.1504:
	global_load_dword v6, v[0:1], off
	s_waitcnt vmcnt(0)
	v_cvt_f32_f16_e32 v6, v6
.LBB110_1505:
	s_mov_b64 s[0:1], 0
.LBB110_1506:
	s_andn2_b64 vcc, exec, s[0:1]
	s_cbranch_vccnz .LBB110_1517
; %bb.1507:
	s_cmp_lt_i32 s24, 6
	s_cbranch_scc1 .LBB110_1510
; %bb.1508:
	s_cmp_gt_i32 s24, 6
	s_cbranch_scc0 .LBB110_1511
; %bb.1509:
	global_load_dwordx2 v[6:7], v[0:1], off
	s_mov_b64 s[0:1], 0
	s_waitcnt vmcnt(0)
	v_cvt_f32_f64_e32 v6, v[6:7]
	s_branch .LBB110_1512
.LBB110_1510:
	s_mov_b64 s[0:1], -1
                                        ; implicit-def: $vgpr6
	s_branch .LBB110_1515
.LBB110_1511:
	s_mov_b64 s[0:1], -1
                                        ; implicit-def: $vgpr6
.LBB110_1512:
	s_andn2_b64 vcc, exec, s[0:1]
	s_cbranch_vccnz .LBB110_1514
; %bb.1513:
	global_load_dword v6, v[0:1], off
.LBB110_1514:
	s_mov_b64 s[0:1], 0
.LBB110_1515:
	s_andn2_b64 vcc, exec, s[0:1]
	s_cbranch_vccnz .LBB110_1517
; %bb.1516:
	global_load_ushort v6, v[0:1], off
	s_waitcnt vmcnt(0)
	v_cvt_f32_f16_e32 v6, v6
.LBB110_1517:
	s_mov_b64 s[0:1], 0
.LBB110_1518:
	s_andn2_b64 vcc, exec, s[0:1]
	s_cbranch_vccnz .LBB110_1538
; %bb.1519:
	s_cmp_lt_i32 s24, 2
	s_cbranch_scc1 .LBB110_1523
; %bb.1520:
	s_cmp_lt_i32 s24, 3
	s_cbranch_scc1 .LBB110_1524
; %bb.1521:
	s_cmp_gt_i32 s24, 3
	s_cbranch_scc0 .LBB110_1525
; %bb.1522:
	global_load_dwordx2 v[6:7], v[0:1], off
	s_mov_b64 s[0:1], 0
	s_waitcnt vmcnt(0)
	v_xor_b32_e32 v9, v6, v7
	v_ffbh_i32_e32 v8, v7
	v_ashrrev_i32_e32 v9, 31, v9
	v_add_u32_e32 v8, -1, v8
	v_add_u32_e32 v9, 32, v9
	v_min_u32_e32 v8, v8, v9
	v_lshlrev_b64 v[6:7], v8, v[6:7]
	v_min_u32_e32 v6, 1, v6
	v_or_b32_e32 v6, v7, v6
	v_cvt_f32_i32_e32 v6, v6
	v_sub_u32_e32 v7, 32, v8
	v_ldexp_f32 v6, v6, v7
	s_branch .LBB110_1526
.LBB110_1523:
	s_mov_b64 s[0:1], -1
                                        ; implicit-def: $vgpr6
	s_branch .LBB110_1532
.LBB110_1524:
	s_mov_b64 s[0:1], -1
                                        ; implicit-def: $vgpr6
	s_branch .LBB110_1529
.LBB110_1525:
	s_mov_b64 s[0:1], -1
                                        ; implicit-def: $vgpr6
.LBB110_1526:
	s_andn2_b64 vcc, exec, s[0:1]
	s_cbranch_vccnz .LBB110_1528
; %bb.1527:
	global_load_dword v6, v[0:1], off
	s_waitcnt vmcnt(0)
	v_cvt_f32_i32_e32 v6, v6
.LBB110_1528:
	s_mov_b64 s[0:1], 0
.LBB110_1529:
	s_andn2_b64 vcc, exec, s[0:1]
	s_cbranch_vccnz .LBB110_1531
; %bb.1530:
	global_load_sshort v6, v[0:1], off
	s_waitcnt vmcnt(0)
	v_cvt_f32_i32_e32 v6, v6
.LBB110_1531:
	s_mov_b64 s[0:1], 0
.LBB110_1532:
	s_andn2_b64 vcc, exec, s[0:1]
	s_cbranch_vccnz .LBB110_1538
; %bb.1533:
	s_cmp_gt_i32 s24, 0
	s_cbranch_scc0 .LBB110_1535
; %bb.1534:
	global_load_sbyte v6, v[0:1], off
	s_mov_b64 s[0:1], 0
	s_waitcnt vmcnt(0)
	v_cvt_f32_i32_e32 v6, v6
	s_branch .LBB110_1536
.LBB110_1535:
	s_mov_b64 s[0:1], -1
                                        ; implicit-def: $vgpr6
.LBB110_1536:
	s_andn2_b64 vcc, exec, s[0:1]
	s_cbranch_vccnz .LBB110_1538
; %bb.1537:
	global_load_ubyte v0, v[0:1], off
	s_waitcnt vmcnt(0)
	v_cvt_f32_ubyte0_e32 v6, v0
.LBB110_1538:
	s_mov_b64 s[4:5], -1
.LBB110_1539:
	s_andn2_b64 vcc, exec, s[4:5]
	s_cbranch_vccnz .LBB110_1973
; %bb.1540:
	s_waitcnt vmcnt(0)
	v_cmp_eq_f32_e32 vcc, s15, v3
	s_cmp_eq_u32 s14, 0
	v_cndmask_b32_e64 v0, 0, 1, vcc
	v_cmp_neq_f32_e32 vcc, s15, v3
	v_mul_lo_u32 v2, s12, v2
	v_cndmask_b32_e64 v1, 0, 1, vcc
	s_cselect_b64 s[0:1], -1, 0
	v_cndmask_b32_e64 v0, v1, v0, s[0:1]
	v_and_b32_e32 v0, 1, v0
	v_cmp_eq_u32_e64 s[2:3], 1, v0
	v_ashrrev_i32_e32 v1, 31, v2
	v_mov_b32_e32 v3, s9
	s_and_b32 s26, s33, 0xff
	v_add_co_u32_e32 v0, vcc, s8, v2
	s_cmp_lt_i32 s26, 11
	v_addc_co_u32_e32 v1, vcc, v3, v1, vcc
	s_cbranch_scc1 .LBB110_1618
; %bb.1541:
	s_and_b32 s13, 0xffff, s26
	s_mov_b64 s[22:23], -1
	s_mov_b64 s[6:7], 0
	s_cmp_gt_i32 s13, 25
	s_mov_b64 s[10:11], 0
	s_mov_b64 s[4:5], 0
	s_cbranch_scc0 .LBB110_1574
; %bb.1542:
	s_cmp_gt_i32 s13, 28
	s_cbranch_scc0 .LBB110_1557
; %bb.1543:
	s_cmp_gt_i32 s13, 43
	;; [unrolled: 3-line block ×3, first 2 shown]
	s_cbranch_scc0 .LBB110_1547
; %bb.1545:
	s_mov_b64 s[4:5], -1
	s_mov_b64 s[22:23], 0
	s_cmp_eq_u32 s13, 46
	s_cbranch_scc0 .LBB110_1547
; %bb.1546:
	v_cndmask_b32_e64 v3, 0, 1.0, s[2:3]
	v_bfe_u32 v7, v3, 16, 1
	s_movk_i32 s4, 0x7fff
	v_add3_u32 v3, v3, v7, s4
	v_lshrrev_b32_e32 v3, 16, v3
	global_store_dword v[0:1], v3, off
	s_mov_b64 s[4:5], 0
	s_mov_b64 s[10:11], -1
.LBB110_1547:
	s_and_b64 vcc, exec, s[22:23]
	s_cbranch_vccz .LBB110_1552
; %bb.1548:
	s_cmp_eq_u32 s13, 44
	s_mov_b64 s[4:5], -1
	s_cbranch_scc0 .LBB110_1552
; %bb.1549:
	v_cndmask_b32_e64 v7, 0, 1.0, s[2:3]
	v_lshrrev_b32_e32 v3, 23, v7
	s_movk_i32 s4, 0xff
	v_cmp_ne_u32_e32 vcc, s4, v3
	v_mov_b32_e32 v8, 0xff
	s_and_saveexec_b64 s[10:11], vcc
; %bb.1550:
	s_mov_b32 s4, 0x3fffff
	v_and_b32_e32 v8, 0x400000, v7
	v_and_or_b32 v7, v7, s4, v3
	v_cmp_ne_u32_e32 vcc, 0, v8
	v_cmp_ne_u32_e64 s[4:5], 0, v7
	s_and_b64 s[4:5], vcc, s[4:5]
	v_cndmask_b32_e64 v7, 0, 1, s[4:5]
	v_add_u32_e32 v8, v3, v7
; %bb.1551:
	s_or_b64 exec, exec, s[10:11]
	s_mov_b64 s[4:5], 0
	s_mov_b64 s[10:11], -1
	global_store_byte v[0:1], v8, off
.LBB110_1552:
	s_mov_b64 s[22:23], 0
.LBB110_1553:
	s_and_b64 vcc, exec, s[22:23]
	s_cbranch_vccz .LBB110_1556
; %bb.1554:
	s_cmp_eq_u32 s13, 29
	s_mov_b64 s[4:5], -1
	s_cbranch_scc0 .LBB110_1556
; %bb.1555:
	s_mov_b32 s4, 0
	v_cndmask_b32_e64 v7, 0, 1, s[2:3]
	v_mov_b32_e32 v8, s4
	global_store_dwordx2 v[0:1], v[7:8], off
	s_mov_b64 s[4:5], 0
	s_mov_b64 s[10:11], -1
.LBB110_1556:
	s_mov_b64 s[22:23], 0
.LBB110_1557:
	s_and_b64 vcc, exec, s[22:23]
	s_cbranch_vccz .LBB110_1573
; %bb.1558:
	s_cmp_lt_i32 s13, 27
	s_mov_b64 s[10:11], -1
	s_cbranch_scc1 .LBB110_1564
; %bb.1559:
	s_cmp_gt_i32 s13, 27
	s_cbranch_scc0 .LBB110_1561
; %bb.1560:
	v_cndmask_b32_e64 v3, 0, 1, s[2:3]
	s_mov_b64 s[10:11], 0
	global_store_dword v[0:1], v3, off
.LBB110_1561:
	s_andn2_b64 vcc, exec, s[10:11]
	s_cbranch_vccnz .LBB110_1563
; %bb.1562:
	v_cndmask_b32_e64 v3, 0, 1, s[2:3]
	global_store_short v[0:1], v3, off
.LBB110_1563:
	s_mov_b64 s[10:11], 0
.LBB110_1564:
	s_andn2_b64 vcc, exec, s[10:11]
	s_cbranch_vccnz .LBB110_1572
; %bb.1565:
	v_cndmask_b32_e64 v7, 0, 1.0, s[2:3]
	s_mov_b32 s10, 0x43800000
	v_cmp_gt_u32_e32 vcc, s10, v7
	v_mov_b32_e32 v8, 0x80
	s_and_saveexec_b64 s[10:11], vcc
	s_cbranch_execz .LBB110_1571
; %bb.1566:
	s_mov_b32 s14, 0x3bffffff
	v_cmp_lt_u32_e32 vcc, s14, v7
	s_mov_b64 s[22:23], 0
                                        ; implicit-def: $vgpr3
	s_and_saveexec_b64 s[24:25], vcc
	s_xor_b64 s[24:25], exec, s[24:25]
	s_cbranch_execz .LBB110_2020
; %bb.1567:
	v_bfe_u32 v3, v7, 20, 1
	s_mov_b32 s14, 0x487ffff
	v_add3_u32 v3, v7, v3, s14
	s_mov_b64 s[22:23], exec
	v_lshrrev_b32_e32 v3, 20, v3
                                        ; implicit-def: $vgpr7
	s_andn2_saveexec_b64 s[24:25], s[24:25]
	s_cbranch_execnz .LBB110_2021
.LBB110_1568:
	s_or_b64 exec, exec, s[24:25]
	v_mov_b32_e32 v8, 0
	s_and_saveexec_b64 s[24:25], s[22:23]
.LBB110_1569:
	v_mov_b32_e32 v8, v3
.LBB110_1570:
	s_or_b64 exec, exec, s[24:25]
.LBB110_1571:
	s_or_b64 exec, exec, s[10:11]
	global_store_byte v[0:1], v8, off
.LBB110_1572:
	s_mov_b64 s[10:11], -1
.LBB110_1573:
	s_mov_b64 s[22:23], 0
.LBB110_1574:
	s_and_b64 vcc, exec, s[22:23]
	s_cbranch_vccz .LBB110_1614
; %bb.1575:
	s_cmp_gt_i32 s13, 22
	s_mov_b64 s[6:7], -1
	s_cbranch_scc0 .LBB110_1607
; %bb.1576:
	s_cmp_lt_i32 s13, 24
	s_cbranch_scc1 .LBB110_1596
; %bb.1577:
	s_cmp_gt_i32 s13, 24
	s_cbranch_scc0 .LBB110_1585
; %bb.1578:
	v_cndmask_b32_e64 v7, 0, 1.0, s[2:3]
	s_mov_b32 s6, 0x47800000
	v_cmp_gt_u32_e32 vcc, s6, v7
	v_mov_b32_e32 v8, 0x80
	s_and_saveexec_b64 s[6:7], vcc
	s_cbranch_execz .LBB110_1584
; %bb.1579:
	s_mov_b32 s10, 0x37ffffff
	v_cmp_lt_u32_e32 vcc, s10, v7
	s_mov_b64 s[10:11], 0
                                        ; implicit-def: $vgpr3
	s_and_saveexec_b64 s[22:23], vcc
	s_xor_b64 s[22:23], exec, s[22:23]
	s_cbranch_execz .LBB110_2023
; %bb.1580:
	v_bfe_u32 v3, v7, 21, 1
	s_mov_b32 s14, 0x88fffff
	v_add3_u32 v3, v7, v3, s14
	s_mov_b64 s[10:11], exec
	v_lshrrev_b32_e32 v3, 21, v3
                                        ; implicit-def: $vgpr7
	s_andn2_saveexec_b64 s[22:23], s[22:23]
	s_cbranch_execnz .LBB110_2024
.LBB110_1581:
	s_or_b64 exec, exec, s[22:23]
	v_mov_b32_e32 v8, 0
	s_and_saveexec_b64 s[22:23], s[10:11]
.LBB110_1582:
	v_mov_b32_e32 v8, v3
.LBB110_1583:
	s_or_b64 exec, exec, s[22:23]
.LBB110_1584:
	s_or_b64 exec, exec, s[6:7]
	s_mov_b64 s[6:7], 0
	global_store_byte v[0:1], v8, off
.LBB110_1585:
	s_and_b64 vcc, exec, s[6:7]
	s_cbranch_vccz .LBB110_1595
; %bb.1586:
	v_cndmask_b32_e64 v3, 0, 1.0, s[2:3]
	s_mov_b32 s6, 0x43f00000
	v_cmp_gt_u32_e32 vcc, s6, v3
                                        ; implicit-def: $vgpr7
	s_and_saveexec_b64 s[6:7], vcc
	s_xor_b64 s[6:7], exec, s[6:7]
	s_cbranch_execz .LBB110_1592
; %bb.1587:
	s_mov_b32 s10, 0x3c7fffff
	v_cmp_lt_u32_e32 vcc, s10, v3
                                        ; implicit-def: $vgpr7
	s_and_saveexec_b64 s[10:11], vcc
	s_xor_b64 s[10:11], exec, s[10:11]
; %bb.1588:
	v_bfe_u32 v7, v3, 20, 1
	s_mov_b32 s14, 0x407ffff
	v_add3_u32 v3, v3, v7, s14
	v_lshrrev_b32_e32 v7, 20, v3
	v_and_b32_e32 v3, 0xff00000, v3
	s_mov_b32 s14, 0x7f00000
	v_mov_b32_e32 v8, 0x7e
	v_cmp_ne_u32_e32 vcc, s14, v3
	v_cndmask_b32_e32 v7, v8, v7, vcc
                                        ; implicit-def: $vgpr3
; %bb.1589:
	s_andn2_saveexec_b64 s[10:11], s[10:11]
; %bb.1590:
	v_add_f32_e32 v7, 0x46800000, v3
; %bb.1591:
	s_or_b64 exec, exec, s[10:11]
                                        ; implicit-def: $vgpr3
.LBB110_1592:
	s_andn2_saveexec_b64 s[6:7], s[6:7]
; %bb.1593:
	s_mov_b32 s10, 0x7f800000
	v_mov_b32_e32 v7, 0x7e
	v_mov_b32_e32 v8, 0x7f
	v_cmp_lt_u32_e32 vcc, s10, v3
	v_cndmask_b32_e32 v7, v7, v8, vcc
; %bb.1594:
	s_or_b64 exec, exec, s[6:7]
	global_store_byte v[0:1], v7, off
.LBB110_1595:
	s_mov_b64 s[6:7], 0
.LBB110_1596:
	s_andn2_b64 vcc, exec, s[6:7]
	s_cbranch_vccnz .LBB110_1606
; %bb.1597:
	v_cndmask_b32_e64 v3, 0, 1.0, s[2:3]
	s_mov_b32 s6, 0x47800000
	v_cmp_gt_u32_e32 vcc, s6, v3
                                        ; implicit-def: $vgpr7
	s_and_saveexec_b64 s[6:7], vcc
	s_xor_b64 s[6:7], exec, s[6:7]
	s_cbranch_execz .LBB110_1603
; %bb.1598:
	s_mov_b32 s10, 0x387fffff
	v_cmp_lt_u32_e32 vcc, s10, v3
                                        ; implicit-def: $vgpr7
	s_and_saveexec_b64 s[10:11], vcc
	s_xor_b64 s[10:11], exec, s[10:11]
; %bb.1599:
	v_bfe_u32 v7, v3, 21, 1
	s_mov_b32 s14, 0x80fffff
	v_add3_u32 v3, v3, v7, s14
	v_lshrrev_b32_e32 v7, 21, v3
                                        ; implicit-def: $vgpr3
; %bb.1600:
	s_andn2_saveexec_b64 s[10:11], s[10:11]
; %bb.1601:
	v_add_f32_e32 v7, 0x43000000, v3
; %bb.1602:
	s_or_b64 exec, exec, s[10:11]
                                        ; implicit-def: $vgpr3
.LBB110_1603:
	s_andn2_saveexec_b64 s[6:7], s[6:7]
; %bb.1604:
	s_mov_b32 s10, 0x7f800000
	v_mov_b32_e32 v7, 0x7c
	v_mov_b32_e32 v8, 0x7f
	v_cmp_lt_u32_e32 vcc, s10, v3
	v_cndmask_b32_e32 v7, v7, v8, vcc
; %bb.1605:
	s_or_b64 exec, exec, s[6:7]
	global_store_byte v[0:1], v7, off
.LBB110_1606:
	s_mov_b64 s[6:7], 0
	s_mov_b64 s[10:11], -1
.LBB110_1607:
	s_andn2_b64 vcc, exec, s[6:7]
	s_mov_b64 s[6:7], 0
	s_cbranch_vccnz .LBB110_1614
; %bb.1608:
	s_cmp_gt_i32 s13, 14
	s_mov_b64 s[22:23], -1
	s_cbranch_scc0 .LBB110_1612
; %bb.1609:
	s_cmp_eq_u32 s13, 15
	s_mov_b64 s[4:5], -1
	s_cbranch_scc0 .LBB110_1611
; %bb.1610:
	v_cndmask_b32_e64 v3, 0, 1.0, s[2:3]
	v_bfe_u32 v7, v3, 16, 1
	s_movk_i32 s4, 0x7fff
	v_add3_u32 v3, v3, v7, s4
	global_store_short_d16_hi v[0:1], v3, off
	s_mov_b64 s[4:5], 0
	s_mov_b64 s[10:11], -1
.LBB110_1611:
	s_mov_b64 s[22:23], 0
.LBB110_1612:
	s_and_b64 vcc, exec, s[22:23]
	s_cbranch_vccz .LBB110_1614
; %bb.1613:
	s_cmp_lg_u32 s13, 11
	s_mov_b64 s[6:7], -1
	s_cselect_b64 s[4:5], -1, 0
.LBB110_1614:
	s_and_b64 vcc, exec, s[4:5]
	s_cbranch_vccnz .LBB110_2022
; %bb.1615:
	s_andn2_b64 vcc, exec, s[6:7]
	s_cbranch_vccnz .LBB110_1617
.LBB110_1616:
	v_cndmask_b32_e64 v3, 0, 1, s[2:3]
	s_mov_b64 s[10:11], -1
	global_store_byte v[0:1], v3, off
.LBB110_1617:
	s_mov_b64 s[4:5], 0
	s_branch .LBB110_1619
.LBB110_1618:
	s_mov_b64 s[4:5], -1
	s_mov_b64 s[10:11], 0
.LBB110_1619:
	s_and_b64 vcc, exec, s[4:5]
	s_cbranch_vccz .LBB110_1658
; %bb.1620:
	s_and_b32 s6, 0xffff, s26
	s_cmp_lt_i32 s6, 5
	s_mov_b64 s[4:5], -1
	s_cbranch_scc1 .LBB110_1641
; %bb.1621:
	s_cmp_lt_i32 s6, 8
	s_cbranch_scc1 .LBB110_1631
; %bb.1622:
	s_cmp_lt_i32 s6, 9
	s_cbranch_scc1 .LBB110_1628
; %bb.1623:
	s_cmp_gt_i32 s6, 9
	s_cbranch_scc0 .LBB110_1625
; %bb.1624:
	v_cndmask_b32_e64 v3, 0, 1, s[2:3]
	v_cvt_f64_u32_e32 v[7:8], v3
	v_mov_b32_e32 v9, 0
	v_mov_b32_e32 v10, v9
	s_mov_b64 s[4:5], 0
	global_store_dwordx4 v[0:1], v[7:10], off
.LBB110_1625:
	s_andn2_b64 vcc, exec, s[4:5]
	s_cbranch_vccnz .LBB110_1627
; %bb.1626:
	v_cndmask_b32_e64 v7, 0, 1.0, s[2:3]
	v_mov_b32_e32 v8, 0
	global_store_dwordx2 v[0:1], v[7:8], off
.LBB110_1627:
	s_mov_b64 s[4:5], 0
.LBB110_1628:
	s_andn2_b64 vcc, exec, s[4:5]
	s_cbranch_vccnz .LBB110_1630
; %bb.1629:
	v_cndmask_b32_e64 v3, 0, 1.0, s[2:3]
	v_cvt_f16_f32_e32 v3, v3
	global_store_dword v[0:1], v3, off
.LBB110_1630:
	s_mov_b64 s[4:5], 0
.LBB110_1631:
	s_andn2_b64 vcc, exec, s[4:5]
	s_cbranch_vccnz .LBB110_1640
; %bb.1632:
	s_cmp_lt_i32 s6, 6
	s_mov_b64 s[4:5], -1
	s_cbranch_scc1 .LBB110_1638
; %bb.1633:
	s_cmp_gt_i32 s6, 6
	s_cbranch_scc0 .LBB110_1635
; %bb.1634:
	v_cndmask_b32_e64 v3, 0, 1, s[2:3]
	v_cvt_f64_u32_e32 v[7:8], v3
	s_mov_b64 s[4:5], 0
	global_store_dwordx2 v[0:1], v[7:8], off
.LBB110_1635:
	s_andn2_b64 vcc, exec, s[4:5]
	s_cbranch_vccnz .LBB110_1637
; %bb.1636:
	v_cndmask_b32_e64 v3, 0, 1.0, s[2:3]
	global_store_dword v[0:1], v3, off
.LBB110_1637:
	s_mov_b64 s[4:5], 0
.LBB110_1638:
	s_andn2_b64 vcc, exec, s[4:5]
	s_cbranch_vccnz .LBB110_1640
; %bb.1639:
	v_cndmask_b32_e64 v3, 0, 1.0, s[2:3]
	v_cvt_f16_f32_e32 v3, v3
	global_store_short v[0:1], v3, off
.LBB110_1640:
	s_mov_b64 s[4:5], 0
.LBB110_1641:
	s_andn2_b64 vcc, exec, s[4:5]
	s_cbranch_vccnz .LBB110_1657
; %bb.1642:
	s_cmp_lt_i32 s6, 2
	s_mov_b64 s[4:5], -1
	s_cbranch_scc1 .LBB110_1652
; %bb.1643:
	s_cmp_lt_i32 s6, 3
	s_cbranch_scc1 .LBB110_1649
; %bb.1644:
	s_cmp_gt_i32 s6, 3
	s_cbranch_scc0 .LBB110_1646
; %bb.1645:
	s_mov_b32 s4, 0
	v_cndmask_b32_e64 v7, 0, 1, s[2:3]
	v_mov_b32_e32 v8, s4
	global_store_dwordx2 v[0:1], v[7:8], off
	s_mov_b64 s[4:5], 0
.LBB110_1646:
	s_andn2_b64 vcc, exec, s[4:5]
	s_cbranch_vccnz .LBB110_1648
; %bb.1647:
	v_cndmask_b32_e64 v3, 0, 1, s[2:3]
	global_store_dword v[0:1], v3, off
.LBB110_1648:
	s_mov_b64 s[4:5], 0
.LBB110_1649:
	s_andn2_b64 vcc, exec, s[4:5]
	s_cbranch_vccnz .LBB110_1651
; %bb.1650:
	v_cndmask_b32_e64 v3, 0, 1, s[2:3]
	global_store_short v[0:1], v3, off
.LBB110_1651:
	s_mov_b64 s[4:5], 0
.LBB110_1652:
	s_andn2_b64 vcc, exec, s[4:5]
	s_cbranch_vccnz .LBB110_1657
; %bb.1653:
	s_mov_b64 s[4:5], -1
	s_cmp_gt_i32 s6, 0
	v_cndmask_b32_e64 v3, 0, 1, s[2:3]
	s_cbranch_scc0 .LBB110_1655
; %bb.1654:
	global_store_byte v[0:1], v3, off
	s_mov_b64 s[4:5], 0
.LBB110_1655:
	s_andn2_b64 vcc, exec, s[4:5]
	s_cbranch_vccnz .LBB110_1657
; %bb.1656:
	global_store_byte v[0:1], v3, off
.LBB110_1657:
	s_mov_b64 s[10:11], -1
.LBB110_1658:
	s_andn2_b64 vcc, exec, s[10:11]
	s_cbranch_vccnz .LBB110_1973
; %bb.1659:
	v_cmp_eq_f32_e32 vcc, s15, v4
	v_cndmask_b32_e64 v0, 0, 1, vcc
	v_cmp_neq_f32_e32 vcc, s15, v4
	v_cndmask_b32_e64 v1, 0, 1, vcc
	v_cndmask_b32_e64 v0, v1, v0, s[0:1]
	s_lshl_b32 s14, s12, 7
	v_and_b32_e32 v0, 1, v0
	v_add_u32_e32 v2, s14, v2
	v_cmp_eq_u32_e64 s[2:3], 1, v0
	v_ashrrev_i32_e32 v1, 31, v2
	v_mov_b32_e32 v3, s9
	v_add_co_u32_e32 v0, vcc, s8, v2
	s_cmp_lt_i32 s26, 11
	v_addc_co_u32_e32 v1, vcc, v3, v1, vcc
	s_cbranch_scc1 .LBB110_1737
; %bb.1660:
	s_and_b32 s24, 0xffff, s26
	s_mov_b64 s[12:13], -1
	s_mov_b64 s[6:7], 0
	s_cmp_gt_i32 s24, 25
	s_mov_b64 s[10:11], 0
	s_mov_b64 s[4:5], 0
	s_cbranch_scc0 .LBB110_1693
; %bb.1661:
	s_cmp_gt_i32 s24, 28
	s_cbranch_scc0 .LBB110_1676
; %bb.1662:
	s_cmp_gt_i32 s24, 43
	;; [unrolled: 3-line block ×3, first 2 shown]
	s_cbranch_scc0 .LBB110_1666
; %bb.1664:
	s_mov_b64 s[4:5], -1
	s_mov_b64 s[12:13], 0
	s_cmp_eq_u32 s24, 46
	s_cbranch_scc0 .LBB110_1666
; %bb.1665:
	v_cndmask_b32_e64 v3, 0, 1.0, s[2:3]
	v_bfe_u32 v4, v3, 16, 1
	s_movk_i32 s4, 0x7fff
	v_add3_u32 v3, v3, v4, s4
	v_lshrrev_b32_e32 v3, 16, v3
	global_store_dword v[0:1], v3, off
	s_mov_b64 s[4:5], 0
	s_mov_b64 s[10:11], -1
.LBB110_1666:
	s_and_b64 vcc, exec, s[12:13]
	s_cbranch_vccz .LBB110_1671
; %bb.1667:
	s_cmp_eq_u32 s24, 44
	s_mov_b64 s[4:5], -1
	s_cbranch_scc0 .LBB110_1671
; %bb.1668:
	v_cndmask_b32_e64 v4, 0, 1.0, s[2:3]
	v_lshrrev_b32_e32 v3, 23, v4
	s_movk_i32 s4, 0xff
	v_cmp_ne_u32_e32 vcc, s4, v3
	v_mov_b32_e32 v7, 0xff
	s_and_saveexec_b64 s[10:11], vcc
; %bb.1669:
	s_mov_b32 s4, 0x3fffff
	v_and_b32_e32 v7, 0x400000, v4
	v_and_or_b32 v4, v4, s4, v3
	v_cmp_ne_u32_e32 vcc, 0, v7
	v_cmp_ne_u32_e64 s[4:5], 0, v4
	s_and_b64 s[4:5], vcc, s[4:5]
	v_cndmask_b32_e64 v4, 0, 1, s[4:5]
	v_add_u32_e32 v7, v3, v4
; %bb.1670:
	s_or_b64 exec, exec, s[10:11]
	s_mov_b64 s[4:5], 0
	s_mov_b64 s[10:11], -1
	global_store_byte v[0:1], v7, off
.LBB110_1671:
	s_mov_b64 s[12:13], 0
.LBB110_1672:
	s_and_b64 vcc, exec, s[12:13]
	s_cbranch_vccz .LBB110_1675
; %bb.1673:
	s_cmp_eq_u32 s24, 29
	s_mov_b64 s[4:5], -1
	s_cbranch_scc0 .LBB110_1675
; %bb.1674:
	s_mov_b32 s4, 0
	v_cndmask_b32_e64 v3, 0, 1, s[2:3]
	v_mov_b32_e32 v4, s4
	global_store_dwordx2 v[0:1], v[3:4], off
	s_mov_b64 s[4:5], 0
	s_mov_b64 s[10:11], -1
.LBB110_1675:
	s_mov_b64 s[12:13], 0
.LBB110_1676:
	s_and_b64 vcc, exec, s[12:13]
	s_cbranch_vccz .LBB110_1692
; %bb.1677:
	s_cmp_lt_i32 s24, 27
	s_mov_b64 s[10:11], -1
	s_cbranch_scc1 .LBB110_1683
; %bb.1678:
	s_cmp_gt_i32 s24, 27
	s_cbranch_scc0 .LBB110_1680
; %bb.1679:
	v_cndmask_b32_e64 v3, 0, 1, s[2:3]
	s_mov_b64 s[10:11], 0
	global_store_dword v[0:1], v3, off
.LBB110_1680:
	s_andn2_b64 vcc, exec, s[10:11]
	s_cbranch_vccnz .LBB110_1682
; %bb.1681:
	v_cndmask_b32_e64 v3, 0, 1, s[2:3]
	global_store_short v[0:1], v3, off
.LBB110_1682:
	s_mov_b64 s[10:11], 0
.LBB110_1683:
	s_andn2_b64 vcc, exec, s[10:11]
	s_cbranch_vccnz .LBB110_1691
; %bb.1684:
	v_cndmask_b32_e64 v4, 0, 1.0, s[2:3]
	s_mov_b32 s10, 0x43800000
	v_cmp_gt_u32_e32 vcc, s10, v4
	v_mov_b32_e32 v7, 0x80
	s_and_saveexec_b64 s[10:11], vcc
	s_cbranch_execz .LBB110_1690
; %bb.1685:
	s_mov_b32 s12, 0x3bffffff
	v_cmp_lt_u32_e32 vcc, s12, v4
	s_mov_b64 s[12:13], 0
                                        ; implicit-def: $vgpr3
	s_and_saveexec_b64 s[22:23], vcc
	s_xor_b64 s[22:23], exec, s[22:23]
	s_cbranch_execz .LBB110_2025
; %bb.1686:
	v_bfe_u32 v3, v4, 20, 1
	s_mov_b32 s25, 0x487ffff
	v_add3_u32 v3, v4, v3, s25
	s_mov_b64 s[12:13], exec
	v_lshrrev_b32_e32 v3, 20, v3
                                        ; implicit-def: $vgpr4
	s_andn2_saveexec_b64 s[22:23], s[22:23]
	s_cbranch_execnz .LBB110_2026
.LBB110_1687:
	s_or_b64 exec, exec, s[22:23]
	v_mov_b32_e32 v7, 0
	s_and_saveexec_b64 s[22:23], s[12:13]
.LBB110_1688:
	v_mov_b32_e32 v7, v3
.LBB110_1689:
	s_or_b64 exec, exec, s[22:23]
.LBB110_1690:
	s_or_b64 exec, exec, s[10:11]
	global_store_byte v[0:1], v7, off
.LBB110_1691:
	s_mov_b64 s[10:11], -1
.LBB110_1692:
	s_mov_b64 s[12:13], 0
.LBB110_1693:
	s_and_b64 vcc, exec, s[12:13]
	s_cbranch_vccz .LBB110_1733
; %bb.1694:
	s_cmp_gt_i32 s24, 22
	s_mov_b64 s[6:7], -1
	s_cbranch_scc0 .LBB110_1726
; %bb.1695:
	s_cmp_lt_i32 s24, 24
	s_cbranch_scc1 .LBB110_1715
; %bb.1696:
	s_cmp_gt_i32 s24, 24
	s_cbranch_scc0 .LBB110_1704
; %bb.1697:
	v_cndmask_b32_e64 v4, 0, 1.0, s[2:3]
	s_mov_b32 s6, 0x47800000
	v_cmp_gt_u32_e32 vcc, s6, v4
	v_mov_b32_e32 v7, 0x80
	s_and_saveexec_b64 s[6:7], vcc
	s_cbranch_execz .LBB110_1703
; %bb.1698:
	s_mov_b32 s10, 0x37ffffff
	v_cmp_lt_u32_e32 vcc, s10, v4
	s_mov_b64 s[10:11], 0
                                        ; implicit-def: $vgpr3
	s_and_saveexec_b64 s[12:13], vcc
	s_xor_b64 s[12:13], exec, s[12:13]
	s_cbranch_execz .LBB110_2028
; %bb.1699:
	v_bfe_u32 v3, v4, 21, 1
	s_mov_b32 s22, 0x88fffff
	v_add3_u32 v3, v4, v3, s22
	s_mov_b64 s[10:11], exec
	v_lshrrev_b32_e32 v3, 21, v3
                                        ; implicit-def: $vgpr4
	s_andn2_saveexec_b64 s[12:13], s[12:13]
	s_cbranch_execnz .LBB110_2029
.LBB110_1700:
	s_or_b64 exec, exec, s[12:13]
	v_mov_b32_e32 v7, 0
	s_and_saveexec_b64 s[12:13], s[10:11]
.LBB110_1701:
	v_mov_b32_e32 v7, v3
.LBB110_1702:
	s_or_b64 exec, exec, s[12:13]
.LBB110_1703:
	s_or_b64 exec, exec, s[6:7]
	s_mov_b64 s[6:7], 0
	global_store_byte v[0:1], v7, off
.LBB110_1704:
	s_and_b64 vcc, exec, s[6:7]
	s_cbranch_vccz .LBB110_1714
; %bb.1705:
	v_cndmask_b32_e64 v3, 0, 1.0, s[2:3]
	s_mov_b32 s6, 0x43f00000
	v_cmp_gt_u32_e32 vcc, s6, v3
                                        ; implicit-def: $vgpr4
	s_and_saveexec_b64 s[6:7], vcc
	s_xor_b64 s[6:7], exec, s[6:7]
	s_cbranch_execz .LBB110_1711
; %bb.1706:
	s_mov_b32 s10, 0x3c7fffff
	v_cmp_lt_u32_e32 vcc, s10, v3
                                        ; implicit-def: $vgpr4
	s_and_saveexec_b64 s[10:11], vcc
	s_xor_b64 s[10:11], exec, s[10:11]
; %bb.1707:
	v_bfe_u32 v4, v3, 20, 1
	s_mov_b32 s12, 0x407ffff
	v_add3_u32 v3, v3, v4, s12
	v_lshrrev_b32_e32 v4, 20, v3
	v_and_b32_e32 v3, 0xff00000, v3
	s_mov_b32 s12, 0x7f00000
	v_mov_b32_e32 v7, 0x7e
	v_cmp_ne_u32_e32 vcc, s12, v3
	v_cndmask_b32_e32 v4, v7, v4, vcc
                                        ; implicit-def: $vgpr3
; %bb.1708:
	s_andn2_saveexec_b64 s[10:11], s[10:11]
; %bb.1709:
	v_add_f32_e32 v4, 0x46800000, v3
; %bb.1710:
	s_or_b64 exec, exec, s[10:11]
                                        ; implicit-def: $vgpr3
.LBB110_1711:
	s_andn2_saveexec_b64 s[6:7], s[6:7]
; %bb.1712:
	s_mov_b32 s10, 0x7f800000
	v_mov_b32_e32 v4, 0x7e
	v_mov_b32_e32 v7, 0x7f
	v_cmp_lt_u32_e32 vcc, s10, v3
	v_cndmask_b32_e32 v4, v4, v7, vcc
; %bb.1713:
	s_or_b64 exec, exec, s[6:7]
	global_store_byte v[0:1], v4, off
.LBB110_1714:
	s_mov_b64 s[6:7], 0
.LBB110_1715:
	s_andn2_b64 vcc, exec, s[6:7]
	s_cbranch_vccnz .LBB110_1725
; %bb.1716:
	v_cndmask_b32_e64 v3, 0, 1.0, s[2:3]
	s_mov_b32 s6, 0x47800000
	v_cmp_gt_u32_e32 vcc, s6, v3
                                        ; implicit-def: $vgpr4
	s_and_saveexec_b64 s[6:7], vcc
	s_xor_b64 s[6:7], exec, s[6:7]
	s_cbranch_execz .LBB110_1722
; %bb.1717:
	s_mov_b32 s10, 0x387fffff
	v_cmp_lt_u32_e32 vcc, s10, v3
                                        ; implicit-def: $vgpr4
	s_and_saveexec_b64 s[10:11], vcc
	s_xor_b64 s[10:11], exec, s[10:11]
; %bb.1718:
	v_bfe_u32 v4, v3, 21, 1
	s_mov_b32 s12, 0x80fffff
	v_add3_u32 v3, v3, v4, s12
	v_lshrrev_b32_e32 v4, 21, v3
                                        ; implicit-def: $vgpr3
; %bb.1719:
	s_andn2_saveexec_b64 s[10:11], s[10:11]
; %bb.1720:
	v_add_f32_e32 v4, 0x43000000, v3
; %bb.1721:
	s_or_b64 exec, exec, s[10:11]
                                        ; implicit-def: $vgpr3
.LBB110_1722:
	s_andn2_saveexec_b64 s[6:7], s[6:7]
; %bb.1723:
	s_mov_b32 s10, 0x7f800000
	v_mov_b32_e32 v4, 0x7c
	v_mov_b32_e32 v7, 0x7f
	v_cmp_lt_u32_e32 vcc, s10, v3
	v_cndmask_b32_e32 v4, v4, v7, vcc
; %bb.1724:
	s_or_b64 exec, exec, s[6:7]
	global_store_byte v[0:1], v4, off
.LBB110_1725:
	s_mov_b64 s[6:7], 0
	s_mov_b64 s[10:11], -1
.LBB110_1726:
	s_andn2_b64 vcc, exec, s[6:7]
	s_mov_b64 s[6:7], 0
	s_cbranch_vccnz .LBB110_1733
; %bb.1727:
	s_cmp_gt_i32 s24, 14
	s_mov_b64 s[12:13], -1
	s_cbranch_scc0 .LBB110_1731
; %bb.1728:
	s_cmp_eq_u32 s24, 15
	s_mov_b64 s[4:5], -1
	s_cbranch_scc0 .LBB110_1730
; %bb.1729:
	v_cndmask_b32_e64 v3, 0, 1.0, s[2:3]
	v_bfe_u32 v4, v3, 16, 1
	s_movk_i32 s4, 0x7fff
	v_add3_u32 v3, v3, v4, s4
	global_store_short_d16_hi v[0:1], v3, off
	s_mov_b64 s[4:5], 0
	s_mov_b64 s[10:11], -1
.LBB110_1730:
	s_mov_b64 s[12:13], 0
.LBB110_1731:
	s_and_b64 vcc, exec, s[12:13]
	s_cbranch_vccz .LBB110_1733
; %bb.1732:
	s_cmp_lg_u32 s24, 11
	s_mov_b64 s[6:7], -1
	s_cselect_b64 s[4:5], -1, 0
.LBB110_1733:
	s_and_b64 vcc, exec, s[4:5]
	s_cbranch_vccnz .LBB110_2027
; %bb.1734:
	s_andn2_b64 vcc, exec, s[6:7]
	s_cbranch_vccnz .LBB110_1736
.LBB110_1735:
	v_cndmask_b32_e64 v3, 0, 1, s[2:3]
	s_mov_b64 s[10:11], -1
	global_store_byte v[0:1], v3, off
.LBB110_1736:
	s_mov_b64 s[4:5], 0
	s_branch .LBB110_1738
.LBB110_1737:
	s_mov_b64 s[4:5], -1
	s_mov_b64 s[10:11], 0
.LBB110_1738:
	s_and_b64 vcc, exec, s[4:5]
	s_cbranch_vccz .LBB110_1777
; %bb.1739:
	s_and_b32 s6, 0xffff, s26
	s_cmp_lt_i32 s6, 5
	s_mov_b64 s[4:5], -1
	s_cbranch_scc1 .LBB110_1760
; %bb.1740:
	s_cmp_lt_i32 s6, 8
	s_cbranch_scc1 .LBB110_1750
; %bb.1741:
	s_cmp_lt_i32 s6, 9
	s_cbranch_scc1 .LBB110_1747
; %bb.1742:
	s_cmp_gt_i32 s6, 9
	s_cbranch_scc0 .LBB110_1744
; %bb.1743:
	v_cndmask_b32_e64 v3, 0, 1, s[2:3]
	v_cvt_f64_u32_e32 v[7:8], v3
	v_mov_b32_e32 v9, 0
	v_mov_b32_e32 v10, v9
	s_mov_b64 s[4:5], 0
	global_store_dwordx4 v[0:1], v[7:10], off
.LBB110_1744:
	s_andn2_b64 vcc, exec, s[4:5]
	s_cbranch_vccnz .LBB110_1746
; %bb.1745:
	v_cndmask_b32_e64 v3, 0, 1.0, s[2:3]
	v_mov_b32_e32 v4, 0
	global_store_dwordx2 v[0:1], v[3:4], off
.LBB110_1746:
	s_mov_b64 s[4:5], 0
.LBB110_1747:
	s_andn2_b64 vcc, exec, s[4:5]
	s_cbranch_vccnz .LBB110_1749
; %bb.1748:
	v_cndmask_b32_e64 v3, 0, 1.0, s[2:3]
	v_cvt_f16_f32_e32 v3, v3
	global_store_dword v[0:1], v3, off
.LBB110_1749:
	s_mov_b64 s[4:5], 0
.LBB110_1750:
	s_andn2_b64 vcc, exec, s[4:5]
	s_cbranch_vccnz .LBB110_1759
; %bb.1751:
	s_cmp_lt_i32 s6, 6
	s_mov_b64 s[4:5], -1
	s_cbranch_scc1 .LBB110_1757
; %bb.1752:
	s_cmp_gt_i32 s6, 6
	s_cbranch_scc0 .LBB110_1754
; %bb.1753:
	v_cndmask_b32_e64 v3, 0, 1, s[2:3]
	v_cvt_f64_u32_e32 v[3:4], v3
	s_mov_b64 s[4:5], 0
	global_store_dwordx2 v[0:1], v[3:4], off
.LBB110_1754:
	s_andn2_b64 vcc, exec, s[4:5]
	s_cbranch_vccnz .LBB110_1756
; %bb.1755:
	v_cndmask_b32_e64 v3, 0, 1.0, s[2:3]
	global_store_dword v[0:1], v3, off
.LBB110_1756:
	s_mov_b64 s[4:5], 0
.LBB110_1757:
	s_andn2_b64 vcc, exec, s[4:5]
	s_cbranch_vccnz .LBB110_1759
; %bb.1758:
	v_cndmask_b32_e64 v3, 0, 1.0, s[2:3]
	v_cvt_f16_f32_e32 v3, v3
	global_store_short v[0:1], v3, off
.LBB110_1759:
	s_mov_b64 s[4:5], 0
.LBB110_1760:
	s_andn2_b64 vcc, exec, s[4:5]
	s_cbranch_vccnz .LBB110_1776
; %bb.1761:
	s_cmp_lt_i32 s6, 2
	s_mov_b64 s[4:5], -1
	s_cbranch_scc1 .LBB110_1771
; %bb.1762:
	s_cmp_lt_i32 s6, 3
	s_cbranch_scc1 .LBB110_1768
; %bb.1763:
	s_cmp_gt_i32 s6, 3
	s_cbranch_scc0 .LBB110_1765
; %bb.1764:
	s_mov_b32 s4, 0
	v_cndmask_b32_e64 v3, 0, 1, s[2:3]
	v_mov_b32_e32 v4, s4
	global_store_dwordx2 v[0:1], v[3:4], off
	s_mov_b64 s[4:5], 0
.LBB110_1765:
	s_andn2_b64 vcc, exec, s[4:5]
	s_cbranch_vccnz .LBB110_1767
; %bb.1766:
	v_cndmask_b32_e64 v3, 0, 1, s[2:3]
	global_store_dword v[0:1], v3, off
.LBB110_1767:
	s_mov_b64 s[4:5], 0
.LBB110_1768:
	s_andn2_b64 vcc, exec, s[4:5]
	s_cbranch_vccnz .LBB110_1770
; %bb.1769:
	v_cndmask_b32_e64 v3, 0, 1, s[2:3]
	global_store_short v[0:1], v3, off
.LBB110_1770:
	s_mov_b64 s[4:5], 0
.LBB110_1771:
	s_andn2_b64 vcc, exec, s[4:5]
	s_cbranch_vccnz .LBB110_1776
; %bb.1772:
	s_mov_b64 s[4:5], -1
	s_cmp_gt_i32 s6, 0
	v_cndmask_b32_e64 v3, 0, 1, s[2:3]
	s_cbranch_scc0 .LBB110_1774
; %bb.1773:
	global_store_byte v[0:1], v3, off
	s_mov_b64 s[4:5], 0
.LBB110_1774:
	s_andn2_b64 vcc, exec, s[4:5]
	s_cbranch_vccnz .LBB110_1776
; %bb.1775:
	global_store_byte v[0:1], v3, off
.LBB110_1776:
	s_mov_b64 s[10:11], -1
.LBB110_1777:
	s_andn2_b64 vcc, exec, s[10:11]
	s_cbranch_vccnz .LBB110_1973
; %bb.1778:
	v_cmp_eq_f32_e32 vcc, s15, v5
	v_cndmask_b32_e64 v0, 0, 1, vcc
	v_cmp_neq_f32_e32 vcc, s15, v5
	v_cndmask_b32_e64 v1, 0, 1, vcc
	v_cndmask_b32_e64 v0, v1, v0, s[0:1]
	v_and_b32_e32 v0, 1, v0
	v_add_u32_e32 v2, s14, v2
	v_cmp_eq_u32_e64 s[2:3], 1, v0
	v_ashrrev_i32_e32 v1, 31, v2
	v_mov_b32_e32 v3, s9
	v_add_co_u32_e32 v0, vcc, s8, v2
	s_cmp_lt_i32 s26, 11
	v_addc_co_u32_e32 v1, vcc, v3, v1, vcc
	s_cbranch_scc1 .LBB110_1856
; %bb.1779:
	s_and_b32 s24, 0xffff, s26
	s_mov_b64 s[12:13], -1
	s_mov_b64 s[6:7], 0
	s_cmp_gt_i32 s24, 25
	s_mov_b64 s[10:11], 0
	s_mov_b64 s[4:5], 0
	s_cbranch_scc0 .LBB110_1812
; %bb.1780:
	s_cmp_gt_i32 s24, 28
	s_cbranch_scc0 .LBB110_1795
; %bb.1781:
	s_cmp_gt_i32 s24, 43
	;; [unrolled: 3-line block ×3, first 2 shown]
	s_cbranch_scc0 .LBB110_1785
; %bb.1783:
	s_mov_b64 s[4:5], -1
	s_mov_b64 s[12:13], 0
	s_cmp_eq_u32 s24, 46
	s_cbranch_scc0 .LBB110_1785
; %bb.1784:
	v_cndmask_b32_e64 v3, 0, 1.0, s[2:3]
	v_bfe_u32 v4, v3, 16, 1
	s_movk_i32 s4, 0x7fff
	v_add3_u32 v3, v3, v4, s4
	v_lshrrev_b32_e32 v3, 16, v3
	global_store_dword v[0:1], v3, off
	s_mov_b64 s[4:5], 0
	s_mov_b64 s[10:11], -1
.LBB110_1785:
	s_and_b64 vcc, exec, s[12:13]
	s_cbranch_vccz .LBB110_1790
; %bb.1786:
	s_cmp_eq_u32 s24, 44
	s_mov_b64 s[4:5], -1
	s_cbranch_scc0 .LBB110_1790
; %bb.1787:
	v_cndmask_b32_e64 v4, 0, 1.0, s[2:3]
	v_lshrrev_b32_e32 v3, 23, v4
	s_movk_i32 s4, 0xff
	v_cmp_ne_u32_e32 vcc, s4, v3
	v_mov_b32_e32 v5, 0xff
	s_and_saveexec_b64 s[10:11], vcc
; %bb.1788:
	s_mov_b32 s4, 0x3fffff
	v_and_b32_e32 v5, 0x400000, v4
	v_and_or_b32 v4, v4, s4, v3
	v_cmp_ne_u32_e32 vcc, 0, v5
	v_cmp_ne_u32_e64 s[4:5], 0, v4
	s_and_b64 s[4:5], vcc, s[4:5]
	v_cndmask_b32_e64 v4, 0, 1, s[4:5]
	v_add_u32_e32 v5, v3, v4
; %bb.1789:
	s_or_b64 exec, exec, s[10:11]
	s_mov_b64 s[4:5], 0
	s_mov_b64 s[10:11], -1
	global_store_byte v[0:1], v5, off
.LBB110_1790:
	s_mov_b64 s[12:13], 0
.LBB110_1791:
	s_and_b64 vcc, exec, s[12:13]
	s_cbranch_vccz .LBB110_1794
; %bb.1792:
	s_cmp_eq_u32 s24, 29
	s_mov_b64 s[4:5], -1
	s_cbranch_scc0 .LBB110_1794
; %bb.1793:
	s_mov_b32 s4, 0
	v_cndmask_b32_e64 v3, 0, 1, s[2:3]
	v_mov_b32_e32 v4, s4
	global_store_dwordx2 v[0:1], v[3:4], off
	s_mov_b64 s[4:5], 0
	s_mov_b64 s[10:11], -1
.LBB110_1794:
	s_mov_b64 s[12:13], 0
.LBB110_1795:
	s_and_b64 vcc, exec, s[12:13]
	s_cbranch_vccz .LBB110_1811
; %bb.1796:
	s_cmp_lt_i32 s24, 27
	s_mov_b64 s[10:11], -1
	s_cbranch_scc1 .LBB110_1802
; %bb.1797:
	s_cmp_gt_i32 s24, 27
	s_cbranch_scc0 .LBB110_1799
; %bb.1798:
	v_cndmask_b32_e64 v3, 0, 1, s[2:3]
	s_mov_b64 s[10:11], 0
	global_store_dword v[0:1], v3, off
.LBB110_1799:
	s_andn2_b64 vcc, exec, s[10:11]
	s_cbranch_vccnz .LBB110_1801
; %bb.1800:
	v_cndmask_b32_e64 v3, 0, 1, s[2:3]
	global_store_short v[0:1], v3, off
.LBB110_1801:
	s_mov_b64 s[10:11], 0
.LBB110_1802:
	s_andn2_b64 vcc, exec, s[10:11]
	s_cbranch_vccnz .LBB110_1810
; %bb.1803:
	v_cndmask_b32_e64 v4, 0, 1.0, s[2:3]
	s_mov_b32 s10, 0x43800000
	v_cmp_gt_u32_e32 vcc, s10, v4
	v_mov_b32_e32 v5, 0x80
	s_and_saveexec_b64 s[10:11], vcc
	s_cbranch_execz .LBB110_1809
; %bb.1804:
	s_mov_b32 s12, 0x3bffffff
	v_cmp_lt_u32_e32 vcc, s12, v4
	s_mov_b64 s[12:13], 0
                                        ; implicit-def: $vgpr3
	s_and_saveexec_b64 s[22:23], vcc
	s_xor_b64 s[22:23], exec, s[22:23]
	s_cbranch_execz .LBB110_2030
; %bb.1805:
	v_bfe_u32 v3, v4, 20, 1
	s_mov_b32 s25, 0x487ffff
	v_add3_u32 v3, v4, v3, s25
	s_mov_b64 s[12:13], exec
	v_lshrrev_b32_e32 v3, 20, v3
                                        ; implicit-def: $vgpr4
	s_andn2_saveexec_b64 s[22:23], s[22:23]
	s_cbranch_execnz .LBB110_2031
.LBB110_1806:
	s_or_b64 exec, exec, s[22:23]
	v_mov_b32_e32 v5, 0
	s_and_saveexec_b64 s[22:23], s[12:13]
.LBB110_1807:
	v_mov_b32_e32 v5, v3
.LBB110_1808:
	s_or_b64 exec, exec, s[22:23]
.LBB110_1809:
	s_or_b64 exec, exec, s[10:11]
	global_store_byte v[0:1], v5, off
.LBB110_1810:
	s_mov_b64 s[10:11], -1
.LBB110_1811:
	s_mov_b64 s[12:13], 0
.LBB110_1812:
	s_and_b64 vcc, exec, s[12:13]
	s_cbranch_vccz .LBB110_1852
; %bb.1813:
	s_cmp_gt_i32 s24, 22
	s_mov_b64 s[6:7], -1
	s_cbranch_scc0 .LBB110_1845
; %bb.1814:
	s_cmp_lt_i32 s24, 24
	s_cbranch_scc1 .LBB110_1834
; %bb.1815:
	s_cmp_gt_i32 s24, 24
	s_cbranch_scc0 .LBB110_1823
; %bb.1816:
	v_cndmask_b32_e64 v4, 0, 1.0, s[2:3]
	s_mov_b32 s6, 0x47800000
	v_cmp_gt_u32_e32 vcc, s6, v4
	v_mov_b32_e32 v5, 0x80
	s_and_saveexec_b64 s[6:7], vcc
	s_cbranch_execz .LBB110_1822
; %bb.1817:
	s_mov_b32 s10, 0x37ffffff
	v_cmp_lt_u32_e32 vcc, s10, v4
	s_mov_b64 s[10:11], 0
                                        ; implicit-def: $vgpr3
	s_and_saveexec_b64 s[12:13], vcc
	s_xor_b64 s[12:13], exec, s[12:13]
	s_cbranch_execz .LBB110_2033
; %bb.1818:
	v_bfe_u32 v3, v4, 21, 1
	s_mov_b32 s22, 0x88fffff
	v_add3_u32 v3, v4, v3, s22
	s_mov_b64 s[10:11], exec
	v_lshrrev_b32_e32 v3, 21, v3
                                        ; implicit-def: $vgpr4
	s_andn2_saveexec_b64 s[12:13], s[12:13]
	s_cbranch_execnz .LBB110_2034
.LBB110_1819:
	s_or_b64 exec, exec, s[12:13]
	v_mov_b32_e32 v5, 0
	s_and_saveexec_b64 s[12:13], s[10:11]
.LBB110_1820:
	v_mov_b32_e32 v5, v3
.LBB110_1821:
	s_or_b64 exec, exec, s[12:13]
.LBB110_1822:
	s_or_b64 exec, exec, s[6:7]
	s_mov_b64 s[6:7], 0
	global_store_byte v[0:1], v5, off
.LBB110_1823:
	s_and_b64 vcc, exec, s[6:7]
	s_cbranch_vccz .LBB110_1833
; %bb.1824:
	v_cndmask_b32_e64 v3, 0, 1.0, s[2:3]
	s_mov_b32 s6, 0x43f00000
	v_cmp_gt_u32_e32 vcc, s6, v3
                                        ; implicit-def: $vgpr4
	s_and_saveexec_b64 s[6:7], vcc
	s_xor_b64 s[6:7], exec, s[6:7]
	s_cbranch_execz .LBB110_1830
; %bb.1825:
	s_mov_b32 s10, 0x3c7fffff
	v_cmp_lt_u32_e32 vcc, s10, v3
                                        ; implicit-def: $vgpr4
	s_and_saveexec_b64 s[10:11], vcc
	s_xor_b64 s[10:11], exec, s[10:11]
; %bb.1826:
	v_bfe_u32 v4, v3, 20, 1
	s_mov_b32 s12, 0x407ffff
	v_add3_u32 v3, v3, v4, s12
	v_lshrrev_b32_e32 v4, 20, v3
	v_and_b32_e32 v3, 0xff00000, v3
	s_mov_b32 s12, 0x7f00000
	v_mov_b32_e32 v5, 0x7e
	v_cmp_ne_u32_e32 vcc, s12, v3
	v_cndmask_b32_e32 v4, v5, v4, vcc
                                        ; implicit-def: $vgpr3
; %bb.1827:
	s_andn2_saveexec_b64 s[10:11], s[10:11]
; %bb.1828:
	v_add_f32_e32 v4, 0x46800000, v3
; %bb.1829:
	s_or_b64 exec, exec, s[10:11]
                                        ; implicit-def: $vgpr3
.LBB110_1830:
	s_andn2_saveexec_b64 s[6:7], s[6:7]
; %bb.1831:
	s_mov_b32 s10, 0x7f800000
	v_mov_b32_e32 v4, 0x7e
	v_mov_b32_e32 v5, 0x7f
	v_cmp_lt_u32_e32 vcc, s10, v3
	v_cndmask_b32_e32 v4, v4, v5, vcc
; %bb.1832:
	s_or_b64 exec, exec, s[6:7]
	global_store_byte v[0:1], v4, off
.LBB110_1833:
	s_mov_b64 s[6:7], 0
.LBB110_1834:
	s_andn2_b64 vcc, exec, s[6:7]
	s_cbranch_vccnz .LBB110_1844
; %bb.1835:
	v_cndmask_b32_e64 v3, 0, 1.0, s[2:3]
	s_mov_b32 s6, 0x47800000
	v_cmp_gt_u32_e32 vcc, s6, v3
                                        ; implicit-def: $vgpr4
	s_and_saveexec_b64 s[6:7], vcc
	s_xor_b64 s[6:7], exec, s[6:7]
	s_cbranch_execz .LBB110_1841
; %bb.1836:
	s_mov_b32 s10, 0x387fffff
	v_cmp_lt_u32_e32 vcc, s10, v3
                                        ; implicit-def: $vgpr4
	s_and_saveexec_b64 s[10:11], vcc
	s_xor_b64 s[10:11], exec, s[10:11]
; %bb.1837:
	v_bfe_u32 v4, v3, 21, 1
	s_mov_b32 s12, 0x80fffff
	v_add3_u32 v3, v3, v4, s12
	v_lshrrev_b32_e32 v4, 21, v3
                                        ; implicit-def: $vgpr3
; %bb.1838:
	s_andn2_saveexec_b64 s[10:11], s[10:11]
; %bb.1839:
	v_add_f32_e32 v4, 0x43000000, v3
; %bb.1840:
	s_or_b64 exec, exec, s[10:11]
                                        ; implicit-def: $vgpr3
.LBB110_1841:
	s_andn2_saveexec_b64 s[6:7], s[6:7]
; %bb.1842:
	s_mov_b32 s10, 0x7f800000
	v_mov_b32_e32 v4, 0x7c
	v_mov_b32_e32 v5, 0x7f
	v_cmp_lt_u32_e32 vcc, s10, v3
	v_cndmask_b32_e32 v4, v4, v5, vcc
; %bb.1843:
	s_or_b64 exec, exec, s[6:7]
	global_store_byte v[0:1], v4, off
.LBB110_1844:
	s_mov_b64 s[6:7], 0
	s_mov_b64 s[10:11], -1
.LBB110_1845:
	s_andn2_b64 vcc, exec, s[6:7]
	s_mov_b64 s[6:7], 0
	s_cbranch_vccnz .LBB110_1852
; %bb.1846:
	s_cmp_gt_i32 s24, 14
	s_mov_b64 s[12:13], -1
	s_cbranch_scc0 .LBB110_1850
; %bb.1847:
	s_cmp_eq_u32 s24, 15
	s_mov_b64 s[4:5], -1
	s_cbranch_scc0 .LBB110_1849
; %bb.1848:
	v_cndmask_b32_e64 v3, 0, 1.0, s[2:3]
	v_bfe_u32 v4, v3, 16, 1
	s_movk_i32 s4, 0x7fff
	v_add3_u32 v3, v3, v4, s4
	global_store_short_d16_hi v[0:1], v3, off
	s_mov_b64 s[4:5], 0
	s_mov_b64 s[10:11], -1
.LBB110_1849:
	s_mov_b64 s[12:13], 0
.LBB110_1850:
	s_and_b64 vcc, exec, s[12:13]
	s_cbranch_vccz .LBB110_1852
; %bb.1851:
	s_cmp_lg_u32 s24, 11
	s_mov_b64 s[6:7], -1
	s_cselect_b64 s[4:5], -1, 0
.LBB110_1852:
	s_and_b64 vcc, exec, s[4:5]
	s_cbranch_vccnz .LBB110_2032
; %bb.1853:
	s_andn2_b64 vcc, exec, s[6:7]
	s_cbranch_vccnz .LBB110_1855
.LBB110_1854:
	v_cndmask_b32_e64 v3, 0, 1, s[2:3]
	s_mov_b64 s[10:11], -1
	global_store_byte v[0:1], v3, off
.LBB110_1855:
	s_mov_b64 s[4:5], 0
	s_branch .LBB110_1857
.LBB110_1856:
	s_mov_b64 s[4:5], -1
	s_mov_b64 s[10:11], 0
.LBB110_1857:
	s_and_b64 vcc, exec, s[4:5]
	s_cbranch_vccz .LBB110_1896
; %bb.1858:
	s_and_b32 s6, 0xffff, s26
	s_cmp_lt_i32 s6, 5
	s_mov_b64 s[4:5], -1
	s_cbranch_scc1 .LBB110_1879
; %bb.1859:
	s_cmp_lt_i32 s6, 8
	s_cbranch_scc1 .LBB110_1869
; %bb.1860:
	s_cmp_lt_i32 s6, 9
	s_cbranch_scc1 .LBB110_1866
; %bb.1861:
	s_cmp_gt_i32 s6, 9
	s_cbranch_scc0 .LBB110_1863
; %bb.1862:
	v_cndmask_b32_e64 v3, 0, 1, s[2:3]
	v_cvt_f64_u32_e32 v[7:8], v3
	v_mov_b32_e32 v9, 0
	v_mov_b32_e32 v10, v9
	s_mov_b64 s[4:5], 0
	global_store_dwordx4 v[0:1], v[7:10], off
.LBB110_1863:
	s_andn2_b64 vcc, exec, s[4:5]
	s_cbranch_vccnz .LBB110_1865
; %bb.1864:
	v_cndmask_b32_e64 v3, 0, 1.0, s[2:3]
	v_mov_b32_e32 v4, 0
	global_store_dwordx2 v[0:1], v[3:4], off
.LBB110_1865:
	s_mov_b64 s[4:5], 0
.LBB110_1866:
	s_andn2_b64 vcc, exec, s[4:5]
	s_cbranch_vccnz .LBB110_1868
; %bb.1867:
	v_cndmask_b32_e64 v3, 0, 1.0, s[2:3]
	v_cvt_f16_f32_e32 v3, v3
	global_store_dword v[0:1], v3, off
.LBB110_1868:
	s_mov_b64 s[4:5], 0
.LBB110_1869:
	s_andn2_b64 vcc, exec, s[4:5]
	s_cbranch_vccnz .LBB110_1878
; %bb.1870:
	s_cmp_lt_i32 s6, 6
	s_mov_b64 s[4:5], -1
	s_cbranch_scc1 .LBB110_1876
; %bb.1871:
	s_cmp_gt_i32 s6, 6
	s_cbranch_scc0 .LBB110_1873
; %bb.1872:
	v_cndmask_b32_e64 v3, 0, 1, s[2:3]
	v_cvt_f64_u32_e32 v[3:4], v3
	s_mov_b64 s[4:5], 0
	global_store_dwordx2 v[0:1], v[3:4], off
.LBB110_1873:
	s_andn2_b64 vcc, exec, s[4:5]
	s_cbranch_vccnz .LBB110_1875
; %bb.1874:
	v_cndmask_b32_e64 v3, 0, 1.0, s[2:3]
	global_store_dword v[0:1], v3, off
.LBB110_1875:
	s_mov_b64 s[4:5], 0
.LBB110_1876:
	s_andn2_b64 vcc, exec, s[4:5]
	s_cbranch_vccnz .LBB110_1878
; %bb.1877:
	v_cndmask_b32_e64 v3, 0, 1.0, s[2:3]
	v_cvt_f16_f32_e32 v3, v3
	global_store_short v[0:1], v3, off
.LBB110_1878:
	s_mov_b64 s[4:5], 0
.LBB110_1879:
	s_andn2_b64 vcc, exec, s[4:5]
	s_cbranch_vccnz .LBB110_1895
; %bb.1880:
	s_cmp_lt_i32 s6, 2
	s_mov_b64 s[4:5], -1
	s_cbranch_scc1 .LBB110_1890
; %bb.1881:
	s_cmp_lt_i32 s6, 3
	s_cbranch_scc1 .LBB110_1887
; %bb.1882:
	s_cmp_gt_i32 s6, 3
	s_cbranch_scc0 .LBB110_1884
; %bb.1883:
	s_mov_b32 s4, 0
	v_cndmask_b32_e64 v3, 0, 1, s[2:3]
	v_mov_b32_e32 v4, s4
	global_store_dwordx2 v[0:1], v[3:4], off
	s_mov_b64 s[4:5], 0
.LBB110_1884:
	s_andn2_b64 vcc, exec, s[4:5]
	s_cbranch_vccnz .LBB110_1886
; %bb.1885:
	v_cndmask_b32_e64 v3, 0, 1, s[2:3]
	global_store_dword v[0:1], v3, off
.LBB110_1886:
	s_mov_b64 s[4:5], 0
.LBB110_1887:
	s_andn2_b64 vcc, exec, s[4:5]
	s_cbranch_vccnz .LBB110_1889
; %bb.1888:
	v_cndmask_b32_e64 v3, 0, 1, s[2:3]
	global_store_short v[0:1], v3, off
.LBB110_1889:
	s_mov_b64 s[4:5], 0
.LBB110_1890:
	s_andn2_b64 vcc, exec, s[4:5]
	s_cbranch_vccnz .LBB110_1895
; %bb.1891:
	s_mov_b64 s[4:5], -1
	s_cmp_gt_i32 s6, 0
	v_cndmask_b32_e64 v3, 0, 1, s[2:3]
	s_cbranch_scc0 .LBB110_1893
; %bb.1892:
	global_store_byte v[0:1], v3, off
	s_mov_b64 s[4:5], 0
.LBB110_1893:
	s_andn2_b64 vcc, exec, s[4:5]
	s_cbranch_vccnz .LBB110_1895
; %bb.1894:
	global_store_byte v[0:1], v3, off
.LBB110_1895:
	s_mov_b64 s[10:11], -1
.LBB110_1896:
	s_andn2_b64 vcc, exec, s[10:11]
	s_cbranch_vccnz .LBB110_1973
; %bb.1897:
	v_cmp_eq_f32_e32 vcc, s15, v6
	v_cndmask_b32_e64 v0, 0, 1, vcc
	v_cmp_neq_f32_e32 vcc, s15, v6
	v_cndmask_b32_e64 v1, 0, 1, vcc
	v_cndmask_b32_e64 v0, v1, v0, s[0:1]
	v_and_b32_e32 v0, 1, v0
	v_cmp_eq_u32_e64 s[2:3], 1, v0
	v_add_u32_e32 v0, s14, v2
	v_ashrrev_i32_e32 v1, 31, v0
	v_mov_b32_e32 v2, s9
	v_add_co_u32_e32 v0, vcc, s8, v0
	s_cmp_lt_i32 s26, 11
	v_addc_co_u32_e32 v1, vcc, v2, v1, vcc
	s_cbranch_scc1 .LBB110_2018
; %bb.1898:
	s_and_b32 s12, 0xffff, s26
	s_mov_b64 s[6:7], -1
	s_mov_b64 s[4:5], 0
	s_cmp_gt_i32 s12, 25
	s_mov_b64 s[0:1], 0
	s_cbranch_scc0 .LBB110_1931
; %bb.1899:
	s_cmp_gt_i32 s12, 28
	s_cbranch_scc0 .LBB110_1915
; %bb.1900:
	s_cmp_gt_i32 s12, 43
	;; [unrolled: 3-line block ×3, first 2 shown]
	s_cbranch_scc0 .LBB110_1905
; %bb.1902:
	s_cmp_eq_u32 s12, 46
	s_mov_b64 s[0:1], -1
	s_cbranch_scc0 .LBB110_1904
; %bb.1903:
	v_cndmask_b32_e64 v2, 0, 1.0, s[2:3]
	v_bfe_u32 v3, v2, 16, 1
	s_movk_i32 s0, 0x7fff
	v_add3_u32 v2, v2, v3, s0
	v_lshrrev_b32_e32 v2, 16, v2
	global_store_dword v[0:1], v2, off
	s_mov_b64 s[0:1], 0
.LBB110_1904:
	s_mov_b64 s[6:7], 0
.LBB110_1905:
	s_and_b64 vcc, exec, s[6:7]
	s_cbranch_vccz .LBB110_1910
; %bb.1906:
	s_cmp_eq_u32 s12, 44
	s_mov_b64 s[0:1], -1
	s_cbranch_scc0 .LBB110_1910
; %bb.1907:
	v_cndmask_b32_e64 v3, 0, 1.0, s[2:3]
	v_lshrrev_b32_e32 v2, 23, v3
	s_movk_i32 s0, 0xff
	v_cmp_ne_u32_e32 vcc, s0, v2
	v_mov_b32_e32 v4, 0xff
	s_and_saveexec_b64 s[6:7], vcc
; %bb.1908:
	s_mov_b32 s0, 0x3fffff
	v_and_b32_e32 v4, 0x400000, v3
	v_and_or_b32 v3, v3, s0, v2
	v_cmp_ne_u32_e32 vcc, 0, v4
	v_cmp_ne_u32_e64 s[0:1], 0, v3
	s_and_b64 s[0:1], vcc, s[0:1]
	v_cndmask_b32_e64 v3, 0, 1, s[0:1]
	v_add_u32_e32 v4, v2, v3
; %bb.1909:
	s_or_b64 exec, exec, s[6:7]
	s_mov_b64 s[0:1], 0
	global_store_byte v[0:1], v4, off
.LBB110_1910:
	s_mov_b64 s[6:7], 0
.LBB110_1911:
	s_and_b64 vcc, exec, s[6:7]
	s_cbranch_vccz .LBB110_1914
; %bb.1912:
	s_cmp_eq_u32 s12, 29
	s_mov_b64 s[0:1], -1
	s_cbranch_scc0 .LBB110_1914
; %bb.1913:
	s_mov_b32 s0, 0
	v_cndmask_b32_e64 v2, 0, 1, s[2:3]
	v_mov_b32_e32 v3, s0
	global_store_dwordx2 v[0:1], v[2:3], off
	s_mov_b64 s[0:1], 0
.LBB110_1914:
	s_mov_b64 s[6:7], 0
.LBB110_1915:
	s_and_b64 vcc, exec, s[6:7]
	s_cbranch_vccz .LBB110_1930
; %bb.1916:
	s_cmp_lt_i32 s12, 27
	s_mov_b64 s[6:7], -1
	s_cbranch_scc1 .LBB110_1922
; %bb.1917:
	s_cmp_gt_i32 s12, 27
	v_cndmask_b32_e64 v2, 0, 1, s[2:3]
	s_cbranch_scc0 .LBB110_1919
; %bb.1918:
	global_store_dword v[0:1], v2, off
	s_mov_b64 s[6:7], 0
.LBB110_1919:
	s_andn2_b64 vcc, exec, s[6:7]
	s_cbranch_vccnz .LBB110_1921
; %bb.1920:
	global_store_short v[0:1], v2, off
.LBB110_1921:
	s_mov_b64 s[6:7], 0
.LBB110_1922:
	s_andn2_b64 vcc, exec, s[6:7]
	s_cbranch_vccnz .LBB110_1930
; %bb.1923:
	v_cndmask_b32_e64 v3, 0, 1.0, s[2:3]
	s_mov_b32 s6, 0x43800000
	v_cmp_gt_u32_e32 vcc, s6, v3
	v_mov_b32_e32 v4, 0x80
	s_and_saveexec_b64 s[6:7], vcc
	s_cbranch_execz .LBB110_1929
; %bb.1924:
	s_mov_b32 s8, 0x3bffffff
	v_cmp_lt_u32_e32 vcc, s8, v3
	s_mov_b64 s[8:9], 0
                                        ; implicit-def: $vgpr2
	s_and_saveexec_b64 s[10:11], vcc
	s_xor_b64 s[10:11], exec, s[10:11]
	s_cbranch_execz .LBB110_2035
; %bb.1925:
	v_bfe_u32 v2, v3, 20, 1
	s_mov_b32 s13, 0x487ffff
	v_add3_u32 v2, v3, v2, s13
	s_mov_b64 s[8:9], exec
	v_lshrrev_b32_e32 v2, 20, v2
                                        ; implicit-def: $vgpr3
	s_andn2_saveexec_b64 s[10:11], s[10:11]
	s_cbranch_execnz .LBB110_2036
.LBB110_1926:
	s_or_b64 exec, exec, s[10:11]
	v_mov_b32_e32 v4, 0
	s_and_saveexec_b64 s[10:11], s[8:9]
.LBB110_1927:
	v_mov_b32_e32 v4, v2
.LBB110_1928:
	s_or_b64 exec, exec, s[10:11]
.LBB110_1929:
	s_or_b64 exec, exec, s[6:7]
	global_store_byte v[0:1], v4, off
.LBB110_1930:
	s_mov_b64 s[6:7], 0
.LBB110_1931:
	s_and_b64 vcc, exec, s[6:7]
	s_cbranch_vccz .LBB110_1971
; %bb.1932:
	s_cmp_gt_i32 s12, 22
	s_mov_b64 s[4:5], -1
	s_cbranch_scc0 .LBB110_1964
; %bb.1933:
	s_cmp_lt_i32 s12, 24
	s_cbranch_scc1 .LBB110_1953
; %bb.1934:
	s_cmp_gt_i32 s12, 24
	s_cbranch_scc0 .LBB110_1942
; %bb.1935:
	v_cndmask_b32_e64 v3, 0, 1.0, s[2:3]
	s_mov_b32 s4, 0x47800000
	v_cmp_gt_u32_e32 vcc, s4, v3
	v_mov_b32_e32 v4, 0x80
	s_and_saveexec_b64 s[4:5], vcc
	s_cbranch_execz .LBB110_1941
; %bb.1936:
	s_mov_b32 s6, 0x37ffffff
	v_cmp_lt_u32_e32 vcc, s6, v3
	s_mov_b64 s[6:7], 0
                                        ; implicit-def: $vgpr2
	s_and_saveexec_b64 s[8:9], vcc
	s_xor_b64 s[8:9], exec, s[8:9]
	s_cbranch_execz .LBB110_2038
; %bb.1937:
	v_bfe_u32 v2, v3, 21, 1
	s_mov_b32 s10, 0x88fffff
	v_add3_u32 v2, v3, v2, s10
	s_mov_b64 s[6:7], exec
	v_lshrrev_b32_e32 v2, 21, v2
                                        ; implicit-def: $vgpr3
	s_andn2_saveexec_b64 s[8:9], s[8:9]
	s_cbranch_execnz .LBB110_2039
.LBB110_1938:
	s_or_b64 exec, exec, s[8:9]
	v_mov_b32_e32 v4, 0
	s_and_saveexec_b64 s[8:9], s[6:7]
.LBB110_1939:
	v_mov_b32_e32 v4, v2
.LBB110_1940:
	s_or_b64 exec, exec, s[8:9]
.LBB110_1941:
	s_or_b64 exec, exec, s[4:5]
	s_mov_b64 s[4:5], 0
	global_store_byte v[0:1], v4, off
.LBB110_1942:
	s_and_b64 vcc, exec, s[4:5]
	s_cbranch_vccz .LBB110_1952
; %bb.1943:
	v_cndmask_b32_e64 v2, 0, 1.0, s[2:3]
	s_mov_b32 s4, 0x43f00000
	v_cmp_gt_u32_e32 vcc, s4, v2
                                        ; implicit-def: $vgpr3
	s_and_saveexec_b64 s[4:5], vcc
	s_xor_b64 s[4:5], exec, s[4:5]
	s_cbranch_execz .LBB110_1949
; %bb.1944:
	s_mov_b32 s6, 0x3c7fffff
	v_cmp_lt_u32_e32 vcc, s6, v2
                                        ; implicit-def: $vgpr3
	s_and_saveexec_b64 s[6:7], vcc
	s_xor_b64 s[6:7], exec, s[6:7]
; %bb.1945:
	v_bfe_u32 v3, v2, 20, 1
	s_mov_b32 s8, 0x407ffff
	v_add3_u32 v2, v2, v3, s8
	v_lshrrev_b32_e32 v3, 20, v2
	v_and_b32_e32 v2, 0xff00000, v2
	s_mov_b32 s8, 0x7f00000
	v_mov_b32_e32 v4, 0x7e
	v_cmp_ne_u32_e32 vcc, s8, v2
	v_cndmask_b32_e32 v3, v4, v3, vcc
                                        ; implicit-def: $vgpr2
; %bb.1946:
	s_andn2_saveexec_b64 s[6:7], s[6:7]
; %bb.1947:
	v_add_f32_e32 v3, 0x46800000, v2
; %bb.1948:
	s_or_b64 exec, exec, s[6:7]
                                        ; implicit-def: $vgpr2
.LBB110_1949:
	s_andn2_saveexec_b64 s[4:5], s[4:5]
; %bb.1950:
	s_mov_b32 s6, 0x7f800000
	v_mov_b32_e32 v3, 0x7e
	v_mov_b32_e32 v4, 0x7f
	v_cmp_lt_u32_e32 vcc, s6, v2
	v_cndmask_b32_e32 v3, v3, v4, vcc
; %bb.1951:
	s_or_b64 exec, exec, s[4:5]
	global_store_byte v[0:1], v3, off
.LBB110_1952:
	s_mov_b64 s[4:5], 0
.LBB110_1953:
	s_andn2_b64 vcc, exec, s[4:5]
	s_cbranch_vccnz .LBB110_1963
; %bb.1954:
	v_cndmask_b32_e64 v2, 0, 1.0, s[2:3]
	s_mov_b32 s4, 0x47800000
	v_cmp_gt_u32_e32 vcc, s4, v2
                                        ; implicit-def: $vgpr3
	s_and_saveexec_b64 s[4:5], vcc
	s_xor_b64 s[4:5], exec, s[4:5]
	s_cbranch_execz .LBB110_1960
; %bb.1955:
	s_mov_b32 s6, 0x387fffff
	v_cmp_lt_u32_e32 vcc, s6, v2
                                        ; implicit-def: $vgpr3
	s_and_saveexec_b64 s[6:7], vcc
	s_xor_b64 s[6:7], exec, s[6:7]
; %bb.1956:
	v_bfe_u32 v3, v2, 21, 1
	s_mov_b32 s8, 0x80fffff
	v_add3_u32 v2, v2, v3, s8
	v_lshrrev_b32_e32 v3, 21, v2
                                        ; implicit-def: $vgpr2
; %bb.1957:
	s_andn2_saveexec_b64 s[6:7], s[6:7]
; %bb.1958:
	v_add_f32_e32 v3, 0x43000000, v2
; %bb.1959:
	s_or_b64 exec, exec, s[6:7]
                                        ; implicit-def: $vgpr2
.LBB110_1960:
	s_andn2_saveexec_b64 s[4:5], s[4:5]
; %bb.1961:
	s_mov_b32 s6, 0x7f800000
	v_mov_b32_e32 v3, 0x7c
	v_mov_b32_e32 v4, 0x7f
	v_cmp_lt_u32_e32 vcc, s6, v2
	v_cndmask_b32_e32 v3, v3, v4, vcc
; %bb.1962:
	s_or_b64 exec, exec, s[4:5]
	global_store_byte v[0:1], v3, off
.LBB110_1963:
	s_mov_b64 s[4:5], 0
.LBB110_1964:
	s_andn2_b64 vcc, exec, s[4:5]
	s_mov_b64 s[4:5], 0
	s_cbranch_vccnz .LBB110_1971
; %bb.1965:
	s_cmp_gt_i32 s12, 14
	s_mov_b64 s[6:7], -1
	s_cbranch_scc0 .LBB110_1969
; %bb.1966:
	s_cmp_eq_u32 s12, 15
	s_mov_b64 s[0:1], -1
	s_cbranch_scc0 .LBB110_1968
; %bb.1967:
	v_cndmask_b32_e64 v2, 0, 1.0, s[2:3]
	v_bfe_u32 v3, v2, 16, 1
	s_movk_i32 s0, 0x7fff
	v_add3_u32 v2, v2, v3, s0
	global_store_short_d16_hi v[0:1], v2, off
	s_mov_b64 s[0:1], 0
.LBB110_1968:
	s_mov_b64 s[6:7], 0
.LBB110_1969:
	s_and_b64 vcc, exec, s[6:7]
	s_cbranch_vccz .LBB110_1971
; %bb.1970:
	s_cmp_lg_u32 s12, 11
	s_mov_b64 s[4:5], -1
	s_cselect_b64 s[0:1], -1, 0
.LBB110_1971:
	s_and_b64 vcc, exec, s[0:1]
	s_cbranch_vccnz .LBB110_2037
.LBB110_1972:
	s_mov_b64 s[0:1], 0
	s_branch .LBB110_1974
.LBB110_1973:
	s_mov_b64 s[0:1], 0
	s_mov_b64 s[4:5], 0
                                        ; implicit-def: $sgpr2_sgpr3
                                        ; implicit-def: $sgpr26
                                        ; implicit-def: $vgpr0_vgpr1
.LBB110_1974:
	s_and_b64 s[6:7], s[4:5], exec
	s_andn2_b64 s[4:5], s[18:19], exec
	s_and_b64 s[8:9], s[20:21], exec
	s_and_b64 s[0:1], s[0:1], exec
	s_or_b64 s[18:19], s[4:5], s[8:9]
.LBB110_1975:
	s_or_b64 exec, exec, s[16:17]
	s_and_saveexec_b64 s[4:5], s[18:19]
	s_cbranch_execz .LBB110_1978
; %bb.1976:
	; divergent unreachable
	s_or_b64 exec, exec, s[4:5]
	s_and_saveexec_b64 s[4:5], s[6:7]
	s_xor_b64 s[4:5], exec, s[4:5]
	s_cbranch_execnz .LBB110_1979
.LBB110_1977:
	s_or_b64 exec, exec, s[4:5]
	s_and_saveexec_b64 s[4:5], s[0:1]
	s_cbranch_execnz .LBB110_1980
	s_branch .LBB110_2017
.LBB110_1978:
	s_or_b64 exec, exec, s[4:5]
	s_and_saveexec_b64 s[4:5], s[6:7]
	s_xor_b64 s[4:5], exec, s[4:5]
	s_cbranch_execz .LBB110_1977
.LBB110_1979:
	v_cndmask_b32_e64 v2, 0, 1, s[2:3]
	global_store_byte v[0:1], v2, off
	s_or_b64 exec, exec, s[4:5]
	s_and_saveexec_b64 s[4:5], s[0:1]
	s_cbranch_execz .LBB110_2017
.LBB110_1980:
	s_sext_i32_i16 s4, s26
	s_cmp_lt_i32 s4, 5
	s_mov_b64 s[0:1], -1
	s_cbranch_scc1 .LBB110_2001
; %bb.1981:
	s_cmp_lt_i32 s4, 8
	s_cbranch_scc1 .LBB110_1991
; %bb.1982:
	s_cmp_lt_i32 s4, 9
	s_cbranch_scc1 .LBB110_1988
; %bb.1983:
	s_cmp_gt_i32 s4, 9
	s_cbranch_scc0 .LBB110_1985
; %bb.1984:
	v_cndmask_b32_e64 v2, 0, 1, s[2:3]
	s_waitcnt vmcnt(0)
	v_cvt_f64_u32_e32 v[2:3], v2
	v_mov_b32_e32 v4, 0
	v_mov_b32_e32 v5, v4
	s_mov_b64 s[0:1], 0
	global_store_dwordx4 v[0:1], v[2:5], off
.LBB110_1985:
	s_andn2_b64 vcc, exec, s[0:1]
	s_cbranch_vccnz .LBB110_1987
; %bb.1986:
	v_cndmask_b32_e64 v2, 0, 1.0, s[2:3]
	s_waitcnt vmcnt(0)
	v_mov_b32_e32 v3, 0
	global_store_dwordx2 v[0:1], v[2:3], off
.LBB110_1987:
	s_mov_b64 s[0:1], 0
.LBB110_1988:
	s_andn2_b64 vcc, exec, s[0:1]
	s_cbranch_vccnz .LBB110_1990
; %bb.1989:
	v_cndmask_b32_e64 v2, 0, 1.0, s[2:3]
	v_cvt_f16_f32_e32 v2, v2
	global_store_dword v[0:1], v2, off
.LBB110_1990:
	s_mov_b64 s[0:1], 0
.LBB110_1991:
	s_andn2_b64 vcc, exec, s[0:1]
	s_cbranch_vccnz .LBB110_2000
; %bb.1992:
	s_sext_i32_i16 s4, s26
	s_cmp_lt_i32 s4, 6
	s_mov_b64 s[0:1], -1
	s_cbranch_scc1 .LBB110_1998
; %bb.1993:
	s_cmp_gt_i32 s4, 6
	s_cbranch_scc0 .LBB110_1995
; %bb.1994:
	v_cndmask_b32_e64 v2, 0, 1, s[2:3]
	s_waitcnt vmcnt(0)
	v_cvt_f64_u32_e32 v[2:3], v2
	s_mov_b64 s[0:1], 0
	global_store_dwordx2 v[0:1], v[2:3], off
.LBB110_1995:
	s_andn2_b64 vcc, exec, s[0:1]
	s_cbranch_vccnz .LBB110_1997
; %bb.1996:
	v_cndmask_b32_e64 v2, 0, 1.0, s[2:3]
	global_store_dword v[0:1], v2, off
.LBB110_1997:
	s_mov_b64 s[0:1], 0
.LBB110_1998:
	s_andn2_b64 vcc, exec, s[0:1]
	s_cbranch_vccnz .LBB110_2000
; %bb.1999:
	v_cndmask_b32_e64 v2, 0, 1.0, s[2:3]
	v_cvt_f16_f32_e32 v2, v2
	global_store_short v[0:1], v2, off
.LBB110_2000:
	s_mov_b64 s[0:1], 0
.LBB110_2001:
	s_andn2_b64 vcc, exec, s[0:1]
	s_cbranch_vccnz .LBB110_2017
; %bb.2002:
	s_sext_i32_i16 s4, s26
	s_cmp_lt_i32 s4, 2
	s_mov_b64 s[0:1], -1
	s_cbranch_scc1 .LBB110_2012
; %bb.2003:
	s_cmp_lt_i32 s4, 3
	s_cbranch_scc1 .LBB110_2009
; %bb.2004:
	s_cmp_gt_i32 s4, 3
	s_cbranch_scc0 .LBB110_2006
; %bb.2005:
	s_mov_b32 s0, 0
	v_cndmask_b32_e64 v2, 0, 1, s[2:3]
	s_waitcnt vmcnt(0)
	v_mov_b32_e32 v3, s0
	global_store_dwordx2 v[0:1], v[2:3], off
	s_mov_b64 s[0:1], 0
.LBB110_2006:
	s_andn2_b64 vcc, exec, s[0:1]
	s_cbranch_vccnz .LBB110_2008
; %bb.2007:
	v_cndmask_b32_e64 v2, 0, 1, s[2:3]
	global_store_dword v[0:1], v2, off
.LBB110_2008:
	s_mov_b64 s[0:1], 0
.LBB110_2009:
	s_andn2_b64 vcc, exec, s[0:1]
	s_cbranch_vccnz .LBB110_2011
; %bb.2010:
	v_cndmask_b32_e64 v2, 0, 1, s[2:3]
	global_store_short v[0:1], v2, off
.LBB110_2011:
	s_mov_b64 s[0:1], 0
.LBB110_2012:
	s_andn2_b64 vcc, exec, s[0:1]
	s_cbranch_vccnz .LBB110_2017
; %bb.2013:
	s_sext_i32_i16 s4, s26
	s_mov_b64 s[0:1], -1
	s_cmp_gt_i32 s4, 0
	v_cndmask_b32_e64 v2, 0, 1, s[2:3]
	s_cbranch_scc0 .LBB110_2015
; %bb.2014:
	global_store_byte v[0:1], v2, off
	s_mov_b64 s[0:1], 0
.LBB110_2015:
	s_andn2_b64 vcc, exec, s[0:1]
	s_cbranch_vccnz .LBB110_2017
; %bb.2016:
	global_store_byte v[0:1], v2, off
	s_endpgm
.LBB110_2017:
	s_endpgm
.LBB110_2018:
	s_mov_b64 s[4:5], 0
	s_mov_b64 s[0:1], -1
	s_branch .LBB110_1974
.LBB110_2019:
	s_trap 2
	s_or_b64 s[20:21], s[20:21], exec
	s_cbranch_execz .LBB110_1488
	s_branch .LBB110_1489
.LBB110_2020:
	s_andn2_saveexec_b64 s[24:25], s[24:25]
	s_cbranch_execz .LBB110_1568
.LBB110_2021:
	v_add_f32_e32 v3, 0x46000000, v7
	v_and_b32_e32 v3, 0xff, v3
	v_cmp_ne_u32_e32 vcc, 0, v3
	s_andn2_b64 s[22:23], s[22:23], exec
	s_and_b64 s[28:29], vcc, exec
	s_or_b64 s[22:23], s[22:23], s[28:29]
	s_or_b64 exec, exec, s[24:25]
	v_mov_b32_e32 v8, 0
	s_and_saveexec_b64 s[24:25], s[22:23]
	s_cbranch_execnz .LBB110_1569
	s_branch .LBB110_1570
.LBB110_2022:
	s_trap 2
	s_or_b64 s[20:21], s[20:21], exec
	s_cbranch_execz .LBB110_1616
	s_branch .LBB110_1617
.LBB110_2023:
	s_andn2_saveexec_b64 s[22:23], s[22:23]
	s_cbranch_execz .LBB110_1581
.LBB110_2024:
	v_add_f32_e32 v3, 0x42800000, v7
	v_and_b32_e32 v3, 0xff, v3
	v_cmp_ne_u32_e32 vcc, 0, v3
	s_andn2_b64 s[10:11], s[10:11], exec
	s_and_b64 s[24:25], vcc, exec
	s_or_b64 s[10:11], s[10:11], s[24:25]
	s_or_b64 exec, exec, s[22:23]
	v_mov_b32_e32 v8, 0
	s_and_saveexec_b64 s[22:23], s[10:11]
	s_cbranch_execnz .LBB110_1582
	s_branch .LBB110_1583
.LBB110_2025:
	s_andn2_saveexec_b64 s[22:23], s[22:23]
	s_cbranch_execz .LBB110_1687
.LBB110_2026:
	v_add_f32_e32 v3, 0x46000000, v4
	v_and_b32_e32 v3, 0xff, v3
	v_cmp_ne_u32_e32 vcc, 0, v3
	s_andn2_b64 s[12:13], s[12:13], exec
	s_and_b64 s[28:29], vcc, exec
	s_or_b64 s[12:13], s[12:13], s[28:29]
	s_or_b64 exec, exec, s[22:23]
	v_mov_b32_e32 v7, 0
	s_and_saveexec_b64 s[22:23], s[12:13]
	s_cbranch_execnz .LBB110_1688
	s_branch .LBB110_1689
.LBB110_2027:
	s_trap 2
	s_or_b64 s[20:21], s[20:21], exec
	s_cbranch_execz .LBB110_1735
	s_branch .LBB110_1736
.LBB110_2028:
	s_andn2_saveexec_b64 s[12:13], s[12:13]
	s_cbranch_execz .LBB110_1700
.LBB110_2029:
	v_add_f32_e32 v3, 0x42800000, v4
	v_and_b32_e32 v3, 0xff, v3
	v_cmp_ne_u32_e32 vcc, 0, v3
	s_andn2_b64 s[10:11], s[10:11], exec
	s_and_b64 s[22:23], vcc, exec
	s_or_b64 s[10:11], s[10:11], s[22:23]
	s_or_b64 exec, exec, s[12:13]
	v_mov_b32_e32 v7, 0
	s_and_saveexec_b64 s[12:13], s[10:11]
	s_cbranch_execnz .LBB110_1701
	s_branch .LBB110_1702
.LBB110_2030:
	s_andn2_saveexec_b64 s[22:23], s[22:23]
	s_cbranch_execz .LBB110_1806
.LBB110_2031:
	v_add_f32_e32 v3, 0x46000000, v4
	v_and_b32_e32 v3, 0xff, v3
	v_cmp_ne_u32_e32 vcc, 0, v3
	s_andn2_b64 s[12:13], s[12:13], exec
	s_and_b64 s[28:29], vcc, exec
	s_or_b64 s[12:13], s[12:13], s[28:29]
	s_or_b64 exec, exec, s[22:23]
	v_mov_b32_e32 v5, 0
	s_and_saveexec_b64 s[22:23], s[12:13]
	s_cbranch_execnz .LBB110_1807
	s_branch .LBB110_1808
.LBB110_2032:
	s_trap 2
	s_or_b64 s[20:21], s[20:21], exec
	s_cbranch_execz .LBB110_1854
	s_branch .LBB110_1855
.LBB110_2033:
	s_andn2_saveexec_b64 s[12:13], s[12:13]
	s_cbranch_execz .LBB110_1819
.LBB110_2034:
	v_add_f32_e32 v3, 0x42800000, v4
	v_and_b32_e32 v3, 0xff, v3
	v_cmp_ne_u32_e32 vcc, 0, v3
	s_andn2_b64 s[10:11], s[10:11], exec
	s_and_b64 s[22:23], vcc, exec
	s_or_b64 s[10:11], s[10:11], s[22:23]
	s_or_b64 exec, exec, s[12:13]
	v_mov_b32_e32 v5, 0
	s_and_saveexec_b64 s[12:13], s[10:11]
	s_cbranch_execnz .LBB110_1820
	s_branch .LBB110_1821
.LBB110_2035:
	s_andn2_saveexec_b64 s[10:11], s[10:11]
	s_cbranch_execz .LBB110_1926
.LBB110_2036:
	v_add_f32_e32 v2, 0x46000000, v3
	v_and_b32_e32 v2, 0xff, v2
	v_cmp_ne_u32_e32 vcc, 0, v2
	s_andn2_b64 s[8:9], s[8:9], exec
	s_and_b64 s[14:15], vcc, exec
	s_or_b64 s[8:9], s[8:9], s[14:15]
	s_or_b64 exec, exec, s[10:11]
	v_mov_b32_e32 v4, 0
	s_and_saveexec_b64 s[10:11], s[8:9]
	s_cbranch_execnz .LBB110_1927
	s_branch .LBB110_1928
.LBB110_2037:
	s_mov_b64 s[4:5], 0
	s_or_b64 s[20:21], s[20:21], exec
	s_trap 2
	s_branch .LBB110_1972
.LBB110_2038:
	s_andn2_saveexec_b64 s[8:9], s[8:9]
	s_cbranch_execz .LBB110_1938
.LBB110_2039:
	v_add_f32_e32 v2, 0x42800000, v3
	v_and_b32_e32 v2, 0xff, v2
	v_cmp_ne_u32_e32 vcc, 0, v2
	s_andn2_b64 s[6:7], s[6:7], exec
	s_and_b64 s[10:11], vcc, exec
	s_or_b64 s[6:7], s[6:7], s[10:11]
	s_or_b64 exec, exec, s[8:9]
	v_mov_b32_e32 v4, 0
	s_and_saveexec_b64 s[8:9], s[6:7]
	s_cbranch_execnz .LBB110_1939
	s_branch .LBB110_1940
	.section	.rodata,"a",@progbits
	.p2align	6, 0x0
	.amdhsa_kernel _ZN2at6native32elementwise_kernel_manual_unrollILi128ELi4EZNS0_15gpu_kernel_implINS0_13AUnaryFunctorIffbNS0_12_GLOBAL__N_116CompareEqFunctorIfEEEEEEvRNS_18TensorIteratorBaseERKT_EUlibE_EEviT1_
		.amdhsa_group_segment_fixed_size 0
		.amdhsa_private_segment_fixed_size 0
		.amdhsa_kernarg_size 48
		.amdhsa_user_sgpr_count 6
		.amdhsa_user_sgpr_private_segment_buffer 1
		.amdhsa_user_sgpr_dispatch_ptr 0
		.amdhsa_user_sgpr_queue_ptr 0
		.amdhsa_user_sgpr_kernarg_segment_ptr 1
		.amdhsa_user_sgpr_dispatch_id 0
		.amdhsa_user_sgpr_flat_scratch_init 0
		.amdhsa_user_sgpr_private_segment_size 0
		.amdhsa_uses_dynamic_stack 0
		.amdhsa_system_sgpr_private_segment_wavefront_offset 0
		.amdhsa_system_sgpr_workgroup_id_x 1
		.amdhsa_system_sgpr_workgroup_id_y 0
		.amdhsa_system_sgpr_workgroup_id_z 0
		.amdhsa_system_sgpr_workgroup_info 0
		.amdhsa_system_vgpr_workitem_id 0
		.amdhsa_next_free_vgpr 12
		.amdhsa_next_free_sgpr 50
		.amdhsa_reserve_vcc 1
		.amdhsa_reserve_flat_scratch 0
		.amdhsa_float_round_mode_32 0
		.amdhsa_float_round_mode_16_64 0
		.amdhsa_float_denorm_mode_32 3
		.amdhsa_float_denorm_mode_16_64 3
		.amdhsa_dx10_clamp 1
		.amdhsa_ieee_mode 1
		.amdhsa_fp16_overflow 0
		.amdhsa_exception_fp_ieee_invalid_op 0
		.amdhsa_exception_fp_denorm_src 0
		.amdhsa_exception_fp_ieee_div_zero 0
		.amdhsa_exception_fp_ieee_overflow 0
		.amdhsa_exception_fp_ieee_underflow 0
		.amdhsa_exception_fp_ieee_inexact 0
		.amdhsa_exception_int_div_zero 0
	.end_amdhsa_kernel
	.section	.text._ZN2at6native32elementwise_kernel_manual_unrollILi128ELi4EZNS0_15gpu_kernel_implINS0_13AUnaryFunctorIffbNS0_12_GLOBAL__N_116CompareEqFunctorIfEEEEEEvRNS_18TensorIteratorBaseERKT_EUlibE_EEviT1_,"axG",@progbits,_ZN2at6native32elementwise_kernel_manual_unrollILi128ELi4EZNS0_15gpu_kernel_implINS0_13AUnaryFunctorIffbNS0_12_GLOBAL__N_116CompareEqFunctorIfEEEEEEvRNS_18TensorIteratorBaseERKT_EUlibE_EEviT1_,comdat
.Lfunc_end110:
	.size	_ZN2at6native32elementwise_kernel_manual_unrollILi128ELi4EZNS0_15gpu_kernel_implINS0_13AUnaryFunctorIffbNS0_12_GLOBAL__N_116CompareEqFunctorIfEEEEEEvRNS_18TensorIteratorBaseERKT_EUlibE_EEviT1_, .Lfunc_end110-_ZN2at6native32elementwise_kernel_manual_unrollILi128ELi4EZNS0_15gpu_kernel_implINS0_13AUnaryFunctorIffbNS0_12_GLOBAL__N_116CompareEqFunctorIfEEEEEEvRNS_18TensorIteratorBaseERKT_EUlibE_EEviT1_
                                        ; -- End function
	.set _ZN2at6native32elementwise_kernel_manual_unrollILi128ELi4EZNS0_15gpu_kernel_implINS0_13AUnaryFunctorIffbNS0_12_GLOBAL__N_116CompareEqFunctorIfEEEEEEvRNS_18TensorIteratorBaseERKT_EUlibE_EEviT1_.num_vgpr, 12
	.set _ZN2at6native32elementwise_kernel_manual_unrollILi128ELi4EZNS0_15gpu_kernel_implINS0_13AUnaryFunctorIffbNS0_12_GLOBAL__N_116CompareEqFunctorIfEEEEEEvRNS_18TensorIteratorBaseERKT_EUlibE_EEviT1_.num_agpr, 0
	.set _ZN2at6native32elementwise_kernel_manual_unrollILi128ELi4EZNS0_15gpu_kernel_implINS0_13AUnaryFunctorIffbNS0_12_GLOBAL__N_116CompareEqFunctorIfEEEEEEvRNS_18TensorIteratorBaseERKT_EUlibE_EEviT1_.numbered_sgpr, 50
	.set _ZN2at6native32elementwise_kernel_manual_unrollILi128ELi4EZNS0_15gpu_kernel_implINS0_13AUnaryFunctorIffbNS0_12_GLOBAL__N_116CompareEqFunctorIfEEEEEEvRNS_18TensorIteratorBaseERKT_EUlibE_EEviT1_.num_named_barrier, 0
	.set _ZN2at6native32elementwise_kernel_manual_unrollILi128ELi4EZNS0_15gpu_kernel_implINS0_13AUnaryFunctorIffbNS0_12_GLOBAL__N_116CompareEqFunctorIfEEEEEEvRNS_18TensorIteratorBaseERKT_EUlibE_EEviT1_.private_seg_size, 0
	.set _ZN2at6native32elementwise_kernel_manual_unrollILi128ELi4EZNS0_15gpu_kernel_implINS0_13AUnaryFunctorIffbNS0_12_GLOBAL__N_116CompareEqFunctorIfEEEEEEvRNS_18TensorIteratorBaseERKT_EUlibE_EEviT1_.uses_vcc, 1
	.set _ZN2at6native32elementwise_kernel_manual_unrollILi128ELi4EZNS0_15gpu_kernel_implINS0_13AUnaryFunctorIffbNS0_12_GLOBAL__N_116CompareEqFunctorIfEEEEEEvRNS_18TensorIteratorBaseERKT_EUlibE_EEviT1_.uses_flat_scratch, 0
	.set _ZN2at6native32elementwise_kernel_manual_unrollILi128ELi4EZNS0_15gpu_kernel_implINS0_13AUnaryFunctorIffbNS0_12_GLOBAL__N_116CompareEqFunctorIfEEEEEEvRNS_18TensorIteratorBaseERKT_EUlibE_EEviT1_.has_dyn_sized_stack, 0
	.set _ZN2at6native32elementwise_kernel_manual_unrollILi128ELi4EZNS0_15gpu_kernel_implINS0_13AUnaryFunctorIffbNS0_12_GLOBAL__N_116CompareEqFunctorIfEEEEEEvRNS_18TensorIteratorBaseERKT_EUlibE_EEviT1_.has_recursion, 0
	.set _ZN2at6native32elementwise_kernel_manual_unrollILi128ELi4EZNS0_15gpu_kernel_implINS0_13AUnaryFunctorIffbNS0_12_GLOBAL__N_116CompareEqFunctorIfEEEEEEvRNS_18TensorIteratorBaseERKT_EUlibE_EEviT1_.has_indirect_call, 0
	.section	.AMDGPU.csdata,"",@progbits
; Kernel info:
; codeLenInByte = 31108
; TotalNumSgprs: 54
; NumVgprs: 12
; ScratchSize: 0
; MemoryBound: 1
; FloatMode: 240
; IeeeMode: 1
; LDSByteSize: 0 bytes/workgroup (compile time only)
; SGPRBlocks: 6
; VGPRBlocks: 2
; NumSGPRsForWavesPerEU: 54
; NumVGPRsForWavesPerEU: 12
; Occupancy: 10
; WaveLimiterHint : 0
; COMPUTE_PGM_RSRC2:SCRATCH_EN: 0
; COMPUTE_PGM_RSRC2:USER_SGPR: 6
; COMPUTE_PGM_RSRC2:TRAP_HANDLER: 0
; COMPUTE_PGM_RSRC2:TGID_X_EN: 1
; COMPUTE_PGM_RSRC2:TGID_Y_EN: 0
; COMPUTE_PGM_RSRC2:TGID_Z_EN: 0
; COMPUTE_PGM_RSRC2:TIDIG_COMP_CNT: 0
	.section	.text._ZN2at6native32elementwise_kernel_manual_unrollILi128ELi4EZNS0_15gpu_kernel_implINS0_13AUnaryFunctorIffbNS0_12_GLOBAL__N_116CompareEqFunctorIfEEEEEEvRNS_18TensorIteratorBaseERKT_EUlibE0_EEviT1_,"axG",@progbits,_ZN2at6native32elementwise_kernel_manual_unrollILi128ELi4EZNS0_15gpu_kernel_implINS0_13AUnaryFunctorIffbNS0_12_GLOBAL__N_116CompareEqFunctorIfEEEEEEvRNS_18TensorIteratorBaseERKT_EUlibE0_EEviT1_,comdat
	.globl	_ZN2at6native32elementwise_kernel_manual_unrollILi128ELi4EZNS0_15gpu_kernel_implINS0_13AUnaryFunctorIffbNS0_12_GLOBAL__N_116CompareEqFunctorIfEEEEEEvRNS_18TensorIteratorBaseERKT_EUlibE0_EEviT1_ ; -- Begin function _ZN2at6native32elementwise_kernel_manual_unrollILi128ELi4EZNS0_15gpu_kernel_implINS0_13AUnaryFunctorIffbNS0_12_GLOBAL__N_116CompareEqFunctorIfEEEEEEvRNS_18TensorIteratorBaseERKT_EUlibE0_EEviT1_
	.p2align	8
	.type	_ZN2at6native32elementwise_kernel_manual_unrollILi128ELi4EZNS0_15gpu_kernel_implINS0_13AUnaryFunctorIffbNS0_12_GLOBAL__N_116CompareEqFunctorIfEEEEEEvRNS_18TensorIteratorBaseERKT_EUlibE0_EEviT1_,@function
_ZN2at6native32elementwise_kernel_manual_unrollILi128ELi4EZNS0_15gpu_kernel_implINS0_13AUnaryFunctorIffbNS0_12_GLOBAL__N_116CompareEqFunctorIfEEEEEEvRNS_18TensorIteratorBaseERKT_EUlibE0_EEviT1_: ; @_ZN2at6native32elementwise_kernel_manual_unrollILi128ELi4EZNS0_15gpu_kernel_implINS0_13AUnaryFunctorIffbNS0_12_GLOBAL__N_116CompareEqFunctorIfEEEEEEvRNS_18TensorIteratorBaseERKT_EUlibE0_EEviT1_
; %bb.0:
	s_load_dword s74, s[4:5], 0x0
	s_load_dword s33, s[4:5], 0x8
	s_add_u32 s34, s4, 8
	s_addc_u32 s35, s5, 0
	v_lshl_or_b32 v8, s6, 9, v0
	v_or_b32_e32 v15, 0x180, v8
	s_waitcnt lgkmcnt(0)
	s_add_i32 s76, s33, -1
	s_cmp_gt_u32 s76, 1
	v_cmp_le_i32_e32 vcc, s74, v15
	s_cselect_b64 s[46:47], -1, 0
	s_mov_b64 s[44:45], 0
	s_mov_b64 s[6:7], 0
	s_and_saveexec_b64 s[0:1], vcc
	s_xor_b64 s[48:49], exec, s[0:1]
	s_cbranch_execz .LBB111_1086
; %bb.1:
	s_load_dwordx4 s[28:31], s[34:35], 0x4
	s_load_dwordx2 s[52:53], s[34:35], 0x14
	s_load_dwordx2 s[50:51], s[34:35], 0x158
	s_load_dword s77, s[34:35], 0x160
	s_cmp_lg_u32 s33, 0
	s_cselect_b64 s[58:59], -1, 0
	s_add_u32 s56, s34, 0xc4
	s_addc_u32 s57, s35, 0
	s_min_u32 s79, s76, 15
	s_load_dwordx4 s[36:39], s[34:35], 0xc4
	s_load_dwordx4 s[24:27], s[34:35], 0x148
	s_cmp_gt_u32 s33, 1
	s_cselect_b64 s[54:55], -1, 0
	s_waitcnt lgkmcnt(0)
	s_bfe_u32 s78, s77, 0x80008
	s_cmp_eq_u32 s50, 0
	s_cselect_b64 s[0:1], -1, 0
	v_cmp_gt_i32_e32 vcc, s74, v8
	s_mov_b64 s[2:3], -1
	s_mov_b64 s[68:69], 0
	s_mov_b64 s[62:63], 0
	;; [unrolled: 1-line block ×3, first 2 shown]
	s_and_saveexec_b64 s[64:65], vcc
	s_cbranch_execz .LBB111_266
; %bb.2:
	s_andn2_b64 vcc, exec, s[46:47]
	s_cbranch_vccnz .LBB111_7
; %bb.3:
	s_andn2_b64 vcc, exec, s[58:59]
	s_cbranch_vccnz .LBB111_8
; %bb.4:
	s_add_i32 s60, s79, 1
	s_cmp_eq_u32 s76, 2
	s_cbranch_scc1 .LBB111_9
; %bb.5:
	s_and_b32 s50, s60, 28
	v_mov_b32_e32 v2, 0
	s_mov_b32 s61, 0
	s_mov_b64 s[2:3], s[34:35]
	s_mov_b64 s[6:7], s[56:57]
	v_mov_b32_e32 v0, 0
	v_mov_b32_e32 v1, v8
.LBB111_6:                              ; =>This Inner Loop Header: Depth=1
	s_load_dwordx8 s[16:23], s[2:3], 0x4
	s_load_dwordx4 s[40:43], s[2:3], 0x24
	s_load_dwordx8 s[8:15], s[6:7], 0x0
	s_add_u32 s2, s2, 48
	s_addc_u32 s3, s3, 0
	s_waitcnt lgkmcnt(0)
	v_mul_hi_u32 v3, s17, v1
	s_add_i32 s61, s61, 4
	s_add_u32 s6, s6, 32
	s_addc_u32 s7, s7, 0
	v_add_u32_e32 v3, v1, v3
	v_lshrrev_b32_e32 v3, s18, v3
	v_mul_lo_u32 v4, v3, s16
	v_mul_hi_u32 v5, s20, v3
	s_cmp_lg_u32 s50, s61
	v_sub_u32_e32 v1, v1, v4
	v_add_u32_e32 v4, v3, v5
	v_mul_lo_u32 v5, v1, s8
	v_mul_lo_u32 v6, v1, s9
	v_lshrrev_b32_e32 v1, s21, v4
	v_mul_lo_u32 v4, v1, s19
	v_mul_hi_u32 v7, s23, v1
	v_sub_u32_e32 v3, v3, v4
	v_add_u32_e32 v4, v1, v7
	v_lshrrev_b32_e32 v4, s40, v4
	v_mul_hi_u32 v9, s42, v4
	v_mul_lo_u32 v10, v4, s22
	v_mul_lo_u32 v7, v3, s10
	;; [unrolled: 1-line block ×3, first 2 shown]
	v_sub_u32_e32 v10, v1, v10
	v_add_u32_e32 v1, v4, v9
	v_lshrrev_b32_e32 v1, s43, v1
	v_mul_lo_u32 v9, v1, s41
	v_mul_lo_u32 v11, v10, s12
	;; [unrolled: 1-line block ×3, first 2 shown]
	v_add3_u32 v0, v5, v0, v7
	v_sub_u32_e32 v4, v4, v9
	v_mul_lo_u32 v9, v4, s14
	v_mul_lo_u32 v4, v4, s15
	v_add3_u32 v2, v6, v2, v3
	v_add3_u32 v0, v11, v0, v9
	;; [unrolled: 1-line block ×3, first 2 shown]
	s_cbranch_scc1 .LBB111_6
	s_branch .LBB111_10
.LBB111_7:
                                        ; implicit-def: $vgpr0
                                        ; implicit-def: $vgpr2
	s_andn2_b64 vcc, exec, s[2:3]
	s_cbranch_vccz .LBB111_14
	s_branch .LBB111_16
.LBB111_8:
	v_mov_b32_e32 v0, 0
	v_mov_b32_e32 v2, 0
	s_branch .LBB111_13
.LBB111_9:
	s_mov_b32 s50, 0
	v_mov_b32_e32 v0, 0
	v_mov_b32_e32 v2, 0
	;; [unrolled: 1-line block ×3, first 2 shown]
.LBB111_10:
	s_and_b32 s8, s60, 3
	s_cmp_eq_u32 s8, 0
	s_cbranch_scc1 .LBB111_13
; %bb.11:
	s_lshl_b32 s2, s50, 3
	s_add_u32 s2, s34, s2
	s_addc_u32 s3, s35, 0
	s_add_u32 s2, s2, 0xc4
	s_addc_u32 s3, s3, 0
	s_mul_i32 s6, s50, 12
	s_add_u32 s6, s34, s6
	s_addc_u32 s7, s35, 0
.LBB111_12:                             ; =>This Inner Loop Header: Depth=1
	s_load_dwordx2 s[10:11], s[6:7], 0x4
	s_load_dword s9, s[6:7], 0xc
	s_load_dwordx2 s[12:13], s[2:3], 0x0
	s_add_u32 s6, s6, 12
	s_addc_u32 s7, s7, 0
	s_waitcnt lgkmcnt(0)
	v_mul_hi_u32 v3, s11, v1
	s_add_u32 s2, s2, 8
	s_addc_u32 s3, s3, 0
	s_add_i32 s8, s8, -1
	v_add_u32_e32 v3, v1, v3
	v_lshrrev_b32_e32 v4, s9, v3
	v_mul_lo_u32 v3, v4, s10
	s_cmp_lg_u32 s8, 0
	v_sub_u32_e32 v3, v1, v3
	v_mad_u64_u32 v[0:1], s[10:11], v3, s12, v[0:1]
	v_mad_u64_u32 v[2:3], s[10:11], v3, s13, v[2:3]
	v_mov_b32_e32 v1, v4
	s_cbranch_scc1 .LBB111_12
.LBB111_13:
	s_cbranch_execnz .LBB111_16
.LBB111_14:
	v_mul_hi_u32 v0, s29, v8
	s_andn2_b64 vcc, exec, s[54:55]
	v_add_u32_e32 v0, v8, v0
	v_lshrrev_b32_e32 v1, s30, v0
	v_mul_lo_u32 v0, v1, s28
	v_sub_u32_e32 v2, v8, v0
	v_mul_lo_u32 v0, v2, s36
	v_mul_lo_u32 v2, v2, s37
	s_cbranch_vccnz .LBB111_16
; %bb.15:
	v_mul_hi_u32 v3, s52, v1
	v_add_u32_e32 v3, v1, v3
	v_lshrrev_b32_e32 v3, s53, v3
	v_mul_lo_u32 v3, v3, s31
	v_sub_u32_e32 v3, v1, v3
	v_mad_u64_u32 v[0:1], s[2:3], v3, s38, v[0:1]
	v_mad_u64_u32 v[2:3], s[2:3], v3, s39, v[2:3]
.LBB111_16:
	v_mov_b32_e32 v3, s27
	s_and_b32 s12, 0xffff, s78
	v_add_co_u32_e32 v1, vcc, s26, v2
	s_cmp_lt_i32 s12, 11
	v_addc_co_u32_e32 v2, vcc, 0, v3, vcc
	s_cbranch_scc1 .LBB111_23
; %bb.17:
	s_cmp_gt_i32 s12, 25
	s_cbranch_scc0 .LBB111_32
; %bb.18:
	s_cmp_gt_i32 s12, 28
	s_cbranch_scc0 .LBB111_35
; %bb.19:
	s_cmp_gt_i32 s12, 43
	s_cbranch_scc0 .LBB111_37
; %bb.20:
	s_cmp_gt_i32 s12, 45
	s_cbranch_scc0 .LBB111_39
; %bb.21:
	s_cmp_eq_u32 s12, 46
	s_mov_b64 s[6:7], 0
	s_cbranch_scc0 .LBB111_41
; %bb.22:
	global_load_dword v3, v[1:2], off
	s_mov_b64 s[2:3], -1
	s_mov_b64 s[8:9], 0
	s_waitcnt vmcnt(0)
	v_lshlrev_b32_e32 v3, 16, v3
	s_branch .LBB111_43
.LBB111_23:
	s_mov_b64 s[8:9], 0
                                        ; implicit-def: $vgpr3
	s_mov_b64 s[2:3], 0
	s_cbranch_execnz .LBB111_216
.LBB111_24:
	s_andn2_b64 vcc, exec, s[2:3]
	s_cbranch_vccnz .LBB111_263
.LBB111_25:
	s_waitcnt vmcnt(0)
	v_cmp_eq_f32_e32 vcc, s51, v3
	v_cndmask_b32_e64 v1, 0, 1, vcc
	v_cmp_neq_f32_e32 vcc, s51, v3
	v_cndmask_b32_e64 v2, 0, 1, vcc
	v_cndmask_b32_e64 v1, v2, v1, s[0:1]
	v_and_b32_e32 v1, 1, v1
	v_cmp_eq_u32_e64 s[2:3], 1, v1
	v_mov_b32_e32 v1, s25
	s_and_b32 s16, s77, 0xff
	v_add_co_u32_e32 v0, vcc, s24, v0
	s_cmp_lt_i32 s16, 11
	v_addc_co_u32_e32 v1, vcc, 0, v1, vcc
	s_cbranch_scc1 .LBB111_33
; %bb.26:
	s_and_b32 s17, 0xffff, s16
	s_cmp_gt_i32 s17, 25
	s_cbranch_scc0 .LBB111_36
; %bb.27:
	s_cmp_gt_i32 s17, 28
	s_cbranch_scc0 .LBB111_38
; %bb.28:
	;; [unrolled: 3-line block ×4, first 2 shown]
	s_mov_b64 s[12:13], 0
	s_mov_b64 s[6:7], -1
	s_cmp_eq_u32 s17, 46
	s_mov_b64 s[10:11], 0
	s_cbranch_scc0 .LBB111_47
; %bb.31:
	v_cndmask_b32_e64 v2, 0, 1.0, s[2:3]
	v_bfe_u32 v3, v2, 16, 1
	s_movk_i32 s6, 0x7fff
	v_add3_u32 v2, v2, v3, s6
	v_lshrrev_b32_e32 v2, 16, v2
	global_store_dword v[0:1], v2, off
	s_mov_b64 s[10:11], -1
	s_mov_b64 s[6:7], 0
	s_branch .LBB111_47
.LBB111_32:
	s_mov_b64 s[8:9], 0
	s_mov_b64 s[2:3], 0
                                        ; implicit-def: $vgpr3
	s_cbranch_execnz .LBB111_181
	s_branch .LBB111_215
.LBB111_33:
	s_mov_b64 s[6:7], 0
	s_mov_b64 s[10:11], 0
	s_cbranch_execnz .LBB111_116
.LBB111_34:
	s_andn2_b64 vcc, exec, s[10:11]
	s_cbranch_vccnz .LBB111_264
	s_branch .LBB111_154
.LBB111_35:
	s_mov_b64 s[6:7], -1
	s_mov_b64 s[8:9], 0
	s_mov_b64 s[2:3], 0
                                        ; implicit-def: $vgpr3
	s_branch .LBB111_162
.LBB111_36:
	s_mov_b64 s[12:13], -1
	s_mov_b64 s[6:7], 0
	s_mov_b64 s[10:11], 0
	s_branch .LBB111_74
.LBB111_37:
	s_mov_b64 s[6:7], -1
	s_mov_b64 s[8:9], 0
	s_mov_b64 s[2:3], 0
                                        ; implicit-def: $vgpr3
	s_branch .LBB111_157
.LBB111_38:
	s_mov_b64 s[12:13], -1
	s_mov_b64 s[6:7], 0
	s_mov_b64 s[10:11], 0
	s_branch .LBB111_57
.LBB111_39:
	s_mov_b64 s[6:7], -1
	s_mov_b64 s[8:9], 0
	s_branch .LBB111_42
.LBB111_40:
	s_mov_b64 s[12:13], -1
	s_mov_b64 s[6:7], 0
	s_mov_b64 s[10:11], 0
	s_branch .LBB111_53
.LBB111_41:
	s_mov_b64 s[8:9], -1
.LBB111_42:
	s_mov_b64 s[2:3], 0
                                        ; implicit-def: $vgpr3
.LBB111_43:
	s_and_b64 vcc, exec, s[6:7]
	s_cbranch_vccz .LBB111_156
; %bb.44:
	s_cmp_eq_u32 s12, 44
	s_cbranch_scc0 .LBB111_155
; %bb.45:
	global_load_ubyte v3, v[1:2], off
	s_movk_i32 s6, 0xff
	v_mov_b32_e32 v4, 0x7f800001
	v_mov_b32_e32 v5, 0x400000
	s_mov_b64 s[2:3], -1
	s_mov_b64 s[8:9], 0
	s_waitcnt vmcnt(0)
	v_lshlrev_b32_e32 v6, 23, v3
	v_cmp_ne_u32_e32 vcc, s6, v3
	v_cndmask_b32_e32 v4, v4, v6, vcc
	v_cmp_ne_u32_e32 vcc, 0, v3
	v_cndmask_b32_e32 v3, v5, v4, vcc
	s_branch .LBB111_156
.LBB111_46:
	s_mov_b64 s[12:13], -1
	s_mov_b64 s[6:7], 0
	s_mov_b64 s[10:11], 0
.LBB111_47:
	s_and_b64 vcc, exec, s[12:13]
	s_cbranch_vccz .LBB111_52
; %bb.48:
	s_cmp_eq_u32 s17, 44
	s_mov_b64 s[6:7], -1
	s_cbranch_scc0 .LBB111_52
; %bb.49:
	v_cndmask_b32_e64 v3, 0, 1.0, s[2:3]
	v_lshrrev_b32_e32 v2, 23, v3
	s_movk_i32 s6, 0xff
	v_cmp_ne_u32_e32 vcc, s6, v2
	v_mov_b32_e32 v4, 0xff
	s_and_saveexec_b64 s[10:11], vcc
; %bb.50:
	s_mov_b32 s6, 0x3fffff
	v_and_b32_e32 v4, 0x400000, v3
	v_and_or_b32 v3, v3, s6, v2
	v_cmp_ne_u32_e32 vcc, 0, v4
	v_cmp_ne_u32_e64 s[6:7], 0, v3
	s_and_b64 s[6:7], vcc, s[6:7]
	v_cndmask_b32_e64 v3, 0, 1, s[6:7]
	v_add_u32_e32 v4, v2, v3
; %bb.51:
	s_or_b64 exec, exec, s[10:11]
	s_mov_b64 s[10:11], -1
	s_mov_b64 s[6:7], 0
	global_store_byte v[0:1], v4, off
.LBB111_52:
	s_mov_b64 s[12:13], 0
.LBB111_53:
	s_and_b64 vcc, exec, s[12:13]
	s_cbranch_vccz .LBB111_56
; %bb.54:
	s_cmp_eq_u32 s17, 29
	s_mov_b64 s[6:7], -1
	s_cbranch_scc0 .LBB111_56
; %bb.55:
	s_mov_b32 s6, 0
	v_cndmask_b32_e64 v2, 0, 1, s[2:3]
	v_mov_b32_e32 v3, s6
	global_store_dwordx2 v[0:1], v[2:3], off
	s_mov_b64 s[10:11], -1
	s_mov_b64 s[6:7], 0
.LBB111_56:
	s_mov_b64 s[12:13], 0
.LBB111_57:
	s_and_b64 vcc, exec, s[12:13]
	s_cbranch_vccz .LBB111_73
; %bb.58:
	s_cmp_lt_i32 s17, 27
	s_mov_b64 s[10:11], -1
	s_cbranch_scc1 .LBB111_64
; %bb.59:
	s_cmp_gt_i32 s17, 27
	s_cbranch_scc0 .LBB111_61
; %bb.60:
	v_cndmask_b32_e64 v2, 0, 1, s[2:3]
	s_mov_b64 s[10:11], 0
	global_store_dword v[0:1], v2, off
.LBB111_61:
	s_andn2_b64 vcc, exec, s[10:11]
	s_cbranch_vccnz .LBB111_63
; %bb.62:
	v_cndmask_b32_e64 v2, 0, 1, s[2:3]
	global_store_short v[0:1], v2, off
.LBB111_63:
	s_mov_b64 s[10:11], 0
.LBB111_64:
	s_andn2_b64 vcc, exec, s[10:11]
	s_cbranch_vccnz .LBB111_72
; %bb.65:
	v_cndmask_b32_e64 v3, 0, 1.0, s[2:3]
	s_mov_b32 s10, 0x43800000
	v_cmp_gt_u32_e32 vcc, s10, v3
	v_mov_b32_e32 v4, 0x80
	s_and_saveexec_b64 s[10:11], vcc
	s_cbranch_execz .LBB111_71
; %bb.66:
	s_mov_b32 s12, 0x3bffffff
	v_cmp_lt_u32_e32 vcc, s12, v3
	s_mov_b64 s[12:13], 0
                                        ; implicit-def: $vgpr2
	s_and_saveexec_b64 s[14:15], vcc
	s_xor_b64 s[14:15], exec, s[14:15]
	s_cbranch_execz .LBB111_307
; %bb.67:
	v_bfe_u32 v2, v3, 20, 1
	s_mov_b32 s18, 0x487ffff
	v_add3_u32 v2, v3, v2, s18
	s_mov_b64 s[12:13], exec
	v_lshrrev_b32_e32 v2, 20, v2
                                        ; implicit-def: $vgpr3
	s_andn2_saveexec_b64 s[14:15], s[14:15]
	s_cbranch_execnz .LBB111_308
.LBB111_68:
	s_or_b64 exec, exec, s[14:15]
	v_mov_b32_e32 v4, 0
	s_and_saveexec_b64 s[14:15], s[12:13]
.LBB111_69:
	v_mov_b32_e32 v4, v2
.LBB111_70:
	s_or_b64 exec, exec, s[14:15]
.LBB111_71:
	s_or_b64 exec, exec, s[10:11]
	global_store_byte v[0:1], v4, off
.LBB111_72:
	s_mov_b64 s[10:11], -1
.LBB111_73:
	s_mov_b64 s[12:13], 0
.LBB111_74:
	s_and_b64 vcc, exec, s[12:13]
	s_cbranch_vccz .LBB111_115
; %bb.75:
	s_cmp_gt_i32 s17, 22
	s_mov_b64 s[12:13], -1
	s_cbranch_scc0 .LBB111_107
; %bb.76:
	s_cmp_lt_i32 s17, 24
	s_mov_b64 s[10:11], -1
	s_cbranch_scc1 .LBB111_96
; %bb.77:
	s_cmp_gt_i32 s17, 24
	s_cbranch_scc0 .LBB111_85
; %bb.78:
	v_cndmask_b32_e64 v3, 0, 1.0, s[2:3]
	s_mov_b32 s10, 0x47800000
	v_cmp_gt_u32_e32 vcc, s10, v3
	v_mov_b32_e32 v4, 0x80
	s_and_saveexec_b64 s[10:11], vcc
	s_cbranch_execz .LBB111_84
; %bb.79:
	s_mov_b32 s12, 0x37ffffff
	v_cmp_lt_u32_e32 vcc, s12, v3
	s_mov_b64 s[12:13], 0
                                        ; implicit-def: $vgpr2
	s_and_saveexec_b64 s[14:15], vcc
	s_xor_b64 s[14:15], exec, s[14:15]
	s_cbranch_execz .LBB111_311
; %bb.80:
	v_bfe_u32 v2, v3, 21, 1
	s_mov_b32 s18, 0x88fffff
	v_add3_u32 v2, v3, v2, s18
	s_mov_b64 s[12:13], exec
	v_lshrrev_b32_e32 v2, 21, v2
                                        ; implicit-def: $vgpr3
	s_andn2_saveexec_b64 s[14:15], s[14:15]
	s_cbranch_execnz .LBB111_312
.LBB111_81:
	s_or_b64 exec, exec, s[14:15]
	v_mov_b32_e32 v4, 0
	s_and_saveexec_b64 s[14:15], s[12:13]
.LBB111_82:
	v_mov_b32_e32 v4, v2
.LBB111_83:
	s_or_b64 exec, exec, s[14:15]
.LBB111_84:
	s_or_b64 exec, exec, s[10:11]
	s_mov_b64 s[10:11], 0
	global_store_byte v[0:1], v4, off
.LBB111_85:
	s_and_b64 vcc, exec, s[10:11]
	s_cbranch_vccz .LBB111_95
; %bb.86:
	v_cndmask_b32_e64 v2, 0, 1.0, s[2:3]
	s_mov_b32 s10, 0x43f00000
	v_cmp_gt_u32_e32 vcc, s10, v2
                                        ; implicit-def: $vgpr3
	s_and_saveexec_b64 s[10:11], vcc
	s_xor_b64 s[10:11], exec, s[10:11]
	s_cbranch_execz .LBB111_92
; %bb.87:
	s_mov_b32 s12, 0x3c7fffff
	v_cmp_lt_u32_e32 vcc, s12, v2
                                        ; implicit-def: $vgpr3
	s_and_saveexec_b64 s[12:13], vcc
	s_xor_b64 s[12:13], exec, s[12:13]
; %bb.88:
	v_bfe_u32 v3, v2, 20, 1
	s_mov_b32 s14, 0x407ffff
	v_add3_u32 v2, v2, v3, s14
	v_lshrrev_b32_e32 v3, 20, v2
	v_and_b32_e32 v2, 0xff00000, v2
	s_mov_b32 s14, 0x7f00000
	v_mov_b32_e32 v4, 0x7e
	v_cmp_ne_u32_e32 vcc, s14, v2
	v_cndmask_b32_e32 v3, v4, v3, vcc
                                        ; implicit-def: $vgpr2
; %bb.89:
	s_andn2_saveexec_b64 s[12:13], s[12:13]
; %bb.90:
	v_add_f32_e32 v3, 0x46800000, v2
; %bb.91:
	s_or_b64 exec, exec, s[12:13]
                                        ; implicit-def: $vgpr2
.LBB111_92:
	s_andn2_saveexec_b64 s[10:11], s[10:11]
; %bb.93:
	s_mov_b32 s12, 0x7f800000
	v_mov_b32_e32 v3, 0x7e
	v_mov_b32_e32 v4, 0x7f
	v_cmp_lt_u32_e32 vcc, s12, v2
	v_cndmask_b32_e32 v3, v3, v4, vcc
; %bb.94:
	s_or_b64 exec, exec, s[10:11]
	global_store_byte v[0:1], v3, off
.LBB111_95:
	s_mov_b64 s[10:11], 0
.LBB111_96:
	s_andn2_b64 vcc, exec, s[10:11]
	s_cbranch_vccnz .LBB111_106
; %bb.97:
	v_cndmask_b32_e64 v2, 0, 1.0, s[2:3]
	s_mov_b32 s10, 0x47800000
	v_cmp_gt_u32_e32 vcc, s10, v2
                                        ; implicit-def: $vgpr3
	s_and_saveexec_b64 s[10:11], vcc
	s_xor_b64 s[10:11], exec, s[10:11]
	s_cbranch_execz .LBB111_103
; %bb.98:
	s_mov_b32 s12, 0x387fffff
	v_cmp_lt_u32_e32 vcc, s12, v2
                                        ; implicit-def: $vgpr3
	s_and_saveexec_b64 s[12:13], vcc
	s_xor_b64 s[12:13], exec, s[12:13]
; %bb.99:
	v_bfe_u32 v3, v2, 21, 1
	s_mov_b32 s14, 0x80fffff
	v_add3_u32 v2, v2, v3, s14
	v_lshrrev_b32_e32 v3, 21, v2
                                        ; implicit-def: $vgpr2
; %bb.100:
	s_andn2_saveexec_b64 s[12:13], s[12:13]
; %bb.101:
	v_add_f32_e32 v3, 0x43000000, v2
; %bb.102:
	s_or_b64 exec, exec, s[12:13]
                                        ; implicit-def: $vgpr2
.LBB111_103:
	s_andn2_saveexec_b64 s[10:11], s[10:11]
; %bb.104:
	s_mov_b32 s12, 0x7f800000
	v_mov_b32_e32 v3, 0x7c
	v_mov_b32_e32 v4, 0x7f
	v_cmp_lt_u32_e32 vcc, s12, v2
	v_cndmask_b32_e32 v3, v3, v4, vcc
; %bb.105:
	s_or_b64 exec, exec, s[10:11]
	global_store_byte v[0:1], v3, off
.LBB111_106:
	s_mov_b64 s[12:13], 0
	s_mov_b64 s[10:11], -1
.LBB111_107:
	s_andn2_b64 vcc, exec, s[12:13]
	s_cbranch_vccnz .LBB111_115
; %bb.108:
	s_cmp_gt_i32 s17, 14
	s_mov_b64 s[12:13], -1
	s_cbranch_scc0 .LBB111_112
; %bb.109:
	s_cmp_eq_u32 s17, 15
	s_mov_b64 s[6:7], -1
	s_cbranch_scc0 .LBB111_111
; %bb.110:
	v_cndmask_b32_e64 v2, 0, 1.0, s[2:3]
	v_bfe_u32 v3, v2, 16, 1
	s_movk_i32 s6, 0x7fff
	v_add3_u32 v2, v2, v3, s6
	global_store_short_d16_hi v[0:1], v2, off
	s_mov_b64 s[10:11], -1
	s_mov_b64 s[6:7], 0
.LBB111_111:
	s_mov_b64 s[12:13], 0
.LBB111_112:
	s_and_b64 vcc, exec, s[12:13]
	s_cbranch_vccz .LBB111_115
; %bb.113:
	s_cmp_eq_u32 s17, 11
	s_mov_b64 s[6:7], -1
	s_cbranch_scc0 .LBB111_115
; %bb.114:
	v_cndmask_b32_e64 v2, 0, 1, s[2:3]
	s_mov_b64 s[10:11], -1
	s_mov_b64 s[6:7], 0
	global_store_byte v[0:1], v2, off
.LBB111_115:
	s_branch .LBB111_34
.LBB111_116:
	s_and_b32 s12, 0xffff, s16
	s_cmp_lt_i32 s12, 5
	s_mov_b64 s[10:11], -1
	s_cbranch_scc1 .LBB111_137
; %bb.117:
	s_cmp_lt_i32 s12, 8
	s_cbranch_scc1 .LBB111_127
; %bb.118:
	s_cmp_lt_i32 s12, 9
	s_cbranch_scc1 .LBB111_124
; %bb.119:
	s_cmp_gt_i32 s12, 9
	s_cbranch_scc0 .LBB111_121
; %bb.120:
	v_cndmask_b32_e64 v2, 0, 1, s[2:3]
	v_cvt_f64_u32_e32 v[2:3], v2
	v_mov_b32_e32 v4, 0
	v_mov_b32_e32 v5, v4
	s_mov_b64 s[10:11], 0
	global_store_dwordx4 v[0:1], v[2:5], off
.LBB111_121:
	s_andn2_b64 vcc, exec, s[10:11]
	s_cbranch_vccnz .LBB111_123
; %bb.122:
	v_cndmask_b32_e64 v2, 0, 1.0, s[2:3]
	v_mov_b32_e32 v3, 0
	global_store_dwordx2 v[0:1], v[2:3], off
.LBB111_123:
	s_mov_b64 s[10:11], 0
.LBB111_124:
	s_andn2_b64 vcc, exec, s[10:11]
	s_cbranch_vccnz .LBB111_126
; %bb.125:
	v_cndmask_b32_e64 v2, 0, 1.0, s[2:3]
	v_cvt_f16_f32_e32 v2, v2
	global_store_dword v[0:1], v2, off
.LBB111_126:
	s_mov_b64 s[10:11], 0
.LBB111_127:
	s_andn2_b64 vcc, exec, s[10:11]
	s_cbranch_vccnz .LBB111_136
; %bb.128:
	s_cmp_lt_i32 s12, 6
	s_mov_b64 s[10:11], -1
	s_cbranch_scc1 .LBB111_134
; %bb.129:
	s_cmp_gt_i32 s12, 6
	s_cbranch_scc0 .LBB111_131
; %bb.130:
	v_cndmask_b32_e64 v2, 0, 1, s[2:3]
	v_cvt_f64_u32_e32 v[2:3], v2
	s_mov_b64 s[10:11], 0
	global_store_dwordx2 v[0:1], v[2:3], off
.LBB111_131:
	s_andn2_b64 vcc, exec, s[10:11]
	s_cbranch_vccnz .LBB111_133
; %bb.132:
	v_cndmask_b32_e64 v2, 0, 1.0, s[2:3]
	global_store_dword v[0:1], v2, off
.LBB111_133:
	s_mov_b64 s[10:11], 0
.LBB111_134:
	s_andn2_b64 vcc, exec, s[10:11]
	s_cbranch_vccnz .LBB111_136
; %bb.135:
	v_cndmask_b32_e64 v2, 0, 1.0, s[2:3]
	v_cvt_f16_f32_e32 v2, v2
	global_store_short v[0:1], v2, off
.LBB111_136:
	s_mov_b64 s[10:11], 0
.LBB111_137:
	s_andn2_b64 vcc, exec, s[10:11]
	s_cbranch_vccnz .LBB111_153
; %bb.138:
	s_cmp_lt_i32 s12, 2
	s_mov_b64 s[10:11], -1
	s_cbranch_scc1 .LBB111_148
; %bb.139:
	s_cmp_lt_i32 s12, 3
	s_cbranch_scc1 .LBB111_145
; %bb.140:
	s_cmp_gt_i32 s12, 3
	s_cbranch_scc0 .LBB111_142
; %bb.141:
	s_mov_b32 s10, 0
	v_cndmask_b32_e64 v2, 0, 1, s[2:3]
	v_mov_b32_e32 v3, s10
	global_store_dwordx2 v[0:1], v[2:3], off
	s_mov_b64 s[10:11], 0
.LBB111_142:
	s_andn2_b64 vcc, exec, s[10:11]
	s_cbranch_vccnz .LBB111_144
; %bb.143:
	v_cndmask_b32_e64 v2, 0, 1, s[2:3]
	global_store_dword v[0:1], v2, off
.LBB111_144:
	s_mov_b64 s[10:11], 0
.LBB111_145:
	s_andn2_b64 vcc, exec, s[10:11]
	s_cbranch_vccnz .LBB111_147
; %bb.146:
	v_cndmask_b32_e64 v2, 0, 1, s[2:3]
	global_store_short v[0:1], v2, off
.LBB111_147:
	s_mov_b64 s[10:11], 0
.LBB111_148:
	s_andn2_b64 vcc, exec, s[10:11]
	s_cbranch_vccnz .LBB111_153
; %bb.149:
	s_cmp_gt_i32 s12, 0
	s_mov_b64 s[10:11], -1
	s_cbranch_scc0 .LBB111_151
; %bb.150:
	v_cndmask_b32_e64 v2, 0, 1, s[2:3]
	global_store_byte v[0:1], v2, off
	s_mov_b64 s[10:11], 0
.LBB111_151:
	s_andn2_b64 vcc, exec, s[10:11]
	s_cbranch_vccnz .LBB111_153
; %bb.152:
	v_cndmask_b32_e64 v2, 0, 1, s[2:3]
	global_store_byte v[0:1], v2, off
.LBB111_153:
.LBB111_154:
	v_add_u32_e32 v8, 0x80, v8
	s_mov_b64 s[2:3], -1
	s_branch .LBB111_265
.LBB111_155:
	s_mov_b64 s[8:9], -1
                                        ; implicit-def: $vgpr3
.LBB111_156:
	s_mov_b64 s[6:7], 0
.LBB111_157:
	s_and_b64 vcc, exec, s[6:7]
	s_cbranch_vccz .LBB111_161
; %bb.158:
	s_cmp_eq_u32 s12, 29
	s_cbranch_scc0 .LBB111_160
; %bb.159:
	global_load_dwordx2 v[3:4], v[1:2], off
	s_mov_b64 s[2:3], -1
	s_mov_b64 s[8:9], 0
	s_mov_b64 s[6:7], 0
	s_waitcnt vmcnt(0)
	v_ffbh_u32_e32 v5, v4
	v_min_u32_e32 v5, 32, v5
	v_lshlrev_b64 v[3:4], v5, v[3:4]
	v_min_u32_e32 v3, 1, v3
	v_or_b32_e32 v3, v4, v3
	v_cvt_f32_u32_e32 v3, v3
	v_sub_u32_e32 v4, 32, v5
	v_ldexp_f32 v3, v3, v4
	s_branch .LBB111_162
.LBB111_160:
	s_mov_b64 s[8:9], -1
                                        ; implicit-def: $vgpr3
.LBB111_161:
	s_mov_b64 s[6:7], 0
.LBB111_162:
	s_and_b64 vcc, exec, s[6:7]
	s_cbranch_vccz .LBB111_180
; %bb.163:
	s_cmp_lt_i32 s12, 27
	s_cbranch_scc1 .LBB111_166
; %bb.164:
	s_cmp_gt_i32 s12, 27
	s_cbranch_scc0 .LBB111_167
; %bb.165:
	global_load_dword v3, v[1:2], off
	s_mov_b64 s[2:3], 0
	s_waitcnt vmcnt(0)
	v_cvt_f32_u32_e32 v3, v3
	s_branch .LBB111_168
.LBB111_166:
	s_mov_b64 s[2:3], -1
                                        ; implicit-def: $vgpr3
	s_branch .LBB111_171
.LBB111_167:
	s_mov_b64 s[2:3], -1
                                        ; implicit-def: $vgpr3
.LBB111_168:
	s_andn2_b64 vcc, exec, s[2:3]
	s_cbranch_vccnz .LBB111_170
; %bb.169:
	global_load_ushort v3, v[1:2], off
	s_waitcnt vmcnt(0)
	v_cvt_f32_u32_e32 v3, v3
.LBB111_170:
	s_mov_b64 s[2:3], 0
.LBB111_171:
	s_andn2_b64 vcc, exec, s[2:3]
	s_cbranch_vccnz .LBB111_179
; %bb.172:
	global_load_ubyte v4, v[1:2], off
	s_movk_i32 s2, 0x7f
	s_waitcnt vmcnt(0)
	v_cmp_lt_i16_e32 vcc, s2, v4
	s_mov_b64 s[2:3], 0
	s_and_saveexec_b64 s[6:7], vcc
	s_xor_b64 s[6:7], exec, s[6:7]
	s_cbranch_execz .LBB111_192
; %bb.173:
	s_movk_i32 s2, 0x80
	v_cmp_eq_u16_e32 vcc, s2, v4
	s_mov_b64 s[2:3], -1
	s_and_saveexec_b64 s[10:11], vcc
; %bb.174:
	s_xor_b64 s[2:3], exec, -1
; %bb.175:
	s_or_b64 exec, exec, s[10:11]
	s_and_b64 s[2:3], s[2:3], exec
	s_or_saveexec_b64 s[6:7], s[6:7]
	v_mov_b32_e32 v3, 0x7f800001
	s_xor_b64 exec, exec, s[6:7]
	s_cbranch_execnz .LBB111_193
.LBB111_176:
	s_or_b64 exec, exec, s[6:7]
	s_and_saveexec_b64 s[6:7], s[2:3]
	s_cbranch_execz .LBB111_178
.LBB111_177:
	v_lshlrev_b32_e32 v3, 24, v4
	v_and_b32_e32 v4, 0xffff, v4
	v_and_b32_e32 v5, 7, v4
	v_ffbh_u32_e32 v7, v5
	v_min_u32_e32 v7, 32, v7
	v_subrev_u32_e32 v9, 28, v7
	v_bfe_u32 v6, v4, 3, 4
	v_lshlrev_b32_e32 v4, v9, v4
	v_sub_u32_e32 v7, 29, v7
	v_and_b32_e32 v4, 7, v4
	v_cmp_eq_u32_e32 vcc, 0, v6
	v_cndmask_b32_e32 v6, v6, v7, vcc
	v_cndmask_b32_e32 v4, v5, v4, vcc
	v_mov_b32_e32 v5, 0x3b800000
	v_lshlrev_b32_e32 v4, 20, v4
	v_and_b32_e32 v3, 0x80000000, v3
	v_lshl_add_u32 v5, v6, 23, v5
	v_or3_b32 v3, v3, v5, v4
.LBB111_178:
	s_or_b64 exec, exec, s[6:7]
.LBB111_179:
	s_mov_b64 s[2:3], -1
.LBB111_180:
	s_branch .LBB111_215
.LBB111_181:
	s_cmp_gt_i32 s12, 22
	s_cbranch_scc0 .LBB111_191
; %bb.182:
	s_cmp_lt_i32 s12, 24
	s_cbranch_scc1 .LBB111_194
; %bb.183:
	s_cmp_gt_i32 s12, 24
	s_cbranch_scc0 .LBB111_195
; %bb.184:
	global_load_ubyte v4, v[1:2], off
	s_movk_i32 s2, 0x7f
	s_waitcnt vmcnt(0)
	v_cmp_lt_i16_e32 vcc, s2, v4
	s_mov_b64 s[2:3], 0
	s_and_saveexec_b64 s[6:7], vcc
	s_xor_b64 s[6:7], exec, s[6:7]
	s_cbranch_execz .LBB111_207
; %bb.185:
	s_movk_i32 s2, 0x80
	v_cmp_eq_u16_e32 vcc, s2, v4
	s_mov_b64 s[2:3], -1
	s_and_saveexec_b64 s[10:11], vcc
; %bb.186:
	s_xor_b64 s[2:3], exec, -1
; %bb.187:
	s_or_b64 exec, exec, s[10:11]
	s_and_b64 s[2:3], s[2:3], exec
	s_or_saveexec_b64 s[6:7], s[6:7]
	v_mov_b32_e32 v3, 0x7f800001
	s_xor_b64 exec, exec, s[6:7]
	s_cbranch_execnz .LBB111_208
.LBB111_188:
	s_or_b64 exec, exec, s[6:7]
	s_and_saveexec_b64 s[6:7], s[2:3]
	s_cbranch_execz .LBB111_190
.LBB111_189:
	v_lshlrev_b32_e32 v3, 24, v4
	v_and_b32_e32 v4, 0xffff, v4
	v_and_b32_e32 v5, 3, v4
	v_ffbh_u32_e32 v7, v5
	v_min_u32_e32 v7, 32, v7
	v_subrev_u32_e32 v9, 29, v7
	v_bfe_u32 v6, v4, 2, 5
	v_lshlrev_b32_e32 v4, v9, v4
	v_sub_u32_e32 v7, 30, v7
	v_and_b32_e32 v4, 3, v4
	v_cmp_eq_u32_e32 vcc, 0, v6
	v_cndmask_b32_e32 v6, v6, v7, vcc
	v_cndmask_b32_e32 v4, v5, v4, vcc
	v_mov_b32_e32 v5, 0x37800000
	v_lshlrev_b32_e32 v4, 21, v4
	v_and_b32_e32 v3, 0x80000000, v3
	v_lshl_add_u32 v5, v6, 23, v5
	v_or3_b32 v3, v3, v5, v4
.LBB111_190:
	s_or_b64 exec, exec, s[6:7]
	s_mov_b64 s[2:3], 0
	s_branch .LBB111_196
.LBB111_191:
	s_mov_b64 s[6:7], -1
                                        ; implicit-def: $vgpr3
	s_branch .LBB111_202
.LBB111_192:
	s_or_saveexec_b64 s[6:7], s[6:7]
	v_mov_b32_e32 v3, 0x7f800001
	s_xor_b64 exec, exec, s[6:7]
	s_cbranch_execz .LBB111_176
.LBB111_193:
	v_cmp_ne_u16_e32 vcc, 0, v4
	s_andn2_b64 s[2:3], s[2:3], exec
	s_and_b64 s[10:11], vcc, exec
	v_mov_b32_e32 v3, 0
	s_or_b64 s[2:3], s[2:3], s[10:11]
	s_or_b64 exec, exec, s[6:7]
	s_and_saveexec_b64 s[6:7], s[2:3]
	s_cbranch_execnz .LBB111_177
	s_branch .LBB111_178
.LBB111_194:
	s_mov_b64 s[2:3], -1
                                        ; implicit-def: $vgpr3
	s_branch .LBB111_199
.LBB111_195:
	s_mov_b64 s[2:3], -1
                                        ; implicit-def: $vgpr3
.LBB111_196:
	s_and_b64 vcc, exec, s[2:3]
	s_cbranch_vccz .LBB111_198
; %bb.197:
	global_load_ubyte v3, v[1:2], off
	s_mov_b32 s2, 0x7f800000
	s_waitcnt vmcnt(0)
	v_lshlrev_b32_e32 v3, 24, v3
	v_and_b32_e32 v4, 0x7f000000, v3
	v_ffbh_u32_e32 v5, v4
	v_min_u32_e32 v5, 32, v5
	v_sub_u32_e64 v5, v5, 4 clamp
	v_lshlrev_b32_e32 v7, v5, v4
	v_lshlrev_b32_e32 v5, 23, v5
	v_lshrrev_b32_e32 v7, 4, v7
	v_add_u32_e32 v6, 0x1000000, v4
	v_sub_u32_e32 v5, v7, v5
	v_ashrrev_i32_e32 v6, 8, v6
	v_add_u32_e32 v5, 0x3c000000, v5
	v_and_or_b32 v5, v6, s2, v5
	v_cmp_ne_u32_e32 vcc, 0, v4
	v_cndmask_b32_e32 v4, 0, v5, vcc
	s_brev_b32 s2, 1
	v_and_or_b32 v3, v3, s2, v4
.LBB111_198:
	s_mov_b64 s[2:3], 0
.LBB111_199:
	s_andn2_b64 vcc, exec, s[2:3]
	s_cbranch_vccnz .LBB111_201
; %bb.200:
	global_load_ubyte v3, v[1:2], off
	s_movk_i32 s2, 0x7f00
	s_brev_b32 s3, 16
	s_waitcnt vmcnt(0)
	v_lshlrev_b16_e32 v4, 8, v3
	v_lshlrev_b32_e32 v3, 25, v3
	v_lshrrev_b32_e32 v5, 4, v3
	v_and_or_b32 v6, v4, s2, 0.5
	v_or_b32_e32 v5, 0x70000000, v5
	v_add_f32_e32 v6, -0.5, v6
	v_mul_f32_e32 v5, 0x7800000, v5
	v_cmp_gt_u32_e32 vcc, s3, v3
	v_bfe_i32 v4, v4, 0, 16
	v_cndmask_b32_e32 v3, v5, v6, vcc
	s_brev_b32 s2, 1
	v_and_or_b32 v3, v4, s2, v3
.LBB111_201:
	s_mov_b64 s[6:7], 0
	s_mov_b64 s[2:3], -1
.LBB111_202:
	s_andn2_b64 vcc, exec, s[6:7]
	s_cbranch_vccnz .LBB111_215
; %bb.203:
	s_cmp_gt_i32 s12, 14
	s_cbranch_scc0 .LBB111_206
; %bb.204:
	s_cmp_eq_u32 s12, 15
	s_cbranch_scc0 .LBB111_209
; %bb.205:
	global_load_ushort v3, v[1:2], off
	s_mov_b64 s[2:3], -1
	s_mov_b64 s[8:9], 0
	s_waitcnt vmcnt(0)
	v_lshlrev_b32_e32 v3, 16, v3
	s_branch .LBB111_210
.LBB111_206:
	s_mov_b64 s[6:7], -1
                                        ; implicit-def: $vgpr3
	s_branch .LBB111_211
.LBB111_207:
	s_or_saveexec_b64 s[6:7], s[6:7]
	v_mov_b32_e32 v3, 0x7f800001
	s_xor_b64 exec, exec, s[6:7]
	s_cbranch_execz .LBB111_188
.LBB111_208:
	v_cmp_ne_u16_e32 vcc, 0, v4
	s_andn2_b64 s[2:3], s[2:3], exec
	s_and_b64 s[10:11], vcc, exec
	v_mov_b32_e32 v3, 0
	s_or_b64 s[2:3], s[2:3], s[10:11]
	s_or_b64 exec, exec, s[6:7]
	s_and_saveexec_b64 s[6:7], s[2:3]
	s_cbranch_execnz .LBB111_189
	s_branch .LBB111_190
.LBB111_209:
	s_mov_b64 s[8:9], -1
                                        ; implicit-def: $vgpr3
.LBB111_210:
	s_mov_b64 s[6:7], 0
.LBB111_211:
	s_and_b64 vcc, exec, s[6:7]
	s_cbranch_vccz .LBB111_215
; %bb.212:
	s_cmp_eq_u32 s12, 11
	s_cbranch_scc0 .LBB111_214
; %bb.213:
	global_load_ubyte v3, v[1:2], off
	s_mov_b64 s[2:3], -1
	s_mov_b64 s[8:9], 0
	s_waitcnt vmcnt(0)
	v_cmp_ne_u16_e32 vcc, 0, v3
	v_cndmask_b32_e64 v3, 0, 1.0, vcc
	s_branch .LBB111_215
.LBB111_214:
	s_mov_b64 s[8:9], -1
                                        ; implicit-def: $vgpr3
.LBB111_215:
	s_branch .LBB111_24
.LBB111_216:
	s_cmp_lt_i32 s12, 5
	s_cbranch_scc1 .LBB111_221
; %bb.217:
	s_cmp_lt_i32 s12, 8
	s_cbranch_scc1 .LBB111_222
; %bb.218:
	;; [unrolled: 3-line block ×3, first 2 shown]
	s_cmp_gt_i32 s12, 9
	s_cbranch_scc0 .LBB111_224
; %bb.220:
	global_load_dwordx2 v[3:4], v[1:2], off
	s_mov_b64 s[2:3], 0
	s_waitcnt vmcnt(0)
	v_cvt_f32_f64_e32 v3, v[3:4]
	s_branch .LBB111_225
.LBB111_221:
                                        ; implicit-def: $vgpr3
	s_branch .LBB111_243
.LBB111_222:
	s_mov_b64 s[2:3], -1
                                        ; implicit-def: $vgpr3
	s_branch .LBB111_231
.LBB111_223:
	s_mov_b64 s[2:3], -1
                                        ; implicit-def: $vgpr3
	s_branch .LBB111_228
.LBB111_224:
	s_mov_b64 s[2:3], -1
                                        ; implicit-def: $vgpr3
.LBB111_225:
	s_andn2_b64 vcc, exec, s[2:3]
	s_cbranch_vccnz .LBB111_227
; %bb.226:
	global_load_dword v3, v[1:2], off
.LBB111_227:
	s_mov_b64 s[2:3], 0
.LBB111_228:
	s_andn2_b64 vcc, exec, s[2:3]
	s_cbranch_vccnz .LBB111_230
; %bb.229:
	global_load_dword v3, v[1:2], off
	s_waitcnt vmcnt(0)
	v_cvt_f32_f16_e32 v3, v3
.LBB111_230:
	s_mov_b64 s[2:3], 0
.LBB111_231:
	s_andn2_b64 vcc, exec, s[2:3]
	s_cbranch_vccnz .LBB111_242
; %bb.232:
	s_cmp_lt_i32 s12, 6
	s_cbranch_scc1 .LBB111_235
; %bb.233:
	s_cmp_gt_i32 s12, 6
	s_cbranch_scc0 .LBB111_236
; %bb.234:
	global_load_dwordx2 v[3:4], v[1:2], off
	s_mov_b64 s[2:3], 0
	s_waitcnt vmcnt(0)
	v_cvt_f32_f64_e32 v3, v[3:4]
	s_branch .LBB111_237
.LBB111_235:
	s_mov_b64 s[2:3], -1
                                        ; implicit-def: $vgpr3
	s_branch .LBB111_240
.LBB111_236:
	s_mov_b64 s[2:3], -1
                                        ; implicit-def: $vgpr3
.LBB111_237:
	s_andn2_b64 vcc, exec, s[2:3]
	s_cbranch_vccnz .LBB111_239
; %bb.238:
	global_load_dword v3, v[1:2], off
.LBB111_239:
	s_mov_b64 s[2:3], 0
.LBB111_240:
	s_andn2_b64 vcc, exec, s[2:3]
	s_cbranch_vccnz .LBB111_242
; %bb.241:
	global_load_ushort v3, v[1:2], off
	s_waitcnt vmcnt(0)
	v_cvt_f32_f16_e32 v3, v3
.LBB111_242:
	s_cbranch_execnz .LBB111_262
.LBB111_243:
	s_cmp_lt_i32 s12, 2
	s_cbranch_scc1 .LBB111_247
; %bb.244:
	s_cmp_lt_i32 s12, 3
	s_cbranch_scc1 .LBB111_248
; %bb.245:
	s_cmp_gt_i32 s12, 3
	s_cbranch_scc0 .LBB111_249
; %bb.246:
	global_load_dwordx2 v[3:4], v[1:2], off
	s_mov_b64 s[2:3], 0
	s_waitcnt vmcnt(0)
	v_xor_b32_e32 v6, v3, v4
	v_ffbh_i32_e32 v5, v4
	v_ashrrev_i32_e32 v6, 31, v6
	v_add_u32_e32 v5, -1, v5
	v_add_u32_e32 v6, 32, v6
	v_min_u32_e32 v5, v5, v6
	v_lshlrev_b64 v[3:4], v5, v[3:4]
	v_min_u32_e32 v3, 1, v3
	v_or_b32_e32 v3, v4, v3
	v_cvt_f32_i32_e32 v3, v3
	v_sub_u32_e32 v4, 32, v5
	v_ldexp_f32 v3, v3, v4
	s_branch .LBB111_250
.LBB111_247:
	s_mov_b64 s[2:3], -1
                                        ; implicit-def: $vgpr3
	s_branch .LBB111_256
.LBB111_248:
	s_mov_b64 s[2:3], -1
                                        ; implicit-def: $vgpr3
	s_branch .LBB111_253
.LBB111_249:
	s_mov_b64 s[2:3], -1
                                        ; implicit-def: $vgpr3
.LBB111_250:
	s_andn2_b64 vcc, exec, s[2:3]
	s_cbranch_vccnz .LBB111_252
; %bb.251:
	global_load_dword v3, v[1:2], off
	s_waitcnt vmcnt(0)
	v_cvt_f32_i32_e32 v3, v3
.LBB111_252:
	s_mov_b64 s[2:3], 0
.LBB111_253:
	s_andn2_b64 vcc, exec, s[2:3]
	s_cbranch_vccnz .LBB111_255
; %bb.254:
	global_load_sshort v3, v[1:2], off
	s_waitcnt vmcnt(0)
	v_cvt_f32_i32_e32 v3, v3
.LBB111_255:
	s_mov_b64 s[2:3], 0
.LBB111_256:
	s_andn2_b64 vcc, exec, s[2:3]
	s_cbranch_vccnz .LBB111_262
; %bb.257:
	s_cmp_gt_i32 s12, 0
	s_cbranch_scc0 .LBB111_259
; %bb.258:
	global_load_sbyte v3, v[1:2], off
	s_mov_b64 s[2:3], 0
	s_waitcnt vmcnt(0)
	v_cvt_f32_i32_e32 v3, v3
	s_branch .LBB111_260
.LBB111_259:
	s_mov_b64 s[2:3], -1
                                        ; implicit-def: $vgpr3
.LBB111_260:
	s_andn2_b64 vcc, exec, s[2:3]
	s_cbranch_vccnz .LBB111_262
; %bb.261:
	global_load_ubyte v1, v[1:2], off
	s_waitcnt vmcnt(0)
	v_cvt_f32_ubyte0_e32 v3, v1
.LBB111_262:
	s_branch .LBB111_25
.LBB111_263:
	s_mov_b64 s[6:7], 0
.LBB111_264:
	s_mov_b64 s[2:3], 0
                                        ; implicit-def: $vgpr8
.LBB111_265:
	s_and_b64 s[60:61], s[6:7], exec
	s_and_b64 s[62:63], s[8:9], exec
	s_orn2_b64 s[2:3], s[2:3], exec
.LBB111_266:
	s_or_b64 exec, exec, s[64:65]
	s_mov_b64 s[8:9], 0
	s_mov_b64 s[10:11], 0
                                        ; implicit-def: $vgpr1_vgpr2
                                        ; implicit-def: $vgpr0
                                        ; implicit-def: $vgpr3
	s_and_saveexec_b64 s[64:65], s[2:3]
	s_cbranch_execz .LBB111_273
; %bb.267:
	v_cmp_gt_i32_e32 vcc, s74, v8
	s_mov_b64 s[2:3], -1
	s_mov_b64 s[66:67], s[62:63]
	s_mov_b64 s[68:69], s[60:61]
	s_and_saveexec_b64 s[70:71], vcc
	s_cbranch_execz .LBB111_542
; %bb.268:
	s_andn2_b64 vcc, exec, s[46:47]
	s_cbranch_vccnz .LBB111_276
; %bb.269:
	s_andn2_b64 vcc, exec, s[58:59]
	s_cbranch_vccnz .LBB111_277
; %bb.270:
	s_add_i32 s66, s79, 1
	s_cmp_eq_u32 s76, 2
	s_cbranch_scc1 .LBB111_278
; %bb.271:
	s_and_b32 s50, s66, 28
	v_mov_b32_e32 v2, 0
	s_mov_b32 s67, 0
	s_mov_b64 s[2:3], s[34:35]
	s_mov_b64 s[6:7], s[56:57]
	v_mov_b32_e32 v0, 0
	v_mov_b32_e32 v1, v8
.LBB111_272:                            ; =>This Inner Loop Header: Depth=1
	s_load_dwordx8 s[16:23], s[2:3], 0x4
	s_load_dwordx4 s[40:43], s[2:3], 0x24
	s_load_dwordx8 s[8:15], s[6:7], 0x0
	s_add_u32 s2, s2, 48
	s_addc_u32 s3, s3, 0
	s_waitcnt vmcnt(0) lgkmcnt(0)
	v_mul_hi_u32 v3, s17, v1
	s_add_i32 s67, s67, 4
	s_add_u32 s6, s6, 32
	s_addc_u32 s7, s7, 0
	v_add_u32_e32 v3, v1, v3
	v_lshrrev_b32_e32 v3, s18, v3
	v_mul_lo_u32 v4, v3, s16
	v_mul_hi_u32 v5, s20, v3
	s_cmp_eq_u32 s50, s67
	v_sub_u32_e32 v1, v1, v4
	v_add_u32_e32 v4, v3, v5
	v_mul_lo_u32 v5, v1, s8
	v_mul_lo_u32 v6, v1, s9
	v_lshrrev_b32_e32 v1, s21, v4
	v_mul_lo_u32 v4, v1, s19
	v_mul_hi_u32 v7, s23, v1
	v_sub_u32_e32 v3, v3, v4
	v_add_u32_e32 v4, v1, v7
	v_lshrrev_b32_e32 v4, s40, v4
	v_mul_hi_u32 v9, s42, v4
	v_mul_lo_u32 v10, v4, s22
	v_mul_lo_u32 v7, v3, s10
	;; [unrolled: 1-line block ×3, first 2 shown]
	v_sub_u32_e32 v10, v1, v10
	v_add_u32_e32 v1, v4, v9
	v_lshrrev_b32_e32 v1, s43, v1
	v_mul_lo_u32 v9, v1, s41
	v_mul_lo_u32 v11, v10, s12
	;; [unrolled: 1-line block ×3, first 2 shown]
	v_add3_u32 v0, v5, v0, v7
	v_sub_u32_e32 v4, v4, v9
	v_mul_lo_u32 v9, v4, s14
	v_mul_lo_u32 v4, v4, s15
	v_add3_u32 v2, v6, v2, v3
	v_add3_u32 v0, v11, v0, v9
	;; [unrolled: 1-line block ×3, first 2 shown]
	s_cbranch_scc0 .LBB111_272
	s_branch .LBB111_279
.LBB111_273:
	s_or_b64 exec, exec, s[64:65]
	s_mov_b64 s[2:3], 0
	s_and_saveexec_b64 s[6:7], s[62:63]
	s_cbranch_execnz .LBB111_918
.LBB111_274:
	s_or_b64 exec, exec, s[6:7]
	s_and_saveexec_b64 s[6:7], s[68:69]
	s_xor_b64 s[6:7], exec, s[6:7]
	s_cbranch_execz .LBB111_919
.LBB111_275:
	global_load_ubyte v3, v[1:2], off
	s_or_b64 s[10:11], s[10:11], exec
	s_waitcnt vmcnt(0)
	v_cmp_ne_u16_e32 vcc, 0, v3
	v_cndmask_b32_e64 v3, 0, 1.0, vcc
	s_or_b64 exec, exec, s[6:7]
	s_and_saveexec_b64 s[6:7], s[8:9]
	s_cbranch_execz .LBB111_965
	s_branch .LBB111_920
.LBB111_276:
                                        ; implicit-def: $vgpr0
                                        ; implicit-def: $vgpr2
	s_andn2_b64 vcc, exec, s[2:3]
	s_cbranch_vccz .LBB111_283
	s_branch .LBB111_285
.LBB111_277:
	v_mov_b32_e32 v0, 0
	v_mov_b32_e32 v2, 0
	s_branch .LBB111_282
.LBB111_278:
	s_mov_b32 s50, 0
	v_mov_b32_e32 v0, 0
	v_mov_b32_e32 v2, 0
	;; [unrolled: 1-line block ×3, first 2 shown]
.LBB111_279:
	s_and_b32 s8, s66, 3
	s_cmp_eq_u32 s8, 0
	s_cbranch_scc1 .LBB111_282
; %bb.280:
	s_lshl_b32 s2, s50, 3
	s_add_u32 s2, s34, s2
	s_addc_u32 s3, s35, 0
	s_add_u32 s2, s2, 0xc4
	s_addc_u32 s3, s3, 0
	s_mul_i32 s6, s50, 12
	s_add_u32 s6, s34, s6
	s_addc_u32 s7, s35, 0
.LBB111_281:                            ; =>This Inner Loop Header: Depth=1
	s_load_dwordx2 s[10:11], s[6:7], 0x4
	s_load_dword s9, s[6:7], 0xc
	s_load_dwordx2 s[12:13], s[2:3], 0x0
	s_add_u32 s6, s6, 12
	s_addc_u32 s7, s7, 0
	s_waitcnt vmcnt(0) lgkmcnt(0)
	v_mul_hi_u32 v3, s11, v1
	s_add_u32 s2, s2, 8
	s_addc_u32 s3, s3, 0
	s_add_i32 s8, s8, -1
	v_add_u32_e32 v3, v1, v3
	v_lshrrev_b32_e32 v4, s9, v3
	v_mul_lo_u32 v3, v4, s10
	s_cmp_lg_u32 s8, 0
	v_sub_u32_e32 v3, v1, v3
	v_mad_u64_u32 v[0:1], s[10:11], v3, s12, v[0:1]
	v_mad_u64_u32 v[2:3], s[10:11], v3, s13, v[2:3]
	v_mov_b32_e32 v1, v4
	s_cbranch_scc1 .LBB111_281
.LBB111_282:
	s_cbranch_execnz .LBB111_285
.LBB111_283:
	v_mul_hi_u32 v0, s29, v8
	s_andn2_b64 vcc, exec, s[54:55]
	v_add_u32_e32 v0, v8, v0
	v_lshrrev_b32_e32 v1, s30, v0
	v_mul_lo_u32 v0, v1, s28
	v_sub_u32_e32 v2, v8, v0
	v_mul_lo_u32 v0, v2, s36
	v_mul_lo_u32 v2, v2, s37
	s_cbranch_vccnz .LBB111_285
; %bb.284:
	s_waitcnt vmcnt(0)
	v_mul_hi_u32 v3, s52, v1
	v_add_u32_e32 v3, v1, v3
	v_lshrrev_b32_e32 v3, s53, v3
	v_mul_lo_u32 v3, v3, s31
	v_sub_u32_e32 v3, v1, v3
	v_mad_u64_u32 v[0:1], s[2:3], v3, s38, v[0:1]
	v_mad_u64_u32 v[2:3], s[2:3], v3, s39, v[2:3]
.LBB111_285:
	s_waitcnt vmcnt(0)
	v_mov_b32_e32 v3, s27
	s_and_b32 s12, 0xffff, s78
	v_add_co_u32_e32 v1, vcc, s26, v2
	s_cmp_lt_i32 s12, 11
	v_addc_co_u32_e32 v2, vcc, 0, v3, vcc
	s_cbranch_scc1 .LBB111_292
; %bb.286:
	s_cmp_gt_i32 s12, 25
	s_cbranch_scc0 .LBB111_301
; %bb.287:
	s_cmp_gt_i32 s12, 28
	s_cbranch_scc0 .LBB111_303
; %bb.288:
	s_cmp_gt_i32 s12, 43
	s_cbranch_scc0 .LBB111_305
; %bb.289:
	s_cmp_gt_i32 s12, 45
	s_cbranch_scc0 .LBB111_309
; %bb.290:
	s_cmp_eq_u32 s12, 46
	s_mov_b64 s[6:7], 0
	s_cbranch_scc0 .LBB111_313
; %bb.291:
	global_load_dword v3, v[1:2], off
	s_mov_b64 s[2:3], -1
	s_mov_b64 s[8:9], 0
	s_waitcnt vmcnt(0)
	v_lshlrev_b32_e32 v3, 16, v3
	s_branch .LBB111_314
.LBB111_292:
	s_mov_b64 s[2:3], 0
                                        ; implicit-def: $vgpr3
	s_mov_b64 s[8:9], s[62:63]
	s_cbranch_execnz .LBB111_491
.LBB111_293:
	s_andn2_b64 vcc, exec, s[2:3]
	s_cbranch_vccnz .LBB111_539
.LBB111_294:
	s_waitcnt vmcnt(0)
	v_cmp_eq_f32_e32 vcc, s51, v3
	v_cndmask_b32_e64 v1, 0, 1, vcc
	v_cmp_neq_f32_e32 vcc, s51, v3
	v_cndmask_b32_e64 v2, 0, 1, vcc
	v_cndmask_b32_e64 v1, v2, v1, s[0:1]
	v_and_b32_e32 v1, 1, v1
	v_cmp_eq_u32_e64 s[2:3], 1, v1
	v_mov_b32_e32 v1, s25
	s_and_b32 s16, s77, 0xff
	v_add_co_u32_e32 v0, vcc, s24, v0
	s_cmp_lt_i32 s16, 11
	v_addc_co_u32_e32 v1, vcc, 0, v1, vcc
	s_cbranch_scc1 .LBB111_302
; %bb.295:
	s_and_b32 s17, 0xffff, s16
	s_cmp_gt_i32 s17, 25
	s_cbranch_scc0 .LBB111_304
; %bb.296:
	s_cmp_gt_i32 s17, 28
	s_cbranch_scc0 .LBB111_306
; %bb.297:
	;; [unrolled: 3-line block ×4, first 2 shown]
	s_mov_b64 s[12:13], 0
	s_mov_b64 s[6:7], -1
	s_cmp_eq_u32 s17, 46
	s_mov_b64 s[10:11], 0
	s_cbranch_scc0 .LBB111_318
; %bb.300:
	v_cndmask_b32_e64 v2, 0, 1.0, s[2:3]
	v_bfe_u32 v3, v2, 16, 1
	s_movk_i32 s6, 0x7fff
	v_add3_u32 v2, v2, v3, s6
	v_lshrrev_b32_e32 v2, 16, v2
	global_store_dword v[0:1], v2, off
	s_mov_b64 s[10:11], -1
	s_mov_b64 s[6:7], 0
	s_branch .LBB111_318
.LBB111_301:
	s_mov_b64 s[6:7], -1
	s_mov_b64 s[2:3], 0
	s_mov_b64 s[8:9], s[62:63]
                                        ; implicit-def: $vgpr3
	s_branch .LBB111_455
.LBB111_302:
	s_mov_b64 s[12:13], -1
	s_mov_b64 s[10:11], 0
	s_mov_b64 s[6:7], s[60:61]
	s_branch .LBB111_387
.LBB111_303:
	s_mov_b64 s[6:7], -1
	s_mov_b64 s[2:3], 0
	s_mov_b64 s[8:9], s[62:63]
                                        ; implicit-def: $vgpr3
	s_branch .LBB111_436
.LBB111_304:
	s_mov_b64 s[12:13], -1
	s_mov_b64 s[10:11], 0
	s_mov_b64 s[6:7], s[60:61]
	s_branch .LBB111_345
.LBB111_305:
	s_mov_b64 s[6:7], -1
	s_mov_b64 s[2:3], 0
	s_mov_b64 s[8:9], s[62:63]
                                        ; implicit-def: $vgpr3
	s_branch .LBB111_431
.LBB111_306:
	s_mov_b64 s[12:13], -1
	s_mov_b64 s[10:11], 0
	s_mov_b64 s[6:7], s[60:61]
	s_branch .LBB111_328
.LBB111_307:
	s_andn2_saveexec_b64 s[14:15], s[14:15]
	s_cbranch_execz .LBB111_68
.LBB111_308:
	v_add_f32_e32 v2, 0x46000000, v3
	v_and_b32_e32 v2, 0xff, v2
	v_cmp_ne_u32_e32 vcc, 0, v2
	s_andn2_b64 s[12:13], s[12:13], exec
	s_and_b64 s[18:19], vcc, exec
	s_or_b64 s[12:13], s[12:13], s[18:19]
	s_or_b64 exec, exec, s[14:15]
	v_mov_b32_e32 v4, 0
	s_and_saveexec_b64 s[14:15], s[12:13]
	s_cbranch_execnz .LBB111_69
	s_branch .LBB111_70
.LBB111_309:
	s_mov_b64 s[6:7], -1
	s_mov_b64 s[2:3], 0
	s_mov_b64 s[8:9], s[62:63]
                                        ; implicit-def: $vgpr3
	s_branch .LBB111_314
.LBB111_310:
	s_mov_b64 s[12:13], -1
	s_mov_b64 s[10:11], 0
	s_mov_b64 s[6:7], s[60:61]
	s_branch .LBB111_324
.LBB111_311:
	s_andn2_saveexec_b64 s[14:15], s[14:15]
	s_cbranch_execz .LBB111_81
.LBB111_312:
	v_add_f32_e32 v2, 0x42800000, v3
	v_and_b32_e32 v2, 0xff, v2
	v_cmp_ne_u32_e32 vcc, 0, v2
	s_andn2_b64 s[12:13], s[12:13], exec
	s_and_b64 s[18:19], vcc, exec
	s_or_b64 s[12:13], s[12:13], s[18:19]
	s_or_b64 exec, exec, s[14:15]
	v_mov_b32_e32 v4, 0
	s_and_saveexec_b64 s[14:15], s[12:13]
	s_cbranch_execnz .LBB111_82
	s_branch .LBB111_83
.LBB111_313:
	s_mov_b64 s[8:9], -1
                                        ; implicit-def: $vgpr3
	s_mov_b64 s[2:3], 0
.LBB111_314:
	s_and_b64 vcc, exec, s[6:7]
	s_cbranch_vccz .LBB111_430
; %bb.315:
	s_cmp_eq_u32 s12, 44
	s_cbranch_scc0 .LBB111_429
; %bb.316:
	global_load_ubyte v3, v[1:2], off
	s_movk_i32 s6, 0xff
	v_mov_b32_e32 v4, 0x7f800001
	v_mov_b32_e32 v5, 0x400000
	s_mov_b64 s[2:3], -1
	s_mov_b64 s[8:9], 0
	s_waitcnt vmcnt(0)
	v_lshlrev_b32_e32 v6, 23, v3
	v_cmp_ne_u32_e32 vcc, s6, v3
	v_cndmask_b32_e32 v4, v4, v6, vcc
	v_cmp_ne_u32_e32 vcc, 0, v3
	v_cndmask_b32_e32 v3, v5, v4, vcc
	s_branch .LBB111_430
.LBB111_317:
	s_mov_b64 s[12:13], -1
	s_mov_b64 s[10:11], 0
	s_mov_b64 s[6:7], s[60:61]
.LBB111_318:
	s_and_b64 vcc, exec, s[12:13]
	s_cbranch_vccz .LBB111_323
; %bb.319:
	s_cmp_eq_u32 s17, 44
	s_mov_b64 s[6:7], -1
	s_cbranch_scc0 .LBB111_323
; %bb.320:
	v_cndmask_b32_e64 v3, 0, 1.0, s[2:3]
	v_lshrrev_b32_e32 v2, 23, v3
	s_movk_i32 s6, 0xff
	v_cmp_ne_u32_e32 vcc, s6, v2
	v_mov_b32_e32 v4, 0xff
	s_and_saveexec_b64 s[10:11], vcc
; %bb.321:
	s_mov_b32 s6, 0x3fffff
	v_and_b32_e32 v4, 0x400000, v3
	v_and_or_b32 v3, v3, s6, v2
	v_cmp_ne_u32_e32 vcc, 0, v4
	v_cmp_ne_u32_e64 s[6:7], 0, v3
	s_and_b64 s[6:7], vcc, s[6:7]
	v_cndmask_b32_e64 v3, 0, 1, s[6:7]
	v_add_u32_e32 v4, v2, v3
; %bb.322:
	s_or_b64 exec, exec, s[10:11]
	s_mov_b64 s[10:11], -1
	s_mov_b64 s[6:7], 0
	global_store_byte v[0:1], v4, off
.LBB111_323:
	s_mov_b64 s[12:13], 0
.LBB111_324:
	s_and_b64 vcc, exec, s[12:13]
	s_cbranch_vccz .LBB111_327
; %bb.325:
	s_cmp_eq_u32 s17, 29
	s_mov_b64 s[6:7], -1
	s_cbranch_scc0 .LBB111_327
; %bb.326:
	s_mov_b32 s6, 0
	v_cndmask_b32_e64 v2, 0, 1, s[2:3]
	v_mov_b32_e32 v3, s6
	global_store_dwordx2 v[0:1], v[2:3], off
	s_mov_b64 s[10:11], -1
	s_mov_b64 s[6:7], 0
.LBB111_327:
	s_mov_b64 s[12:13], 0
.LBB111_328:
	s_and_b64 vcc, exec, s[12:13]
	s_cbranch_vccz .LBB111_344
; %bb.329:
	s_cmp_lt_i32 s17, 27
	s_mov_b64 s[10:11], -1
	s_cbranch_scc1 .LBB111_335
; %bb.330:
	s_cmp_gt_i32 s17, 27
	s_cbranch_scc0 .LBB111_332
; %bb.331:
	v_cndmask_b32_e64 v2, 0, 1, s[2:3]
	s_mov_b64 s[10:11], 0
	global_store_dword v[0:1], v2, off
.LBB111_332:
	s_andn2_b64 vcc, exec, s[10:11]
	s_cbranch_vccnz .LBB111_334
; %bb.333:
	v_cndmask_b32_e64 v2, 0, 1, s[2:3]
	global_store_short v[0:1], v2, off
.LBB111_334:
	s_mov_b64 s[10:11], 0
.LBB111_335:
	s_andn2_b64 vcc, exec, s[10:11]
	s_cbranch_vccnz .LBB111_343
; %bb.336:
	v_cndmask_b32_e64 v3, 0, 1.0, s[2:3]
	s_mov_b32 s10, 0x43800000
	v_cmp_gt_u32_e32 vcc, s10, v3
	v_mov_b32_e32 v4, 0x80
	s_and_saveexec_b64 s[10:11], vcc
	s_cbranch_execz .LBB111_342
; %bb.337:
	s_mov_b32 s12, 0x3bffffff
	v_cmp_lt_u32_e32 vcc, s12, v3
	s_mov_b64 s[12:13], 0
                                        ; implicit-def: $vgpr2
	s_and_saveexec_b64 s[14:15], vcc
	s_xor_b64 s[14:15], exec, s[14:15]
	s_cbranch_execz .LBB111_570
; %bb.338:
	v_bfe_u32 v2, v3, 20, 1
	s_mov_b32 s18, 0x487ffff
	v_add3_u32 v2, v3, v2, s18
	s_mov_b64 s[12:13], exec
	v_lshrrev_b32_e32 v2, 20, v2
                                        ; implicit-def: $vgpr3
	s_andn2_saveexec_b64 s[14:15], s[14:15]
	s_cbranch_execnz .LBB111_571
.LBB111_339:
	s_or_b64 exec, exec, s[14:15]
	v_mov_b32_e32 v4, 0
	s_and_saveexec_b64 s[14:15], s[12:13]
.LBB111_340:
	v_mov_b32_e32 v4, v2
.LBB111_341:
	s_or_b64 exec, exec, s[14:15]
.LBB111_342:
	s_or_b64 exec, exec, s[10:11]
	global_store_byte v[0:1], v4, off
.LBB111_343:
	s_mov_b64 s[10:11], -1
.LBB111_344:
	s_mov_b64 s[12:13], 0
.LBB111_345:
	s_and_b64 vcc, exec, s[12:13]
	s_cbranch_vccz .LBB111_386
; %bb.346:
	s_cmp_gt_i32 s17, 22
	s_mov_b64 s[12:13], -1
	s_cbranch_scc0 .LBB111_378
; %bb.347:
	s_cmp_lt_i32 s17, 24
	s_mov_b64 s[10:11], -1
	s_cbranch_scc1 .LBB111_367
; %bb.348:
	s_cmp_gt_i32 s17, 24
	s_cbranch_scc0 .LBB111_356
; %bb.349:
	v_cndmask_b32_e64 v3, 0, 1.0, s[2:3]
	s_mov_b32 s10, 0x47800000
	v_cmp_gt_u32_e32 vcc, s10, v3
	v_mov_b32_e32 v4, 0x80
	s_and_saveexec_b64 s[10:11], vcc
	s_cbranch_execz .LBB111_355
; %bb.350:
	s_mov_b32 s12, 0x37ffffff
	v_cmp_lt_u32_e32 vcc, s12, v3
	s_mov_b64 s[12:13], 0
                                        ; implicit-def: $vgpr2
	s_and_saveexec_b64 s[14:15], vcc
	s_xor_b64 s[14:15], exec, s[14:15]
	s_cbranch_execz .LBB111_573
; %bb.351:
	v_bfe_u32 v2, v3, 21, 1
	s_mov_b32 s18, 0x88fffff
	v_add3_u32 v2, v3, v2, s18
	s_mov_b64 s[12:13], exec
	v_lshrrev_b32_e32 v2, 21, v2
                                        ; implicit-def: $vgpr3
	s_andn2_saveexec_b64 s[14:15], s[14:15]
	s_cbranch_execnz .LBB111_574
.LBB111_352:
	s_or_b64 exec, exec, s[14:15]
	v_mov_b32_e32 v4, 0
	s_and_saveexec_b64 s[14:15], s[12:13]
.LBB111_353:
	v_mov_b32_e32 v4, v2
.LBB111_354:
	s_or_b64 exec, exec, s[14:15]
.LBB111_355:
	s_or_b64 exec, exec, s[10:11]
	s_mov_b64 s[10:11], 0
	global_store_byte v[0:1], v4, off
.LBB111_356:
	s_and_b64 vcc, exec, s[10:11]
	s_cbranch_vccz .LBB111_366
; %bb.357:
	v_cndmask_b32_e64 v2, 0, 1.0, s[2:3]
	s_mov_b32 s10, 0x43f00000
	v_cmp_gt_u32_e32 vcc, s10, v2
                                        ; implicit-def: $vgpr3
	s_and_saveexec_b64 s[10:11], vcc
	s_xor_b64 s[10:11], exec, s[10:11]
	s_cbranch_execz .LBB111_363
; %bb.358:
	s_mov_b32 s12, 0x3c7fffff
	v_cmp_lt_u32_e32 vcc, s12, v2
                                        ; implicit-def: $vgpr3
	s_and_saveexec_b64 s[12:13], vcc
	s_xor_b64 s[12:13], exec, s[12:13]
; %bb.359:
	v_bfe_u32 v3, v2, 20, 1
	s_mov_b32 s14, 0x407ffff
	v_add3_u32 v2, v2, v3, s14
	v_lshrrev_b32_e32 v3, 20, v2
	v_and_b32_e32 v2, 0xff00000, v2
	s_mov_b32 s14, 0x7f00000
	v_mov_b32_e32 v4, 0x7e
	v_cmp_ne_u32_e32 vcc, s14, v2
	v_cndmask_b32_e32 v3, v4, v3, vcc
                                        ; implicit-def: $vgpr2
; %bb.360:
	s_andn2_saveexec_b64 s[12:13], s[12:13]
; %bb.361:
	v_add_f32_e32 v3, 0x46800000, v2
; %bb.362:
	s_or_b64 exec, exec, s[12:13]
                                        ; implicit-def: $vgpr2
.LBB111_363:
	s_andn2_saveexec_b64 s[10:11], s[10:11]
; %bb.364:
	s_mov_b32 s12, 0x7f800000
	v_mov_b32_e32 v3, 0x7e
	v_mov_b32_e32 v4, 0x7f
	v_cmp_lt_u32_e32 vcc, s12, v2
	v_cndmask_b32_e32 v3, v3, v4, vcc
; %bb.365:
	s_or_b64 exec, exec, s[10:11]
	global_store_byte v[0:1], v3, off
.LBB111_366:
	s_mov_b64 s[10:11], 0
.LBB111_367:
	s_andn2_b64 vcc, exec, s[10:11]
	s_cbranch_vccnz .LBB111_377
; %bb.368:
	v_cndmask_b32_e64 v2, 0, 1.0, s[2:3]
	s_mov_b32 s10, 0x47800000
	v_cmp_gt_u32_e32 vcc, s10, v2
                                        ; implicit-def: $vgpr3
	s_and_saveexec_b64 s[10:11], vcc
	s_xor_b64 s[10:11], exec, s[10:11]
	s_cbranch_execz .LBB111_374
; %bb.369:
	s_mov_b32 s12, 0x387fffff
	v_cmp_lt_u32_e32 vcc, s12, v2
                                        ; implicit-def: $vgpr3
	s_and_saveexec_b64 s[12:13], vcc
	s_xor_b64 s[12:13], exec, s[12:13]
; %bb.370:
	v_bfe_u32 v3, v2, 21, 1
	s_mov_b32 s14, 0x80fffff
	v_add3_u32 v2, v2, v3, s14
	v_lshrrev_b32_e32 v3, 21, v2
                                        ; implicit-def: $vgpr2
; %bb.371:
	s_andn2_saveexec_b64 s[12:13], s[12:13]
; %bb.372:
	v_add_f32_e32 v3, 0x43000000, v2
; %bb.373:
	s_or_b64 exec, exec, s[12:13]
                                        ; implicit-def: $vgpr2
.LBB111_374:
	s_andn2_saveexec_b64 s[10:11], s[10:11]
; %bb.375:
	s_mov_b32 s12, 0x7f800000
	v_mov_b32_e32 v3, 0x7c
	v_mov_b32_e32 v4, 0x7f
	v_cmp_lt_u32_e32 vcc, s12, v2
	v_cndmask_b32_e32 v3, v3, v4, vcc
; %bb.376:
	s_or_b64 exec, exec, s[10:11]
	global_store_byte v[0:1], v3, off
.LBB111_377:
	s_mov_b64 s[12:13], 0
	s_mov_b64 s[10:11], -1
.LBB111_378:
	s_andn2_b64 vcc, exec, s[12:13]
	s_cbranch_vccnz .LBB111_386
; %bb.379:
	s_cmp_gt_i32 s17, 14
	s_mov_b64 s[12:13], -1
	s_cbranch_scc0 .LBB111_383
; %bb.380:
	s_cmp_eq_u32 s17, 15
	s_mov_b64 s[6:7], -1
	s_cbranch_scc0 .LBB111_382
; %bb.381:
	v_cndmask_b32_e64 v2, 0, 1.0, s[2:3]
	v_bfe_u32 v3, v2, 16, 1
	s_movk_i32 s6, 0x7fff
	v_add3_u32 v2, v2, v3, s6
	global_store_short_d16_hi v[0:1], v2, off
	s_mov_b64 s[10:11], -1
	s_mov_b64 s[6:7], 0
.LBB111_382:
	s_mov_b64 s[12:13], 0
.LBB111_383:
	s_and_b64 vcc, exec, s[12:13]
	s_cbranch_vccz .LBB111_386
; %bb.384:
	s_cmp_eq_u32 s17, 11
	s_mov_b64 s[6:7], -1
	s_cbranch_scc0 .LBB111_386
; %bb.385:
	v_cndmask_b32_e64 v2, 0, 1, s[2:3]
	s_mov_b64 s[10:11], -1
	s_mov_b64 s[6:7], 0
	global_store_byte v[0:1], v2, off
.LBB111_386:
	s_mov_b64 s[12:13], 0
.LBB111_387:
	s_and_b64 vcc, exec, s[12:13]
	s_cbranch_vccz .LBB111_426
; %bb.388:
	s_and_b32 s12, 0xffff, s16
	s_cmp_lt_i32 s12, 5
	s_mov_b64 s[10:11], -1
	s_cbranch_scc1 .LBB111_409
; %bb.389:
	s_cmp_lt_i32 s12, 8
	s_cbranch_scc1 .LBB111_399
; %bb.390:
	s_cmp_lt_i32 s12, 9
	s_cbranch_scc1 .LBB111_396
; %bb.391:
	s_cmp_gt_i32 s12, 9
	s_cbranch_scc0 .LBB111_393
; %bb.392:
	v_cndmask_b32_e64 v2, 0, 1, s[2:3]
	v_cvt_f64_u32_e32 v[2:3], v2
	v_mov_b32_e32 v4, 0
	v_mov_b32_e32 v5, v4
	s_mov_b64 s[10:11], 0
	global_store_dwordx4 v[0:1], v[2:5], off
.LBB111_393:
	s_andn2_b64 vcc, exec, s[10:11]
	s_cbranch_vccnz .LBB111_395
; %bb.394:
	v_cndmask_b32_e64 v2, 0, 1.0, s[2:3]
	v_mov_b32_e32 v3, 0
	global_store_dwordx2 v[0:1], v[2:3], off
.LBB111_395:
	s_mov_b64 s[10:11], 0
.LBB111_396:
	s_andn2_b64 vcc, exec, s[10:11]
	s_cbranch_vccnz .LBB111_398
; %bb.397:
	v_cndmask_b32_e64 v2, 0, 1.0, s[2:3]
	v_cvt_f16_f32_e32 v2, v2
	global_store_dword v[0:1], v2, off
.LBB111_398:
	s_mov_b64 s[10:11], 0
.LBB111_399:
	s_andn2_b64 vcc, exec, s[10:11]
	s_cbranch_vccnz .LBB111_408
; %bb.400:
	s_cmp_lt_i32 s12, 6
	s_mov_b64 s[10:11], -1
	s_cbranch_scc1 .LBB111_406
; %bb.401:
	s_cmp_gt_i32 s12, 6
	s_cbranch_scc0 .LBB111_403
; %bb.402:
	v_cndmask_b32_e64 v2, 0, 1, s[2:3]
	v_cvt_f64_u32_e32 v[2:3], v2
	s_mov_b64 s[10:11], 0
	global_store_dwordx2 v[0:1], v[2:3], off
.LBB111_403:
	s_andn2_b64 vcc, exec, s[10:11]
	s_cbranch_vccnz .LBB111_405
; %bb.404:
	v_cndmask_b32_e64 v2, 0, 1.0, s[2:3]
	global_store_dword v[0:1], v2, off
.LBB111_405:
	s_mov_b64 s[10:11], 0
.LBB111_406:
	s_andn2_b64 vcc, exec, s[10:11]
	s_cbranch_vccnz .LBB111_408
; %bb.407:
	v_cndmask_b32_e64 v2, 0, 1.0, s[2:3]
	v_cvt_f16_f32_e32 v2, v2
	global_store_short v[0:1], v2, off
.LBB111_408:
	s_mov_b64 s[10:11], 0
.LBB111_409:
	s_andn2_b64 vcc, exec, s[10:11]
	s_cbranch_vccnz .LBB111_425
; %bb.410:
	s_cmp_lt_i32 s12, 2
	s_mov_b64 s[10:11], -1
	s_cbranch_scc1 .LBB111_420
; %bb.411:
	s_cmp_lt_i32 s12, 3
	s_cbranch_scc1 .LBB111_417
; %bb.412:
	s_cmp_gt_i32 s12, 3
	s_cbranch_scc0 .LBB111_414
; %bb.413:
	s_mov_b32 s10, 0
	v_cndmask_b32_e64 v2, 0, 1, s[2:3]
	v_mov_b32_e32 v3, s10
	s_mov_b64 s[10:11], 0
	global_store_dwordx2 v[0:1], v[2:3], off
.LBB111_414:
	s_andn2_b64 vcc, exec, s[10:11]
	s_cbranch_vccnz .LBB111_416
; %bb.415:
	v_cndmask_b32_e64 v2, 0, 1, s[2:3]
	global_store_dword v[0:1], v2, off
.LBB111_416:
	s_mov_b64 s[10:11], 0
.LBB111_417:
	s_andn2_b64 vcc, exec, s[10:11]
	s_cbranch_vccnz .LBB111_419
; %bb.418:
	v_cndmask_b32_e64 v2, 0, 1, s[2:3]
	global_store_short v[0:1], v2, off
.LBB111_419:
	s_mov_b64 s[10:11], 0
.LBB111_420:
	s_andn2_b64 vcc, exec, s[10:11]
	s_cbranch_vccnz .LBB111_425
; %bb.421:
	s_mov_b64 s[10:11], -1
	s_cmp_gt_i32 s12, 0
	v_cndmask_b32_e64 v2, 0, 1, s[2:3]
	s_cbranch_scc0 .LBB111_423
; %bb.422:
	s_mov_b64 s[10:11], 0
	global_store_byte v[0:1], v2, off
.LBB111_423:
	s_andn2_b64 vcc, exec, s[10:11]
	s_cbranch_vccnz .LBB111_425
; %bb.424:
	global_store_byte v[0:1], v2, off
.LBB111_425:
	s_mov_b64 s[10:11], -1
.LBB111_426:
	s_andn2_b64 vcc, exec, s[10:11]
	s_cbranch_vccnz .LBB111_428
; %bb.427:
	v_add_u32_e32 v8, 0x80, v8
	s_mov_b64 s[2:3], -1
	s_branch .LBB111_541
.LBB111_428:
	s_mov_b64 s[2:3], 0
	s_branch .LBB111_540
.LBB111_429:
	s_mov_b64 s[8:9], -1
                                        ; implicit-def: $vgpr3
.LBB111_430:
	s_mov_b64 s[6:7], 0
.LBB111_431:
	s_and_b64 vcc, exec, s[6:7]
	s_cbranch_vccz .LBB111_435
; %bb.432:
	s_cmp_eq_u32 s12, 29
	s_cbranch_scc0 .LBB111_434
; %bb.433:
	global_load_dwordx2 v[3:4], v[1:2], off
	s_mov_b64 s[2:3], -1
	s_mov_b64 s[8:9], 0
	s_mov_b64 s[6:7], 0
	s_waitcnt vmcnt(0)
	v_ffbh_u32_e32 v5, v4
	v_min_u32_e32 v5, 32, v5
	v_lshlrev_b64 v[3:4], v5, v[3:4]
	v_min_u32_e32 v3, 1, v3
	v_or_b32_e32 v3, v4, v3
	v_cvt_f32_u32_e32 v3, v3
	v_sub_u32_e32 v4, 32, v5
	v_ldexp_f32 v3, v3, v4
	s_branch .LBB111_436
.LBB111_434:
	s_mov_b64 s[8:9], -1
                                        ; implicit-def: $vgpr3
.LBB111_435:
	s_mov_b64 s[6:7], 0
.LBB111_436:
	s_and_b64 vcc, exec, s[6:7]
	s_cbranch_vccz .LBB111_454
; %bb.437:
	s_cmp_lt_i32 s12, 27
	s_cbranch_scc1 .LBB111_440
; %bb.438:
	s_cmp_gt_i32 s12, 27
	s_cbranch_scc0 .LBB111_441
; %bb.439:
	global_load_dword v3, v[1:2], off
	s_mov_b64 s[2:3], 0
	s_waitcnt vmcnt(0)
	v_cvt_f32_u32_e32 v3, v3
	s_branch .LBB111_442
.LBB111_440:
	s_mov_b64 s[2:3], -1
                                        ; implicit-def: $vgpr3
	s_branch .LBB111_445
.LBB111_441:
	s_mov_b64 s[2:3], -1
                                        ; implicit-def: $vgpr3
.LBB111_442:
	s_andn2_b64 vcc, exec, s[2:3]
	s_cbranch_vccnz .LBB111_444
; %bb.443:
	global_load_ushort v3, v[1:2], off
	s_waitcnt vmcnt(0)
	v_cvt_f32_u32_e32 v3, v3
.LBB111_444:
	s_mov_b64 s[2:3], 0
.LBB111_445:
	s_andn2_b64 vcc, exec, s[2:3]
	s_cbranch_vccnz .LBB111_453
; %bb.446:
	global_load_ubyte v4, v[1:2], off
	s_movk_i32 s2, 0x7f
	s_waitcnt vmcnt(0)
	v_cmp_lt_i16_e32 vcc, s2, v4
	s_mov_b64 s[2:3], 0
	s_and_saveexec_b64 s[6:7], vcc
	s_xor_b64 s[6:7], exec, s[6:7]
	s_cbranch_execz .LBB111_467
; %bb.447:
	s_movk_i32 s2, 0x80
	v_cmp_eq_u16_e32 vcc, s2, v4
	s_mov_b64 s[2:3], -1
	s_and_saveexec_b64 s[10:11], vcc
; %bb.448:
	s_xor_b64 s[2:3], exec, -1
; %bb.449:
	s_or_b64 exec, exec, s[10:11]
	s_and_b64 s[2:3], s[2:3], exec
	s_or_saveexec_b64 s[6:7], s[6:7]
	v_mov_b32_e32 v3, 0x7f800001
	s_xor_b64 exec, exec, s[6:7]
	s_cbranch_execnz .LBB111_468
.LBB111_450:
	s_or_b64 exec, exec, s[6:7]
	s_and_saveexec_b64 s[6:7], s[2:3]
	s_cbranch_execz .LBB111_452
.LBB111_451:
	v_lshlrev_b32_e32 v3, 24, v4
	v_and_b32_e32 v4, 0xffff, v4
	v_and_b32_e32 v5, 7, v4
	v_ffbh_u32_e32 v7, v5
	v_min_u32_e32 v7, 32, v7
	v_subrev_u32_e32 v9, 28, v7
	v_bfe_u32 v6, v4, 3, 4
	v_lshlrev_b32_e32 v4, v9, v4
	v_sub_u32_e32 v7, 29, v7
	v_and_b32_e32 v4, 7, v4
	v_cmp_eq_u32_e32 vcc, 0, v6
	v_cndmask_b32_e32 v6, v6, v7, vcc
	v_cndmask_b32_e32 v4, v5, v4, vcc
	v_mov_b32_e32 v5, 0x3b800000
	v_lshlrev_b32_e32 v4, 20, v4
	v_and_b32_e32 v3, 0x80000000, v3
	v_lshl_add_u32 v5, v6, 23, v5
	v_or3_b32 v3, v3, v5, v4
.LBB111_452:
	s_or_b64 exec, exec, s[6:7]
.LBB111_453:
	s_mov_b64 s[2:3], -1
.LBB111_454:
	s_mov_b64 s[6:7], 0
.LBB111_455:
	s_and_b64 vcc, exec, s[6:7]
	s_cbranch_vccz .LBB111_490
; %bb.456:
	s_cmp_gt_i32 s12, 22
	s_cbranch_scc0 .LBB111_466
; %bb.457:
	s_cmp_lt_i32 s12, 24
	s_cbranch_scc1 .LBB111_469
; %bb.458:
	s_cmp_gt_i32 s12, 24
	s_cbranch_scc0 .LBB111_470
; %bb.459:
	global_load_ubyte v4, v[1:2], off
	s_movk_i32 s2, 0x7f
	s_waitcnt vmcnt(0)
	v_cmp_lt_i16_e32 vcc, s2, v4
	s_mov_b64 s[2:3], 0
	s_and_saveexec_b64 s[6:7], vcc
	s_xor_b64 s[6:7], exec, s[6:7]
	s_cbranch_execz .LBB111_482
; %bb.460:
	s_movk_i32 s2, 0x80
	v_cmp_eq_u16_e32 vcc, s2, v4
	s_mov_b64 s[2:3], -1
	s_and_saveexec_b64 s[10:11], vcc
; %bb.461:
	s_xor_b64 s[2:3], exec, -1
; %bb.462:
	s_or_b64 exec, exec, s[10:11]
	s_and_b64 s[2:3], s[2:3], exec
	s_or_saveexec_b64 s[6:7], s[6:7]
	v_mov_b32_e32 v3, 0x7f800001
	s_xor_b64 exec, exec, s[6:7]
	s_cbranch_execnz .LBB111_483
.LBB111_463:
	s_or_b64 exec, exec, s[6:7]
	s_and_saveexec_b64 s[6:7], s[2:3]
	s_cbranch_execz .LBB111_465
.LBB111_464:
	v_lshlrev_b32_e32 v3, 24, v4
	v_and_b32_e32 v4, 0xffff, v4
	v_and_b32_e32 v5, 3, v4
	v_ffbh_u32_e32 v7, v5
	v_min_u32_e32 v7, 32, v7
	v_subrev_u32_e32 v9, 29, v7
	v_bfe_u32 v6, v4, 2, 5
	v_lshlrev_b32_e32 v4, v9, v4
	v_sub_u32_e32 v7, 30, v7
	v_and_b32_e32 v4, 3, v4
	v_cmp_eq_u32_e32 vcc, 0, v6
	v_cndmask_b32_e32 v6, v6, v7, vcc
	v_cndmask_b32_e32 v4, v5, v4, vcc
	v_mov_b32_e32 v5, 0x37800000
	v_lshlrev_b32_e32 v4, 21, v4
	v_and_b32_e32 v3, 0x80000000, v3
	v_lshl_add_u32 v5, v6, 23, v5
	v_or3_b32 v3, v3, v5, v4
.LBB111_465:
	s_or_b64 exec, exec, s[6:7]
	s_mov_b64 s[2:3], 0
	s_branch .LBB111_471
.LBB111_466:
	s_mov_b64 s[6:7], -1
                                        ; implicit-def: $vgpr3
	s_branch .LBB111_477
.LBB111_467:
	s_or_saveexec_b64 s[6:7], s[6:7]
	v_mov_b32_e32 v3, 0x7f800001
	s_xor_b64 exec, exec, s[6:7]
	s_cbranch_execz .LBB111_450
.LBB111_468:
	v_cmp_ne_u16_e32 vcc, 0, v4
	s_andn2_b64 s[2:3], s[2:3], exec
	s_and_b64 s[10:11], vcc, exec
	v_mov_b32_e32 v3, 0
	s_or_b64 s[2:3], s[2:3], s[10:11]
	s_or_b64 exec, exec, s[6:7]
	s_and_saveexec_b64 s[6:7], s[2:3]
	s_cbranch_execnz .LBB111_451
	s_branch .LBB111_452
.LBB111_469:
	s_mov_b64 s[2:3], -1
                                        ; implicit-def: $vgpr3
	s_branch .LBB111_474
.LBB111_470:
	s_mov_b64 s[2:3], -1
                                        ; implicit-def: $vgpr3
.LBB111_471:
	s_and_b64 vcc, exec, s[2:3]
	s_cbranch_vccz .LBB111_473
; %bb.472:
	global_load_ubyte v3, v[1:2], off
	s_mov_b32 s2, 0x7f800000
	s_waitcnt vmcnt(0)
	v_lshlrev_b32_e32 v3, 24, v3
	v_and_b32_e32 v4, 0x7f000000, v3
	v_ffbh_u32_e32 v5, v4
	v_min_u32_e32 v5, 32, v5
	v_sub_u32_e64 v5, v5, 4 clamp
	v_lshlrev_b32_e32 v7, v5, v4
	v_lshlrev_b32_e32 v5, 23, v5
	v_lshrrev_b32_e32 v7, 4, v7
	v_add_u32_e32 v6, 0x1000000, v4
	v_sub_u32_e32 v5, v7, v5
	v_ashrrev_i32_e32 v6, 8, v6
	v_add_u32_e32 v5, 0x3c000000, v5
	v_and_or_b32 v5, v6, s2, v5
	v_cmp_ne_u32_e32 vcc, 0, v4
	v_cndmask_b32_e32 v4, 0, v5, vcc
	s_brev_b32 s2, 1
	v_and_or_b32 v3, v3, s2, v4
.LBB111_473:
	s_mov_b64 s[2:3], 0
.LBB111_474:
	s_andn2_b64 vcc, exec, s[2:3]
	s_cbranch_vccnz .LBB111_476
; %bb.475:
	global_load_ubyte v3, v[1:2], off
	s_movk_i32 s2, 0x7f00
	s_brev_b32 s3, 16
	s_waitcnt vmcnt(0)
	v_lshlrev_b16_e32 v4, 8, v3
	v_lshlrev_b32_e32 v3, 25, v3
	v_lshrrev_b32_e32 v5, 4, v3
	v_and_or_b32 v6, v4, s2, 0.5
	v_or_b32_e32 v5, 0x70000000, v5
	v_add_f32_e32 v6, -0.5, v6
	v_mul_f32_e32 v5, 0x7800000, v5
	v_cmp_gt_u32_e32 vcc, s3, v3
	v_bfe_i32 v4, v4, 0, 16
	v_cndmask_b32_e32 v3, v5, v6, vcc
	s_brev_b32 s2, 1
	v_and_or_b32 v3, v4, s2, v3
.LBB111_476:
	s_mov_b64 s[6:7], 0
	s_mov_b64 s[2:3], -1
.LBB111_477:
	s_andn2_b64 vcc, exec, s[6:7]
	s_cbranch_vccnz .LBB111_490
; %bb.478:
	s_cmp_gt_i32 s12, 14
	s_cbranch_scc0 .LBB111_481
; %bb.479:
	s_cmp_eq_u32 s12, 15
	s_cbranch_scc0 .LBB111_484
; %bb.480:
	global_load_ushort v3, v[1:2], off
	s_mov_b64 s[2:3], -1
	s_mov_b64 s[8:9], 0
	s_waitcnt vmcnt(0)
	v_lshlrev_b32_e32 v3, 16, v3
	s_branch .LBB111_485
.LBB111_481:
	s_mov_b64 s[6:7], -1
                                        ; implicit-def: $vgpr3
	s_branch .LBB111_486
.LBB111_482:
	s_or_saveexec_b64 s[6:7], s[6:7]
	v_mov_b32_e32 v3, 0x7f800001
	s_xor_b64 exec, exec, s[6:7]
	s_cbranch_execz .LBB111_463
.LBB111_483:
	v_cmp_ne_u16_e32 vcc, 0, v4
	s_andn2_b64 s[2:3], s[2:3], exec
	s_and_b64 s[10:11], vcc, exec
	v_mov_b32_e32 v3, 0
	s_or_b64 s[2:3], s[2:3], s[10:11]
	s_or_b64 exec, exec, s[6:7]
	s_and_saveexec_b64 s[6:7], s[2:3]
	s_cbranch_execnz .LBB111_464
	s_branch .LBB111_465
.LBB111_484:
	s_mov_b64 s[8:9], -1
                                        ; implicit-def: $vgpr3
.LBB111_485:
	s_mov_b64 s[6:7], 0
.LBB111_486:
	s_and_b64 vcc, exec, s[6:7]
	s_cbranch_vccz .LBB111_490
; %bb.487:
	s_cmp_eq_u32 s12, 11
	s_cbranch_scc0 .LBB111_489
; %bb.488:
	global_load_ubyte v3, v[1:2], off
	s_mov_b64 s[2:3], -1
	s_mov_b64 s[8:9], 0
	s_waitcnt vmcnt(0)
	v_cmp_ne_u16_e32 vcc, 0, v3
	v_cndmask_b32_e64 v3, 0, 1.0, vcc
	s_branch .LBB111_490
.LBB111_489:
	s_mov_b64 s[8:9], -1
                                        ; implicit-def: $vgpr3
.LBB111_490:
	s_branch .LBB111_293
.LBB111_491:
	s_cmp_lt_i32 s12, 5
	s_cbranch_scc1 .LBB111_496
; %bb.492:
	s_cmp_lt_i32 s12, 8
	s_cbranch_scc1 .LBB111_497
; %bb.493:
	;; [unrolled: 3-line block ×3, first 2 shown]
	s_cmp_gt_i32 s12, 9
	s_cbranch_scc0 .LBB111_499
; %bb.495:
	global_load_dwordx2 v[3:4], v[1:2], off
	s_mov_b64 s[2:3], 0
	s_waitcnt vmcnt(0)
	v_cvt_f32_f64_e32 v3, v[3:4]
	s_branch .LBB111_500
.LBB111_496:
	s_mov_b64 s[2:3], -1
                                        ; implicit-def: $vgpr3
	s_branch .LBB111_518
.LBB111_497:
	s_mov_b64 s[2:3], -1
                                        ; implicit-def: $vgpr3
	s_branch .LBB111_506
.LBB111_498:
	s_mov_b64 s[2:3], -1
                                        ; implicit-def: $vgpr3
	s_branch .LBB111_503
.LBB111_499:
	s_mov_b64 s[2:3], -1
                                        ; implicit-def: $vgpr3
.LBB111_500:
	s_andn2_b64 vcc, exec, s[2:3]
	s_cbranch_vccnz .LBB111_502
; %bb.501:
	global_load_dword v3, v[1:2], off
.LBB111_502:
	s_mov_b64 s[2:3], 0
.LBB111_503:
	s_andn2_b64 vcc, exec, s[2:3]
	s_cbranch_vccnz .LBB111_505
; %bb.504:
	global_load_dword v3, v[1:2], off
	s_waitcnt vmcnt(0)
	v_cvt_f32_f16_e32 v3, v3
.LBB111_505:
	s_mov_b64 s[2:3], 0
.LBB111_506:
	s_andn2_b64 vcc, exec, s[2:3]
	s_cbranch_vccnz .LBB111_517
; %bb.507:
	s_cmp_lt_i32 s12, 6
	s_cbranch_scc1 .LBB111_510
; %bb.508:
	s_cmp_gt_i32 s12, 6
	s_cbranch_scc0 .LBB111_511
; %bb.509:
	global_load_dwordx2 v[3:4], v[1:2], off
	s_mov_b64 s[2:3], 0
	s_waitcnt vmcnt(0)
	v_cvt_f32_f64_e32 v3, v[3:4]
	s_branch .LBB111_512
.LBB111_510:
	s_mov_b64 s[2:3], -1
                                        ; implicit-def: $vgpr3
	s_branch .LBB111_515
.LBB111_511:
	s_mov_b64 s[2:3], -1
                                        ; implicit-def: $vgpr3
.LBB111_512:
	s_andn2_b64 vcc, exec, s[2:3]
	s_cbranch_vccnz .LBB111_514
; %bb.513:
	global_load_dword v3, v[1:2], off
.LBB111_514:
	s_mov_b64 s[2:3], 0
.LBB111_515:
	s_andn2_b64 vcc, exec, s[2:3]
	s_cbranch_vccnz .LBB111_517
; %bb.516:
	global_load_ushort v3, v[1:2], off
	s_waitcnt vmcnt(0)
	v_cvt_f32_f16_e32 v3, v3
.LBB111_517:
	s_mov_b64 s[2:3], 0
.LBB111_518:
	s_andn2_b64 vcc, exec, s[2:3]
	s_cbranch_vccnz .LBB111_538
; %bb.519:
	s_cmp_lt_i32 s12, 2
	s_cbranch_scc1 .LBB111_523
; %bb.520:
	s_cmp_lt_i32 s12, 3
	s_cbranch_scc1 .LBB111_524
; %bb.521:
	s_cmp_gt_i32 s12, 3
	s_cbranch_scc0 .LBB111_525
; %bb.522:
	global_load_dwordx2 v[3:4], v[1:2], off
	s_mov_b64 s[2:3], 0
	s_waitcnt vmcnt(0)
	v_xor_b32_e32 v6, v3, v4
	v_ffbh_i32_e32 v5, v4
	v_ashrrev_i32_e32 v6, 31, v6
	v_add_u32_e32 v5, -1, v5
	v_add_u32_e32 v6, 32, v6
	v_min_u32_e32 v5, v5, v6
	v_lshlrev_b64 v[3:4], v5, v[3:4]
	v_min_u32_e32 v3, 1, v3
	v_or_b32_e32 v3, v4, v3
	v_cvt_f32_i32_e32 v3, v3
	v_sub_u32_e32 v4, 32, v5
	v_ldexp_f32 v3, v3, v4
	s_branch .LBB111_526
.LBB111_523:
	s_mov_b64 s[2:3], -1
                                        ; implicit-def: $vgpr3
	s_branch .LBB111_532
.LBB111_524:
	s_mov_b64 s[2:3], -1
                                        ; implicit-def: $vgpr3
	s_branch .LBB111_529
.LBB111_525:
	s_mov_b64 s[2:3], -1
                                        ; implicit-def: $vgpr3
.LBB111_526:
	s_andn2_b64 vcc, exec, s[2:3]
	s_cbranch_vccnz .LBB111_528
; %bb.527:
	global_load_dword v3, v[1:2], off
	s_waitcnt vmcnt(0)
	v_cvt_f32_i32_e32 v3, v3
.LBB111_528:
	s_mov_b64 s[2:3], 0
.LBB111_529:
	s_andn2_b64 vcc, exec, s[2:3]
	s_cbranch_vccnz .LBB111_531
; %bb.530:
	global_load_sshort v3, v[1:2], off
	s_waitcnt vmcnt(0)
	v_cvt_f32_i32_e32 v3, v3
.LBB111_531:
	s_mov_b64 s[2:3], 0
.LBB111_532:
	s_andn2_b64 vcc, exec, s[2:3]
	s_cbranch_vccnz .LBB111_538
; %bb.533:
	s_cmp_gt_i32 s12, 0
	s_cbranch_scc0 .LBB111_535
; %bb.534:
	global_load_sbyte v3, v[1:2], off
	s_mov_b64 s[2:3], 0
	s_waitcnt vmcnt(0)
	v_cvt_f32_i32_e32 v3, v3
	s_branch .LBB111_536
.LBB111_535:
	s_mov_b64 s[2:3], -1
                                        ; implicit-def: $vgpr3
.LBB111_536:
	s_andn2_b64 vcc, exec, s[2:3]
	s_cbranch_vccnz .LBB111_538
; %bb.537:
	global_load_ubyte v1, v[1:2], off
	s_waitcnt vmcnt(0)
	v_cvt_f32_ubyte0_e32 v3, v1
.LBB111_538:
	s_branch .LBB111_294
.LBB111_539:
	s_mov_b64 s[2:3], 0
	s_mov_b64 s[6:7], s[60:61]
.LBB111_540:
                                        ; implicit-def: $vgpr8
.LBB111_541:
	s_andn2_b64 s[10:11], s[60:61], exec
	s_and_b64 s[6:7], s[6:7], exec
	s_or_b64 s[68:69], s[10:11], s[6:7]
	s_andn2_b64 s[6:7], s[62:63], exec
	s_and_b64 s[8:9], s[8:9], exec
	s_or_b64 s[66:67], s[6:7], s[8:9]
	s_orn2_b64 s[2:3], s[2:3], exec
.LBB111_542:
	s_or_b64 exec, exec, s[70:71]
	s_mov_b64 s[6:7], 0
	s_mov_b64 s[8:9], 0
	;; [unrolled: 1-line block ×3, first 2 shown]
                                        ; implicit-def: $vgpr1_vgpr2
                                        ; implicit-def: $vgpr0
                                        ; implicit-def: $vgpr3
	s_and_saveexec_b64 s[70:71], s[2:3]
	s_cbranch_execz .LBB111_917
; %bb.543:
	v_cmp_gt_i32_e32 vcc, s74, v8
	s_mov_b64 s[14:15], -1
	s_mov_b64 s[2:3], s[66:67]
	s_mov_b64 s[6:7], s[68:69]
	s_and_saveexec_b64 s[72:73], vcc
	s_cbranch_execz .LBB111_817
; %bb.544:
	s_andn2_b64 vcc, exec, s[46:47]
	s_cbranch_vccnz .LBB111_549
; %bb.545:
	s_andn2_b64 vcc, exec, s[58:59]
	s_cbranch_vccnz .LBB111_550
; %bb.546:
	s_add_i32 s75, s79, 1
	s_cmp_eq_u32 s76, 2
	s_cbranch_scc1 .LBB111_551
; %bb.547:
	s_and_b32 s50, s75, 28
	v_mov_b32_e32 v2, 0
	s_mov_b32 s80, 0
	s_mov_b64 s[2:3], s[34:35]
	s_mov_b64 s[6:7], s[56:57]
	v_mov_b32_e32 v0, 0
	v_mov_b32_e32 v1, v8
.LBB111_548:                            ; =>This Inner Loop Header: Depth=1
	s_load_dwordx8 s[16:23], s[2:3], 0x4
	s_load_dwordx4 s[40:43], s[2:3], 0x24
	s_load_dwordx8 s[8:15], s[6:7], 0x0
	s_add_u32 s2, s2, 48
	s_addc_u32 s3, s3, 0
	s_waitcnt vmcnt(0) lgkmcnt(0)
	v_mul_hi_u32 v3, s17, v1
	s_add_i32 s80, s80, 4
	s_add_u32 s6, s6, 32
	s_addc_u32 s7, s7, 0
	v_add_u32_e32 v3, v1, v3
	v_lshrrev_b32_e32 v3, s18, v3
	v_mul_lo_u32 v4, v3, s16
	v_mul_hi_u32 v5, s20, v3
	s_cmp_eq_u32 s50, s80
	v_sub_u32_e32 v1, v1, v4
	v_add_u32_e32 v4, v3, v5
	v_mul_lo_u32 v5, v1, s8
	v_mul_lo_u32 v6, v1, s9
	v_lshrrev_b32_e32 v1, s21, v4
	v_mul_lo_u32 v4, v1, s19
	v_mul_hi_u32 v7, s23, v1
	v_sub_u32_e32 v3, v3, v4
	v_add_u32_e32 v4, v1, v7
	v_lshrrev_b32_e32 v4, s40, v4
	v_mul_hi_u32 v9, s42, v4
	v_mul_lo_u32 v10, v4, s22
	v_mul_lo_u32 v7, v3, s10
	;; [unrolled: 1-line block ×3, first 2 shown]
	v_sub_u32_e32 v10, v1, v10
	v_add_u32_e32 v1, v4, v9
	v_lshrrev_b32_e32 v1, s43, v1
	v_mul_lo_u32 v9, v1, s41
	v_mul_lo_u32 v11, v10, s12
	;; [unrolled: 1-line block ×3, first 2 shown]
	v_add3_u32 v0, v5, v0, v7
	v_sub_u32_e32 v4, v4, v9
	v_mul_lo_u32 v9, v4, s14
	v_mul_lo_u32 v4, v4, s15
	v_add3_u32 v2, v6, v2, v3
	v_add3_u32 v0, v11, v0, v9
	v_add3_u32 v2, v10, v2, v4
	s_cbranch_scc0 .LBB111_548
	s_branch .LBB111_552
.LBB111_549:
	s_mov_b64 s[2:3], -1
                                        ; implicit-def: $vgpr0
                                        ; implicit-def: $vgpr2
	s_branch .LBB111_556
.LBB111_550:
	v_mov_b32_e32 v0, 0
	v_mov_b32_e32 v2, 0
	s_branch .LBB111_555
.LBB111_551:
	s_mov_b32 s50, 0
	v_mov_b32_e32 v0, 0
	v_mov_b32_e32 v2, 0
	;; [unrolled: 1-line block ×3, first 2 shown]
.LBB111_552:
	s_and_b32 s8, s75, 3
	s_cmp_eq_u32 s8, 0
	s_cbranch_scc1 .LBB111_555
; %bb.553:
	s_lshl_b32 s2, s50, 3
	s_add_u32 s2, s34, s2
	s_addc_u32 s3, s35, 0
	s_add_u32 s2, s2, 0xc4
	s_addc_u32 s3, s3, 0
	s_mul_i32 s6, s50, 12
	s_add_u32 s6, s34, s6
	s_addc_u32 s7, s35, 0
.LBB111_554:                            ; =>This Inner Loop Header: Depth=1
	s_load_dwordx2 s[10:11], s[6:7], 0x4
	s_load_dword s9, s[6:7], 0xc
	s_load_dwordx2 s[12:13], s[2:3], 0x0
	s_add_u32 s6, s6, 12
	s_addc_u32 s7, s7, 0
	s_waitcnt vmcnt(0) lgkmcnt(0)
	v_mul_hi_u32 v3, s11, v1
	s_add_u32 s2, s2, 8
	s_addc_u32 s3, s3, 0
	s_add_i32 s8, s8, -1
	v_add_u32_e32 v3, v1, v3
	v_lshrrev_b32_e32 v4, s9, v3
	v_mul_lo_u32 v3, v4, s10
	s_cmp_lg_u32 s8, 0
	v_sub_u32_e32 v3, v1, v3
	v_mad_u64_u32 v[0:1], s[10:11], v3, s12, v[0:1]
	v_mad_u64_u32 v[2:3], s[10:11], v3, s13, v[2:3]
	v_mov_b32_e32 v1, v4
	s_cbranch_scc1 .LBB111_554
.LBB111_555:
	s_mov_b64 s[2:3], 0
.LBB111_556:
	s_andn2_b64 vcc, exec, s[2:3]
	s_cbranch_vccnz .LBB111_559
; %bb.557:
	v_mul_hi_u32 v0, s29, v8
	s_andn2_b64 vcc, exec, s[54:55]
	v_add_u32_e32 v0, v8, v0
	v_lshrrev_b32_e32 v1, s30, v0
	v_mul_lo_u32 v0, v1, s28
	v_sub_u32_e32 v2, v8, v0
	v_mul_lo_u32 v0, v2, s36
	v_mul_lo_u32 v2, v2, s37
	s_cbranch_vccnz .LBB111_559
; %bb.558:
	s_waitcnt vmcnt(0)
	v_mul_hi_u32 v3, s52, v1
	v_add_u32_e32 v3, v1, v3
	v_lshrrev_b32_e32 v3, s53, v3
	v_mul_lo_u32 v3, v3, s31
	v_sub_u32_e32 v3, v1, v3
	v_mad_u64_u32 v[0:1], s[2:3], v3, s38, v[0:1]
	v_mad_u64_u32 v[2:3], s[2:3], v3, s39, v[2:3]
.LBB111_559:
	s_waitcnt vmcnt(0)
	v_mov_b32_e32 v3, s27
	s_and_b32 s12, 0xffff, s78
	v_add_co_u32_e32 v1, vcc, s26, v2
	s_cmp_lt_i32 s12, 11
	v_addc_co_u32_e32 v2, vcc, 0, v3, vcc
	s_cbranch_scc1 .LBB111_566
; %bb.560:
	s_cmp_gt_i32 s12, 25
	s_cbranch_scc0 .LBB111_567
; %bb.561:
	s_cmp_gt_i32 s12, 28
	s_cbranch_scc0 .LBB111_568
; %bb.562:
	s_cmp_gt_i32 s12, 43
	s_cbranch_scc0 .LBB111_569
; %bb.563:
	s_cmp_gt_i32 s12, 45
	s_cbranch_scc0 .LBB111_572
; %bb.564:
	s_cmp_eq_u32 s12, 46
	s_mov_b64 s[6:7], 0
	s_cbranch_scc0 .LBB111_575
; %bb.565:
	global_load_dword v3, v[1:2], off
	s_mov_b64 s[2:3], -1
	s_mov_b64 s[8:9], 0
	s_waitcnt vmcnt(0)
	v_lshlrev_b32_e32 v3, 16, v3
	s_branch .LBB111_576
.LBB111_566:
	s_mov_b64 s[6:7], -1
	s_mov_b64 s[2:3], 0
                                        ; implicit-def: $vgpr3
	s_mov_b64 s[8:9], s[66:67]
	s_branch .LBB111_641
.LBB111_567:
	s_mov_b64 s[6:7], -1
	s_mov_b64 s[2:3], 0
	s_mov_b64 s[8:9], s[66:67]
                                        ; implicit-def: $vgpr3
	s_branch .LBB111_605
.LBB111_568:
	s_mov_b64 s[6:7], -1
	s_mov_b64 s[2:3], 0
	s_mov_b64 s[8:9], s[66:67]
                                        ; implicit-def: $vgpr3
	s_branch .LBB111_586
.LBB111_569:
	s_mov_b64 s[6:7], -1
	s_mov_b64 s[2:3], 0
	s_mov_b64 s[8:9], s[66:67]
                                        ; implicit-def: $vgpr3
	s_branch .LBB111_581
.LBB111_570:
	s_andn2_saveexec_b64 s[14:15], s[14:15]
	s_cbranch_execz .LBB111_339
.LBB111_571:
	v_add_f32_e32 v2, 0x46000000, v3
	v_and_b32_e32 v2, 0xff, v2
	v_cmp_ne_u32_e32 vcc, 0, v2
	s_andn2_b64 s[12:13], s[12:13], exec
	s_and_b64 s[18:19], vcc, exec
	s_or_b64 s[12:13], s[12:13], s[18:19]
	s_or_b64 exec, exec, s[14:15]
	v_mov_b32_e32 v4, 0
	s_and_saveexec_b64 s[14:15], s[12:13]
	s_cbranch_execnz .LBB111_340
	s_branch .LBB111_341
.LBB111_572:
	s_mov_b64 s[6:7], -1
	s_mov_b64 s[2:3], 0
	s_mov_b64 s[8:9], s[66:67]
                                        ; implicit-def: $vgpr3
	s_branch .LBB111_576
.LBB111_573:
	s_andn2_saveexec_b64 s[14:15], s[14:15]
	s_cbranch_execz .LBB111_352
.LBB111_574:
	v_add_f32_e32 v2, 0x42800000, v3
	v_and_b32_e32 v2, 0xff, v2
	v_cmp_ne_u32_e32 vcc, 0, v2
	s_andn2_b64 s[12:13], s[12:13], exec
	s_and_b64 s[18:19], vcc, exec
	s_or_b64 s[12:13], s[12:13], s[18:19]
	s_or_b64 exec, exec, s[14:15]
	v_mov_b32_e32 v4, 0
	s_and_saveexec_b64 s[14:15], s[12:13]
	s_cbranch_execnz .LBB111_353
	s_branch .LBB111_354
.LBB111_575:
	s_mov_b64 s[8:9], -1
                                        ; implicit-def: $vgpr3
	s_mov_b64 s[2:3], 0
.LBB111_576:
	s_and_b64 vcc, exec, s[6:7]
	s_cbranch_vccz .LBB111_580
; %bb.577:
	s_cmp_eq_u32 s12, 44
	s_cbranch_scc0 .LBB111_579
; %bb.578:
	global_load_ubyte v3, v[1:2], off
	s_movk_i32 s6, 0xff
	v_mov_b32_e32 v4, 0x7f800001
	v_mov_b32_e32 v5, 0x400000
	s_mov_b64 s[2:3], -1
	s_mov_b64 s[8:9], 0
	s_waitcnt vmcnt(0)
	v_lshlrev_b32_e32 v6, 23, v3
	v_cmp_ne_u32_e32 vcc, s6, v3
	v_cndmask_b32_e32 v4, v4, v6, vcc
	v_cmp_ne_u32_e32 vcc, 0, v3
	v_cndmask_b32_e32 v3, v5, v4, vcc
	s_branch .LBB111_580
.LBB111_579:
	s_mov_b64 s[8:9], -1
                                        ; implicit-def: $vgpr3
.LBB111_580:
	s_mov_b64 s[6:7], 0
.LBB111_581:
	s_and_b64 vcc, exec, s[6:7]
	s_cbranch_vccz .LBB111_585
; %bb.582:
	s_cmp_eq_u32 s12, 29
	s_cbranch_scc0 .LBB111_584
; %bb.583:
	global_load_dwordx2 v[3:4], v[1:2], off
	s_mov_b64 s[2:3], -1
	s_mov_b64 s[8:9], 0
	s_mov_b64 s[6:7], 0
	s_waitcnt vmcnt(0)
	v_ffbh_u32_e32 v5, v4
	v_min_u32_e32 v5, 32, v5
	v_lshlrev_b64 v[3:4], v5, v[3:4]
	v_min_u32_e32 v3, 1, v3
	v_or_b32_e32 v3, v4, v3
	v_cvt_f32_u32_e32 v3, v3
	v_sub_u32_e32 v4, 32, v5
	v_ldexp_f32 v3, v3, v4
	s_branch .LBB111_586
.LBB111_584:
	s_mov_b64 s[8:9], -1
                                        ; implicit-def: $vgpr3
.LBB111_585:
	s_mov_b64 s[6:7], 0
.LBB111_586:
	s_and_b64 vcc, exec, s[6:7]
	s_cbranch_vccz .LBB111_604
; %bb.587:
	s_cmp_lt_i32 s12, 27
	s_cbranch_scc1 .LBB111_590
; %bb.588:
	s_cmp_gt_i32 s12, 27
	s_cbranch_scc0 .LBB111_591
; %bb.589:
	global_load_dword v3, v[1:2], off
	s_mov_b64 s[2:3], 0
	s_waitcnt vmcnt(0)
	v_cvt_f32_u32_e32 v3, v3
	s_branch .LBB111_592
.LBB111_590:
	s_mov_b64 s[2:3], -1
                                        ; implicit-def: $vgpr3
	s_branch .LBB111_595
.LBB111_591:
	s_mov_b64 s[2:3], -1
                                        ; implicit-def: $vgpr3
.LBB111_592:
	s_andn2_b64 vcc, exec, s[2:3]
	s_cbranch_vccnz .LBB111_594
; %bb.593:
	global_load_ushort v3, v[1:2], off
	s_waitcnt vmcnt(0)
	v_cvt_f32_u32_e32 v3, v3
.LBB111_594:
	s_mov_b64 s[2:3], 0
.LBB111_595:
	s_andn2_b64 vcc, exec, s[2:3]
	s_cbranch_vccnz .LBB111_603
; %bb.596:
	global_load_ubyte v4, v[1:2], off
	s_movk_i32 s2, 0x7f
	s_waitcnt vmcnt(0)
	v_cmp_lt_i16_e32 vcc, s2, v4
	s_mov_b64 s[2:3], 0
	s_and_saveexec_b64 s[6:7], vcc
	s_xor_b64 s[6:7], exec, s[6:7]
	s_cbranch_execz .LBB111_617
; %bb.597:
	s_movk_i32 s2, 0x80
	v_cmp_eq_u16_e32 vcc, s2, v4
	s_mov_b64 s[2:3], -1
	s_and_saveexec_b64 s[10:11], vcc
; %bb.598:
	s_xor_b64 s[2:3], exec, -1
; %bb.599:
	s_or_b64 exec, exec, s[10:11]
	s_and_b64 s[2:3], s[2:3], exec
	s_or_saveexec_b64 s[6:7], s[6:7]
	v_mov_b32_e32 v3, 0x7f800001
	s_xor_b64 exec, exec, s[6:7]
	s_cbranch_execnz .LBB111_618
.LBB111_600:
	s_or_b64 exec, exec, s[6:7]
	s_and_saveexec_b64 s[6:7], s[2:3]
	s_cbranch_execz .LBB111_602
.LBB111_601:
	v_lshlrev_b32_e32 v3, 24, v4
	v_and_b32_e32 v4, 0xffff, v4
	v_and_b32_e32 v5, 7, v4
	v_ffbh_u32_e32 v7, v5
	v_min_u32_e32 v7, 32, v7
	v_subrev_u32_e32 v9, 28, v7
	v_bfe_u32 v6, v4, 3, 4
	v_lshlrev_b32_e32 v4, v9, v4
	v_sub_u32_e32 v7, 29, v7
	v_and_b32_e32 v4, 7, v4
	v_cmp_eq_u32_e32 vcc, 0, v6
	v_cndmask_b32_e32 v6, v6, v7, vcc
	v_cndmask_b32_e32 v4, v5, v4, vcc
	v_mov_b32_e32 v5, 0x3b800000
	v_lshlrev_b32_e32 v4, 20, v4
	v_and_b32_e32 v3, 0x80000000, v3
	v_lshl_add_u32 v5, v6, 23, v5
	v_or3_b32 v3, v3, v5, v4
.LBB111_602:
	s_or_b64 exec, exec, s[6:7]
.LBB111_603:
	s_mov_b64 s[2:3], -1
.LBB111_604:
	s_mov_b64 s[6:7], 0
.LBB111_605:
	s_and_b64 vcc, exec, s[6:7]
	s_cbranch_vccz .LBB111_640
; %bb.606:
	s_cmp_gt_i32 s12, 22
	s_cbranch_scc0 .LBB111_616
; %bb.607:
	s_cmp_lt_i32 s12, 24
	s_cbranch_scc1 .LBB111_619
; %bb.608:
	s_cmp_gt_i32 s12, 24
	s_cbranch_scc0 .LBB111_620
; %bb.609:
	global_load_ubyte v4, v[1:2], off
	s_movk_i32 s2, 0x7f
	s_waitcnt vmcnt(0)
	v_cmp_lt_i16_e32 vcc, s2, v4
	s_mov_b64 s[2:3], 0
	s_and_saveexec_b64 s[6:7], vcc
	s_xor_b64 s[6:7], exec, s[6:7]
	s_cbranch_execz .LBB111_632
; %bb.610:
	s_movk_i32 s2, 0x80
	v_cmp_eq_u16_e32 vcc, s2, v4
	s_mov_b64 s[2:3], -1
	s_and_saveexec_b64 s[10:11], vcc
; %bb.611:
	s_xor_b64 s[2:3], exec, -1
; %bb.612:
	s_or_b64 exec, exec, s[10:11]
	s_and_b64 s[2:3], s[2:3], exec
	s_or_saveexec_b64 s[6:7], s[6:7]
	v_mov_b32_e32 v3, 0x7f800001
	s_xor_b64 exec, exec, s[6:7]
	s_cbranch_execnz .LBB111_633
.LBB111_613:
	s_or_b64 exec, exec, s[6:7]
	s_and_saveexec_b64 s[6:7], s[2:3]
	s_cbranch_execz .LBB111_615
.LBB111_614:
	v_lshlrev_b32_e32 v3, 24, v4
	v_and_b32_e32 v4, 0xffff, v4
	v_and_b32_e32 v5, 3, v4
	v_ffbh_u32_e32 v7, v5
	v_min_u32_e32 v7, 32, v7
	v_subrev_u32_e32 v9, 29, v7
	v_bfe_u32 v6, v4, 2, 5
	v_lshlrev_b32_e32 v4, v9, v4
	v_sub_u32_e32 v7, 30, v7
	v_and_b32_e32 v4, 3, v4
	v_cmp_eq_u32_e32 vcc, 0, v6
	v_cndmask_b32_e32 v6, v6, v7, vcc
	v_cndmask_b32_e32 v4, v5, v4, vcc
	v_mov_b32_e32 v5, 0x37800000
	v_lshlrev_b32_e32 v4, 21, v4
	v_and_b32_e32 v3, 0x80000000, v3
	v_lshl_add_u32 v5, v6, 23, v5
	v_or3_b32 v3, v3, v5, v4
.LBB111_615:
	s_or_b64 exec, exec, s[6:7]
	s_mov_b64 s[2:3], 0
	s_branch .LBB111_621
.LBB111_616:
	s_mov_b64 s[6:7], -1
                                        ; implicit-def: $vgpr3
	s_branch .LBB111_627
.LBB111_617:
	s_or_saveexec_b64 s[6:7], s[6:7]
	v_mov_b32_e32 v3, 0x7f800001
	s_xor_b64 exec, exec, s[6:7]
	s_cbranch_execz .LBB111_600
.LBB111_618:
	v_cmp_ne_u16_e32 vcc, 0, v4
	s_andn2_b64 s[2:3], s[2:3], exec
	s_and_b64 s[10:11], vcc, exec
	v_mov_b32_e32 v3, 0
	s_or_b64 s[2:3], s[2:3], s[10:11]
	s_or_b64 exec, exec, s[6:7]
	s_and_saveexec_b64 s[6:7], s[2:3]
	s_cbranch_execnz .LBB111_601
	s_branch .LBB111_602
.LBB111_619:
	s_mov_b64 s[2:3], -1
                                        ; implicit-def: $vgpr3
	s_branch .LBB111_624
.LBB111_620:
	s_mov_b64 s[2:3], -1
                                        ; implicit-def: $vgpr3
.LBB111_621:
	s_and_b64 vcc, exec, s[2:3]
	s_cbranch_vccz .LBB111_623
; %bb.622:
	global_load_ubyte v3, v[1:2], off
	s_mov_b32 s2, 0x7f800000
	s_waitcnt vmcnt(0)
	v_lshlrev_b32_e32 v3, 24, v3
	v_and_b32_e32 v4, 0x7f000000, v3
	v_ffbh_u32_e32 v5, v4
	v_min_u32_e32 v5, 32, v5
	v_sub_u32_e64 v5, v5, 4 clamp
	v_lshlrev_b32_e32 v7, v5, v4
	v_lshlrev_b32_e32 v5, 23, v5
	v_lshrrev_b32_e32 v7, 4, v7
	v_add_u32_e32 v6, 0x1000000, v4
	v_sub_u32_e32 v5, v7, v5
	v_ashrrev_i32_e32 v6, 8, v6
	v_add_u32_e32 v5, 0x3c000000, v5
	v_and_or_b32 v5, v6, s2, v5
	v_cmp_ne_u32_e32 vcc, 0, v4
	v_cndmask_b32_e32 v4, 0, v5, vcc
	s_brev_b32 s2, 1
	v_and_or_b32 v3, v3, s2, v4
.LBB111_623:
	s_mov_b64 s[2:3], 0
.LBB111_624:
	s_andn2_b64 vcc, exec, s[2:3]
	s_cbranch_vccnz .LBB111_626
; %bb.625:
	global_load_ubyte v3, v[1:2], off
	s_movk_i32 s2, 0x7f00
	s_brev_b32 s3, 16
	s_waitcnt vmcnt(0)
	v_lshlrev_b16_e32 v4, 8, v3
	v_lshlrev_b32_e32 v3, 25, v3
	v_lshrrev_b32_e32 v5, 4, v3
	v_and_or_b32 v6, v4, s2, 0.5
	v_or_b32_e32 v5, 0x70000000, v5
	v_add_f32_e32 v6, -0.5, v6
	v_mul_f32_e32 v5, 0x7800000, v5
	v_cmp_gt_u32_e32 vcc, s3, v3
	v_bfe_i32 v4, v4, 0, 16
	v_cndmask_b32_e32 v3, v5, v6, vcc
	s_brev_b32 s2, 1
	v_and_or_b32 v3, v4, s2, v3
.LBB111_626:
	s_mov_b64 s[6:7], 0
	s_mov_b64 s[2:3], -1
.LBB111_627:
	s_andn2_b64 vcc, exec, s[6:7]
	s_cbranch_vccnz .LBB111_640
; %bb.628:
	s_cmp_gt_i32 s12, 14
	s_cbranch_scc0 .LBB111_631
; %bb.629:
	s_cmp_eq_u32 s12, 15
	s_cbranch_scc0 .LBB111_634
; %bb.630:
	global_load_ushort v3, v[1:2], off
	s_mov_b64 s[2:3], -1
	s_mov_b64 s[8:9], 0
	s_waitcnt vmcnt(0)
	v_lshlrev_b32_e32 v3, 16, v3
	s_branch .LBB111_635
.LBB111_631:
	s_mov_b64 s[6:7], -1
                                        ; implicit-def: $vgpr3
	s_branch .LBB111_636
.LBB111_632:
	s_or_saveexec_b64 s[6:7], s[6:7]
	v_mov_b32_e32 v3, 0x7f800001
	s_xor_b64 exec, exec, s[6:7]
	s_cbranch_execz .LBB111_613
.LBB111_633:
	v_cmp_ne_u16_e32 vcc, 0, v4
	s_andn2_b64 s[2:3], s[2:3], exec
	s_and_b64 s[10:11], vcc, exec
	v_mov_b32_e32 v3, 0
	s_or_b64 s[2:3], s[2:3], s[10:11]
	s_or_b64 exec, exec, s[6:7]
	s_and_saveexec_b64 s[6:7], s[2:3]
	s_cbranch_execnz .LBB111_614
	s_branch .LBB111_615
.LBB111_634:
	s_mov_b64 s[8:9], -1
                                        ; implicit-def: $vgpr3
.LBB111_635:
	s_mov_b64 s[6:7], 0
.LBB111_636:
	s_and_b64 vcc, exec, s[6:7]
	s_cbranch_vccz .LBB111_640
; %bb.637:
	s_cmp_eq_u32 s12, 11
	s_cbranch_scc0 .LBB111_639
; %bb.638:
	global_load_ubyte v3, v[1:2], off
	s_mov_b64 s[2:3], -1
	s_mov_b64 s[8:9], 0
	s_waitcnt vmcnt(0)
	v_cmp_ne_u16_e32 vcc, 0, v3
	v_cndmask_b32_e64 v3, 0, 1.0, vcc
	s_branch .LBB111_640
.LBB111_639:
	s_mov_b64 s[8:9], -1
                                        ; implicit-def: $vgpr3
.LBB111_640:
	s_mov_b64 s[6:7], 0
.LBB111_641:
	s_and_b64 vcc, exec, s[6:7]
	s_cbranch_vccz .LBB111_690
; %bb.642:
	s_cmp_lt_i32 s12, 5
	s_cbranch_scc1 .LBB111_647
; %bb.643:
	s_cmp_lt_i32 s12, 8
	s_cbranch_scc1 .LBB111_648
	;; [unrolled: 3-line block ×3, first 2 shown]
; %bb.645:
	s_cmp_gt_i32 s12, 9
	s_cbranch_scc0 .LBB111_650
; %bb.646:
	global_load_dwordx2 v[3:4], v[1:2], off
	s_mov_b64 s[2:3], 0
	s_waitcnt vmcnt(0)
	v_cvt_f32_f64_e32 v3, v[3:4]
	s_branch .LBB111_651
.LBB111_647:
	s_mov_b64 s[2:3], -1
                                        ; implicit-def: $vgpr3
	s_branch .LBB111_669
.LBB111_648:
	s_mov_b64 s[2:3], -1
                                        ; implicit-def: $vgpr3
	s_branch .LBB111_657
.LBB111_649:
	s_mov_b64 s[2:3], -1
                                        ; implicit-def: $vgpr3
	s_branch .LBB111_654
.LBB111_650:
	s_mov_b64 s[2:3], -1
                                        ; implicit-def: $vgpr3
.LBB111_651:
	s_andn2_b64 vcc, exec, s[2:3]
	s_cbranch_vccnz .LBB111_653
; %bb.652:
	global_load_dword v3, v[1:2], off
.LBB111_653:
	s_mov_b64 s[2:3], 0
.LBB111_654:
	s_andn2_b64 vcc, exec, s[2:3]
	s_cbranch_vccnz .LBB111_656
; %bb.655:
	global_load_dword v3, v[1:2], off
	s_waitcnt vmcnt(0)
	v_cvt_f32_f16_e32 v3, v3
.LBB111_656:
	s_mov_b64 s[2:3], 0
.LBB111_657:
	s_andn2_b64 vcc, exec, s[2:3]
	s_cbranch_vccnz .LBB111_668
; %bb.658:
	s_cmp_lt_i32 s12, 6
	s_cbranch_scc1 .LBB111_661
; %bb.659:
	s_cmp_gt_i32 s12, 6
	s_cbranch_scc0 .LBB111_662
; %bb.660:
	global_load_dwordx2 v[3:4], v[1:2], off
	s_mov_b64 s[2:3], 0
	s_waitcnt vmcnt(0)
	v_cvt_f32_f64_e32 v3, v[3:4]
	s_branch .LBB111_663
.LBB111_661:
	s_mov_b64 s[2:3], -1
                                        ; implicit-def: $vgpr3
	s_branch .LBB111_666
.LBB111_662:
	s_mov_b64 s[2:3], -1
                                        ; implicit-def: $vgpr3
.LBB111_663:
	s_andn2_b64 vcc, exec, s[2:3]
	s_cbranch_vccnz .LBB111_665
; %bb.664:
	global_load_dword v3, v[1:2], off
.LBB111_665:
	s_mov_b64 s[2:3], 0
.LBB111_666:
	s_andn2_b64 vcc, exec, s[2:3]
	s_cbranch_vccnz .LBB111_668
; %bb.667:
	global_load_ushort v3, v[1:2], off
	s_waitcnt vmcnt(0)
	v_cvt_f32_f16_e32 v3, v3
.LBB111_668:
	s_mov_b64 s[2:3], 0
.LBB111_669:
	s_andn2_b64 vcc, exec, s[2:3]
	s_cbranch_vccnz .LBB111_689
; %bb.670:
	s_cmp_lt_i32 s12, 2
	s_cbranch_scc1 .LBB111_674
; %bb.671:
	s_cmp_lt_i32 s12, 3
	s_cbranch_scc1 .LBB111_675
; %bb.672:
	s_cmp_gt_i32 s12, 3
	s_cbranch_scc0 .LBB111_676
; %bb.673:
	global_load_dwordx2 v[3:4], v[1:2], off
	s_mov_b64 s[2:3], 0
	s_waitcnt vmcnt(0)
	v_xor_b32_e32 v6, v3, v4
	v_ffbh_i32_e32 v5, v4
	v_ashrrev_i32_e32 v6, 31, v6
	v_add_u32_e32 v5, -1, v5
	v_add_u32_e32 v6, 32, v6
	v_min_u32_e32 v5, v5, v6
	v_lshlrev_b64 v[3:4], v5, v[3:4]
	v_min_u32_e32 v3, 1, v3
	v_or_b32_e32 v3, v4, v3
	v_cvt_f32_i32_e32 v3, v3
	v_sub_u32_e32 v4, 32, v5
	v_ldexp_f32 v3, v3, v4
	s_branch .LBB111_677
.LBB111_674:
	s_mov_b64 s[2:3], -1
                                        ; implicit-def: $vgpr3
	s_branch .LBB111_683
.LBB111_675:
	s_mov_b64 s[2:3], -1
                                        ; implicit-def: $vgpr3
	s_branch .LBB111_680
.LBB111_676:
	s_mov_b64 s[2:3], -1
                                        ; implicit-def: $vgpr3
.LBB111_677:
	s_andn2_b64 vcc, exec, s[2:3]
	s_cbranch_vccnz .LBB111_679
; %bb.678:
	global_load_dword v3, v[1:2], off
	s_waitcnt vmcnt(0)
	v_cvt_f32_i32_e32 v3, v3
.LBB111_679:
	s_mov_b64 s[2:3], 0
.LBB111_680:
	s_andn2_b64 vcc, exec, s[2:3]
	s_cbranch_vccnz .LBB111_682
; %bb.681:
	global_load_sshort v3, v[1:2], off
	s_waitcnt vmcnt(0)
	v_cvt_f32_i32_e32 v3, v3
.LBB111_682:
	s_mov_b64 s[2:3], 0
.LBB111_683:
	s_andn2_b64 vcc, exec, s[2:3]
	s_cbranch_vccnz .LBB111_689
; %bb.684:
	s_cmp_gt_i32 s12, 0
	s_cbranch_scc0 .LBB111_686
; %bb.685:
	global_load_sbyte v3, v[1:2], off
	s_mov_b64 s[2:3], 0
	s_waitcnt vmcnt(0)
	v_cvt_f32_i32_e32 v3, v3
	s_branch .LBB111_687
.LBB111_686:
	s_mov_b64 s[2:3], -1
                                        ; implicit-def: $vgpr3
.LBB111_687:
	s_andn2_b64 vcc, exec, s[2:3]
	s_cbranch_vccnz .LBB111_689
; %bb.688:
	global_load_ubyte v1, v[1:2], off
	s_waitcnt vmcnt(0)
	v_cvt_f32_ubyte0_e32 v3, v1
.LBB111_689:
	s_mov_b64 s[2:3], -1
.LBB111_690:
	s_andn2_b64 vcc, exec, s[2:3]
	s_cbranch_vccnz .LBB111_698
; %bb.691:
	s_waitcnt vmcnt(0)
	v_cmp_eq_f32_e32 vcc, s51, v3
	v_cndmask_b32_e64 v1, 0, 1, vcc
	v_cmp_neq_f32_e32 vcc, s51, v3
	v_cndmask_b32_e64 v2, 0, 1, vcc
	v_cndmask_b32_e64 v1, v2, v1, s[0:1]
	v_and_b32_e32 v1, 1, v1
	v_cmp_eq_u32_e64 s[2:3], 1, v1
	v_mov_b32_e32 v1, s25
	s_and_b32 s16, s77, 0xff
	v_add_co_u32_e32 v0, vcc, s24, v0
	s_cmp_lt_i32 s16, 11
	v_addc_co_u32_e32 v1, vcc, 0, v1, vcc
	s_cbranch_scc1 .LBB111_699
; %bb.692:
	s_and_b32 s17, 0xffff, s16
	s_cmp_gt_i32 s17, 25
	s_cbranch_scc0 .LBB111_700
; %bb.693:
	s_cmp_gt_i32 s17, 28
	s_cbranch_scc0 .LBB111_701
; %bb.694:
	;; [unrolled: 3-line block ×4, first 2 shown]
	s_mov_b64 s[12:13], 0
	s_mov_b64 s[6:7], -1
	s_cmp_eq_u32 s17, 46
	s_mov_b64 s[10:11], 0
	s_cbranch_scc0 .LBB111_704
; %bb.697:
	v_cndmask_b32_e64 v2, 0, 1.0, s[2:3]
	v_bfe_u32 v3, v2, 16, 1
	s_movk_i32 s6, 0x7fff
	v_add3_u32 v2, v2, v3, s6
	v_lshrrev_b32_e32 v2, 16, v2
	global_store_dword v[0:1], v2, off
	s_mov_b64 s[10:11], -1
	s_mov_b64 s[6:7], 0
	s_branch .LBB111_704
.LBB111_698:
	s_mov_b64 s[10:11], 0
	s_mov_b64 s[6:7], s[68:69]
	s_branch .LBB111_815
.LBB111_699:
	s_mov_b64 s[12:13], -1
	s_mov_b64 s[10:11], 0
	s_mov_b64 s[6:7], s[68:69]
	s_branch .LBB111_773
.LBB111_700:
	s_mov_b64 s[12:13], -1
	s_mov_b64 s[10:11], 0
	s_mov_b64 s[6:7], s[68:69]
	s_branch .LBB111_731
.LBB111_701:
	s_mov_b64 s[12:13], -1
	s_mov_b64 s[10:11], 0
	s_mov_b64 s[6:7], s[68:69]
	s_branch .LBB111_714
.LBB111_702:
	s_mov_b64 s[12:13], -1
	s_mov_b64 s[10:11], 0
	s_mov_b64 s[6:7], s[68:69]
	s_branch .LBB111_710
.LBB111_703:
	s_mov_b64 s[12:13], -1
	s_mov_b64 s[10:11], 0
	s_mov_b64 s[6:7], s[68:69]
.LBB111_704:
	s_and_b64 vcc, exec, s[12:13]
	s_cbranch_vccz .LBB111_709
; %bb.705:
	s_cmp_eq_u32 s17, 44
	s_mov_b64 s[6:7], -1
	s_cbranch_scc0 .LBB111_709
; %bb.706:
	v_cndmask_b32_e64 v3, 0, 1.0, s[2:3]
	v_lshrrev_b32_e32 v2, 23, v3
	s_movk_i32 s6, 0xff
	v_cmp_ne_u32_e32 vcc, s6, v2
	v_mov_b32_e32 v4, 0xff
	s_and_saveexec_b64 s[10:11], vcc
; %bb.707:
	s_mov_b32 s6, 0x3fffff
	v_and_b32_e32 v4, 0x400000, v3
	v_and_or_b32 v3, v3, s6, v2
	v_cmp_ne_u32_e32 vcc, 0, v4
	v_cmp_ne_u32_e64 s[6:7], 0, v3
	s_and_b64 s[6:7], vcc, s[6:7]
	v_cndmask_b32_e64 v3, 0, 1, s[6:7]
	v_add_u32_e32 v4, v2, v3
; %bb.708:
	s_or_b64 exec, exec, s[10:11]
	s_mov_b64 s[10:11], -1
	s_mov_b64 s[6:7], 0
	global_store_byte v[0:1], v4, off
.LBB111_709:
	s_mov_b64 s[12:13], 0
.LBB111_710:
	s_and_b64 vcc, exec, s[12:13]
	s_cbranch_vccz .LBB111_713
; %bb.711:
	s_cmp_eq_u32 s17, 29
	s_mov_b64 s[6:7], -1
	s_cbranch_scc0 .LBB111_713
; %bb.712:
	s_mov_b32 s6, 0
	v_cndmask_b32_e64 v2, 0, 1, s[2:3]
	v_mov_b32_e32 v3, s6
	global_store_dwordx2 v[0:1], v[2:3], off
	s_mov_b64 s[10:11], -1
	s_mov_b64 s[6:7], 0
.LBB111_713:
	s_mov_b64 s[12:13], 0
.LBB111_714:
	s_and_b64 vcc, exec, s[12:13]
	s_cbranch_vccz .LBB111_730
; %bb.715:
	s_cmp_lt_i32 s17, 27
	s_mov_b64 s[10:11], -1
	s_cbranch_scc1 .LBB111_721
; %bb.716:
	s_cmp_gt_i32 s17, 27
	s_cbranch_scc0 .LBB111_718
; %bb.717:
	v_cndmask_b32_e64 v2, 0, 1, s[2:3]
	s_mov_b64 s[10:11], 0
	global_store_dword v[0:1], v2, off
.LBB111_718:
	s_andn2_b64 vcc, exec, s[10:11]
	s_cbranch_vccnz .LBB111_720
; %bb.719:
	v_cndmask_b32_e64 v2, 0, 1, s[2:3]
	global_store_short v[0:1], v2, off
.LBB111_720:
	s_mov_b64 s[10:11], 0
.LBB111_721:
	s_andn2_b64 vcc, exec, s[10:11]
	s_cbranch_vccnz .LBB111_729
; %bb.722:
	v_cndmask_b32_e64 v3, 0, 1.0, s[2:3]
	s_mov_b32 s10, 0x43800000
	v_cmp_gt_u32_e32 vcc, s10, v3
	v_mov_b32_e32 v4, 0x80
	s_and_saveexec_b64 s[10:11], vcc
	s_cbranch_execz .LBB111_728
; %bb.723:
	s_mov_b32 s12, 0x3bffffff
	v_cmp_lt_u32_e32 vcc, s12, v3
	s_mov_b64 s[12:13], 0
                                        ; implicit-def: $vgpr2
	s_and_saveexec_b64 s[14:15], vcc
	s_xor_b64 s[14:15], exec, s[14:15]
	s_cbranch_execz .LBB111_845
; %bb.724:
	v_bfe_u32 v2, v3, 20, 1
	s_mov_b32 s18, 0x487ffff
	v_add3_u32 v2, v3, v2, s18
	s_mov_b64 s[12:13], exec
	v_lshrrev_b32_e32 v2, 20, v2
                                        ; implicit-def: $vgpr3
	s_andn2_saveexec_b64 s[14:15], s[14:15]
	s_cbranch_execnz .LBB111_846
.LBB111_725:
	s_or_b64 exec, exec, s[14:15]
	v_mov_b32_e32 v4, 0
	s_and_saveexec_b64 s[14:15], s[12:13]
.LBB111_726:
	v_mov_b32_e32 v4, v2
.LBB111_727:
	s_or_b64 exec, exec, s[14:15]
.LBB111_728:
	s_or_b64 exec, exec, s[10:11]
	global_store_byte v[0:1], v4, off
.LBB111_729:
	s_mov_b64 s[10:11], -1
.LBB111_730:
	s_mov_b64 s[12:13], 0
.LBB111_731:
	s_and_b64 vcc, exec, s[12:13]
	s_cbranch_vccz .LBB111_772
; %bb.732:
	s_cmp_gt_i32 s17, 22
	s_mov_b64 s[12:13], -1
	s_cbranch_scc0 .LBB111_764
; %bb.733:
	s_cmp_lt_i32 s17, 24
	s_mov_b64 s[10:11], -1
	s_cbranch_scc1 .LBB111_753
; %bb.734:
	s_cmp_gt_i32 s17, 24
	s_cbranch_scc0 .LBB111_742
; %bb.735:
	v_cndmask_b32_e64 v3, 0, 1.0, s[2:3]
	s_mov_b32 s10, 0x47800000
	v_cmp_gt_u32_e32 vcc, s10, v3
	v_mov_b32_e32 v4, 0x80
	s_and_saveexec_b64 s[10:11], vcc
	s_cbranch_execz .LBB111_741
; %bb.736:
	s_mov_b32 s12, 0x37ffffff
	v_cmp_lt_u32_e32 vcc, s12, v3
	s_mov_b64 s[12:13], 0
                                        ; implicit-def: $vgpr2
	s_and_saveexec_b64 s[14:15], vcc
	s_xor_b64 s[14:15], exec, s[14:15]
	s_cbranch_execz .LBB111_848
; %bb.737:
	v_bfe_u32 v2, v3, 21, 1
	s_mov_b32 s18, 0x88fffff
	v_add3_u32 v2, v3, v2, s18
	s_mov_b64 s[12:13], exec
	v_lshrrev_b32_e32 v2, 21, v2
                                        ; implicit-def: $vgpr3
	s_andn2_saveexec_b64 s[14:15], s[14:15]
	s_cbranch_execnz .LBB111_849
.LBB111_738:
	s_or_b64 exec, exec, s[14:15]
	v_mov_b32_e32 v4, 0
	s_and_saveexec_b64 s[14:15], s[12:13]
.LBB111_739:
	v_mov_b32_e32 v4, v2
.LBB111_740:
	s_or_b64 exec, exec, s[14:15]
.LBB111_741:
	s_or_b64 exec, exec, s[10:11]
	s_mov_b64 s[10:11], 0
	global_store_byte v[0:1], v4, off
.LBB111_742:
	s_and_b64 vcc, exec, s[10:11]
	s_cbranch_vccz .LBB111_752
; %bb.743:
	v_cndmask_b32_e64 v2, 0, 1.0, s[2:3]
	s_mov_b32 s10, 0x43f00000
	v_cmp_gt_u32_e32 vcc, s10, v2
                                        ; implicit-def: $vgpr3
	s_and_saveexec_b64 s[10:11], vcc
	s_xor_b64 s[10:11], exec, s[10:11]
	s_cbranch_execz .LBB111_749
; %bb.744:
	s_mov_b32 s12, 0x3c7fffff
	v_cmp_lt_u32_e32 vcc, s12, v2
                                        ; implicit-def: $vgpr3
	s_and_saveexec_b64 s[12:13], vcc
	s_xor_b64 s[12:13], exec, s[12:13]
; %bb.745:
	v_bfe_u32 v3, v2, 20, 1
	s_mov_b32 s14, 0x407ffff
	v_add3_u32 v2, v2, v3, s14
	v_lshrrev_b32_e32 v3, 20, v2
	v_and_b32_e32 v2, 0xff00000, v2
	s_mov_b32 s14, 0x7f00000
	v_mov_b32_e32 v4, 0x7e
	v_cmp_ne_u32_e32 vcc, s14, v2
	v_cndmask_b32_e32 v3, v4, v3, vcc
                                        ; implicit-def: $vgpr2
; %bb.746:
	s_andn2_saveexec_b64 s[12:13], s[12:13]
; %bb.747:
	v_add_f32_e32 v3, 0x46800000, v2
; %bb.748:
	s_or_b64 exec, exec, s[12:13]
                                        ; implicit-def: $vgpr2
.LBB111_749:
	s_andn2_saveexec_b64 s[10:11], s[10:11]
; %bb.750:
	s_mov_b32 s12, 0x7f800000
	v_mov_b32_e32 v3, 0x7e
	v_mov_b32_e32 v4, 0x7f
	v_cmp_lt_u32_e32 vcc, s12, v2
	v_cndmask_b32_e32 v3, v3, v4, vcc
; %bb.751:
	s_or_b64 exec, exec, s[10:11]
	global_store_byte v[0:1], v3, off
.LBB111_752:
	s_mov_b64 s[10:11], 0
.LBB111_753:
	s_andn2_b64 vcc, exec, s[10:11]
	s_cbranch_vccnz .LBB111_763
; %bb.754:
	v_cndmask_b32_e64 v2, 0, 1.0, s[2:3]
	s_mov_b32 s10, 0x47800000
	v_cmp_gt_u32_e32 vcc, s10, v2
                                        ; implicit-def: $vgpr3
	s_and_saveexec_b64 s[10:11], vcc
	s_xor_b64 s[10:11], exec, s[10:11]
	s_cbranch_execz .LBB111_760
; %bb.755:
	s_mov_b32 s12, 0x387fffff
	v_cmp_lt_u32_e32 vcc, s12, v2
                                        ; implicit-def: $vgpr3
	s_and_saveexec_b64 s[12:13], vcc
	s_xor_b64 s[12:13], exec, s[12:13]
; %bb.756:
	v_bfe_u32 v3, v2, 21, 1
	s_mov_b32 s14, 0x80fffff
	v_add3_u32 v2, v2, v3, s14
	v_lshrrev_b32_e32 v3, 21, v2
                                        ; implicit-def: $vgpr2
; %bb.757:
	s_andn2_saveexec_b64 s[12:13], s[12:13]
; %bb.758:
	v_add_f32_e32 v3, 0x43000000, v2
; %bb.759:
	s_or_b64 exec, exec, s[12:13]
                                        ; implicit-def: $vgpr2
.LBB111_760:
	s_andn2_saveexec_b64 s[10:11], s[10:11]
; %bb.761:
	s_mov_b32 s12, 0x7f800000
	v_mov_b32_e32 v3, 0x7c
	v_mov_b32_e32 v4, 0x7f
	v_cmp_lt_u32_e32 vcc, s12, v2
	v_cndmask_b32_e32 v3, v3, v4, vcc
; %bb.762:
	s_or_b64 exec, exec, s[10:11]
	global_store_byte v[0:1], v3, off
.LBB111_763:
	s_mov_b64 s[12:13], 0
	s_mov_b64 s[10:11], -1
.LBB111_764:
	s_andn2_b64 vcc, exec, s[12:13]
	s_cbranch_vccnz .LBB111_772
; %bb.765:
	s_cmp_gt_i32 s17, 14
	s_mov_b64 s[12:13], -1
	s_cbranch_scc0 .LBB111_769
; %bb.766:
	s_cmp_eq_u32 s17, 15
	s_mov_b64 s[6:7], -1
	s_cbranch_scc0 .LBB111_768
; %bb.767:
	v_cndmask_b32_e64 v2, 0, 1.0, s[2:3]
	v_bfe_u32 v3, v2, 16, 1
	s_movk_i32 s6, 0x7fff
	v_add3_u32 v2, v2, v3, s6
	global_store_short_d16_hi v[0:1], v2, off
	s_mov_b64 s[10:11], -1
	s_mov_b64 s[6:7], 0
.LBB111_768:
	s_mov_b64 s[12:13], 0
.LBB111_769:
	s_and_b64 vcc, exec, s[12:13]
	s_cbranch_vccz .LBB111_772
; %bb.770:
	s_cmp_eq_u32 s17, 11
	s_mov_b64 s[6:7], -1
	s_cbranch_scc0 .LBB111_772
; %bb.771:
	v_cndmask_b32_e64 v2, 0, 1, s[2:3]
	s_mov_b64 s[10:11], -1
	s_mov_b64 s[6:7], 0
	global_store_byte v[0:1], v2, off
.LBB111_772:
	s_mov_b64 s[12:13], 0
.LBB111_773:
	s_and_b64 vcc, exec, s[12:13]
	s_cbranch_vccz .LBB111_812
; %bb.774:
	s_and_b32 s12, 0xffff, s16
	s_cmp_lt_i32 s12, 5
	s_mov_b64 s[10:11], -1
	s_cbranch_scc1 .LBB111_795
; %bb.775:
	s_cmp_lt_i32 s12, 8
	s_cbranch_scc1 .LBB111_785
; %bb.776:
	s_cmp_lt_i32 s12, 9
	s_cbranch_scc1 .LBB111_782
; %bb.777:
	s_cmp_gt_i32 s12, 9
	s_cbranch_scc0 .LBB111_779
; %bb.778:
	v_cndmask_b32_e64 v2, 0, 1, s[2:3]
	v_cvt_f64_u32_e32 v[2:3], v2
	v_mov_b32_e32 v4, 0
	v_mov_b32_e32 v5, v4
	s_mov_b64 s[10:11], 0
	global_store_dwordx4 v[0:1], v[2:5], off
.LBB111_779:
	s_andn2_b64 vcc, exec, s[10:11]
	s_cbranch_vccnz .LBB111_781
; %bb.780:
	v_cndmask_b32_e64 v2, 0, 1.0, s[2:3]
	v_mov_b32_e32 v3, 0
	global_store_dwordx2 v[0:1], v[2:3], off
.LBB111_781:
	s_mov_b64 s[10:11], 0
.LBB111_782:
	s_andn2_b64 vcc, exec, s[10:11]
	s_cbranch_vccnz .LBB111_784
; %bb.783:
	v_cndmask_b32_e64 v2, 0, 1.0, s[2:3]
	v_cvt_f16_f32_e32 v2, v2
	global_store_dword v[0:1], v2, off
.LBB111_784:
	s_mov_b64 s[10:11], 0
.LBB111_785:
	s_andn2_b64 vcc, exec, s[10:11]
	s_cbranch_vccnz .LBB111_794
; %bb.786:
	s_cmp_lt_i32 s12, 6
	s_mov_b64 s[10:11], -1
	s_cbranch_scc1 .LBB111_792
; %bb.787:
	s_cmp_gt_i32 s12, 6
	s_cbranch_scc0 .LBB111_789
; %bb.788:
	v_cndmask_b32_e64 v2, 0, 1, s[2:3]
	v_cvt_f64_u32_e32 v[2:3], v2
	s_mov_b64 s[10:11], 0
	global_store_dwordx2 v[0:1], v[2:3], off
.LBB111_789:
	s_andn2_b64 vcc, exec, s[10:11]
	s_cbranch_vccnz .LBB111_791
; %bb.790:
	v_cndmask_b32_e64 v2, 0, 1.0, s[2:3]
	global_store_dword v[0:1], v2, off
.LBB111_791:
	s_mov_b64 s[10:11], 0
.LBB111_792:
	s_andn2_b64 vcc, exec, s[10:11]
	s_cbranch_vccnz .LBB111_794
; %bb.793:
	v_cndmask_b32_e64 v2, 0, 1.0, s[2:3]
	v_cvt_f16_f32_e32 v2, v2
	global_store_short v[0:1], v2, off
.LBB111_794:
	s_mov_b64 s[10:11], 0
.LBB111_795:
	s_andn2_b64 vcc, exec, s[10:11]
	s_cbranch_vccnz .LBB111_811
; %bb.796:
	s_cmp_lt_i32 s12, 2
	s_mov_b64 s[10:11], -1
	s_cbranch_scc1 .LBB111_806
; %bb.797:
	s_cmp_lt_i32 s12, 3
	s_cbranch_scc1 .LBB111_803
; %bb.798:
	s_cmp_gt_i32 s12, 3
	s_cbranch_scc0 .LBB111_800
; %bb.799:
	s_mov_b32 s10, 0
	v_cndmask_b32_e64 v2, 0, 1, s[2:3]
	v_mov_b32_e32 v3, s10
	s_mov_b64 s[10:11], 0
	global_store_dwordx2 v[0:1], v[2:3], off
.LBB111_800:
	s_andn2_b64 vcc, exec, s[10:11]
	s_cbranch_vccnz .LBB111_802
; %bb.801:
	v_cndmask_b32_e64 v2, 0, 1, s[2:3]
	global_store_dword v[0:1], v2, off
.LBB111_802:
	s_mov_b64 s[10:11], 0
.LBB111_803:
	s_andn2_b64 vcc, exec, s[10:11]
	s_cbranch_vccnz .LBB111_805
; %bb.804:
	v_cndmask_b32_e64 v2, 0, 1, s[2:3]
	global_store_short v[0:1], v2, off
.LBB111_805:
	s_mov_b64 s[10:11], 0
.LBB111_806:
	s_andn2_b64 vcc, exec, s[10:11]
	s_cbranch_vccnz .LBB111_811
; %bb.807:
	s_mov_b64 s[10:11], -1
	s_cmp_gt_i32 s12, 0
	v_cndmask_b32_e64 v2, 0, 1, s[2:3]
	s_cbranch_scc0 .LBB111_809
; %bb.808:
	s_mov_b64 s[10:11], 0
	global_store_byte v[0:1], v2, off
.LBB111_809:
	s_andn2_b64 vcc, exec, s[10:11]
	s_cbranch_vccnz .LBB111_811
; %bb.810:
	global_store_byte v[0:1], v2, off
.LBB111_811:
	s_mov_b64 s[10:11], -1
.LBB111_812:
	s_andn2_b64 vcc, exec, s[10:11]
	s_cbranch_vccnz .LBB111_814
; %bb.813:
	v_add_u32_e32 v8, 0x80, v8
	s_mov_b64 s[10:11], -1
	s_branch .LBB111_816
.LBB111_814:
	s_mov_b64 s[10:11], 0
.LBB111_815:
                                        ; implicit-def: $vgpr8
.LBB111_816:
	s_andn2_b64 s[2:3], s[68:69], exec
	s_and_b64 s[6:7], s[6:7], exec
	s_or_b64 s[6:7], s[2:3], s[6:7]
	s_andn2_b64 s[2:3], s[66:67], exec
	s_and_b64 s[8:9], s[8:9], exec
	s_or_b64 s[2:3], s[2:3], s[8:9]
	s_orn2_b64 s[14:15], s[10:11], exec
.LBB111_817:
	s_or_b64 exec, exec, s[72:73]
	s_mov_b64 s[10:11], 0
	s_mov_b64 s[8:9], 0
	;; [unrolled: 1-line block ×3, first 2 shown]
                                        ; implicit-def: $vgpr1_vgpr2
                                        ; implicit-def: $vgpr0
                                        ; implicit-def: $vgpr3
	s_and_saveexec_b64 s[72:73], s[14:15]
	s_cbranch_execz .LBB111_916
; %bb.818:
	v_cmp_gt_i32_e32 vcc, s74, v8
	s_mov_b64 s[14:15], s[2:3]
	s_mov_b64 s[16:17], 0
                                        ; implicit-def: $vgpr1_vgpr2
                                        ; implicit-def: $vgpr0
                                        ; implicit-def: $vgpr3
	s_and_saveexec_b64 s[74:75], vcc
	s_cbranch_execz .LBB111_915
; %bb.819:
	s_andn2_b64 vcc, exec, s[46:47]
	s_cbranch_vccnz .LBB111_824
; %bb.820:
	s_andn2_b64 vcc, exec, s[58:59]
	s_cbranch_vccnz .LBB111_825
; %bb.821:
	s_add_i32 s79, s79, 1
	s_cmp_eq_u32 s76, 2
	s_cbranch_scc1 .LBB111_826
; %bb.822:
	s_and_b32 s50, s79, 28
	v_mov_b32_e32 v2, 0
	s_mov_b32 s80, 0
	s_mov_b64 s[58:59], s[34:35]
	v_mov_b32_e32 v0, 0
	v_mov_b32_e32 v1, v8
.LBB111_823:                            ; =>This Inner Loop Header: Depth=1
	s_load_dwordx8 s[16:23], s[58:59], 0x4
	s_load_dwordx4 s[40:43], s[58:59], 0x24
	s_load_dwordx8 s[8:15], s[56:57], 0x0
	s_add_u32 s58, s58, 48
	s_addc_u32 s59, s59, 0
	s_waitcnt vmcnt(0) lgkmcnt(0)
	v_mul_hi_u32 v3, s17, v1
	s_add_i32 s80, s80, 4
	s_add_u32 s56, s56, 32
	s_addc_u32 s57, s57, 0
	v_add_u32_e32 v3, v1, v3
	v_lshrrev_b32_e32 v3, s18, v3
	v_mul_lo_u32 v4, v3, s16
	v_mul_hi_u32 v5, s20, v3
	s_cmp_eq_u32 s50, s80
	v_sub_u32_e32 v1, v1, v4
	v_add_u32_e32 v4, v3, v5
	v_mul_lo_u32 v5, v1, s8
	v_mul_lo_u32 v6, v1, s9
	v_lshrrev_b32_e32 v1, s21, v4
	v_mul_lo_u32 v4, v1, s19
	v_mul_hi_u32 v7, s23, v1
	v_sub_u32_e32 v3, v3, v4
	v_add_u32_e32 v4, v1, v7
	v_lshrrev_b32_e32 v4, s40, v4
	v_mul_hi_u32 v9, s42, v4
	v_mul_lo_u32 v10, v4, s22
	v_mul_lo_u32 v7, v3, s10
	;; [unrolled: 1-line block ×3, first 2 shown]
	v_sub_u32_e32 v10, v1, v10
	v_add_u32_e32 v1, v4, v9
	v_lshrrev_b32_e32 v1, s43, v1
	v_mul_lo_u32 v9, v1, s41
	v_mul_lo_u32 v11, v10, s12
	v_mul_lo_u32 v10, v10, s13
	v_add3_u32 v0, v5, v0, v7
	v_sub_u32_e32 v4, v4, v9
	v_mul_lo_u32 v9, v4, s14
	v_mul_lo_u32 v4, v4, s15
	v_add3_u32 v2, v6, v2, v3
	v_add3_u32 v0, v11, v0, v9
	;; [unrolled: 1-line block ×3, first 2 shown]
	s_cbranch_scc0 .LBB111_823
	s_branch .LBB111_827
.LBB111_824:
	s_mov_b64 s[8:9], -1
                                        ; implicit-def: $vgpr0
                                        ; implicit-def: $vgpr2
	s_branch .LBB111_831
.LBB111_825:
	v_mov_b32_e32 v0, 0
	v_mov_b32_e32 v2, 0
	s_branch .LBB111_830
.LBB111_826:
	s_mov_b32 s50, 0
	v_mov_b32_e32 v0, 0
	v_mov_b32_e32 v2, 0
	v_mov_b32_e32 v1, v8
.LBB111_827:
	s_and_b32 s12, s79, 3
	s_cmp_eq_u32 s12, 0
	s_cbranch_scc1 .LBB111_830
; %bb.828:
	s_lshl_b32 s8, s50, 3
	s_add_u32 s8, s34, s8
	s_addc_u32 s9, s35, 0
	s_add_u32 s8, s8, 0xc4
	s_addc_u32 s9, s9, 0
	s_mul_i32 s10, s50, 12
	s_add_u32 s10, s34, s10
	s_addc_u32 s11, s35, 0
.LBB111_829:                            ; =>This Inner Loop Header: Depth=1
	s_load_dwordx2 s[14:15], s[10:11], 0x4
	s_load_dword s13, s[10:11], 0xc
	s_load_dwordx2 s[16:17], s[8:9], 0x0
	s_add_u32 s10, s10, 12
	s_addc_u32 s11, s11, 0
	s_waitcnt vmcnt(0) lgkmcnt(0)
	v_mul_hi_u32 v3, s15, v1
	s_add_u32 s8, s8, 8
	s_addc_u32 s9, s9, 0
	s_add_i32 s12, s12, -1
	v_add_u32_e32 v3, v1, v3
	v_lshrrev_b32_e32 v4, s13, v3
	v_mul_lo_u32 v3, v4, s14
	s_cmp_lg_u32 s12, 0
	v_sub_u32_e32 v3, v1, v3
	v_mad_u64_u32 v[0:1], s[14:15], v3, s16, v[0:1]
	v_mad_u64_u32 v[2:3], s[14:15], v3, s17, v[2:3]
	v_mov_b32_e32 v1, v4
	s_cbranch_scc1 .LBB111_829
.LBB111_830:
	s_mov_b64 s[8:9], 0
.LBB111_831:
	s_andn2_b64 vcc, exec, s[8:9]
	s_cbranch_vccnz .LBB111_834
; %bb.832:
	v_mul_hi_u32 v0, s29, v8
	s_andn2_b64 vcc, exec, s[54:55]
	v_add_u32_e32 v0, v8, v0
	v_lshrrev_b32_e32 v1, s30, v0
	v_mul_lo_u32 v0, v1, s28
	v_sub_u32_e32 v2, v8, v0
	v_mul_lo_u32 v0, v2, s36
	v_mul_lo_u32 v2, v2, s37
	s_cbranch_vccnz .LBB111_834
; %bb.833:
	s_waitcnt vmcnt(0)
	v_mul_hi_u32 v3, s52, v1
	v_add_u32_e32 v3, v1, v3
	v_lshrrev_b32_e32 v3, s53, v3
	v_mul_lo_u32 v3, v3, s31
	v_sub_u32_e32 v3, v1, v3
	v_mad_u64_u32 v[0:1], s[8:9], v3, s38, v[0:1]
	v_mad_u64_u32 v[2:3], s[8:9], v3, s39, v[2:3]
.LBB111_834:
	s_waitcnt vmcnt(0)
	v_mov_b32_e32 v3, s27
	s_and_b32 s18, 0xffff, s78
	v_add_co_u32_e32 v1, vcc, s26, v2
	s_cmp_lt_i32 s18, 11
	v_addc_co_u32_e32 v2, vcc, 0, v3, vcc
	s_cbranch_scc1 .LBB111_841
; %bb.835:
	s_cmp_gt_i32 s18, 25
	s_mov_b64 s[10:11], 0
	s_cbranch_scc0 .LBB111_842
; %bb.836:
	s_cmp_gt_i32 s18, 28
	s_cbranch_scc0 .LBB111_843
; %bb.837:
	s_cmp_gt_i32 s18, 43
	;; [unrolled: 3-line block ×3, first 2 shown]
	s_cbranch_scc0 .LBB111_847
; %bb.839:
	s_cmp_eq_u32 s18, 46
	s_mov_b64 s[14:15], 0
	s_cbranch_scc0 .LBB111_850
; %bb.840:
	global_load_dword v3, v[1:2], off
	s_mov_b64 s[8:9], 0
	s_mov_b64 s[12:13], -1
	s_waitcnt vmcnt(0)
	v_lshlrev_b32_e32 v3, 16, v3
	s_branch .LBB111_851
.LBB111_841:
	s_mov_b64 s[14:15], -1
	s_mov_b64 s[12:13], 0
	s_mov_b64 s[10:11], 0
	;; [unrolled: 1-line block ×3, first 2 shown]
                                        ; implicit-def: $vgpr3
	s_branch .LBB111_914
.LBB111_842:
	s_mov_b64 s[14:15], -1
	s_mov_b64 s[12:13], 0
	s_mov_b64 s[8:9], s[2:3]
                                        ; implicit-def: $vgpr3
	s_branch .LBB111_880
.LBB111_843:
	s_mov_b64 s[14:15], -1
	s_mov_b64 s[12:13], 0
	s_mov_b64 s[8:9], s[2:3]
                                        ; implicit-def: $vgpr3
	s_branch .LBB111_861
.LBB111_844:
	s_mov_b64 s[14:15], -1
	s_mov_b64 s[12:13], 0
	s_mov_b64 s[8:9], s[2:3]
                                        ; implicit-def: $vgpr3
	s_branch .LBB111_856
.LBB111_845:
	s_andn2_saveexec_b64 s[14:15], s[14:15]
	s_cbranch_execz .LBB111_725
.LBB111_846:
	v_add_f32_e32 v2, 0x46000000, v3
	v_and_b32_e32 v2, 0xff, v2
	v_cmp_ne_u32_e32 vcc, 0, v2
	s_andn2_b64 s[12:13], s[12:13], exec
	s_and_b64 s[18:19], vcc, exec
	s_or_b64 s[12:13], s[12:13], s[18:19]
	s_or_b64 exec, exec, s[14:15]
	v_mov_b32_e32 v4, 0
	s_and_saveexec_b64 s[14:15], s[12:13]
	s_cbranch_execnz .LBB111_726
	s_branch .LBB111_727
.LBB111_847:
	s_mov_b64 s[14:15], -1
	s_mov_b64 s[12:13], 0
	s_mov_b64 s[8:9], s[2:3]
                                        ; implicit-def: $vgpr3
	s_branch .LBB111_851
.LBB111_848:
	s_andn2_saveexec_b64 s[14:15], s[14:15]
	s_cbranch_execz .LBB111_738
.LBB111_849:
	v_add_f32_e32 v2, 0x42800000, v3
	v_and_b32_e32 v2, 0xff, v2
	v_cmp_ne_u32_e32 vcc, 0, v2
	s_andn2_b64 s[12:13], s[12:13], exec
	s_and_b64 s[18:19], vcc, exec
	s_or_b64 s[12:13], s[12:13], s[18:19]
	s_or_b64 exec, exec, s[14:15]
	v_mov_b32_e32 v4, 0
	s_and_saveexec_b64 s[14:15], s[12:13]
	s_cbranch_execnz .LBB111_739
	s_branch .LBB111_740
.LBB111_850:
	s_mov_b64 s[8:9], -1
                                        ; implicit-def: $vgpr3
	s_mov_b64 s[12:13], 0
.LBB111_851:
	s_and_b64 vcc, exec, s[14:15]
	s_cbranch_vccz .LBB111_855
; %bb.852:
	s_cmp_eq_u32 s18, 44
	s_cbranch_scc0 .LBB111_854
; %bb.853:
	global_load_ubyte v3, v[1:2], off
	s_movk_i32 s12, 0xff
	v_mov_b32_e32 v4, 0x7f800001
	v_mov_b32_e32 v5, 0x400000
	s_mov_b64 s[8:9], 0
	s_waitcnt vmcnt(0)
	v_lshlrev_b32_e32 v6, 23, v3
	v_cmp_ne_u32_e32 vcc, s12, v3
	v_cndmask_b32_e32 v4, v4, v6, vcc
	v_cmp_ne_u32_e32 vcc, 0, v3
	v_cndmask_b32_e32 v3, v5, v4, vcc
	s_mov_b64 s[12:13], -1
	s_branch .LBB111_855
.LBB111_854:
	s_mov_b64 s[8:9], -1
                                        ; implicit-def: $vgpr3
.LBB111_855:
	s_mov_b64 s[14:15], 0
.LBB111_856:
	s_and_b64 vcc, exec, s[14:15]
	s_cbranch_vccz .LBB111_860
; %bb.857:
	s_cmp_eq_u32 s18, 29
	s_cbranch_scc0 .LBB111_859
; %bb.858:
	global_load_dwordx2 v[3:4], v[1:2], off
	s_mov_b64 s[8:9], 0
	s_mov_b64 s[12:13], -1
	s_mov_b64 s[14:15], 0
	s_waitcnt vmcnt(0)
	v_ffbh_u32_e32 v5, v4
	v_min_u32_e32 v5, 32, v5
	v_lshlrev_b64 v[3:4], v5, v[3:4]
	v_min_u32_e32 v3, 1, v3
	v_or_b32_e32 v3, v4, v3
	v_cvt_f32_u32_e32 v3, v3
	v_sub_u32_e32 v4, 32, v5
	v_ldexp_f32 v3, v3, v4
	s_branch .LBB111_861
.LBB111_859:
	s_mov_b64 s[8:9], -1
                                        ; implicit-def: $vgpr3
.LBB111_860:
	s_mov_b64 s[14:15], 0
.LBB111_861:
	s_and_b64 vcc, exec, s[14:15]
	s_cbranch_vccz .LBB111_879
; %bb.862:
	s_cmp_lt_i32 s18, 27
	s_cbranch_scc1 .LBB111_865
; %bb.863:
	s_cmp_gt_i32 s18, 27
	s_cbranch_scc0 .LBB111_866
; %bb.864:
	global_load_dword v3, v[1:2], off
	s_mov_b64 s[12:13], 0
	s_waitcnt vmcnt(0)
	v_cvt_f32_u32_e32 v3, v3
	s_branch .LBB111_867
.LBB111_865:
	s_mov_b64 s[12:13], -1
                                        ; implicit-def: $vgpr3
	s_branch .LBB111_870
.LBB111_866:
	s_mov_b64 s[12:13], -1
                                        ; implicit-def: $vgpr3
.LBB111_867:
	s_andn2_b64 vcc, exec, s[12:13]
	s_cbranch_vccnz .LBB111_869
; %bb.868:
	global_load_ushort v3, v[1:2], off
	s_waitcnt vmcnt(0)
	v_cvt_f32_u32_e32 v3, v3
.LBB111_869:
	s_mov_b64 s[12:13], 0
.LBB111_870:
	s_andn2_b64 vcc, exec, s[12:13]
	s_cbranch_vccnz .LBB111_878
; %bb.871:
	global_load_ubyte v4, v[1:2], off
	s_movk_i32 s12, 0x7f
	s_waitcnt vmcnt(0)
	v_cmp_lt_i16_e32 vcc, s12, v4
	s_mov_b64 s[12:13], 0
	s_and_saveexec_b64 s[14:15], vcc
	s_xor_b64 s[14:15], exec, s[14:15]
	s_cbranch_execz .LBB111_892
; %bb.872:
	s_movk_i32 s12, 0x80
	v_cmp_eq_u16_e32 vcc, s12, v4
	s_mov_b64 s[12:13], -1
	s_and_saveexec_b64 s[16:17], vcc
; %bb.873:
	s_xor_b64 s[12:13], exec, -1
; %bb.874:
	s_or_b64 exec, exec, s[16:17]
	s_and_b64 s[12:13], s[12:13], exec
	s_or_saveexec_b64 s[14:15], s[14:15]
	v_mov_b32_e32 v3, 0x7f800001
	s_xor_b64 exec, exec, s[14:15]
	s_cbranch_execnz .LBB111_893
.LBB111_875:
	s_or_b64 exec, exec, s[14:15]
	s_and_saveexec_b64 s[14:15], s[12:13]
	s_cbranch_execz .LBB111_877
.LBB111_876:
	v_lshlrev_b32_e32 v3, 24, v4
	v_and_b32_e32 v4, 0xffff, v4
	v_and_b32_e32 v5, 7, v4
	v_ffbh_u32_e32 v7, v5
	v_min_u32_e32 v7, 32, v7
	v_subrev_u32_e32 v8, 28, v7
	v_bfe_u32 v6, v4, 3, 4
	v_lshlrev_b32_e32 v4, v8, v4
	v_sub_u32_e32 v7, 29, v7
	v_and_b32_e32 v4, 7, v4
	v_cmp_eq_u32_e32 vcc, 0, v6
	v_cndmask_b32_e32 v6, v6, v7, vcc
	v_cndmask_b32_e32 v4, v5, v4, vcc
	v_mov_b32_e32 v5, 0x3b800000
	v_lshlrev_b32_e32 v4, 20, v4
	v_and_b32_e32 v3, 0x80000000, v3
	v_lshl_add_u32 v5, v6, 23, v5
	v_or3_b32 v3, v3, v5, v4
.LBB111_877:
	s_or_b64 exec, exec, s[14:15]
.LBB111_878:
	s_mov_b64 s[12:13], -1
.LBB111_879:
	s_mov_b64 s[14:15], 0
.LBB111_880:
	s_and_b64 vcc, exec, s[14:15]
	s_cbranch_vccz .LBB111_913
; %bb.881:
	s_cmp_gt_i32 s18, 22
	s_cbranch_scc0 .LBB111_891
; %bb.882:
	s_cmp_lt_i32 s18, 24
	s_cbranch_scc1 .LBB111_894
; %bb.883:
	s_cmp_gt_i32 s18, 24
	s_cbranch_scc0 .LBB111_895
; %bb.884:
	global_load_ubyte v4, v[1:2], off
	s_movk_i32 s10, 0x7f
	s_waitcnt vmcnt(0)
	v_cmp_lt_i16_e32 vcc, s10, v4
	s_mov_b64 s[10:11], 0
	s_and_saveexec_b64 s[12:13], vcc
	s_xor_b64 s[12:13], exec, s[12:13]
	s_cbranch_execz .LBB111_907
; %bb.885:
	s_movk_i32 s10, 0x80
	v_cmp_eq_u16_e32 vcc, s10, v4
	s_mov_b64 s[10:11], -1
	s_and_saveexec_b64 s[14:15], vcc
; %bb.886:
	s_xor_b64 s[10:11], exec, -1
; %bb.887:
	s_or_b64 exec, exec, s[14:15]
	s_and_b64 s[10:11], s[10:11], exec
	s_or_saveexec_b64 s[12:13], s[12:13]
	v_mov_b32_e32 v3, 0x7f800001
	s_xor_b64 exec, exec, s[12:13]
	s_cbranch_execnz .LBB111_908
.LBB111_888:
	s_or_b64 exec, exec, s[12:13]
	s_and_saveexec_b64 s[12:13], s[10:11]
	s_cbranch_execz .LBB111_890
.LBB111_889:
	v_lshlrev_b32_e32 v3, 24, v4
	v_and_b32_e32 v4, 0xffff, v4
	v_and_b32_e32 v5, 3, v4
	v_ffbh_u32_e32 v7, v5
	v_min_u32_e32 v7, 32, v7
	v_subrev_u32_e32 v8, 29, v7
	v_bfe_u32 v6, v4, 2, 5
	v_lshlrev_b32_e32 v4, v8, v4
	v_sub_u32_e32 v7, 30, v7
	v_and_b32_e32 v4, 3, v4
	v_cmp_eq_u32_e32 vcc, 0, v6
	v_cndmask_b32_e32 v6, v6, v7, vcc
	v_cndmask_b32_e32 v4, v5, v4, vcc
	v_mov_b32_e32 v5, 0x37800000
	v_lshlrev_b32_e32 v4, 21, v4
	v_and_b32_e32 v3, 0x80000000, v3
	v_lshl_add_u32 v5, v6, 23, v5
	v_or3_b32 v3, v3, v5, v4
.LBB111_890:
	s_or_b64 exec, exec, s[12:13]
	s_mov_b64 s[10:11], 0
	s_branch .LBB111_896
.LBB111_891:
	s_mov_b64 s[10:11], -1
                                        ; implicit-def: $vgpr3
	s_branch .LBB111_902
.LBB111_892:
	s_or_saveexec_b64 s[14:15], s[14:15]
	v_mov_b32_e32 v3, 0x7f800001
	s_xor_b64 exec, exec, s[14:15]
	s_cbranch_execz .LBB111_875
.LBB111_893:
	v_cmp_ne_u16_e32 vcc, 0, v4
	s_andn2_b64 s[12:13], s[12:13], exec
	s_and_b64 s[16:17], vcc, exec
	v_mov_b32_e32 v3, 0
	s_or_b64 s[12:13], s[12:13], s[16:17]
	s_or_b64 exec, exec, s[14:15]
	s_and_saveexec_b64 s[14:15], s[12:13]
	s_cbranch_execnz .LBB111_876
	s_branch .LBB111_877
.LBB111_894:
	s_mov_b64 s[10:11], -1
                                        ; implicit-def: $vgpr3
	s_branch .LBB111_899
.LBB111_895:
	s_mov_b64 s[10:11], -1
                                        ; implicit-def: $vgpr3
.LBB111_896:
	s_and_b64 vcc, exec, s[10:11]
	s_cbranch_vccz .LBB111_898
; %bb.897:
	global_load_ubyte v3, v[1:2], off
	s_mov_b32 s10, 0x7f800000
	s_waitcnt vmcnt(0)
	v_lshlrev_b32_e32 v3, 24, v3
	v_and_b32_e32 v4, 0x7f000000, v3
	v_ffbh_u32_e32 v5, v4
	v_min_u32_e32 v5, 32, v5
	v_sub_u32_e64 v5, v5, 4 clamp
	v_lshlrev_b32_e32 v7, v5, v4
	v_lshlrev_b32_e32 v5, 23, v5
	v_lshrrev_b32_e32 v7, 4, v7
	v_add_u32_e32 v6, 0x1000000, v4
	v_sub_u32_e32 v5, v7, v5
	v_ashrrev_i32_e32 v6, 8, v6
	v_add_u32_e32 v5, 0x3c000000, v5
	v_and_or_b32 v5, v6, s10, v5
	v_cmp_ne_u32_e32 vcc, 0, v4
	v_cndmask_b32_e32 v4, 0, v5, vcc
	s_brev_b32 s10, 1
	v_and_or_b32 v3, v3, s10, v4
.LBB111_898:
	s_mov_b64 s[10:11], 0
.LBB111_899:
	s_andn2_b64 vcc, exec, s[10:11]
	s_cbranch_vccnz .LBB111_901
; %bb.900:
	global_load_ubyte v3, v[1:2], off
	s_movk_i32 s10, 0x7f00
	s_brev_b32 s11, 16
	s_waitcnt vmcnt(0)
	v_lshlrev_b16_e32 v4, 8, v3
	v_lshlrev_b32_e32 v3, 25, v3
	v_lshrrev_b32_e32 v5, 4, v3
	v_and_or_b32 v6, v4, s10, 0.5
	v_or_b32_e32 v5, 0x70000000, v5
	v_add_f32_e32 v6, -0.5, v6
	v_mul_f32_e32 v5, 0x7800000, v5
	v_cmp_gt_u32_e32 vcc, s11, v3
	v_bfe_i32 v4, v4, 0, 16
	v_cndmask_b32_e32 v3, v5, v6, vcc
	s_brev_b32 s10, 1
	v_and_or_b32 v3, v4, s10, v3
.LBB111_901:
	s_mov_b64 s[10:11], 0
	s_mov_b64 s[12:13], -1
.LBB111_902:
	s_andn2_b64 vcc, exec, s[10:11]
	s_mov_b64 s[10:11], 0
	s_cbranch_vccnz .LBB111_913
; %bb.903:
	s_cmp_gt_i32 s18, 14
	s_cbranch_scc0 .LBB111_906
; %bb.904:
	s_cmp_eq_u32 s18, 15
	s_cbranch_scc0 .LBB111_909
; %bb.905:
	global_load_ushort v3, v[1:2], off
	s_mov_b64 s[8:9], 0
	s_mov_b64 s[12:13], -1
	s_waitcnt vmcnt(0)
	v_lshlrev_b32_e32 v3, 16, v3
	s_branch .LBB111_910
.LBB111_906:
	s_mov_b64 s[14:15], -1
                                        ; implicit-def: $vgpr3
	s_branch .LBB111_911
.LBB111_907:
	s_or_saveexec_b64 s[12:13], s[12:13]
	v_mov_b32_e32 v3, 0x7f800001
	s_xor_b64 exec, exec, s[12:13]
	s_cbranch_execz .LBB111_888
.LBB111_908:
	v_cmp_ne_u16_e32 vcc, 0, v4
	s_andn2_b64 s[10:11], s[10:11], exec
	s_and_b64 s[14:15], vcc, exec
	v_mov_b32_e32 v3, 0
	s_or_b64 s[10:11], s[10:11], s[14:15]
	s_or_b64 exec, exec, s[12:13]
	s_and_saveexec_b64 s[12:13], s[10:11]
	s_cbranch_execnz .LBB111_889
	s_branch .LBB111_890
.LBB111_909:
	s_mov_b64 s[8:9], -1
                                        ; implicit-def: $vgpr3
.LBB111_910:
	s_mov_b64 s[14:15], 0
.LBB111_911:
	s_and_b64 vcc, exec, s[14:15]
	s_cbranch_vccz .LBB111_913
; %bb.912:
	s_cmp_lg_u32 s18, 11
	s_cselect_b64 s[14:15], -1, 0
	s_andn2_b64 s[8:9], s[8:9], exec
	s_and_b64 s[14:15], s[14:15], exec
	s_mov_b64 s[10:11], -1
	s_or_b64 s[8:9], s[8:9], s[14:15]
.LBB111_913:
	s_mov_b64 s[14:15], 0
.LBB111_914:
	s_and_b64 s[16:17], s[14:15], exec
	s_andn2_b64 s[14:15], s[2:3], exec
	s_and_b64 s[8:9], s[8:9], exec
	s_and_b64 s[12:13], s[12:13], exec
	;; [unrolled: 1-line block ×3, first 2 shown]
	s_or_b64 s[14:15], s[14:15], s[8:9]
.LBB111_915:
	s_or_b64 exec, exec, s[74:75]
	s_andn2_b64 s[2:3], s[2:3], exec
	s_and_b64 s[14:15], s[14:15], exec
	s_and_b64 s[12:13], s[12:13], exec
	;; [unrolled: 1-line block ×4, first 2 shown]
	s_or_b64 s[2:3], s[2:3], s[14:15]
.LBB111_916:
	s_or_b64 exec, exec, s[72:73]
	s_andn2_b64 s[14:15], s[68:69], exec
	s_and_b64 s[6:7], s[6:7], exec
	s_or_b64 s[68:69], s[14:15], s[6:7]
	s_and_b64 s[6:7], s[10:11], exec
	s_andn2_b64 s[10:11], s[66:67], exec
	s_and_b64 s[2:3], s[2:3], exec
	s_and_b64 s[12:13], s[12:13], exec
	;; [unrolled: 1-line block ×3, first 2 shown]
	s_or_b64 s[66:67], s[10:11], s[2:3]
.LBB111_917:
	s_or_b64 exec, exec, s[70:71]
	s_andn2_b64 s[2:3], s[60:61], exec
	s_and_b64 s[10:11], s[68:69], exec
	s_or_b64 s[60:61], s[2:3], s[10:11]
	s_and_b64 s[68:69], s[6:7], exec
	s_andn2_b64 s[2:3], s[62:63], exec
	s_and_b64 s[6:7], s[66:67], exec
	s_and_b64 s[10:11], s[12:13], exec
	;; [unrolled: 1-line block ×3, first 2 shown]
	s_or_b64 s[62:63], s[2:3], s[6:7]
	s_or_b64 exec, exec, s[64:65]
	s_mov_b64 s[2:3], 0
	s_and_saveexec_b64 s[6:7], s[62:63]
	s_cbranch_execz .LBB111_274
.LBB111_918:
	s_mov_b64 s[2:3], exec
	s_andn2_b64 s[68:69], s[68:69], exec
	s_trap 2
	s_or_b64 exec, exec, s[6:7]
	s_and_saveexec_b64 s[6:7], s[68:69]
	s_xor_b64 s[6:7], exec, s[6:7]
	s_cbranch_execnz .LBB111_275
.LBB111_919:
	s_or_b64 exec, exec, s[6:7]
	s_and_saveexec_b64 s[6:7], s[8:9]
	s_cbranch_execz .LBB111_965
.LBB111_920:
	s_sext_i32_i16 s8, s78
	s_cmp_lt_i32 s8, 5
	s_cbranch_scc1 .LBB111_925
; %bb.921:
	s_cmp_lt_i32 s8, 8
	s_cbranch_scc1 .LBB111_926
; %bb.922:
	;; [unrolled: 3-line block ×3, first 2 shown]
	s_cmp_gt_i32 s8, 9
	s_cbranch_scc0 .LBB111_928
; %bb.924:
	global_load_dwordx2 v[3:4], v[1:2], off
	s_mov_b64 s[8:9], 0
	s_waitcnt vmcnt(0)
	v_cvt_f32_f64_e32 v3, v[3:4]
	s_branch .LBB111_929
.LBB111_925:
                                        ; implicit-def: $vgpr3
	s_branch .LBB111_946
.LBB111_926:
                                        ; implicit-def: $vgpr3
	s_branch .LBB111_935
.LBB111_927:
	s_mov_b64 s[8:9], -1
                                        ; implicit-def: $vgpr3
	s_branch .LBB111_932
.LBB111_928:
	s_mov_b64 s[8:9], -1
                                        ; implicit-def: $vgpr3
.LBB111_929:
	s_andn2_b64 vcc, exec, s[8:9]
	s_cbranch_vccnz .LBB111_931
; %bb.930:
	global_load_dword v3, v[1:2], off
.LBB111_931:
	s_mov_b64 s[8:9], 0
.LBB111_932:
	s_andn2_b64 vcc, exec, s[8:9]
	s_cbranch_vccnz .LBB111_934
; %bb.933:
	global_load_dword v3, v[1:2], off
	s_waitcnt vmcnt(0)
	v_cvt_f32_f16_e32 v3, v3
.LBB111_934:
	s_cbranch_execnz .LBB111_945
.LBB111_935:
	s_sext_i32_i16 s8, s78
	s_cmp_lt_i32 s8, 6
	s_cbranch_scc1 .LBB111_938
; %bb.936:
	s_cmp_gt_i32 s8, 6
	s_cbranch_scc0 .LBB111_939
; %bb.937:
	global_load_dwordx2 v[3:4], v[1:2], off
	s_mov_b64 s[8:9], 0
	s_waitcnt vmcnt(0)
	v_cvt_f32_f64_e32 v3, v[3:4]
	s_branch .LBB111_940
.LBB111_938:
	s_mov_b64 s[8:9], -1
                                        ; implicit-def: $vgpr3
	s_branch .LBB111_943
.LBB111_939:
	s_mov_b64 s[8:9], -1
                                        ; implicit-def: $vgpr3
.LBB111_940:
	s_andn2_b64 vcc, exec, s[8:9]
	s_cbranch_vccnz .LBB111_942
; %bb.941:
	global_load_dword v3, v[1:2], off
.LBB111_942:
	s_mov_b64 s[8:9], 0
.LBB111_943:
	s_andn2_b64 vcc, exec, s[8:9]
	s_cbranch_vccnz .LBB111_945
; %bb.944:
	global_load_ushort v3, v[1:2], off
	s_waitcnt vmcnt(0)
	v_cvt_f32_f16_e32 v3, v3
.LBB111_945:
	s_cbranch_execnz .LBB111_964
.LBB111_946:
	s_sext_i32_i16 s8, s78
	s_cmp_lt_i32 s8, 2
	s_cbranch_scc1 .LBB111_950
; %bb.947:
	s_cmp_lt_i32 s8, 3
	s_cbranch_scc1 .LBB111_951
; %bb.948:
	s_cmp_gt_i32 s8, 3
	s_cbranch_scc0 .LBB111_952
; %bb.949:
	global_load_dwordx2 v[3:4], v[1:2], off
	s_mov_b64 s[8:9], 0
	s_waitcnt vmcnt(0)
	v_xor_b32_e32 v6, v3, v4
	v_ffbh_i32_e32 v5, v4
	v_ashrrev_i32_e32 v6, 31, v6
	v_add_u32_e32 v5, -1, v5
	v_add_u32_e32 v6, 32, v6
	v_min_u32_e32 v5, v5, v6
	v_lshlrev_b64 v[3:4], v5, v[3:4]
	v_min_u32_e32 v3, 1, v3
	v_or_b32_e32 v3, v4, v3
	v_cvt_f32_i32_e32 v3, v3
	v_sub_u32_e32 v4, 32, v5
	v_ldexp_f32 v3, v3, v4
	s_branch .LBB111_953
.LBB111_950:
                                        ; implicit-def: $vgpr3
	s_branch .LBB111_959
.LBB111_951:
	s_mov_b64 s[8:9], -1
                                        ; implicit-def: $vgpr3
	s_branch .LBB111_956
.LBB111_952:
	s_mov_b64 s[8:9], -1
                                        ; implicit-def: $vgpr3
.LBB111_953:
	s_andn2_b64 vcc, exec, s[8:9]
	s_cbranch_vccnz .LBB111_955
; %bb.954:
	global_load_dword v3, v[1:2], off
	s_waitcnt vmcnt(0)
	v_cvt_f32_i32_e32 v3, v3
.LBB111_955:
	s_mov_b64 s[8:9], 0
.LBB111_956:
	s_andn2_b64 vcc, exec, s[8:9]
	s_cbranch_vccnz .LBB111_958
; %bb.957:
	global_load_sshort v3, v[1:2], off
	s_waitcnt vmcnt(0)
	v_cvt_f32_i32_e32 v3, v3
.LBB111_958:
	s_cbranch_execnz .LBB111_964
.LBB111_959:
	s_sext_i32_i16 s8, s78
	s_cmp_gt_i32 s8, 0
	s_cbranch_scc0 .LBB111_961
; %bb.960:
	global_load_sbyte v3, v[1:2], off
	s_mov_b64 s[8:9], 0
	s_waitcnt vmcnt(0)
	v_cvt_f32_i32_e32 v3, v3
	s_branch .LBB111_962
.LBB111_961:
	s_mov_b64 s[8:9], -1
                                        ; implicit-def: $vgpr3
.LBB111_962:
	s_andn2_b64 vcc, exec, s[8:9]
	s_cbranch_vccnz .LBB111_964
; %bb.963:
	global_load_ubyte v1, v[1:2], off
	s_waitcnt vmcnt(0)
	v_cvt_f32_ubyte0_e32 v3, v1
.LBB111_964:
	s_or_b64 s[10:11], s[10:11], exec
.LBB111_965:
	s_or_b64 exec, exec, s[6:7]
	s_mov_b64 s[14:15], 0
	s_mov_b64 s[12:13], 0
                                        ; implicit-def: $sgpr6_sgpr7
                                        ; implicit-def: $sgpr18
                                        ; implicit-def: $vgpr1_vgpr2
	s_and_saveexec_b64 s[8:9], s[10:11]
	s_cbranch_execz .LBB111_1040
; %bb.966:
	s_waitcnt vmcnt(0)
	v_cmp_eq_f32_e32 vcc, s51, v3
	v_cndmask_b32_e64 v1, 0, 1, vcc
	v_cmp_neq_f32_e32 vcc, s51, v3
	v_cndmask_b32_e64 v2, 0, 1, vcc
	v_cndmask_b32_e64 v1, v2, v1, s[0:1]
	v_and_b32_e32 v1, 1, v1
	v_cmp_eq_u32_e64 s[6:7], 1, v1
	v_mov_b32_e32 v2, s25
	s_and_b32 s18, s77, 0xff
	v_add_co_u32_e32 v1, vcc, s24, v0
	s_cmp_lt_i32 s18, 11
	v_addc_co_u32_e32 v2, vcc, 0, v2, vcc
	s_cbranch_scc1 .LBB111_1043
; %bb.967:
	s_and_b32 s19, 0xffff, s18
	s_mov_b64 s[12:13], -1
	s_cmp_gt_i32 s19, 25
	s_mov_b64 s[0:1], s[60:61]
	s_cbranch_scc0 .LBB111_1000
; %bb.968:
	s_mov_b64 s[10:11], -1
	s_cmp_gt_i32 s19, 28
	s_mov_b64 s[0:1], s[60:61]
	s_cbranch_scc0 .LBB111_984
; %bb.969:
	s_cmp_gt_i32 s19, 43
	s_mov_b64 s[0:1], s[60:61]
	s_cbranch_scc0 .LBB111_980
; %bb.970:
	;; [unrolled: 4-line block ×3, first 2 shown]
	s_cmp_eq_u32 s19, 46
	s_mov_b64 s[0:1], -1
	s_cbranch_scc0 .LBB111_973
; %bb.972:
	v_cndmask_b32_e64 v0, 0, 1.0, s[6:7]
	v_bfe_u32 v3, v0, 16, 1
	s_movk_i32 s0, 0x7fff
	v_add3_u32 v0, v0, v3, s0
	v_lshrrev_b32_e32 v0, 16, v0
	global_store_dword v[1:2], v0, off
	s_mov_b64 s[0:1], 0
.LBB111_973:
	s_mov_b64 s[10:11], 0
.LBB111_974:
	s_and_b64 vcc, exec, s[10:11]
	s_cbranch_vccz .LBB111_979
; %bb.975:
	s_cmp_eq_u32 s19, 44
	s_mov_b64 s[0:1], -1
	s_cbranch_scc0 .LBB111_979
; %bb.976:
	v_cndmask_b32_e64 v3, 0, 1.0, s[6:7]
	v_lshrrev_b32_e32 v0, 23, v3
	s_movk_i32 s0, 0xff
	v_cmp_ne_u32_e32 vcc, s0, v0
	v_mov_b32_e32 v4, 0xff
	s_and_saveexec_b64 s[10:11], vcc
; %bb.977:
	s_mov_b32 s0, 0x3fffff
	v_and_b32_e32 v4, 0x400000, v3
	v_and_or_b32 v3, v3, s0, v0
	v_cmp_ne_u32_e32 vcc, 0, v4
	v_cmp_ne_u32_e64 s[0:1], 0, v3
	s_and_b64 s[0:1], vcc, s[0:1]
	v_cndmask_b32_e64 v3, 0, 1, s[0:1]
	v_add_u32_e32 v4, v0, v3
; %bb.978:
	s_or_b64 exec, exec, s[10:11]
	s_mov_b64 s[0:1], 0
	global_store_byte v[1:2], v4, off
.LBB111_979:
	s_mov_b64 s[10:11], 0
.LBB111_980:
	s_and_b64 vcc, exec, s[10:11]
	s_cbranch_vccz .LBB111_983
; %bb.981:
	s_cmp_eq_u32 s19, 29
	s_mov_b64 s[0:1], -1
	s_cbranch_scc0 .LBB111_983
; %bb.982:
	s_mov_b32 s0, 0
	v_cndmask_b32_e64 v3, 0, 1, s[6:7]
	v_mov_b32_e32 v4, s0
	global_store_dwordx2 v[1:2], v[3:4], off
	s_mov_b64 s[0:1], 0
.LBB111_983:
	s_mov_b64 s[10:11], 0
.LBB111_984:
	s_and_b64 vcc, exec, s[10:11]
	s_cbranch_vccz .LBB111_999
; %bb.985:
	s_cmp_lt_i32 s19, 27
	s_mov_b64 s[10:11], -1
	s_cbranch_scc1 .LBB111_991
; %bb.986:
	s_cmp_gt_i32 s19, 27
	s_cbranch_scc0 .LBB111_988
; %bb.987:
	v_cndmask_b32_e64 v0, 0, 1, s[6:7]
	s_mov_b64 s[10:11], 0
	global_store_dword v[1:2], v0, off
.LBB111_988:
	s_andn2_b64 vcc, exec, s[10:11]
	s_cbranch_vccnz .LBB111_990
; %bb.989:
	v_cndmask_b32_e64 v0, 0, 1, s[6:7]
	global_store_short v[1:2], v0, off
.LBB111_990:
	s_mov_b64 s[10:11], 0
.LBB111_991:
	s_andn2_b64 vcc, exec, s[10:11]
	s_cbranch_vccnz .LBB111_999
; %bb.992:
	v_cndmask_b32_e64 v3, 0, 1.0, s[6:7]
	s_mov_b32 s10, 0x43800000
	v_cmp_gt_u32_e32 vcc, s10, v3
	v_mov_b32_e32 v4, 0x80
	s_and_saveexec_b64 s[10:11], vcc
	s_cbranch_execz .LBB111_998
; %bb.993:
	s_mov_b32 s12, 0x3bffffff
	v_cmp_lt_u32_e32 vcc, s12, v3
	s_mov_b64 s[12:13], 0
                                        ; implicit-def: $vgpr0
	s_and_saveexec_b64 s[14:15], vcc
	s_xor_b64 s[14:15], exec, s[14:15]
	s_cbranch_execz .LBB111_1156
; %bb.994:
	v_bfe_u32 v0, v3, 20, 1
	s_mov_b32 s16, 0x487ffff
	v_add3_u32 v0, v3, v0, s16
	s_mov_b64 s[12:13], exec
	v_lshrrev_b32_e32 v0, 20, v0
                                        ; implicit-def: $vgpr3
	s_andn2_saveexec_b64 s[14:15], s[14:15]
	s_cbranch_execnz .LBB111_1157
.LBB111_995:
	s_or_b64 exec, exec, s[14:15]
	v_mov_b32_e32 v4, 0
	s_and_saveexec_b64 s[14:15], s[12:13]
.LBB111_996:
	v_mov_b32_e32 v4, v0
.LBB111_997:
	s_or_b64 exec, exec, s[14:15]
.LBB111_998:
	s_or_b64 exec, exec, s[10:11]
	global_store_byte v[1:2], v4, off
.LBB111_999:
	s_mov_b64 s[12:13], 0
.LBB111_1000:
	s_mov_b64 s[10:11], 0
	s_and_b64 vcc, exec, s[12:13]
	s_cbranch_vccz .LBB111_1044
; %bb.1001:
	s_cmp_gt_i32 s19, 22
	s_mov_b64 s[12:13], -1
	s_cbranch_scc0 .LBB111_1033
; %bb.1002:
	s_cmp_lt_i32 s19, 24
	s_cbranch_scc1 .LBB111_1022
; %bb.1003:
	s_cmp_gt_i32 s19, 24
	s_cbranch_scc0 .LBB111_1011
; %bb.1004:
	v_cndmask_b32_e64 v3, 0, 1.0, s[6:7]
	s_mov_b32 s12, 0x47800000
	v_cmp_gt_u32_e32 vcc, s12, v3
	v_mov_b32_e32 v4, 0x80
	s_and_saveexec_b64 s[12:13], vcc
	s_cbranch_execz .LBB111_1010
; %bb.1005:
	s_mov_b32 s14, 0x37ffffff
	v_cmp_lt_u32_e32 vcc, s14, v3
	s_mov_b64 s[14:15], 0
                                        ; implicit-def: $vgpr0
	s_and_saveexec_b64 s[16:17], vcc
	s_xor_b64 s[16:17], exec, s[16:17]
	s_cbranch_execz .LBB111_1281
; %bb.1006:
	v_bfe_u32 v0, v3, 21, 1
	s_mov_b32 s20, 0x88fffff
	v_add3_u32 v0, v3, v0, s20
	s_mov_b64 s[14:15], exec
	v_lshrrev_b32_e32 v0, 21, v0
                                        ; implicit-def: $vgpr3
	s_andn2_saveexec_b64 s[16:17], s[16:17]
	s_cbranch_execnz .LBB111_1282
.LBB111_1007:
	s_or_b64 exec, exec, s[16:17]
	v_mov_b32_e32 v4, 0
	s_and_saveexec_b64 s[16:17], s[14:15]
.LBB111_1008:
	v_mov_b32_e32 v4, v0
.LBB111_1009:
	s_or_b64 exec, exec, s[16:17]
.LBB111_1010:
	s_or_b64 exec, exec, s[12:13]
	s_mov_b64 s[12:13], 0
	global_store_byte v[1:2], v4, off
.LBB111_1011:
	s_and_b64 vcc, exec, s[12:13]
	s_cbranch_vccz .LBB111_1021
; %bb.1012:
	v_cndmask_b32_e64 v0, 0, 1.0, s[6:7]
	s_mov_b32 s12, 0x43f00000
	v_cmp_gt_u32_e32 vcc, s12, v0
                                        ; implicit-def: $vgpr3
	s_and_saveexec_b64 s[12:13], vcc
	s_xor_b64 s[12:13], exec, s[12:13]
	s_cbranch_execz .LBB111_1018
; %bb.1013:
	s_mov_b32 s14, 0x3c7fffff
	v_cmp_lt_u32_e32 vcc, s14, v0
                                        ; implicit-def: $vgpr3
	s_and_saveexec_b64 s[14:15], vcc
	s_xor_b64 s[14:15], exec, s[14:15]
; %bb.1014:
	v_bfe_u32 v3, v0, 20, 1
	s_mov_b32 s16, 0x407ffff
	v_add3_u32 v0, v0, v3, s16
	v_lshrrev_b32_e32 v3, 20, v0
	v_and_b32_e32 v0, 0xff00000, v0
	s_mov_b32 s16, 0x7f00000
	v_mov_b32_e32 v4, 0x7e
	v_cmp_ne_u32_e32 vcc, s16, v0
	v_cndmask_b32_e32 v3, v4, v3, vcc
                                        ; implicit-def: $vgpr0
; %bb.1015:
	s_andn2_saveexec_b64 s[14:15], s[14:15]
; %bb.1016:
	v_add_f32_e32 v3, 0x46800000, v0
; %bb.1017:
	s_or_b64 exec, exec, s[14:15]
                                        ; implicit-def: $vgpr0
.LBB111_1018:
	s_andn2_saveexec_b64 s[12:13], s[12:13]
; %bb.1019:
	s_mov_b32 s14, 0x7f800000
	v_mov_b32_e32 v3, 0x7e
	v_mov_b32_e32 v4, 0x7f
	v_cmp_lt_u32_e32 vcc, s14, v0
	v_cndmask_b32_e32 v3, v3, v4, vcc
; %bb.1020:
	s_or_b64 exec, exec, s[12:13]
	global_store_byte v[1:2], v3, off
.LBB111_1021:
	s_mov_b64 s[12:13], 0
.LBB111_1022:
	s_andn2_b64 vcc, exec, s[12:13]
	s_cbranch_vccnz .LBB111_1032
; %bb.1023:
	v_cndmask_b32_e64 v0, 0, 1.0, s[6:7]
	s_mov_b32 s12, 0x47800000
	v_cmp_gt_u32_e32 vcc, s12, v0
                                        ; implicit-def: $vgpr3
	s_and_saveexec_b64 s[12:13], vcc
	s_xor_b64 s[12:13], exec, s[12:13]
	s_cbranch_execz .LBB111_1029
; %bb.1024:
	s_mov_b32 s14, 0x387fffff
	v_cmp_lt_u32_e32 vcc, s14, v0
                                        ; implicit-def: $vgpr3
	s_and_saveexec_b64 s[14:15], vcc
	s_xor_b64 s[14:15], exec, s[14:15]
; %bb.1025:
	v_bfe_u32 v3, v0, 21, 1
	s_mov_b32 s16, 0x80fffff
	v_add3_u32 v0, v0, v3, s16
	v_lshrrev_b32_e32 v3, 21, v0
                                        ; implicit-def: $vgpr0
; %bb.1026:
	s_andn2_saveexec_b64 s[14:15], s[14:15]
; %bb.1027:
	v_add_f32_e32 v3, 0x43000000, v0
; %bb.1028:
	s_or_b64 exec, exec, s[14:15]
                                        ; implicit-def: $vgpr0
.LBB111_1029:
	s_andn2_saveexec_b64 s[12:13], s[12:13]
; %bb.1030:
	s_mov_b32 s14, 0x7f800000
	v_mov_b32_e32 v3, 0x7c
	v_mov_b32_e32 v4, 0x7f
	v_cmp_lt_u32_e32 vcc, s14, v0
	v_cndmask_b32_e32 v3, v3, v4, vcc
; %bb.1031:
	s_or_b64 exec, exec, s[12:13]
	global_store_byte v[1:2], v3, off
.LBB111_1032:
	s_mov_b64 s[12:13], 0
.LBB111_1033:
	s_andn2_b64 vcc, exec, s[12:13]
	s_mov_b64 s[14:15], 0
	s_cbranch_vccnz .LBB111_1045
; %bb.1034:
	s_cmp_gt_i32 s19, 14
	s_mov_b64 s[12:13], -1
	s_cbranch_scc0 .LBB111_1038
; %bb.1035:
	s_cmp_eq_u32 s19, 15
	s_mov_b64 s[0:1], -1
	s_cbranch_scc0 .LBB111_1037
; %bb.1036:
	v_cndmask_b32_e64 v0, 0, 1.0, s[6:7]
	v_bfe_u32 v3, v0, 16, 1
	s_movk_i32 s0, 0x7fff
	v_add3_u32 v0, v0, v3, s0
	global_store_short_d16_hi v[1:2], v0, off
	s_mov_b64 s[0:1], 0
.LBB111_1037:
	s_mov_b64 s[12:13], 0
.LBB111_1038:
	s_and_b64 vcc, exec, s[12:13]
	s_cbranch_vccz .LBB111_1045
; %bb.1039:
	s_cmp_lg_u32 s19, 11
	s_cselect_b64 s[12:13], -1, 0
	s_andn2_b64 s[0:1], s[0:1], exec
	s_and_b64 s[12:13], s[12:13], exec
	s_mov_b64 s[14:15], -1
	s_or_b64 s[0:1], s[0:1], s[12:13]
	s_branch .LBB111_1045
.LBB111_1040:
	s_or_b64 exec, exec, s[8:9]
	s_and_saveexec_b64 s[0:1], s[60:61]
	s_cbranch_execnz .LBB111_1046
.LBB111_1041:
	s_or_b64 exec, exec, s[0:1]
	s_and_saveexec_b64 s[0:1], s[14:15]
	s_xor_b64 s[0:1], exec, s[0:1]
	s_cbranch_execz .LBB111_1047
.LBB111_1042:
	v_cndmask_b32_e64 v0, 0, 1, s[6:7]
	global_store_byte v[1:2], v0, off
	s_or_b64 exec, exec, s[0:1]
	s_and_saveexec_b64 s[0:1], s[12:13]
	s_xor_b64 s[0:1], exec, s[0:1]
	s_cbranch_execz .LBB111_1085
	s_branch .LBB111_1048
.LBB111_1043:
	s_mov_b64 s[10:11], -1
	s_mov_b64 s[0:1], s[60:61]
	s_branch .LBB111_1045
.LBB111_1044:
	s_mov_b64 s[14:15], 0
.LBB111_1045:
	s_and_b64 s[12:13], s[10:11], exec
	s_andn2_b64 s[10:11], s[60:61], exec
	s_and_b64 s[0:1], s[0:1], exec
	s_and_b64 s[14:15], s[14:15], exec
	s_or_b64 s[60:61], s[10:11], s[0:1]
	s_or_b64 exec, exec, s[8:9]
	s_and_saveexec_b64 s[0:1], s[60:61]
	s_cbranch_execz .LBB111_1041
.LBB111_1046:
	s_or_b64 s[2:3], s[2:3], exec
	s_andn2_b64 s[14:15], s[14:15], exec
	s_trap 2
	s_or_b64 exec, exec, s[0:1]
	s_and_saveexec_b64 s[0:1], s[14:15]
	s_xor_b64 s[0:1], exec, s[0:1]
	s_cbranch_execnz .LBB111_1042
.LBB111_1047:
	s_or_b64 exec, exec, s[0:1]
	s_and_saveexec_b64 s[0:1], s[12:13]
	s_xor_b64 s[0:1], exec, s[0:1]
	s_cbranch_execz .LBB111_1085
.LBB111_1048:
	s_sext_i32_i16 s10, s18
	s_cmp_lt_i32 s10, 5
	s_mov_b64 s[8:9], -1
	s_cbranch_scc1 .LBB111_1069
; %bb.1049:
	s_cmp_lt_i32 s10, 8
	s_cbranch_scc1 .LBB111_1059
; %bb.1050:
	s_cmp_lt_i32 s10, 9
	s_cbranch_scc1 .LBB111_1056
; %bb.1051:
	s_cmp_gt_i32 s10, 9
	s_cbranch_scc0 .LBB111_1053
; %bb.1052:
	v_cndmask_b32_e64 v0, 0, 1, s[6:7]
	s_waitcnt vmcnt(0)
	v_cvt_f64_u32_e32 v[3:4], v0
	v_mov_b32_e32 v5, 0
	v_mov_b32_e32 v6, v5
	s_mov_b64 s[8:9], 0
	global_store_dwordx4 v[1:2], v[3:6], off
.LBB111_1053:
	s_andn2_b64 vcc, exec, s[8:9]
	s_cbranch_vccnz .LBB111_1055
; %bb.1054:
	s_waitcnt vmcnt(0)
	v_cndmask_b32_e64 v3, 0, 1.0, s[6:7]
	v_mov_b32_e32 v4, 0
	global_store_dwordx2 v[1:2], v[3:4], off
.LBB111_1055:
	s_mov_b64 s[8:9], 0
.LBB111_1056:
	s_andn2_b64 vcc, exec, s[8:9]
	s_cbranch_vccnz .LBB111_1058
; %bb.1057:
	v_cndmask_b32_e64 v0, 0, 1.0, s[6:7]
	v_cvt_f16_f32_e32 v0, v0
	global_store_dword v[1:2], v0, off
.LBB111_1058:
	s_mov_b64 s[8:9], 0
.LBB111_1059:
	s_andn2_b64 vcc, exec, s[8:9]
	s_cbranch_vccnz .LBB111_1068
; %bb.1060:
	s_sext_i32_i16 s10, s18
	s_cmp_lt_i32 s10, 6
	s_mov_b64 s[8:9], -1
	s_cbranch_scc1 .LBB111_1066
; %bb.1061:
	s_cmp_gt_i32 s10, 6
	s_cbranch_scc0 .LBB111_1063
; %bb.1062:
	v_cndmask_b32_e64 v0, 0, 1, s[6:7]
	s_waitcnt vmcnt(0)
	v_cvt_f64_u32_e32 v[3:4], v0
	s_mov_b64 s[8:9], 0
	global_store_dwordx2 v[1:2], v[3:4], off
.LBB111_1063:
	s_andn2_b64 vcc, exec, s[8:9]
	s_cbranch_vccnz .LBB111_1065
; %bb.1064:
	v_cndmask_b32_e64 v0, 0, 1.0, s[6:7]
	global_store_dword v[1:2], v0, off
.LBB111_1065:
	s_mov_b64 s[8:9], 0
.LBB111_1066:
	s_andn2_b64 vcc, exec, s[8:9]
	s_cbranch_vccnz .LBB111_1068
; %bb.1067:
	v_cndmask_b32_e64 v0, 0, 1.0, s[6:7]
	v_cvt_f16_f32_e32 v0, v0
	global_store_short v[1:2], v0, off
.LBB111_1068:
	s_mov_b64 s[8:9], 0
.LBB111_1069:
	s_andn2_b64 vcc, exec, s[8:9]
	s_cbranch_vccnz .LBB111_1085
; %bb.1070:
	s_sext_i32_i16 s10, s18
	s_cmp_lt_i32 s10, 2
	s_mov_b64 s[8:9], -1
	s_cbranch_scc1 .LBB111_1080
; %bb.1071:
	s_cmp_lt_i32 s10, 3
	s_cbranch_scc1 .LBB111_1077
; %bb.1072:
	s_cmp_gt_i32 s10, 3
	s_cbranch_scc0 .LBB111_1074
; %bb.1073:
	s_mov_b32 s8, 0
	s_waitcnt vmcnt(0)
	v_cndmask_b32_e64 v3, 0, 1, s[6:7]
	v_mov_b32_e32 v4, s8
	s_mov_b64 s[8:9], 0
	global_store_dwordx2 v[1:2], v[3:4], off
.LBB111_1074:
	s_andn2_b64 vcc, exec, s[8:9]
	s_cbranch_vccnz .LBB111_1076
; %bb.1075:
	v_cndmask_b32_e64 v0, 0, 1, s[6:7]
	global_store_dword v[1:2], v0, off
.LBB111_1076:
	s_mov_b64 s[8:9], 0
.LBB111_1077:
	s_andn2_b64 vcc, exec, s[8:9]
	s_cbranch_vccnz .LBB111_1079
; %bb.1078:
	v_cndmask_b32_e64 v0, 0, 1, s[6:7]
	global_store_short v[1:2], v0, off
.LBB111_1079:
	s_mov_b64 s[8:9], 0
.LBB111_1080:
	s_andn2_b64 vcc, exec, s[8:9]
	s_cbranch_vccnz .LBB111_1085
; %bb.1081:
	s_sext_i32_i16 s8, s18
	s_cmp_gt_i32 s8, 0
	s_mov_b64 s[8:9], -1
	s_cbranch_scc0 .LBB111_1083
; %bb.1082:
	v_cndmask_b32_e64 v0, 0, 1, s[6:7]
	s_mov_b64 s[8:9], 0
	global_store_byte v[1:2], v0, off
.LBB111_1083:
	s_andn2_b64 vcc, exec, s[8:9]
	s_cbranch_vccnz .LBB111_1085
; %bb.1084:
	v_cndmask_b32_e64 v0, 0, 1, s[6:7]
	global_store_byte v[1:2], v0, off
.LBB111_1085:
	s_or_b64 exec, exec, s[0:1]
	s_and_b64 s[6:7], s[2:3], exec
                                        ; implicit-def: $vgpr15
                                        ; implicit-def: $vgpr8
.LBB111_1086:
	s_or_saveexec_b64 s[28:29], s[48:49]
	s_mov_b64 s[0:1], 0
                                        ; implicit-def: $sgpr2_sgpr3
                                        ; implicit-def: $vgpr0_vgpr1
                                        ; implicit-def: $sgpr22
	s_xor_b64 exec, exec, s[28:29]
	s_cbranch_execz .LBB111_2090
; %bb.1087:
	v_cndmask_b32_e64 v0, 0, 1, s[46:47]
	v_cmp_ne_u32_e64 s[0:1], 1, v0
	s_andn2_b64 vcc, exec, s[46:47]
	s_cbranch_vccnz .LBB111_1093
; %bb.1088:
	s_cmp_lg_u32 s33, 0
	s_mov_b32 s36, 0
	s_cbranch_scc0 .LBB111_1094
; %bb.1089:
	s_min_u32 s37, s76, 15
	s_add_i32 s37, s37, 1
	s_cmp_eq_u32 s76, 2
	s_cbranch_scc1 .LBB111_1095
; %bb.1090:
	s_and_b32 s36, s37, 28
	s_add_u32 s2, s34, 0xc4
	s_addc_u32 s3, s35, 0
	v_mov_b32_e32 v13, 0
	s_mov_b32 s38, 0
	s_mov_b64 s[30:31], s[34:35]
	v_mov_b32_e32 v6, 0
	v_mov_b32_e32 v0, v8
.LBB111_1091:                           ; =>This Inner Loop Header: Depth=1
	s_load_dwordx8 s[16:23], s[30:31], 0x4
	s_load_dwordx4 s[24:27], s[30:31], 0x24
	s_load_dwordx8 s[8:15], s[2:3], 0x0
	s_add_u32 s30, s30, 48
	s_addc_u32 s31, s31, 0
	s_waitcnt lgkmcnt(0)
	v_mul_hi_u32 v1, s17, v0
	s_add_i32 s38, s38, 4
	s_add_u32 s2, s2, 32
	s_addc_u32 s3, s3, 0
	v_add_u32_e32 v1, v0, v1
	v_lshrrev_b32_e32 v1, s18, v1
	v_mul_lo_u32 v2, v1, s16
	s_waitcnt vmcnt(0)
	v_mul_hi_u32 v3, s20, v1
	s_cmp_lg_u32 s36, s38
	v_sub_u32_e32 v0, v0, v2
	v_add_u32_e32 v2, v1, v3
	v_mul_lo_u32 v3, v0, s8
	v_mul_lo_u32 v4, v0, s9
	v_lshrrev_b32_e32 v0, s21, v2
	v_mul_lo_u32 v2, v0, s19
	v_mul_hi_u32 v5, s23, v0
	v_sub_u32_e32 v1, v1, v2
	v_add_u32_e32 v2, v0, v5
	v_lshrrev_b32_e32 v2, s24, v2
	v_mul_hi_u32 v7, s26, v2
	v_mul_lo_u32 v9, v2, s22
	v_mul_lo_u32 v5, v1, s10
	v_mul_lo_u32 v1, v1, s11
	v_sub_u32_e32 v9, v0, v9
	v_add_u32_e32 v0, v2, v7
	v_lshrrev_b32_e32 v0, s27, v0
	v_mul_lo_u32 v7, v0, s25
	v_mul_lo_u32 v10, v9, s12
	;; [unrolled: 1-line block ×3, first 2 shown]
	v_add3_u32 v3, v3, v6, v5
	v_sub_u32_e32 v2, v2, v7
	v_mul_lo_u32 v7, v2, s14
	v_mul_lo_u32 v2, v2, s15
	v_add3_u32 v1, v4, v13, v1
	v_add3_u32 v6, v10, v3, v7
	;; [unrolled: 1-line block ×3, first 2 shown]
	s_cbranch_scc1 .LBB111_1091
; %bb.1092:
	s_and_b32 s10, s37, 3
	s_cmp_eq_u32 s10, 0
	s_cbranch_scc0 .LBB111_1096
	s_branch .LBB111_1098
.LBB111_1093:
                                        ; implicit-def: $vgpr6
                                        ; implicit-def: $vgpr13
	s_branch .LBB111_1099
.LBB111_1094:
	v_mov_b32_e32 v6, 0
	v_mov_b32_e32 v13, 0
	s_branch .LBB111_1098
.LBB111_1095:
	v_mov_b32_e32 v6, 0
	v_mov_b32_e32 v13, 0
	;; [unrolled: 1-line block ×3, first 2 shown]
	s_and_b32 s10, s37, 3
	s_cmp_eq_u32 s10, 0
	s_cbranch_scc1 .LBB111_1098
.LBB111_1096:
	s_lshl_b32 s2, s36, 3
	s_add_u32 s2, s34, s2
	s_addc_u32 s3, s35, 0
	s_add_u32 s2, s2, 0xc4
	s_addc_u32 s3, s3, 0
	s_mul_i32 s8, s36, 12
	s_add_u32 s8, s34, s8
	s_addc_u32 s9, s35, 0
.LBB111_1097:                           ; =>This Inner Loop Header: Depth=1
	s_load_dwordx2 s[12:13], s[8:9], 0x4
	s_load_dword s11, s[8:9], 0xc
	s_load_dwordx2 s[14:15], s[2:3], 0x0
	s_add_u32 s8, s8, 12
	s_addc_u32 s9, s9, 0
	s_waitcnt lgkmcnt(0)
	v_mul_hi_u32 v1, s13, v0
	s_add_u32 s2, s2, 8
	s_addc_u32 s3, s3, 0
	s_add_i32 s10, s10, -1
	v_add_u32_e32 v1, v0, v1
	v_lshrrev_b32_e32 v1, s11, v1
	v_mul_lo_u32 v2, v1, s12
	s_cmp_lg_u32 s10, 0
	v_sub_u32_e32 v0, v0, v2
	v_mad_u64_u32 v[6:7], s[12:13], v0, s14, v[6:7]
	v_mad_u64_u32 v[13:14], s[12:13], v0, s15, v[13:14]
	v_mov_b32_e32 v0, v1
	s_cbranch_scc1 .LBB111_1097
.LBB111_1098:
	s_cbranch_execnz .LBB111_1101
.LBB111_1099:
	s_load_dwordx4 s[8:11], s[34:35], 0x4
	s_load_dwordx2 s[2:3], s[34:35], 0xc4
	s_cmp_lt_u32 s33, 2
	s_waitcnt lgkmcnt(0)
	v_mul_hi_u32 v0, s9, v8
	v_add_u32_e32 v0, v8, v0
	v_lshrrev_b32_e32 v0, s10, v0
	v_mul_lo_u32 v1, v0, s8
	v_sub_u32_e32 v1, v8, v1
	v_mul_lo_u32 v6, v1, s2
	v_mul_lo_u32 v13, v1, s3
	s_cbranch_scc1 .LBB111_1101
; %bb.1100:
	s_load_dwordx4 s[8:11], s[34:35], 0x10
	s_load_dwordx2 s[2:3], s[34:35], 0xcc
	s_waitcnt lgkmcnt(0)
	v_mul_hi_u32 v1, s9, v0
	v_add_u32_e32 v1, v0, v1
	v_lshrrev_b32_e32 v1, s10, v1
	v_mul_lo_u32 v1, v1, s8
	v_sub_u32_e32 v0, v0, v1
	v_mad_u64_u32 v[6:7], s[8:9], v0, s2, v[6:7]
	v_mad_u64_u32 v[13:14], s[2:3], v0, s3, v[13:14]
.LBB111_1101:
	s_and_b64 vcc, exec, s[0:1]
	v_add_u32_e32 v0, 0x80, v8
	s_cbranch_vccnz .LBB111_1107
; %bb.1102:
	s_cmp_lg_u32 s33, 0
	s_mov_b32 s36, 0
	s_cbranch_scc0 .LBB111_1108
; %bb.1103:
	s_min_u32 s37, s76, 15
	s_add_i32 s37, s37, 1
	s_cmp_eq_u32 s76, 2
	s_cbranch_scc1 .LBB111_1109
; %bb.1104:
	s_and_b32 s36, s37, 28
	s_add_u32 s2, s34, 0xc4
	s_addc_u32 s3, s35, 0
	v_mov_b32_e32 v11, 0
	s_mov_b32 s38, 0
	s_mov_b64 s[30:31], s[34:35]
	v_mov_b32_e32 v4, 0
	v_mov_b32_e32 v1, v0
.LBB111_1105:                           ; =>This Inner Loop Header: Depth=1
	s_load_dwordx8 s[16:23], s[30:31], 0x4
	s_load_dwordx4 s[24:27], s[30:31], 0x24
	s_load_dwordx8 s[8:15], s[2:3], 0x0
	s_add_u32 s30, s30, 48
	s_addc_u32 s31, s31, 0
	s_waitcnt lgkmcnt(0)
	v_mul_hi_u32 v2, s17, v1
	s_add_i32 s38, s38, 4
	s_add_u32 s2, s2, 32
	s_addc_u32 s3, s3, 0
	v_add_u32_e32 v2, v1, v2
	v_lshrrev_b32_e32 v2, s18, v2
	s_waitcnt vmcnt(0)
	v_mul_lo_u32 v3, v2, s16
	v_mul_hi_u32 v5, s20, v2
	s_cmp_lg_u32 s36, s38
	v_sub_u32_e32 v1, v1, v3
	v_add_u32_e32 v3, v2, v5
	v_mul_lo_u32 v5, v1, s8
	v_mul_lo_u32 v7, v1, s9
	v_lshrrev_b32_e32 v1, s21, v3
	v_mul_lo_u32 v3, v1, s19
	v_mul_hi_u32 v9, s23, v1
	v_sub_u32_e32 v2, v2, v3
	v_add_u32_e32 v3, v1, v9
	v_lshrrev_b32_e32 v3, s24, v3
	v_mul_hi_u32 v10, s26, v3
	v_mul_lo_u32 v12, v3, s22
	v_mul_lo_u32 v9, v2, s10
	;; [unrolled: 1-line block ×3, first 2 shown]
	v_sub_u32_e32 v12, v1, v12
	v_add_u32_e32 v1, v3, v10
	v_lshrrev_b32_e32 v1, s27, v1
	v_mul_lo_u32 v10, v1, s25
	v_mul_lo_u32 v14, v12, s12
	;; [unrolled: 1-line block ×3, first 2 shown]
	v_add3_u32 v4, v5, v4, v9
	v_sub_u32_e32 v3, v3, v10
	v_mul_lo_u32 v10, v3, s14
	v_mul_lo_u32 v3, v3, s15
	v_add3_u32 v2, v7, v11, v2
	v_add3_u32 v4, v14, v4, v10
	;; [unrolled: 1-line block ×3, first 2 shown]
	s_cbranch_scc1 .LBB111_1105
; %bb.1106:
	s_and_b32 s10, s37, 3
	s_cmp_eq_u32 s10, 0
	s_cbranch_scc0 .LBB111_1110
	s_branch .LBB111_1112
.LBB111_1107:
                                        ; implicit-def: $vgpr4
                                        ; implicit-def: $vgpr11
	s_branch .LBB111_1113
.LBB111_1108:
	v_mov_b32_e32 v4, 0
	v_mov_b32_e32 v11, 0
	s_branch .LBB111_1112
.LBB111_1109:
	v_mov_b32_e32 v4, 0
	v_mov_b32_e32 v11, 0
	;; [unrolled: 1-line block ×3, first 2 shown]
	s_and_b32 s10, s37, 3
	s_cmp_eq_u32 s10, 0
	s_cbranch_scc1 .LBB111_1112
.LBB111_1110:
	s_lshl_b32 s2, s36, 3
	s_add_u32 s2, s34, s2
	s_addc_u32 s3, s35, 0
	s_add_u32 s2, s2, 0xc4
	s_addc_u32 s3, s3, 0
	s_mul_i32 s8, s36, 12
	s_add_u32 s8, s34, s8
	s_addc_u32 s9, s35, 0
.LBB111_1111:                           ; =>This Inner Loop Header: Depth=1
	s_load_dwordx2 s[12:13], s[8:9], 0x4
	s_load_dword s11, s[8:9], 0xc
	s_load_dwordx2 s[14:15], s[2:3], 0x0
	s_add_u32 s8, s8, 12
	s_addc_u32 s9, s9, 0
	s_waitcnt lgkmcnt(0)
	v_mul_hi_u32 v2, s13, v1
	s_add_u32 s2, s2, 8
	s_addc_u32 s3, s3, 0
	s_add_i32 s10, s10, -1
	v_add_u32_e32 v2, v1, v2
	v_lshrrev_b32_e32 v2, s11, v2
	s_waitcnt vmcnt(0)
	v_mul_lo_u32 v3, v2, s12
	s_cmp_lg_u32 s10, 0
	v_sub_u32_e32 v1, v1, v3
	v_mad_u64_u32 v[4:5], s[12:13], v1, s14, v[4:5]
	v_mad_u64_u32 v[11:12], s[12:13], v1, s15, v[11:12]
	v_mov_b32_e32 v1, v2
	s_cbranch_scc1 .LBB111_1111
.LBB111_1112:
	s_cbranch_execnz .LBB111_1115
.LBB111_1113:
	s_load_dwordx4 s[8:11], s[34:35], 0x4
	s_load_dwordx2 s[2:3], s[34:35], 0xc4
	s_cmp_lt_u32 s33, 2
	s_waitcnt lgkmcnt(0)
	v_mul_hi_u32 v1, s9, v0
	v_add_u32_e32 v1, v0, v1
	v_lshrrev_b32_e32 v1, s10, v1
	v_mul_lo_u32 v2, v1, s8
	v_sub_u32_e32 v0, v0, v2
	v_mul_lo_u32 v4, v0, s2
	v_mul_lo_u32 v11, v0, s3
	s_cbranch_scc1 .LBB111_1115
; %bb.1114:
	s_load_dwordx4 s[8:11], s[34:35], 0x10
	s_load_dwordx2 s[2:3], s[34:35], 0xcc
	s_waitcnt lgkmcnt(0)
	v_mul_hi_u32 v0, s9, v1
	v_add_u32_e32 v0, v1, v0
	v_lshrrev_b32_e32 v0, s10, v0
	v_mul_lo_u32 v0, v0, s8
	v_sub_u32_e32 v0, v1, v0
	v_mad_u64_u32 v[4:5], s[8:9], v0, s2, v[4:5]
	v_mad_u64_u32 v[11:12], s[2:3], v0, s3, v[11:12]
.LBB111_1115:
	s_and_b64 vcc, exec, s[0:1]
	v_add_u32_e32 v0, 0x100, v8
	s_cbranch_vccnz .LBB111_1121
; %bb.1116:
	s_cmp_lg_u32 s33, 0
	s_mov_b32 s36, 0
	s_cbranch_scc0 .LBB111_1122
; %bb.1117:
	s_min_u32 s37, s76, 15
	s_add_i32 s37, s37, 1
	s_cmp_eq_u32 s76, 2
	s_cbranch_scc1 .LBB111_1123
; %bb.1118:
	s_and_b32 s36, s37, 28
	s_add_u32 s2, s34, 0xc4
	s_addc_u32 s3, s35, 0
	v_mov_b32_e32 v9, 0
	s_mov_b32 s38, 0
	s_mov_b64 s[30:31], s[34:35]
	v_mov_b32_e32 v2, 0
	v_mov_b32_e32 v1, v0
.LBB111_1119:                           ; =>This Inner Loop Header: Depth=1
	s_load_dwordx8 s[16:23], s[30:31], 0x4
	s_load_dwordx4 s[24:27], s[30:31], 0x24
	s_load_dwordx8 s[8:15], s[2:3], 0x0
	s_add_u32 s30, s30, 48
	s_addc_u32 s31, s31, 0
	s_waitcnt vmcnt(0) lgkmcnt(0)
	v_mul_hi_u32 v3, s17, v1
	s_add_i32 s38, s38, 4
	s_add_u32 s2, s2, 32
	s_addc_u32 s3, s3, 0
	v_add_u32_e32 v3, v1, v3
	v_lshrrev_b32_e32 v3, s18, v3
	v_mul_lo_u32 v5, v3, s16
	v_mul_hi_u32 v7, s20, v3
	s_cmp_lg_u32 s36, s38
	v_sub_u32_e32 v1, v1, v5
	v_add_u32_e32 v5, v3, v7
	v_mul_lo_u32 v7, v1, s8
	v_mul_lo_u32 v8, v1, s9
	v_lshrrev_b32_e32 v1, s21, v5
	v_mul_lo_u32 v5, v1, s19
	v_mul_hi_u32 v10, s23, v1
	v_sub_u32_e32 v3, v3, v5
	v_add_u32_e32 v5, v1, v10
	v_lshrrev_b32_e32 v5, s24, v5
	v_mul_hi_u32 v12, s26, v5
	v_mul_lo_u32 v14, v5, s22
	v_mul_lo_u32 v10, v3, s10
	;; [unrolled: 1-line block ×3, first 2 shown]
	v_sub_u32_e32 v14, v1, v14
	v_add_u32_e32 v1, v5, v12
	v_lshrrev_b32_e32 v1, s27, v1
	v_mul_lo_u32 v12, v1, s25
	v_mul_lo_u32 v16, v14, s12
	;; [unrolled: 1-line block ×3, first 2 shown]
	v_add3_u32 v2, v7, v2, v10
	v_sub_u32_e32 v5, v5, v12
	v_mul_lo_u32 v12, v5, s14
	v_mul_lo_u32 v5, v5, s15
	v_add3_u32 v3, v8, v9, v3
	v_add3_u32 v2, v16, v2, v12
	;; [unrolled: 1-line block ×3, first 2 shown]
	s_cbranch_scc1 .LBB111_1119
; %bb.1120:
	s_and_b32 s10, s37, 3
	s_cmp_eq_u32 s10, 0
	s_cbranch_scc0 .LBB111_1124
	s_branch .LBB111_1126
.LBB111_1121:
                                        ; implicit-def: $vgpr2
                                        ; implicit-def: $vgpr9
	s_branch .LBB111_1127
.LBB111_1122:
	v_mov_b32_e32 v2, 0
	v_mov_b32_e32 v9, 0
	s_branch .LBB111_1126
.LBB111_1123:
	v_mov_b32_e32 v2, 0
	v_mov_b32_e32 v9, 0
	;; [unrolled: 1-line block ×3, first 2 shown]
	s_and_b32 s10, s37, 3
	s_cmp_eq_u32 s10, 0
	s_cbranch_scc1 .LBB111_1126
.LBB111_1124:
	s_lshl_b32 s2, s36, 3
	s_add_u32 s2, s34, s2
	s_addc_u32 s3, s35, 0
	s_add_u32 s2, s2, 0xc4
	s_addc_u32 s3, s3, 0
	s_mul_i32 s8, s36, 12
	s_add_u32 s8, s34, s8
	s_addc_u32 s9, s35, 0
.LBB111_1125:                           ; =>This Inner Loop Header: Depth=1
	s_load_dwordx2 s[12:13], s[8:9], 0x4
	s_load_dword s11, s[8:9], 0xc
	s_load_dwordx2 s[14:15], s[2:3], 0x0
	s_add_u32 s8, s8, 12
	s_addc_u32 s9, s9, 0
	s_waitcnt vmcnt(0) lgkmcnt(0)
	v_mul_hi_u32 v3, s13, v1
	s_add_u32 s2, s2, 8
	s_addc_u32 s3, s3, 0
	s_add_i32 s10, s10, -1
	v_add_u32_e32 v3, v1, v3
	v_lshrrev_b32_e32 v5, s11, v3
	v_mul_lo_u32 v3, v5, s12
	s_cmp_lg_u32 s10, 0
	v_sub_u32_e32 v1, v1, v3
	v_mad_u64_u32 v[2:3], s[12:13], v1, s14, v[2:3]
	v_mad_u64_u32 v[9:10], s[12:13], v1, s15, v[9:10]
	v_mov_b32_e32 v1, v5
	s_cbranch_scc1 .LBB111_1125
.LBB111_1126:
	s_cbranch_execnz .LBB111_1129
.LBB111_1127:
	s_load_dwordx4 s[8:11], s[34:35], 0x4
	s_load_dwordx2 s[2:3], s[34:35], 0xc4
	s_cmp_lt_u32 s33, 2
	s_waitcnt lgkmcnt(0)
	v_mul_hi_u32 v1, s9, v0
	v_add_u32_e32 v1, v0, v1
	v_lshrrev_b32_e32 v1, s10, v1
	v_mul_lo_u32 v2, v1, s8
	v_sub_u32_e32 v0, v0, v2
	v_mul_lo_u32 v2, v0, s2
	v_mul_lo_u32 v9, v0, s3
	s_cbranch_scc1 .LBB111_1129
; %bb.1128:
	s_load_dwordx4 s[8:11], s[34:35], 0x10
	s_load_dwordx2 s[2:3], s[34:35], 0xcc
	s_waitcnt lgkmcnt(0)
	v_mul_hi_u32 v0, s9, v1
	v_add_u32_e32 v0, v1, v0
	v_lshrrev_b32_e32 v0, s10, v0
	v_mul_lo_u32 v0, v0, s8
	v_sub_u32_e32 v0, v1, v0
	s_waitcnt vmcnt(0)
	v_mad_u64_u32 v[2:3], s[8:9], v0, s2, v[2:3]
	v_mad_u64_u32 v[9:10], s[2:3], v0, s3, v[9:10]
.LBB111_1129:
	s_and_b64 vcc, exec, s[0:1]
	s_cbranch_vccnz .LBB111_1135
; %bb.1130:
	s_cmp_lg_u32 s33, 0
	s_mov_b32 s30, 0
	s_cbranch_scc0 .LBB111_1136
; %bb.1131:
	s_min_u32 s31, s76, 15
	s_add_i32 s31, s31, 1
	s_cmp_eq_u32 s76, 2
	s_cbranch_scc1 .LBB111_1137
; %bb.1132:
	s_and_b32 s30, s31, 28
	s_add_u32 s24, s34, 0xc4
	s_addc_u32 s25, s35, 0
	v_mov_b32_e32 v7, 0
	s_mov_b32 s36, 0
	s_mov_b64 s[26:27], s[34:35]
	v_mov_b32_e32 v0, 0
	v_mov_b32_e32 v1, v15
.LBB111_1133:                           ; =>This Inner Loop Header: Depth=1
	s_load_dwordx8 s[16:23], s[26:27], 0x4
	s_load_dwordx4 s[0:3], s[26:27], 0x24
	s_load_dwordx8 s[8:15], s[24:25], 0x0
	s_add_u32 s26, s26, 48
	s_addc_u32 s27, s27, 0
	s_waitcnt vmcnt(0) lgkmcnt(0)
	v_mul_hi_u32 v3, s17, v1
	s_add_i32 s36, s36, 4
	s_add_u32 s24, s24, 32
	s_addc_u32 s25, s25, 0
	v_add_u32_e32 v3, v1, v3
	v_lshrrev_b32_e32 v3, s18, v3
	v_mul_lo_u32 v5, v3, s16
	v_mul_hi_u32 v8, s20, v3
	s_cmp_lg_u32 s30, s36
	v_sub_u32_e32 v1, v1, v5
	v_add_u32_e32 v5, v3, v8
	v_mul_lo_u32 v8, v1, s8
	v_mul_lo_u32 v10, v1, s9
	v_lshrrev_b32_e32 v1, s21, v5
	v_mul_lo_u32 v5, v1, s19
	v_mul_hi_u32 v12, s23, v1
	v_sub_u32_e32 v3, v3, v5
	v_add_u32_e32 v5, v1, v12
	v_lshrrev_b32_e32 v5, s0, v5
	v_mul_hi_u32 v14, s2, v5
	v_mul_lo_u32 v16, v5, s22
	v_mul_lo_u32 v12, v3, s10
	;; [unrolled: 1-line block ×3, first 2 shown]
	v_sub_u32_e32 v16, v1, v16
	v_add_u32_e32 v1, v5, v14
	v_lshrrev_b32_e32 v1, s3, v1
	v_mul_lo_u32 v14, v1, s1
	v_mul_lo_u32 v17, v16, s12
	;; [unrolled: 1-line block ×3, first 2 shown]
	v_add3_u32 v0, v8, v0, v12
	v_sub_u32_e32 v5, v5, v14
	v_mul_lo_u32 v14, v5, s14
	v_mul_lo_u32 v5, v5, s15
	v_add3_u32 v3, v10, v7, v3
	v_add3_u32 v0, v17, v0, v14
	;; [unrolled: 1-line block ×3, first 2 shown]
	s_cbranch_scc1 .LBB111_1133
; %bb.1134:
	s_and_b32 s8, s31, 3
	s_cmp_eq_u32 s8, 0
	s_cbranch_scc0 .LBB111_1138
	s_branch .LBB111_1140
.LBB111_1135:
                                        ; implicit-def: $vgpr0
                                        ; implicit-def: $vgpr7
	s_branch .LBB111_1141
.LBB111_1136:
	v_mov_b32_e32 v0, 0
	v_mov_b32_e32 v7, 0
	s_branch .LBB111_1140
.LBB111_1137:
	v_mov_b32_e32 v0, 0
	v_mov_b32_e32 v7, 0
	;; [unrolled: 1-line block ×3, first 2 shown]
	s_and_b32 s8, s31, 3
	s_cmp_eq_u32 s8, 0
	s_cbranch_scc1 .LBB111_1140
.LBB111_1138:
	s_lshl_b32 s0, s30, 3
	s_add_u32 s0, s34, s0
	s_addc_u32 s1, s35, 0
	s_add_u32 s0, s0, 0xc4
	s_addc_u32 s1, s1, 0
	s_mul_i32 s2, s30, 12
	s_add_u32 s2, s34, s2
	s_addc_u32 s3, s35, 0
.LBB111_1139:                           ; =>This Inner Loop Header: Depth=1
	s_load_dwordx2 s[10:11], s[2:3], 0x4
	s_load_dword s9, s[2:3], 0xc
	s_load_dwordx2 s[12:13], s[0:1], 0x0
	s_add_u32 s2, s2, 12
	s_addc_u32 s3, s3, 0
	s_waitcnt vmcnt(0) lgkmcnt(0)
	v_mul_hi_u32 v3, s11, v1
	s_add_u32 s0, s0, 8
	s_addc_u32 s1, s1, 0
	s_add_i32 s8, s8, -1
	v_add_u32_e32 v3, v1, v3
	v_lshrrev_b32_e32 v3, s9, v3
	v_mul_lo_u32 v5, v3, s10
	s_cmp_lg_u32 s8, 0
	v_sub_u32_e32 v5, v1, v5
	v_mad_u64_u32 v[0:1], s[10:11], v5, s12, v[0:1]
	v_mad_u64_u32 v[7:8], s[10:11], v5, s13, v[7:8]
	v_mov_b32_e32 v1, v3
	s_cbranch_scc1 .LBB111_1139
.LBB111_1140:
	s_cbranch_execnz .LBB111_1143
.LBB111_1141:
	s_load_dwordx4 s[0:3], s[34:35], 0x4
	s_load_dwordx2 s[8:9], s[34:35], 0xc4
	s_cmp_lt_u32 s33, 2
	s_waitcnt lgkmcnt(0)
	v_mul_hi_u32 v0, s1, v15
	v_add_u32_e32 v0, v15, v0
	v_lshrrev_b32_e32 v1, s2, v0
	v_mul_lo_u32 v0, v1, s0
	s_waitcnt vmcnt(0)
	v_sub_u32_e32 v3, v15, v0
	v_mul_lo_u32 v0, v3, s8
	v_mul_lo_u32 v7, v3, s9
	s_cbranch_scc1 .LBB111_1143
; %bb.1142:
	s_load_dwordx4 s[0:3], s[34:35], 0x10
	s_load_dwordx2 s[8:9], s[34:35], 0xcc
	s_waitcnt lgkmcnt(0)
	v_mul_hi_u32 v3, s1, v1
	v_add_u32_e32 v3, v1, v3
	v_lshrrev_b32_e32 v3, s2, v3
	v_mul_lo_u32 v3, v3, s0
	v_sub_u32_e32 v3, v1, v3
	v_mad_u64_u32 v[0:1], s[0:1], v3, s8, v[0:1]
	v_mad_u64_u32 v[7:8], s[0:1], v3, s9, v[7:8]
.LBB111_1143:
	s_load_dwordx4 s[8:11], s[34:35], 0x148
	s_load_dword s16, s[4:5], 0x168
	s_waitcnt lgkmcnt(0)
	v_mov_b32_e32 v1, s11
	s_bfe_u32 s17, s16, 0x80008
	v_add_co_u32_e32 v12, vcc, s10, v13
	s_cmp_lt_i32 s17, 11
	v_addc_co_u32_e32 v13, vcc, 0, v1, vcc
	s_cbranch_scc1 .LBB111_1150
; %bb.1144:
	s_and_b32 s18, 0xffff, s17
	s_cmp_gt_i32 s18, 25
	s_mov_b64 s[2:3], 0
	s_cbranch_scc0 .LBB111_1152
; %bb.1145:
	s_cmp_gt_i32 s18, 28
	s_cbranch_scc0 .LBB111_1153
; %bb.1146:
	s_cmp_gt_i32 s18, 43
	;; [unrolled: 3-line block ×3, first 2 shown]
	s_cbranch_scc0 .LBB111_1155
; %bb.1148:
	s_cmp_eq_u32 s18, 46
	s_mov_b64 s[12:13], 0
	s_cbranch_scc0 .LBB111_1158
; %bb.1149:
	global_load_dword v1, v[12:13], off
	s_mov_b64 s[0:1], 0
	s_mov_b64 s[4:5], -1
	s_waitcnt vmcnt(0)
	v_lshlrev_b32_e32 v1, 16, v1
	s_branch .LBB111_1159
.LBB111_1150:
	s_mov_b64 s[4:5], 0
                                        ; implicit-def: $vgpr1
	s_mov_b64 s[12:13], s[6:7]
	s_cbranch_execnz .LBB111_1222
.LBB111_1151:
	s_andn2_b64 vcc, exec, s[4:5]
	s_cbranch_vccz .LBB111_1267
	s_branch .LBB111_2088
.LBB111_1152:
	s_mov_b64 s[4:5], 0
	s_mov_b64 s[0:1], 0
                                        ; implicit-def: $vgpr1
	s_cbranch_execnz .LBB111_1187
	s_branch .LBB111_1218
.LBB111_1153:
	s_mov_b64 s[12:13], -1
	s_mov_b64 s[4:5], 0
	s_mov_b64 s[0:1], 0
                                        ; implicit-def: $vgpr1
	s_branch .LBB111_1168
.LBB111_1154:
	s_mov_b64 s[4:5], 0
	s_mov_b64 s[0:1], 0
                                        ; implicit-def: $vgpr1
	s_cbranch_execnz .LBB111_1164
	s_branch .LBB111_1167
.LBB111_1155:
	s_mov_b64 s[12:13], -1
	s_mov_b64 s[4:5], 0
	s_mov_b64 s[0:1], 0
                                        ; implicit-def: $vgpr1
	s_branch .LBB111_1159
.LBB111_1156:
	s_andn2_saveexec_b64 s[14:15], s[14:15]
	s_cbranch_execz .LBB111_995
.LBB111_1157:
	v_add_f32_e32 v0, 0x46000000, v3
	v_and_b32_e32 v0, 0xff, v0
	v_cmp_ne_u32_e32 vcc, 0, v0
	s_andn2_b64 s[12:13], s[12:13], exec
	s_and_b64 s[16:17], vcc, exec
	s_or_b64 s[12:13], s[12:13], s[16:17]
	s_or_b64 exec, exec, s[14:15]
	v_mov_b32_e32 v4, 0
	s_and_saveexec_b64 s[14:15], s[12:13]
	s_cbranch_execnz .LBB111_996
	s_branch .LBB111_997
.LBB111_1158:
	s_mov_b64 s[0:1], -1
                                        ; implicit-def: $vgpr1
	s_mov_b64 s[4:5], 0
.LBB111_1159:
	s_and_b64 vcc, exec, s[12:13]
	s_cbranch_vccz .LBB111_1162
; %bb.1160:
	s_cmp_eq_u32 s18, 44
	s_cbranch_scc0 .LBB111_1163
; %bb.1161:
	global_load_ubyte v1, v[12:13], off
	s_movk_i32 s4, 0xff
	s_waitcnt vmcnt(1)
	v_mov_b32_e32 v3, 0x7f800001
	v_mov_b32_e32 v5, 0x400000
	s_mov_b64 s[0:1], 0
	s_waitcnt vmcnt(0)
	v_lshlrev_b32_e32 v8, 23, v1
	v_cmp_ne_u32_e32 vcc, s4, v1
	v_cndmask_b32_e32 v3, v3, v8, vcc
	v_cmp_ne_u32_e32 vcc, 0, v1
	v_cndmask_b32_e32 v1, v5, v3, vcc
	s_mov_b64 s[4:5], -1
.LBB111_1162:
	s_branch .LBB111_1167
.LBB111_1163:
	s_mov_b64 s[0:1], -1
                                        ; implicit-def: $vgpr1
	s_branch .LBB111_1167
.LBB111_1164:
	s_cmp_eq_u32 s18, 29
	s_cbranch_scc0 .LBB111_1166
; %bb.1165:
	global_load_dwordx2 v[14:15], v[12:13], off
	s_mov_b64 s[0:1], 0
	s_mov_b64 s[4:5], -1
	s_mov_b64 s[12:13], 0
	s_waitcnt vmcnt(0)
	v_ffbh_u32_e32 v1, v15
	v_min_u32_e32 v1, 32, v1
	v_lshlrev_b64 v[14:15], v1, v[14:15]
	v_sub_u32_e32 v1, 32, v1
	v_min_u32_e32 v3, 1, v14
	v_or_b32_e32 v3, v15, v3
	v_cvt_f32_u32_e32 v3, v3
	v_ldexp_f32 v1, v3, v1
	s_branch .LBB111_1168
.LBB111_1166:
	s_mov_b64 s[0:1], -1
                                        ; implicit-def: $vgpr1
.LBB111_1167:
	s_mov_b64 s[12:13], 0
.LBB111_1168:
	s_and_b64 vcc, exec, s[12:13]
	s_cbranch_vccz .LBB111_1186
; %bb.1169:
	s_cmp_lt_i32 s18, 27
	s_cbranch_scc1 .LBB111_1172
; %bb.1170:
	s_cmp_gt_i32 s18, 27
	s_cbranch_scc0 .LBB111_1173
; %bb.1171:
	global_load_dword v1, v[12:13], off
	s_mov_b64 s[4:5], 0
	s_waitcnt vmcnt(0)
	v_cvt_f32_u32_e32 v1, v1
	s_branch .LBB111_1174
.LBB111_1172:
	s_mov_b64 s[4:5], -1
                                        ; implicit-def: $vgpr1
	s_branch .LBB111_1177
.LBB111_1173:
	s_mov_b64 s[4:5], -1
                                        ; implicit-def: $vgpr1
.LBB111_1174:
	s_andn2_b64 vcc, exec, s[4:5]
	s_cbranch_vccnz .LBB111_1176
; %bb.1175:
	global_load_ushort v1, v[12:13], off
	s_waitcnt vmcnt(0)
	v_cvt_f32_u32_e32 v1, v1
.LBB111_1176:
	s_mov_b64 s[4:5], 0
.LBB111_1177:
	s_andn2_b64 vcc, exec, s[4:5]
	s_cbranch_vccnz .LBB111_1185
; %bb.1178:
	global_load_ubyte v3, v[12:13], off
	s_movk_i32 s4, 0x7f
	s_waitcnt vmcnt(0)
	v_cmp_lt_i16_e32 vcc, s4, v3
	s_mov_b64 s[4:5], 0
	s_and_saveexec_b64 s[12:13], vcc
	s_xor_b64 s[12:13], exec, s[12:13]
	s_cbranch_execz .LBB111_1198
; %bb.1179:
	s_movk_i32 s4, 0x80
	v_cmp_eq_u16_e32 vcc, s4, v3
	s_mov_b64 s[4:5], -1
	s_and_saveexec_b64 s[14:15], vcc
; %bb.1180:
	s_xor_b64 s[4:5], exec, -1
; %bb.1181:
	s_or_b64 exec, exec, s[14:15]
	s_and_b64 s[4:5], s[4:5], exec
	s_or_saveexec_b64 s[12:13], s[12:13]
	v_mov_b32_e32 v1, 0x7f800001
	s_xor_b64 exec, exec, s[12:13]
	s_cbranch_execnz .LBB111_1199
.LBB111_1182:
	s_or_b64 exec, exec, s[12:13]
	s_and_saveexec_b64 s[12:13], s[4:5]
	s_cbranch_execz .LBB111_1184
.LBB111_1183:
	v_lshlrev_b32_e32 v1, 24, v3
	v_and_b32_e32 v3, 0xffff, v3
	v_and_b32_e32 v5, 7, v3
	v_ffbh_u32_e32 v10, v5
	v_min_u32_e32 v10, 32, v10
	v_subrev_u32_e32 v14, 28, v10
	v_bfe_u32 v8, v3, 3, 4
	v_lshlrev_b32_e32 v3, v14, v3
	v_sub_u32_e32 v10, 29, v10
	v_and_b32_e32 v3, 7, v3
	v_cmp_eq_u32_e32 vcc, 0, v8
	v_cndmask_b32_e32 v8, v8, v10, vcc
	v_cndmask_b32_e32 v3, v5, v3, vcc
	v_mov_b32_e32 v5, 0x3b800000
	v_lshlrev_b32_e32 v3, 20, v3
	v_and_b32_e32 v1, 0x80000000, v1
	v_lshl_add_u32 v5, v8, 23, v5
	v_or3_b32 v1, v1, v5, v3
.LBB111_1184:
	s_or_b64 exec, exec, s[12:13]
.LBB111_1185:
	s_mov_b64 s[4:5], -1
.LBB111_1186:
	s_branch .LBB111_1218
.LBB111_1187:
	s_cmp_gt_i32 s18, 22
	s_cbranch_scc0 .LBB111_1197
; %bb.1188:
	s_cmp_lt_i32 s18, 24
	s_cbranch_scc1 .LBB111_1200
; %bb.1189:
	s_cmp_gt_i32 s18, 24
	s_cbranch_scc0 .LBB111_1201
; %bb.1190:
	global_load_ubyte v3, v[12:13], off
	s_movk_i32 s2, 0x7f
	s_waitcnt vmcnt(0)
	v_cmp_lt_i16_e32 vcc, s2, v3
	s_mov_b64 s[2:3], 0
	s_and_saveexec_b64 s[4:5], vcc
	s_xor_b64 s[4:5], exec, s[4:5]
	s_cbranch_execz .LBB111_1212
; %bb.1191:
	s_movk_i32 s2, 0x80
	v_cmp_eq_u16_e32 vcc, s2, v3
	s_mov_b64 s[2:3], -1
	s_and_saveexec_b64 s[12:13], vcc
; %bb.1192:
	s_xor_b64 s[2:3], exec, -1
; %bb.1193:
	s_or_b64 exec, exec, s[12:13]
	s_and_b64 s[2:3], s[2:3], exec
	s_or_saveexec_b64 s[4:5], s[4:5]
	v_mov_b32_e32 v1, 0x7f800001
	s_xor_b64 exec, exec, s[4:5]
	s_cbranch_execnz .LBB111_1213
.LBB111_1194:
	s_or_b64 exec, exec, s[4:5]
	s_and_saveexec_b64 s[4:5], s[2:3]
	s_cbranch_execz .LBB111_1196
.LBB111_1195:
	v_lshlrev_b32_e32 v1, 24, v3
	v_and_b32_e32 v3, 0xffff, v3
	v_and_b32_e32 v5, 3, v3
	v_ffbh_u32_e32 v10, v5
	v_min_u32_e32 v10, 32, v10
	v_subrev_u32_e32 v14, 29, v10
	v_bfe_u32 v8, v3, 2, 5
	v_lshlrev_b32_e32 v3, v14, v3
	v_sub_u32_e32 v10, 30, v10
	v_and_b32_e32 v3, 3, v3
	v_cmp_eq_u32_e32 vcc, 0, v8
	v_cndmask_b32_e32 v8, v8, v10, vcc
	v_cndmask_b32_e32 v3, v5, v3, vcc
	v_mov_b32_e32 v5, 0x37800000
	v_lshlrev_b32_e32 v3, 21, v3
	v_and_b32_e32 v1, 0x80000000, v1
	v_lshl_add_u32 v5, v8, 23, v5
	v_or3_b32 v1, v1, v5, v3
.LBB111_1196:
	s_or_b64 exec, exec, s[4:5]
	s_mov_b64 s[2:3], 0
	s_branch .LBB111_1202
.LBB111_1197:
                                        ; implicit-def: $vgpr1
	s_mov_b64 s[2:3], 0
	s_branch .LBB111_1208
.LBB111_1198:
	s_or_saveexec_b64 s[12:13], s[12:13]
	v_mov_b32_e32 v1, 0x7f800001
	s_xor_b64 exec, exec, s[12:13]
	s_cbranch_execz .LBB111_1182
.LBB111_1199:
	v_cmp_ne_u16_e32 vcc, 0, v3
	s_andn2_b64 s[4:5], s[4:5], exec
	s_and_b64 s[14:15], vcc, exec
	v_mov_b32_e32 v1, 0
	s_or_b64 s[4:5], s[4:5], s[14:15]
	s_or_b64 exec, exec, s[12:13]
	s_and_saveexec_b64 s[12:13], s[4:5]
	s_cbranch_execnz .LBB111_1183
	s_branch .LBB111_1184
.LBB111_1200:
	s_mov_b64 s[2:3], -1
                                        ; implicit-def: $vgpr1
	s_branch .LBB111_1205
.LBB111_1201:
	s_mov_b64 s[2:3], -1
                                        ; implicit-def: $vgpr1
.LBB111_1202:
	s_and_b64 vcc, exec, s[2:3]
	s_cbranch_vccz .LBB111_1204
; %bb.1203:
	global_load_ubyte v1, v[12:13], off
	s_mov_b32 s2, 0x7f800000
	s_waitcnt vmcnt(0)
	v_lshlrev_b32_e32 v1, 24, v1
	v_and_b32_e32 v3, 0x7f000000, v1
	v_ffbh_u32_e32 v5, v3
	v_min_u32_e32 v5, 32, v5
	v_sub_u32_e64 v5, v5, 4 clamp
	v_lshlrev_b32_e32 v10, v5, v3
	v_lshlrev_b32_e32 v5, 23, v5
	v_lshrrev_b32_e32 v10, 4, v10
	v_add_u32_e32 v8, 0x1000000, v3
	v_sub_u32_e32 v5, v10, v5
	v_ashrrev_i32_e32 v8, 8, v8
	v_add_u32_e32 v5, 0x3c000000, v5
	v_and_or_b32 v5, v8, s2, v5
	v_cmp_ne_u32_e32 vcc, 0, v3
	v_cndmask_b32_e32 v3, 0, v5, vcc
	s_brev_b32 s2, 1
	v_and_or_b32 v1, v1, s2, v3
.LBB111_1204:
	s_mov_b64 s[2:3], 0
.LBB111_1205:
	s_andn2_b64 vcc, exec, s[2:3]
	s_cbranch_vccnz .LBB111_1207
; %bb.1206:
	global_load_ubyte v1, v[12:13], off
	s_movk_i32 s2, 0x7f00
	s_brev_b32 s3, 16
	s_waitcnt vmcnt(0)
	v_lshlrev_b16_e32 v3, 8, v1
	v_lshlrev_b32_e32 v1, 25, v1
	v_lshrrev_b32_e32 v5, 4, v1
	v_and_or_b32 v8, v3, s2, 0.5
	v_or_b32_e32 v5, 0x70000000, v5
	v_add_f32_e32 v8, -0.5, v8
	v_mul_f32_e32 v5, 0x7800000, v5
	v_cmp_gt_u32_e32 vcc, s3, v1
	v_bfe_i32 v3, v3, 0, 16
	v_cndmask_b32_e32 v1, v5, v8, vcc
	s_brev_b32 s2, 1
	v_and_or_b32 v1, v3, s2, v1
.LBB111_1207:
	s_mov_b64 s[4:5], -1
	s_mov_b64 s[2:3], 0
	s_cbranch_execnz .LBB111_1218
.LBB111_1208:
	s_cmp_gt_i32 s18, 14
	s_cbranch_scc0 .LBB111_1211
; %bb.1209:
	s_cmp_eq_u32 s18, 15
	s_cbranch_scc0 .LBB111_1214
; %bb.1210:
	global_load_ushort v1, v[12:13], off
	s_mov_b64 s[0:1], 0
	s_mov_b64 s[4:5], -1
	s_waitcnt vmcnt(0)
	v_lshlrev_b32_e32 v1, 16, v1
	s_branch .LBB111_1215
.LBB111_1211:
	s_mov_b64 s[12:13], -1
                                        ; implicit-def: $vgpr1
	s_branch .LBB111_1216
.LBB111_1212:
	s_or_saveexec_b64 s[4:5], s[4:5]
	v_mov_b32_e32 v1, 0x7f800001
	s_xor_b64 exec, exec, s[4:5]
	s_cbranch_execz .LBB111_1194
.LBB111_1213:
	v_cmp_ne_u16_e32 vcc, 0, v3
	s_andn2_b64 s[2:3], s[2:3], exec
	s_and_b64 s[12:13], vcc, exec
	v_mov_b32_e32 v1, 0
	s_or_b64 s[2:3], s[2:3], s[12:13]
	s_or_b64 exec, exec, s[4:5]
	s_and_saveexec_b64 s[4:5], s[2:3]
	s_cbranch_execnz .LBB111_1195
	s_branch .LBB111_1196
.LBB111_1214:
	s_mov_b64 s[0:1], -1
                                        ; implicit-def: $vgpr1
.LBB111_1215:
	s_mov_b64 s[12:13], 0
.LBB111_1216:
	s_and_b64 vcc, exec, s[12:13]
	s_cbranch_vccz .LBB111_1218
; %bb.1217:
	s_cmp_lg_u32 s18, 11
	s_mov_b64 s[2:3], -1
	s_cselect_b64 s[0:1], -1, 0
.LBB111_1218:
	s_and_b64 vcc, exec, s[0:1]
	s_mov_b64 s[12:13], s[6:7]
	s_cbranch_vccnz .LBB111_1279
; %bb.1219:
	s_andn2_b64 vcc, exec, s[2:3]
	s_cbranch_vccnz .LBB111_1221
.LBB111_1220:
	global_load_ubyte v1, v[12:13], off
	s_mov_b64 s[4:5], -1
	s_waitcnt vmcnt(0)
	v_cmp_ne_u16_e32 vcc, 0, v1
	v_cndmask_b32_e64 v1, 0, 1.0, vcc
.LBB111_1221:
	s_branch .LBB111_1151
.LBB111_1222:
	s_and_b32 s2, 0xffff, s17
	s_cmp_lt_i32 s2, 5
	s_cbranch_scc1 .LBB111_1227
; %bb.1223:
	s_cmp_lt_i32 s2, 8
	s_cbranch_scc1 .LBB111_1228
; %bb.1224:
	;; [unrolled: 3-line block ×3, first 2 shown]
	s_cmp_gt_i32 s2, 9
	s_cbranch_scc0 .LBB111_1230
; %bb.1226:
	global_load_dwordx2 v[14:15], v[12:13], off
	s_mov_b64 s[0:1], 0
	s_waitcnt vmcnt(0)
	v_cvt_f32_f64_e32 v1, v[14:15]
	s_branch .LBB111_1231
.LBB111_1227:
                                        ; implicit-def: $vgpr1
	s_branch .LBB111_1248
.LBB111_1228:
                                        ; implicit-def: $vgpr1
	s_branch .LBB111_1237
.LBB111_1229:
	s_mov_b64 s[0:1], -1
                                        ; implicit-def: $vgpr1
	s_branch .LBB111_1234
.LBB111_1230:
	s_mov_b64 s[0:1], -1
                                        ; implicit-def: $vgpr1
.LBB111_1231:
	s_andn2_b64 vcc, exec, s[0:1]
	s_cbranch_vccnz .LBB111_1233
; %bb.1232:
	global_load_dword v1, v[12:13], off
.LBB111_1233:
	s_mov_b64 s[0:1], 0
.LBB111_1234:
	s_andn2_b64 vcc, exec, s[0:1]
	s_cbranch_vccnz .LBB111_1236
; %bb.1235:
	global_load_dword v1, v[12:13], off
	s_waitcnt vmcnt(0)
	v_cvt_f32_f16_e32 v1, v1
.LBB111_1236:
	s_cbranch_execnz .LBB111_1247
.LBB111_1237:
	s_cmp_lt_i32 s2, 6
	s_cbranch_scc1 .LBB111_1240
; %bb.1238:
	s_cmp_gt_i32 s2, 6
	s_cbranch_scc0 .LBB111_1241
; %bb.1239:
	global_load_dwordx2 v[14:15], v[12:13], off
	s_mov_b64 s[0:1], 0
	s_waitcnt vmcnt(0)
	v_cvt_f32_f64_e32 v1, v[14:15]
	s_branch .LBB111_1242
.LBB111_1240:
	s_mov_b64 s[0:1], -1
                                        ; implicit-def: $vgpr1
	s_branch .LBB111_1245
.LBB111_1241:
	s_mov_b64 s[0:1], -1
                                        ; implicit-def: $vgpr1
.LBB111_1242:
	s_andn2_b64 vcc, exec, s[0:1]
	s_cbranch_vccnz .LBB111_1244
; %bb.1243:
	global_load_dword v1, v[12:13], off
.LBB111_1244:
	s_mov_b64 s[0:1], 0
.LBB111_1245:
	s_andn2_b64 vcc, exec, s[0:1]
	s_cbranch_vccnz .LBB111_1247
; %bb.1246:
	global_load_ushort v1, v[12:13], off
	s_waitcnt vmcnt(0)
	v_cvt_f32_f16_e32 v1, v1
.LBB111_1247:
	s_cbranch_execnz .LBB111_1266
.LBB111_1248:
	s_cmp_lt_i32 s2, 2
	s_cbranch_scc1 .LBB111_1252
; %bb.1249:
	s_cmp_lt_i32 s2, 3
	s_cbranch_scc1 .LBB111_1253
; %bb.1250:
	s_cmp_gt_i32 s2, 3
	s_cbranch_scc0 .LBB111_1254
; %bb.1251:
	global_load_dwordx2 v[14:15], v[12:13], off
	s_mov_b64 s[0:1], 0
	s_waitcnt vmcnt(0)
	v_xor_b32_e32 v3, v14, v15
	v_ffbh_i32_e32 v1, v15
	v_ashrrev_i32_e32 v3, 31, v3
	v_add_u32_e32 v1, -1, v1
	v_add_u32_e32 v3, 32, v3
	v_min_u32_e32 v1, v1, v3
	v_lshlrev_b64 v[14:15], v1, v[14:15]
	v_sub_u32_e32 v1, 32, v1
	v_min_u32_e32 v3, 1, v14
	v_or_b32_e32 v3, v15, v3
	v_cvt_f32_i32_e32 v3, v3
	v_ldexp_f32 v1, v3, v1
	s_branch .LBB111_1255
.LBB111_1252:
                                        ; implicit-def: $vgpr1
	s_branch .LBB111_1261
.LBB111_1253:
	s_mov_b64 s[0:1], -1
                                        ; implicit-def: $vgpr1
	s_branch .LBB111_1258
.LBB111_1254:
	s_mov_b64 s[0:1], -1
                                        ; implicit-def: $vgpr1
.LBB111_1255:
	s_andn2_b64 vcc, exec, s[0:1]
	s_cbranch_vccnz .LBB111_1257
; %bb.1256:
	global_load_dword v1, v[12:13], off
	s_waitcnt vmcnt(0)
	v_cvt_f32_i32_e32 v1, v1
.LBB111_1257:
	s_mov_b64 s[0:1], 0
.LBB111_1258:
	s_andn2_b64 vcc, exec, s[0:1]
	s_cbranch_vccnz .LBB111_1260
; %bb.1259:
	global_load_sshort v1, v[12:13], off
	s_waitcnt vmcnt(0)
	v_cvt_f32_i32_e32 v1, v1
.LBB111_1260:
	s_cbranch_execnz .LBB111_1266
.LBB111_1261:
	s_cmp_gt_i32 s2, 0
	s_cbranch_scc0 .LBB111_1263
; %bb.1262:
	global_load_sbyte v1, v[12:13], off
	s_mov_b64 s[0:1], 0
	s_waitcnt vmcnt(0)
	v_cvt_f32_i32_e32 v1, v1
	s_branch .LBB111_1264
.LBB111_1263:
	s_mov_b64 s[0:1], -1
                                        ; implicit-def: $vgpr1
.LBB111_1264:
	s_andn2_b64 vcc, exec, s[0:1]
	s_cbranch_vccnz .LBB111_1266
; %bb.1265:
	global_load_ubyte v1, v[12:13], off
	s_waitcnt vmcnt(0)
	v_cvt_f32_ubyte0_e32 v1, v1
.LBB111_1266:
.LBB111_1267:
	s_lshr_b32 s0, s16, 8
	s_waitcnt vmcnt(0)
	v_mov_b32_e32 v3, s11
	s_and_b32 s18, s0, 0xff
	v_add_co_u32_e32 v10, vcc, s10, v11
	s_cmp_lt_i32 s18, 11
	v_addc_co_u32_e32 v11, vcc, 0, v3, vcc
	s_cbranch_scc1 .LBB111_1274
; %bb.1268:
	s_and_b32 s19, 0xffff, s18
	s_cmp_gt_i32 s19, 25
	s_mov_b64 s[2:3], 0
	s_cbranch_scc0 .LBB111_1276
; %bb.1269:
	s_cmp_gt_i32 s19, 28
	s_cbranch_scc0 .LBB111_1277
; %bb.1270:
	s_cmp_gt_i32 s19, 43
	s_cbranch_scc0 .LBB111_1278
; %bb.1271:
	s_cmp_gt_i32 s19, 45
	s_cbranch_scc0 .LBB111_1280
; %bb.1272:
	s_cmp_eq_u32 s19, 46
	s_mov_b64 s[14:15], 0
	s_cbranch_scc0 .LBB111_1283
; %bb.1273:
	global_load_dword v3, v[10:11], off
	s_mov_b64 s[0:1], 0
	s_mov_b64 s[4:5], -1
	s_waitcnt vmcnt(0)
	v_lshlrev_b32_e32 v3, 16, v3
	s_branch .LBB111_1284
.LBB111_1274:
	s_mov_b64 s[4:5], 0
                                        ; implicit-def: $vgpr3
	s_cbranch_execnz .LBB111_1349
.LBB111_1275:
	s_andn2_b64 vcc, exec, s[4:5]
	s_cbranch_vccnz .LBB111_2088
	s_branch .LBB111_1396
.LBB111_1276:
	s_mov_b64 s[4:5], 0
	s_mov_b64 s[0:1], 0
                                        ; implicit-def: $vgpr3
	s_cbranch_execnz .LBB111_1313
	s_branch .LBB111_1345
.LBB111_1277:
	s_mov_b64 s[14:15], -1
	s_mov_b64 s[4:5], 0
	s_mov_b64 s[0:1], 0
                                        ; implicit-def: $vgpr3
	s_branch .LBB111_1294
.LBB111_1278:
	s_mov_b64 s[14:15], -1
	s_mov_b64 s[4:5], 0
	s_mov_b64 s[0:1], 0
                                        ; implicit-def: $vgpr3
	s_branch .LBB111_1289
.LBB111_1279:
	s_or_b64 s[12:13], s[6:7], exec
	s_trap 2
	s_cbranch_execz .LBB111_1220
	s_branch .LBB111_1221
.LBB111_1280:
	s_mov_b64 s[14:15], -1
	s_mov_b64 s[4:5], 0
	s_mov_b64 s[0:1], 0
                                        ; implicit-def: $vgpr3
	s_branch .LBB111_1284
.LBB111_1281:
	s_andn2_saveexec_b64 s[16:17], s[16:17]
	s_cbranch_execz .LBB111_1007
.LBB111_1282:
	v_add_f32_e32 v0, 0x42800000, v3
	v_and_b32_e32 v0, 0xff, v0
	v_cmp_ne_u32_e32 vcc, 0, v0
	s_andn2_b64 s[14:15], s[14:15], exec
	s_and_b64 s[20:21], vcc, exec
	s_or_b64 s[14:15], s[14:15], s[20:21]
	s_or_b64 exec, exec, s[16:17]
	v_mov_b32_e32 v4, 0
	s_and_saveexec_b64 s[16:17], s[14:15]
	s_cbranch_execnz .LBB111_1008
	s_branch .LBB111_1009
.LBB111_1283:
	s_mov_b64 s[0:1], -1
                                        ; implicit-def: $vgpr3
	s_mov_b64 s[4:5], 0
.LBB111_1284:
	s_and_b64 vcc, exec, s[14:15]
	s_cbranch_vccz .LBB111_1288
; %bb.1285:
	s_cmp_eq_u32 s19, 44
	s_cbranch_scc0 .LBB111_1287
; %bb.1286:
	global_load_ubyte v3, v[10:11], off
	s_movk_i32 s4, 0xff
	v_mov_b32_e32 v5, 0x7f800001
	v_mov_b32_e32 v8, 0x400000
	s_mov_b64 s[0:1], 0
	s_waitcnt vmcnt(0)
	v_lshlrev_b32_e32 v12, 23, v3
	v_cmp_ne_u32_e32 vcc, s4, v3
	v_cndmask_b32_e32 v5, v5, v12, vcc
	v_cmp_ne_u32_e32 vcc, 0, v3
	v_cndmask_b32_e32 v3, v8, v5, vcc
	s_mov_b64 s[4:5], -1
	s_branch .LBB111_1288
.LBB111_1287:
	s_mov_b64 s[0:1], -1
                                        ; implicit-def: $vgpr3
.LBB111_1288:
	s_mov_b64 s[14:15], 0
.LBB111_1289:
	s_and_b64 vcc, exec, s[14:15]
	s_cbranch_vccz .LBB111_1293
; %bb.1290:
	s_cmp_eq_u32 s19, 29
	s_cbranch_scc0 .LBB111_1292
; %bb.1291:
	global_load_dwordx2 v[12:13], v[10:11], off
	s_mov_b64 s[0:1], 0
	s_mov_b64 s[4:5], -1
	s_mov_b64 s[14:15], 0
	s_waitcnt vmcnt(0)
	v_ffbh_u32_e32 v3, v13
	v_min_u32_e32 v3, 32, v3
	v_lshlrev_b64 v[12:13], v3, v[12:13]
	v_sub_u32_e32 v3, 32, v3
	v_min_u32_e32 v5, 1, v12
	v_or_b32_e32 v5, v13, v5
	v_cvt_f32_u32_e32 v5, v5
	v_ldexp_f32 v3, v5, v3
	s_branch .LBB111_1294
.LBB111_1292:
	s_mov_b64 s[0:1], -1
                                        ; implicit-def: $vgpr3
.LBB111_1293:
	s_mov_b64 s[14:15], 0
.LBB111_1294:
	s_and_b64 vcc, exec, s[14:15]
	s_cbranch_vccz .LBB111_1312
; %bb.1295:
	s_cmp_lt_i32 s19, 27
	s_cbranch_scc1 .LBB111_1298
; %bb.1296:
	s_cmp_gt_i32 s19, 27
	s_cbranch_scc0 .LBB111_1299
; %bb.1297:
	global_load_dword v3, v[10:11], off
	s_mov_b64 s[4:5], 0
	s_waitcnt vmcnt(0)
	v_cvt_f32_u32_e32 v3, v3
	s_branch .LBB111_1300
.LBB111_1298:
	s_mov_b64 s[4:5], -1
                                        ; implicit-def: $vgpr3
	s_branch .LBB111_1303
.LBB111_1299:
	s_mov_b64 s[4:5], -1
                                        ; implicit-def: $vgpr3
.LBB111_1300:
	s_andn2_b64 vcc, exec, s[4:5]
	s_cbranch_vccnz .LBB111_1302
; %bb.1301:
	global_load_ushort v3, v[10:11], off
	s_waitcnt vmcnt(0)
	v_cvt_f32_u32_e32 v3, v3
.LBB111_1302:
	s_mov_b64 s[4:5], 0
.LBB111_1303:
	s_andn2_b64 vcc, exec, s[4:5]
	s_cbranch_vccnz .LBB111_1311
; %bb.1304:
	global_load_ubyte v5, v[10:11], off
	s_movk_i32 s4, 0x7f
	s_waitcnt vmcnt(0)
	v_cmp_lt_i16_e32 vcc, s4, v5
	s_mov_b64 s[4:5], 0
	s_and_saveexec_b64 s[14:15], vcc
	s_xor_b64 s[14:15], exec, s[14:15]
	s_cbranch_execz .LBB111_1324
; %bb.1305:
	s_movk_i32 s4, 0x80
	v_cmp_eq_u16_e32 vcc, s4, v5
	s_mov_b64 s[4:5], -1
	s_and_saveexec_b64 s[16:17], vcc
; %bb.1306:
	s_xor_b64 s[4:5], exec, -1
; %bb.1307:
	s_or_b64 exec, exec, s[16:17]
	s_and_b64 s[4:5], s[4:5], exec
	s_or_saveexec_b64 s[14:15], s[14:15]
	v_mov_b32_e32 v3, 0x7f800001
	s_xor_b64 exec, exec, s[14:15]
	s_cbranch_execnz .LBB111_1325
.LBB111_1308:
	s_or_b64 exec, exec, s[14:15]
	s_and_saveexec_b64 s[14:15], s[4:5]
	s_cbranch_execz .LBB111_1310
.LBB111_1309:
	v_lshlrev_b32_e32 v3, 24, v5
	v_and_b32_e32 v5, 0xffff, v5
	v_and_b32_e32 v8, 7, v5
	v_ffbh_u32_e32 v13, v8
	v_min_u32_e32 v13, 32, v13
	v_subrev_u32_e32 v14, 28, v13
	v_bfe_u32 v12, v5, 3, 4
	v_lshlrev_b32_e32 v5, v14, v5
	v_sub_u32_e32 v13, 29, v13
	v_and_b32_e32 v5, 7, v5
	v_cmp_eq_u32_e32 vcc, 0, v12
	v_cndmask_b32_e32 v12, v12, v13, vcc
	v_cndmask_b32_e32 v5, v8, v5, vcc
	v_mov_b32_e32 v8, 0x3b800000
	v_lshlrev_b32_e32 v5, 20, v5
	v_and_b32_e32 v3, 0x80000000, v3
	v_lshl_add_u32 v8, v12, 23, v8
	v_or3_b32 v3, v3, v8, v5
.LBB111_1310:
	s_or_b64 exec, exec, s[14:15]
.LBB111_1311:
	s_mov_b64 s[4:5], -1
.LBB111_1312:
	s_branch .LBB111_1345
.LBB111_1313:
	s_cmp_gt_i32 s19, 22
	s_cbranch_scc0 .LBB111_1323
; %bb.1314:
	s_cmp_lt_i32 s19, 24
	s_cbranch_scc1 .LBB111_1326
; %bb.1315:
	s_cmp_gt_i32 s19, 24
	s_cbranch_scc0 .LBB111_1327
; %bb.1316:
	global_load_ubyte v5, v[10:11], off
	s_movk_i32 s2, 0x7f
	s_waitcnt vmcnt(0)
	v_cmp_lt_i16_e32 vcc, s2, v5
	s_mov_b64 s[2:3], 0
	s_and_saveexec_b64 s[4:5], vcc
	s_xor_b64 s[4:5], exec, s[4:5]
	s_cbranch_execz .LBB111_1339
; %bb.1317:
	s_movk_i32 s2, 0x80
	v_cmp_eq_u16_e32 vcc, s2, v5
	s_mov_b64 s[2:3], -1
	s_and_saveexec_b64 s[14:15], vcc
; %bb.1318:
	s_xor_b64 s[2:3], exec, -1
; %bb.1319:
	s_or_b64 exec, exec, s[14:15]
	s_and_b64 s[2:3], s[2:3], exec
	s_or_saveexec_b64 s[4:5], s[4:5]
	v_mov_b32_e32 v3, 0x7f800001
	s_xor_b64 exec, exec, s[4:5]
	s_cbranch_execnz .LBB111_1340
.LBB111_1320:
	s_or_b64 exec, exec, s[4:5]
	s_and_saveexec_b64 s[4:5], s[2:3]
	s_cbranch_execz .LBB111_1322
.LBB111_1321:
	v_lshlrev_b32_e32 v3, 24, v5
	v_and_b32_e32 v5, 0xffff, v5
	v_and_b32_e32 v8, 3, v5
	v_ffbh_u32_e32 v13, v8
	v_min_u32_e32 v13, 32, v13
	v_subrev_u32_e32 v14, 29, v13
	v_bfe_u32 v12, v5, 2, 5
	v_lshlrev_b32_e32 v5, v14, v5
	v_sub_u32_e32 v13, 30, v13
	v_and_b32_e32 v5, 3, v5
	v_cmp_eq_u32_e32 vcc, 0, v12
	v_cndmask_b32_e32 v12, v12, v13, vcc
	v_cndmask_b32_e32 v5, v8, v5, vcc
	v_mov_b32_e32 v8, 0x37800000
	v_lshlrev_b32_e32 v5, 21, v5
	v_and_b32_e32 v3, 0x80000000, v3
	v_lshl_add_u32 v8, v12, 23, v8
	v_or3_b32 v3, v3, v8, v5
.LBB111_1322:
	s_or_b64 exec, exec, s[4:5]
	s_mov_b64 s[2:3], 0
	s_branch .LBB111_1328
.LBB111_1323:
	s_mov_b64 s[2:3], -1
                                        ; implicit-def: $vgpr3
	s_branch .LBB111_1334
.LBB111_1324:
	s_or_saveexec_b64 s[14:15], s[14:15]
	v_mov_b32_e32 v3, 0x7f800001
	s_xor_b64 exec, exec, s[14:15]
	s_cbranch_execz .LBB111_1308
.LBB111_1325:
	v_cmp_ne_u16_e32 vcc, 0, v5
	s_andn2_b64 s[4:5], s[4:5], exec
	s_and_b64 s[16:17], vcc, exec
	v_mov_b32_e32 v3, 0
	s_or_b64 s[4:5], s[4:5], s[16:17]
	s_or_b64 exec, exec, s[14:15]
	s_and_saveexec_b64 s[14:15], s[4:5]
	s_cbranch_execnz .LBB111_1309
	s_branch .LBB111_1310
.LBB111_1326:
	s_mov_b64 s[2:3], -1
                                        ; implicit-def: $vgpr3
	s_branch .LBB111_1331
.LBB111_1327:
	s_mov_b64 s[2:3], -1
                                        ; implicit-def: $vgpr3
.LBB111_1328:
	s_and_b64 vcc, exec, s[2:3]
	s_cbranch_vccz .LBB111_1330
; %bb.1329:
	global_load_ubyte v3, v[10:11], off
	s_mov_b32 s2, 0x7f800000
	s_waitcnt vmcnt(0)
	v_lshlrev_b32_e32 v3, 24, v3
	v_and_b32_e32 v5, 0x7f000000, v3
	v_ffbh_u32_e32 v8, v5
	v_min_u32_e32 v8, 32, v8
	v_sub_u32_e64 v8, v8, 4 clamp
	v_lshlrev_b32_e32 v13, v8, v5
	v_lshlrev_b32_e32 v8, 23, v8
	v_lshrrev_b32_e32 v13, 4, v13
	v_add_u32_e32 v12, 0x1000000, v5
	v_sub_u32_e32 v8, v13, v8
	v_ashrrev_i32_e32 v12, 8, v12
	v_add_u32_e32 v8, 0x3c000000, v8
	v_and_or_b32 v8, v12, s2, v8
	v_cmp_ne_u32_e32 vcc, 0, v5
	v_cndmask_b32_e32 v5, 0, v8, vcc
	s_brev_b32 s2, 1
	v_and_or_b32 v3, v3, s2, v5
.LBB111_1330:
	s_mov_b64 s[2:3], 0
.LBB111_1331:
	s_andn2_b64 vcc, exec, s[2:3]
	s_cbranch_vccnz .LBB111_1333
; %bb.1332:
	global_load_ubyte v3, v[10:11], off
	s_movk_i32 s2, 0x7f00
	s_brev_b32 s3, 16
	s_waitcnt vmcnt(0)
	v_lshlrev_b16_e32 v5, 8, v3
	v_lshlrev_b32_e32 v3, 25, v3
	v_lshrrev_b32_e32 v8, 4, v3
	v_and_or_b32 v12, v5, s2, 0.5
	v_or_b32_e32 v8, 0x70000000, v8
	v_add_f32_e32 v12, -0.5, v12
	v_mul_f32_e32 v8, 0x7800000, v8
	v_cmp_gt_u32_e32 vcc, s3, v3
	v_bfe_i32 v5, v5, 0, 16
	v_cndmask_b32_e32 v3, v8, v12, vcc
	s_brev_b32 s2, 1
	v_and_or_b32 v3, v5, s2, v3
.LBB111_1333:
	s_mov_b64 s[2:3], 0
	s_mov_b64 s[4:5], -1
.LBB111_1334:
	s_andn2_b64 vcc, exec, s[2:3]
	s_mov_b64 s[2:3], 0
	s_cbranch_vccnz .LBB111_1345
; %bb.1335:
	s_cmp_gt_i32 s19, 14
	s_cbranch_scc0 .LBB111_1338
; %bb.1336:
	s_cmp_eq_u32 s19, 15
	s_cbranch_scc0 .LBB111_1341
; %bb.1337:
	global_load_ushort v3, v[10:11], off
	s_mov_b64 s[0:1], 0
	s_mov_b64 s[4:5], -1
	s_waitcnt vmcnt(0)
	v_lshlrev_b32_e32 v3, 16, v3
	s_branch .LBB111_1342
.LBB111_1338:
	s_mov_b64 s[14:15], -1
                                        ; implicit-def: $vgpr3
	s_branch .LBB111_1343
.LBB111_1339:
	s_or_saveexec_b64 s[4:5], s[4:5]
	v_mov_b32_e32 v3, 0x7f800001
	s_xor_b64 exec, exec, s[4:5]
	s_cbranch_execz .LBB111_1320
.LBB111_1340:
	v_cmp_ne_u16_e32 vcc, 0, v5
	s_andn2_b64 s[2:3], s[2:3], exec
	s_and_b64 s[14:15], vcc, exec
	v_mov_b32_e32 v3, 0
	s_or_b64 s[2:3], s[2:3], s[14:15]
	s_or_b64 exec, exec, s[4:5]
	s_and_saveexec_b64 s[4:5], s[2:3]
	s_cbranch_execnz .LBB111_1321
	s_branch .LBB111_1322
.LBB111_1341:
	s_mov_b64 s[0:1], -1
                                        ; implicit-def: $vgpr3
.LBB111_1342:
	s_mov_b64 s[14:15], 0
.LBB111_1343:
	s_and_b64 vcc, exec, s[14:15]
	s_cbranch_vccz .LBB111_1345
; %bb.1344:
	s_cmp_lg_u32 s19, 11
	s_mov_b64 s[2:3], -1
	s_cselect_b64 s[0:1], -1, 0
.LBB111_1345:
	s_and_b64 vcc, exec, s[0:1]
	s_cbranch_vccnz .LBB111_1408
; %bb.1346:
	s_andn2_b64 vcc, exec, s[2:3]
	s_cbranch_vccnz .LBB111_1348
.LBB111_1347:
	global_load_ubyte v3, v[10:11], off
	s_mov_b64 s[4:5], -1
	s_waitcnt vmcnt(0)
	v_cmp_ne_u16_e32 vcc, 0, v3
	v_cndmask_b32_e64 v3, 0, 1.0, vcc
.LBB111_1348:
	s_branch .LBB111_1275
.LBB111_1349:
	s_and_b32 s2, 0xffff, s18
	s_cmp_lt_i32 s2, 5
	s_cbranch_scc1 .LBB111_1354
; %bb.1350:
	s_cmp_lt_i32 s2, 8
	s_cbranch_scc1 .LBB111_1355
; %bb.1351:
	;; [unrolled: 3-line block ×3, first 2 shown]
	s_cmp_gt_i32 s2, 9
	s_cbranch_scc0 .LBB111_1357
; %bb.1353:
	global_load_dwordx2 v[12:13], v[10:11], off
	s_mov_b64 s[0:1], 0
	s_waitcnt vmcnt(0)
	v_cvt_f32_f64_e32 v3, v[12:13]
	s_branch .LBB111_1358
.LBB111_1354:
                                        ; implicit-def: $vgpr3
	s_branch .LBB111_1376
.LBB111_1355:
	s_mov_b64 s[0:1], -1
                                        ; implicit-def: $vgpr3
	s_branch .LBB111_1364
.LBB111_1356:
	s_mov_b64 s[0:1], -1
                                        ; implicit-def: $vgpr3
	s_branch .LBB111_1361
.LBB111_1357:
	s_mov_b64 s[0:1], -1
                                        ; implicit-def: $vgpr3
.LBB111_1358:
	s_andn2_b64 vcc, exec, s[0:1]
	s_cbranch_vccnz .LBB111_1360
; %bb.1359:
	global_load_dword v3, v[10:11], off
.LBB111_1360:
	s_mov_b64 s[0:1], 0
.LBB111_1361:
	s_andn2_b64 vcc, exec, s[0:1]
	s_cbranch_vccnz .LBB111_1363
; %bb.1362:
	global_load_dword v3, v[10:11], off
	s_waitcnt vmcnt(0)
	v_cvt_f32_f16_e32 v3, v3
.LBB111_1363:
	s_mov_b64 s[0:1], 0
.LBB111_1364:
	s_andn2_b64 vcc, exec, s[0:1]
	s_cbranch_vccnz .LBB111_1375
; %bb.1365:
	s_cmp_lt_i32 s2, 6
	s_cbranch_scc1 .LBB111_1368
; %bb.1366:
	s_cmp_gt_i32 s2, 6
	s_cbranch_scc0 .LBB111_1369
; %bb.1367:
	global_load_dwordx2 v[12:13], v[10:11], off
	s_mov_b64 s[0:1], 0
	s_waitcnt vmcnt(0)
	v_cvt_f32_f64_e32 v3, v[12:13]
	s_branch .LBB111_1370
.LBB111_1368:
	s_mov_b64 s[0:1], -1
                                        ; implicit-def: $vgpr3
	s_branch .LBB111_1373
.LBB111_1369:
	s_mov_b64 s[0:1], -1
                                        ; implicit-def: $vgpr3
.LBB111_1370:
	s_andn2_b64 vcc, exec, s[0:1]
	s_cbranch_vccnz .LBB111_1372
; %bb.1371:
	global_load_dword v3, v[10:11], off
.LBB111_1372:
	s_mov_b64 s[0:1], 0
.LBB111_1373:
	s_andn2_b64 vcc, exec, s[0:1]
	s_cbranch_vccnz .LBB111_1375
; %bb.1374:
	global_load_ushort v3, v[10:11], off
	s_waitcnt vmcnt(0)
	v_cvt_f32_f16_e32 v3, v3
.LBB111_1375:
	s_cbranch_execnz .LBB111_1395
.LBB111_1376:
	s_cmp_lt_i32 s2, 2
	s_cbranch_scc1 .LBB111_1380
; %bb.1377:
	s_cmp_lt_i32 s2, 3
	s_cbranch_scc1 .LBB111_1381
; %bb.1378:
	s_cmp_gt_i32 s2, 3
	s_cbranch_scc0 .LBB111_1382
; %bb.1379:
	global_load_dwordx2 v[12:13], v[10:11], off
	s_mov_b64 s[0:1], 0
	s_waitcnt vmcnt(0)
	v_xor_b32_e32 v5, v12, v13
	v_ffbh_i32_e32 v3, v13
	v_ashrrev_i32_e32 v5, 31, v5
	v_add_u32_e32 v3, -1, v3
	v_add_u32_e32 v5, 32, v5
	v_min_u32_e32 v3, v3, v5
	v_lshlrev_b64 v[12:13], v3, v[12:13]
	v_sub_u32_e32 v3, 32, v3
	v_min_u32_e32 v5, 1, v12
	v_or_b32_e32 v5, v13, v5
	v_cvt_f32_i32_e32 v5, v5
	v_ldexp_f32 v3, v5, v3
	s_branch .LBB111_1383
.LBB111_1380:
	s_mov_b64 s[0:1], -1
                                        ; implicit-def: $vgpr3
	s_branch .LBB111_1389
.LBB111_1381:
	s_mov_b64 s[0:1], -1
                                        ; implicit-def: $vgpr3
	s_branch .LBB111_1386
.LBB111_1382:
	s_mov_b64 s[0:1], -1
                                        ; implicit-def: $vgpr3
.LBB111_1383:
	s_andn2_b64 vcc, exec, s[0:1]
	s_cbranch_vccnz .LBB111_1385
; %bb.1384:
	global_load_dword v3, v[10:11], off
	s_waitcnt vmcnt(0)
	v_cvt_f32_i32_e32 v3, v3
.LBB111_1385:
	s_mov_b64 s[0:1], 0
.LBB111_1386:
	s_andn2_b64 vcc, exec, s[0:1]
	s_cbranch_vccnz .LBB111_1388
; %bb.1387:
	global_load_sshort v3, v[10:11], off
	s_waitcnt vmcnt(0)
	v_cvt_f32_i32_e32 v3, v3
.LBB111_1388:
	s_mov_b64 s[0:1], 0
.LBB111_1389:
	s_andn2_b64 vcc, exec, s[0:1]
	s_cbranch_vccnz .LBB111_1395
; %bb.1390:
	s_cmp_gt_i32 s2, 0
	s_cbranch_scc0 .LBB111_1392
; %bb.1391:
	global_load_sbyte v3, v[10:11], off
	s_mov_b64 s[0:1], 0
	s_waitcnt vmcnt(0)
	v_cvt_f32_i32_e32 v3, v3
	s_branch .LBB111_1393
.LBB111_1392:
	s_mov_b64 s[0:1], -1
                                        ; implicit-def: $vgpr3
.LBB111_1393:
	s_andn2_b64 vcc, exec, s[0:1]
	s_cbranch_vccnz .LBB111_1395
; %bb.1394:
	global_load_ubyte v3, v[10:11], off
	s_waitcnt vmcnt(0)
	v_cvt_f32_ubyte0_e32 v3, v3
.LBB111_1395:
.LBB111_1396:
	v_mov_b32_e32 v5, s11
	v_add_co_u32_e32 v8, vcc, s10, v9
	s_cmp_lt_i32 s18, 11
	v_addc_co_u32_e32 v9, vcc, 0, v5, vcc
	s_cbranch_scc1 .LBB111_1403
; %bb.1397:
	s_and_b32 s19, 0xffff, s18
	s_cmp_gt_i32 s19, 25
	s_mov_b64 s[2:3], 0
	s_cbranch_scc0 .LBB111_1405
; %bb.1398:
	s_cmp_gt_i32 s19, 28
	s_cbranch_scc0 .LBB111_1406
; %bb.1399:
	s_cmp_gt_i32 s19, 43
	s_cbranch_scc0 .LBB111_1407
; %bb.1400:
	s_cmp_gt_i32 s19, 45
	s_cbranch_scc0 .LBB111_1409
; %bb.1401:
	s_cmp_eq_u32 s19, 46
	s_mov_b64 s[14:15], 0
	s_cbranch_scc0 .LBB111_1410
; %bb.1402:
	global_load_dword v5, v[8:9], off
	s_mov_b64 s[0:1], 0
	s_mov_b64 s[4:5], -1
	s_waitcnt vmcnt(0)
	v_lshlrev_b32_e32 v10, 16, v5
	s_branch .LBB111_1411
.LBB111_1403:
	s_mov_b64 s[4:5], 0
                                        ; implicit-def: $vgpr10
	s_cbranch_execnz .LBB111_1477
.LBB111_1404:
	s_andn2_b64 vcc, exec, s[4:5]
	s_cbranch_vccnz .LBB111_2088
	s_branch .LBB111_1525
.LBB111_1405:
	s_mov_b64 s[14:15], -1
	s_mov_b64 s[4:5], 0
	s_mov_b64 s[0:1], 0
                                        ; implicit-def: $vgpr10
	s_branch .LBB111_1440
.LBB111_1406:
	s_mov_b64 s[14:15], -1
	s_mov_b64 s[4:5], 0
	s_mov_b64 s[0:1], 0
                                        ; implicit-def: $vgpr10
	s_branch .LBB111_1421
.LBB111_1407:
	s_mov_b64 s[14:15], -1
	s_mov_b64 s[4:5], 0
	s_mov_b64 s[0:1], 0
                                        ; implicit-def: $vgpr10
	s_branch .LBB111_1416
.LBB111_1408:
	s_trap 2
	s_or_b64 s[12:13], s[12:13], exec
	s_cbranch_execz .LBB111_1347
	s_branch .LBB111_1348
.LBB111_1409:
	s_mov_b64 s[14:15], -1
	s_mov_b64 s[4:5], 0
	s_mov_b64 s[0:1], 0
                                        ; implicit-def: $vgpr10
	s_branch .LBB111_1411
.LBB111_1410:
	s_mov_b64 s[0:1], -1
                                        ; implicit-def: $vgpr10
	s_mov_b64 s[4:5], 0
.LBB111_1411:
	s_and_b64 vcc, exec, s[14:15]
	s_cbranch_vccz .LBB111_1415
; %bb.1412:
	s_cmp_eq_u32 s19, 44
	s_cbranch_scc0 .LBB111_1414
; %bb.1413:
	global_load_ubyte v5, v[8:9], off
	s_movk_i32 s4, 0xff
	v_mov_b32_e32 v10, 0x7f800001
	v_mov_b32_e32 v11, 0x400000
	s_mov_b64 s[0:1], 0
	s_waitcnt vmcnt(0)
	v_lshlrev_b32_e32 v12, 23, v5
	v_cmp_ne_u32_e32 vcc, s4, v5
	v_cndmask_b32_e32 v10, v10, v12, vcc
	v_cmp_ne_u32_e32 vcc, 0, v5
	v_cndmask_b32_e32 v10, v11, v10, vcc
	s_mov_b64 s[4:5], -1
	s_branch .LBB111_1415
.LBB111_1414:
	s_mov_b64 s[0:1], -1
                                        ; implicit-def: $vgpr10
.LBB111_1415:
	s_mov_b64 s[14:15], 0
.LBB111_1416:
	s_and_b64 vcc, exec, s[14:15]
	s_cbranch_vccz .LBB111_1420
; %bb.1417:
	s_cmp_eq_u32 s19, 29
	s_cbranch_scc0 .LBB111_1419
; %bb.1418:
	global_load_dwordx2 v[10:11], v[8:9], off
	s_mov_b64 s[0:1], 0
	s_mov_b64 s[4:5], -1
	s_mov_b64 s[14:15], 0
	s_waitcnt vmcnt(0)
	v_ffbh_u32_e32 v5, v11
	v_min_u32_e32 v5, 32, v5
	v_lshlrev_b64 v[10:11], v5, v[10:11]
	v_sub_u32_e32 v5, 32, v5
	v_min_u32_e32 v10, 1, v10
	v_or_b32_e32 v10, v11, v10
	v_cvt_f32_u32_e32 v10, v10
	v_ldexp_f32 v10, v10, v5
	s_branch .LBB111_1421
.LBB111_1419:
	s_mov_b64 s[0:1], -1
                                        ; implicit-def: $vgpr10
.LBB111_1420:
	s_mov_b64 s[14:15], 0
.LBB111_1421:
	s_and_b64 vcc, exec, s[14:15]
	s_cbranch_vccz .LBB111_1439
; %bb.1422:
	s_cmp_lt_i32 s19, 27
	s_cbranch_scc1 .LBB111_1425
; %bb.1423:
	s_cmp_gt_i32 s19, 27
	s_cbranch_scc0 .LBB111_1426
; %bb.1424:
	global_load_dword v5, v[8:9], off
	s_mov_b64 s[4:5], 0
	s_waitcnt vmcnt(0)
	v_cvt_f32_u32_e32 v10, v5
	s_branch .LBB111_1427
.LBB111_1425:
	s_mov_b64 s[4:5], -1
                                        ; implicit-def: $vgpr10
	s_branch .LBB111_1430
.LBB111_1426:
	s_mov_b64 s[4:5], -1
                                        ; implicit-def: $vgpr10
.LBB111_1427:
	s_andn2_b64 vcc, exec, s[4:5]
	s_cbranch_vccnz .LBB111_1429
; %bb.1428:
	global_load_ushort v5, v[8:9], off
	s_waitcnt vmcnt(0)
	v_cvt_f32_u32_e32 v10, v5
.LBB111_1429:
	s_mov_b64 s[4:5], 0
.LBB111_1430:
	s_andn2_b64 vcc, exec, s[4:5]
	s_cbranch_vccnz .LBB111_1438
; %bb.1431:
	global_load_ubyte v5, v[8:9], off
	s_movk_i32 s4, 0x7f
	s_waitcnt vmcnt(0)
	v_cmp_lt_i16_e32 vcc, s4, v5
	s_mov_b64 s[4:5], 0
	s_and_saveexec_b64 s[14:15], vcc
	s_xor_b64 s[14:15], exec, s[14:15]
	s_cbranch_execz .LBB111_1452
; %bb.1432:
	s_movk_i32 s4, 0x80
	v_cmp_eq_u16_e32 vcc, s4, v5
	s_mov_b64 s[4:5], -1
	s_and_saveexec_b64 s[16:17], vcc
; %bb.1433:
	s_xor_b64 s[4:5], exec, -1
; %bb.1434:
	s_or_b64 exec, exec, s[16:17]
	s_and_b64 s[4:5], s[4:5], exec
	s_or_saveexec_b64 s[14:15], s[14:15]
	v_mov_b32_e32 v10, 0x7f800001
	s_xor_b64 exec, exec, s[14:15]
	s_cbranch_execnz .LBB111_1453
.LBB111_1435:
	s_or_b64 exec, exec, s[14:15]
	s_and_saveexec_b64 s[14:15], s[4:5]
	s_cbranch_execz .LBB111_1437
.LBB111_1436:
	v_lshlrev_b32_e32 v10, 24, v5
	v_and_b32_e32 v5, 0xffff, v5
	v_and_b32_e32 v11, 7, v5
	v_ffbh_u32_e32 v13, v11
	v_min_u32_e32 v13, 32, v13
	v_subrev_u32_e32 v14, 28, v13
	v_bfe_u32 v12, v5, 3, 4
	v_lshlrev_b32_e32 v5, v14, v5
	v_sub_u32_e32 v13, 29, v13
	v_and_b32_e32 v5, 7, v5
	v_cmp_eq_u32_e32 vcc, 0, v12
	v_cndmask_b32_e32 v12, v12, v13, vcc
	v_cndmask_b32_e32 v5, v11, v5, vcc
	v_mov_b32_e32 v11, 0x3b800000
	v_lshlrev_b32_e32 v5, 20, v5
	v_and_b32_e32 v10, 0x80000000, v10
	v_lshl_add_u32 v11, v12, 23, v11
	v_or3_b32 v10, v10, v11, v5
.LBB111_1437:
	s_or_b64 exec, exec, s[14:15]
.LBB111_1438:
	s_mov_b64 s[4:5], -1
.LBB111_1439:
	s_mov_b64 s[14:15], 0
.LBB111_1440:
	s_and_b64 vcc, exec, s[14:15]
	s_cbranch_vccz .LBB111_1473
; %bb.1441:
	s_cmp_gt_i32 s19, 22
	s_cbranch_scc0 .LBB111_1451
; %bb.1442:
	s_cmp_lt_i32 s19, 24
	s_cbranch_scc1 .LBB111_1454
; %bb.1443:
	s_cmp_gt_i32 s19, 24
	s_cbranch_scc0 .LBB111_1455
; %bb.1444:
	global_load_ubyte v5, v[8:9], off
	s_movk_i32 s2, 0x7f
	s_waitcnt vmcnt(0)
	v_cmp_lt_i16_e32 vcc, s2, v5
	s_mov_b64 s[2:3], 0
	s_and_saveexec_b64 s[4:5], vcc
	s_xor_b64 s[4:5], exec, s[4:5]
	s_cbranch_execz .LBB111_1467
; %bb.1445:
	s_movk_i32 s2, 0x80
	v_cmp_eq_u16_e32 vcc, s2, v5
	s_mov_b64 s[2:3], -1
	s_and_saveexec_b64 s[14:15], vcc
; %bb.1446:
	s_xor_b64 s[2:3], exec, -1
; %bb.1447:
	s_or_b64 exec, exec, s[14:15]
	s_and_b64 s[2:3], s[2:3], exec
	s_or_saveexec_b64 s[4:5], s[4:5]
	v_mov_b32_e32 v10, 0x7f800001
	s_xor_b64 exec, exec, s[4:5]
	s_cbranch_execnz .LBB111_1468
.LBB111_1448:
	s_or_b64 exec, exec, s[4:5]
	s_and_saveexec_b64 s[4:5], s[2:3]
	s_cbranch_execz .LBB111_1450
.LBB111_1449:
	v_lshlrev_b32_e32 v10, 24, v5
	v_and_b32_e32 v5, 0xffff, v5
	v_and_b32_e32 v11, 3, v5
	v_ffbh_u32_e32 v13, v11
	v_min_u32_e32 v13, 32, v13
	v_subrev_u32_e32 v14, 29, v13
	v_bfe_u32 v12, v5, 2, 5
	v_lshlrev_b32_e32 v5, v14, v5
	v_sub_u32_e32 v13, 30, v13
	v_and_b32_e32 v5, 3, v5
	v_cmp_eq_u32_e32 vcc, 0, v12
	v_cndmask_b32_e32 v12, v12, v13, vcc
	v_cndmask_b32_e32 v5, v11, v5, vcc
	v_mov_b32_e32 v11, 0x37800000
	v_lshlrev_b32_e32 v5, 21, v5
	v_and_b32_e32 v10, 0x80000000, v10
	v_lshl_add_u32 v11, v12, 23, v11
	v_or3_b32 v10, v10, v11, v5
.LBB111_1450:
	s_or_b64 exec, exec, s[4:5]
	s_mov_b64 s[2:3], 0
	s_branch .LBB111_1456
.LBB111_1451:
	s_mov_b64 s[2:3], -1
                                        ; implicit-def: $vgpr10
	s_branch .LBB111_1462
.LBB111_1452:
	s_or_saveexec_b64 s[14:15], s[14:15]
	v_mov_b32_e32 v10, 0x7f800001
	s_xor_b64 exec, exec, s[14:15]
	s_cbranch_execz .LBB111_1435
.LBB111_1453:
	v_cmp_ne_u16_e32 vcc, 0, v5
	s_andn2_b64 s[4:5], s[4:5], exec
	s_and_b64 s[16:17], vcc, exec
	v_mov_b32_e32 v10, 0
	s_or_b64 s[4:5], s[4:5], s[16:17]
	s_or_b64 exec, exec, s[14:15]
	s_and_saveexec_b64 s[14:15], s[4:5]
	s_cbranch_execnz .LBB111_1436
	s_branch .LBB111_1437
.LBB111_1454:
	s_mov_b64 s[2:3], -1
                                        ; implicit-def: $vgpr10
	s_branch .LBB111_1459
.LBB111_1455:
	s_mov_b64 s[2:3], -1
                                        ; implicit-def: $vgpr10
.LBB111_1456:
	s_and_b64 vcc, exec, s[2:3]
	s_cbranch_vccz .LBB111_1458
; %bb.1457:
	global_load_ubyte v5, v[8:9], off
	s_mov_b32 s2, 0x7f800000
	s_waitcnt vmcnt(0)
	v_lshlrev_b32_e32 v5, 24, v5
	v_and_b32_e32 v10, 0x7f000000, v5
	v_ffbh_u32_e32 v11, v10
	v_min_u32_e32 v11, 32, v11
	v_sub_u32_e64 v11, v11, 4 clamp
	v_lshlrev_b32_e32 v13, v11, v10
	v_lshlrev_b32_e32 v11, 23, v11
	v_lshrrev_b32_e32 v13, 4, v13
	v_add_u32_e32 v12, 0x1000000, v10
	v_sub_u32_e32 v11, v13, v11
	v_ashrrev_i32_e32 v12, 8, v12
	v_add_u32_e32 v11, 0x3c000000, v11
	v_and_or_b32 v11, v12, s2, v11
	v_cmp_ne_u32_e32 vcc, 0, v10
	v_cndmask_b32_e32 v10, 0, v11, vcc
	s_brev_b32 s2, 1
	v_and_or_b32 v10, v5, s2, v10
.LBB111_1458:
	s_mov_b64 s[2:3], 0
.LBB111_1459:
	s_andn2_b64 vcc, exec, s[2:3]
	s_cbranch_vccnz .LBB111_1461
; %bb.1460:
	global_load_ubyte v5, v[8:9], off
	s_movk_i32 s2, 0x7f00
	s_brev_b32 s3, 16
	s_waitcnt vmcnt(0)
	v_lshlrev_b16_e32 v10, 8, v5
	v_lshlrev_b32_e32 v5, 25, v5
	v_lshrrev_b32_e32 v11, 4, v5
	v_and_or_b32 v12, v10, s2, 0.5
	v_or_b32_e32 v11, 0x70000000, v11
	v_add_f32_e32 v12, -0.5, v12
	v_mul_f32_e32 v11, 0x7800000, v11
	v_cmp_gt_u32_e32 vcc, s3, v5
	v_bfe_i32 v10, v10, 0, 16
	v_cndmask_b32_e32 v5, v11, v12, vcc
	s_brev_b32 s2, 1
	v_and_or_b32 v10, v10, s2, v5
.LBB111_1461:
	s_mov_b64 s[2:3], 0
	s_mov_b64 s[4:5], -1
.LBB111_1462:
	s_andn2_b64 vcc, exec, s[2:3]
	s_mov_b64 s[2:3], 0
	s_cbranch_vccnz .LBB111_1473
; %bb.1463:
	s_cmp_gt_i32 s19, 14
	s_cbranch_scc0 .LBB111_1466
; %bb.1464:
	s_cmp_eq_u32 s19, 15
	s_cbranch_scc0 .LBB111_1469
; %bb.1465:
	global_load_ushort v5, v[8:9], off
	s_mov_b64 s[0:1], 0
	s_mov_b64 s[4:5], -1
	s_waitcnt vmcnt(0)
	v_lshlrev_b32_e32 v10, 16, v5
	s_branch .LBB111_1470
.LBB111_1466:
	s_mov_b64 s[14:15], -1
                                        ; implicit-def: $vgpr10
	s_branch .LBB111_1471
.LBB111_1467:
	s_or_saveexec_b64 s[4:5], s[4:5]
	v_mov_b32_e32 v10, 0x7f800001
	s_xor_b64 exec, exec, s[4:5]
	s_cbranch_execz .LBB111_1448
.LBB111_1468:
	v_cmp_ne_u16_e32 vcc, 0, v5
	s_andn2_b64 s[2:3], s[2:3], exec
	s_and_b64 s[14:15], vcc, exec
	v_mov_b32_e32 v10, 0
	s_or_b64 s[2:3], s[2:3], s[14:15]
	s_or_b64 exec, exec, s[4:5]
	s_and_saveexec_b64 s[4:5], s[2:3]
	s_cbranch_execnz .LBB111_1449
	s_branch .LBB111_1450
.LBB111_1469:
	s_mov_b64 s[0:1], -1
                                        ; implicit-def: $vgpr10
.LBB111_1470:
	s_mov_b64 s[14:15], 0
.LBB111_1471:
	s_and_b64 vcc, exec, s[14:15]
	s_cbranch_vccz .LBB111_1473
; %bb.1472:
	s_cmp_lg_u32 s19, 11
	s_mov_b64 s[2:3], -1
	s_cselect_b64 s[0:1], -1, 0
.LBB111_1473:
	s_and_b64 vcc, exec, s[0:1]
	s_cbranch_vccnz .LBB111_1536
; %bb.1474:
	s_andn2_b64 vcc, exec, s[2:3]
	s_cbranch_vccnz .LBB111_1476
.LBB111_1475:
	global_load_ubyte v5, v[8:9], off
	s_mov_b64 s[4:5], -1
	s_waitcnt vmcnt(0)
	v_cmp_ne_u16_e32 vcc, 0, v5
	v_cndmask_b32_e64 v10, 0, 1.0, vcc
.LBB111_1476:
	s_branch .LBB111_1404
.LBB111_1477:
	s_and_b32 s2, 0xffff, s18
	s_cmp_lt_i32 s2, 5
	s_cbranch_scc1 .LBB111_1482
; %bb.1478:
	s_cmp_lt_i32 s2, 8
	s_cbranch_scc1 .LBB111_1483
; %bb.1479:
	;; [unrolled: 3-line block ×3, first 2 shown]
	s_cmp_gt_i32 s2, 9
	s_cbranch_scc0 .LBB111_1485
; %bb.1481:
	global_load_dwordx2 v[10:11], v[8:9], off
	s_mov_b64 s[0:1], 0
	s_waitcnt vmcnt(0)
	v_cvt_f32_f64_e32 v10, v[10:11]
	s_branch .LBB111_1486
.LBB111_1482:
	s_mov_b64 s[0:1], -1
                                        ; implicit-def: $vgpr10
	s_branch .LBB111_1504
.LBB111_1483:
	s_mov_b64 s[0:1], -1
                                        ; implicit-def: $vgpr10
	s_branch .LBB111_1492
.LBB111_1484:
	s_mov_b64 s[0:1], -1
                                        ; implicit-def: $vgpr10
	s_branch .LBB111_1489
.LBB111_1485:
	s_mov_b64 s[0:1], -1
                                        ; implicit-def: $vgpr10
.LBB111_1486:
	s_andn2_b64 vcc, exec, s[0:1]
	s_cbranch_vccnz .LBB111_1488
; %bb.1487:
	global_load_dword v10, v[8:9], off
.LBB111_1488:
	s_mov_b64 s[0:1], 0
.LBB111_1489:
	s_andn2_b64 vcc, exec, s[0:1]
	s_cbranch_vccnz .LBB111_1491
; %bb.1490:
	global_load_dword v5, v[8:9], off
	s_waitcnt vmcnt(0)
	v_cvt_f32_f16_e32 v10, v5
.LBB111_1491:
	s_mov_b64 s[0:1], 0
.LBB111_1492:
	s_andn2_b64 vcc, exec, s[0:1]
	s_cbranch_vccnz .LBB111_1503
; %bb.1493:
	s_cmp_lt_i32 s2, 6
	s_cbranch_scc1 .LBB111_1496
; %bb.1494:
	s_cmp_gt_i32 s2, 6
	s_cbranch_scc0 .LBB111_1497
; %bb.1495:
	global_load_dwordx2 v[10:11], v[8:9], off
	s_mov_b64 s[0:1], 0
	s_waitcnt vmcnt(0)
	v_cvt_f32_f64_e32 v10, v[10:11]
	s_branch .LBB111_1498
.LBB111_1496:
	s_mov_b64 s[0:1], -1
                                        ; implicit-def: $vgpr10
	s_branch .LBB111_1501
.LBB111_1497:
	s_mov_b64 s[0:1], -1
                                        ; implicit-def: $vgpr10
.LBB111_1498:
	s_andn2_b64 vcc, exec, s[0:1]
	s_cbranch_vccnz .LBB111_1500
; %bb.1499:
	global_load_dword v10, v[8:9], off
.LBB111_1500:
	s_mov_b64 s[0:1], 0
.LBB111_1501:
	s_andn2_b64 vcc, exec, s[0:1]
	s_cbranch_vccnz .LBB111_1503
; %bb.1502:
	global_load_ushort v5, v[8:9], off
	s_waitcnt vmcnt(0)
	v_cvt_f32_f16_e32 v10, v5
.LBB111_1503:
	s_mov_b64 s[0:1], 0
.LBB111_1504:
	s_andn2_b64 vcc, exec, s[0:1]
	s_cbranch_vccnz .LBB111_1524
; %bb.1505:
	s_cmp_lt_i32 s2, 2
	s_cbranch_scc1 .LBB111_1509
; %bb.1506:
	s_cmp_lt_i32 s2, 3
	s_cbranch_scc1 .LBB111_1510
; %bb.1507:
	s_cmp_gt_i32 s2, 3
	s_cbranch_scc0 .LBB111_1511
; %bb.1508:
	global_load_dwordx2 v[10:11], v[8:9], off
	s_mov_b64 s[0:1], 0
	s_waitcnt vmcnt(0)
	v_xor_b32_e32 v12, v10, v11
	v_ffbh_i32_e32 v5, v11
	v_ashrrev_i32_e32 v12, 31, v12
	v_add_u32_e32 v5, -1, v5
	v_add_u32_e32 v12, 32, v12
	v_min_u32_e32 v5, v5, v12
	v_lshlrev_b64 v[10:11], v5, v[10:11]
	v_sub_u32_e32 v5, 32, v5
	v_min_u32_e32 v10, 1, v10
	v_or_b32_e32 v10, v11, v10
	v_cvt_f32_i32_e32 v10, v10
	v_ldexp_f32 v10, v10, v5
	s_branch .LBB111_1512
.LBB111_1509:
	s_mov_b64 s[0:1], -1
                                        ; implicit-def: $vgpr10
	s_branch .LBB111_1518
.LBB111_1510:
	s_mov_b64 s[0:1], -1
                                        ; implicit-def: $vgpr10
	s_branch .LBB111_1515
.LBB111_1511:
	s_mov_b64 s[0:1], -1
                                        ; implicit-def: $vgpr10
.LBB111_1512:
	s_andn2_b64 vcc, exec, s[0:1]
	s_cbranch_vccnz .LBB111_1514
; %bb.1513:
	global_load_dword v5, v[8:9], off
	s_waitcnt vmcnt(0)
	v_cvt_f32_i32_e32 v10, v5
.LBB111_1514:
	s_mov_b64 s[0:1], 0
.LBB111_1515:
	s_andn2_b64 vcc, exec, s[0:1]
	s_cbranch_vccnz .LBB111_1517
; %bb.1516:
	global_load_sshort v5, v[8:9], off
	s_waitcnt vmcnt(0)
	v_cvt_f32_i32_e32 v10, v5
.LBB111_1517:
	s_mov_b64 s[0:1], 0
.LBB111_1518:
	s_andn2_b64 vcc, exec, s[0:1]
	s_cbranch_vccnz .LBB111_1524
; %bb.1519:
	s_cmp_gt_i32 s2, 0
	s_cbranch_scc0 .LBB111_1521
; %bb.1520:
	global_load_sbyte v5, v[8:9], off
	s_mov_b64 s[0:1], 0
	s_waitcnt vmcnt(0)
	v_cvt_f32_i32_e32 v10, v5
	s_branch .LBB111_1522
.LBB111_1521:
	s_mov_b64 s[0:1], -1
                                        ; implicit-def: $vgpr10
.LBB111_1522:
	s_andn2_b64 vcc, exec, s[0:1]
	s_cbranch_vccnz .LBB111_1524
; %bb.1523:
	global_load_ubyte v5, v[8:9], off
	s_waitcnt vmcnt(0)
	v_cvt_f32_ubyte0_e32 v10, v5
.LBB111_1524:
.LBB111_1525:
	v_mov_b32_e32 v5, s11
	v_add_co_u32_e32 v7, vcc, s10, v7
	s_cmp_lt_i32 s18, 11
	v_addc_co_u32_e32 v8, vcc, 0, v5, vcc
	s_cbranch_scc1 .LBB111_1532
; %bb.1526:
	s_and_b32 s16, 0xffff, s18
	s_cmp_gt_i32 s16, 25
	s_mov_b64 s[2:3], 0
	s_cbranch_scc0 .LBB111_1533
; %bb.1527:
	s_cmp_gt_i32 s16, 28
	s_cbranch_scc0 .LBB111_1534
; %bb.1528:
	s_cmp_gt_i32 s16, 43
	;; [unrolled: 3-line block ×3, first 2 shown]
	s_cbranch_scc0 .LBB111_1537
; %bb.1530:
	s_cmp_eq_u32 s16, 46
	s_mov_b64 s[10:11], 0
	s_cbranch_scc0 .LBB111_1538
; %bb.1531:
	global_load_dword v5, v[7:8], off
	s_mov_b64 s[0:1], 0
	s_mov_b64 s[4:5], -1
	s_waitcnt vmcnt(0)
	v_lshlrev_b32_e32 v9, 16, v5
	s_branch .LBB111_1539
.LBB111_1532:
	s_mov_b64 s[0:1], -1
	s_mov_b64 s[4:5], 0
                                        ; implicit-def: $vgpr9
	s_branch .LBB111_1605
.LBB111_1533:
	s_mov_b64 s[10:11], -1
	s_mov_b64 s[4:5], 0
	s_mov_b64 s[0:1], 0
                                        ; implicit-def: $vgpr9
	s_branch .LBB111_1568
.LBB111_1534:
	s_mov_b64 s[10:11], -1
	s_mov_b64 s[4:5], 0
	s_mov_b64 s[0:1], 0
                                        ; implicit-def: $vgpr9
	s_branch .LBB111_1549
.LBB111_1535:
	s_mov_b64 s[10:11], -1
	s_mov_b64 s[4:5], 0
	s_mov_b64 s[0:1], 0
                                        ; implicit-def: $vgpr9
	s_branch .LBB111_1544
.LBB111_1536:
	s_trap 2
	s_or_b64 s[12:13], s[12:13], exec
	s_cbranch_execz .LBB111_1475
	s_branch .LBB111_1476
.LBB111_1537:
	s_mov_b64 s[10:11], -1
	s_mov_b64 s[4:5], 0
	s_mov_b64 s[0:1], 0
                                        ; implicit-def: $vgpr9
	s_branch .LBB111_1539
.LBB111_1538:
	s_mov_b64 s[0:1], -1
                                        ; implicit-def: $vgpr9
	s_mov_b64 s[4:5], 0
.LBB111_1539:
	s_and_b64 vcc, exec, s[10:11]
	s_cbranch_vccz .LBB111_1543
; %bb.1540:
	s_cmp_eq_u32 s16, 44
	s_cbranch_scc0 .LBB111_1542
; %bb.1541:
	global_load_ubyte v5, v[7:8], off
	s_movk_i32 s4, 0xff
	v_mov_b32_e32 v9, 0x7f800001
	v_mov_b32_e32 v11, 0x400000
	s_mov_b64 s[0:1], 0
	s_waitcnt vmcnt(0)
	v_lshlrev_b32_e32 v12, 23, v5
	v_cmp_ne_u32_e32 vcc, s4, v5
	v_cndmask_b32_e32 v9, v9, v12, vcc
	v_cmp_ne_u32_e32 vcc, 0, v5
	v_cndmask_b32_e32 v9, v11, v9, vcc
	s_mov_b64 s[4:5], -1
	s_branch .LBB111_1543
.LBB111_1542:
	s_mov_b64 s[0:1], -1
                                        ; implicit-def: $vgpr9
.LBB111_1543:
	s_mov_b64 s[10:11], 0
.LBB111_1544:
	s_and_b64 vcc, exec, s[10:11]
	s_cbranch_vccz .LBB111_1548
; %bb.1545:
	s_cmp_eq_u32 s16, 29
	s_cbranch_scc0 .LBB111_1547
; %bb.1546:
	global_load_dwordx2 v[11:12], v[7:8], off
	s_mov_b64 s[0:1], 0
	s_mov_b64 s[4:5], -1
	s_mov_b64 s[10:11], 0
	s_waitcnt vmcnt(0)
	v_ffbh_u32_e32 v5, v12
	v_min_u32_e32 v5, 32, v5
	v_lshlrev_b64 v[11:12], v5, v[11:12]
	v_sub_u32_e32 v5, 32, v5
	v_min_u32_e32 v9, 1, v11
	v_or_b32_e32 v9, v12, v9
	v_cvt_f32_u32_e32 v9, v9
	v_ldexp_f32 v9, v9, v5
	s_branch .LBB111_1549
.LBB111_1547:
	s_mov_b64 s[0:1], -1
                                        ; implicit-def: $vgpr9
.LBB111_1548:
	s_mov_b64 s[10:11], 0
.LBB111_1549:
	s_and_b64 vcc, exec, s[10:11]
	s_cbranch_vccz .LBB111_1567
; %bb.1550:
	s_cmp_lt_i32 s16, 27
	s_cbranch_scc1 .LBB111_1553
; %bb.1551:
	s_cmp_gt_i32 s16, 27
	s_cbranch_scc0 .LBB111_1554
; %bb.1552:
	global_load_dword v5, v[7:8], off
	s_mov_b64 s[4:5], 0
	s_waitcnt vmcnt(0)
	v_cvt_f32_u32_e32 v9, v5
	s_branch .LBB111_1555
.LBB111_1553:
	s_mov_b64 s[4:5], -1
                                        ; implicit-def: $vgpr9
	s_branch .LBB111_1558
.LBB111_1554:
	s_mov_b64 s[4:5], -1
                                        ; implicit-def: $vgpr9
.LBB111_1555:
	s_andn2_b64 vcc, exec, s[4:5]
	s_cbranch_vccnz .LBB111_1557
; %bb.1556:
	global_load_ushort v5, v[7:8], off
	s_waitcnt vmcnt(0)
	v_cvt_f32_u32_e32 v9, v5
.LBB111_1557:
	s_mov_b64 s[4:5], 0
.LBB111_1558:
	s_andn2_b64 vcc, exec, s[4:5]
	s_cbranch_vccnz .LBB111_1566
; %bb.1559:
	global_load_ubyte v5, v[7:8], off
	s_movk_i32 s4, 0x7f
	s_waitcnt vmcnt(0)
	v_cmp_lt_i16_e32 vcc, s4, v5
	s_mov_b64 s[4:5], 0
	s_and_saveexec_b64 s[10:11], vcc
	s_xor_b64 s[10:11], exec, s[10:11]
	s_cbranch_execz .LBB111_1580
; %bb.1560:
	s_movk_i32 s4, 0x80
	v_cmp_eq_u16_e32 vcc, s4, v5
	s_mov_b64 s[4:5], -1
	s_and_saveexec_b64 s[14:15], vcc
; %bb.1561:
	s_xor_b64 s[4:5], exec, -1
; %bb.1562:
	s_or_b64 exec, exec, s[14:15]
	s_and_b64 s[4:5], s[4:5], exec
	s_or_saveexec_b64 s[10:11], s[10:11]
	v_mov_b32_e32 v9, 0x7f800001
	s_xor_b64 exec, exec, s[10:11]
	s_cbranch_execnz .LBB111_1581
.LBB111_1563:
	s_or_b64 exec, exec, s[10:11]
	s_and_saveexec_b64 s[10:11], s[4:5]
	s_cbranch_execz .LBB111_1565
.LBB111_1564:
	v_lshlrev_b32_e32 v9, 24, v5
	v_and_b32_e32 v5, 0xffff, v5
	v_and_b32_e32 v11, 7, v5
	v_ffbh_u32_e32 v13, v11
	v_min_u32_e32 v13, 32, v13
	v_subrev_u32_e32 v14, 28, v13
	v_bfe_u32 v12, v5, 3, 4
	v_lshlrev_b32_e32 v5, v14, v5
	v_sub_u32_e32 v13, 29, v13
	v_and_b32_e32 v5, 7, v5
	v_cmp_eq_u32_e32 vcc, 0, v12
	v_cndmask_b32_e32 v12, v12, v13, vcc
	v_cndmask_b32_e32 v5, v11, v5, vcc
	v_mov_b32_e32 v11, 0x3b800000
	v_lshlrev_b32_e32 v5, 20, v5
	v_and_b32_e32 v9, 0x80000000, v9
	v_lshl_add_u32 v11, v12, 23, v11
	v_or3_b32 v9, v9, v11, v5
.LBB111_1565:
	s_or_b64 exec, exec, s[10:11]
.LBB111_1566:
	s_mov_b64 s[4:5], -1
.LBB111_1567:
	s_mov_b64 s[10:11], 0
.LBB111_1568:
	s_and_b64 vcc, exec, s[10:11]
	s_cbranch_vccz .LBB111_1601
; %bb.1569:
	s_cmp_gt_i32 s16, 22
	s_cbranch_scc0 .LBB111_1579
; %bb.1570:
	s_cmp_lt_i32 s16, 24
	s_cbranch_scc1 .LBB111_1582
; %bb.1571:
	s_cmp_gt_i32 s16, 24
	s_cbranch_scc0 .LBB111_1583
; %bb.1572:
	global_load_ubyte v5, v[7:8], off
	s_movk_i32 s2, 0x7f
	s_waitcnt vmcnt(0)
	v_cmp_lt_i16_e32 vcc, s2, v5
	s_mov_b64 s[2:3], 0
	s_and_saveexec_b64 s[4:5], vcc
	s_xor_b64 s[4:5], exec, s[4:5]
	s_cbranch_execz .LBB111_1595
; %bb.1573:
	s_movk_i32 s2, 0x80
	v_cmp_eq_u16_e32 vcc, s2, v5
	s_mov_b64 s[2:3], -1
	s_and_saveexec_b64 s[10:11], vcc
; %bb.1574:
	s_xor_b64 s[2:3], exec, -1
; %bb.1575:
	s_or_b64 exec, exec, s[10:11]
	s_and_b64 s[2:3], s[2:3], exec
	s_or_saveexec_b64 s[4:5], s[4:5]
	v_mov_b32_e32 v9, 0x7f800001
	s_xor_b64 exec, exec, s[4:5]
	s_cbranch_execnz .LBB111_1596
.LBB111_1576:
	s_or_b64 exec, exec, s[4:5]
	s_and_saveexec_b64 s[4:5], s[2:3]
	s_cbranch_execz .LBB111_1578
.LBB111_1577:
	v_lshlrev_b32_e32 v9, 24, v5
	v_and_b32_e32 v5, 0xffff, v5
	v_and_b32_e32 v11, 3, v5
	v_ffbh_u32_e32 v13, v11
	v_min_u32_e32 v13, 32, v13
	v_subrev_u32_e32 v14, 29, v13
	v_bfe_u32 v12, v5, 2, 5
	v_lshlrev_b32_e32 v5, v14, v5
	v_sub_u32_e32 v13, 30, v13
	v_and_b32_e32 v5, 3, v5
	v_cmp_eq_u32_e32 vcc, 0, v12
	v_cndmask_b32_e32 v12, v12, v13, vcc
	v_cndmask_b32_e32 v5, v11, v5, vcc
	v_mov_b32_e32 v11, 0x37800000
	v_lshlrev_b32_e32 v5, 21, v5
	v_and_b32_e32 v9, 0x80000000, v9
	v_lshl_add_u32 v11, v12, 23, v11
	v_or3_b32 v9, v9, v11, v5
.LBB111_1578:
	s_or_b64 exec, exec, s[4:5]
	s_mov_b64 s[2:3], 0
	s_branch .LBB111_1584
.LBB111_1579:
	s_mov_b64 s[2:3], -1
                                        ; implicit-def: $vgpr9
	s_branch .LBB111_1590
.LBB111_1580:
	s_or_saveexec_b64 s[10:11], s[10:11]
	v_mov_b32_e32 v9, 0x7f800001
	s_xor_b64 exec, exec, s[10:11]
	s_cbranch_execz .LBB111_1563
.LBB111_1581:
	v_cmp_ne_u16_e32 vcc, 0, v5
	s_andn2_b64 s[4:5], s[4:5], exec
	s_and_b64 s[14:15], vcc, exec
	v_mov_b32_e32 v9, 0
	s_or_b64 s[4:5], s[4:5], s[14:15]
	s_or_b64 exec, exec, s[10:11]
	s_and_saveexec_b64 s[10:11], s[4:5]
	s_cbranch_execnz .LBB111_1564
	s_branch .LBB111_1565
.LBB111_1582:
	s_mov_b64 s[2:3], -1
                                        ; implicit-def: $vgpr9
	s_branch .LBB111_1587
.LBB111_1583:
	s_mov_b64 s[2:3], -1
                                        ; implicit-def: $vgpr9
.LBB111_1584:
	s_and_b64 vcc, exec, s[2:3]
	s_cbranch_vccz .LBB111_1586
; %bb.1585:
	global_load_ubyte v5, v[7:8], off
	s_mov_b32 s2, 0x7f800000
	s_waitcnt vmcnt(0)
	v_lshlrev_b32_e32 v5, 24, v5
	v_and_b32_e32 v9, 0x7f000000, v5
	v_ffbh_u32_e32 v11, v9
	v_min_u32_e32 v11, 32, v11
	v_sub_u32_e64 v11, v11, 4 clamp
	v_lshlrev_b32_e32 v13, v11, v9
	v_lshlrev_b32_e32 v11, 23, v11
	v_lshrrev_b32_e32 v13, 4, v13
	v_add_u32_e32 v12, 0x1000000, v9
	v_sub_u32_e32 v11, v13, v11
	v_ashrrev_i32_e32 v12, 8, v12
	v_add_u32_e32 v11, 0x3c000000, v11
	v_and_or_b32 v11, v12, s2, v11
	v_cmp_ne_u32_e32 vcc, 0, v9
	v_cndmask_b32_e32 v9, 0, v11, vcc
	s_brev_b32 s2, 1
	v_and_or_b32 v9, v5, s2, v9
.LBB111_1586:
	s_mov_b64 s[2:3], 0
.LBB111_1587:
	s_andn2_b64 vcc, exec, s[2:3]
	s_cbranch_vccnz .LBB111_1589
; %bb.1588:
	global_load_ubyte v5, v[7:8], off
	s_movk_i32 s2, 0x7f00
	s_brev_b32 s3, 16
	s_waitcnt vmcnt(0)
	v_lshlrev_b16_e32 v9, 8, v5
	v_lshlrev_b32_e32 v5, 25, v5
	v_lshrrev_b32_e32 v11, 4, v5
	v_and_or_b32 v12, v9, s2, 0.5
	v_or_b32_e32 v11, 0x70000000, v11
	v_add_f32_e32 v12, -0.5, v12
	v_mul_f32_e32 v11, 0x7800000, v11
	v_cmp_gt_u32_e32 vcc, s3, v5
	v_bfe_i32 v9, v9, 0, 16
	v_cndmask_b32_e32 v5, v11, v12, vcc
	s_brev_b32 s2, 1
	v_and_or_b32 v9, v9, s2, v5
.LBB111_1589:
	s_mov_b64 s[2:3], 0
	s_mov_b64 s[4:5], -1
.LBB111_1590:
	s_andn2_b64 vcc, exec, s[2:3]
	s_mov_b64 s[2:3], 0
	s_cbranch_vccnz .LBB111_1601
; %bb.1591:
	s_cmp_gt_i32 s16, 14
	s_cbranch_scc0 .LBB111_1594
; %bb.1592:
	s_cmp_eq_u32 s16, 15
	s_cbranch_scc0 .LBB111_1597
; %bb.1593:
	global_load_ushort v5, v[7:8], off
	s_mov_b64 s[0:1], 0
	s_mov_b64 s[4:5], -1
	s_waitcnt vmcnt(0)
	v_lshlrev_b32_e32 v9, 16, v5
	s_branch .LBB111_1598
.LBB111_1594:
	s_mov_b64 s[10:11], -1
                                        ; implicit-def: $vgpr9
	s_branch .LBB111_1599
.LBB111_1595:
	s_or_saveexec_b64 s[4:5], s[4:5]
	v_mov_b32_e32 v9, 0x7f800001
	s_xor_b64 exec, exec, s[4:5]
	s_cbranch_execz .LBB111_1576
.LBB111_1596:
	v_cmp_ne_u16_e32 vcc, 0, v5
	s_andn2_b64 s[2:3], s[2:3], exec
	s_and_b64 s[10:11], vcc, exec
	v_mov_b32_e32 v9, 0
	s_or_b64 s[2:3], s[2:3], s[10:11]
	s_or_b64 exec, exec, s[4:5]
	s_and_saveexec_b64 s[4:5], s[2:3]
	s_cbranch_execnz .LBB111_1577
	s_branch .LBB111_1578
.LBB111_1597:
	s_mov_b64 s[0:1], -1
                                        ; implicit-def: $vgpr9
.LBB111_1598:
	s_mov_b64 s[10:11], 0
.LBB111_1599:
	s_and_b64 vcc, exec, s[10:11]
	s_cbranch_vccz .LBB111_1601
; %bb.1600:
	s_cmp_lg_u32 s16, 11
	s_mov_b64 s[2:3], -1
	s_cselect_b64 s[0:1], -1, 0
.LBB111_1601:
	s_and_b64 vcc, exec, s[0:1]
	s_cbranch_vccnz .LBB111_2134
; %bb.1602:
	s_andn2_b64 vcc, exec, s[2:3]
	s_cbranch_vccnz .LBB111_1604
.LBB111_1603:
	global_load_ubyte v5, v[7:8], off
	s_mov_b64 s[4:5], -1
	s_waitcnt vmcnt(0)
	v_cmp_ne_u16_e32 vcc, 0, v5
	v_cndmask_b32_e64 v9, 0, 1.0, vcc
.LBB111_1604:
	s_mov_b64 s[0:1], 0
.LBB111_1605:
	s_and_b64 vcc, exec, s[0:1]
	s_cbranch_vccz .LBB111_1654
; %bb.1606:
	s_and_b32 s2, 0xffff, s18
	s_cmp_lt_i32 s2, 5
	s_cbranch_scc1 .LBB111_1611
; %bb.1607:
	s_cmp_lt_i32 s2, 8
	s_cbranch_scc1 .LBB111_1612
; %bb.1608:
	;; [unrolled: 3-line block ×3, first 2 shown]
	s_cmp_gt_i32 s2, 9
	s_cbranch_scc0 .LBB111_1614
; %bb.1610:
	global_load_dwordx2 v[11:12], v[7:8], off
	s_mov_b64 s[0:1], 0
	s_waitcnt vmcnt(0)
	v_cvt_f32_f64_e32 v9, v[11:12]
	s_branch .LBB111_1615
.LBB111_1611:
	s_mov_b64 s[0:1], -1
                                        ; implicit-def: $vgpr9
	s_branch .LBB111_1633
.LBB111_1612:
	s_mov_b64 s[0:1], -1
                                        ; implicit-def: $vgpr9
	s_branch .LBB111_1621
.LBB111_1613:
	s_mov_b64 s[0:1], -1
                                        ; implicit-def: $vgpr9
	s_branch .LBB111_1618
.LBB111_1614:
	s_mov_b64 s[0:1], -1
                                        ; implicit-def: $vgpr9
.LBB111_1615:
	s_andn2_b64 vcc, exec, s[0:1]
	s_cbranch_vccnz .LBB111_1617
; %bb.1616:
	global_load_dword v9, v[7:8], off
.LBB111_1617:
	s_mov_b64 s[0:1], 0
.LBB111_1618:
	s_andn2_b64 vcc, exec, s[0:1]
	s_cbranch_vccnz .LBB111_1620
; %bb.1619:
	global_load_dword v5, v[7:8], off
	s_waitcnt vmcnt(0)
	v_cvt_f32_f16_e32 v9, v5
.LBB111_1620:
	s_mov_b64 s[0:1], 0
.LBB111_1621:
	s_andn2_b64 vcc, exec, s[0:1]
	s_cbranch_vccnz .LBB111_1632
; %bb.1622:
	s_cmp_lt_i32 s2, 6
	s_cbranch_scc1 .LBB111_1625
; %bb.1623:
	s_cmp_gt_i32 s2, 6
	s_cbranch_scc0 .LBB111_1626
; %bb.1624:
	global_load_dwordx2 v[11:12], v[7:8], off
	s_mov_b64 s[0:1], 0
	s_waitcnt vmcnt(0)
	v_cvt_f32_f64_e32 v9, v[11:12]
	s_branch .LBB111_1627
.LBB111_1625:
	s_mov_b64 s[0:1], -1
                                        ; implicit-def: $vgpr9
	s_branch .LBB111_1630
.LBB111_1626:
	s_mov_b64 s[0:1], -1
                                        ; implicit-def: $vgpr9
.LBB111_1627:
	s_andn2_b64 vcc, exec, s[0:1]
	s_cbranch_vccnz .LBB111_1629
; %bb.1628:
	global_load_dword v9, v[7:8], off
.LBB111_1629:
	s_mov_b64 s[0:1], 0
.LBB111_1630:
	s_andn2_b64 vcc, exec, s[0:1]
	s_cbranch_vccnz .LBB111_1632
; %bb.1631:
	global_load_ushort v5, v[7:8], off
	s_waitcnt vmcnt(0)
	v_cvt_f32_f16_e32 v9, v5
.LBB111_1632:
	s_mov_b64 s[0:1], 0
.LBB111_1633:
	s_andn2_b64 vcc, exec, s[0:1]
	s_cbranch_vccnz .LBB111_1653
; %bb.1634:
	s_cmp_lt_i32 s2, 2
	s_cbranch_scc1 .LBB111_1638
; %bb.1635:
	s_cmp_lt_i32 s2, 3
	s_cbranch_scc1 .LBB111_1639
; %bb.1636:
	s_cmp_gt_i32 s2, 3
	s_cbranch_scc0 .LBB111_1640
; %bb.1637:
	global_load_dwordx2 v[11:12], v[7:8], off
	s_mov_b64 s[0:1], 0
	s_waitcnt vmcnt(0)
	v_xor_b32_e32 v9, v11, v12
	v_ffbh_i32_e32 v5, v12
	v_ashrrev_i32_e32 v9, 31, v9
	v_add_u32_e32 v5, -1, v5
	v_add_u32_e32 v9, 32, v9
	v_min_u32_e32 v5, v5, v9
	v_lshlrev_b64 v[11:12], v5, v[11:12]
	v_sub_u32_e32 v5, 32, v5
	v_min_u32_e32 v9, 1, v11
	v_or_b32_e32 v9, v12, v9
	v_cvt_f32_i32_e32 v9, v9
	v_ldexp_f32 v9, v9, v5
	s_branch .LBB111_1641
.LBB111_1638:
	s_mov_b64 s[0:1], -1
                                        ; implicit-def: $vgpr9
	s_branch .LBB111_1647
.LBB111_1639:
	s_mov_b64 s[0:1], -1
                                        ; implicit-def: $vgpr9
	s_branch .LBB111_1644
.LBB111_1640:
	s_mov_b64 s[0:1], -1
                                        ; implicit-def: $vgpr9
.LBB111_1641:
	s_andn2_b64 vcc, exec, s[0:1]
	s_cbranch_vccnz .LBB111_1643
; %bb.1642:
	global_load_dword v5, v[7:8], off
	s_waitcnt vmcnt(0)
	v_cvt_f32_i32_e32 v9, v5
.LBB111_1643:
	s_mov_b64 s[0:1], 0
.LBB111_1644:
	s_andn2_b64 vcc, exec, s[0:1]
	s_cbranch_vccnz .LBB111_1646
; %bb.1645:
	global_load_sshort v5, v[7:8], off
	s_waitcnt vmcnt(0)
	v_cvt_f32_i32_e32 v9, v5
.LBB111_1646:
	s_mov_b64 s[0:1], 0
.LBB111_1647:
	s_andn2_b64 vcc, exec, s[0:1]
	s_cbranch_vccnz .LBB111_1653
; %bb.1648:
	s_cmp_gt_i32 s2, 0
	s_cbranch_scc0 .LBB111_1650
; %bb.1649:
	global_load_sbyte v5, v[7:8], off
	s_mov_b64 s[0:1], 0
	s_waitcnt vmcnt(0)
	v_cvt_f32_i32_e32 v9, v5
	s_branch .LBB111_1651
.LBB111_1650:
	s_mov_b64 s[0:1], -1
                                        ; implicit-def: $vgpr9
.LBB111_1651:
	s_andn2_b64 vcc, exec, s[0:1]
	s_cbranch_vccnz .LBB111_1653
; %bb.1652:
	global_load_ubyte v5, v[7:8], off
	s_waitcnt vmcnt(0)
	v_cvt_f32_ubyte0_e32 v9, v5
.LBB111_1653:
	s_mov_b64 s[4:5], -1
.LBB111_1654:
	s_andn2_b64 vcc, exec, s[4:5]
	s_cbranch_vccnz .LBB111_2088
; %bb.1655:
	s_load_dwordx2 s[10:11], s[34:35], 0x158
	s_load_dword s2, s[34:35], 0x160
	s_waitcnt lgkmcnt(0)
	v_cmp_eq_f32_e32 vcc, s11, v1
	s_cmp_eq_u32 s10, 0
	v_cndmask_b32_e64 v5, 0, 1, vcc
	v_cmp_neq_f32_e32 vcc, s11, v1
	v_cndmask_b32_e64 v1, 0, 1, vcc
	s_cselect_b64 s[0:1], -1, 0
	v_cndmask_b32_e64 v1, v1, v5, s[0:1]
	v_and_b32_e32 v1, 1, v1
	s_and_b32 s22, s2, 0xff
	v_cmp_eq_u32_e64 s[2:3], 1, v1
	v_mov_b32_e32 v1, s9
	v_add_co_u32_e32 v5, vcc, s8, v6
	s_cmp_lt_i32 s22, 11
	v_addc_co_u32_e32 v6, vcc, 0, v1, vcc
	s_cbranch_scc1 .LBB111_1733
; %bb.1656:
	s_and_b32 s10, 0xffff, s22
	s_mov_b64 s[18:19], -1
	s_mov_b64 s[14:15], 0
	s_cmp_gt_i32 s10, 25
	s_mov_b64 s[16:17], 0
	s_mov_b64 s[4:5], 0
	s_cbranch_scc0 .LBB111_1689
; %bb.1657:
	s_cmp_gt_i32 s10, 28
	s_cbranch_scc0 .LBB111_1672
; %bb.1658:
	s_cmp_gt_i32 s10, 43
	;; [unrolled: 3-line block ×3, first 2 shown]
	s_cbranch_scc0 .LBB111_1662
; %bb.1660:
	s_mov_b64 s[4:5], -1
	s_mov_b64 s[18:19], 0
	s_cmp_eq_u32 s10, 46
	s_cbranch_scc0 .LBB111_1662
; %bb.1661:
	v_cndmask_b32_e64 v1, 0, 1.0, s[2:3]
	v_bfe_u32 v7, v1, 16, 1
	s_movk_i32 s4, 0x7fff
	v_add3_u32 v1, v1, v7, s4
	v_lshrrev_b32_e32 v1, 16, v1
	global_store_dword v[5:6], v1, off
	s_mov_b64 s[4:5], 0
	s_mov_b64 s[16:17], -1
.LBB111_1662:
	s_and_b64 vcc, exec, s[18:19]
	s_cbranch_vccz .LBB111_1667
; %bb.1663:
	s_cmp_eq_u32 s10, 44
	s_mov_b64 s[4:5], -1
	s_cbranch_scc0 .LBB111_1667
; %bb.1664:
	v_cndmask_b32_e64 v7, 0, 1.0, s[2:3]
	v_lshrrev_b32_e32 v1, 23, v7
	s_movk_i32 s4, 0xff
	v_cmp_ne_u32_e32 vcc, s4, v1
	v_mov_b32_e32 v8, 0xff
	s_and_saveexec_b64 s[16:17], vcc
; %bb.1665:
	s_mov_b32 s4, 0x3fffff
	v_and_b32_e32 v8, 0x400000, v7
	v_and_or_b32 v7, v7, s4, v1
	v_cmp_ne_u32_e32 vcc, 0, v8
	v_cmp_ne_u32_e64 s[4:5], 0, v7
	s_and_b64 s[4:5], vcc, s[4:5]
	v_cndmask_b32_e64 v7, 0, 1, s[4:5]
	v_add_u32_e32 v8, v1, v7
; %bb.1666:
	s_or_b64 exec, exec, s[16:17]
	s_mov_b64 s[4:5], 0
	s_mov_b64 s[16:17], -1
	global_store_byte v[5:6], v8, off
.LBB111_1667:
	s_mov_b64 s[18:19], 0
.LBB111_1668:
	s_and_b64 vcc, exec, s[18:19]
	s_cbranch_vccz .LBB111_1671
; %bb.1669:
	s_cmp_eq_u32 s10, 29
	s_mov_b64 s[4:5], -1
	s_cbranch_scc0 .LBB111_1671
; %bb.1670:
	s_mov_b32 s4, 0
	v_cndmask_b32_e64 v7, 0, 1, s[2:3]
	v_mov_b32_e32 v8, s4
	global_store_dwordx2 v[5:6], v[7:8], off
	s_mov_b64 s[4:5], 0
	s_mov_b64 s[16:17], -1
.LBB111_1671:
	s_mov_b64 s[18:19], 0
.LBB111_1672:
	s_and_b64 vcc, exec, s[18:19]
	s_cbranch_vccz .LBB111_1688
; %bb.1673:
	s_cmp_lt_i32 s10, 27
	s_mov_b64 s[16:17], -1
	s_cbranch_scc1 .LBB111_1679
; %bb.1674:
	s_cmp_gt_i32 s10, 27
	s_cbranch_scc0 .LBB111_1676
; %bb.1675:
	v_cndmask_b32_e64 v1, 0, 1, s[2:3]
	s_mov_b64 s[16:17], 0
	global_store_dword v[5:6], v1, off
.LBB111_1676:
	s_andn2_b64 vcc, exec, s[16:17]
	s_cbranch_vccnz .LBB111_1678
; %bb.1677:
	v_cndmask_b32_e64 v1, 0, 1, s[2:3]
	global_store_short v[5:6], v1, off
.LBB111_1678:
	s_mov_b64 s[16:17], 0
.LBB111_1679:
	s_andn2_b64 vcc, exec, s[16:17]
	s_cbranch_vccnz .LBB111_1687
; %bb.1680:
	v_cndmask_b32_e64 v7, 0, 1.0, s[2:3]
	s_mov_b32 s16, 0x43800000
	v_cmp_gt_u32_e32 vcc, s16, v7
	v_mov_b32_e32 v8, 0x80
	s_and_saveexec_b64 s[16:17], vcc
	s_cbranch_execz .LBB111_1686
; %bb.1681:
	s_mov_b32 s18, 0x3bffffff
	v_cmp_lt_u32_e32 vcc, s18, v7
	s_mov_b64 s[18:19], 0
                                        ; implicit-def: $vgpr1
	s_and_saveexec_b64 s[20:21], vcc
	s_xor_b64 s[20:21], exec, s[20:21]
	s_cbranch_execz .LBB111_2135
; %bb.1682:
	v_bfe_u32 v1, v7, 20, 1
	s_mov_b32 s23, 0x487ffff
	v_add3_u32 v1, v7, v1, s23
	s_mov_b64 s[18:19], exec
	v_lshrrev_b32_e32 v1, 20, v1
                                        ; implicit-def: $vgpr7
	s_andn2_saveexec_b64 s[20:21], s[20:21]
	s_cbranch_execnz .LBB111_2136
.LBB111_1683:
	s_or_b64 exec, exec, s[20:21]
	v_mov_b32_e32 v8, 0
	s_and_saveexec_b64 s[20:21], s[18:19]
.LBB111_1684:
	v_mov_b32_e32 v8, v1
.LBB111_1685:
	s_or_b64 exec, exec, s[20:21]
.LBB111_1686:
	s_or_b64 exec, exec, s[16:17]
	global_store_byte v[5:6], v8, off
.LBB111_1687:
	s_mov_b64 s[16:17], -1
.LBB111_1688:
	s_mov_b64 s[18:19], 0
.LBB111_1689:
	s_and_b64 vcc, exec, s[18:19]
	s_cbranch_vccz .LBB111_1729
; %bb.1690:
	s_cmp_gt_i32 s10, 22
	s_mov_b64 s[14:15], -1
	s_cbranch_scc0 .LBB111_1722
; %bb.1691:
	s_cmp_lt_i32 s10, 24
	s_cbranch_scc1 .LBB111_1711
; %bb.1692:
	s_cmp_gt_i32 s10, 24
	s_cbranch_scc0 .LBB111_1700
; %bb.1693:
	v_cndmask_b32_e64 v7, 0, 1.0, s[2:3]
	s_mov_b32 s14, 0x47800000
	v_cmp_gt_u32_e32 vcc, s14, v7
	v_mov_b32_e32 v8, 0x80
	s_and_saveexec_b64 s[14:15], vcc
	s_cbranch_execz .LBB111_1699
; %bb.1694:
	s_mov_b32 s16, 0x37ffffff
	v_cmp_lt_u32_e32 vcc, s16, v7
	s_mov_b64 s[16:17], 0
                                        ; implicit-def: $vgpr1
	s_and_saveexec_b64 s[18:19], vcc
	s_xor_b64 s[18:19], exec, s[18:19]
	s_cbranch_execz .LBB111_2138
; %bb.1695:
	v_bfe_u32 v1, v7, 21, 1
	s_mov_b32 s20, 0x88fffff
	v_add3_u32 v1, v7, v1, s20
	s_mov_b64 s[16:17], exec
	v_lshrrev_b32_e32 v1, 21, v1
                                        ; implicit-def: $vgpr7
	s_andn2_saveexec_b64 s[18:19], s[18:19]
	s_cbranch_execnz .LBB111_2139
.LBB111_1696:
	s_or_b64 exec, exec, s[18:19]
	v_mov_b32_e32 v8, 0
	s_and_saveexec_b64 s[18:19], s[16:17]
.LBB111_1697:
	v_mov_b32_e32 v8, v1
.LBB111_1698:
	s_or_b64 exec, exec, s[18:19]
.LBB111_1699:
	s_or_b64 exec, exec, s[14:15]
	s_mov_b64 s[14:15], 0
	global_store_byte v[5:6], v8, off
.LBB111_1700:
	s_and_b64 vcc, exec, s[14:15]
	s_cbranch_vccz .LBB111_1710
; %bb.1701:
	v_cndmask_b32_e64 v1, 0, 1.0, s[2:3]
	s_mov_b32 s14, 0x43f00000
	v_cmp_gt_u32_e32 vcc, s14, v1
                                        ; implicit-def: $vgpr7
	s_and_saveexec_b64 s[14:15], vcc
	s_xor_b64 s[14:15], exec, s[14:15]
	s_cbranch_execz .LBB111_1707
; %bb.1702:
	s_mov_b32 s16, 0x3c7fffff
	v_cmp_lt_u32_e32 vcc, s16, v1
                                        ; implicit-def: $vgpr7
	s_and_saveexec_b64 s[16:17], vcc
	s_xor_b64 s[16:17], exec, s[16:17]
; %bb.1703:
	v_bfe_u32 v7, v1, 20, 1
	s_mov_b32 s18, 0x407ffff
	v_add3_u32 v1, v1, v7, s18
	v_lshrrev_b32_e32 v7, 20, v1
	v_and_b32_e32 v1, 0xff00000, v1
	s_mov_b32 s18, 0x7f00000
	v_mov_b32_e32 v8, 0x7e
	v_cmp_ne_u32_e32 vcc, s18, v1
	v_cndmask_b32_e32 v7, v8, v7, vcc
                                        ; implicit-def: $vgpr1
; %bb.1704:
	s_andn2_saveexec_b64 s[16:17], s[16:17]
; %bb.1705:
	v_add_f32_e32 v7, 0x46800000, v1
; %bb.1706:
	s_or_b64 exec, exec, s[16:17]
                                        ; implicit-def: $vgpr1
.LBB111_1707:
	s_andn2_saveexec_b64 s[14:15], s[14:15]
; %bb.1708:
	s_mov_b32 s16, 0x7f800000
	v_mov_b32_e32 v7, 0x7e
	v_mov_b32_e32 v8, 0x7f
	v_cmp_lt_u32_e32 vcc, s16, v1
	v_cndmask_b32_e32 v7, v7, v8, vcc
; %bb.1709:
	s_or_b64 exec, exec, s[14:15]
	global_store_byte v[5:6], v7, off
.LBB111_1710:
	s_mov_b64 s[14:15], 0
.LBB111_1711:
	s_andn2_b64 vcc, exec, s[14:15]
	s_cbranch_vccnz .LBB111_1721
; %bb.1712:
	v_cndmask_b32_e64 v1, 0, 1.0, s[2:3]
	s_mov_b32 s14, 0x47800000
	v_cmp_gt_u32_e32 vcc, s14, v1
                                        ; implicit-def: $vgpr7
	s_and_saveexec_b64 s[14:15], vcc
	s_xor_b64 s[14:15], exec, s[14:15]
	s_cbranch_execz .LBB111_1718
; %bb.1713:
	s_mov_b32 s16, 0x387fffff
	v_cmp_lt_u32_e32 vcc, s16, v1
                                        ; implicit-def: $vgpr7
	s_and_saveexec_b64 s[16:17], vcc
	s_xor_b64 s[16:17], exec, s[16:17]
; %bb.1714:
	v_bfe_u32 v7, v1, 21, 1
	s_mov_b32 s18, 0x80fffff
	v_add3_u32 v1, v1, v7, s18
	v_lshrrev_b32_e32 v7, 21, v1
                                        ; implicit-def: $vgpr1
; %bb.1715:
	s_andn2_saveexec_b64 s[16:17], s[16:17]
; %bb.1716:
	v_add_f32_e32 v7, 0x43000000, v1
; %bb.1717:
	s_or_b64 exec, exec, s[16:17]
                                        ; implicit-def: $vgpr1
.LBB111_1718:
	s_andn2_saveexec_b64 s[14:15], s[14:15]
; %bb.1719:
	s_mov_b32 s16, 0x7f800000
	v_mov_b32_e32 v7, 0x7c
	v_mov_b32_e32 v8, 0x7f
	v_cmp_lt_u32_e32 vcc, s16, v1
	v_cndmask_b32_e32 v7, v7, v8, vcc
; %bb.1720:
	s_or_b64 exec, exec, s[14:15]
	global_store_byte v[5:6], v7, off
.LBB111_1721:
	s_mov_b64 s[14:15], 0
	s_mov_b64 s[16:17], -1
.LBB111_1722:
	s_andn2_b64 vcc, exec, s[14:15]
	s_mov_b64 s[14:15], 0
	s_cbranch_vccnz .LBB111_1729
; %bb.1723:
	s_cmp_gt_i32 s10, 14
	s_mov_b64 s[18:19], -1
	s_cbranch_scc0 .LBB111_1727
; %bb.1724:
	s_cmp_eq_u32 s10, 15
	s_mov_b64 s[4:5], -1
	s_cbranch_scc0 .LBB111_1726
; %bb.1725:
	v_cndmask_b32_e64 v1, 0, 1.0, s[2:3]
	v_bfe_u32 v7, v1, 16, 1
	s_movk_i32 s4, 0x7fff
	v_add3_u32 v1, v1, v7, s4
	global_store_short_d16_hi v[5:6], v1, off
	s_mov_b64 s[4:5], 0
	s_mov_b64 s[16:17], -1
.LBB111_1726:
	s_mov_b64 s[18:19], 0
.LBB111_1727:
	s_and_b64 vcc, exec, s[18:19]
	s_cbranch_vccz .LBB111_1729
; %bb.1728:
	s_cmp_lg_u32 s10, 11
	s_mov_b64 s[14:15], -1
	s_cselect_b64 s[4:5], -1, 0
.LBB111_1729:
	s_and_b64 vcc, exec, s[4:5]
	s_cbranch_vccnz .LBB111_2137
; %bb.1730:
	s_andn2_b64 vcc, exec, s[14:15]
	s_cbranch_vccnz .LBB111_1732
.LBB111_1731:
	v_cndmask_b32_e64 v1, 0, 1, s[2:3]
	s_mov_b64 s[16:17], -1
	global_store_byte v[5:6], v1, off
.LBB111_1732:
	s_mov_b64 s[4:5], 0
	s_branch .LBB111_1734
.LBB111_1733:
	s_mov_b64 s[4:5], -1
	s_mov_b64 s[16:17], 0
.LBB111_1734:
	s_and_b64 vcc, exec, s[4:5]
	s_cbranch_vccz .LBB111_1773
; %bb.1735:
	s_and_b32 s10, 0xffff, s22
	s_cmp_lt_i32 s10, 5
	s_mov_b64 s[4:5], -1
	s_cbranch_scc1 .LBB111_1756
; %bb.1736:
	s_cmp_lt_i32 s10, 8
	s_cbranch_scc1 .LBB111_1746
; %bb.1737:
	s_cmp_lt_i32 s10, 9
	s_cbranch_scc1 .LBB111_1743
; %bb.1738:
	s_cmp_gt_i32 s10, 9
	s_cbranch_scc0 .LBB111_1740
; %bb.1739:
	v_cndmask_b32_e64 v1, 0, 1, s[2:3]
	v_cvt_f64_u32_e32 v[11:12], v1
	v_mov_b32_e32 v13, 0
	v_mov_b32_e32 v14, v13
	s_mov_b64 s[4:5], 0
	global_store_dwordx4 v[5:6], v[11:14], off
.LBB111_1740:
	s_andn2_b64 vcc, exec, s[4:5]
	s_cbranch_vccnz .LBB111_1742
; %bb.1741:
	v_cndmask_b32_e64 v7, 0, 1.0, s[2:3]
	v_mov_b32_e32 v8, 0
	global_store_dwordx2 v[5:6], v[7:8], off
.LBB111_1742:
	s_mov_b64 s[4:5], 0
.LBB111_1743:
	s_andn2_b64 vcc, exec, s[4:5]
	s_cbranch_vccnz .LBB111_1745
; %bb.1744:
	v_cndmask_b32_e64 v1, 0, 1.0, s[2:3]
	v_cvt_f16_f32_e32 v1, v1
	global_store_dword v[5:6], v1, off
.LBB111_1745:
	s_mov_b64 s[4:5], 0
.LBB111_1746:
	s_andn2_b64 vcc, exec, s[4:5]
	s_cbranch_vccnz .LBB111_1755
; %bb.1747:
	s_cmp_lt_i32 s10, 6
	s_mov_b64 s[4:5], -1
	s_cbranch_scc1 .LBB111_1753
; %bb.1748:
	s_cmp_gt_i32 s10, 6
	s_cbranch_scc0 .LBB111_1750
; %bb.1749:
	v_cndmask_b32_e64 v1, 0, 1, s[2:3]
	v_cvt_f64_u32_e32 v[7:8], v1
	s_mov_b64 s[4:5], 0
	global_store_dwordx2 v[5:6], v[7:8], off
.LBB111_1750:
	s_andn2_b64 vcc, exec, s[4:5]
	s_cbranch_vccnz .LBB111_1752
; %bb.1751:
	v_cndmask_b32_e64 v1, 0, 1.0, s[2:3]
	global_store_dword v[5:6], v1, off
.LBB111_1752:
	s_mov_b64 s[4:5], 0
.LBB111_1753:
	s_andn2_b64 vcc, exec, s[4:5]
	s_cbranch_vccnz .LBB111_1755
; %bb.1754:
	v_cndmask_b32_e64 v1, 0, 1.0, s[2:3]
	v_cvt_f16_f32_e32 v1, v1
	global_store_short v[5:6], v1, off
.LBB111_1755:
	s_mov_b64 s[4:5], 0
.LBB111_1756:
	s_andn2_b64 vcc, exec, s[4:5]
	s_cbranch_vccnz .LBB111_1772
; %bb.1757:
	s_cmp_lt_i32 s10, 2
	s_mov_b64 s[4:5], -1
	s_cbranch_scc1 .LBB111_1767
; %bb.1758:
	s_cmp_lt_i32 s10, 3
	s_cbranch_scc1 .LBB111_1764
; %bb.1759:
	s_cmp_gt_i32 s10, 3
	s_cbranch_scc0 .LBB111_1761
; %bb.1760:
	s_mov_b32 s4, 0
	v_cndmask_b32_e64 v7, 0, 1, s[2:3]
	v_mov_b32_e32 v8, s4
	global_store_dwordx2 v[5:6], v[7:8], off
	s_mov_b64 s[4:5], 0
.LBB111_1761:
	s_andn2_b64 vcc, exec, s[4:5]
	s_cbranch_vccnz .LBB111_1763
; %bb.1762:
	v_cndmask_b32_e64 v1, 0, 1, s[2:3]
	global_store_dword v[5:6], v1, off
.LBB111_1763:
	s_mov_b64 s[4:5], 0
.LBB111_1764:
	s_andn2_b64 vcc, exec, s[4:5]
	s_cbranch_vccnz .LBB111_1766
; %bb.1765:
	v_cndmask_b32_e64 v1, 0, 1, s[2:3]
	global_store_short v[5:6], v1, off
.LBB111_1766:
	s_mov_b64 s[4:5], 0
.LBB111_1767:
	s_andn2_b64 vcc, exec, s[4:5]
	s_cbranch_vccnz .LBB111_1772
; %bb.1768:
	s_mov_b64 s[4:5], -1
	s_cmp_gt_i32 s10, 0
	v_cndmask_b32_e64 v1, 0, 1, s[2:3]
	s_cbranch_scc0 .LBB111_1770
; %bb.1769:
	global_store_byte v[5:6], v1, off
	s_mov_b64 s[4:5], 0
.LBB111_1770:
	s_andn2_b64 vcc, exec, s[4:5]
	s_cbranch_vccnz .LBB111_1772
; %bb.1771:
	global_store_byte v[5:6], v1, off
.LBB111_1772:
	s_mov_b64 s[16:17], -1
.LBB111_1773:
	s_andn2_b64 vcc, exec, s[16:17]
	s_cbranch_vccnz .LBB111_2088
; %bb.1774:
	s_waitcnt vmcnt(0)
	v_cmp_eq_f32_e32 vcc, s11, v3
	v_cndmask_b32_e64 v1, 0, 1, vcc
	v_cmp_neq_f32_e32 vcc, s11, v3
	v_cndmask_b32_e64 v3, 0, 1, vcc
	v_cndmask_b32_e64 v1, v3, v1, s[0:1]
	v_and_b32_e32 v1, 1, v1
	v_cmp_eq_u32_e64 s[2:3], 1, v1
	v_mov_b32_e32 v1, s9
	s_and_b32 s23, 0xffff, s22
	v_add_co_u32_e32 v3, vcc, s8, v4
	s_cmp_lt_i32 s23, 11
	v_addc_co_u32_e32 v4, vcc, 0, v1, vcc
	s_cbranch_scc1 .LBB111_1852
; %bb.1775:
	s_mov_b64 s[18:19], -1
	s_mov_b64 s[14:15], 0
	s_cmp_gt_i32 s23, 25
	s_mov_b64 s[16:17], 0
	s_mov_b64 s[4:5], 0
	s_cbranch_scc0 .LBB111_1808
; %bb.1776:
	s_cmp_gt_i32 s23, 28
	s_cbranch_scc0 .LBB111_1791
; %bb.1777:
	s_cmp_gt_i32 s23, 43
	;; [unrolled: 3-line block ×3, first 2 shown]
	s_cbranch_scc0 .LBB111_1781
; %bb.1779:
	s_mov_b64 s[4:5], -1
	s_mov_b64 s[18:19], 0
	s_cmp_eq_u32 s23, 46
	s_cbranch_scc0 .LBB111_1781
; %bb.1780:
	v_cndmask_b32_e64 v1, 0, 1.0, s[2:3]
	v_bfe_u32 v5, v1, 16, 1
	s_movk_i32 s4, 0x7fff
	v_add3_u32 v1, v1, v5, s4
	v_lshrrev_b32_e32 v1, 16, v1
	global_store_dword v[3:4], v1, off
	s_mov_b64 s[4:5], 0
	s_mov_b64 s[16:17], -1
.LBB111_1781:
	s_and_b64 vcc, exec, s[18:19]
	s_cbranch_vccz .LBB111_1786
; %bb.1782:
	s_cmp_eq_u32 s23, 44
	s_mov_b64 s[4:5], -1
	s_cbranch_scc0 .LBB111_1786
; %bb.1783:
	v_cndmask_b32_e64 v5, 0, 1.0, s[2:3]
	v_lshrrev_b32_e32 v1, 23, v5
	s_movk_i32 s4, 0xff
	v_cmp_ne_u32_e32 vcc, s4, v1
	v_mov_b32_e32 v6, 0xff
	s_and_saveexec_b64 s[16:17], vcc
; %bb.1784:
	s_mov_b32 s4, 0x3fffff
	v_and_b32_e32 v6, 0x400000, v5
	v_and_or_b32 v5, v5, s4, v1
	v_cmp_ne_u32_e32 vcc, 0, v6
	v_cmp_ne_u32_e64 s[4:5], 0, v5
	s_and_b64 s[4:5], vcc, s[4:5]
	v_cndmask_b32_e64 v5, 0, 1, s[4:5]
	v_add_u32_e32 v6, v1, v5
; %bb.1785:
	s_or_b64 exec, exec, s[16:17]
	s_mov_b64 s[4:5], 0
	s_mov_b64 s[16:17], -1
	global_store_byte v[3:4], v6, off
.LBB111_1786:
	s_mov_b64 s[18:19], 0
.LBB111_1787:
	s_and_b64 vcc, exec, s[18:19]
	s_cbranch_vccz .LBB111_1790
; %bb.1788:
	s_cmp_eq_u32 s23, 29
	s_mov_b64 s[4:5], -1
	s_cbranch_scc0 .LBB111_1790
; %bb.1789:
	s_mov_b32 s4, 0
	v_cndmask_b32_e64 v5, 0, 1, s[2:3]
	v_mov_b32_e32 v6, s4
	global_store_dwordx2 v[3:4], v[5:6], off
	s_mov_b64 s[4:5], 0
	s_mov_b64 s[16:17], -1
.LBB111_1790:
	s_mov_b64 s[18:19], 0
.LBB111_1791:
	s_and_b64 vcc, exec, s[18:19]
	s_cbranch_vccz .LBB111_1807
; %bb.1792:
	s_cmp_lt_i32 s23, 27
	s_mov_b64 s[16:17], -1
	s_cbranch_scc1 .LBB111_1798
; %bb.1793:
	s_cmp_gt_i32 s23, 27
	s_cbranch_scc0 .LBB111_1795
; %bb.1794:
	v_cndmask_b32_e64 v1, 0, 1, s[2:3]
	s_mov_b64 s[16:17], 0
	global_store_dword v[3:4], v1, off
.LBB111_1795:
	s_andn2_b64 vcc, exec, s[16:17]
	s_cbranch_vccnz .LBB111_1797
; %bb.1796:
	v_cndmask_b32_e64 v1, 0, 1, s[2:3]
	global_store_short v[3:4], v1, off
.LBB111_1797:
	s_mov_b64 s[16:17], 0
.LBB111_1798:
	s_andn2_b64 vcc, exec, s[16:17]
	s_cbranch_vccnz .LBB111_1806
; %bb.1799:
	v_cndmask_b32_e64 v5, 0, 1.0, s[2:3]
	s_mov_b32 s10, 0x43800000
	v_cmp_gt_u32_e32 vcc, s10, v5
	v_mov_b32_e32 v6, 0x80
	s_and_saveexec_b64 s[16:17], vcc
	s_cbranch_execz .LBB111_1805
; %bb.1800:
	s_mov_b32 s10, 0x3bffffff
	v_cmp_lt_u32_e32 vcc, s10, v5
	s_mov_b64 s[18:19], 0
                                        ; implicit-def: $vgpr1
	s_and_saveexec_b64 s[20:21], vcc
	s_xor_b64 s[20:21], exec, s[20:21]
	s_cbranch_execz .LBB111_2140
; %bb.1801:
	v_bfe_u32 v1, v5, 20, 1
	s_mov_b32 s10, 0x487ffff
	v_add3_u32 v1, v5, v1, s10
	s_mov_b64 s[18:19], exec
	v_lshrrev_b32_e32 v1, 20, v1
                                        ; implicit-def: $vgpr5
	s_andn2_saveexec_b64 s[20:21], s[20:21]
	s_cbranch_execnz .LBB111_2141
.LBB111_1802:
	s_or_b64 exec, exec, s[20:21]
	v_mov_b32_e32 v6, 0
	s_and_saveexec_b64 s[20:21], s[18:19]
.LBB111_1803:
	v_mov_b32_e32 v6, v1
.LBB111_1804:
	s_or_b64 exec, exec, s[20:21]
.LBB111_1805:
	s_or_b64 exec, exec, s[16:17]
	global_store_byte v[3:4], v6, off
.LBB111_1806:
	s_mov_b64 s[16:17], -1
.LBB111_1807:
	s_mov_b64 s[18:19], 0
.LBB111_1808:
	s_and_b64 vcc, exec, s[18:19]
	s_cbranch_vccz .LBB111_1848
; %bb.1809:
	s_cmp_gt_i32 s23, 22
	s_mov_b64 s[14:15], -1
	s_cbranch_scc0 .LBB111_1841
; %bb.1810:
	s_cmp_lt_i32 s23, 24
	s_cbranch_scc1 .LBB111_1830
; %bb.1811:
	s_cmp_gt_i32 s23, 24
	s_cbranch_scc0 .LBB111_1819
; %bb.1812:
	v_cndmask_b32_e64 v5, 0, 1.0, s[2:3]
	s_mov_b32 s10, 0x47800000
	v_cmp_gt_u32_e32 vcc, s10, v5
	v_mov_b32_e32 v6, 0x80
	s_and_saveexec_b64 s[14:15], vcc
	s_cbranch_execz .LBB111_1818
; %bb.1813:
	s_mov_b32 s10, 0x37ffffff
	v_cmp_lt_u32_e32 vcc, s10, v5
	s_mov_b64 s[16:17], 0
                                        ; implicit-def: $vgpr1
	s_and_saveexec_b64 s[18:19], vcc
	s_xor_b64 s[18:19], exec, s[18:19]
	s_cbranch_execz .LBB111_2143
; %bb.1814:
	v_bfe_u32 v1, v5, 21, 1
	s_mov_b32 s10, 0x88fffff
	v_add3_u32 v1, v5, v1, s10
	s_mov_b64 s[16:17], exec
	v_lshrrev_b32_e32 v1, 21, v1
                                        ; implicit-def: $vgpr5
	s_andn2_saveexec_b64 s[18:19], s[18:19]
	s_cbranch_execnz .LBB111_2144
.LBB111_1815:
	s_or_b64 exec, exec, s[18:19]
	v_mov_b32_e32 v6, 0
	s_and_saveexec_b64 s[18:19], s[16:17]
.LBB111_1816:
	v_mov_b32_e32 v6, v1
.LBB111_1817:
	s_or_b64 exec, exec, s[18:19]
.LBB111_1818:
	s_or_b64 exec, exec, s[14:15]
	s_mov_b64 s[14:15], 0
	global_store_byte v[3:4], v6, off
.LBB111_1819:
	s_and_b64 vcc, exec, s[14:15]
	s_cbranch_vccz .LBB111_1829
; %bb.1820:
	v_cndmask_b32_e64 v1, 0, 1.0, s[2:3]
	s_mov_b32 s10, 0x43f00000
	v_cmp_gt_u32_e32 vcc, s10, v1
                                        ; implicit-def: $vgpr5
	s_and_saveexec_b64 s[14:15], vcc
	s_xor_b64 s[14:15], exec, s[14:15]
	s_cbranch_execz .LBB111_1826
; %bb.1821:
	s_mov_b32 s10, 0x3c7fffff
	v_cmp_lt_u32_e32 vcc, s10, v1
                                        ; implicit-def: $vgpr5
	s_and_saveexec_b64 s[16:17], vcc
	s_xor_b64 s[16:17], exec, s[16:17]
; %bb.1822:
	v_bfe_u32 v5, v1, 20, 1
	s_mov_b32 s10, 0x407ffff
	v_add3_u32 v1, v1, v5, s10
	v_lshrrev_b32_e32 v5, 20, v1
	v_and_b32_e32 v1, 0xff00000, v1
	s_mov_b32 s10, 0x7f00000
	v_mov_b32_e32 v6, 0x7e
	v_cmp_ne_u32_e32 vcc, s10, v1
	v_cndmask_b32_e32 v5, v6, v5, vcc
                                        ; implicit-def: $vgpr1
; %bb.1823:
	s_andn2_saveexec_b64 s[16:17], s[16:17]
; %bb.1824:
	v_add_f32_e32 v5, 0x46800000, v1
; %bb.1825:
	s_or_b64 exec, exec, s[16:17]
                                        ; implicit-def: $vgpr1
.LBB111_1826:
	s_andn2_saveexec_b64 s[14:15], s[14:15]
; %bb.1827:
	s_mov_b32 s10, 0x7f800000
	v_mov_b32_e32 v5, 0x7e
	v_mov_b32_e32 v6, 0x7f
	v_cmp_lt_u32_e32 vcc, s10, v1
	v_cndmask_b32_e32 v5, v5, v6, vcc
; %bb.1828:
	s_or_b64 exec, exec, s[14:15]
	global_store_byte v[3:4], v5, off
.LBB111_1829:
	s_mov_b64 s[14:15], 0
.LBB111_1830:
	s_andn2_b64 vcc, exec, s[14:15]
	s_cbranch_vccnz .LBB111_1840
; %bb.1831:
	v_cndmask_b32_e64 v1, 0, 1.0, s[2:3]
	s_mov_b32 s10, 0x47800000
	v_cmp_gt_u32_e32 vcc, s10, v1
                                        ; implicit-def: $vgpr5
	s_and_saveexec_b64 s[14:15], vcc
	s_xor_b64 s[14:15], exec, s[14:15]
	s_cbranch_execz .LBB111_1837
; %bb.1832:
	s_mov_b32 s10, 0x387fffff
	v_cmp_lt_u32_e32 vcc, s10, v1
                                        ; implicit-def: $vgpr5
	s_and_saveexec_b64 s[16:17], vcc
	s_xor_b64 s[16:17], exec, s[16:17]
; %bb.1833:
	v_bfe_u32 v5, v1, 21, 1
	s_mov_b32 s10, 0x80fffff
	v_add3_u32 v1, v1, v5, s10
	v_lshrrev_b32_e32 v5, 21, v1
                                        ; implicit-def: $vgpr1
; %bb.1834:
	s_andn2_saveexec_b64 s[16:17], s[16:17]
; %bb.1835:
	v_add_f32_e32 v5, 0x43000000, v1
; %bb.1836:
	s_or_b64 exec, exec, s[16:17]
                                        ; implicit-def: $vgpr1
.LBB111_1837:
	s_andn2_saveexec_b64 s[14:15], s[14:15]
; %bb.1838:
	s_mov_b32 s10, 0x7f800000
	v_mov_b32_e32 v5, 0x7c
	v_mov_b32_e32 v6, 0x7f
	v_cmp_lt_u32_e32 vcc, s10, v1
	v_cndmask_b32_e32 v5, v5, v6, vcc
; %bb.1839:
	s_or_b64 exec, exec, s[14:15]
	global_store_byte v[3:4], v5, off
.LBB111_1840:
	s_mov_b64 s[14:15], 0
	s_mov_b64 s[16:17], -1
.LBB111_1841:
	s_andn2_b64 vcc, exec, s[14:15]
	s_mov_b64 s[14:15], 0
	s_cbranch_vccnz .LBB111_1848
; %bb.1842:
	s_cmp_gt_i32 s23, 14
	s_mov_b64 s[18:19], -1
	s_cbranch_scc0 .LBB111_1846
; %bb.1843:
	s_cmp_eq_u32 s23, 15
	s_mov_b64 s[4:5], -1
	s_cbranch_scc0 .LBB111_1845
; %bb.1844:
	v_cndmask_b32_e64 v1, 0, 1.0, s[2:3]
	v_bfe_u32 v5, v1, 16, 1
	s_movk_i32 s4, 0x7fff
	v_add3_u32 v1, v1, v5, s4
	global_store_short_d16_hi v[3:4], v1, off
	s_mov_b64 s[4:5], 0
	s_mov_b64 s[16:17], -1
.LBB111_1845:
	s_mov_b64 s[18:19], 0
.LBB111_1846:
	s_and_b64 vcc, exec, s[18:19]
	s_cbranch_vccz .LBB111_1848
; %bb.1847:
	s_cmp_lg_u32 s23, 11
	s_mov_b64 s[14:15], -1
	s_cselect_b64 s[4:5], -1, 0
.LBB111_1848:
	s_and_b64 vcc, exec, s[4:5]
	s_cbranch_vccnz .LBB111_2142
; %bb.1849:
	s_andn2_b64 vcc, exec, s[14:15]
	s_cbranch_vccnz .LBB111_1851
.LBB111_1850:
	v_cndmask_b32_e64 v1, 0, 1, s[2:3]
	s_mov_b64 s[16:17], -1
	global_store_byte v[3:4], v1, off
.LBB111_1851:
	s_mov_b64 s[4:5], 0
	s_branch .LBB111_1853
.LBB111_1852:
	s_mov_b64 s[4:5], -1
	s_mov_b64 s[16:17], 0
.LBB111_1853:
	s_and_b64 vcc, exec, s[4:5]
	s_cbranch_vccz .LBB111_1892
; %bb.1854:
	s_cmp_lt_i32 s23, 5
	s_mov_b64 s[4:5], -1
	s_cbranch_scc1 .LBB111_1875
; %bb.1855:
	s_cmp_lt_i32 s23, 8
	s_cbranch_scc1 .LBB111_1865
; %bb.1856:
	s_cmp_lt_i32 s23, 9
	s_cbranch_scc1 .LBB111_1862
; %bb.1857:
	s_cmp_gt_i32 s23, 9
	s_cbranch_scc0 .LBB111_1859
; %bb.1858:
	v_cndmask_b32_e64 v1, 0, 1, s[2:3]
	v_cvt_f64_u32_e32 v[5:6], v1
	v_mov_b32_e32 v7, 0
	v_mov_b32_e32 v8, v7
	s_mov_b64 s[4:5], 0
	global_store_dwordx4 v[3:4], v[5:8], off
.LBB111_1859:
	s_andn2_b64 vcc, exec, s[4:5]
	s_cbranch_vccnz .LBB111_1861
; %bb.1860:
	v_cndmask_b32_e64 v5, 0, 1.0, s[2:3]
	v_mov_b32_e32 v6, 0
	global_store_dwordx2 v[3:4], v[5:6], off
.LBB111_1861:
	s_mov_b64 s[4:5], 0
.LBB111_1862:
	s_andn2_b64 vcc, exec, s[4:5]
	s_cbranch_vccnz .LBB111_1864
; %bb.1863:
	v_cndmask_b32_e64 v1, 0, 1.0, s[2:3]
	v_cvt_f16_f32_e32 v1, v1
	global_store_dword v[3:4], v1, off
.LBB111_1864:
	s_mov_b64 s[4:5], 0
.LBB111_1865:
	s_andn2_b64 vcc, exec, s[4:5]
	s_cbranch_vccnz .LBB111_1874
; %bb.1866:
	s_cmp_lt_i32 s23, 6
	s_mov_b64 s[4:5], -1
	s_cbranch_scc1 .LBB111_1872
; %bb.1867:
	s_cmp_gt_i32 s23, 6
	s_cbranch_scc0 .LBB111_1869
; %bb.1868:
	v_cndmask_b32_e64 v1, 0, 1, s[2:3]
	v_cvt_f64_u32_e32 v[5:6], v1
	s_mov_b64 s[4:5], 0
	global_store_dwordx2 v[3:4], v[5:6], off
.LBB111_1869:
	s_andn2_b64 vcc, exec, s[4:5]
	s_cbranch_vccnz .LBB111_1871
; %bb.1870:
	v_cndmask_b32_e64 v1, 0, 1.0, s[2:3]
	global_store_dword v[3:4], v1, off
.LBB111_1871:
	s_mov_b64 s[4:5], 0
.LBB111_1872:
	s_andn2_b64 vcc, exec, s[4:5]
	s_cbranch_vccnz .LBB111_1874
; %bb.1873:
	v_cndmask_b32_e64 v1, 0, 1.0, s[2:3]
	v_cvt_f16_f32_e32 v1, v1
	global_store_short v[3:4], v1, off
.LBB111_1874:
	s_mov_b64 s[4:5], 0
.LBB111_1875:
	s_andn2_b64 vcc, exec, s[4:5]
	s_cbranch_vccnz .LBB111_1891
; %bb.1876:
	s_cmp_lt_i32 s23, 2
	s_mov_b64 s[4:5], -1
	s_cbranch_scc1 .LBB111_1886
; %bb.1877:
	s_cmp_lt_i32 s23, 3
	s_cbranch_scc1 .LBB111_1883
; %bb.1878:
	s_cmp_gt_i32 s23, 3
	s_cbranch_scc0 .LBB111_1880
; %bb.1879:
	s_mov_b32 s4, 0
	v_cndmask_b32_e64 v5, 0, 1, s[2:3]
	v_mov_b32_e32 v6, s4
	global_store_dwordx2 v[3:4], v[5:6], off
	s_mov_b64 s[4:5], 0
.LBB111_1880:
	s_andn2_b64 vcc, exec, s[4:5]
	s_cbranch_vccnz .LBB111_1882
; %bb.1881:
	v_cndmask_b32_e64 v1, 0, 1, s[2:3]
	global_store_dword v[3:4], v1, off
.LBB111_1882:
	s_mov_b64 s[4:5], 0
.LBB111_1883:
	s_andn2_b64 vcc, exec, s[4:5]
	s_cbranch_vccnz .LBB111_1885
; %bb.1884:
	v_cndmask_b32_e64 v1, 0, 1, s[2:3]
	global_store_short v[3:4], v1, off
.LBB111_1885:
	s_mov_b64 s[4:5], 0
.LBB111_1886:
	s_andn2_b64 vcc, exec, s[4:5]
	s_cbranch_vccnz .LBB111_1891
; %bb.1887:
	s_mov_b64 s[4:5], -1
	s_cmp_gt_i32 s23, 0
	v_cndmask_b32_e64 v1, 0, 1, s[2:3]
	s_cbranch_scc0 .LBB111_1889
; %bb.1888:
	global_store_byte v[3:4], v1, off
	s_mov_b64 s[4:5], 0
.LBB111_1889:
	s_andn2_b64 vcc, exec, s[4:5]
	s_cbranch_vccnz .LBB111_1891
; %bb.1890:
	global_store_byte v[3:4], v1, off
.LBB111_1891:
	s_mov_b64 s[16:17], -1
.LBB111_1892:
	s_andn2_b64 vcc, exec, s[16:17]
	s_cbranch_vccnz .LBB111_2088
; %bb.1893:
	v_cmp_eq_f32_e32 vcc, s11, v10
	v_cndmask_b32_e64 v1, 0, 1, vcc
	v_cmp_neq_f32_e32 vcc, s11, v10
	v_cndmask_b32_e64 v3, 0, 1, vcc
	v_cndmask_b32_e64 v1, v3, v1, s[0:1]
	v_and_b32_e32 v1, 1, v1
	v_cmp_eq_u32_e64 s[2:3], 1, v1
	v_mov_b32_e32 v3, s9
	v_add_co_u32_e32 v1, vcc, s8, v2
	s_cmp_lt_i32 s23, 11
	v_addc_co_u32_e32 v2, vcc, 0, v3, vcc
	s_cbranch_scc1 .LBB111_1971
; %bb.1894:
	s_mov_b64 s[18:19], -1
	s_mov_b64 s[14:15], 0
	s_cmp_gt_i32 s23, 25
	s_mov_b64 s[16:17], 0
	s_mov_b64 s[4:5], 0
	s_cbranch_scc0 .LBB111_1927
; %bb.1895:
	s_cmp_gt_i32 s23, 28
	s_cbranch_scc0 .LBB111_1910
; %bb.1896:
	s_cmp_gt_i32 s23, 43
	;; [unrolled: 3-line block ×3, first 2 shown]
	s_cbranch_scc0 .LBB111_1900
; %bb.1898:
	s_mov_b64 s[4:5], -1
	s_mov_b64 s[18:19], 0
	s_cmp_eq_u32 s23, 46
	s_cbranch_scc0 .LBB111_1900
; %bb.1899:
	v_cndmask_b32_e64 v3, 0, 1.0, s[2:3]
	v_bfe_u32 v4, v3, 16, 1
	s_movk_i32 s4, 0x7fff
	v_add3_u32 v3, v3, v4, s4
	v_lshrrev_b32_e32 v3, 16, v3
	global_store_dword v[1:2], v3, off
	s_mov_b64 s[4:5], 0
	s_mov_b64 s[16:17], -1
.LBB111_1900:
	s_and_b64 vcc, exec, s[18:19]
	s_cbranch_vccz .LBB111_1905
; %bb.1901:
	s_cmp_eq_u32 s23, 44
	s_mov_b64 s[4:5], -1
	s_cbranch_scc0 .LBB111_1905
; %bb.1902:
	v_cndmask_b32_e64 v4, 0, 1.0, s[2:3]
	v_lshrrev_b32_e32 v3, 23, v4
	s_movk_i32 s4, 0xff
	v_cmp_ne_u32_e32 vcc, s4, v3
	v_mov_b32_e32 v5, 0xff
	s_and_saveexec_b64 s[16:17], vcc
; %bb.1903:
	s_mov_b32 s4, 0x3fffff
	v_and_b32_e32 v5, 0x400000, v4
	v_and_or_b32 v4, v4, s4, v3
	v_cmp_ne_u32_e32 vcc, 0, v5
	v_cmp_ne_u32_e64 s[4:5], 0, v4
	s_and_b64 s[4:5], vcc, s[4:5]
	v_cndmask_b32_e64 v4, 0, 1, s[4:5]
	v_add_u32_e32 v5, v3, v4
; %bb.1904:
	s_or_b64 exec, exec, s[16:17]
	s_mov_b64 s[4:5], 0
	s_mov_b64 s[16:17], -1
	global_store_byte v[1:2], v5, off
.LBB111_1905:
	s_mov_b64 s[18:19], 0
.LBB111_1906:
	s_and_b64 vcc, exec, s[18:19]
	s_cbranch_vccz .LBB111_1909
; %bb.1907:
	s_cmp_eq_u32 s23, 29
	s_mov_b64 s[4:5], -1
	s_cbranch_scc0 .LBB111_1909
; %bb.1908:
	s_mov_b32 s4, 0
	v_cndmask_b32_e64 v3, 0, 1, s[2:3]
	v_mov_b32_e32 v4, s4
	global_store_dwordx2 v[1:2], v[3:4], off
	s_mov_b64 s[4:5], 0
	s_mov_b64 s[16:17], -1
.LBB111_1909:
	s_mov_b64 s[18:19], 0
.LBB111_1910:
	s_and_b64 vcc, exec, s[18:19]
	s_cbranch_vccz .LBB111_1926
; %bb.1911:
	s_cmp_lt_i32 s23, 27
	s_mov_b64 s[16:17], -1
	s_cbranch_scc1 .LBB111_1917
; %bb.1912:
	s_cmp_gt_i32 s23, 27
	s_cbranch_scc0 .LBB111_1914
; %bb.1913:
	v_cndmask_b32_e64 v3, 0, 1, s[2:3]
	s_mov_b64 s[16:17], 0
	global_store_dword v[1:2], v3, off
.LBB111_1914:
	s_andn2_b64 vcc, exec, s[16:17]
	s_cbranch_vccnz .LBB111_1916
; %bb.1915:
	v_cndmask_b32_e64 v3, 0, 1, s[2:3]
	global_store_short v[1:2], v3, off
.LBB111_1916:
	s_mov_b64 s[16:17], 0
.LBB111_1917:
	s_andn2_b64 vcc, exec, s[16:17]
	s_cbranch_vccnz .LBB111_1925
; %bb.1918:
	v_cndmask_b32_e64 v4, 0, 1.0, s[2:3]
	s_mov_b32 s10, 0x43800000
	v_cmp_gt_u32_e32 vcc, s10, v4
	v_mov_b32_e32 v5, 0x80
	s_and_saveexec_b64 s[16:17], vcc
	s_cbranch_execz .LBB111_1924
; %bb.1919:
	s_mov_b32 s10, 0x3bffffff
	v_cmp_lt_u32_e32 vcc, s10, v4
	s_mov_b64 s[18:19], 0
                                        ; implicit-def: $vgpr3
	s_and_saveexec_b64 s[20:21], vcc
	s_xor_b64 s[20:21], exec, s[20:21]
	s_cbranch_execz .LBB111_2145
; %bb.1920:
	v_bfe_u32 v3, v4, 20, 1
	s_mov_b32 s10, 0x487ffff
	v_add3_u32 v3, v4, v3, s10
	s_mov_b64 s[18:19], exec
	v_lshrrev_b32_e32 v3, 20, v3
                                        ; implicit-def: $vgpr4
	s_andn2_saveexec_b64 s[20:21], s[20:21]
	s_cbranch_execnz .LBB111_2146
.LBB111_1921:
	s_or_b64 exec, exec, s[20:21]
	v_mov_b32_e32 v5, 0
	s_and_saveexec_b64 s[20:21], s[18:19]
.LBB111_1922:
	v_mov_b32_e32 v5, v3
.LBB111_1923:
	s_or_b64 exec, exec, s[20:21]
.LBB111_1924:
	s_or_b64 exec, exec, s[16:17]
	global_store_byte v[1:2], v5, off
.LBB111_1925:
	s_mov_b64 s[16:17], -1
.LBB111_1926:
	s_mov_b64 s[18:19], 0
.LBB111_1927:
	s_and_b64 vcc, exec, s[18:19]
	s_cbranch_vccz .LBB111_1967
; %bb.1928:
	s_cmp_gt_i32 s23, 22
	s_mov_b64 s[14:15], -1
	s_cbranch_scc0 .LBB111_1960
; %bb.1929:
	s_cmp_lt_i32 s23, 24
	s_cbranch_scc1 .LBB111_1949
; %bb.1930:
	s_cmp_gt_i32 s23, 24
	s_cbranch_scc0 .LBB111_1938
; %bb.1931:
	v_cndmask_b32_e64 v4, 0, 1.0, s[2:3]
	s_mov_b32 s10, 0x47800000
	v_cmp_gt_u32_e32 vcc, s10, v4
	v_mov_b32_e32 v5, 0x80
	s_and_saveexec_b64 s[14:15], vcc
	s_cbranch_execz .LBB111_1937
; %bb.1932:
	s_mov_b32 s10, 0x37ffffff
	v_cmp_lt_u32_e32 vcc, s10, v4
	s_mov_b64 s[16:17], 0
                                        ; implicit-def: $vgpr3
	s_and_saveexec_b64 s[18:19], vcc
	s_xor_b64 s[18:19], exec, s[18:19]
	s_cbranch_execz .LBB111_2148
; %bb.1933:
	v_bfe_u32 v3, v4, 21, 1
	s_mov_b32 s10, 0x88fffff
	v_add3_u32 v3, v4, v3, s10
	s_mov_b64 s[16:17], exec
	v_lshrrev_b32_e32 v3, 21, v3
                                        ; implicit-def: $vgpr4
	s_andn2_saveexec_b64 s[18:19], s[18:19]
	s_cbranch_execnz .LBB111_2149
.LBB111_1934:
	s_or_b64 exec, exec, s[18:19]
	v_mov_b32_e32 v5, 0
	s_and_saveexec_b64 s[18:19], s[16:17]
.LBB111_1935:
	v_mov_b32_e32 v5, v3
.LBB111_1936:
	s_or_b64 exec, exec, s[18:19]
.LBB111_1937:
	s_or_b64 exec, exec, s[14:15]
	s_mov_b64 s[14:15], 0
	global_store_byte v[1:2], v5, off
.LBB111_1938:
	s_and_b64 vcc, exec, s[14:15]
	s_cbranch_vccz .LBB111_1948
; %bb.1939:
	v_cndmask_b32_e64 v3, 0, 1.0, s[2:3]
	s_mov_b32 s10, 0x43f00000
	v_cmp_gt_u32_e32 vcc, s10, v3
                                        ; implicit-def: $vgpr4
	s_and_saveexec_b64 s[14:15], vcc
	s_xor_b64 s[14:15], exec, s[14:15]
	s_cbranch_execz .LBB111_1945
; %bb.1940:
	s_mov_b32 s10, 0x3c7fffff
	v_cmp_lt_u32_e32 vcc, s10, v3
                                        ; implicit-def: $vgpr4
	s_and_saveexec_b64 s[16:17], vcc
	s_xor_b64 s[16:17], exec, s[16:17]
; %bb.1941:
	v_bfe_u32 v4, v3, 20, 1
	s_mov_b32 s10, 0x407ffff
	v_add3_u32 v3, v3, v4, s10
	v_lshrrev_b32_e32 v4, 20, v3
	v_and_b32_e32 v3, 0xff00000, v3
	s_mov_b32 s10, 0x7f00000
	v_mov_b32_e32 v5, 0x7e
	v_cmp_ne_u32_e32 vcc, s10, v3
	v_cndmask_b32_e32 v4, v5, v4, vcc
                                        ; implicit-def: $vgpr3
; %bb.1942:
	s_andn2_saveexec_b64 s[16:17], s[16:17]
; %bb.1943:
	v_add_f32_e32 v4, 0x46800000, v3
; %bb.1944:
	s_or_b64 exec, exec, s[16:17]
                                        ; implicit-def: $vgpr3
.LBB111_1945:
	s_andn2_saveexec_b64 s[14:15], s[14:15]
; %bb.1946:
	s_mov_b32 s10, 0x7f800000
	v_mov_b32_e32 v4, 0x7e
	v_mov_b32_e32 v5, 0x7f
	v_cmp_lt_u32_e32 vcc, s10, v3
	v_cndmask_b32_e32 v4, v4, v5, vcc
; %bb.1947:
	s_or_b64 exec, exec, s[14:15]
	global_store_byte v[1:2], v4, off
.LBB111_1948:
	s_mov_b64 s[14:15], 0
.LBB111_1949:
	s_andn2_b64 vcc, exec, s[14:15]
	s_cbranch_vccnz .LBB111_1959
; %bb.1950:
	v_cndmask_b32_e64 v3, 0, 1.0, s[2:3]
	s_mov_b32 s10, 0x47800000
	v_cmp_gt_u32_e32 vcc, s10, v3
                                        ; implicit-def: $vgpr4
	s_and_saveexec_b64 s[14:15], vcc
	s_xor_b64 s[14:15], exec, s[14:15]
	s_cbranch_execz .LBB111_1956
; %bb.1951:
	s_mov_b32 s10, 0x387fffff
	v_cmp_lt_u32_e32 vcc, s10, v3
                                        ; implicit-def: $vgpr4
	s_and_saveexec_b64 s[16:17], vcc
	s_xor_b64 s[16:17], exec, s[16:17]
; %bb.1952:
	v_bfe_u32 v4, v3, 21, 1
	s_mov_b32 s10, 0x80fffff
	v_add3_u32 v3, v3, v4, s10
	v_lshrrev_b32_e32 v4, 21, v3
                                        ; implicit-def: $vgpr3
; %bb.1953:
	s_andn2_saveexec_b64 s[16:17], s[16:17]
; %bb.1954:
	v_add_f32_e32 v4, 0x43000000, v3
; %bb.1955:
	s_or_b64 exec, exec, s[16:17]
                                        ; implicit-def: $vgpr3
.LBB111_1956:
	s_andn2_saveexec_b64 s[14:15], s[14:15]
; %bb.1957:
	s_mov_b32 s10, 0x7f800000
	v_mov_b32_e32 v4, 0x7c
	v_mov_b32_e32 v5, 0x7f
	v_cmp_lt_u32_e32 vcc, s10, v3
	v_cndmask_b32_e32 v4, v4, v5, vcc
; %bb.1958:
	s_or_b64 exec, exec, s[14:15]
	global_store_byte v[1:2], v4, off
.LBB111_1959:
	s_mov_b64 s[14:15], 0
	s_mov_b64 s[16:17], -1
.LBB111_1960:
	s_andn2_b64 vcc, exec, s[14:15]
	s_mov_b64 s[14:15], 0
	s_cbranch_vccnz .LBB111_1967
; %bb.1961:
	s_cmp_gt_i32 s23, 14
	s_mov_b64 s[18:19], -1
	s_cbranch_scc0 .LBB111_1965
; %bb.1962:
	s_cmp_eq_u32 s23, 15
	s_mov_b64 s[4:5], -1
	s_cbranch_scc0 .LBB111_1964
; %bb.1963:
	v_cndmask_b32_e64 v3, 0, 1.0, s[2:3]
	v_bfe_u32 v4, v3, 16, 1
	s_movk_i32 s4, 0x7fff
	v_add3_u32 v3, v3, v4, s4
	global_store_short_d16_hi v[1:2], v3, off
	s_mov_b64 s[4:5], 0
	s_mov_b64 s[16:17], -1
.LBB111_1964:
	s_mov_b64 s[18:19], 0
.LBB111_1965:
	s_and_b64 vcc, exec, s[18:19]
	s_cbranch_vccz .LBB111_1967
; %bb.1966:
	s_cmp_lg_u32 s23, 11
	s_mov_b64 s[14:15], -1
	s_cselect_b64 s[4:5], -1, 0
.LBB111_1967:
	s_and_b64 vcc, exec, s[4:5]
	s_cbranch_vccnz .LBB111_2147
; %bb.1968:
	s_andn2_b64 vcc, exec, s[14:15]
	s_cbranch_vccnz .LBB111_1970
.LBB111_1969:
	v_cndmask_b32_e64 v3, 0, 1, s[2:3]
	s_mov_b64 s[16:17], -1
	global_store_byte v[1:2], v3, off
.LBB111_1970:
	s_mov_b64 s[4:5], 0
	s_branch .LBB111_1972
.LBB111_1971:
	s_mov_b64 s[4:5], -1
	s_mov_b64 s[16:17], 0
.LBB111_1972:
	s_and_b64 vcc, exec, s[4:5]
	s_cbranch_vccz .LBB111_2011
; %bb.1973:
	s_cmp_lt_i32 s23, 5
	s_mov_b64 s[4:5], -1
	s_cbranch_scc1 .LBB111_1994
; %bb.1974:
	s_cmp_lt_i32 s23, 8
	s_cbranch_scc1 .LBB111_1984
; %bb.1975:
	s_cmp_lt_i32 s23, 9
	s_cbranch_scc1 .LBB111_1981
; %bb.1976:
	s_cmp_gt_i32 s23, 9
	s_cbranch_scc0 .LBB111_1978
; %bb.1977:
	v_cndmask_b32_e64 v3, 0, 1, s[2:3]
	v_cvt_f64_u32_e32 v[3:4], v3
	v_mov_b32_e32 v5, 0
	v_mov_b32_e32 v6, v5
	s_mov_b64 s[4:5], 0
	global_store_dwordx4 v[1:2], v[3:6], off
.LBB111_1978:
	s_andn2_b64 vcc, exec, s[4:5]
	s_cbranch_vccnz .LBB111_1980
; %bb.1979:
	v_cndmask_b32_e64 v3, 0, 1.0, s[2:3]
	v_mov_b32_e32 v4, 0
	global_store_dwordx2 v[1:2], v[3:4], off
.LBB111_1980:
	s_mov_b64 s[4:5], 0
.LBB111_1981:
	s_andn2_b64 vcc, exec, s[4:5]
	s_cbranch_vccnz .LBB111_1983
; %bb.1982:
	v_cndmask_b32_e64 v3, 0, 1.0, s[2:3]
	v_cvt_f16_f32_e32 v3, v3
	global_store_dword v[1:2], v3, off
.LBB111_1983:
	s_mov_b64 s[4:5], 0
.LBB111_1984:
	s_andn2_b64 vcc, exec, s[4:5]
	s_cbranch_vccnz .LBB111_1993
; %bb.1985:
	s_cmp_lt_i32 s23, 6
	s_mov_b64 s[4:5], -1
	s_cbranch_scc1 .LBB111_1991
; %bb.1986:
	s_cmp_gt_i32 s23, 6
	s_cbranch_scc0 .LBB111_1988
; %bb.1987:
	v_cndmask_b32_e64 v3, 0, 1, s[2:3]
	v_cvt_f64_u32_e32 v[3:4], v3
	s_mov_b64 s[4:5], 0
	global_store_dwordx2 v[1:2], v[3:4], off
.LBB111_1988:
	s_andn2_b64 vcc, exec, s[4:5]
	s_cbranch_vccnz .LBB111_1990
; %bb.1989:
	v_cndmask_b32_e64 v3, 0, 1.0, s[2:3]
	global_store_dword v[1:2], v3, off
.LBB111_1990:
	s_mov_b64 s[4:5], 0
.LBB111_1991:
	s_andn2_b64 vcc, exec, s[4:5]
	s_cbranch_vccnz .LBB111_1993
; %bb.1992:
	v_cndmask_b32_e64 v3, 0, 1.0, s[2:3]
	v_cvt_f16_f32_e32 v3, v3
	global_store_short v[1:2], v3, off
.LBB111_1993:
	s_mov_b64 s[4:5], 0
.LBB111_1994:
	s_andn2_b64 vcc, exec, s[4:5]
	s_cbranch_vccnz .LBB111_2010
; %bb.1995:
	s_cmp_lt_i32 s23, 2
	s_mov_b64 s[4:5], -1
	s_cbranch_scc1 .LBB111_2005
; %bb.1996:
	s_cmp_lt_i32 s23, 3
	s_cbranch_scc1 .LBB111_2002
; %bb.1997:
	s_cmp_gt_i32 s23, 3
	s_cbranch_scc0 .LBB111_1999
; %bb.1998:
	s_mov_b32 s4, 0
	v_cndmask_b32_e64 v3, 0, 1, s[2:3]
	v_mov_b32_e32 v4, s4
	global_store_dwordx2 v[1:2], v[3:4], off
	s_mov_b64 s[4:5], 0
.LBB111_1999:
	s_andn2_b64 vcc, exec, s[4:5]
	s_cbranch_vccnz .LBB111_2001
; %bb.2000:
	v_cndmask_b32_e64 v3, 0, 1, s[2:3]
	global_store_dword v[1:2], v3, off
.LBB111_2001:
	s_mov_b64 s[4:5], 0
.LBB111_2002:
	s_andn2_b64 vcc, exec, s[4:5]
	s_cbranch_vccnz .LBB111_2004
; %bb.2003:
	v_cndmask_b32_e64 v3, 0, 1, s[2:3]
	global_store_short v[1:2], v3, off
.LBB111_2004:
	s_mov_b64 s[4:5], 0
.LBB111_2005:
	s_andn2_b64 vcc, exec, s[4:5]
	s_cbranch_vccnz .LBB111_2010
; %bb.2006:
	s_cmp_gt_i32 s23, 0
	s_mov_b64 s[4:5], -1
	s_cbranch_scc0 .LBB111_2008
; %bb.2007:
	v_cndmask_b32_e64 v3, 0, 1, s[2:3]
	global_store_byte v[1:2], v3, off
	s_mov_b64 s[4:5], 0
.LBB111_2008:
	s_andn2_b64 vcc, exec, s[4:5]
	s_cbranch_vccnz .LBB111_2010
; %bb.2009:
	v_cndmask_b32_e64 v3, 0, 1, s[2:3]
	global_store_byte v[1:2], v3, off
.LBB111_2010:
	s_mov_b64 s[16:17], -1
.LBB111_2011:
	s_andn2_b64 vcc, exec, s[16:17]
	s_cbranch_vccnz .LBB111_2088
; %bb.2012:
	v_cmp_eq_f32_e32 vcc, s11, v9
	v_cndmask_b32_e64 v1, 0, 1, vcc
	v_cmp_neq_f32_e32 vcc, s11, v9
	v_cndmask_b32_e64 v2, 0, 1, vcc
	v_cndmask_b32_e64 v1, v2, v1, s[0:1]
	v_and_b32_e32 v1, 1, v1
	v_cmp_eq_u32_e64 s[2:3], 1, v1
	v_mov_b32_e32 v1, s9
	v_add_co_u32_e32 v0, vcc, s8, v0
	s_cmp_lt_i32 s23, 11
	v_addc_co_u32_e32 v1, vcc, 0, v1, vcc
	s_cbranch_scc1 .LBB111_2133
; %bb.2013:
	s_mov_b64 s[8:9], -1
	s_mov_b64 s[4:5], 0
	s_cmp_gt_i32 s23, 25
	s_mov_b64 s[0:1], 0
	s_cbranch_scc0 .LBB111_2046
; %bb.2014:
	s_cmp_gt_i32 s23, 28
	s_cbranch_scc0 .LBB111_2030
; %bb.2015:
	s_cmp_gt_i32 s23, 43
	;; [unrolled: 3-line block ×3, first 2 shown]
	s_cbranch_scc0 .LBB111_2020
; %bb.2017:
	s_cmp_eq_u32 s23, 46
	s_mov_b64 s[0:1], -1
	s_cbranch_scc0 .LBB111_2019
; %bb.2018:
	v_cndmask_b32_e64 v2, 0, 1.0, s[2:3]
	v_bfe_u32 v3, v2, 16, 1
	s_movk_i32 s0, 0x7fff
	v_add3_u32 v2, v2, v3, s0
	v_lshrrev_b32_e32 v2, 16, v2
	global_store_dword v[0:1], v2, off
	s_mov_b64 s[0:1], 0
.LBB111_2019:
	s_mov_b64 s[8:9], 0
.LBB111_2020:
	s_and_b64 vcc, exec, s[8:9]
	s_cbranch_vccz .LBB111_2025
; %bb.2021:
	s_cmp_eq_u32 s23, 44
	s_mov_b64 s[0:1], -1
	s_cbranch_scc0 .LBB111_2025
; %bb.2022:
	v_cndmask_b32_e64 v3, 0, 1.0, s[2:3]
	v_lshrrev_b32_e32 v2, 23, v3
	s_movk_i32 s0, 0xff
	v_cmp_ne_u32_e32 vcc, s0, v2
	v_mov_b32_e32 v4, 0xff
	s_and_saveexec_b64 s[8:9], vcc
; %bb.2023:
	s_mov_b32 s0, 0x3fffff
	v_and_b32_e32 v4, 0x400000, v3
	v_and_or_b32 v3, v3, s0, v2
	v_cmp_ne_u32_e32 vcc, 0, v4
	v_cmp_ne_u32_e64 s[0:1], 0, v3
	s_and_b64 s[0:1], vcc, s[0:1]
	v_cndmask_b32_e64 v3, 0, 1, s[0:1]
	v_add_u32_e32 v4, v2, v3
; %bb.2024:
	s_or_b64 exec, exec, s[8:9]
	s_mov_b64 s[0:1], 0
	global_store_byte v[0:1], v4, off
.LBB111_2025:
	s_mov_b64 s[8:9], 0
.LBB111_2026:
	s_and_b64 vcc, exec, s[8:9]
	s_cbranch_vccz .LBB111_2029
; %bb.2027:
	s_cmp_eq_u32 s23, 29
	s_mov_b64 s[0:1], -1
	s_cbranch_scc0 .LBB111_2029
; %bb.2028:
	s_mov_b32 s0, 0
	v_cndmask_b32_e64 v2, 0, 1, s[2:3]
	v_mov_b32_e32 v3, s0
	global_store_dwordx2 v[0:1], v[2:3], off
	s_mov_b64 s[0:1], 0
.LBB111_2029:
	s_mov_b64 s[8:9], 0
.LBB111_2030:
	s_and_b64 vcc, exec, s[8:9]
	s_cbranch_vccz .LBB111_2045
; %bb.2031:
	s_cmp_lt_i32 s23, 27
	s_mov_b64 s[8:9], -1
	s_cbranch_scc1 .LBB111_2037
; %bb.2032:
	s_cmp_gt_i32 s23, 27
	s_cbranch_scc0 .LBB111_2034
; %bb.2033:
	v_cndmask_b32_e64 v2, 0, 1, s[2:3]
	global_store_dword v[0:1], v2, off
	s_mov_b64 s[8:9], 0
.LBB111_2034:
	s_andn2_b64 vcc, exec, s[8:9]
	s_cbranch_vccnz .LBB111_2036
; %bb.2035:
	v_cndmask_b32_e64 v2, 0, 1, s[2:3]
	global_store_short v[0:1], v2, off
.LBB111_2036:
	s_mov_b64 s[8:9], 0
.LBB111_2037:
	s_andn2_b64 vcc, exec, s[8:9]
	s_cbranch_vccnz .LBB111_2045
; %bb.2038:
	v_cndmask_b32_e64 v3, 0, 1.0, s[2:3]
	s_mov_b32 s8, 0x43800000
	v_cmp_gt_u32_e32 vcc, s8, v3
	v_mov_b32_e32 v4, 0x80
	s_and_saveexec_b64 s[8:9], vcc
	s_cbranch_execz .LBB111_2044
; %bb.2039:
	s_mov_b32 s10, 0x3bffffff
	v_cmp_lt_u32_e32 vcc, s10, v3
	s_mov_b64 s[10:11], 0
                                        ; implicit-def: $vgpr2
	s_and_saveexec_b64 s[14:15], vcc
	s_xor_b64 s[14:15], exec, s[14:15]
	s_cbranch_execz .LBB111_2150
; %bb.2040:
	v_bfe_u32 v2, v3, 20, 1
	s_mov_b32 s16, 0x487ffff
	v_add3_u32 v2, v3, v2, s16
	s_mov_b64 s[10:11], exec
	v_lshrrev_b32_e32 v2, 20, v2
                                        ; implicit-def: $vgpr3
	s_andn2_saveexec_b64 s[14:15], s[14:15]
	s_cbranch_execnz .LBB111_2151
.LBB111_2041:
	s_or_b64 exec, exec, s[14:15]
	v_mov_b32_e32 v4, 0
	s_and_saveexec_b64 s[14:15], s[10:11]
.LBB111_2042:
	v_mov_b32_e32 v4, v2
.LBB111_2043:
	s_or_b64 exec, exec, s[14:15]
.LBB111_2044:
	s_or_b64 exec, exec, s[8:9]
	global_store_byte v[0:1], v4, off
.LBB111_2045:
	s_mov_b64 s[8:9], 0
.LBB111_2046:
	s_and_b64 vcc, exec, s[8:9]
	s_cbranch_vccz .LBB111_2086
; %bb.2047:
	s_cmp_gt_i32 s23, 22
	s_mov_b64 s[4:5], -1
	s_cbranch_scc0 .LBB111_2079
; %bb.2048:
	s_cmp_lt_i32 s23, 24
	s_cbranch_scc1 .LBB111_2068
; %bb.2049:
	s_cmp_gt_i32 s23, 24
	s_cbranch_scc0 .LBB111_2057
; %bb.2050:
	v_cndmask_b32_e64 v3, 0, 1.0, s[2:3]
	s_mov_b32 s4, 0x47800000
	v_cmp_gt_u32_e32 vcc, s4, v3
	v_mov_b32_e32 v4, 0x80
	s_and_saveexec_b64 s[4:5], vcc
	s_cbranch_execz .LBB111_2056
; %bb.2051:
	s_mov_b32 s8, 0x37ffffff
	v_cmp_lt_u32_e32 vcc, s8, v3
	s_mov_b64 s[8:9], 0
                                        ; implicit-def: $vgpr2
	s_and_saveexec_b64 s[10:11], vcc
	s_xor_b64 s[10:11], exec, s[10:11]
	s_cbranch_execz .LBB111_2153
; %bb.2052:
	v_bfe_u32 v2, v3, 21, 1
	s_mov_b32 s14, 0x88fffff
	v_add3_u32 v2, v3, v2, s14
	s_mov_b64 s[8:9], exec
	v_lshrrev_b32_e32 v2, 21, v2
                                        ; implicit-def: $vgpr3
	s_andn2_saveexec_b64 s[10:11], s[10:11]
	s_cbranch_execnz .LBB111_2154
.LBB111_2053:
	s_or_b64 exec, exec, s[10:11]
	v_mov_b32_e32 v4, 0
	s_and_saveexec_b64 s[10:11], s[8:9]
.LBB111_2054:
	v_mov_b32_e32 v4, v2
.LBB111_2055:
	s_or_b64 exec, exec, s[10:11]
.LBB111_2056:
	s_or_b64 exec, exec, s[4:5]
	s_mov_b64 s[4:5], 0
	global_store_byte v[0:1], v4, off
.LBB111_2057:
	s_and_b64 vcc, exec, s[4:5]
	s_cbranch_vccz .LBB111_2067
; %bb.2058:
	v_cndmask_b32_e64 v2, 0, 1.0, s[2:3]
	s_mov_b32 s4, 0x43f00000
	v_cmp_gt_u32_e32 vcc, s4, v2
                                        ; implicit-def: $vgpr3
	s_and_saveexec_b64 s[4:5], vcc
	s_xor_b64 s[4:5], exec, s[4:5]
	s_cbranch_execz .LBB111_2064
; %bb.2059:
	s_mov_b32 s8, 0x3c7fffff
	v_cmp_lt_u32_e32 vcc, s8, v2
                                        ; implicit-def: $vgpr3
	s_and_saveexec_b64 s[8:9], vcc
	s_xor_b64 s[8:9], exec, s[8:9]
; %bb.2060:
	v_bfe_u32 v3, v2, 20, 1
	s_mov_b32 s10, 0x407ffff
	v_add3_u32 v2, v2, v3, s10
	v_lshrrev_b32_e32 v3, 20, v2
	v_and_b32_e32 v2, 0xff00000, v2
	s_mov_b32 s10, 0x7f00000
	v_mov_b32_e32 v4, 0x7e
	v_cmp_ne_u32_e32 vcc, s10, v2
	v_cndmask_b32_e32 v3, v4, v3, vcc
                                        ; implicit-def: $vgpr2
; %bb.2061:
	s_andn2_saveexec_b64 s[8:9], s[8:9]
; %bb.2062:
	v_add_f32_e32 v3, 0x46800000, v2
; %bb.2063:
	s_or_b64 exec, exec, s[8:9]
                                        ; implicit-def: $vgpr2
.LBB111_2064:
	s_andn2_saveexec_b64 s[4:5], s[4:5]
; %bb.2065:
	s_mov_b32 s8, 0x7f800000
	v_mov_b32_e32 v3, 0x7e
	v_mov_b32_e32 v4, 0x7f
	v_cmp_lt_u32_e32 vcc, s8, v2
	v_cndmask_b32_e32 v3, v3, v4, vcc
; %bb.2066:
	s_or_b64 exec, exec, s[4:5]
	global_store_byte v[0:1], v3, off
.LBB111_2067:
	s_mov_b64 s[4:5], 0
.LBB111_2068:
	s_andn2_b64 vcc, exec, s[4:5]
	s_cbranch_vccnz .LBB111_2078
; %bb.2069:
	v_cndmask_b32_e64 v2, 0, 1.0, s[2:3]
	s_mov_b32 s4, 0x47800000
	v_cmp_gt_u32_e32 vcc, s4, v2
                                        ; implicit-def: $vgpr3
	s_and_saveexec_b64 s[4:5], vcc
	s_xor_b64 s[4:5], exec, s[4:5]
	s_cbranch_execz .LBB111_2075
; %bb.2070:
	s_mov_b32 s8, 0x387fffff
	v_cmp_lt_u32_e32 vcc, s8, v2
                                        ; implicit-def: $vgpr3
	s_and_saveexec_b64 s[8:9], vcc
	s_xor_b64 s[8:9], exec, s[8:9]
; %bb.2071:
	v_bfe_u32 v3, v2, 21, 1
	s_mov_b32 s10, 0x80fffff
	v_add3_u32 v2, v2, v3, s10
	v_lshrrev_b32_e32 v3, 21, v2
                                        ; implicit-def: $vgpr2
; %bb.2072:
	s_andn2_saveexec_b64 s[8:9], s[8:9]
; %bb.2073:
	v_add_f32_e32 v3, 0x43000000, v2
; %bb.2074:
	s_or_b64 exec, exec, s[8:9]
                                        ; implicit-def: $vgpr2
.LBB111_2075:
	s_andn2_saveexec_b64 s[4:5], s[4:5]
; %bb.2076:
	s_mov_b32 s8, 0x7f800000
	v_mov_b32_e32 v3, 0x7c
	v_mov_b32_e32 v4, 0x7f
	v_cmp_lt_u32_e32 vcc, s8, v2
	v_cndmask_b32_e32 v3, v3, v4, vcc
; %bb.2077:
	s_or_b64 exec, exec, s[4:5]
	global_store_byte v[0:1], v3, off
.LBB111_2078:
	s_mov_b64 s[4:5], 0
.LBB111_2079:
	s_andn2_b64 vcc, exec, s[4:5]
	s_mov_b64 s[4:5], 0
	s_cbranch_vccnz .LBB111_2086
; %bb.2080:
	s_cmp_gt_i32 s23, 14
	s_mov_b64 s[8:9], -1
	s_cbranch_scc0 .LBB111_2084
; %bb.2081:
	s_cmp_eq_u32 s23, 15
	s_mov_b64 s[0:1], -1
	s_cbranch_scc0 .LBB111_2083
; %bb.2082:
	v_cndmask_b32_e64 v2, 0, 1.0, s[2:3]
	v_bfe_u32 v3, v2, 16, 1
	s_movk_i32 s0, 0x7fff
	v_add3_u32 v2, v2, v3, s0
	global_store_short_d16_hi v[0:1], v2, off
	s_mov_b64 s[0:1], 0
.LBB111_2083:
	s_mov_b64 s[8:9], 0
.LBB111_2084:
	s_and_b64 vcc, exec, s[8:9]
	s_cbranch_vccz .LBB111_2086
; %bb.2085:
	s_cmp_lg_u32 s23, 11
	s_mov_b64 s[4:5], -1
	s_cselect_b64 s[0:1], -1, 0
.LBB111_2086:
	s_and_b64 vcc, exec, s[0:1]
	s_cbranch_vccnz .LBB111_2152
.LBB111_2087:
	s_mov_b64 s[0:1], 0
	s_branch .LBB111_2089
.LBB111_2088:
	s_mov_b64 s[0:1], 0
	s_mov_b64 s[4:5], 0
                                        ; implicit-def: $sgpr2_sgpr3
                                        ; implicit-def: $vgpr0_vgpr1
                                        ; implicit-def: $sgpr22
.LBB111_2089:
	s_and_b64 s[44:45], s[4:5], exec
	s_andn2_b64 s[4:5], s[6:7], exec
	s_and_b64 s[6:7], s[12:13], exec
	s_and_b64 s[0:1], s[0:1], exec
	s_or_b64 s[6:7], s[4:5], s[6:7]
.LBB111_2090:
	s_or_b64 exec, exec, s[28:29]
	s_and_saveexec_b64 s[4:5], s[6:7]
	s_cbranch_execz .LBB111_2093
; %bb.2091:
	; divergent unreachable
	s_or_b64 exec, exec, s[4:5]
	s_and_saveexec_b64 s[4:5], s[44:45]
	s_xor_b64 s[4:5], exec, s[4:5]
	s_cbranch_execnz .LBB111_2094
.LBB111_2092:
	s_or_b64 exec, exec, s[4:5]
	s_and_saveexec_b64 s[4:5], s[0:1]
	s_cbranch_execnz .LBB111_2095
	s_branch .LBB111_2132
.LBB111_2093:
	s_or_b64 exec, exec, s[4:5]
	s_and_saveexec_b64 s[4:5], s[44:45]
	s_xor_b64 s[4:5], exec, s[4:5]
	s_cbranch_execz .LBB111_2092
.LBB111_2094:
	v_cndmask_b32_e64 v2, 0, 1, s[2:3]
	s_waitcnt vmcnt(0)
	global_store_byte v[0:1], v2, off
	s_or_b64 exec, exec, s[4:5]
	s_and_saveexec_b64 s[4:5], s[0:1]
	s_cbranch_execz .LBB111_2132
.LBB111_2095:
	s_sext_i32_i16 s4, s22
	s_cmp_lt_i32 s4, 5
	s_mov_b64 s[0:1], -1
	s_cbranch_scc1 .LBB111_2116
; %bb.2096:
	s_cmp_lt_i32 s4, 8
	s_cbranch_scc1 .LBB111_2106
; %bb.2097:
	s_cmp_lt_i32 s4, 9
	s_cbranch_scc1 .LBB111_2103
; %bb.2098:
	s_cmp_gt_i32 s4, 9
	s_cbranch_scc0 .LBB111_2100
; %bb.2099:
	v_cndmask_b32_e64 v2, 0, 1, s[2:3]
	s_waitcnt vmcnt(0)
	v_cvt_f64_u32_e32 v[2:3], v2
	v_mov_b32_e32 v4, 0
	v_mov_b32_e32 v5, v4
	s_mov_b64 s[0:1], 0
	global_store_dwordx4 v[0:1], v[2:5], off
.LBB111_2100:
	s_andn2_b64 vcc, exec, s[0:1]
	s_cbranch_vccnz .LBB111_2102
; %bb.2101:
	v_cndmask_b32_e64 v2, 0, 1.0, s[2:3]
	s_waitcnt vmcnt(0)
	v_mov_b32_e32 v3, 0
	global_store_dwordx2 v[0:1], v[2:3], off
.LBB111_2102:
	s_mov_b64 s[0:1], 0
.LBB111_2103:
	s_andn2_b64 vcc, exec, s[0:1]
	s_cbranch_vccnz .LBB111_2105
; %bb.2104:
	v_cndmask_b32_e64 v2, 0, 1.0, s[2:3]
	v_cvt_f16_f32_e32 v2, v2
	s_waitcnt vmcnt(0)
	global_store_dword v[0:1], v2, off
.LBB111_2105:
	s_mov_b64 s[0:1], 0
.LBB111_2106:
	s_andn2_b64 vcc, exec, s[0:1]
	s_cbranch_vccnz .LBB111_2115
; %bb.2107:
	s_sext_i32_i16 s4, s22
	s_cmp_lt_i32 s4, 6
	s_mov_b64 s[0:1], -1
	s_cbranch_scc1 .LBB111_2113
; %bb.2108:
	s_cmp_gt_i32 s4, 6
	s_cbranch_scc0 .LBB111_2110
; %bb.2109:
	v_cndmask_b32_e64 v2, 0, 1, s[2:3]
	s_waitcnt vmcnt(0)
	v_cvt_f64_u32_e32 v[2:3], v2
	s_mov_b64 s[0:1], 0
	global_store_dwordx2 v[0:1], v[2:3], off
.LBB111_2110:
	s_andn2_b64 vcc, exec, s[0:1]
	s_cbranch_vccnz .LBB111_2112
; %bb.2111:
	v_cndmask_b32_e64 v2, 0, 1.0, s[2:3]
	s_waitcnt vmcnt(0)
	global_store_dword v[0:1], v2, off
.LBB111_2112:
	s_mov_b64 s[0:1], 0
.LBB111_2113:
	s_andn2_b64 vcc, exec, s[0:1]
	s_cbranch_vccnz .LBB111_2115
; %bb.2114:
	v_cndmask_b32_e64 v2, 0, 1.0, s[2:3]
	v_cvt_f16_f32_e32 v2, v2
	s_waitcnt vmcnt(0)
	global_store_short v[0:1], v2, off
.LBB111_2115:
	s_mov_b64 s[0:1], 0
.LBB111_2116:
	s_andn2_b64 vcc, exec, s[0:1]
	s_cbranch_vccnz .LBB111_2132
; %bb.2117:
	s_sext_i32_i16 s4, s22
	s_cmp_lt_i32 s4, 2
	s_mov_b64 s[0:1], -1
	s_cbranch_scc1 .LBB111_2127
; %bb.2118:
	s_cmp_lt_i32 s4, 3
	s_cbranch_scc1 .LBB111_2124
; %bb.2119:
	s_cmp_gt_i32 s4, 3
	s_cbranch_scc0 .LBB111_2121
; %bb.2120:
	s_mov_b32 s0, 0
	v_cndmask_b32_e64 v2, 0, 1, s[2:3]
	s_waitcnt vmcnt(0)
	v_mov_b32_e32 v3, s0
	global_store_dwordx2 v[0:1], v[2:3], off
	s_mov_b64 s[0:1], 0
.LBB111_2121:
	s_andn2_b64 vcc, exec, s[0:1]
	s_cbranch_vccnz .LBB111_2123
; %bb.2122:
	v_cndmask_b32_e64 v2, 0, 1, s[2:3]
	s_waitcnt vmcnt(0)
	global_store_dword v[0:1], v2, off
.LBB111_2123:
	s_mov_b64 s[0:1], 0
.LBB111_2124:
	s_andn2_b64 vcc, exec, s[0:1]
	s_cbranch_vccnz .LBB111_2126
; %bb.2125:
	v_cndmask_b32_e64 v2, 0, 1, s[2:3]
	s_waitcnt vmcnt(0)
	global_store_short v[0:1], v2, off
.LBB111_2126:
	s_mov_b64 s[0:1], 0
.LBB111_2127:
	s_andn2_b64 vcc, exec, s[0:1]
	s_cbranch_vccnz .LBB111_2132
; %bb.2128:
	s_sext_i32_i16 s0, s22
	s_cmp_gt_i32 s0, 0
	s_mov_b64 s[0:1], -1
	s_cbranch_scc0 .LBB111_2130
; %bb.2129:
	v_cndmask_b32_e64 v2, 0, 1, s[2:3]
	s_waitcnt vmcnt(0)
	global_store_byte v[0:1], v2, off
	s_mov_b64 s[0:1], 0
.LBB111_2130:
	s_andn2_b64 vcc, exec, s[0:1]
	s_cbranch_vccnz .LBB111_2132
; %bb.2131:
	v_cndmask_b32_e64 v2, 0, 1, s[2:3]
	s_waitcnt vmcnt(0)
	global_store_byte v[0:1], v2, off
	s_endpgm
.LBB111_2132:
	s_endpgm
.LBB111_2133:
	s_mov_b64 s[4:5], 0
	s_mov_b64 s[0:1], -1
	s_branch .LBB111_2089
.LBB111_2134:
	s_trap 2
	s_or_b64 s[12:13], s[12:13], exec
	s_cbranch_execz .LBB111_1603
	s_branch .LBB111_1604
.LBB111_2135:
	s_andn2_saveexec_b64 s[20:21], s[20:21]
	s_cbranch_execz .LBB111_1683
.LBB111_2136:
	v_add_f32_e32 v1, 0x46000000, v7
	v_and_b32_e32 v1, 0xff, v1
	v_cmp_ne_u32_e32 vcc, 0, v1
	s_andn2_b64 s[18:19], s[18:19], exec
	s_and_b64 s[24:25], vcc, exec
	s_or_b64 s[18:19], s[18:19], s[24:25]
	s_or_b64 exec, exec, s[20:21]
	v_mov_b32_e32 v8, 0
	s_and_saveexec_b64 s[20:21], s[18:19]
	s_cbranch_execnz .LBB111_1684
	s_branch .LBB111_1685
.LBB111_2137:
	s_trap 2
	s_or_b64 s[12:13], s[12:13], exec
	s_cbranch_execz .LBB111_1731
	s_branch .LBB111_1732
.LBB111_2138:
	s_andn2_saveexec_b64 s[18:19], s[18:19]
	s_cbranch_execz .LBB111_1696
.LBB111_2139:
	v_add_f32_e32 v1, 0x42800000, v7
	v_and_b32_e32 v1, 0xff, v1
	v_cmp_ne_u32_e32 vcc, 0, v1
	s_andn2_b64 s[16:17], s[16:17], exec
	s_and_b64 s[20:21], vcc, exec
	s_or_b64 s[16:17], s[16:17], s[20:21]
	s_or_b64 exec, exec, s[18:19]
	v_mov_b32_e32 v8, 0
	s_and_saveexec_b64 s[18:19], s[16:17]
	s_cbranch_execnz .LBB111_1697
	s_branch .LBB111_1698
.LBB111_2140:
	s_andn2_saveexec_b64 s[20:21], s[20:21]
	s_cbranch_execz .LBB111_1802
.LBB111_2141:
	v_add_f32_e32 v1, 0x46000000, v5
	v_and_b32_e32 v1, 0xff, v1
	v_cmp_ne_u32_e32 vcc, 0, v1
	s_andn2_b64 s[18:19], s[18:19], exec
	s_and_b64 s[24:25], vcc, exec
	s_or_b64 s[18:19], s[18:19], s[24:25]
	s_or_b64 exec, exec, s[20:21]
	v_mov_b32_e32 v6, 0
	s_and_saveexec_b64 s[20:21], s[18:19]
	s_cbranch_execnz .LBB111_1803
	s_branch .LBB111_1804
.LBB111_2142:
	s_trap 2
	s_or_b64 s[12:13], s[12:13], exec
	s_cbranch_execz .LBB111_1850
	s_branch .LBB111_1851
.LBB111_2143:
	s_andn2_saveexec_b64 s[18:19], s[18:19]
	s_cbranch_execz .LBB111_1815
.LBB111_2144:
	v_add_f32_e32 v1, 0x42800000, v5
	v_and_b32_e32 v1, 0xff, v1
	v_cmp_ne_u32_e32 vcc, 0, v1
	s_andn2_b64 s[16:17], s[16:17], exec
	s_and_b64 s[20:21], vcc, exec
	s_or_b64 s[16:17], s[16:17], s[20:21]
	s_or_b64 exec, exec, s[18:19]
	v_mov_b32_e32 v6, 0
	s_and_saveexec_b64 s[18:19], s[16:17]
	s_cbranch_execnz .LBB111_1816
	s_branch .LBB111_1817
.LBB111_2145:
	s_andn2_saveexec_b64 s[20:21], s[20:21]
	s_cbranch_execz .LBB111_1921
.LBB111_2146:
	v_add_f32_e32 v3, 0x46000000, v4
	v_and_b32_e32 v3, 0xff, v3
	v_cmp_ne_u32_e32 vcc, 0, v3
	s_andn2_b64 s[18:19], s[18:19], exec
	s_and_b64 s[24:25], vcc, exec
	s_or_b64 s[18:19], s[18:19], s[24:25]
	s_or_b64 exec, exec, s[20:21]
	v_mov_b32_e32 v5, 0
	s_and_saveexec_b64 s[20:21], s[18:19]
	s_cbranch_execnz .LBB111_1922
	s_branch .LBB111_1923
.LBB111_2147:
	s_trap 2
	s_or_b64 s[12:13], s[12:13], exec
	s_cbranch_execz .LBB111_1969
	s_branch .LBB111_1970
.LBB111_2148:
	s_andn2_saveexec_b64 s[18:19], s[18:19]
	s_cbranch_execz .LBB111_1934
.LBB111_2149:
	v_add_f32_e32 v3, 0x42800000, v4
	v_and_b32_e32 v3, 0xff, v3
	v_cmp_ne_u32_e32 vcc, 0, v3
	s_andn2_b64 s[16:17], s[16:17], exec
	s_and_b64 s[20:21], vcc, exec
	s_or_b64 s[16:17], s[16:17], s[20:21]
	s_or_b64 exec, exec, s[18:19]
	v_mov_b32_e32 v5, 0
	s_and_saveexec_b64 s[18:19], s[16:17]
	s_cbranch_execnz .LBB111_1935
	s_branch .LBB111_1936
.LBB111_2150:
	s_andn2_saveexec_b64 s[14:15], s[14:15]
	s_cbranch_execz .LBB111_2041
.LBB111_2151:
	v_add_f32_e32 v2, 0x46000000, v3
	v_and_b32_e32 v2, 0xff, v2
	v_cmp_ne_u32_e32 vcc, 0, v2
	s_andn2_b64 s[10:11], s[10:11], exec
	s_and_b64 s[16:17], vcc, exec
	s_or_b64 s[10:11], s[10:11], s[16:17]
	s_or_b64 exec, exec, s[14:15]
	v_mov_b32_e32 v4, 0
	s_and_saveexec_b64 s[14:15], s[10:11]
	s_cbranch_execnz .LBB111_2042
	s_branch .LBB111_2043
.LBB111_2152:
	s_mov_b64 s[4:5], 0
	s_or_b64 s[12:13], s[12:13], exec
	s_trap 2
	s_branch .LBB111_2087
.LBB111_2153:
	s_andn2_saveexec_b64 s[10:11], s[10:11]
	s_cbranch_execz .LBB111_2053
.LBB111_2154:
	v_add_f32_e32 v2, 0x42800000, v3
	v_and_b32_e32 v2, 0xff, v2
	v_cmp_ne_u32_e32 vcc, 0, v2
	s_andn2_b64 s[8:9], s[8:9], exec
	s_and_b64 s[14:15], vcc, exec
	s_or_b64 s[8:9], s[8:9], s[14:15]
	s_or_b64 exec, exec, s[10:11]
	v_mov_b32_e32 v4, 0
	s_and_saveexec_b64 s[10:11], s[8:9]
	s_cbranch_execnz .LBB111_2054
	s_branch .LBB111_2055
	.section	.rodata,"a",@progbits
	.p2align	6, 0x0
	.amdhsa_kernel _ZN2at6native32elementwise_kernel_manual_unrollILi128ELi4EZNS0_15gpu_kernel_implINS0_13AUnaryFunctorIffbNS0_12_GLOBAL__N_116CompareEqFunctorIfEEEEEEvRNS_18TensorIteratorBaseERKT_EUlibE0_EEviT1_
		.amdhsa_group_segment_fixed_size 0
		.amdhsa_private_segment_fixed_size 0
		.amdhsa_kernarg_size 368
		.amdhsa_user_sgpr_count 6
		.amdhsa_user_sgpr_private_segment_buffer 1
		.amdhsa_user_sgpr_dispatch_ptr 0
		.amdhsa_user_sgpr_queue_ptr 0
		.amdhsa_user_sgpr_kernarg_segment_ptr 1
		.amdhsa_user_sgpr_dispatch_id 0
		.amdhsa_user_sgpr_flat_scratch_init 0
		.amdhsa_user_sgpr_private_segment_size 0
		.amdhsa_uses_dynamic_stack 0
		.amdhsa_system_sgpr_private_segment_wavefront_offset 0
		.amdhsa_system_sgpr_workgroup_id_x 1
		.amdhsa_system_sgpr_workgroup_id_y 0
		.amdhsa_system_sgpr_workgroup_id_z 0
		.amdhsa_system_sgpr_workgroup_info 0
		.amdhsa_system_vgpr_workitem_id 0
		.amdhsa_next_free_vgpr 18
		.amdhsa_next_free_sgpr 81
		.amdhsa_reserve_vcc 1
		.amdhsa_reserve_flat_scratch 0
		.amdhsa_float_round_mode_32 0
		.amdhsa_float_round_mode_16_64 0
		.amdhsa_float_denorm_mode_32 3
		.amdhsa_float_denorm_mode_16_64 3
		.amdhsa_dx10_clamp 1
		.amdhsa_ieee_mode 1
		.amdhsa_fp16_overflow 0
		.amdhsa_exception_fp_ieee_invalid_op 0
		.amdhsa_exception_fp_denorm_src 0
		.amdhsa_exception_fp_ieee_div_zero 0
		.amdhsa_exception_fp_ieee_overflow 0
		.amdhsa_exception_fp_ieee_underflow 0
		.amdhsa_exception_fp_ieee_inexact 0
		.amdhsa_exception_int_div_zero 0
	.end_amdhsa_kernel
	.section	.text._ZN2at6native32elementwise_kernel_manual_unrollILi128ELi4EZNS0_15gpu_kernel_implINS0_13AUnaryFunctorIffbNS0_12_GLOBAL__N_116CompareEqFunctorIfEEEEEEvRNS_18TensorIteratorBaseERKT_EUlibE0_EEviT1_,"axG",@progbits,_ZN2at6native32elementwise_kernel_manual_unrollILi128ELi4EZNS0_15gpu_kernel_implINS0_13AUnaryFunctorIffbNS0_12_GLOBAL__N_116CompareEqFunctorIfEEEEEEvRNS_18TensorIteratorBaseERKT_EUlibE0_EEviT1_,comdat
.Lfunc_end111:
	.size	_ZN2at6native32elementwise_kernel_manual_unrollILi128ELi4EZNS0_15gpu_kernel_implINS0_13AUnaryFunctorIffbNS0_12_GLOBAL__N_116CompareEqFunctorIfEEEEEEvRNS_18TensorIteratorBaseERKT_EUlibE0_EEviT1_, .Lfunc_end111-_ZN2at6native32elementwise_kernel_manual_unrollILi128ELi4EZNS0_15gpu_kernel_implINS0_13AUnaryFunctorIffbNS0_12_GLOBAL__N_116CompareEqFunctorIfEEEEEEvRNS_18TensorIteratorBaseERKT_EUlibE0_EEviT1_
                                        ; -- End function
	.set _ZN2at6native32elementwise_kernel_manual_unrollILi128ELi4EZNS0_15gpu_kernel_implINS0_13AUnaryFunctorIffbNS0_12_GLOBAL__N_116CompareEqFunctorIfEEEEEEvRNS_18TensorIteratorBaseERKT_EUlibE0_EEviT1_.num_vgpr, 18
	.set _ZN2at6native32elementwise_kernel_manual_unrollILi128ELi4EZNS0_15gpu_kernel_implINS0_13AUnaryFunctorIffbNS0_12_GLOBAL__N_116CompareEqFunctorIfEEEEEEvRNS_18TensorIteratorBaseERKT_EUlibE0_EEviT1_.num_agpr, 0
	.set _ZN2at6native32elementwise_kernel_manual_unrollILi128ELi4EZNS0_15gpu_kernel_implINS0_13AUnaryFunctorIffbNS0_12_GLOBAL__N_116CompareEqFunctorIfEEEEEEvRNS_18TensorIteratorBaseERKT_EUlibE0_EEviT1_.numbered_sgpr, 81
	.set _ZN2at6native32elementwise_kernel_manual_unrollILi128ELi4EZNS0_15gpu_kernel_implINS0_13AUnaryFunctorIffbNS0_12_GLOBAL__N_116CompareEqFunctorIfEEEEEEvRNS_18TensorIteratorBaseERKT_EUlibE0_EEviT1_.num_named_barrier, 0
	.set _ZN2at6native32elementwise_kernel_manual_unrollILi128ELi4EZNS0_15gpu_kernel_implINS0_13AUnaryFunctorIffbNS0_12_GLOBAL__N_116CompareEqFunctorIfEEEEEEvRNS_18TensorIteratorBaseERKT_EUlibE0_EEviT1_.private_seg_size, 0
	.set _ZN2at6native32elementwise_kernel_manual_unrollILi128ELi4EZNS0_15gpu_kernel_implINS0_13AUnaryFunctorIffbNS0_12_GLOBAL__N_116CompareEqFunctorIfEEEEEEvRNS_18TensorIteratorBaseERKT_EUlibE0_EEviT1_.uses_vcc, 1
	.set _ZN2at6native32elementwise_kernel_manual_unrollILi128ELi4EZNS0_15gpu_kernel_implINS0_13AUnaryFunctorIffbNS0_12_GLOBAL__N_116CompareEqFunctorIfEEEEEEvRNS_18TensorIteratorBaseERKT_EUlibE0_EEviT1_.uses_flat_scratch, 0
	.set _ZN2at6native32elementwise_kernel_manual_unrollILi128ELi4EZNS0_15gpu_kernel_implINS0_13AUnaryFunctorIffbNS0_12_GLOBAL__N_116CompareEqFunctorIfEEEEEEvRNS_18TensorIteratorBaseERKT_EUlibE0_EEviT1_.has_dyn_sized_stack, 0
	.set _ZN2at6native32elementwise_kernel_manual_unrollILi128ELi4EZNS0_15gpu_kernel_implINS0_13AUnaryFunctorIffbNS0_12_GLOBAL__N_116CompareEqFunctorIfEEEEEEvRNS_18TensorIteratorBaseERKT_EUlibE0_EEviT1_.has_recursion, 0
	.set _ZN2at6native32elementwise_kernel_manual_unrollILi128ELi4EZNS0_15gpu_kernel_implINS0_13AUnaryFunctorIffbNS0_12_GLOBAL__N_116CompareEqFunctorIfEEEEEEvRNS_18TensorIteratorBaseERKT_EUlibE0_EEviT1_.has_indirect_call, 0
	.section	.AMDGPU.csdata,"",@progbits
; Kernel info:
; codeLenInByte = 36504
; TotalNumSgprs: 85
; NumVgprs: 18
; ScratchSize: 0
; MemoryBound: 1
; FloatMode: 240
; IeeeMode: 1
; LDSByteSize: 0 bytes/workgroup (compile time only)
; SGPRBlocks: 10
; VGPRBlocks: 4
; NumSGPRsForWavesPerEU: 85
; NumVGPRsForWavesPerEU: 18
; Occupancy: 9
; WaveLimiterHint : 1
; COMPUTE_PGM_RSRC2:SCRATCH_EN: 0
; COMPUTE_PGM_RSRC2:USER_SGPR: 6
; COMPUTE_PGM_RSRC2:TRAP_HANDLER: 0
; COMPUTE_PGM_RSRC2:TGID_X_EN: 1
; COMPUTE_PGM_RSRC2:TGID_Y_EN: 0
; COMPUTE_PGM_RSRC2:TGID_Z_EN: 0
; COMPUTE_PGM_RSRC2:TIDIG_COMP_CNT: 0
	.section	.text._ZN2at6native29vectorized_elementwise_kernelILi16ENS0_13BinaryFunctorIN3c107complexIdEES5_bNS0_12_GLOBAL__N_116CompareEqFunctorIS5_EEEESt5arrayIPcLm3EEEEviT0_T1_,"axG",@progbits,_ZN2at6native29vectorized_elementwise_kernelILi16ENS0_13BinaryFunctorIN3c107complexIdEES5_bNS0_12_GLOBAL__N_116CompareEqFunctorIS5_EEEESt5arrayIPcLm3EEEEviT0_T1_,comdat
	.globl	_ZN2at6native29vectorized_elementwise_kernelILi16ENS0_13BinaryFunctorIN3c107complexIdEES5_bNS0_12_GLOBAL__N_116CompareEqFunctorIS5_EEEESt5arrayIPcLm3EEEEviT0_T1_ ; -- Begin function _ZN2at6native29vectorized_elementwise_kernelILi16ENS0_13BinaryFunctorIN3c107complexIdEES5_bNS0_12_GLOBAL__N_116CompareEqFunctorIS5_EEEESt5arrayIPcLm3EEEEviT0_T1_
	.p2align	8
	.type	_ZN2at6native29vectorized_elementwise_kernelILi16ENS0_13BinaryFunctorIN3c107complexIdEES5_bNS0_12_GLOBAL__N_116CompareEqFunctorIS5_EEEESt5arrayIPcLm3EEEEviT0_T1_,@function
_ZN2at6native29vectorized_elementwise_kernelILi16ENS0_13BinaryFunctorIN3c107complexIdEES5_bNS0_12_GLOBAL__N_116CompareEqFunctorIS5_EEEESt5arrayIPcLm3EEEEviT0_T1_: ; @_ZN2at6native29vectorized_elementwise_kernelILi16ENS0_13BinaryFunctorIN3c107complexIdEES5_bNS0_12_GLOBAL__N_116CompareEqFunctorIS5_EEEESt5arrayIPcLm3EEEEviT0_T1_
; %bb.0:
	s_load_dwordx2 s[12:13], s[4:5], 0x0
	s_load_dwordx4 s[8:11], s[4:5], 0x8
	s_load_dwordx2 s[14:15], s[4:5], 0x18
	s_lshl_b32 s6, s6, 12
	s_mov_b64 s[0:1], -1
	s_waitcnt lgkmcnt(0)
	s_sub_i32 s33, s12, s6
	s_cmpk_gt_i32 s33, 0xfff
	s_cbranch_scc0 .LBB112_50
; %bb.1:
	s_ashr_i32 s7, s6, 31
	s_lshl_b64 s[0:1], s[6:7], 4
	s_add_u32 s2, s10, s0
	s_addc_u32 s3, s11, s1
	s_add_u32 s0, s14, s0
	v_lshlrev_b32_e32 v29, 8, v0
	s_addc_u32 s1, s15, s1
	global_load_dwordx4 v[97:100], v29, s[2:3] offset:48
	global_load_dwordx4 v[105:108], v29, s[2:3] offset:32
	;; [unrolled: 1-line block ×3, first 2 shown]
	global_load_dwordx4 v[121:124], v29, s[2:3]
	global_load_dwordx4 v[65:68], v29, s[2:3] offset:112
	global_load_dwordx4 v[73:76], v29, s[2:3] offset:96
	;; [unrolled: 1-line block ×15, first 2 shown]
	global_load_dwordx4 v[125:128], v29, s[0:1]
	global_load_dwordx4 v[69:72], v29, s[0:1] offset:112
	global_load_dwordx4 v[77:80], v29, s[0:1] offset:96
	;; [unrolled: 1-line block ×11, first 2 shown]
	s_nop 0
	global_load_dwordx4 v[29:32], v29, s[0:1] offset:192
	s_cmp_lg_u32 s13, 0
	s_cselect_b64 s[2:3], -1, 0
	s_and_b64 vcc, exec, s[2:3]
	s_cbranch_vccz .LBB112_196
; %bb.2:
	s_waitcnt vmcnt(12)
	v_cmp_neq_f64_e32 vcc, v[121:122], v[125:126]
	v_cmp_neq_f64_e64 s[0:1], v[123:124], v[127:128]
	s_or_b64 s[4:5], vcc, s[0:1]
	s_cbranch_execnz .LBB112_4
.LBB112_3:
	s_waitcnt vmcnt(12)
	v_cmp_eq_f64_e32 vcc, v[121:122], v[125:126]
	v_cmp_eq_f64_e64 s[0:1], v[123:124], v[127:128]
	s_andn2_b64 s[4:5], s[4:5], exec
	s_and_b64 s[0:1], vcc, s[0:1]
	s_and_b64 s[0:1], s[0:1], exec
	s_or_b64 s[4:5], s[4:5], s[0:1]
.LBB112_4:
	s_waitcnt vmcnt(28)
	v_cndmask_b32_e64 v121, 0, 1, s[2:3]
	v_cmp_ne_u32_e64 s[0:1], 1, v121
	s_andn2_b64 vcc, exec, s[2:3]
	s_cbranch_vccnz .LBB112_197
; %bb.5:
	s_waitcnt vmcnt(13)
	v_cmp_neq_f64_e32 vcc, v[113:114], v[117:118]
	v_cmp_neq_f64_e64 s[2:3], v[115:116], v[119:120]
	s_or_b64 s[16:17], vcc, s[2:3]
	s_cbranch_execnz .LBB112_7
.LBB112_6:
	s_waitcnt vmcnt(13)
	v_cmp_eq_f64_e32 vcc, v[113:114], v[117:118]
	v_cmp_eq_f64_e64 s[2:3], v[115:116], v[119:120]
	s_andn2_b64 s[16:17], s[16:17], exec
	s_and_b64 s[2:3], vcc, s[2:3]
	s_and_b64 s[2:3], s[2:3], exec
	s_or_b64 s[16:17], s[16:17], s[2:3]
.LBB112_7:
	s_and_b64 vcc, exec, s[0:1]
	s_cbranch_vccnz .LBB112_198
; %bb.8:
	s_waitcnt vmcnt(14)
	v_cmp_neq_f64_e32 vcc, v[105:106], v[109:110]
	v_cmp_neq_f64_e64 s[2:3], v[107:108], v[111:112]
	s_or_b64 s[18:19], vcc, s[2:3]
	s_cbranch_execnz .LBB112_10
.LBB112_9:
	s_waitcnt vmcnt(14)
	v_cmp_eq_f64_e32 vcc, v[105:106], v[109:110]
	v_cmp_eq_f64_e64 s[2:3], v[107:108], v[111:112]
	s_andn2_b64 s[18:19], s[18:19], exec
	s_and_b64 s[2:3], vcc, s[2:3]
	s_and_b64 s[2:3], s[2:3], exec
	s_or_b64 s[18:19], s[18:19], s[2:3]
.LBB112_10:
	s_and_b64 vcc, exec, s[0:1]
	s_cbranch_vccnz .LBB112_199
; %bb.11:
	s_waitcnt vmcnt(15)
	v_cmp_neq_f64_e32 vcc, v[97:98], v[101:102]
	v_cmp_neq_f64_e64 s[2:3], v[99:100], v[103:104]
	s_or_b64 s[20:21], vcc, s[2:3]
	s_cbranch_execnz .LBB112_13
.LBB112_12:
	s_waitcnt vmcnt(15)
	v_cmp_eq_f64_e32 vcc, v[97:98], v[101:102]
	v_cmp_eq_f64_e64 s[2:3], v[99:100], v[103:104]
	s_andn2_b64 s[20:21], s[20:21], exec
	s_and_b64 s[2:3], vcc, s[2:3]
	s_and_b64 s[2:3], s[2:3], exec
	s_or_b64 s[20:21], s[20:21], s[2:3]
.LBB112_13:
	s_and_b64 vcc, exec, s[0:1]
	s_cbranch_vccnz .LBB112_200
; %bb.14:
	s_waitcnt vmcnt(8)
	v_cmp_neq_f64_e32 vcc, v[89:90], v[93:94]
	v_cmp_neq_f64_e64 s[2:3], v[91:92], v[95:96]
	s_or_b64 s[22:23], vcc, s[2:3]
	s_cbranch_execnz .LBB112_16
.LBB112_15:
	s_waitcnt vmcnt(8)
	v_cmp_eq_f64_e32 vcc, v[89:90], v[93:94]
	v_cmp_eq_f64_e64 s[2:3], v[91:92], v[95:96]
	s_andn2_b64 s[22:23], s[22:23], exec
	s_and_b64 s[2:3], vcc, s[2:3]
	s_and_b64 s[2:3], s[2:3], exec
	s_or_b64 s[22:23], s[22:23], s[2:3]
.LBB112_16:
	s_and_b64 vcc, exec, s[0:1]
	s_cbranch_vccnz .LBB112_201
; %bb.17:
	s_waitcnt vmcnt(9)
	v_cmp_neq_f64_e32 vcc, v[81:82], v[85:86]
	v_cmp_neq_f64_e64 s[2:3], v[83:84], v[87:88]
	s_or_b64 s[24:25], vcc, s[2:3]
	s_cbranch_execnz .LBB112_19
.LBB112_18:
	s_waitcnt vmcnt(9)
	v_cmp_eq_f64_e32 vcc, v[81:82], v[85:86]
	v_cmp_eq_f64_e64 s[2:3], v[83:84], v[87:88]
	s_andn2_b64 s[24:25], s[24:25], exec
	s_and_b64 s[2:3], vcc, s[2:3]
	s_and_b64 s[2:3], s[2:3], exec
	s_or_b64 s[24:25], s[24:25], s[2:3]
.LBB112_19:
	s_and_b64 vcc, exec, s[0:1]
	s_cbranch_vccnz .LBB112_202
; %bb.20:
	s_waitcnt vmcnt(10)
	v_cmp_neq_f64_e32 vcc, v[73:74], v[77:78]
	v_cmp_neq_f64_e64 s[2:3], v[75:76], v[79:80]
	s_or_b64 s[26:27], vcc, s[2:3]
	s_cbranch_execnz .LBB112_22
.LBB112_21:
	s_waitcnt vmcnt(10)
	v_cmp_eq_f64_e32 vcc, v[73:74], v[77:78]
	v_cmp_eq_f64_e64 s[2:3], v[75:76], v[79:80]
	s_andn2_b64 s[26:27], s[26:27], exec
	s_and_b64 s[2:3], vcc, s[2:3]
	s_and_b64 s[2:3], s[2:3], exec
	s_or_b64 s[26:27], s[26:27], s[2:3]
.LBB112_22:
	s_and_b64 vcc, exec, s[0:1]
	s_cbranch_vccnz .LBB112_203
; %bb.23:
	s_waitcnt vmcnt(11)
	v_cmp_neq_f64_e32 vcc, v[65:66], v[69:70]
	v_cmp_neq_f64_e64 s[2:3], v[67:68], v[71:72]
	s_or_b64 s[28:29], vcc, s[2:3]
	s_cbranch_execnz .LBB112_25
.LBB112_24:
	s_waitcnt vmcnt(11)
	v_cmp_eq_f64_e32 vcc, v[65:66], v[69:70]
	v_cmp_eq_f64_e64 s[2:3], v[67:68], v[71:72]
	s_andn2_b64 s[28:29], s[28:29], exec
	s_and_b64 s[2:3], vcc, s[2:3]
	s_and_b64 s[2:3], s[2:3], exec
	s_or_b64 s[28:29], s[28:29], s[2:3]
.LBB112_25:
	s_and_b64 vcc, exec, s[0:1]
	s_cbranch_vccnz .LBB112_204
; %bb.26:
	s_waitcnt vmcnt(4)
	v_cmp_neq_f64_e32 vcc, v[57:58], v[61:62]
	v_cmp_neq_f64_e64 s[2:3], v[59:60], v[63:64]
	s_or_b64 s[30:31], vcc, s[2:3]
	s_cbranch_execnz .LBB112_28
.LBB112_27:
	s_waitcnt vmcnt(4)
	v_cmp_eq_f64_e32 vcc, v[57:58], v[61:62]
	v_cmp_eq_f64_e64 s[2:3], v[59:60], v[63:64]
	s_andn2_b64 s[30:31], s[30:31], exec
	s_and_b64 s[2:3], vcc, s[2:3]
	s_and_b64 s[2:3], s[2:3], exec
	s_or_b64 s[30:31], s[30:31], s[2:3]
.LBB112_28:
	s_and_b64 vcc, exec, s[0:1]
	s_cbranch_vccnz .LBB112_205
; %bb.29:
	s_waitcnt vmcnt(5)
	v_cmp_neq_f64_e32 vcc, v[49:50], v[53:54]
	v_cmp_neq_f64_e64 s[2:3], v[51:52], v[55:56]
	s_or_b64 s[34:35], vcc, s[2:3]
	s_cbranch_execnz .LBB112_31
.LBB112_30:
	s_waitcnt vmcnt(5)
	v_cmp_eq_f64_e32 vcc, v[49:50], v[53:54]
	v_cmp_eq_f64_e64 s[2:3], v[51:52], v[55:56]
	s_andn2_b64 s[34:35], s[34:35], exec
	s_and_b64 s[2:3], vcc, s[2:3]
	s_and_b64 s[2:3], s[2:3], exec
	s_or_b64 s[34:35], s[34:35], s[2:3]
.LBB112_31:
	s_and_b64 vcc, exec, s[0:1]
	s_cbranch_vccnz .LBB112_206
; %bb.32:
	s_waitcnt vmcnt(6)
	v_cmp_neq_f64_e32 vcc, v[41:42], v[45:46]
	v_cmp_neq_f64_e64 s[2:3], v[43:44], v[47:48]
	s_or_b64 s[36:37], vcc, s[2:3]
	s_cbranch_execnz .LBB112_34
.LBB112_33:
	s_waitcnt vmcnt(6)
	v_cmp_eq_f64_e32 vcc, v[41:42], v[45:46]
	v_cmp_eq_f64_e64 s[2:3], v[43:44], v[47:48]
	s_andn2_b64 s[36:37], s[36:37], exec
	s_and_b64 s[2:3], vcc, s[2:3]
	s_and_b64 s[2:3], s[2:3], exec
	s_or_b64 s[36:37], s[36:37], s[2:3]
.LBB112_34:
	s_and_b64 vcc, exec, s[0:1]
	s_cbranch_vccnz .LBB112_207
; %bb.35:
	s_waitcnt vmcnt(7)
	v_cmp_neq_f64_e32 vcc, v[33:34], v[37:38]
	v_cmp_neq_f64_e64 s[2:3], v[35:36], v[39:40]
	s_or_b64 s[38:39], vcc, s[2:3]
	s_cbranch_execnz .LBB112_37
.LBB112_36:
	s_waitcnt vmcnt(7)
	v_cmp_eq_f64_e32 vcc, v[33:34], v[37:38]
	v_cmp_eq_f64_e64 s[2:3], v[35:36], v[39:40]
	s_andn2_b64 s[38:39], s[38:39], exec
	s_and_b64 s[2:3], vcc, s[2:3]
	s_and_b64 s[2:3], s[2:3], exec
	s_or_b64 s[38:39], s[38:39], s[2:3]
.LBB112_37:
	s_and_b64 vcc, exec, s[0:1]
	s_cbranch_vccnz .LBB112_208
; %bb.38:
	s_waitcnt vmcnt(0)
	v_cmp_neq_f64_e32 vcc, v[25:26], v[29:30]
	v_cmp_neq_f64_e64 s[2:3], v[27:28], v[31:32]
	s_or_b64 s[40:41], vcc, s[2:3]
	s_cbranch_execnz .LBB112_40
.LBB112_39:
	s_waitcnt vmcnt(0)
	v_cmp_eq_f64_e32 vcc, v[25:26], v[29:30]
	v_cmp_eq_f64_e64 s[2:3], v[27:28], v[31:32]
	s_andn2_b64 s[40:41], s[40:41], exec
	s_and_b64 s[2:3], vcc, s[2:3]
	s_and_b64 s[2:3], s[2:3], exec
	s_or_b64 s[40:41], s[40:41], s[2:3]
.LBB112_40:
	s_and_b64 vcc, exec, s[0:1]
	s_cbranch_vccnz .LBB112_209
; %bb.41:
	s_waitcnt vmcnt(1)
	v_cmp_neq_f64_e32 vcc, v[17:18], v[21:22]
	v_cmp_neq_f64_e64 s[2:3], v[19:20], v[23:24]
	s_or_b64 s[42:43], vcc, s[2:3]
	s_cbranch_execnz .LBB112_43
.LBB112_42:
	s_waitcnt vmcnt(1)
	v_cmp_eq_f64_e32 vcc, v[17:18], v[21:22]
	v_cmp_eq_f64_e64 s[2:3], v[19:20], v[23:24]
	s_andn2_b64 s[42:43], s[42:43], exec
	s_and_b64 s[2:3], vcc, s[2:3]
	s_and_b64 s[2:3], s[2:3], exec
	s_or_b64 s[42:43], s[42:43], s[2:3]
.LBB112_43:
	s_and_b64 vcc, exec, s[0:1]
	s_cbranch_vccnz .LBB112_210
; %bb.44:
	s_waitcnt vmcnt(2)
	v_cmp_neq_f64_e32 vcc, v[9:10], v[13:14]
	v_cmp_neq_f64_e64 s[2:3], v[11:12], v[15:16]
	s_or_b64 s[44:45], vcc, s[2:3]
	s_cbranch_execnz .LBB112_46
.LBB112_45:
	s_waitcnt vmcnt(2)
	v_cmp_eq_f64_e32 vcc, v[9:10], v[13:14]
	v_cmp_eq_f64_e64 s[2:3], v[11:12], v[15:16]
	s_andn2_b64 s[44:45], s[44:45], exec
	s_and_b64 s[2:3], vcc, s[2:3]
	s_and_b64 s[2:3], s[2:3], exec
	s_or_b64 s[44:45], s[44:45], s[2:3]
.LBB112_46:
	s_and_b64 vcc, exec, s[0:1]
	s_cbranch_vccnz .LBB112_211
; %bb.47:
	s_waitcnt vmcnt(3)
	v_cmp_neq_f64_e32 vcc, v[1:2], v[5:6]
	v_cmp_neq_f64_e64 s[0:1], v[3:4], v[7:8]
	s_or_b64 s[2:3], vcc, s[0:1]
	s_cbranch_execnz .LBB112_49
.LBB112_48:
	s_waitcnt vmcnt(3)
	v_cmp_eq_f64_e32 vcc, v[1:2], v[5:6]
	v_cmp_eq_f64_e64 s[0:1], v[3:4], v[7:8]
	s_andn2_b64 s[2:3], s[2:3], exec
	s_and_b64 s[0:1], vcc, s[0:1]
	s_and_b64 s[0:1], s[0:1], exec
	s_or_b64 s[2:3], s[2:3], s[0:1]
.LBB112_49:
	s_waitcnt vmcnt(19)
	v_cndmask_b32_e64 v1, 0, 1, s[16:17]
	v_lshlrev_b16_e32 v1, 8, v1
	v_cndmask_b32_e64 v2, 0, 1, s[4:5]
	v_or_b32_e32 v1, v2, v1
	v_cndmask_b32_e64 v2, 0, 1, s[20:21]
	v_lshlrev_b16_e32 v2, 8, v2
	v_cndmask_b32_e64 v3, 0, 1, s[18:19]
	v_or_b32_sdwa v2, v3, v2 dst_sel:WORD_1 dst_unused:UNUSED_PAD src0_sel:DWORD src1_sel:DWORD
	v_or_b32_sdwa v1, v1, v2 dst_sel:DWORD dst_unused:UNUSED_PAD src0_sel:WORD_0 src1_sel:DWORD
	v_cndmask_b32_e64 v2, 0, 1, s[24:25]
	v_lshlrev_b16_e32 v2, 8, v2
	v_cndmask_b32_e64 v3, 0, 1, s[22:23]
	v_or_b32_e32 v2, v3, v2
	v_cndmask_b32_e64 v3, 0, 1, s[28:29]
	v_lshlrev_b16_e32 v3, 8, v3
	v_cndmask_b32_e64 v4, 0, 1, s[26:27]
	v_or_b32_sdwa v3, v4, v3 dst_sel:WORD_1 dst_unused:UNUSED_PAD src0_sel:DWORD src1_sel:DWORD
	v_or_b32_sdwa v2, v2, v3 dst_sel:DWORD dst_unused:UNUSED_PAD src0_sel:WORD_0 src1_sel:DWORD
	v_cndmask_b32_e64 v3, 0, 1, s[34:35]
	v_lshlrev_b16_e32 v3, 8, v3
	v_cndmask_b32_e64 v4, 0, 1, s[30:31]
	v_or_b32_e32 v3, v4, v3
	v_cndmask_b32_e64 v4, 0, 1, s[38:39]
	v_lshlrev_b16_e32 v4, 8, v4
	s_waitcnt vmcnt(3)
	v_cndmask_b32_e64 v6, 0, 1, s[36:37]
	v_or_b32_sdwa v4, v6, v4 dst_sel:WORD_1 dst_unused:UNUSED_PAD src0_sel:DWORD src1_sel:DWORD
	v_or_b32_sdwa v3, v3, v4 dst_sel:DWORD dst_unused:UNUSED_PAD src0_sel:WORD_0 src1_sel:DWORD
	v_cndmask_b32_e64 v4, 0, 1, s[42:43]
	v_lshlrev_b16_e32 v4, 8, v4
	v_cndmask_b32_e64 v6, 0, 1, s[40:41]
	v_or_b32_e32 v4, v6, v4
	v_cndmask_b32_e64 v6, 0, 1, s[2:3]
	v_lshlrev_b16_e32 v6, 8, v6
	v_cndmask_b32_e64 v7, 0, 1, s[44:45]
	s_add_u32 s0, s8, s6
	v_or_b32_sdwa v6, v7, v6 dst_sel:WORD_1 dst_unused:UNUSED_PAD src0_sel:DWORD src1_sel:DWORD
	s_addc_u32 s1, s9, s7
	v_lshlrev_b32_e32 v5, 4, v0
	v_or_b32_sdwa v4, v4, v6 dst_sel:DWORD dst_unused:UNUSED_PAD src0_sel:WORD_0 src1_sel:DWORD
	global_store_dwordx4 v5, v[1:4], s[0:1]
	s_mov_b64 s[0:1], 0
.LBB112_50:
	s_and_b64 vcc, exec, s[0:1]
	s_cbranch_vccz .LBB112_195
; %bb.51:
	v_mov_b32_e32 v1, 0
	s_waitcnt vmcnt(2)
	v_mov_b32_e32 v21, 0
	v_mov_b32_e32 v23, 0
	;; [unrolled: 1-line block ×4, first 2 shown]
	v_cmp_gt_i32_e64 s[0:1], s33, v0
	v_mov_b32_e32 v2, 0
	v_or_b32_e32 v129, s6, v0
	v_mov_b32_e32 v22, 0
	v_mov_b32_e32 v24, 0
	;; [unrolled: 1-line block ×5, first 2 shown]
	s_and_saveexec_b64 s[2:3], s[0:1]
	s_cbranch_execz .LBB112_53
; %bb.52:
	v_mov_b32_e32 v130, 0
	v_lshlrev_b64 v[3:4], 4, v[129:130]
	v_mov_b32_e32 v6, s11
	v_add_co_u32_e32 v5, vcc, s10, v3
	v_addc_co_u32_e32 v6, vcc, v6, v4, vcc
	v_mov_b32_e32 v7, s15
	v_add_co_u32_e32 v3, vcc, s14, v3
	v_addc_co_u32_e32 v4, vcc, v7, v4, vcc
	global_load_dwordx4 v[13:16], v[5:6], off
	global_load_dwordx4 v[21:24], v[3:4], off
	v_or_b32_e32 v130, 0x100, v0
.LBB112_53:
	s_or_b64 exec, exec, s[2:3]
	v_mov_b32_e32 v3, 0
	v_mov_b32_e32 v25, 0
	v_mov_b32_e32 v27, 0
	v_mov_b32_e32 v4, 0
	v_mov_b32_e32 v26, 0
	v_mov_b32_e32 v28, 0
	v_cmp_gt_i32_e32 vcc, s33, v130
	s_and_saveexec_b64 s[2:3], vcc
	s_cbranch_execz .LBB112_55
; %bb.54:
	v_add_u32_e32 v1, s6, v130
	v_mov_b32_e32 v2, 0
	v_lshlrev_b64 v[1:2], 4, v[1:2]
	v_mov_b32_e32 v3, s11
	v_add_co_u32_e32 v5, vcc, s10, v1
	v_addc_co_u32_e32 v6, vcc, v3, v2, vcc
	v_mov_b32_e32 v3, s15
	v_add_co_u32_e32 v7, vcc, s14, v1
	v_addc_co_u32_e32 v8, vcc, v3, v2, vcc
	global_load_dwordx4 v[25:28], v[5:6], off
	global_load_dwordx4 v[1:4], v[7:8], off
	v_add_u32_e32 v130, 0x100, v130
.LBB112_55:
	s_or_b64 exec, exec, s[2:3]
	v_mov_b32_e32 v5, 0
	v_mov_b32_e32 v37, 0
	;; [unrolled: 1-line block ×3, first 2 shown]
	s_waitcnt vmcnt(1)
	v_mov_b32_e32 v29, 0
	v_mov_b32_e32 v31, 0
	v_mov_b32_e32 v6, 0
	v_mov_b32_e32 v38, 0
	v_mov_b32_e32 v40, 0
	v_mov_b32_e32 v30, 0
	v_mov_b32_e32 v32, 0
	v_cmp_gt_i32_e32 vcc, s33, v130
	s_and_saveexec_b64 s[2:3], vcc
	s_cbranch_execz .LBB112_57
; %bb.56:
	v_add_u32_e32 v7, s6, v130
	v_mov_b32_e32 v8, 0
	v_lshlrev_b64 v[7:8], 4, v[7:8]
	v_mov_b32_e32 v10, s11
	v_add_co_u32_e32 v9, vcc, s10, v7
	v_addc_co_u32_e32 v10, vcc, v10, v8, vcc
	v_mov_b32_e32 v11, s15
	v_add_co_u32_e32 v7, vcc, s14, v7
	v_addc_co_u32_e32 v8, vcc, v11, v8, vcc
	global_load_dwordx4 v[29:32], v[9:10], off
	global_load_dwordx4 v[37:40], v[7:8], off
	v_add_u32_e32 v130, 0x100, v130
.LBB112_57:
	s_or_b64 exec, exec, s[2:3]
	v_mov_b32_e32 v7, 0
	v_mov_b32_e32 v41, 0
	v_mov_b32_e32 v43, 0
	v_mov_b32_e32 v8, 0
	v_mov_b32_e32 v42, 0
	v_mov_b32_e32 v44, 0
	v_cmp_gt_i32_e32 vcc, s33, v130
	s_and_saveexec_b64 s[2:3], vcc
	s_cbranch_execz .LBB112_59
; %bb.58:
	v_add_u32_e32 v5, s6, v130
	v_mov_b32_e32 v6, 0
	v_lshlrev_b64 v[5:6], 4, v[5:6]
	v_mov_b32_e32 v7, s11
	v_add_co_u32_e32 v9, vcc, s10, v5
	v_addc_co_u32_e32 v10, vcc, v7, v6, vcc
	v_mov_b32_e32 v7, s15
	v_add_co_u32_e32 v11, vcc, s14, v5
	v_addc_co_u32_e32 v12, vcc, v7, v6, vcc
	global_load_dwordx4 v[41:44], v[9:10], off
	global_load_dwordx4 v[5:8], v[11:12], off
	v_add_u32_e32 v130, 0x100, v130
.LBB112_59:
	s_or_b64 exec, exec, s[2:3]
	v_mov_b32_e32 v9, 0
	v_mov_b32_e32 v53, 0
	v_mov_b32_e32 v55, 0
	v_mov_b32_e32 v45, 0
	v_mov_b32_e32 v47, 0
	v_mov_b32_e32 v10, 0
	v_mov_b32_e32 v54, 0
	v_mov_b32_e32 v56, 0
	v_mov_b32_e32 v46, 0
	v_mov_b32_e32 v48, 0
	v_cmp_gt_i32_e32 vcc, s33, v130
	s_and_saveexec_b64 s[2:3], vcc
	s_cbranch_execz .LBB112_61
; %bb.60:
	v_add_u32_e32 v11, s6, v130
	v_mov_b32_e32 v12, 0
	v_lshlrev_b64 v[11:12], 4, v[11:12]
	v_mov_b32_e32 v18, s11
	v_add_co_u32_e32 v17, vcc, s10, v11
	v_addc_co_u32_e32 v18, vcc, v18, v12, vcc
	v_mov_b32_e32 v19, s15
	v_add_co_u32_e32 v11, vcc, s14, v11
	v_addc_co_u32_e32 v12, vcc, v19, v12, vcc
	global_load_dwordx4 v[45:48], v[17:18], off
	global_load_dwordx4 v[53:56], v[11:12], off
	v_add_u32_e32 v130, 0x100, v130
.LBB112_61:
	s_or_b64 exec, exec, s[2:3]
	v_mov_b32_e32 v11, 0
	v_mov_b32_e32 v57, 0
	v_mov_b32_e32 v59, 0
	v_mov_b32_e32 v12, 0
	v_mov_b32_e32 v58, 0
	v_mov_b32_e32 v60, 0
	v_cmp_gt_i32_e32 vcc, s33, v130
	s_and_saveexec_b64 s[2:3], vcc
	s_cbranch_execz .LBB112_63
; %bb.62:
	v_add_u32_e32 v9, s6, v130
	v_mov_b32_e32 v10, 0
	v_lshlrev_b64 v[9:10], 4, v[9:10]
	v_mov_b32_e32 v11, s11
	v_add_co_u32_e32 v17, vcc, s10, v9
	v_addc_co_u32_e32 v18, vcc, v11, v10, vcc
	v_mov_b32_e32 v11, s15
	v_add_co_u32_e32 v19, vcc, s14, v9
	v_addc_co_u32_e32 v20, vcc, v11, v10, vcc
	global_load_dwordx4 v[57:60], v[17:18], off
	global_load_dwordx4 v[9:12], v[19:20], off
	v_add_u32_e32 v130, 0x100, v130
.LBB112_63:
	s_or_b64 exec, exec, s[2:3]
	v_mov_b32_e32 v17, 0
	v_mov_b32_e32 v69, 0
	v_mov_b32_e32 v71, 0
	;; [unrolled: 52-line block ×6, first 2 shown]
	v_mov_b32_e32 v117, 0
	v_mov_b32_e32 v119, 0
	v_mov_b32_e32 v82, 0
	v_mov_b32_e32 v122, 0
	v_mov_b32_e32 v124, 0
	v_mov_b32_e32 v118, 0
	v_mov_b32_e32 v120, 0
	v_cmp_gt_i32_e32 vcc, s33, v130
	s_and_saveexec_b64 s[2:3], vcc
	s_cbranch_execz .LBB112_81
; %bb.80:
	v_add_u32_e32 v83, s6, v130
	v_mov_b32_e32 v84, 0
	v_lshlrev_b64 v[83:84], 4, v[83:84]
	v_mov_b32_e32 v118, s11
	v_add_co_u32_e32 v117, vcc, s10, v83
	v_addc_co_u32_e32 v118, vcc, v118, v84, vcc
	v_mov_b32_e32 v119, s15
	v_add_co_u32_e32 v83, vcc, s14, v83
	v_addc_co_u32_e32 v84, vcc, v119, v84, vcc
	global_load_dwordx4 v[117:120], v[117:118], off
	s_nop 0
	global_load_dwordx4 v[121:124], v[83:84], off
	v_add_u32_e32 v130, 0x100, v130
.LBB112_81:
	s_or_b64 exec, exec, s[2:3]
	v_mov_b32_e32 v83, 0
	v_mov_b32_e32 v125, 0
	;; [unrolled: 1-line block ×6, first 2 shown]
	v_cmp_gt_i32_e32 vcc, s33, v130
	s_and_saveexec_b64 s[2:3], vcc
	s_cbranch_execz .LBB112_83
; %bb.82:
	v_add_u32_e32 v81, s6, v130
	v_mov_b32_e32 v82, 0
	v_lshlrev_b64 v[81:82], 4, v[81:82]
	v_mov_b32_e32 v84, s11
	v_add_co_u32_e32 v83, vcc, s10, v81
	v_addc_co_u32_e32 v84, vcc, v84, v82, vcc
	v_mov_b32_e32 v125, s15
	v_add_co_u32_e32 v81, vcc, s14, v81
	v_addc_co_u32_e32 v82, vcc, v125, v82, vcc
	global_load_dwordx4 v[125:128], v[83:84], off
	s_nop 0
	global_load_dwordx4 v[81:84], v[81:82], off
.LBB112_83:
	s_or_b64 exec, exec, s[2:3]
	s_cmp_lg_u32 s13, 0
	s_cselect_b64 s[4:5], -1, 0
                                        ; implicit-def: $vgpr130
	s_and_saveexec_b64 s[10:11], s[0:1]
	s_cbranch_execz .LBB112_88
; %bb.84:
	s_and_b64 vcc, exec, s[4:5]
	s_cbranch_vccz .LBB112_212
; %bb.85:
	s_waitcnt vmcnt(0)
	v_cmp_neq_f64_e32 vcc, v[13:14], v[21:22]
	v_cmp_neq_f64_e64 s[2:3], v[15:16], v[23:24]
	s_or_b64 s[12:13], vcc, s[2:3]
	s_cbranch_execnz .LBB112_87
.LBB112_86:
	s_waitcnt vmcnt(0)
	v_cmp_eq_f64_e32 vcc, v[13:14], v[21:22]
	v_cmp_eq_f64_e64 s[2:3], v[15:16], v[23:24]
	s_andn2_b64 s[12:13], s[12:13], exec
	s_and_b64 s[2:3], vcc, s[2:3]
	s_and_b64 s[2:3], s[2:3], exec
	s_or_b64 s[12:13], s[12:13], s[2:3]
.LBB112_87:
	v_cndmask_b32_e64 v130, 0, 1, s[12:13]
.LBB112_88:
	s_or_b64 exec, exec, s[10:11]
	v_or_b32_e32 v13, 0x100, v0
	v_cndmask_b32_e64 v14, 0, 1, s[4:5]
	v_cmp_gt_i32_e32 vcc, s33, v13
	v_cmp_ne_u32_e64 s[2:3], 1, v14
                                        ; implicit-def: $vgpr14
	s_and_saveexec_b64 s[10:11], vcc
	s_cbranch_execz .LBB112_93
; %bb.89:
	s_and_b64 vcc, exec, s[2:3]
	s_cbranch_vccnz .LBB112_213
; %bb.90:
	s_waitcnt vmcnt(0)
	v_cmp_neq_f64_e32 vcc, v[25:26], v[1:2]
	v_cmp_neq_f64_e64 s[4:5], v[27:28], v[3:4]
	s_or_b64 s[12:13], vcc, s[4:5]
	s_cbranch_execnz .LBB112_92
.LBB112_91:
	s_waitcnt vmcnt(0)
	v_cmp_eq_f64_e32 vcc, v[25:26], v[1:2]
	v_cmp_eq_f64_e64 s[4:5], v[27:28], v[3:4]
	s_andn2_b64 s[12:13], s[12:13], exec
	s_and_b64 s[4:5], vcc, s[4:5]
	s_and_b64 s[4:5], s[4:5], exec
	s_or_b64 s[12:13], s[12:13], s[4:5]
.LBB112_92:
	v_cndmask_b32_e64 v14, 0, 1, s[12:13]
.LBB112_93:
	s_or_b64 exec, exec, s[10:11]
	s_waitcnt vmcnt(0)
	v_or_b32_e32 v1, 0x200, v0
	v_cmp_gt_i32_e32 vcc, s33, v1
                                        ; implicit-def: $vgpr1
	s_and_saveexec_b64 s[10:11], vcc
	s_cbranch_execz .LBB112_98
; %bb.94:
	s_and_b64 vcc, exec, s[2:3]
	s_cbranch_vccnz .LBB112_214
; %bb.95:
	v_cmp_neq_f64_e32 vcc, v[29:30], v[37:38]
	v_cmp_neq_f64_e64 s[4:5], v[31:32], v[39:40]
	s_or_b64 s[12:13], vcc, s[4:5]
	s_cbranch_execnz .LBB112_97
.LBB112_96:
	v_cmp_eq_f64_e32 vcc, v[29:30], v[37:38]
	v_cmp_eq_f64_e64 s[4:5], v[31:32], v[39:40]
	s_andn2_b64 s[12:13], s[12:13], exec
	s_and_b64 s[4:5], vcc, s[4:5]
	s_and_b64 s[4:5], s[4:5], exec
	s_or_b64 s[12:13], s[12:13], s[4:5]
.LBB112_97:
	v_cndmask_b32_e64 v1, 0, 1, s[12:13]
.LBB112_98:
	s_or_b64 exec, exec, s[10:11]
	v_or_b32_e32 v2, 0x300, v0
	v_cmp_gt_i32_e32 vcc, s33, v2
                                        ; implicit-def: $vgpr2
	s_and_saveexec_b64 s[10:11], vcc
	s_cbranch_execz .LBB112_103
; %bb.99:
	s_and_b64 vcc, exec, s[2:3]
	s_cbranch_vccnz .LBB112_215
; %bb.100:
	v_cmp_neq_f64_e32 vcc, v[41:42], v[5:6]
	v_cmp_neq_f64_e64 s[4:5], v[43:44], v[7:8]
	s_or_b64 s[12:13], vcc, s[4:5]
	s_cbranch_execnz .LBB112_102
.LBB112_101:
	v_cmp_eq_f64_e32 vcc, v[41:42], v[5:6]
	v_cmp_eq_f64_e64 s[4:5], v[43:44], v[7:8]
	s_andn2_b64 s[12:13], s[12:13], exec
	s_and_b64 s[4:5], vcc, s[4:5]
	s_and_b64 s[4:5], s[4:5], exec
	s_or_b64 s[12:13], s[12:13], s[4:5]
.LBB112_102:
	v_cndmask_b32_e64 v2, 0, 1, s[12:13]
.LBB112_103:
	s_or_b64 exec, exec, s[10:11]
	v_or_b32_e32 v3, 0x400, v0
	v_cmp_gt_i32_e32 vcc, s33, v3
                                        ; implicit-def: $vgpr3
	s_and_saveexec_b64 s[10:11], vcc
	s_cbranch_execz .LBB112_108
; %bb.104:
	s_and_b64 vcc, exec, s[2:3]
	s_cbranch_vccnz .LBB112_216
; %bb.105:
	v_cmp_neq_f64_e32 vcc, v[45:46], v[53:54]
	v_cmp_neq_f64_e64 s[4:5], v[47:48], v[55:56]
	s_or_b64 s[12:13], vcc, s[4:5]
	s_cbranch_execnz .LBB112_107
.LBB112_106:
	v_cmp_eq_f64_e32 vcc, v[45:46], v[53:54]
	v_cmp_eq_f64_e64 s[4:5], v[47:48], v[55:56]
	s_andn2_b64 s[12:13], s[12:13], exec
	s_and_b64 s[4:5], vcc, s[4:5]
	s_and_b64 s[4:5], s[4:5], exec
	s_or_b64 s[12:13], s[12:13], s[4:5]
.LBB112_107:
	v_cndmask_b32_e64 v3, 0, 1, s[12:13]
.LBB112_108:
	s_or_b64 exec, exec, s[10:11]
	v_or_b32_e32 v4, 0x500, v0
	v_cmp_gt_i32_e32 vcc, s33, v4
                                        ; implicit-def: $vgpr4
	s_and_saveexec_b64 s[10:11], vcc
	s_cbranch_execz .LBB112_113
; %bb.109:
	s_and_b64 vcc, exec, s[2:3]
	s_cbranch_vccnz .LBB112_217
; %bb.110:
	v_cmp_neq_f64_e32 vcc, v[57:58], v[9:10]
	v_cmp_neq_f64_e64 s[4:5], v[59:60], v[11:12]
	s_or_b64 s[12:13], vcc, s[4:5]
	s_cbranch_execnz .LBB112_112
.LBB112_111:
	v_cmp_eq_f64_e32 vcc, v[57:58], v[9:10]
	v_cmp_eq_f64_e64 s[4:5], v[59:60], v[11:12]
	s_andn2_b64 s[12:13], s[12:13], exec
	s_and_b64 s[4:5], vcc, s[4:5]
	s_and_b64 s[4:5], s[4:5], exec
	s_or_b64 s[12:13], s[12:13], s[4:5]
.LBB112_112:
	v_cndmask_b32_e64 v4, 0, 1, s[12:13]
.LBB112_113:
	s_or_b64 exec, exec, s[10:11]
	v_or_b32_e32 v5, 0x600, v0
	v_cmp_gt_i32_e32 vcc, s33, v5
                                        ; implicit-def: $vgpr5
	s_and_saveexec_b64 s[10:11], vcc
	s_cbranch_execz .LBB112_118
; %bb.114:
	s_and_b64 vcc, exec, s[2:3]
	s_cbranch_vccnz .LBB112_218
; %bb.115:
	v_cmp_neq_f64_e32 vcc, v[61:62], v[69:70]
	v_cmp_neq_f64_e64 s[4:5], v[63:64], v[71:72]
	s_or_b64 s[12:13], vcc, s[4:5]
	s_cbranch_execnz .LBB112_117
.LBB112_116:
	v_cmp_eq_f64_e32 vcc, v[61:62], v[69:70]
	v_cmp_eq_f64_e64 s[4:5], v[63:64], v[71:72]
	s_andn2_b64 s[12:13], s[12:13], exec
	s_and_b64 s[4:5], vcc, s[4:5]
	s_and_b64 s[4:5], s[4:5], exec
	s_or_b64 s[12:13], s[12:13], s[4:5]
.LBB112_117:
	v_cndmask_b32_e64 v5, 0, 1, s[12:13]
.LBB112_118:
	s_or_b64 exec, exec, s[10:11]
	v_or_b32_e32 v6, 0x700, v0
	v_cmp_gt_i32_e32 vcc, s33, v6
                                        ; implicit-def: $vgpr6
	s_and_saveexec_b64 s[10:11], vcc
	s_cbranch_execz .LBB112_123
; %bb.119:
	s_and_b64 vcc, exec, s[2:3]
	s_cbranch_vccnz .LBB112_219
; %bb.120:
	v_cmp_neq_f64_e32 vcc, v[73:74], v[17:18]
	v_cmp_neq_f64_e64 s[4:5], v[75:76], v[19:20]
	s_or_b64 s[12:13], vcc, s[4:5]
	s_cbranch_execnz .LBB112_122
.LBB112_121:
	v_cmp_eq_f64_e32 vcc, v[73:74], v[17:18]
	v_cmp_eq_f64_e64 s[4:5], v[75:76], v[19:20]
	s_andn2_b64 s[12:13], s[12:13], exec
	s_and_b64 s[4:5], vcc, s[4:5]
	s_and_b64 s[4:5], s[4:5], exec
	s_or_b64 s[12:13], s[12:13], s[4:5]
.LBB112_122:
	v_cndmask_b32_e64 v6, 0, 1, s[12:13]
.LBB112_123:
	s_or_b64 exec, exec, s[10:11]
	v_or_b32_e32 v7, 0x800, v0
	v_cmp_gt_i32_e32 vcc, s33, v7
                                        ; implicit-def: $vgpr7
	s_and_saveexec_b64 s[10:11], vcc
	s_cbranch_execz .LBB112_128
; %bb.124:
	s_and_b64 vcc, exec, s[2:3]
	s_cbranch_vccnz .LBB112_220
; %bb.125:
	v_cmp_neq_f64_e32 vcc, v[77:78], v[85:86]
	v_cmp_neq_f64_e64 s[4:5], v[79:80], v[87:88]
	s_or_b64 s[12:13], vcc, s[4:5]
	s_cbranch_execnz .LBB112_127
.LBB112_126:
	v_cmp_eq_f64_e32 vcc, v[77:78], v[85:86]
	v_cmp_eq_f64_e64 s[4:5], v[79:80], v[87:88]
	s_andn2_b64 s[12:13], s[12:13], exec
	s_and_b64 s[4:5], vcc, s[4:5]
	s_and_b64 s[4:5], s[4:5], exec
	s_or_b64 s[12:13], s[12:13], s[4:5]
.LBB112_127:
	v_cndmask_b32_e64 v7, 0, 1, s[12:13]
.LBB112_128:
	s_or_b64 exec, exec, s[10:11]
	v_or_b32_e32 v8, 0x900, v0
	v_cmp_gt_i32_e32 vcc, s33, v8
                                        ; implicit-def: $vgpr8
	s_and_saveexec_b64 s[10:11], vcc
	s_cbranch_execz .LBB112_133
; %bb.129:
	s_and_b64 vcc, exec, s[2:3]
	s_cbranch_vccnz .LBB112_221
; %bb.130:
	v_cmp_neq_f64_e32 vcc, v[89:90], v[33:34]
	v_cmp_neq_f64_e64 s[4:5], v[91:92], v[35:36]
	s_or_b64 s[12:13], vcc, s[4:5]
	s_cbranch_execnz .LBB112_132
.LBB112_131:
	v_cmp_eq_f64_e32 vcc, v[89:90], v[33:34]
	v_cmp_eq_f64_e64 s[4:5], v[91:92], v[35:36]
	s_andn2_b64 s[12:13], s[12:13], exec
	s_and_b64 s[4:5], vcc, s[4:5]
	s_and_b64 s[4:5], s[4:5], exec
	s_or_b64 s[12:13], s[12:13], s[4:5]
.LBB112_132:
	v_cndmask_b32_e64 v8, 0, 1, s[12:13]
.LBB112_133:
	s_or_b64 exec, exec, s[10:11]
	v_or_b32_e32 v9, 0xa00, v0
	v_cmp_gt_i32_e32 vcc, s33, v9
                                        ; implicit-def: $vgpr9
	s_and_saveexec_b64 s[10:11], vcc
	s_cbranch_execz .LBB112_138
; %bb.134:
	s_and_b64 vcc, exec, s[2:3]
	s_cbranch_vccnz .LBB112_222
; %bb.135:
	v_cmp_neq_f64_e32 vcc, v[93:94], v[97:98]
	v_cmp_neq_f64_e64 s[4:5], v[95:96], v[99:100]
	s_or_b64 s[12:13], vcc, s[4:5]
	s_cbranch_execnz .LBB112_137
.LBB112_136:
	v_cmp_eq_f64_e32 vcc, v[93:94], v[97:98]
	v_cmp_eq_f64_e64 s[4:5], v[95:96], v[99:100]
	s_andn2_b64 s[12:13], s[12:13], exec
	s_and_b64 s[4:5], vcc, s[4:5]
	s_and_b64 s[4:5], s[4:5], exec
	s_or_b64 s[12:13], s[12:13], s[4:5]
.LBB112_137:
	v_cndmask_b32_e64 v9, 0, 1, s[12:13]
.LBB112_138:
	s_or_b64 exec, exec, s[10:11]
	v_or_b32_e32 v10, 0xb00, v0
	v_cmp_gt_i32_e32 vcc, s33, v10
                                        ; implicit-def: $vgpr10
	s_and_saveexec_b64 s[10:11], vcc
	s_cbranch_execz .LBB112_143
; %bb.139:
	s_and_b64 vcc, exec, s[2:3]
	s_cbranch_vccnz .LBB112_223
; %bb.140:
	v_cmp_neq_f64_e32 vcc, v[101:102], v[49:50]
	v_cmp_neq_f64_e64 s[4:5], v[103:104], v[51:52]
	s_or_b64 s[12:13], vcc, s[4:5]
	s_cbranch_execnz .LBB112_142
.LBB112_141:
	v_cmp_eq_f64_e32 vcc, v[101:102], v[49:50]
	v_cmp_eq_f64_e64 s[4:5], v[103:104], v[51:52]
	s_andn2_b64 s[12:13], s[12:13], exec
	s_and_b64 s[4:5], vcc, s[4:5]
	s_and_b64 s[4:5], s[4:5], exec
	s_or_b64 s[12:13], s[12:13], s[4:5]
.LBB112_142:
	v_cndmask_b32_e64 v10, 0, 1, s[12:13]
.LBB112_143:
	s_or_b64 exec, exec, s[10:11]
	v_or_b32_e32 v11, 0xc00, v0
	v_cmp_gt_i32_e32 vcc, s33, v11
                                        ; implicit-def: $vgpr11
	s_and_saveexec_b64 s[10:11], vcc
	s_cbranch_execz .LBB112_148
; %bb.144:
	s_and_b64 vcc, exec, s[2:3]
	s_cbranch_vccnz .LBB112_224
; %bb.145:
	v_cmp_neq_f64_e32 vcc, v[105:106], v[109:110]
	v_cmp_neq_f64_e64 s[4:5], v[107:108], v[111:112]
	s_or_b64 s[12:13], vcc, s[4:5]
	s_cbranch_execnz .LBB112_147
.LBB112_146:
	v_cmp_eq_f64_e32 vcc, v[105:106], v[109:110]
	v_cmp_eq_f64_e64 s[4:5], v[107:108], v[111:112]
	s_andn2_b64 s[12:13], s[12:13], exec
	s_and_b64 s[4:5], vcc, s[4:5]
	s_and_b64 s[4:5], s[4:5], exec
	s_or_b64 s[12:13], s[12:13], s[4:5]
.LBB112_147:
	v_cndmask_b32_e64 v11, 0, 1, s[12:13]
.LBB112_148:
	s_or_b64 exec, exec, s[10:11]
	v_or_b32_e32 v12, 0xd00, v0
	v_cmp_gt_i32_e32 vcc, s33, v12
                                        ; implicit-def: $vgpr12
	s_and_saveexec_b64 s[10:11], vcc
	s_cbranch_execz .LBB112_153
; %bb.149:
	s_and_b64 vcc, exec, s[2:3]
	s_cbranch_vccnz .LBB112_225
; %bb.150:
	v_cmp_neq_f64_e32 vcc, v[113:114], v[65:66]
	v_cmp_neq_f64_e64 s[4:5], v[115:116], v[67:68]
	s_or_b64 s[12:13], vcc, s[4:5]
	s_cbranch_execnz .LBB112_152
.LBB112_151:
	v_cmp_eq_f64_e32 vcc, v[113:114], v[65:66]
	v_cmp_eq_f64_e64 s[4:5], v[115:116], v[67:68]
	s_andn2_b64 s[12:13], s[12:13], exec
	s_and_b64 s[4:5], vcc, s[4:5]
	s_and_b64 s[4:5], s[4:5], exec
	s_or_b64 s[12:13], s[12:13], s[4:5]
.LBB112_152:
	v_cndmask_b32_e64 v12, 0, 1, s[12:13]
.LBB112_153:
	s_or_b64 exec, exec, s[10:11]
	v_or_b32_e32 v15, 0xe00, v0
	v_cmp_gt_i32_e32 vcc, s33, v15
                                        ; implicit-def: $vgpr15
	s_and_saveexec_b64 s[10:11], vcc
	s_cbranch_execz .LBB112_158
; %bb.154:
	s_and_b64 vcc, exec, s[2:3]
	s_cbranch_vccnz .LBB112_226
; %bb.155:
	v_cmp_neq_f64_e32 vcc, v[117:118], v[121:122]
	v_cmp_neq_f64_e64 s[4:5], v[119:120], v[123:124]
	s_or_b64 s[12:13], vcc, s[4:5]
	s_cbranch_execnz .LBB112_157
.LBB112_156:
	v_cmp_eq_f64_e32 vcc, v[117:118], v[121:122]
	v_cmp_eq_f64_e64 s[4:5], v[119:120], v[123:124]
	s_andn2_b64 s[12:13], s[12:13], exec
	s_and_b64 s[4:5], vcc, s[4:5]
	s_and_b64 s[4:5], s[4:5], exec
	s_or_b64 s[12:13], s[12:13], s[4:5]
.LBB112_157:
	v_cndmask_b32_e64 v15, 0, 1, s[12:13]
.LBB112_158:
	s_or_b64 exec, exec, s[10:11]
	v_or_b32_e32 v16, 0xf00, v0
	v_cmp_gt_i32_e32 vcc, s33, v16
                                        ; implicit-def: $vgpr16
	s_and_saveexec_b64 s[4:5], vcc
	s_cbranch_execz .LBB112_163
; %bb.159:
	s_and_b64 vcc, exec, s[2:3]
	s_cbranch_vccnz .LBB112_227
; %bb.160:
	v_cmp_neq_f64_e32 vcc, v[125:126], v[81:82]
	v_cmp_neq_f64_e64 s[2:3], v[127:128], v[83:84]
	s_or_b64 s[10:11], vcc, s[2:3]
	s_cbranch_execnz .LBB112_162
.LBB112_161:
	v_cmp_eq_f64_e32 vcc, v[125:126], v[81:82]
	v_cmp_eq_f64_e64 s[2:3], v[127:128], v[83:84]
	s_andn2_b64 s[10:11], s[10:11], exec
	s_and_b64 s[2:3], vcc, s[2:3]
	s_and_b64 s[2:3], s[2:3], exec
	s_or_b64 s[10:11], s[10:11], s[2:3]
.LBB112_162:
	v_cndmask_b32_e64 v16, 0, 1, s[10:11]
.LBB112_163:
	s_or_b64 exec, exec, s[4:5]
	s_and_saveexec_b64 s[2:3], s[0:1]
	s_xor_b64 s[0:1], exec, s[2:3]
	s_cbranch_execz .LBB112_165
; %bb.164:
	v_mov_b32_e32 v0, v13
	global_store_byte v129, v130, s[8:9]
.LBB112_165:
	s_or_b64 exec, exec, s[0:1]
	v_cmp_gt_i32_e32 vcc, s33, v0
	s_and_saveexec_b64 s[0:1], vcc
	s_cbranch_execnz .LBB112_181
; %bb.166:
	s_or_b64 exec, exec, s[0:1]
	v_cmp_gt_i32_e32 vcc, s33, v0
	s_and_saveexec_b64 s[0:1], vcc
	s_cbranch_execnz .LBB112_182
.LBB112_167:
	s_or_b64 exec, exec, s[0:1]
	v_cmp_gt_i32_e32 vcc, s33, v0
	s_and_saveexec_b64 s[0:1], vcc
	s_cbranch_execnz .LBB112_183
.LBB112_168:
	s_or_b64 exec, exec, s[0:1]
	v_cmp_gt_i32_e32 vcc, s33, v0
	s_and_saveexec_b64 s[0:1], vcc
	s_cbranch_execnz .LBB112_184
.LBB112_169:
	s_or_b64 exec, exec, s[0:1]
	v_cmp_gt_i32_e32 vcc, s33, v0
	s_and_saveexec_b64 s[0:1], vcc
	s_cbranch_execnz .LBB112_185
.LBB112_170:
	s_or_b64 exec, exec, s[0:1]
	v_cmp_gt_i32_e32 vcc, s33, v0
	s_and_saveexec_b64 s[0:1], vcc
	s_cbranch_execnz .LBB112_186
.LBB112_171:
	s_or_b64 exec, exec, s[0:1]
	v_cmp_gt_i32_e32 vcc, s33, v0
	s_and_saveexec_b64 s[0:1], vcc
	s_cbranch_execnz .LBB112_187
.LBB112_172:
	s_or_b64 exec, exec, s[0:1]
	v_cmp_gt_i32_e32 vcc, s33, v0
	s_and_saveexec_b64 s[0:1], vcc
	s_cbranch_execnz .LBB112_188
.LBB112_173:
	s_or_b64 exec, exec, s[0:1]
	v_cmp_gt_i32_e32 vcc, s33, v0
	s_and_saveexec_b64 s[0:1], vcc
	s_cbranch_execnz .LBB112_189
.LBB112_174:
	s_or_b64 exec, exec, s[0:1]
	v_cmp_gt_i32_e32 vcc, s33, v0
	s_and_saveexec_b64 s[0:1], vcc
	s_cbranch_execnz .LBB112_190
.LBB112_175:
	s_or_b64 exec, exec, s[0:1]
	v_cmp_gt_i32_e32 vcc, s33, v0
	s_and_saveexec_b64 s[0:1], vcc
	s_cbranch_execnz .LBB112_191
.LBB112_176:
	s_or_b64 exec, exec, s[0:1]
	v_cmp_gt_i32_e32 vcc, s33, v0
	s_and_saveexec_b64 s[0:1], vcc
	s_cbranch_execnz .LBB112_192
.LBB112_177:
	s_or_b64 exec, exec, s[0:1]
	v_cmp_gt_i32_e32 vcc, s33, v0
	s_and_saveexec_b64 s[0:1], vcc
	s_cbranch_execnz .LBB112_193
.LBB112_178:
	s_or_b64 exec, exec, s[0:1]
	v_cmp_gt_i32_e32 vcc, s33, v0
	s_and_saveexec_b64 s[0:1], vcc
	s_cbranch_execnz .LBB112_194
.LBB112_179:
	s_or_b64 exec, exec, s[0:1]
	v_cmp_gt_i32_e32 vcc, s33, v0
	s_and_saveexec_b64 s[0:1], vcc
	s_cbranch_execz .LBB112_195
.LBB112_180:
	v_add_u32_e32 v0, s6, v0
	global_store_byte v0, v16, s[8:9]
	s_endpgm
.LBB112_181:
	v_add_u32_e32 v13, s6, v0
	v_add_u32_e32 v0, 0x100, v0
	global_store_byte v13, v14, s[8:9]
	s_or_b64 exec, exec, s[0:1]
	v_cmp_gt_i32_e32 vcc, s33, v0
	s_and_saveexec_b64 s[0:1], vcc
	s_cbranch_execz .LBB112_167
.LBB112_182:
	v_add_u32_e32 v13, s6, v0
	v_add_u32_e32 v0, 0x100, v0
	global_store_byte v13, v1, s[8:9]
	s_or_b64 exec, exec, s[0:1]
	v_cmp_gt_i32_e32 vcc, s33, v0
	s_and_saveexec_b64 s[0:1], vcc
	s_cbranch_execz .LBB112_168
.LBB112_183:
	v_add_u32_e32 v1, s6, v0
	v_add_u32_e32 v0, 0x100, v0
	global_store_byte v1, v2, s[8:9]
	s_or_b64 exec, exec, s[0:1]
	v_cmp_gt_i32_e32 vcc, s33, v0
	s_and_saveexec_b64 s[0:1], vcc
	s_cbranch_execz .LBB112_169
.LBB112_184:
	v_add_u32_e32 v1, s6, v0
	v_add_u32_e32 v0, 0x100, v0
	global_store_byte v1, v3, s[8:9]
	s_or_b64 exec, exec, s[0:1]
	v_cmp_gt_i32_e32 vcc, s33, v0
	s_and_saveexec_b64 s[0:1], vcc
	s_cbranch_execz .LBB112_170
.LBB112_185:
	v_add_u32_e32 v1, s6, v0
	v_add_u32_e32 v0, 0x100, v0
	global_store_byte v1, v4, s[8:9]
	s_or_b64 exec, exec, s[0:1]
	v_cmp_gt_i32_e32 vcc, s33, v0
	s_and_saveexec_b64 s[0:1], vcc
	s_cbranch_execz .LBB112_171
.LBB112_186:
	v_add_u32_e32 v1, s6, v0
	v_add_u32_e32 v0, 0x100, v0
	global_store_byte v1, v5, s[8:9]
	s_or_b64 exec, exec, s[0:1]
	v_cmp_gt_i32_e32 vcc, s33, v0
	s_and_saveexec_b64 s[0:1], vcc
	s_cbranch_execz .LBB112_172
.LBB112_187:
	v_add_u32_e32 v1, s6, v0
	v_add_u32_e32 v0, 0x100, v0
	global_store_byte v1, v6, s[8:9]
	s_or_b64 exec, exec, s[0:1]
	v_cmp_gt_i32_e32 vcc, s33, v0
	s_and_saveexec_b64 s[0:1], vcc
	s_cbranch_execz .LBB112_173
.LBB112_188:
	v_add_u32_e32 v1, s6, v0
	v_add_u32_e32 v0, 0x100, v0
	global_store_byte v1, v7, s[8:9]
	s_or_b64 exec, exec, s[0:1]
	v_cmp_gt_i32_e32 vcc, s33, v0
	s_and_saveexec_b64 s[0:1], vcc
	s_cbranch_execz .LBB112_174
.LBB112_189:
	v_add_u32_e32 v1, s6, v0
	v_add_u32_e32 v0, 0x100, v0
	global_store_byte v1, v8, s[8:9]
	s_or_b64 exec, exec, s[0:1]
	v_cmp_gt_i32_e32 vcc, s33, v0
	s_and_saveexec_b64 s[0:1], vcc
	s_cbranch_execz .LBB112_175
.LBB112_190:
	v_add_u32_e32 v1, s6, v0
	v_add_u32_e32 v0, 0x100, v0
	global_store_byte v1, v9, s[8:9]
	s_or_b64 exec, exec, s[0:1]
	v_cmp_gt_i32_e32 vcc, s33, v0
	s_and_saveexec_b64 s[0:1], vcc
	s_cbranch_execz .LBB112_176
.LBB112_191:
	v_add_u32_e32 v1, s6, v0
	v_add_u32_e32 v0, 0x100, v0
	global_store_byte v1, v10, s[8:9]
	s_or_b64 exec, exec, s[0:1]
	v_cmp_gt_i32_e32 vcc, s33, v0
	s_and_saveexec_b64 s[0:1], vcc
	s_cbranch_execz .LBB112_177
.LBB112_192:
	v_add_u32_e32 v1, s6, v0
	v_add_u32_e32 v0, 0x100, v0
	global_store_byte v1, v11, s[8:9]
	s_or_b64 exec, exec, s[0:1]
	v_cmp_gt_i32_e32 vcc, s33, v0
	s_and_saveexec_b64 s[0:1], vcc
	s_cbranch_execz .LBB112_178
.LBB112_193:
	v_add_u32_e32 v1, s6, v0
	v_add_u32_e32 v0, 0x100, v0
	global_store_byte v1, v12, s[8:9]
	s_or_b64 exec, exec, s[0:1]
	v_cmp_gt_i32_e32 vcc, s33, v0
	s_and_saveexec_b64 s[0:1], vcc
	s_cbranch_execz .LBB112_179
.LBB112_194:
	v_add_u32_e32 v1, s6, v0
	v_add_u32_e32 v0, 0x100, v0
	global_store_byte v1, v15, s[8:9]
	s_or_b64 exec, exec, s[0:1]
	v_cmp_gt_i32_e32 vcc, s33, v0
	s_and_saveexec_b64 s[0:1], vcc
	s_cbranch_execnz .LBB112_180
.LBB112_195:
	s_endpgm
.LBB112_196:
                                        ; implicit-def: $sgpr4_sgpr5
	s_branch .LBB112_3
.LBB112_197:
                                        ; implicit-def: $sgpr16_sgpr17
	s_branch .LBB112_6
.LBB112_198:
                                        ; implicit-def: $sgpr18_sgpr19
	s_branch .LBB112_9
.LBB112_199:
                                        ; implicit-def: $sgpr20_sgpr21
	s_branch .LBB112_12
.LBB112_200:
                                        ; implicit-def: $sgpr22_sgpr23
	s_branch .LBB112_15
.LBB112_201:
                                        ; implicit-def: $sgpr24_sgpr25
	s_branch .LBB112_18
.LBB112_202:
                                        ; implicit-def: $sgpr26_sgpr27
	s_branch .LBB112_21
.LBB112_203:
                                        ; implicit-def: $sgpr28_sgpr29
	s_branch .LBB112_24
.LBB112_204:
                                        ; implicit-def: $sgpr30_sgpr31
	s_branch .LBB112_27
.LBB112_205:
                                        ; implicit-def: $sgpr34_sgpr35
	s_branch .LBB112_30
.LBB112_206:
                                        ; implicit-def: $sgpr36_sgpr37
	s_branch .LBB112_33
.LBB112_207:
                                        ; implicit-def: $sgpr38_sgpr39
	s_branch .LBB112_36
.LBB112_208:
                                        ; implicit-def: $sgpr40_sgpr41
	s_branch .LBB112_39
.LBB112_209:
                                        ; implicit-def: $sgpr42_sgpr43
	s_branch .LBB112_42
.LBB112_210:
                                        ; implicit-def: $sgpr44_sgpr45
	s_branch .LBB112_45
.LBB112_211:
                                        ; implicit-def: $sgpr2_sgpr3
	s_branch .LBB112_48
.LBB112_212:
                                        ; implicit-def: $sgpr12_sgpr13
	s_branch .LBB112_86
.LBB112_213:
                                        ; implicit-def: $sgpr12_sgpr13
	s_branch .LBB112_91
.LBB112_214:
                                        ; implicit-def: $sgpr12_sgpr13
	s_branch .LBB112_96
.LBB112_215:
                                        ; implicit-def: $sgpr12_sgpr13
	s_branch .LBB112_101
.LBB112_216:
                                        ; implicit-def: $sgpr12_sgpr13
	s_branch .LBB112_106
.LBB112_217:
                                        ; implicit-def: $sgpr12_sgpr13
	s_branch .LBB112_111
.LBB112_218:
                                        ; implicit-def: $sgpr12_sgpr13
	s_branch .LBB112_116
.LBB112_219:
                                        ; implicit-def: $sgpr12_sgpr13
	s_branch .LBB112_121
.LBB112_220:
                                        ; implicit-def: $sgpr12_sgpr13
	s_branch .LBB112_126
.LBB112_221:
                                        ; implicit-def: $sgpr12_sgpr13
	s_branch .LBB112_131
.LBB112_222:
                                        ; implicit-def: $sgpr12_sgpr13
	s_branch .LBB112_136
.LBB112_223:
                                        ; implicit-def: $sgpr12_sgpr13
	s_branch .LBB112_141
.LBB112_224:
                                        ; implicit-def: $sgpr12_sgpr13
	s_branch .LBB112_146
.LBB112_225:
                                        ; implicit-def: $sgpr12_sgpr13
	s_branch .LBB112_151
.LBB112_226:
                                        ; implicit-def: $sgpr12_sgpr13
	s_branch .LBB112_156
.LBB112_227:
                                        ; implicit-def: $sgpr10_sgpr11
	s_branch .LBB112_161
	.section	.rodata,"a",@progbits
	.p2align	6, 0x0
	.amdhsa_kernel _ZN2at6native29vectorized_elementwise_kernelILi16ENS0_13BinaryFunctorIN3c107complexIdEES5_bNS0_12_GLOBAL__N_116CompareEqFunctorIS5_EEEESt5arrayIPcLm3EEEEviT0_T1_
		.amdhsa_group_segment_fixed_size 0
		.amdhsa_private_segment_fixed_size 0
		.amdhsa_kernarg_size 32
		.amdhsa_user_sgpr_count 6
		.amdhsa_user_sgpr_private_segment_buffer 1
		.amdhsa_user_sgpr_dispatch_ptr 0
		.amdhsa_user_sgpr_queue_ptr 0
		.amdhsa_user_sgpr_kernarg_segment_ptr 1
		.amdhsa_user_sgpr_dispatch_id 0
		.amdhsa_user_sgpr_flat_scratch_init 0
		.amdhsa_user_sgpr_private_segment_size 0
		.amdhsa_uses_dynamic_stack 0
		.amdhsa_system_sgpr_private_segment_wavefront_offset 0
		.amdhsa_system_sgpr_workgroup_id_x 1
		.amdhsa_system_sgpr_workgroup_id_y 0
		.amdhsa_system_sgpr_workgroup_id_z 0
		.amdhsa_system_sgpr_workgroup_info 0
		.amdhsa_system_vgpr_workitem_id 0
		.amdhsa_next_free_vgpr 131
		.amdhsa_next_free_sgpr 46
		.amdhsa_reserve_vcc 1
		.amdhsa_reserve_flat_scratch 0
		.amdhsa_float_round_mode_32 0
		.amdhsa_float_round_mode_16_64 0
		.amdhsa_float_denorm_mode_32 3
		.amdhsa_float_denorm_mode_16_64 3
		.amdhsa_dx10_clamp 1
		.amdhsa_ieee_mode 1
		.amdhsa_fp16_overflow 0
		.amdhsa_exception_fp_ieee_invalid_op 0
		.amdhsa_exception_fp_denorm_src 0
		.amdhsa_exception_fp_ieee_div_zero 0
		.amdhsa_exception_fp_ieee_overflow 0
		.amdhsa_exception_fp_ieee_underflow 0
		.amdhsa_exception_fp_ieee_inexact 0
		.amdhsa_exception_int_div_zero 0
	.end_amdhsa_kernel
	.section	.text._ZN2at6native29vectorized_elementwise_kernelILi16ENS0_13BinaryFunctorIN3c107complexIdEES5_bNS0_12_GLOBAL__N_116CompareEqFunctorIS5_EEEESt5arrayIPcLm3EEEEviT0_T1_,"axG",@progbits,_ZN2at6native29vectorized_elementwise_kernelILi16ENS0_13BinaryFunctorIN3c107complexIdEES5_bNS0_12_GLOBAL__N_116CompareEqFunctorIS5_EEEESt5arrayIPcLm3EEEEviT0_T1_,comdat
.Lfunc_end112:
	.size	_ZN2at6native29vectorized_elementwise_kernelILi16ENS0_13BinaryFunctorIN3c107complexIdEES5_bNS0_12_GLOBAL__N_116CompareEqFunctorIS5_EEEESt5arrayIPcLm3EEEEviT0_T1_, .Lfunc_end112-_ZN2at6native29vectorized_elementwise_kernelILi16ENS0_13BinaryFunctorIN3c107complexIdEES5_bNS0_12_GLOBAL__N_116CompareEqFunctorIS5_EEEESt5arrayIPcLm3EEEEviT0_T1_
                                        ; -- End function
	.set _ZN2at6native29vectorized_elementwise_kernelILi16ENS0_13BinaryFunctorIN3c107complexIdEES5_bNS0_12_GLOBAL__N_116CompareEqFunctorIS5_EEEESt5arrayIPcLm3EEEEviT0_T1_.num_vgpr, 131
	.set _ZN2at6native29vectorized_elementwise_kernelILi16ENS0_13BinaryFunctorIN3c107complexIdEES5_bNS0_12_GLOBAL__N_116CompareEqFunctorIS5_EEEESt5arrayIPcLm3EEEEviT0_T1_.num_agpr, 0
	.set _ZN2at6native29vectorized_elementwise_kernelILi16ENS0_13BinaryFunctorIN3c107complexIdEES5_bNS0_12_GLOBAL__N_116CompareEqFunctorIS5_EEEESt5arrayIPcLm3EEEEviT0_T1_.numbered_sgpr, 46
	.set _ZN2at6native29vectorized_elementwise_kernelILi16ENS0_13BinaryFunctorIN3c107complexIdEES5_bNS0_12_GLOBAL__N_116CompareEqFunctorIS5_EEEESt5arrayIPcLm3EEEEviT0_T1_.num_named_barrier, 0
	.set _ZN2at6native29vectorized_elementwise_kernelILi16ENS0_13BinaryFunctorIN3c107complexIdEES5_bNS0_12_GLOBAL__N_116CompareEqFunctorIS5_EEEESt5arrayIPcLm3EEEEviT0_T1_.private_seg_size, 0
	.set _ZN2at6native29vectorized_elementwise_kernelILi16ENS0_13BinaryFunctorIN3c107complexIdEES5_bNS0_12_GLOBAL__N_116CompareEqFunctorIS5_EEEESt5arrayIPcLm3EEEEviT0_T1_.uses_vcc, 1
	.set _ZN2at6native29vectorized_elementwise_kernelILi16ENS0_13BinaryFunctorIN3c107complexIdEES5_bNS0_12_GLOBAL__N_116CompareEqFunctorIS5_EEEESt5arrayIPcLm3EEEEviT0_T1_.uses_flat_scratch, 0
	.set _ZN2at6native29vectorized_elementwise_kernelILi16ENS0_13BinaryFunctorIN3c107complexIdEES5_bNS0_12_GLOBAL__N_116CompareEqFunctorIS5_EEEESt5arrayIPcLm3EEEEviT0_T1_.has_dyn_sized_stack, 0
	.set _ZN2at6native29vectorized_elementwise_kernelILi16ENS0_13BinaryFunctorIN3c107complexIdEES5_bNS0_12_GLOBAL__N_116CompareEqFunctorIS5_EEEESt5arrayIPcLm3EEEEviT0_T1_.has_recursion, 0
	.set _ZN2at6native29vectorized_elementwise_kernelILi16ENS0_13BinaryFunctorIN3c107complexIdEES5_bNS0_12_GLOBAL__N_116CompareEqFunctorIS5_EEEESt5arrayIPcLm3EEEEviT0_T1_.has_indirect_call, 0
	.section	.AMDGPU.csdata,"",@progbits
; Kernel info:
; codeLenInByte = 5832
; TotalNumSgprs: 50
; NumVgprs: 131
; ScratchSize: 0
; MemoryBound: 1
; FloatMode: 240
; IeeeMode: 1
; LDSByteSize: 0 bytes/workgroup (compile time only)
; SGPRBlocks: 6
; VGPRBlocks: 32
; NumSGPRsForWavesPerEU: 50
; NumVGPRsForWavesPerEU: 131
; Occupancy: 1
; WaveLimiterHint : 0
; COMPUTE_PGM_RSRC2:SCRATCH_EN: 0
; COMPUTE_PGM_RSRC2:USER_SGPR: 6
; COMPUTE_PGM_RSRC2:TRAP_HANDLER: 0
; COMPUTE_PGM_RSRC2:TGID_X_EN: 1
; COMPUTE_PGM_RSRC2:TGID_Y_EN: 0
; COMPUTE_PGM_RSRC2:TGID_Z_EN: 0
; COMPUTE_PGM_RSRC2:TIDIG_COMP_CNT: 0
	.section	.text._ZN2at6native29vectorized_elementwise_kernelILi8ENS0_13BinaryFunctorIN3c107complexIdEES5_bNS0_12_GLOBAL__N_116CompareEqFunctorIS5_EEEESt5arrayIPcLm3EEEEviT0_T1_,"axG",@progbits,_ZN2at6native29vectorized_elementwise_kernelILi8ENS0_13BinaryFunctorIN3c107complexIdEES5_bNS0_12_GLOBAL__N_116CompareEqFunctorIS5_EEEESt5arrayIPcLm3EEEEviT0_T1_,comdat
	.globl	_ZN2at6native29vectorized_elementwise_kernelILi8ENS0_13BinaryFunctorIN3c107complexIdEES5_bNS0_12_GLOBAL__N_116CompareEqFunctorIS5_EEEESt5arrayIPcLm3EEEEviT0_T1_ ; -- Begin function _ZN2at6native29vectorized_elementwise_kernelILi8ENS0_13BinaryFunctorIN3c107complexIdEES5_bNS0_12_GLOBAL__N_116CompareEqFunctorIS5_EEEESt5arrayIPcLm3EEEEviT0_T1_
	.p2align	8
	.type	_ZN2at6native29vectorized_elementwise_kernelILi8ENS0_13BinaryFunctorIN3c107complexIdEES5_bNS0_12_GLOBAL__N_116CompareEqFunctorIS5_EEEESt5arrayIPcLm3EEEEviT0_T1_,@function
_ZN2at6native29vectorized_elementwise_kernelILi8ENS0_13BinaryFunctorIN3c107complexIdEES5_bNS0_12_GLOBAL__N_116CompareEqFunctorIS5_EEEESt5arrayIPcLm3EEEEviT0_T1_: ; @_ZN2at6native29vectorized_elementwise_kernelILi8ENS0_13BinaryFunctorIN3c107complexIdEES5_bNS0_12_GLOBAL__N_116CompareEqFunctorIS5_EEEESt5arrayIPcLm3EEEEviT0_T1_
; %bb.0:
	s_load_dwordx2 s[12:13], s[4:5], 0x0
	s_load_dwordx4 s[8:11], s[4:5], 0x8
	s_load_dwordx2 s[14:15], s[4:5], 0x18
	s_lshl_b32 s6, s6, 12
	s_mov_b64 s[0:1], -1
	s_waitcnt lgkmcnt(0)
	s_sub_i32 s33, s12, s6
	s_cmpk_gt_i32 s33, 0xfff
	s_cbranch_scc0 .LBB113_50
; %bb.1:
	s_ashr_i32 s7, s6, 31
	s_lshl_b64 s[0:1], s[6:7], 4
	s_add_u32 s2, s10, s0
	s_addc_u32 s3, s11, s1
	v_lshlrev_b32_e32 v17, 7, v0
	v_mov_b32_e32 v1, s3
	v_add_co_u32_e32 v2, vcc, s2, v17
	v_addc_co_u32_e32 v1, vcc, 0, v1, vcc
	global_load_dwordx4 v[93:96], v17, s[2:3] offset:48
	global_load_dwordx4 v[101:104], v17, s[2:3] offset:32
	;; [unrolled: 1-line block ×3, first 2 shown]
	global_load_dwordx4 v[121:124], v17, s[2:3]
	global_load_dwordx4 v[61:64], v17, s[2:3] offset:112
	global_load_dwordx4 v[69:72], v17, s[2:3] offset:96
	;; [unrolled: 1-line block ×4, first 2 shown]
	s_mov_b32 s2, 0x8000
	v_add_co_u32_e32 v9, vcc, s2, v2
	v_addc_co_u32_e32 v10, vcc, 0, v1, vcc
	s_mov_b32 s3, 0x8040
	v_add_co_u32_e32 v11, vcc, s3, v2
	s_add_u32 s0, s14, s0
	v_addc_co_u32_e32 v12, vcc, 0, v1, vcc
	s_addc_u32 s1, s15, s1
	global_load_dwordx4 v[29:32], v[9:10], off offset:48
	global_load_dwordx4 v[37:40], v[9:10], off offset:32
	global_load_dwordx4 v[53:56], v[9:10], off
	global_load_dwordx4 v[45:48], v[9:10], off offset:16
	global_load_dwordx4 v[1:4], v[11:12], off offset:48
	;; [unrolled: 1-line block ×5, first 2 shown]
	v_mov_b32_e32 v9, s1
	v_add_co_u32_e32 v10, vcc, s0, v17
	v_addc_co_u32_e32 v9, vcc, 0, v9, vcc
	global_load_dwordx4 v[105:108], v17, s[0:1] offset:48
	global_load_dwordx4 v[113:116], v17, s[0:1] offset:32
	;; [unrolled: 1-line block ×3, first 2 shown]
	global_load_dwordx4 v[125:128], v17, s[0:1]
	global_load_dwordx4 v[73:76], v17, s[0:1] offset:112
	global_load_dwordx4 v[81:84], v17, s[0:1] offset:96
	;; [unrolled: 1-line block ×4, first 2 shown]
	v_add_co_u32_e32 v25, vcc, s2, v10
	v_addc_co_u32_e32 v26, vcc, 0, v9, vcc
	v_add_co_u32_e32 v27, vcc, 0x8040, v10
	v_addc_co_u32_e32 v28, vcc, 0, v9, vcc
	global_load_dwordx4 v[41:44], v[25:26], off offset:48
	global_load_dwordx4 v[49:52], v[25:26], off offset:32
	global_load_dwordx4 v[65:68], v[25:26], off
	global_load_dwordx4 v[57:60], v[25:26], off offset:16
	global_load_dwordx4 v[9:12], v[27:28], off offset:48
	global_load_dwordx4 v[17:20], v[27:28], off offset:32
	global_load_dwordx4 v[33:36], v[25:26], off offset:64
	s_nop 0
	global_load_dwordx4 v[25:28], v[27:28], off offset:16
	s_cmp_lg_u32 s13, 0
	s_cselect_b64 s[2:3], -1, 0
	s_and_b64 vcc, exec, s[2:3]
	s_cbranch_vccz .LBB113_196
; %bb.2:
	s_waitcnt vmcnt(12)
	v_cmp_neq_f64_e32 vcc, v[121:122], v[125:126]
	v_cmp_neq_f64_e64 s[0:1], v[123:124], v[127:128]
	s_or_b64 s[4:5], vcc, s[0:1]
	s_cbranch_execnz .LBB113_4
.LBB113_3:
	s_waitcnt vmcnt(12)
	v_cmp_eq_f64_e32 vcc, v[121:122], v[125:126]
	v_cmp_eq_f64_e64 s[0:1], v[123:124], v[127:128]
	s_andn2_b64 s[4:5], s[4:5], exec
	s_and_b64 s[0:1], vcc, s[0:1]
	s_and_b64 s[0:1], s[0:1], exec
	s_or_b64 s[4:5], s[4:5], s[0:1]
.LBB113_4:
	s_waitcnt vmcnt(28)
	v_cndmask_b32_e64 v121, 0, 1, s[2:3]
	v_cmp_ne_u32_e64 s[0:1], 1, v121
	s_andn2_b64 vcc, exec, s[2:3]
	s_cbranch_vccnz .LBB113_197
; %bb.5:
	s_waitcnt vmcnt(13)
	v_cmp_neq_f64_e32 vcc, v[109:110], v[117:118]
	v_cmp_neq_f64_e64 s[2:3], v[111:112], v[119:120]
	s_or_b64 s[16:17], vcc, s[2:3]
	s_cbranch_execnz .LBB113_7
.LBB113_6:
	s_waitcnt vmcnt(13)
	v_cmp_eq_f64_e32 vcc, v[109:110], v[117:118]
	v_cmp_eq_f64_e64 s[2:3], v[111:112], v[119:120]
	s_andn2_b64 s[16:17], s[16:17], exec
	s_and_b64 s[2:3], vcc, s[2:3]
	s_and_b64 s[2:3], s[2:3], exec
	s_or_b64 s[16:17], s[16:17], s[2:3]
.LBB113_7:
	s_and_b64 vcc, exec, s[0:1]
	s_cbranch_vccnz .LBB113_198
; %bb.8:
	s_waitcnt vmcnt(14)
	v_cmp_neq_f64_e32 vcc, v[101:102], v[113:114]
	v_cmp_neq_f64_e64 s[2:3], v[103:104], v[115:116]
	s_or_b64 s[18:19], vcc, s[2:3]
	s_cbranch_execnz .LBB113_10
.LBB113_9:
	s_waitcnt vmcnt(14)
	v_cmp_eq_f64_e32 vcc, v[101:102], v[113:114]
	v_cmp_eq_f64_e64 s[2:3], v[103:104], v[115:116]
	s_andn2_b64 s[18:19], s[18:19], exec
	s_and_b64 s[2:3], vcc, s[2:3]
	s_and_b64 s[2:3], s[2:3], exec
	s_or_b64 s[18:19], s[18:19], s[2:3]
.LBB113_10:
	s_and_b64 vcc, exec, s[0:1]
	s_cbranch_vccnz .LBB113_199
; %bb.11:
	s_waitcnt vmcnt(15)
	v_cmp_neq_f64_e32 vcc, v[93:94], v[105:106]
	v_cmp_neq_f64_e64 s[2:3], v[95:96], v[107:108]
	s_or_b64 s[20:21], vcc, s[2:3]
	s_cbranch_execnz .LBB113_13
.LBB113_12:
	s_waitcnt vmcnt(15)
	v_cmp_eq_f64_e32 vcc, v[93:94], v[105:106]
	v_cmp_eq_f64_e64 s[2:3], v[95:96], v[107:108]
	s_andn2_b64 s[20:21], s[20:21], exec
	s_and_b64 s[2:3], vcc, s[2:3]
	s_and_b64 s[2:3], s[2:3], exec
	s_or_b64 s[20:21], s[20:21], s[2:3]
.LBB113_13:
	s_and_b64 vcc, exec, s[0:1]
	s_cbranch_vccnz .LBB113_200
; %bb.14:
	s_waitcnt vmcnt(8)
	v_cmp_neq_f64_e32 vcc, v[85:86], v[97:98]
	v_cmp_neq_f64_e64 s[2:3], v[87:88], v[99:100]
	s_or_b64 s[22:23], vcc, s[2:3]
	s_cbranch_execnz .LBB113_16
.LBB113_15:
	s_waitcnt vmcnt(8)
	v_cmp_eq_f64_e32 vcc, v[85:86], v[97:98]
	v_cmp_eq_f64_e64 s[2:3], v[87:88], v[99:100]
	s_andn2_b64 s[22:23], s[22:23], exec
	s_and_b64 s[2:3], vcc, s[2:3]
	s_and_b64 s[2:3], s[2:3], exec
	s_or_b64 s[22:23], s[22:23], s[2:3]
.LBB113_16:
	s_and_b64 vcc, exec, s[0:1]
	s_cbranch_vccnz .LBB113_201
; %bb.17:
	s_waitcnt vmcnt(9)
	v_cmp_neq_f64_e32 vcc, v[77:78], v[89:90]
	v_cmp_neq_f64_e64 s[2:3], v[79:80], v[91:92]
	s_or_b64 s[24:25], vcc, s[2:3]
	s_cbranch_execnz .LBB113_19
.LBB113_18:
	s_waitcnt vmcnt(9)
	v_cmp_eq_f64_e32 vcc, v[77:78], v[89:90]
	v_cmp_eq_f64_e64 s[2:3], v[79:80], v[91:92]
	s_andn2_b64 s[24:25], s[24:25], exec
	s_and_b64 s[2:3], vcc, s[2:3]
	s_and_b64 s[2:3], s[2:3], exec
	s_or_b64 s[24:25], s[24:25], s[2:3]
.LBB113_19:
	s_and_b64 vcc, exec, s[0:1]
	s_cbranch_vccnz .LBB113_202
; %bb.20:
	s_waitcnt vmcnt(10)
	v_cmp_neq_f64_e32 vcc, v[69:70], v[81:82]
	v_cmp_neq_f64_e64 s[2:3], v[71:72], v[83:84]
	s_or_b64 s[26:27], vcc, s[2:3]
	s_cbranch_execnz .LBB113_22
.LBB113_21:
	s_waitcnt vmcnt(10)
	v_cmp_eq_f64_e32 vcc, v[69:70], v[81:82]
	v_cmp_eq_f64_e64 s[2:3], v[71:72], v[83:84]
	s_andn2_b64 s[26:27], s[26:27], exec
	s_and_b64 s[2:3], vcc, s[2:3]
	s_and_b64 s[2:3], s[2:3], exec
	s_or_b64 s[26:27], s[26:27], s[2:3]
.LBB113_22:
	s_and_b64 vcc, exec, s[0:1]
	s_cbranch_vccnz .LBB113_203
; %bb.23:
	s_waitcnt vmcnt(11)
	v_cmp_neq_f64_e32 vcc, v[61:62], v[73:74]
	v_cmp_neq_f64_e64 s[2:3], v[63:64], v[75:76]
	s_or_b64 s[28:29], vcc, s[2:3]
	s_cbranch_execnz .LBB113_25
.LBB113_24:
	s_waitcnt vmcnt(11)
	v_cmp_eq_f64_e32 vcc, v[61:62], v[73:74]
	v_cmp_eq_f64_e64 s[2:3], v[63:64], v[75:76]
	s_andn2_b64 s[28:29], s[28:29], exec
	s_and_b64 s[2:3], vcc, s[2:3]
	s_and_b64 s[2:3], s[2:3], exec
	s_or_b64 s[28:29], s[28:29], s[2:3]
.LBB113_25:
	s_and_b64 vcc, exec, s[0:1]
	s_cbranch_vccnz .LBB113_204
; %bb.26:
	s_waitcnt vmcnt(5)
	v_cmp_neq_f64_e32 vcc, v[53:54], v[65:66]
	v_cmp_neq_f64_e64 s[2:3], v[55:56], v[67:68]
	s_or_b64 s[30:31], vcc, s[2:3]
	s_cbranch_execnz .LBB113_28
.LBB113_27:
	s_waitcnt vmcnt(5)
	v_cmp_eq_f64_e32 vcc, v[53:54], v[65:66]
	v_cmp_eq_f64_e64 s[2:3], v[55:56], v[67:68]
	s_andn2_b64 s[30:31], s[30:31], exec
	s_and_b64 s[2:3], vcc, s[2:3]
	s_and_b64 s[2:3], s[2:3], exec
	s_or_b64 s[30:31], s[30:31], s[2:3]
.LBB113_28:
	s_and_b64 vcc, exec, s[0:1]
	s_cbranch_vccnz .LBB113_205
; %bb.29:
	s_waitcnt vmcnt(4)
	v_cmp_neq_f64_e32 vcc, v[45:46], v[57:58]
	v_cmp_neq_f64_e64 s[2:3], v[47:48], v[59:60]
	s_or_b64 s[34:35], vcc, s[2:3]
	s_cbranch_execnz .LBB113_31
.LBB113_30:
	s_waitcnt vmcnt(4)
	v_cmp_eq_f64_e32 vcc, v[45:46], v[57:58]
	v_cmp_eq_f64_e64 s[2:3], v[47:48], v[59:60]
	s_andn2_b64 s[34:35], s[34:35], exec
	s_and_b64 s[2:3], vcc, s[2:3]
	s_and_b64 s[2:3], s[2:3], exec
	s_or_b64 s[34:35], s[34:35], s[2:3]
.LBB113_31:
	s_and_b64 vcc, exec, s[0:1]
	s_cbranch_vccnz .LBB113_206
; %bb.32:
	s_waitcnt vmcnt(6)
	v_cmp_neq_f64_e32 vcc, v[37:38], v[49:50]
	v_cmp_neq_f64_e64 s[2:3], v[39:40], v[51:52]
	s_or_b64 s[36:37], vcc, s[2:3]
	s_cbranch_execnz .LBB113_34
.LBB113_33:
	s_waitcnt vmcnt(6)
	v_cmp_eq_f64_e32 vcc, v[37:38], v[49:50]
	v_cmp_eq_f64_e64 s[2:3], v[39:40], v[51:52]
	s_andn2_b64 s[36:37], s[36:37], exec
	s_and_b64 s[2:3], vcc, s[2:3]
	s_and_b64 s[2:3], s[2:3], exec
	s_or_b64 s[36:37], s[36:37], s[2:3]
.LBB113_34:
	s_and_b64 vcc, exec, s[0:1]
	s_cbranch_vccnz .LBB113_207
; %bb.35:
	s_waitcnt vmcnt(7)
	v_cmp_neq_f64_e32 vcc, v[29:30], v[41:42]
	v_cmp_neq_f64_e64 s[2:3], v[31:32], v[43:44]
	s_or_b64 s[38:39], vcc, s[2:3]
	s_cbranch_execnz .LBB113_37
.LBB113_36:
	s_waitcnt vmcnt(7)
	v_cmp_eq_f64_e32 vcc, v[29:30], v[41:42]
	v_cmp_eq_f64_e64 s[2:3], v[31:32], v[43:44]
	s_andn2_b64 s[38:39], s[38:39], exec
	s_and_b64 s[2:3], vcc, s[2:3]
	s_and_b64 s[2:3], s[2:3], exec
	s_or_b64 s[38:39], s[38:39], s[2:3]
.LBB113_37:
	s_and_b64 vcc, exec, s[0:1]
	s_cbranch_vccnz .LBB113_208
; %bb.38:
	s_waitcnt vmcnt(1)
	v_cmp_neq_f64_e32 vcc, v[21:22], v[33:34]
	v_cmp_neq_f64_e64 s[2:3], v[23:24], v[35:36]
	s_or_b64 s[40:41], vcc, s[2:3]
	s_cbranch_execnz .LBB113_40
.LBB113_39:
	s_waitcnt vmcnt(1)
	v_cmp_eq_f64_e32 vcc, v[21:22], v[33:34]
	v_cmp_eq_f64_e64 s[2:3], v[23:24], v[35:36]
	s_andn2_b64 s[40:41], s[40:41], exec
	s_and_b64 s[2:3], vcc, s[2:3]
	s_and_b64 s[2:3], s[2:3], exec
	s_or_b64 s[40:41], s[40:41], s[2:3]
.LBB113_40:
	s_and_b64 vcc, exec, s[0:1]
	s_cbranch_vccnz .LBB113_209
; %bb.41:
	s_waitcnt vmcnt(0)
	v_cmp_neq_f64_e32 vcc, v[13:14], v[25:26]
	v_cmp_neq_f64_e64 s[2:3], v[15:16], v[27:28]
	s_or_b64 s[42:43], vcc, s[2:3]
	s_cbranch_execnz .LBB113_43
.LBB113_42:
	s_waitcnt vmcnt(0)
	v_cmp_eq_f64_e32 vcc, v[13:14], v[25:26]
	v_cmp_eq_f64_e64 s[2:3], v[15:16], v[27:28]
	s_andn2_b64 s[42:43], s[42:43], exec
	s_and_b64 s[2:3], vcc, s[2:3]
	s_and_b64 s[2:3], s[2:3], exec
	s_or_b64 s[42:43], s[42:43], s[2:3]
.LBB113_43:
	s_and_b64 vcc, exec, s[0:1]
	s_cbranch_vccnz .LBB113_210
; %bb.44:
	s_waitcnt vmcnt(2)
	v_cmp_neq_f64_e32 vcc, v[5:6], v[17:18]
	v_cmp_neq_f64_e64 s[2:3], v[7:8], v[19:20]
	s_or_b64 s[44:45], vcc, s[2:3]
	s_cbranch_execnz .LBB113_46
.LBB113_45:
	s_waitcnt vmcnt(2)
	v_cmp_eq_f64_e32 vcc, v[5:6], v[17:18]
	v_cmp_eq_f64_e64 s[2:3], v[7:8], v[19:20]
	s_andn2_b64 s[44:45], s[44:45], exec
	s_and_b64 s[2:3], vcc, s[2:3]
	s_and_b64 s[2:3], s[2:3], exec
	s_or_b64 s[44:45], s[44:45], s[2:3]
.LBB113_46:
	s_and_b64 vcc, exec, s[0:1]
	s_cbranch_vccnz .LBB113_211
; %bb.47:
	s_waitcnt vmcnt(3)
	v_cmp_neq_f64_e32 vcc, v[1:2], v[9:10]
	v_cmp_neq_f64_e64 s[0:1], v[3:4], v[11:12]
	s_or_b64 s[2:3], vcc, s[0:1]
	s_cbranch_execnz .LBB113_49
.LBB113_48:
	s_waitcnt vmcnt(3)
	v_cmp_eq_f64_e32 vcc, v[1:2], v[9:10]
	v_cmp_eq_f64_e64 s[0:1], v[3:4], v[11:12]
	s_andn2_b64 s[2:3], s[2:3], exec
	s_and_b64 s[0:1], vcc, s[0:1]
	s_and_b64 s[0:1], s[0:1], exec
	s_or_b64 s[2:3], s[2:3], s[0:1]
.LBB113_49:
	s_waitcnt vmcnt(19)
	v_mov_b32_e32 v1, 0x100
	v_cndmask_b32_e64 v2, 0, v1, s[34:35]
	v_cndmask_b32_e64 v3, 0, 1, s[30:31]
	v_or_b32_e32 v2, v2, v3
	v_mov_b32_e32 v3, 0x10000
	s_waitcnt vmcnt(18)
	v_mov_b32_e32 v5, 0x1000000
	v_cndmask_b32_e64 v4, 0, v3, s[36:37]
	v_cndmask_b32_e64 v6, 0, v5, s[38:39]
	v_or3_b32 v7, 0, 0, 0
	v_or3_b32 v2, v2, v4, v6
	v_cndmask_b32_e64 v4, 0, 1, s[40:41]
	v_cndmask_b32_e64 v6, 0, v1, s[42:43]
	v_or3_b32 v4, v7, v4, v6
	v_or3_b32 v6, v2, 0, 0
	v_cndmask_b32_e64 v2, 0, v1, s[16:17]
	s_waitcnt vmcnt(3)
	v_cndmask_b32_e64 v9, 0, 1, s[4:5]
	v_or_b32_e32 v2, v2, v9
	v_cndmask_b32_e64 v9, 0, v3, s[18:19]
	v_cndmask_b32_e64 v10, 0, v5, s[20:21]
	v_or3_b32 v2, v2, v9, v10
	v_cndmask_b32_e64 v9, 0, 1, s[22:23]
	v_cndmask_b32_e64 v1, 0, v1, s[24:25]
	;; [unrolled: 1-line block ×3, first 2 shown]
	v_or3_b32 v1, v7, v9, v1
	v_or3_b32 v7, v2, 0, 0
	v_cndmask_b32_e64 v2, 0, v3, s[26:27]
	v_cndmask_b32_e64 v3, 0, v5, s[28:29]
	s_add_u32 s0, s8, s6
	v_or3_b32 v2, v1, v2, v3
	v_or3_b32 v1, v7, 0, 0
	v_cndmask_b32_e64 v3, 0, v5, s[2:3]
	s_addc_u32 s1, s9, s7
	v_lshlrev_b32_e32 v5, 3, v0
	v_or3_b32 v4, v4, v8, v3
	v_or3_b32 v3, v6, 0, 0
	global_store_dwordx2 v5, v[1:2], s[0:1]
	global_store_dwordx2 v5, v[3:4], s[0:1] offset:2048
	s_mov_b64 s[0:1], 0
.LBB113_50:
	s_and_b64 vcc, exec, s[0:1]
	s_cbranch_vccz .LBB113_195
; %bb.51:
	v_mov_b32_e32 v1, 0
	v_mov_b32_e32 v21, 0
	;; [unrolled: 1-line block ×5, first 2 shown]
	v_cmp_gt_i32_e64 s[0:1], s33, v0
	v_mov_b32_e32 v2, 0
	v_or_b32_e32 v129, s6, v0
	v_mov_b32_e32 v22, 0
	v_mov_b32_e32 v24, 0
	;; [unrolled: 1-line block ×5, first 2 shown]
	s_and_saveexec_b64 s[2:3], s[0:1]
	s_cbranch_execz .LBB113_53
; %bb.52:
	v_mov_b32_e32 v130, 0
	v_lshlrev_b64 v[3:4], 4, v[129:130]
	v_mov_b32_e32 v6, s11
	v_add_co_u32_e32 v5, vcc, s10, v3
	v_addc_co_u32_e32 v6, vcc, v6, v4, vcc
	v_mov_b32_e32 v7, s15
	v_add_co_u32_e32 v3, vcc, s14, v3
	v_addc_co_u32_e32 v4, vcc, v7, v4, vcc
	global_load_dwordx4 v[13:16], v[5:6], off
	global_load_dwordx4 v[21:24], v[3:4], off
	v_or_b32_e32 v130, 0x100, v0
.LBB113_53:
	s_or_b64 exec, exec, s[2:3]
	v_mov_b32_e32 v3, 0
	s_waitcnt vmcnt(2)
	v_mov_b32_e32 v25, 0
	v_mov_b32_e32 v27, 0
	v_mov_b32_e32 v4, 0
	v_mov_b32_e32 v26, 0
	v_mov_b32_e32 v28, 0
	v_cmp_gt_i32_e32 vcc, s33, v130
	s_and_saveexec_b64 s[2:3], vcc
	s_cbranch_execz .LBB113_55
; %bb.54:
	v_add_u32_e32 v1, s6, v130
	v_mov_b32_e32 v2, 0
	v_lshlrev_b64 v[1:2], 4, v[1:2]
	v_mov_b32_e32 v3, s11
	v_add_co_u32_e32 v5, vcc, s10, v1
	v_addc_co_u32_e32 v6, vcc, v3, v2, vcc
	v_mov_b32_e32 v3, s15
	v_add_co_u32_e32 v7, vcc, s14, v1
	v_addc_co_u32_e32 v8, vcc, v3, v2, vcc
	global_load_dwordx4 v[25:28], v[5:6], off
	global_load_dwordx4 v[1:4], v[7:8], off
	v_add_u32_e32 v130, 0x100, v130
.LBB113_55:
	s_or_b64 exec, exec, s[2:3]
	v_mov_b32_e32 v5, 0
	v_mov_b32_e32 v37, 0
	v_mov_b32_e32 v39, 0
	v_mov_b32_e32 v29, 0
	v_mov_b32_e32 v31, 0
	v_mov_b32_e32 v6, 0
	v_mov_b32_e32 v38, 0
	v_mov_b32_e32 v40, 0
	v_mov_b32_e32 v30, 0
	v_mov_b32_e32 v32, 0
	v_cmp_gt_i32_e32 vcc, s33, v130
	s_and_saveexec_b64 s[2:3], vcc
	s_cbranch_execz .LBB113_57
; %bb.56:
	v_add_u32_e32 v7, s6, v130
	v_mov_b32_e32 v8, 0
	v_lshlrev_b64 v[7:8], 4, v[7:8]
	v_mov_b32_e32 v10, s11
	v_add_co_u32_e32 v9, vcc, s10, v7
	v_addc_co_u32_e32 v10, vcc, v10, v8, vcc
	v_mov_b32_e32 v11, s15
	v_add_co_u32_e32 v7, vcc, s14, v7
	v_addc_co_u32_e32 v8, vcc, v11, v8, vcc
	global_load_dwordx4 v[29:32], v[9:10], off
	global_load_dwordx4 v[37:40], v[7:8], off
	v_add_u32_e32 v130, 0x100, v130
.LBB113_57:
	s_or_b64 exec, exec, s[2:3]
	v_mov_b32_e32 v7, 0
	v_mov_b32_e32 v41, 0
	v_mov_b32_e32 v43, 0
	v_mov_b32_e32 v8, 0
	v_mov_b32_e32 v42, 0
	v_mov_b32_e32 v44, 0
	v_cmp_gt_i32_e32 vcc, s33, v130
	s_and_saveexec_b64 s[2:3], vcc
	s_cbranch_execz .LBB113_59
; %bb.58:
	v_add_u32_e32 v5, s6, v130
	v_mov_b32_e32 v6, 0
	v_lshlrev_b64 v[5:6], 4, v[5:6]
	v_mov_b32_e32 v7, s11
	v_add_co_u32_e32 v9, vcc, s10, v5
	v_addc_co_u32_e32 v10, vcc, v7, v6, vcc
	v_mov_b32_e32 v7, s15
	v_add_co_u32_e32 v11, vcc, s14, v5
	v_addc_co_u32_e32 v12, vcc, v7, v6, vcc
	global_load_dwordx4 v[41:44], v[9:10], off
	global_load_dwordx4 v[5:8], v[11:12], off
	v_add_u32_e32 v130, 0x100, v130
.LBB113_59:
	s_or_b64 exec, exec, s[2:3]
	v_mov_b32_e32 v9, 0
	v_mov_b32_e32 v53, 0
	v_mov_b32_e32 v55, 0
	v_mov_b32_e32 v45, 0
	v_mov_b32_e32 v47, 0
	v_mov_b32_e32 v10, 0
	v_mov_b32_e32 v54, 0
	v_mov_b32_e32 v56, 0
	v_mov_b32_e32 v46, 0
	v_mov_b32_e32 v48, 0
	v_cmp_gt_i32_e32 vcc, s33, v130
	s_and_saveexec_b64 s[2:3], vcc
	s_cbranch_execz .LBB113_61
; %bb.60:
	v_add_u32_e32 v11, s6, v130
	v_mov_b32_e32 v12, 0
	v_lshlrev_b64 v[11:12], 4, v[11:12]
	v_mov_b32_e32 v18, s11
	v_add_co_u32_e32 v17, vcc, s10, v11
	v_addc_co_u32_e32 v18, vcc, v18, v12, vcc
	v_mov_b32_e32 v19, s15
	v_add_co_u32_e32 v11, vcc, s14, v11
	v_addc_co_u32_e32 v12, vcc, v19, v12, vcc
	global_load_dwordx4 v[45:48], v[17:18], off
	global_load_dwordx4 v[53:56], v[11:12], off
	v_add_u32_e32 v130, 0x100, v130
.LBB113_61:
	s_or_b64 exec, exec, s[2:3]
	v_mov_b32_e32 v11, 0
	;; [unrolled: 52-line block ×6, first 2 shown]
	v_mov_b32_e32 v113, 0
	v_mov_b32_e32 v115, 0
	;; [unrolled: 1-line block ×5, first 2 shown]
	v_cmp_gt_i32_e32 vcc, s33, v130
	s_and_saveexec_b64 s[2:3], vcc
	s_cbranch_execz .LBB113_79
; %bb.78:
	v_add_u32_e32 v65, s6, v130
	v_mov_b32_e32 v66, 0
	v_lshlrev_b64 v[65:66], 4, v[65:66]
	v_mov_b32_e32 v67, s11
	v_add_co_u32_e32 v81, vcc, s10, v65
	v_addc_co_u32_e32 v82, vcc, v67, v66, vcc
	v_mov_b32_e32 v67, s15
	v_add_co_u32_e32 v83, vcc, s14, v65
	v_addc_co_u32_e32 v84, vcc, v67, v66, vcc
	global_load_dwordx4 v[113:116], v[81:82], off
	global_load_dwordx4 v[65:68], v[83:84], off
	v_add_u32_e32 v130, 0x100, v130
.LBB113_79:
	s_or_b64 exec, exec, s[2:3]
	v_mov_b32_e32 v81, 0
	v_mov_b32_e32 v121, 0
	;; [unrolled: 1-line block ×10, first 2 shown]
	v_cmp_gt_i32_e32 vcc, s33, v130
	s_and_saveexec_b64 s[2:3], vcc
	s_cbranch_execz .LBB113_81
; %bb.80:
	v_add_u32_e32 v83, s6, v130
	v_mov_b32_e32 v84, 0
	v_lshlrev_b64 v[83:84], 4, v[83:84]
	v_mov_b32_e32 v118, s11
	v_add_co_u32_e32 v117, vcc, s10, v83
	v_addc_co_u32_e32 v118, vcc, v118, v84, vcc
	v_mov_b32_e32 v119, s15
	v_add_co_u32_e32 v83, vcc, s14, v83
	v_addc_co_u32_e32 v84, vcc, v119, v84, vcc
	global_load_dwordx4 v[117:120], v[117:118], off
	s_nop 0
	global_load_dwordx4 v[121:124], v[83:84], off
	v_add_u32_e32 v130, 0x100, v130
.LBB113_81:
	s_or_b64 exec, exec, s[2:3]
	v_mov_b32_e32 v83, 0
	v_mov_b32_e32 v125, 0
	;; [unrolled: 1-line block ×6, first 2 shown]
	v_cmp_gt_i32_e32 vcc, s33, v130
	s_and_saveexec_b64 s[2:3], vcc
	s_cbranch_execz .LBB113_83
; %bb.82:
	v_add_u32_e32 v81, s6, v130
	v_mov_b32_e32 v82, 0
	v_lshlrev_b64 v[81:82], 4, v[81:82]
	v_mov_b32_e32 v84, s11
	v_add_co_u32_e32 v83, vcc, s10, v81
	v_addc_co_u32_e32 v84, vcc, v84, v82, vcc
	v_mov_b32_e32 v125, s15
	v_add_co_u32_e32 v81, vcc, s14, v81
	v_addc_co_u32_e32 v82, vcc, v125, v82, vcc
	global_load_dwordx4 v[125:128], v[83:84], off
	s_nop 0
	global_load_dwordx4 v[81:84], v[81:82], off
.LBB113_83:
	s_or_b64 exec, exec, s[2:3]
	s_cmp_lg_u32 s13, 0
	s_cselect_b64 s[4:5], -1, 0
                                        ; implicit-def: $vgpr130
	s_and_saveexec_b64 s[10:11], s[0:1]
	s_cbranch_execz .LBB113_88
; %bb.84:
	s_and_b64 vcc, exec, s[4:5]
	s_cbranch_vccz .LBB113_212
; %bb.85:
	s_waitcnt vmcnt(0)
	v_cmp_neq_f64_e32 vcc, v[13:14], v[21:22]
	v_cmp_neq_f64_e64 s[2:3], v[15:16], v[23:24]
	s_or_b64 s[12:13], vcc, s[2:3]
	s_cbranch_execnz .LBB113_87
.LBB113_86:
	s_waitcnt vmcnt(0)
	v_cmp_eq_f64_e32 vcc, v[13:14], v[21:22]
	v_cmp_eq_f64_e64 s[2:3], v[15:16], v[23:24]
	s_andn2_b64 s[12:13], s[12:13], exec
	s_and_b64 s[2:3], vcc, s[2:3]
	s_and_b64 s[2:3], s[2:3], exec
	s_or_b64 s[12:13], s[12:13], s[2:3]
.LBB113_87:
	v_cndmask_b32_e64 v130, 0, 1, s[12:13]
.LBB113_88:
	s_or_b64 exec, exec, s[10:11]
	s_waitcnt vmcnt(1)
	v_or_b32_e32 v13, 0x100, v0
	v_cndmask_b32_e64 v14, 0, 1, s[4:5]
	v_cmp_gt_i32_e32 vcc, s33, v13
	v_cmp_ne_u32_e64 s[2:3], 1, v14
                                        ; implicit-def: $vgpr14
	s_and_saveexec_b64 s[10:11], vcc
	s_cbranch_execz .LBB113_93
; %bb.89:
	s_and_b64 vcc, exec, s[2:3]
	s_cbranch_vccnz .LBB113_213
; %bb.90:
	s_waitcnt vmcnt(0)
	v_cmp_neq_f64_e32 vcc, v[25:26], v[1:2]
	v_cmp_neq_f64_e64 s[4:5], v[27:28], v[3:4]
	s_or_b64 s[12:13], vcc, s[4:5]
	s_cbranch_execnz .LBB113_92
.LBB113_91:
	s_waitcnt vmcnt(0)
	v_cmp_eq_f64_e32 vcc, v[25:26], v[1:2]
	v_cmp_eq_f64_e64 s[4:5], v[27:28], v[3:4]
	s_andn2_b64 s[12:13], s[12:13], exec
	s_and_b64 s[4:5], vcc, s[4:5]
	s_and_b64 s[4:5], s[4:5], exec
	s_or_b64 s[12:13], s[12:13], s[4:5]
.LBB113_92:
	v_cndmask_b32_e64 v14, 0, 1, s[12:13]
.LBB113_93:
	s_or_b64 exec, exec, s[10:11]
	s_waitcnt vmcnt(0)
	v_or_b32_e32 v1, 0x200, v0
	v_cmp_gt_i32_e32 vcc, s33, v1
                                        ; implicit-def: $vgpr1
	s_and_saveexec_b64 s[10:11], vcc
	s_cbranch_execz .LBB113_98
; %bb.94:
	s_and_b64 vcc, exec, s[2:3]
	s_cbranch_vccnz .LBB113_214
; %bb.95:
	v_cmp_neq_f64_e32 vcc, v[29:30], v[37:38]
	v_cmp_neq_f64_e64 s[4:5], v[31:32], v[39:40]
	s_or_b64 s[12:13], vcc, s[4:5]
	s_cbranch_execnz .LBB113_97
.LBB113_96:
	v_cmp_eq_f64_e32 vcc, v[29:30], v[37:38]
	v_cmp_eq_f64_e64 s[4:5], v[31:32], v[39:40]
	s_andn2_b64 s[12:13], s[12:13], exec
	s_and_b64 s[4:5], vcc, s[4:5]
	s_and_b64 s[4:5], s[4:5], exec
	s_or_b64 s[12:13], s[12:13], s[4:5]
.LBB113_97:
	v_cndmask_b32_e64 v1, 0, 1, s[12:13]
.LBB113_98:
	s_or_b64 exec, exec, s[10:11]
	v_or_b32_e32 v2, 0x300, v0
	v_cmp_gt_i32_e32 vcc, s33, v2
                                        ; implicit-def: $vgpr2
	s_and_saveexec_b64 s[10:11], vcc
	s_cbranch_execz .LBB113_103
; %bb.99:
	s_and_b64 vcc, exec, s[2:3]
	s_cbranch_vccnz .LBB113_215
; %bb.100:
	v_cmp_neq_f64_e32 vcc, v[41:42], v[5:6]
	v_cmp_neq_f64_e64 s[4:5], v[43:44], v[7:8]
	s_or_b64 s[12:13], vcc, s[4:5]
	s_cbranch_execnz .LBB113_102
.LBB113_101:
	v_cmp_eq_f64_e32 vcc, v[41:42], v[5:6]
	v_cmp_eq_f64_e64 s[4:5], v[43:44], v[7:8]
	s_andn2_b64 s[12:13], s[12:13], exec
	s_and_b64 s[4:5], vcc, s[4:5]
	s_and_b64 s[4:5], s[4:5], exec
	s_or_b64 s[12:13], s[12:13], s[4:5]
.LBB113_102:
	v_cndmask_b32_e64 v2, 0, 1, s[12:13]
.LBB113_103:
	s_or_b64 exec, exec, s[10:11]
	v_or_b32_e32 v3, 0x400, v0
	v_cmp_gt_i32_e32 vcc, s33, v3
                                        ; implicit-def: $vgpr3
	s_and_saveexec_b64 s[10:11], vcc
	s_cbranch_execz .LBB113_108
; %bb.104:
	s_and_b64 vcc, exec, s[2:3]
	s_cbranch_vccnz .LBB113_216
; %bb.105:
	v_cmp_neq_f64_e32 vcc, v[45:46], v[53:54]
	v_cmp_neq_f64_e64 s[4:5], v[47:48], v[55:56]
	s_or_b64 s[12:13], vcc, s[4:5]
	s_cbranch_execnz .LBB113_107
.LBB113_106:
	v_cmp_eq_f64_e32 vcc, v[45:46], v[53:54]
	v_cmp_eq_f64_e64 s[4:5], v[47:48], v[55:56]
	s_andn2_b64 s[12:13], s[12:13], exec
	s_and_b64 s[4:5], vcc, s[4:5]
	s_and_b64 s[4:5], s[4:5], exec
	s_or_b64 s[12:13], s[12:13], s[4:5]
.LBB113_107:
	v_cndmask_b32_e64 v3, 0, 1, s[12:13]
.LBB113_108:
	s_or_b64 exec, exec, s[10:11]
	v_or_b32_e32 v4, 0x500, v0
	v_cmp_gt_i32_e32 vcc, s33, v4
                                        ; implicit-def: $vgpr4
	s_and_saveexec_b64 s[10:11], vcc
	s_cbranch_execz .LBB113_113
; %bb.109:
	s_and_b64 vcc, exec, s[2:3]
	s_cbranch_vccnz .LBB113_217
; %bb.110:
	v_cmp_neq_f64_e32 vcc, v[57:58], v[9:10]
	v_cmp_neq_f64_e64 s[4:5], v[59:60], v[11:12]
	s_or_b64 s[12:13], vcc, s[4:5]
	s_cbranch_execnz .LBB113_112
.LBB113_111:
	v_cmp_eq_f64_e32 vcc, v[57:58], v[9:10]
	v_cmp_eq_f64_e64 s[4:5], v[59:60], v[11:12]
	s_andn2_b64 s[12:13], s[12:13], exec
	s_and_b64 s[4:5], vcc, s[4:5]
	s_and_b64 s[4:5], s[4:5], exec
	s_or_b64 s[12:13], s[12:13], s[4:5]
.LBB113_112:
	v_cndmask_b32_e64 v4, 0, 1, s[12:13]
.LBB113_113:
	s_or_b64 exec, exec, s[10:11]
	v_or_b32_e32 v5, 0x600, v0
	v_cmp_gt_i32_e32 vcc, s33, v5
                                        ; implicit-def: $vgpr5
	s_and_saveexec_b64 s[10:11], vcc
	s_cbranch_execz .LBB113_118
; %bb.114:
	s_and_b64 vcc, exec, s[2:3]
	s_cbranch_vccnz .LBB113_218
; %bb.115:
	v_cmp_neq_f64_e32 vcc, v[61:62], v[69:70]
	v_cmp_neq_f64_e64 s[4:5], v[63:64], v[71:72]
	s_or_b64 s[12:13], vcc, s[4:5]
	s_cbranch_execnz .LBB113_117
.LBB113_116:
	v_cmp_eq_f64_e32 vcc, v[61:62], v[69:70]
	v_cmp_eq_f64_e64 s[4:5], v[63:64], v[71:72]
	s_andn2_b64 s[12:13], s[12:13], exec
	s_and_b64 s[4:5], vcc, s[4:5]
	s_and_b64 s[4:5], s[4:5], exec
	s_or_b64 s[12:13], s[12:13], s[4:5]
.LBB113_117:
	v_cndmask_b32_e64 v5, 0, 1, s[12:13]
.LBB113_118:
	s_or_b64 exec, exec, s[10:11]
	v_or_b32_e32 v6, 0x700, v0
	v_cmp_gt_i32_e32 vcc, s33, v6
                                        ; implicit-def: $vgpr6
	s_and_saveexec_b64 s[10:11], vcc
	s_cbranch_execz .LBB113_123
; %bb.119:
	s_and_b64 vcc, exec, s[2:3]
	s_cbranch_vccnz .LBB113_219
; %bb.120:
	v_cmp_neq_f64_e32 vcc, v[73:74], v[17:18]
	v_cmp_neq_f64_e64 s[4:5], v[75:76], v[19:20]
	s_or_b64 s[12:13], vcc, s[4:5]
	s_cbranch_execnz .LBB113_122
.LBB113_121:
	v_cmp_eq_f64_e32 vcc, v[73:74], v[17:18]
	v_cmp_eq_f64_e64 s[4:5], v[75:76], v[19:20]
	s_andn2_b64 s[12:13], s[12:13], exec
	s_and_b64 s[4:5], vcc, s[4:5]
	s_and_b64 s[4:5], s[4:5], exec
	s_or_b64 s[12:13], s[12:13], s[4:5]
.LBB113_122:
	v_cndmask_b32_e64 v6, 0, 1, s[12:13]
.LBB113_123:
	s_or_b64 exec, exec, s[10:11]
	v_or_b32_e32 v7, 0x800, v0
	v_cmp_gt_i32_e32 vcc, s33, v7
                                        ; implicit-def: $vgpr7
	s_and_saveexec_b64 s[10:11], vcc
	s_cbranch_execz .LBB113_128
; %bb.124:
	s_and_b64 vcc, exec, s[2:3]
	s_cbranch_vccnz .LBB113_220
; %bb.125:
	v_cmp_neq_f64_e32 vcc, v[77:78], v[85:86]
	v_cmp_neq_f64_e64 s[4:5], v[79:80], v[87:88]
	s_or_b64 s[12:13], vcc, s[4:5]
	s_cbranch_execnz .LBB113_127
.LBB113_126:
	v_cmp_eq_f64_e32 vcc, v[77:78], v[85:86]
	v_cmp_eq_f64_e64 s[4:5], v[79:80], v[87:88]
	s_andn2_b64 s[12:13], s[12:13], exec
	s_and_b64 s[4:5], vcc, s[4:5]
	s_and_b64 s[4:5], s[4:5], exec
	s_or_b64 s[12:13], s[12:13], s[4:5]
.LBB113_127:
	v_cndmask_b32_e64 v7, 0, 1, s[12:13]
.LBB113_128:
	s_or_b64 exec, exec, s[10:11]
	v_or_b32_e32 v8, 0x900, v0
	v_cmp_gt_i32_e32 vcc, s33, v8
                                        ; implicit-def: $vgpr8
	s_and_saveexec_b64 s[10:11], vcc
	s_cbranch_execz .LBB113_133
; %bb.129:
	s_and_b64 vcc, exec, s[2:3]
	s_cbranch_vccnz .LBB113_221
; %bb.130:
	v_cmp_neq_f64_e32 vcc, v[89:90], v[33:34]
	v_cmp_neq_f64_e64 s[4:5], v[91:92], v[35:36]
	s_or_b64 s[12:13], vcc, s[4:5]
	s_cbranch_execnz .LBB113_132
.LBB113_131:
	v_cmp_eq_f64_e32 vcc, v[89:90], v[33:34]
	v_cmp_eq_f64_e64 s[4:5], v[91:92], v[35:36]
	s_andn2_b64 s[12:13], s[12:13], exec
	s_and_b64 s[4:5], vcc, s[4:5]
	s_and_b64 s[4:5], s[4:5], exec
	s_or_b64 s[12:13], s[12:13], s[4:5]
.LBB113_132:
	v_cndmask_b32_e64 v8, 0, 1, s[12:13]
.LBB113_133:
	s_or_b64 exec, exec, s[10:11]
	v_or_b32_e32 v9, 0xa00, v0
	v_cmp_gt_i32_e32 vcc, s33, v9
                                        ; implicit-def: $vgpr9
	s_and_saveexec_b64 s[10:11], vcc
	s_cbranch_execz .LBB113_138
; %bb.134:
	s_and_b64 vcc, exec, s[2:3]
	s_cbranch_vccnz .LBB113_222
; %bb.135:
	v_cmp_neq_f64_e32 vcc, v[93:94], v[97:98]
	v_cmp_neq_f64_e64 s[4:5], v[95:96], v[99:100]
	s_or_b64 s[12:13], vcc, s[4:5]
	s_cbranch_execnz .LBB113_137
.LBB113_136:
	v_cmp_eq_f64_e32 vcc, v[93:94], v[97:98]
	v_cmp_eq_f64_e64 s[4:5], v[95:96], v[99:100]
	s_andn2_b64 s[12:13], s[12:13], exec
	s_and_b64 s[4:5], vcc, s[4:5]
	s_and_b64 s[4:5], s[4:5], exec
	s_or_b64 s[12:13], s[12:13], s[4:5]
.LBB113_137:
	v_cndmask_b32_e64 v9, 0, 1, s[12:13]
.LBB113_138:
	s_or_b64 exec, exec, s[10:11]
	v_or_b32_e32 v10, 0xb00, v0
	v_cmp_gt_i32_e32 vcc, s33, v10
                                        ; implicit-def: $vgpr10
	s_and_saveexec_b64 s[10:11], vcc
	s_cbranch_execz .LBB113_143
; %bb.139:
	s_and_b64 vcc, exec, s[2:3]
	s_cbranch_vccnz .LBB113_223
; %bb.140:
	v_cmp_neq_f64_e32 vcc, v[101:102], v[49:50]
	v_cmp_neq_f64_e64 s[4:5], v[103:104], v[51:52]
	s_or_b64 s[12:13], vcc, s[4:5]
	s_cbranch_execnz .LBB113_142
.LBB113_141:
	v_cmp_eq_f64_e32 vcc, v[101:102], v[49:50]
	v_cmp_eq_f64_e64 s[4:5], v[103:104], v[51:52]
	s_andn2_b64 s[12:13], s[12:13], exec
	s_and_b64 s[4:5], vcc, s[4:5]
	s_and_b64 s[4:5], s[4:5], exec
	s_or_b64 s[12:13], s[12:13], s[4:5]
.LBB113_142:
	v_cndmask_b32_e64 v10, 0, 1, s[12:13]
.LBB113_143:
	s_or_b64 exec, exec, s[10:11]
	v_or_b32_e32 v11, 0xc00, v0
	v_cmp_gt_i32_e32 vcc, s33, v11
                                        ; implicit-def: $vgpr11
	s_and_saveexec_b64 s[10:11], vcc
	s_cbranch_execz .LBB113_148
; %bb.144:
	s_and_b64 vcc, exec, s[2:3]
	s_cbranch_vccnz .LBB113_224
; %bb.145:
	v_cmp_neq_f64_e32 vcc, v[105:106], v[109:110]
	v_cmp_neq_f64_e64 s[4:5], v[107:108], v[111:112]
	s_or_b64 s[12:13], vcc, s[4:5]
	s_cbranch_execnz .LBB113_147
.LBB113_146:
	v_cmp_eq_f64_e32 vcc, v[105:106], v[109:110]
	v_cmp_eq_f64_e64 s[4:5], v[107:108], v[111:112]
	s_andn2_b64 s[12:13], s[12:13], exec
	s_and_b64 s[4:5], vcc, s[4:5]
	s_and_b64 s[4:5], s[4:5], exec
	s_or_b64 s[12:13], s[12:13], s[4:5]
.LBB113_147:
	v_cndmask_b32_e64 v11, 0, 1, s[12:13]
.LBB113_148:
	s_or_b64 exec, exec, s[10:11]
	v_or_b32_e32 v12, 0xd00, v0
	v_cmp_gt_i32_e32 vcc, s33, v12
                                        ; implicit-def: $vgpr12
	s_and_saveexec_b64 s[10:11], vcc
	s_cbranch_execz .LBB113_153
; %bb.149:
	s_and_b64 vcc, exec, s[2:3]
	s_cbranch_vccnz .LBB113_225
; %bb.150:
	v_cmp_neq_f64_e32 vcc, v[113:114], v[65:66]
	v_cmp_neq_f64_e64 s[4:5], v[115:116], v[67:68]
	s_or_b64 s[12:13], vcc, s[4:5]
	s_cbranch_execnz .LBB113_152
.LBB113_151:
	v_cmp_eq_f64_e32 vcc, v[113:114], v[65:66]
	v_cmp_eq_f64_e64 s[4:5], v[115:116], v[67:68]
	s_andn2_b64 s[12:13], s[12:13], exec
	s_and_b64 s[4:5], vcc, s[4:5]
	s_and_b64 s[4:5], s[4:5], exec
	s_or_b64 s[12:13], s[12:13], s[4:5]
.LBB113_152:
	v_cndmask_b32_e64 v12, 0, 1, s[12:13]
.LBB113_153:
	s_or_b64 exec, exec, s[10:11]
	v_or_b32_e32 v15, 0xe00, v0
	v_cmp_gt_i32_e32 vcc, s33, v15
                                        ; implicit-def: $vgpr15
	s_and_saveexec_b64 s[10:11], vcc
	s_cbranch_execz .LBB113_158
; %bb.154:
	s_and_b64 vcc, exec, s[2:3]
	s_cbranch_vccnz .LBB113_226
; %bb.155:
	v_cmp_neq_f64_e32 vcc, v[117:118], v[121:122]
	v_cmp_neq_f64_e64 s[4:5], v[119:120], v[123:124]
	s_or_b64 s[12:13], vcc, s[4:5]
	s_cbranch_execnz .LBB113_157
.LBB113_156:
	v_cmp_eq_f64_e32 vcc, v[117:118], v[121:122]
	v_cmp_eq_f64_e64 s[4:5], v[119:120], v[123:124]
	s_andn2_b64 s[12:13], s[12:13], exec
	s_and_b64 s[4:5], vcc, s[4:5]
	s_and_b64 s[4:5], s[4:5], exec
	s_or_b64 s[12:13], s[12:13], s[4:5]
.LBB113_157:
	v_cndmask_b32_e64 v15, 0, 1, s[12:13]
.LBB113_158:
	s_or_b64 exec, exec, s[10:11]
	v_or_b32_e32 v16, 0xf00, v0
	v_cmp_gt_i32_e32 vcc, s33, v16
                                        ; implicit-def: $vgpr16
	s_and_saveexec_b64 s[4:5], vcc
	s_cbranch_execz .LBB113_163
; %bb.159:
	s_and_b64 vcc, exec, s[2:3]
	s_cbranch_vccnz .LBB113_227
; %bb.160:
	v_cmp_neq_f64_e32 vcc, v[125:126], v[81:82]
	v_cmp_neq_f64_e64 s[2:3], v[127:128], v[83:84]
	s_or_b64 s[10:11], vcc, s[2:3]
	s_cbranch_execnz .LBB113_162
.LBB113_161:
	v_cmp_eq_f64_e32 vcc, v[125:126], v[81:82]
	v_cmp_eq_f64_e64 s[2:3], v[127:128], v[83:84]
	s_andn2_b64 s[10:11], s[10:11], exec
	s_and_b64 s[2:3], vcc, s[2:3]
	s_and_b64 s[2:3], s[2:3], exec
	s_or_b64 s[10:11], s[10:11], s[2:3]
.LBB113_162:
	v_cndmask_b32_e64 v16, 0, 1, s[10:11]
.LBB113_163:
	s_or_b64 exec, exec, s[4:5]
	s_and_saveexec_b64 s[2:3], s[0:1]
	s_xor_b64 s[0:1], exec, s[2:3]
	s_cbranch_execz .LBB113_165
; %bb.164:
	v_mov_b32_e32 v0, v13
	global_store_byte v129, v130, s[8:9]
.LBB113_165:
	s_or_b64 exec, exec, s[0:1]
	v_cmp_gt_i32_e32 vcc, s33, v0
	s_and_saveexec_b64 s[0:1], vcc
	s_cbranch_execnz .LBB113_181
; %bb.166:
	s_or_b64 exec, exec, s[0:1]
	v_cmp_gt_i32_e32 vcc, s33, v0
	s_and_saveexec_b64 s[0:1], vcc
	s_cbranch_execnz .LBB113_182
.LBB113_167:
	s_or_b64 exec, exec, s[0:1]
	v_cmp_gt_i32_e32 vcc, s33, v0
	s_and_saveexec_b64 s[0:1], vcc
	s_cbranch_execnz .LBB113_183
.LBB113_168:
	s_or_b64 exec, exec, s[0:1]
	v_cmp_gt_i32_e32 vcc, s33, v0
	s_and_saveexec_b64 s[0:1], vcc
	s_cbranch_execnz .LBB113_184
.LBB113_169:
	s_or_b64 exec, exec, s[0:1]
	v_cmp_gt_i32_e32 vcc, s33, v0
	s_and_saveexec_b64 s[0:1], vcc
	s_cbranch_execnz .LBB113_185
.LBB113_170:
	s_or_b64 exec, exec, s[0:1]
	v_cmp_gt_i32_e32 vcc, s33, v0
	s_and_saveexec_b64 s[0:1], vcc
	s_cbranch_execnz .LBB113_186
.LBB113_171:
	s_or_b64 exec, exec, s[0:1]
	v_cmp_gt_i32_e32 vcc, s33, v0
	s_and_saveexec_b64 s[0:1], vcc
	s_cbranch_execnz .LBB113_187
.LBB113_172:
	s_or_b64 exec, exec, s[0:1]
	v_cmp_gt_i32_e32 vcc, s33, v0
	s_and_saveexec_b64 s[0:1], vcc
	s_cbranch_execnz .LBB113_188
.LBB113_173:
	s_or_b64 exec, exec, s[0:1]
	v_cmp_gt_i32_e32 vcc, s33, v0
	s_and_saveexec_b64 s[0:1], vcc
	s_cbranch_execnz .LBB113_189
.LBB113_174:
	s_or_b64 exec, exec, s[0:1]
	v_cmp_gt_i32_e32 vcc, s33, v0
	s_and_saveexec_b64 s[0:1], vcc
	s_cbranch_execnz .LBB113_190
.LBB113_175:
	s_or_b64 exec, exec, s[0:1]
	v_cmp_gt_i32_e32 vcc, s33, v0
	s_and_saveexec_b64 s[0:1], vcc
	s_cbranch_execnz .LBB113_191
.LBB113_176:
	s_or_b64 exec, exec, s[0:1]
	v_cmp_gt_i32_e32 vcc, s33, v0
	s_and_saveexec_b64 s[0:1], vcc
	s_cbranch_execnz .LBB113_192
.LBB113_177:
	s_or_b64 exec, exec, s[0:1]
	v_cmp_gt_i32_e32 vcc, s33, v0
	s_and_saveexec_b64 s[0:1], vcc
	s_cbranch_execnz .LBB113_193
.LBB113_178:
	s_or_b64 exec, exec, s[0:1]
	v_cmp_gt_i32_e32 vcc, s33, v0
	s_and_saveexec_b64 s[0:1], vcc
	s_cbranch_execnz .LBB113_194
.LBB113_179:
	s_or_b64 exec, exec, s[0:1]
	v_cmp_gt_i32_e32 vcc, s33, v0
	s_and_saveexec_b64 s[0:1], vcc
	s_cbranch_execz .LBB113_195
.LBB113_180:
	v_add_u32_e32 v0, s6, v0
	global_store_byte v0, v16, s[8:9]
	s_endpgm
.LBB113_181:
	v_add_u32_e32 v13, s6, v0
	v_add_u32_e32 v0, 0x100, v0
	global_store_byte v13, v14, s[8:9]
	s_or_b64 exec, exec, s[0:1]
	v_cmp_gt_i32_e32 vcc, s33, v0
	s_and_saveexec_b64 s[0:1], vcc
	s_cbranch_execz .LBB113_167
.LBB113_182:
	v_add_u32_e32 v13, s6, v0
	v_add_u32_e32 v0, 0x100, v0
	global_store_byte v13, v1, s[8:9]
	s_or_b64 exec, exec, s[0:1]
	v_cmp_gt_i32_e32 vcc, s33, v0
	s_and_saveexec_b64 s[0:1], vcc
	s_cbranch_execz .LBB113_168
.LBB113_183:
	v_add_u32_e32 v1, s6, v0
	v_add_u32_e32 v0, 0x100, v0
	global_store_byte v1, v2, s[8:9]
	s_or_b64 exec, exec, s[0:1]
	v_cmp_gt_i32_e32 vcc, s33, v0
	s_and_saveexec_b64 s[0:1], vcc
	s_cbranch_execz .LBB113_169
.LBB113_184:
	v_add_u32_e32 v1, s6, v0
	v_add_u32_e32 v0, 0x100, v0
	global_store_byte v1, v3, s[8:9]
	s_or_b64 exec, exec, s[0:1]
	v_cmp_gt_i32_e32 vcc, s33, v0
	s_and_saveexec_b64 s[0:1], vcc
	s_cbranch_execz .LBB113_170
.LBB113_185:
	v_add_u32_e32 v1, s6, v0
	v_add_u32_e32 v0, 0x100, v0
	global_store_byte v1, v4, s[8:9]
	s_or_b64 exec, exec, s[0:1]
	v_cmp_gt_i32_e32 vcc, s33, v0
	s_and_saveexec_b64 s[0:1], vcc
	s_cbranch_execz .LBB113_171
.LBB113_186:
	v_add_u32_e32 v1, s6, v0
	v_add_u32_e32 v0, 0x100, v0
	global_store_byte v1, v5, s[8:9]
	s_or_b64 exec, exec, s[0:1]
	v_cmp_gt_i32_e32 vcc, s33, v0
	s_and_saveexec_b64 s[0:1], vcc
	s_cbranch_execz .LBB113_172
.LBB113_187:
	v_add_u32_e32 v1, s6, v0
	v_add_u32_e32 v0, 0x100, v0
	global_store_byte v1, v6, s[8:9]
	s_or_b64 exec, exec, s[0:1]
	v_cmp_gt_i32_e32 vcc, s33, v0
	s_and_saveexec_b64 s[0:1], vcc
	s_cbranch_execz .LBB113_173
.LBB113_188:
	v_add_u32_e32 v1, s6, v0
	v_add_u32_e32 v0, 0x100, v0
	global_store_byte v1, v7, s[8:9]
	s_or_b64 exec, exec, s[0:1]
	v_cmp_gt_i32_e32 vcc, s33, v0
	s_and_saveexec_b64 s[0:1], vcc
	s_cbranch_execz .LBB113_174
.LBB113_189:
	v_add_u32_e32 v1, s6, v0
	v_add_u32_e32 v0, 0x100, v0
	global_store_byte v1, v8, s[8:9]
	s_or_b64 exec, exec, s[0:1]
	v_cmp_gt_i32_e32 vcc, s33, v0
	s_and_saveexec_b64 s[0:1], vcc
	s_cbranch_execz .LBB113_175
.LBB113_190:
	v_add_u32_e32 v1, s6, v0
	v_add_u32_e32 v0, 0x100, v0
	global_store_byte v1, v9, s[8:9]
	s_or_b64 exec, exec, s[0:1]
	v_cmp_gt_i32_e32 vcc, s33, v0
	s_and_saveexec_b64 s[0:1], vcc
	s_cbranch_execz .LBB113_176
.LBB113_191:
	v_add_u32_e32 v1, s6, v0
	v_add_u32_e32 v0, 0x100, v0
	global_store_byte v1, v10, s[8:9]
	s_or_b64 exec, exec, s[0:1]
	v_cmp_gt_i32_e32 vcc, s33, v0
	s_and_saveexec_b64 s[0:1], vcc
	s_cbranch_execz .LBB113_177
.LBB113_192:
	v_add_u32_e32 v1, s6, v0
	v_add_u32_e32 v0, 0x100, v0
	global_store_byte v1, v11, s[8:9]
	s_or_b64 exec, exec, s[0:1]
	v_cmp_gt_i32_e32 vcc, s33, v0
	s_and_saveexec_b64 s[0:1], vcc
	s_cbranch_execz .LBB113_178
.LBB113_193:
	v_add_u32_e32 v1, s6, v0
	v_add_u32_e32 v0, 0x100, v0
	global_store_byte v1, v12, s[8:9]
	s_or_b64 exec, exec, s[0:1]
	v_cmp_gt_i32_e32 vcc, s33, v0
	s_and_saveexec_b64 s[0:1], vcc
	s_cbranch_execz .LBB113_179
.LBB113_194:
	v_add_u32_e32 v1, s6, v0
	v_add_u32_e32 v0, 0x100, v0
	global_store_byte v1, v15, s[8:9]
	s_or_b64 exec, exec, s[0:1]
	v_cmp_gt_i32_e32 vcc, s33, v0
	s_and_saveexec_b64 s[0:1], vcc
	s_cbranch_execnz .LBB113_180
.LBB113_195:
	s_endpgm
.LBB113_196:
                                        ; implicit-def: $sgpr4_sgpr5
	s_branch .LBB113_3
.LBB113_197:
                                        ; implicit-def: $sgpr16_sgpr17
	s_branch .LBB113_6
.LBB113_198:
                                        ; implicit-def: $sgpr18_sgpr19
	s_branch .LBB113_9
.LBB113_199:
                                        ; implicit-def: $sgpr20_sgpr21
	s_branch .LBB113_12
.LBB113_200:
                                        ; implicit-def: $sgpr22_sgpr23
	s_branch .LBB113_15
.LBB113_201:
                                        ; implicit-def: $sgpr24_sgpr25
	s_branch .LBB113_18
.LBB113_202:
                                        ; implicit-def: $sgpr26_sgpr27
	s_branch .LBB113_21
.LBB113_203:
                                        ; implicit-def: $sgpr28_sgpr29
	s_branch .LBB113_24
.LBB113_204:
                                        ; implicit-def: $sgpr30_sgpr31
	s_branch .LBB113_27
.LBB113_205:
                                        ; implicit-def: $sgpr34_sgpr35
	s_branch .LBB113_30
.LBB113_206:
                                        ; implicit-def: $sgpr36_sgpr37
	s_branch .LBB113_33
.LBB113_207:
                                        ; implicit-def: $sgpr38_sgpr39
	s_branch .LBB113_36
.LBB113_208:
                                        ; implicit-def: $sgpr40_sgpr41
	s_branch .LBB113_39
.LBB113_209:
                                        ; implicit-def: $sgpr42_sgpr43
	s_branch .LBB113_42
.LBB113_210:
                                        ; implicit-def: $sgpr44_sgpr45
	s_branch .LBB113_45
.LBB113_211:
                                        ; implicit-def: $sgpr2_sgpr3
	s_branch .LBB113_48
.LBB113_212:
                                        ; implicit-def: $sgpr12_sgpr13
	s_branch .LBB113_86
.LBB113_213:
                                        ; implicit-def: $sgpr12_sgpr13
	s_branch .LBB113_91
.LBB113_214:
                                        ; implicit-def: $sgpr12_sgpr13
	s_branch .LBB113_96
.LBB113_215:
                                        ; implicit-def: $sgpr12_sgpr13
	s_branch .LBB113_101
.LBB113_216:
                                        ; implicit-def: $sgpr12_sgpr13
	s_branch .LBB113_106
.LBB113_217:
                                        ; implicit-def: $sgpr12_sgpr13
	s_branch .LBB113_111
.LBB113_218:
                                        ; implicit-def: $sgpr12_sgpr13
	s_branch .LBB113_116
.LBB113_219:
                                        ; implicit-def: $sgpr12_sgpr13
	s_branch .LBB113_121
.LBB113_220:
                                        ; implicit-def: $sgpr12_sgpr13
	s_branch .LBB113_126
.LBB113_221:
                                        ; implicit-def: $sgpr12_sgpr13
	s_branch .LBB113_131
.LBB113_222:
                                        ; implicit-def: $sgpr12_sgpr13
	s_branch .LBB113_136
.LBB113_223:
                                        ; implicit-def: $sgpr12_sgpr13
	s_branch .LBB113_141
.LBB113_224:
                                        ; implicit-def: $sgpr12_sgpr13
	s_branch .LBB113_146
.LBB113_225:
                                        ; implicit-def: $sgpr12_sgpr13
	s_branch .LBB113_151
.LBB113_226:
                                        ; implicit-def: $sgpr12_sgpr13
	s_branch .LBB113_156
.LBB113_227:
                                        ; implicit-def: $sgpr10_sgpr11
	s_branch .LBB113_161
	.section	.rodata,"a",@progbits
	.p2align	6, 0x0
	.amdhsa_kernel _ZN2at6native29vectorized_elementwise_kernelILi8ENS0_13BinaryFunctorIN3c107complexIdEES5_bNS0_12_GLOBAL__N_116CompareEqFunctorIS5_EEEESt5arrayIPcLm3EEEEviT0_T1_
		.amdhsa_group_segment_fixed_size 0
		.amdhsa_private_segment_fixed_size 0
		.amdhsa_kernarg_size 32
		.amdhsa_user_sgpr_count 6
		.amdhsa_user_sgpr_private_segment_buffer 1
		.amdhsa_user_sgpr_dispatch_ptr 0
		.amdhsa_user_sgpr_queue_ptr 0
		.amdhsa_user_sgpr_kernarg_segment_ptr 1
		.amdhsa_user_sgpr_dispatch_id 0
		.amdhsa_user_sgpr_flat_scratch_init 0
		.amdhsa_user_sgpr_private_segment_size 0
		.amdhsa_uses_dynamic_stack 0
		.amdhsa_system_sgpr_private_segment_wavefront_offset 0
		.amdhsa_system_sgpr_workgroup_id_x 1
		.amdhsa_system_sgpr_workgroup_id_y 0
		.amdhsa_system_sgpr_workgroup_id_z 0
		.amdhsa_system_sgpr_workgroup_info 0
		.amdhsa_system_vgpr_workitem_id 0
		.amdhsa_next_free_vgpr 131
		.amdhsa_next_free_sgpr 46
		.amdhsa_reserve_vcc 1
		.amdhsa_reserve_flat_scratch 0
		.amdhsa_float_round_mode_32 0
		.amdhsa_float_round_mode_16_64 0
		.amdhsa_float_denorm_mode_32 3
		.amdhsa_float_denorm_mode_16_64 3
		.amdhsa_dx10_clamp 1
		.amdhsa_ieee_mode 1
		.amdhsa_fp16_overflow 0
		.amdhsa_exception_fp_ieee_invalid_op 0
		.amdhsa_exception_fp_denorm_src 0
		.amdhsa_exception_fp_ieee_div_zero 0
		.amdhsa_exception_fp_ieee_overflow 0
		.amdhsa_exception_fp_ieee_underflow 0
		.amdhsa_exception_fp_ieee_inexact 0
		.amdhsa_exception_int_div_zero 0
	.end_amdhsa_kernel
	.section	.text._ZN2at6native29vectorized_elementwise_kernelILi8ENS0_13BinaryFunctorIN3c107complexIdEES5_bNS0_12_GLOBAL__N_116CompareEqFunctorIS5_EEEESt5arrayIPcLm3EEEEviT0_T1_,"axG",@progbits,_ZN2at6native29vectorized_elementwise_kernelILi8ENS0_13BinaryFunctorIN3c107complexIdEES5_bNS0_12_GLOBAL__N_116CompareEqFunctorIS5_EEEESt5arrayIPcLm3EEEEviT0_T1_,comdat
.Lfunc_end113:
	.size	_ZN2at6native29vectorized_elementwise_kernelILi8ENS0_13BinaryFunctorIN3c107complexIdEES5_bNS0_12_GLOBAL__N_116CompareEqFunctorIS5_EEEESt5arrayIPcLm3EEEEviT0_T1_, .Lfunc_end113-_ZN2at6native29vectorized_elementwise_kernelILi8ENS0_13BinaryFunctorIN3c107complexIdEES5_bNS0_12_GLOBAL__N_116CompareEqFunctorIS5_EEEESt5arrayIPcLm3EEEEviT0_T1_
                                        ; -- End function
	.set _ZN2at6native29vectorized_elementwise_kernelILi8ENS0_13BinaryFunctorIN3c107complexIdEES5_bNS0_12_GLOBAL__N_116CompareEqFunctorIS5_EEEESt5arrayIPcLm3EEEEviT0_T1_.num_vgpr, 131
	.set _ZN2at6native29vectorized_elementwise_kernelILi8ENS0_13BinaryFunctorIN3c107complexIdEES5_bNS0_12_GLOBAL__N_116CompareEqFunctorIS5_EEEESt5arrayIPcLm3EEEEviT0_T1_.num_agpr, 0
	.set _ZN2at6native29vectorized_elementwise_kernelILi8ENS0_13BinaryFunctorIN3c107complexIdEES5_bNS0_12_GLOBAL__N_116CompareEqFunctorIS5_EEEESt5arrayIPcLm3EEEEviT0_T1_.numbered_sgpr, 46
	.set _ZN2at6native29vectorized_elementwise_kernelILi8ENS0_13BinaryFunctorIN3c107complexIdEES5_bNS0_12_GLOBAL__N_116CompareEqFunctorIS5_EEEESt5arrayIPcLm3EEEEviT0_T1_.num_named_barrier, 0
	.set _ZN2at6native29vectorized_elementwise_kernelILi8ENS0_13BinaryFunctorIN3c107complexIdEES5_bNS0_12_GLOBAL__N_116CompareEqFunctorIS5_EEEESt5arrayIPcLm3EEEEviT0_T1_.private_seg_size, 0
	.set _ZN2at6native29vectorized_elementwise_kernelILi8ENS0_13BinaryFunctorIN3c107complexIdEES5_bNS0_12_GLOBAL__N_116CompareEqFunctorIS5_EEEESt5arrayIPcLm3EEEEviT0_T1_.uses_vcc, 1
	.set _ZN2at6native29vectorized_elementwise_kernelILi8ENS0_13BinaryFunctorIN3c107complexIdEES5_bNS0_12_GLOBAL__N_116CompareEqFunctorIS5_EEEESt5arrayIPcLm3EEEEviT0_T1_.uses_flat_scratch, 0
	.set _ZN2at6native29vectorized_elementwise_kernelILi8ENS0_13BinaryFunctorIN3c107complexIdEES5_bNS0_12_GLOBAL__N_116CompareEqFunctorIS5_EEEESt5arrayIPcLm3EEEEviT0_T1_.has_dyn_sized_stack, 0
	.set _ZN2at6native29vectorized_elementwise_kernelILi8ENS0_13BinaryFunctorIN3c107complexIdEES5_bNS0_12_GLOBAL__N_116CompareEqFunctorIS5_EEEESt5arrayIPcLm3EEEEviT0_T1_.has_recursion, 0
	.set _ZN2at6native29vectorized_elementwise_kernelILi8ENS0_13BinaryFunctorIN3c107complexIdEES5_bNS0_12_GLOBAL__N_116CompareEqFunctorIS5_EEEESt5arrayIPcLm3EEEEviT0_T1_.has_indirect_call, 0
	.section	.AMDGPU.csdata,"",@progbits
; Kernel info:
; codeLenInByte = 5928
; TotalNumSgprs: 50
; NumVgprs: 131
; ScratchSize: 0
; MemoryBound: 1
; FloatMode: 240
; IeeeMode: 1
; LDSByteSize: 0 bytes/workgroup (compile time only)
; SGPRBlocks: 6
; VGPRBlocks: 32
; NumSGPRsForWavesPerEU: 50
; NumVGPRsForWavesPerEU: 131
; Occupancy: 1
; WaveLimiterHint : 1
; COMPUTE_PGM_RSRC2:SCRATCH_EN: 0
; COMPUTE_PGM_RSRC2:USER_SGPR: 6
; COMPUTE_PGM_RSRC2:TRAP_HANDLER: 0
; COMPUTE_PGM_RSRC2:TGID_X_EN: 1
; COMPUTE_PGM_RSRC2:TGID_Y_EN: 0
; COMPUTE_PGM_RSRC2:TGID_Z_EN: 0
; COMPUTE_PGM_RSRC2:TIDIG_COMP_CNT: 0
	.section	.text._ZN2at6native29vectorized_elementwise_kernelILi4ENS0_13BinaryFunctorIN3c107complexIdEES5_bNS0_12_GLOBAL__N_116CompareEqFunctorIS5_EEEESt5arrayIPcLm3EEEEviT0_T1_,"axG",@progbits,_ZN2at6native29vectorized_elementwise_kernelILi4ENS0_13BinaryFunctorIN3c107complexIdEES5_bNS0_12_GLOBAL__N_116CompareEqFunctorIS5_EEEESt5arrayIPcLm3EEEEviT0_T1_,comdat
	.globl	_ZN2at6native29vectorized_elementwise_kernelILi4ENS0_13BinaryFunctorIN3c107complexIdEES5_bNS0_12_GLOBAL__N_116CompareEqFunctorIS5_EEEESt5arrayIPcLm3EEEEviT0_T1_ ; -- Begin function _ZN2at6native29vectorized_elementwise_kernelILi4ENS0_13BinaryFunctorIN3c107complexIdEES5_bNS0_12_GLOBAL__N_116CompareEqFunctorIS5_EEEESt5arrayIPcLm3EEEEviT0_T1_
	.p2align	8
	.type	_ZN2at6native29vectorized_elementwise_kernelILi4ENS0_13BinaryFunctorIN3c107complexIdEES5_bNS0_12_GLOBAL__N_116CompareEqFunctorIS5_EEEESt5arrayIPcLm3EEEEviT0_T1_,@function
_ZN2at6native29vectorized_elementwise_kernelILi4ENS0_13BinaryFunctorIN3c107complexIdEES5_bNS0_12_GLOBAL__N_116CompareEqFunctorIS5_EEEESt5arrayIPcLm3EEEEviT0_T1_: ; @_ZN2at6native29vectorized_elementwise_kernelILi4ENS0_13BinaryFunctorIN3c107complexIdEES5_bNS0_12_GLOBAL__N_116CompareEqFunctorIS5_EEEESt5arrayIPcLm3EEEEviT0_T1_
; %bb.0:
	s_load_dwordx2 s[12:13], s[4:5], 0x0
	s_load_dwordx4 s[8:11], s[4:5], 0x8
	s_load_dwordx2 s[14:15], s[4:5], 0x18
	s_lshl_b32 s6, s6, 12
	s_mov_b64 s[0:1], -1
	s_waitcnt lgkmcnt(0)
	s_sub_i32 s33, s12, s6
	s_cmpk_gt_i32 s33, 0xfff
	s_cbranch_scc0 .LBB114_50
; %bb.1:
	s_ashr_i32 s7, s6, 31
	s_lshl_b64 s[0:1], s[6:7], 4
	s_add_u32 s2, s10, s0
	s_addc_u32 s3, s11, s1
	v_lshlrev_b32_e32 v11, 6, v0
	v_mov_b32_e32 v1, s3
	v_add_co_u32_e32 v3, vcc, s2, v11
	v_addc_co_u32_e32 v4, vcc, 0, v1, vcc
	global_load_dwordx4 v[93:96], v11, s[2:3] offset:48
	global_load_dwordx4 v[101:104], v11, s[2:3] offset:32
	;; [unrolled: 1-line block ×3, first 2 shown]
	global_load_dwordx4 v[117:120], v11, s[2:3]
	s_movk_i32 s2, 0x4000
	v_add_co_u32_e32 v1, vcc, s2, v3
	v_addc_co_u32_e32 v2, vcc, 0, v4, vcc
	s_mov_b32 s3, 0x8000
	global_load_dwordx4 v[61:64], v[1:2], off offset:48
	global_load_dwordx4 v[69:72], v[1:2], off offset:32
	global_load_dwordx4 v[85:88], v[1:2], off
	global_load_dwordx4 v[77:80], v[1:2], off offset:16
	v_add_co_u32_e32 v1, vcc, s3, v3
	v_addc_co_u32_e32 v2, vcc, 0, v4, vcc
	s_mov_b32 s4, 0xc000
	v_add_co_u32_e32 v9, vcc, s4, v3
	s_add_u32 s0, s14, s0
	v_addc_co_u32_e32 v10, vcc, 0, v4, vcc
	s_addc_u32 s1, s15, s1
	global_load_dwordx4 v[29:32], v[1:2], off offset:48
	global_load_dwordx4 v[37:40], v[1:2], off offset:32
	global_load_dwordx4 v[53:56], v[1:2], off
	global_load_dwordx4 v[45:48], v[1:2], off offset:16
	s_nop 0
	global_load_dwordx4 v[1:4], v[9:10], off offset:48
	global_load_dwordx4 v[5:8], v[9:10], off offset:32
	global_load_dwordx4 v[21:24], v[9:10], off
	global_load_dwordx4 v[13:16], v[9:10], off offset:16
	v_mov_b32_e32 v9, s1
	v_add_co_u32_e32 v12, vcc, s0, v11
	v_addc_co_u32_e32 v17, vcc, 0, v9, vcc
	v_add_co_u32_e32 v9, vcc, s2, v12
	v_addc_co_u32_e32 v10, vcc, 0, v17, vcc
	global_load_dwordx4 v[105:108], v11, s[0:1] offset:48
	global_load_dwordx4 v[113:116], v11, s[0:1] offset:32
	;; [unrolled: 1-line block ×3, first 2 shown]
	global_load_dwordx4 v[125:128], v11, s[0:1]
	global_load_dwordx4 v[73:76], v[9:10], off offset:48
	global_load_dwordx4 v[81:84], v[9:10], off offset:32
	global_load_dwordx4 v[97:100], v[9:10], off
	global_load_dwordx4 v[89:92], v[9:10], off offset:16
	v_add_co_u32_e32 v9, vcc, s3, v12
	v_addc_co_u32_e32 v10, vcc, 0, v17, vcc
	v_add_co_u32_e32 v25, vcc, 0xc000, v12
	v_addc_co_u32_e64 v26, s[0:1], 0, v17, vcc
	v_addc_co_u32_e32 v18, vcc, 0, v17, vcc
	v_mov_b32_e32 v17, v25
	global_load_dwordx4 v[41:44], v[9:10], off offset:48
	global_load_dwordx4 v[49:52], v[9:10], off offset:32
	global_load_dwordx4 v[65:68], v[9:10], off
	global_load_dwordx4 v[57:60], v[9:10], off offset:16
	global_load_dwordx4 v[33:36], v[17:18], off
	s_nop 0
	global_load_dwordx4 v[9:12], v[25:26], off offset:48
                                        ; kill: killed $vgpr17 killed $vgpr18
	global_load_dwordx4 v[17:20], v[25:26], off offset:32
	s_nop 0
	global_load_dwordx4 v[25:28], v[25:26], off offset:16
	s_cmp_lg_u32 s13, 0
	s_cselect_b64 s[2:3], -1, 0
	s_and_b64 vcc, exec, s[2:3]
	s_cbranch_vccz .LBB114_196
; %bb.2:
	s_waitcnt vmcnt(12)
	v_cmp_neq_f64_e32 vcc, v[117:118], v[125:126]
	v_cmp_neq_f64_e64 s[0:1], v[119:120], v[127:128]
	s_or_b64 s[4:5], vcc, s[0:1]
	s_cbranch_execnz .LBB114_4
.LBB114_3:
	s_waitcnt vmcnt(12)
	v_cmp_eq_f64_e32 vcc, v[117:118], v[125:126]
	v_cmp_eq_f64_e64 s[0:1], v[119:120], v[127:128]
	s_andn2_b64 s[4:5], s[4:5], exec
	s_and_b64 s[0:1], vcc, s[0:1]
	s_and_b64 s[0:1], s[0:1], exec
	s_or_b64 s[4:5], s[4:5], s[0:1]
.LBB114_4:
	s_waitcnt vmcnt(28)
	v_cndmask_b32_e64 v117, 0, 1, s[2:3]
	v_cmp_ne_u32_e64 s[0:1], 1, v117
	s_andn2_b64 vcc, exec, s[2:3]
	s_cbranch_vccnz .LBB114_197
; %bb.5:
	s_waitcnt vmcnt(13)
	v_cmp_neq_f64_e32 vcc, v[109:110], v[121:122]
	v_cmp_neq_f64_e64 s[2:3], v[111:112], v[123:124]
	s_or_b64 s[16:17], vcc, s[2:3]
	s_cbranch_execnz .LBB114_7
.LBB114_6:
	s_waitcnt vmcnt(13)
	v_cmp_eq_f64_e32 vcc, v[109:110], v[121:122]
	v_cmp_eq_f64_e64 s[2:3], v[111:112], v[123:124]
	s_andn2_b64 s[16:17], s[16:17], exec
	s_and_b64 s[2:3], vcc, s[2:3]
	s_and_b64 s[2:3], s[2:3], exec
	s_or_b64 s[16:17], s[16:17], s[2:3]
.LBB114_7:
	s_and_b64 vcc, exec, s[0:1]
	s_cbranch_vccnz .LBB114_198
; %bb.8:
	s_waitcnt vmcnt(14)
	v_cmp_neq_f64_e32 vcc, v[101:102], v[113:114]
	v_cmp_neq_f64_e64 s[2:3], v[103:104], v[115:116]
	s_or_b64 s[18:19], vcc, s[2:3]
	s_cbranch_execnz .LBB114_10
.LBB114_9:
	s_waitcnt vmcnt(14)
	v_cmp_eq_f64_e32 vcc, v[101:102], v[113:114]
	v_cmp_eq_f64_e64 s[2:3], v[103:104], v[115:116]
	s_andn2_b64 s[18:19], s[18:19], exec
	s_and_b64 s[2:3], vcc, s[2:3]
	s_and_b64 s[2:3], s[2:3], exec
	s_or_b64 s[18:19], s[18:19], s[2:3]
.LBB114_10:
	s_and_b64 vcc, exec, s[0:1]
	s_cbranch_vccnz .LBB114_199
; %bb.11:
	s_waitcnt vmcnt(15)
	v_cmp_neq_f64_e32 vcc, v[93:94], v[105:106]
	v_cmp_neq_f64_e64 s[2:3], v[95:96], v[107:108]
	s_or_b64 s[20:21], vcc, s[2:3]
	s_cbranch_execnz .LBB114_13
.LBB114_12:
	s_waitcnt vmcnt(15)
	v_cmp_eq_f64_e32 vcc, v[93:94], v[105:106]
	v_cmp_eq_f64_e64 s[2:3], v[95:96], v[107:108]
	s_andn2_b64 s[20:21], s[20:21], exec
	s_and_b64 s[2:3], vcc, s[2:3]
	s_and_b64 s[2:3], s[2:3], exec
	s_or_b64 s[20:21], s[20:21], s[2:3]
.LBB114_13:
	s_and_b64 vcc, exec, s[0:1]
	s_cbranch_vccnz .LBB114_200
; %bb.14:
	s_waitcnt vmcnt(9)
	v_cmp_neq_f64_e32 vcc, v[85:86], v[97:98]
	v_cmp_neq_f64_e64 s[2:3], v[87:88], v[99:100]
	s_or_b64 s[22:23], vcc, s[2:3]
	s_cbranch_execnz .LBB114_16
.LBB114_15:
	s_waitcnt vmcnt(9)
	v_cmp_eq_f64_e32 vcc, v[85:86], v[97:98]
	v_cmp_eq_f64_e64 s[2:3], v[87:88], v[99:100]
	s_andn2_b64 s[22:23], s[22:23], exec
	s_and_b64 s[2:3], vcc, s[2:3]
	s_and_b64 s[2:3], s[2:3], exec
	s_or_b64 s[22:23], s[22:23], s[2:3]
.LBB114_16:
	s_and_b64 vcc, exec, s[0:1]
	s_cbranch_vccnz .LBB114_201
; %bb.17:
	s_waitcnt vmcnt(8)
	v_cmp_neq_f64_e32 vcc, v[77:78], v[89:90]
	v_cmp_neq_f64_e64 s[2:3], v[79:80], v[91:92]
	s_or_b64 s[24:25], vcc, s[2:3]
	s_cbranch_execnz .LBB114_19
.LBB114_18:
	s_waitcnt vmcnt(8)
	v_cmp_eq_f64_e32 vcc, v[77:78], v[89:90]
	v_cmp_eq_f64_e64 s[2:3], v[79:80], v[91:92]
	s_andn2_b64 s[24:25], s[24:25], exec
	s_and_b64 s[2:3], vcc, s[2:3]
	s_and_b64 s[2:3], s[2:3], exec
	s_or_b64 s[24:25], s[24:25], s[2:3]
.LBB114_19:
	s_and_b64 vcc, exec, s[0:1]
	s_cbranch_vccnz .LBB114_202
; %bb.20:
	s_waitcnt vmcnt(10)
	v_cmp_neq_f64_e32 vcc, v[69:70], v[81:82]
	v_cmp_neq_f64_e64 s[2:3], v[71:72], v[83:84]
	s_or_b64 s[26:27], vcc, s[2:3]
	s_cbranch_execnz .LBB114_22
.LBB114_21:
	s_waitcnt vmcnt(10)
	v_cmp_eq_f64_e32 vcc, v[69:70], v[81:82]
	v_cmp_eq_f64_e64 s[2:3], v[71:72], v[83:84]
	s_andn2_b64 s[26:27], s[26:27], exec
	s_and_b64 s[2:3], vcc, s[2:3]
	s_and_b64 s[2:3], s[2:3], exec
	s_or_b64 s[26:27], s[26:27], s[2:3]
.LBB114_22:
	s_and_b64 vcc, exec, s[0:1]
	s_cbranch_vccnz .LBB114_203
; %bb.23:
	s_waitcnt vmcnt(11)
	v_cmp_neq_f64_e32 vcc, v[61:62], v[73:74]
	v_cmp_neq_f64_e64 s[2:3], v[63:64], v[75:76]
	s_or_b64 s[28:29], vcc, s[2:3]
	s_cbranch_execnz .LBB114_25
.LBB114_24:
	s_waitcnt vmcnt(11)
	v_cmp_eq_f64_e32 vcc, v[61:62], v[73:74]
	v_cmp_eq_f64_e64 s[2:3], v[63:64], v[75:76]
	s_andn2_b64 s[28:29], s[28:29], exec
	s_and_b64 s[2:3], vcc, s[2:3]
	s_and_b64 s[2:3], s[2:3], exec
	s_or_b64 s[28:29], s[28:29], s[2:3]
.LBB114_25:
	s_and_b64 vcc, exec, s[0:1]
	s_cbranch_vccnz .LBB114_204
; %bb.26:
	s_waitcnt vmcnt(5)
	v_cmp_neq_f64_e32 vcc, v[53:54], v[65:66]
	v_cmp_neq_f64_e64 s[2:3], v[55:56], v[67:68]
	s_or_b64 s[30:31], vcc, s[2:3]
	s_cbranch_execnz .LBB114_28
.LBB114_27:
	s_waitcnt vmcnt(5)
	v_cmp_eq_f64_e32 vcc, v[53:54], v[65:66]
	v_cmp_eq_f64_e64 s[2:3], v[55:56], v[67:68]
	s_andn2_b64 s[30:31], s[30:31], exec
	s_and_b64 s[2:3], vcc, s[2:3]
	s_and_b64 s[2:3], s[2:3], exec
	s_or_b64 s[30:31], s[30:31], s[2:3]
.LBB114_28:
	s_and_b64 vcc, exec, s[0:1]
	s_cbranch_vccnz .LBB114_205
; %bb.29:
	s_waitcnt vmcnt(4)
	v_cmp_neq_f64_e32 vcc, v[45:46], v[57:58]
	v_cmp_neq_f64_e64 s[2:3], v[47:48], v[59:60]
	s_or_b64 s[34:35], vcc, s[2:3]
	s_cbranch_execnz .LBB114_31
.LBB114_30:
	s_waitcnt vmcnt(4)
	v_cmp_eq_f64_e32 vcc, v[45:46], v[57:58]
	v_cmp_eq_f64_e64 s[2:3], v[47:48], v[59:60]
	s_andn2_b64 s[34:35], s[34:35], exec
	s_and_b64 s[2:3], vcc, s[2:3]
	s_and_b64 s[2:3], s[2:3], exec
	s_or_b64 s[34:35], s[34:35], s[2:3]
.LBB114_31:
	s_and_b64 vcc, exec, s[0:1]
	s_cbranch_vccnz .LBB114_206
; %bb.32:
	s_waitcnt vmcnt(6)
	v_cmp_neq_f64_e32 vcc, v[37:38], v[49:50]
	v_cmp_neq_f64_e64 s[2:3], v[39:40], v[51:52]
	s_or_b64 s[36:37], vcc, s[2:3]
	s_cbranch_execnz .LBB114_34
.LBB114_33:
	s_waitcnt vmcnt(6)
	v_cmp_eq_f64_e32 vcc, v[37:38], v[49:50]
	v_cmp_eq_f64_e64 s[2:3], v[39:40], v[51:52]
	s_andn2_b64 s[36:37], s[36:37], exec
	s_and_b64 s[2:3], vcc, s[2:3]
	s_and_b64 s[2:3], s[2:3], exec
	s_or_b64 s[36:37], s[36:37], s[2:3]
.LBB114_34:
	s_and_b64 vcc, exec, s[0:1]
	s_cbranch_vccnz .LBB114_207
; %bb.35:
	s_waitcnt vmcnt(7)
	v_cmp_neq_f64_e32 vcc, v[29:30], v[41:42]
	v_cmp_neq_f64_e64 s[2:3], v[31:32], v[43:44]
	s_or_b64 s[38:39], vcc, s[2:3]
	s_cbranch_execnz .LBB114_37
.LBB114_36:
	s_waitcnt vmcnt(7)
	v_cmp_eq_f64_e32 vcc, v[29:30], v[41:42]
	v_cmp_eq_f64_e64 s[2:3], v[31:32], v[43:44]
	s_andn2_b64 s[38:39], s[38:39], exec
	s_and_b64 s[2:3], vcc, s[2:3]
	s_and_b64 s[2:3], s[2:3], exec
	s_or_b64 s[38:39], s[38:39], s[2:3]
.LBB114_37:
	s_and_b64 vcc, exec, s[0:1]
	s_cbranch_vccnz .LBB114_208
; %bb.38:
	s_waitcnt vmcnt(3)
	v_cmp_neq_f64_e32 vcc, v[21:22], v[33:34]
	v_cmp_neq_f64_e64 s[2:3], v[23:24], v[35:36]
	s_or_b64 s[40:41], vcc, s[2:3]
	s_cbranch_execnz .LBB114_40
.LBB114_39:
	s_waitcnt vmcnt(3)
	v_cmp_eq_f64_e32 vcc, v[21:22], v[33:34]
	v_cmp_eq_f64_e64 s[2:3], v[23:24], v[35:36]
	s_andn2_b64 s[40:41], s[40:41], exec
	s_and_b64 s[2:3], vcc, s[2:3]
	s_and_b64 s[2:3], s[2:3], exec
	s_or_b64 s[40:41], s[40:41], s[2:3]
.LBB114_40:
	s_and_b64 vcc, exec, s[0:1]
	s_cbranch_vccnz .LBB114_209
; %bb.41:
	s_waitcnt vmcnt(0)
	v_cmp_neq_f64_e32 vcc, v[13:14], v[25:26]
	v_cmp_neq_f64_e64 s[2:3], v[15:16], v[27:28]
	s_or_b64 s[42:43], vcc, s[2:3]
	s_cbranch_execnz .LBB114_43
.LBB114_42:
	s_waitcnt vmcnt(0)
	v_cmp_eq_f64_e32 vcc, v[13:14], v[25:26]
	v_cmp_eq_f64_e64 s[2:3], v[15:16], v[27:28]
	s_andn2_b64 s[42:43], s[42:43], exec
	s_and_b64 s[2:3], vcc, s[2:3]
	s_and_b64 s[2:3], s[2:3], exec
	s_or_b64 s[42:43], s[42:43], s[2:3]
.LBB114_43:
	s_and_b64 vcc, exec, s[0:1]
	s_cbranch_vccnz .LBB114_210
; %bb.44:
	s_waitcnt vmcnt(1)
	v_cmp_neq_f64_e32 vcc, v[5:6], v[17:18]
	v_cmp_neq_f64_e64 s[2:3], v[7:8], v[19:20]
	s_or_b64 s[44:45], vcc, s[2:3]
	s_cbranch_execnz .LBB114_46
.LBB114_45:
	s_waitcnt vmcnt(1)
	v_cmp_eq_f64_e32 vcc, v[5:6], v[17:18]
	v_cmp_eq_f64_e64 s[2:3], v[7:8], v[19:20]
	s_andn2_b64 s[44:45], s[44:45], exec
	s_and_b64 s[2:3], vcc, s[2:3]
	s_and_b64 s[2:3], s[2:3], exec
	s_or_b64 s[44:45], s[44:45], s[2:3]
.LBB114_46:
	s_and_b64 vcc, exec, s[0:1]
	s_cbranch_vccnz .LBB114_211
; %bb.47:
	s_waitcnt vmcnt(2)
	v_cmp_neq_f64_e32 vcc, v[1:2], v[9:10]
	v_cmp_neq_f64_e64 s[0:1], v[3:4], v[11:12]
	s_or_b64 s[2:3], vcc, s[0:1]
	s_cbranch_execnz .LBB114_49
.LBB114_48:
	s_waitcnt vmcnt(2)
	v_cmp_eq_f64_e32 vcc, v[1:2], v[9:10]
	v_cmp_eq_f64_e64 s[0:1], v[3:4], v[11:12]
	s_andn2_b64 s[2:3], s[2:3], exec
	s_and_b64 s[0:1], vcc, s[0:1]
	s_and_b64 s[0:1], s[0:1], exec
	s_or_b64 s[2:3], s[2:3], s[0:1]
.LBB114_49:
	s_waitcnt vmcnt(19)
	v_mov_b32_e32 v1, 0x100
	v_cndmask_b32_e64 v2, 0, v1, s[42:43]
	v_cndmask_b32_e64 v3, 0, 1, s[40:41]
	v_or_b32_e32 v2, v2, v3
	v_mov_b32_e32 v3, 0x10000
	s_waitcnt vmcnt(18)
	v_cndmask_b32_e64 v5, 0, v1, s[34:35]
	v_cndmask_b32_e64 v6, 0, 1, s[30:31]
	v_mov_b32_e32 v7, 0x1000000
	v_or_b32_e32 v5, v5, v6
	v_cndmask_b32_e64 v6, 0, v3, s[36:37]
	v_cndmask_b32_e64 v8, 0, v7, s[38:39]
	v_or3_b32 v5, v5, v6, v8
	v_cndmask_b32_e64 v6, 0, v1, s[24:25]
	v_cndmask_b32_e64 v8, 0, 1, s[22:23]
	v_or_b32_e32 v6, v6, v8
	v_cndmask_b32_e64 v8, 0, v3, s[26:27]
	s_waitcnt vmcnt(2)
	v_cndmask_b32_e64 v9, 0, v7, s[28:29]
	v_or3_b32 v6, v6, v8, v9
	v_cndmask_b32_e64 v1, 0, v1, s[16:17]
	v_cndmask_b32_e64 v8, 0, 1, s[4:5]
	;; [unrolled: 1-line block ×3, first 2 shown]
	v_or_b32_e32 v1, v1, v8
	v_cndmask_b32_e64 v3, 0, v3, s[18:19]
	v_cndmask_b32_e64 v8, 0, v7, s[20:21]
	v_or3_b32 v1, v1, v3, v8
	v_cndmask_b32_e64 v3, 0, v7, s[2:3]
	s_add_u32 s0, s8, s6
	v_or3_b32 v2, v2, v4, v3
	s_addc_u32 s1, s9, s7
	v_lshlrev_b32_e32 v3, 2, v0
	global_store_dword v3, v1, s[0:1]
	global_store_dword v3, v6, s[0:1] offset:1024
	global_store_dword v3, v5, s[0:1] offset:2048
	;; [unrolled: 1-line block ×3, first 2 shown]
	s_mov_b64 s[0:1], 0
.LBB114_50:
	s_and_b64 vcc, exec, s[0:1]
	s_cbranch_vccz .LBB114_195
; %bb.51:
	v_mov_b32_e32 v1, 0
	v_mov_b32_e32 v21, 0
	;; [unrolled: 1-line block ×5, first 2 shown]
	v_cmp_gt_i32_e64 s[0:1], s33, v0
	v_mov_b32_e32 v2, 0
	v_or_b32_e32 v129, s6, v0
	v_mov_b32_e32 v22, 0
	v_mov_b32_e32 v24, 0
	;; [unrolled: 1-line block ×5, first 2 shown]
	s_and_saveexec_b64 s[2:3], s[0:1]
	s_cbranch_execz .LBB114_53
; %bb.52:
	v_mov_b32_e32 v130, 0
	v_lshlrev_b64 v[3:4], 4, v[129:130]
	v_mov_b32_e32 v6, s11
	v_add_co_u32_e32 v5, vcc, s10, v3
	v_addc_co_u32_e32 v6, vcc, v6, v4, vcc
	v_mov_b32_e32 v7, s15
	v_add_co_u32_e32 v3, vcc, s14, v3
	v_addc_co_u32_e32 v4, vcc, v7, v4, vcc
	global_load_dwordx4 v[13:16], v[5:6], off
	global_load_dwordx4 v[21:24], v[3:4], off
	v_or_b32_e32 v130, 0x100, v0
.LBB114_53:
	s_or_b64 exec, exec, s[2:3]
	v_mov_b32_e32 v3, 0
	s_waitcnt vmcnt(4)
	v_mov_b32_e32 v25, 0
	v_mov_b32_e32 v27, 0
	v_mov_b32_e32 v4, 0
	v_mov_b32_e32 v26, 0
	v_mov_b32_e32 v28, 0
	v_cmp_gt_i32_e32 vcc, s33, v130
	s_and_saveexec_b64 s[2:3], vcc
	s_cbranch_execz .LBB114_55
; %bb.54:
	v_add_u32_e32 v1, s6, v130
	v_mov_b32_e32 v2, 0
	v_lshlrev_b64 v[1:2], 4, v[1:2]
	v_mov_b32_e32 v3, s11
	v_add_co_u32_e32 v5, vcc, s10, v1
	v_addc_co_u32_e32 v6, vcc, v3, v2, vcc
	v_mov_b32_e32 v3, s15
	v_add_co_u32_e32 v7, vcc, s14, v1
	v_addc_co_u32_e32 v8, vcc, v3, v2, vcc
	global_load_dwordx4 v[25:28], v[5:6], off
	global_load_dwordx4 v[1:4], v[7:8], off
	v_add_u32_e32 v130, 0x100, v130
.LBB114_55:
	s_or_b64 exec, exec, s[2:3]
	v_mov_b32_e32 v5, 0
	v_mov_b32_e32 v37, 0
	v_mov_b32_e32 v39, 0
	v_mov_b32_e32 v29, 0
	v_mov_b32_e32 v31, 0
	v_mov_b32_e32 v6, 0
	v_mov_b32_e32 v38, 0
	v_mov_b32_e32 v40, 0
	v_mov_b32_e32 v30, 0
	v_mov_b32_e32 v32, 0
	v_cmp_gt_i32_e32 vcc, s33, v130
	s_and_saveexec_b64 s[2:3], vcc
	s_cbranch_execz .LBB114_57
; %bb.56:
	v_add_u32_e32 v7, s6, v130
	v_mov_b32_e32 v8, 0
	v_lshlrev_b64 v[7:8], 4, v[7:8]
	v_mov_b32_e32 v10, s11
	v_add_co_u32_e32 v9, vcc, s10, v7
	v_addc_co_u32_e32 v10, vcc, v10, v8, vcc
	v_mov_b32_e32 v11, s15
	v_add_co_u32_e32 v7, vcc, s14, v7
	v_addc_co_u32_e32 v8, vcc, v11, v8, vcc
	global_load_dwordx4 v[29:32], v[9:10], off
	global_load_dwordx4 v[37:40], v[7:8], off
	v_add_u32_e32 v130, 0x100, v130
.LBB114_57:
	s_or_b64 exec, exec, s[2:3]
	v_mov_b32_e32 v7, 0
	v_mov_b32_e32 v41, 0
	v_mov_b32_e32 v43, 0
	v_mov_b32_e32 v8, 0
	v_mov_b32_e32 v42, 0
	v_mov_b32_e32 v44, 0
	v_cmp_gt_i32_e32 vcc, s33, v130
	s_and_saveexec_b64 s[2:3], vcc
	s_cbranch_execz .LBB114_59
; %bb.58:
	v_add_u32_e32 v5, s6, v130
	v_mov_b32_e32 v6, 0
	v_lshlrev_b64 v[5:6], 4, v[5:6]
	v_mov_b32_e32 v7, s11
	v_add_co_u32_e32 v9, vcc, s10, v5
	v_addc_co_u32_e32 v10, vcc, v7, v6, vcc
	v_mov_b32_e32 v7, s15
	v_add_co_u32_e32 v11, vcc, s14, v5
	v_addc_co_u32_e32 v12, vcc, v7, v6, vcc
	global_load_dwordx4 v[41:44], v[9:10], off
	global_load_dwordx4 v[5:8], v[11:12], off
	v_add_u32_e32 v130, 0x100, v130
.LBB114_59:
	s_or_b64 exec, exec, s[2:3]
	v_mov_b32_e32 v9, 0
	v_mov_b32_e32 v53, 0
	v_mov_b32_e32 v55, 0
	v_mov_b32_e32 v45, 0
	v_mov_b32_e32 v47, 0
	v_mov_b32_e32 v10, 0
	v_mov_b32_e32 v54, 0
	v_mov_b32_e32 v56, 0
	v_mov_b32_e32 v46, 0
	v_mov_b32_e32 v48, 0
	v_cmp_gt_i32_e32 vcc, s33, v130
	s_and_saveexec_b64 s[2:3], vcc
	s_cbranch_execz .LBB114_61
; %bb.60:
	v_add_u32_e32 v11, s6, v130
	v_mov_b32_e32 v12, 0
	v_lshlrev_b64 v[11:12], 4, v[11:12]
	v_mov_b32_e32 v18, s11
	v_add_co_u32_e32 v17, vcc, s10, v11
	v_addc_co_u32_e32 v18, vcc, v18, v12, vcc
	v_mov_b32_e32 v19, s15
	v_add_co_u32_e32 v11, vcc, s14, v11
	v_addc_co_u32_e32 v12, vcc, v19, v12, vcc
	global_load_dwordx4 v[45:48], v[17:18], off
	global_load_dwordx4 v[53:56], v[11:12], off
	v_add_u32_e32 v130, 0x100, v130
.LBB114_61:
	s_or_b64 exec, exec, s[2:3]
	v_mov_b32_e32 v11, 0
	;; [unrolled: 52-line block ×6, first 2 shown]
	v_mov_b32_e32 v113, 0
	v_mov_b32_e32 v115, 0
	;; [unrolled: 1-line block ×5, first 2 shown]
	v_cmp_gt_i32_e32 vcc, s33, v130
	s_and_saveexec_b64 s[2:3], vcc
	s_cbranch_execz .LBB114_79
; %bb.78:
	v_add_u32_e32 v65, s6, v130
	v_mov_b32_e32 v66, 0
	v_lshlrev_b64 v[65:66], 4, v[65:66]
	v_mov_b32_e32 v67, s11
	v_add_co_u32_e32 v81, vcc, s10, v65
	v_addc_co_u32_e32 v82, vcc, v67, v66, vcc
	v_mov_b32_e32 v67, s15
	v_add_co_u32_e32 v83, vcc, s14, v65
	v_addc_co_u32_e32 v84, vcc, v67, v66, vcc
	global_load_dwordx4 v[113:116], v[81:82], off
	global_load_dwordx4 v[65:68], v[83:84], off
	v_add_u32_e32 v130, 0x100, v130
.LBB114_79:
	s_or_b64 exec, exec, s[2:3]
	v_mov_b32_e32 v81, 0
	v_mov_b32_e32 v121, 0
	;; [unrolled: 1-line block ×10, first 2 shown]
	v_cmp_gt_i32_e32 vcc, s33, v130
	s_and_saveexec_b64 s[2:3], vcc
	s_cbranch_execz .LBB114_81
; %bb.80:
	v_add_u32_e32 v83, s6, v130
	v_mov_b32_e32 v84, 0
	v_lshlrev_b64 v[83:84], 4, v[83:84]
	v_mov_b32_e32 v118, s11
	v_add_co_u32_e32 v117, vcc, s10, v83
	v_addc_co_u32_e32 v118, vcc, v118, v84, vcc
	v_mov_b32_e32 v119, s15
	v_add_co_u32_e32 v83, vcc, s14, v83
	v_addc_co_u32_e32 v84, vcc, v119, v84, vcc
	global_load_dwordx4 v[117:120], v[117:118], off
	s_nop 0
	global_load_dwordx4 v[121:124], v[83:84], off
	v_add_u32_e32 v130, 0x100, v130
.LBB114_81:
	s_or_b64 exec, exec, s[2:3]
	v_mov_b32_e32 v83, 0
	v_mov_b32_e32 v125, 0
	;; [unrolled: 1-line block ×6, first 2 shown]
	v_cmp_gt_i32_e32 vcc, s33, v130
	s_and_saveexec_b64 s[2:3], vcc
	s_cbranch_execz .LBB114_83
; %bb.82:
	v_add_u32_e32 v81, s6, v130
	v_mov_b32_e32 v82, 0
	v_lshlrev_b64 v[81:82], 4, v[81:82]
	v_mov_b32_e32 v84, s11
	v_add_co_u32_e32 v83, vcc, s10, v81
	v_addc_co_u32_e32 v84, vcc, v84, v82, vcc
	v_mov_b32_e32 v125, s15
	v_add_co_u32_e32 v81, vcc, s14, v81
	v_addc_co_u32_e32 v82, vcc, v125, v82, vcc
	global_load_dwordx4 v[125:128], v[83:84], off
	s_nop 0
	global_load_dwordx4 v[81:84], v[81:82], off
.LBB114_83:
	s_or_b64 exec, exec, s[2:3]
	s_cmp_lg_u32 s13, 0
	s_cselect_b64 s[4:5], -1, 0
                                        ; implicit-def: $vgpr130
	s_and_saveexec_b64 s[10:11], s[0:1]
	s_cbranch_execz .LBB114_88
; %bb.84:
	s_and_b64 vcc, exec, s[4:5]
	s_cbranch_vccz .LBB114_212
; %bb.85:
	s_waitcnt vmcnt(0)
	v_cmp_neq_f64_e32 vcc, v[13:14], v[21:22]
	v_cmp_neq_f64_e64 s[2:3], v[15:16], v[23:24]
	s_or_b64 s[12:13], vcc, s[2:3]
	s_cbranch_execnz .LBB114_87
.LBB114_86:
	s_waitcnt vmcnt(0)
	v_cmp_eq_f64_e32 vcc, v[13:14], v[21:22]
	v_cmp_eq_f64_e64 s[2:3], v[15:16], v[23:24]
	s_andn2_b64 s[12:13], s[12:13], exec
	s_and_b64 s[2:3], vcc, s[2:3]
	s_and_b64 s[2:3], s[2:3], exec
	s_or_b64 s[12:13], s[12:13], s[2:3]
.LBB114_87:
	v_cndmask_b32_e64 v130, 0, 1, s[12:13]
.LBB114_88:
	s_or_b64 exec, exec, s[10:11]
	s_waitcnt vmcnt(1)
	v_or_b32_e32 v13, 0x100, v0
	v_cndmask_b32_e64 v14, 0, 1, s[4:5]
	v_cmp_gt_i32_e32 vcc, s33, v13
	v_cmp_ne_u32_e64 s[2:3], 1, v14
                                        ; implicit-def: $vgpr14
	s_and_saveexec_b64 s[10:11], vcc
	s_cbranch_execz .LBB114_93
; %bb.89:
	s_and_b64 vcc, exec, s[2:3]
	s_cbranch_vccnz .LBB114_213
; %bb.90:
	s_waitcnt vmcnt(0)
	v_cmp_neq_f64_e32 vcc, v[25:26], v[1:2]
	v_cmp_neq_f64_e64 s[4:5], v[27:28], v[3:4]
	s_or_b64 s[12:13], vcc, s[4:5]
	s_cbranch_execnz .LBB114_92
.LBB114_91:
	s_waitcnt vmcnt(0)
	v_cmp_eq_f64_e32 vcc, v[25:26], v[1:2]
	v_cmp_eq_f64_e64 s[4:5], v[27:28], v[3:4]
	s_andn2_b64 s[12:13], s[12:13], exec
	s_and_b64 s[4:5], vcc, s[4:5]
	s_and_b64 s[4:5], s[4:5], exec
	s_or_b64 s[12:13], s[12:13], s[4:5]
.LBB114_92:
	v_cndmask_b32_e64 v14, 0, 1, s[12:13]
.LBB114_93:
	s_or_b64 exec, exec, s[10:11]
	s_waitcnt vmcnt(0)
	v_or_b32_e32 v1, 0x200, v0
	v_cmp_gt_i32_e32 vcc, s33, v1
                                        ; implicit-def: $vgpr1
	s_and_saveexec_b64 s[10:11], vcc
	s_cbranch_execz .LBB114_98
; %bb.94:
	s_and_b64 vcc, exec, s[2:3]
	s_cbranch_vccnz .LBB114_214
; %bb.95:
	v_cmp_neq_f64_e32 vcc, v[29:30], v[37:38]
	v_cmp_neq_f64_e64 s[4:5], v[31:32], v[39:40]
	s_or_b64 s[12:13], vcc, s[4:5]
	s_cbranch_execnz .LBB114_97
.LBB114_96:
	v_cmp_eq_f64_e32 vcc, v[29:30], v[37:38]
	v_cmp_eq_f64_e64 s[4:5], v[31:32], v[39:40]
	s_andn2_b64 s[12:13], s[12:13], exec
	s_and_b64 s[4:5], vcc, s[4:5]
	s_and_b64 s[4:5], s[4:5], exec
	s_or_b64 s[12:13], s[12:13], s[4:5]
.LBB114_97:
	v_cndmask_b32_e64 v1, 0, 1, s[12:13]
.LBB114_98:
	s_or_b64 exec, exec, s[10:11]
	v_or_b32_e32 v2, 0x300, v0
	v_cmp_gt_i32_e32 vcc, s33, v2
                                        ; implicit-def: $vgpr2
	s_and_saveexec_b64 s[10:11], vcc
	s_cbranch_execz .LBB114_103
; %bb.99:
	s_and_b64 vcc, exec, s[2:3]
	s_cbranch_vccnz .LBB114_215
; %bb.100:
	v_cmp_neq_f64_e32 vcc, v[41:42], v[5:6]
	v_cmp_neq_f64_e64 s[4:5], v[43:44], v[7:8]
	s_or_b64 s[12:13], vcc, s[4:5]
	s_cbranch_execnz .LBB114_102
.LBB114_101:
	v_cmp_eq_f64_e32 vcc, v[41:42], v[5:6]
	v_cmp_eq_f64_e64 s[4:5], v[43:44], v[7:8]
	s_andn2_b64 s[12:13], s[12:13], exec
	s_and_b64 s[4:5], vcc, s[4:5]
	s_and_b64 s[4:5], s[4:5], exec
	s_or_b64 s[12:13], s[12:13], s[4:5]
.LBB114_102:
	v_cndmask_b32_e64 v2, 0, 1, s[12:13]
.LBB114_103:
	s_or_b64 exec, exec, s[10:11]
	v_or_b32_e32 v3, 0x400, v0
	v_cmp_gt_i32_e32 vcc, s33, v3
                                        ; implicit-def: $vgpr3
	s_and_saveexec_b64 s[10:11], vcc
	s_cbranch_execz .LBB114_108
; %bb.104:
	s_and_b64 vcc, exec, s[2:3]
	s_cbranch_vccnz .LBB114_216
; %bb.105:
	v_cmp_neq_f64_e32 vcc, v[45:46], v[53:54]
	v_cmp_neq_f64_e64 s[4:5], v[47:48], v[55:56]
	s_or_b64 s[12:13], vcc, s[4:5]
	s_cbranch_execnz .LBB114_107
.LBB114_106:
	v_cmp_eq_f64_e32 vcc, v[45:46], v[53:54]
	v_cmp_eq_f64_e64 s[4:5], v[47:48], v[55:56]
	s_andn2_b64 s[12:13], s[12:13], exec
	s_and_b64 s[4:5], vcc, s[4:5]
	s_and_b64 s[4:5], s[4:5], exec
	s_or_b64 s[12:13], s[12:13], s[4:5]
.LBB114_107:
	v_cndmask_b32_e64 v3, 0, 1, s[12:13]
.LBB114_108:
	s_or_b64 exec, exec, s[10:11]
	v_or_b32_e32 v4, 0x500, v0
	v_cmp_gt_i32_e32 vcc, s33, v4
                                        ; implicit-def: $vgpr4
	s_and_saveexec_b64 s[10:11], vcc
	s_cbranch_execz .LBB114_113
; %bb.109:
	s_and_b64 vcc, exec, s[2:3]
	s_cbranch_vccnz .LBB114_217
; %bb.110:
	v_cmp_neq_f64_e32 vcc, v[57:58], v[9:10]
	v_cmp_neq_f64_e64 s[4:5], v[59:60], v[11:12]
	s_or_b64 s[12:13], vcc, s[4:5]
	s_cbranch_execnz .LBB114_112
.LBB114_111:
	v_cmp_eq_f64_e32 vcc, v[57:58], v[9:10]
	v_cmp_eq_f64_e64 s[4:5], v[59:60], v[11:12]
	s_andn2_b64 s[12:13], s[12:13], exec
	s_and_b64 s[4:5], vcc, s[4:5]
	s_and_b64 s[4:5], s[4:5], exec
	s_or_b64 s[12:13], s[12:13], s[4:5]
.LBB114_112:
	v_cndmask_b32_e64 v4, 0, 1, s[12:13]
.LBB114_113:
	s_or_b64 exec, exec, s[10:11]
	v_or_b32_e32 v5, 0x600, v0
	v_cmp_gt_i32_e32 vcc, s33, v5
                                        ; implicit-def: $vgpr5
	s_and_saveexec_b64 s[10:11], vcc
	s_cbranch_execz .LBB114_118
; %bb.114:
	s_and_b64 vcc, exec, s[2:3]
	s_cbranch_vccnz .LBB114_218
; %bb.115:
	v_cmp_neq_f64_e32 vcc, v[61:62], v[69:70]
	v_cmp_neq_f64_e64 s[4:5], v[63:64], v[71:72]
	s_or_b64 s[12:13], vcc, s[4:5]
	s_cbranch_execnz .LBB114_117
.LBB114_116:
	v_cmp_eq_f64_e32 vcc, v[61:62], v[69:70]
	v_cmp_eq_f64_e64 s[4:5], v[63:64], v[71:72]
	s_andn2_b64 s[12:13], s[12:13], exec
	s_and_b64 s[4:5], vcc, s[4:5]
	s_and_b64 s[4:5], s[4:5], exec
	s_or_b64 s[12:13], s[12:13], s[4:5]
.LBB114_117:
	v_cndmask_b32_e64 v5, 0, 1, s[12:13]
.LBB114_118:
	s_or_b64 exec, exec, s[10:11]
	v_or_b32_e32 v6, 0x700, v0
	v_cmp_gt_i32_e32 vcc, s33, v6
                                        ; implicit-def: $vgpr6
	s_and_saveexec_b64 s[10:11], vcc
	s_cbranch_execz .LBB114_123
; %bb.119:
	s_and_b64 vcc, exec, s[2:3]
	s_cbranch_vccnz .LBB114_219
; %bb.120:
	v_cmp_neq_f64_e32 vcc, v[73:74], v[17:18]
	v_cmp_neq_f64_e64 s[4:5], v[75:76], v[19:20]
	s_or_b64 s[12:13], vcc, s[4:5]
	s_cbranch_execnz .LBB114_122
.LBB114_121:
	v_cmp_eq_f64_e32 vcc, v[73:74], v[17:18]
	v_cmp_eq_f64_e64 s[4:5], v[75:76], v[19:20]
	s_andn2_b64 s[12:13], s[12:13], exec
	s_and_b64 s[4:5], vcc, s[4:5]
	s_and_b64 s[4:5], s[4:5], exec
	s_or_b64 s[12:13], s[12:13], s[4:5]
.LBB114_122:
	v_cndmask_b32_e64 v6, 0, 1, s[12:13]
.LBB114_123:
	s_or_b64 exec, exec, s[10:11]
	v_or_b32_e32 v7, 0x800, v0
	v_cmp_gt_i32_e32 vcc, s33, v7
                                        ; implicit-def: $vgpr7
	s_and_saveexec_b64 s[10:11], vcc
	s_cbranch_execz .LBB114_128
; %bb.124:
	s_and_b64 vcc, exec, s[2:3]
	s_cbranch_vccnz .LBB114_220
; %bb.125:
	v_cmp_neq_f64_e32 vcc, v[77:78], v[85:86]
	v_cmp_neq_f64_e64 s[4:5], v[79:80], v[87:88]
	s_or_b64 s[12:13], vcc, s[4:5]
	s_cbranch_execnz .LBB114_127
.LBB114_126:
	v_cmp_eq_f64_e32 vcc, v[77:78], v[85:86]
	v_cmp_eq_f64_e64 s[4:5], v[79:80], v[87:88]
	s_andn2_b64 s[12:13], s[12:13], exec
	s_and_b64 s[4:5], vcc, s[4:5]
	s_and_b64 s[4:5], s[4:5], exec
	s_or_b64 s[12:13], s[12:13], s[4:5]
.LBB114_127:
	v_cndmask_b32_e64 v7, 0, 1, s[12:13]
.LBB114_128:
	s_or_b64 exec, exec, s[10:11]
	v_or_b32_e32 v8, 0x900, v0
	v_cmp_gt_i32_e32 vcc, s33, v8
                                        ; implicit-def: $vgpr8
	s_and_saveexec_b64 s[10:11], vcc
	s_cbranch_execz .LBB114_133
; %bb.129:
	s_and_b64 vcc, exec, s[2:3]
	s_cbranch_vccnz .LBB114_221
; %bb.130:
	v_cmp_neq_f64_e32 vcc, v[89:90], v[33:34]
	v_cmp_neq_f64_e64 s[4:5], v[91:92], v[35:36]
	s_or_b64 s[12:13], vcc, s[4:5]
	s_cbranch_execnz .LBB114_132
.LBB114_131:
	v_cmp_eq_f64_e32 vcc, v[89:90], v[33:34]
	v_cmp_eq_f64_e64 s[4:5], v[91:92], v[35:36]
	s_andn2_b64 s[12:13], s[12:13], exec
	s_and_b64 s[4:5], vcc, s[4:5]
	s_and_b64 s[4:5], s[4:5], exec
	s_or_b64 s[12:13], s[12:13], s[4:5]
.LBB114_132:
	v_cndmask_b32_e64 v8, 0, 1, s[12:13]
.LBB114_133:
	s_or_b64 exec, exec, s[10:11]
	v_or_b32_e32 v9, 0xa00, v0
	v_cmp_gt_i32_e32 vcc, s33, v9
                                        ; implicit-def: $vgpr9
	s_and_saveexec_b64 s[10:11], vcc
	s_cbranch_execz .LBB114_138
; %bb.134:
	s_and_b64 vcc, exec, s[2:3]
	s_cbranch_vccnz .LBB114_222
; %bb.135:
	v_cmp_neq_f64_e32 vcc, v[93:94], v[97:98]
	v_cmp_neq_f64_e64 s[4:5], v[95:96], v[99:100]
	s_or_b64 s[12:13], vcc, s[4:5]
	s_cbranch_execnz .LBB114_137
.LBB114_136:
	v_cmp_eq_f64_e32 vcc, v[93:94], v[97:98]
	v_cmp_eq_f64_e64 s[4:5], v[95:96], v[99:100]
	s_andn2_b64 s[12:13], s[12:13], exec
	s_and_b64 s[4:5], vcc, s[4:5]
	s_and_b64 s[4:5], s[4:5], exec
	s_or_b64 s[12:13], s[12:13], s[4:5]
.LBB114_137:
	v_cndmask_b32_e64 v9, 0, 1, s[12:13]
.LBB114_138:
	s_or_b64 exec, exec, s[10:11]
	v_or_b32_e32 v10, 0xb00, v0
	v_cmp_gt_i32_e32 vcc, s33, v10
                                        ; implicit-def: $vgpr10
	s_and_saveexec_b64 s[10:11], vcc
	s_cbranch_execz .LBB114_143
; %bb.139:
	s_and_b64 vcc, exec, s[2:3]
	s_cbranch_vccnz .LBB114_223
; %bb.140:
	v_cmp_neq_f64_e32 vcc, v[101:102], v[49:50]
	v_cmp_neq_f64_e64 s[4:5], v[103:104], v[51:52]
	s_or_b64 s[12:13], vcc, s[4:5]
	s_cbranch_execnz .LBB114_142
.LBB114_141:
	v_cmp_eq_f64_e32 vcc, v[101:102], v[49:50]
	v_cmp_eq_f64_e64 s[4:5], v[103:104], v[51:52]
	s_andn2_b64 s[12:13], s[12:13], exec
	s_and_b64 s[4:5], vcc, s[4:5]
	s_and_b64 s[4:5], s[4:5], exec
	s_or_b64 s[12:13], s[12:13], s[4:5]
.LBB114_142:
	v_cndmask_b32_e64 v10, 0, 1, s[12:13]
.LBB114_143:
	s_or_b64 exec, exec, s[10:11]
	v_or_b32_e32 v11, 0xc00, v0
	v_cmp_gt_i32_e32 vcc, s33, v11
                                        ; implicit-def: $vgpr11
	s_and_saveexec_b64 s[10:11], vcc
	s_cbranch_execz .LBB114_148
; %bb.144:
	s_and_b64 vcc, exec, s[2:3]
	s_cbranch_vccnz .LBB114_224
; %bb.145:
	v_cmp_neq_f64_e32 vcc, v[105:106], v[109:110]
	v_cmp_neq_f64_e64 s[4:5], v[107:108], v[111:112]
	s_or_b64 s[12:13], vcc, s[4:5]
	s_cbranch_execnz .LBB114_147
.LBB114_146:
	v_cmp_eq_f64_e32 vcc, v[105:106], v[109:110]
	v_cmp_eq_f64_e64 s[4:5], v[107:108], v[111:112]
	s_andn2_b64 s[12:13], s[12:13], exec
	s_and_b64 s[4:5], vcc, s[4:5]
	s_and_b64 s[4:5], s[4:5], exec
	s_or_b64 s[12:13], s[12:13], s[4:5]
.LBB114_147:
	v_cndmask_b32_e64 v11, 0, 1, s[12:13]
.LBB114_148:
	s_or_b64 exec, exec, s[10:11]
	v_or_b32_e32 v12, 0xd00, v0
	v_cmp_gt_i32_e32 vcc, s33, v12
                                        ; implicit-def: $vgpr12
	s_and_saveexec_b64 s[10:11], vcc
	s_cbranch_execz .LBB114_153
; %bb.149:
	s_and_b64 vcc, exec, s[2:3]
	s_cbranch_vccnz .LBB114_225
; %bb.150:
	v_cmp_neq_f64_e32 vcc, v[113:114], v[65:66]
	v_cmp_neq_f64_e64 s[4:5], v[115:116], v[67:68]
	s_or_b64 s[12:13], vcc, s[4:5]
	s_cbranch_execnz .LBB114_152
.LBB114_151:
	v_cmp_eq_f64_e32 vcc, v[113:114], v[65:66]
	v_cmp_eq_f64_e64 s[4:5], v[115:116], v[67:68]
	s_andn2_b64 s[12:13], s[12:13], exec
	s_and_b64 s[4:5], vcc, s[4:5]
	s_and_b64 s[4:5], s[4:5], exec
	s_or_b64 s[12:13], s[12:13], s[4:5]
.LBB114_152:
	v_cndmask_b32_e64 v12, 0, 1, s[12:13]
.LBB114_153:
	s_or_b64 exec, exec, s[10:11]
	v_or_b32_e32 v15, 0xe00, v0
	v_cmp_gt_i32_e32 vcc, s33, v15
                                        ; implicit-def: $vgpr15
	s_and_saveexec_b64 s[10:11], vcc
	s_cbranch_execz .LBB114_158
; %bb.154:
	s_and_b64 vcc, exec, s[2:3]
	s_cbranch_vccnz .LBB114_226
; %bb.155:
	v_cmp_neq_f64_e32 vcc, v[117:118], v[121:122]
	v_cmp_neq_f64_e64 s[4:5], v[119:120], v[123:124]
	s_or_b64 s[12:13], vcc, s[4:5]
	s_cbranch_execnz .LBB114_157
.LBB114_156:
	v_cmp_eq_f64_e32 vcc, v[117:118], v[121:122]
	v_cmp_eq_f64_e64 s[4:5], v[119:120], v[123:124]
	s_andn2_b64 s[12:13], s[12:13], exec
	s_and_b64 s[4:5], vcc, s[4:5]
	s_and_b64 s[4:5], s[4:5], exec
	s_or_b64 s[12:13], s[12:13], s[4:5]
.LBB114_157:
	v_cndmask_b32_e64 v15, 0, 1, s[12:13]
.LBB114_158:
	s_or_b64 exec, exec, s[10:11]
	v_or_b32_e32 v16, 0xf00, v0
	v_cmp_gt_i32_e32 vcc, s33, v16
                                        ; implicit-def: $vgpr16
	s_and_saveexec_b64 s[4:5], vcc
	s_cbranch_execz .LBB114_163
; %bb.159:
	s_and_b64 vcc, exec, s[2:3]
	s_cbranch_vccnz .LBB114_227
; %bb.160:
	v_cmp_neq_f64_e32 vcc, v[125:126], v[81:82]
	v_cmp_neq_f64_e64 s[2:3], v[127:128], v[83:84]
	s_or_b64 s[10:11], vcc, s[2:3]
	s_cbranch_execnz .LBB114_162
.LBB114_161:
	v_cmp_eq_f64_e32 vcc, v[125:126], v[81:82]
	v_cmp_eq_f64_e64 s[2:3], v[127:128], v[83:84]
	s_andn2_b64 s[10:11], s[10:11], exec
	s_and_b64 s[2:3], vcc, s[2:3]
	s_and_b64 s[2:3], s[2:3], exec
	s_or_b64 s[10:11], s[10:11], s[2:3]
.LBB114_162:
	v_cndmask_b32_e64 v16, 0, 1, s[10:11]
.LBB114_163:
	s_or_b64 exec, exec, s[4:5]
	s_and_saveexec_b64 s[2:3], s[0:1]
	s_xor_b64 s[0:1], exec, s[2:3]
	s_cbranch_execz .LBB114_165
; %bb.164:
	v_mov_b32_e32 v0, v13
	global_store_byte v129, v130, s[8:9]
.LBB114_165:
	s_or_b64 exec, exec, s[0:1]
	v_cmp_gt_i32_e32 vcc, s33, v0
	s_and_saveexec_b64 s[0:1], vcc
	s_cbranch_execnz .LBB114_181
; %bb.166:
	s_or_b64 exec, exec, s[0:1]
	v_cmp_gt_i32_e32 vcc, s33, v0
	s_and_saveexec_b64 s[0:1], vcc
	s_cbranch_execnz .LBB114_182
.LBB114_167:
	s_or_b64 exec, exec, s[0:1]
	v_cmp_gt_i32_e32 vcc, s33, v0
	s_and_saveexec_b64 s[0:1], vcc
	s_cbranch_execnz .LBB114_183
.LBB114_168:
	s_or_b64 exec, exec, s[0:1]
	v_cmp_gt_i32_e32 vcc, s33, v0
	s_and_saveexec_b64 s[0:1], vcc
	s_cbranch_execnz .LBB114_184
.LBB114_169:
	s_or_b64 exec, exec, s[0:1]
	v_cmp_gt_i32_e32 vcc, s33, v0
	s_and_saveexec_b64 s[0:1], vcc
	s_cbranch_execnz .LBB114_185
.LBB114_170:
	s_or_b64 exec, exec, s[0:1]
	v_cmp_gt_i32_e32 vcc, s33, v0
	s_and_saveexec_b64 s[0:1], vcc
	s_cbranch_execnz .LBB114_186
.LBB114_171:
	s_or_b64 exec, exec, s[0:1]
	v_cmp_gt_i32_e32 vcc, s33, v0
	s_and_saveexec_b64 s[0:1], vcc
	s_cbranch_execnz .LBB114_187
.LBB114_172:
	s_or_b64 exec, exec, s[0:1]
	v_cmp_gt_i32_e32 vcc, s33, v0
	s_and_saveexec_b64 s[0:1], vcc
	s_cbranch_execnz .LBB114_188
.LBB114_173:
	s_or_b64 exec, exec, s[0:1]
	v_cmp_gt_i32_e32 vcc, s33, v0
	s_and_saveexec_b64 s[0:1], vcc
	s_cbranch_execnz .LBB114_189
.LBB114_174:
	s_or_b64 exec, exec, s[0:1]
	v_cmp_gt_i32_e32 vcc, s33, v0
	s_and_saveexec_b64 s[0:1], vcc
	s_cbranch_execnz .LBB114_190
.LBB114_175:
	s_or_b64 exec, exec, s[0:1]
	v_cmp_gt_i32_e32 vcc, s33, v0
	s_and_saveexec_b64 s[0:1], vcc
	s_cbranch_execnz .LBB114_191
.LBB114_176:
	s_or_b64 exec, exec, s[0:1]
	v_cmp_gt_i32_e32 vcc, s33, v0
	s_and_saveexec_b64 s[0:1], vcc
	s_cbranch_execnz .LBB114_192
.LBB114_177:
	s_or_b64 exec, exec, s[0:1]
	v_cmp_gt_i32_e32 vcc, s33, v0
	s_and_saveexec_b64 s[0:1], vcc
	s_cbranch_execnz .LBB114_193
.LBB114_178:
	s_or_b64 exec, exec, s[0:1]
	v_cmp_gt_i32_e32 vcc, s33, v0
	s_and_saveexec_b64 s[0:1], vcc
	s_cbranch_execnz .LBB114_194
.LBB114_179:
	s_or_b64 exec, exec, s[0:1]
	v_cmp_gt_i32_e32 vcc, s33, v0
	s_and_saveexec_b64 s[0:1], vcc
	s_cbranch_execz .LBB114_195
.LBB114_180:
	v_add_u32_e32 v0, s6, v0
	global_store_byte v0, v16, s[8:9]
	s_endpgm
.LBB114_181:
	v_add_u32_e32 v13, s6, v0
	v_add_u32_e32 v0, 0x100, v0
	global_store_byte v13, v14, s[8:9]
	s_or_b64 exec, exec, s[0:1]
	v_cmp_gt_i32_e32 vcc, s33, v0
	s_and_saveexec_b64 s[0:1], vcc
	s_cbranch_execz .LBB114_167
.LBB114_182:
	v_add_u32_e32 v13, s6, v0
	v_add_u32_e32 v0, 0x100, v0
	global_store_byte v13, v1, s[8:9]
	s_or_b64 exec, exec, s[0:1]
	v_cmp_gt_i32_e32 vcc, s33, v0
	s_and_saveexec_b64 s[0:1], vcc
	s_cbranch_execz .LBB114_168
.LBB114_183:
	v_add_u32_e32 v1, s6, v0
	v_add_u32_e32 v0, 0x100, v0
	global_store_byte v1, v2, s[8:9]
	s_or_b64 exec, exec, s[0:1]
	v_cmp_gt_i32_e32 vcc, s33, v0
	s_and_saveexec_b64 s[0:1], vcc
	s_cbranch_execz .LBB114_169
.LBB114_184:
	v_add_u32_e32 v1, s6, v0
	v_add_u32_e32 v0, 0x100, v0
	global_store_byte v1, v3, s[8:9]
	s_or_b64 exec, exec, s[0:1]
	v_cmp_gt_i32_e32 vcc, s33, v0
	s_and_saveexec_b64 s[0:1], vcc
	s_cbranch_execz .LBB114_170
.LBB114_185:
	v_add_u32_e32 v1, s6, v0
	v_add_u32_e32 v0, 0x100, v0
	global_store_byte v1, v4, s[8:9]
	s_or_b64 exec, exec, s[0:1]
	v_cmp_gt_i32_e32 vcc, s33, v0
	s_and_saveexec_b64 s[0:1], vcc
	s_cbranch_execz .LBB114_171
.LBB114_186:
	v_add_u32_e32 v1, s6, v0
	v_add_u32_e32 v0, 0x100, v0
	global_store_byte v1, v5, s[8:9]
	s_or_b64 exec, exec, s[0:1]
	v_cmp_gt_i32_e32 vcc, s33, v0
	s_and_saveexec_b64 s[0:1], vcc
	s_cbranch_execz .LBB114_172
.LBB114_187:
	v_add_u32_e32 v1, s6, v0
	v_add_u32_e32 v0, 0x100, v0
	global_store_byte v1, v6, s[8:9]
	s_or_b64 exec, exec, s[0:1]
	v_cmp_gt_i32_e32 vcc, s33, v0
	s_and_saveexec_b64 s[0:1], vcc
	s_cbranch_execz .LBB114_173
.LBB114_188:
	v_add_u32_e32 v1, s6, v0
	v_add_u32_e32 v0, 0x100, v0
	global_store_byte v1, v7, s[8:9]
	s_or_b64 exec, exec, s[0:1]
	v_cmp_gt_i32_e32 vcc, s33, v0
	s_and_saveexec_b64 s[0:1], vcc
	s_cbranch_execz .LBB114_174
.LBB114_189:
	v_add_u32_e32 v1, s6, v0
	v_add_u32_e32 v0, 0x100, v0
	global_store_byte v1, v8, s[8:9]
	s_or_b64 exec, exec, s[0:1]
	v_cmp_gt_i32_e32 vcc, s33, v0
	s_and_saveexec_b64 s[0:1], vcc
	s_cbranch_execz .LBB114_175
.LBB114_190:
	v_add_u32_e32 v1, s6, v0
	v_add_u32_e32 v0, 0x100, v0
	global_store_byte v1, v9, s[8:9]
	s_or_b64 exec, exec, s[0:1]
	v_cmp_gt_i32_e32 vcc, s33, v0
	s_and_saveexec_b64 s[0:1], vcc
	s_cbranch_execz .LBB114_176
.LBB114_191:
	v_add_u32_e32 v1, s6, v0
	v_add_u32_e32 v0, 0x100, v0
	global_store_byte v1, v10, s[8:9]
	s_or_b64 exec, exec, s[0:1]
	v_cmp_gt_i32_e32 vcc, s33, v0
	s_and_saveexec_b64 s[0:1], vcc
	s_cbranch_execz .LBB114_177
.LBB114_192:
	v_add_u32_e32 v1, s6, v0
	v_add_u32_e32 v0, 0x100, v0
	global_store_byte v1, v11, s[8:9]
	s_or_b64 exec, exec, s[0:1]
	v_cmp_gt_i32_e32 vcc, s33, v0
	s_and_saveexec_b64 s[0:1], vcc
	s_cbranch_execz .LBB114_178
.LBB114_193:
	v_add_u32_e32 v1, s6, v0
	v_add_u32_e32 v0, 0x100, v0
	global_store_byte v1, v12, s[8:9]
	s_or_b64 exec, exec, s[0:1]
	v_cmp_gt_i32_e32 vcc, s33, v0
	s_and_saveexec_b64 s[0:1], vcc
	s_cbranch_execz .LBB114_179
.LBB114_194:
	v_add_u32_e32 v1, s6, v0
	v_add_u32_e32 v0, 0x100, v0
	global_store_byte v1, v15, s[8:9]
	s_or_b64 exec, exec, s[0:1]
	v_cmp_gt_i32_e32 vcc, s33, v0
	s_and_saveexec_b64 s[0:1], vcc
	s_cbranch_execnz .LBB114_180
.LBB114_195:
	s_endpgm
.LBB114_196:
                                        ; implicit-def: $sgpr4_sgpr5
	s_branch .LBB114_3
.LBB114_197:
                                        ; implicit-def: $sgpr16_sgpr17
	s_branch .LBB114_6
.LBB114_198:
                                        ; implicit-def: $sgpr18_sgpr19
	s_branch .LBB114_9
.LBB114_199:
                                        ; implicit-def: $sgpr20_sgpr21
	s_branch .LBB114_12
.LBB114_200:
                                        ; implicit-def: $sgpr22_sgpr23
	s_branch .LBB114_15
.LBB114_201:
                                        ; implicit-def: $sgpr24_sgpr25
	s_branch .LBB114_18
.LBB114_202:
                                        ; implicit-def: $sgpr26_sgpr27
	s_branch .LBB114_21
.LBB114_203:
                                        ; implicit-def: $sgpr28_sgpr29
	s_branch .LBB114_24
.LBB114_204:
                                        ; implicit-def: $sgpr30_sgpr31
	s_branch .LBB114_27
.LBB114_205:
                                        ; implicit-def: $sgpr34_sgpr35
	s_branch .LBB114_30
.LBB114_206:
                                        ; implicit-def: $sgpr36_sgpr37
	s_branch .LBB114_33
.LBB114_207:
                                        ; implicit-def: $sgpr38_sgpr39
	s_branch .LBB114_36
.LBB114_208:
                                        ; implicit-def: $sgpr40_sgpr41
	s_branch .LBB114_39
.LBB114_209:
                                        ; implicit-def: $sgpr42_sgpr43
	s_branch .LBB114_42
.LBB114_210:
                                        ; implicit-def: $sgpr44_sgpr45
	s_branch .LBB114_45
.LBB114_211:
                                        ; implicit-def: $sgpr2_sgpr3
	s_branch .LBB114_48
.LBB114_212:
                                        ; implicit-def: $sgpr12_sgpr13
	s_branch .LBB114_86
.LBB114_213:
                                        ; implicit-def: $sgpr12_sgpr13
	s_branch .LBB114_91
.LBB114_214:
                                        ; implicit-def: $sgpr12_sgpr13
	s_branch .LBB114_96
.LBB114_215:
                                        ; implicit-def: $sgpr12_sgpr13
	s_branch .LBB114_101
.LBB114_216:
                                        ; implicit-def: $sgpr12_sgpr13
	s_branch .LBB114_106
.LBB114_217:
                                        ; implicit-def: $sgpr12_sgpr13
	s_branch .LBB114_111
.LBB114_218:
                                        ; implicit-def: $sgpr12_sgpr13
	s_branch .LBB114_116
.LBB114_219:
                                        ; implicit-def: $sgpr12_sgpr13
	s_branch .LBB114_121
.LBB114_220:
                                        ; implicit-def: $sgpr12_sgpr13
	s_branch .LBB114_126
.LBB114_221:
                                        ; implicit-def: $sgpr12_sgpr13
	s_branch .LBB114_131
.LBB114_222:
                                        ; implicit-def: $sgpr12_sgpr13
	s_branch .LBB114_136
.LBB114_223:
                                        ; implicit-def: $sgpr12_sgpr13
	s_branch .LBB114_141
.LBB114_224:
                                        ; implicit-def: $sgpr12_sgpr13
	s_branch .LBB114_146
.LBB114_225:
                                        ; implicit-def: $sgpr12_sgpr13
	s_branch .LBB114_151
.LBB114_226:
                                        ; implicit-def: $sgpr12_sgpr13
	s_branch .LBB114_156
.LBB114_227:
                                        ; implicit-def: $sgpr10_sgpr11
	s_branch .LBB114_161
	.section	.rodata,"a",@progbits
	.p2align	6, 0x0
	.amdhsa_kernel _ZN2at6native29vectorized_elementwise_kernelILi4ENS0_13BinaryFunctorIN3c107complexIdEES5_bNS0_12_GLOBAL__N_116CompareEqFunctorIS5_EEEESt5arrayIPcLm3EEEEviT0_T1_
		.amdhsa_group_segment_fixed_size 0
		.amdhsa_private_segment_fixed_size 0
		.amdhsa_kernarg_size 32
		.amdhsa_user_sgpr_count 6
		.amdhsa_user_sgpr_private_segment_buffer 1
		.amdhsa_user_sgpr_dispatch_ptr 0
		.amdhsa_user_sgpr_queue_ptr 0
		.amdhsa_user_sgpr_kernarg_segment_ptr 1
		.amdhsa_user_sgpr_dispatch_id 0
		.amdhsa_user_sgpr_flat_scratch_init 0
		.amdhsa_user_sgpr_private_segment_size 0
		.amdhsa_uses_dynamic_stack 0
		.amdhsa_system_sgpr_private_segment_wavefront_offset 0
		.amdhsa_system_sgpr_workgroup_id_x 1
		.amdhsa_system_sgpr_workgroup_id_y 0
		.amdhsa_system_sgpr_workgroup_id_z 0
		.amdhsa_system_sgpr_workgroup_info 0
		.amdhsa_system_vgpr_workitem_id 0
		.amdhsa_next_free_vgpr 131
		.amdhsa_next_free_sgpr 46
		.amdhsa_reserve_vcc 1
		.amdhsa_reserve_flat_scratch 0
		.amdhsa_float_round_mode_32 0
		.amdhsa_float_round_mode_16_64 0
		.amdhsa_float_denorm_mode_32 3
		.amdhsa_float_denorm_mode_16_64 3
		.amdhsa_dx10_clamp 1
		.amdhsa_ieee_mode 1
		.amdhsa_fp16_overflow 0
		.amdhsa_exception_fp_ieee_invalid_op 0
		.amdhsa_exception_fp_denorm_src 0
		.amdhsa_exception_fp_ieee_div_zero 0
		.amdhsa_exception_fp_ieee_overflow 0
		.amdhsa_exception_fp_ieee_underflow 0
		.amdhsa_exception_fp_ieee_inexact 0
		.amdhsa_exception_int_div_zero 0
	.end_amdhsa_kernel
	.section	.text._ZN2at6native29vectorized_elementwise_kernelILi4ENS0_13BinaryFunctorIN3c107complexIdEES5_bNS0_12_GLOBAL__N_116CompareEqFunctorIS5_EEEESt5arrayIPcLm3EEEEviT0_T1_,"axG",@progbits,_ZN2at6native29vectorized_elementwise_kernelILi4ENS0_13BinaryFunctorIN3c107complexIdEES5_bNS0_12_GLOBAL__N_116CompareEqFunctorIS5_EEEESt5arrayIPcLm3EEEEviT0_T1_,comdat
.Lfunc_end114:
	.size	_ZN2at6native29vectorized_elementwise_kernelILi4ENS0_13BinaryFunctorIN3c107complexIdEES5_bNS0_12_GLOBAL__N_116CompareEqFunctorIS5_EEEESt5arrayIPcLm3EEEEviT0_T1_, .Lfunc_end114-_ZN2at6native29vectorized_elementwise_kernelILi4ENS0_13BinaryFunctorIN3c107complexIdEES5_bNS0_12_GLOBAL__N_116CompareEqFunctorIS5_EEEESt5arrayIPcLm3EEEEviT0_T1_
                                        ; -- End function
	.set _ZN2at6native29vectorized_elementwise_kernelILi4ENS0_13BinaryFunctorIN3c107complexIdEES5_bNS0_12_GLOBAL__N_116CompareEqFunctorIS5_EEEESt5arrayIPcLm3EEEEviT0_T1_.num_vgpr, 131
	.set _ZN2at6native29vectorized_elementwise_kernelILi4ENS0_13BinaryFunctorIN3c107complexIdEES5_bNS0_12_GLOBAL__N_116CompareEqFunctorIS5_EEEESt5arrayIPcLm3EEEEviT0_T1_.num_agpr, 0
	.set _ZN2at6native29vectorized_elementwise_kernelILi4ENS0_13BinaryFunctorIN3c107complexIdEES5_bNS0_12_GLOBAL__N_116CompareEqFunctorIS5_EEEESt5arrayIPcLm3EEEEviT0_T1_.numbered_sgpr, 46
	.set _ZN2at6native29vectorized_elementwise_kernelILi4ENS0_13BinaryFunctorIN3c107complexIdEES5_bNS0_12_GLOBAL__N_116CompareEqFunctorIS5_EEEESt5arrayIPcLm3EEEEviT0_T1_.num_named_barrier, 0
	.set _ZN2at6native29vectorized_elementwise_kernelILi4ENS0_13BinaryFunctorIN3c107complexIdEES5_bNS0_12_GLOBAL__N_116CompareEqFunctorIS5_EEEESt5arrayIPcLm3EEEEviT0_T1_.private_seg_size, 0
	.set _ZN2at6native29vectorized_elementwise_kernelILi4ENS0_13BinaryFunctorIN3c107complexIdEES5_bNS0_12_GLOBAL__N_116CompareEqFunctorIS5_EEEESt5arrayIPcLm3EEEEviT0_T1_.uses_vcc, 1
	.set _ZN2at6native29vectorized_elementwise_kernelILi4ENS0_13BinaryFunctorIN3c107complexIdEES5_bNS0_12_GLOBAL__N_116CompareEqFunctorIS5_EEEESt5arrayIPcLm3EEEEviT0_T1_.uses_flat_scratch, 0
	.set _ZN2at6native29vectorized_elementwise_kernelILi4ENS0_13BinaryFunctorIN3c107complexIdEES5_bNS0_12_GLOBAL__N_116CompareEqFunctorIS5_EEEESt5arrayIPcLm3EEEEviT0_T1_.has_dyn_sized_stack, 0
	.set _ZN2at6native29vectorized_elementwise_kernelILi4ENS0_13BinaryFunctorIN3c107complexIdEES5_bNS0_12_GLOBAL__N_116CompareEqFunctorIS5_EEEESt5arrayIPcLm3EEEEviT0_T1_.has_recursion, 0
	.set _ZN2at6native29vectorized_elementwise_kernelILi4ENS0_13BinaryFunctorIN3c107complexIdEES5_bNS0_12_GLOBAL__N_116CompareEqFunctorIS5_EEEESt5arrayIPcLm3EEEEviT0_T1_.has_indirect_call, 0
	.section	.AMDGPU.csdata,"",@progbits
; Kernel info:
; codeLenInByte = 5936
; TotalNumSgprs: 50
; NumVgprs: 131
; ScratchSize: 0
; MemoryBound: 1
; FloatMode: 240
; IeeeMode: 1
; LDSByteSize: 0 bytes/workgroup (compile time only)
; SGPRBlocks: 6
; VGPRBlocks: 32
; NumSGPRsForWavesPerEU: 50
; NumVGPRsForWavesPerEU: 131
; Occupancy: 1
; WaveLimiterHint : 1
; COMPUTE_PGM_RSRC2:SCRATCH_EN: 0
; COMPUTE_PGM_RSRC2:USER_SGPR: 6
; COMPUTE_PGM_RSRC2:TRAP_HANDLER: 0
; COMPUTE_PGM_RSRC2:TGID_X_EN: 1
; COMPUTE_PGM_RSRC2:TGID_Y_EN: 0
; COMPUTE_PGM_RSRC2:TGID_Z_EN: 0
; COMPUTE_PGM_RSRC2:TIDIG_COMP_CNT: 0
	.section	.text._ZN2at6native29vectorized_elementwise_kernelILi2ENS0_13BinaryFunctorIN3c107complexIdEES5_bNS0_12_GLOBAL__N_116CompareEqFunctorIS5_EEEESt5arrayIPcLm3EEEEviT0_T1_,"axG",@progbits,_ZN2at6native29vectorized_elementwise_kernelILi2ENS0_13BinaryFunctorIN3c107complexIdEES5_bNS0_12_GLOBAL__N_116CompareEqFunctorIS5_EEEESt5arrayIPcLm3EEEEviT0_T1_,comdat
	.globl	_ZN2at6native29vectorized_elementwise_kernelILi2ENS0_13BinaryFunctorIN3c107complexIdEES5_bNS0_12_GLOBAL__N_116CompareEqFunctorIS5_EEEESt5arrayIPcLm3EEEEviT0_T1_ ; -- Begin function _ZN2at6native29vectorized_elementwise_kernelILi2ENS0_13BinaryFunctorIN3c107complexIdEES5_bNS0_12_GLOBAL__N_116CompareEqFunctorIS5_EEEESt5arrayIPcLm3EEEEviT0_T1_
	.p2align	8
	.type	_ZN2at6native29vectorized_elementwise_kernelILi2ENS0_13BinaryFunctorIN3c107complexIdEES5_bNS0_12_GLOBAL__N_116CompareEqFunctorIS5_EEEESt5arrayIPcLm3EEEEviT0_T1_,@function
_ZN2at6native29vectorized_elementwise_kernelILi2ENS0_13BinaryFunctorIN3c107complexIdEES5_bNS0_12_GLOBAL__N_116CompareEqFunctorIS5_EEEESt5arrayIPcLm3EEEEviT0_T1_: ; @_ZN2at6native29vectorized_elementwise_kernelILi2ENS0_13BinaryFunctorIN3c107complexIdEES5_bNS0_12_GLOBAL__N_116CompareEqFunctorIS5_EEEESt5arrayIPcLm3EEEEviT0_T1_
; %bb.0:
	s_load_dwordx2 s[12:13], s[4:5], 0x0
	s_load_dwordx4 s[8:11], s[4:5], 0x8
	s_load_dwordx2 s[14:15], s[4:5], 0x18
	s_lshl_b32 s6, s6, 12
	s_mov_b64 s[0:1], -1
	s_waitcnt lgkmcnt(0)
	s_sub_i32 s33, s12, s6
	s_cmpk_gt_i32 s33, 0xfff
	s_cbranch_scc0 .LBB115_50
; %bb.1:
	s_ashr_i32 s7, s6, 31
	s_lshl_b64 s[0:1], s[6:7], 4
	s_add_u32 s2, s10, s0
	s_addc_u32 s3, s11, s1
	v_lshlrev_b32_e32 v11, 5, v0
	v_mov_b32_e32 v1, s3
	v_add_co_u32_e32 v3, vcc, s2, v11
	v_addc_co_u32_e32 v4, vcc, 0, v1, vcc
	global_load_dwordx4 v[105:108], v11, s[2:3] offset:16
	global_load_dwordx4 v[113:116], v11, s[2:3]
	s_movk_i32 s2, 0x2000
	v_add_co_u32_e32 v1, vcc, s2, v3
	v_addc_co_u32_e32 v2, vcc, 0, v4, vcc
	s_movk_i32 s3, 0x4000
	global_load_dwordx4 v[97:100], v[1:2], off
	global_load_dwordx4 v[89:92], v[1:2], off offset:16
	v_add_co_u32_e32 v1, vcc, s3, v3
	v_addc_co_u32_e32 v2, vcc, 0, v4, vcc
	s_movk_i32 s4, 0x6000
	global_load_dwordx4 v[85:88], v[1:2], off
	global_load_dwordx4 v[77:80], v[1:2], off offset:16
	v_add_co_u32_e32 v1, vcc, s4, v3
	v_addc_co_u32_e32 v2, vcc, 0, v4, vcc
	s_mov_b32 s5, 0x8000
	global_load_dwordx4 v[69:72], v[1:2], off
	global_load_dwordx4 v[61:64], v[1:2], off offset:16
	v_add_co_u32_e32 v1, vcc, s5, v3
	v_addc_co_u32_e32 v2, vcc, 0, v4, vcc
	s_mov_b32 s12, 0xa000
	;; [unrolled: 5-line block ×4, first 2 shown]
	v_add_co_u32_e32 v9, vcc, s17, v3
	s_add_u32 s0, s14, s0
	v_addc_co_u32_e32 v10, vcc, 0, v4, vcc
	s_addc_u32 s1, s15, s1
	global_load_dwordx4 v[21:24], v[1:2], off
	global_load_dwordx4 v[13:16], v[1:2], off offset:16
	global_load_dwordx4 v[5:8], v[9:10], off
	s_nop 0
	global_load_dwordx4 v[1:4], v[9:10], off offset:16
	v_mov_b32_e32 v9, s1
	v_add_co_u32_e32 v12, vcc, s0, v11
	v_addc_co_u32_e32 v17, vcc, 0, v9, vcc
	v_add_co_u32_e32 v9, vcc, s2, v12
	v_addc_co_u32_e32 v10, vcc, 0, v17, vcc
	global_load_dwordx4 v[121:124], v11, s[0:1] offset:16
	global_load_dwordx4 v[125:128], v11, s[0:1]
	global_load_dwordx4 v[117:120], v[9:10], off
	global_load_dwordx4 v[109:112], v[9:10], off offset:16
	v_add_co_u32_e32 v9, vcc, s3, v12
	v_addc_co_u32_e32 v10, vcc, 0, v17, vcc
	global_load_dwordx4 v[101:104], v[9:10], off
	global_load_dwordx4 v[93:96], v[9:10], off offset:16
	v_add_co_u32_e32 v9, vcc, s4, v12
	v_addc_co_u32_e32 v10, vcc, 0, v17, vcc
	;; [unrolled: 4-line block ×5, first 2 shown]
	global_load_dwordx4 v[33:36], v[9:10], off
	global_load_dwordx4 v[25:28], v[9:10], off offset:16
	v_add_co_u32_e32 v9, vcc, 0xe000, v12
	v_addc_co_u32_e64 v10, s[0:1], 0, v17, vcc
	v_addc_co_u32_e32 v12, vcc, 0, v17, vcc
	v_mov_b32_e32 v11, v9
	global_load_dwordx4 v[17:20], v[11:12], off
	s_nop 0
	global_load_dwordx4 v[9:12], v[9:10], off offset:16
	s_cmp_lg_u32 s13, 0
	s_cselect_b64 s[2:3], -1, 0
	s_and_b64 vcc, exec, s[2:3]
	s_cbranch_vccz .LBB115_196
; %bb.2:
	s_waitcnt vmcnt(14)
	v_cmp_neq_f64_e32 vcc, v[113:114], v[125:126]
	v_cmp_neq_f64_e64 s[0:1], v[115:116], v[127:128]
	s_or_b64 s[4:5], vcc, s[0:1]
	s_cbranch_execnz .LBB115_4
.LBB115_3:
	s_waitcnt vmcnt(14)
	v_cmp_eq_f64_e32 vcc, v[113:114], v[125:126]
	v_cmp_eq_f64_e64 s[0:1], v[115:116], v[127:128]
	s_andn2_b64 s[4:5], s[4:5], exec
	s_and_b64 s[0:1], vcc, s[0:1]
	s_and_b64 s[0:1], s[0:1], exec
	s_or_b64 s[4:5], s[4:5], s[0:1]
.LBB115_4:
	s_waitcnt vmcnt(30)
	v_cndmask_b32_e64 v113, 0, 1, s[2:3]
	v_cmp_ne_u32_e64 s[0:1], 1, v113
	s_andn2_b64 vcc, exec, s[2:3]
	s_cbranch_vccnz .LBB115_197
; %bb.5:
	s_waitcnt vmcnt(15)
	v_cmp_neq_f64_e32 vcc, v[105:106], v[121:122]
	v_cmp_neq_f64_e64 s[2:3], v[107:108], v[123:124]
	s_or_b64 s[16:17], vcc, s[2:3]
	s_cbranch_execnz .LBB115_7
.LBB115_6:
	s_waitcnt vmcnt(15)
	v_cmp_eq_f64_e32 vcc, v[105:106], v[121:122]
	v_cmp_eq_f64_e64 s[2:3], v[107:108], v[123:124]
	s_andn2_b64 s[16:17], s[16:17], exec
	s_and_b64 s[2:3], vcc, s[2:3]
	s_and_b64 s[2:3], s[2:3], exec
	s_or_b64 s[16:17], s[16:17], s[2:3]
.LBB115_7:
	s_and_b64 vcc, exec, s[0:1]
	s_cbranch_vccnz .LBB115_198
; %bb.8:
	s_waitcnt vmcnt(13)
	v_cmp_neq_f64_e32 vcc, v[97:98], v[117:118]
	v_cmp_neq_f64_e64 s[2:3], v[99:100], v[119:120]
	s_or_b64 s[18:19], vcc, s[2:3]
	s_cbranch_execnz .LBB115_10
.LBB115_9:
	s_waitcnt vmcnt(13)
	v_cmp_eq_f64_e32 vcc, v[97:98], v[117:118]
	v_cmp_eq_f64_e64 s[2:3], v[99:100], v[119:120]
	s_andn2_b64 s[18:19], s[18:19], exec
	s_and_b64 s[2:3], vcc, s[2:3]
	s_and_b64 s[2:3], s[2:3], exec
	s_or_b64 s[18:19], s[18:19], s[2:3]
.LBB115_10:
	s_and_b64 vcc, exec, s[0:1]
	s_cbranch_vccnz .LBB115_199
; %bb.11:
	s_waitcnt vmcnt(12)
	v_cmp_neq_f64_e32 vcc, v[89:90], v[109:110]
	v_cmp_neq_f64_e64 s[2:3], v[91:92], v[111:112]
	s_or_b64 s[20:21], vcc, s[2:3]
	s_cbranch_execnz .LBB115_13
.LBB115_12:
	s_waitcnt vmcnt(12)
	v_cmp_eq_f64_e32 vcc, v[89:90], v[109:110]
	v_cmp_eq_f64_e64 s[2:3], v[91:92], v[111:112]
	s_andn2_b64 s[20:21], s[20:21], exec
	s_and_b64 s[2:3], vcc, s[2:3]
	s_and_b64 s[2:3], s[2:3], exec
	s_or_b64 s[20:21], s[20:21], s[2:3]
.LBB115_13:
	s_and_b64 vcc, exec, s[0:1]
	s_cbranch_vccnz .LBB115_200
; %bb.14:
	s_waitcnt vmcnt(11)
	v_cmp_neq_f64_e32 vcc, v[85:86], v[101:102]
	v_cmp_neq_f64_e64 s[2:3], v[87:88], v[103:104]
	s_or_b64 s[22:23], vcc, s[2:3]
	s_cbranch_execnz .LBB115_16
.LBB115_15:
	s_waitcnt vmcnt(11)
	v_cmp_eq_f64_e32 vcc, v[85:86], v[101:102]
	v_cmp_eq_f64_e64 s[2:3], v[87:88], v[103:104]
	s_andn2_b64 s[22:23], s[22:23], exec
	s_and_b64 s[2:3], vcc, s[2:3]
	s_and_b64 s[2:3], s[2:3], exec
	s_or_b64 s[22:23], s[22:23], s[2:3]
.LBB115_16:
	s_and_b64 vcc, exec, s[0:1]
	s_cbranch_vccnz .LBB115_201
; %bb.17:
	s_waitcnt vmcnt(10)
	v_cmp_neq_f64_e32 vcc, v[77:78], v[93:94]
	v_cmp_neq_f64_e64 s[2:3], v[79:80], v[95:96]
	s_or_b64 s[24:25], vcc, s[2:3]
	s_cbranch_execnz .LBB115_19
.LBB115_18:
	s_waitcnt vmcnt(10)
	v_cmp_eq_f64_e32 vcc, v[77:78], v[93:94]
	v_cmp_eq_f64_e64 s[2:3], v[79:80], v[95:96]
	s_andn2_b64 s[24:25], s[24:25], exec
	s_and_b64 s[2:3], vcc, s[2:3]
	s_and_b64 s[2:3], s[2:3], exec
	s_or_b64 s[24:25], s[24:25], s[2:3]
.LBB115_19:
	s_and_b64 vcc, exec, s[0:1]
	s_cbranch_vccnz .LBB115_202
; %bb.20:
	s_waitcnt vmcnt(9)
	v_cmp_neq_f64_e32 vcc, v[69:70], v[81:82]
	v_cmp_neq_f64_e64 s[2:3], v[71:72], v[83:84]
	s_or_b64 s[26:27], vcc, s[2:3]
	s_cbranch_execnz .LBB115_22
.LBB115_21:
	s_waitcnt vmcnt(9)
	v_cmp_eq_f64_e32 vcc, v[69:70], v[81:82]
	v_cmp_eq_f64_e64 s[2:3], v[71:72], v[83:84]
	s_andn2_b64 s[26:27], s[26:27], exec
	s_and_b64 s[2:3], vcc, s[2:3]
	s_and_b64 s[2:3], s[2:3], exec
	s_or_b64 s[26:27], s[26:27], s[2:3]
.LBB115_22:
	s_and_b64 vcc, exec, s[0:1]
	s_cbranch_vccnz .LBB115_203
; %bb.23:
	s_waitcnt vmcnt(8)
	v_cmp_neq_f64_e32 vcc, v[61:62], v[73:74]
	v_cmp_neq_f64_e64 s[2:3], v[63:64], v[75:76]
	s_or_b64 s[28:29], vcc, s[2:3]
	s_cbranch_execnz .LBB115_25
.LBB115_24:
	s_waitcnt vmcnt(8)
	v_cmp_eq_f64_e32 vcc, v[61:62], v[73:74]
	v_cmp_eq_f64_e64 s[2:3], v[63:64], v[75:76]
	s_andn2_b64 s[28:29], s[28:29], exec
	s_and_b64 s[2:3], vcc, s[2:3]
	s_and_b64 s[2:3], s[2:3], exec
	s_or_b64 s[28:29], s[28:29], s[2:3]
.LBB115_25:
	s_and_b64 vcc, exec, s[0:1]
	s_cbranch_vccnz .LBB115_204
; %bb.26:
	s_waitcnt vmcnt(7)
	v_cmp_neq_f64_e32 vcc, v[53:54], v[65:66]
	v_cmp_neq_f64_e64 s[2:3], v[55:56], v[67:68]
	s_or_b64 s[30:31], vcc, s[2:3]
	s_cbranch_execnz .LBB115_28
.LBB115_27:
	s_waitcnt vmcnt(7)
	v_cmp_eq_f64_e32 vcc, v[53:54], v[65:66]
	v_cmp_eq_f64_e64 s[2:3], v[55:56], v[67:68]
	s_andn2_b64 s[30:31], s[30:31], exec
	s_and_b64 s[2:3], vcc, s[2:3]
	s_and_b64 s[2:3], s[2:3], exec
	s_or_b64 s[30:31], s[30:31], s[2:3]
.LBB115_28:
	s_and_b64 vcc, exec, s[0:1]
	s_cbranch_vccnz .LBB115_205
; %bb.29:
	s_waitcnt vmcnt(6)
	v_cmp_neq_f64_e32 vcc, v[45:46], v[57:58]
	v_cmp_neq_f64_e64 s[2:3], v[47:48], v[59:60]
	s_or_b64 s[34:35], vcc, s[2:3]
	s_cbranch_execnz .LBB115_31
.LBB115_30:
	s_waitcnt vmcnt(6)
	v_cmp_eq_f64_e32 vcc, v[45:46], v[57:58]
	v_cmp_eq_f64_e64 s[2:3], v[47:48], v[59:60]
	s_andn2_b64 s[34:35], s[34:35], exec
	s_and_b64 s[2:3], vcc, s[2:3]
	s_and_b64 s[2:3], s[2:3], exec
	s_or_b64 s[34:35], s[34:35], s[2:3]
.LBB115_31:
	s_and_b64 vcc, exec, s[0:1]
	s_cbranch_vccnz .LBB115_206
; %bb.32:
	s_waitcnt vmcnt(5)
	v_cmp_neq_f64_e32 vcc, v[37:38], v[49:50]
	v_cmp_neq_f64_e64 s[2:3], v[39:40], v[51:52]
	s_or_b64 s[36:37], vcc, s[2:3]
	s_cbranch_execnz .LBB115_34
.LBB115_33:
	s_waitcnt vmcnt(5)
	v_cmp_eq_f64_e32 vcc, v[37:38], v[49:50]
	v_cmp_eq_f64_e64 s[2:3], v[39:40], v[51:52]
	s_andn2_b64 s[36:37], s[36:37], exec
	s_and_b64 s[2:3], vcc, s[2:3]
	s_and_b64 s[2:3], s[2:3], exec
	s_or_b64 s[36:37], s[36:37], s[2:3]
.LBB115_34:
	s_and_b64 vcc, exec, s[0:1]
	s_cbranch_vccnz .LBB115_207
; %bb.35:
	s_waitcnt vmcnt(4)
	v_cmp_neq_f64_e32 vcc, v[29:30], v[41:42]
	v_cmp_neq_f64_e64 s[2:3], v[31:32], v[43:44]
	s_or_b64 s[38:39], vcc, s[2:3]
	s_cbranch_execnz .LBB115_37
.LBB115_36:
	s_waitcnt vmcnt(4)
	v_cmp_eq_f64_e32 vcc, v[29:30], v[41:42]
	v_cmp_eq_f64_e64 s[2:3], v[31:32], v[43:44]
	s_andn2_b64 s[38:39], s[38:39], exec
	s_and_b64 s[2:3], vcc, s[2:3]
	s_and_b64 s[2:3], s[2:3], exec
	s_or_b64 s[38:39], s[38:39], s[2:3]
.LBB115_37:
	s_and_b64 vcc, exec, s[0:1]
	s_cbranch_vccnz .LBB115_208
; %bb.38:
	s_waitcnt vmcnt(3)
	v_cmp_neq_f64_e32 vcc, v[21:22], v[33:34]
	v_cmp_neq_f64_e64 s[2:3], v[23:24], v[35:36]
	s_or_b64 s[40:41], vcc, s[2:3]
	s_cbranch_execnz .LBB115_40
.LBB115_39:
	s_waitcnt vmcnt(3)
	v_cmp_eq_f64_e32 vcc, v[21:22], v[33:34]
	v_cmp_eq_f64_e64 s[2:3], v[23:24], v[35:36]
	s_andn2_b64 s[40:41], s[40:41], exec
	s_and_b64 s[2:3], vcc, s[2:3]
	s_and_b64 s[2:3], s[2:3], exec
	s_or_b64 s[40:41], s[40:41], s[2:3]
.LBB115_40:
	s_and_b64 vcc, exec, s[0:1]
	s_cbranch_vccnz .LBB115_209
; %bb.41:
	s_waitcnt vmcnt(2)
	v_cmp_neq_f64_e32 vcc, v[13:14], v[25:26]
	v_cmp_neq_f64_e64 s[2:3], v[15:16], v[27:28]
	s_or_b64 s[42:43], vcc, s[2:3]
	s_cbranch_execnz .LBB115_43
.LBB115_42:
	s_waitcnt vmcnt(2)
	v_cmp_eq_f64_e32 vcc, v[13:14], v[25:26]
	v_cmp_eq_f64_e64 s[2:3], v[15:16], v[27:28]
	s_andn2_b64 s[42:43], s[42:43], exec
	s_and_b64 s[2:3], vcc, s[2:3]
	s_and_b64 s[2:3], s[2:3], exec
	s_or_b64 s[42:43], s[42:43], s[2:3]
.LBB115_43:
	s_and_b64 vcc, exec, s[0:1]
	s_cbranch_vccnz .LBB115_210
; %bb.44:
	s_waitcnt vmcnt(1)
	v_cmp_neq_f64_e32 vcc, v[5:6], v[17:18]
	v_cmp_neq_f64_e64 s[2:3], v[7:8], v[19:20]
	s_or_b64 s[44:45], vcc, s[2:3]
	s_cbranch_execnz .LBB115_46
.LBB115_45:
	s_waitcnt vmcnt(1)
	v_cmp_eq_f64_e32 vcc, v[5:6], v[17:18]
	v_cmp_eq_f64_e64 s[2:3], v[7:8], v[19:20]
	s_andn2_b64 s[44:45], s[44:45], exec
	s_and_b64 s[2:3], vcc, s[2:3]
	s_and_b64 s[2:3], s[2:3], exec
	s_or_b64 s[44:45], s[44:45], s[2:3]
.LBB115_46:
	s_and_b64 vcc, exec, s[0:1]
	s_cbranch_vccnz .LBB115_211
; %bb.47:
	s_waitcnt vmcnt(0)
	v_cmp_neq_f64_e32 vcc, v[1:2], v[9:10]
	v_cmp_neq_f64_e64 s[0:1], v[3:4], v[11:12]
	s_or_b64 s[2:3], vcc, s[0:1]
	s_cbranch_execnz .LBB115_49
.LBB115_48:
	s_waitcnt vmcnt(0)
	v_cmp_eq_f64_e32 vcc, v[1:2], v[9:10]
	v_cmp_eq_f64_e64 s[0:1], v[3:4], v[11:12]
	s_andn2_b64 s[2:3], s[2:3], exec
	s_and_b64 s[0:1], vcc, s[0:1]
	s_and_b64 s[0:1], s[0:1], exec
	s_or_b64 s[2:3], s[2:3], s[0:1]
.LBB115_49:
	s_waitcnt vmcnt(16)
	v_mov_b32_e32 v3, 0x100
	v_cndmask_b32_e64 v2, 0, 1, s[40:41]
	v_cndmask_b32_e64 v4, 0, v3, s[42:43]
	v_or_b32_e32 v2, v4, v2
	v_cndmask_b32_e64 v4, 0, 1, s[36:37]
	v_cndmask_b32_e64 v5, 0, v3, s[38:39]
	v_or_b32_e32 v4, v5, v4
	;; [unrolled: 3-line block ×5, first 2 shown]
	v_cndmask_b32_e64 v8, 0, 1, s[18:19]
	s_waitcnt vmcnt(0)
	v_cndmask_b32_e64 v9, 0, v3, s[20:21]
	v_cndmask_b32_e64 v1, 0, 1, s[44:45]
	v_or_b32_e32 v8, v9, v8
	v_cndmask_b32_e64 v9, 0, 1, s[4:5]
	v_cndmask_b32_e64 v10, 0, v3, s[16:17]
	;; [unrolled: 1-line block ×3, first 2 shown]
	s_add_u32 s0, s8, s6
	v_or_b32_e32 v9, v10, v9
	v_or_b32_e32 v1, v3, v1
	s_addc_u32 s1, s9, s7
	v_lshlrev_b32_e32 v3, 1, v0
	global_store_short v3, v9, s[0:1]
	global_store_short v3, v8, s[0:1] offset:512
	global_store_short v3, v7, s[0:1] offset:1024
	;; [unrolled: 1-line block ×7, first 2 shown]
	s_mov_b64 s[0:1], 0
.LBB115_50:
	s_and_b64 vcc, exec, s[0:1]
	s_cbranch_vccz .LBB115_195
; %bb.51:
	v_mov_b32_e32 v1, 0
	v_mov_b32_e32 v21, 0
	;; [unrolled: 1-line block ×5, first 2 shown]
	v_cmp_gt_i32_e64 s[0:1], s33, v0
	v_mov_b32_e32 v2, 0
	v_or_b32_e32 v129, s6, v0
	v_mov_b32_e32 v22, 0
	v_mov_b32_e32 v24, 0
	;; [unrolled: 1-line block ×5, first 2 shown]
	s_and_saveexec_b64 s[2:3], s[0:1]
	s_cbranch_execz .LBB115_53
; %bb.52:
	v_mov_b32_e32 v130, 0
	v_lshlrev_b64 v[3:4], 4, v[129:130]
	v_mov_b32_e32 v6, s11
	v_add_co_u32_e32 v5, vcc, s10, v3
	v_addc_co_u32_e32 v6, vcc, v6, v4, vcc
	v_mov_b32_e32 v7, s15
	v_add_co_u32_e32 v3, vcc, s14, v3
	v_addc_co_u32_e32 v4, vcc, v7, v4, vcc
	global_load_dwordx4 v[13:16], v[5:6], off
	global_load_dwordx4 v[21:24], v[3:4], off
	v_or_b32_e32 v130, 0x100, v0
.LBB115_53:
	s_or_b64 exec, exec, s[2:3]
	v_mov_b32_e32 v3, 0
	v_mov_b32_e32 v25, 0
	v_mov_b32_e32 v27, 0
	v_mov_b32_e32 v4, 0
	v_mov_b32_e32 v26, 0
	v_mov_b32_e32 v28, 0
	v_cmp_gt_i32_e32 vcc, s33, v130
	s_and_saveexec_b64 s[2:3], vcc
	s_cbranch_execz .LBB115_55
; %bb.54:
	v_add_u32_e32 v1, s6, v130
	v_mov_b32_e32 v2, 0
	v_lshlrev_b64 v[1:2], 4, v[1:2]
	v_mov_b32_e32 v3, s11
	v_add_co_u32_e32 v5, vcc, s10, v1
	v_addc_co_u32_e32 v6, vcc, v3, v2, vcc
	v_mov_b32_e32 v3, s15
	v_add_co_u32_e32 v7, vcc, s14, v1
	v_addc_co_u32_e32 v8, vcc, v3, v2, vcc
	global_load_dwordx4 v[25:28], v[5:6], off
	global_load_dwordx4 v[1:4], v[7:8], off
	v_add_u32_e32 v130, 0x100, v130
.LBB115_55:
	s_or_b64 exec, exec, s[2:3]
	v_mov_b32_e32 v5, 0
	v_mov_b32_e32 v37, 0
	v_mov_b32_e32 v39, 0
	v_mov_b32_e32 v29, 0
	v_mov_b32_e32 v31, 0
	v_mov_b32_e32 v6, 0
	v_mov_b32_e32 v38, 0
	v_mov_b32_e32 v40, 0
	v_mov_b32_e32 v30, 0
	v_mov_b32_e32 v32, 0
	v_cmp_gt_i32_e32 vcc, s33, v130
	s_and_saveexec_b64 s[2:3], vcc
	s_cbranch_execz .LBB115_57
; %bb.56:
	v_add_u32_e32 v7, s6, v130
	v_mov_b32_e32 v8, 0
	v_lshlrev_b64 v[7:8], 4, v[7:8]
	v_mov_b32_e32 v10, s11
	v_add_co_u32_e32 v9, vcc, s10, v7
	v_addc_co_u32_e32 v10, vcc, v10, v8, vcc
	v_mov_b32_e32 v11, s15
	v_add_co_u32_e32 v7, vcc, s14, v7
	v_addc_co_u32_e32 v8, vcc, v11, v8, vcc
	global_load_dwordx4 v[29:32], v[9:10], off
	global_load_dwordx4 v[37:40], v[7:8], off
	v_add_u32_e32 v130, 0x100, v130
.LBB115_57:
	s_or_b64 exec, exec, s[2:3]
	v_mov_b32_e32 v7, 0
	v_mov_b32_e32 v41, 0
	v_mov_b32_e32 v43, 0
	v_mov_b32_e32 v8, 0
	v_mov_b32_e32 v42, 0
	v_mov_b32_e32 v44, 0
	v_cmp_gt_i32_e32 vcc, s33, v130
	s_and_saveexec_b64 s[2:3], vcc
	s_cbranch_execz .LBB115_59
; %bb.58:
	v_add_u32_e32 v5, s6, v130
	v_mov_b32_e32 v6, 0
	v_lshlrev_b64 v[5:6], 4, v[5:6]
	v_mov_b32_e32 v7, s11
	v_add_co_u32_e32 v9, vcc, s10, v5
	v_addc_co_u32_e32 v10, vcc, v7, v6, vcc
	v_mov_b32_e32 v7, s15
	v_add_co_u32_e32 v11, vcc, s14, v5
	v_addc_co_u32_e32 v12, vcc, v7, v6, vcc
	global_load_dwordx4 v[41:44], v[9:10], off
	global_load_dwordx4 v[5:8], v[11:12], off
	v_add_u32_e32 v130, 0x100, v130
.LBB115_59:
	s_or_b64 exec, exec, s[2:3]
	v_mov_b32_e32 v9, 0
	v_mov_b32_e32 v53, 0
	v_mov_b32_e32 v55, 0
	v_mov_b32_e32 v45, 0
	v_mov_b32_e32 v47, 0
	v_mov_b32_e32 v10, 0
	v_mov_b32_e32 v54, 0
	v_mov_b32_e32 v56, 0
	v_mov_b32_e32 v46, 0
	v_mov_b32_e32 v48, 0
	v_cmp_gt_i32_e32 vcc, s33, v130
	s_and_saveexec_b64 s[2:3], vcc
	s_cbranch_execz .LBB115_61
; %bb.60:
	v_add_u32_e32 v11, s6, v130
	v_mov_b32_e32 v12, 0
	v_lshlrev_b64 v[11:12], 4, v[11:12]
	v_mov_b32_e32 v18, s11
	v_add_co_u32_e32 v17, vcc, s10, v11
	v_addc_co_u32_e32 v18, vcc, v18, v12, vcc
	v_mov_b32_e32 v19, s15
	v_add_co_u32_e32 v11, vcc, s14, v11
	v_addc_co_u32_e32 v12, vcc, v19, v12, vcc
	global_load_dwordx4 v[45:48], v[17:18], off
	global_load_dwordx4 v[53:56], v[11:12], off
	v_add_u32_e32 v130, 0x100, v130
.LBB115_61:
	;; [unrolled: 52-line block ×6, first 2 shown]
	s_or_b64 exec, exec, s[2:3]
	v_mov_b32_e32 v67, 0
	v_mov_b32_e32 v113, 0
	;; [unrolled: 1-line block ×6, first 2 shown]
	v_cmp_gt_i32_e32 vcc, s33, v130
	s_and_saveexec_b64 s[2:3], vcc
	s_cbranch_execz .LBB115_79
; %bb.78:
	v_add_u32_e32 v65, s6, v130
	v_mov_b32_e32 v66, 0
	v_lshlrev_b64 v[65:66], 4, v[65:66]
	v_mov_b32_e32 v67, s11
	v_add_co_u32_e32 v81, vcc, s10, v65
	v_addc_co_u32_e32 v82, vcc, v67, v66, vcc
	v_mov_b32_e32 v67, s15
	v_add_co_u32_e32 v83, vcc, s14, v65
	v_addc_co_u32_e32 v84, vcc, v67, v66, vcc
	global_load_dwordx4 v[113:116], v[81:82], off
	global_load_dwordx4 v[65:68], v[83:84], off
	v_add_u32_e32 v130, 0x100, v130
.LBB115_79:
	s_or_b64 exec, exec, s[2:3]
	v_mov_b32_e32 v81, 0
	v_mov_b32_e32 v121, 0
	;; [unrolled: 1-line block ×10, first 2 shown]
	v_cmp_gt_i32_e32 vcc, s33, v130
	s_and_saveexec_b64 s[2:3], vcc
	s_cbranch_execz .LBB115_81
; %bb.80:
	v_add_u32_e32 v83, s6, v130
	v_mov_b32_e32 v84, 0
	v_lshlrev_b64 v[83:84], 4, v[83:84]
	v_mov_b32_e32 v118, s11
	v_add_co_u32_e32 v117, vcc, s10, v83
	v_addc_co_u32_e32 v118, vcc, v118, v84, vcc
	v_mov_b32_e32 v119, s15
	v_add_co_u32_e32 v83, vcc, s14, v83
	v_addc_co_u32_e32 v84, vcc, v119, v84, vcc
	global_load_dwordx4 v[117:120], v[117:118], off
	s_nop 0
	global_load_dwordx4 v[121:124], v[83:84], off
	v_add_u32_e32 v130, 0x100, v130
.LBB115_81:
	s_or_b64 exec, exec, s[2:3]
	v_mov_b32_e32 v83, 0
	v_mov_b32_e32 v125, 0
	;; [unrolled: 1-line block ×6, first 2 shown]
	v_cmp_gt_i32_e32 vcc, s33, v130
	s_and_saveexec_b64 s[2:3], vcc
	s_cbranch_execz .LBB115_83
; %bb.82:
	v_add_u32_e32 v81, s6, v130
	v_mov_b32_e32 v82, 0
	v_lshlrev_b64 v[81:82], 4, v[81:82]
	v_mov_b32_e32 v84, s11
	v_add_co_u32_e32 v83, vcc, s10, v81
	v_addc_co_u32_e32 v84, vcc, v84, v82, vcc
	v_mov_b32_e32 v125, s15
	v_add_co_u32_e32 v81, vcc, s14, v81
	v_addc_co_u32_e32 v82, vcc, v125, v82, vcc
	global_load_dwordx4 v[125:128], v[83:84], off
	s_nop 0
	global_load_dwordx4 v[81:84], v[81:82], off
.LBB115_83:
	s_or_b64 exec, exec, s[2:3]
	s_cmp_lg_u32 s13, 0
	s_cselect_b64 s[4:5], -1, 0
                                        ; implicit-def: $vgpr130
	s_and_saveexec_b64 s[10:11], s[0:1]
	s_cbranch_execz .LBB115_88
; %bb.84:
	s_and_b64 vcc, exec, s[4:5]
	s_cbranch_vccz .LBB115_212
; %bb.85:
	s_waitcnt vmcnt(0)
	v_cmp_neq_f64_e32 vcc, v[13:14], v[21:22]
	v_cmp_neq_f64_e64 s[2:3], v[15:16], v[23:24]
	s_or_b64 s[12:13], vcc, s[2:3]
	s_cbranch_execnz .LBB115_87
.LBB115_86:
	s_waitcnt vmcnt(0)
	v_cmp_eq_f64_e32 vcc, v[13:14], v[21:22]
	v_cmp_eq_f64_e64 s[2:3], v[15:16], v[23:24]
	s_andn2_b64 s[12:13], s[12:13], exec
	s_and_b64 s[2:3], vcc, s[2:3]
	s_and_b64 s[2:3], s[2:3], exec
	s_or_b64 s[12:13], s[12:13], s[2:3]
.LBB115_87:
	v_cndmask_b32_e64 v130, 0, 1, s[12:13]
.LBB115_88:
	s_or_b64 exec, exec, s[10:11]
	s_waitcnt vmcnt(1)
	v_or_b32_e32 v13, 0x100, v0
	v_cndmask_b32_e64 v14, 0, 1, s[4:5]
	v_cmp_gt_i32_e32 vcc, s33, v13
	v_cmp_ne_u32_e64 s[2:3], 1, v14
                                        ; implicit-def: $vgpr14
	s_and_saveexec_b64 s[10:11], vcc
	s_cbranch_execz .LBB115_93
; %bb.89:
	s_and_b64 vcc, exec, s[2:3]
	s_cbranch_vccnz .LBB115_213
; %bb.90:
	s_waitcnt vmcnt(0)
	v_cmp_neq_f64_e32 vcc, v[25:26], v[1:2]
	v_cmp_neq_f64_e64 s[4:5], v[27:28], v[3:4]
	s_or_b64 s[12:13], vcc, s[4:5]
	s_cbranch_execnz .LBB115_92
.LBB115_91:
	s_waitcnt vmcnt(0)
	v_cmp_eq_f64_e32 vcc, v[25:26], v[1:2]
	v_cmp_eq_f64_e64 s[4:5], v[27:28], v[3:4]
	s_andn2_b64 s[12:13], s[12:13], exec
	s_and_b64 s[4:5], vcc, s[4:5]
	s_and_b64 s[4:5], s[4:5], exec
	s_or_b64 s[12:13], s[12:13], s[4:5]
.LBB115_92:
	v_cndmask_b32_e64 v14, 0, 1, s[12:13]
.LBB115_93:
	s_or_b64 exec, exec, s[10:11]
	s_waitcnt vmcnt(0)
	v_or_b32_e32 v1, 0x200, v0
	v_cmp_gt_i32_e32 vcc, s33, v1
                                        ; implicit-def: $vgpr1
	s_and_saveexec_b64 s[10:11], vcc
	s_cbranch_execz .LBB115_98
; %bb.94:
	s_and_b64 vcc, exec, s[2:3]
	s_cbranch_vccnz .LBB115_214
; %bb.95:
	v_cmp_neq_f64_e32 vcc, v[29:30], v[37:38]
	v_cmp_neq_f64_e64 s[4:5], v[31:32], v[39:40]
	s_or_b64 s[12:13], vcc, s[4:5]
	s_cbranch_execnz .LBB115_97
.LBB115_96:
	v_cmp_eq_f64_e32 vcc, v[29:30], v[37:38]
	v_cmp_eq_f64_e64 s[4:5], v[31:32], v[39:40]
	s_andn2_b64 s[12:13], s[12:13], exec
	s_and_b64 s[4:5], vcc, s[4:5]
	s_and_b64 s[4:5], s[4:5], exec
	s_or_b64 s[12:13], s[12:13], s[4:5]
.LBB115_97:
	v_cndmask_b32_e64 v1, 0, 1, s[12:13]
.LBB115_98:
	s_or_b64 exec, exec, s[10:11]
	v_or_b32_e32 v2, 0x300, v0
	v_cmp_gt_i32_e32 vcc, s33, v2
                                        ; implicit-def: $vgpr2
	s_and_saveexec_b64 s[10:11], vcc
	s_cbranch_execz .LBB115_103
; %bb.99:
	s_and_b64 vcc, exec, s[2:3]
	s_cbranch_vccnz .LBB115_215
; %bb.100:
	v_cmp_neq_f64_e32 vcc, v[41:42], v[5:6]
	v_cmp_neq_f64_e64 s[4:5], v[43:44], v[7:8]
	s_or_b64 s[12:13], vcc, s[4:5]
	s_cbranch_execnz .LBB115_102
.LBB115_101:
	v_cmp_eq_f64_e32 vcc, v[41:42], v[5:6]
	v_cmp_eq_f64_e64 s[4:5], v[43:44], v[7:8]
	s_andn2_b64 s[12:13], s[12:13], exec
	s_and_b64 s[4:5], vcc, s[4:5]
	s_and_b64 s[4:5], s[4:5], exec
	s_or_b64 s[12:13], s[12:13], s[4:5]
.LBB115_102:
	v_cndmask_b32_e64 v2, 0, 1, s[12:13]
.LBB115_103:
	s_or_b64 exec, exec, s[10:11]
	v_or_b32_e32 v3, 0x400, v0
	v_cmp_gt_i32_e32 vcc, s33, v3
                                        ; implicit-def: $vgpr3
	s_and_saveexec_b64 s[10:11], vcc
	s_cbranch_execz .LBB115_108
; %bb.104:
	s_and_b64 vcc, exec, s[2:3]
	s_cbranch_vccnz .LBB115_216
; %bb.105:
	v_cmp_neq_f64_e32 vcc, v[45:46], v[53:54]
	v_cmp_neq_f64_e64 s[4:5], v[47:48], v[55:56]
	s_or_b64 s[12:13], vcc, s[4:5]
	s_cbranch_execnz .LBB115_107
.LBB115_106:
	v_cmp_eq_f64_e32 vcc, v[45:46], v[53:54]
	v_cmp_eq_f64_e64 s[4:5], v[47:48], v[55:56]
	s_andn2_b64 s[12:13], s[12:13], exec
	s_and_b64 s[4:5], vcc, s[4:5]
	s_and_b64 s[4:5], s[4:5], exec
	s_or_b64 s[12:13], s[12:13], s[4:5]
.LBB115_107:
	v_cndmask_b32_e64 v3, 0, 1, s[12:13]
.LBB115_108:
	s_or_b64 exec, exec, s[10:11]
	v_or_b32_e32 v4, 0x500, v0
	v_cmp_gt_i32_e32 vcc, s33, v4
                                        ; implicit-def: $vgpr4
	s_and_saveexec_b64 s[10:11], vcc
	s_cbranch_execz .LBB115_113
; %bb.109:
	s_and_b64 vcc, exec, s[2:3]
	s_cbranch_vccnz .LBB115_217
; %bb.110:
	v_cmp_neq_f64_e32 vcc, v[57:58], v[9:10]
	v_cmp_neq_f64_e64 s[4:5], v[59:60], v[11:12]
	s_or_b64 s[12:13], vcc, s[4:5]
	s_cbranch_execnz .LBB115_112
.LBB115_111:
	v_cmp_eq_f64_e32 vcc, v[57:58], v[9:10]
	v_cmp_eq_f64_e64 s[4:5], v[59:60], v[11:12]
	s_andn2_b64 s[12:13], s[12:13], exec
	s_and_b64 s[4:5], vcc, s[4:5]
	s_and_b64 s[4:5], s[4:5], exec
	s_or_b64 s[12:13], s[12:13], s[4:5]
.LBB115_112:
	v_cndmask_b32_e64 v4, 0, 1, s[12:13]
.LBB115_113:
	s_or_b64 exec, exec, s[10:11]
	v_or_b32_e32 v5, 0x600, v0
	v_cmp_gt_i32_e32 vcc, s33, v5
                                        ; implicit-def: $vgpr5
	s_and_saveexec_b64 s[10:11], vcc
	s_cbranch_execz .LBB115_118
; %bb.114:
	s_and_b64 vcc, exec, s[2:3]
	s_cbranch_vccnz .LBB115_218
; %bb.115:
	v_cmp_neq_f64_e32 vcc, v[61:62], v[69:70]
	v_cmp_neq_f64_e64 s[4:5], v[63:64], v[71:72]
	s_or_b64 s[12:13], vcc, s[4:5]
	s_cbranch_execnz .LBB115_117
.LBB115_116:
	v_cmp_eq_f64_e32 vcc, v[61:62], v[69:70]
	v_cmp_eq_f64_e64 s[4:5], v[63:64], v[71:72]
	s_andn2_b64 s[12:13], s[12:13], exec
	s_and_b64 s[4:5], vcc, s[4:5]
	s_and_b64 s[4:5], s[4:5], exec
	s_or_b64 s[12:13], s[12:13], s[4:5]
.LBB115_117:
	v_cndmask_b32_e64 v5, 0, 1, s[12:13]
.LBB115_118:
	s_or_b64 exec, exec, s[10:11]
	v_or_b32_e32 v6, 0x700, v0
	v_cmp_gt_i32_e32 vcc, s33, v6
                                        ; implicit-def: $vgpr6
	s_and_saveexec_b64 s[10:11], vcc
	s_cbranch_execz .LBB115_123
; %bb.119:
	s_and_b64 vcc, exec, s[2:3]
	s_cbranch_vccnz .LBB115_219
; %bb.120:
	v_cmp_neq_f64_e32 vcc, v[73:74], v[17:18]
	v_cmp_neq_f64_e64 s[4:5], v[75:76], v[19:20]
	s_or_b64 s[12:13], vcc, s[4:5]
	s_cbranch_execnz .LBB115_122
.LBB115_121:
	v_cmp_eq_f64_e32 vcc, v[73:74], v[17:18]
	v_cmp_eq_f64_e64 s[4:5], v[75:76], v[19:20]
	s_andn2_b64 s[12:13], s[12:13], exec
	s_and_b64 s[4:5], vcc, s[4:5]
	s_and_b64 s[4:5], s[4:5], exec
	s_or_b64 s[12:13], s[12:13], s[4:5]
.LBB115_122:
	v_cndmask_b32_e64 v6, 0, 1, s[12:13]
.LBB115_123:
	s_or_b64 exec, exec, s[10:11]
	v_or_b32_e32 v7, 0x800, v0
	v_cmp_gt_i32_e32 vcc, s33, v7
                                        ; implicit-def: $vgpr7
	s_and_saveexec_b64 s[10:11], vcc
	s_cbranch_execz .LBB115_128
; %bb.124:
	s_and_b64 vcc, exec, s[2:3]
	s_cbranch_vccnz .LBB115_220
; %bb.125:
	v_cmp_neq_f64_e32 vcc, v[77:78], v[85:86]
	v_cmp_neq_f64_e64 s[4:5], v[79:80], v[87:88]
	s_or_b64 s[12:13], vcc, s[4:5]
	s_cbranch_execnz .LBB115_127
.LBB115_126:
	v_cmp_eq_f64_e32 vcc, v[77:78], v[85:86]
	v_cmp_eq_f64_e64 s[4:5], v[79:80], v[87:88]
	s_andn2_b64 s[12:13], s[12:13], exec
	s_and_b64 s[4:5], vcc, s[4:5]
	s_and_b64 s[4:5], s[4:5], exec
	s_or_b64 s[12:13], s[12:13], s[4:5]
.LBB115_127:
	v_cndmask_b32_e64 v7, 0, 1, s[12:13]
.LBB115_128:
	s_or_b64 exec, exec, s[10:11]
	v_or_b32_e32 v8, 0x900, v0
	v_cmp_gt_i32_e32 vcc, s33, v8
                                        ; implicit-def: $vgpr8
	s_and_saveexec_b64 s[10:11], vcc
	s_cbranch_execz .LBB115_133
; %bb.129:
	s_and_b64 vcc, exec, s[2:3]
	s_cbranch_vccnz .LBB115_221
; %bb.130:
	v_cmp_neq_f64_e32 vcc, v[89:90], v[33:34]
	v_cmp_neq_f64_e64 s[4:5], v[91:92], v[35:36]
	s_or_b64 s[12:13], vcc, s[4:5]
	s_cbranch_execnz .LBB115_132
.LBB115_131:
	v_cmp_eq_f64_e32 vcc, v[89:90], v[33:34]
	v_cmp_eq_f64_e64 s[4:5], v[91:92], v[35:36]
	s_andn2_b64 s[12:13], s[12:13], exec
	s_and_b64 s[4:5], vcc, s[4:5]
	s_and_b64 s[4:5], s[4:5], exec
	s_or_b64 s[12:13], s[12:13], s[4:5]
.LBB115_132:
	v_cndmask_b32_e64 v8, 0, 1, s[12:13]
.LBB115_133:
	s_or_b64 exec, exec, s[10:11]
	v_or_b32_e32 v9, 0xa00, v0
	v_cmp_gt_i32_e32 vcc, s33, v9
                                        ; implicit-def: $vgpr9
	s_and_saveexec_b64 s[10:11], vcc
	s_cbranch_execz .LBB115_138
; %bb.134:
	s_and_b64 vcc, exec, s[2:3]
	s_cbranch_vccnz .LBB115_222
; %bb.135:
	v_cmp_neq_f64_e32 vcc, v[93:94], v[97:98]
	v_cmp_neq_f64_e64 s[4:5], v[95:96], v[99:100]
	s_or_b64 s[12:13], vcc, s[4:5]
	s_cbranch_execnz .LBB115_137
.LBB115_136:
	v_cmp_eq_f64_e32 vcc, v[93:94], v[97:98]
	v_cmp_eq_f64_e64 s[4:5], v[95:96], v[99:100]
	s_andn2_b64 s[12:13], s[12:13], exec
	s_and_b64 s[4:5], vcc, s[4:5]
	s_and_b64 s[4:5], s[4:5], exec
	s_or_b64 s[12:13], s[12:13], s[4:5]
.LBB115_137:
	v_cndmask_b32_e64 v9, 0, 1, s[12:13]
.LBB115_138:
	s_or_b64 exec, exec, s[10:11]
	v_or_b32_e32 v10, 0xb00, v0
	v_cmp_gt_i32_e32 vcc, s33, v10
                                        ; implicit-def: $vgpr10
	s_and_saveexec_b64 s[10:11], vcc
	s_cbranch_execz .LBB115_143
; %bb.139:
	s_and_b64 vcc, exec, s[2:3]
	s_cbranch_vccnz .LBB115_223
; %bb.140:
	v_cmp_neq_f64_e32 vcc, v[101:102], v[49:50]
	v_cmp_neq_f64_e64 s[4:5], v[103:104], v[51:52]
	s_or_b64 s[12:13], vcc, s[4:5]
	s_cbranch_execnz .LBB115_142
.LBB115_141:
	v_cmp_eq_f64_e32 vcc, v[101:102], v[49:50]
	v_cmp_eq_f64_e64 s[4:5], v[103:104], v[51:52]
	s_andn2_b64 s[12:13], s[12:13], exec
	s_and_b64 s[4:5], vcc, s[4:5]
	s_and_b64 s[4:5], s[4:5], exec
	s_or_b64 s[12:13], s[12:13], s[4:5]
.LBB115_142:
	v_cndmask_b32_e64 v10, 0, 1, s[12:13]
.LBB115_143:
	s_or_b64 exec, exec, s[10:11]
	v_or_b32_e32 v11, 0xc00, v0
	v_cmp_gt_i32_e32 vcc, s33, v11
                                        ; implicit-def: $vgpr11
	s_and_saveexec_b64 s[10:11], vcc
	s_cbranch_execz .LBB115_148
; %bb.144:
	s_and_b64 vcc, exec, s[2:3]
	s_cbranch_vccnz .LBB115_224
; %bb.145:
	v_cmp_neq_f64_e32 vcc, v[105:106], v[109:110]
	v_cmp_neq_f64_e64 s[4:5], v[107:108], v[111:112]
	s_or_b64 s[12:13], vcc, s[4:5]
	s_cbranch_execnz .LBB115_147
.LBB115_146:
	v_cmp_eq_f64_e32 vcc, v[105:106], v[109:110]
	v_cmp_eq_f64_e64 s[4:5], v[107:108], v[111:112]
	s_andn2_b64 s[12:13], s[12:13], exec
	s_and_b64 s[4:5], vcc, s[4:5]
	s_and_b64 s[4:5], s[4:5], exec
	s_or_b64 s[12:13], s[12:13], s[4:5]
.LBB115_147:
	v_cndmask_b32_e64 v11, 0, 1, s[12:13]
.LBB115_148:
	s_or_b64 exec, exec, s[10:11]
	v_or_b32_e32 v12, 0xd00, v0
	v_cmp_gt_i32_e32 vcc, s33, v12
                                        ; implicit-def: $vgpr12
	s_and_saveexec_b64 s[10:11], vcc
	s_cbranch_execz .LBB115_153
; %bb.149:
	s_and_b64 vcc, exec, s[2:3]
	s_cbranch_vccnz .LBB115_225
; %bb.150:
	v_cmp_neq_f64_e32 vcc, v[113:114], v[65:66]
	v_cmp_neq_f64_e64 s[4:5], v[115:116], v[67:68]
	s_or_b64 s[12:13], vcc, s[4:5]
	s_cbranch_execnz .LBB115_152
.LBB115_151:
	v_cmp_eq_f64_e32 vcc, v[113:114], v[65:66]
	v_cmp_eq_f64_e64 s[4:5], v[115:116], v[67:68]
	s_andn2_b64 s[12:13], s[12:13], exec
	s_and_b64 s[4:5], vcc, s[4:5]
	s_and_b64 s[4:5], s[4:5], exec
	s_or_b64 s[12:13], s[12:13], s[4:5]
.LBB115_152:
	v_cndmask_b32_e64 v12, 0, 1, s[12:13]
.LBB115_153:
	s_or_b64 exec, exec, s[10:11]
	v_or_b32_e32 v15, 0xe00, v0
	v_cmp_gt_i32_e32 vcc, s33, v15
                                        ; implicit-def: $vgpr15
	s_and_saveexec_b64 s[10:11], vcc
	s_cbranch_execz .LBB115_158
; %bb.154:
	s_and_b64 vcc, exec, s[2:3]
	s_cbranch_vccnz .LBB115_226
; %bb.155:
	v_cmp_neq_f64_e32 vcc, v[117:118], v[121:122]
	v_cmp_neq_f64_e64 s[4:5], v[119:120], v[123:124]
	s_or_b64 s[12:13], vcc, s[4:5]
	s_cbranch_execnz .LBB115_157
.LBB115_156:
	v_cmp_eq_f64_e32 vcc, v[117:118], v[121:122]
	v_cmp_eq_f64_e64 s[4:5], v[119:120], v[123:124]
	s_andn2_b64 s[12:13], s[12:13], exec
	s_and_b64 s[4:5], vcc, s[4:5]
	s_and_b64 s[4:5], s[4:5], exec
	s_or_b64 s[12:13], s[12:13], s[4:5]
.LBB115_157:
	v_cndmask_b32_e64 v15, 0, 1, s[12:13]
.LBB115_158:
	s_or_b64 exec, exec, s[10:11]
	v_or_b32_e32 v16, 0xf00, v0
	v_cmp_gt_i32_e32 vcc, s33, v16
                                        ; implicit-def: $vgpr16
	s_and_saveexec_b64 s[4:5], vcc
	s_cbranch_execz .LBB115_163
; %bb.159:
	s_and_b64 vcc, exec, s[2:3]
	s_cbranch_vccnz .LBB115_227
; %bb.160:
	v_cmp_neq_f64_e32 vcc, v[125:126], v[81:82]
	v_cmp_neq_f64_e64 s[2:3], v[127:128], v[83:84]
	s_or_b64 s[10:11], vcc, s[2:3]
	s_cbranch_execnz .LBB115_162
.LBB115_161:
	v_cmp_eq_f64_e32 vcc, v[125:126], v[81:82]
	v_cmp_eq_f64_e64 s[2:3], v[127:128], v[83:84]
	s_andn2_b64 s[10:11], s[10:11], exec
	s_and_b64 s[2:3], vcc, s[2:3]
	s_and_b64 s[2:3], s[2:3], exec
	s_or_b64 s[10:11], s[10:11], s[2:3]
.LBB115_162:
	v_cndmask_b32_e64 v16, 0, 1, s[10:11]
.LBB115_163:
	s_or_b64 exec, exec, s[4:5]
	s_and_saveexec_b64 s[2:3], s[0:1]
	s_xor_b64 s[0:1], exec, s[2:3]
	s_cbranch_execz .LBB115_165
; %bb.164:
	v_mov_b32_e32 v0, v13
	global_store_byte v129, v130, s[8:9]
.LBB115_165:
	s_or_b64 exec, exec, s[0:1]
	v_cmp_gt_i32_e32 vcc, s33, v0
	s_and_saveexec_b64 s[0:1], vcc
	s_cbranch_execnz .LBB115_181
; %bb.166:
	s_or_b64 exec, exec, s[0:1]
	v_cmp_gt_i32_e32 vcc, s33, v0
	s_and_saveexec_b64 s[0:1], vcc
	s_cbranch_execnz .LBB115_182
.LBB115_167:
	s_or_b64 exec, exec, s[0:1]
	v_cmp_gt_i32_e32 vcc, s33, v0
	s_and_saveexec_b64 s[0:1], vcc
	s_cbranch_execnz .LBB115_183
.LBB115_168:
	s_or_b64 exec, exec, s[0:1]
	v_cmp_gt_i32_e32 vcc, s33, v0
	s_and_saveexec_b64 s[0:1], vcc
	s_cbranch_execnz .LBB115_184
.LBB115_169:
	s_or_b64 exec, exec, s[0:1]
	v_cmp_gt_i32_e32 vcc, s33, v0
	s_and_saveexec_b64 s[0:1], vcc
	s_cbranch_execnz .LBB115_185
.LBB115_170:
	s_or_b64 exec, exec, s[0:1]
	v_cmp_gt_i32_e32 vcc, s33, v0
	s_and_saveexec_b64 s[0:1], vcc
	s_cbranch_execnz .LBB115_186
.LBB115_171:
	s_or_b64 exec, exec, s[0:1]
	v_cmp_gt_i32_e32 vcc, s33, v0
	s_and_saveexec_b64 s[0:1], vcc
	s_cbranch_execnz .LBB115_187
.LBB115_172:
	s_or_b64 exec, exec, s[0:1]
	v_cmp_gt_i32_e32 vcc, s33, v0
	s_and_saveexec_b64 s[0:1], vcc
	s_cbranch_execnz .LBB115_188
.LBB115_173:
	s_or_b64 exec, exec, s[0:1]
	v_cmp_gt_i32_e32 vcc, s33, v0
	s_and_saveexec_b64 s[0:1], vcc
	s_cbranch_execnz .LBB115_189
.LBB115_174:
	s_or_b64 exec, exec, s[0:1]
	v_cmp_gt_i32_e32 vcc, s33, v0
	s_and_saveexec_b64 s[0:1], vcc
	s_cbranch_execnz .LBB115_190
.LBB115_175:
	s_or_b64 exec, exec, s[0:1]
	v_cmp_gt_i32_e32 vcc, s33, v0
	s_and_saveexec_b64 s[0:1], vcc
	s_cbranch_execnz .LBB115_191
.LBB115_176:
	s_or_b64 exec, exec, s[0:1]
	v_cmp_gt_i32_e32 vcc, s33, v0
	s_and_saveexec_b64 s[0:1], vcc
	s_cbranch_execnz .LBB115_192
.LBB115_177:
	s_or_b64 exec, exec, s[0:1]
	v_cmp_gt_i32_e32 vcc, s33, v0
	s_and_saveexec_b64 s[0:1], vcc
	s_cbranch_execnz .LBB115_193
.LBB115_178:
	s_or_b64 exec, exec, s[0:1]
	v_cmp_gt_i32_e32 vcc, s33, v0
	s_and_saveexec_b64 s[0:1], vcc
	s_cbranch_execnz .LBB115_194
.LBB115_179:
	s_or_b64 exec, exec, s[0:1]
	v_cmp_gt_i32_e32 vcc, s33, v0
	s_and_saveexec_b64 s[0:1], vcc
	s_cbranch_execz .LBB115_195
.LBB115_180:
	v_add_u32_e32 v0, s6, v0
	global_store_byte v0, v16, s[8:9]
	s_endpgm
.LBB115_181:
	v_add_u32_e32 v13, s6, v0
	v_add_u32_e32 v0, 0x100, v0
	global_store_byte v13, v14, s[8:9]
	s_or_b64 exec, exec, s[0:1]
	v_cmp_gt_i32_e32 vcc, s33, v0
	s_and_saveexec_b64 s[0:1], vcc
	s_cbranch_execz .LBB115_167
.LBB115_182:
	v_add_u32_e32 v13, s6, v0
	v_add_u32_e32 v0, 0x100, v0
	global_store_byte v13, v1, s[8:9]
	s_or_b64 exec, exec, s[0:1]
	v_cmp_gt_i32_e32 vcc, s33, v0
	s_and_saveexec_b64 s[0:1], vcc
	s_cbranch_execz .LBB115_168
.LBB115_183:
	v_add_u32_e32 v1, s6, v0
	v_add_u32_e32 v0, 0x100, v0
	global_store_byte v1, v2, s[8:9]
	s_or_b64 exec, exec, s[0:1]
	v_cmp_gt_i32_e32 vcc, s33, v0
	s_and_saveexec_b64 s[0:1], vcc
	s_cbranch_execz .LBB115_169
.LBB115_184:
	v_add_u32_e32 v1, s6, v0
	v_add_u32_e32 v0, 0x100, v0
	global_store_byte v1, v3, s[8:9]
	s_or_b64 exec, exec, s[0:1]
	v_cmp_gt_i32_e32 vcc, s33, v0
	s_and_saveexec_b64 s[0:1], vcc
	s_cbranch_execz .LBB115_170
.LBB115_185:
	v_add_u32_e32 v1, s6, v0
	v_add_u32_e32 v0, 0x100, v0
	global_store_byte v1, v4, s[8:9]
	s_or_b64 exec, exec, s[0:1]
	v_cmp_gt_i32_e32 vcc, s33, v0
	s_and_saveexec_b64 s[0:1], vcc
	s_cbranch_execz .LBB115_171
.LBB115_186:
	v_add_u32_e32 v1, s6, v0
	v_add_u32_e32 v0, 0x100, v0
	global_store_byte v1, v5, s[8:9]
	s_or_b64 exec, exec, s[0:1]
	v_cmp_gt_i32_e32 vcc, s33, v0
	s_and_saveexec_b64 s[0:1], vcc
	s_cbranch_execz .LBB115_172
.LBB115_187:
	v_add_u32_e32 v1, s6, v0
	v_add_u32_e32 v0, 0x100, v0
	global_store_byte v1, v6, s[8:9]
	s_or_b64 exec, exec, s[0:1]
	v_cmp_gt_i32_e32 vcc, s33, v0
	s_and_saveexec_b64 s[0:1], vcc
	s_cbranch_execz .LBB115_173
.LBB115_188:
	v_add_u32_e32 v1, s6, v0
	v_add_u32_e32 v0, 0x100, v0
	global_store_byte v1, v7, s[8:9]
	s_or_b64 exec, exec, s[0:1]
	v_cmp_gt_i32_e32 vcc, s33, v0
	s_and_saveexec_b64 s[0:1], vcc
	s_cbranch_execz .LBB115_174
.LBB115_189:
	v_add_u32_e32 v1, s6, v0
	v_add_u32_e32 v0, 0x100, v0
	global_store_byte v1, v8, s[8:9]
	s_or_b64 exec, exec, s[0:1]
	v_cmp_gt_i32_e32 vcc, s33, v0
	s_and_saveexec_b64 s[0:1], vcc
	s_cbranch_execz .LBB115_175
.LBB115_190:
	v_add_u32_e32 v1, s6, v0
	v_add_u32_e32 v0, 0x100, v0
	global_store_byte v1, v9, s[8:9]
	s_or_b64 exec, exec, s[0:1]
	v_cmp_gt_i32_e32 vcc, s33, v0
	s_and_saveexec_b64 s[0:1], vcc
	s_cbranch_execz .LBB115_176
.LBB115_191:
	v_add_u32_e32 v1, s6, v0
	v_add_u32_e32 v0, 0x100, v0
	global_store_byte v1, v10, s[8:9]
	s_or_b64 exec, exec, s[0:1]
	v_cmp_gt_i32_e32 vcc, s33, v0
	s_and_saveexec_b64 s[0:1], vcc
	s_cbranch_execz .LBB115_177
.LBB115_192:
	v_add_u32_e32 v1, s6, v0
	v_add_u32_e32 v0, 0x100, v0
	global_store_byte v1, v11, s[8:9]
	s_or_b64 exec, exec, s[0:1]
	v_cmp_gt_i32_e32 vcc, s33, v0
	s_and_saveexec_b64 s[0:1], vcc
	s_cbranch_execz .LBB115_178
.LBB115_193:
	v_add_u32_e32 v1, s6, v0
	v_add_u32_e32 v0, 0x100, v0
	global_store_byte v1, v12, s[8:9]
	s_or_b64 exec, exec, s[0:1]
	v_cmp_gt_i32_e32 vcc, s33, v0
	s_and_saveexec_b64 s[0:1], vcc
	s_cbranch_execz .LBB115_179
.LBB115_194:
	v_add_u32_e32 v1, s6, v0
	v_add_u32_e32 v0, 0x100, v0
	global_store_byte v1, v15, s[8:9]
	s_or_b64 exec, exec, s[0:1]
	v_cmp_gt_i32_e32 vcc, s33, v0
	s_and_saveexec_b64 s[0:1], vcc
	s_cbranch_execnz .LBB115_180
.LBB115_195:
	s_endpgm
.LBB115_196:
                                        ; implicit-def: $sgpr4_sgpr5
	s_branch .LBB115_3
.LBB115_197:
                                        ; implicit-def: $sgpr16_sgpr17
	s_branch .LBB115_6
.LBB115_198:
                                        ; implicit-def: $sgpr18_sgpr19
	s_branch .LBB115_9
.LBB115_199:
                                        ; implicit-def: $sgpr20_sgpr21
	s_branch .LBB115_12
.LBB115_200:
                                        ; implicit-def: $sgpr22_sgpr23
	s_branch .LBB115_15
.LBB115_201:
                                        ; implicit-def: $sgpr24_sgpr25
	s_branch .LBB115_18
.LBB115_202:
                                        ; implicit-def: $sgpr26_sgpr27
	s_branch .LBB115_21
.LBB115_203:
                                        ; implicit-def: $sgpr28_sgpr29
	s_branch .LBB115_24
.LBB115_204:
                                        ; implicit-def: $sgpr30_sgpr31
	s_branch .LBB115_27
.LBB115_205:
                                        ; implicit-def: $sgpr34_sgpr35
	s_branch .LBB115_30
.LBB115_206:
                                        ; implicit-def: $sgpr36_sgpr37
	s_branch .LBB115_33
.LBB115_207:
                                        ; implicit-def: $sgpr38_sgpr39
	s_branch .LBB115_36
.LBB115_208:
                                        ; implicit-def: $sgpr40_sgpr41
	s_branch .LBB115_39
.LBB115_209:
                                        ; implicit-def: $sgpr42_sgpr43
	s_branch .LBB115_42
.LBB115_210:
                                        ; implicit-def: $sgpr44_sgpr45
	s_branch .LBB115_45
.LBB115_211:
                                        ; implicit-def: $sgpr2_sgpr3
	s_branch .LBB115_48
.LBB115_212:
                                        ; implicit-def: $sgpr12_sgpr13
	s_branch .LBB115_86
.LBB115_213:
                                        ; implicit-def: $sgpr12_sgpr13
	s_branch .LBB115_91
.LBB115_214:
                                        ; implicit-def: $sgpr12_sgpr13
	s_branch .LBB115_96
.LBB115_215:
                                        ; implicit-def: $sgpr12_sgpr13
	s_branch .LBB115_101
.LBB115_216:
                                        ; implicit-def: $sgpr12_sgpr13
	s_branch .LBB115_106
.LBB115_217:
                                        ; implicit-def: $sgpr12_sgpr13
	s_branch .LBB115_111
.LBB115_218:
                                        ; implicit-def: $sgpr12_sgpr13
	s_branch .LBB115_116
.LBB115_219:
                                        ; implicit-def: $sgpr12_sgpr13
	s_branch .LBB115_121
.LBB115_220:
                                        ; implicit-def: $sgpr12_sgpr13
	s_branch .LBB115_126
.LBB115_221:
                                        ; implicit-def: $sgpr12_sgpr13
	s_branch .LBB115_131
.LBB115_222:
                                        ; implicit-def: $sgpr12_sgpr13
	s_branch .LBB115_136
.LBB115_223:
                                        ; implicit-def: $sgpr12_sgpr13
	s_branch .LBB115_141
.LBB115_224:
                                        ; implicit-def: $sgpr12_sgpr13
	s_branch .LBB115_146
.LBB115_225:
                                        ; implicit-def: $sgpr12_sgpr13
	s_branch .LBB115_151
.LBB115_226:
                                        ; implicit-def: $sgpr12_sgpr13
	s_branch .LBB115_156
.LBB115_227:
                                        ; implicit-def: $sgpr10_sgpr11
	s_branch .LBB115_161
	.section	.rodata,"a",@progbits
	.p2align	6, 0x0
	.amdhsa_kernel _ZN2at6native29vectorized_elementwise_kernelILi2ENS0_13BinaryFunctorIN3c107complexIdEES5_bNS0_12_GLOBAL__N_116CompareEqFunctorIS5_EEEESt5arrayIPcLm3EEEEviT0_T1_
		.amdhsa_group_segment_fixed_size 0
		.amdhsa_private_segment_fixed_size 0
		.amdhsa_kernarg_size 32
		.amdhsa_user_sgpr_count 6
		.amdhsa_user_sgpr_private_segment_buffer 1
		.amdhsa_user_sgpr_dispatch_ptr 0
		.amdhsa_user_sgpr_queue_ptr 0
		.amdhsa_user_sgpr_kernarg_segment_ptr 1
		.amdhsa_user_sgpr_dispatch_id 0
		.amdhsa_user_sgpr_flat_scratch_init 0
		.amdhsa_user_sgpr_private_segment_size 0
		.amdhsa_uses_dynamic_stack 0
		.amdhsa_system_sgpr_private_segment_wavefront_offset 0
		.amdhsa_system_sgpr_workgroup_id_x 1
		.amdhsa_system_sgpr_workgroup_id_y 0
		.amdhsa_system_sgpr_workgroup_id_z 0
		.amdhsa_system_sgpr_workgroup_info 0
		.amdhsa_system_vgpr_workitem_id 0
		.amdhsa_next_free_vgpr 131
		.amdhsa_next_free_sgpr 46
		.amdhsa_reserve_vcc 1
		.amdhsa_reserve_flat_scratch 0
		.amdhsa_float_round_mode_32 0
		.amdhsa_float_round_mode_16_64 0
		.amdhsa_float_denorm_mode_32 3
		.amdhsa_float_denorm_mode_16_64 3
		.amdhsa_dx10_clamp 1
		.amdhsa_ieee_mode 1
		.amdhsa_fp16_overflow 0
		.amdhsa_exception_fp_ieee_invalid_op 0
		.amdhsa_exception_fp_denorm_src 0
		.amdhsa_exception_fp_ieee_div_zero 0
		.amdhsa_exception_fp_ieee_overflow 0
		.amdhsa_exception_fp_ieee_underflow 0
		.amdhsa_exception_fp_ieee_inexact 0
		.amdhsa_exception_int_div_zero 0
	.end_amdhsa_kernel
	.section	.text._ZN2at6native29vectorized_elementwise_kernelILi2ENS0_13BinaryFunctorIN3c107complexIdEES5_bNS0_12_GLOBAL__N_116CompareEqFunctorIS5_EEEESt5arrayIPcLm3EEEEviT0_T1_,"axG",@progbits,_ZN2at6native29vectorized_elementwise_kernelILi2ENS0_13BinaryFunctorIN3c107complexIdEES5_bNS0_12_GLOBAL__N_116CompareEqFunctorIS5_EEEESt5arrayIPcLm3EEEEviT0_T1_,comdat
.Lfunc_end115:
	.size	_ZN2at6native29vectorized_elementwise_kernelILi2ENS0_13BinaryFunctorIN3c107complexIdEES5_bNS0_12_GLOBAL__N_116CompareEqFunctorIS5_EEEESt5arrayIPcLm3EEEEviT0_T1_, .Lfunc_end115-_ZN2at6native29vectorized_elementwise_kernelILi2ENS0_13BinaryFunctorIN3c107complexIdEES5_bNS0_12_GLOBAL__N_116CompareEqFunctorIS5_EEEESt5arrayIPcLm3EEEEviT0_T1_
                                        ; -- End function
	.set _ZN2at6native29vectorized_elementwise_kernelILi2ENS0_13BinaryFunctorIN3c107complexIdEES5_bNS0_12_GLOBAL__N_116CompareEqFunctorIS5_EEEESt5arrayIPcLm3EEEEviT0_T1_.num_vgpr, 131
	.set _ZN2at6native29vectorized_elementwise_kernelILi2ENS0_13BinaryFunctorIN3c107complexIdEES5_bNS0_12_GLOBAL__N_116CompareEqFunctorIS5_EEEESt5arrayIPcLm3EEEEviT0_T1_.num_agpr, 0
	.set _ZN2at6native29vectorized_elementwise_kernelILi2ENS0_13BinaryFunctorIN3c107complexIdEES5_bNS0_12_GLOBAL__N_116CompareEqFunctorIS5_EEEESt5arrayIPcLm3EEEEviT0_T1_.numbered_sgpr, 46
	.set _ZN2at6native29vectorized_elementwise_kernelILi2ENS0_13BinaryFunctorIN3c107complexIdEES5_bNS0_12_GLOBAL__N_116CompareEqFunctorIS5_EEEESt5arrayIPcLm3EEEEviT0_T1_.num_named_barrier, 0
	.set _ZN2at6native29vectorized_elementwise_kernelILi2ENS0_13BinaryFunctorIN3c107complexIdEES5_bNS0_12_GLOBAL__N_116CompareEqFunctorIS5_EEEESt5arrayIPcLm3EEEEviT0_T1_.private_seg_size, 0
	.set _ZN2at6native29vectorized_elementwise_kernelILi2ENS0_13BinaryFunctorIN3c107complexIdEES5_bNS0_12_GLOBAL__N_116CompareEqFunctorIS5_EEEESt5arrayIPcLm3EEEEviT0_T1_.uses_vcc, 1
	.set _ZN2at6native29vectorized_elementwise_kernelILi2ENS0_13BinaryFunctorIN3c107complexIdEES5_bNS0_12_GLOBAL__N_116CompareEqFunctorIS5_EEEESt5arrayIPcLm3EEEEviT0_T1_.uses_flat_scratch, 0
	.set _ZN2at6native29vectorized_elementwise_kernelILi2ENS0_13BinaryFunctorIN3c107complexIdEES5_bNS0_12_GLOBAL__N_116CompareEqFunctorIS5_EEEESt5arrayIPcLm3EEEEviT0_T1_.has_dyn_sized_stack, 0
	.set _ZN2at6native29vectorized_elementwise_kernelILi2ENS0_13BinaryFunctorIN3c107complexIdEES5_bNS0_12_GLOBAL__N_116CompareEqFunctorIS5_EEEESt5arrayIPcLm3EEEEviT0_T1_.has_recursion, 0
	.set _ZN2at6native29vectorized_elementwise_kernelILi2ENS0_13BinaryFunctorIN3c107complexIdEES5_bNS0_12_GLOBAL__N_116CompareEqFunctorIS5_EEEESt5arrayIPcLm3EEEEviT0_T1_.has_indirect_call, 0
	.section	.AMDGPU.csdata,"",@progbits
; Kernel info:
; codeLenInByte = 6012
; TotalNumSgprs: 50
; NumVgprs: 131
; ScratchSize: 0
; MemoryBound: 1
; FloatMode: 240
; IeeeMode: 1
; LDSByteSize: 0 bytes/workgroup (compile time only)
; SGPRBlocks: 6
; VGPRBlocks: 32
; NumSGPRsForWavesPerEU: 50
; NumVGPRsForWavesPerEU: 131
; Occupancy: 1
; WaveLimiterHint : 1
; COMPUTE_PGM_RSRC2:SCRATCH_EN: 0
; COMPUTE_PGM_RSRC2:USER_SGPR: 6
; COMPUTE_PGM_RSRC2:TRAP_HANDLER: 0
; COMPUTE_PGM_RSRC2:TGID_X_EN: 1
; COMPUTE_PGM_RSRC2:TGID_Y_EN: 0
; COMPUTE_PGM_RSRC2:TGID_Z_EN: 0
; COMPUTE_PGM_RSRC2:TIDIG_COMP_CNT: 0
	.section	.text._ZN2at6native27unrolled_elementwise_kernelINS0_13BinaryFunctorIN3c107complexIdEES5_bNS0_12_GLOBAL__N_116CompareEqFunctorIS5_EEEESt5arrayIPcLm3EELi4E23TrivialOffsetCalculatorILi2EjESD_ILi1EjENS0_6memory15LoadWithoutCastENSG_16StoreWithoutCastEEEviT_T0_T2_T3_T4_T5_,"axG",@progbits,_ZN2at6native27unrolled_elementwise_kernelINS0_13BinaryFunctorIN3c107complexIdEES5_bNS0_12_GLOBAL__N_116CompareEqFunctorIS5_EEEESt5arrayIPcLm3EELi4E23TrivialOffsetCalculatorILi2EjESD_ILi1EjENS0_6memory15LoadWithoutCastENSG_16StoreWithoutCastEEEviT_T0_T2_T3_T4_T5_,comdat
	.globl	_ZN2at6native27unrolled_elementwise_kernelINS0_13BinaryFunctorIN3c107complexIdEES5_bNS0_12_GLOBAL__N_116CompareEqFunctorIS5_EEEESt5arrayIPcLm3EELi4E23TrivialOffsetCalculatorILi2EjESD_ILi1EjENS0_6memory15LoadWithoutCastENSG_16StoreWithoutCastEEEviT_T0_T2_T3_T4_T5_ ; -- Begin function _ZN2at6native27unrolled_elementwise_kernelINS0_13BinaryFunctorIN3c107complexIdEES5_bNS0_12_GLOBAL__N_116CompareEqFunctorIS5_EEEESt5arrayIPcLm3EELi4E23TrivialOffsetCalculatorILi2EjESD_ILi1EjENS0_6memory15LoadWithoutCastENSG_16StoreWithoutCastEEEviT_T0_T2_T3_T4_T5_
	.p2align	8
	.type	_ZN2at6native27unrolled_elementwise_kernelINS0_13BinaryFunctorIN3c107complexIdEES5_bNS0_12_GLOBAL__N_116CompareEqFunctorIS5_EEEESt5arrayIPcLm3EELi4E23TrivialOffsetCalculatorILi2EjESD_ILi1EjENS0_6memory15LoadWithoutCastENSG_16StoreWithoutCastEEEviT_T0_T2_T3_T4_T5_,@function
_ZN2at6native27unrolled_elementwise_kernelINS0_13BinaryFunctorIN3c107complexIdEES5_bNS0_12_GLOBAL__N_116CompareEqFunctorIS5_EEEESt5arrayIPcLm3EELi4E23TrivialOffsetCalculatorILi2EjESD_ILi1EjENS0_6memory15LoadWithoutCastENSG_16StoreWithoutCastEEEviT_T0_T2_T3_T4_T5_: ; @_ZN2at6native27unrolled_elementwise_kernelINS0_13BinaryFunctorIN3c107complexIdEES5_bNS0_12_GLOBAL__N_116CompareEqFunctorIS5_EEEESt5arrayIPcLm3EELi4E23TrivialOffsetCalculatorILi2EjESD_ILi1EjENS0_6memory15LoadWithoutCastENSG_16StoreWithoutCastEEEviT_T0_T2_T3_T4_T5_
; %bb.0:
	s_load_dwordx2 s[2:3], s[4:5], 0x0
	s_load_dwordx4 s[8:11], s[4:5], 0x8
	s_load_dwordx2 s[12:13], s[4:5], 0x18
	s_lshl_b32 s14, s6, 10
	v_mov_b32_e32 v1, 0
	s_waitcnt lgkmcnt(0)
	s_sub_i32 s15, s2, s14
	v_mov_b32_e32 v13, 0
	v_mov_b32_e32 v15, 0
	;; [unrolled: 1-line block ×4, first 2 shown]
	v_cmp_gt_i32_e64 s[0:1], s15, v0
	v_mov_b32_e32 v2, 0
	v_or_b32_e32 v33, s14, v0
	v_mov_b32_e32 v14, 0
	v_mov_b32_e32 v16, 0
	;; [unrolled: 1-line block ×5, first 2 shown]
	s_and_saveexec_b64 s[4:5], s[0:1]
	s_cbranch_execz .LBB116_2
; %bb.1:
	v_mov_b32_e32 v34, 0
	v_lshlrev_b64 v[3:4], 4, v[33:34]
	v_mov_b32_e32 v6, s13
	v_add_co_u32_e32 v5, vcc, s12, v3
	v_addc_co_u32_e32 v6, vcc, v6, v4, vcc
	v_mov_b32_e32 v7, s11
	v_add_co_u32_e32 v3, vcc, s10, v3
	v_addc_co_u32_e32 v4, vcc, v7, v4, vcc
	global_load_dwordx4 v[9:12], v[3:4], off
	global_load_dwordx4 v[13:16], v[5:6], off
	v_or_b32_e32 v34, 0x100, v0
.LBB116_2:
	s_or_b64 exec, exec, s[4:5]
	v_mov_b32_e32 v3, 0
	v_mov_b32_e32 v17, 0
	;; [unrolled: 1-line block ×6, first 2 shown]
	v_cmp_gt_i32_e32 vcc, s15, v34
	s_and_saveexec_b64 s[4:5], vcc
	s_cbranch_execz .LBB116_4
; %bb.3:
	v_add_u32_e32 v1, s14, v34
	v_mov_b32_e32 v2, 0
	v_lshlrev_b64 v[1:2], 4, v[1:2]
	v_mov_b32_e32 v3, s13
	v_add_co_u32_e32 v5, vcc, s12, v1
	v_addc_co_u32_e32 v6, vcc, v3, v2, vcc
	v_mov_b32_e32 v3, s11
	v_add_co_u32_e32 v7, vcc, s10, v1
	v_addc_co_u32_e32 v8, vcc, v3, v2, vcc
	global_load_dwordx4 v[17:20], v[7:8], off
	global_load_dwordx4 v[1:4], v[5:6], off
	v_add_u32_e32 v34, 0x100, v34
.LBB116_4:
	s_or_b64 exec, exec, s[4:5]
	v_mov_b32_e32 v5, 0
	v_mov_b32_e32 v25, 0
	;; [unrolled: 1-line block ×10, first 2 shown]
	v_cmp_gt_i32_e32 vcc, s15, v34
	s_and_saveexec_b64 s[4:5], vcc
	s_cbranch_execz .LBB116_6
; %bb.5:
	v_add_u32_e32 v7, s14, v34
	v_mov_b32_e32 v8, 0
	v_lshlrev_b64 v[7:8], 4, v[7:8]
	v_mov_b32_e32 v21, s13
	v_add_co_u32_e32 v29, vcc, s12, v7
	v_addc_co_u32_e32 v30, vcc, v21, v8, vcc
	v_mov_b32_e32 v21, s11
	v_add_co_u32_e32 v7, vcc, s10, v7
	v_addc_co_u32_e32 v8, vcc, v21, v8, vcc
	global_load_dwordx4 v[21:24], v[7:8], off
	global_load_dwordx4 v[25:28], v[29:30], off
	v_add_u32_e32 v34, 0x100, v34
.LBB116_6:
	s_or_b64 exec, exec, s[4:5]
	v_mov_b32_e32 v7, 0
	v_mov_b32_e32 v29, 0
	;; [unrolled: 1-line block ×6, first 2 shown]
	v_cmp_gt_i32_e32 vcc, s15, v34
	s_and_saveexec_b64 s[4:5], vcc
	s_cbranch_execz .LBB116_8
; %bb.7:
	v_add_u32_e32 v5, s14, v34
	v_mov_b32_e32 v6, 0
	v_lshlrev_b64 v[5:6], 4, v[5:6]
	v_mov_b32_e32 v7, s13
	v_add_co_u32_e32 v34, vcc, s12, v5
	v_addc_co_u32_e32 v35, vcc, v7, v6, vcc
	v_mov_b32_e32 v7, s11
	v_add_co_u32_e32 v36, vcc, s10, v5
	v_addc_co_u32_e32 v37, vcc, v7, v6, vcc
	global_load_dwordx4 v[29:32], v[36:37], off
	global_load_dwordx4 v[5:8], v[34:35], off
.LBB116_8:
	s_or_b64 exec, exec, s[4:5]
	s_cmp_lg_u32 s3, 0
	s_cselect_b64 s[4:5], -1, 0
                                        ; implicit-def: $vgpr34
	s_and_saveexec_b64 s[6:7], s[0:1]
	s_cbranch_execz .LBB116_13
; %bb.9:
	s_and_b64 vcc, exec, s[4:5]
	s_cbranch_vccz .LBB116_37
; %bb.10:
	s_waitcnt vmcnt(0)
	v_cmp_neq_f64_e32 vcc, v[9:10], v[13:14]
	v_cmp_neq_f64_e64 s[2:3], v[11:12], v[15:16]
	s_or_b64 s[10:11], vcc, s[2:3]
	s_cbranch_execnz .LBB116_12
.LBB116_11:
	s_waitcnt vmcnt(0)
	v_cmp_eq_f64_e32 vcc, v[9:10], v[13:14]
	v_cmp_eq_f64_e64 s[2:3], v[11:12], v[15:16]
	s_andn2_b64 s[10:11], s[10:11], exec
	s_and_b64 s[2:3], vcc, s[2:3]
	s_and_b64 s[2:3], s[2:3], exec
	s_or_b64 s[10:11], s[10:11], s[2:3]
.LBB116_12:
	v_cndmask_b32_e64 v34, 0, 1, s[10:11]
.LBB116_13:
	s_or_b64 exec, exec, s[6:7]
	s_waitcnt vmcnt(1)
	v_or_b32_e32 v9, 0x100, v0
	v_cndmask_b32_e64 v10, 0, 1, s[4:5]
	v_cmp_gt_i32_e32 vcc, s15, v9
	v_cmp_ne_u32_e64 s[2:3], 1, v10
                                        ; implicit-def: $vgpr10
	s_and_saveexec_b64 s[6:7], vcc
	s_cbranch_execz .LBB116_18
; %bb.14:
	s_and_b64 vcc, exec, s[2:3]
	s_cbranch_vccnz .LBB116_38
; %bb.15:
	s_waitcnt vmcnt(0)
	v_cmp_neq_f64_e32 vcc, v[17:18], v[1:2]
	v_cmp_neq_f64_e64 s[4:5], v[19:20], v[3:4]
	s_or_b64 s[10:11], vcc, s[4:5]
	s_cbranch_execnz .LBB116_17
.LBB116_16:
	s_waitcnt vmcnt(0)
	v_cmp_eq_f64_e32 vcc, v[17:18], v[1:2]
	v_cmp_eq_f64_e64 s[4:5], v[19:20], v[3:4]
	s_andn2_b64 s[10:11], s[10:11], exec
	s_and_b64 s[4:5], vcc, s[4:5]
	s_and_b64 s[4:5], s[4:5], exec
	s_or_b64 s[10:11], s[10:11], s[4:5]
.LBB116_17:
	v_cndmask_b32_e64 v10, 0, 1, s[10:11]
.LBB116_18:
	s_or_b64 exec, exec, s[6:7]
	s_waitcnt vmcnt(0)
	v_or_b32_e32 v1, 0x200, v0
	v_cmp_gt_i32_e32 vcc, s15, v1
                                        ; implicit-def: $vgpr1
	s_and_saveexec_b64 s[6:7], vcc
	s_cbranch_execz .LBB116_23
; %bb.19:
	s_and_b64 vcc, exec, s[2:3]
	s_cbranch_vccnz .LBB116_39
; %bb.20:
	v_cmp_neq_f64_e32 vcc, v[21:22], v[25:26]
	v_cmp_neq_f64_e64 s[4:5], v[23:24], v[27:28]
	s_or_b64 s[10:11], vcc, s[4:5]
	s_cbranch_execnz .LBB116_22
.LBB116_21:
	v_cmp_eq_f64_e32 vcc, v[21:22], v[25:26]
	v_cmp_eq_f64_e64 s[4:5], v[23:24], v[27:28]
	s_andn2_b64 s[10:11], s[10:11], exec
	s_and_b64 s[4:5], vcc, s[4:5]
	s_and_b64 s[4:5], s[4:5], exec
	s_or_b64 s[10:11], s[10:11], s[4:5]
.LBB116_22:
	v_cndmask_b32_e64 v1, 0, 1, s[10:11]
.LBB116_23:
	s_or_b64 exec, exec, s[6:7]
	v_or_b32_e32 v2, 0x300, v0
	v_cmp_gt_i32_e32 vcc, s15, v2
                                        ; implicit-def: $vgpr2
	s_and_saveexec_b64 s[4:5], vcc
	s_cbranch_execz .LBB116_28
; %bb.24:
	s_and_b64 vcc, exec, s[2:3]
	s_cbranch_vccnz .LBB116_40
; %bb.25:
	v_cmp_neq_f64_e32 vcc, v[29:30], v[5:6]
	v_cmp_neq_f64_e64 s[2:3], v[31:32], v[7:8]
	s_or_b64 s[6:7], vcc, s[2:3]
	s_cbranch_execnz .LBB116_27
.LBB116_26:
	v_cmp_eq_f64_e32 vcc, v[29:30], v[5:6]
	v_cmp_eq_f64_e64 s[2:3], v[31:32], v[7:8]
	s_andn2_b64 s[6:7], s[6:7], exec
	s_and_b64 s[2:3], vcc, s[2:3]
	s_and_b64 s[2:3], s[2:3], exec
	s_or_b64 s[6:7], s[6:7], s[2:3]
.LBB116_27:
	v_cndmask_b32_e64 v2, 0, 1, s[6:7]
.LBB116_28:
	s_or_b64 exec, exec, s[4:5]
	s_and_saveexec_b64 s[2:3], s[0:1]
	s_xor_b64 s[0:1], exec, s[2:3]
	s_cbranch_execz .LBB116_30
; %bb.29:
	v_mov_b32_e32 v0, v9
	global_store_byte v33, v34, s[8:9]
.LBB116_30:
	s_or_b64 exec, exec, s[0:1]
	v_cmp_gt_i32_e32 vcc, s15, v0
	s_and_saveexec_b64 s[0:1], vcc
	s_cbranch_execnz .LBB116_34
; %bb.31:
	s_or_b64 exec, exec, s[0:1]
	v_cmp_gt_i32_e32 vcc, s15, v0
	s_and_saveexec_b64 s[0:1], vcc
	s_cbranch_execnz .LBB116_35
.LBB116_32:
	s_or_b64 exec, exec, s[0:1]
	v_cmp_gt_i32_e32 vcc, s15, v0
	s_and_saveexec_b64 s[0:1], vcc
	s_cbranch_execnz .LBB116_36
.LBB116_33:
	s_endpgm
.LBB116_34:
	v_add_u32_e32 v3, 0x100, v0
	v_add_u32_e32 v0, s14, v0
	global_store_byte v0, v10, s[8:9]
	v_mov_b32_e32 v0, v3
	s_or_b64 exec, exec, s[0:1]
	v_cmp_gt_i32_e32 vcc, s15, v0
	s_and_saveexec_b64 s[0:1], vcc
	s_cbranch_execz .LBB116_32
.LBB116_35:
	v_add_u32_e32 v3, 0x100, v0
	v_add_u32_e32 v0, s14, v0
	global_store_byte v0, v1, s[8:9]
	v_mov_b32_e32 v0, v3
	s_or_b64 exec, exec, s[0:1]
	v_cmp_gt_i32_e32 vcc, s15, v0
	s_and_saveexec_b64 s[0:1], vcc
	s_cbranch_execz .LBB116_33
.LBB116_36:
	v_add_u32_e32 v0, s14, v0
	global_store_byte v0, v2, s[8:9]
	s_endpgm
.LBB116_37:
                                        ; implicit-def: $sgpr10_sgpr11
	s_branch .LBB116_11
.LBB116_38:
                                        ; implicit-def: $sgpr10_sgpr11
	s_branch .LBB116_16
.LBB116_39:
                                        ; implicit-def: $sgpr10_sgpr11
	s_branch .LBB116_21
.LBB116_40:
                                        ; implicit-def: $sgpr6_sgpr7
	s_branch .LBB116_26
	.section	.rodata,"a",@progbits
	.p2align	6, 0x0
	.amdhsa_kernel _ZN2at6native27unrolled_elementwise_kernelINS0_13BinaryFunctorIN3c107complexIdEES5_bNS0_12_GLOBAL__N_116CompareEqFunctorIS5_EEEESt5arrayIPcLm3EELi4E23TrivialOffsetCalculatorILi2EjESD_ILi1EjENS0_6memory15LoadWithoutCastENSG_16StoreWithoutCastEEEviT_T0_T2_T3_T4_T5_
		.amdhsa_group_segment_fixed_size 0
		.amdhsa_private_segment_fixed_size 0
		.amdhsa_kernarg_size 36
		.amdhsa_user_sgpr_count 6
		.amdhsa_user_sgpr_private_segment_buffer 1
		.amdhsa_user_sgpr_dispatch_ptr 0
		.amdhsa_user_sgpr_queue_ptr 0
		.amdhsa_user_sgpr_kernarg_segment_ptr 1
		.amdhsa_user_sgpr_dispatch_id 0
		.amdhsa_user_sgpr_flat_scratch_init 0
		.amdhsa_user_sgpr_private_segment_size 0
		.amdhsa_uses_dynamic_stack 0
		.amdhsa_system_sgpr_private_segment_wavefront_offset 0
		.amdhsa_system_sgpr_workgroup_id_x 1
		.amdhsa_system_sgpr_workgroup_id_y 0
		.amdhsa_system_sgpr_workgroup_id_z 0
		.amdhsa_system_sgpr_workgroup_info 0
		.amdhsa_system_vgpr_workitem_id 0
		.amdhsa_next_free_vgpr 38
		.amdhsa_next_free_sgpr 16
		.amdhsa_reserve_vcc 1
		.amdhsa_reserve_flat_scratch 0
		.amdhsa_float_round_mode_32 0
		.amdhsa_float_round_mode_16_64 0
		.amdhsa_float_denorm_mode_32 3
		.amdhsa_float_denorm_mode_16_64 3
		.amdhsa_dx10_clamp 1
		.amdhsa_ieee_mode 1
		.amdhsa_fp16_overflow 0
		.amdhsa_exception_fp_ieee_invalid_op 0
		.amdhsa_exception_fp_denorm_src 0
		.amdhsa_exception_fp_ieee_div_zero 0
		.amdhsa_exception_fp_ieee_overflow 0
		.amdhsa_exception_fp_ieee_underflow 0
		.amdhsa_exception_fp_ieee_inexact 0
		.amdhsa_exception_int_div_zero 0
	.end_amdhsa_kernel
	.section	.text._ZN2at6native27unrolled_elementwise_kernelINS0_13BinaryFunctorIN3c107complexIdEES5_bNS0_12_GLOBAL__N_116CompareEqFunctorIS5_EEEESt5arrayIPcLm3EELi4E23TrivialOffsetCalculatorILi2EjESD_ILi1EjENS0_6memory15LoadWithoutCastENSG_16StoreWithoutCastEEEviT_T0_T2_T3_T4_T5_,"axG",@progbits,_ZN2at6native27unrolled_elementwise_kernelINS0_13BinaryFunctorIN3c107complexIdEES5_bNS0_12_GLOBAL__N_116CompareEqFunctorIS5_EEEESt5arrayIPcLm3EELi4E23TrivialOffsetCalculatorILi2EjESD_ILi1EjENS0_6memory15LoadWithoutCastENSG_16StoreWithoutCastEEEviT_T0_T2_T3_T4_T5_,comdat
.Lfunc_end116:
	.size	_ZN2at6native27unrolled_elementwise_kernelINS0_13BinaryFunctorIN3c107complexIdEES5_bNS0_12_GLOBAL__N_116CompareEqFunctorIS5_EEEESt5arrayIPcLm3EELi4E23TrivialOffsetCalculatorILi2EjESD_ILi1EjENS0_6memory15LoadWithoutCastENSG_16StoreWithoutCastEEEviT_T0_T2_T3_T4_T5_, .Lfunc_end116-_ZN2at6native27unrolled_elementwise_kernelINS0_13BinaryFunctorIN3c107complexIdEES5_bNS0_12_GLOBAL__N_116CompareEqFunctorIS5_EEEESt5arrayIPcLm3EELi4E23TrivialOffsetCalculatorILi2EjESD_ILi1EjENS0_6memory15LoadWithoutCastENSG_16StoreWithoutCastEEEviT_T0_T2_T3_T4_T5_
                                        ; -- End function
	.set _ZN2at6native27unrolled_elementwise_kernelINS0_13BinaryFunctorIN3c107complexIdEES5_bNS0_12_GLOBAL__N_116CompareEqFunctorIS5_EEEESt5arrayIPcLm3EELi4E23TrivialOffsetCalculatorILi2EjESD_ILi1EjENS0_6memory15LoadWithoutCastENSG_16StoreWithoutCastEEEviT_T0_T2_T3_T4_T5_.num_vgpr, 38
	.set _ZN2at6native27unrolled_elementwise_kernelINS0_13BinaryFunctorIN3c107complexIdEES5_bNS0_12_GLOBAL__N_116CompareEqFunctorIS5_EEEESt5arrayIPcLm3EELi4E23TrivialOffsetCalculatorILi2EjESD_ILi1EjENS0_6memory15LoadWithoutCastENSG_16StoreWithoutCastEEEviT_T0_T2_T3_T4_T5_.num_agpr, 0
	.set _ZN2at6native27unrolled_elementwise_kernelINS0_13BinaryFunctorIN3c107complexIdEES5_bNS0_12_GLOBAL__N_116CompareEqFunctorIS5_EEEESt5arrayIPcLm3EELi4E23TrivialOffsetCalculatorILi2EjESD_ILi1EjENS0_6memory15LoadWithoutCastENSG_16StoreWithoutCastEEEviT_T0_T2_T3_T4_T5_.numbered_sgpr, 16
	.set _ZN2at6native27unrolled_elementwise_kernelINS0_13BinaryFunctorIN3c107complexIdEES5_bNS0_12_GLOBAL__N_116CompareEqFunctorIS5_EEEESt5arrayIPcLm3EELi4E23TrivialOffsetCalculatorILi2EjESD_ILi1EjENS0_6memory15LoadWithoutCastENSG_16StoreWithoutCastEEEviT_T0_T2_T3_T4_T5_.num_named_barrier, 0
	.set _ZN2at6native27unrolled_elementwise_kernelINS0_13BinaryFunctorIN3c107complexIdEES5_bNS0_12_GLOBAL__N_116CompareEqFunctorIS5_EEEESt5arrayIPcLm3EELi4E23TrivialOffsetCalculatorILi2EjESD_ILi1EjENS0_6memory15LoadWithoutCastENSG_16StoreWithoutCastEEEviT_T0_T2_T3_T4_T5_.private_seg_size, 0
	.set _ZN2at6native27unrolled_elementwise_kernelINS0_13BinaryFunctorIN3c107complexIdEES5_bNS0_12_GLOBAL__N_116CompareEqFunctorIS5_EEEESt5arrayIPcLm3EELi4E23TrivialOffsetCalculatorILi2EjESD_ILi1EjENS0_6memory15LoadWithoutCastENSG_16StoreWithoutCastEEEviT_T0_T2_T3_T4_T5_.uses_vcc, 1
	.set _ZN2at6native27unrolled_elementwise_kernelINS0_13BinaryFunctorIN3c107complexIdEES5_bNS0_12_GLOBAL__N_116CompareEqFunctorIS5_EEEESt5arrayIPcLm3EELi4E23TrivialOffsetCalculatorILi2EjESD_ILi1EjENS0_6memory15LoadWithoutCastENSG_16StoreWithoutCastEEEviT_T0_T2_T3_T4_T5_.uses_flat_scratch, 0
	.set _ZN2at6native27unrolled_elementwise_kernelINS0_13BinaryFunctorIN3c107complexIdEES5_bNS0_12_GLOBAL__N_116CompareEqFunctorIS5_EEEESt5arrayIPcLm3EELi4E23TrivialOffsetCalculatorILi2EjESD_ILi1EjENS0_6memory15LoadWithoutCastENSG_16StoreWithoutCastEEEviT_T0_T2_T3_T4_T5_.has_dyn_sized_stack, 0
	.set _ZN2at6native27unrolled_elementwise_kernelINS0_13BinaryFunctorIN3c107complexIdEES5_bNS0_12_GLOBAL__N_116CompareEqFunctorIS5_EEEESt5arrayIPcLm3EELi4E23TrivialOffsetCalculatorILi2EjESD_ILi1EjENS0_6memory15LoadWithoutCastENSG_16StoreWithoutCastEEEviT_T0_T2_T3_T4_T5_.has_recursion, 0
	.set _ZN2at6native27unrolled_elementwise_kernelINS0_13BinaryFunctorIN3c107complexIdEES5_bNS0_12_GLOBAL__N_116CompareEqFunctorIS5_EEEESt5arrayIPcLm3EELi4E23TrivialOffsetCalculatorILi2EjESD_ILi1EjENS0_6memory15LoadWithoutCastENSG_16StoreWithoutCastEEEviT_T0_T2_T3_T4_T5_.has_indirect_call, 0
	.section	.AMDGPU.csdata,"",@progbits
; Kernel info:
; codeLenInByte = 1060
; TotalNumSgprs: 20
; NumVgprs: 38
; ScratchSize: 0
; MemoryBound: 1
; FloatMode: 240
; IeeeMode: 1
; LDSByteSize: 0 bytes/workgroup (compile time only)
; SGPRBlocks: 2
; VGPRBlocks: 9
; NumSGPRsForWavesPerEU: 20
; NumVGPRsForWavesPerEU: 38
; Occupancy: 6
; WaveLimiterHint : 0
; COMPUTE_PGM_RSRC2:SCRATCH_EN: 0
; COMPUTE_PGM_RSRC2:USER_SGPR: 6
; COMPUTE_PGM_RSRC2:TRAP_HANDLER: 0
; COMPUTE_PGM_RSRC2:TGID_X_EN: 1
; COMPUTE_PGM_RSRC2:TGID_Y_EN: 0
; COMPUTE_PGM_RSRC2:TGID_Z_EN: 0
; COMPUTE_PGM_RSRC2:TIDIG_COMP_CNT: 0
	.section	.text._ZN2at6native32elementwise_kernel_manual_unrollILi128ELi8EZNS0_22gpu_kernel_impl_nocastINS0_13BinaryFunctorIN3c107complexIdEES6_bNS0_12_GLOBAL__N_116CompareEqFunctorIS6_EEEEEEvRNS_18TensorIteratorBaseERKT_EUlibE_EEviT1_,"axG",@progbits,_ZN2at6native32elementwise_kernel_manual_unrollILi128ELi8EZNS0_22gpu_kernel_impl_nocastINS0_13BinaryFunctorIN3c107complexIdEES6_bNS0_12_GLOBAL__N_116CompareEqFunctorIS6_EEEEEEvRNS_18TensorIteratorBaseERKT_EUlibE_EEviT1_,comdat
	.globl	_ZN2at6native32elementwise_kernel_manual_unrollILi128ELi8EZNS0_22gpu_kernel_impl_nocastINS0_13BinaryFunctorIN3c107complexIdEES6_bNS0_12_GLOBAL__N_116CompareEqFunctorIS6_EEEEEEvRNS_18TensorIteratorBaseERKT_EUlibE_EEviT1_ ; -- Begin function _ZN2at6native32elementwise_kernel_manual_unrollILi128ELi8EZNS0_22gpu_kernel_impl_nocastINS0_13BinaryFunctorIN3c107complexIdEES6_bNS0_12_GLOBAL__N_116CompareEqFunctorIS6_EEEEEEvRNS_18TensorIteratorBaseERKT_EUlibE_EEviT1_
	.p2align	8
	.type	_ZN2at6native32elementwise_kernel_manual_unrollILi128ELi8EZNS0_22gpu_kernel_impl_nocastINS0_13BinaryFunctorIN3c107complexIdEES6_bNS0_12_GLOBAL__N_116CompareEqFunctorIS6_EEEEEEvRNS_18TensorIteratorBaseERKT_EUlibE_EEviT1_,@function
_ZN2at6native32elementwise_kernel_manual_unrollILi128ELi8EZNS0_22gpu_kernel_impl_nocastINS0_13BinaryFunctorIN3c107complexIdEES6_bNS0_12_GLOBAL__N_116CompareEqFunctorIS6_EEEEEEvRNS_18TensorIteratorBaseERKT_EUlibE_EEviT1_: ; @_ZN2at6native32elementwise_kernel_manual_unrollILi128ELi8EZNS0_22gpu_kernel_impl_nocastINS0_13BinaryFunctorIN3c107complexIdEES6_bNS0_12_GLOBAL__N_116CompareEqFunctorIS6_EEEEEEvRNS_18TensorIteratorBaseERKT_EUlibE_EEviT1_
; %bb.0:
	s_load_dword s40, s[4:5], 0x0
	s_load_dword s33, s[4:5], 0x8
	s_add_u32 s2, s4, 8
	s_addc_u32 s3, s5, 0
	v_lshl_or_b32 v38, s6, 10, v0
	v_or_b32_e32 v0, 0x380, v38
	s_waitcnt lgkmcnt(0)
	s_add_i32 s38, s33, -1
	s_cmp_gt_u32 s38, 1
	v_cmp_le_i32_e32 vcc, s40, v0
	s_cselect_b64 s[16:17], -1, 0
	s_and_saveexec_b64 s[0:1], vcc
	s_xor_b64 s[18:19], exec, s[0:1]
	s_cbranch_execz .LBB117_137
; %bb.1:
	s_load_dwordx4 s[12:15], s[2:3], 0x4
	s_load_dwordx2 s[26:27], s[2:3], 0x14
	s_load_dwordx4 s[8:11], s[2:3], 0xc4
	s_load_dwordx2 s[24:25], s[2:3], 0xd4
	s_load_dword s0, s[2:3], 0x1a0
	s_cmp_lg_u32 s33, 0
	s_load_dwordx2 s[22:23], s[2:3], 0x198
	s_load_dwordx4 s[4:7], s[2:3], 0x188
	s_cselect_b64 s[30:31], -1, 0
	s_min_u32 s39, s38, 15
	s_cmp_gt_u32 s33, 1
	s_cselect_b64 s[28:29], -1, 0
	s_waitcnt lgkmcnt(0)
	s_cmp_lg_u32 s0, 0
	s_cselect_b64 s[20:21], -1, 0
	v_cmp_gt_i32_e32 vcc, s40, v38
	s_and_saveexec_b64 s[34:35], vcc
	s_cbranch_execnz .LBB117_9
; %bb.2:
	s_or_b64 exec, exec, s[34:35]
	v_cmp_gt_i32_e32 vcc, s40, v38
	s_and_saveexec_b64 s[34:35], vcc
	s_cbranch_execnz .LBB117_24
.LBB117_3:
	s_or_b64 exec, exec, s[34:35]
	v_cmp_gt_i32_e32 vcc, s40, v38
	s_and_saveexec_b64 s[34:35], vcc
	s_cbranch_execnz .LBB117_40
.LBB117_4:
	s_or_b64 exec, exec, s[34:35]
	v_cmp_gt_i32_e32 vcc, s40, v38
	s_and_saveexec_b64 s[34:35], vcc
	s_cbranch_execnz .LBB117_56
.LBB117_5:
	s_or_b64 exec, exec, s[34:35]
	v_cmp_gt_i32_e32 vcc, s40, v38
	s_and_saveexec_b64 s[34:35], vcc
	s_cbranch_execnz .LBB117_72
.LBB117_6:
	s_or_b64 exec, exec, s[34:35]
	v_cmp_gt_i32_e32 vcc, s40, v38
	s_and_saveexec_b64 s[34:35], vcc
	s_cbranch_execnz .LBB117_88
.LBB117_7:
	s_or_b64 exec, exec, s[34:35]
	v_cmp_gt_i32_e32 vcc, s40, v38
	s_and_saveexec_b64 s[34:35], vcc
	s_cbranch_execnz .LBB117_104
.LBB117_8:
	s_or_b64 exec, exec, s[34:35]
	v_cmp_gt_i32_e32 vcc, s40, v38
	s_and_saveexec_b64 s[34:35], vcc
	s_cbranch_execnz .LBB117_120
	s_branch .LBB117_136
.LBB117_9:
	s_andn2_b64 vcc, exec, s[16:17]
	s_cbranch_vccnz .LBB117_15
; %bb.10:
	s_andn2_b64 vcc, exec, s[30:31]
	s_cbranch_vccnz .LBB117_16
; %bb.11:
	s_add_i32 s0, s39, 1
	s_and_b32 s36, s0, 30
	s_add_u32 s0, s2, 0xffffffe8
	s_addc_u32 s1, s3, -1
	v_mov_b32_e32 v10, 0
	v_mov_b32_e32 v12, 0
	;; [unrolled: 1-line block ×4, first 2 shown]
.LBB117_12:                             ; =>This Inner Loop Header: Depth=1
	s_load_dwordx4 s[44:47], s[0:1], 0x1c
	s_load_dwordx2 s[42:43], s[0:1], 0x2c
	s_load_dwordx2 s[52:53], s[0:1], 0xec
	s_load_dwordx4 s[48:51], s[0:1], 0xdc
	s_add_u32 s0, s0, 24
	s_waitcnt lgkmcnt(0)
	v_mul_hi_u32 v1, s45, v0
	s_addc_u32 s1, s1, 0
	s_add_i32 s36, s36, -2
	s_cmp_lg_u32 s36, 0
	v_add_u32_e32 v1, v0, v1
	v_lshrrev_b32_e32 v1, s46, v1
	v_mul_lo_u32 v2, v1, s44
	v_mul_hi_u32 v3, s42, v1
	v_sub_u32_e32 v2, v0, v2
	v_add_u32_e32 v0, v1, v3
	v_lshrrev_b32_e32 v0, s43, v0
	v_mul_lo_u32 v5, v0, s47
	v_mul_lo_u32 v3, v2, s48
	;; [unrolled: 1-line block ×4, first 2 shown]
	v_sub_u32_e32 v1, v1, v5
	v_mul_lo_u32 v5, v1, s51
	v_mul_lo_u32 v6, v1, s52
	;; [unrolled: 1-line block ×3, first 2 shown]
	v_add3_u32 v8, v3, v8, v5
	v_add3_u32 v12, v4, v12, v6
	;; [unrolled: 1-line block ×3, first 2 shown]
	s_cbranch_scc1 .LBB117_12
; %bb.13:
	s_bitcmp1_b32 s39, 0
	s_cselect_b64 s[36:37], -1, 0
	s_and_b64 vcc, exec, s[36:37]
	s_cbranch_vccnz .LBB117_17
; %bb.14:
	s_load_dwordx2 s[36:37], s[0:1], 0x1c
	s_load_dword s41, s[0:1], 0x24
	s_load_dwordx2 s[42:43], s[0:1], 0xdc
	s_waitcnt lgkmcnt(0)
	v_mul_hi_u32 v1, s37, v0
	v_add_u32_e32 v1, v0, v1
	v_lshrrev_b32_e32 v1, s41, v1
	v_mul_lo_u32 v1, v1, s36
	s_load_dword s36, s[0:1], 0xe4
	v_sub_u32_e32 v0, v0, v1
	v_mad_u64_u32 v[8:9], s[0:1], v0, s42, v[8:9]
	v_mad_u64_u32 v[12:13], s[0:1], v0, s43, v[12:13]
	s_waitcnt lgkmcnt(0)
	v_mad_u64_u32 v[10:11], s[0:1], v0, s36, v[10:11]
	s_cbranch_execz .LBB117_18
	s_branch .LBB117_20
.LBB117_15:
                                        ; implicit-def: $vgpr8
                                        ; implicit-def: $vgpr12
                                        ; implicit-def: $vgpr10
	s_branch .LBB117_18
.LBB117_16:
	v_mov_b32_e32 v8, 0
	v_mov_b32_e32 v12, 0
	;; [unrolled: 1-line block ×3, first 2 shown]
.LBB117_17:
	s_cbranch_execnz .LBB117_20
.LBB117_18:
	v_mul_hi_u32 v0, s13, v38
	s_andn2_b64 vcc, exec, s[28:29]
	v_add_u32_e32 v0, v38, v0
	v_lshrrev_b32_e32 v0, s14, v0
	v_mul_lo_u32 v1, v0, s12
	v_sub_u32_e32 v1, v38, v1
	v_mul_lo_u32 v8, v1, s8
	v_mul_lo_u32 v12, v1, s9
	;; [unrolled: 1-line block ×3, first 2 shown]
	s_cbranch_vccnz .LBB117_20
; %bb.19:
	v_mul_hi_u32 v1, s26, v0
	v_add_u32_e32 v1, v0, v1
	v_lshrrev_b32_e32 v1, s27, v1
	v_mul_lo_u32 v1, v1, s15
	v_sub_u32_e32 v0, v0, v1
	v_mad_u64_u32 v[8:9], s[0:1], v0, s11, v[8:9]
	v_mad_u64_u32 v[12:13], s[0:1], v0, s24, v[12:13]
	;; [unrolled: 1-line block ×3, first 2 shown]
.LBB117_20:
	global_load_dwordx4 v[0:3], v12, s[6:7]
	global_load_dwordx4 v[4:7], v10, s[22:23]
	s_and_b64 vcc, exec, s[20:21]
	s_cbranch_vccz .LBB117_31
; %bb.21:
	s_waitcnt vmcnt(0)
	v_cmp_neq_f64_e32 vcc, v[0:1], v[4:5]
	v_cmp_neq_f64_e64 s[0:1], v[2:3], v[6:7]
	s_or_b64 s[36:37], vcc, s[0:1]
	s_cbranch_execnz .LBB117_23
.LBB117_22:
	s_waitcnt vmcnt(0)
	v_cmp_eq_f64_e32 vcc, v[0:1], v[4:5]
	v_cmp_eq_f64_e64 s[0:1], v[2:3], v[6:7]
	s_andn2_b64 s[36:37], s[36:37], exec
	s_and_b64 s[0:1], vcc, s[0:1]
	s_and_b64 s[0:1], s[0:1], exec
	s_or_b64 s[36:37], s[36:37], s[0:1]
.LBB117_23:
	s_waitcnt vmcnt(1)
	v_cndmask_b32_e64 v0, 0, 1, s[36:37]
	v_add_u32_e32 v38, 0x80, v38
	global_store_byte v8, v0, s[4:5]
	s_or_b64 exec, exec, s[34:35]
	v_cmp_gt_i32_e32 vcc, s40, v38
	s_and_saveexec_b64 s[34:35], vcc
	s_cbranch_execz .LBB117_3
.LBB117_24:
	s_andn2_b64 vcc, exec, s[16:17]
	s_cbranch_vccnz .LBB117_30
; %bb.25:
	s_andn2_b64 vcc, exec, s[30:31]
	s_cbranch_vccnz .LBB117_32
; %bb.26:
	s_add_i32 s0, s39, 1
	s_and_b32 s36, s0, 30
	s_add_u32 s0, s2, 0xffffffe8
	s_addc_u32 s1, s3, -1
	v_mov_b32_e32 v10, 0
	v_mov_b32_e32 v12, 0
	;; [unrolled: 1-line block ×4, first 2 shown]
.LBB117_27:                             ; =>This Inner Loop Header: Depth=1
	s_load_dwordx4 s[44:47], s[0:1], 0x1c
	s_load_dwordx2 s[42:43], s[0:1], 0x2c
	s_load_dwordx2 s[52:53], s[0:1], 0xec
	s_load_dwordx4 s[48:51], s[0:1], 0xdc
	s_add_u32 s0, s0, 24
	s_waitcnt lgkmcnt(0)
	v_mul_hi_u32 v1, s45, v0
	s_addc_u32 s1, s1, 0
	s_add_i32 s36, s36, -2
	s_cmp_eq_u32 s36, 0
	v_add_u32_e32 v1, v0, v1
	v_lshrrev_b32_e32 v1, s46, v1
	v_mul_lo_u32 v2, v1, s44
	v_mul_hi_u32 v3, s42, v1
	v_sub_u32_e32 v2, v0, v2
	v_add_u32_e32 v0, v1, v3
	v_lshrrev_b32_e32 v0, s43, v0
	s_waitcnt vmcnt(1)
	v_mul_lo_u32 v5, v0, s47
	v_mul_lo_u32 v3, v2, s48
	;; [unrolled: 1-line block ×4, first 2 shown]
	v_sub_u32_e32 v1, v1, v5
	v_mul_lo_u32 v5, v1, s51
	v_mul_lo_u32 v6, v1, s52
	;; [unrolled: 1-line block ×3, first 2 shown]
	v_add3_u32 v8, v3, v8, v5
	v_add3_u32 v12, v4, v12, v6
	;; [unrolled: 1-line block ×3, first 2 shown]
	s_cbranch_scc0 .LBB117_27
; %bb.28:
	s_bitcmp1_b32 s39, 0
	s_cselect_b64 s[36:37], -1, 0
	s_and_b64 vcc, exec, s[36:37]
	s_cbranch_vccnz .LBB117_33
; %bb.29:
	s_load_dwordx2 s[36:37], s[0:1], 0x1c
	s_load_dword s41, s[0:1], 0x24
	s_load_dwordx2 s[42:43], s[0:1], 0xdc
	s_waitcnt lgkmcnt(0)
	v_mul_hi_u32 v1, s37, v0
	v_add_u32_e32 v1, v0, v1
	v_lshrrev_b32_e32 v1, s41, v1
	v_mul_lo_u32 v1, v1, s36
	s_load_dword s36, s[0:1], 0xe4
	v_sub_u32_e32 v0, v0, v1
	v_mad_u64_u32 v[8:9], s[0:1], v0, s42, v[8:9]
	v_mad_u64_u32 v[12:13], s[0:1], v0, s43, v[12:13]
	s_waitcnt lgkmcnt(0)
	v_mad_u64_u32 v[10:11], s[0:1], v0, s36, v[10:11]
	s_branch .LBB117_33
.LBB117_30:
                                        ; implicit-def: $vgpr8
                                        ; implicit-def: $vgpr12
                                        ; implicit-def: $vgpr10
	s_branch .LBB117_34
.LBB117_31:
                                        ; implicit-def: $sgpr36_sgpr37
	s_branch .LBB117_22
.LBB117_32:
	v_mov_b32_e32 v8, 0
	v_mov_b32_e32 v12, 0
	;; [unrolled: 1-line block ×3, first 2 shown]
.LBB117_33:
	s_cbranch_execnz .LBB117_36
.LBB117_34:
	v_mul_hi_u32 v0, s13, v38
	s_andn2_b64 vcc, exec, s[28:29]
	v_add_u32_e32 v0, v38, v0
	v_lshrrev_b32_e32 v0, s14, v0
	v_mul_lo_u32 v1, v0, s12
	v_sub_u32_e32 v1, v38, v1
	v_mul_lo_u32 v8, v1, s8
	v_mul_lo_u32 v12, v1, s9
	;; [unrolled: 1-line block ×3, first 2 shown]
	s_cbranch_vccnz .LBB117_36
; %bb.35:
	v_mul_hi_u32 v1, s26, v0
	v_add_u32_e32 v1, v0, v1
	v_lshrrev_b32_e32 v1, s27, v1
	v_mul_lo_u32 v1, v1, s15
	v_sub_u32_e32 v0, v0, v1
	v_mad_u64_u32 v[8:9], s[0:1], v0, s11, v[8:9]
	v_mad_u64_u32 v[12:13], s[0:1], v0, s24, v[12:13]
	;; [unrolled: 1-line block ×3, first 2 shown]
.LBB117_36:
	global_load_dwordx4 v[0:3], v12, s[6:7]
	global_load_dwordx4 v[4:7], v10, s[22:23]
	s_andn2_b64 vcc, exec, s[20:21]
	s_cbranch_vccnz .LBB117_47
; %bb.37:
	s_waitcnt vmcnt(0)
	v_cmp_neq_f64_e32 vcc, v[0:1], v[4:5]
	v_cmp_neq_f64_e64 s[0:1], v[2:3], v[6:7]
	s_or_b64 s[36:37], vcc, s[0:1]
	s_cbranch_execnz .LBB117_39
.LBB117_38:
	s_waitcnt vmcnt(0)
	v_cmp_eq_f64_e32 vcc, v[0:1], v[4:5]
	v_cmp_eq_f64_e64 s[0:1], v[2:3], v[6:7]
	s_andn2_b64 s[36:37], s[36:37], exec
	s_and_b64 s[0:1], vcc, s[0:1]
	s_and_b64 s[0:1], s[0:1], exec
	s_or_b64 s[36:37], s[36:37], s[0:1]
.LBB117_39:
	s_waitcnt vmcnt(1)
	v_cndmask_b32_e64 v0, 0, 1, s[36:37]
	v_add_u32_e32 v38, 0x80, v38
	global_store_byte v8, v0, s[4:5]
	s_or_b64 exec, exec, s[34:35]
	v_cmp_gt_i32_e32 vcc, s40, v38
	s_and_saveexec_b64 s[34:35], vcc
	s_cbranch_execz .LBB117_4
.LBB117_40:
	s_andn2_b64 vcc, exec, s[16:17]
	s_cbranch_vccnz .LBB117_46
; %bb.41:
	s_andn2_b64 vcc, exec, s[30:31]
	s_cbranch_vccnz .LBB117_48
; %bb.42:
	s_add_i32 s0, s39, 1
	s_and_b32 s36, s0, 30
	s_add_u32 s0, s2, 0xffffffe8
	s_addc_u32 s1, s3, -1
	v_mov_b32_e32 v10, 0
	v_mov_b32_e32 v12, 0
	;; [unrolled: 1-line block ×4, first 2 shown]
.LBB117_43:                             ; =>This Inner Loop Header: Depth=1
	s_load_dwordx4 s[44:47], s[0:1], 0x1c
	s_load_dwordx2 s[42:43], s[0:1], 0x2c
	s_load_dwordx2 s[52:53], s[0:1], 0xec
	s_load_dwordx4 s[48:51], s[0:1], 0xdc
	s_add_u32 s0, s0, 24
	s_waitcnt lgkmcnt(0)
	v_mul_hi_u32 v1, s45, v0
	s_addc_u32 s1, s1, 0
	s_add_i32 s36, s36, -2
	s_cmp_eq_u32 s36, 0
	v_add_u32_e32 v1, v0, v1
	v_lshrrev_b32_e32 v1, s46, v1
	v_mul_lo_u32 v2, v1, s44
	v_mul_hi_u32 v3, s42, v1
	v_sub_u32_e32 v2, v0, v2
	v_add_u32_e32 v0, v1, v3
	v_lshrrev_b32_e32 v0, s43, v0
	s_waitcnt vmcnt(1)
	v_mul_lo_u32 v5, v0, s47
	v_mul_lo_u32 v3, v2, s48
	;; [unrolled: 1-line block ×4, first 2 shown]
	v_sub_u32_e32 v1, v1, v5
	v_mul_lo_u32 v5, v1, s51
	v_mul_lo_u32 v6, v1, s52
	v_mul_lo_u32 v1, v1, s53
	v_add3_u32 v8, v3, v8, v5
	v_add3_u32 v12, v4, v12, v6
	;; [unrolled: 1-line block ×3, first 2 shown]
	s_cbranch_scc0 .LBB117_43
; %bb.44:
	s_bitcmp1_b32 s39, 0
	s_cselect_b64 s[36:37], -1, 0
	s_and_b64 vcc, exec, s[36:37]
	s_cbranch_vccnz .LBB117_49
; %bb.45:
	s_load_dwordx2 s[36:37], s[0:1], 0x1c
	s_load_dword s41, s[0:1], 0x24
	s_load_dwordx2 s[42:43], s[0:1], 0xdc
	s_waitcnt lgkmcnt(0)
	v_mul_hi_u32 v1, s37, v0
	v_add_u32_e32 v1, v0, v1
	v_lshrrev_b32_e32 v1, s41, v1
	v_mul_lo_u32 v1, v1, s36
	s_load_dword s36, s[0:1], 0xe4
	v_sub_u32_e32 v0, v0, v1
	v_mad_u64_u32 v[8:9], s[0:1], v0, s42, v[8:9]
	v_mad_u64_u32 v[12:13], s[0:1], v0, s43, v[12:13]
	s_waitcnt lgkmcnt(0)
	v_mad_u64_u32 v[10:11], s[0:1], v0, s36, v[10:11]
	s_branch .LBB117_49
.LBB117_46:
                                        ; implicit-def: $vgpr8
                                        ; implicit-def: $vgpr12
                                        ; implicit-def: $vgpr10
	s_branch .LBB117_50
.LBB117_47:
                                        ; implicit-def: $sgpr36_sgpr37
	s_branch .LBB117_38
.LBB117_48:
	v_mov_b32_e32 v8, 0
	v_mov_b32_e32 v12, 0
	;; [unrolled: 1-line block ×3, first 2 shown]
.LBB117_49:
	s_cbranch_execnz .LBB117_52
.LBB117_50:
	v_mul_hi_u32 v0, s13, v38
	s_andn2_b64 vcc, exec, s[28:29]
	v_add_u32_e32 v0, v38, v0
	v_lshrrev_b32_e32 v0, s14, v0
	v_mul_lo_u32 v1, v0, s12
	v_sub_u32_e32 v1, v38, v1
	v_mul_lo_u32 v8, v1, s8
	v_mul_lo_u32 v12, v1, s9
	;; [unrolled: 1-line block ×3, first 2 shown]
	s_cbranch_vccnz .LBB117_52
; %bb.51:
	v_mul_hi_u32 v1, s26, v0
	v_add_u32_e32 v1, v0, v1
	v_lshrrev_b32_e32 v1, s27, v1
	v_mul_lo_u32 v1, v1, s15
	v_sub_u32_e32 v0, v0, v1
	v_mad_u64_u32 v[8:9], s[0:1], v0, s11, v[8:9]
	v_mad_u64_u32 v[12:13], s[0:1], v0, s24, v[12:13]
	;; [unrolled: 1-line block ×3, first 2 shown]
.LBB117_52:
	global_load_dwordx4 v[0:3], v12, s[6:7]
	global_load_dwordx4 v[4:7], v10, s[22:23]
	s_andn2_b64 vcc, exec, s[20:21]
	s_cbranch_vccnz .LBB117_63
; %bb.53:
	s_waitcnt vmcnt(0)
	v_cmp_neq_f64_e32 vcc, v[0:1], v[4:5]
	v_cmp_neq_f64_e64 s[0:1], v[2:3], v[6:7]
	s_or_b64 s[36:37], vcc, s[0:1]
	s_cbranch_execnz .LBB117_55
.LBB117_54:
	s_waitcnt vmcnt(0)
	v_cmp_eq_f64_e32 vcc, v[0:1], v[4:5]
	v_cmp_eq_f64_e64 s[0:1], v[2:3], v[6:7]
	s_andn2_b64 s[36:37], s[36:37], exec
	s_and_b64 s[0:1], vcc, s[0:1]
	s_and_b64 s[0:1], s[0:1], exec
	s_or_b64 s[36:37], s[36:37], s[0:1]
.LBB117_55:
	s_waitcnt vmcnt(1)
	v_cndmask_b32_e64 v0, 0, 1, s[36:37]
	v_add_u32_e32 v38, 0x80, v38
	global_store_byte v8, v0, s[4:5]
	s_or_b64 exec, exec, s[34:35]
	v_cmp_gt_i32_e32 vcc, s40, v38
	s_and_saveexec_b64 s[34:35], vcc
	s_cbranch_execz .LBB117_5
.LBB117_56:
	s_andn2_b64 vcc, exec, s[16:17]
	s_cbranch_vccnz .LBB117_62
; %bb.57:
	s_andn2_b64 vcc, exec, s[30:31]
	s_cbranch_vccnz .LBB117_64
; %bb.58:
	s_add_i32 s0, s39, 1
	s_and_b32 s36, s0, 30
	s_add_u32 s0, s2, 0xffffffe8
	s_addc_u32 s1, s3, -1
	v_mov_b32_e32 v10, 0
	v_mov_b32_e32 v12, 0
	v_mov_b32_e32 v8, 0
	v_mov_b32_e32 v0, v38
.LBB117_59:                             ; =>This Inner Loop Header: Depth=1
	s_load_dwordx4 s[44:47], s[0:1], 0x1c
	s_load_dwordx2 s[42:43], s[0:1], 0x2c
	s_load_dwordx2 s[52:53], s[0:1], 0xec
	s_load_dwordx4 s[48:51], s[0:1], 0xdc
	s_add_u32 s0, s0, 24
	s_waitcnt lgkmcnt(0)
	v_mul_hi_u32 v1, s45, v0
	s_addc_u32 s1, s1, 0
	s_add_i32 s36, s36, -2
	s_cmp_eq_u32 s36, 0
	v_add_u32_e32 v1, v0, v1
	v_lshrrev_b32_e32 v1, s46, v1
	v_mul_lo_u32 v2, v1, s44
	v_mul_hi_u32 v3, s42, v1
	v_sub_u32_e32 v2, v0, v2
	v_add_u32_e32 v0, v1, v3
	v_lshrrev_b32_e32 v0, s43, v0
	s_waitcnt vmcnt(1)
	v_mul_lo_u32 v5, v0, s47
	v_mul_lo_u32 v3, v2, s48
	;; [unrolled: 1-line block ×4, first 2 shown]
	v_sub_u32_e32 v1, v1, v5
	v_mul_lo_u32 v5, v1, s51
	v_mul_lo_u32 v6, v1, s52
	;; [unrolled: 1-line block ×3, first 2 shown]
	v_add3_u32 v8, v3, v8, v5
	v_add3_u32 v12, v4, v12, v6
	;; [unrolled: 1-line block ×3, first 2 shown]
	s_cbranch_scc0 .LBB117_59
; %bb.60:
	s_bitcmp1_b32 s39, 0
	s_cselect_b64 s[36:37], -1, 0
	s_and_b64 vcc, exec, s[36:37]
	s_cbranch_vccnz .LBB117_65
; %bb.61:
	s_load_dwordx2 s[36:37], s[0:1], 0x1c
	s_load_dword s41, s[0:1], 0x24
	s_load_dwordx2 s[42:43], s[0:1], 0xdc
	s_waitcnt lgkmcnt(0)
	v_mul_hi_u32 v1, s37, v0
	v_add_u32_e32 v1, v0, v1
	v_lshrrev_b32_e32 v1, s41, v1
	v_mul_lo_u32 v1, v1, s36
	s_load_dword s36, s[0:1], 0xe4
	v_sub_u32_e32 v0, v0, v1
	v_mad_u64_u32 v[8:9], s[0:1], v0, s42, v[8:9]
	v_mad_u64_u32 v[12:13], s[0:1], v0, s43, v[12:13]
	s_waitcnt lgkmcnt(0)
	v_mad_u64_u32 v[10:11], s[0:1], v0, s36, v[10:11]
	s_branch .LBB117_65
.LBB117_62:
                                        ; implicit-def: $vgpr8
                                        ; implicit-def: $vgpr12
                                        ; implicit-def: $vgpr10
	s_branch .LBB117_66
.LBB117_63:
                                        ; implicit-def: $sgpr36_sgpr37
	s_branch .LBB117_54
.LBB117_64:
	v_mov_b32_e32 v8, 0
	v_mov_b32_e32 v12, 0
	;; [unrolled: 1-line block ×3, first 2 shown]
.LBB117_65:
	s_cbranch_execnz .LBB117_68
.LBB117_66:
	v_mul_hi_u32 v0, s13, v38
	s_andn2_b64 vcc, exec, s[28:29]
	v_add_u32_e32 v0, v38, v0
	v_lshrrev_b32_e32 v0, s14, v0
	v_mul_lo_u32 v1, v0, s12
	v_sub_u32_e32 v1, v38, v1
	v_mul_lo_u32 v8, v1, s8
	v_mul_lo_u32 v12, v1, s9
	;; [unrolled: 1-line block ×3, first 2 shown]
	s_cbranch_vccnz .LBB117_68
; %bb.67:
	v_mul_hi_u32 v1, s26, v0
	v_add_u32_e32 v1, v0, v1
	v_lshrrev_b32_e32 v1, s27, v1
	v_mul_lo_u32 v1, v1, s15
	v_sub_u32_e32 v0, v0, v1
	v_mad_u64_u32 v[8:9], s[0:1], v0, s11, v[8:9]
	v_mad_u64_u32 v[12:13], s[0:1], v0, s24, v[12:13]
	;; [unrolled: 1-line block ×3, first 2 shown]
.LBB117_68:
	global_load_dwordx4 v[0:3], v12, s[6:7]
	global_load_dwordx4 v[4:7], v10, s[22:23]
	s_andn2_b64 vcc, exec, s[20:21]
	s_cbranch_vccnz .LBB117_79
; %bb.69:
	s_waitcnt vmcnt(0)
	v_cmp_neq_f64_e32 vcc, v[0:1], v[4:5]
	v_cmp_neq_f64_e64 s[0:1], v[2:3], v[6:7]
	s_or_b64 s[36:37], vcc, s[0:1]
	s_cbranch_execnz .LBB117_71
.LBB117_70:
	s_waitcnt vmcnt(0)
	v_cmp_eq_f64_e32 vcc, v[0:1], v[4:5]
	v_cmp_eq_f64_e64 s[0:1], v[2:3], v[6:7]
	s_andn2_b64 s[36:37], s[36:37], exec
	s_and_b64 s[0:1], vcc, s[0:1]
	s_and_b64 s[0:1], s[0:1], exec
	s_or_b64 s[36:37], s[36:37], s[0:1]
.LBB117_71:
	s_waitcnt vmcnt(1)
	v_cndmask_b32_e64 v0, 0, 1, s[36:37]
	v_add_u32_e32 v38, 0x80, v38
	global_store_byte v8, v0, s[4:5]
	s_or_b64 exec, exec, s[34:35]
	v_cmp_gt_i32_e32 vcc, s40, v38
	s_and_saveexec_b64 s[34:35], vcc
	s_cbranch_execz .LBB117_6
.LBB117_72:
	s_andn2_b64 vcc, exec, s[16:17]
	s_cbranch_vccnz .LBB117_78
; %bb.73:
	s_andn2_b64 vcc, exec, s[30:31]
	s_cbranch_vccnz .LBB117_80
; %bb.74:
	s_add_i32 s0, s39, 1
	s_and_b32 s36, s0, 30
	s_add_u32 s0, s2, 0xffffffe8
	s_addc_u32 s1, s3, -1
	v_mov_b32_e32 v10, 0
	v_mov_b32_e32 v12, 0
	;; [unrolled: 1-line block ×4, first 2 shown]
.LBB117_75:                             ; =>This Inner Loop Header: Depth=1
	s_load_dwordx4 s[44:47], s[0:1], 0x1c
	s_load_dwordx2 s[42:43], s[0:1], 0x2c
	s_load_dwordx2 s[52:53], s[0:1], 0xec
	s_load_dwordx4 s[48:51], s[0:1], 0xdc
	s_add_u32 s0, s0, 24
	s_waitcnt lgkmcnt(0)
	v_mul_hi_u32 v1, s45, v0
	s_addc_u32 s1, s1, 0
	s_add_i32 s36, s36, -2
	s_cmp_eq_u32 s36, 0
	v_add_u32_e32 v1, v0, v1
	v_lshrrev_b32_e32 v1, s46, v1
	v_mul_lo_u32 v2, v1, s44
	v_mul_hi_u32 v3, s42, v1
	v_sub_u32_e32 v2, v0, v2
	v_add_u32_e32 v0, v1, v3
	v_lshrrev_b32_e32 v0, s43, v0
	s_waitcnt vmcnt(1)
	v_mul_lo_u32 v5, v0, s47
	v_mul_lo_u32 v3, v2, s48
	;; [unrolled: 1-line block ×4, first 2 shown]
	v_sub_u32_e32 v1, v1, v5
	v_mul_lo_u32 v5, v1, s51
	v_mul_lo_u32 v6, v1, s52
	;; [unrolled: 1-line block ×3, first 2 shown]
	v_add3_u32 v8, v3, v8, v5
	v_add3_u32 v12, v4, v12, v6
	v_add3_u32 v10, v2, v10, v1
	s_cbranch_scc0 .LBB117_75
; %bb.76:
	s_bitcmp1_b32 s39, 0
	s_cselect_b64 s[36:37], -1, 0
	s_and_b64 vcc, exec, s[36:37]
	s_cbranch_vccnz .LBB117_81
; %bb.77:
	s_load_dwordx2 s[36:37], s[0:1], 0x1c
	s_load_dword s41, s[0:1], 0x24
	s_load_dwordx2 s[42:43], s[0:1], 0xdc
	s_waitcnt lgkmcnt(0)
	v_mul_hi_u32 v1, s37, v0
	v_add_u32_e32 v1, v0, v1
	v_lshrrev_b32_e32 v1, s41, v1
	v_mul_lo_u32 v1, v1, s36
	s_load_dword s36, s[0:1], 0xe4
	v_sub_u32_e32 v0, v0, v1
	v_mad_u64_u32 v[8:9], s[0:1], v0, s42, v[8:9]
	v_mad_u64_u32 v[12:13], s[0:1], v0, s43, v[12:13]
	s_waitcnt lgkmcnt(0)
	v_mad_u64_u32 v[10:11], s[0:1], v0, s36, v[10:11]
	s_branch .LBB117_81
.LBB117_78:
                                        ; implicit-def: $vgpr8
                                        ; implicit-def: $vgpr12
                                        ; implicit-def: $vgpr10
	s_branch .LBB117_82
.LBB117_79:
                                        ; implicit-def: $sgpr36_sgpr37
	s_branch .LBB117_70
.LBB117_80:
	v_mov_b32_e32 v8, 0
	v_mov_b32_e32 v12, 0
	;; [unrolled: 1-line block ×3, first 2 shown]
.LBB117_81:
	s_cbranch_execnz .LBB117_84
.LBB117_82:
	v_mul_hi_u32 v0, s13, v38
	s_andn2_b64 vcc, exec, s[28:29]
	v_add_u32_e32 v0, v38, v0
	v_lshrrev_b32_e32 v0, s14, v0
	v_mul_lo_u32 v1, v0, s12
	v_sub_u32_e32 v1, v38, v1
	v_mul_lo_u32 v8, v1, s8
	v_mul_lo_u32 v12, v1, s9
	;; [unrolled: 1-line block ×3, first 2 shown]
	s_cbranch_vccnz .LBB117_84
; %bb.83:
	v_mul_hi_u32 v1, s26, v0
	v_add_u32_e32 v1, v0, v1
	v_lshrrev_b32_e32 v1, s27, v1
	v_mul_lo_u32 v1, v1, s15
	v_sub_u32_e32 v0, v0, v1
	v_mad_u64_u32 v[8:9], s[0:1], v0, s11, v[8:9]
	v_mad_u64_u32 v[12:13], s[0:1], v0, s24, v[12:13]
	;; [unrolled: 1-line block ×3, first 2 shown]
.LBB117_84:
	global_load_dwordx4 v[0:3], v12, s[6:7]
	global_load_dwordx4 v[4:7], v10, s[22:23]
	s_andn2_b64 vcc, exec, s[20:21]
	s_cbranch_vccnz .LBB117_95
; %bb.85:
	s_waitcnt vmcnt(0)
	v_cmp_neq_f64_e32 vcc, v[0:1], v[4:5]
	v_cmp_neq_f64_e64 s[0:1], v[2:3], v[6:7]
	s_or_b64 s[36:37], vcc, s[0:1]
	s_cbranch_execnz .LBB117_87
.LBB117_86:
	s_waitcnt vmcnt(0)
	v_cmp_eq_f64_e32 vcc, v[0:1], v[4:5]
	v_cmp_eq_f64_e64 s[0:1], v[2:3], v[6:7]
	s_andn2_b64 s[36:37], s[36:37], exec
	s_and_b64 s[0:1], vcc, s[0:1]
	s_and_b64 s[0:1], s[0:1], exec
	s_or_b64 s[36:37], s[36:37], s[0:1]
.LBB117_87:
	s_waitcnt vmcnt(1)
	v_cndmask_b32_e64 v0, 0, 1, s[36:37]
	v_add_u32_e32 v38, 0x80, v38
	global_store_byte v8, v0, s[4:5]
	s_or_b64 exec, exec, s[34:35]
	v_cmp_gt_i32_e32 vcc, s40, v38
	s_and_saveexec_b64 s[34:35], vcc
	s_cbranch_execz .LBB117_7
.LBB117_88:
	s_andn2_b64 vcc, exec, s[16:17]
	s_cbranch_vccnz .LBB117_94
; %bb.89:
	s_andn2_b64 vcc, exec, s[30:31]
	s_cbranch_vccnz .LBB117_96
; %bb.90:
	s_add_i32 s0, s39, 1
	s_and_b32 s36, s0, 30
	s_add_u32 s0, s2, 0xffffffe8
	s_addc_u32 s1, s3, -1
	v_mov_b32_e32 v10, 0
	v_mov_b32_e32 v12, 0
	;; [unrolled: 1-line block ×4, first 2 shown]
.LBB117_91:                             ; =>This Inner Loop Header: Depth=1
	s_load_dwordx4 s[44:47], s[0:1], 0x1c
	s_load_dwordx2 s[42:43], s[0:1], 0x2c
	s_load_dwordx2 s[52:53], s[0:1], 0xec
	s_load_dwordx4 s[48:51], s[0:1], 0xdc
	s_add_u32 s0, s0, 24
	s_waitcnt lgkmcnt(0)
	v_mul_hi_u32 v1, s45, v0
	s_addc_u32 s1, s1, 0
	s_add_i32 s36, s36, -2
	s_cmp_eq_u32 s36, 0
	v_add_u32_e32 v1, v0, v1
	v_lshrrev_b32_e32 v1, s46, v1
	v_mul_lo_u32 v2, v1, s44
	v_mul_hi_u32 v3, s42, v1
	v_sub_u32_e32 v2, v0, v2
	v_add_u32_e32 v0, v1, v3
	v_lshrrev_b32_e32 v0, s43, v0
	s_waitcnt vmcnt(1)
	v_mul_lo_u32 v5, v0, s47
	v_mul_lo_u32 v3, v2, s48
	;; [unrolled: 1-line block ×4, first 2 shown]
	v_sub_u32_e32 v1, v1, v5
	v_mul_lo_u32 v5, v1, s51
	v_mul_lo_u32 v6, v1, s52
	;; [unrolled: 1-line block ×3, first 2 shown]
	v_add3_u32 v8, v3, v8, v5
	v_add3_u32 v12, v4, v12, v6
	;; [unrolled: 1-line block ×3, first 2 shown]
	s_cbranch_scc0 .LBB117_91
; %bb.92:
	s_bitcmp1_b32 s39, 0
	s_cselect_b64 s[36:37], -1, 0
	s_and_b64 vcc, exec, s[36:37]
	s_cbranch_vccnz .LBB117_97
; %bb.93:
	s_load_dwordx2 s[36:37], s[0:1], 0x1c
	s_load_dword s41, s[0:1], 0x24
	s_load_dwordx2 s[42:43], s[0:1], 0xdc
	s_waitcnt lgkmcnt(0)
	v_mul_hi_u32 v1, s37, v0
	v_add_u32_e32 v1, v0, v1
	v_lshrrev_b32_e32 v1, s41, v1
	v_mul_lo_u32 v1, v1, s36
	s_load_dword s36, s[0:1], 0xe4
	v_sub_u32_e32 v0, v0, v1
	v_mad_u64_u32 v[8:9], s[0:1], v0, s42, v[8:9]
	v_mad_u64_u32 v[12:13], s[0:1], v0, s43, v[12:13]
	s_waitcnt lgkmcnt(0)
	v_mad_u64_u32 v[10:11], s[0:1], v0, s36, v[10:11]
	s_branch .LBB117_97
.LBB117_94:
                                        ; implicit-def: $vgpr8
                                        ; implicit-def: $vgpr12
                                        ; implicit-def: $vgpr10
	s_branch .LBB117_98
.LBB117_95:
                                        ; implicit-def: $sgpr36_sgpr37
	s_branch .LBB117_86
.LBB117_96:
	v_mov_b32_e32 v8, 0
	v_mov_b32_e32 v12, 0
	;; [unrolled: 1-line block ×3, first 2 shown]
.LBB117_97:
	s_cbranch_execnz .LBB117_100
.LBB117_98:
	v_mul_hi_u32 v0, s13, v38
	s_andn2_b64 vcc, exec, s[28:29]
	v_add_u32_e32 v0, v38, v0
	v_lshrrev_b32_e32 v0, s14, v0
	v_mul_lo_u32 v1, v0, s12
	v_sub_u32_e32 v1, v38, v1
	v_mul_lo_u32 v8, v1, s8
	v_mul_lo_u32 v12, v1, s9
	;; [unrolled: 1-line block ×3, first 2 shown]
	s_cbranch_vccnz .LBB117_100
; %bb.99:
	v_mul_hi_u32 v1, s26, v0
	v_add_u32_e32 v1, v0, v1
	v_lshrrev_b32_e32 v1, s27, v1
	v_mul_lo_u32 v1, v1, s15
	v_sub_u32_e32 v0, v0, v1
	v_mad_u64_u32 v[8:9], s[0:1], v0, s11, v[8:9]
	v_mad_u64_u32 v[12:13], s[0:1], v0, s24, v[12:13]
	;; [unrolled: 1-line block ×3, first 2 shown]
.LBB117_100:
	global_load_dwordx4 v[0:3], v12, s[6:7]
	global_load_dwordx4 v[4:7], v10, s[22:23]
	s_andn2_b64 vcc, exec, s[20:21]
	s_cbranch_vccnz .LBB117_111
; %bb.101:
	s_waitcnt vmcnt(0)
	v_cmp_neq_f64_e32 vcc, v[0:1], v[4:5]
	v_cmp_neq_f64_e64 s[0:1], v[2:3], v[6:7]
	s_or_b64 s[36:37], vcc, s[0:1]
	s_cbranch_execnz .LBB117_103
.LBB117_102:
	s_waitcnt vmcnt(0)
	v_cmp_eq_f64_e32 vcc, v[0:1], v[4:5]
	v_cmp_eq_f64_e64 s[0:1], v[2:3], v[6:7]
	s_andn2_b64 s[36:37], s[36:37], exec
	s_and_b64 s[0:1], vcc, s[0:1]
	s_and_b64 s[0:1], s[0:1], exec
	s_or_b64 s[36:37], s[36:37], s[0:1]
.LBB117_103:
	s_waitcnt vmcnt(1)
	v_cndmask_b32_e64 v0, 0, 1, s[36:37]
	v_add_u32_e32 v38, 0x80, v38
	global_store_byte v8, v0, s[4:5]
	s_or_b64 exec, exec, s[34:35]
	v_cmp_gt_i32_e32 vcc, s40, v38
	s_and_saveexec_b64 s[34:35], vcc
	s_cbranch_execz .LBB117_8
.LBB117_104:
	s_andn2_b64 vcc, exec, s[16:17]
	s_cbranch_vccnz .LBB117_110
; %bb.105:
	s_andn2_b64 vcc, exec, s[30:31]
	s_cbranch_vccnz .LBB117_112
; %bb.106:
	s_add_i32 s0, s39, 1
	s_and_b32 s36, s0, 30
	s_add_u32 s0, s2, 0xffffffe8
	s_addc_u32 s1, s3, -1
	v_mov_b32_e32 v10, 0
	v_mov_b32_e32 v12, 0
	;; [unrolled: 1-line block ×4, first 2 shown]
.LBB117_107:                            ; =>This Inner Loop Header: Depth=1
	s_load_dwordx4 s[44:47], s[0:1], 0x1c
	s_load_dwordx2 s[42:43], s[0:1], 0x2c
	s_load_dwordx2 s[52:53], s[0:1], 0xec
	s_load_dwordx4 s[48:51], s[0:1], 0xdc
	s_add_u32 s0, s0, 24
	s_waitcnt lgkmcnt(0)
	v_mul_hi_u32 v1, s45, v0
	s_addc_u32 s1, s1, 0
	s_add_i32 s36, s36, -2
	s_cmp_eq_u32 s36, 0
	v_add_u32_e32 v1, v0, v1
	v_lshrrev_b32_e32 v1, s46, v1
	v_mul_lo_u32 v2, v1, s44
	v_mul_hi_u32 v3, s42, v1
	v_sub_u32_e32 v2, v0, v2
	v_add_u32_e32 v0, v1, v3
	v_lshrrev_b32_e32 v0, s43, v0
	s_waitcnt vmcnt(1)
	v_mul_lo_u32 v5, v0, s47
	v_mul_lo_u32 v3, v2, s48
	;; [unrolled: 1-line block ×4, first 2 shown]
	v_sub_u32_e32 v1, v1, v5
	v_mul_lo_u32 v5, v1, s51
	v_mul_lo_u32 v6, v1, s52
	;; [unrolled: 1-line block ×3, first 2 shown]
	v_add3_u32 v8, v3, v8, v5
	v_add3_u32 v12, v4, v12, v6
	;; [unrolled: 1-line block ×3, first 2 shown]
	s_cbranch_scc0 .LBB117_107
; %bb.108:
	s_bitcmp1_b32 s39, 0
	s_cselect_b64 s[36:37], -1, 0
	s_and_b64 vcc, exec, s[36:37]
	s_cbranch_vccnz .LBB117_113
; %bb.109:
	s_load_dwordx2 s[36:37], s[0:1], 0x1c
	s_load_dword s41, s[0:1], 0x24
	s_load_dwordx2 s[42:43], s[0:1], 0xdc
	s_waitcnt lgkmcnt(0)
	v_mul_hi_u32 v1, s37, v0
	v_add_u32_e32 v1, v0, v1
	v_lshrrev_b32_e32 v1, s41, v1
	v_mul_lo_u32 v1, v1, s36
	s_load_dword s36, s[0:1], 0xe4
	v_sub_u32_e32 v0, v0, v1
	v_mad_u64_u32 v[8:9], s[0:1], v0, s42, v[8:9]
	v_mad_u64_u32 v[12:13], s[0:1], v0, s43, v[12:13]
	s_waitcnt lgkmcnt(0)
	v_mad_u64_u32 v[10:11], s[0:1], v0, s36, v[10:11]
	s_branch .LBB117_113
.LBB117_110:
                                        ; implicit-def: $vgpr8
                                        ; implicit-def: $vgpr12
                                        ; implicit-def: $vgpr10
	s_branch .LBB117_114
.LBB117_111:
                                        ; implicit-def: $sgpr36_sgpr37
	s_branch .LBB117_102
.LBB117_112:
	v_mov_b32_e32 v8, 0
	v_mov_b32_e32 v12, 0
	;; [unrolled: 1-line block ×3, first 2 shown]
.LBB117_113:
	s_cbranch_execnz .LBB117_116
.LBB117_114:
	v_mul_hi_u32 v0, s13, v38
	s_andn2_b64 vcc, exec, s[28:29]
	v_add_u32_e32 v0, v38, v0
	v_lshrrev_b32_e32 v0, s14, v0
	v_mul_lo_u32 v1, v0, s12
	v_sub_u32_e32 v1, v38, v1
	v_mul_lo_u32 v8, v1, s8
	v_mul_lo_u32 v12, v1, s9
	;; [unrolled: 1-line block ×3, first 2 shown]
	s_cbranch_vccnz .LBB117_116
; %bb.115:
	v_mul_hi_u32 v1, s26, v0
	v_add_u32_e32 v1, v0, v1
	v_lshrrev_b32_e32 v1, s27, v1
	v_mul_lo_u32 v1, v1, s15
	v_sub_u32_e32 v0, v0, v1
	v_mad_u64_u32 v[8:9], s[0:1], v0, s11, v[8:9]
	v_mad_u64_u32 v[12:13], s[0:1], v0, s24, v[12:13]
	;; [unrolled: 1-line block ×3, first 2 shown]
.LBB117_116:
	global_load_dwordx4 v[0:3], v12, s[6:7]
	global_load_dwordx4 v[4:7], v10, s[22:23]
	s_andn2_b64 vcc, exec, s[20:21]
	s_cbranch_vccnz .LBB117_127
; %bb.117:
	s_waitcnt vmcnt(0)
	v_cmp_neq_f64_e32 vcc, v[0:1], v[4:5]
	v_cmp_neq_f64_e64 s[0:1], v[2:3], v[6:7]
	s_or_b64 s[36:37], vcc, s[0:1]
	s_cbranch_execnz .LBB117_119
.LBB117_118:
	s_waitcnt vmcnt(0)
	v_cmp_eq_f64_e32 vcc, v[0:1], v[4:5]
	v_cmp_eq_f64_e64 s[0:1], v[2:3], v[6:7]
	s_andn2_b64 s[36:37], s[36:37], exec
	s_and_b64 s[0:1], vcc, s[0:1]
	s_and_b64 s[0:1], s[0:1], exec
	s_or_b64 s[36:37], s[36:37], s[0:1]
.LBB117_119:
	s_waitcnt vmcnt(1)
	v_cndmask_b32_e64 v0, 0, 1, s[36:37]
	v_add_u32_e32 v38, 0x80, v38
	global_store_byte v8, v0, s[4:5]
	s_or_b64 exec, exec, s[34:35]
	v_cmp_gt_i32_e32 vcc, s40, v38
	s_and_saveexec_b64 s[34:35], vcc
	s_cbranch_execz .LBB117_136
.LBB117_120:
	s_andn2_b64 vcc, exec, s[16:17]
	s_cbranch_vccnz .LBB117_126
; %bb.121:
	s_andn2_b64 vcc, exec, s[30:31]
	s_cbranch_vccnz .LBB117_128
; %bb.122:
	s_add_i32 s0, s39, 1
	s_and_b32 s30, s0, 30
	s_add_u32 s0, s2, 0xffffffe8
	s_addc_u32 s1, s3, -1
	v_mov_b32_e32 v10, 0
	v_mov_b32_e32 v12, 0
	;; [unrolled: 1-line block ×4, first 2 shown]
.LBB117_123:                            ; =>This Inner Loop Header: Depth=1
	s_load_dwordx4 s[40:43], s[0:1], 0x1c
	s_load_dwordx2 s[36:37], s[0:1], 0x2c
	s_load_dwordx2 s[48:49], s[0:1], 0xec
	s_load_dwordx4 s[44:47], s[0:1], 0xdc
	s_add_u32 s0, s0, 24
	s_waitcnt lgkmcnt(0)
	v_mul_hi_u32 v1, s41, v0
	s_addc_u32 s1, s1, 0
	s_add_i32 s30, s30, -2
	s_cmp_eq_u32 s30, 0
	v_add_u32_e32 v1, v0, v1
	v_lshrrev_b32_e32 v1, s42, v1
	v_mul_lo_u32 v2, v1, s40
	v_mul_hi_u32 v3, s36, v1
	v_sub_u32_e32 v2, v0, v2
	v_add_u32_e32 v0, v1, v3
	v_lshrrev_b32_e32 v0, s37, v0
	s_waitcnt vmcnt(1)
	v_mul_lo_u32 v5, v0, s43
	v_mul_lo_u32 v3, v2, s44
	;; [unrolled: 1-line block ×4, first 2 shown]
	v_sub_u32_e32 v1, v1, v5
	v_mul_lo_u32 v5, v1, s47
	v_mul_lo_u32 v6, v1, s48
	;; [unrolled: 1-line block ×3, first 2 shown]
	v_add3_u32 v8, v3, v8, v5
	v_add3_u32 v12, v4, v12, v6
	;; [unrolled: 1-line block ×3, first 2 shown]
	s_cbranch_scc0 .LBB117_123
; %bb.124:
	s_bitcmp1_b32 s39, 0
	s_cselect_b64 s[30:31], -1, 0
	s_and_b64 vcc, exec, s[30:31]
	s_cbranch_vccnz .LBB117_129
; %bb.125:
	s_load_dwordx2 s[30:31], s[0:1], 0x1c
	s_load_dword s39, s[0:1], 0x24
	s_load_dwordx2 s[36:37], s[0:1], 0xdc
	s_waitcnt lgkmcnt(0)
	v_mul_hi_u32 v1, s31, v0
	v_add_u32_e32 v1, v0, v1
	v_lshrrev_b32_e32 v1, s39, v1
	v_mul_lo_u32 v1, v1, s30
	s_load_dword s30, s[0:1], 0xe4
	v_sub_u32_e32 v0, v0, v1
	v_mad_u64_u32 v[8:9], s[0:1], v0, s36, v[8:9]
	v_mad_u64_u32 v[12:13], s[0:1], v0, s37, v[12:13]
	s_waitcnt lgkmcnt(0)
	v_mad_u64_u32 v[10:11], s[0:1], v0, s30, v[10:11]
	s_branch .LBB117_129
.LBB117_126:
                                        ; implicit-def: $vgpr8
                                        ; implicit-def: $vgpr12
                                        ; implicit-def: $vgpr10
	s_branch .LBB117_130
.LBB117_127:
                                        ; implicit-def: $sgpr36_sgpr37
	s_branch .LBB117_118
.LBB117_128:
	v_mov_b32_e32 v8, 0
	v_mov_b32_e32 v12, 0
	;; [unrolled: 1-line block ×3, first 2 shown]
.LBB117_129:
	s_cbranch_execnz .LBB117_132
.LBB117_130:
	v_mul_hi_u32 v0, s13, v38
	s_andn2_b64 vcc, exec, s[28:29]
	v_add_u32_e32 v0, v38, v0
	v_lshrrev_b32_e32 v0, s14, v0
	v_mul_lo_u32 v1, v0, s12
	v_sub_u32_e32 v1, v38, v1
	v_mul_lo_u32 v8, v1, s8
	v_mul_lo_u32 v12, v1, s9
	v_mul_lo_u32 v10, v1, s10
	s_cbranch_vccnz .LBB117_132
; %bb.131:
	v_mul_hi_u32 v1, s26, v0
	v_add_u32_e32 v1, v0, v1
	v_lshrrev_b32_e32 v1, s27, v1
	v_mul_lo_u32 v1, v1, s15
	v_sub_u32_e32 v0, v0, v1
	v_mad_u64_u32 v[8:9], s[0:1], v0, s11, v[8:9]
	v_mad_u64_u32 v[12:13], s[0:1], v0, s24, v[12:13]
	;; [unrolled: 1-line block ×3, first 2 shown]
.LBB117_132:
	global_load_dwordx4 v[0:3], v12, s[6:7]
	global_load_dwordx4 v[4:7], v10, s[22:23]
	s_andn2_b64 vcc, exec, s[20:21]
	s_cbranch_vccnz .LBB117_146
; %bb.133:
	s_waitcnt vmcnt(0)
	v_cmp_neq_f64_e32 vcc, v[0:1], v[4:5]
	v_cmp_neq_f64_e64 s[0:1], v[2:3], v[6:7]
	s_or_b64 s[6:7], vcc, s[0:1]
	s_cbranch_execnz .LBB117_135
.LBB117_134:
	s_waitcnt vmcnt(0)
	v_cmp_eq_f64_e32 vcc, v[0:1], v[4:5]
	v_cmp_eq_f64_e64 s[0:1], v[2:3], v[6:7]
	s_andn2_b64 s[6:7], s[6:7], exec
	s_and_b64 s[0:1], vcc, s[0:1]
	s_and_b64 s[0:1], s[0:1], exec
	s_or_b64 s[6:7], s[6:7], s[0:1]
.LBB117_135:
	s_waitcnt vmcnt(1)
	v_cndmask_b32_e64 v0, 0, 1, s[6:7]
	global_store_byte v8, v0, s[4:5]
.LBB117_136:
	s_or_b64 exec, exec, s[34:35]
                                        ; implicit-def: $vgpr0
                                        ; implicit-def: $vgpr38
.LBB117_137:
	s_andn2_saveexec_b64 s[0:1], s[18:19]
	s_cbranch_execz .LBB117_144
; %bb.138:
	v_cndmask_b32_e64 v1, 0, 1, s[16:17]
	v_cmp_ne_u32_e64 s[0:1], 1, v1
	s_andn2_b64 vcc, exec, s[16:17]
	s_cbranch_vccnz .LBB117_145
; %bb.139:
	s_cmp_lg_u32 s33, 0
	s_cbranch_scc0 .LBB117_147
; %bb.140:
	s_min_u32 s6, s38, 15
	s_add_i32 s4, s6, 1
	s_and_b32 s7, s4, 30
	s_add_u32 s4, s2, 0xffffffe8
	s_addc_u32 s5, s3, -1
	v_mov_b32_e32 v11, 0
	v_mov_b32_e32 v13, 0
	;; [unrolled: 1-line block ×4, first 2 shown]
.LBB117_141:                            ; =>This Inner Loop Header: Depth=1
	s_load_dwordx4 s[8:11], s[4:5], 0x1c
	s_load_dwordx2 s[16:17], s[4:5], 0x2c
	s_load_dwordx2 s[18:19], s[4:5], 0xec
	s_load_dwordx4 s[12:15], s[4:5], 0xdc
	s_add_u32 s4, s4, 24
	s_waitcnt lgkmcnt(0)
	v_mul_hi_u32 v2, s9, v1
	s_addc_u32 s5, s5, 0
	s_add_i32 s7, s7, -2
	s_cmp_lg_u32 s7, 0
	v_add_u32_e32 v2, v1, v2
	v_lshrrev_b32_e32 v2, s10, v2
	v_mul_lo_u32 v3, v2, s8
	s_waitcnt vmcnt(1)
	v_mul_hi_u32 v4, s16, v2
	v_sub_u32_e32 v3, v1, v3
	v_add_u32_e32 v1, v2, v4
	v_lshrrev_b32_e32 v1, s17, v1
	v_mul_lo_u32 v6, v1, s11
	v_mul_lo_u32 v4, v3, s12
	;; [unrolled: 1-line block ×4, first 2 shown]
	v_sub_u32_e32 v2, v2, v6
	v_mul_lo_u32 v6, v2, s15
	v_mul_lo_u32 v7, v2, s18
	;; [unrolled: 1-line block ×3, first 2 shown]
	v_add3_u32 v8, v4, v8, v6
	v_add3_u32 v13, v5, v13, v7
	v_add3_u32 v11, v3, v11, v2
	s_cbranch_scc1 .LBB117_141
; %bb.142:
	s_bitcmp1_b32 s6, 0
	s_cselect_b64 s[6:7], -1, 0
	s_and_b64 vcc, exec, s[6:7]
	s_cbranch_vccnz .LBB117_148
; %bb.143:
	s_load_dwordx2 s[6:7], s[4:5], 0x1c
	s_load_dword s10, s[4:5], 0x24
	s_load_dwordx2 s[8:9], s[4:5], 0xdc
	s_waitcnt lgkmcnt(0)
	v_mul_hi_u32 v2, s7, v1
	v_add_u32_e32 v2, v1, v2
	v_lshrrev_b32_e32 v2, s10, v2
	v_mul_lo_u32 v2, v2, s6
	s_load_dword s6, s[4:5], 0xe4
	v_sub_u32_e32 v1, v1, v2
	v_mad_u64_u32 v[8:9], s[4:5], v1, s8, v[8:9]
	v_mad_u64_u32 v[13:14], s[4:5], v1, s9, v[13:14]
	s_waitcnt lgkmcnt(0)
	v_mad_u64_u32 v[11:12], s[4:5], v1, s6, v[11:12]
	s_cbranch_execz .LBB117_149
	s_branch .LBB117_151
.LBB117_144:
	s_endpgm
.LBB117_145:
                                        ; implicit-def: $vgpr8
                                        ; implicit-def: $vgpr13
                                        ; implicit-def: $vgpr11
	s_branch .LBB117_149
.LBB117_146:
                                        ; implicit-def: $sgpr6_sgpr7
	s_branch .LBB117_134
.LBB117_147:
	v_mov_b32_e32 v8, 0
	v_mov_b32_e32 v13, 0
	;; [unrolled: 1-line block ×3, first 2 shown]
.LBB117_148:
	s_cbranch_execnz .LBB117_151
.LBB117_149:
	s_load_dwordx4 s[4:7], s[2:3], 0x4
	s_load_dwordx4 s[8:11], s[2:3], 0xc4
	s_cmp_lt_u32 s33, 2
	s_waitcnt lgkmcnt(0)
	v_mul_hi_u32 v1, s5, v38
	v_add_u32_e32 v1, v38, v1
	v_lshrrev_b32_e32 v1, s6, v1
	v_mul_lo_u32 v2, v1, s4
	v_sub_u32_e32 v2, v38, v2
	v_mul_lo_u32 v8, v2, s8
	v_mul_lo_u32 v13, v2, s9
	;; [unrolled: 1-line block ×3, first 2 shown]
	s_cbranch_scc1 .LBB117_151
; %bb.150:
	s_load_dwordx4 s[4:7], s[2:3], 0x10
	s_load_dwordx4 s[8:11], s[2:3], 0xd0
	s_waitcnt lgkmcnt(0)
	v_mul_hi_u32 v2, s5, v1
	v_add_u32_e32 v2, v1, v2
	v_lshrrev_b32_e32 v2, s6, v2
	v_mul_lo_u32 v2, v2, s4
	v_sub_u32_e32 v1, v1, v2
	v_mad_u64_u32 v[8:9], s[4:5], v1, s8, v[8:9]
	v_mad_u64_u32 v[13:14], s[4:5], v1, s9, v[13:14]
	;; [unrolled: 1-line block ×3, first 2 shown]
.LBB117_151:
	s_and_b64 vcc, exec, s[0:1]
	v_add_u32_e32 v1, 0x80, v38
	s_cbranch_vccnz .LBB117_157
; %bb.152:
	s_cmp_lg_u32 s33, 0
	s_cbranch_scc0 .LBB117_158
; %bb.153:
	s_min_u32 s6, s38, 15
	s_add_i32 s4, s6, 1
	s_and_b32 s7, s4, 30
	s_add_u32 s4, s2, 0xffffffe8
	s_addc_u32 s5, s3, -1
	v_mov_b32_e32 v16, 0
	v_mov_b32_e32 v18, 0
	;; [unrolled: 1-line block ×4, first 2 shown]
.LBB117_154:                            ; =>This Inner Loop Header: Depth=1
	s_load_dwordx4 s[8:11], s[4:5], 0x1c
	s_load_dwordx2 s[16:17], s[4:5], 0x2c
	s_load_dwordx2 s[18:19], s[4:5], 0xec
	s_load_dwordx4 s[12:15], s[4:5], 0xdc
	s_add_u32 s4, s4, 24
	s_waitcnt lgkmcnt(0)
	v_mul_hi_u32 v3, s9, v2
	s_addc_u32 s5, s5, 0
	s_add_i32 s7, s7, -2
	s_cmp_lg_u32 s7, 0
	v_add_u32_e32 v3, v2, v3
	v_lshrrev_b32_e32 v3, s10, v3
	s_waitcnt vmcnt(1)
	v_mul_lo_u32 v4, v3, s8
	v_mul_hi_u32 v5, s16, v3
	v_sub_u32_e32 v4, v2, v4
	v_add_u32_e32 v2, v3, v5
	v_lshrrev_b32_e32 v2, s17, v2
	v_mul_lo_u32 v7, v2, s11
	v_mul_lo_u32 v5, v4, s12
	;; [unrolled: 1-line block ×4, first 2 shown]
	v_sub_u32_e32 v3, v3, v7
	v_mul_lo_u32 v7, v3, s15
	v_mul_lo_u32 v10, v3, s18
	;; [unrolled: 1-line block ×3, first 2 shown]
	v_add3_u32 v9, v5, v9, v7
	v_add3_u32 v18, v6, v18, v10
	;; [unrolled: 1-line block ×3, first 2 shown]
	s_cbranch_scc1 .LBB117_154
; %bb.155:
	s_bitcmp1_b32 s6, 0
	s_cselect_b64 s[6:7], -1, 0
	s_and_b64 vcc, exec, s[6:7]
	s_cbranch_vccnz .LBB117_159
; %bb.156:
	s_load_dwordx2 s[6:7], s[4:5], 0x1c
	s_load_dword s10, s[4:5], 0x24
	s_load_dwordx2 s[8:9], s[4:5], 0xdc
	s_waitcnt lgkmcnt(0)
	v_mul_hi_u32 v3, s7, v2
	v_add_u32_e32 v3, v2, v3
	v_lshrrev_b32_e32 v3, s10, v3
	v_mul_lo_u32 v3, v3, s6
	s_load_dword s6, s[4:5], 0xe4
	v_sub_u32_e32 v2, v2, v3
	v_mad_u64_u32 v[9:10], s[4:5], v2, s8, v[9:10]
	v_mad_u64_u32 v[18:19], s[4:5], v2, s9, v[18:19]
	s_waitcnt lgkmcnt(0)
	v_mad_u64_u32 v[16:17], s[4:5], v2, s6, v[16:17]
	s_cbranch_execz .LBB117_160
	s_branch .LBB117_162
.LBB117_157:
                                        ; implicit-def: $vgpr9
                                        ; implicit-def: $vgpr18
                                        ; implicit-def: $vgpr16
	s_branch .LBB117_160
.LBB117_158:
	v_mov_b32_e32 v9, 0
	v_mov_b32_e32 v18, 0
	;; [unrolled: 1-line block ×3, first 2 shown]
.LBB117_159:
	s_cbranch_execnz .LBB117_162
.LBB117_160:
	s_load_dwordx4 s[4:7], s[2:3], 0x4
	s_load_dwordx4 s[8:11], s[2:3], 0xc4
	s_cmp_lt_u32 s33, 2
	s_waitcnt lgkmcnt(0)
	v_mul_hi_u32 v2, s5, v1
	v_add_u32_e32 v2, v1, v2
	v_lshrrev_b32_e32 v2, s6, v2
	v_mul_lo_u32 v3, v2, s4
	v_sub_u32_e32 v1, v1, v3
	v_mul_lo_u32 v9, v1, s8
	v_mul_lo_u32 v18, v1, s9
	;; [unrolled: 1-line block ×3, first 2 shown]
	s_cbranch_scc1 .LBB117_162
; %bb.161:
	s_load_dwordx4 s[4:7], s[2:3], 0x10
	s_load_dwordx4 s[8:11], s[2:3], 0xd0
	s_waitcnt lgkmcnt(0)
	v_mul_hi_u32 v1, s5, v2
	v_add_u32_e32 v1, v2, v1
	v_lshrrev_b32_e32 v1, s6, v1
	v_mul_lo_u32 v1, v1, s4
	v_sub_u32_e32 v1, v2, v1
	v_mad_u64_u32 v[9:10], s[4:5], v1, s8, v[9:10]
	v_mad_u64_u32 v[18:19], s[4:5], v1, s9, v[18:19]
	;; [unrolled: 1-line block ×3, first 2 shown]
.LBB117_162:
	s_and_b64 vcc, exec, s[0:1]
	v_add_u32_e32 v1, 0x100, v38
	s_cbranch_vccnz .LBB117_168
; %bb.163:
	s_cmp_lg_u32 s33, 0
	s_cbranch_scc0 .LBB117_169
; %bb.164:
	s_min_u32 s6, s38, 15
	s_add_i32 s4, s6, 1
	s_and_b32 s7, s4, 30
	s_add_u32 s4, s2, 0xffffffe8
	s_addc_u32 s5, s3, -1
	v_mov_b32_e32 v21, 0
	v_mov_b32_e32 v23, 0
	;; [unrolled: 1-line block ×4, first 2 shown]
.LBB117_165:                            ; =>This Inner Loop Header: Depth=1
	s_load_dwordx4 s[8:11], s[4:5], 0x1c
	s_load_dwordx2 s[16:17], s[4:5], 0x2c
	s_load_dwordx2 s[18:19], s[4:5], 0xec
	s_load_dwordx4 s[12:15], s[4:5], 0xdc
	s_add_u32 s4, s4, 24
	s_waitcnt lgkmcnt(0)
	v_mul_hi_u32 v3, s9, v2
	s_addc_u32 s5, s5, 0
	s_add_i32 s7, s7, -2
	s_cmp_lg_u32 s7, 0
	v_add_u32_e32 v3, v2, v3
	v_lshrrev_b32_e32 v3, s10, v3
	s_waitcnt vmcnt(1)
	v_mul_lo_u32 v4, v3, s8
	v_mul_hi_u32 v5, s16, v3
	v_sub_u32_e32 v4, v2, v4
	v_add_u32_e32 v2, v3, v5
	v_lshrrev_b32_e32 v2, s17, v2
	v_mul_lo_u32 v7, v2, s11
	v_mul_lo_u32 v5, v4, s12
	;; [unrolled: 1-line block ×4, first 2 shown]
	v_sub_u32_e32 v3, v3, v7
	v_mul_lo_u32 v7, v3, s15
	v_mul_lo_u32 v10, v3, s18
	;; [unrolled: 1-line block ×3, first 2 shown]
	v_add3_u32 v14, v5, v14, v7
	v_add3_u32 v23, v6, v23, v10
	;; [unrolled: 1-line block ×3, first 2 shown]
	s_cbranch_scc1 .LBB117_165
; %bb.166:
	s_bitcmp1_b32 s6, 0
	s_cselect_b64 s[6:7], -1, 0
	s_and_b64 vcc, exec, s[6:7]
	s_cbranch_vccnz .LBB117_170
; %bb.167:
	s_load_dwordx2 s[6:7], s[4:5], 0x1c
	s_load_dword s10, s[4:5], 0x24
	s_load_dwordx2 s[8:9], s[4:5], 0xdc
	s_waitcnt lgkmcnt(0)
	v_mul_hi_u32 v3, s7, v2
	v_add_u32_e32 v3, v2, v3
	v_lshrrev_b32_e32 v3, s10, v3
	v_mul_lo_u32 v3, v3, s6
	s_load_dword s6, s[4:5], 0xe4
	v_sub_u32_e32 v2, v2, v3
	v_mad_u64_u32 v[14:15], s[4:5], v2, s8, v[14:15]
	v_mad_u64_u32 v[23:24], s[4:5], v2, s9, v[23:24]
	s_waitcnt lgkmcnt(0)
	v_mad_u64_u32 v[21:22], s[4:5], v2, s6, v[21:22]
	s_cbranch_execz .LBB117_171
	s_branch .LBB117_173
.LBB117_168:
                                        ; implicit-def: $vgpr14
                                        ; implicit-def: $vgpr23
                                        ; implicit-def: $vgpr21
	s_branch .LBB117_171
.LBB117_169:
	v_mov_b32_e32 v14, 0
	v_mov_b32_e32 v23, 0
	v_mov_b32_e32 v21, 0
.LBB117_170:
	s_cbranch_execnz .LBB117_173
.LBB117_171:
	s_load_dwordx4 s[4:7], s[2:3], 0x4
	s_load_dwordx4 s[8:11], s[2:3], 0xc4
	s_cmp_lt_u32 s33, 2
	s_waitcnt lgkmcnt(0)
	v_mul_hi_u32 v2, s5, v1
	v_add_u32_e32 v2, v1, v2
	v_lshrrev_b32_e32 v2, s6, v2
	v_mul_lo_u32 v3, v2, s4
	v_sub_u32_e32 v1, v1, v3
	v_mul_lo_u32 v14, v1, s8
	v_mul_lo_u32 v23, v1, s9
	v_mul_lo_u32 v21, v1, s10
	s_cbranch_scc1 .LBB117_173
; %bb.172:
	s_load_dwordx4 s[4:7], s[2:3], 0x10
	s_load_dwordx4 s[8:11], s[2:3], 0xd0
	s_waitcnt lgkmcnt(0)
	v_mul_hi_u32 v1, s5, v2
	v_add_u32_e32 v1, v2, v1
	v_lshrrev_b32_e32 v1, s6, v1
	v_mul_lo_u32 v1, v1, s4
	v_sub_u32_e32 v1, v2, v1
	v_mad_u64_u32 v[14:15], s[4:5], v1, s8, v[14:15]
	v_mad_u64_u32 v[23:24], s[4:5], v1, s9, v[23:24]
	;; [unrolled: 1-line block ×3, first 2 shown]
.LBB117_173:
	s_and_b64 vcc, exec, s[0:1]
	v_add_u32_e32 v1, 0x180, v38
	s_cbranch_vccnz .LBB117_179
; %bb.174:
	s_cmp_lg_u32 s33, 0
	s_cbranch_scc0 .LBB117_180
; %bb.175:
	s_min_u32 s6, s38, 15
	s_add_i32 s4, s6, 1
	s_and_b32 s7, s4, 30
	s_add_u32 s4, s2, 0xffffffe8
	s_addc_u32 s5, s3, -1
	v_mov_b32_e32 v26, 0
	v_mov_b32_e32 v28, 0
	;; [unrolled: 1-line block ×4, first 2 shown]
.LBB117_176:                            ; =>This Inner Loop Header: Depth=1
	s_load_dwordx4 s[8:11], s[4:5], 0x1c
	s_load_dwordx2 s[16:17], s[4:5], 0x2c
	s_load_dwordx2 s[18:19], s[4:5], 0xec
	s_load_dwordx4 s[12:15], s[4:5], 0xdc
	s_add_u32 s4, s4, 24
	s_waitcnt lgkmcnt(0)
	v_mul_hi_u32 v3, s9, v2
	s_addc_u32 s5, s5, 0
	s_add_i32 s7, s7, -2
	s_cmp_lg_u32 s7, 0
	v_add_u32_e32 v3, v2, v3
	v_lshrrev_b32_e32 v3, s10, v3
	s_waitcnt vmcnt(1)
	v_mul_lo_u32 v4, v3, s8
	v_mul_hi_u32 v5, s16, v3
	v_sub_u32_e32 v4, v2, v4
	v_add_u32_e32 v2, v3, v5
	v_lshrrev_b32_e32 v2, s17, v2
	v_mul_lo_u32 v7, v2, s11
	v_mul_lo_u32 v5, v4, s12
	;; [unrolled: 1-line block ×4, first 2 shown]
	v_sub_u32_e32 v3, v3, v7
	v_mul_lo_u32 v7, v3, s15
	v_mul_lo_u32 v10, v3, s18
	;; [unrolled: 1-line block ×3, first 2 shown]
	v_add3_u32 v19, v5, v19, v7
	v_add3_u32 v28, v6, v28, v10
	;; [unrolled: 1-line block ×3, first 2 shown]
	s_cbranch_scc1 .LBB117_176
; %bb.177:
	s_bitcmp1_b32 s6, 0
	s_cselect_b64 s[6:7], -1, 0
	s_and_b64 vcc, exec, s[6:7]
	s_cbranch_vccnz .LBB117_181
; %bb.178:
	s_load_dwordx2 s[6:7], s[4:5], 0x1c
	s_load_dword s10, s[4:5], 0x24
	s_load_dwordx2 s[8:9], s[4:5], 0xdc
	s_waitcnt lgkmcnt(0)
	v_mul_hi_u32 v3, s7, v2
	v_add_u32_e32 v3, v2, v3
	v_lshrrev_b32_e32 v3, s10, v3
	v_mul_lo_u32 v3, v3, s6
	s_load_dword s6, s[4:5], 0xe4
	v_sub_u32_e32 v2, v2, v3
	v_mad_u64_u32 v[19:20], s[4:5], v2, s8, v[19:20]
	v_mad_u64_u32 v[28:29], s[4:5], v2, s9, v[28:29]
	s_waitcnt lgkmcnt(0)
	v_mad_u64_u32 v[26:27], s[4:5], v2, s6, v[26:27]
	s_cbranch_execz .LBB117_182
	s_branch .LBB117_184
.LBB117_179:
                                        ; implicit-def: $vgpr19
                                        ; implicit-def: $vgpr28
                                        ; implicit-def: $vgpr26
	s_branch .LBB117_182
.LBB117_180:
	v_mov_b32_e32 v19, 0
	v_mov_b32_e32 v28, 0
	;; [unrolled: 1-line block ×3, first 2 shown]
.LBB117_181:
	s_cbranch_execnz .LBB117_184
.LBB117_182:
	s_load_dwordx4 s[4:7], s[2:3], 0x4
	s_load_dwordx4 s[8:11], s[2:3], 0xc4
	s_cmp_lt_u32 s33, 2
	s_waitcnt lgkmcnt(0)
	v_mul_hi_u32 v2, s5, v1
	v_add_u32_e32 v2, v1, v2
	v_lshrrev_b32_e32 v2, s6, v2
	v_mul_lo_u32 v3, v2, s4
	v_sub_u32_e32 v1, v1, v3
	v_mul_lo_u32 v19, v1, s8
	v_mul_lo_u32 v28, v1, s9
	;; [unrolled: 1-line block ×3, first 2 shown]
	s_cbranch_scc1 .LBB117_184
; %bb.183:
	s_load_dwordx4 s[4:7], s[2:3], 0x10
	s_load_dwordx4 s[8:11], s[2:3], 0xd0
	s_waitcnt lgkmcnt(0)
	v_mul_hi_u32 v1, s5, v2
	v_add_u32_e32 v1, v2, v1
	v_lshrrev_b32_e32 v1, s6, v1
	v_mul_lo_u32 v1, v1, s4
	v_sub_u32_e32 v1, v2, v1
	v_mad_u64_u32 v[19:20], s[4:5], v1, s8, v[19:20]
	v_mad_u64_u32 v[28:29], s[4:5], v1, s9, v[28:29]
	;; [unrolled: 1-line block ×3, first 2 shown]
.LBB117_184:
	s_and_b64 vcc, exec, s[0:1]
	v_add_u32_e32 v1, 0x200, v38
	s_cbranch_vccnz .LBB117_190
; %bb.185:
	s_cmp_lg_u32 s33, 0
	s_cbranch_scc0 .LBB117_191
; %bb.186:
	s_min_u32 s6, s38, 15
	s_add_i32 s4, s6, 1
	s_and_b32 s7, s4, 30
	s_add_u32 s4, s2, 0xffffffe8
	s_addc_u32 s5, s3, -1
	v_mov_b32_e32 v29, 0
	v_mov_b32_e32 v31, 0
	;; [unrolled: 1-line block ×4, first 2 shown]
.LBB117_187:                            ; =>This Inner Loop Header: Depth=1
	s_load_dwordx4 s[8:11], s[4:5], 0x1c
	s_load_dwordx2 s[16:17], s[4:5], 0x2c
	s_load_dwordx2 s[18:19], s[4:5], 0xec
	s_load_dwordx4 s[12:15], s[4:5], 0xdc
	s_add_u32 s4, s4, 24
	s_waitcnt lgkmcnt(0)
	v_mul_hi_u32 v3, s9, v2
	s_addc_u32 s5, s5, 0
	s_add_i32 s7, s7, -2
	s_cmp_lg_u32 s7, 0
	v_add_u32_e32 v3, v2, v3
	v_lshrrev_b32_e32 v3, s10, v3
	s_waitcnt vmcnt(1)
	v_mul_lo_u32 v4, v3, s8
	v_mul_hi_u32 v5, s16, v3
	v_sub_u32_e32 v4, v2, v4
	v_add_u32_e32 v2, v3, v5
	v_lshrrev_b32_e32 v2, s17, v2
	v_mul_lo_u32 v7, v2, s11
	v_mul_lo_u32 v5, v4, s12
	;; [unrolled: 1-line block ×4, first 2 shown]
	v_sub_u32_e32 v3, v3, v7
	v_mul_lo_u32 v7, v3, s15
	v_mul_lo_u32 v10, v3, s18
	;; [unrolled: 1-line block ×3, first 2 shown]
	v_add3_u32 v24, v5, v24, v7
	v_add3_u32 v31, v6, v31, v10
	;; [unrolled: 1-line block ×3, first 2 shown]
	s_cbranch_scc1 .LBB117_187
; %bb.188:
	s_bitcmp1_b32 s6, 0
	s_cselect_b64 s[6:7], -1, 0
	s_and_b64 vcc, exec, s[6:7]
	s_cbranch_vccnz .LBB117_192
; %bb.189:
	s_load_dwordx2 s[6:7], s[4:5], 0x1c
	s_load_dword s10, s[4:5], 0x24
	s_load_dwordx2 s[8:9], s[4:5], 0xdc
	s_waitcnt lgkmcnt(0)
	v_mul_hi_u32 v3, s7, v2
	v_add_u32_e32 v3, v2, v3
	v_lshrrev_b32_e32 v3, s10, v3
	v_mul_lo_u32 v3, v3, s6
	s_load_dword s6, s[4:5], 0xe4
	v_sub_u32_e32 v2, v2, v3
	v_mad_u64_u32 v[24:25], s[4:5], v2, s8, v[24:25]
	v_mad_u64_u32 v[31:32], s[4:5], v2, s9, v[31:32]
	s_waitcnt lgkmcnt(0)
	v_mad_u64_u32 v[29:30], s[4:5], v2, s6, v[29:30]
	s_cbranch_execz .LBB117_193
	s_branch .LBB117_195
.LBB117_190:
                                        ; implicit-def: $vgpr24
                                        ; implicit-def: $vgpr31
                                        ; implicit-def: $vgpr29
	s_branch .LBB117_193
.LBB117_191:
	v_mov_b32_e32 v24, 0
	v_mov_b32_e32 v31, 0
	;; [unrolled: 1-line block ×3, first 2 shown]
.LBB117_192:
	s_cbranch_execnz .LBB117_195
.LBB117_193:
	s_load_dwordx4 s[4:7], s[2:3], 0x4
	s_load_dwordx4 s[8:11], s[2:3], 0xc4
	s_cmp_lt_u32 s33, 2
	s_waitcnt lgkmcnt(0)
	v_mul_hi_u32 v2, s5, v1
	v_add_u32_e32 v2, v1, v2
	v_lshrrev_b32_e32 v2, s6, v2
	v_mul_lo_u32 v3, v2, s4
	v_sub_u32_e32 v1, v1, v3
	v_mul_lo_u32 v24, v1, s8
	v_mul_lo_u32 v31, v1, s9
	;; [unrolled: 1-line block ×3, first 2 shown]
	s_cbranch_scc1 .LBB117_195
; %bb.194:
	s_load_dwordx4 s[4:7], s[2:3], 0x10
	s_load_dwordx4 s[8:11], s[2:3], 0xd0
	s_waitcnt lgkmcnt(0)
	v_mul_hi_u32 v1, s5, v2
	v_add_u32_e32 v1, v2, v1
	v_lshrrev_b32_e32 v1, s6, v1
	v_mul_lo_u32 v1, v1, s4
	v_sub_u32_e32 v1, v2, v1
	v_mad_u64_u32 v[24:25], s[4:5], v1, s8, v[24:25]
	v_mad_u64_u32 v[31:32], s[4:5], v1, s9, v[31:32]
	;; [unrolled: 1-line block ×3, first 2 shown]
.LBB117_195:
	s_and_b64 vcc, exec, s[0:1]
	v_add_u32_e32 v1, 0x280, v38
	s_cbranch_vccnz .LBB117_201
; %bb.196:
	s_cmp_lg_u32 s33, 0
	s_cbranch_scc0 .LBB117_202
; %bb.197:
	s_min_u32 s6, s38, 15
	s_add_i32 s4, s6, 1
	s_and_b32 s7, s4, 30
	s_add_u32 s4, s2, 0xffffffe8
	s_addc_u32 s5, s3, -1
	v_mov_b32_e32 v34, 0
	v_mov_b32_e32 v36, 0
	;; [unrolled: 1-line block ×4, first 2 shown]
.LBB117_198:                            ; =>This Inner Loop Header: Depth=1
	s_load_dwordx4 s[8:11], s[4:5], 0x1c
	s_load_dwordx2 s[16:17], s[4:5], 0x2c
	s_load_dwordx2 s[18:19], s[4:5], 0xec
	s_load_dwordx4 s[12:15], s[4:5], 0xdc
	s_add_u32 s4, s4, 24
	s_waitcnt lgkmcnt(0)
	v_mul_hi_u32 v3, s9, v2
	s_addc_u32 s5, s5, 0
	s_add_i32 s7, s7, -2
	s_cmp_lg_u32 s7, 0
	v_add_u32_e32 v3, v2, v3
	v_lshrrev_b32_e32 v3, s10, v3
	s_waitcnt vmcnt(1)
	v_mul_lo_u32 v4, v3, s8
	v_mul_hi_u32 v5, s16, v3
	v_sub_u32_e32 v4, v2, v4
	v_add_u32_e32 v2, v3, v5
	v_lshrrev_b32_e32 v2, s17, v2
	v_mul_lo_u32 v7, v2, s11
	v_mul_lo_u32 v5, v4, s12
	;; [unrolled: 1-line block ×4, first 2 shown]
	v_sub_u32_e32 v3, v3, v7
	v_mul_lo_u32 v7, v3, s15
	v_mul_lo_u32 v10, v3, s18
	;; [unrolled: 1-line block ×3, first 2 shown]
	v_add3_u32 v32, v5, v32, v7
	v_add3_u32 v36, v6, v36, v10
	;; [unrolled: 1-line block ×3, first 2 shown]
	s_cbranch_scc1 .LBB117_198
; %bb.199:
	s_bitcmp1_b32 s6, 0
	s_cselect_b64 s[6:7], -1, 0
	s_and_b64 vcc, exec, s[6:7]
	s_cbranch_vccnz .LBB117_203
; %bb.200:
	s_load_dwordx2 s[6:7], s[4:5], 0x1c
	s_load_dword s10, s[4:5], 0x24
	s_load_dwordx2 s[8:9], s[4:5], 0xdc
	s_waitcnt lgkmcnt(0)
	v_mul_hi_u32 v3, s7, v2
	v_add_u32_e32 v3, v2, v3
	v_lshrrev_b32_e32 v3, s10, v3
	v_mul_lo_u32 v3, v3, s6
	s_load_dword s6, s[4:5], 0xe4
	v_sub_u32_e32 v2, v2, v3
	v_mad_u64_u32 v[32:33], s[4:5], v2, s8, v[32:33]
	v_mad_u64_u32 v[36:37], s[4:5], v2, s9, v[36:37]
	s_waitcnt lgkmcnt(0)
	v_mad_u64_u32 v[34:35], s[4:5], v2, s6, v[34:35]
	s_cbranch_execz .LBB117_204
	s_branch .LBB117_206
.LBB117_201:
                                        ; implicit-def: $vgpr32
                                        ; implicit-def: $vgpr36
                                        ; implicit-def: $vgpr34
	s_branch .LBB117_204
.LBB117_202:
	v_mov_b32_e32 v32, 0
	v_mov_b32_e32 v36, 0
	;; [unrolled: 1-line block ×3, first 2 shown]
.LBB117_203:
	s_cbranch_execnz .LBB117_206
.LBB117_204:
	s_load_dwordx4 s[4:7], s[2:3], 0x4
	s_load_dwordx4 s[8:11], s[2:3], 0xc4
	s_cmp_lt_u32 s33, 2
	s_waitcnt lgkmcnt(0)
	v_mul_hi_u32 v2, s5, v1
	v_add_u32_e32 v2, v1, v2
	v_lshrrev_b32_e32 v2, s6, v2
	v_mul_lo_u32 v3, v2, s4
	v_sub_u32_e32 v1, v1, v3
	v_mul_lo_u32 v32, v1, s8
	v_mul_lo_u32 v36, v1, s9
	;; [unrolled: 1-line block ×3, first 2 shown]
	s_cbranch_scc1 .LBB117_206
; %bb.205:
	s_load_dwordx4 s[4:7], s[2:3], 0x10
	s_load_dwordx4 s[8:11], s[2:3], 0xd0
	s_waitcnt lgkmcnt(0)
	v_mul_hi_u32 v1, s5, v2
	v_add_u32_e32 v1, v2, v1
	v_lshrrev_b32_e32 v1, s6, v1
	v_mul_lo_u32 v1, v1, s4
	v_sub_u32_e32 v1, v2, v1
	v_mad_u64_u32 v[32:33], s[4:5], v1, s8, v[32:33]
	v_mad_u64_u32 v[36:37], s[4:5], v1, s9, v[36:37]
	v_mad_u64_u32 v[34:35], s[4:5], v1, s10, v[34:35]
.LBB117_206:
	s_and_b64 vcc, exec, s[0:1]
	v_add_u32_e32 v1, 0x300, v38
	s_cbranch_vccnz .LBB117_212
; %bb.207:
	s_cmp_lg_u32 s33, 0
	s_cbranch_scc0 .LBB117_213
; %bb.208:
	s_min_u32 s6, s38, 15
	s_add_i32 s4, s6, 1
	s_and_b32 s7, s4, 30
	s_add_u32 s4, s2, 0xffffffe8
	s_addc_u32 s5, s3, -1
	v_mov_b32_e32 v39, 0
	v_mov_b32_e32 v41, 0
	;; [unrolled: 1-line block ×4, first 2 shown]
.LBB117_209:                            ; =>This Inner Loop Header: Depth=1
	s_load_dwordx4 s[8:11], s[4:5], 0x1c
	s_load_dwordx2 s[16:17], s[4:5], 0x2c
	s_load_dwordx2 s[18:19], s[4:5], 0xec
	s_load_dwordx4 s[12:15], s[4:5], 0xdc
	s_add_u32 s4, s4, 24
	s_waitcnt lgkmcnt(0)
	v_mul_hi_u32 v3, s9, v2
	s_addc_u32 s5, s5, 0
	s_add_i32 s7, s7, -2
	s_cmp_lg_u32 s7, 0
	v_add_u32_e32 v3, v2, v3
	v_lshrrev_b32_e32 v3, s10, v3
	s_waitcnt vmcnt(1)
	v_mul_lo_u32 v4, v3, s8
	v_mul_hi_u32 v5, s16, v3
	v_sub_u32_e32 v4, v2, v4
	v_add_u32_e32 v2, v3, v5
	v_lshrrev_b32_e32 v2, s17, v2
	v_mul_lo_u32 v7, v2, s11
	v_mul_lo_u32 v5, v4, s12
	;; [unrolled: 1-line block ×4, first 2 shown]
	v_sub_u32_e32 v3, v3, v7
	v_mul_lo_u32 v7, v3, s15
	v_mul_lo_u32 v10, v3, s18
	;; [unrolled: 1-line block ×3, first 2 shown]
	v_add3_u32 v37, v5, v37, v7
	v_add3_u32 v41, v6, v41, v10
	v_add3_u32 v39, v4, v39, v3
	s_cbranch_scc1 .LBB117_209
; %bb.210:
	s_bitcmp1_b32 s6, 0
	s_cselect_b64 s[6:7], -1, 0
	s_and_b64 vcc, exec, s[6:7]
	s_cbranch_vccnz .LBB117_214
; %bb.211:
	s_load_dwordx2 s[6:7], s[4:5], 0x1c
	s_load_dword s10, s[4:5], 0x24
	s_load_dwordx2 s[8:9], s[4:5], 0xdc
	s_waitcnt lgkmcnt(0)
	v_mul_hi_u32 v3, s7, v2
	v_add_u32_e32 v3, v2, v3
	v_lshrrev_b32_e32 v3, s10, v3
	v_mul_lo_u32 v3, v3, s6
	s_load_dword s6, s[4:5], 0xe4
	v_sub_u32_e32 v2, v2, v3
	v_mad_u64_u32 v[37:38], s[4:5], v2, s8, v[37:38]
	v_mad_u64_u32 v[41:42], s[4:5], v2, s9, v[41:42]
	s_waitcnt lgkmcnt(0)
	v_mad_u64_u32 v[39:40], s[4:5], v2, s6, v[39:40]
	s_cbranch_execz .LBB117_215
	s_branch .LBB117_217
.LBB117_212:
                                        ; implicit-def: $vgpr37
                                        ; implicit-def: $vgpr41
                                        ; implicit-def: $vgpr39
	s_branch .LBB117_215
.LBB117_213:
	v_mov_b32_e32 v37, 0
	v_mov_b32_e32 v41, 0
	;; [unrolled: 1-line block ×3, first 2 shown]
.LBB117_214:
	s_cbranch_execnz .LBB117_217
.LBB117_215:
	s_load_dwordx4 s[4:7], s[2:3], 0x4
	s_load_dwordx4 s[8:11], s[2:3], 0xc4
	s_cmp_lt_u32 s33, 2
	s_waitcnt lgkmcnt(0)
	v_mul_hi_u32 v2, s5, v1
	v_add_u32_e32 v2, v1, v2
	v_lshrrev_b32_e32 v2, s6, v2
	v_mul_lo_u32 v3, v2, s4
	v_sub_u32_e32 v1, v1, v3
	v_mul_lo_u32 v37, v1, s8
	v_mul_lo_u32 v41, v1, s9
	;; [unrolled: 1-line block ×3, first 2 shown]
	s_cbranch_scc1 .LBB117_217
; %bb.216:
	s_load_dwordx4 s[4:7], s[2:3], 0x10
	s_load_dwordx4 s[8:11], s[2:3], 0xd0
	s_waitcnt lgkmcnt(0)
	v_mul_hi_u32 v1, s5, v2
	v_add_u32_e32 v1, v2, v1
	v_lshrrev_b32_e32 v1, s6, v1
	v_mul_lo_u32 v1, v1, s4
	v_sub_u32_e32 v1, v2, v1
	v_mad_u64_u32 v[37:38], s[4:5], v1, s8, v[37:38]
	v_mad_u64_u32 v[41:42], s[4:5], v1, s9, v[41:42]
	;; [unrolled: 1-line block ×3, first 2 shown]
.LBB117_217:
	s_and_b64 vcc, exec, s[0:1]
	s_cbranch_vccnz .LBB117_223
; %bb.218:
	s_cmp_lg_u32 s33, 0
	s_cbranch_scc0 .LBB117_224
; %bb.219:
	s_min_u32 s4, s38, 15
	s_add_i32 s0, s4, 1
	s_and_b32 s5, s0, 30
	s_add_u32 s0, s2, 0xffffffe8
	s_addc_u32 s1, s3, -1
	v_mov_b32_e32 v44, 0
	v_mov_b32_e32 v46, 0
	;; [unrolled: 1-line block ×4, first 2 shown]
.LBB117_220:                            ; =>This Inner Loop Header: Depth=1
	s_load_dwordx4 s[8:11], s[0:1], 0x1c
	s_load_dwordx2 s[6:7], s[0:1], 0x2c
	s_load_dwordx2 s[16:17], s[0:1], 0xec
	s_load_dwordx4 s[12:15], s[0:1], 0xdc
	s_add_u32 s0, s0, 24
	s_waitcnt lgkmcnt(0)
	v_mul_hi_u32 v2, s9, v1
	s_addc_u32 s1, s1, 0
	s_add_i32 s5, s5, -2
	s_cmp_lg_u32 s5, 0
	v_add_u32_e32 v2, v1, v2
	v_lshrrev_b32_e32 v2, s10, v2
	v_mul_lo_u32 v3, v2, s8
	s_waitcnt vmcnt(1)
	v_mul_hi_u32 v4, s6, v2
	v_sub_u32_e32 v3, v1, v3
	v_add_u32_e32 v1, v2, v4
	v_lshrrev_b32_e32 v1, s7, v1
	v_mul_lo_u32 v6, v1, s11
	v_mul_lo_u32 v4, v3, s12
	;; [unrolled: 1-line block ×4, first 2 shown]
	v_sub_u32_e32 v2, v2, v6
	v_mul_lo_u32 v6, v2, s15
	v_mul_lo_u32 v7, v2, s16
	;; [unrolled: 1-line block ×3, first 2 shown]
	v_add3_u32 v42, v4, v42, v6
	v_add3_u32 v46, v5, v46, v7
	;; [unrolled: 1-line block ×3, first 2 shown]
	s_cbranch_scc1 .LBB117_220
; %bb.221:
	s_bitcmp1_b32 s4, 0
	s_cselect_b64 s[4:5], -1, 0
	s_and_b64 vcc, exec, s[4:5]
	s_cbranch_vccnz .LBB117_225
; %bb.222:
	s_load_dwordx2 s[4:5], s[0:1], 0x1c
	s_load_dword s8, s[0:1], 0x24
	s_load_dwordx2 s[6:7], s[0:1], 0xdc
	s_waitcnt lgkmcnt(0)
	v_mul_hi_u32 v2, s5, v1
	v_add_u32_e32 v2, v1, v2
	v_lshrrev_b32_e32 v2, s8, v2
	v_mul_lo_u32 v2, v2, s4
	s_load_dword s4, s[0:1], 0xe4
	v_sub_u32_e32 v1, v1, v2
	v_mad_u64_u32 v[42:43], s[0:1], v1, s6, v[42:43]
	v_mad_u64_u32 v[46:47], s[0:1], v1, s7, v[46:47]
	s_waitcnt lgkmcnt(0)
	v_mad_u64_u32 v[44:45], s[0:1], v1, s4, v[44:45]
	s_cbranch_execz .LBB117_226
	s_branch .LBB117_228
.LBB117_223:
                                        ; implicit-def: $vgpr42
                                        ; implicit-def: $vgpr46
                                        ; implicit-def: $vgpr44
	s_branch .LBB117_226
.LBB117_224:
	v_mov_b32_e32 v42, 0
	v_mov_b32_e32 v46, 0
	;; [unrolled: 1-line block ×3, first 2 shown]
.LBB117_225:
	s_cbranch_execnz .LBB117_228
.LBB117_226:
	s_load_dwordx4 s[4:7], s[2:3], 0x4
	s_load_dwordx4 s[8:11], s[2:3], 0xc4
	s_cmp_lt_u32 s33, 2
	s_waitcnt lgkmcnt(0)
	v_mul_hi_u32 v1, s5, v0
	v_add_u32_e32 v1, v0, v1
	v_lshrrev_b32_e32 v1, s6, v1
	v_mul_lo_u32 v2, v1, s4
	v_sub_u32_e32 v0, v0, v2
	v_mul_lo_u32 v42, v0, s8
	v_mul_lo_u32 v46, v0, s9
	;; [unrolled: 1-line block ×3, first 2 shown]
	s_cbranch_scc1 .LBB117_228
; %bb.227:
	s_load_dwordx4 s[4:7], s[2:3], 0x10
	s_load_dwordx4 s[8:11], s[2:3], 0xd0
	s_waitcnt lgkmcnt(0)
	v_mul_hi_u32 v0, s5, v1
	v_add_u32_e32 v0, v1, v0
	v_lshrrev_b32_e32 v0, s6, v0
	v_mul_lo_u32 v0, v0, s4
	v_sub_u32_e32 v0, v1, v0
	v_mad_u64_u32 v[42:43], s[0:1], v0, s8, v[42:43]
	v_mad_u64_u32 v[46:47], s[0:1], v0, s9, v[46:47]
	;; [unrolled: 1-line block ×3, first 2 shown]
.LBB117_228:
	s_load_dwordx4 s[4:7], s[2:3], 0x188
	s_load_dwordx2 s[8:9], s[2:3], 0x198
	s_load_dword s0, s[2:3], 0x1a0
	s_waitcnt lgkmcnt(0)
	global_load_dwordx4 v[0:3], v13, s[6:7]
	global_load_dwordx4 v[4:7], v11, s[8:9]
	s_cmp_lg_u32 s0, 0
	s_cselect_b64 s[10:11], -1, 0
	s_and_b64 vcc, exec, s[10:11]
	s_cbranch_vccz .LBB117_253
; %bb.229:
	s_waitcnt vmcnt(0)
	v_cmp_neq_f64_e32 vcc, v[0:1], v[4:5]
	v_cmp_neq_f64_e64 s[0:1], v[2:3], v[6:7]
	s_or_b64 s[2:3], vcc, s[0:1]
	s_cbranch_execnz .LBB117_231
.LBB117_230:
	s_waitcnt vmcnt(0)
	v_cmp_eq_f64_e32 vcc, v[0:1], v[4:5]
	v_cmp_eq_f64_e64 s[0:1], v[2:3], v[6:7]
	s_andn2_b64 s[2:3], s[2:3], exec
	s_and_b64 s[0:1], vcc, s[0:1]
	s_and_b64 s[0:1], s[0:1], exec
	s_or_b64 s[2:3], s[2:3], s[0:1]
.LBB117_231:
	global_load_dwordx4 v[0:3], v18, s[6:7]
	global_load_dwordx4 v[4:7], v16, s[8:9]
	s_and_b64 vcc, exec, s[10:11]
	s_cbranch_vccz .LBB117_254
; %bb.232:
	s_waitcnt vmcnt(0)
	v_cmp_neq_f64_e32 vcc, v[0:1], v[4:5]
	v_cmp_neq_f64_e64 s[0:1], v[2:3], v[6:7]
	s_or_b64 s[12:13], vcc, s[0:1]
	s_cbranch_execnz .LBB117_234
.LBB117_233:
	s_waitcnt vmcnt(0)
	v_cmp_eq_f64_e32 vcc, v[0:1], v[4:5]
	v_cmp_eq_f64_e64 s[0:1], v[2:3], v[6:7]
	s_andn2_b64 s[12:13], s[12:13], exec
	s_and_b64 s[0:1], vcc, s[0:1]
	s_and_b64 s[0:1], s[0:1], exec
	s_or_b64 s[12:13], s[12:13], s[0:1]
.LBB117_234:
	global_load_dwordx4 v[0:3], v23, s[6:7]
	global_load_dwordx4 v[4:7], v21, s[8:9]
	s_and_b64 vcc, exec, s[10:11]
	s_cbranch_vccz .LBB117_255
; %bb.235:
	s_waitcnt vmcnt(0)
	v_cmp_neq_f64_e32 vcc, v[0:1], v[4:5]
	v_cmp_neq_f64_e64 s[0:1], v[2:3], v[6:7]
	s_or_b64 s[14:15], vcc, s[0:1]
	s_cbranch_execnz .LBB117_237
.LBB117_236:
	s_waitcnt vmcnt(0)
	v_cmp_eq_f64_e32 vcc, v[0:1], v[4:5]
	v_cmp_eq_f64_e64 s[0:1], v[2:3], v[6:7]
	s_andn2_b64 s[14:15], s[14:15], exec
	s_and_b64 s[0:1], vcc, s[0:1]
	s_and_b64 s[0:1], s[0:1], exec
	s_or_b64 s[14:15], s[14:15], s[0:1]
.LBB117_237:
	global_load_dwordx4 v[0:3], v28, s[6:7]
	global_load_dwordx4 v[4:7], v26, s[8:9]
	s_and_b64 vcc, exec, s[10:11]
	s_cbranch_vccz .LBB117_256
; %bb.238:
	s_waitcnt vmcnt(0)
	v_cmp_neq_f64_e32 vcc, v[0:1], v[4:5]
	v_cmp_neq_f64_e64 s[0:1], v[2:3], v[6:7]
	s_or_b64 s[16:17], vcc, s[0:1]
	s_cbranch_execnz .LBB117_240
.LBB117_239:
	s_waitcnt vmcnt(0)
	v_cmp_eq_f64_e32 vcc, v[0:1], v[4:5]
	v_cmp_eq_f64_e64 s[0:1], v[2:3], v[6:7]
	s_andn2_b64 s[16:17], s[16:17], exec
	s_and_b64 s[0:1], vcc, s[0:1]
	s_and_b64 s[0:1], s[0:1], exec
	s_or_b64 s[16:17], s[16:17], s[0:1]
.LBB117_240:
	global_load_dwordx4 v[0:3], v31, s[6:7]
	global_load_dwordx4 v[4:7], v29, s[8:9]
	s_and_b64 vcc, exec, s[10:11]
	s_cbranch_vccz .LBB117_257
; %bb.241:
	s_waitcnt vmcnt(0)
	v_cmp_neq_f64_e32 vcc, v[0:1], v[4:5]
	v_cmp_neq_f64_e64 s[0:1], v[2:3], v[6:7]
	s_or_b64 s[18:19], vcc, s[0:1]
	s_cbranch_execnz .LBB117_243
.LBB117_242:
	s_waitcnt vmcnt(0)
	v_cmp_eq_f64_e32 vcc, v[0:1], v[4:5]
	v_cmp_eq_f64_e64 s[0:1], v[2:3], v[6:7]
	s_andn2_b64 s[18:19], s[18:19], exec
	s_and_b64 s[0:1], vcc, s[0:1]
	s_and_b64 s[0:1], s[0:1], exec
	s_or_b64 s[18:19], s[18:19], s[0:1]
.LBB117_243:
	global_load_dwordx4 v[0:3], v36, s[6:7]
	global_load_dwordx4 v[4:7], v34, s[8:9]
	s_and_b64 vcc, exec, s[10:11]
	s_cbranch_vccz .LBB117_258
; %bb.244:
	s_waitcnt vmcnt(0)
	v_cmp_neq_f64_e32 vcc, v[0:1], v[4:5]
	v_cmp_neq_f64_e64 s[0:1], v[2:3], v[6:7]
	s_or_b64 s[20:21], vcc, s[0:1]
	s_cbranch_execnz .LBB117_246
.LBB117_245:
	s_waitcnt vmcnt(0)
	v_cmp_eq_f64_e32 vcc, v[0:1], v[4:5]
	v_cmp_eq_f64_e64 s[0:1], v[2:3], v[6:7]
	s_andn2_b64 s[20:21], s[20:21], exec
	s_and_b64 s[0:1], vcc, s[0:1]
	s_and_b64 s[0:1], s[0:1], exec
	s_or_b64 s[20:21], s[20:21], s[0:1]
.LBB117_246:
	global_load_dwordx4 v[0:3], v41, s[6:7]
	global_load_dwordx4 v[4:7], v39, s[8:9]
	s_and_b64 vcc, exec, s[10:11]
	s_cbranch_vccz .LBB117_259
; %bb.247:
	s_waitcnt vmcnt(0)
	v_cmp_neq_f64_e32 vcc, v[0:1], v[4:5]
	v_cmp_neq_f64_e64 s[0:1], v[2:3], v[6:7]
	s_or_b64 s[22:23], vcc, s[0:1]
	s_cbranch_execnz .LBB117_249
.LBB117_248:
	s_waitcnt vmcnt(0)
	v_cmp_eq_f64_e32 vcc, v[0:1], v[4:5]
	v_cmp_eq_f64_e64 s[0:1], v[2:3], v[6:7]
	s_andn2_b64 s[22:23], s[22:23], exec
	s_and_b64 s[0:1], vcc, s[0:1]
	s_and_b64 s[0:1], s[0:1], exec
	s_or_b64 s[22:23], s[22:23], s[0:1]
.LBB117_249:
	global_load_dwordx4 v[0:3], v46, s[6:7]
	global_load_dwordx4 v[4:7], v44, s[8:9]
	s_and_b64 vcc, exec, s[10:11]
	s_cbranch_vccz .LBB117_260
; %bb.250:
	s_waitcnt vmcnt(0)
	v_cmp_neq_f64_e32 vcc, v[0:1], v[4:5]
	v_cmp_neq_f64_e64 s[0:1], v[2:3], v[6:7]
	s_or_b64 s[6:7], vcc, s[0:1]
	s_cbranch_execnz .LBB117_252
.LBB117_251:
	s_waitcnt vmcnt(0)
	v_cmp_eq_f64_e32 vcc, v[0:1], v[4:5]
	v_cmp_eq_f64_e64 s[0:1], v[2:3], v[6:7]
	s_andn2_b64 s[6:7], s[6:7], exec
	s_and_b64 s[0:1], vcc, s[0:1]
	s_and_b64 s[0:1], s[0:1], exec
	s_or_b64 s[6:7], s[6:7], s[0:1]
.LBB117_252:
	s_waitcnt vmcnt(0)
	v_cndmask_b32_e64 v6, 0, 1, s[2:3]
	v_cndmask_b32_e64 v0, 0, 1, s[22:23]
	;; [unrolled: 1-line block ×8, first 2 shown]
	global_store_byte v8, v6, s[4:5]
	global_store_byte v9, v5, s[4:5]
	;; [unrolled: 1-line block ×8, first 2 shown]
	s_endpgm
.LBB117_253:
                                        ; implicit-def: $sgpr2_sgpr3
	s_branch .LBB117_230
.LBB117_254:
                                        ; implicit-def: $sgpr12_sgpr13
	s_branch .LBB117_233
.LBB117_255:
                                        ; implicit-def: $sgpr14_sgpr15
	s_branch .LBB117_236
.LBB117_256:
                                        ; implicit-def: $sgpr16_sgpr17
	s_branch .LBB117_239
.LBB117_257:
                                        ; implicit-def: $sgpr18_sgpr19
	s_branch .LBB117_242
.LBB117_258:
                                        ; implicit-def: $sgpr20_sgpr21
	s_branch .LBB117_245
.LBB117_259:
                                        ; implicit-def: $sgpr22_sgpr23
	s_branch .LBB117_248
.LBB117_260:
                                        ; implicit-def: $sgpr6_sgpr7
	s_branch .LBB117_251
	.section	.rodata,"a",@progbits
	.p2align	6, 0x0
	.amdhsa_kernel _ZN2at6native32elementwise_kernel_manual_unrollILi128ELi8EZNS0_22gpu_kernel_impl_nocastINS0_13BinaryFunctorIN3c107complexIdEES6_bNS0_12_GLOBAL__N_116CompareEqFunctorIS6_EEEEEEvRNS_18TensorIteratorBaseERKT_EUlibE_EEviT1_
		.amdhsa_group_segment_fixed_size 0
		.amdhsa_private_segment_fixed_size 0
		.amdhsa_kernarg_size 432
		.amdhsa_user_sgpr_count 6
		.amdhsa_user_sgpr_private_segment_buffer 1
		.amdhsa_user_sgpr_dispatch_ptr 0
		.amdhsa_user_sgpr_queue_ptr 0
		.amdhsa_user_sgpr_kernarg_segment_ptr 1
		.amdhsa_user_sgpr_dispatch_id 0
		.amdhsa_user_sgpr_flat_scratch_init 0
		.amdhsa_user_sgpr_private_segment_size 0
		.amdhsa_uses_dynamic_stack 0
		.amdhsa_system_sgpr_private_segment_wavefront_offset 0
		.amdhsa_system_sgpr_workgroup_id_x 1
		.amdhsa_system_sgpr_workgroup_id_y 0
		.amdhsa_system_sgpr_workgroup_id_z 0
		.amdhsa_system_sgpr_workgroup_info 0
		.amdhsa_system_vgpr_workitem_id 0
		.amdhsa_next_free_vgpr 48
		.amdhsa_next_free_sgpr 54
		.amdhsa_reserve_vcc 1
		.amdhsa_reserve_flat_scratch 0
		.amdhsa_float_round_mode_32 0
		.amdhsa_float_round_mode_16_64 0
		.amdhsa_float_denorm_mode_32 3
		.amdhsa_float_denorm_mode_16_64 3
		.amdhsa_dx10_clamp 1
		.amdhsa_ieee_mode 1
		.amdhsa_fp16_overflow 0
		.amdhsa_exception_fp_ieee_invalid_op 0
		.amdhsa_exception_fp_denorm_src 0
		.amdhsa_exception_fp_ieee_div_zero 0
		.amdhsa_exception_fp_ieee_overflow 0
		.amdhsa_exception_fp_ieee_underflow 0
		.amdhsa_exception_fp_ieee_inexact 0
		.amdhsa_exception_int_div_zero 0
	.end_amdhsa_kernel
	.section	.text._ZN2at6native32elementwise_kernel_manual_unrollILi128ELi8EZNS0_22gpu_kernel_impl_nocastINS0_13BinaryFunctorIN3c107complexIdEES6_bNS0_12_GLOBAL__N_116CompareEqFunctorIS6_EEEEEEvRNS_18TensorIteratorBaseERKT_EUlibE_EEviT1_,"axG",@progbits,_ZN2at6native32elementwise_kernel_manual_unrollILi128ELi8EZNS0_22gpu_kernel_impl_nocastINS0_13BinaryFunctorIN3c107complexIdEES6_bNS0_12_GLOBAL__N_116CompareEqFunctorIS6_EEEEEEvRNS_18TensorIteratorBaseERKT_EUlibE_EEviT1_,comdat
.Lfunc_end117:
	.size	_ZN2at6native32elementwise_kernel_manual_unrollILi128ELi8EZNS0_22gpu_kernel_impl_nocastINS0_13BinaryFunctorIN3c107complexIdEES6_bNS0_12_GLOBAL__N_116CompareEqFunctorIS6_EEEEEEvRNS_18TensorIteratorBaseERKT_EUlibE_EEviT1_, .Lfunc_end117-_ZN2at6native32elementwise_kernel_manual_unrollILi128ELi8EZNS0_22gpu_kernel_impl_nocastINS0_13BinaryFunctorIN3c107complexIdEES6_bNS0_12_GLOBAL__N_116CompareEqFunctorIS6_EEEEEEvRNS_18TensorIteratorBaseERKT_EUlibE_EEviT1_
                                        ; -- End function
	.set _ZN2at6native32elementwise_kernel_manual_unrollILi128ELi8EZNS0_22gpu_kernel_impl_nocastINS0_13BinaryFunctorIN3c107complexIdEES6_bNS0_12_GLOBAL__N_116CompareEqFunctorIS6_EEEEEEvRNS_18TensorIteratorBaseERKT_EUlibE_EEviT1_.num_vgpr, 48
	.set _ZN2at6native32elementwise_kernel_manual_unrollILi128ELi8EZNS0_22gpu_kernel_impl_nocastINS0_13BinaryFunctorIN3c107complexIdEES6_bNS0_12_GLOBAL__N_116CompareEqFunctorIS6_EEEEEEvRNS_18TensorIteratorBaseERKT_EUlibE_EEviT1_.num_agpr, 0
	.set _ZN2at6native32elementwise_kernel_manual_unrollILi128ELi8EZNS0_22gpu_kernel_impl_nocastINS0_13BinaryFunctorIN3c107complexIdEES6_bNS0_12_GLOBAL__N_116CompareEqFunctorIS6_EEEEEEvRNS_18TensorIteratorBaseERKT_EUlibE_EEviT1_.numbered_sgpr, 54
	.set _ZN2at6native32elementwise_kernel_manual_unrollILi128ELi8EZNS0_22gpu_kernel_impl_nocastINS0_13BinaryFunctorIN3c107complexIdEES6_bNS0_12_GLOBAL__N_116CompareEqFunctorIS6_EEEEEEvRNS_18TensorIteratorBaseERKT_EUlibE_EEviT1_.num_named_barrier, 0
	.set _ZN2at6native32elementwise_kernel_manual_unrollILi128ELi8EZNS0_22gpu_kernel_impl_nocastINS0_13BinaryFunctorIN3c107complexIdEES6_bNS0_12_GLOBAL__N_116CompareEqFunctorIS6_EEEEEEvRNS_18TensorIteratorBaseERKT_EUlibE_EEviT1_.private_seg_size, 0
	.set _ZN2at6native32elementwise_kernel_manual_unrollILi128ELi8EZNS0_22gpu_kernel_impl_nocastINS0_13BinaryFunctorIN3c107complexIdEES6_bNS0_12_GLOBAL__N_116CompareEqFunctorIS6_EEEEEEvRNS_18TensorIteratorBaseERKT_EUlibE_EEviT1_.uses_vcc, 1
	.set _ZN2at6native32elementwise_kernel_manual_unrollILi128ELi8EZNS0_22gpu_kernel_impl_nocastINS0_13BinaryFunctorIN3c107complexIdEES6_bNS0_12_GLOBAL__N_116CompareEqFunctorIS6_EEEEEEvRNS_18TensorIteratorBaseERKT_EUlibE_EEviT1_.uses_flat_scratch, 0
	.set _ZN2at6native32elementwise_kernel_manual_unrollILi128ELi8EZNS0_22gpu_kernel_impl_nocastINS0_13BinaryFunctorIN3c107complexIdEES6_bNS0_12_GLOBAL__N_116CompareEqFunctorIS6_EEEEEEvRNS_18TensorIteratorBaseERKT_EUlibE_EEviT1_.has_dyn_sized_stack, 0
	.set _ZN2at6native32elementwise_kernel_manual_unrollILi128ELi8EZNS0_22gpu_kernel_impl_nocastINS0_13BinaryFunctorIN3c107complexIdEES6_bNS0_12_GLOBAL__N_116CompareEqFunctorIS6_EEEEEEvRNS_18TensorIteratorBaseERKT_EUlibE_EEviT1_.has_recursion, 0
	.set _ZN2at6native32elementwise_kernel_manual_unrollILi128ELi8EZNS0_22gpu_kernel_impl_nocastINS0_13BinaryFunctorIN3c107complexIdEES6_bNS0_12_GLOBAL__N_116CompareEqFunctorIS6_EEEEEEvRNS_18TensorIteratorBaseERKT_EUlibE_EEviT1_.has_indirect_call, 0
	.section	.AMDGPU.csdata,"",@progbits
; Kernel info:
; codeLenInByte = 10340
; TotalNumSgprs: 58
; NumVgprs: 48
; ScratchSize: 0
; MemoryBound: 1
; FloatMode: 240
; IeeeMode: 1
; LDSByteSize: 0 bytes/workgroup (compile time only)
; SGPRBlocks: 7
; VGPRBlocks: 11
; NumSGPRsForWavesPerEU: 58
; NumVGPRsForWavesPerEU: 48
; Occupancy: 5
; WaveLimiterHint : 1
; COMPUTE_PGM_RSRC2:SCRATCH_EN: 0
; COMPUTE_PGM_RSRC2:USER_SGPR: 6
; COMPUTE_PGM_RSRC2:TRAP_HANDLER: 0
; COMPUTE_PGM_RSRC2:TGID_X_EN: 1
; COMPUTE_PGM_RSRC2:TGID_Y_EN: 0
; COMPUTE_PGM_RSRC2:TGID_Z_EN: 0
; COMPUTE_PGM_RSRC2:TIDIG_COMP_CNT: 0
	.section	.text._ZN2at6native32elementwise_kernel_manual_unrollILi128ELi4EZNS0_15gpu_kernel_implINS0_13BinaryFunctorIN3c107complexIdEES6_bNS0_12_GLOBAL__N_116CompareEqFunctorIS6_EEEEEEvRNS_18TensorIteratorBaseERKT_EUlibE_EEviT1_,"axG",@progbits,_ZN2at6native32elementwise_kernel_manual_unrollILi128ELi4EZNS0_15gpu_kernel_implINS0_13BinaryFunctorIN3c107complexIdEES6_bNS0_12_GLOBAL__N_116CompareEqFunctorIS6_EEEEEEvRNS_18TensorIteratorBaseERKT_EUlibE_EEviT1_,comdat
	.globl	_ZN2at6native32elementwise_kernel_manual_unrollILi128ELi4EZNS0_15gpu_kernel_implINS0_13BinaryFunctorIN3c107complexIdEES6_bNS0_12_GLOBAL__N_116CompareEqFunctorIS6_EEEEEEvRNS_18TensorIteratorBaseERKT_EUlibE_EEviT1_ ; -- Begin function _ZN2at6native32elementwise_kernel_manual_unrollILi128ELi4EZNS0_15gpu_kernel_implINS0_13BinaryFunctorIN3c107complexIdEES6_bNS0_12_GLOBAL__N_116CompareEqFunctorIS6_EEEEEEvRNS_18TensorIteratorBaseERKT_EUlibE_EEviT1_
	.p2align	8
	.type	_ZN2at6native32elementwise_kernel_manual_unrollILi128ELi4EZNS0_15gpu_kernel_implINS0_13BinaryFunctorIN3c107complexIdEES6_bNS0_12_GLOBAL__N_116CompareEqFunctorIS6_EEEEEEvRNS_18TensorIteratorBaseERKT_EUlibE_EEviT1_,@function
_ZN2at6native32elementwise_kernel_manual_unrollILi128ELi4EZNS0_15gpu_kernel_implINS0_13BinaryFunctorIN3c107complexIdEES6_bNS0_12_GLOBAL__N_116CompareEqFunctorIS6_EEEEEEvRNS_18TensorIteratorBaseERKT_EUlibE_EEviT1_: ; @_ZN2at6native32elementwise_kernel_manual_unrollILi128ELi4EZNS0_15gpu_kernel_implINS0_13BinaryFunctorIN3c107complexIdEES6_bNS0_12_GLOBAL__N_116CompareEqFunctorIS6_EEEEEEvRNS_18TensorIteratorBaseERKT_EUlibE_EEviT1_
; %bb.0:
	s_load_dword s33, s[4:5], 0x30
	s_load_dword s50, s[4:5], 0x0
	s_load_dwordx4 s[8:11], s[4:5], 0x8
	s_load_dwordx2 s[2:3], s[4:5], 0x18
	s_load_dwordx4 s[12:15], s[4:5], 0x20
	v_lshl_or_b32 v10, s6, 9, v0
	v_or_b32_e32 v0, 0x180, v10
	s_waitcnt lgkmcnt(0)
	s_lshr_b32 s57, s33, 8
	s_lshr_b32 s56, s33, 16
	v_cmp_le_i32_e32 vcc, s50, v0
	s_mov_b64 s[4:5], 0
	s_mov_b64 s[16:17], 0
	s_and_saveexec_b64 s[0:1], vcc
	s_xor_b64 s[6:7], exec, s[0:1]
	s_cbranch_execz .LBB118_1601
; %bb.1:
	s_cmp_lg_u32 s15, 0
	s_cselect_b64 s[16:17], -1, 0
	v_cmp_gt_i32_e32 vcc, s50, v10
	s_mov_b64 s[0:1], -1
	s_mov_b64 s[28:29], 0
	s_mov_b64 s[22:23], 0
	;; [unrolled: 1-line block ×4, first 2 shown]
	s_and_saveexec_b64 s[24:25], vcc
	s_cbranch_execz .LBB118_396
; %bb.2:
	v_mul_lo_u32 v0, v10, s13
	v_mov_b32_e32 v1, s11
	s_and_b32 s26, s57, 0xff
	s_cmp_lt_i32 s26, 11
	v_ashrrev_i32_e32 v2, 31, v0
	v_add_co_u32_e32 v4, vcc, s10, v0
	v_addc_co_u32_e32 v5, vcc, v1, v2, vcc
	s_cbranch_scc1 .LBB118_9
; %bb.3:
	s_and_b32 s27, 0xffff, s26
	s_cmp_gt_i32 s27, 25
	s_cbranch_scc0 .LBB118_18
; %bb.4:
	s_cmp_gt_i32 s27, 28
	s_cbranch_scc0 .LBB118_31
; %bb.5:
	;; [unrolled: 3-line block ×4, first 2 shown]
	s_cmp_eq_u32 s27, 46
	s_cbranch_scc0 .LBB118_41
; %bb.8:
	global_load_dword v0, v[4:5], off
	s_waitcnt vmcnt(0)
	v_and_b32_e32 v2, 0xffff0000, v0
	v_lshlrev_b32_e32 v0, 16, v0
	v_cvt_f64_f32_e32 v[0:1], v0
	v_cvt_f64_f32_e32 v[2:3], v2
	s_branch .LBB118_43
.LBB118_9:
                                        ; implicit-def: $vgpr2_vgpr3
	s_mov_b64 s[0:1], 0
	s_cbranch_execnz .LBB118_111
.LBB118_10:
	s_andn2_b64 vcc, exec, s[0:1]
	s_cbranch_vccnz .LBB118_160
.LBB118_11:
	v_mul_lo_u32 v4, v10, s14
	v_mov_b32_e32 v5, s3
	s_and_b32 s30, s56, 0xff
	s_cmp_lt_i32 s30, 11
	v_ashrrev_i32_e32 v6, 31, v4
	v_add_co_u32_e32 v8, vcc, s2, v4
	v_addc_co_u32_e32 v9, vcc, v5, v6, vcc
	s_cbranch_scc1 .LBB118_19
; %bb.12:
	s_and_b32 s31, 0xffff, s30
	s_cmp_gt_i32 s31, 25
	s_cbranch_scc0 .LBB118_32
; %bb.13:
	s_cmp_gt_i32 s31, 28
	s_cbranch_scc0 .LBB118_36
; %bb.14:
	;; [unrolled: 3-line block ×4, first 2 shown]
	s_cmp_eq_u32 s31, 46
	s_mov_b64 s[18:19], 0
	s_cbranch_scc0 .LBB118_161
; %bb.17:
	global_load_dword v4, v[8:9], off
	s_mov_b64 s[0:1], -1
	s_mov_b64 s[20:21], 0
	s_waitcnt vmcnt(0)
	v_and_b32_e32 v6, 0xffff0000, v4
	v_lshlrev_b32_e32 v4, 16, v4
	v_cvt_f64_f32_e32 v[4:5], v4
	v_cvt_f64_f32_e32 v[6:7], v6
	s_branch .LBB118_163
.LBB118_18:
	s_mov_b64 s[0:1], 0
                                        ; implicit-def: $vgpr2_vgpr3
	s_cbranch_execnz .LBB118_78
	s_branch .LBB118_110
.LBB118_19:
	s_mov_b64 s[20:21], 0
                                        ; implicit-def: $vgpr6_vgpr7
	s_mov_b64 s[0:1], 0
	s_cbranch_execnz .LBB118_343
.LBB118_20:
	s_andn2_b64 vcc, exec, s[0:1]
	s_cbranch_vccnz .LBB118_393
.LBB118_21:
	s_and_b64 vcc, exec, s[16:17]
	s_cbranch_vccz .LBB118_34
; %bb.22:
	s_waitcnt vmcnt(0)
	v_cmp_neq_f64_e32 vcc, v[0:1], v[4:5]
	v_cmp_neq_f64_e64 s[0:1], v[2:3], v[6:7]
	s_or_b64 s[18:19], vcc, s[0:1]
	s_cbranch_execnz .LBB118_24
.LBB118_23:
	s_waitcnt vmcnt(0)
	v_cmp_eq_f64_e32 vcc, v[0:1], v[4:5]
	v_cmp_eq_f64_e64 s[0:1], v[2:3], v[6:7]
	s_andn2_b64 s[18:19], s[18:19], exec
	s_and_b64 s[0:1], vcc, s[0:1]
	s_and_b64 s[0:1], s[0:1], exec
	s_or_b64 s[18:19], s[18:19], s[0:1]
.LBB118_24:
	s_waitcnt vmcnt(0)
	v_mul_lo_u32 v0, v10, s12
	v_mov_b32_e32 v1, s9
	s_and_b32 s36, s33, 0xff
	s_cmp_lt_i32 s36, 11
	v_ashrrev_i32_e32 v2, 31, v0
	v_add_co_u32_e32 v0, vcc, s8, v0
	v_addc_co_u32_e32 v1, vcc, v1, v2, vcc
	s_cbranch_scc1 .LBB118_33
; %bb.25:
	s_and_b32 s37, 0xffff, s36
	s_cmp_gt_i32 s37, 25
	s_cbranch_scc0 .LBB118_37
; %bb.26:
	s_cmp_gt_i32 s37, 28
	s_cbranch_scc0 .LBB118_40
; %bb.27:
	;; [unrolled: 3-line block ×4, first 2 shown]
	s_mov_b64 s[30:31], 0
	s_mov_b64 s[0:1], -1
	s_cmp_eq_u32 s37, 46
	s_mov_b64 s[26:27], 0
	s_cbranch_scc0 .LBB118_167
; %bb.30:
	v_cndmask_b32_e64 v2, 0, 1.0, s[18:19]
	v_bfe_u32 v3, v2, 16, 1
	s_movk_i32 s0, 0x7fff
	v_add3_u32 v2, v2, v3, s0
	v_lshrrev_b32_e32 v2, 16, v2
	global_store_dword v[0:1], v2, off
	s_mov_b64 s[26:27], -1
	s_mov_b64 s[0:1], 0
	s_branch .LBB118_167
.LBB118_31:
	s_mov_b64 s[18:19], -1
	s_mov_b64 s[0:1], 0
                                        ; implicit-def: $vgpr2_vgpr3
	s_branch .LBB118_57
.LBB118_32:
	s_mov_b64 s[18:19], -1
	s_mov_b64 s[20:21], 0
	s_mov_b64 s[0:1], 0
                                        ; implicit-def: $vgpr6_vgpr7
	s_branch .LBB118_308
.LBB118_33:
	s_mov_b64 s[30:31], -1
	s_mov_b64 s[0:1], 0
	s_mov_b64 s[26:27], 0
	s_branch .LBB118_236
.LBB118_34:
                                        ; implicit-def: $sgpr18_sgpr19
	s_branch .LBB118_23
.LBB118_35:
	s_mov_b64 s[18:19], -1
	s_mov_b64 s[0:1], 0
                                        ; implicit-def: $vgpr2_vgpr3
	s_branch .LBB118_51
.LBB118_36:
	s_mov_b64 s[18:19], -1
	s_mov_b64 s[20:21], 0
	s_mov_b64 s[0:1], 0
                                        ; implicit-def: $vgpr6_vgpr7
	s_branch .LBB118_287
.LBB118_37:
	s_mov_b64 s[30:31], -1
	s_mov_b64 s[0:1], 0
	s_mov_b64 s[26:27], 0
	s_branch .LBB118_194
.LBB118_38:
	s_mov_b64 s[18:19], -1
	s_branch .LBB118_42
.LBB118_39:
	s_mov_b64 s[18:19], -1
	s_mov_b64 s[20:21], 0
	s_mov_b64 s[0:1], 0
                                        ; implicit-def: $vgpr6_vgpr7
	s_branch .LBB118_281
.LBB118_40:
	s_mov_b64 s[30:31], -1
	s_mov_b64 s[0:1], 0
	s_mov_b64 s[26:27], 0
	s_branch .LBB118_177
.LBB118_41:
	s_mov_b64 s[22:23], -1
.LBB118_42:
	s_mov_b64 s[0:1], 0
                                        ; implicit-def: $vgpr2_vgpr3
.LBB118_43:
	s_and_b64 vcc, exec, s[18:19]
	s_cbranch_vccz .LBB118_50
; %bb.44:
	s_cmp_eq_u32 s27, 44
	s_cbranch_scc0 .LBB118_48
; %bb.45:
	global_load_ubyte v2, v[4:5], off
	s_movk_i32 s18, 0xff
	v_bfrev_b32_e32 v3, 4
	v_mov_b32_e32 v6, 0x7ff80000
	v_bfrev_b32_e32 v7, 28
	s_mov_b64 s[0:1], -1
	s_mov_b64 s[22:23], 0
	s_waitcnt vmcnt(0)
	v_lshlrev_b32_e32 v0, 23, v2
	v_cvt_f64_f32_e32 v[0:1], v0
	v_cmp_ne_u32_e32 vcc, s18, v2
	v_cndmask_b32_e32 v0, v3, v0, vcc
	v_cndmask_b32_e32 v1, v6, v1, vcc
	v_cmp_ne_u32_e32 vcc, 0, v2
	v_cndmask_b32_e32 v1, v7, v1, vcc
	v_cndmask_b32_e32 v0, 0, v0, vcc
	s_branch .LBB118_49
.LBB118_46:
	s_mov_b64 s[18:19], -1
	s_mov_b64 s[20:21], 0
	s_branch .LBB118_162
.LBB118_47:
	s_mov_b64 s[30:31], -1
	s_mov_b64 s[0:1], 0
	s_mov_b64 s[26:27], 0
	s_branch .LBB118_173
.LBB118_48:
	s_mov_b64 s[22:23], -1
                                        ; implicit-def: $vgpr0_vgpr1
.LBB118_49:
	v_mov_b32_e32 v2, 0
	v_mov_b32_e32 v3, 0
.LBB118_50:
	s_mov_b64 s[18:19], 0
.LBB118_51:
	s_and_b64 vcc, exec, s[18:19]
	s_cbranch_vccz .LBB118_56
; %bb.52:
	s_cmp_eq_u32 s27, 29
	s_cbranch_scc0 .LBB118_54
; %bb.53:
	global_load_dwordx2 v[0:1], v[4:5], off
	s_mov_b64 s[0:1], -1
	s_mov_b64 s[22:23], 0
	s_waitcnt vmcnt(0)
	v_cvt_f64_u32_e32 v[1:2], v1
	v_cvt_f64_u32_e32 v[6:7], v0
	v_ldexp_f64 v[1:2], v[1:2], 32
	v_add_f64 v[0:1], v[1:2], v[6:7]
	s_branch .LBB118_55
.LBB118_54:
	s_mov_b64 s[22:23], -1
                                        ; implicit-def: $vgpr0_vgpr1
.LBB118_55:
	v_mov_b32_e32 v2, 0
	v_mov_b32_e32 v3, 0
.LBB118_56:
	s_mov_b64 s[18:19], 0
.LBB118_57:
	s_and_b64 vcc, exec, s[18:19]
	s_cbranch_vccz .LBB118_77
; %bb.58:
	s_cmp_lt_i32 s27, 27
	s_cbranch_scc1 .LBB118_61
; %bb.59:
	s_cmp_gt_i32 s27, 27
	s_cbranch_scc0 .LBB118_62
; %bb.60:
	global_load_dword v0, v[4:5], off
	s_mov_b64 s[0:1], 0
	s_waitcnt vmcnt(0)
	v_cvt_f64_u32_e32 v[0:1], v0
	s_branch .LBB118_63
.LBB118_61:
	s_mov_b64 s[0:1], -1
                                        ; implicit-def: $vgpr0_vgpr1
	s_branch .LBB118_66
.LBB118_62:
	s_mov_b64 s[0:1], -1
                                        ; implicit-def: $vgpr0_vgpr1
.LBB118_63:
	s_andn2_b64 vcc, exec, s[0:1]
	s_cbranch_vccnz .LBB118_65
; %bb.64:
	global_load_ushort v0, v[4:5], off
	s_waitcnt vmcnt(0)
	v_cvt_f64_u32_e32 v[0:1], v0
.LBB118_65:
	s_mov_b64 s[0:1], 0
.LBB118_66:
	s_andn2_b64 vcc, exec, s[0:1]
	s_cbranch_vccnz .LBB118_76
; %bb.67:
	global_load_ubyte v2, v[4:5], off
	s_movk_i32 s0, 0x7f
	s_waitcnt vmcnt(0)
	v_cmp_lt_i16_e32 vcc, s0, v2
	s_mov_b64 s[0:1], 0
	s_and_saveexec_b64 s[18:19], vcc
	s_xor_b64 s[18:19], exec, s[18:19]
	s_cbranch_execz .LBB118_71
; %bb.68:
	s_movk_i32 s0, 0x80
	v_cmp_eq_u16_e32 vcc, s0, v2
	s_mov_b64 s[0:1], -1
	s_and_saveexec_b64 s[20:21], vcc
; %bb.69:
	s_xor_b64 s[0:1], exec, -1
; %bb.70:
	s_or_b64 exec, exec, s[20:21]
	s_and_b64 s[0:1], s[0:1], exec
.LBB118_71:
	s_or_saveexec_b64 s[18:19], s[18:19]
	v_bfrev_b32_e32 v0, 4
	v_mov_b32_e32 v1, 0x7ff80000
	s_xor_b64 exec, exec, s[18:19]
; %bb.72:
	v_cmp_ne_u16_e32 vcc, 0, v2
	v_mov_b32_e32 v0, 0
	s_andn2_b64 s[0:1], s[0:1], exec
	s_and_b64 s[20:21], vcc, exec
	v_mov_b32_e32 v1, 0
	s_or_b64 s[0:1], s[0:1], s[20:21]
; %bb.73:
	s_or_b64 exec, exec, s[18:19]
	s_and_saveexec_b64 s[18:19], s[0:1]
	s_cbranch_execz .LBB118_75
; %bb.74:
	v_and_b32_e32 v1, 0xffff, v2
	v_lshlrev_b32_e32 v0, 24, v2
	v_and_b32_e32 v2, 7, v1
	v_ffbh_u32_e32 v6, v2
	v_min_u32_e32 v6, 32, v6
	v_subrev_u32_e32 v7, 28, v6
	v_bfe_u32 v3, v1, 3, 4
	v_lshlrev_b32_e32 v1, v7, v1
	v_sub_u32_e32 v6, 29, v6
	v_and_b32_e32 v1, 7, v1
	v_cmp_eq_u32_e32 vcc, 0, v3
	v_cndmask_b32_e32 v3, v3, v6, vcc
	v_cndmask_b32_e32 v1, v2, v1, vcc
	v_mov_b32_e32 v2, 0x3b800000
	v_lshlrev_b32_e32 v1, 20, v1
	v_and_b32_e32 v0, 0x80000000, v0
	v_lshl_add_u32 v2, v3, 23, v2
	v_or3_b32 v0, v0, v2, v1
	v_cvt_f64_f32_e32 v[0:1], v0
.LBB118_75:
	s_or_b64 exec, exec, s[18:19]
.LBB118_76:
	v_mov_b32_e32 v2, 0
	v_mov_b32_e32 v3, 0
	s_mov_b64 s[0:1], -1
.LBB118_77:
	s_branch .LBB118_110
.LBB118_78:
	s_cmp_gt_i32 s27, 22
	s_cbranch_scc0 .LBB118_90
; %bb.79:
	s_cmp_lt_i32 s27, 24
	s_cbranch_scc1 .LBB118_91
; %bb.80:
	s_cmp_gt_i32 s27, 24
	s_cbranch_scc0 .LBB118_92
; %bb.81:
	global_load_ubyte v2, v[4:5], off
	s_movk_i32 s0, 0x7f
	s_waitcnt vmcnt(0)
	v_cmp_lt_i16_e32 vcc, s0, v2
	s_mov_b64 s[0:1], 0
	s_and_saveexec_b64 s[18:19], vcc
	s_xor_b64 s[18:19], exec, s[18:19]
	s_cbranch_execz .LBB118_85
; %bb.82:
	s_movk_i32 s0, 0x80
	v_cmp_eq_u16_e32 vcc, s0, v2
	s_mov_b64 s[0:1], -1
	s_and_saveexec_b64 s[20:21], vcc
; %bb.83:
	s_xor_b64 s[0:1], exec, -1
; %bb.84:
	s_or_b64 exec, exec, s[20:21]
	s_and_b64 s[0:1], s[0:1], exec
.LBB118_85:
	s_or_saveexec_b64 s[18:19], s[18:19]
	v_bfrev_b32_e32 v0, 4
	v_mov_b32_e32 v1, 0x7ff80000
	s_xor_b64 exec, exec, s[18:19]
; %bb.86:
	v_cmp_ne_u16_e32 vcc, 0, v2
	v_mov_b32_e32 v0, 0
	s_andn2_b64 s[0:1], s[0:1], exec
	s_and_b64 s[20:21], vcc, exec
	v_mov_b32_e32 v1, 0
	s_or_b64 s[0:1], s[0:1], s[20:21]
; %bb.87:
	s_or_b64 exec, exec, s[18:19]
	s_and_saveexec_b64 s[18:19], s[0:1]
	s_cbranch_execz .LBB118_89
; %bb.88:
	v_and_b32_e32 v1, 0xffff, v2
	v_lshlrev_b32_e32 v0, 24, v2
	v_and_b32_e32 v2, 3, v1
	v_ffbh_u32_e32 v6, v2
	v_min_u32_e32 v6, 32, v6
	v_subrev_u32_e32 v7, 29, v6
	v_bfe_u32 v3, v1, 2, 5
	v_lshlrev_b32_e32 v1, v7, v1
	v_sub_u32_e32 v6, 30, v6
	v_and_b32_e32 v1, 3, v1
	v_cmp_eq_u32_e32 vcc, 0, v3
	v_cndmask_b32_e32 v3, v3, v6, vcc
	v_cndmask_b32_e32 v1, v2, v1, vcc
	v_mov_b32_e32 v2, 0x37800000
	v_lshlrev_b32_e32 v1, 21, v1
	v_and_b32_e32 v0, 0x80000000, v0
	v_lshl_add_u32 v2, v3, 23, v2
	v_or3_b32 v0, v0, v2, v1
	v_cvt_f64_f32_e32 v[0:1], v0
.LBB118_89:
	s_or_b64 exec, exec, s[18:19]
	s_mov_b64 s[0:1], 0
	s_branch .LBB118_93
.LBB118_90:
                                        ; implicit-def: $vgpr0_vgpr1
	s_branch .LBB118_99
.LBB118_91:
	s_mov_b64 s[0:1], -1
                                        ; implicit-def: $vgpr0_vgpr1
	s_branch .LBB118_96
.LBB118_92:
	s_mov_b64 s[0:1], -1
                                        ; implicit-def: $vgpr0_vgpr1
.LBB118_93:
	s_and_b64 vcc, exec, s[0:1]
	s_cbranch_vccz .LBB118_95
; %bb.94:
	global_load_ubyte v0, v[4:5], off
	s_mov_b32 s0, 0x7f800000
	s_waitcnt vmcnt(0)
	v_lshlrev_b32_e32 v0, 24, v0
	v_and_b32_e32 v1, 0x7f000000, v0
	v_ffbh_u32_e32 v2, v1
	v_min_u32_e32 v2, 32, v2
	v_sub_u32_e64 v2, v2, 4 clamp
	v_lshlrev_b32_e32 v6, v2, v1
	v_lshlrev_b32_e32 v2, 23, v2
	v_lshrrev_b32_e32 v6, 4, v6
	v_add_u32_e32 v3, 0x1000000, v1
	v_sub_u32_e32 v2, v6, v2
	v_ashrrev_i32_e32 v3, 8, v3
	v_add_u32_e32 v2, 0x3c000000, v2
	v_and_or_b32 v2, v3, s0, v2
	v_cmp_ne_u32_e32 vcc, 0, v1
	v_cndmask_b32_e32 v1, 0, v2, vcc
	s_brev_b32 s0, 1
	v_and_or_b32 v0, v0, s0, v1
	v_cvt_f64_f32_e32 v[0:1], v0
.LBB118_95:
	s_mov_b64 s[0:1], 0
.LBB118_96:
	s_andn2_b64 vcc, exec, s[0:1]
	s_cbranch_vccnz .LBB118_98
; %bb.97:
	global_load_ubyte v0, v[4:5], off
	s_movk_i32 s0, 0x7f00
	s_brev_b32 s1, 16
	s_waitcnt vmcnt(0)
	v_lshlrev_b16_e32 v1, 8, v0
	v_lshlrev_b32_e32 v0, 25, v0
	v_lshrrev_b32_e32 v2, 4, v0
	v_and_or_b32 v3, v1, s0, 0.5
	v_or_b32_e32 v2, 0x70000000, v2
	v_add_f32_e32 v3, -0.5, v3
	v_mul_f32_e32 v2, 0x7800000, v2
	v_cmp_gt_u32_e32 vcc, s1, v0
	v_bfe_i32 v1, v1, 0, 16
	v_cndmask_b32_e32 v0, v2, v3, vcc
	s_brev_b32 s0, 1
	v_and_or_b32 v0, v1, s0, v0
	v_cvt_f64_f32_e32 v[0:1], v0
.LBB118_98:
	s_mov_b64 s[0:1], -1
	s_cbranch_execnz .LBB118_109
.LBB118_99:
	s_cmp_gt_i32 s27, 14
	s_cbranch_scc0 .LBB118_102
; %bb.100:
	s_cmp_eq_u32 s27, 15
	s_cbranch_scc0 .LBB118_103
; %bb.101:
	global_load_ushort v0, v[4:5], off
	s_mov_b64 s[0:1], -1
	s_mov_b64 s[22:23], 0
	s_waitcnt vmcnt(0)
	v_lshlrev_b32_e32 v0, 16, v0
	v_cvt_f64_f32_e32 v[0:1], v0
	s_branch .LBB118_104
.LBB118_102:
	s_mov_b64 s[18:19], -1
                                        ; implicit-def: $vgpr0_vgpr1
	s_branch .LBB118_105
.LBB118_103:
	s_mov_b64 s[22:23], -1
                                        ; implicit-def: $vgpr0_vgpr1
.LBB118_104:
	s_mov_b64 s[18:19], 0
.LBB118_105:
	s_and_b64 vcc, exec, s[18:19]
	s_cbranch_vccz .LBB118_109
; %bb.106:
	s_cmp_eq_u32 s27, 11
	s_cbranch_scc0 .LBB118_108
; %bb.107:
	global_load_ubyte v1, v[4:5], off
	v_mov_b32_e32 v2, 0x3ff00000
	v_mov_b32_e32 v0, 0
	s_mov_b64 s[0:1], -1
	s_mov_b64 s[22:23], 0
	s_waitcnt vmcnt(0)
	v_cmp_ne_u16_e32 vcc, 0, v1
	v_cndmask_b32_e32 v1, 0, v2, vcc
	s_branch .LBB118_109
.LBB118_108:
	s_mov_b64 s[22:23], -1
                                        ; implicit-def: $vgpr0_vgpr1
.LBB118_109:
	v_mov_b32_e32 v2, 0
	v_mov_b32_e32 v3, 0
.LBB118_110:
	s_branch .LBB118_10
.LBB118_111:
	s_and_b32 s18, 0xffff, s26
	s_cmp_lt_i32 s18, 5
	s_cbranch_scc1 .LBB118_116
; %bb.112:
	s_cmp_lt_i32 s18, 8
	s_cbranch_scc1 .LBB118_117
; %bb.113:
	;; [unrolled: 3-line block ×3, first 2 shown]
	s_cmp_gt_i32 s18, 9
	s_cbranch_scc0 .LBB118_119
; %bb.115:
	global_load_dwordx4 v[0:3], v[4:5], off
	s_mov_b64 s[0:1], 0
	s_branch .LBB118_120
.LBB118_116:
                                        ; implicit-def: $vgpr2_vgpr3
	s_branch .LBB118_139
.LBB118_117:
	s_mov_b64 s[0:1], -1
                                        ; implicit-def: $vgpr2_vgpr3
	s_branch .LBB118_126
.LBB118_118:
	s_mov_b64 s[0:1], -1
                                        ; implicit-def: $vgpr2_vgpr3
	s_branch .LBB118_123
.LBB118_119:
	s_mov_b64 s[0:1], -1
                                        ; implicit-def: $vgpr2_vgpr3
.LBB118_120:
	s_andn2_b64 vcc, exec, s[0:1]
	s_cbranch_vccnz .LBB118_122
; %bb.121:
	global_load_dwordx2 v[1:2], v[4:5], off
	s_waitcnt vmcnt(0)
	v_cvt_f64_f32_e32 v[0:1], v1
	v_cvt_f64_f32_e32 v[2:3], v2
.LBB118_122:
	s_mov_b64 s[0:1], 0
.LBB118_123:
	s_andn2_b64 vcc, exec, s[0:1]
	s_cbranch_vccnz .LBB118_125
; %bb.124:
	global_load_dword v0, v[4:5], off
	s_waitcnt vmcnt(0)
	v_cvt_f32_f16_e32 v1, v0
	v_cvt_f32_f16_sdwa v2, v0 dst_sel:DWORD dst_unused:UNUSED_PAD src0_sel:WORD_1
	v_cvt_f64_f32_e32 v[0:1], v1
	v_cvt_f64_f32_e32 v[2:3], v2
.LBB118_125:
	s_mov_b64 s[0:1], 0
.LBB118_126:
	s_andn2_b64 vcc, exec, s[0:1]
	s_cbranch_vccnz .LBB118_138
; %bb.127:
	s_cmp_lt_i32 s18, 6
	s_cbranch_scc1 .LBB118_130
; %bb.128:
	s_cmp_gt_i32 s18, 6
	s_cbranch_scc0 .LBB118_131
; %bb.129:
	global_load_dwordx2 v[0:1], v[4:5], off
	s_mov_b64 s[0:1], 0
	s_branch .LBB118_132
.LBB118_130:
	s_mov_b64 s[0:1], -1
                                        ; implicit-def: $vgpr0_vgpr1
	s_branch .LBB118_135
.LBB118_131:
	s_mov_b64 s[0:1], -1
                                        ; implicit-def: $vgpr0_vgpr1
.LBB118_132:
	s_andn2_b64 vcc, exec, s[0:1]
	s_cbranch_vccnz .LBB118_134
; %bb.133:
	global_load_dword v0, v[4:5], off
	s_waitcnt vmcnt(0)
	v_cvt_f64_f32_e32 v[0:1], v0
.LBB118_134:
	s_mov_b64 s[0:1], 0
.LBB118_135:
	s_andn2_b64 vcc, exec, s[0:1]
	s_cbranch_vccnz .LBB118_137
; %bb.136:
	global_load_ushort v0, v[4:5], off
	s_waitcnt vmcnt(0)
	v_cvt_f32_f16_e32 v0, v0
	v_cvt_f64_f32_e32 v[0:1], v0
.LBB118_137:
	s_waitcnt vmcnt(0)
	v_mov_b32_e32 v2, 0
	v_mov_b32_e32 v3, 0
.LBB118_138:
	s_cbranch_execnz .LBB118_159
.LBB118_139:
	s_cmp_lt_i32 s18, 2
	s_cbranch_scc1 .LBB118_143
; %bb.140:
	s_cmp_lt_i32 s18, 3
	s_cbranch_scc1 .LBB118_144
; %bb.141:
	s_cmp_gt_i32 s18, 3
	s_cbranch_scc0 .LBB118_145
; %bb.142:
	global_load_dwordx2 v[0:1], v[4:5], off
	s_mov_b64 s[0:1], 0
	s_waitcnt vmcnt(0)
	v_cvt_f64_i32_e32 v[1:2], v1
	v_cvt_f64_u32_e32 v[6:7], v0
	v_ldexp_f64 v[1:2], v[1:2], 32
	v_add_f64 v[0:1], v[1:2], v[6:7]
	s_branch .LBB118_146
.LBB118_143:
	s_mov_b64 s[0:1], -1
                                        ; implicit-def: $vgpr0_vgpr1
	s_branch .LBB118_152
.LBB118_144:
	s_mov_b64 s[0:1], -1
                                        ; implicit-def: $vgpr0_vgpr1
	s_branch .LBB118_149
.LBB118_145:
	s_mov_b64 s[0:1], -1
                                        ; implicit-def: $vgpr0_vgpr1
.LBB118_146:
	s_andn2_b64 vcc, exec, s[0:1]
	s_cbranch_vccnz .LBB118_148
; %bb.147:
	global_load_dword v0, v[4:5], off
	s_waitcnt vmcnt(0)
	v_cvt_f64_i32_e32 v[0:1], v0
.LBB118_148:
	s_mov_b64 s[0:1], 0
.LBB118_149:
	s_andn2_b64 vcc, exec, s[0:1]
	s_cbranch_vccnz .LBB118_151
; %bb.150:
	global_load_sshort v0, v[4:5], off
	s_waitcnt vmcnt(0)
	v_cvt_f64_i32_e32 v[0:1], v0
.LBB118_151:
	s_mov_b64 s[0:1], 0
.LBB118_152:
	s_andn2_b64 vcc, exec, s[0:1]
	s_cbranch_vccnz .LBB118_158
; %bb.153:
	s_cmp_gt_i32 s18, 0
	s_cbranch_scc0 .LBB118_155
; %bb.154:
	global_load_sbyte v0, v[4:5], off
	s_mov_b64 s[0:1], 0
	s_waitcnt vmcnt(0)
	v_cvt_f64_i32_e32 v[0:1], v0
	s_branch .LBB118_156
.LBB118_155:
	s_mov_b64 s[0:1], -1
                                        ; implicit-def: $vgpr0_vgpr1
.LBB118_156:
	s_andn2_b64 vcc, exec, s[0:1]
	s_cbranch_vccnz .LBB118_158
; %bb.157:
	global_load_ubyte v0, v[4:5], off
	s_waitcnt vmcnt(0)
	v_cvt_f64_u32_e32 v[0:1], v0
.LBB118_158:
	s_waitcnt vmcnt(0)
	v_mov_b32_e32 v2, 0
	v_mov_b32_e32 v3, 0
.LBB118_159:
	s_branch .LBB118_11
.LBB118_160:
	s_mov_b64 s[0:1], 0
	s_mov_b64 s[20:21], 0
	s_branch .LBB118_394
.LBB118_161:
	s_mov_b64 s[20:21], -1
.LBB118_162:
	s_mov_b64 s[0:1], 0
                                        ; implicit-def: $vgpr6_vgpr7
.LBB118_163:
	s_and_b64 vcc, exec, s[18:19]
	s_cbranch_vccz .LBB118_280
; %bb.164:
	s_cmp_eq_u32 s31, 44
	s_cbranch_scc0 .LBB118_278
; %bb.165:
	global_load_ubyte v6, v[8:9], off
	s_movk_i32 s18, 0xff
	v_bfrev_b32_e32 v7, 4
	v_mov_b32_e32 v11, 0x7ff80000
	v_bfrev_b32_e32 v12, 28
	s_mov_b64 s[0:1], -1
	s_mov_b64 s[20:21], 0
	s_waitcnt vmcnt(0)
	v_lshlrev_b32_e32 v4, 23, v6
	v_cvt_f64_f32_e32 v[4:5], v4
	v_cmp_ne_u32_e32 vcc, s18, v6
	v_cndmask_b32_e32 v4, v7, v4, vcc
	v_cndmask_b32_e32 v5, v11, v5, vcc
	v_cmp_ne_u32_e32 vcc, 0, v6
	v_cndmask_b32_e32 v5, v12, v5, vcc
	v_cndmask_b32_e32 v4, 0, v4, vcc
	s_branch .LBB118_279
.LBB118_166:
	s_mov_b64 s[30:31], -1
	s_mov_b64 s[0:1], 0
	s_mov_b64 s[26:27], 0
.LBB118_167:
	s_and_b64 vcc, exec, s[30:31]
	s_cbranch_vccz .LBB118_172
; %bb.168:
	s_cmp_eq_u32 s37, 44
	s_mov_b64 s[0:1], -1
	s_cbranch_scc0 .LBB118_172
; %bb.169:
	v_cndmask_b32_e64 v3, 0, 1.0, s[18:19]
	v_lshrrev_b32_e32 v2, 23, v3
	s_movk_i32 s0, 0xff
	v_cmp_ne_u32_e32 vcc, s0, v2
	v_mov_b32_e32 v4, 0xff
	s_and_saveexec_b64 s[26:27], vcc
; %bb.170:
	s_mov_b32 s0, 0x3fffff
	v_and_b32_e32 v4, 0x400000, v3
	v_and_or_b32 v3, v3, s0, v2
	v_cmp_ne_u32_e32 vcc, 0, v4
	v_cmp_ne_u32_e64 s[0:1], 0, v3
	s_and_b64 s[0:1], vcc, s[0:1]
	v_cndmask_b32_e64 v3, 0, 1, s[0:1]
	v_add_u32_e32 v4, v2, v3
; %bb.171:
	s_or_b64 exec, exec, s[26:27]
	s_mov_b64 s[26:27], -1
	s_mov_b64 s[0:1], 0
	global_store_byte v[0:1], v4, off
.LBB118_172:
	s_mov_b64 s[30:31], 0
.LBB118_173:
	s_and_b64 vcc, exec, s[30:31]
	s_cbranch_vccz .LBB118_176
; %bb.174:
	s_cmp_eq_u32 s37, 29
	s_mov_b64 s[0:1], -1
	s_cbranch_scc0 .LBB118_176
; %bb.175:
	s_mov_b32 s0, 0
	v_cndmask_b32_e64 v2, 0, 1, s[18:19]
	v_mov_b32_e32 v3, s0
	global_store_dwordx2 v[0:1], v[2:3], off
	s_mov_b64 s[26:27], -1
	s_mov_b64 s[0:1], 0
.LBB118_176:
	s_mov_b64 s[30:31], 0
.LBB118_177:
	s_and_b64 vcc, exec, s[30:31]
	s_cbranch_vccz .LBB118_193
; %bb.178:
	s_cmp_lt_i32 s37, 27
	s_mov_b64 s[26:27], -1
	s_cbranch_scc1 .LBB118_184
; %bb.179:
	s_cmp_gt_i32 s37, 27
	s_cbranch_scc0 .LBB118_181
; %bb.180:
	v_cndmask_b32_e64 v2, 0, 1, s[18:19]
	s_mov_b64 s[26:27], 0
	global_store_dword v[0:1], v2, off
.LBB118_181:
	s_andn2_b64 vcc, exec, s[26:27]
	s_cbranch_vccnz .LBB118_183
; %bb.182:
	v_cndmask_b32_e64 v2, 0, 1, s[18:19]
	global_store_short v[0:1], v2, off
.LBB118_183:
	s_mov_b64 s[26:27], 0
.LBB118_184:
	s_andn2_b64 vcc, exec, s[26:27]
	s_cbranch_vccnz .LBB118_192
; %bb.185:
	v_cndmask_b32_e64 v3, 0, 1.0, s[18:19]
	s_mov_b32 s26, 0x43800000
	v_cmp_gt_u32_e32 vcc, s26, v3
	v_mov_b32_e32 v4, 0x80
	s_and_saveexec_b64 s[26:27], vcc
	s_cbranch_execz .LBB118_191
; %bb.186:
	s_mov_b32 s30, 0x3bffffff
	v_cmp_lt_u32_e32 vcc, s30, v3
	s_mov_b64 s[30:31], 0
                                        ; implicit-def: $vgpr2
	s_and_saveexec_b64 s[34:35], vcc
	s_xor_b64 s[34:35], exec, s[34:35]
	s_cbranch_execz .LBB118_425
; %bb.187:
	v_bfe_u32 v2, v3, 20, 1
	s_mov_b32 s38, 0x487ffff
	v_add3_u32 v2, v3, v2, s38
	s_mov_b64 s[30:31], exec
	v_lshrrev_b32_e32 v2, 20, v2
                                        ; implicit-def: $vgpr3
	s_andn2_saveexec_b64 s[34:35], s[34:35]
	s_cbranch_execnz .LBB118_426
.LBB118_188:
	s_or_b64 exec, exec, s[34:35]
	v_mov_b32_e32 v4, 0
	s_and_saveexec_b64 s[34:35], s[30:31]
.LBB118_189:
	v_mov_b32_e32 v4, v2
.LBB118_190:
	s_or_b64 exec, exec, s[34:35]
.LBB118_191:
	s_or_b64 exec, exec, s[26:27]
	global_store_byte v[0:1], v4, off
.LBB118_192:
	s_mov_b64 s[26:27], -1
.LBB118_193:
	s_mov_b64 s[30:31], 0
.LBB118_194:
	s_and_b64 vcc, exec, s[30:31]
	s_cbranch_vccz .LBB118_235
; %bb.195:
	s_cmp_gt_i32 s37, 22
	s_mov_b64 s[30:31], -1
	s_cbranch_scc0 .LBB118_227
; %bb.196:
	s_cmp_lt_i32 s37, 24
	s_mov_b64 s[26:27], -1
	s_cbranch_scc1 .LBB118_216
; %bb.197:
	s_cmp_gt_i32 s37, 24
	s_cbranch_scc0 .LBB118_205
; %bb.198:
	v_cndmask_b32_e64 v3, 0, 1.0, s[18:19]
	s_mov_b32 s26, 0x47800000
	v_cmp_gt_u32_e32 vcc, s26, v3
	v_mov_b32_e32 v4, 0x80
	s_and_saveexec_b64 s[26:27], vcc
	s_cbranch_execz .LBB118_204
; %bb.199:
	s_mov_b32 s30, 0x37ffffff
	v_cmp_lt_u32_e32 vcc, s30, v3
	s_mov_b64 s[30:31], 0
                                        ; implicit-def: $vgpr2
	s_and_saveexec_b64 s[34:35], vcc
	s_xor_b64 s[34:35], exec, s[34:35]
	s_cbranch_execz .LBB118_549
; %bb.200:
	v_bfe_u32 v2, v3, 21, 1
	s_mov_b32 s38, 0x88fffff
	v_add3_u32 v2, v3, v2, s38
	s_mov_b64 s[30:31], exec
	v_lshrrev_b32_e32 v2, 21, v2
                                        ; implicit-def: $vgpr3
	s_andn2_saveexec_b64 s[34:35], s[34:35]
	s_cbranch_execnz .LBB118_550
.LBB118_201:
	s_or_b64 exec, exec, s[34:35]
	v_mov_b32_e32 v4, 0
	s_and_saveexec_b64 s[34:35], s[30:31]
.LBB118_202:
	v_mov_b32_e32 v4, v2
.LBB118_203:
	s_or_b64 exec, exec, s[34:35]
.LBB118_204:
	s_or_b64 exec, exec, s[26:27]
	s_mov_b64 s[26:27], 0
	global_store_byte v[0:1], v4, off
.LBB118_205:
	s_and_b64 vcc, exec, s[26:27]
	s_cbranch_vccz .LBB118_215
; %bb.206:
	v_cndmask_b32_e64 v2, 0, 1.0, s[18:19]
	s_mov_b32 s26, 0x43f00000
	v_cmp_gt_u32_e32 vcc, s26, v2
                                        ; implicit-def: $vgpr3
	s_and_saveexec_b64 s[26:27], vcc
	s_xor_b64 s[26:27], exec, s[26:27]
	s_cbranch_execz .LBB118_212
; %bb.207:
	s_mov_b32 s30, 0x3c7fffff
	v_cmp_lt_u32_e32 vcc, s30, v2
                                        ; implicit-def: $vgpr3
	s_and_saveexec_b64 s[30:31], vcc
	s_xor_b64 s[30:31], exec, s[30:31]
; %bb.208:
	v_bfe_u32 v3, v2, 20, 1
	s_mov_b32 s34, 0x407ffff
	v_add3_u32 v2, v2, v3, s34
	v_lshrrev_b32_e32 v3, 20, v2
	v_and_b32_e32 v2, 0xff00000, v2
	s_mov_b32 s34, 0x7f00000
	v_mov_b32_e32 v4, 0x7e
	v_cmp_ne_u32_e32 vcc, s34, v2
	v_cndmask_b32_e32 v3, v4, v3, vcc
                                        ; implicit-def: $vgpr2
; %bb.209:
	s_andn2_saveexec_b64 s[30:31], s[30:31]
; %bb.210:
	v_add_f32_e32 v3, 0x46800000, v2
; %bb.211:
	s_or_b64 exec, exec, s[30:31]
                                        ; implicit-def: $vgpr2
.LBB118_212:
	s_andn2_saveexec_b64 s[26:27], s[26:27]
; %bb.213:
	s_mov_b32 s30, 0x7f800000
	v_mov_b32_e32 v3, 0x7e
	v_mov_b32_e32 v4, 0x7f
	v_cmp_lt_u32_e32 vcc, s30, v2
	v_cndmask_b32_e32 v3, v3, v4, vcc
; %bb.214:
	s_or_b64 exec, exec, s[26:27]
	global_store_byte v[0:1], v3, off
.LBB118_215:
	s_mov_b64 s[26:27], 0
.LBB118_216:
	s_andn2_b64 vcc, exec, s[26:27]
	s_cbranch_vccnz .LBB118_226
; %bb.217:
	v_cndmask_b32_e64 v2, 0, 1.0, s[18:19]
	s_mov_b32 s26, 0x47800000
	v_cmp_gt_u32_e32 vcc, s26, v2
                                        ; implicit-def: $vgpr3
	s_and_saveexec_b64 s[26:27], vcc
	s_xor_b64 s[26:27], exec, s[26:27]
	s_cbranch_execz .LBB118_223
; %bb.218:
	s_mov_b32 s30, 0x387fffff
	v_cmp_lt_u32_e32 vcc, s30, v2
                                        ; implicit-def: $vgpr3
	s_and_saveexec_b64 s[30:31], vcc
	s_xor_b64 s[30:31], exec, s[30:31]
; %bb.219:
	v_bfe_u32 v3, v2, 21, 1
	s_mov_b32 s34, 0x80fffff
	v_add3_u32 v2, v2, v3, s34
	v_lshrrev_b32_e32 v3, 21, v2
                                        ; implicit-def: $vgpr2
; %bb.220:
	s_andn2_saveexec_b64 s[30:31], s[30:31]
; %bb.221:
	v_add_f32_e32 v3, 0x43000000, v2
; %bb.222:
	s_or_b64 exec, exec, s[30:31]
                                        ; implicit-def: $vgpr2
.LBB118_223:
	s_andn2_saveexec_b64 s[26:27], s[26:27]
; %bb.224:
	s_mov_b32 s30, 0x7f800000
	v_mov_b32_e32 v3, 0x7c
	v_mov_b32_e32 v4, 0x7f
	v_cmp_lt_u32_e32 vcc, s30, v2
	v_cndmask_b32_e32 v3, v3, v4, vcc
; %bb.225:
	s_or_b64 exec, exec, s[26:27]
	global_store_byte v[0:1], v3, off
.LBB118_226:
	s_mov_b64 s[30:31], 0
	s_mov_b64 s[26:27], -1
.LBB118_227:
	s_andn2_b64 vcc, exec, s[30:31]
	s_cbranch_vccnz .LBB118_235
; %bb.228:
	s_cmp_gt_i32 s37, 14
	s_mov_b64 s[30:31], -1
	s_cbranch_scc0 .LBB118_232
; %bb.229:
	s_cmp_eq_u32 s37, 15
	s_mov_b64 s[0:1], -1
	s_cbranch_scc0 .LBB118_231
; %bb.230:
	v_cndmask_b32_e64 v2, 0, 1.0, s[18:19]
	v_bfe_u32 v3, v2, 16, 1
	s_movk_i32 s0, 0x7fff
	v_add3_u32 v2, v2, v3, s0
	global_store_short_d16_hi v[0:1], v2, off
	s_mov_b64 s[26:27], -1
	s_mov_b64 s[0:1], 0
.LBB118_231:
	s_mov_b64 s[30:31], 0
.LBB118_232:
	s_and_b64 vcc, exec, s[30:31]
	s_cbranch_vccz .LBB118_235
; %bb.233:
	s_cmp_eq_u32 s37, 11
	s_mov_b64 s[0:1], -1
	s_cbranch_scc0 .LBB118_235
; %bb.234:
	v_cndmask_b32_e64 v2, 0, 1, s[18:19]
	s_mov_b64 s[26:27], -1
	s_mov_b64 s[0:1], 0
	global_store_byte v[0:1], v2, off
.LBB118_235:
	s_mov_b64 s[30:31], 0
.LBB118_236:
	s_and_b64 vcc, exec, s[30:31]
	s_cbranch_vccz .LBB118_275
; %bb.237:
	s_and_b32 s30, 0xffff, s36
	s_cmp_lt_i32 s30, 5
	s_mov_b64 s[26:27], -1
	s_cbranch_scc1 .LBB118_258
; %bb.238:
	s_cmp_lt_i32 s30, 8
	s_cbranch_scc1 .LBB118_248
; %bb.239:
	s_cmp_lt_i32 s30, 9
	s_cbranch_scc1 .LBB118_245
; %bb.240:
	s_cmp_gt_i32 s30, 9
	s_cbranch_scc0 .LBB118_242
; %bb.241:
	v_cndmask_b32_e64 v2, 0, 1, s[18:19]
	v_cvt_f64_u32_e32 v[2:3], v2
	v_mov_b32_e32 v4, 0
	v_mov_b32_e32 v5, v4
	s_mov_b64 s[26:27], 0
	global_store_dwordx4 v[0:1], v[2:5], off
.LBB118_242:
	s_andn2_b64 vcc, exec, s[26:27]
	s_cbranch_vccnz .LBB118_244
; %bb.243:
	v_cndmask_b32_e64 v2, 0, 1.0, s[18:19]
	v_mov_b32_e32 v3, 0
	global_store_dwordx2 v[0:1], v[2:3], off
.LBB118_244:
	s_mov_b64 s[26:27], 0
.LBB118_245:
	s_andn2_b64 vcc, exec, s[26:27]
	s_cbranch_vccnz .LBB118_247
; %bb.246:
	v_cndmask_b32_e64 v2, 0, 1.0, s[18:19]
	v_cvt_f16_f32_e32 v2, v2
	global_store_dword v[0:1], v2, off
.LBB118_247:
	s_mov_b64 s[26:27], 0
.LBB118_248:
	s_andn2_b64 vcc, exec, s[26:27]
	s_cbranch_vccnz .LBB118_257
; %bb.249:
	s_cmp_lt_i32 s30, 6
	s_mov_b64 s[26:27], -1
	s_cbranch_scc1 .LBB118_255
; %bb.250:
	s_cmp_gt_i32 s30, 6
	s_cbranch_scc0 .LBB118_252
; %bb.251:
	v_cndmask_b32_e64 v2, 0, 1, s[18:19]
	v_cvt_f64_u32_e32 v[2:3], v2
	s_mov_b64 s[26:27], 0
	global_store_dwordx2 v[0:1], v[2:3], off
.LBB118_252:
	s_andn2_b64 vcc, exec, s[26:27]
	s_cbranch_vccnz .LBB118_254
; %bb.253:
	v_cndmask_b32_e64 v2, 0, 1.0, s[18:19]
	global_store_dword v[0:1], v2, off
.LBB118_254:
	s_mov_b64 s[26:27], 0
.LBB118_255:
	s_andn2_b64 vcc, exec, s[26:27]
	s_cbranch_vccnz .LBB118_257
; %bb.256:
	v_cndmask_b32_e64 v2, 0, 1.0, s[18:19]
	v_cvt_f16_f32_e32 v2, v2
	global_store_short v[0:1], v2, off
.LBB118_257:
	s_mov_b64 s[26:27], 0
.LBB118_258:
	s_andn2_b64 vcc, exec, s[26:27]
	s_cbranch_vccnz .LBB118_274
; %bb.259:
	s_cmp_lt_i32 s30, 2
	s_mov_b64 s[26:27], -1
	s_cbranch_scc1 .LBB118_269
; %bb.260:
	s_cmp_lt_i32 s30, 3
	s_cbranch_scc1 .LBB118_266
; %bb.261:
	s_cmp_gt_i32 s30, 3
	s_cbranch_scc0 .LBB118_263
; %bb.262:
	s_mov_b32 s26, 0
	v_cndmask_b32_e64 v2, 0, 1, s[18:19]
	v_mov_b32_e32 v3, s26
	global_store_dwordx2 v[0:1], v[2:3], off
	s_mov_b64 s[26:27], 0
.LBB118_263:
	s_andn2_b64 vcc, exec, s[26:27]
	s_cbranch_vccnz .LBB118_265
; %bb.264:
	v_cndmask_b32_e64 v2, 0, 1, s[18:19]
	global_store_dword v[0:1], v2, off
.LBB118_265:
	s_mov_b64 s[26:27], 0
.LBB118_266:
	s_andn2_b64 vcc, exec, s[26:27]
	s_cbranch_vccnz .LBB118_268
; %bb.267:
	v_cndmask_b32_e64 v2, 0, 1, s[18:19]
	global_store_short v[0:1], v2, off
.LBB118_268:
	s_mov_b64 s[26:27], 0
.LBB118_269:
	s_andn2_b64 vcc, exec, s[26:27]
	s_cbranch_vccnz .LBB118_274
; %bb.270:
	s_mov_b64 s[26:27], -1
	s_cmp_gt_i32 s30, 0
	v_cndmask_b32_e64 v2, 0, 1, s[18:19]
	s_cbranch_scc0 .LBB118_272
; %bb.271:
	global_store_byte v[0:1], v2, off
	s_mov_b64 s[26:27], 0
.LBB118_272:
	s_andn2_b64 vcc, exec, s[26:27]
	s_cbranch_vccnz .LBB118_274
; %bb.273:
	global_store_byte v[0:1], v2, off
.LBB118_274:
	s_mov_b64 s[26:27], -1
.LBB118_275:
	s_andn2_b64 vcc, exec, s[26:27]
	s_cbranch_vccnz .LBB118_277
; %bb.276:
	v_add_u32_e32 v10, 0x80, v10
	s_mov_b64 s[26:27], -1
	s_branch .LBB118_395
.LBB118_277:
	s_mov_b64 s[26:27], 0
                                        ; implicit-def: $vgpr10
	s_branch .LBB118_395
.LBB118_278:
	s_mov_b64 s[20:21], -1
                                        ; implicit-def: $vgpr4_vgpr5
.LBB118_279:
	v_mov_b32_e32 v6, 0
	v_mov_b32_e32 v7, 0
.LBB118_280:
	s_mov_b64 s[18:19], 0
.LBB118_281:
	s_and_b64 vcc, exec, s[18:19]
	s_cbranch_vccz .LBB118_286
; %bb.282:
	s_cmp_eq_u32 s31, 29
	s_cbranch_scc0 .LBB118_284
; %bb.283:
	global_load_dwordx2 v[4:5], v[8:9], off
	s_mov_b64 s[0:1], -1
	s_mov_b64 s[20:21], 0
	s_waitcnt vmcnt(0)
	v_cvt_f64_u32_e32 v[5:6], v5
	v_cvt_f64_u32_e32 v[11:12], v4
	v_ldexp_f64 v[5:6], v[5:6], 32
	v_add_f64 v[4:5], v[5:6], v[11:12]
	s_branch .LBB118_285
.LBB118_284:
	s_mov_b64 s[20:21], -1
                                        ; implicit-def: $vgpr4_vgpr5
.LBB118_285:
	v_mov_b32_e32 v6, 0
	v_mov_b32_e32 v7, 0
.LBB118_286:
	s_mov_b64 s[18:19], 0
.LBB118_287:
	s_and_b64 vcc, exec, s[18:19]
	s_cbranch_vccz .LBB118_307
; %bb.288:
	s_cmp_lt_i32 s31, 27
	s_cbranch_scc1 .LBB118_291
; %bb.289:
	s_cmp_gt_i32 s31, 27
	s_cbranch_scc0 .LBB118_292
; %bb.290:
	global_load_dword v4, v[8:9], off
	s_mov_b64 s[0:1], 0
	s_waitcnt vmcnt(0)
	v_cvt_f64_u32_e32 v[4:5], v4
	s_branch .LBB118_293
.LBB118_291:
	s_mov_b64 s[0:1], -1
                                        ; implicit-def: $vgpr4_vgpr5
	s_branch .LBB118_296
.LBB118_292:
	s_mov_b64 s[0:1], -1
                                        ; implicit-def: $vgpr4_vgpr5
.LBB118_293:
	s_andn2_b64 vcc, exec, s[0:1]
	s_cbranch_vccnz .LBB118_295
; %bb.294:
	global_load_ushort v4, v[8:9], off
	s_waitcnt vmcnt(0)
	v_cvt_f64_u32_e32 v[4:5], v4
.LBB118_295:
	s_mov_b64 s[0:1], 0
.LBB118_296:
	s_andn2_b64 vcc, exec, s[0:1]
	s_cbranch_vccnz .LBB118_306
; %bb.297:
	global_load_ubyte v6, v[8:9], off
	s_movk_i32 s0, 0x7f
	s_waitcnt vmcnt(0)
	v_cmp_lt_i16_e32 vcc, s0, v6
	s_mov_b64 s[0:1], 0
	s_and_saveexec_b64 s[18:19], vcc
	s_xor_b64 s[18:19], exec, s[18:19]
	s_cbranch_execz .LBB118_301
; %bb.298:
	s_movk_i32 s0, 0x80
	v_cmp_eq_u16_e32 vcc, s0, v6
	s_mov_b64 s[0:1], -1
	s_and_saveexec_b64 s[26:27], vcc
; %bb.299:
	s_xor_b64 s[0:1], exec, -1
; %bb.300:
	s_or_b64 exec, exec, s[26:27]
	s_and_b64 s[0:1], s[0:1], exec
.LBB118_301:
	s_or_saveexec_b64 s[18:19], s[18:19]
	v_bfrev_b32_e32 v4, 4
	v_mov_b32_e32 v5, 0x7ff80000
	s_xor_b64 exec, exec, s[18:19]
; %bb.302:
	v_cmp_ne_u16_e32 vcc, 0, v6
	v_mov_b32_e32 v4, 0
	s_andn2_b64 s[0:1], s[0:1], exec
	s_and_b64 s[26:27], vcc, exec
	v_mov_b32_e32 v5, 0
	s_or_b64 s[0:1], s[0:1], s[26:27]
; %bb.303:
	s_or_b64 exec, exec, s[18:19]
	s_and_saveexec_b64 s[18:19], s[0:1]
	s_cbranch_execz .LBB118_305
; %bb.304:
	v_and_b32_e32 v5, 0xffff, v6
	v_lshlrev_b32_e32 v4, 24, v6
	v_and_b32_e32 v6, 7, v5
	v_ffbh_u32_e32 v11, v6
	v_min_u32_e32 v11, 32, v11
	v_subrev_u32_e32 v12, 28, v11
	v_bfe_u32 v7, v5, 3, 4
	v_lshlrev_b32_e32 v5, v12, v5
	v_sub_u32_e32 v11, 29, v11
	v_and_b32_e32 v5, 7, v5
	v_cmp_eq_u32_e32 vcc, 0, v7
	v_cndmask_b32_e32 v7, v7, v11, vcc
	v_cndmask_b32_e32 v5, v6, v5, vcc
	v_mov_b32_e32 v6, 0x3b800000
	v_lshlrev_b32_e32 v5, 20, v5
	v_and_b32_e32 v4, 0x80000000, v4
	v_lshl_add_u32 v6, v7, 23, v6
	v_or3_b32 v4, v4, v6, v5
	v_cvt_f64_f32_e32 v[4:5], v4
.LBB118_305:
	s_or_b64 exec, exec, s[18:19]
.LBB118_306:
	v_mov_b32_e32 v6, 0
	v_mov_b32_e32 v7, 0
	s_mov_b64 s[0:1], -1
.LBB118_307:
	s_mov_b64 s[18:19], 0
.LBB118_308:
	s_and_b64 vcc, exec, s[18:19]
	s_cbranch_vccz .LBB118_342
; %bb.309:
	s_cmp_gt_i32 s31, 22
	s_cbranch_scc0 .LBB118_321
; %bb.310:
	s_cmp_lt_i32 s31, 24
	s_cbranch_scc1 .LBB118_322
; %bb.311:
	s_cmp_gt_i32 s31, 24
	s_cbranch_scc0 .LBB118_323
; %bb.312:
	global_load_ubyte v6, v[8:9], off
	s_movk_i32 s0, 0x7f
	s_waitcnt vmcnt(0)
	v_cmp_lt_i16_e32 vcc, s0, v6
	s_mov_b64 s[0:1], 0
	s_and_saveexec_b64 s[18:19], vcc
	s_xor_b64 s[18:19], exec, s[18:19]
	s_cbranch_execz .LBB118_316
; %bb.313:
	s_movk_i32 s0, 0x80
	v_cmp_eq_u16_e32 vcc, s0, v6
	s_mov_b64 s[0:1], -1
	s_and_saveexec_b64 s[26:27], vcc
; %bb.314:
	s_xor_b64 s[0:1], exec, -1
; %bb.315:
	s_or_b64 exec, exec, s[26:27]
	s_and_b64 s[0:1], s[0:1], exec
.LBB118_316:
	s_or_saveexec_b64 s[18:19], s[18:19]
	v_bfrev_b32_e32 v4, 4
	v_mov_b32_e32 v5, 0x7ff80000
	s_xor_b64 exec, exec, s[18:19]
; %bb.317:
	v_cmp_ne_u16_e32 vcc, 0, v6
	v_mov_b32_e32 v4, 0
	s_andn2_b64 s[0:1], s[0:1], exec
	s_and_b64 s[26:27], vcc, exec
	v_mov_b32_e32 v5, 0
	s_or_b64 s[0:1], s[0:1], s[26:27]
; %bb.318:
	s_or_b64 exec, exec, s[18:19]
	s_and_saveexec_b64 s[18:19], s[0:1]
	s_cbranch_execz .LBB118_320
; %bb.319:
	v_and_b32_e32 v5, 0xffff, v6
	v_lshlrev_b32_e32 v4, 24, v6
	v_and_b32_e32 v6, 3, v5
	v_ffbh_u32_e32 v11, v6
	v_min_u32_e32 v11, 32, v11
	v_subrev_u32_e32 v12, 29, v11
	v_bfe_u32 v7, v5, 2, 5
	v_lshlrev_b32_e32 v5, v12, v5
	v_sub_u32_e32 v11, 30, v11
	v_and_b32_e32 v5, 3, v5
	v_cmp_eq_u32_e32 vcc, 0, v7
	v_cndmask_b32_e32 v7, v7, v11, vcc
	v_cndmask_b32_e32 v5, v6, v5, vcc
	v_mov_b32_e32 v6, 0x37800000
	v_lshlrev_b32_e32 v5, 21, v5
	v_and_b32_e32 v4, 0x80000000, v4
	v_lshl_add_u32 v6, v7, 23, v6
	v_or3_b32 v4, v4, v6, v5
	v_cvt_f64_f32_e32 v[4:5], v4
.LBB118_320:
	s_or_b64 exec, exec, s[18:19]
	s_mov_b64 s[0:1], 0
	s_branch .LBB118_324
.LBB118_321:
	s_mov_b64 s[18:19], -1
                                        ; implicit-def: $vgpr4_vgpr5
	s_branch .LBB118_330
.LBB118_322:
	s_mov_b64 s[0:1], -1
                                        ; implicit-def: $vgpr4_vgpr5
	s_branch .LBB118_327
.LBB118_323:
	s_mov_b64 s[0:1], -1
                                        ; implicit-def: $vgpr4_vgpr5
.LBB118_324:
	s_and_b64 vcc, exec, s[0:1]
	s_cbranch_vccz .LBB118_326
; %bb.325:
	global_load_ubyte v4, v[8:9], off
	s_mov_b32 s0, 0x7f800000
	s_waitcnt vmcnt(0)
	v_lshlrev_b32_e32 v4, 24, v4
	v_and_b32_e32 v5, 0x7f000000, v4
	v_ffbh_u32_e32 v6, v5
	v_min_u32_e32 v6, 32, v6
	v_sub_u32_e64 v6, v6, 4 clamp
	v_lshlrev_b32_e32 v11, v6, v5
	v_lshlrev_b32_e32 v6, 23, v6
	v_lshrrev_b32_e32 v11, 4, v11
	v_add_u32_e32 v7, 0x1000000, v5
	v_sub_u32_e32 v6, v11, v6
	v_ashrrev_i32_e32 v7, 8, v7
	v_add_u32_e32 v6, 0x3c000000, v6
	v_and_or_b32 v6, v7, s0, v6
	v_cmp_ne_u32_e32 vcc, 0, v5
	v_cndmask_b32_e32 v5, 0, v6, vcc
	s_brev_b32 s0, 1
	v_and_or_b32 v4, v4, s0, v5
	v_cvt_f64_f32_e32 v[4:5], v4
.LBB118_326:
	s_mov_b64 s[0:1], 0
.LBB118_327:
	s_andn2_b64 vcc, exec, s[0:1]
	s_cbranch_vccnz .LBB118_329
; %bb.328:
	global_load_ubyte v4, v[8:9], off
	s_movk_i32 s0, 0x7f00
	s_brev_b32 s1, 16
	s_waitcnt vmcnt(0)
	v_lshlrev_b16_e32 v5, 8, v4
	v_lshlrev_b32_e32 v4, 25, v4
	v_lshrrev_b32_e32 v6, 4, v4
	v_and_or_b32 v7, v5, s0, 0.5
	v_or_b32_e32 v6, 0x70000000, v6
	v_add_f32_e32 v7, -0.5, v7
	v_mul_f32_e32 v6, 0x7800000, v6
	v_cmp_gt_u32_e32 vcc, s1, v4
	v_bfe_i32 v5, v5, 0, 16
	v_cndmask_b32_e32 v4, v6, v7, vcc
	s_brev_b32 s0, 1
	v_and_or_b32 v4, v5, s0, v4
	v_cvt_f64_f32_e32 v[4:5], v4
.LBB118_329:
	s_mov_b64 s[18:19], 0
	s_mov_b64 s[0:1], -1
.LBB118_330:
	s_andn2_b64 vcc, exec, s[18:19]
	s_cbranch_vccnz .LBB118_341
; %bb.331:
	s_cmp_gt_i32 s31, 14
	s_cbranch_scc0 .LBB118_334
; %bb.332:
	s_cmp_eq_u32 s31, 15
	s_cbranch_scc0 .LBB118_335
; %bb.333:
	global_load_ushort v4, v[8:9], off
	s_mov_b64 s[0:1], -1
	s_mov_b64 s[20:21], 0
	s_waitcnt vmcnt(0)
	v_lshlrev_b32_e32 v4, 16, v4
	v_cvt_f64_f32_e32 v[4:5], v4
	s_branch .LBB118_336
.LBB118_334:
	s_mov_b64 s[18:19], -1
                                        ; implicit-def: $vgpr4_vgpr5
	s_branch .LBB118_337
.LBB118_335:
	s_mov_b64 s[20:21], -1
                                        ; implicit-def: $vgpr4_vgpr5
.LBB118_336:
	s_mov_b64 s[18:19], 0
.LBB118_337:
	s_and_b64 vcc, exec, s[18:19]
	s_cbranch_vccz .LBB118_341
; %bb.338:
	s_cmp_eq_u32 s31, 11
	s_cbranch_scc0 .LBB118_340
; %bb.339:
	global_load_ubyte v5, v[8:9], off
	v_mov_b32_e32 v6, 0x3ff00000
	v_mov_b32_e32 v4, 0
	s_mov_b64 s[0:1], -1
	s_mov_b64 s[20:21], 0
	s_waitcnt vmcnt(0)
	v_cmp_ne_u16_e32 vcc, 0, v5
	v_cndmask_b32_e32 v5, 0, v6, vcc
	s_branch .LBB118_341
.LBB118_340:
	s_mov_b64 s[20:21], -1
                                        ; implicit-def: $vgpr4_vgpr5
.LBB118_341:
	v_mov_b32_e32 v6, 0
	v_mov_b32_e32 v7, 0
.LBB118_342:
	s_branch .LBB118_20
.LBB118_343:
	s_and_b32 s18, 0xffff, s30
	s_cmp_lt_i32 s18, 5
	s_cbranch_scc1 .LBB118_348
; %bb.344:
	s_cmp_lt_i32 s18, 8
	s_cbranch_scc1 .LBB118_349
; %bb.345:
	;; [unrolled: 3-line block ×3, first 2 shown]
	s_cmp_gt_i32 s18, 9
	s_cbranch_scc0 .LBB118_351
; %bb.347:
	global_load_dwordx4 v[4:7], v[8:9], off
	s_mov_b64 s[0:1], 0
	s_branch .LBB118_352
.LBB118_348:
	s_mov_b64 s[0:1], -1
                                        ; implicit-def: $vgpr6_vgpr7
	s_branch .LBB118_371
.LBB118_349:
	s_mov_b64 s[0:1], -1
                                        ; implicit-def: $vgpr6_vgpr7
	s_branch .LBB118_358
.LBB118_350:
	s_mov_b64 s[0:1], -1
                                        ; implicit-def: $vgpr6_vgpr7
	s_branch .LBB118_355
.LBB118_351:
	s_mov_b64 s[0:1], -1
                                        ; implicit-def: $vgpr6_vgpr7
.LBB118_352:
	s_andn2_b64 vcc, exec, s[0:1]
	s_cbranch_vccnz .LBB118_354
; %bb.353:
	global_load_dwordx2 v[5:6], v[8:9], off
	s_waitcnt vmcnt(0)
	v_cvt_f64_f32_e32 v[4:5], v5
	v_cvt_f64_f32_e32 v[6:7], v6
.LBB118_354:
	s_mov_b64 s[0:1], 0
.LBB118_355:
	s_andn2_b64 vcc, exec, s[0:1]
	s_cbranch_vccnz .LBB118_357
; %bb.356:
	global_load_dword v4, v[8:9], off
	s_waitcnt vmcnt(0)
	v_cvt_f32_f16_e32 v5, v4
	v_cvt_f32_f16_sdwa v6, v4 dst_sel:DWORD dst_unused:UNUSED_PAD src0_sel:WORD_1
	v_cvt_f64_f32_e32 v[4:5], v5
	v_cvt_f64_f32_e32 v[6:7], v6
.LBB118_357:
	s_mov_b64 s[0:1], 0
.LBB118_358:
	s_andn2_b64 vcc, exec, s[0:1]
	s_cbranch_vccnz .LBB118_370
; %bb.359:
	s_cmp_lt_i32 s18, 6
	s_cbranch_scc1 .LBB118_362
; %bb.360:
	s_cmp_gt_i32 s18, 6
	s_cbranch_scc0 .LBB118_363
; %bb.361:
	global_load_dwordx2 v[4:5], v[8:9], off
	s_mov_b64 s[0:1], 0
	s_branch .LBB118_364
.LBB118_362:
	s_mov_b64 s[0:1], -1
                                        ; implicit-def: $vgpr4_vgpr5
	s_branch .LBB118_367
.LBB118_363:
	s_mov_b64 s[0:1], -1
                                        ; implicit-def: $vgpr4_vgpr5
.LBB118_364:
	s_andn2_b64 vcc, exec, s[0:1]
	s_cbranch_vccnz .LBB118_366
; %bb.365:
	global_load_dword v4, v[8:9], off
	s_waitcnt vmcnt(0)
	v_cvt_f64_f32_e32 v[4:5], v4
.LBB118_366:
	s_mov_b64 s[0:1], 0
.LBB118_367:
	s_andn2_b64 vcc, exec, s[0:1]
	s_cbranch_vccnz .LBB118_369
; %bb.368:
	global_load_ushort v4, v[8:9], off
	s_waitcnt vmcnt(0)
	v_cvt_f32_f16_e32 v4, v4
	v_cvt_f64_f32_e32 v[4:5], v4
.LBB118_369:
	s_waitcnt vmcnt(0)
	v_mov_b32_e32 v6, 0
	v_mov_b32_e32 v7, 0
.LBB118_370:
	s_mov_b64 s[0:1], 0
.LBB118_371:
	s_andn2_b64 vcc, exec, s[0:1]
	s_cbranch_vccnz .LBB118_392
; %bb.372:
	s_cmp_lt_i32 s18, 2
	s_cbranch_scc1 .LBB118_376
; %bb.373:
	s_cmp_lt_i32 s18, 3
	s_cbranch_scc1 .LBB118_377
; %bb.374:
	s_cmp_gt_i32 s18, 3
	s_cbranch_scc0 .LBB118_378
; %bb.375:
	global_load_dwordx2 v[4:5], v[8:9], off
	s_mov_b64 s[0:1], 0
	s_waitcnt vmcnt(0)
	v_cvt_f64_i32_e32 v[5:6], v5
	v_cvt_f64_u32_e32 v[11:12], v4
	v_ldexp_f64 v[5:6], v[5:6], 32
	v_add_f64 v[4:5], v[5:6], v[11:12]
	s_branch .LBB118_379
.LBB118_376:
	s_mov_b64 s[0:1], -1
                                        ; implicit-def: $vgpr4_vgpr5
	s_branch .LBB118_385
.LBB118_377:
	s_mov_b64 s[0:1], -1
                                        ; implicit-def: $vgpr4_vgpr5
	s_branch .LBB118_382
.LBB118_378:
	s_mov_b64 s[0:1], -1
                                        ; implicit-def: $vgpr4_vgpr5
.LBB118_379:
	s_andn2_b64 vcc, exec, s[0:1]
	s_cbranch_vccnz .LBB118_381
; %bb.380:
	global_load_dword v4, v[8:9], off
	s_waitcnt vmcnt(0)
	v_cvt_f64_i32_e32 v[4:5], v4
.LBB118_381:
	s_mov_b64 s[0:1], 0
.LBB118_382:
	s_andn2_b64 vcc, exec, s[0:1]
	s_cbranch_vccnz .LBB118_384
; %bb.383:
	global_load_sshort v4, v[8:9], off
	s_waitcnt vmcnt(0)
	v_cvt_f64_i32_e32 v[4:5], v4
.LBB118_384:
	s_mov_b64 s[0:1], 0
.LBB118_385:
	s_andn2_b64 vcc, exec, s[0:1]
	s_cbranch_vccnz .LBB118_391
; %bb.386:
	s_cmp_gt_i32 s18, 0
	s_cbranch_scc0 .LBB118_388
; %bb.387:
	global_load_sbyte v4, v[8:9], off
	s_mov_b64 s[0:1], 0
	s_waitcnt vmcnt(0)
	v_cvt_f64_i32_e32 v[4:5], v4
	s_branch .LBB118_389
.LBB118_388:
	s_mov_b64 s[0:1], -1
                                        ; implicit-def: $vgpr4_vgpr5
.LBB118_389:
	s_andn2_b64 vcc, exec, s[0:1]
	s_cbranch_vccnz .LBB118_391
; %bb.390:
	global_load_ubyte v4, v[8:9], off
	s_waitcnt vmcnt(0)
	v_cvt_f64_u32_e32 v[4:5], v4
.LBB118_391:
	s_waitcnt vmcnt(0)
	v_mov_b32_e32 v6, 0
	v_mov_b32_e32 v7, 0
.LBB118_392:
	s_branch .LBB118_21
.LBB118_393:
	s_mov_b64 s[0:1], 0
.LBB118_394:
                                        ; implicit-def: $vgpr10
	s_mov_b64 s[26:27], 0
.LBB118_395:
	s_and_b64 s[18:19], s[0:1], exec
	s_and_b64 s[20:21], s[20:21], exec
	;; [unrolled: 1-line block ×3, first 2 shown]
	s_orn2_b64 s[0:1], s[26:27], exec
.LBB118_396:
	s_or_b64 exec, exec, s[24:25]
	s_mov_b64 s[34:35], 0
	s_mov_b64 s[30:31], 0
                                        ; implicit-def: $sgpr58
                                        ; implicit-def: $vgpr4_vgpr5
                                        ; implicit-def: $vgpr2_vgpr3
	s_and_saveexec_b64 s[24:25], s[0:1]
	s_cbranch_execz .LBB118_405
; %bb.397:
	v_cmp_gt_i32_e32 vcc, s50, v10
	s_mov_b64 s[0:1], -1
	s_mov_b64 s[26:27], s[22:23]
	s_mov_b64 s[28:29], s[20:21]
	;; [unrolled: 1-line block ×3, first 2 shown]
	s_and_saveexec_b64 s[34:35], vcc
	s_cbranch_execz .LBB118_801
; %bb.398:
	s_waitcnt vmcnt(0)
	v_mul_lo_u32 v0, v10, s13
	v_mov_b32_e32 v1, s11
	s_and_b32 s36, s57, 0xff
	s_cmp_lt_i32 s36, 11
	v_ashrrev_i32_e32 v2, 31, v0
	v_add_co_u32_e32 v4, vcc, s10, v0
	v_addc_co_u32_e32 v5, vcc, v1, v2, vcc
	s_cbranch_scc1 .LBB118_408
; %bb.399:
	s_and_b32 s37, 0xffff, s36
	s_cmp_gt_i32 s37, 25
	s_cbranch_scc0 .LBB118_417
; %bb.400:
	s_cmp_gt_i32 s37, 28
	s_cbranch_scc0 .LBB118_419
; %bb.401:
	;; [unrolled: 3-line block ×4, first 2 shown]
	s_cmp_eq_u32 s37, 46
	s_mov_b64 s[28:29], 0
	s_cbranch_scc0 .LBB118_427
; %bb.404:
	global_load_dword v0, v[4:5], off
	s_mov_b64 s[26:27], 0
	s_waitcnt vmcnt(0)
	v_and_b32_e32 v2, 0xffff0000, v0
	v_lshlrev_b32_e32 v0, 16, v0
	v_cvt_f64_f32_e32 v[0:1], v0
	v_cvt_f64_f32_e32 v[2:3], v2
	s_branch .LBB118_428
.LBB118_405:
	s_or_b64 exec, exec, s[24:25]
	s_mov_b64 s[24:25], 0
	s_and_saveexec_b64 s[0:1], s[22:23]
	s_cbranch_execnz .LBB118_1294
.LBB118_406:
	s_or_b64 exec, exec, s[0:1]
	s_and_saveexec_b64 s[0:1], s[28:29]
	s_xor_b64 s[0:1], exec, s[0:1]
	s_cbranch_execz .LBB118_1295
.LBB118_407:
	s_waitcnt vmcnt(0)
	global_load_ubyte v1, v[4:5], off
	v_mov_b32_e32 v6, 0x3ff00000
	v_mov_b32_e32 v2, 0
	;; [unrolled: 1-line block ×4, first 2 shown]
	s_or_b64 s[30:31], s[30:31], exec
	s_waitcnt vmcnt(0)
	v_cmp_ne_u16_e32 vcc, 0, v1
	v_cndmask_b32_e32 v1, 0, v6, vcc
	s_or_b64 exec, exec, s[0:1]
	s_and_saveexec_b64 s[0:1], s[34:35]
	s_cbranch_execz .LBB118_1343
	s_branch .LBB118_1296
.LBB118_408:
	s_mov_b64 s[0:1], 0
                                        ; implicit-def: $vgpr2_vgpr3
	s_mov_b64 s[26:27], s[22:23]
	s_cbranch_execnz .LBB118_497
.LBB118_409:
	s_andn2_b64 vcc, exec, s[0:1]
	s_cbranch_vccnz .LBB118_547
.LBB118_410:
	v_mul_lo_u32 v4, v10, s14
	v_mov_b32_e32 v5, s3
	s_and_b32 s38, s56, 0xff
	s_cmp_lt_i32 s38, 11
	v_ashrrev_i32_e32 v6, 31, v4
	v_add_co_u32_e32 v8, vcc, s2, v4
	v_addc_co_u32_e32 v9, vcc, v5, v6, vcc
	s_cbranch_scc1 .LBB118_418
; %bb.411:
	s_and_b32 s39, 0xffff, s38
	s_cmp_gt_i32 s39, 25
	s_cbranch_scc0 .LBB118_420
; %bb.412:
	s_cmp_gt_i32 s39, 28
	s_cbranch_scc0 .LBB118_422
; %bb.413:
	;; [unrolled: 3-line block ×4, first 2 shown]
	s_cmp_eq_u32 s39, 46
	s_mov_b64 s[30:31], 0
	s_cbranch_scc0 .LBB118_551
; %bb.416:
	global_load_dword v4, v[8:9], off
	s_mov_b64 s[0:1], -1
	s_mov_b64 s[28:29], 0
	s_waitcnt vmcnt(0)
	v_and_b32_e32 v6, 0xffff0000, v4
	v_lshlrev_b32_e32 v4, 16, v4
	v_cvt_f64_f32_e32 v[4:5], v4
	v_cvt_f64_f32_e32 v[6:7], v6
	s_branch .LBB118_552
.LBB118_417:
	s_mov_b64 s[28:29], -1
	s_mov_b64 s[0:1], 0
	s_mov_b64 s[26:27], s[22:23]
                                        ; implicit-def: $vgpr2_vgpr3
	s_branch .LBB118_462
.LBB118_418:
	s_mov_b64 s[30:31], -1
	s_mov_b64 s[0:1], 0
                                        ; implicit-def: $vgpr6_vgpr7
	s_mov_b64 s[28:29], s[20:21]
	s_branch .LBB118_620
.LBB118_419:
	s_mov_b64 s[28:29], -1
	s_mov_b64 s[0:1], 0
	s_mov_b64 s[26:27], s[22:23]
                                        ; implicit-def: $vgpr2_vgpr3
	s_branch .LBB118_441
.LBB118_420:
	s_mov_b64 s[30:31], -1
	s_mov_b64 s[0:1], 0
	s_mov_b64 s[28:29], s[20:21]
                                        ; implicit-def: $vgpr6_vgpr7
	s_branch .LBB118_585
.LBB118_421:
	s_mov_b64 s[28:29], -1
	s_mov_b64 s[0:1], 0
	s_mov_b64 s[26:27], s[22:23]
                                        ; implicit-def: $vgpr2_vgpr3
	s_branch .LBB118_435
.LBB118_422:
	s_mov_b64 s[30:31], -1
	s_mov_b64 s[0:1], 0
	s_mov_b64 s[28:29], s[20:21]
                                        ; implicit-def: $vgpr6_vgpr7
	s_branch .LBB118_564
.LBB118_423:
	s_mov_b64 s[28:29], -1
	s_mov_b64 s[0:1], 0
	s_mov_b64 s[26:27], s[22:23]
                                        ; implicit-def: $vgpr2_vgpr3
	s_branch .LBB118_428
.LBB118_424:
	s_mov_b64 s[30:31], -1
	s_mov_b64 s[0:1], 0
	s_mov_b64 s[28:29], s[20:21]
                                        ; implicit-def: $vgpr6_vgpr7
	s_branch .LBB118_558
.LBB118_425:
	s_andn2_saveexec_b64 s[34:35], s[34:35]
	s_cbranch_execz .LBB118_188
.LBB118_426:
	v_add_f32_e32 v2, 0x46000000, v3
	v_and_b32_e32 v2, 0xff, v2
	v_cmp_ne_u32_e32 vcc, 0, v2
	s_andn2_b64 s[30:31], s[30:31], exec
	s_and_b64 s[38:39], vcc, exec
	s_or_b64 s[30:31], s[30:31], s[38:39]
	s_or_b64 exec, exec, s[34:35]
	v_mov_b32_e32 v4, 0
	s_and_saveexec_b64 s[34:35], s[30:31]
	s_cbranch_execnz .LBB118_189
	s_branch .LBB118_190
.LBB118_427:
	s_mov_b64 s[26:27], -1
                                        ; implicit-def: $vgpr2_vgpr3
	s_mov_b64 s[0:1], 0
.LBB118_428:
	s_and_b64 vcc, exec, s[28:29]
	s_cbranch_vccz .LBB118_434
; %bb.429:
	s_cmp_eq_u32 s37, 44
	s_cbranch_scc0 .LBB118_432
; %bb.430:
	global_load_ubyte v2, v[4:5], off
	s_movk_i32 s26, 0xff
	v_bfrev_b32_e32 v3, 4
	v_mov_b32_e32 v6, 0x7ff80000
	v_bfrev_b32_e32 v7, 28
	s_mov_b64 s[0:1], -1
	s_waitcnt vmcnt(0)
	v_lshlrev_b32_e32 v0, 23, v2
	v_cvt_f64_f32_e32 v[0:1], v0
	v_cmp_ne_u32_e32 vcc, s26, v2
	s_mov_b64 s[26:27], 0
	v_cndmask_b32_e32 v0, v3, v0, vcc
	v_cndmask_b32_e32 v1, v6, v1, vcc
	v_cmp_ne_u32_e32 vcc, 0, v2
	v_cndmask_b32_e32 v1, v7, v1, vcc
	v_cndmask_b32_e32 v0, 0, v0, vcc
	s_branch .LBB118_433
.LBB118_431:
	s_mov_b64 s[30:31], -1
	s_mov_b64 s[0:1], 0
	s_mov_b64 s[28:29], s[20:21]
                                        ; implicit-def: $vgpr6_vgpr7
	s_branch .LBB118_552
.LBB118_432:
	s_mov_b64 s[26:27], -1
                                        ; implicit-def: $vgpr0_vgpr1
.LBB118_433:
	v_mov_b32_e32 v2, 0
	v_mov_b32_e32 v3, 0
.LBB118_434:
	s_mov_b64 s[28:29], 0
.LBB118_435:
	s_and_b64 vcc, exec, s[28:29]
	s_cbranch_vccz .LBB118_440
; %bb.436:
	s_cmp_eq_u32 s37, 29
	s_cbranch_scc0 .LBB118_438
; %bb.437:
	global_load_dwordx2 v[0:1], v[4:5], off
	s_mov_b64 s[0:1], -1
	s_mov_b64 s[26:27], 0
	s_waitcnt vmcnt(0)
	v_cvt_f64_u32_e32 v[1:2], v1
	v_cvt_f64_u32_e32 v[6:7], v0
	v_ldexp_f64 v[1:2], v[1:2], 32
	v_add_f64 v[0:1], v[1:2], v[6:7]
	s_branch .LBB118_439
.LBB118_438:
	s_mov_b64 s[26:27], -1
                                        ; implicit-def: $vgpr0_vgpr1
.LBB118_439:
	v_mov_b32_e32 v2, 0
	v_mov_b32_e32 v3, 0
.LBB118_440:
	s_mov_b64 s[28:29], 0
.LBB118_441:
	s_and_b64 vcc, exec, s[28:29]
	s_cbranch_vccz .LBB118_461
; %bb.442:
	s_cmp_lt_i32 s37, 27
	s_cbranch_scc1 .LBB118_445
; %bb.443:
	s_cmp_gt_i32 s37, 27
	s_cbranch_scc0 .LBB118_446
; %bb.444:
	global_load_dword v0, v[4:5], off
	s_mov_b64 s[0:1], 0
	s_waitcnt vmcnt(0)
	v_cvt_f64_u32_e32 v[0:1], v0
	s_branch .LBB118_447
.LBB118_445:
	s_mov_b64 s[0:1], -1
                                        ; implicit-def: $vgpr0_vgpr1
	s_branch .LBB118_450
.LBB118_446:
	s_mov_b64 s[0:1], -1
                                        ; implicit-def: $vgpr0_vgpr1
.LBB118_447:
	s_andn2_b64 vcc, exec, s[0:1]
	s_cbranch_vccnz .LBB118_449
; %bb.448:
	global_load_ushort v0, v[4:5], off
	s_waitcnt vmcnt(0)
	v_cvt_f64_u32_e32 v[0:1], v0
.LBB118_449:
	s_mov_b64 s[0:1], 0
.LBB118_450:
	s_andn2_b64 vcc, exec, s[0:1]
	s_cbranch_vccnz .LBB118_460
; %bb.451:
	global_load_ubyte v2, v[4:5], off
	s_movk_i32 s0, 0x7f
	s_waitcnt vmcnt(0)
	v_cmp_lt_i16_e32 vcc, s0, v2
	s_mov_b64 s[0:1], 0
	s_and_saveexec_b64 s[28:29], vcc
	s_xor_b64 s[28:29], exec, s[28:29]
	s_cbranch_execz .LBB118_455
; %bb.452:
	s_movk_i32 s0, 0x80
	v_cmp_eq_u16_e32 vcc, s0, v2
	s_mov_b64 s[0:1], -1
	s_and_saveexec_b64 s[30:31], vcc
; %bb.453:
	s_xor_b64 s[0:1], exec, -1
; %bb.454:
	s_or_b64 exec, exec, s[30:31]
	s_and_b64 s[0:1], s[0:1], exec
.LBB118_455:
	s_or_saveexec_b64 s[28:29], s[28:29]
	v_bfrev_b32_e32 v0, 4
	v_mov_b32_e32 v1, 0x7ff80000
	s_xor_b64 exec, exec, s[28:29]
; %bb.456:
	v_cmp_ne_u16_e32 vcc, 0, v2
	v_mov_b32_e32 v0, 0
	s_andn2_b64 s[0:1], s[0:1], exec
	s_and_b64 s[30:31], vcc, exec
	v_mov_b32_e32 v1, 0
	s_or_b64 s[0:1], s[0:1], s[30:31]
; %bb.457:
	s_or_b64 exec, exec, s[28:29]
	s_and_saveexec_b64 s[28:29], s[0:1]
	s_cbranch_execz .LBB118_459
; %bb.458:
	v_and_b32_e32 v1, 0xffff, v2
	v_lshlrev_b32_e32 v0, 24, v2
	v_and_b32_e32 v2, 7, v1
	v_ffbh_u32_e32 v6, v2
	v_min_u32_e32 v6, 32, v6
	v_subrev_u32_e32 v7, 28, v6
	v_bfe_u32 v3, v1, 3, 4
	v_lshlrev_b32_e32 v1, v7, v1
	v_sub_u32_e32 v6, 29, v6
	v_and_b32_e32 v1, 7, v1
	v_cmp_eq_u32_e32 vcc, 0, v3
	v_cndmask_b32_e32 v3, v3, v6, vcc
	v_cndmask_b32_e32 v1, v2, v1, vcc
	v_mov_b32_e32 v2, 0x3b800000
	v_lshlrev_b32_e32 v1, 20, v1
	v_and_b32_e32 v0, 0x80000000, v0
	v_lshl_add_u32 v2, v3, 23, v2
	v_or3_b32 v0, v0, v2, v1
	v_cvt_f64_f32_e32 v[0:1], v0
.LBB118_459:
	s_or_b64 exec, exec, s[28:29]
.LBB118_460:
	v_mov_b32_e32 v2, 0
	v_mov_b32_e32 v3, 0
	s_mov_b64 s[0:1], -1
.LBB118_461:
	s_mov_b64 s[28:29], 0
.LBB118_462:
	s_and_b64 vcc, exec, s[28:29]
	s_cbranch_vccz .LBB118_496
; %bb.463:
	s_cmp_gt_i32 s37, 22
	s_cbranch_scc0 .LBB118_475
; %bb.464:
	s_cmp_lt_i32 s37, 24
	s_cbranch_scc1 .LBB118_476
; %bb.465:
	s_cmp_gt_i32 s37, 24
	s_cbranch_scc0 .LBB118_477
; %bb.466:
	global_load_ubyte v2, v[4:5], off
	s_movk_i32 s0, 0x7f
	s_waitcnt vmcnt(0)
	v_cmp_lt_i16_e32 vcc, s0, v2
	s_mov_b64 s[0:1], 0
	s_and_saveexec_b64 s[28:29], vcc
	s_xor_b64 s[28:29], exec, s[28:29]
	s_cbranch_execz .LBB118_470
; %bb.467:
	s_movk_i32 s0, 0x80
	v_cmp_eq_u16_e32 vcc, s0, v2
	s_mov_b64 s[0:1], -1
	s_and_saveexec_b64 s[30:31], vcc
; %bb.468:
	s_xor_b64 s[0:1], exec, -1
; %bb.469:
	s_or_b64 exec, exec, s[30:31]
	s_and_b64 s[0:1], s[0:1], exec
.LBB118_470:
	s_or_saveexec_b64 s[28:29], s[28:29]
	v_bfrev_b32_e32 v0, 4
	v_mov_b32_e32 v1, 0x7ff80000
	s_xor_b64 exec, exec, s[28:29]
; %bb.471:
	v_cmp_ne_u16_e32 vcc, 0, v2
	v_mov_b32_e32 v0, 0
	s_andn2_b64 s[0:1], s[0:1], exec
	s_and_b64 s[30:31], vcc, exec
	v_mov_b32_e32 v1, 0
	s_or_b64 s[0:1], s[0:1], s[30:31]
; %bb.472:
	s_or_b64 exec, exec, s[28:29]
	s_and_saveexec_b64 s[28:29], s[0:1]
	s_cbranch_execz .LBB118_474
; %bb.473:
	v_and_b32_e32 v1, 0xffff, v2
	v_lshlrev_b32_e32 v0, 24, v2
	v_and_b32_e32 v2, 3, v1
	v_ffbh_u32_e32 v6, v2
	v_min_u32_e32 v6, 32, v6
	v_subrev_u32_e32 v7, 29, v6
	v_bfe_u32 v3, v1, 2, 5
	v_lshlrev_b32_e32 v1, v7, v1
	v_sub_u32_e32 v6, 30, v6
	v_and_b32_e32 v1, 3, v1
	v_cmp_eq_u32_e32 vcc, 0, v3
	v_cndmask_b32_e32 v3, v3, v6, vcc
	v_cndmask_b32_e32 v1, v2, v1, vcc
	v_mov_b32_e32 v2, 0x37800000
	v_lshlrev_b32_e32 v1, 21, v1
	v_and_b32_e32 v0, 0x80000000, v0
	v_lshl_add_u32 v2, v3, 23, v2
	v_or3_b32 v0, v0, v2, v1
	v_cvt_f64_f32_e32 v[0:1], v0
.LBB118_474:
	s_or_b64 exec, exec, s[28:29]
	s_mov_b64 s[0:1], 0
	s_branch .LBB118_478
.LBB118_475:
	s_mov_b64 s[28:29], -1
                                        ; implicit-def: $vgpr0_vgpr1
	s_branch .LBB118_484
.LBB118_476:
	s_mov_b64 s[0:1], -1
                                        ; implicit-def: $vgpr0_vgpr1
	s_branch .LBB118_481
.LBB118_477:
	s_mov_b64 s[0:1], -1
                                        ; implicit-def: $vgpr0_vgpr1
.LBB118_478:
	s_and_b64 vcc, exec, s[0:1]
	s_cbranch_vccz .LBB118_480
; %bb.479:
	global_load_ubyte v0, v[4:5], off
	s_mov_b32 s0, 0x7f800000
	s_waitcnt vmcnt(0)
	v_lshlrev_b32_e32 v0, 24, v0
	v_and_b32_e32 v1, 0x7f000000, v0
	v_ffbh_u32_e32 v2, v1
	v_min_u32_e32 v2, 32, v2
	v_sub_u32_e64 v2, v2, 4 clamp
	v_lshlrev_b32_e32 v6, v2, v1
	v_lshlrev_b32_e32 v2, 23, v2
	v_lshrrev_b32_e32 v6, 4, v6
	v_add_u32_e32 v3, 0x1000000, v1
	v_sub_u32_e32 v2, v6, v2
	v_ashrrev_i32_e32 v3, 8, v3
	v_add_u32_e32 v2, 0x3c000000, v2
	v_and_or_b32 v2, v3, s0, v2
	v_cmp_ne_u32_e32 vcc, 0, v1
	v_cndmask_b32_e32 v1, 0, v2, vcc
	s_brev_b32 s0, 1
	v_and_or_b32 v0, v0, s0, v1
	v_cvt_f64_f32_e32 v[0:1], v0
.LBB118_480:
	s_mov_b64 s[0:1], 0
.LBB118_481:
	s_andn2_b64 vcc, exec, s[0:1]
	s_cbranch_vccnz .LBB118_483
; %bb.482:
	global_load_ubyte v0, v[4:5], off
	s_movk_i32 s0, 0x7f00
	s_brev_b32 s1, 16
	s_waitcnt vmcnt(0)
	v_lshlrev_b16_e32 v1, 8, v0
	v_lshlrev_b32_e32 v0, 25, v0
	v_lshrrev_b32_e32 v2, 4, v0
	v_and_or_b32 v3, v1, s0, 0.5
	v_or_b32_e32 v2, 0x70000000, v2
	v_add_f32_e32 v3, -0.5, v3
	v_mul_f32_e32 v2, 0x7800000, v2
	v_cmp_gt_u32_e32 vcc, s1, v0
	v_bfe_i32 v1, v1, 0, 16
	v_cndmask_b32_e32 v0, v2, v3, vcc
	s_brev_b32 s0, 1
	v_and_or_b32 v0, v1, s0, v0
	v_cvt_f64_f32_e32 v[0:1], v0
.LBB118_483:
	s_mov_b64 s[28:29], 0
	s_mov_b64 s[0:1], -1
.LBB118_484:
	s_andn2_b64 vcc, exec, s[28:29]
	s_cbranch_vccnz .LBB118_495
; %bb.485:
	s_cmp_gt_i32 s37, 14
	s_cbranch_scc0 .LBB118_488
; %bb.486:
	s_cmp_eq_u32 s37, 15
	s_cbranch_scc0 .LBB118_489
; %bb.487:
	global_load_ushort v0, v[4:5], off
	s_mov_b64 s[0:1], -1
	s_mov_b64 s[26:27], 0
	s_waitcnt vmcnt(0)
	v_lshlrev_b32_e32 v0, 16, v0
	v_cvt_f64_f32_e32 v[0:1], v0
	s_branch .LBB118_490
.LBB118_488:
	s_mov_b64 s[28:29], -1
                                        ; implicit-def: $vgpr0_vgpr1
	s_branch .LBB118_491
.LBB118_489:
	s_mov_b64 s[26:27], -1
                                        ; implicit-def: $vgpr0_vgpr1
.LBB118_490:
	s_mov_b64 s[28:29], 0
.LBB118_491:
	s_and_b64 vcc, exec, s[28:29]
	s_cbranch_vccz .LBB118_495
; %bb.492:
	s_cmp_eq_u32 s37, 11
	s_cbranch_scc0 .LBB118_494
; %bb.493:
	global_load_ubyte v1, v[4:5], off
	v_mov_b32_e32 v2, 0x3ff00000
	v_mov_b32_e32 v0, 0
	s_mov_b64 s[0:1], -1
	s_mov_b64 s[26:27], 0
	s_waitcnt vmcnt(0)
	v_cmp_ne_u16_e32 vcc, 0, v1
	v_cndmask_b32_e32 v1, 0, v2, vcc
	s_branch .LBB118_495
.LBB118_494:
	s_mov_b64 s[26:27], -1
                                        ; implicit-def: $vgpr0_vgpr1
.LBB118_495:
	v_mov_b32_e32 v2, 0
	v_mov_b32_e32 v3, 0
.LBB118_496:
	s_branch .LBB118_409
.LBB118_497:
	s_and_b32 s28, 0xffff, s36
	s_cmp_lt_i32 s28, 5
	s_cbranch_scc1 .LBB118_502
; %bb.498:
	s_cmp_lt_i32 s28, 8
	s_cbranch_scc1 .LBB118_503
; %bb.499:
	;; [unrolled: 3-line block ×3, first 2 shown]
	s_cmp_gt_i32 s28, 9
	s_cbranch_scc0 .LBB118_505
; %bb.501:
	global_load_dwordx4 v[0:3], v[4:5], off
	s_mov_b64 s[0:1], 0
	s_branch .LBB118_506
.LBB118_502:
	s_mov_b64 s[0:1], -1
                                        ; implicit-def: $vgpr2_vgpr3
	s_branch .LBB118_525
.LBB118_503:
	s_mov_b64 s[0:1], -1
                                        ; implicit-def: $vgpr2_vgpr3
	s_branch .LBB118_512
.LBB118_504:
	s_mov_b64 s[0:1], -1
                                        ; implicit-def: $vgpr2_vgpr3
	s_branch .LBB118_509
.LBB118_505:
	s_mov_b64 s[0:1], -1
                                        ; implicit-def: $vgpr2_vgpr3
.LBB118_506:
	s_andn2_b64 vcc, exec, s[0:1]
	s_cbranch_vccnz .LBB118_508
; %bb.507:
	global_load_dwordx2 v[1:2], v[4:5], off
	s_waitcnt vmcnt(0)
	v_cvt_f64_f32_e32 v[0:1], v1
	v_cvt_f64_f32_e32 v[2:3], v2
.LBB118_508:
	s_mov_b64 s[0:1], 0
.LBB118_509:
	s_andn2_b64 vcc, exec, s[0:1]
	s_cbranch_vccnz .LBB118_511
; %bb.510:
	global_load_dword v0, v[4:5], off
	s_waitcnt vmcnt(0)
	v_cvt_f32_f16_e32 v1, v0
	v_cvt_f32_f16_sdwa v2, v0 dst_sel:DWORD dst_unused:UNUSED_PAD src0_sel:WORD_1
	v_cvt_f64_f32_e32 v[0:1], v1
	v_cvt_f64_f32_e32 v[2:3], v2
.LBB118_511:
	s_mov_b64 s[0:1], 0
.LBB118_512:
	s_andn2_b64 vcc, exec, s[0:1]
	s_cbranch_vccnz .LBB118_524
; %bb.513:
	s_cmp_lt_i32 s28, 6
	s_cbranch_scc1 .LBB118_516
; %bb.514:
	s_cmp_gt_i32 s28, 6
	s_cbranch_scc0 .LBB118_517
; %bb.515:
	global_load_dwordx2 v[0:1], v[4:5], off
	s_mov_b64 s[0:1], 0
	s_branch .LBB118_518
.LBB118_516:
	s_mov_b64 s[0:1], -1
                                        ; implicit-def: $vgpr0_vgpr1
	s_branch .LBB118_521
.LBB118_517:
	s_mov_b64 s[0:1], -1
                                        ; implicit-def: $vgpr0_vgpr1
.LBB118_518:
	s_andn2_b64 vcc, exec, s[0:1]
	s_cbranch_vccnz .LBB118_520
; %bb.519:
	global_load_dword v0, v[4:5], off
	s_waitcnt vmcnt(0)
	v_cvt_f64_f32_e32 v[0:1], v0
.LBB118_520:
	s_mov_b64 s[0:1], 0
.LBB118_521:
	s_andn2_b64 vcc, exec, s[0:1]
	s_cbranch_vccnz .LBB118_523
; %bb.522:
	global_load_ushort v0, v[4:5], off
	s_waitcnt vmcnt(0)
	v_cvt_f32_f16_e32 v0, v0
	v_cvt_f64_f32_e32 v[0:1], v0
.LBB118_523:
	s_waitcnt vmcnt(0)
	v_mov_b32_e32 v2, 0
	v_mov_b32_e32 v3, 0
.LBB118_524:
	s_mov_b64 s[0:1], 0
.LBB118_525:
	s_andn2_b64 vcc, exec, s[0:1]
	s_cbranch_vccnz .LBB118_546
; %bb.526:
	s_cmp_lt_i32 s28, 2
	s_cbranch_scc1 .LBB118_530
; %bb.527:
	s_cmp_lt_i32 s28, 3
	s_cbranch_scc1 .LBB118_531
; %bb.528:
	s_cmp_gt_i32 s28, 3
	s_cbranch_scc0 .LBB118_532
; %bb.529:
	global_load_dwordx2 v[0:1], v[4:5], off
	s_mov_b64 s[0:1], 0
	s_waitcnt vmcnt(0)
	v_cvt_f64_i32_e32 v[1:2], v1
	v_cvt_f64_u32_e32 v[6:7], v0
	v_ldexp_f64 v[1:2], v[1:2], 32
	v_add_f64 v[0:1], v[1:2], v[6:7]
	s_branch .LBB118_533
.LBB118_530:
	s_mov_b64 s[0:1], -1
                                        ; implicit-def: $vgpr0_vgpr1
	s_branch .LBB118_539
.LBB118_531:
	s_mov_b64 s[0:1], -1
                                        ; implicit-def: $vgpr0_vgpr1
	s_branch .LBB118_536
.LBB118_532:
	s_mov_b64 s[0:1], -1
                                        ; implicit-def: $vgpr0_vgpr1
.LBB118_533:
	s_andn2_b64 vcc, exec, s[0:1]
	s_cbranch_vccnz .LBB118_535
; %bb.534:
	global_load_dword v0, v[4:5], off
	s_waitcnt vmcnt(0)
	v_cvt_f64_i32_e32 v[0:1], v0
.LBB118_535:
	s_mov_b64 s[0:1], 0
.LBB118_536:
	s_andn2_b64 vcc, exec, s[0:1]
	s_cbranch_vccnz .LBB118_538
; %bb.537:
	global_load_sshort v0, v[4:5], off
	s_waitcnt vmcnt(0)
	v_cvt_f64_i32_e32 v[0:1], v0
.LBB118_538:
	s_mov_b64 s[0:1], 0
.LBB118_539:
	s_andn2_b64 vcc, exec, s[0:1]
	s_cbranch_vccnz .LBB118_545
; %bb.540:
	s_cmp_gt_i32 s28, 0
	s_cbranch_scc0 .LBB118_542
; %bb.541:
	global_load_sbyte v0, v[4:5], off
	s_mov_b64 s[0:1], 0
	s_waitcnt vmcnt(0)
	v_cvt_f64_i32_e32 v[0:1], v0
	s_branch .LBB118_543
.LBB118_542:
	s_mov_b64 s[0:1], -1
                                        ; implicit-def: $vgpr0_vgpr1
.LBB118_543:
	s_andn2_b64 vcc, exec, s[0:1]
	s_cbranch_vccnz .LBB118_545
; %bb.544:
	global_load_ubyte v0, v[4:5], off
	s_waitcnt vmcnt(0)
	v_cvt_f64_u32_e32 v[0:1], v0
.LBB118_545:
	s_waitcnt vmcnt(0)
	v_mov_b32_e32 v2, 0
	v_mov_b32_e32 v3, 0
.LBB118_546:
	s_branch .LBB118_410
.LBB118_547:
	s_mov_b64 s[36:37], 0
	s_mov_b64 s[0:1], s[18:19]
	;; [unrolled: 1-line block ×3, first 2 shown]
.LBB118_548:
                                        ; implicit-def: $vgpr10
	s_branch .LBB118_800
.LBB118_549:
	s_andn2_saveexec_b64 s[34:35], s[34:35]
	s_cbranch_execz .LBB118_201
.LBB118_550:
	v_add_f32_e32 v2, 0x42800000, v3
	v_and_b32_e32 v2, 0xff, v2
	v_cmp_ne_u32_e32 vcc, 0, v2
	s_andn2_b64 s[30:31], s[30:31], exec
	s_and_b64 s[38:39], vcc, exec
	s_or_b64 s[30:31], s[30:31], s[38:39]
	s_or_b64 exec, exec, s[34:35]
	v_mov_b32_e32 v4, 0
	s_and_saveexec_b64 s[34:35], s[30:31]
	s_cbranch_execnz .LBB118_202
	s_branch .LBB118_203
.LBB118_551:
	s_mov_b64 s[28:29], -1
                                        ; implicit-def: $vgpr6_vgpr7
	s_mov_b64 s[0:1], 0
.LBB118_552:
	s_and_b64 vcc, exec, s[30:31]
	s_cbranch_vccz .LBB118_557
; %bb.553:
	s_cmp_eq_u32 s39, 44
	s_cbranch_scc0 .LBB118_555
; %bb.554:
	global_load_ubyte v6, v[8:9], off
	s_movk_i32 s28, 0xff
	v_bfrev_b32_e32 v7, 4
	v_mov_b32_e32 v11, 0x7ff80000
	v_bfrev_b32_e32 v12, 28
	s_mov_b64 s[0:1], -1
	s_waitcnt vmcnt(0)
	v_lshlrev_b32_e32 v4, 23, v6
	v_cvt_f64_f32_e32 v[4:5], v4
	v_cmp_ne_u32_e32 vcc, s28, v6
	s_mov_b64 s[28:29], 0
	v_cndmask_b32_e32 v4, v7, v4, vcc
	v_cndmask_b32_e32 v5, v11, v5, vcc
	v_cmp_ne_u32_e32 vcc, 0, v6
	v_cndmask_b32_e32 v5, v12, v5, vcc
	v_cndmask_b32_e32 v4, 0, v4, vcc
	s_branch .LBB118_556
.LBB118_555:
	s_mov_b64 s[28:29], -1
                                        ; implicit-def: $vgpr4_vgpr5
.LBB118_556:
	v_mov_b32_e32 v6, 0
	v_mov_b32_e32 v7, 0
.LBB118_557:
	s_mov_b64 s[30:31], 0
.LBB118_558:
	s_and_b64 vcc, exec, s[30:31]
	s_cbranch_vccz .LBB118_563
; %bb.559:
	s_cmp_eq_u32 s39, 29
	s_cbranch_scc0 .LBB118_561
; %bb.560:
	global_load_dwordx2 v[4:5], v[8:9], off
	s_mov_b64 s[0:1], -1
	s_mov_b64 s[28:29], 0
	s_waitcnt vmcnt(0)
	v_cvt_f64_u32_e32 v[5:6], v5
	v_cvt_f64_u32_e32 v[11:12], v4
	v_ldexp_f64 v[5:6], v[5:6], 32
	v_add_f64 v[4:5], v[5:6], v[11:12]
	s_branch .LBB118_562
.LBB118_561:
	s_mov_b64 s[28:29], -1
                                        ; implicit-def: $vgpr4_vgpr5
.LBB118_562:
	v_mov_b32_e32 v6, 0
	v_mov_b32_e32 v7, 0
.LBB118_563:
	s_mov_b64 s[30:31], 0
.LBB118_564:
	s_and_b64 vcc, exec, s[30:31]
	s_cbranch_vccz .LBB118_584
; %bb.565:
	s_cmp_lt_i32 s39, 27
	s_cbranch_scc1 .LBB118_568
; %bb.566:
	s_cmp_gt_i32 s39, 27
	s_cbranch_scc0 .LBB118_569
; %bb.567:
	global_load_dword v4, v[8:9], off
	s_mov_b64 s[0:1], 0
	s_waitcnt vmcnt(0)
	v_cvt_f64_u32_e32 v[4:5], v4
	s_branch .LBB118_570
.LBB118_568:
	s_mov_b64 s[0:1], -1
                                        ; implicit-def: $vgpr4_vgpr5
	s_branch .LBB118_573
.LBB118_569:
	s_mov_b64 s[0:1], -1
                                        ; implicit-def: $vgpr4_vgpr5
.LBB118_570:
	s_andn2_b64 vcc, exec, s[0:1]
	s_cbranch_vccnz .LBB118_572
; %bb.571:
	global_load_ushort v4, v[8:9], off
	s_waitcnt vmcnt(0)
	v_cvt_f64_u32_e32 v[4:5], v4
.LBB118_572:
	s_mov_b64 s[0:1], 0
.LBB118_573:
	s_andn2_b64 vcc, exec, s[0:1]
	s_cbranch_vccnz .LBB118_583
; %bb.574:
	global_load_ubyte v6, v[8:9], off
	s_movk_i32 s0, 0x7f
	s_waitcnt vmcnt(0)
	v_cmp_lt_i16_e32 vcc, s0, v6
	s_mov_b64 s[0:1], 0
	s_and_saveexec_b64 s[30:31], vcc
	s_xor_b64 s[30:31], exec, s[30:31]
	s_cbranch_execz .LBB118_578
; %bb.575:
	s_movk_i32 s0, 0x80
	v_cmp_eq_u16_e32 vcc, s0, v6
	s_mov_b64 s[0:1], -1
	s_and_saveexec_b64 s[36:37], vcc
; %bb.576:
	s_xor_b64 s[0:1], exec, -1
; %bb.577:
	s_or_b64 exec, exec, s[36:37]
	s_and_b64 s[0:1], s[0:1], exec
.LBB118_578:
	s_or_saveexec_b64 s[30:31], s[30:31]
	v_bfrev_b32_e32 v4, 4
	v_mov_b32_e32 v5, 0x7ff80000
	s_xor_b64 exec, exec, s[30:31]
; %bb.579:
	v_cmp_ne_u16_e32 vcc, 0, v6
	v_mov_b32_e32 v4, 0
	s_andn2_b64 s[0:1], s[0:1], exec
	s_and_b64 s[36:37], vcc, exec
	v_mov_b32_e32 v5, 0
	s_or_b64 s[0:1], s[0:1], s[36:37]
; %bb.580:
	s_or_b64 exec, exec, s[30:31]
	s_and_saveexec_b64 s[30:31], s[0:1]
	s_cbranch_execz .LBB118_582
; %bb.581:
	v_and_b32_e32 v5, 0xffff, v6
	v_lshlrev_b32_e32 v4, 24, v6
	v_and_b32_e32 v6, 7, v5
	v_ffbh_u32_e32 v11, v6
	v_min_u32_e32 v11, 32, v11
	v_subrev_u32_e32 v12, 28, v11
	v_bfe_u32 v7, v5, 3, 4
	v_lshlrev_b32_e32 v5, v12, v5
	v_sub_u32_e32 v11, 29, v11
	v_and_b32_e32 v5, 7, v5
	v_cmp_eq_u32_e32 vcc, 0, v7
	v_cndmask_b32_e32 v7, v7, v11, vcc
	v_cndmask_b32_e32 v5, v6, v5, vcc
	v_mov_b32_e32 v6, 0x3b800000
	v_lshlrev_b32_e32 v5, 20, v5
	v_and_b32_e32 v4, 0x80000000, v4
	v_lshl_add_u32 v6, v7, 23, v6
	v_or3_b32 v4, v4, v6, v5
	v_cvt_f64_f32_e32 v[4:5], v4
.LBB118_582:
	s_or_b64 exec, exec, s[30:31]
.LBB118_583:
	v_mov_b32_e32 v6, 0
	v_mov_b32_e32 v7, 0
	s_mov_b64 s[0:1], -1
.LBB118_584:
	s_mov_b64 s[30:31], 0
.LBB118_585:
	s_and_b64 vcc, exec, s[30:31]
	s_cbranch_vccz .LBB118_619
; %bb.586:
	s_cmp_gt_i32 s39, 22
	s_cbranch_scc0 .LBB118_598
; %bb.587:
	s_cmp_lt_i32 s39, 24
	s_cbranch_scc1 .LBB118_599
; %bb.588:
	s_cmp_gt_i32 s39, 24
	s_cbranch_scc0 .LBB118_600
; %bb.589:
	global_load_ubyte v6, v[8:9], off
	s_movk_i32 s0, 0x7f
	s_waitcnt vmcnt(0)
	v_cmp_lt_i16_e32 vcc, s0, v6
	s_mov_b64 s[0:1], 0
	s_and_saveexec_b64 s[30:31], vcc
	s_xor_b64 s[30:31], exec, s[30:31]
	s_cbranch_execz .LBB118_593
; %bb.590:
	s_movk_i32 s0, 0x80
	v_cmp_eq_u16_e32 vcc, s0, v6
	s_mov_b64 s[0:1], -1
	s_and_saveexec_b64 s[36:37], vcc
; %bb.591:
	s_xor_b64 s[0:1], exec, -1
; %bb.592:
	s_or_b64 exec, exec, s[36:37]
	s_and_b64 s[0:1], s[0:1], exec
.LBB118_593:
	s_or_saveexec_b64 s[30:31], s[30:31]
	v_bfrev_b32_e32 v4, 4
	v_mov_b32_e32 v5, 0x7ff80000
	s_xor_b64 exec, exec, s[30:31]
; %bb.594:
	v_cmp_ne_u16_e32 vcc, 0, v6
	v_mov_b32_e32 v4, 0
	s_andn2_b64 s[0:1], s[0:1], exec
	s_and_b64 s[36:37], vcc, exec
	v_mov_b32_e32 v5, 0
	s_or_b64 s[0:1], s[0:1], s[36:37]
; %bb.595:
	s_or_b64 exec, exec, s[30:31]
	s_and_saveexec_b64 s[30:31], s[0:1]
	s_cbranch_execz .LBB118_597
; %bb.596:
	v_and_b32_e32 v5, 0xffff, v6
	v_lshlrev_b32_e32 v4, 24, v6
	v_and_b32_e32 v6, 3, v5
	v_ffbh_u32_e32 v11, v6
	v_min_u32_e32 v11, 32, v11
	v_subrev_u32_e32 v12, 29, v11
	v_bfe_u32 v7, v5, 2, 5
	v_lshlrev_b32_e32 v5, v12, v5
	v_sub_u32_e32 v11, 30, v11
	v_and_b32_e32 v5, 3, v5
	v_cmp_eq_u32_e32 vcc, 0, v7
	v_cndmask_b32_e32 v7, v7, v11, vcc
	v_cndmask_b32_e32 v5, v6, v5, vcc
	v_mov_b32_e32 v6, 0x37800000
	v_lshlrev_b32_e32 v5, 21, v5
	v_and_b32_e32 v4, 0x80000000, v4
	v_lshl_add_u32 v6, v7, 23, v6
	v_or3_b32 v4, v4, v6, v5
	v_cvt_f64_f32_e32 v[4:5], v4
.LBB118_597:
	s_or_b64 exec, exec, s[30:31]
	s_mov_b64 s[0:1], 0
	s_branch .LBB118_601
.LBB118_598:
	s_mov_b64 s[30:31], -1
                                        ; implicit-def: $vgpr4_vgpr5
	s_branch .LBB118_607
.LBB118_599:
	s_mov_b64 s[0:1], -1
                                        ; implicit-def: $vgpr4_vgpr5
	s_branch .LBB118_604
.LBB118_600:
	s_mov_b64 s[0:1], -1
                                        ; implicit-def: $vgpr4_vgpr5
.LBB118_601:
	s_and_b64 vcc, exec, s[0:1]
	s_cbranch_vccz .LBB118_603
; %bb.602:
	global_load_ubyte v4, v[8:9], off
	s_mov_b32 s0, 0x7f800000
	s_waitcnt vmcnt(0)
	v_lshlrev_b32_e32 v4, 24, v4
	v_and_b32_e32 v5, 0x7f000000, v4
	v_ffbh_u32_e32 v6, v5
	v_min_u32_e32 v6, 32, v6
	v_sub_u32_e64 v6, v6, 4 clamp
	v_lshlrev_b32_e32 v11, v6, v5
	v_lshlrev_b32_e32 v6, 23, v6
	v_lshrrev_b32_e32 v11, 4, v11
	v_add_u32_e32 v7, 0x1000000, v5
	v_sub_u32_e32 v6, v11, v6
	v_ashrrev_i32_e32 v7, 8, v7
	v_add_u32_e32 v6, 0x3c000000, v6
	v_and_or_b32 v6, v7, s0, v6
	v_cmp_ne_u32_e32 vcc, 0, v5
	v_cndmask_b32_e32 v5, 0, v6, vcc
	s_brev_b32 s0, 1
	v_and_or_b32 v4, v4, s0, v5
	v_cvt_f64_f32_e32 v[4:5], v4
.LBB118_603:
	s_mov_b64 s[0:1], 0
.LBB118_604:
	s_andn2_b64 vcc, exec, s[0:1]
	s_cbranch_vccnz .LBB118_606
; %bb.605:
	global_load_ubyte v4, v[8:9], off
	s_movk_i32 s0, 0x7f00
	s_brev_b32 s1, 16
	s_waitcnt vmcnt(0)
	v_lshlrev_b16_e32 v5, 8, v4
	v_lshlrev_b32_e32 v4, 25, v4
	v_lshrrev_b32_e32 v6, 4, v4
	v_and_or_b32 v7, v5, s0, 0.5
	v_or_b32_e32 v6, 0x70000000, v6
	v_add_f32_e32 v7, -0.5, v7
	v_mul_f32_e32 v6, 0x7800000, v6
	v_cmp_gt_u32_e32 vcc, s1, v4
	v_bfe_i32 v5, v5, 0, 16
	v_cndmask_b32_e32 v4, v6, v7, vcc
	s_brev_b32 s0, 1
	v_and_or_b32 v4, v5, s0, v4
	v_cvt_f64_f32_e32 v[4:5], v4
.LBB118_606:
	s_mov_b64 s[30:31], 0
	s_mov_b64 s[0:1], -1
.LBB118_607:
	s_andn2_b64 vcc, exec, s[30:31]
	s_cbranch_vccnz .LBB118_618
; %bb.608:
	s_cmp_gt_i32 s39, 14
	s_cbranch_scc0 .LBB118_611
; %bb.609:
	s_cmp_eq_u32 s39, 15
	s_cbranch_scc0 .LBB118_612
; %bb.610:
	global_load_ushort v4, v[8:9], off
	s_mov_b64 s[0:1], -1
	s_mov_b64 s[28:29], 0
	s_waitcnt vmcnt(0)
	v_lshlrev_b32_e32 v4, 16, v4
	v_cvt_f64_f32_e32 v[4:5], v4
	s_branch .LBB118_613
.LBB118_611:
	s_mov_b64 s[30:31], -1
                                        ; implicit-def: $vgpr4_vgpr5
	s_branch .LBB118_614
.LBB118_612:
	s_mov_b64 s[28:29], -1
                                        ; implicit-def: $vgpr4_vgpr5
.LBB118_613:
	s_mov_b64 s[30:31], 0
.LBB118_614:
	s_and_b64 vcc, exec, s[30:31]
	s_cbranch_vccz .LBB118_618
; %bb.615:
	s_cmp_eq_u32 s39, 11
	s_cbranch_scc0 .LBB118_617
; %bb.616:
	global_load_ubyte v5, v[8:9], off
	v_mov_b32_e32 v6, 0x3ff00000
	v_mov_b32_e32 v4, 0
	s_mov_b64 s[0:1], -1
	s_mov_b64 s[28:29], 0
	s_waitcnt vmcnt(0)
	v_cmp_ne_u16_e32 vcc, 0, v5
	v_cndmask_b32_e32 v5, 0, v6, vcc
	s_branch .LBB118_618
.LBB118_617:
	s_mov_b64 s[28:29], -1
                                        ; implicit-def: $vgpr4_vgpr5
.LBB118_618:
	v_mov_b32_e32 v6, 0
	v_mov_b32_e32 v7, 0
.LBB118_619:
	s_mov_b64 s[30:31], 0
.LBB118_620:
	s_and_b64 vcc, exec, s[30:31]
	s_cbranch_vccz .LBB118_671
; %bb.621:
	s_and_b32 s30, 0xffff, s38
	s_cmp_lt_i32 s30, 5
	s_cbranch_scc1 .LBB118_626
; %bb.622:
	s_cmp_lt_i32 s30, 8
	s_cbranch_scc1 .LBB118_627
; %bb.623:
	;; [unrolled: 3-line block ×3, first 2 shown]
	s_cmp_gt_i32 s30, 9
	s_cbranch_scc0 .LBB118_629
; %bb.625:
	global_load_dwordx4 v[4:7], v[8:9], off
	s_mov_b64 s[0:1], 0
	s_branch .LBB118_630
.LBB118_626:
	s_mov_b64 s[0:1], -1
                                        ; implicit-def: $vgpr6_vgpr7
	s_branch .LBB118_649
.LBB118_627:
	s_mov_b64 s[0:1], -1
                                        ; implicit-def: $vgpr6_vgpr7
	s_branch .LBB118_636
.LBB118_628:
	s_mov_b64 s[0:1], -1
                                        ; implicit-def: $vgpr6_vgpr7
	s_branch .LBB118_633
.LBB118_629:
	s_mov_b64 s[0:1], -1
                                        ; implicit-def: $vgpr6_vgpr7
.LBB118_630:
	s_andn2_b64 vcc, exec, s[0:1]
	s_cbranch_vccnz .LBB118_632
; %bb.631:
	global_load_dwordx2 v[5:6], v[8:9], off
	s_waitcnt vmcnt(0)
	v_cvt_f64_f32_e32 v[4:5], v5
	v_cvt_f64_f32_e32 v[6:7], v6
.LBB118_632:
	s_mov_b64 s[0:1], 0
.LBB118_633:
	s_andn2_b64 vcc, exec, s[0:1]
	s_cbranch_vccnz .LBB118_635
; %bb.634:
	global_load_dword v4, v[8:9], off
	s_waitcnt vmcnt(0)
	v_cvt_f32_f16_e32 v5, v4
	v_cvt_f32_f16_sdwa v6, v4 dst_sel:DWORD dst_unused:UNUSED_PAD src0_sel:WORD_1
	v_cvt_f64_f32_e32 v[4:5], v5
	v_cvt_f64_f32_e32 v[6:7], v6
.LBB118_635:
	s_mov_b64 s[0:1], 0
.LBB118_636:
	s_andn2_b64 vcc, exec, s[0:1]
	s_cbranch_vccnz .LBB118_648
; %bb.637:
	s_cmp_lt_i32 s30, 6
	s_cbranch_scc1 .LBB118_640
; %bb.638:
	s_cmp_gt_i32 s30, 6
	s_cbranch_scc0 .LBB118_641
; %bb.639:
	global_load_dwordx2 v[4:5], v[8:9], off
	s_mov_b64 s[0:1], 0
	s_branch .LBB118_642
.LBB118_640:
	s_mov_b64 s[0:1], -1
                                        ; implicit-def: $vgpr4_vgpr5
	s_branch .LBB118_645
.LBB118_641:
	s_mov_b64 s[0:1], -1
                                        ; implicit-def: $vgpr4_vgpr5
.LBB118_642:
	s_andn2_b64 vcc, exec, s[0:1]
	s_cbranch_vccnz .LBB118_644
; %bb.643:
	global_load_dword v4, v[8:9], off
	s_waitcnt vmcnt(0)
	v_cvt_f64_f32_e32 v[4:5], v4
.LBB118_644:
	s_mov_b64 s[0:1], 0
.LBB118_645:
	s_andn2_b64 vcc, exec, s[0:1]
	s_cbranch_vccnz .LBB118_647
; %bb.646:
	global_load_ushort v4, v[8:9], off
	s_waitcnt vmcnt(0)
	v_cvt_f32_f16_e32 v4, v4
	v_cvt_f64_f32_e32 v[4:5], v4
.LBB118_647:
	s_waitcnt vmcnt(0)
	v_mov_b32_e32 v6, 0
	v_mov_b32_e32 v7, 0
.LBB118_648:
	s_mov_b64 s[0:1], 0
.LBB118_649:
	s_andn2_b64 vcc, exec, s[0:1]
	s_cbranch_vccnz .LBB118_670
; %bb.650:
	s_cmp_lt_i32 s30, 2
	s_cbranch_scc1 .LBB118_654
; %bb.651:
	s_cmp_lt_i32 s30, 3
	s_cbranch_scc1 .LBB118_655
; %bb.652:
	s_cmp_gt_i32 s30, 3
	s_cbranch_scc0 .LBB118_656
; %bb.653:
	global_load_dwordx2 v[4:5], v[8:9], off
	s_mov_b64 s[0:1], 0
	s_waitcnt vmcnt(0)
	v_cvt_f64_i32_e32 v[5:6], v5
	v_cvt_f64_u32_e32 v[11:12], v4
	v_ldexp_f64 v[5:6], v[5:6], 32
	v_add_f64 v[4:5], v[5:6], v[11:12]
	s_branch .LBB118_657
.LBB118_654:
	s_mov_b64 s[0:1], -1
                                        ; implicit-def: $vgpr4_vgpr5
	s_branch .LBB118_663
.LBB118_655:
	s_mov_b64 s[0:1], -1
                                        ; implicit-def: $vgpr4_vgpr5
	s_branch .LBB118_660
.LBB118_656:
	s_mov_b64 s[0:1], -1
                                        ; implicit-def: $vgpr4_vgpr5
.LBB118_657:
	s_andn2_b64 vcc, exec, s[0:1]
	s_cbranch_vccnz .LBB118_659
; %bb.658:
	global_load_dword v4, v[8:9], off
	s_waitcnt vmcnt(0)
	v_cvt_f64_i32_e32 v[4:5], v4
.LBB118_659:
	s_mov_b64 s[0:1], 0
.LBB118_660:
	s_andn2_b64 vcc, exec, s[0:1]
	s_cbranch_vccnz .LBB118_662
; %bb.661:
	global_load_sshort v4, v[8:9], off
	s_waitcnt vmcnt(0)
	v_cvt_f64_i32_e32 v[4:5], v4
.LBB118_662:
	s_mov_b64 s[0:1], 0
.LBB118_663:
	s_andn2_b64 vcc, exec, s[0:1]
	s_cbranch_vccnz .LBB118_669
; %bb.664:
	s_cmp_gt_i32 s30, 0
	s_cbranch_scc0 .LBB118_666
; %bb.665:
	global_load_sbyte v4, v[8:9], off
	s_mov_b64 s[0:1], 0
	s_waitcnt vmcnt(0)
	v_cvt_f64_i32_e32 v[4:5], v4
	s_branch .LBB118_667
.LBB118_666:
	s_mov_b64 s[0:1], -1
                                        ; implicit-def: $vgpr4_vgpr5
.LBB118_667:
	s_andn2_b64 vcc, exec, s[0:1]
	s_cbranch_vccnz .LBB118_669
; %bb.668:
	global_load_ubyte v4, v[8:9], off
	s_waitcnt vmcnt(0)
	v_cvt_f64_u32_e32 v[4:5], v4
.LBB118_669:
	s_waitcnt vmcnt(0)
	v_mov_b32_e32 v6, 0
	v_mov_b32_e32 v7, 0
.LBB118_670:
	s_mov_b64 s[0:1], -1
.LBB118_671:
	s_andn2_b64 vcc, exec, s[0:1]
	s_cbranch_vccnz .LBB118_674
; %bb.672:
	s_andn2_b64 vcc, exec, s[16:17]
	s_cbranch_vccnz .LBB118_675
; %bb.673:
	s_waitcnt vmcnt(0)
	v_cmp_neq_f64_e32 vcc, v[0:1], v[4:5]
	v_cmp_neq_f64_e64 s[0:1], v[2:3], v[6:7]
	s_or_b64 s[30:31], vcc, s[0:1]
	s_mov_b64 s[0:1], 0
	s_branch .LBB118_676
.LBB118_674:
	s_mov_b64 s[36:37], 0
                                        ; implicit-def: $vgpr10
	s_mov_b64 s[0:1], s[18:19]
	s_branch .LBB118_800
.LBB118_675:
	s_mov_b64 s[0:1], -1
                                        ; implicit-def: $sgpr30_sgpr31
.LBB118_676:
	s_andn2_b64 vcc, exec, s[0:1]
	s_cbranch_vccnz .LBB118_678
; %bb.677:
	s_waitcnt vmcnt(0)
	v_cmp_eq_f64_e32 vcc, v[0:1], v[4:5]
	v_cmp_eq_f64_e64 s[0:1], v[2:3], v[6:7]
	s_andn2_b64 s[30:31], s[30:31], exec
	s_and_b64 s[0:1], vcc, s[0:1]
	s_and_b64 s[0:1], s[0:1], exec
	s_or_b64 s[30:31], s[30:31], s[0:1]
.LBB118_678:
	s_waitcnt vmcnt(0)
	v_mul_lo_u32 v0, v10, s12
	v_mov_b32_e32 v1, s9
	s_and_b32 s42, s33, 0xff
	s_cmp_lt_i32 s42, 11
	v_ashrrev_i32_e32 v2, 31, v0
	v_add_co_u32_e32 v0, vcc, s8, v0
	v_addc_co_u32_e32 v1, vcc, v1, v2, vcc
	s_cbranch_scc1 .LBB118_685
; %bb.679:
	s_and_b32 s43, 0xffff, s42
	s_cmp_gt_i32 s43, 25
	s_cbranch_scc0 .LBB118_686
; %bb.680:
	s_cmp_gt_i32 s43, 28
	s_cbranch_scc0 .LBB118_687
; %bb.681:
	;; [unrolled: 3-line block ×4, first 2 shown]
	s_mov_b64 s[38:39], 0
	s_mov_b64 s[0:1], -1
	s_cmp_eq_u32 s43, 46
	s_mov_b64 s[36:37], 0
	s_cbranch_scc0 .LBB118_690
; %bb.684:
	v_cndmask_b32_e64 v2, 0, 1.0, s[30:31]
	v_bfe_u32 v3, v2, 16, 1
	s_movk_i32 s0, 0x7fff
	v_add3_u32 v2, v2, v3, s0
	v_lshrrev_b32_e32 v2, 16, v2
	global_store_dword v[0:1], v2, off
	s_mov_b64 s[36:37], -1
	s_mov_b64 s[0:1], 0
	s_branch .LBB118_690
.LBB118_685:
	s_mov_b64 s[38:39], -1
	s_mov_b64 s[36:37], 0
	s_mov_b64 s[0:1], s[18:19]
	s_branch .LBB118_759
.LBB118_686:
	s_mov_b64 s[38:39], -1
	s_mov_b64 s[36:37], 0
	s_mov_b64 s[0:1], s[18:19]
	s_branch .LBB118_717
.LBB118_687:
	s_mov_b64 s[38:39], -1
	s_mov_b64 s[36:37], 0
	s_mov_b64 s[0:1], s[18:19]
	s_branch .LBB118_700
.LBB118_688:
	s_mov_b64 s[38:39], -1
	s_mov_b64 s[36:37], 0
	s_mov_b64 s[0:1], s[18:19]
	s_branch .LBB118_696
.LBB118_689:
	s_mov_b64 s[38:39], -1
	s_mov_b64 s[36:37], 0
	s_mov_b64 s[0:1], s[18:19]
.LBB118_690:
	s_and_b64 vcc, exec, s[38:39]
	s_cbranch_vccz .LBB118_695
; %bb.691:
	s_cmp_eq_u32 s43, 44
	s_mov_b64 s[0:1], -1
	s_cbranch_scc0 .LBB118_695
; %bb.692:
	v_cndmask_b32_e64 v3, 0, 1.0, s[30:31]
	v_lshrrev_b32_e32 v2, 23, v3
	s_movk_i32 s0, 0xff
	v_cmp_ne_u32_e32 vcc, s0, v2
	v_mov_b32_e32 v4, 0xff
	s_and_saveexec_b64 s[36:37], vcc
; %bb.693:
	s_mov_b32 s0, 0x3fffff
	v_and_b32_e32 v4, 0x400000, v3
	v_and_or_b32 v3, v3, s0, v2
	v_cmp_ne_u32_e32 vcc, 0, v4
	v_cmp_ne_u32_e64 s[0:1], 0, v3
	s_and_b64 s[0:1], vcc, s[0:1]
	v_cndmask_b32_e64 v3, 0, 1, s[0:1]
	v_add_u32_e32 v4, v2, v3
; %bb.694:
	s_or_b64 exec, exec, s[36:37]
	s_mov_b64 s[36:37], -1
	s_mov_b64 s[0:1], 0
	global_store_byte v[0:1], v4, off
.LBB118_695:
	s_mov_b64 s[38:39], 0
.LBB118_696:
	s_and_b64 vcc, exec, s[38:39]
	s_cbranch_vccz .LBB118_699
; %bb.697:
	s_cmp_eq_u32 s43, 29
	s_mov_b64 s[0:1], -1
	s_cbranch_scc0 .LBB118_699
; %bb.698:
	s_mov_b32 s0, 0
	v_cndmask_b32_e64 v2, 0, 1, s[30:31]
	v_mov_b32_e32 v3, s0
	global_store_dwordx2 v[0:1], v[2:3], off
	s_mov_b64 s[36:37], -1
	s_mov_b64 s[0:1], 0
.LBB118_699:
	s_mov_b64 s[38:39], 0
.LBB118_700:
	s_and_b64 vcc, exec, s[38:39]
	s_cbranch_vccz .LBB118_716
; %bb.701:
	s_cmp_lt_i32 s43, 27
	s_mov_b64 s[36:37], -1
	s_cbranch_scc1 .LBB118_707
; %bb.702:
	s_cmp_gt_i32 s43, 27
	s_cbranch_scc0 .LBB118_704
; %bb.703:
	v_cndmask_b32_e64 v2, 0, 1, s[30:31]
	s_mov_b64 s[36:37], 0
	global_store_dword v[0:1], v2, off
.LBB118_704:
	s_andn2_b64 vcc, exec, s[36:37]
	s_cbranch_vccnz .LBB118_706
; %bb.705:
	v_cndmask_b32_e64 v2, 0, 1, s[30:31]
	global_store_short v[0:1], v2, off
.LBB118_706:
	s_mov_b64 s[36:37], 0
.LBB118_707:
	s_andn2_b64 vcc, exec, s[36:37]
	s_cbranch_vccnz .LBB118_715
; %bb.708:
	v_cndmask_b32_e64 v3, 0, 1.0, s[30:31]
	s_mov_b32 s36, 0x43800000
	v_cmp_gt_u32_e32 vcc, s36, v3
	v_mov_b32_e32 v4, 0x80
	s_and_saveexec_b64 s[36:37], vcc
	s_cbranch_execz .LBB118_714
; %bb.709:
	s_mov_b32 s38, 0x3bffffff
	v_cmp_lt_u32_e32 vcc, s38, v3
	s_mov_b64 s[38:39], 0
                                        ; implicit-def: $vgpr2
	s_and_saveexec_b64 s[40:41], vcc
	s_xor_b64 s[40:41], exec, s[40:41]
	s_cbranch_execz .LBB118_816
; %bb.710:
	v_bfe_u32 v2, v3, 20, 1
	s_mov_b32 s44, 0x487ffff
	v_add3_u32 v2, v3, v2, s44
	s_mov_b64 s[38:39], exec
	v_lshrrev_b32_e32 v2, 20, v2
                                        ; implicit-def: $vgpr3
	s_andn2_saveexec_b64 s[40:41], s[40:41]
	s_cbranch_execnz .LBB118_817
.LBB118_711:
	s_or_b64 exec, exec, s[40:41]
	v_mov_b32_e32 v4, 0
	s_and_saveexec_b64 s[40:41], s[38:39]
.LBB118_712:
	v_mov_b32_e32 v4, v2
.LBB118_713:
	s_or_b64 exec, exec, s[40:41]
.LBB118_714:
	s_or_b64 exec, exec, s[36:37]
	global_store_byte v[0:1], v4, off
.LBB118_715:
	s_mov_b64 s[36:37], -1
.LBB118_716:
	s_mov_b64 s[38:39], 0
.LBB118_717:
	s_and_b64 vcc, exec, s[38:39]
	s_cbranch_vccz .LBB118_758
; %bb.718:
	s_cmp_gt_i32 s43, 22
	s_mov_b64 s[38:39], -1
	s_cbranch_scc0 .LBB118_750
; %bb.719:
	s_cmp_lt_i32 s43, 24
	s_mov_b64 s[36:37], -1
	s_cbranch_scc1 .LBB118_739
; %bb.720:
	s_cmp_gt_i32 s43, 24
	s_cbranch_scc0 .LBB118_728
; %bb.721:
	v_cndmask_b32_e64 v3, 0, 1.0, s[30:31]
	s_mov_b32 s36, 0x47800000
	v_cmp_gt_u32_e32 vcc, s36, v3
	v_mov_b32_e32 v4, 0x80
	s_and_saveexec_b64 s[36:37], vcc
	s_cbranch_execz .LBB118_727
; %bb.722:
	s_mov_b32 s38, 0x37ffffff
	v_cmp_lt_u32_e32 vcc, s38, v3
	s_mov_b64 s[38:39], 0
                                        ; implicit-def: $vgpr2
	s_and_saveexec_b64 s[40:41], vcc
	s_xor_b64 s[40:41], exec, s[40:41]
	s_cbranch_execz .LBB118_953
; %bb.723:
	v_bfe_u32 v2, v3, 21, 1
	s_mov_b32 s44, 0x88fffff
	v_add3_u32 v2, v3, v2, s44
	s_mov_b64 s[38:39], exec
	v_lshrrev_b32_e32 v2, 21, v2
                                        ; implicit-def: $vgpr3
	s_andn2_saveexec_b64 s[40:41], s[40:41]
	s_cbranch_execnz .LBB118_954
.LBB118_724:
	s_or_b64 exec, exec, s[40:41]
	v_mov_b32_e32 v4, 0
	s_and_saveexec_b64 s[40:41], s[38:39]
.LBB118_725:
	v_mov_b32_e32 v4, v2
.LBB118_726:
	s_or_b64 exec, exec, s[40:41]
.LBB118_727:
	s_or_b64 exec, exec, s[36:37]
	s_mov_b64 s[36:37], 0
	global_store_byte v[0:1], v4, off
.LBB118_728:
	s_and_b64 vcc, exec, s[36:37]
	s_cbranch_vccz .LBB118_738
; %bb.729:
	v_cndmask_b32_e64 v2, 0, 1.0, s[30:31]
	s_mov_b32 s36, 0x43f00000
	v_cmp_gt_u32_e32 vcc, s36, v2
                                        ; implicit-def: $vgpr3
	s_and_saveexec_b64 s[36:37], vcc
	s_xor_b64 s[36:37], exec, s[36:37]
	s_cbranch_execz .LBB118_735
; %bb.730:
	s_mov_b32 s38, 0x3c7fffff
	v_cmp_lt_u32_e32 vcc, s38, v2
                                        ; implicit-def: $vgpr3
	s_and_saveexec_b64 s[38:39], vcc
	s_xor_b64 s[38:39], exec, s[38:39]
; %bb.731:
	v_bfe_u32 v3, v2, 20, 1
	s_mov_b32 s40, 0x407ffff
	v_add3_u32 v2, v2, v3, s40
	v_lshrrev_b32_e32 v3, 20, v2
	v_and_b32_e32 v2, 0xff00000, v2
	s_mov_b32 s40, 0x7f00000
	v_mov_b32_e32 v4, 0x7e
	v_cmp_ne_u32_e32 vcc, s40, v2
	v_cndmask_b32_e32 v3, v4, v3, vcc
                                        ; implicit-def: $vgpr2
; %bb.732:
	s_andn2_saveexec_b64 s[38:39], s[38:39]
; %bb.733:
	v_add_f32_e32 v3, 0x46800000, v2
; %bb.734:
	s_or_b64 exec, exec, s[38:39]
                                        ; implicit-def: $vgpr2
.LBB118_735:
	s_andn2_saveexec_b64 s[36:37], s[36:37]
; %bb.736:
	s_mov_b32 s38, 0x7f800000
	v_mov_b32_e32 v3, 0x7e
	v_mov_b32_e32 v4, 0x7f
	v_cmp_lt_u32_e32 vcc, s38, v2
	v_cndmask_b32_e32 v3, v3, v4, vcc
; %bb.737:
	s_or_b64 exec, exec, s[36:37]
	global_store_byte v[0:1], v3, off
.LBB118_738:
	s_mov_b64 s[36:37], 0
.LBB118_739:
	s_andn2_b64 vcc, exec, s[36:37]
	s_cbranch_vccnz .LBB118_749
; %bb.740:
	v_cndmask_b32_e64 v2, 0, 1.0, s[30:31]
	s_mov_b32 s36, 0x47800000
	v_cmp_gt_u32_e32 vcc, s36, v2
                                        ; implicit-def: $vgpr3
	s_and_saveexec_b64 s[36:37], vcc
	s_xor_b64 s[36:37], exec, s[36:37]
	s_cbranch_execz .LBB118_746
; %bb.741:
	s_mov_b32 s38, 0x387fffff
	v_cmp_lt_u32_e32 vcc, s38, v2
                                        ; implicit-def: $vgpr3
	s_and_saveexec_b64 s[38:39], vcc
	s_xor_b64 s[38:39], exec, s[38:39]
; %bb.742:
	v_bfe_u32 v3, v2, 21, 1
	s_mov_b32 s40, 0x80fffff
	v_add3_u32 v2, v2, v3, s40
	v_lshrrev_b32_e32 v3, 21, v2
                                        ; implicit-def: $vgpr2
; %bb.743:
	s_andn2_saveexec_b64 s[38:39], s[38:39]
; %bb.744:
	v_add_f32_e32 v3, 0x43000000, v2
; %bb.745:
	s_or_b64 exec, exec, s[38:39]
                                        ; implicit-def: $vgpr2
.LBB118_746:
	s_andn2_saveexec_b64 s[36:37], s[36:37]
; %bb.747:
	s_mov_b32 s38, 0x7f800000
	v_mov_b32_e32 v3, 0x7c
	v_mov_b32_e32 v4, 0x7f
	v_cmp_lt_u32_e32 vcc, s38, v2
	v_cndmask_b32_e32 v3, v3, v4, vcc
; %bb.748:
	s_or_b64 exec, exec, s[36:37]
	global_store_byte v[0:1], v3, off
.LBB118_749:
	s_mov_b64 s[38:39], 0
	s_mov_b64 s[36:37], -1
.LBB118_750:
	s_andn2_b64 vcc, exec, s[38:39]
	s_cbranch_vccnz .LBB118_758
; %bb.751:
	s_cmp_gt_i32 s43, 14
	s_mov_b64 s[38:39], -1
	s_cbranch_scc0 .LBB118_755
; %bb.752:
	s_cmp_eq_u32 s43, 15
	s_mov_b64 s[0:1], -1
	s_cbranch_scc0 .LBB118_754
; %bb.753:
	v_cndmask_b32_e64 v2, 0, 1.0, s[30:31]
	v_bfe_u32 v3, v2, 16, 1
	s_movk_i32 s0, 0x7fff
	v_add3_u32 v2, v2, v3, s0
	global_store_short_d16_hi v[0:1], v2, off
	s_mov_b64 s[36:37], -1
	s_mov_b64 s[0:1], 0
.LBB118_754:
	s_mov_b64 s[38:39], 0
.LBB118_755:
	s_and_b64 vcc, exec, s[38:39]
	s_cbranch_vccz .LBB118_758
; %bb.756:
	s_cmp_eq_u32 s43, 11
	s_mov_b64 s[0:1], -1
	s_cbranch_scc0 .LBB118_758
; %bb.757:
	v_cndmask_b32_e64 v2, 0, 1, s[30:31]
	s_mov_b64 s[36:37], -1
	s_mov_b64 s[0:1], 0
	global_store_byte v[0:1], v2, off
.LBB118_758:
	s_mov_b64 s[38:39], 0
.LBB118_759:
	s_and_b64 vcc, exec, s[38:39]
	s_cbranch_vccz .LBB118_798
; %bb.760:
	s_and_b32 s38, 0xffff, s42
	s_cmp_lt_i32 s38, 5
	s_mov_b64 s[36:37], -1
	s_cbranch_scc1 .LBB118_781
; %bb.761:
	s_cmp_lt_i32 s38, 8
	s_cbranch_scc1 .LBB118_771
; %bb.762:
	s_cmp_lt_i32 s38, 9
	s_cbranch_scc1 .LBB118_768
; %bb.763:
	s_cmp_gt_i32 s38, 9
	s_cbranch_scc0 .LBB118_765
; %bb.764:
	v_cndmask_b32_e64 v2, 0, 1, s[30:31]
	v_cvt_f64_u32_e32 v[2:3], v2
	v_mov_b32_e32 v4, 0
	v_mov_b32_e32 v5, v4
	s_mov_b64 s[36:37], 0
	global_store_dwordx4 v[0:1], v[2:5], off
.LBB118_765:
	s_andn2_b64 vcc, exec, s[36:37]
	s_cbranch_vccnz .LBB118_767
; %bb.766:
	v_cndmask_b32_e64 v2, 0, 1.0, s[30:31]
	v_mov_b32_e32 v3, 0
	global_store_dwordx2 v[0:1], v[2:3], off
.LBB118_767:
	s_mov_b64 s[36:37], 0
.LBB118_768:
	s_andn2_b64 vcc, exec, s[36:37]
	s_cbranch_vccnz .LBB118_770
; %bb.769:
	v_cndmask_b32_e64 v2, 0, 1.0, s[30:31]
	v_cvt_f16_f32_e32 v2, v2
	global_store_dword v[0:1], v2, off
.LBB118_770:
	s_mov_b64 s[36:37], 0
.LBB118_771:
	s_andn2_b64 vcc, exec, s[36:37]
	s_cbranch_vccnz .LBB118_780
; %bb.772:
	s_cmp_lt_i32 s38, 6
	s_mov_b64 s[36:37], -1
	s_cbranch_scc1 .LBB118_778
; %bb.773:
	s_cmp_gt_i32 s38, 6
	s_cbranch_scc0 .LBB118_775
; %bb.774:
	v_cndmask_b32_e64 v2, 0, 1, s[30:31]
	v_cvt_f64_u32_e32 v[2:3], v2
	s_mov_b64 s[36:37], 0
	global_store_dwordx2 v[0:1], v[2:3], off
.LBB118_775:
	s_andn2_b64 vcc, exec, s[36:37]
	s_cbranch_vccnz .LBB118_777
; %bb.776:
	v_cndmask_b32_e64 v2, 0, 1.0, s[30:31]
	global_store_dword v[0:1], v2, off
.LBB118_777:
	s_mov_b64 s[36:37], 0
.LBB118_778:
	s_andn2_b64 vcc, exec, s[36:37]
	s_cbranch_vccnz .LBB118_780
; %bb.779:
	v_cndmask_b32_e64 v2, 0, 1.0, s[30:31]
	v_cvt_f16_f32_e32 v2, v2
	global_store_short v[0:1], v2, off
.LBB118_780:
	s_mov_b64 s[36:37], 0
.LBB118_781:
	s_andn2_b64 vcc, exec, s[36:37]
	s_cbranch_vccnz .LBB118_797
; %bb.782:
	s_cmp_lt_i32 s38, 2
	s_mov_b64 s[36:37], -1
	s_cbranch_scc1 .LBB118_792
; %bb.783:
	s_cmp_lt_i32 s38, 3
	s_cbranch_scc1 .LBB118_789
; %bb.784:
	s_cmp_gt_i32 s38, 3
	s_cbranch_scc0 .LBB118_786
; %bb.785:
	s_mov_b32 s36, 0
	v_cndmask_b32_e64 v2, 0, 1, s[30:31]
	v_mov_b32_e32 v3, s36
	s_mov_b64 s[36:37], 0
	global_store_dwordx2 v[0:1], v[2:3], off
.LBB118_786:
	s_andn2_b64 vcc, exec, s[36:37]
	s_cbranch_vccnz .LBB118_788
; %bb.787:
	v_cndmask_b32_e64 v2, 0, 1, s[30:31]
	global_store_dword v[0:1], v2, off
.LBB118_788:
	s_mov_b64 s[36:37], 0
.LBB118_789:
	s_andn2_b64 vcc, exec, s[36:37]
	s_cbranch_vccnz .LBB118_791
; %bb.790:
	v_cndmask_b32_e64 v2, 0, 1, s[30:31]
	global_store_short v[0:1], v2, off
.LBB118_791:
	s_mov_b64 s[36:37], 0
.LBB118_792:
	s_andn2_b64 vcc, exec, s[36:37]
	s_cbranch_vccnz .LBB118_797
; %bb.793:
	s_mov_b64 s[36:37], -1
	s_cmp_gt_i32 s38, 0
	v_cndmask_b32_e64 v2, 0, 1, s[30:31]
	s_cbranch_scc0 .LBB118_795
; %bb.794:
	s_mov_b64 s[36:37], 0
	global_store_byte v[0:1], v2, off
.LBB118_795:
	s_andn2_b64 vcc, exec, s[36:37]
	s_cbranch_vccnz .LBB118_797
; %bb.796:
	global_store_byte v[0:1], v2, off
.LBB118_797:
	s_mov_b64 s[36:37], -1
.LBB118_798:
	s_andn2_b64 vcc, exec, s[36:37]
	s_cbranch_vccnz .LBB118_811
; %bb.799:
	v_add_u32_e32 v10, 0x80, v10
	s_mov_b64 s[36:37], -1
.LBB118_800:
	s_andn2_b64 s[30:31], s[18:19], exec
	s_and_b64 s[0:1], s[0:1], exec
	s_or_b64 s[30:31], s[30:31], s[0:1]
	s_andn2_b64 s[0:1], s[20:21], exec
	s_and_b64 s[28:29], s[28:29], exec
	s_or_b64 s[28:29], s[0:1], s[28:29]
	;; [unrolled: 3-line block ×3, first 2 shown]
	s_orn2_b64 s[0:1], s[36:37], exec
.LBB118_801:
	s_or_b64 exec, exec, s[34:35]
	s_mov_b64 s[36:37], 0
	s_mov_b64 s[38:39], 0
	s_mov_b64 s[40:41], 0
                                        ; implicit-def: $sgpr58
                                        ; implicit-def: $vgpr4_vgpr5
                                        ; implicit-def: $vgpr2_vgpr3
	s_and_saveexec_b64 s[34:35], s[0:1]
	s_cbranch_execz .LBB118_1293
; %bb.802:
	v_cmp_gt_i32_e32 vcc, s50, v10
	s_mov_b64 s[48:49], -1
	s_mov_b64 s[0:1], s[26:27]
	s_mov_b64 s[40:41], s[28:29]
	;; [unrolled: 1-line block ×3, first 2 shown]
	s_and_saveexec_b64 s[36:37], vcc
	s_cbranch_execz .LBB118_1205
; %bb.803:
	s_waitcnt vmcnt(0)
	v_mul_lo_u32 v0, v10, s13
	v_mov_b32_e32 v1, s11
	s_and_b32 s44, s57, 0xff
	s_cmp_lt_i32 s44, 11
	v_ashrrev_i32_e32 v2, 31, v0
	v_add_co_u32_e32 v4, vcc, s10, v0
	v_addc_co_u32_e32 v5, vcc, v1, v2, vcc
	s_cbranch_scc1 .LBB118_810
; %bb.804:
	s_and_b32 s45, 0xffff, s44
	s_cmp_gt_i32 s45, 25
	s_cbranch_scc0 .LBB118_812
; %bb.805:
	s_cmp_gt_i32 s45, 28
	s_cbranch_scc0 .LBB118_813
; %bb.806:
	;; [unrolled: 3-line block ×4, first 2 shown]
	s_cmp_eq_u32 s45, 46
	s_mov_b64 s[40:41], 0
	s_cbranch_scc0 .LBB118_818
; %bb.809:
	global_load_dword v0, v[4:5], off
	s_mov_b64 s[0:1], -1
	s_waitcnt vmcnt(0)
	v_and_b32_e32 v2, 0xffff0000, v0
	v_lshlrev_b32_e32 v0, 16, v0
	v_cvt_f64_f32_e32 v[0:1], v0
	v_cvt_f64_f32_e32 v[2:3], v2
	s_branch .LBB118_819
.LBB118_810:
	s_mov_b64 s[40:41], -1
	s_mov_b64 s[0:1], 0
                                        ; implicit-def: $vgpr2_vgpr3
	s_mov_b64 s[38:39], s[26:27]
	s_branch .LBB118_887
.LBB118_811:
	s_mov_b64 s[36:37], 0
	s_branch .LBB118_548
.LBB118_812:
	s_mov_b64 s[40:41], -1
	s_mov_b64 s[0:1], 0
	s_mov_b64 s[38:39], s[26:27]
                                        ; implicit-def: $vgpr2_vgpr3
	s_branch .LBB118_852
.LBB118_813:
	s_mov_b64 s[40:41], -1
	s_mov_b64 s[0:1], 0
	s_mov_b64 s[38:39], s[26:27]
                                        ; implicit-def: $vgpr2_vgpr3
	s_branch .LBB118_831
.LBB118_814:
	s_mov_b64 s[40:41], -1
	s_mov_b64 s[0:1], 0
	s_mov_b64 s[38:39], s[26:27]
                                        ; implicit-def: $vgpr2_vgpr3
	s_branch .LBB118_825
.LBB118_815:
	s_mov_b64 s[40:41], -1
	s_mov_b64 s[0:1], 0
	s_mov_b64 s[38:39], s[26:27]
                                        ; implicit-def: $vgpr2_vgpr3
	s_branch .LBB118_819
.LBB118_816:
	s_andn2_saveexec_b64 s[40:41], s[40:41]
	s_cbranch_execz .LBB118_711
.LBB118_817:
	v_add_f32_e32 v2, 0x46000000, v3
	v_and_b32_e32 v2, 0xff, v2
	v_cmp_ne_u32_e32 vcc, 0, v2
	s_andn2_b64 s[38:39], s[38:39], exec
	s_and_b64 s[44:45], vcc, exec
	s_or_b64 s[38:39], s[38:39], s[44:45]
	s_or_b64 exec, exec, s[40:41]
	v_mov_b32_e32 v4, 0
	s_and_saveexec_b64 s[40:41], s[38:39]
	s_cbranch_execnz .LBB118_712
	s_branch .LBB118_713
.LBB118_818:
	s_mov_b64 s[38:39], -1
                                        ; implicit-def: $vgpr2_vgpr3
	s_mov_b64 s[0:1], 0
.LBB118_819:
	s_and_b64 vcc, exec, s[40:41]
	s_cbranch_vccz .LBB118_824
; %bb.820:
	s_cmp_eq_u32 s45, 44
	s_cbranch_scc0 .LBB118_822
; %bb.821:
	global_load_ubyte v2, v[4:5], off
	s_movk_i32 s38, 0xff
	v_bfrev_b32_e32 v3, 4
	v_mov_b32_e32 v6, 0x7ff80000
	v_bfrev_b32_e32 v7, 28
	s_mov_b64 s[0:1], -1
	s_waitcnt vmcnt(0)
	v_lshlrev_b32_e32 v0, 23, v2
	v_cvt_f64_f32_e32 v[0:1], v0
	v_cmp_ne_u32_e32 vcc, s38, v2
	s_mov_b64 s[38:39], 0
	v_cndmask_b32_e32 v0, v3, v0, vcc
	v_cndmask_b32_e32 v1, v6, v1, vcc
	v_cmp_ne_u32_e32 vcc, 0, v2
	v_cndmask_b32_e32 v1, v7, v1, vcc
	v_cndmask_b32_e32 v0, 0, v0, vcc
	s_branch .LBB118_823
.LBB118_822:
	s_mov_b64 s[38:39], -1
                                        ; implicit-def: $vgpr0_vgpr1
.LBB118_823:
	v_mov_b32_e32 v2, 0
	v_mov_b32_e32 v3, 0
.LBB118_824:
	s_mov_b64 s[40:41], 0
.LBB118_825:
	s_and_b64 vcc, exec, s[40:41]
	s_cbranch_vccz .LBB118_830
; %bb.826:
	s_cmp_eq_u32 s45, 29
	s_cbranch_scc0 .LBB118_828
; %bb.827:
	global_load_dwordx2 v[0:1], v[4:5], off
	s_mov_b64 s[0:1], -1
	s_mov_b64 s[38:39], 0
	s_waitcnt vmcnt(0)
	v_cvt_f64_u32_e32 v[1:2], v1
	v_cvt_f64_u32_e32 v[6:7], v0
	v_ldexp_f64 v[1:2], v[1:2], 32
	v_add_f64 v[0:1], v[1:2], v[6:7]
	s_branch .LBB118_829
.LBB118_828:
	s_mov_b64 s[38:39], -1
                                        ; implicit-def: $vgpr0_vgpr1
.LBB118_829:
	v_mov_b32_e32 v2, 0
	v_mov_b32_e32 v3, 0
.LBB118_830:
	s_mov_b64 s[40:41], 0
.LBB118_831:
	s_and_b64 vcc, exec, s[40:41]
	s_cbranch_vccz .LBB118_851
; %bb.832:
	s_cmp_lt_i32 s45, 27
	s_cbranch_scc1 .LBB118_835
; %bb.833:
	s_cmp_gt_i32 s45, 27
	s_cbranch_scc0 .LBB118_836
; %bb.834:
	global_load_dword v0, v[4:5], off
	s_mov_b64 s[0:1], 0
	s_waitcnt vmcnt(0)
	v_cvt_f64_u32_e32 v[0:1], v0
	s_branch .LBB118_837
.LBB118_835:
	s_mov_b64 s[0:1], -1
                                        ; implicit-def: $vgpr0_vgpr1
	s_branch .LBB118_840
.LBB118_836:
	s_mov_b64 s[0:1], -1
                                        ; implicit-def: $vgpr0_vgpr1
.LBB118_837:
	s_andn2_b64 vcc, exec, s[0:1]
	s_cbranch_vccnz .LBB118_839
; %bb.838:
	global_load_ushort v0, v[4:5], off
	s_waitcnt vmcnt(0)
	v_cvt_f64_u32_e32 v[0:1], v0
.LBB118_839:
	s_mov_b64 s[0:1], 0
.LBB118_840:
	s_andn2_b64 vcc, exec, s[0:1]
	s_cbranch_vccnz .LBB118_850
; %bb.841:
	global_load_ubyte v2, v[4:5], off
	s_movk_i32 s0, 0x7f
	s_waitcnt vmcnt(0)
	v_cmp_lt_i16_e32 vcc, s0, v2
	s_mov_b64 s[0:1], 0
	s_and_saveexec_b64 s[40:41], vcc
	s_xor_b64 s[40:41], exec, s[40:41]
	s_cbranch_execz .LBB118_845
; %bb.842:
	s_movk_i32 s0, 0x80
	v_cmp_eq_u16_e32 vcc, s0, v2
	s_mov_b64 s[0:1], -1
	s_and_saveexec_b64 s[42:43], vcc
; %bb.843:
	s_xor_b64 s[0:1], exec, -1
; %bb.844:
	s_or_b64 exec, exec, s[42:43]
	s_and_b64 s[0:1], s[0:1], exec
.LBB118_845:
	s_or_saveexec_b64 s[40:41], s[40:41]
	v_bfrev_b32_e32 v0, 4
	v_mov_b32_e32 v1, 0x7ff80000
	s_xor_b64 exec, exec, s[40:41]
; %bb.846:
	v_cmp_ne_u16_e32 vcc, 0, v2
	v_mov_b32_e32 v0, 0
	s_andn2_b64 s[0:1], s[0:1], exec
	s_and_b64 s[42:43], vcc, exec
	v_mov_b32_e32 v1, 0
	s_or_b64 s[0:1], s[0:1], s[42:43]
; %bb.847:
	s_or_b64 exec, exec, s[40:41]
	s_and_saveexec_b64 s[40:41], s[0:1]
	s_cbranch_execz .LBB118_849
; %bb.848:
	v_and_b32_e32 v1, 0xffff, v2
	v_lshlrev_b32_e32 v0, 24, v2
	v_and_b32_e32 v2, 7, v1
	v_ffbh_u32_e32 v6, v2
	v_min_u32_e32 v6, 32, v6
	v_subrev_u32_e32 v7, 28, v6
	v_bfe_u32 v3, v1, 3, 4
	v_lshlrev_b32_e32 v1, v7, v1
	v_sub_u32_e32 v6, 29, v6
	v_and_b32_e32 v1, 7, v1
	v_cmp_eq_u32_e32 vcc, 0, v3
	v_cndmask_b32_e32 v3, v3, v6, vcc
	v_cndmask_b32_e32 v1, v2, v1, vcc
	v_mov_b32_e32 v2, 0x3b800000
	v_lshlrev_b32_e32 v1, 20, v1
	v_and_b32_e32 v0, 0x80000000, v0
	v_lshl_add_u32 v2, v3, 23, v2
	v_or3_b32 v0, v0, v2, v1
	v_cvt_f64_f32_e32 v[0:1], v0
.LBB118_849:
	s_or_b64 exec, exec, s[40:41]
.LBB118_850:
	v_mov_b32_e32 v2, 0
	v_mov_b32_e32 v3, 0
	s_mov_b64 s[0:1], -1
.LBB118_851:
	s_mov_b64 s[40:41], 0
.LBB118_852:
	s_and_b64 vcc, exec, s[40:41]
	s_cbranch_vccz .LBB118_886
; %bb.853:
	s_cmp_gt_i32 s45, 22
	s_cbranch_scc0 .LBB118_865
; %bb.854:
	s_cmp_lt_i32 s45, 24
	s_cbranch_scc1 .LBB118_866
; %bb.855:
	s_cmp_gt_i32 s45, 24
	s_cbranch_scc0 .LBB118_867
; %bb.856:
	global_load_ubyte v2, v[4:5], off
	s_movk_i32 s0, 0x7f
	s_waitcnt vmcnt(0)
	v_cmp_lt_i16_e32 vcc, s0, v2
	s_mov_b64 s[0:1], 0
	s_and_saveexec_b64 s[40:41], vcc
	s_xor_b64 s[40:41], exec, s[40:41]
	s_cbranch_execz .LBB118_860
; %bb.857:
	s_movk_i32 s0, 0x80
	v_cmp_eq_u16_e32 vcc, s0, v2
	s_mov_b64 s[0:1], -1
	s_and_saveexec_b64 s[42:43], vcc
; %bb.858:
	s_xor_b64 s[0:1], exec, -1
; %bb.859:
	s_or_b64 exec, exec, s[42:43]
	s_and_b64 s[0:1], s[0:1], exec
.LBB118_860:
	s_or_saveexec_b64 s[40:41], s[40:41]
	v_bfrev_b32_e32 v0, 4
	v_mov_b32_e32 v1, 0x7ff80000
	s_xor_b64 exec, exec, s[40:41]
; %bb.861:
	v_cmp_ne_u16_e32 vcc, 0, v2
	v_mov_b32_e32 v0, 0
	s_andn2_b64 s[0:1], s[0:1], exec
	s_and_b64 s[42:43], vcc, exec
	v_mov_b32_e32 v1, 0
	s_or_b64 s[0:1], s[0:1], s[42:43]
; %bb.862:
	s_or_b64 exec, exec, s[40:41]
	s_and_saveexec_b64 s[40:41], s[0:1]
	s_cbranch_execz .LBB118_864
; %bb.863:
	v_and_b32_e32 v1, 0xffff, v2
	v_lshlrev_b32_e32 v0, 24, v2
	v_and_b32_e32 v2, 3, v1
	v_ffbh_u32_e32 v6, v2
	v_min_u32_e32 v6, 32, v6
	v_subrev_u32_e32 v7, 29, v6
	v_bfe_u32 v3, v1, 2, 5
	v_lshlrev_b32_e32 v1, v7, v1
	v_sub_u32_e32 v6, 30, v6
	v_and_b32_e32 v1, 3, v1
	v_cmp_eq_u32_e32 vcc, 0, v3
	v_cndmask_b32_e32 v3, v3, v6, vcc
	v_cndmask_b32_e32 v1, v2, v1, vcc
	v_mov_b32_e32 v2, 0x37800000
	v_lshlrev_b32_e32 v1, 21, v1
	v_and_b32_e32 v0, 0x80000000, v0
	v_lshl_add_u32 v2, v3, 23, v2
	v_or3_b32 v0, v0, v2, v1
	v_cvt_f64_f32_e32 v[0:1], v0
.LBB118_864:
	s_or_b64 exec, exec, s[40:41]
	s_mov_b64 s[0:1], 0
	s_branch .LBB118_868
.LBB118_865:
	s_mov_b64 s[40:41], -1
                                        ; implicit-def: $vgpr0_vgpr1
	s_branch .LBB118_874
.LBB118_866:
	s_mov_b64 s[0:1], -1
                                        ; implicit-def: $vgpr0_vgpr1
	s_branch .LBB118_871
.LBB118_867:
	s_mov_b64 s[0:1], -1
                                        ; implicit-def: $vgpr0_vgpr1
.LBB118_868:
	s_and_b64 vcc, exec, s[0:1]
	s_cbranch_vccz .LBB118_870
; %bb.869:
	global_load_ubyte v0, v[4:5], off
	s_mov_b32 s0, 0x7f800000
	s_waitcnt vmcnt(0)
	v_lshlrev_b32_e32 v0, 24, v0
	v_and_b32_e32 v1, 0x7f000000, v0
	v_ffbh_u32_e32 v2, v1
	v_min_u32_e32 v2, 32, v2
	v_sub_u32_e64 v2, v2, 4 clamp
	v_lshlrev_b32_e32 v6, v2, v1
	v_lshlrev_b32_e32 v2, 23, v2
	v_lshrrev_b32_e32 v6, 4, v6
	v_add_u32_e32 v3, 0x1000000, v1
	v_sub_u32_e32 v2, v6, v2
	v_ashrrev_i32_e32 v3, 8, v3
	v_add_u32_e32 v2, 0x3c000000, v2
	v_and_or_b32 v2, v3, s0, v2
	v_cmp_ne_u32_e32 vcc, 0, v1
	v_cndmask_b32_e32 v1, 0, v2, vcc
	s_brev_b32 s0, 1
	v_and_or_b32 v0, v0, s0, v1
	v_cvt_f64_f32_e32 v[0:1], v0
.LBB118_870:
	s_mov_b64 s[0:1], 0
.LBB118_871:
	s_andn2_b64 vcc, exec, s[0:1]
	s_cbranch_vccnz .LBB118_873
; %bb.872:
	global_load_ubyte v0, v[4:5], off
	s_movk_i32 s0, 0x7f00
	s_brev_b32 s1, 16
	s_waitcnt vmcnt(0)
	v_lshlrev_b16_e32 v1, 8, v0
	v_lshlrev_b32_e32 v0, 25, v0
	v_lshrrev_b32_e32 v2, 4, v0
	v_and_or_b32 v3, v1, s0, 0.5
	v_or_b32_e32 v2, 0x70000000, v2
	v_add_f32_e32 v3, -0.5, v3
	v_mul_f32_e32 v2, 0x7800000, v2
	v_cmp_gt_u32_e32 vcc, s1, v0
	v_bfe_i32 v1, v1, 0, 16
	v_cndmask_b32_e32 v0, v2, v3, vcc
	s_brev_b32 s0, 1
	v_and_or_b32 v0, v1, s0, v0
	v_cvt_f64_f32_e32 v[0:1], v0
.LBB118_873:
	s_mov_b64 s[40:41], 0
	s_mov_b64 s[0:1], -1
.LBB118_874:
	s_andn2_b64 vcc, exec, s[40:41]
	s_cbranch_vccnz .LBB118_885
; %bb.875:
	s_cmp_gt_i32 s45, 14
	s_cbranch_scc0 .LBB118_878
; %bb.876:
	s_cmp_eq_u32 s45, 15
	s_cbranch_scc0 .LBB118_879
; %bb.877:
	global_load_ushort v0, v[4:5], off
	s_mov_b64 s[0:1], -1
	s_mov_b64 s[38:39], 0
	s_waitcnt vmcnt(0)
	v_lshlrev_b32_e32 v0, 16, v0
	v_cvt_f64_f32_e32 v[0:1], v0
	s_branch .LBB118_880
.LBB118_878:
	s_mov_b64 s[40:41], -1
                                        ; implicit-def: $vgpr0_vgpr1
	s_branch .LBB118_881
.LBB118_879:
	s_mov_b64 s[38:39], -1
                                        ; implicit-def: $vgpr0_vgpr1
.LBB118_880:
	s_mov_b64 s[40:41], 0
.LBB118_881:
	s_and_b64 vcc, exec, s[40:41]
	s_cbranch_vccz .LBB118_885
; %bb.882:
	s_cmp_eq_u32 s45, 11
	s_cbranch_scc0 .LBB118_884
; %bb.883:
	global_load_ubyte v1, v[4:5], off
	v_mov_b32_e32 v2, 0x3ff00000
	v_mov_b32_e32 v0, 0
	s_mov_b64 s[0:1], -1
	s_mov_b64 s[38:39], 0
	s_waitcnt vmcnt(0)
	v_cmp_ne_u16_e32 vcc, 0, v1
	v_cndmask_b32_e32 v1, 0, v2, vcc
	s_branch .LBB118_885
.LBB118_884:
	s_mov_b64 s[38:39], -1
                                        ; implicit-def: $vgpr0_vgpr1
.LBB118_885:
	v_mov_b32_e32 v2, 0
	v_mov_b32_e32 v3, 0
.LBB118_886:
	s_mov_b64 s[40:41], 0
.LBB118_887:
	s_and_b64 vcc, exec, s[40:41]
	s_cbranch_vccz .LBB118_938
; %bb.888:
	s_and_b32 s40, 0xffff, s44
	s_cmp_lt_i32 s40, 5
	s_cbranch_scc1 .LBB118_893
; %bb.889:
	s_cmp_lt_i32 s40, 8
	s_cbranch_scc1 .LBB118_894
; %bb.890:
	;; [unrolled: 3-line block ×3, first 2 shown]
	s_cmp_gt_i32 s40, 9
	s_cbranch_scc0 .LBB118_896
; %bb.892:
	global_load_dwordx4 v[0:3], v[4:5], off
	s_mov_b64 s[0:1], 0
	s_branch .LBB118_897
.LBB118_893:
	s_mov_b64 s[0:1], -1
                                        ; implicit-def: $vgpr2_vgpr3
	s_branch .LBB118_916
.LBB118_894:
	s_mov_b64 s[0:1], -1
                                        ; implicit-def: $vgpr2_vgpr3
	s_branch .LBB118_903
.LBB118_895:
	s_mov_b64 s[0:1], -1
                                        ; implicit-def: $vgpr2_vgpr3
	s_branch .LBB118_900
.LBB118_896:
	s_mov_b64 s[0:1], -1
                                        ; implicit-def: $vgpr2_vgpr3
.LBB118_897:
	s_andn2_b64 vcc, exec, s[0:1]
	s_cbranch_vccnz .LBB118_899
; %bb.898:
	global_load_dwordx2 v[1:2], v[4:5], off
	s_waitcnt vmcnt(0)
	v_cvt_f64_f32_e32 v[0:1], v1
	v_cvt_f64_f32_e32 v[2:3], v2
.LBB118_899:
	s_mov_b64 s[0:1], 0
.LBB118_900:
	s_andn2_b64 vcc, exec, s[0:1]
	s_cbranch_vccnz .LBB118_902
; %bb.901:
	global_load_dword v0, v[4:5], off
	s_waitcnt vmcnt(0)
	v_cvt_f32_f16_e32 v1, v0
	v_cvt_f32_f16_sdwa v2, v0 dst_sel:DWORD dst_unused:UNUSED_PAD src0_sel:WORD_1
	v_cvt_f64_f32_e32 v[0:1], v1
	v_cvt_f64_f32_e32 v[2:3], v2
.LBB118_902:
	s_mov_b64 s[0:1], 0
.LBB118_903:
	s_andn2_b64 vcc, exec, s[0:1]
	s_cbranch_vccnz .LBB118_915
; %bb.904:
	s_cmp_lt_i32 s40, 6
	s_cbranch_scc1 .LBB118_907
; %bb.905:
	s_cmp_gt_i32 s40, 6
	s_cbranch_scc0 .LBB118_908
; %bb.906:
	global_load_dwordx2 v[0:1], v[4:5], off
	s_mov_b64 s[0:1], 0
	s_branch .LBB118_909
.LBB118_907:
	s_mov_b64 s[0:1], -1
                                        ; implicit-def: $vgpr0_vgpr1
	s_branch .LBB118_912
.LBB118_908:
	s_mov_b64 s[0:1], -1
                                        ; implicit-def: $vgpr0_vgpr1
.LBB118_909:
	s_andn2_b64 vcc, exec, s[0:1]
	s_cbranch_vccnz .LBB118_911
; %bb.910:
	global_load_dword v0, v[4:5], off
	s_waitcnt vmcnt(0)
	v_cvt_f64_f32_e32 v[0:1], v0
.LBB118_911:
	s_mov_b64 s[0:1], 0
.LBB118_912:
	s_andn2_b64 vcc, exec, s[0:1]
	s_cbranch_vccnz .LBB118_914
; %bb.913:
	global_load_ushort v0, v[4:5], off
	s_waitcnt vmcnt(0)
	v_cvt_f32_f16_e32 v0, v0
	v_cvt_f64_f32_e32 v[0:1], v0
.LBB118_914:
	s_waitcnt vmcnt(0)
	v_mov_b32_e32 v2, 0
	v_mov_b32_e32 v3, 0
.LBB118_915:
	s_mov_b64 s[0:1], 0
.LBB118_916:
	s_andn2_b64 vcc, exec, s[0:1]
	s_cbranch_vccnz .LBB118_937
; %bb.917:
	s_cmp_lt_i32 s40, 2
	s_cbranch_scc1 .LBB118_921
; %bb.918:
	s_cmp_lt_i32 s40, 3
	s_cbranch_scc1 .LBB118_922
; %bb.919:
	s_cmp_gt_i32 s40, 3
	s_cbranch_scc0 .LBB118_923
; %bb.920:
	global_load_dwordx2 v[0:1], v[4:5], off
	s_mov_b64 s[0:1], 0
	s_waitcnt vmcnt(0)
	v_cvt_f64_i32_e32 v[1:2], v1
	v_cvt_f64_u32_e32 v[6:7], v0
	v_ldexp_f64 v[1:2], v[1:2], 32
	v_add_f64 v[0:1], v[1:2], v[6:7]
	s_branch .LBB118_924
.LBB118_921:
	s_mov_b64 s[0:1], -1
                                        ; implicit-def: $vgpr0_vgpr1
	s_branch .LBB118_930
.LBB118_922:
	s_mov_b64 s[0:1], -1
                                        ; implicit-def: $vgpr0_vgpr1
	s_branch .LBB118_927
.LBB118_923:
	s_mov_b64 s[0:1], -1
                                        ; implicit-def: $vgpr0_vgpr1
.LBB118_924:
	s_andn2_b64 vcc, exec, s[0:1]
	s_cbranch_vccnz .LBB118_926
; %bb.925:
	global_load_dword v0, v[4:5], off
	s_waitcnt vmcnt(0)
	v_cvt_f64_i32_e32 v[0:1], v0
.LBB118_926:
	s_mov_b64 s[0:1], 0
.LBB118_927:
	s_andn2_b64 vcc, exec, s[0:1]
	s_cbranch_vccnz .LBB118_929
; %bb.928:
	global_load_sshort v0, v[4:5], off
	s_waitcnt vmcnt(0)
	v_cvt_f64_i32_e32 v[0:1], v0
.LBB118_929:
	s_mov_b64 s[0:1], 0
.LBB118_930:
	s_andn2_b64 vcc, exec, s[0:1]
	s_cbranch_vccnz .LBB118_936
; %bb.931:
	s_cmp_gt_i32 s40, 0
	s_cbranch_scc0 .LBB118_933
; %bb.932:
	global_load_sbyte v0, v[4:5], off
	s_mov_b64 s[0:1], 0
	s_waitcnt vmcnt(0)
	v_cvt_f64_i32_e32 v[0:1], v0
	s_branch .LBB118_934
.LBB118_933:
	s_mov_b64 s[0:1], -1
                                        ; implicit-def: $vgpr0_vgpr1
.LBB118_934:
	s_andn2_b64 vcc, exec, s[0:1]
	s_cbranch_vccnz .LBB118_936
; %bb.935:
	global_load_ubyte v0, v[4:5], off
	s_waitcnt vmcnt(0)
	v_cvt_f64_u32_e32 v[0:1], v0
.LBB118_936:
	s_waitcnt vmcnt(0)
	v_mov_b32_e32 v2, 0
	v_mov_b32_e32 v3, 0
.LBB118_937:
	s_mov_b64 s[0:1], -1
.LBB118_938:
	s_andn2_b64 vcc, exec, s[0:1]
	s_cbranch_vccnz .LBB118_946
; %bb.939:
	v_mul_lo_u32 v4, v10, s14
	v_mov_b32_e32 v5, s3
	s_and_b32 s46, s56, 0xff
	s_cmp_lt_i32 s46, 11
	v_ashrrev_i32_e32 v6, 31, v4
	v_add_co_u32_e32 v8, vcc, s2, v4
	v_addc_co_u32_e32 v9, vcc, v5, v6, vcc
	s_cbranch_scc1 .LBB118_948
; %bb.940:
	s_and_b32 s47, 0xffff, s46
	s_cmp_gt_i32 s47, 25
	s_cbranch_scc0 .LBB118_949
; %bb.941:
	s_cmp_gt_i32 s47, 28
	s_cbranch_scc0 .LBB118_950
; %bb.942:
	;; [unrolled: 3-line block ×4, first 2 shown]
	s_cmp_eq_u32 s47, 46
	s_mov_b64 s[42:43], 0
	s_cbranch_scc0 .LBB118_955
; %bb.945:
	global_load_dword v4, v[8:9], off
	s_mov_b64 s[0:1], -1
	s_mov_b64 s[40:41], 0
	s_waitcnt vmcnt(0)
	v_and_b32_e32 v6, 0xffff0000, v4
	v_lshlrev_b32_e32 v4, 16, v4
	v_cvt_f64_f32_e32 v[4:5], v4
	v_cvt_f64_f32_e32 v[6:7], v6
	s_branch .LBB118_956
.LBB118_946:
	s_mov_b64 s[44:45], 0
	s_mov_b64 s[0:1], s[30:31]
	s_mov_b64 s[40:41], s[28:29]
.LBB118_947:
                                        ; implicit-def: $vgpr10
	s_branch .LBB118_1204
.LBB118_948:
	s_mov_b64 s[42:43], -1
	s_mov_b64 s[0:1], 0
                                        ; implicit-def: $vgpr6_vgpr7
	s_mov_b64 s[40:41], s[28:29]
	s_branch .LBB118_1024
.LBB118_949:
	s_mov_b64 s[42:43], -1
	s_mov_b64 s[0:1], 0
	s_mov_b64 s[40:41], s[28:29]
                                        ; implicit-def: $vgpr6_vgpr7
	s_branch .LBB118_989
.LBB118_950:
	s_mov_b64 s[42:43], -1
	s_mov_b64 s[0:1], 0
	s_mov_b64 s[40:41], s[28:29]
                                        ; implicit-def: $vgpr6_vgpr7
	s_branch .LBB118_968
.LBB118_951:
	s_mov_b64 s[42:43], -1
	s_mov_b64 s[0:1], 0
	s_mov_b64 s[40:41], s[28:29]
                                        ; implicit-def: $vgpr6_vgpr7
	s_branch .LBB118_962
.LBB118_952:
	s_mov_b64 s[42:43], -1
	s_mov_b64 s[0:1], 0
	s_mov_b64 s[40:41], s[28:29]
                                        ; implicit-def: $vgpr6_vgpr7
	s_branch .LBB118_956
.LBB118_953:
	s_andn2_saveexec_b64 s[40:41], s[40:41]
	s_cbranch_execz .LBB118_724
.LBB118_954:
	v_add_f32_e32 v2, 0x42800000, v3
	v_and_b32_e32 v2, 0xff, v2
	v_cmp_ne_u32_e32 vcc, 0, v2
	s_andn2_b64 s[38:39], s[38:39], exec
	s_and_b64 s[44:45], vcc, exec
	s_or_b64 s[38:39], s[38:39], s[44:45]
	s_or_b64 exec, exec, s[40:41]
	v_mov_b32_e32 v4, 0
	s_and_saveexec_b64 s[40:41], s[38:39]
	s_cbranch_execnz .LBB118_725
	s_branch .LBB118_726
.LBB118_955:
	s_mov_b64 s[40:41], -1
                                        ; implicit-def: $vgpr6_vgpr7
	s_mov_b64 s[0:1], 0
.LBB118_956:
	s_and_b64 vcc, exec, s[42:43]
	s_cbranch_vccz .LBB118_961
; %bb.957:
	s_cmp_eq_u32 s47, 44
	s_cbranch_scc0 .LBB118_959
; %bb.958:
	global_load_ubyte v6, v[8:9], off
	s_movk_i32 s40, 0xff
	v_bfrev_b32_e32 v7, 4
	v_mov_b32_e32 v11, 0x7ff80000
	v_bfrev_b32_e32 v12, 28
	s_mov_b64 s[0:1], -1
	s_waitcnt vmcnt(0)
	v_lshlrev_b32_e32 v4, 23, v6
	v_cvt_f64_f32_e32 v[4:5], v4
	v_cmp_ne_u32_e32 vcc, s40, v6
	s_mov_b64 s[40:41], 0
	v_cndmask_b32_e32 v4, v7, v4, vcc
	v_cndmask_b32_e32 v5, v11, v5, vcc
	v_cmp_ne_u32_e32 vcc, 0, v6
	v_cndmask_b32_e32 v5, v12, v5, vcc
	v_cndmask_b32_e32 v4, 0, v4, vcc
	s_branch .LBB118_960
.LBB118_959:
	s_mov_b64 s[40:41], -1
                                        ; implicit-def: $vgpr4_vgpr5
.LBB118_960:
	v_mov_b32_e32 v6, 0
	v_mov_b32_e32 v7, 0
.LBB118_961:
	s_mov_b64 s[42:43], 0
.LBB118_962:
	s_and_b64 vcc, exec, s[42:43]
	s_cbranch_vccz .LBB118_967
; %bb.963:
	s_cmp_eq_u32 s47, 29
	s_cbranch_scc0 .LBB118_965
; %bb.964:
	global_load_dwordx2 v[4:5], v[8:9], off
	s_mov_b64 s[0:1], -1
	s_mov_b64 s[40:41], 0
	s_waitcnt vmcnt(0)
	v_cvt_f64_u32_e32 v[5:6], v5
	v_cvt_f64_u32_e32 v[11:12], v4
	v_ldexp_f64 v[5:6], v[5:6], 32
	v_add_f64 v[4:5], v[5:6], v[11:12]
	s_branch .LBB118_966
.LBB118_965:
	s_mov_b64 s[40:41], -1
                                        ; implicit-def: $vgpr4_vgpr5
.LBB118_966:
	v_mov_b32_e32 v6, 0
	v_mov_b32_e32 v7, 0
.LBB118_967:
	s_mov_b64 s[42:43], 0
.LBB118_968:
	s_and_b64 vcc, exec, s[42:43]
	s_cbranch_vccz .LBB118_988
; %bb.969:
	s_cmp_lt_i32 s47, 27
	s_cbranch_scc1 .LBB118_972
; %bb.970:
	s_cmp_gt_i32 s47, 27
	s_cbranch_scc0 .LBB118_973
; %bb.971:
	global_load_dword v4, v[8:9], off
	s_mov_b64 s[0:1], 0
	s_waitcnt vmcnt(0)
	v_cvt_f64_u32_e32 v[4:5], v4
	s_branch .LBB118_974
.LBB118_972:
	s_mov_b64 s[0:1], -1
                                        ; implicit-def: $vgpr4_vgpr5
	s_branch .LBB118_977
.LBB118_973:
	s_mov_b64 s[0:1], -1
                                        ; implicit-def: $vgpr4_vgpr5
.LBB118_974:
	s_andn2_b64 vcc, exec, s[0:1]
	s_cbranch_vccnz .LBB118_976
; %bb.975:
	global_load_ushort v4, v[8:9], off
	s_waitcnt vmcnt(0)
	v_cvt_f64_u32_e32 v[4:5], v4
.LBB118_976:
	s_mov_b64 s[0:1], 0
.LBB118_977:
	s_andn2_b64 vcc, exec, s[0:1]
	s_cbranch_vccnz .LBB118_987
; %bb.978:
	global_load_ubyte v6, v[8:9], off
	s_movk_i32 s0, 0x7f
	s_waitcnt vmcnt(0)
	v_cmp_lt_i16_e32 vcc, s0, v6
	s_mov_b64 s[0:1], 0
	s_and_saveexec_b64 s[42:43], vcc
	s_xor_b64 s[42:43], exec, s[42:43]
	s_cbranch_execz .LBB118_982
; %bb.979:
	s_movk_i32 s0, 0x80
	v_cmp_eq_u16_e32 vcc, s0, v6
	s_mov_b64 s[0:1], -1
	s_and_saveexec_b64 s[44:45], vcc
; %bb.980:
	s_xor_b64 s[0:1], exec, -1
; %bb.981:
	s_or_b64 exec, exec, s[44:45]
	s_and_b64 s[0:1], s[0:1], exec
.LBB118_982:
	s_or_saveexec_b64 s[42:43], s[42:43]
	v_bfrev_b32_e32 v4, 4
	v_mov_b32_e32 v5, 0x7ff80000
	s_xor_b64 exec, exec, s[42:43]
; %bb.983:
	v_cmp_ne_u16_e32 vcc, 0, v6
	v_mov_b32_e32 v4, 0
	s_andn2_b64 s[0:1], s[0:1], exec
	s_and_b64 s[44:45], vcc, exec
	v_mov_b32_e32 v5, 0
	s_or_b64 s[0:1], s[0:1], s[44:45]
; %bb.984:
	s_or_b64 exec, exec, s[42:43]
	s_and_saveexec_b64 s[42:43], s[0:1]
	s_cbranch_execz .LBB118_986
; %bb.985:
	v_and_b32_e32 v5, 0xffff, v6
	v_lshlrev_b32_e32 v4, 24, v6
	v_and_b32_e32 v6, 7, v5
	v_ffbh_u32_e32 v11, v6
	v_min_u32_e32 v11, 32, v11
	v_subrev_u32_e32 v12, 28, v11
	v_bfe_u32 v7, v5, 3, 4
	v_lshlrev_b32_e32 v5, v12, v5
	v_sub_u32_e32 v11, 29, v11
	v_and_b32_e32 v5, 7, v5
	v_cmp_eq_u32_e32 vcc, 0, v7
	v_cndmask_b32_e32 v7, v7, v11, vcc
	v_cndmask_b32_e32 v5, v6, v5, vcc
	v_mov_b32_e32 v6, 0x3b800000
	v_lshlrev_b32_e32 v5, 20, v5
	v_and_b32_e32 v4, 0x80000000, v4
	v_lshl_add_u32 v6, v7, 23, v6
	v_or3_b32 v4, v4, v6, v5
	v_cvt_f64_f32_e32 v[4:5], v4
.LBB118_986:
	s_or_b64 exec, exec, s[42:43]
.LBB118_987:
	v_mov_b32_e32 v6, 0
	v_mov_b32_e32 v7, 0
	s_mov_b64 s[0:1], -1
.LBB118_988:
	s_mov_b64 s[42:43], 0
.LBB118_989:
	s_and_b64 vcc, exec, s[42:43]
	s_cbranch_vccz .LBB118_1023
; %bb.990:
	s_cmp_gt_i32 s47, 22
	s_cbranch_scc0 .LBB118_1002
; %bb.991:
	s_cmp_lt_i32 s47, 24
	s_cbranch_scc1 .LBB118_1003
; %bb.992:
	s_cmp_gt_i32 s47, 24
	s_cbranch_scc0 .LBB118_1004
; %bb.993:
	global_load_ubyte v6, v[8:9], off
	s_movk_i32 s0, 0x7f
	s_waitcnt vmcnt(0)
	v_cmp_lt_i16_e32 vcc, s0, v6
	s_mov_b64 s[0:1], 0
	s_and_saveexec_b64 s[42:43], vcc
	s_xor_b64 s[42:43], exec, s[42:43]
	s_cbranch_execz .LBB118_997
; %bb.994:
	s_movk_i32 s0, 0x80
	v_cmp_eq_u16_e32 vcc, s0, v6
	s_mov_b64 s[0:1], -1
	s_and_saveexec_b64 s[44:45], vcc
; %bb.995:
	s_xor_b64 s[0:1], exec, -1
; %bb.996:
	s_or_b64 exec, exec, s[44:45]
	s_and_b64 s[0:1], s[0:1], exec
.LBB118_997:
	s_or_saveexec_b64 s[42:43], s[42:43]
	v_bfrev_b32_e32 v4, 4
	v_mov_b32_e32 v5, 0x7ff80000
	s_xor_b64 exec, exec, s[42:43]
; %bb.998:
	v_cmp_ne_u16_e32 vcc, 0, v6
	v_mov_b32_e32 v4, 0
	s_andn2_b64 s[0:1], s[0:1], exec
	s_and_b64 s[44:45], vcc, exec
	v_mov_b32_e32 v5, 0
	s_or_b64 s[0:1], s[0:1], s[44:45]
; %bb.999:
	s_or_b64 exec, exec, s[42:43]
	s_and_saveexec_b64 s[42:43], s[0:1]
	s_cbranch_execz .LBB118_1001
; %bb.1000:
	v_and_b32_e32 v5, 0xffff, v6
	v_lshlrev_b32_e32 v4, 24, v6
	v_and_b32_e32 v6, 3, v5
	v_ffbh_u32_e32 v11, v6
	v_min_u32_e32 v11, 32, v11
	v_subrev_u32_e32 v12, 29, v11
	v_bfe_u32 v7, v5, 2, 5
	v_lshlrev_b32_e32 v5, v12, v5
	v_sub_u32_e32 v11, 30, v11
	v_and_b32_e32 v5, 3, v5
	v_cmp_eq_u32_e32 vcc, 0, v7
	v_cndmask_b32_e32 v7, v7, v11, vcc
	v_cndmask_b32_e32 v5, v6, v5, vcc
	v_mov_b32_e32 v6, 0x37800000
	v_lshlrev_b32_e32 v5, 21, v5
	v_and_b32_e32 v4, 0x80000000, v4
	v_lshl_add_u32 v6, v7, 23, v6
	v_or3_b32 v4, v4, v6, v5
	v_cvt_f64_f32_e32 v[4:5], v4
.LBB118_1001:
	s_or_b64 exec, exec, s[42:43]
	s_mov_b64 s[0:1], 0
	s_branch .LBB118_1005
.LBB118_1002:
	s_mov_b64 s[42:43], -1
                                        ; implicit-def: $vgpr4_vgpr5
	s_branch .LBB118_1011
.LBB118_1003:
	s_mov_b64 s[0:1], -1
                                        ; implicit-def: $vgpr4_vgpr5
	s_branch .LBB118_1008
.LBB118_1004:
	s_mov_b64 s[0:1], -1
                                        ; implicit-def: $vgpr4_vgpr5
.LBB118_1005:
	s_and_b64 vcc, exec, s[0:1]
	s_cbranch_vccz .LBB118_1007
; %bb.1006:
	global_load_ubyte v4, v[8:9], off
	s_mov_b32 s0, 0x7f800000
	s_waitcnt vmcnt(0)
	v_lshlrev_b32_e32 v4, 24, v4
	v_and_b32_e32 v5, 0x7f000000, v4
	v_ffbh_u32_e32 v6, v5
	v_min_u32_e32 v6, 32, v6
	v_sub_u32_e64 v6, v6, 4 clamp
	v_lshlrev_b32_e32 v11, v6, v5
	v_lshlrev_b32_e32 v6, 23, v6
	v_lshrrev_b32_e32 v11, 4, v11
	v_add_u32_e32 v7, 0x1000000, v5
	v_sub_u32_e32 v6, v11, v6
	v_ashrrev_i32_e32 v7, 8, v7
	v_add_u32_e32 v6, 0x3c000000, v6
	v_and_or_b32 v6, v7, s0, v6
	v_cmp_ne_u32_e32 vcc, 0, v5
	v_cndmask_b32_e32 v5, 0, v6, vcc
	s_brev_b32 s0, 1
	v_and_or_b32 v4, v4, s0, v5
	v_cvt_f64_f32_e32 v[4:5], v4
.LBB118_1007:
	s_mov_b64 s[0:1], 0
.LBB118_1008:
	s_andn2_b64 vcc, exec, s[0:1]
	s_cbranch_vccnz .LBB118_1010
; %bb.1009:
	global_load_ubyte v4, v[8:9], off
	s_movk_i32 s0, 0x7f00
	s_brev_b32 s1, 16
	s_waitcnt vmcnt(0)
	v_lshlrev_b16_e32 v5, 8, v4
	v_lshlrev_b32_e32 v4, 25, v4
	v_lshrrev_b32_e32 v6, 4, v4
	v_and_or_b32 v7, v5, s0, 0.5
	v_or_b32_e32 v6, 0x70000000, v6
	v_add_f32_e32 v7, -0.5, v7
	v_mul_f32_e32 v6, 0x7800000, v6
	v_cmp_gt_u32_e32 vcc, s1, v4
	v_bfe_i32 v5, v5, 0, 16
	v_cndmask_b32_e32 v4, v6, v7, vcc
	s_brev_b32 s0, 1
	v_and_or_b32 v4, v5, s0, v4
	v_cvt_f64_f32_e32 v[4:5], v4
.LBB118_1010:
	s_mov_b64 s[42:43], 0
	s_mov_b64 s[0:1], -1
.LBB118_1011:
	s_andn2_b64 vcc, exec, s[42:43]
	s_cbranch_vccnz .LBB118_1022
; %bb.1012:
	s_cmp_gt_i32 s47, 14
	s_cbranch_scc0 .LBB118_1015
; %bb.1013:
	s_cmp_eq_u32 s47, 15
	s_cbranch_scc0 .LBB118_1016
; %bb.1014:
	global_load_ushort v4, v[8:9], off
	s_mov_b64 s[0:1], -1
	s_mov_b64 s[40:41], 0
	s_waitcnt vmcnt(0)
	v_lshlrev_b32_e32 v4, 16, v4
	v_cvt_f64_f32_e32 v[4:5], v4
	s_branch .LBB118_1017
.LBB118_1015:
	s_mov_b64 s[42:43], -1
                                        ; implicit-def: $vgpr4_vgpr5
	s_branch .LBB118_1018
.LBB118_1016:
	s_mov_b64 s[40:41], -1
                                        ; implicit-def: $vgpr4_vgpr5
.LBB118_1017:
	s_mov_b64 s[42:43], 0
.LBB118_1018:
	s_and_b64 vcc, exec, s[42:43]
	s_cbranch_vccz .LBB118_1022
; %bb.1019:
	s_cmp_eq_u32 s47, 11
	s_cbranch_scc0 .LBB118_1021
; %bb.1020:
	global_load_ubyte v5, v[8:9], off
	v_mov_b32_e32 v6, 0x3ff00000
	v_mov_b32_e32 v4, 0
	s_mov_b64 s[0:1], -1
	s_mov_b64 s[40:41], 0
	s_waitcnt vmcnt(0)
	v_cmp_ne_u16_e32 vcc, 0, v5
	v_cndmask_b32_e32 v5, 0, v6, vcc
	s_branch .LBB118_1022
.LBB118_1021:
	s_mov_b64 s[40:41], -1
                                        ; implicit-def: $vgpr4_vgpr5
.LBB118_1022:
	v_mov_b32_e32 v6, 0
	v_mov_b32_e32 v7, 0
.LBB118_1023:
	s_mov_b64 s[42:43], 0
.LBB118_1024:
	s_and_b64 vcc, exec, s[42:43]
	s_cbranch_vccz .LBB118_1075
; %bb.1025:
	s_and_b32 s42, 0xffff, s46
	s_cmp_lt_i32 s42, 5
	s_cbranch_scc1 .LBB118_1030
; %bb.1026:
	s_cmp_lt_i32 s42, 8
	s_cbranch_scc1 .LBB118_1031
; %bb.1027:
	s_cmp_lt_i32 s42, 9
	s_cbranch_scc1 .LBB118_1032
; %bb.1028:
	s_cmp_gt_i32 s42, 9
	s_cbranch_scc0 .LBB118_1033
; %bb.1029:
	global_load_dwordx4 v[4:7], v[8:9], off
	s_mov_b64 s[0:1], 0
	s_branch .LBB118_1034
.LBB118_1030:
	s_mov_b64 s[0:1], -1
                                        ; implicit-def: $vgpr6_vgpr7
	s_branch .LBB118_1053
.LBB118_1031:
	s_mov_b64 s[0:1], -1
                                        ; implicit-def: $vgpr6_vgpr7
	s_branch .LBB118_1040
.LBB118_1032:
	s_mov_b64 s[0:1], -1
                                        ; implicit-def: $vgpr6_vgpr7
	s_branch .LBB118_1037
.LBB118_1033:
	s_mov_b64 s[0:1], -1
                                        ; implicit-def: $vgpr6_vgpr7
.LBB118_1034:
	s_andn2_b64 vcc, exec, s[0:1]
	s_cbranch_vccnz .LBB118_1036
; %bb.1035:
	global_load_dwordx2 v[5:6], v[8:9], off
	s_waitcnt vmcnt(0)
	v_cvt_f64_f32_e32 v[4:5], v5
	v_cvt_f64_f32_e32 v[6:7], v6
.LBB118_1036:
	s_mov_b64 s[0:1], 0
.LBB118_1037:
	s_andn2_b64 vcc, exec, s[0:1]
	s_cbranch_vccnz .LBB118_1039
; %bb.1038:
	global_load_dword v4, v[8:9], off
	s_waitcnt vmcnt(0)
	v_cvt_f32_f16_e32 v5, v4
	v_cvt_f32_f16_sdwa v6, v4 dst_sel:DWORD dst_unused:UNUSED_PAD src0_sel:WORD_1
	v_cvt_f64_f32_e32 v[4:5], v5
	v_cvt_f64_f32_e32 v[6:7], v6
.LBB118_1039:
	s_mov_b64 s[0:1], 0
.LBB118_1040:
	s_andn2_b64 vcc, exec, s[0:1]
	s_cbranch_vccnz .LBB118_1052
; %bb.1041:
	s_cmp_lt_i32 s42, 6
	s_cbranch_scc1 .LBB118_1044
; %bb.1042:
	s_cmp_gt_i32 s42, 6
	s_cbranch_scc0 .LBB118_1045
; %bb.1043:
	global_load_dwordx2 v[4:5], v[8:9], off
	s_mov_b64 s[0:1], 0
	s_branch .LBB118_1046
.LBB118_1044:
	s_mov_b64 s[0:1], -1
                                        ; implicit-def: $vgpr4_vgpr5
	s_branch .LBB118_1049
.LBB118_1045:
	s_mov_b64 s[0:1], -1
                                        ; implicit-def: $vgpr4_vgpr5
.LBB118_1046:
	s_andn2_b64 vcc, exec, s[0:1]
	s_cbranch_vccnz .LBB118_1048
; %bb.1047:
	global_load_dword v4, v[8:9], off
	s_waitcnt vmcnt(0)
	v_cvt_f64_f32_e32 v[4:5], v4
.LBB118_1048:
	s_mov_b64 s[0:1], 0
.LBB118_1049:
	s_andn2_b64 vcc, exec, s[0:1]
	s_cbranch_vccnz .LBB118_1051
; %bb.1050:
	global_load_ushort v4, v[8:9], off
	s_waitcnt vmcnt(0)
	v_cvt_f32_f16_e32 v4, v4
	v_cvt_f64_f32_e32 v[4:5], v4
.LBB118_1051:
	s_waitcnt vmcnt(0)
	v_mov_b32_e32 v6, 0
	v_mov_b32_e32 v7, 0
.LBB118_1052:
	s_mov_b64 s[0:1], 0
.LBB118_1053:
	s_andn2_b64 vcc, exec, s[0:1]
	s_cbranch_vccnz .LBB118_1074
; %bb.1054:
	s_cmp_lt_i32 s42, 2
	s_cbranch_scc1 .LBB118_1058
; %bb.1055:
	s_cmp_lt_i32 s42, 3
	s_cbranch_scc1 .LBB118_1059
; %bb.1056:
	s_cmp_gt_i32 s42, 3
	s_cbranch_scc0 .LBB118_1060
; %bb.1057:
	global_load_dwordx2 v[4:5], v[8:9], off
	s_mov_b64 s[0:1], 0
	s_waitcnt vmcnt(0)
	v_cvt_f64_i32_e32 v[5:6], v5
	v_cvt_f64_u32_e32 v[11:12], v4
	v_ldexp_f64 v[5:6], v[5:6], 32
	v_add_f64 v[4:5], v[5:6], v[11:12]
	s_branch .LBB118_1061
.LBB118_1058:
	s_mov_b64 s[0:1], -1
                                        ; implicit-def: $vgpr4_vgpr5
	s_branch .LBB118_1067
.LBB118_1059:
	s_mov_b64 s[0:1], -1
                                        ; implicit-def: $vgpr4_vgpr5
	s_branch .LBB118_1064
.LBB118_1060:
	s_mov_b64 s[0:1], -1
                                        ; implicit-def: $vgpr4_vgpr5
.LBB118_1061:
	s_andn2_b64 vcc, exec, s[0:1]
	s_cbranch_vccnz .LBB118_1063
; %bb.1062:
	global_load_dword v4, v[8:9], off
	s_waitcnt vmcnt(0)
	v_cvt_f64_i32_e32 v[4:5], v4
.LBB118_1063:
	s_mov_b64 s[0:1], 0
.LBB118_1064:
	s_andn2_b64 vcc, exec, s[0:1]
	s_cbranch_vccnz .LBB118_1066
; %bb.1065:
	global_load_sshort v4, v[8:9], off
	s_waitcnt vmcnt(0)
	v_cvt_f64_i32_e32 v[4:5], v4
.LBB118_1066:
	s_mov_b64 s[0:1], 0
.LBB118_1067:
	s_andn2_b64 vcc, exec, s[0:1]
	s_cbranch_vccnz .LBB118_1073
; %bb.1068:
	s_cmp_gt_i32 s42, 0
	s_cbranch_scc0 .LBB118_1070
; %bb.1069:
	global_load_sbyte v4, v[8:9], off
	s_mov_b64 s[0:1], 0
	s_waitcnt vmcnt(0)
	v_cvt_f64_i32_e32 v[4:5], v4
	s_branch .LBB118_1071
.LBB118_1070:
	s_mov_b64 s[0:1], -1
                                        ; implicit-def: $vgpr4_vgpr5
.LBB118_1071:
	s_andn2_b64 vcc, exec, s[0:1]
	s_cbranch_vccnz .LBB118_1073
; %bb.1072:
	global_load_ubyte v4, v[8:9], off
	s_waitcnt vmcnt(0)
	v_cvt_f64_u32_e32 v[4:5], v4
.LBB118_1073:
	s_waitcnt vmcnt(0)
	v_mov_b32_e32 v6, 0
	v_mov_b32_e32 v7, 0
.LBB118_1074:
	s_mov_b64 s[0:1], -1
.LBB118_1075:
	s_andn2_b64 vcc, exec, s[0:1]
	s_cbranch_vccnz .LBB118_1078
; %bb.1076:
	s_andn2_b64 vcc, exec, s[16:17]
	s_cbranch_vccnz .LBB118_1079
; %bb.1077:
	s_waitcnt vmcnt(0)
	v_cmp_neq_f64_e32 vcc, v[0:1], v[4:5]
	v_cmp_neq_f64_e64 s[0:1], v[2:3], v[6:7]
	s_or_b64 s[42:43], vcc, s[0:1]
	s_mov_b64 s[0:1], 0
	s_branch .LBB118_1080
.LBB118_1078:
	s_mov_b64 s[44:45], 0
                                        ; implicit-def: $vgpr10
	s_mov_b64 s[0:1], s[30:31]
	s_branch .LBB118_1204
.LBB118_1079:
	s_mov_b64 s[0:1], -1
                                        ; implicit-def: $sgpr42_sgpr43
.LBB118_1080:
	s_andn2_b64 vcc, exec, s[0:1]
	s_cbranch_vccnz .LBB118_1082
; %bb.1081:
	s_waitcnt vmcnt(0)
	v_cmp_eq_f64_e32 vcc, v[0:1], v[4:5]
	v_cmp_eq_f64_e64 s[0:1], v[2:3], v[6:7]
	s_andn2_b64 s[42:43], s[42:43], exec
	s_and_b64 s[0:1], vcc, s[0:1]
	s_and_b64 s[0:1], s[0:1], exec
	s_or_b64 s[42:43], s[42:43], s[0:1]
.LBB118_1082:
	s_waitcnt vmcnt(0)
	v_mul_lo_u32 v0, v10, s12
	v_mov_b32_e32 v1, s9
	s_and_b32 s51, s33, 0xff
	s_cmp_lt_i32 s51, 11
	v_ashrrev_i32_e32 v2, 31, v0
	v_add_co_u32_e32 v0, vcc, s8, v0
	v_addc_co_u32_e32 v1, vcc, v1, v2, vcc
	s_cbranch_scc1 .LBB118_1089
; %bb.1083:
	s_and_b32 s52, 0xffff, s51
	s_cmp_gt_i32 s52, 25
	s_cbranch_scc0 .LBB118_1090
; %bb.1084:
	s_cmp_gt_i32 s52, 28
	s_cbranch_scc0 .LBB118_1091
; %bb.1085:
	;; [unrolled: 3-line block ×4, first 2 shown]
	s_mov_b64 s[46:47], 0
	s_mov_b64 s[0:1], -1
	s_cmp_eq_u32 s52, 46
	s_mov_b64 s[44:45], 0
	s_cbranch_scc0 .LBB118_1094
; %bb.1088:
	v_cndmask_b32_e64 v2, 0, 1.0, s[42:43]
	v_bfe_u32 v3, v2, 16, 1
	s_movk_i32 s0, 0x7fff
	v_add3_u32 v2, v2, v3, s0
	v_lshrrev_b32_e32 v2, 16, v2
	global_store_dword v[0:1], v2, off
	s_mov_b64 s[44:45], -1
	s_mov_b64 s[0:1], 0
	s_branch .LBB118_1094
.LBB118_1089:
	s_mov_b64 s[46:47], -1
	s_mov_b64 s[44:45], 0
	s_mov_b64 s[0:1], s[30:31]
	s_branch .LBB118_1163
.LBB118_1090:
	s_mov_b64 s[46:47], -1
	s_mov_b64 s[44:45], 0
	s_mov_b64 s[0:1], s[30:31]
	s_branch .LBB118_1121
.LBB118_1091:
	s_mov_b64 s[46:47], -1
	s_mov_b64 s[44:45], 0
	s_mov_b64 s[0:1], s[30:31]
	s_branch .LBB118_1104
.LBB118_1092:
	s_mov_b64 s[46:47], -1
	s_mov_b64 s[44:45], 0
	s_mov_b64 s[0:1], s[30:31]
	s_branch .LBB118_1100
.LBB118_1093:
	s_mov_b64 s[46:47], -1
	s_mov_b64 s[44:45], 0
	s_mov_b64 s[0:1], s[30:31]
.LBB118_1094:
	s_and_b64 vcc, exec, s[46:47]
	s_cbranch_vccz .LBB118_1099
; %bb.1095:
	s_cmp_eq_u32 s52, 44
	s_mov_b64 s[0:1], -1
	s_cbranch_scc0 .LBB118_1099
; %bb.1096:
	v_cndmask_b32_e64 v3, 0, 1.0, s[42:43]
	v_lshrrev_b32_e32 v2, 23, v3
	s_movk_i32 s0, 0xff
	v_cmp_ne_u32_e32 vcc, s0, v2
	v_mov_b32_e32 v4, 0xff
	s_and_saveexec_b64 s[44:45], vcc
; %bb.1097:
	s_mov_b32 s0, 0x3fffff
	v_and_b32_e32 v4, 0x400000, v3
	v_and_or_b32 v3, v3, s0, v2
	v_cmp_ne_u32_e32 vcc, 0, v4
	v_cmp_ne_u32_e64 s[0:1], 0, v3
	s_and_b64 s[0:1], vcc, s[0:1]
	v_cndmask_b32_e64 v3, 0, 1, s[0:1]
	v_add_u32_e32 v4, v2, v3
; %bb.1098:
	s_or_b64 exec, exec, s[44:45]
	s_mov_b64 s[44:45], -1
	s_mov_b64 s[0:1], 0
	global_store_byte v[0:1], v4, off
.LBB118_1099:
	s_mov_b64 s[46:47], 0
.LBB118_1100:
	s_and_b64 vcc, exec, s[46:47]
	s_cbranch_vccz .LBB118_1103
; %bb.1101:
	s_cmp_eq_u32 s52, 29
	s_mov_b64 s[0:1], -1
	s_cbranch_scc0 .LBB118_1103
; %bb.1102:
	s_mov_b32 s0, 0
	v_cndmask_b32_e64 v2, 0, 1, s[42:43]
	v_mov_b32_e32 v3, s0
	global_store_dwordx2 v[0:1], v[2:3], off
	s_mov_b64 s[44:45], -1
	s_mov_b64 s[0:1], 0
.LBB118_1103:
	s_mov_b64 s[46:47], 0
.LBB118_1104:
	s_and_b64 vcc, exec, s[46:47]
	s_cbranch_vccz .LBB118_1120
; %bb.1105:
	s_cmp_lt_i32 s52, 27
	s_mov_b64 s[44:45], -1
	s_cbranch_scc1 .LBB118_1111
; %bb.1106:
	s_cmp_gt_i32 s52, 27
	s_cbranch_scc0 .LBB118_1108
; %bb.1107:
	v_cndmask_b32_e64 v2, 0, 1, s[42:43]
	s_mov_b64 s[44:45], 0
	global_store_dword v[0:1], v2, off
.LBB118_1108:
	s_andn2_b64 vcc, exec, s[44:45]
	s_cbranch_vccnz .LBB118_1110
; %bb.1109:
	v_cndmask_b32_e64 v2, 0, 1, s[42:43]
	global_store_short v[0:1], v2, off
.LBB118_1110:
	s_mov_b64 s[44:45], 0
.LBB118_1111:
	s_andn2_b64 vcc, exec, s[44:45]
	s_cbranch_vccnz .LBB118_1119
; %bb.1112:
	v_cndmask_b32_e64 v3, 0, 1.0, s[42:43]
	s_mov_b32 s44, 0x43800000
	v_cmp_gt_u32_e32 vcc, s44, v3
	v_mov_b32_e32 v4, 0x80
	s_and_saveexec_b64 s[44:45], vcc
	s_cbranch_execz .LBB118_1118
; %bb.1113:
	s_mov_b32 s46, 0x3bffffff
	v_cmp_lt_u32_e32 vcc, s46, v3
	s_mov_b64 s[46:47], 0
                                        ; implicit-def: $vgpr2
	s_and_saveexec_b64 s[48:49], vcc
	s_xor_b64 s[48:49], exec, s[48:49]
	s_cbranch_execz .LBB118_1220
; %bb.1114:
	v_bfe_u32 v2, v3, 20, 1
	s_mov_b32 s53, 0x487ffff
	v_add3_u32 v2, v3, v2, s53
	s_mov_b64 s[46:47], exec
	v_lshrrev_b32_e32 v2, 20, v2
                                        ; implicit-def: $vgpr3
	s_andn2_saveexec_b64 s[48:49], s[48:49]
	s_cbranch_execnz .LBB118_1221
.LBB118_1115:
	s_or_b64 exec, exec, s[48:49]
	v_mov_b32_e32 v4, 0
	s_and_saveexec_b64 s[48:49], s[46:47]
.LBB118_1116:
	v_mov_b32_e32 v4, v2
.LBB118_1117:
	s_or_b64 exec, exec, s[48:49]
.LBB118_1118:
	s_or_b64 exec, exec, s[44:45]
	global_store_byte v[0:1], v4, off
.LBB118_1119:
	s_mov_b64 s[44:45], -1
.LBB118_1120:
	s_mov_b64 s[46:47], 0
.LBB118_1121:
	s_and_b64 vcc, exec, s[46:47]
	s_cbranch_vccz .LBB118_1162
; %bb.1122:
	s_cmp_gt_i32 s52, 22
	s_mov_b64 s[46:47], -1
	s_cbranch_scc0 .LBB118_1154
; %bb.1123:
	s_cmp_lt_i32 s52, 24
	s_mov_b64 s[44:45], -1
	s_cbranch_scc1 .LBB118_1143
; %bb.1124:
	s_cmp_gt_i32 s52, 24
	s_cbranch_scc0 .LBB118_1132
; %bb.1125:
	v_cndmask_b32_e64 v3, 0, 1.0, s[42:43]
	s_mov_b32 s44, 0x47800000
	v_cmp_gt_u32_e32 vcc, s44, v3
	v_mov_b32_e32 v4, 0x80
	s_and_saveexec_b64 s[44:45], vcc
	s_cbranch_execz .LBB118_1131
; %bb.1126:
	s_mov_b32 s46, 0x37ffffff
	v_cmp_lt_u32_e32 vcc, s46, v3
	s_mov_b64 s[46:47], 0
                                        ; implicit-def: $vgpr2
	s_and_saveexec_b64 s[48:49], vcc
	s_xor_b64 s[48:49], exec, s[48:49]
	s_cbranch_execz .LBB118_2290
; %bb.1127:
	v_bfe_u32 v2, v3, 21, 1
	s_mov_b32 s53, 0x88fffff
	v_add3_u32 v2, v3, v2, s53
	s_mov_b64 s[46:47], exec
	v_lshrrev_b32_e32 v2, 21, v2
                                        ; implicit-def: $vgpr3
	s_andn2_saveexec_b64 s[48:49], s[48:49]
	s_cbranch_execnz .LBB118_2291
.LBB118_1128:
	s_or_b64 exec, exec, s[48:49]
	v_mov_b32_e32 v4, 0
	s_and_saveexec_b64 s[48:49], s[46:47]
.LBB118_1129:
	v_mov_b32_e32 v4, v2
.LBB118_1130:
	s_or_b64 exec, exec, s[48:49]
.LBB118_1131:
	s_or_b64 exec, exec, s[44:45]
	s_mov_b64 s[44:45], 0
	global_store_byte v[0:1], v4, off
.LBB118_1132:
	s_and_b64 vcc, exec, s[44:45]
	s_cbranch_vccz .LBB118_1142
; %bb.1133:
	v_cndmask_b32_e64 v2, 0, 1.0, s[42:43]
	s_mov_b32 s44, 0x43f00000
	v_cmp_gt_u32_e32 vcc, s44, v2
                                        ; implicit-def: $vgpr3
	s_and_saveexec_b64 s[44:45], vcc
	s_xor_b64 s[44:45], exec, s[44:45]
	s_cbranch_execz .LBB118_1139
; %bb.1134:
	s_mov_b32 s46, 0x3c7fffff
	v_cmp_lt_u32_e32 vcc, s46, v2
                                        ; implicit-def: $vgpr3
	s_and_saveexec_b64 s[46:47], vcc
	s_xor_b64 s[46:47], exec, s[46:47]
; %bb.1135:
	v_bfe_u32 v3, v2, 20, 1
	s_mov_b32 s48, 0x407ffff
	v_add3_u32 v2, v2, v3, s48
	v_lshrrev_b32_e32 v3, 20, v2
	v_and_b32_e32 v2, 0xff00000, v2
	s_mov_b32 s48, 0x7f00000
	v_mov_b32_e32 v4, 0x7e
	v_cmp_ne_u32_e32 vcc, s48, v2
	v_cndmask_b32_e32 v3, v4, v3, vcc
                                        ; implicit-def: $vgpr2
; %bb.1136:
	s_andn2_saveexec_b64 s[46:47], s[46:47]
; %bb.1137:
	v_add_f32_e32 v3, 0x46800000, v2
; %bb.1138:
	s_or_b64 exec, exec, s[46:47]
                                        ; implicit-def: $vgpr2
.LBB118_1139:
	s_andn2_saveexec_b64 s[44:45], s[44:45]
; %bb.1140:
	s_mov_b32 s46, 0x7f800000
	v_mov_b32_e32 v3, 0x7e
	v_mov_b32_e32 v4, 0x7f
	v_cmp_lt_u32_e32 vcc, s46, v2
	v_cndmask_b32_e32 v3, v3, v4, vcc
; %bb.1141:
	s_or_b64 exec, exec, s[44:45]
	global_store_byte v[0:1], v3, off
.LBB118_1142:
	s_mov_b64 s[44:45], 0
.LBB118_1143:
	s_andn2_b64 vcc, exec, s[44:45]
	s_cbranch_vccnz .LBB118_1153
; %bb.1144:
	v_cndmask_b32_e64 v2, 0, 1.0, s[42:43]
	s_mov_b32 s44, 0x47800000
	v_cmp_gt_u32_e32 vcc, s44, v2
                                        ; implicit-def: $vgpr3
	s_and_saveexec_b64 s[44:45], vcc
	s_xor_b64 s[44:45], exec, s[44:45]
	s_cbranch_execz .LBB118_1150
; %bb.1145:
	s_mov_b32 s46, 0x387fffff
	v_cmp_lt_u32_e32 vcc, s46, v2
                                        ; implicit-def: $vgpr3
	s_and_saveexec_b64 s[46:47], vcc
	s_xor_b64 s[46:47], exec, s[46:47]
; %bb.1146:
	v_bfe_u32 v3, v2, 21, 1
	s_mov_b32 s48, 0x80fffff
	v_add3_u32 v2, v2, v3, s48
	v_lshrrev_b32_e32 v3, 21, v2
                                        ; implicit-def: $vgpr2
; %bb.1147:
	s_andn2_saveexec_b64 s[46:47], s[46:47]
; %bb.1148:
	v_add_f32_e32 v3, 0x43000000, v2
; %bb.1149:
	s_or_b64 exec, exec, s[46:47]
                                        ; implicit-def: $vgpr2
.LBB118_1150:
	s_andn2_saveexec_b64 s[44:45], s[44:45]
; %bb.1151:
	s_mov_b32 s46, 0x7f800000
	v_mov_b32_e32 v3, 0x7c
	v_mov_b32_e32 v4, 0x7f
	v_cmp_lt_u32_e32 vcc, s46, v2
	v_cndmask_b32_e32 v3, v3, v4, vcc
; %bb.1152:
	s_or_b64 exec, exec, s[44:45]
	global_store_byte v[0:1], v3, off
.LBB118_1153:
	s_mov_b64 s[46:47], 0
	s_mov_b64 s[44:45], -1
.LBB118_1154:
	s_andn2_b64 vcc, exec, s[46:47]
	s_cbranch_vccnz .LBB118_1162
; %bb.1155:
	s_cmp_gt_i32 s52, 14
	s_mov_b64 s[46:47], -1
	s_cbranch_scc0 .LBB118_1159
; %bb.1156:
	s_cmp_eq_u32 s52, 15
	s_mov_b64 s[0:1], -1
	s_cbranch_scc0 .LBB118_1158
; %bb.1157:
	v_cndmask_b32_e64 v2, 0, 1.0, s[42:43]
	v_bfe_u32 v3, v2, 16, 1
	s_movk_i32 s0, 0x7fff
	v_add3_u32 v2, v2, v3, s0
	global_store_short_d16_hi v[0:1], v2, off
	s_mov_b64 s[44:45], -1
	s_mov_b64 s[0:1], 0
.LBB118_1158:
	s_mov_b64 s[46:47], 0
.LBB118_1159:
	s_and_b64 vcc, exec, s[46:47]
	s_cbranch_vccz .LBB118_1162
; %bb.1160:
	s_cmp_eq_u32 s52, 11
	s_mov_b64 s[0:1], -1
	s_cbranch_scc0 .LBB118_1162
; %bb.1161:
	v_cndmask_b32_e64 v2, 0, 1, s[42:43]
	s_mov_b64 s[44:45], -1
	s_mov_b64 s[0:1], 0
	global_store_byte v[0:1], v2, off
.LBB118_1162:
	s_mov_b64 s[46:47], 0
.LBB118_1163:
	s_and_b64 vcc, exec, s[46:47]
	s_cbranch_vccz .LBB118_1202
; %bb.1164:
	s_and_b32 s46, 0xffff, s51
	s_cmp_lt_i32 s46, 5
	s_mov_b64 s[44:45], -1
	s_cbranch_scc1 .LBB118_1185
; %bb.1165:
	s_cmp_lt_i32 s46, 8
	s_cbranch_scc1 .LBB118_1175
; %bb.1166:
	s_cmp_lt_i32 s46, 9
	s_cbranch_scc1 .LBB118_1172
; %bb.1167:
	s_cmp_gt_i32 s46, 9
	s_cbranch_scc0 .LBB118_1169
; %bb.1168:
	v_cndmask_b32_e64 v2, 0, 1, s[42:43]
	v_cvt_f64_u32_e32 v[2:3], v2
	v_mov_b32_e32 v4, 0
	v_mov_b32_e32 v5, v4
	s_mov_b64 s[44:45], 0
	global_store_dwordx4 v[0:1], v[2:5], off
.LBB118_1169:
	s_andn2_b64 vcc, exec, s[44:45]
	s_cbranch_vccnz .LBB118_1171
; %bb.1170:
	v_cndmask_b32_e64 v2, 0, 1.0, s[42:43]
	v_mov_b32_e32 v3, 0
	global_store_dwordx2 v[0:1], v[2:3], off
.LBB118_1171:
	s_mov_b64 s[44:45], 0
.LBB118_1172:
	s_andn2_b64 vcc, exec, s[44:45]
	s_cbranch_vccnz .LBB118_1174
; %bb.1173:
	v_cndmask_b32_e64 v2, 0, 1.0, s[42:43]
	v_cvt_f16_f32_e32 v2, v2
	global_store_dword v[0:1], v2, off
.LBB118_1174:
	s_mov_b64 s[44:45], 0
.LBB118_1175:
	s_andn2_b64 vcc, exec, s[44:45]
	s_cbranch_vccnz .LBB118_1184
; %bb.1176:
	s_cmp_lt_i32 s46, 6
	s_mov_b64 s[44:45], -1
	s_cbranch_scc1 .LBB118_1182
; %bb.1177:
	s_cmp_gt_i32 s46, 6
	s_cbranch_scc0 .LBB118_1179
; %bb.1178:
	v_cndmask_b32_e64 v2, 0, 1, s[42:43]
	v_cvt_f64_u32_e32 v[2:3], v2
	s_mov_b64 s[44:45], 0
	global_store_dwordx2 v[0:1], v[2:3], off
.LBB118_1179:
	s_andn2_b64 vcc, exec, s[44:45]
	s_cbranch_vccnz .LBB118_1181
; %bb.1180:
	v_cndmask_b32_e64 v2, 0, 1.0, s[42:43]
	global_store_dword v[0:1], v2, off
.LBB118_1181:
	s_mov_b64 s[44:45], 0
.LBB118_1182:
	s_andn2_b64 vcc, exec, s[44:45]
	s_cbranch_vccnz .LBB118_1184
; %bb.1183:
	v_cndmask_b32_e64 v2, 0, 1.0, s[42:43]
	v_cvt_f16_f32_e32 v2, v2
	global_store_short v[0:1], v2, off
.LBB118_1184:
	s_mov_b64 s[44:45], 0
.LBB118_1185:
	s_andn2_b64 vcc, exec, s[44:45]
	s_cbranch_vccnz .LBB118_1201
; %bb.1186:
	s_cmp_lt_i32 s46, 2
	s_mov_b64 s[44:45], -1
	s_cbranch_scc1 .LBB118_1196
; %bb.1187:
	s_cmp_lt_i32 s46, 3
	s_cbranch_scc1 .LBB118_1193
; %bb.1188:
	s_cmp_gt_i32 s46, 3
	s_cbranch_scc0 .LBB118_1190
; %bb.1189:
	s_mov_b32 s44, 0
	v_cndmask_b32_e64 v2, 0, 1, s[42:43]
	v_mov_b32_e32 v3, s44
	s_mov_b64 s[44:45], 0
	global_store_dwordx2 v[0:1], v[2:3], off
.LBB118_1190:
	s_andn2_b64 vcc, exec, s[44:45]
	s_cbranch_vccnz .LBB118_1192
; %bb.1191:
	v_cndmask_b32_e64 v2, 0, 1, s[42:43]
	global_store_dword v[0:1], v2, off
.LBB118_1192:
	s_mov_b64 s[44:45], 0
.LBB118_1193:
	s_andn2_b64 vcc, exec, s[44:45]
	s_cbranch_vccnz .LBB118_1195
; %bb.1194:
	v_cndmask_b32_e64 v2, 0, 1, s[42:43]
	global_store_short v[0:1], v2, off
.LBB118_1195:
	s_mov_b64 s[44:45], 0
.LBB118_1196:
	s_andn2_b64 vcc, exec, s[44:45]
	s_cbranch_vccnz .LBB118_1201
; %bb.1197:
	s_mov_b64 s[44:45], -1
	s_cmp_gt_i32 s46, 0
	v_cndmask_b32_e64 v2, 0, 1, s[42:43]
	s_cbranch_scc0 .LBB118_1199
; %bb.1198:
	s_mov_b64 s[44:45], 0
	global_store_byte v[0:1], v2, off
.LBB118_1199:
	s_andn2_b64 vcc, exec, s[44:45]
	s_cbranch_vccnz .LBB118_1201
; %bb.1200:
	global_store_byte v[0:1], v2, off
.LBB118_1201:
	s_mov_b64 s[44:45], -1
.LBB118_1202:
	s_andn2_b64 vcc, exec, s[44:45]
	s_cbranch_vccnz .LBB118_1215
; %bb.1203:
	v_add_u32_e32 v10, 0x80, v10
	s_mov_b64 s[44:45], -1
.LBB118_1204:
	s_andn2_b64 s[42:43], s[30:31], exec
	s_and_b64 s[0:1], s[0:1], exec
	s_or_b64 s[42:43], s[42:43], s[0:1]
	s_andn2_b64 s[0:1], s[28:29], exec
	s_and_b64 s[40:41], s[40:41], exec
	s_or_b64 s[40:41], s[0:1], s[40:41]
	;; [unrolled: 3-line block ×3, first 2 shown]
	s_orn2_b64 s[48:49], s[44:45], exec
.LBB118_1205:
	s_or_b64 exec, exec, s[36:37]
	s_mov_b64 s[44:45], 0
	s_mov_b64 s[38:39], 0
	;; [unrolled: 1-line block ×3, first 2 shown]
                                        ; implicit-def: $sgpr58
                                        ; implicit-def: $vgpr4_vgpr5
                                        ; implicit-def: $vgpr2_vgpr3
	s_and_saveexec_b64 s[36:37], s[48:49]
	s_cbranch_execz .LBB118_1292
; %bb.1206:
	v_cmp_gt_i32_e32 vcc, s50, v10
	s_mov_b64 s[48:49], 0
	s_mov_b64 s[50:51], s[0:1]
	;; [unrolled: 1-line block ×4, first 2 shown]
                                        ; implicit-def: $sgpr58
                                        ; implicit-def: $vgpr4_vgpr5
                                        ; implicit-def: $vgpr2_vgpr3
	s_and_saveexec_b64 s[38:39], vcc
	s_cbranch_execz .LBB118_1291
; %bb.1207:
	s_waitcnt vmcnt(0)
	v_mul_lo_u32 v0, v10, s13
	v_mov_b32_e32 v1, s11
	s_and_b32 s58, s57, 0xff
	s_cmp_lt_i32 s58, 11
	v_ashrrev_i32_e32 v2, 31, v0
	v_add_co_u32_e32 v4, vcc, s10, v0
	v_addc_co_u32_e32 v5, vcc, v1, v2, vcc
	s_cbranch_scc1 .LBB118_1214
; %bb.1208:
	s_and_b32 s54, 0xffff, s58
	s_cmp_gt_i32 s54, 25
	s_cbranch_scc0 .LBB118_1216
; %bb.1209:
	s_cmp_gt_i32 s54, 28
	s_cbranch_scc0 .LBB118_1217
; %bb.1210:
	;; [unrolled: 3-line block ×4, first 2 shown]
	s_cmp_eq_u32 s54, 46
	s_mov_b64 s[50:51], 0
	s_cbranch_scc0 .LBB118_1222
; %bb.1213:
	global_load_dword v0, v[4:5], off
	s_mov_b64 s[48:49], -1
	s_waitcnt vmcnt(0)
	v_and_b32_e32 v2, 0xffff0000, v0
	v_lshlrev_b32_e32 v0, 16, v0
	v_cvt_f64_f32_e32 v[0:1], v0
	v_cvt_f64_f32_e32 v[2:3], v2
	s_branch .LBB118_1224
.LBB118_1214:
	s_mov_b64 s[50:51], -1
                                        ; implicit-def: $vgpr2_vgpr3
	s_mov_b64 s[44:45], s[0:1]
	s_branch .LBB118_1290
.LBB118_1215:
	s_mov_b64 s[44:45], 0
	s_branch .LBB118_947
.LBB118_1216:
	s_mov_b64 s[50:51], -1
	s_mov_b64 s[44:45], s[0:1]
                                        ; implicit-def: $vgpr2_vgpr3
	s_branch .LBB118_1257
.LBB118_1217:
	s_mov_b64 s[50:51], -1
	s_mov_b64 s[44:45], s[0:1]
                                        ; implicit-def: $vgpr2_vgpr3
	s_branch .LBB118_1236
.LBB118_1218:
	s_mov_b64 s[50:51], -1
	s_mov_b64 s[44:45], s[0:1]
                                        ; implicit-def: $vgpr2_vgpr3
	s_branch .LBB118_1230
.LBB118_1219:
	s_mov_b64 s[50:51], -1
	s_mov_b64 s[44:45], s[0:1]
	s_branch .LBB118_1223
.LBB118_1220:
	s_andn2_saveexec_b64 s[48:49], s[48:49]
	s_cbranch_execz .LBB118_1115
.LBB118_1221:
	v_add_f32_e32 v2, 0x46000000, v3
	v_and_b32_e32 v2, 0xff, v2
	v_cmp_ne_u32_e32 vcc, 0, v2
	s_andn2_b64 s[46:47], s[46:47], exec
	s_and_b64 s[54:55], vcc, exec
	s_or_b64 s[46:47], s[46:47], s[54:55]
	s_or_b64 exec, exec, s[48:49]
	v_mov_b32_e32 v4, 0
	s_and_saveexec_b64 s[48:49], s[46:47]
	s_cbranch_execnz .LBB118_1116
	s_branch .LBB118_1117
.LBB118_1222:
	s_mov_b64 s[44:45], -1
.LBB118_1223:
                                        ; implicit-def: $vgpr2_vgpr3
.LBB118_1224:
	s_and_b64 vcc, exec, s[50:51]
	s_cbranch_vccz .LBB118_1229
; %bb.1225:
	s_cmp_eq_u32 s54, 44
	s_cbranch_scc0 .LBB118_1227
; %bb.1226:
	global_load_ubyte v2, v[4:5], off
	s_movk_i32 s48, 0xff
	v_bfrev_b32_e32 v3, 4
	v_mov_b32_e32 v6, 0x7ff80000
	v_bfrev_b32_e32 v7, 28
	s_mov_b64 s[44:45], 0
	s_waitcnt vmcnt(0)
	v_lshlrev_b32_e32 v0, 23, v2
	v_cvt_f64_f32_e32 v[0:1], v0
	v_cmp_ne_u32_e32 vcc, s48, v2
	s_mov_b64 s[48:49], -1
	v_cndmask_b32_e32 v0, v3, v0, vcc
	v_cndmask_b32_e32 v1, v6, v1, vcc
	v_cmp_ne_u32_e32 vcc, 0, v2
	v_cndmask_b32_e32 v1, v7, v1, vcc
	v_cndmask_b32_e32 v0, 0, v0, vcc
	s_branch .LBB118_1228
.LBB118_1227:
	s_mov_b64 s[44:45], -1
                                        ; implicit-def: $vgpr0_vgpr1
.LBB118_1228:
	v_mov_b32_e32 v2, 0
	v_mov_b32_e32 v3, 0
.LBB118_1229:
	s_mov_b64 s[50:51], 0
.LBB118_1230:
	s_and_b64 vcc, exec, s[50:51]
	s_cbranch_vccz .LBB118_1235
; %bb.1231:
	s_cmp_eq_u32 s54, 29
	s_cbranch_scc0 .LBB118_1233
; %bb.1232:
	global_load_dwordx2 v[0:1], v[4:5], off
	s_mov_b64 s[44:45], 0
	s_mov_b64 s[48:49], -1
	s_waitcnt vmcnt(0)
	v_cvt_f64_u32_e32 v[1:2], v1
	v_cvt_f64_u32_e32 v[6:7], v0
	v_ldexp_f64 v[1:2], v[1:2], 32
	v_add_f64 v[0:1], v[1:2], v[6:7]
	s_branch .LBB118_1234
.LBB118_1233:
	s_mov_b64 s[44:45], -1
                                        ; implicit-def: $vgpr0_vgpr1
.LBB118_1234:
	v_mov_b32_e32 v2, 0
	v_mov_b32_e32 v3, 0
.LBB118_1235:
	s_mov_b64 s[50:51], 0
.LBB118_1236:
	s_and_b64 vcc, exec, s[50:51]
	s_cbranch_vccz .LBB118_1256
; %bb.1237:
	s_cmp_lt_i32 s54, 27
	s_cbranch_scc1 .LBB118_1240
; %bb.1238:
	s_cmp_gt_i32 s54, 27
	s_cbranch_scc0 .LBB118_1241
; %bb.1239:
	global_load_dword v0, v[4:5], off
	s_mov_b64 s[48:49], 0
	s_waitcnt vmcnt(0)
	v_cvt_f64_u32_e32 v[0:1], v0
	s_branch .LBB118_1242
.LBB118_1240:
	s_mov_b64 s[48:49], -1
                                        ; implicit-def: $vgpr0_vgpr1
	s_branch .LBB118_1245
.LBB118_1241:
	s_mov_b64 s[48:49], -1
                                        ; implicit-def: $vgpr0_vgpr1
.LBB118_1242:
	s_andn2_b64 vcc, exec, s[48:49]
	s_cbranch_vccnz .LBB118_1244
; %bb.1243:
	global_load_ushort v0, v[4:5], off
	s_waitcnt vmcnt(0)
	v_cvt_f64_u32_e32 v[0:1], v0
.LBB118_1244:
	s_mov_b64 s[48:49], 0
.LBB118_1245:
	s_andn2_b64 vcc, exec, s[48:49]
	s_cbranch_vccnz .LBB118_1255
; %bb.1246:
	global_load_ubyte v2, v[4:5], off
	s_movk_i32 s48, 0x7f
	s_waitcnt vmcnt(0)
	v_cmp_lt_i16_e32 vcc, s48, v2
	s_mov_b64 s[48:49], 0
	s_and_saveexec_b64 s[50:51], vcc
	s_xor_b64 s[50:51], exec, s[50:51]
	s_cbranch_execz .LBB118_1250
; %bb.1247:
	s_movk_i32 s48, 0x80
	v_cmp_eq_u16_e32 vcc, s48, v2
	s_mov_b64 s[48:49], -1
	s_and_saveexec_b64 s[52:53], vcc
; %bb.1248:
	s_xor_b64 s[48:49], exec, -1
; %bb.1249:
	s_or_b64 exec, exec, s[52:53]
	s_and_b64 s[48:49], s[48:49], exec
.LBB118_1250:
	s_or_saveexec_b64 s[50:51], s[50:51]
	v_bfrev_b32_e32 v0, 4
	v_mov_b32_e32 v1, 0x7ff80000
	s_xor_b64 exec, exec, s[50:51]
; %bb.1251:
	v_cmp_ne_u16_e32 vcc, 0, v2
	v_mov_b32_e32 v0, 0
	s_andn2_b64 s[48:49], s[48:49], exec
	s_and_b64 s[52:53], vcc, exec
	v_mov_b32_e32 v1, 0
	s_or_b64 s[48:49], s[48:49], s[52:53]
; %bb.1252:
	s_or_b64 exec, exec, s[50:51]
	s_and_saveexec_b64 s[50:51], s[48:49]
	s_cbranch_execz .LBB118_1254
; %bb.1253:
	v_and_b32_e32 v1, 0xffff, v2
	v_lshlrev_b32_e32 v0, 24, v2
	v_and_b32_e32 v2, 7, v1
	v_ffbh_u32_e32 v6, v2
	v_min_u32_e32 v6, 32, v6
	v_subrev_u32_e32 v7, 28, v6
	v_bfe_u32 v3, v1, 3, 4
	v_lshlrev_b32_e32 v1, v7, v1
	v_sub_u32_e32 v6, 29, v6
	v_and_b32_e32 v1, 7, v1
	v_cmp_eq_u32_e32 vcc, 0, v3
	v_cndmask_b32_e32 v3, v3, v6, vcc
	v_cndmask_b32_e32 v1, v2, v1, vcc
	v_mov_b32_e32 v2, 0x3b800000
	v_lshlrev_b32_e32 v1, 20, v1
	v_and_b32_e32 v0, 0x80000000, v0
	v_lshl_add_u32 v2, v3, 23, v2
	v_or3_b32 v0, v0, v2, v1
	v_cvt_f64_f32_e32 v[0:1], v0
.LBB118_1254:
	s_or_b64 exec, exec, s[50:51]
.LBB118_1255:
	v_mov_b32_e32 v2, 0
	v_mov_b32_e32 v3, 0
	s_mov_b64 s[48:49], -1
.LBB118_1256:
	s_mov_b64 s[50:51], 0
.LBB118_1257:
	s_and_b64 vcc, exec, s[50:51]
	s_cbranch_vccz .LBB118_1289
; %bb.1258:
	s_cmp_gt_i32 s54, 22
	s_cbranch_scc0 .LBB118_1270
; %bb.1259:
	s_cmp_lt_i32 s54, 24
	s_cbranch_scc1 .LBB118_1271
; %bb.1260:
	s_cmp_gt_i32 s54, 24
	s_cbranch_scc0 .LBB118_1272
; %bb.1261:
	global_load_ubyte v2, v[4:5], off
	s_movk_i32 s46, 0x7f
	s_waitcnt vmcnt(0)
	v_cmp_lt_i16_e32 vcc, s46, v2
	s_mov_b64 s[46:47], 0
	s_and_saveexec_b64 s[48:49], vcc
	s_xor_b64 s[48:49], exec, s[48:49]
	s_cbranch_execz .LBB118_1265
; %bb.1262:
	s_movk_i32 s46, 0x80
	v_cmp_eq_u16_e32 vcc, s46, v2
	s_mov_b64 s[46:47], -1
	s_and_saveexec_b64 s[50:51], vcc
; %bb.1263:
	s_xor_b64 s[46:47], exec, -1
; %bb.1264:
	s_or_b64 exec, exec, s[50:51]
	s_and_b64 s[46:47], s[46:47], exec
.LBB118_1265:
	s_or_saveexec_b64 s[48:49], s[48:49]
	v_bfrev_b32_e32 v0, 4
	v_mov_b32_e32 v1, 0x7ff80000
	s_xor_b64 exec, exec, s[48:49]
; %bb.1266:
	v_cmp_ne_u16_e32 vcc, 0, v2
	v_mov_b32_e32 v0, 0
	s_andn2_b64 s[46:47], s[46:47], exec
	s_and_b64 s[50:51], vcc, exec
	v_mov_b32_e32 v1, 0
	s_or_b64 s[46:47], s[46:47], s[50:51]
; %bb.1267:
	s_or_b64 exec, exec, s[48:49]
	s_and_saveexec_b64 s[48:49], s[46:47]
	s_cbranch_execz .LBB118_1269
; %bb.1268:
	v_and_b32_e32 v1, 0xffff, v2
	v_lshlrev_b32_e32 v0, 24, v2
	v_and_b32_e32 v2, 3, v1
	v_ffbh_u32_e32 v6, v2
	v_min_u32_e32 v6, 32, v6
	v_subrev_u32_e32 v7, 29, v6
	v_bfe_u32 v3, v1, 2, 5
	v_lshlrev_b32_e32 v1, v7, v1
	v_sub_u32_e32 v6, 30, v6
	v_and_b32_e32 v1, 3, v1
	v_cmp_eq_u32_e32 vcc, 0, v3
	v_cndmask_b32_e32 v3, v3, v6, vcc
	v_cndmask_b32_e32 v1, v2, v1, vcc
	v_mov_b32_e32 v2, 0x37800000
	v_lshlrev_b32_e32 v1, 21, v1
	v_and_b32_e32 v0, 0x80000000, v0
	v_lshl_add_u32 v2, v3, 23, v2
	v_or3_b32 v0, v0, v2, v1
	v_cvt_f64_f32_e32 v[0:1], v0
.LBB118_1269:
	s_or_b64 exec, exec, s[48:49]
	s_mov_b64 s[46:47], 0
	s_branch .LBB118_1273
.LBB118_1270:
	s_mov_b64 s[46:47], -1
                                        ; implicit-def: $vgpr0_vgpr1
	s_branch .LBB118_1279
.LBB118_1271:
	s_mov_b64 s[46:47], -1
                                        ; implicit-def: $vgpr0_vgpr1
	s_branch .LBB118_1276
.LBB118_1272:
	s_mov_b64 s[46:47], -1
                                        ; implicit-def: $vgpr0_vgpr1
.LBB118_1273:
	s_and_b64 vcc, exec, s[46:47]
	s_cbranch_vccz .LBB118_1275
; %bb.1274:
	global_load_ubyte v0, v[4:5], off
	s_mov_b32 s46, 0x7f800000
	s_waitcnt vmcnt(0)
	v_lshlrev_b32_e32 v0, 24, v0
	v_and_b32_e32 v1, 0x7f000000, v0
	v_ffbh_u32_e32 v2, v1
	v_min_u32_e32 v2, 32, v2
	v_sub_u32_e64 v2, v2, 4 clamp
	v_lshlrev_b32_e32 v6, v2, v1
	v_lshlrev_b32_e32 v2, 23, v2
	v_lshrrev_b32_e32 v6, 4, v6
	v_add_u32_e32 v3, 0x1000000, v1
	v_sub_u32_e32 v2, v6, v2
	v_ashrrev_i32_e32 v3, 8, v3
	v_add_u32_e32 v2, 0x3c000000, v2
	v_and_or_b32 v2, v3, s46, v2
	v_cmp_ne_u32_e32 vcc, 0, v1
	v_cndmask_b32_e32 v1, 0, v2, vcc
	s_brev_b32 s46, 1
	v_and_or_b32 v0, v0, s46, v1
	v_cvt_f64_f32_e32 v[0:1], v0
.LBB118_1275:
	s_mov_b64 s[46:47], 0
.LBB118_1276:
	s_andn2_b64 vcc, exec, s[46:47]
	s_cbranch_vccnz .LBB118_1278
; %bb.1277:
	global_load_ubyte v0, v[4:5], off
	s_movk_i32 s46, 0x7f00
	s_brev_b32 s47, 16
	s_waitcnt vmcnt(0)
	v_lshlrev_b16_e32 v1, 8, v0
	v_lshlrev_b32_e32 v0, 25, v0
	v_lshrrev_b32_e32 v2, 4, v0
	v_and_or_b32 v3, v1, s46, 0.5
	v_or_b32_e32 v2, 0x70000000, v2
	v_add_f32_e32 v3, -0.5, v3
	v_mul_f32_e32 v2, 0x7800000, v2
	v_cmp_gt_u32_e32 vcc, s47, v0
	v_bfe_i32 v1, v1, 0, 16
	v_cndmask_b32_e32 v0, v2, v3, vcc
	s_brev_b32 s46, 1
	v_and_or_b32 v0, v1, s46, v0
	v_cvt_f64_f32_e32 v[0:1], v0
.LBB118_1278:
	s_mov_b64 s[46:47], 0
	s_mov_b64 s[48:49], -1
.LBB118_1279:
	s_andn2_b64 vcc, exec, s[46:47]
	s_mov_b64 s[46:47], 0
	s_cbranch_vccnz .LBB118_1288
; %bb.1280:
	s_cmp_gt_i32 s54, 14
	s_cbranch_scc0 .LBB118_1283
; %bb.1281:
	s_cmp_eq_u32 s54, 15
	s_cbranch_scc0 .LBB118_1284
; %bb.1282:
	global_load_ushort v0, v[4:5], off
	s_mov_b64 s[44:45], 0
	s_mov_b64 s[48:49], -1
	s_waitcnt vmcnt(0)
	v_lshlrev_b32_e32 v0, 16, v0
	v_cvt_f64_f32_e32 v[0:1], v0
	s_branch .LBB118_1285
.LBB118_1283:
	s_mov_b64 s[50:51], -1
                                        ; implicit-def: $vgpr0_vgpr1
	s_branch .LBB118_1286
.LBB118_1284:
	s_mov_b64 s[44:45], -1
                                        ; implicit-def: $vgpr0_vgpr1
.LBB118_1285:
	s_mov_b64 s[50:51], 0
.LBB118_1286:
	s_and_b64 vcc, exec, s[50:51]
	s_cbranch_vccz .LBB118_1288
; %bb.1287:
	s_cmp_lg_u32 s54, 11
	s_cselect_b64 s[50:51], -1, 0
	s_andn2_b64 s[44:45], s[44:45], exec
	s_and_b64 s[50:51], s[50:51], exec
	s_mov_b64 s[46:47], -1
	s_or_b64 s[44:45], s[44:45], s[50:51]
.LBB118_1288:
	v_mov_b32_e32 v2, 0
	v_mov_b32_e32 v3, 0
.LBB118_1289:
	s_mov_b64 s[50:51], 0
.LBB118_1290:
	s_and_b64 s[54:55], s[48:49], exec
	s_and_b64 s[48:49], s[46:47], exec
	s_andn2_b64 s[46:47], s[0:1], exec
	s_and_b64 s[44:45], s[44:45], exec
	s_and_b64 s[52:53], s[50:51], exec
	s_or_b64 s[50:51], s[46:47], s[44:45]
.LBB118_1291:
	s_or_b64 exec, exec, s[38:39]
	s_and_b64 s[44:45], s[48:49], exec
	s_andn2_b64 s[0:1], s[0:1], exec
	s_and_b64 s[48:49], s[50:51], exec
	s_and_b64 s[46:47], s[54:55], exec
	;; [unrolled: 1-line block ×3, first 2 shown]
	s_or_b64 s[0:1], s[0:1], s[48:49]
.LBB118_1292:
	s_or_b64 exec, exec, s[36:37]
	s_andn2_b64 s[30:31], s[30:31], exec
	s_and_b64 s[36:37], s[42:43], exec
	s_or_b64 s[30:31], s[30:31], s[36:37]
	s_andn2_b64 s[28:29], s[28:29], exec
	s_and_b64 s[36:37], s[40:41], exec
	s_andn2_b64 s[26:27], s[26:27], exec
	s_and_b64 s[0:1], s[0:1], exec
	s_or_b64 s[28:29], s[28:29], s[36:37]
	s_and_b64 s[40:41], s[46:47], exec
	s_and_b64 s[38:39], s[38:39], exec
	;; [unrolled: 1-line block ×3, first 2 shown]
	s_or_b64 s[26:27], s[26:27], s[0:1]
.LBB118_1293:
	s_or_b64 exec, exec, s[34:35]
	s_andn2_b64 s[0:1], s[18:19], exec
	s_and_b64 s[18:19], s[30:31], exec
	s_or_b64 s[18:19], s[0:1], s[18:19]
	s_andn2_b64 s[0:1], s[20:21], exec
	s_and_b64 s[20:21], s[28:29], exec
	s_or_b64 s[20:21], s[0:1], s[20:21]
	s_andn2_b64 s[0:1], s[22:23], exec
	s_and_b64 s[22:23], s[26:27], exec
	s_and_b64 s[30:31], s[40:41], exec
	;; [unrolled: 1-line block ×4, first 2 shown]
	s_or_b64 s[22:23], s[0:1], s[22:23]
	s_or_b64 exec, exec, s[24:25]
	s_mov_b64 s[24:25], 0
	s_and_saveexec_b64 s[0:1], s[22:23]
	s_cbranch_execz .LBB118_406
.LBB118_1294:
	s_mov_b64 s[24:25], exec
	s_andn2_b64 s[28:29], s[28:29], exec
	s_trap 2
	s_or_b64 exec, exec, s[0:1]
	s_and_saveexec_b64 s[0:1], s[28:29]
	s_xor_b64 s[0:1], exec, s[0:1]
	s_cbranch_execnz .LBB118_407
.LBB118_1295:
	s_or_b64 exec, exec, s[0:1]
	s_and_saveexec_b64 s[0:1], s[34:35]
	s_cbranch_execz .LBB118_1343
.LBB118_1296:
	s_sext_i32_i16 s22, s58
	s_cmp_lt_i32 s22, 5
	s_cbranch_scc1 .LBB118_1301
; %bb.1297:
	s_cmp_lt_i32 s22, 8
	s_cbranch_scc1 .LBB118_1302
; %bb.1298:
	;; [unrolled: 3-line block ×3, first 2 shown]
	s_cmp_gt_i32 s22, 9
	s_cbranch_scc0 .LBB118_1304
; %bb.1300:
	s_waitcnt vmcnt(0)
	global_load_dwordx4 v[0:3], v[4:5], off
	s_mov_b64 s[22:23], 0
	s_branch .LBB118_1305
.LBB118_1301:
                                        ; implicit-def: $vgpr2_vgpr3
	s_branch .LBB118_1323
.LBB118_1302:
                                        ; implicit-def: $vgpr2_vgpr3
	s_branch .LBB118_1311
.LBB118_1303:
	s_mov_b64 s[22:23], -1
                                        ; implicit-def: $vgpr2_vgpr3
	s_branch .LBB118_1308
.LBB118_1304:
	s_mov_b64 s[22:23], -1
                                        ; implicit-def: $vgpr2_vgpr3
.LBB118_1305:
	s_andn2_b64 vcc, exec, s[22:23]
	s_cbranch_vccnz .LBB118_1307
; %bb.1306:
	s_waitcnt vmcnt(0)
	global_load_dwordx2 v[1:2], v[4:5], off
	s_waitcnt vmcnt(0)
	v_cvt_f64_f32_e32 v[0:1], v1
	v_cvt_f64_f32_e32 v[2:3], v2
.LBB118_1307:
	s_mov_b64 s[22:23], 0
.LBB118_1308:
	s_andn2_b64 vcc, exec, s[22:23]
	s_cbranch_vccnz .LBB118_1310
; %bb.1309:
	s_waitcnt vmcnt(0)
	global_load_dword v0, v[4:5], off
	s_waitcnt vmcnt(0)
	v_cvt_f32_f16_e32 v1, v0
	v_cvt_f32_f16_sdwa v2, v0 dst_sel:DWORD dst_unused:UNUSED_PAD src0_sel:WORD_1
	v_cvt_f64_f32_e32 v[0:1], v1
	v_cvt_f64_f32_e32 v[2:3], v2
.LBB118_1310:
	s_cbranch_execnz .LBB118_1322
.LBB118_1311:
	s_sext_i32_i16 s22, s58
	s_cmp_lt_i32 s22, 6
	s_cbranch_scc1 .LBB118_1314
; %bb.1312:
	s_cmp_gt_i32 s22, 6
	s_cbranch_scc0 .LBB118_1315
; %bb.1313:
	s_waitcnt vmcnt(0)
	global_load_dwordx2 v[0:1], v[4:5], off
	s_mov_b64 s[22:23], 0
	s_branch .LBB118_1316
.LBB118_1314:
	s_mov_b64 s[22:23], -1
                                        ; implicit-def: $vgpr0_vgpr1
	s_branch .LBB118_1319
.LBB118_1315:
	s_mov_b64 s[22:23], -1
                                        ; implicit-def: $vgpr0_vgpr1
.LBB118_1316:
	s_andn2_b64 vcc, exec, s[22:23]
	s_cbranch_vccnz .LBB118_1318
; %bb.1317:
	s_waitcnt vmcnt(0)
	global_load_dword v0, v[4:5], off
	s_waitcnt vmcnt(0)
	v_cvt_f64_f32_e32 v[0:1], v0
.LBB118_1318:
	s_mov_b64 s[22:23], 0
.LBB118_1319:
	s_andn2_b64 vcc, exec, s[22:23]
	s_cbranch_vccnz .LBB118_1321
; %bb.1320:
	s_waitcnt vmcnt(0)
	global_load_ushort v0, v[4:5], off
	s_waitcnt vmcnt(0)
	v_cvt_f32_f16_e32 v0, v0
	v_cvt_f64_f32_e32 v[0:1], v0
.LBB118_1321:
	s_waitcnt vmcnt(0)
	v_mov_b32_e32 v2, 0
	v_mov_b32_e32 v3, 0
.LBB118_1322:
	s_cbranch_execnz .LBB118_1342
.LBB118_1323:
	s_sext_i32_i16 s22, s58
	s_cmp_lt_i32 s22, 2
	s_cbranch_scc1 .LBB118_1327
; %bb.1324:
	s_cmp_lt_i32 s22, 3
	s_cbranch_scc1 .LBB118_1328
; %bb.1325:
	s_cmp_gt_i32 s22, 3
	s_cbranch_scc0 .LBB118_1329
; %bb.1326:
	s_waitcnt vmcnt(0)
	global_load_dwordx2 v[0:1], v[4:5], off
	s_mov_b64 s[22:23], 0
	s_waitcnt vmcnt(0)
	v_cvt_f64_i32_e32 v[1:2], v1
	v_cvt_f64_u32_e32 v[6:7], v0
	v_ldexp_f64 v[1:2], v[1:2], 32
	v_add_f64 v[0:1], v[1:2], v[6:7]
	s_branch .LBB118_1330
.LBB118_1327:
                                        ; implicit-def: $vgpr0_vgpr1
	s_branch .LBB118_1336
.LBB118_1328:
	s_mov_b64 s[22:23], -1
                                        ; implicit-def: $vgpr0_vgpr1
	s_branch .LBB118_1333
.LBB118_1329:
	s_mov_b64 s[22:23], -1
                                        ; implicit-def: $vgpr0_vgpr1
.LBB118_1330:
	s_andn2_b64 vcc, exec, s[22:23]
	s_cbranch_vccnz .LBB118_1332
; %bb.1331:
	s_waitcnt vmcnt(0)
	global_load_dword v0, v[4:5], off
	s_waitcnt vmcnt(0)
	v_cvt_f64_i32_e32 v[0:1], v0
.LBB118_1332:
	s_mov_b64 s[22:23], 0
.LBB118_1333:
	s_andn2_b64 vcc, exec, s[22:23]
	s_cbranch_vccnz .LBB118_1335
; %bb.1334:
	s_waitcnt vmcnt(0)
	global_load_sshort v0, v[4:5], off
	s_waitcnt vmcnt(0)
	v_cvt_f64_i32_e32 v[0:1], v0
.LBB118_1335:
	s_cbranch_execnz .LBB118_1341
.LBB118_1336:
	s_sext_i32_i16 s22, s58
	s_cmp_gt_i32 s22, 0
	s_cbranch_scc0 .LBB118_1338
; %bb.1337:
	s_waitcnt vmcnt(0)
	global_load_sbyte v0, v[4:5], off
	s_mov_b64 s[22:23], 0
	s_waitcnt vmcnt(0)
	v_cvt_f64_i32_e32 v[0:1], v0
	s_branch .LBB118_1339
.LBB118_1338:
	s_mov_b64 s[22:23], -1
                                        ; implicit-def: $vgpr0_vgpr1
.LBB118_1339:
	s_andn2_b64 vcc, exec, s[22:23]
	s_cbranch_vccnz .LBB118_1341
; %bb.1340:
	s_waitcnt vmcnt(0)
	global_load_ubyte v0, v[4:5], off
	s_waitcnt vmcnt(0)
	v_cvt_f64_u32_e32 v[0:1], v0
.LBB118_1341:
	s_waitcnt vmcnt(0)
	v_mov_b32_e32 v2, 0
	v_mov_b32_e32 v3, 0
.LBB118_1342:
	s_or_b64 s[30:31], s[30:31], exec
.LBB118_1343:
	s_or_b64 exec, exec, s[0:1]
	s_mov_b64 s[26:27], 0
	s_mov_b64 s[34:35], 0
	;; [unrolled: 1-line block ×3, first 2 shown]
                                        ; implicit-def: $sgpr36
                                        ; implicit-def: $vgpr8_vgpr9
                                        ; implicit-def: $vgpr6_vgpr7
	s_and_saveexec_b64 s[0:1], s[30:31]
	s_cbranch_execz .LBB118_1351
; %bb.1344:
	s_waitcnt vmcnt(0)
	v_mul_lo_u32 v4, v10, s14
	v_mov_b32_e32 v5, s3
	s_and_b32 s36, s56, 0xff
	s_cmp_lt_i32 s36, 11
	v_ashrrev_i32_e32 v6, 31, v4
	v_add_co_u32_e32 v8, vcc, s2, v4
	v_addc_co_u32_e32 v9, vcc, v5, v6, vcc
	s_cbranch_scc1 .LBB118_1354
; %bb.1345:
	s_and_b32 s37, 0xffff, s36
	s_cmp_gt_i32 s37, 25
	s_cbranch_scc0 .LBB118_1355
; %bb.1346:
	s_cmp_gt_i32 s37, 28
	s_cbranch_scc0 .LBB118_1356
; %bb.1347:
	;; [unrolled: 3-line block ×4, first 2 shown]
	s_cmp_eq_u32 s37, 46
	s_mov_b64 s[30:31], 0
	s_cbranch_scc0 .LBB118_1359
; %bb.1350:
	global_load_dword v4, v[8:9], off
	s_mov_b64 s[22:23], 0
	s_mov_b64 s[28:29], -1
	s_waitcnt vmcnt(0)
	v_and_b32_e32 v6, 0xffff0000, v4
	v_lshlrev_b32_e32 v4, 16, v4
	v_cvt_f64_f32_e32 v[4:5], v4
	v_cvt_f64_f32_e32 v[6:7], v6
	s_branch .LBB118_1361
.LBB118_1351:
	s_or_b64 exec, exec, s[0:1]
	s_and_saveexec_b64 s[0:1], s[20:21]
	s_cbranch_execnz .LBB118_1427
.LBB118_1352:
	s_or_b64 exec, exec, s[0:1]
	s_and_saveexec_b64 s[0:1], s[26:27]
	s_xor_b64 s[0:1], exec, s[0:1]
	s_cbranch_execz .LBB118_1428
.LBB118_1353:
	global_load_ubyte v5, v[8:9], off
	v_mov_b32_e32 v11, 0x3ff00000
	s_waitcnt vmcnt(1)
	v_mov_b32_e32 v6, 0
	v_mov_b32_e32 v4, 0
	;; [unrolled: 1-line block ×3, first 2 shown]
	s_or_b64 s[28:29], s[28:29], exec
	s_waitcnt vmcnt(0)
	v_cmp_ne_u16_e32 vcc, 0, v5
	v_cndmask_b32_e32 v5, 0, v11, vcc
	s_or_b64 exec, exec, s[0:1]
	s_and_saveexec_b64 s[0:1], s[34:35]
	s_cbranch_execz .LBB118_1476
	s_branch .LBB118_1429
.LBB118_1354:
	s_mov_b64 s[30:31], -1
                                        ; implicit-def: $vgpr6_vgpr7
	s_mov_b64 s[22:23], s[20:21]
	s_branch .LBB118_1426
.LBB118_1355:
	s_mov_b64 s[22:23], s[20:21]
                                        ; implicit-def: $vgpr6_vgpr7
	s_cbranch_execnz .LBB118_1394
	s_branch .LBB118_1425
.LBB118_1356:
	s_mov_b64 s[30:31], -1
	s_mov_b64 s[22:23], s[20:21]
                                        ; implicit-def: $vgpr6_vgpr7
	s_branch .LBB118_1373
.LBB118_1357:
	s_mov_b64 s[30:31], -1
	s_mov_b64 s[22:23], s[20:21]
                                        ; implicit-def: $vgpr6_vgpr7
	s_branch .LBB118_1367
.LBB118_1358:
	s_mov_b64 s[30:31], -1
	s_mov_b64 s[22:23], s[20:21]
	s_branch .LBB118_1360
.LBB118_1359:
	s_mov_b64 s[22:23], -1
.LBB118_1360:
                                        ; implicit-def: $vgpr6_vgpr7
.LBB118_1361:
	s_and_b64 vcc, exec, s[30:31]
	s_cbranch_vccz .LBB118_1366
; %bb.1362:
	s_cmp_eq_u32 s37, 44
	s_cbranch_scc0 .LBB118_1364
; %bb.1363:
	global_load_ubyte v6, v[8:9], off
	s_movk_i32 s28, 0xff
	v_bfrev_b32_e32 v7, 4
	v_mov_b32_e32 v11, 0x7ff80000
	v_bfrev_b32_e32 v12, 28
	s_mov_b64 s[22:23], 0
	s_waitcnt vmcnt(0)
	v_lshlrev_b32_e32 v4, 23, v6
	v_cvt_f64_f32_e32 v[4:5], v4
	v_cmp_ne_u32_e32 vcc, s28, v6
	s_mov_b64 s[28:29], -1
	v_cndmask_b32_e32 v4, v7, v4, vcc
	v_cndmask_b32_e32 v5, v11, v5, vcc
	v_cmp_ne_u32_e32 vcc, 0, v6
	v_cndmask_b32_e32 v5, v12, v5, vcc
	v_cndmask_b32_e32 v4, 0, v4, vcc
	s_branch .LBB118_1365
.LBB118_1364:
	s_mov_b64 s[22:23], -1
                                        ; implicit-def: $vgpr4_vgpr5
.LBB118_1365:
	v_mov_b32_e32 v6, 0
	v_mov_b32_e32 v7, 0
.LBB118_1366:
	s_mov_b64 s[30:31], 0
.LBB118_1367:
	s_and_b64 vcc, exec, s[30:31]
	s_cbranch_vccz .LBB118_1372
; %bb.1368:
	s_cmp_eq_u32 s37, 29
	s_cbranch_scc0 .LBB118_1370
; %bb.1369:
	global_load_dwordx2 v[4:5], v[8:9], off
	s_mov_b64 s[22:23], 0
	s_mov_b64 s[28:29], -1
	s_waitcnt vmcnt(0)
	v_cvt_f64_u32_e32 v[5:6], v5
	v_cvt_f64_u32_e32 v[11:12], v4
	v_ldexp_f64 v[5:6], v[5:6], 32
	v_add_f64 v[4:5], v[5:6], v[11:12]
	s_branch .LBB118_1371
.LBB118_1370:
	s_mov_b64 s[22:23], -1
                                        ; implicit-def: $vgpr4_vgpr5
.LBB118_1371:
	v_mov_b32_e32 v6, 0
	v_mov_b32_e32 v7, 0
.LBB118_1372:
	s_mov_b64 s[30:31], 0
.LBB118_1373:
	s_and_b64 vcc, exec, s[30:31]
	s_cbranch_vccz .LBB118_1393
; %bb.1374:
	s_cmp_lt_i32 s37, 27
	s_cbranch_scc1 .LBB118_1377
; %bb.1375:
	s_cmp_gt_i32 s37, 27
	s_cbranch_scc0 .LBB118_1378
; %bb.1376:
	global_load_dword v4, v[8:9], off
	s_mov_b64 s[28:29], 0
	s_waitcnt vmcnt(0)
	v_cvt_f64_u32_e32 v[4:5], v4
	s_branch .LBB118_1379
.LBB118_1377:
	s_mov_b64 s[28:29], -1
                                        ; implicit-def: $vgpr4_vgpr5
	s_branch .LBB118_1382
.LBB118_1378:
	s_mov_b64 s[28:29], -1
                                        ; implicit-def: $vgpr4_vgpr5
.LBB118_1379:
	s_andn2_b64 vcc, exec, s[28:29]
	s_cbranch_vccnz .LBB118_1381
; %bb.1380:
	global_load_ushort v4, v[8:9], off
	s_waitcnt vmcnt(0)
	v_cvt_f64_u32_e32 v[4:5], v4
.LBB118_1381:
	s_mov_b64 s[28:29], 0
.LBB118_1382:
	s_andn2_b64 vcc, exec, s[28:29]
	s_cbranch_vccnz .LBB118_1392
; %bb.1383:
	global_load_ubyte v6, v[8:9], off
	s_movk_i32 s28, 0x7f
	s_waitcnt vmcnt(0)
	v_cmp_lt_i16_e32 vcc, s28, v6
	s_mov_b64 s[28:29], 0
	s_and_saveexec_b64 s[30:31], vcc
	s_xor_b64 s[30:31], exec, s[30:31]
	s_cbranch_execz .LBB118_1387
; %bb.1384:
	s_movk_i32 s28, 0x80
	v_cmp_eq_u16_e32 vcc, s28, v6
	s_mov_b64 s[28:29], -1
	s_and_saveexec_b64 s[34:35], vcc
; %bb.1385:
	s_xor_b64 s[28:29], exec, -1
; %bb.1386:
	s_or_b64 exec, exec, s[34:35]
	s_and_b64 s[28:29], s[28:29], exec
.LBB118_1387:
	s_or_saveexec_b64 s[30:31], s[30:31]
	v_bfrev_b32_e32 v4, 4
	v_mov_b32_e32 v5, 0x7ff80000
	s_xor_b64 exec, exec, s[30:31]
; %bb.1388:
	v_cmp_ne_u16_e32 vcc, 0, v6
	v_mov_b32_e32 v4, 0
	s_andn2_b64 s[28:29], s[28:29], exec
	s_and_b64 s[34:35], vcc, exec
	v_mov_b32_e32 v5, 0
	s_or_b64 s[28:29], s[28:29], s[34:35]
; %bb.1389:
	s_or_b64 exec, exec, s[30:31]
	s_and_saveexec_b64 s[30:31], s[28:29]
	s_cbranch_execz .LBB118_1391
; %bb.1390:
	v_and_b32_e32 v5, 0xffff, v6
	v_lshlrev_b32_e32 v4, 24, v6
	v_and_b32_e32 v6, 7, v5
	v_ffbh_u32_e32 v11, v6
	v_min_u32_e32 v11, 32, v11
	v_subrev_u32_e32 v12, 28, v11
	v_bfe_u32 v7, v5, 3, 4
	v_lshlrev_b32_e32 v5, v12, v5
	v_sub_u32_e32 v11, 29, v11
	v_and_b32_e32 v5, 7, v5
	v_cmp_eq_u32_e32 vcc, 0, v7
	v_cndmask_b32_e32 v7, v7, v11, vcc
	v_cndmask_b32_e32 v5, v6, v5, vcc
	v_mov_b32_e32 v6, 0x3b800000
	v_lshlrev_b32_e32 v5, 20, v5
	v_and_b32_e32 v4, 0x80000000, v4
	v_lshl_add_u32 v6, v7, 23, v6
	v_or3_b32 v4, v4, v6, v5
	v_cvt_f64_f32_e32 v[4:5], v4
.LBB118_1391:
	s_or_b64 exec, exec, s[30:31]
.LBB118_1392:
	v_mov_b32_e32 v6, 0
	v_mov_b32_e32 v7, 0
	s_mov_b64 s[28:29], -1
.LBB118_1393:
	s_branch .LBB118_1425
.LBB118_1394:
	s_cmp_gt_i32 s37, 22
	s_cbranch_scc0 .LBB118_1406
; %bb.1395:
	s_cmp_lt_i32 s37, 24
	s_cbranch_scc1 .LBB118_1407
; %bb.1396:
	s_cmp_gt_i32 s37, 24
	s_cbranch_scc0 .LBB118_1408
; %bb.1397:
	global_load_ubyte v6, v[8:9], off
	s_movk_i32 s26, 0x7f
	s_waitcnt vmcnt(0)
	v_cmp_lt_i16_e32 vcc, s26, v6
	s_mov_b64 s[26:27], 0
	s_and_saveexec_b64 s[28:29], vcc
	s_xor_b64 s[28:29], exec, s[28:29]
	s_cbranch_execz .LBB118_1401
; %bb.1398:
	s_movk_i32 s26, 0x80
	v_cmp_eq_u16_e32 vcc, s26, v6
	s_mov_b64 s[26:27], -1
	s_and_saveexec_b64 s[30:31], vcc
; %bb.1399:
	s_xor_b64 s[26:27], exec, -1
; %bb.1400:
	s_or_b64 exec, exec, s[30:31]
	s_and_b64 s[26:27], s[26:27], exec
.LBB118_1401:
	s_or_saveexec_b64 s[28:29], s[28:29]
	v_bfrev_b32_e32 v4, 4
	v_mov_b32_e32 v5, 0x7ff80000
	s_xor_b64 exec, exec, s[28:29]
; %bb.1402:
	v_cmp_ne_u16_e32 vcc, 0, v6
	v_mov_b32_e32 v4, 0
	s_andn2_b64 s[26:27], s[26:27], exec
	s_and_b64 s[30:31], vcc, exec
	v_mov_b32_e32 v5, 0
	s_or_b64 s[26:27], s[26:27], s[30:31]
; %bb.1403:
	s_or_b64 exec, exec, s[28:29]
	s_and_saveexec_b64 s[28:29], s[26:27]
	s_cbranch_execz .LBB118_1405
; %bb.1404:
	v_and_b32_e32 v5, 0xffff, v6
	v_lshlrev_b32_e32 v4, 24, v6
	v_and_b32_e32 v6, 3, v5
	v_ffbh_u32_e32 v11, v6
	v_min_u32_e32 v11, 32, v11
	v_subrev_u32_e32 v12, 29, v11
	v_bfe_u32 v7, v5, 2, 5
	v_lshlrev_b32_e32 v5, v12, v5
	v_sub_u32_e32 v11, 30, v11
	v_and_b32_e32 v5, 3, v5
	v_cmp_eq_u32_e32 vcc, 0, v7
	v_cndmask_b32_e32 v7, v7, v11, vcc
	v_cndmask_b32_e32 v5, v6, v5, vcc
	v_mov_b32_e32 v6, 0x37800000
	v_lshlrev_b32_e32 v5, 21, v5
	v_and_b32_e32 v4, 0x80000000, v4
	v_lshl_add_u32 v6, v7, 23, v6
	v_or3_b32 v4, v4, v6, v5
	v_cvt_f64_f32_e32 v[4:5], v4
.LBB118_1405:
	s_or_b64 exec, exec, s[28:29]
	s_mov_b64 s[26:27], 0
	s_branch .LBB118_1409
.LBB118_1406:
	s_mov_b64 s[26:27], -1
                                        ; implicit-def: $vgpr4_vgpr5
	s_branch .LBB118_1415
.LBB118_1407:
	s_mov_b64 s[26:27], -1
                                        ; implicit-def: $vgpr4_vgpr5
	s_branch .LBB118_1412
.LBB118_1408:
	s_mov_b64 s[26:27], -1
                                        ; implicit-def: $vgpr4_vgpr5
.LBB118_1409:
	s_and_b64 vcc, exec, s[26:27]
	s_cbranch_vccz .LBB118_1411
; %bb.1410:
	global_load_ubyte v4, v[8:9], off
	s_mov_b32 s26, 0x7f800000
	s_waitcnt vmcnt(0)
	v_lshlrev_b32_e32 v4, 24, v4
	v_and_b32_e32 v5, 0x7f000000, v4
	v_ffbh_u32_e32 v6, v5
	v_min_u32_e32 v6, 32, v6
	v_sub_u32_e64 v6, v6, 4 clamp
	v_lshlrev_b32_e32 v11, v6, v5
	v_lshlrev_b32_e32 v6, 23, v6
	v_lshrrev_b32_e32 v11, 4, v11
	v_add_u32_e32 v7, 0x1000000, v5
	v_sub_u32_e32 v6, v11, v6
	v_ashrrev_i32_e32 v7, 8, v7
	v_add_u32_e32 v6, 0x3c000000, v6
	v_and_or_b32 v6, v7, s26, v6
	v_cmp_ne_u32_e32 vcc, 0, v5
	v_cndmask_b32_e32 v5, 0, v6, vcc
	s_brev_b32 s26, 1
	v_and_or_b32 v4, v4, s26, v5
	v_cvt_f64_f32_e32 v[4:5], v4
.LBB118_1411:
	s_mov_b64 s[26:27], 0
.LBB118_1412:
	s_andn2_b64 vcc, exec, s[26:27]
	s_cbranch_vccnz .LBB118_1414
; %bb.1413:
	global_load_ubyte v4, v[8:9], off
	s_movk_i32 s26, 0x7f00
	s_brev_b32 s27, 16
	s_waitcnt vmcnt(0)
	v_lshlrev_b16_e32 v5, 8, v4
	v_lshlrev_b32_e32 v4, 25, v4
	v_lshrrev_b32_e32 v6, 4, v4
	v_and_or_b32 v7, v5, s26, 0.5
	v_or_b32_e32 v6, 0x70000000, v6
	v_add_f32_e32 v7, -0.5, v7
	v_mul_f32_e32 v6, 0x7800000, v6
	v_cmp_gt_u32_e32 vcc, s27, v4
	v_bfe_i32 v5, v5, 0, 16
	v_cndmask_b32_e32 v4, v6, v7, vcc
	s_brev_b32 s26, 1
	v_and_or_b32 v4, v5, s26, v4
	v_cvt_f64_f32_e32 v[4:5], v4
.LBB118_1414:
	s_mov_b64 s[26:27], 0
	s_mov_b64 s[28:29], -1
.LBB118_1415:
	s_andn2_b64 vcc, exec, s[26:27]
	s_mov_b64 s[26:27], 0
	s_cbranch_vccnz .LBB118_1424
; %bb.1416:
	s_cmp_gt_i32 s37, 14
	s_cbranch_scc0 .LBB118_1419
; %bb.1417:
	s_cmp_eq_u32 s37, 15
	s_cbranch_scc0 .LBB118_1420
; %bb.1418:
	global_load_ushort v4, v[8:9], off
	s_mov_b64 s[22:23], 0
	s_mov_b64 s[28:29], -1
	s_waitcnt vmcnt(0)
	v_lshlrev_b32_e32 v4, 16, v4
	v_cvt_f64_f32_e32 v[4:5], v4
	s_branch .LBB118_1421
.LBB118_1419:
	s_mov_b64 s[30:31], -1
                                        ; implicit-def: $vgpr4_vgpr5
	s_branch .LBB118_1422
.LBB118_1420:
	s_mov_b64 s[22:23], -1
                                        ; implicit-def: $vgpr4_vgpr5
.LBB118_1421:
	s_mov_b64 s[30:31], 0
.LBB118_1422:
	s_and_b64 vcc, exec, s[30:31]
	s_cbranch_vccz .LBB118_1424
; %bb.1423:
	s_cmp_lg_u32 s37, 11
	s_cselect_b64 s[30:31], -1, 0
	s_andn2_b64 s[22:23], s[22:23], exec
	s_and_b64 s[30:31], s[30:31], exec
	s_mov_b64 s[26:27], -1
	s_or_b64 s[22:23], s[22:23], s[30:31]
.LBB118_1424:
	v_mov_b32_e32 v6, 0
	v_mov_b32_e32 v7, 0
.LBB118_1425:
	s_mov_b64 s[30:31], 0
.LBB118_1426:
	s_andn2_b64 s[20:21], s[20:21], exec
	s_and_b64 s[22:23], s[22:23], exec
	s_and_b64 s[28:29], s[28:29], exec
	;; [unrolled: 1-line block ×4, first 2 shown]
	s_or_b64 s[20:21], s[20:21], s[22:23]
	s_or_b64 exec, exec, s[0:1]
	s_and_saveexec_b64 s[0:1], s[20:21]
	s_cbranch_execz .LBB118_1352
.LBB118_1427:
	s_or_b64 s[24:25], s[24:25], exec
	s_andn2_b64 s[26:27], s[26:27], exec
	s_trap 2
	s_or_b64 exec, exec, s[0:1]
	s_and_saveexec_b64 s[0:1], s[26:27]
	s_xor_b64 s[0:1], exec, s[0:1]
	s_cbranch_execnz .LBB118_1353
.LBB118_1428:
	s_or_b64 exec, exec, s[0:1]
	s_and_saveexec_b64 s[0:1], s[34:35]
	s_cbranch_execz .LBB118_1476
.LBB118_1429:
	s_sext_i32_i16 s20, s36
	s_cmp_lt_i32 s20, 5
	s_cbranch_scc1 .LBB118_1434
; %bb.1430:
	s_cmp_lt_i32 s20, 8
	s_cbranch_scc1 .LBB118_1435
; %bb.1431:
	;; [unrolled: 3-line block ×3, first 2 shown]
	s_cmp_gt_i32 s20, 9
	s_cbranch_scc0 .LBB118_1437
; %bb.1433:
	global_load_dwordx4 v[4:7], v[8:9], off
	s_mov_b64 s[20:21], 0
	s_branch .LBB118_1438
.LBB118_1434:
                                        ; implicit-def: $vgpr6_vgpr7
	s_branch .LBB118_1456
.LBB118_1435:
                                        ; implicit-def: $vgpr6_vgpr7
	s_branch .LBB118_1444
.LBB118_1436:
	s_mov_b64 s[20:21], -1
                                        ; implicit-def: $vgpr6_vgpr7
	s_branch .LBB118_1441
.LBB118_1437:
	s_mov_b64 s[20:21], -1
                                        ; implicit-def: $vgpr6_vgpr7
.LBB118_1438:
	s_andn2_b64 vcc, exec, s[20:21]
	s_cbranch_vccnz .LBB118_1440
; %bb.1439:
	global_load_dwordx2 v[5:6], v[8:9], off
	s_waitcnt vmcnt(0)
	v_cvt_f64_f32_e32 v[4:5], v5
	v_cvt_f64_f32_e32 v[6:7], v6
.LBB118_1440:
	s_mov_b64 s[20:21], 0
.LBB118_1441:
	s_andn2_b64 vcc, exec, s[20:21]
	s_cbranch_vccnz .LBB118_1443
; %bb.1442:
	global_load_dword v4, v[8:9], off
	s_waitcnt vmcnt(0)
	v_cvt_f32_f16_e32 v5, v4
	v_cvt_f32_f16_sdwa v6, v4 dst_sel:DWORD dst_unused:UNUSED_PAD src0_sel:WORD_1
	v_cvt_f64_f32_e32 v[4:5], v5
	v_cvt_f64_f32_e32 v[6:7], v6
.LBB118_1443:
	s_cbranch_execnz .LBB118_1455
.LBB118_1444:
	s_sext_i32_i16 s20, s36
	s_cmp_lt_i32 s20, 6
	s_cbranch_scc1 .LBB118_1447
; %bb.1445:
	s_cmp_gt_i32 s20, 6
	s_cbranch_scc0 .LBB118_1448
; %bb.1446:
	global_load_dwordx2 v[4:5], v[8:9], off
	s_mov_b64 s[20:21], 0
	s_branch .LBB118_1449
.LBB118_1447:
	s_mov_b64 s[20:21], -1
                                        ; implicit-def: $vgpr4_vgpr5
	s_branch .LBB118_1452
.LBB118_1448:
	s_mov_b64 s[20:21], -1
                                        ; implicit-def: $vgpr4_vgpr5
.LBB118_1449:
	s_andn2_b64 vcc, exec, s[20:21]
	s_cbranch_vccnz .LBB118_1451
; %bb.1450:
	global_load_dword v4, v[8:9], off
	s_waitcnt vmcnt(0)
	v_cvt_f64_f32_e32 v[4:5], v4
.LBB118_1451:
	s_mov_b64 s[20:21], 0
.LBB118_1452:
	s_andn2_b64 vcc, exec, s[20:21]
	s_cbranch_vccnz .LBB118_1454
; %bb.1453:
	global_load_ushort v4, v[8:9], off
	s_waitcnt vmcnt(0)
	v_cvt_f32_f16_e32 v4, v4
	v_cvt_f64_f32_e32 v[4:5], v4
.LBB118_1454:
	s_waitcnt vmcnt(0)
	v_mov_b32_e32 v6, 0
	v_mov_b32_e32 v7, 0
.LBB118_1455:
	s_cbranch_execnz .LBB118_1475
.LBB118_1456:
	s_sext_i32_i16 s20, s36
	s_cmp_lt_i32 s20, 2
	s_cbranch_scc1 .LBB118_1460
; %bb.1457:
	s_cmp_lt_i32 s20, 3
	s_cbranch_scc1 .LBB118_1461
; %bb.1458:
	s_cmp_gt_i32 s20, 3
	s_cbranch_scc0 .LBB118_1462
; %bb.1459:
	global_load_dwordx2 v[4:5], v[8:9], off
	s_mov_b64 s[20:21], 0
	s_waitcnt vmcnt(0)
	v_cvt_f64_i32_e32 v[5:6], v5
	v_cvt_f64_u32_e32 v[11:12], v4
	v_ldexp_f64 v[5:6], v[5:6], 32
	v_add_f64 v[4:5], v[5:6], v[11:12]
	s_branch .LBB118_1463
.LBB118_1460:
                                        ; implicit-def: $vgpr4_vgpr5
	s_branch .LBB118_1469
.LBB118_1461:
	s_mov_b64 s[20:21], -1
                                        ; implicit-def: $vgpr4_vgpr5
	s_branch .LBB118_1466
.LBB118_1462:
	s_mov_b64 s[20:21], -1
                                        ; implicit-def: $vgpr4_vgpr5
.LBB118_1463:
	s_andn2_b64 vcc, exec, s[20:21]
	s_cbranch_vccnz .LBB118_1465
; %bb.1464:
	global_load_dword v4, v[8:9], off
	s_waitcnt vmcnt(0)
	v_cvt_f64_i32_e32 v[4:5], v4
.LBB118_1465:
	s_mov_b64 s[20:21], 0
.LBB118_1466:
	s_andn2_b64 vcc, exec, s[20:21]
	s_cbranch_vccnz .LBB118_1468
; %bb.1467:
	global_load_sshort v4, v[8:9], off
	s_waitcnt vmcnt(0)
	v_cvt_f64_i32_e32 v[4:5], v4
.LBB118_1468:
	s_cbranch_execnz .LBB118_1474
.LBB118_1469:
	s_sext_i32_i16 s20, s36
	s_cmp_gt_i32 s20, 0
	s_cbranch_scc0 .LBB118_1471
; %bb.1470:
	global_load_sbyte v4, v[8:9], off
	s_mov_b64 s[20:21], 0
	s_waitcnt vmcnt(0)
	v_cvt_f64_i32_e32 v[4:5], v4
	s_branch .LBB118_1472
.LBB118_1471:
	s_mov_b64 s[20:21], -1
                                        ; implicit-def: $vgpr4_vgpr5
.LBB118_1472:
	s_andn2_b64 vcc, exec, s[20:21]
	s_cbranch_vccnz .LBB118_1474
; %bb.1473:
	global_load_ubyte v4, v[8:9], off
	s_waitcnt vmcnt(0)
	v_cvt_f64_u32_e32 v[4:5], v4
.LBB118_1474:
	s_waitcnt vmcnt(0)
	v_mov_b32_e32 v6, 0
	v_mov_b32_e32 v7, 0
.LBB118_1475:
	s_or_b64 s[28:29], s[28:29], exec
.LBB118_1476:
	s_or_b64 exec, exec, s[0:1]
	s_mov_b64 s[30:31], 0
	s_mov_b64 s[26:27], 0
                                        ; implicit-def: $sgpr20_sgpr21
                                        ; implicit-def: $sgpr34
                                        ; implicit-def: $vgpr8_vgpr9
	s_and_saveexec_b64 s[22:23], s[28:29]
	s_cbranch_execz .LBB118_1554
; %bb.1477:
	s_andn2_b64 vcc, exec, s[16:17]
	s_cbranch_vccnz .LBB118_1558
; %bb.1478:
	s_waitcnt vmcnt(0)
	v_cmp_neq_f64_e32 vcc, v[0:1], v[4:5]
	v_cmp_neq_f64_e64 s[0:1], v[2:3], v[6:7]
	s_or_b64 s[20:21], vcc, s[0:1]
	s_cbranch_execnz .LBB118_1480
.LBB118_1479:
	s_waitcnt vmcnt(0)
	v_cmp_eq_f64_e32 vcc, v[0:1], v[4:5]
	v_cmp_eq_f64_e64 s[0:1], v[2:3], v[6:7]
	s_andn2_b64 s[16:17], s[20:21], exec
	s_and_b64 s[0:1], vcc, s[0:1]
	s_and_b64 s[0:1], s[0:1], exec
	s_or_b64 s[20:21], s[16:17], s[0:1]
.LBB118_1480:
	s_waitcnt vmcnt(0)
	v_mul_lo_u32 v0, v10, s12
	v_mov_b32_e32 v1, s9
	s_and_b32 s34, s33, 0xff
	s_cmp_lt_i32 s34, 11
	v_ashrrev_i32_e32 v2, 31, v0
	v_add_co_u32_e32 v8, vcc, s8, v0
	v_addc_co_u32_e32 v9, vcc, v1, v2, vcc
	s_cbranch_scc1 .LBB118_1557
; %bb.1481:
	s_and_b32 s35, 0xffff, s34
	s_mov_b64 s[26:27], -1
	s_cmp_gt_i32 s35, 25
	s_mov_b64 s[0:1], s[18:19]
	s_cbranch_scc0 .LBB118_1514
; %bb.1482:
	s_mov_b64 s[16:17], -1
	s_cmp_gt_i32 s35, 28
	s_mov_b64 s[0:1], s[18:19]
	s_cbranch_scc0 .LBB118_1498
; %bb.1483:
	s_cmp_gt_i32 s35, 43
	s_mov_b64 s[0:1], s[18:19]
	s_cbranch_scc0 .LBB118_1494
; %bb.1484:
	;; [unrolled: 4-line block ×3, first 2 shown]
	s_cmp_eq_u32 s35, 46
	s_mov_b64 s[0:1], -1
	s_cbranch_scc0 .LBB118_1487
; %bb.1486:
	v_cndmask_b32_e64 v0, 0, 1.0, s[20:21]
	v_bfe_u32 v1, v0, 16, 1
	s_movk_i32 s0, 0x7fff
	v_add3_u32 v0, v0, v1, s0
	v_lshrrev_b32_e32 v0, 16, v0
	global_store_dword v[8:9], v0, off
	s_mov_b64 s[0:1], 0
.LBB118_1487:
	s_mov_b64 s[16:17], 0
.LBB118_1488:
	s_and_b64 vcc, exec, s[16:17]
	s_cbranch_vccz .LBB118_1493
; %bb.1489:
	s_cmp_eq_u32 s35, 44
	s_mov_b64 s[0:1], -1
	s_cbranch_scc0 .LBB118_1493
; %bb.1490:
	v_cndmask_b32_e64 v1, 0, 1.0, s[20:21]
	v_lshrrev_b32_e32 v0, 23, v1
	s_movk_i32 s0, 0xff
	v_cmp_ne_u32_e32 vcc, s0, v0
	v_mov_b32_e32 v2, 0xff
	s_and_saveexec_b64 s[16:17], vcc
; %bb.1491:
	s_mov_b32 s0, 0x3fffff
	v_and_b32_e32 v2, 0x400000, v1
	v_and_or_b32 v1, v1, s0, v0
	v_cmp_ne_u32_e32 vcc, 0, v2
	v_cmp_ne_u32_e64 s[0:1], 0, v1
	s_and_b64 s[0:1], vcc, s[0:1]
	v_cndmask_b32_e64 v1, 0, 1, s[0:1]
	v_add_u32_e32 v2, v0, v1
; %bb.1492:
	s_or_b64 exec, exec, s[16:17]
	s_mov_b64 s[0:1], 0
	global_store_byte v[8:9], v2, off
.LBB118_1493:
	s_mov_b64 s[16:17], 0
.LBB118_1494:
	s_and_b64 vcc, exec, s[16:17]
	s_cbranch_vccz .LBB118_1497
; %bb.1495:
	s_cmp_eq_u32 s35, 29
	s_mov_b64 s[0:1], -1
	s_cbranch_scc0 .LBB118_1497
; %bb.1496:
	s_mov_b32 s0, 0
	v_cndmask_b32_e64 v0, 0, 1, s[20:21]
	v_mov_b32_e32 v1, s0
	global_store_dwordx2 v[8:9], v[0:1], off
	s_mov_b64 s[0:1], 0
.LBB118_1497:
	s_mov_b64 s[16:17], 0
.LBB118_1498:
	s_and_b64 vcc, exec, s[16:17]
	s_cbranch_vccz .LBB118_1513
; %bb.1499:
	s_cmp_lt_i32 s35, 27
	s_mov_b64 s[16:17], -1
	s_cbranch_scc1 .LBB118_1505
; %bb.1500:
	s_cmp_gt_i32 s35, 27
	v_cndmask_b32_e64 v0, 0, 1, s[20:21]
	s_cbranch_scc0 .LBB118_1502
; %bb.1501:
	s_mov_b64 s[16:17], 0
	global_store_dword v[8:9], v0, off
.LBB118_1502:
	s_andn2_b64 vcc, exec, s[16:17]
	s_cbranch_vccnz .LBB118_1504
; %bb.1503:
	global_store_short v[8:9], v0, off
.LBB118_1504:
	s_mov_b64 s[16:17], 0
.LBB118_1505:
	s_andn2_b64 vcc, exec, s[16:17]
	s_cbranch_vccnz .LBB118_1513
; %bb.1506:
	v_cndmask_b32_e64 v1, 0, 1.0, s[20:21]
	s_mov_b32 s16, 0x43800000
	v_cmp_gt_u32_e32 vcc, s16, v1
	v_mov_b32_e32 v2, 0x80
	s_and_saveexec_b64 s[16:17], vcc
	s_cbranch_execz .LBB118_1512
; %bb.1507:
	s_mov_b32 s26, 0x3bffffff
	v_cmp_lt_u32_e32 vcc, s26, v1
	s_mov_b64 s[26:27], 0
                                        ; implicit-def: $vgpr0
	s_and_saveexec_b64 s[28:29], vcc
	s_xor_b64 s[28:29], exec, s[28:29]
	s_cbranch_execz .LBB118_1615
; %bb.1508:
	v_bfe_u32 v0, v1, 20, 1
	s_mov_b32 s30, 0x487ffff
	v_add3_u32 v0, v1, v0, s30
	s_mov_b64 s[26:27], exec
	v_lshrrev_b32_e32 v0, 20, v0
                                        ; implicit-def: $vgpr1
	s_andn2_saveexec_b64 s[28:29], s[28:29]
	s_cbranch_execnz .LBB118_1616
.LBB118_1509:
	s_or_b64 exec, exec, s[28:29]
	v_mov_b32_e32 v2, 0
	s_and_saveexec_b64 s[28:29], s[26:27]
.LBB118_1510:
	v_mov_b32_e32 v2, v0
.LBB118_1511:
	s_or_b64 exec, exec, s[28:29]
.LBB118_1512:
	s_or_b64 exec, exec, s[16:17]
	global_store_byte v[8:9], v2, off
.LBB118_1513:
	s_mov_b64 s[26:27], 0
.LBB118_1514:
	s_mov_b64 s[16:17], 0
	s_and_b64 vcc, exec, s[26:27]
	s_cbranch_vccz .LBB118_1559
; %bb.1515:
	s_cmp_gt_i32 s35, 22
	s_mov_b64 s[26:27], -1
	s_cbranch_scc0 .LBB118_1547
; %bb.1516:
	s_cmp_lt_i32 s35, 24
	s_cbranch_scc1 .LBB118_1536
; %bb.1517:
	s_cmp_gt_i32 s35, 24
	s_cbranch_scc0 .LBB118_1525
; %bb.1518:
	v_cndmask_b32_e64 v1, 0, 1.0, s[20:21]
	s_mov_b32 s26, 0x47800000
	v_cmp_gt_u32_e32 vcc, s26, v1
	v_mov_b32_e32 v2, 0x80
	s_and_saveexec_b64 s[26:27], vcc
	s_cbranch_execz .LBB118_1524
; %bb.1519:
	s_mov_b32 s28, 0x37ffffff
	v_cmp_lt_u32_e32 vcc, s28, v1
	s_mov_b64 s[28:29], 0
                                        ; implicit-def: $vgpr0
	s_and_saveexec_b64 s[30:31], vcc
	s_xor_b64 s[30:31], exec, s[30:31]
	s_cbranch_execz .LBB118_1745
; %bb.1520:
	v_bfe_u32 v0, v1, 21, 1
	s_mov_b32 s36, 0x88fffff
	v_add3_u32 v0, v1, v0, s36
	s_mov_b64 s[28:29], exec
	v_lshrrev_b32_e32 v0, 21, v0
                                        ; implicit-def: $vgpr1
	s_andn2_saveexec_b64 s[30:31], s[30:31]
	s_cbranch_execnz .LBB118_1746
.LBB118_1521:
	s_or_b64 exec, exec, s[30:31]
	v_mov_b32_e32 v2, 0
	s_and_saveexec_b64 s[30:31], s[28:29]
.LBB118_1522:
	v_mov_b32_e32 v2, v0
.LBB118_1523:
	s_or_b64 exec, exec, s[30:31]
.LBB118_1524:
	s_or_b64 exec, exec, s[26:27]
	s_mov_b64 s[26:27], 0
	global_store_byte v[8:9], v2, off
.LBB118_1525:
	s_and_b64 vcc, exec, s[26:27]
	s_cbranch_vccz .LBB118_1535
; %bb.1526:
	v_cndmask_b32_e64 v0, 0, 1.0, s[20:21]
	s_mov_b32 s26, 0x43f00000
	v_cmp_gt_u32_e32 vcc, s26, v0
                                        ; implicit-def: $vgpr1
	s_and_saveexec_b64 s[26:27], vcc
	s_xor_b64 s[26:27], exec, s[26:27]
	s_cbranch_execz .LBB118_1532
; %bb.1527:
	s_mov_b32 s28, 0x3c7fffff
	v_cmp_lt_u32_e32 vcc, s28, v0
                                        ; implicit-def: $vgpr1
	s_and_saveexec_b64 s[28:29], vcc
	s_xor_b64 s[28:29], exec, s[28:29]
; %bb.1528:
	v_bfe_u32 v1, v0, 20, 1
	s_mov_b32 s30, 0x407ffff
	v_add3_u32 v0, v0, v1, s30
	v_lshrrev_b32_e32 v1, 20, v0
	v_and_b32_e32 v0, 0xff00000, v0
	s_mov_b32 s30, 0x7f00000
	v_mov_b32_e32 v2, 0x7e
	v_cmp_ne_u32_e32 vcc, s30, v0
	v_cndmask_b32_e32 v1, v2, v1, vcc
                                        ; implicit-def: $vgpr0
; %bb.1529:
	s_andn2_saveexec_b64 s[28:29], s[28:29]
; %bb.1530:
	v_add_f32_e32 v1, 0x46800000, v0
; %bb.1531:
	s_or_b64 exec, exec, s[28:29]
                                        ; implicit-def: $vgpr0
.LBB118_1532:
	s_andn2_saveexec_b64 s[26:27], s[26:27]
; %bb.1533:
	s_mov_b32 s28, 0x7f800000
	v_mov_b32_e32 v1, 0x7e
	v_mov_b32_e32 v2, 0x7f
	v_cmp_lt_u32_e32 vcc, s28, v0
	v_cndmask_b32_e32 v1, v1, v2, vcc
; %bb.1534:
	s_or_b64 exec, exec, s[26:27]
	global_store_byte v[8:9], v1, off
.LBB118_1535:
	s_mov_b64 s[26:27], 0
.LBB118_1536:
	s_andn2_b64 vcc, exec, s[26:27]
	s_cbranch_vccnz .LBB118_1546
; %bb.1537:
	v_cndmask_b32_e64 v0, 0, 1.0, s[20:21]
	s_mov_b32 s26, 0x47800000
	v_cmp_gt_u32_e32 vcc, s26, v0
                                        ; implicit-def: $vgpr1
	s_and_saveexec_b64 s[26:27], vcc
	s_xor_b64 s[26:27], exec, s[26:27]
	s_cbranch_execz .LBB118_1543
; %bb.1538:
	s_mov_b32 s28, 0x387fffff
	v_cmp_lt_u32_e32 vcc, s28, v0
                                        ; implicit-def: $vgpr1
	s_and_saveexec_b64 s[28:29], vcc
	s_xor_b64 s[28:29], exec, s[28:29]
; %bb.1539:
	v_bfe_u32 v1, v0, 21, 1
	s_mov_b32 s30, 0x80fffff
	v_add3_u32 v0, v0, v1, s30
	v_lshrrev_b32_e32 v1, 21, v0
                                        ; implicit-def: $vgpr0
; %bb.1540:
	s_andn2_saveexec_b64 s[28:29], s[28:29]
; %bb.1541:
	v_add_f32_e32 v1, 0x43000000, v0
; %bb.1542:
	s_or_b64 exec, exec, s[28:29]
                                        ; implicit-def: $vgpr0
.LBB118_1543:
	s_andn2_saveexec_b64 s[26:27], s[26:27]
; %bb.1544:
	s_mov_b32 s28, 0x7f800000
	v_mov_b32_e32 v1, 0x7c
	v_mov_b32_e32 v2, 0x7f
	v_cmp_lt_u32_e32 vcc, s28, v0
	v_cndmask_b32_e32 v1, v1, v2, vcc
; %bb.1545:
	s_or_b64 exec, exec, s[26:27]
	global_store_byte v[8:9], v1, off
.LBB118_1546:
	s_mov_b64 s[26:27], 0
.LBB118_1547:
	s_andn2_b64 vcc, exec, s[26:27]
	s_mov_b64 s[28:29], 0
	s_cbranch_vccnz .LBB118_1560
; %bb.1548:
	s_cmp_gt_i32 s35, 14
	s_mov_b64 s[26:27], -1
	s_cbranch_scc0 .LBB118_1552
; %bb.1549:
	s_cmp_eq_u32 s35, 15
	s_mov_b64 s[0:1], -1
	s_cbranch_scc0 .LBB118_1551
; %bb.1550:
	v_cndmask_b32_e64 v0, 0, 1.0, s[20:21]
	v_bfe_u32 v1, v0, 16, 1
	s_movk_i32 s0, 0x7fff
	v_add3_u32 v0, v0, v1, s0
	global_store_short_d16_hi v[8:9], v0, off
	s_mov_b64 s[0:1], 0
.LBB118_1551:
	s_mov_b64 s[26:27], 0
.LBB118_1552:
	s_and_b64 vcc, exec, s[26:27]
	s_cbranch_vccz .LBB118_1560
; %bb.1553:
	s_cmp_lg_u32 s35, 11
	s_cselect_b64 s[26:27], -1, 0
	s_andn2_b64 s[0:1], s[0:1], exec
	s_and_b64 s[26:27], s[26:27], exec
	s_mov_b64 s[28:29], -1
	s_or_b64 s[0:1], s[0:1], s[26:27]
	s_branch .LBB118_1560
.LBB118_1554:
	s_or_b64 exec, exec, s[22:23]
	s_and_saveexec_b64 s[0:1], s[18:19]
	s_cbranch_execnz .LBB118_1561
.LBB118_1555:
	s_or_b64 exec, exec, s[0:1]
	s_and_saveexec_b64 s[0:1], s[30:31]
	s_xor_b64 s[0:1], exec, s[0:1]
	s_cbranch_execz .LBB118_1562
.LBB118_1556:
	s_waitcnt vmcnt(0)
	v_cndmask_b32_e64 v0, 0, 1, s[20:21]
	global_store_byte v[8:9], v0, off
	s_or_b64 exec, exec, s[0:1]
	s_and_saveexec_b64 s[0:1], s[26:27]
	s_xor_b64 s[0:1], exec, s[0:1]
	s_cbranch_execz .LBB118_1600
	s_branch .LBB118_1563
.LBB118_1557:
	s_mov_b64 s[28:29], 0
	s_mov_b64 s[16:17], -1
	s_mov_b64 s[0:1], s[18:19]
	s_branch .LBB118_1560
.LBB118_1558:
                                        ; implicit-def: $sgpr20_sgpr21
	s_branch .LBB118_1479
.LBB118_1559:
	s_mov_b64 s[28:29], 0
.LBB118_1560:
	s_and_b64 s[26:27], s[16:17], exec
	s_andn2_b64 s[16:17], s[18:19], exec
	s_and_b64 s[0:1], s[0:1], exec
	s_and_b64 s[30:31], s[28:29], exec
	s_or_b64 s[18:19], s[16:17], s[0:1]
	s_or_b64 exec, exec, s[22:23]
	s_and_saveexec_b64 s[0:1], s[18:19]
	s_cbranch_execz .LBB118_1555
.LBB118_1561:
	s_or_b64 s[24:25], s[24:25], exec
	s_andn2_b64 s[30:31], s[30:31], exec
	s_trap 2
	s_or_b64 exec, exec, s[0:1]
	s_and_saveexec_b64 s[0:1], s[30:31]
	s_xor_b64 s[0:1], exec, s[0:1]
	s_cbranch_execnz .LBB118_1556
.LBB118_1562:
	s_or_b64 exec, exec, s[0:1]
	s_and_saveexec_b64 s[0:1], s[26:27]
	s_xor_b64 s[0:1], exec, s[0:1]
	s_cbranch_execz .LBB118_1600
.LBB118_1563:
	s_sext_i32_i16 s18, s34
	s_cmp_lt_i32 s18, 5
	s_mov_b64 s[16:17], -1
	s_cbranch_scc1 .LBB118_1584
; %bb.1564:
	s_cmp_lt_i32 s18, 8
	s_cbranch_scc1 .LBB118_1574
; %bb.1565:
	s_cmp_lt_i32 s18, 9
	s_cbranch_scc1 .LBB118_1571
; %bb.1566:
	s_cmp_gt_i32 s18, 9
	s_cbranch_scc0 .LBB118_1568
; %bb.1567:
	s_waitcnt vmcnt(0)
	v_cndmask_b32_e64 v0, 0, 1, s[20:21]
	v_cvt_f64_u32_e32 v[0:1], v0
	v_mov_b32_e32 v2, 0
	v_mov_b32_e32 v3, v2
	s_mov_b64 s[16:17], 0
	global_store_dwordx4 v[8:9], v[0:3], off
.LBB118_1568:
	s_andn2_b64 vcc, exec, s[16:17]
	s_cbranch_vccnz .LBB118_1570
; %bb.1569:
	s_waitcnt vmcnt(0)
	v_cndmask_b32_e64 v0, 0, 1.0, s[20:21]
	v_mov_b32_e32 v1, 0
	global_store_dwordx2 v[8:9], v[0:1], off
.LBB118_1570:
	s_mov_b64 s[16:17], 0
.LBB118_1571:
	s_andn2_b64 vcc, exec, s[16:17]
	s_cbranch_vccnz .LBB118_1573
; %bb.1572:
	s_waitcnt vmcnt(0)
	v_cndmask_b32_e64 v0, 0, 1.0, s[20:21]
	v_cvt_f16_f32_e32 v0, v0
	global_store_dword v[8:9], v0, off
.LBB118_1573:
	s_mov_b64 s[16:17], 0
.LBB118_1574:
	s_andn2_b64 vcc, exec, s[16:17]
	s_cbranch_vccnz .LBB118_1583
; %bb.1575:
	s_sext_i32_i16 s18, s34
	s_cmp_lt_i32 s18, 6
	s_mov_b64 s[16:17], -1
	s_cbranch_scc1 .LBB118_1581
; %bb.1576:
	s_cmp_gt_i32 s18, 6
	s_cbranch_scc0 .LBB118_1578
; %bb.1577:
	s_waitcnt vmcnt(0)
	v_cndmask_b32_e64 v0, 0, 1, s[20:21]
	v_cvt_f64_u32_e32 v[0:1], v0
	s_mov_b64 s[16:17], 0
	global_store_dwordx2 v[8:9], v[0:1], off
.LBB118_1578:
	s_andn2_b64 vcc, exec, s[16:17]
	s_cbranch_vccnz .LBB118_1580
; %bb.1579:
	s_waitcnt vmcnt(0)
	v_cndmask_b32_e64 v0, 0, 1.0, s[20:21]
	global_store_dword v[8:9], v0, off
.LBB118_1580:
	s_mov_b64 s[16:17], 0
.LBB118_1581:
	s_andn2_b64 vcc, exec, s[16:17]
	s_cbranch_vccnz .LBB118_1583
; %bb.1582:
	s_waitcnt vmcnt(0)
	v_cndmask_b32_e64 v0, 0, 1.0, s[20:21]
	v_cvt_f16_f32_e32 v0, v0
	global_store_short v[8:9], v0, off
.LBB118_1583:
	s_mov_b64 s[16:17], 0
.LBB118_1584:
	s_andn2_b64 vcc, exec, s[16:17]
	s_cbranch_vccnz .LBB118_1600
; %bb.1585:
	s_sext_i32_i16 s18, s34
	s_cmp_lt_i32 s18, 2
	s_mov_b64 s[16:17], -1
	s_cbranch_scc1 .LBB118_1595
; %bb.1586:
	s_cmp_lt_i32 s18, 3
	s_cbranch_scc1 .LBB118_1592
; %bb.1587:
	s_cmp_gt_i32 s18, 3
	s_cbranch_scc0 .LBB118_1589
; %bb.1588:
	s_mov_b32 s16, 0
	s_waitcnt vmcnt(0)
	v_cndmask_b32_e64 v0, 0, 1, s[20:21]
	v_mov_b32_e32 v1, s16
	s_mov_b64 s[16:17], 0
	global_store_dwordx2 v[8:9], v[0:1], off
.LBB118_1589:
	s_andn2_b64 vcc, exec, s[16:17]
	s_cbranch_vccnz .LBB118_1591
; %bb.1590:
	s_waitcnt vmcnt(0)
	v_cndmask_b32_e64 v0, 0, 1, s[20:21]
	global_store_dword v[8:9], v0, off
.LBB118_1591:
	s_mov_b64 s[16:17], 0
.LBB118_1592:
	s_andn2_b64 vcc, exec, s[16:17]
	s_cbranch_vccnz .LBB118_1594
; %bb.1593:
	s_waitcnt vmcnt(0)
	v_cndmask_b32_e64 v0, 0, 1, s[20:21]
	global_store_short v[8:9], v0, off
.LBB118_1594:
	s_mov_b64 s[16:17], 0
.LBB118_1595:
	s_andn2_b64 vcc, exec, s[16:17]
	s_cbranch_vccnz .LBB118_1600
; %bb.1596:
	s_sext_i32_i16 s18, s34
	s_mov_b64 s[16:17], -1
	s_cmp_gt_i32 s18, 0
	s_waitcnt vmcnt(0)
	v_cndmask_b32_e64 v0, 0, 1, s[20:21]
	s_cbranch_scc0 .LBB118_1598
; %bb.1597:
	s_mov_b64 s[16:17], 0
	global_store_byte v[8:9], v0, off
.LBB118_1598:
	s_andn2_b64 vcc, exec, s[16:17]
	s_cbranch_vccnz .LBB118_1600
; %bb.1599:
	global_store_byte v[8:9], v0, off
.LBB118_1600:
	s_or_b64 exec, exec, s[0:1]
	s_and_b64 s[16:17], s[24:25], exec
                                        ; implicit-def: $vgpr10
.LBB118_1601:
	s_or_saveexec_b64 s[6:7], s[6:7]
	s_mov_b64 s[0:1], 0
                                        ; implicit-def: $sgpr20_sgpr21
                                        ; implicit-def: $sgpr28
                                        ; implicit-def: $vgpr0_vgpr1
	s_xor_b64 exec, exec, s[6:7]
	s_cbranch_execz .LBB118_2695
; %bb.1602:
	v_mul_lo_u32 v11, s13, v10
	s_waitcnt vmcnt(0)
	v_mov_b32_e32 v0, s11
	s_and_b32 s30, s57, 0xff
	s_cmp_lt_i32 s30, 11
	v_ashrrev_i32_e32 v1, 31, v11
	v_add_co_u32_e32 v4, vcc, s10, v11
	v_addc_co_u32_e32 v5, vcc, v0, v1, vcc
	s_cbranch_scc1 .LBB118_1609
; %bb.1603:
	s_and_b32 s24, 0xffff, s30
	s_cmp_gt_i32 s24, 25
	s_cbranch_scc0 .LBB118_1611
; %bb.1604:
	s_cmp_gt_i32 s24, 28
	s_cbranch_scc0 .LBB118_1612
; %bb.1605:
	;; [unrolled: 3-line block ×4, first 2 shown]
	s_cmp_eq_u32 s24, 46
	s_mov_b64 s[18:19], 0
	s_cbranch_scc0 .LBB118_1617
; %bb.1608:
	global_load_dword v0, v[4:5], off
	s_mov_b64 s[20:21], -1
	s_waitcnt vmcnt(0)
	v_and_b32_e32 v2, 0xffff0000, v0
	v_lshlrev_b32_e32 v0, 16, v0
	v_cvt_f64_f32_e32 v[0:1], v0
	v_cvt_f64_f32_e32 v[2:3], v2
	s_branch .LBB118_1618
.LBB118_1609:
	s_mov_b64 s[20:21], 0
                                        ; implicit-def: $vgpr2_vgpr3
	s_mov_b64 s[18:19], s[16:17]
	s_cbranch_execnz .LBB118_1684
.LBB118_1610:
	s_andn2_b64 vcc, exec, s[20:21]
	s_cbranch_vccz .LBB118_1731
	s_branch .LBB118_2692
.LBB118_1611:
	s_mov_b64 s[20:21], 0
                                        ; implicit-def: $vgpr2_vgpr3
	s_cbranch_execnz .LBB118_1650
	s_branch .LBB118_1680
.LBB118_1612:
	s_mov_b64 s[20:21], 0
                                        ; implicit-def: $vgpr2_vgpr3
	s_cbranch_execnz .LBB118_1630
	s_branch .LBB118_1649
.LBB118_1613:
	s_mov_b64 s[18:19], -1
	s_mov_b64 s[20:21], 0
                                        ; implicit-def: $vgpr2_vgpr3
	s_branch .LBB118_1624
.LBB118_1614:
	s_mov_b64 s[18:19], -1
	s_mov_b64 s[20:21], 0
                                        ; implicit-def: $vgpr2_vgpr3
	s_branch .LBB118_1618
.LBB118_1615:
	s_andn2_saveexec_b64 s[28:29], s[28:29]
	s_cbranch_execz .LBB118_1509
.LBB118_1616:
	v_add_f32_e32 v0, 0x46000000, v1
	v_and_b32_e32 v0, 0xff, v0
	v_cmp_ne_u32_e32 vcc, 0, v0
	s_andn2_b64 s[26:27], s[26:27], exec
	s_and_b64 s[30:31], vcc, exec
	s_or_b64 s[26:27], s[26:27], s[30:31]
	s_or_b64 exec, exec, s[28:29]
	v_mov_b32_e32 v2, 0
	s_and_saveexec_b64 s[28:29], s[26:27]
	s_cbranch_execnz .LBB118_1510
	s_branch .LBB118_1511
.LBB118_1617:
	s_mov_b64 s[0:1], -1
                                        ; implicit-def: $vgpr2_vgpr3
	s_mov_b64 s[20:21], 0
.LBB118_1618:
	s_and_b64 vcc, exec, s[18:19]
	s_cbranch_vccz .LBB118_1623
; %bb.1619:
	s_cmp_eq_u32 s24, 44
	s_cbranch_scc0 .LBB118_1621
; %bb.1620:
	global_load_ubyte v2, v[4:5], off
	s_movk_i32 s18, 0xff
	v_bfrev_b32_e32 v3, 4
	v_mov_b32_e32 v6, 0x7ff80000
	v_bfrev_b32_e32 v7, 28
	s_mov_b64 s[0:1], 0
	s_mov_b64 s[20:21], -1
	s_waitcnt vmcnt(0)
	v_lshlrev_b32_e32 v0, 23, v2
	v_cvt_f64_f32_e32 v[0:1], v0
	v_cmp_ne_u32_e32 vcc, s18, v2
	v_cndmask_b32_e32 v0, v3, v0, vcc
	v_cndmask_b32_e32 v1, v6, v1, vcc
	v_cmp_ne_u32_e32 vcc, 0, v2
	v_cndmask_b32_e32 v1, v7, v1, vcc
	v_cndmask_b32_e32 v0, 0, v0, vcc
	s_branch .LBB118_1622
.LBB118_1621:
	s_mov_b64 s[0:1], -1
                                        ; implicit-def: $vgpr0_vgpr1
.LBB118_1622:
	v_mov_b32_e32 v2, 0
	v_mov_b32_e32 v3, 0
.LBB118_1623:
	s_mov_b64 s[18:19], 0
.LBB118_1624:
	s_and_b64 vcc, exec, s[18:19]
	s_cbranch_vccz .LBB118_1629
; %bb.1625:
	s_cmp_eq_u32 s24, 29
	s_cbranch_scc0 .LBB118_1627
; %bb.1626:
	global_load_dwordx2 v[0:1], v[4:5], off
	s_mov_b64 s[0:1], 0
	s_mov_b64 s[20:21], -1
	s_waitcnt vmcnt(0)
	v_cvt_f64_u32_e32 v[1:2], v1
	v_cvt_f64_u32_e32 v[6:7], v0
	v_ldexp_f64 v[1:2], v[1:2], 32
	v_add_f64 v[0:1], v[1:2], v[6:7]
	s_branch .LBB118_1628
.LBB118_1627:
	s_mov_b64 s[0:1], -1
                                        ; implicit-def: $vgpr0_vgpr1
.LBB118_1628:
	v_mov_b32_e32 v2, 0
	v_mov_b32_e32 v3, 0
.LBB118_1629:
	s_branch .LBB118_1649
.LBB118_1630:
	s_cmp_lt_i32 s24, 27
	s_cbranch_scc1 .LBB118_1633
; %bb.1631:
	s_cmp_gt_i32 s24, 27
	s_cbranch_scc0 .LBB118_1634
; %bb.1632:
	global_load_dword v0, v[4:5], off
	s_mov_b64 s[18:19], 0
	s_waitcnt vmcnt(0)
	v_cvt_f64_u32_e32 v[0:1], v0
	s_branch .LBB118_1635
.LBB118_1633:
	s_mov_b64 s[18:19], -1
                                        ; implicit-def: $vgpr0_vgpr1
	s_branch .LBB118_1638
.LBB118_1634:
	s_mov_b64 s[18:19], -1
                                        ; implicit-def: $vgpr0_vgpr1
.LBB118_1635:
	s_andn2_b64 vcc, exec, s[18:19]
	s_cbranch_vccnz .LBB118_1637
; %bb.1636:
	global_load_ushort v0, v[4:5], off
	s_waitcnt vmcnt(0)
	v_cvt_f64_u32_e32 v[0:1], v0
.LBB118_1637:
	s_mov_b64 s[18:19], 0
.LBB118_1638:
	s_andn2_b64 vcc, exec, s[18:19]
	s_cbranch_vccnz .LBB118_1648
; %bb.1639:
	global_load_ubyte v2, v[4:5], off
	s_movk_i32 s18, 0x7f
	s_waitcnt vmcnt(0)
	v_cmp_lt_i16_e32 vcc, s18, v2
	s_mov_b64 s[18:19], 0
	s_and_saveexec_b64 s[20:21], vcc
	s_xor_b64 s[20:21], exec, s[20:21]
	s_cbranch_execz .LBB118_1643
; %bb.1640:
	s_movk_i32 s18, 0x80
	v_cmp_eq_u16_e32 vcc, s18, v2
	s_mov_b64 s[18:19], -1
	s_and_saveexec_b64 s[22:23], vcc
; %bb.1641:
	s_xor_b64 s[18:19], exec, -1
; %bb.1642:
	s_or_b64 exec, exec, s[22:23]
	s_and_b64 s[18:19], s[18:19], exec
.LBB118_1643:
	s_or_saveexec_b64 s[20:21], s[20:21]
	v_bfrev_b32_e32 v0, 4
	v_mov_b32_e32 v1, 0x7ff80000
	s_xor_b64 exec, exec, s[20:21]
; %bb.1644:
	v_cmp_ne_u16_e32 vcc, 0, v2
	v_mov_b32_e32 v0, 0
	s_andn2_b64 s[18:19], s[18:19], exec
	s_and_b64 s[22:23], vcc, exec
	v_mov_b32_e32 v1, 0
	s_or_b64 s[18:19], s[18:19], s[22:23]
; %bb.1645:
	s_or_b64 exec, exec, s[20:21]
	s_and_saveexec_b64 s[20:21], s[18:19]
	s_cbranch_execz .LBB118_1647
; %bb.1646:
	v_and_b32_e32 v1, 0xffff, v2
	v_lshlrev_b32_e32 v0, 24, v2
	v_and_b32_e32 v2, 7, v1
	v_ffbh_u32_e32 v6, v2
	v_min_u32_e32 v6, 32, v6
	v_subrev_u32_e32 v7, 28, v6
	v_bfe_u32 v3, v1, 3, 4
	v_lshlrev_b32_e32 v1, v7, v1
	v_sub_u32_e32 v6, 29, v6
	v_and_b32_e32 v1, 7, v1
	v_cmp_eq_u32_e32 vcc, 0, v3
	v_cndmask_b32_e32 v3, v3, v6, vcc
	v_cndmask_b32_e32 v1, v2, v1, vcc
	v_mov_b32_e32 v2, 0x3b800000
	v_lshlrev_b32_e32 v1, 20, v1
	v_and_b32_e32 v0, 0x80000000, v0
	v_lshl_add_u32 v2, v3, 23, v2
	v_or3_b32 v0, v0, v2, v1
	v_cvt_f64_f32_e32 v[0:1], v0
.LBB118_1647:
	s_or_b64 exec, exec, s[20:21]
.LBB118_1648:
	v_mov_b32_e32 v2, 0
	v_mov_b32_e32 v3, 0
	s_mov_b64 s[20:21], -1
.LBB118_1649:
	s_branch .LBB118_1680
.LBB118_1650:
	s_cmp_gt_i32 s24, 22
	s_cbranch_scc0 .LBB118_1662
; %bb.1651:
	s_cmp_lt_i32 s24, 24
	s_cbranch_scc1 .LBB118_1663
; %bb.1652:
	s_cmp_gt_i32 s24, 24
	s_cbranch_scc0 .LBB118_1664
; %bb.1653:
	global_load_ubyte v2, v[4:5], off
	s_movk_i32 s4, 0x7f
	s_waitcnt vmcnt(0)
	v_cmp_lt_i16_e32 vcc, s4, v2
	s_mov_b64 s[4:5], 0
	s_and_saveexec_b64 s[18:19], vcc
	s_xor_b64 s[18:19], exec, s[18:19]
	s_cbranch_execz .LBB118_1657
; %bb.1654:
	s_movk_i32 s4, 0x80
	v_cmp_eq_u16_e32 vcc, s4, v2
	s_mov_b64 s[4:5], -1
	s_and_saveexec_b64 s[20:21], vcc
; %bb.1655:
	s_xor_b64 s[4:5], exec, -1
; %bb.1656:
	s_or_b64 exec, exec, s[20:21]
	s_and_b64 s[4:5], s[4:5], exec
.LBB118_1657:
	s_or_saveexec_b64 s[18:19], s[18:19]
	v_bfrev_b32_e32 v0, 4
	v_mov_b32_e32 v1, 0x7ff80000
	s_xor_b64 exec, exec, s[18:19]
; %bb.1658:
	v_cmp_ne_u16_e32 vcc, 0, v2
	v_mov_b32_e32 v0, 0
	s_andn2_b64 s[4:5], s[4:5], exec
	s_and_b64 s[20:21], vcc, exec
	v_mov_b32_e32 v1, 0
	s_or_b64 s[4:5], s[4:5], s[20:21]
; %bb.1659:
	s_or_b64 exec, exec, s[18:19]
	s_and_saveexec_b64 s[18:19], s[4:5]
	s_cbranch_execz .LBB118_1661
; %bb.1660:
	v_and_b32_e32 v1, 0xffff, v2
	v_lshlrev_b32_e32 v0, 24, v2
	v_and_b32_e32 v2, 3, v1
	v_ffbh_u32_e32 v6, v2
	v_min_u32_e32 v6, 32, v6
	v_subrev_u32_e32 v7, 29, v6
	v_bfe_u32 v3, v1, 2, 5
	v_lshlrev_b32_e32 v1, v7, v1
	v_sub_u32_e32 v6, 30, v6
	v_and_b32_e32 v1, 3, v1
	v_cmp_eq_u32_e32 vcc, 0, v3
	v_cndmask_b32_e32 v3, v3, v6, vcc
	v_cndmask_b32_e32 v1, v2, v1, vcc
	v_mov_b32_e32 v2, 0x37800000
	v_lshlrev_b32_e32 v1, 21, v1
	v_and_b32_e32 v0, 0x80000000, v0
	v_lshl_add_u32 v2, v3, 23, v2
	v_or3_b32 v0, v0, v2, v1
	v_cvt_f64_f32_e32 v[0:1], v0
.LBB118_1661:
	s_or_b64 exec, exec, s[18:19]
	s_mov_b64 s[4:5], 0
	s_branch .LBB118_1665
.LBB118_1662:
                                        ; implicit-def: $vgpr0_vgpr1
	s_mov_b64 s[4:5], 0
	s_branch .LBB118_1671
.LBB118_1663:
	s_mov_b64 s[4:5], -1
                                        ; implicit-def: $vgpr0_vgpr1
	s_branch .LBB118_1668
.LBB118_1664:
	s_mov_b64 s[4:5], -1
                                        ; implicit-def: $vgpr0_vgpr1
.LBB118_1665:
	s_and_b64 vcc, exec, s[4:5]
	s_cbranch_vccz .LBB118_1667
; %bb.1666:
	global_load_ubyte v0, v[4:5], off
	s_mov_b32 s4, 0x7f800000
	s_waitcnt vmcnt(0)
	v_lshlrev_b32_e32 v0, 24, v0
	v_and_b32_e32 v1, 0x7f000000, v0
	v_ffbh_u32_e32 v2, v1
	v_min_u32_e32 v2, 32, v2
	v_sub_u32_e64 v2, v2, 4 clamp
	v_lshlrev_b32_e32 v6, v2, v1
	v_lshlrev_b32_e32 v2, 23, v2
	v_lshrrev_b32_e32 v6, 4, v6
	v_add_u32_e32 v3, 0x1000000, v1
	v_sub_u32_e32 v2, v6, v2
	v_ashrrev_i32_e32 v3, 8, v3
	v_add_u32_e32 v2, 0x3c000000, v2
	v_and_or_b32 v2, v3, s4, v2
	v_cmp_ne_u32_e32 vcc, 0, v1
	v_cndmask_b32_e32 v1, 0, v2, vcc
	s_brev_b32 s4, 1
	v_and_or_b32 v0, v0, s4, v1
	v_cvt_f64_f32_e32 v[0:1], v0
.LBB118_1667:
	s_mov_b64 s[4:5], 0
.LBB118_1668:
	s_andn2_b64 vcc, exec, s[4:5]
	s_cbranch_vccnz .LBB118_1670
; %bb.1669:
	global_load_ubyte v0, v[4:5], off
	s_movk_i32 s4, 0x7f00
	s_brev_b32 s5, 16
	s_waitcnt vmcnt(0)
	v_lshlrev_b16_e32 v1, 8, v0
	v_lshlrev_b32_e32 v0, 25, v0
	v_lshrrev_b32_e32 v2, 4, v0
	v_and_or_b32 v3, v1, s4, 0.5
	v_or_b32_e32 v2, 0x70000000, v2
	v_add_f32_e32 v3, -0.5, v3
	v_mul_f32_e32 v2, 0x7800000, v2
	v_cmp_gt_u32_e32 vcc, s5, v0
	v_bfe_i32 v1, v1, 0, 16
	v_cndmask_b32_e32 v0, v2, v3, vcc
	s_brev_b32 s4, 1
	v_and_or_b32 v0, v1, s4, v0
	v_cvt_f64_f32_e32 v[0:1], v0
.LBB118_1670:
	s_mov_b64 s[20:21], -1
	s_mov_b64 s[4:5], 0
	s_cbranch_execnz .LBB118_1679
.LBB118_1671:
	s_cmp_gt_i32 s24, 14
	s_cbranch_scc0 .LBB118_1674
; %bb.1672:
	s_cmp_eq_u32 s24, 15
	s_cbranch_scc0 .LBB118_1675
; %bb.1673:
	global_load_ushort v0, v[4:5], off
	s_mov_b64 s[0:1], 0
	s_mov_b64 s[20:21], -1
	s_waitcnt vmcnt(0)
	v_lshlrev_b32_e32 v0, 16, v0
	v_cvt_f64_f32_e32 v[0:1], v0
	s_branch .LBB118_1676
.LBB118_1674:
	s_mov_b64 s[18:19], -1
                                        ; implicit-def: $vgpr0_vgpr1
	s_branch .LBB118_1677
.LBB118_1675:
	s_mov_b64 s[0:1], -1
                                        ; implicit-def: $vgpr0_vgpr1
.LBB118_1676:
	s_mov_b64 s[18:19], 0
.LBB118_1677:
	s_and_b64 vcc, exec, s[18:19]
	s_cbranch_vccz .LBB118_1679
; %bb.1678:
	s_cmp_lg_u32 s24, 11
	s_mov_b64 s[4:5], -1
	s_cselect_b64 s[0:1], -1, 0
.LBB118_1679:
	v_mov_b32_e32 v2, 0
	v_mov_b32_e32 v3, 0
.LBB118_1680:
	s_and_b64 vcc, exec, s[0:1]
	s_mov_b64 s[18:19], s[16:17]
	s_cbranch_vccnz .LBB118_1743
; %bb.1681:
	s_andn2_b64 vcc, exec, s[4:5]
	s_cbranch_vccnz .LBB118_1683
.LBB118_1682:
	global_load_ubyte v1, v[4:5], off
	v_mov_b32_e32 v6, 0x3ff00000
	v_mov_b32_e32 v2, 0
	;; [unrolled: 1-line block ×4, first 2 shown]
	s_mov_b64 s[20:21], -1
	s_waitcnt vmcnt(0)
	v_cmp_ne_u16_e32 vcc, 0, v1
	v_cndmask_b32_e32 v1, 0, v6, vcc
.LBB118_1683:
	s_branch .LBB118_1610
.LBB118_1684:
	s_and_b32 s4, 0xffff, s30
	s_cmp_lt_i32 s4, 5
	s_cbranch_scc1 .LBB118_1689
; %bb.1685:
	s_cmp_lt_i32 s4, 8
	s_cbranch_scc1 .LBB118_1691
; %bb.1686:
	;; [unrolled: 3-line block ×3, first 2 shown]
	s_cmp_gt_i32 s4, 9
	s_cbranch_scc0 .LBB118_1693
; %bb.1688:
	global_load_dwordx4 v[0:3], v[4:5], off
	s_mov_b64 s[0:1], 0
	s_branch .LBB118_1694
.LBB118_1689:
                                        ; implicit-def: $vgpr2_vgpr3
	s_branch .LBB118_1712
.LBB118_1690:
	s_branch .LBB118_1731
.LBB118_1691:
                                        ; implicit-def: $vgpr2_vgpr3
	s_branch .LBB118_1700
.LBB118_1692:
	s_mov_b64 s[0:1], -1
                                        ; implicit-def: $vgpr2_vgpr3
	s_branch .LBB118_1697
.LBB118_1693:
	s_mov_b64 s[0:1], -1
                                        ; implicit-def: $vgpr2_vgpr3
.LBB118_1694:
	s_andn2_b64 vcc, exec, s[0:1]
	s_cbranch_vccnz .LBB118_1696
; %bb.1695:
	global_load_dwordx2 v[1:2], v[4:5], off
	s_waitcnt vmcnt(0)
	v_cvt_f64_f32_e32 v[0:1], v1
	v_cvt_f64_f32_e32 v[2:3], v2
.LBB118_1696:
	s_mov_b64 s[0:1], 0
.LBB118_1697:
	s_andn2_b64 vcc, exec, s[0:1]
	s_cbranch_vccnz .LBB118_1699
; %bb.1698:
	global_load_dword v0, v[4:5], off
	s_waitcnt vmcnt(0)
	v_cvt_f32_f16_e32 v1, v0
	v_cvt_f32_f16_sdwa v2, v0 dst_sel:DWORD dst_unused:UNUSED_PAD src0_sel:WORD_1
	v_cvt_f64_f32_e32 v[0:1], v1
	v_cvt_f64_f32_e32 v[2:3], v2
.LBB118_1699:
	s_cbranch_execnz .LBB118_1711
.LBB118_1700:
	s_cmp_lt_i32 s4, 6
	s_cbranch_scc1 .LBB118_1703
; %bb.1701:
	s_cmp_gt_i32 s4, 6
	s_cbranch_scc0 .LBB118_1704
; %bb.1702:
	global_load_dwordx2 v[0:1], v[4:5], off
	s_mov_b64 s[0:1], 0
	s_branch .LBB118_1705
.LBB118_1703:
	s_mov_b64 s[0:1], -1
                                        ; implicit-def: $vgpr0_vgpr1
	s_branch .LBB118_1708
.LBB118_1704:
	s_mov_b64 s[0:1], -1
                                        ; implicit-def: $vgpr0_vgpr1
.LBB118_1705:
	s_andn2_b64 vcc, exec, s[0:1]
	s_cbranch_vccnz .LBB118_1707
; %bb.1706:
	global_load_dword v0, v[4:5], off
	s_waitcnt vmcnt(0)
	v_cvt_f64_f32_e32 v[0:1], v0
.LBB118_1707:
	s_mov_b64 s[0:1], 0
.LBB118_1708:
	s_andn2_b64 vcc, exec, s[0:1]
	s_cbranch_vccnz .LBB118_1710
; %bb.1709:
	global_load_ushort v0, v[4:5], off
	s_waitcnt vmcnt(0)
	v_cvt_f32_f16_e32 v0, v0
	v_cvt_f64_f32_e32 v[0:1], v0
.LBB118_1710:
	s_waitcnt vmcnt(0)
	v_mov_b32_e32 v2, 0
	v_mov_b32_e32 v3, 0
.LBB118_1711:
	s_cbranch_execnz .LBB118_1690
.LBB118_1712:
	s_cmp_lt_i32 s4, 2
	s_cbranch_scc1 .LBB118_1716
; %bb.1713:
	s_cmp_lt_i32 s4, 3
	s_cbranch_scc1 .LBB118_1717
; %bb.1714:
	s_cmp_gt_i32 s4, 3
	s_cbranch_scc0 .LBB118_1718
; %bb.1715:
	global_load_dwordx2 v[0:1], v[4:5], off
	s_mov_b64 s[0:1], 0
	s_waitcnt vmcnt(0)
	v_cvt_f64_i32_e32 v[1:2], v1
	v_cvt_f64_u32_e32 v[6:7], v0
	v_ldexp_f64 v[1:2], v[1:2], 32
	v_add_f64 v[0:1], v[1:2], v[6:7]
	s_branch .LBB118_1719
.LBB118_1716:
                                        ; implicit-def: $vgpr0_vgpr1
	s_branch .LBB118_1725
.LBB118_1717:
	s_mov_b64 s[0:1], -1
                                        ; implicit-def: $vgpr0_vgpr1
	s_branch .LBB118_1722
.LBB118_1718:
	s_mov_b64 s[0:1], -1
                                        ; implicit-def: $vgpr0_vgpr1
.LBB118_1719:
	s_andn2_b64 vcc, exec, s[0:1]
	s_cbranch_vccnz .LBB118_1721
; %bb.1720:
	global_load_dword v0, v[4:5], off
	s_waitcnt vmcnt(0)
	v_cvt_f64_i32_e32 v[0:1], v0
.LBB118_1721:
	s_mov_b64 s[0:1], 0
.LBB118_1722:
	s_andn2_b64 vcc, exec, s[0:1]
	s_cbranch_vccnz .LBB118_1724
; %bb.1723:
	global_load_sshort v0, v[4:5], off
	s_waitcnt vmcnt(0)
	v_cvt_f64_i32_e32 v[0:1], v0
.LBB118_1724:
	s_cbranch_execnz .LBB118_1730
.LBB118_1725:
	s_cmp_gt_i32 s4, 0
	s_cbranch_scc0 .LBB118_1727
; %bb.1726:
	global_load_sbyte v0, v[4:5], off
	s_mov_b64 s[0:1], 0
	s_waitcnt vmcnt(0)
	v_cvt_f64_i32_e32 v[0:1], v0
	s_branch .LBB118_1728
.LBB118_1727:
	s_mov_b64 s[0:1], -1
                                        ; implicit-def: $vgpr0_vgpr1
.LBB118_1728:
	s_andn2_b64 vcc, exec, s[0:1]
	s_cbranch_vccnz .LBB118_1730
; %bb.1729:
	global_load_ubyte v0, v[4:5], off
	s_waitcnt vmcnt(0)
	v_cvt_f64_u32_e32 v[0:1], v0
.LBB118_1730:
	s_waitcnt vmcnt(0)
	v_mov_b32_e32 v2, 0
	v_mov_b32_e32 v3, 0
.LBB118_1731:
	v_mul_lo_u32 v12, s14, v10
	v_mov_b32_e32 v4, s3
	s_and_b32 s31, s56, 0xff
	s_cmp_lt_i32 s31, 11
	v_ashrrev_i32_e32 v5, 31, v12
	v_add_co_u32_e32 v8, vcc, s2, v12
	v_addc_co_u32_e32 v9, vcc, v4, v5, vcc
	s_cbranch_scc1 .LBB118_1738
; %bb.1732:
	s_and_b32 s26, 0xffff, s31
	s_cmp_gt_i32 s26, 25
	s_mov_b64 s[4:5], 0
	s_cbranch_scc0 .LBB118_1740
; %bb.1733:
	s_cmp_gt_i32 s26, 28
	s_cbranch_scc0 .LBB118_1741
; %bb.1734:
	s_cmp_gt_i32 s26, 43
	;; [unrolled: 3-line block ×3, first 2 shown]
	s_cbranch_scc0 .LBB118_1744
; %bb.1736:
	s_cmp_eq_u32 s26, 46
	s_mov_b64 s[22:23], 0
	s_cbranch_scc0 .LBB118_1747
; %bb.1737:
	global_load_dword v4, v[8:9], off
	s_mov_b64 s[0:1], 0
	s_mov_b64 s[20:21], -1
	s_waitcnt vmcnt(0)
	v_and_b32_e32 v6, 0xffff0000, v4
	v_lshlrev_b32_e32 v4, 16, v4
	v_cvt_f64_f32_e32 v[4:5], v4
	v_cvt_f64_f32_e32 v[6:7], v6
	s_branch .LBB118_1748
.LBB118_1738:
	s_mov_b64 s[20:21], 0
                                        ; implicit-def: $vgpr6_vgpr7
	s_cbranch_execnz .LBB118_1816
.LBB118_1739:
	s_andn2_b64 vcc, exec, s[20:21]
	s_cbranch_vccnz .LBB118_2692
	s_branch .LBB118_1865
.LBB118_1740:
	s_mov_b64 s[20:21], 0
	s_mov_b64 s[0:1], 0
                                        ; implicit-def: $vgpr6_vgpr7
	s_cbranch_execnz .LBB118_1781
	s_branch .LBB118_1812
.LBB118_1741:
	s_mov_b64 s[22:23], -1
	s_mov_b64 s[20:21], 0
	s_mov_b64 s[0:1], 0
                                        ; implicit-def: $vgpr6_vgpr7
	s_branch .LBB118_1760
.LBB118_1742:
	s_mov_b64 s[22:23], -1
	s_mov_b64 s[20:21], 0
	s_mov_b64 s[0:1], 0
                                        ; implicit-def: $vgpr6_vgpr7
	s_branch .LBB118_1754
.LBB118_1743:
	s_trap 2
	s_or_b64 s[18:19], s[16:17], exec
	s_cbranch_execz .LBB118_1682
	s_branch .LBB118_1683
.LBB118_1744:
	s_mov_b64 s[22:23], -1
	s_mov_b64 s[20:21], 0
	s_mov_b64 s[0:1], 0
                                        ; implicit-def: $vgpr6_vgpr7
	s_branch .LBB118_1748
.LBB118_1745:
	s_andn2_saveexec_b64 s[30:31], s[30:31]
	s_cbranch_execz .LBB118_1521
.LBB118_1746:
	v_add_f32_e32 v0, 0x42800000, v1
	v_and_b32_e32 v0, 0xff, v0
	v_cmp_ne_u32_e32 vcc, 0, v0
	s_andn2_b64 s[28:29], s[28:29], exec
	s_and_b64 s[36:37], vcc, exec
	s_or_b64 s[28:29], s[28:29], s[36:37]
	s_or_b64 exec, exec, s[30:31]
	v_mov_b32_e32 v2, 0
	s_and_saveexec_b64 s[30:31], s[28:29]
	s_cbranch_execnz .LBB118_1522
	s_branch .LBB118_1523
.LBB118_1747:
	s_mov_b64 s[0:1], -1
                                        ; implicit-def: $vgpr6_vgpr7
	s_mov_b64 s[20:21], 0
.LBB118_1748:
	s_and_b64 vcc, exec, s[22:23]
	s_cbranch_vccz .LBB118_1753
; %bb.1749:
	s_cmp_eq_u32 s26, 44
	s_cbranch_scc0 .LBB118_1751
; %bb.1750:
	global_load_ubyte v6, v[8:9], off
	s_movk_i32 s20, 0xff
	v_bfrev_b32_e32 v7, 4
	v_mov_b32_e32 v13, 0x7ff80000
	v_bfrev_b32_e32 v14, 28
	s_mov_b64 s[0:1], 0
	s_waitcnt vmcnt(0)
	v_lshlrev_b32_e32 v4, 23, v6
	v_cvt_f64_f32_e32 v[4:5], v4
	v_cmp_ne_u32_e32 vcc, s20, v6
	s_mov_b64 s[20:21], -1
	v_cndmask_b32_e32 v4, v7, v4, vcc
	v_cndmask_b32_e32 v5, v13, v5, vcc
	v_cmp_ne_u32_e32 vcc, 0, v6
	v_cndmask_b32_e32 v5, v14, v5, vcc
	v_cndmask_b32_e32 v4, 0, v4, vcc
	s_branch .LBB118_1752
.LBB118_1751:
	s_mov_b64 s[0:1], -1
                                        ; implicit-def: $vgpr4_vgpr5
.LBB118_1752:
	v_mov_b32_e32 v6, 0
	v_mov_b32_e32 v7, 0
.LBB118_1753:
	s_mov_b64 s[22:23], 0
.LBB118_1754:
	s_and_b64 vcc, exec, s[22:23]
	s_cbranch_vccz .LBB118_1759
; %bb.1755:
	s_cmp_eq_u32 s26, 29
	s_cbranch_scc0 .LBB118_1757
; %bb.1756:
	global_load_dwordx2 v[4:5], v[8:9], off
	s_mov_b64 s[0:1], 0
	s_mov_b64 s[20:21], -1
	s_waitcnt vmcnt(0)
	v_cvt_f64_u32_e32 v[5:6], v5
	v_cvt_f64_u32_e32 v[13:14], v4
	v_ldexp_f64 v[5:6], v[5:6], 32
	v_add_f64 v[4:5], v[5:6], v[13:14]
	s_branch .LBB118_1758
.LBB118_1757:
	s_mov_b64 s[0:1], -1
                                        ; implicit-def: $vgpr4_vgpr5
.LBB118_1758:
	v_mov_b32_e32 v6, 0
	v_mov_b32_e32 v7, 0
.LBB118_1759:
	s_mov_b64 s[22:23], 0
.LBB118_1760:
	s_and_b64 vcc, exec, s[22:23]
	s_cbranch_vccz .LBB118_1780
; %bb.1761:
	s_cmp_lt_i32 s26, 27
	s_cbranch_scc1 .LBB118_1764
; %bb.1762:
	s_cmp_gt_i32 s26, 27
	s_cbranch_scc0 .LBB118_1765
; %bb.1763:
	global_load_dword v4, v[8:9], off
	s_mov_b64 s[20:21], 0
	s_waitcnt vmcnt(0)
	v_cvt_f64_u32_e32 v[4:5], v4
	s_branch .LBB118_1766
.LBB118_1764:
	s_mov_b64 s[20:21], -1
                                        ; implicit-def: $vgpr4_vgpr5
	s_branch .LBB118_1769
.LBB118_1765:
	s_mov_b64 s[20:21], -1
                                        ; implicit-def: $vgpr4_vgpr5
.LBB118_1766:
	s_andn2_b64 vcc, exec, s[20:21]
	s_cbranch_vccnz .LBB118_1768
; %bb.1767:
	global_load_ushort v4, v[8:9], off
	s_waitcnt vmcnt(0)
	v_cvt_f64_u32_e32 v[4:5], v4
.LBB118_1768:
	s_mov_b64 s[20:21], 0
.LBB118_1769:
	s_andn2_b64 vcc, exec, s[20:21]
	s_cbranch_vccnz .LBB118_1779
; %bb.1770:
	global_load_ubyte v6, v[8:9], off
	s_movk_i32 s20, 0x7f
	s_waitcnt vmcnt(0)
	v_cmp_lt_i16_e32 vcc, s20, v6
	s_mov_b64 s[20:21], 0
	s_and_saveexec_b64 s[22:23], vcc
	s_xor_b64 s[22:23], exec, s[22:23]
	s_cbranch_execz .LBB118_1774
; %bb.1771:
	s_movk_i32 s20, 0x80
	v_cmp_eq_u16_e32 vcc, s20, v6
	s_mov_b64 s[20:21], -1
	s_and_saveexec_b64 s[24:25], vcc
; %bb.1772:
	s_xor_b64 s[20:21], exec, -1
; %bb.1773:
	s_or_b64 exec, exec, s[24:25]
	s_and_b64 s[20:21], s[20:21], exec
.LBB118_1774:
	s_or_saveexec_b64 s[22:23], s[22:23]
	v_bfrev_b32_e32 v4, 4
	v_mov_b32_e32 v5, 0x7ff80000
	s_xor_b64 exec, exec, s[22:23]
; %bb.1775:
	v_cmp_ne_u16_e32 vcc, 0, v6
	v_mov_b32_e32 v4, 0
	s_andn2_b64 s[20:21], s[20:21], exec
	s_and_b64 s[24:25], vcc, exec
	v_mov_b32_e32 v5, 0
	s_or_b64 s[20:21], s[20:21], s[24:25]
; %bb.1776:
	s_or_b64 exec, exec, s[22:23]
	s_and_saveexec_b64 s[22:23], s[20:21]
	s_cbranch_execz .LBB118_1778
; %bb.1777:
	v_and_b32_e32 v5, 0xffff, v6
	v_lshlrev_b32_e32 v4, 24, v6
	v_and_b32_e32 v6, 7, v5
	v_ffbh_u32_e32 v13, v6
	v_min_u32_e32 v13, 32, v13
	v_subrev_u32_e32 v14, 28, v13
	v_bfe_u32 v7, v5, 3, 4
	v_lshlrev_b32_e32 v5, v14, v5
	v_sub_u32_e32 v13, 29, v13
	v_and_b32_e32 v5, 7, v5
	v_cmp_eq_u32_e32 vcc, 0, v7
	v_cndmask_b32_e32 v7, v7, v13, vcc
	v_cndmask_b32_e32 v5, v6, v5, vcc
	v_mov_b32_e32 v6, 0x3b800000
	v_lshlrev_b32_e32 v5, 20, v5
	v_and_b32_e32 v4, 0x80000000, v4
	v_lshl_add_u32 v6, v7, 23, v6
	v_or3_b32 v4, v4, v6, v5
	v_cvt_f64_f32_e32 v[4:5], v4
.LBB118_1778:
	s_or_b64 exec, exec, s[22:23]
.LBB118_1779:
	v_mov_b32_e32 v6, 0
	v_mov_b32_e32 v7, 0
	s_mov_b64 s[20:21], -1
.LBB118_1780:
	s_branch .LBB118_1812
.LBB118_1781:
	s_cmp_gt_i32 s26, 22
	s_cbranch_scc0 .LBB118_1793
; %bb.1782:
	s_cmp_lt_i32 s26, 24
	s_cbranch_scc1 .LBB118_1794
; %bb.1783:
	s_cmp_gt_i32 s26, 24
	s_cbranch_scc0 .LBB118_1795
; %bb.1784:
	global_load_ubyte v6, v[8:9], off
	s_movk_i32 s4, 0x7f
	s_waitcnt vmcnt(0)
	v_cmp_lt_i16_e32 vcc, s4, v6
	s_mov_b64 s[4:5], 0
	s_and_saveexec_b64 s[20:21], vcc
	s_xor_b64 s[20:21], exec, s[20:21]
	s_cbranch_execz .LBB118_1788
; %bb.1785:
	s_movk_i32 s4, 0x80
	v_cmp_eq_u16_e32 vcc, s4, v6
	s_mov_b64 s[4:5], -1
	s_and_saveexec_b64 s[22:23], vcc
; %bb.1786:
	s_xor_b64 s[4:5], exec, -1
; %bb.1787:
	s_or_b64 exec, exec, s[22:23]
	s_and_b64 s[4:5], s[4:5], exec
.LBB118_1788:
	s_or_saveexec_b64 s[20:21], s[20:21]
	v_bfrev_b32_e32 v4, 4
	v_mov_b32_e32 v5, 0x7ff80000
	s_xor_b64 exec, exec, s[20:21]
; %bb.1789:
	v_cmp_ne_u16_e32 vcc, 0, v6
	v_mov_b32_e32 v4, 0
	s_andn2_b64 s[4:5], s[4:5], exec
	s_and_b64 s[22:23], vcc, exec
	v_mov_b32_e32 v5, 0
	s_or_b64 s[4:5], s[4:5], s[22:23]
; %bb.1790:
	s_or_b64 exec, exec, s[20:21]
	s_and_saveexec_b64 s[20:21], s[4:5]
	s_cbranch_execz .LBB118_1792
; %bb.1791:
	v_and_b32_e32 v5, 0xffff, v6
	v_lshlrev_b32_e32 v4, 24, v6
	v_and_b32_e32 v6, 3, v5
	v_ffbh_u32_e32 v13, v6
	v_min_u32_e32 v13, 32, v13
	v_subrev_u32_e32 v14, 29, v13
	v_bfe_u32 v7, v5, 2, 5
	v_lshlrev_b32_e32 v5, v14, v5
	v_sub_u32_e32 v13, 30, v13
	v_and_b32_e32 v5, 3, v5
	v_cmp_eq_u32_e32 vcc, 0, v7
	v_cndmask_b32_e32 v7, v7, v13, vcc
	v_cndmask_b32_e32 v5, v6, v5, vcc
	v_mov_b32_e32 v6, 0x37800000
	v_lshlrev_b32_e32 v5, 21, v5
	v_and_b32_e32 v4, 0x80000000, v4
	v_lshl_add_u32 v6, v7, 23, v6
	v_or3_b32 v4, v4, v6, v5
	v_cvt_f64_f32_e32 v[4:5], v4
.LBB118_1792:
	s_or_b64 exec, exec, s[20:21]
	s_mov_b64 s[4:5], 0
	s_branch .LBB118_1796
.LBB118_1793:
	s_mov_b64 s[4:5], -1
                                        ; implicit-def: $vgpr4_vgpr5
	s_branch .LBB118_1802
.LBB118_1794:
	s_mov_b64 s[4:5], -1
                                        ; implicit-def: $vgpr4_vgpr5
	s_branch .LBB118_1799
.LBB118_1795:
	s_mov_b64 s[4:5], -1
                                        ; implicit-def: $vgpr4_vgpr5
.LBB118_1796:
	s_and_b64 vcc, exec, s[4:5]
	s_cbranch_vccz .LBB118_1798
; %bb.1797:
	global_load_ubyte v4, v[8:9], off
	s_mov_b32 s4, 0x7f800000
	s_waitcnt vmcnt(0)
	v_lshlrev_b32_e32 v4, 24, v4
	v_and_b32_e32 v5, 0x7f000000, v4
	v_ffbh_u32_e32 v6, v5
	v_min_u32_e32 v6, 32, v6
	v_sub_u32_e64 v6, v6, 4 clamp
	v_lshlrev_b32_e32 v13, v6, v5
	v_lshlrev_b32_e32 v6, 23, v6
	v_lshrrev_b32_e32 v13, 4, v13
	v_add_u32_e32 v7, 0x1000000, v5
	v_sub_u32_e32 v6, v13, v6
	v_ashrrev_i32_e32 v7, 8, v7
	v_add_u32_e32 v6, 0x3c000000, v6
	v_and_or_b32 v6, v7, s4, v6
	v_cmp_ne_u32_e32 vcc, 0, v5
	v_cndmask_b32_e32 v5, 0, v6, vcc
	s_brev_b32 s4, 1
	v_and_or_b32 v4, v4, s4, v5
	v_cvt_f64_f32_e32 v[4:5], v4
.LBB118_1798:
	s_mov_b64 s[4:5], 0
.LBB118_1799:
	s_andn2_b64 vcc, exec, s[4:5]
	s_cbranch_vccnz .LBB118_1801
; %bb.1800:
	global_load_ubyte v4, v[8:9], off
	s_movk_i32 s4, 0x7f00
	s_brev_b32 s5, 16
	s_waitcnt vmcnt(0)
	v_lshlrev_b16_e32 v5, 8, v4
	v_lshlrev_b32_e32 v4, 25, v4
	v_lshrrev_b32_e32 v6, 4, v4
	v_and_or_b32 v7, v5, s4, 0.5
	v_or_b32_e32 v6, 0x70000000, v6
	v_add_f32_e32 v7, -0.5, v7
	v_mul_f32_e32 v6, 0x7800000, v6
	v_cmp_gt_u32_e32 vcc, s5, v4
	v_bfe_i32 v5, v5, 0, 16
	v_cndmask_b32_e32 v4, v6, v7, vcc
	s_brev_b32 s4, 1
	v_and_or_b32 v4, v5, s4, v4
	v_cvt_f64_f32_e32 v[4:5], v4
.LBB118_1801:
	s_mov_b64 s[4:5], 0
	s_mov_b64 s[20:21], -1
.LBB118_1802:
	s_andn2_b64 vcc, exec, s[4:5]
	s_mov_b64 s[4:5], 0
	s_cbranch_vccnz .LBB118_1811
; %bb.1803:
	s_cmp_gt_i32 s26, 14
	s_cbranch_scc0 .LBB118_1806
; %bb.1804:
	s_cmp_eq_u32 s26, 15
	s_cbranch_scc0 .LBB118_1807
; %bb.1805:
	global_load_ushort v4, v[8:9], off
	s_mov_b64 s[0:1], 0
	s_mov_b64 s[20:21], -1
	s_waitcnt vmcnt(0)
	v_lshlrev_b32_e32 v4, 16, v4
	v_cvt_f64_f32_e32 v[4:5], v4
	s_branch .LBB118_1808
.LBB118_1806:
	s_mov_b64 s[22:23], -1
                                        ; implicit-def: $vgpr4_vgpr5
	s_branch .LBB118_1809
.LBB118_1807:
	s_mov_b64 s[0:1], -1
                                        ; implicit-def: $vgpr4_vgpr5
.LBB118_1808:
	s_mov_b64 s[22:23], 0
.LBB118_1809:
	s_and_b64 vcc, exec, s[22:23]
	s_cbranch_vccz .LBB118_1811
; %bb.1810:
	s_cmp_lg_u32 s26, 11
	s_mov_b64 s[4:5], -1
	s_cselect_b64 s[0:1], -1, 0
.LBB118_1811:
	v_mov_b32_e32 v6, 0
	v_mov_b32_e32 v7, 0
.LBB118_1812:
	s_and_b64 vcc, exec, s[0:1]
	s_cbranch_vccnz .LBB118_1893
; %bb.1813:
	s_andn2_b64 vcc, exec, s[4:5]
	s_cbranch_vccnz .LBB118_1815
.LBB118_1814:
	global_load_ubyte v5, v[8:9], off
	v_mov_b32_e32 v13, 0x3ff00000
	v_mov_b32_e32 v6, 0
	;; [unrolled: 1-line block ×4, first 2 shown]
	s_mov_b64 s[20:21], -1
	s_waitcnt vmcnt(0)
	v_cmp_ne_u16_e32 vcc, 0, v5
	v_cndmask_b32_e32 v5, 0, v13, vcc
.LBB118_1815:
	s_branch .LBB118_1739
.LBB118_1816:
	s_and_b32 s4, 0xffff, s31
	s_cmp_lt_i32 s4, 5
	s_cbranch_scc1 .LBB118_1821
; %bb.1817:
	s_cmp_lt_i32 s4, 8
	s_cbranch_scc1 .LBB118_1823
; %bb.1818:
	s_cmp_lt_i32 s4, 9
	s_cbranch_scc1 .LBB118_1824
; %bb.1819:
	s_cmp_gt_i32 s4, 9
	s_cbranch_scc0 .LBB118_1825
; %bb.1820:
	global_load_dwordx4 v[4:7], v[8:9], off
	s_mov_b64 s[0:1], 0
	s_branch .LBB118_1826
.LBB118_1821:
                                        ; implicit-def: $vgpr6_vgpr7
	s_branch .LBB118_1845
.LBB118_1822:
	s_branch .LBB118_1865
.LBB118_1823:
	s_mov_b64 s[0:1], -1
                                        ; implicit-def: $vgpr6_vgpr7
	s_branch .LBB118_1832
.LBB118_1824:
	s_mov_b64 s[0:1], -1
                                        ; implicit-def: $vgpr6_vgpr7
	s_branch .LBB118_1829
.LBB118_1825:
	s_mov_b64 s[0:1], -1
                                        ; implicit-def: $vgpr6_vgpr7
.LBB118_1826:
	s_andn2_b64 vcc, exec, s[0:1]
	s_cbranch_vccnz .LBB118_1828
; %bb.1827:
	global_load_dwordx2 v[5:6], v[8:9], off
	s_waitcnt vmcnt(0)
	v_cvt_f64_f32_e32 v[4:5], v5
	v_cvt_f64_f32_e32 v[6:7], v6
.LBB118_1828:
	s_mov_b64 s[0:1], 0
.LBB118_1829:
	s_andn2_b64 vcc, exec, s[0:1]
	s_cbranch_vccnz .LBB118_1831
; %bb.1830:
	global_load_dword v4, v[8:9], off
	s_waitcnt vmcnt(0)
	v_cvt_f32_f16_e32 v5, v4
	v_cvt_f32_f16_sdwa v6, v4 dst_sel:DWORD dst_unused:UNUSED_PAD src0_sel:WORD_1
	v_cvt_f64_f32_e32 v[4:5], v5
	v_cvt_f64_f32_e32 v[6:7], v6
.LBB118_1831:
	s_mov_b64 s[0:1], 0
.LBB118_1832:
	s_andn2_b64 vcc, exec, s[0:1]
	s_cbranch_vccnz .LBB118_1844
; %bb.1833:
	s_cmp_lt_i32 s4, 6
	s_cbranch_scc1 .LBB118_1836
; %bb.1834:
	s_cmp_gt_i32 s4, 6
	s_cbranch_scc0 .LBB118_1837
; %bb.1835:
	global_load_dwordx2 v[4:5], v[8:9], off
	s_mov_b64 s[0:1], 0
	s_branch .LBB118_1838
.LBB118_1836:
	s_mov_b64 s[0:1], -1
                                        ; implicit-def: $vgpr4_vgpr5
	s_branch .LBB118_1841
.LBB118_1837:
	s_mov_b64 s[0:1], -1
                                        ; implicit-def: $vgpr4_vgpr5
.LBB118_1838:
	s_andn2_b64 vcc, exec, s[0:1]
	s_cbranch_vccnz .LBB118_1840
; %bb.1839:
	global_load_dword v4, v[8:9], off
	s_waitcnt vmcnt(0)
	v_cvt_f64_f32_e32 v[4:5], v4
.LBB118_1840:
	s_mov_b64 s[0:1], 0
.LBB118_1841:
	s_andn2_b64 vcc, exec, s[0:1]
	s_cbranch_vccnz .LBB118_1843
; %bb.1842:
	global_load_ushort v4, v[8:9], off
	s_waitcnt vmcnt(0)
	v_cvt_f32_f16_e32 v4, v4
	v_cvt_f64_f32_e32 v[4:5], v4
.LBB118_1843:
	s_waitcnt vmcnt(0)
	v_mov_b32_e32 v6, 0
	v_mov_b32_e32 v7, 0
.LBB118_1844:
	s_cbranch_execnz .LBB118_1822
.LBB118_1845:
	s_cmp_lt_i32 s4, 2
	s_cbranch_scc1 .LBB118_1849
; %bb.1846:
	s_cmp_lt_i32 s4, 3
	s_cbranch_scc1 .LBB118_1850
; %bb.1847:
	s_cmp_gt_i32 s4, 3
	s_cbranch_scc0 .LBB118_1851
; %bb.1848:
	global_load_dwordx2 v[4:5], v[8:9], off
	s_mov_b64 s[0:1], 0
	s_waitcnt vmcnt(0)
	v_cvt_f64_i32_e32 v[5:6], v5
	v_cvt_f64_u32_e32 v[13:14], v4
	v_ldexp_f64 v[5:6], v[5:6], 32
	v_add_f64 v[4:5], v[5:6], v[13:14]
	s_branch .LBB118_1852
.LBB118_1849:
	s_mov_b64 s[0:1], -1
                                        ; implicit-def: $vgpr4_vgpr5
	s_branch .LBB118_1858
.LBB118_1850:
	s_mov_b64 s[0:1], -1
                                        ; implicit-def: $vgpr4_vgpr5
	s_branch .LBB118_1855
.LBB118_1851:
	s_mov_b64 s[0:1], -1
                                        ; implicit-def: $vgpr4_vgpr5
.LBB118_1852:
	s_andn2_b64 vcc, exec, s[0:1]
	s_cbranch_vccnz .LBB118_1854
; %bb.1853:
	global_load_dword v4, v[8:9], off
	s_waitcnt vmcnt(0)
	v_cvt_f64_i32_e32 v[4:5], v4
.LBB118_1854:
	s_mov_b64 s[0:1], 0
.LBB118_1855:
	s_andn2_b64 vcc, exec, s[0:1]
	s_cbranch_vccnz .LBB118_1857
; %bb.1856:
	global_load_sshort v4, v[8:9], off
	s_waitcnt vmcnt(0)
	v_cvt_f64_i32_e32 v[4:5], v4
.LBB118_1857:
	s_mov_b64 s[0:1], 0
.LBB118_1858:
	s_andn2_b64 vcc, exec, s[0:1]
	s_cbranch_vccnz .LBB118_1864
; %bb.1859:
	s_cmp_gt_i32 s4, 0
	s_cbranch_scc0 .LBB118_1861
; %bb.1860:
	global_load_sbyte v4, v[8:9], off
	s_mov_b64 s[0:1], 0
	s_waitcnt vmcnt(0)
	v_cvt_f64_i32_e32 v[4:5], v4
	s_branch .LBB118_1862
.LBB118_1861:
	s_mov_b64 s[0:1], -1
                                        ; implicit-def: $vgpr4_vgpr5
.LBB118_1862:
	s_andn2_b64 vcc, exec, s[0:1]
	s_cbranch_vccnz .LBB118_1864
; %bb.1863:
	global_load_ubyte v4, v[8:9], off
	s_waitcnt vmcnt(0)
	v_cvt_f64_u32_e32 v[4:5], v4
.LBB118_1864:
	s_waitcnt vmcnt(0)
	v_mov_b32_e32 v6, 0
	v_mov_b32_e32 v7, 0
.LBB118_1865:
	s_cmp_lg_u32 s15, 0
	s_cselect_b64 s[20:21], -1, 0
	s_and_b64 vcc, exec, s[20:21]
	s_cbranch_vccz .LBB118_1877
; %bb.1866:
	s_waitcnt vmcnt(0)
	v_cmp_neq_f64_e32 vcc, v[0:1], v[4:5]
	v_cmp_neq_f64_e64 s[0:1], v[2:3], v[6:7]
	s_or_b64 s[4:5], vcc, s[0:1]
	s_cbranch_execnz .LBB118_1868
.LBB118_1867:
	s_waitcnt vmcnt(0)
	v_cmp_eq_f64_e32 vcc, v[0:1], v[4:5]
	v_cmp_eq_f64_e64 s[0:1], v[2:3], v[6:7]
	s_andn2_b64 s[4:5], s[4:5], exec
	s_and_b64 s[0:1], vcc, s[0:1]
	s_and_b64 s[0:1], s[0:1], exec
	s_or_b64 s[4:5], s[4:5], s[0:1]
.LBB118_1868:
	s_lshl_b32 s13, s13, 7
	v_add_u32_e32 v11, s13, v11
	s_waitcnt vmcnt(0)
	v_ashrrev_i32_e32 v0, 31, v11
	v_mov_b32_e32 v1, s11
	v_add_co_u32_e32 v4, vcc, s10, v11
	s_cmp_lt_i32 s30, 11
	v_addc_co_u32_e32 v5, vcc, v1, v0, vcc
	s_cbranch_scc1 .LBB118_1875
; %bb.1869:
	s_and_b32 s15, 0xffff, s30
	s_cmp_gt_i32 s15, 25
	s_mov_b64 s[22:23], 0
	s_cbranch_scc0 .LBB118_1878
; %bb.1870:
	s_cmp_gt_i32 s15, 28
	s_cbranch_scc0 .LBB118_1889
; %bb.1871:
	s_cmp_gt_i32 s15, 43
	;; [unrolled: 3-line block ×3, first 2 shown]
	s_cbranch_scc0 .LBB118_1894
; %bb.1873:
	s_cmp_eq_u32 s15, 46
	s_mov_b64 s[26:27], 0
	s_cbranch_scc0 .LBB118_1948
; %bb.1874:
	global_load_dword v0, v[4:5], off
	s_mov_b64 s[0:1], 0
	s_mov_b64 s[24:25], -1
	s_waitcnt vmcnt(0)
	v_and_b32_e32 v2, 0xffff0000, v0
	v_lshlrev_b32_e32 v0, 16, v0
	v_cvt_f64_f32_e32 v[0:1], v0
	v_cvt_f64_f32_e32 v[2:3], v2
	s_branch .LBB118_1949
.LBB118_1875:
	s_mov_b64 s[24:25], 0
                                        ; implicit-def: $vgpr2_vgpr3
	s_cbranch_execnz .LBB118_1883
.LBB118_1876:
	s_andn2_b64 vcc, exec, s[24:25]
	s_cbranch_vccnz .LBB118_2692
	s_branch .LBB118_1937
.LBB118_1877:
                                        ; implicit-def: $sgpr4_sgpr5
	s_branch .LBB118_1867
.LBB118_1878:
	s_mov_b64 s[24:25], 0
	s_mov_b64 s[0:1], 0
                                        ; implicit-def: $vgpr2_vgpr3
	s_cbranch_execnz .LBB118_1983
.LBB118_1879:
	s_and_b64 vcc, exec, s[0:1]
	s_cbranch_vccnz .LBB118_2014
.LBB118_1880:
	s_andn2_b64 vcc, exec, s[22:23]
	s_cbranch_vccnz .LBB118_1882
.LBB118_1881:
	global_load_ubyte v1, v[4:5], off
	v_mov_b32_e32 v6, 0x3ff00000
	v_mov_b32_e32 v2, 0
	;; [unrolled: 1-line block ×4, first 2 shown]
	s_mov_b64 s[24:25], -1
	s_waitcnt vmcnt(0)
	v_cmp_ne_u16_e32 vcc, 0, v1
	v_cndmask_b32_e32 v1, 0, v6, vcc
.LBB118_1882:
	s_branch .LBB118_1876
.LBB118_1883:
	s_and_b32 s15, 0xffff, s30
	s_cmp_lt_i32 s15, 5
	s_cbranch_scc1 .LBB118_1888
; %bb.1884:
	s_cmp_lt_i32 s15, 8
	s_cbranch_scc1 .LBB118_1890
; %bb.1885:
	;; [unrolled: 3-line block ×3, first 2 shown]
	s_cmp_gt_i32 s15, 9
	s_cbranch_scc0 .LBB118_1895
; %bb.1887:
	global_load_dwordx4 v[0:3], v[4:5], off
	s_mov_b64 s[0:1], 0
	s_branch .LBB118_1896
.LBB118_1888:
	s_mov_b64 s[0:1], -1
                                        ; implicit-def: $vgpr2_vgpr3
	s_branch .LBB118_1915
.LBB118_1889:
	s_mov_b64 s[26:27], -1
	s_mov_b64 s[24:25], 0
	s_mov_b64 s[0:1], 0
                                        ; implicit-def: $vgpr2_vgpr3
	s_branch .LBB118_1962
.LBB118_1890:
	s_mov_b64 s[0:1], -1
                                        ; implicit-def: $vgpr2_vgpr3
	s_branch .LBB118_1902
.LBB118_1891:
	s_mov_b64 s[26:27], -1
	s_mov_b64 s[24:25], 0
	s_mov_b64 s[0:1], 0
                                        ; implicit-def: $vgpr2_vgpr3
	s_branch .LBB118_1956
.LBB118_1892:
	s_mov_b64 s[0:1], -1
                                        ; implicit-def: $vgpr2_vgpr3
	s_branch .LBB118_1899
.LBB118_1893:
	s_trap 2
	s_or_b64 s[18:19], s[18:19], exec
	s_cbranch_execz .LBB118_1814
	s_branch .LBB118_1815
.LBB118_1894:
	s_mov_b64 s[26:27], -1
	s_mov_b64 s[24:25], 0
	s_mov_b64 s[0:1], 0
                                        ; implicit-def: $vgpr2_vgpr3
	s_branch .LBB118_1949
.LBB118_1895:
	s_mov_b64 s[0:1], -1
                                        ; implicit-def: $vgpr2_vgpr3
.LBB118_1896:
	s_andn2_b64 vcc, exec, s[0:1]
	s_cbranch_vccnz .LBB118_1898
; %bb.1897:
	global_load_dwordx2 v[1:2], v[4:5], off
	s_waitcnt vmcnt(0)
	v_cvt_f64_f32_e32 v[0:1], v1
	v_cvt_f64_f32_e32 v[2:3], v2
.LBB118_1898:
	s_mov_b64 s[0:1], 0
.LBB118_1899:
	s_andn2_b64 vcc, exec, s[0:1]
	s_cbranch_vccnz .LBB118_1901
; %bb.1900:
	global_load_dword v0, v[4:5], off
	s_waitcnt vmcnt(0)
	v_cvt_f32_f16_e32 v1, v0
	v_cvt_f32_f16_sdwa v2, v0 dst_sel:DWORD dst_unused:UNUSED_PAD src0_sel:WORD_1
	v_cvt_f64_f32_e32 v[0:1], v1
	v_cvt_f64_f32_e32 v[2:3], v2
.LBB118_1901:
	s_mov_b64 s[0:1], 0
.LBB118_1902:
	s_andn2_b64 vcc, exec, s[0:1]
	s_cbranch_vccnz .LBB118_1914
; %bb.1903:
	s_cmp_lt_i32 s15, 6
	s_cbranch_scc1 .LBB118_1906
; %bb.1904:
	s_cmp_gt_i32 s15, 6
	s_cbranch_scc0 .LBB118_1907
; %bb.1905:
	global_load_dwordx2 v[0:1], v[4:5], off
	s_mov_b64 s[0:1], 0
	s_branch .LBB118_1908
.LBB118_1906:
	s_mov_b64 s[0:1], -1
                                        ; implicit-def: $vgpr0_vgpr1
	s_branch .LBB118_1911
.LBB118_1907:
	s_mov_b64 s[0:1], -1
                                        ; implicit-def: $vgpr0_vgpr1
.LBB118_1908:
	s_andn2_b64 vcc, exec, s[0:1]
	s_cbranch_vccnz .LBB118_1910
; %bb.1909:
	global_load_dword v0, v[4:5], off
	s_waitcnt vmcnt(0)
	v_cvt_f64_f32_e32 v[0:1], v0
.LBB118_1910:
	s_mov_b64 s[0:1], 0
.LBB118_1911:
	s_andn2_b64 vcc, exec, s[0:1]
	s_cbranch_vccnz .LBB118_1913
; %bb.1912:
	global_load_ushort v0, v[4:5], off
	s_waitcnt vmcnt(0)
	v_cvt_f32_f16_e32 v0, v0
	v_cvt_f64_f32_e32 v[0:1], v0
.LBB118_1913:
	s_waitcnt vmcnt(0)
	v_mov_b32_e32 v2, 0
	v_mov_b32_e32 v3, 0
.LBB118_1914:
	s_mov_b64 s[0:1], 0
.LBB118_1915:
	s_andn2_b64 vcc, exec, s[0:1]
	s_cbranch_vccnz .LBB118_1936
; %bb.1916:
	s_cmp_lt_i32 s15, 2
	s_cbranch_scc1 .LBB118_1920
; %bb.1917:
	s_cmp_lt_i32 s15, 3
	s_cbranch_scc1 .LBB118_1921
; %bb.1918:
	s_cmp_gt_i32 s15, 3
	s_cbranch_scc0 .LBB118_1922
; %bb.1919:
	global_load_dwordx2 v[0:1], v[4:5], off
	s_mov_b64 s[0:1], 0
	s_waitcnt vmcnt(0)
	v_cvt_f64_i32_e32 v[1:2], v1
	v_cvt_f64_u32_e32 v[6:7], v0
	v_ldexp_f64 v[1:2], v[1:2], 32
	v_add_f64 v[0:1], v[1:2], v[6:7]
	s_branch .LBB118_1923
.LBB118_1920:
	s_mov_b64 s[0:1], -1
                                        ; implicit-def: $vgpr0_vgpr1
	s_branch .LBB118_1929
.LBB118_1921:
	s_mov_b64 s[0:1], -1
                                        ; implicit-def: $vgpr0_vgpr1
	s_branch .LBB118_1926
.LBB118_1922:
	s_mov_b64 s[0:1], -1
                                        ; implicit-def: $vgpr0_vgpr1
.LBB118_1923:
	s_andn2_b64 vcc, exec, s[0:1]
	s_cbranch_vccnz .LBB118_1925
; %bb.1924:
	global_load_dword v0, v[4:5], off
	s_waitcnt vmcnt(0)
	v_cvt_f64_i32_e32 v[0:1], v0
.LBB118_1925:
	s_mov_b64 s[0:1], 0
.LBB118_1926:
	s_andn2_b64 vcc, exec, s[0:1]
	s_cbranch_vccnz .LBB118_1928
; %bb.1927:
	global_load_sshort v0, v[4:5], off
	s_waitcnt vmcnt(0)
	v_cvt_f64_i32_e32 v[0:1], v0
.LBB118_1928:
	s_mov_b64 s[0:1], 0
.LBB118_1929:
	s_andn2_b64 vcc, exec, s[0:1]
	s_cbranch_vccnz .LBB118_1935
; %bb.1930:
	s_cmp_gt_i32 s15, 0
	s_cbranch_scc0 .LBB118_1932
; %bb.1931:
	global_load_sbyte v0, v[4:5], off
	s_mov_b64 s[0:1], 0
	s_waitcnt vmcnt(0)
	v_cvt_f64_i32_e32 v[0:1], v0
	s_branch .LBB118_1933
.LBB118_1932:
	s_mov_b64 s[0:1], -1
                                        ; implicit-def: $vgpr0_vgpr1
.LBB118_1933:
	s_andn2_b64 vcc, exec, s[0:1]
	s_cbranch_vccnz .LBB118_1935
; %bb.1934:
	global_load_ubyte v0, v[4:5], off
	s_waitcnt vmcnt(0)
	v_cvt_f64_u32_e32 v[0:1], v0
.LBB118_1935:
	s_waitcnt vmcnt(0)
	v_mov_b32_e32 v2, 0
	v_mov_b32_e32 v3, 0
.LBB118_1936:
.LBB118_1937:
	s_lshl_b32 s34, s14, 7
	v_add_u32_e32 v12, s34, v12
	v_ashrrev_i32_e32 v4, 31, v12
	v_mov_b32_e32 v5, s3
	v_add_co_u32_e32 v8, vcc, s2, v12
	s_cmp_lt_i32 s31, 11
	v_addc_co_u32_e32 v9, vcc, v5, v4, vcc
	s_cbranch_scc1 .LBB118_1944
; %bb.1938:
	s_and_b32 s28, 0xffff, s31
	s_cmp_gt_i32 s28, 25
	s_mov_b64 s[14:15], 0
	s_cbranch_scc0 .LBB118_1945
; %bb.1939:
	s_cmp_gt_i32 s28, 28
	s_cbranch_scc0 .LBB118_1946
; %bb.1940:
	s_cmp_gt_i32 s28, 43
	;; [unrolled: 3-line block ×3, first 2 shown]
	s_cbranch_scc0 .LBB118_1952
; %bb.1942:
	s_cmp_eq_u32 s28, 46
	s_mov_b64 s[24:25], 0
	s_cbranch_scc0 .LBB118_2015
; %bb.1943:
	global_load_dword v4, v[8:9], off
	s_mov_b64 s[0:1], 0
	s_mov_b64 s[22:23], -1
	s_waitcnt vmcnt(0)
	v_and_b32_e32 v6, 0xffff0000, v4
	v_lshlrev_b32_e32 v4, 16, v4
	v_cvt_f64_f32_e32 v[4:5], v4
	v_cvt_f64_f32_e32 v[6:7], v6
	s_branch .LBB118_2016
.LBB118_1944:
	s_mov_b64 s[0:1], -1
	s_mov_b64 s[22:23], 0
                                        ; implicit-def: $vgpr6_vgpr7
	s_branch .LBB118_2066
.LBB118_1945:
	s_mov_b64 s[24:25], -1
	s_mov_b64 s[22:23], 0
	s_mov_b64 s[0:1], 0
                                        ; implicit-def: $vgpr6_vgpr7
	s_branch .LBB118_2049
.LBB118_1946:
	s_mov_b64 s[24:25], -1
	s_mov_b64 s[22:23], 0
	s_mov_b64 s[0:1], 0
                                        ; implicit-def: $vgpr6_vgpr7
	s_branch .LBB118_2028
.LBB118_1947:
	s_mov_b64 s[24:25], -1
	s_mov_b64 s[22:23], 0
	s_mov_b64 s[0:1], 0
                                        ; implicit-def: $vgpr6_vgpr7
	s_branch .LBB118_2022
.LBB118_1948:
	s_mov_b64 s[0:1], -1
                                        ; implicit-def: $vgpr2_vgpr3
	s_mov_b64 s[24:25], 0
.LBB118_1949:
	s_and_b64 vcc, exec, s[26:27]
	s_cbranch_vccz .LBB118_1955
; %bb.1950:
	s_cmp_eq_u32 s15, 44
	s_cbranch_scc0 .LBB118_1953
; %bb.1951:
	global_load_ubyte v2, v[4:5], off
	s_movk_i32 s24, 0xff
	v_bfrev_b32_e32 v3, 4
	v_mov_b32_e32 v6, 0x7ff80000
	v_bfrev_b32_e32 v7, 28
	s_mov_b64 s[0:1], 0
	s_waitcnt vmcnt(0)
	v_lshlrev_b32_e32 v0, 23, v2
	v_cvt_f64_f32_e32 v[0:1], v0
	v_cmp_ne_u32_e32 vcc, s24, v2
	s_mov_b64 s[24:25], -1
	v_cndmask_b32_e32 v0, v3, v0, vcc
	v_cndmask_b32_e32 v1, v6, v1, vcc
	v_cmp_ne_u32_e32 vcc, 0, v2
	v_cndmask_b32_e32 v1, v7, v1, vcc
	v_cndmask_b32_e32 v0, 0, v0, vcc
	s_branch .LBB118_1954
.LBB118_1952:
	s_mov_b64 s[24:25], -1
	s_mov_b64 s[22:23], 0
	s_mov_b64 s[0:1], 0
                                        ; implicit-def: $vgpr6_vgpr7
	s_branch .LBB118_2016
.LBB118_1953:
	s_mov_b64 s[0:1], -1
                                        ; implicit-def: $vgpr0_vgpr1
.LBB118_1954:
	v_mov_b32_e32 v2, 0
	v_mov_b32_e32 v3, 0
.LBB118_1955:
	s_mov_b64 s[26:27], 0
.LBB118_1956:
	s_and_b64 vcc, exec, s[26:27]
	s_cbranch_vccz .LBB118_1961
; %bb.1957:
	s_cmp_eq_u32 s15, 29
	s_cbranch_scc0 .LBB118_1959
; %bb.1958:
	global_load_dwordx2 v[0:1], v[4:5], off
	s_mov_b64 s[0:1], 0
	s_mov_b64 s[24:25], -1
	s_waitcnt vmcnt(0)
	v_cvt_f64_u32_e32 v[1:2], v1
	v_cvt_f64_u32_e32 v[6:7], v0
	v_ldexp_f64 v[1:2], v[1:2], 32
	v_add_f64 v[0:1], v[1:2], v[6:7]
	s_branch .LBB118_1960
.LBB118_1959:
	s_mov_b64 s[0:1], -1
                                        ; implicit-def: $vgpr0_vgpr1
.LBB118_1960:
	v_mov_b32_e32 v2, 0
	v_mov_b32_e32 v3, 0
.LBB118_1961:
	s_mov_b64 s[26:27], 0
.LBB118_1962:
	s_and_b64 vcc, exec, s[26:27]
	s_cbranch_vccz .LBB118_1982
; %bb.1963:
	s_cmp_lt_i32 s15, 27
	s_cbranch_scc1 .LBB118_1966
; %bb.1964:
	s_cmp_gt_i32 s15, 27
	s_cbranch_scc0 .LBB118_1967
; %bb.1965:
	global_load_dword v0, v[4:5], off
	s_mov_b64 s[24:25], 0
	s_waitcnt vmcnt(0)
	v_cvt_f64_u32_e32 v[0:1], v0
	s_branch .LBB118_1968
.LBB118_1966:
	s_mov_b64 s[24:25], -1
                                        ; implicit-def: $vgpr0_vgpr1
	s_branch .LBB118_1971
.LBB118_1967:
	s_mov_b64 s[24:25], -1
                                        ; implicit-def: $vgpr0_vgpr1
.LBB118_1968:
	s_andn2_b64 vcc, exec, s[24:25]
	s_cbranch_vccnz .LBB118_1970
; %bb.1969:
	global_load_ushort v0, v[4:5], off
	s_waitcnt vmcnt(0)
	v_cvt_f64_u32_e32 v[0:1], v0
.LBB118_1970:
	s_mov_b64 s[24:25], 0
.LBB118_1971:
	s_andn2_b64 vcc, exec, s[24:25]
	s_cbranch_vccnz .LBB118_1981
; %bb.1972:
	global_load_ubyte v2, v[4:5], off
	s_movk_i32 s24, 0x7f
	s_waitcnt vmcnt(0)
	v_cmp_lt_i16_e32 vcc, s24, v2
	s_mov_b64 s[24:25], 0
	s_and_saveexec_b64 s[26:27], vcc
	s_xor_b64 s[26:27], exec, s[26:27]
	s_cbranch_execz .LBB118_1976
; %bb.1973:
	s_movk_i32 s24, 0x80
	v_cmp_eq_u16_e32 vcc, s24, v2
	s_mov_b64 s[24:25], -1
	s_and_saveexec_b64 s[28:29], vcc
; %bb.1974:
	s_xor_b64 s[24:25], exec, -1
; %bb.1975:
	s_or_b64 exec, exec, s[28:29]
	s_and_b64 s[24:25], s[24:25], exec
.LBB118_1976:
	s_or_saveexec_b64 s[26:27], s[26:27]
	v_bfrev_b32_e32 v0, 4
	v_mov_b32_e32 v1, 0x7ff80000
	s_xor_b64 exec, exec, s[26:27]
; %bb.1977:
	v_cmp_ne_u16_e32 vcc, 0, v2
	v_mov_b32_e32 v0, 0
	s_andn2_b64 s[24:25], s[24:25], exec
	s_and_b64 s[28:29], vcc, exec
	v_mov_b32_e32 v1, 0
	s_or_b64 s[24:25], s[24:25], s[28:29]
; %bb.1978:
	s_or_b64 exec, exec, s[26:27]
	s_and_saveexec_b64 s[26:27], s[24:25]
	s_cbranch_execz .LBB118_1980
; %bb.1979:
	v_and_b32_e32 v1, 0xffff, v2
	v_lshlrev_b32_e32 v0, 24, v2
	v_and_b32_e32 v2, 7, v1
	v_ffbh_u32_e32 v6, v2
	v_min_u32_e32 v6, 32, v6
	v_subrev_u32_e32 v7, 28, v6
	v_bfe_u32 v3, v1, 3, 4
	v_lshlrev_b32_e32 v1, v7, v1
	v_sub_u32_e32 v6, 29, v6
	v_and_b32_e32 v1, 7, v1
	v_cmp_eq_u32_e32 vcc, 0, v3
	v_cndmask_b32_e32 v3, v3, v6, vcc
	v_cndmask_b32_e32 v1, v2, v1, vcc
	v_mov_b32_e32 v2, 0x3b800000
	v_lshlrev_b32_e32 v1, 20, v1
	v_and_b32_e32 v0, 0x80000000, v0
	v_lshl_add_u32 v2, v3, 23, v2
	v_or3_b32 v0, v0, v2, v1
	v_cvt_f64_f32_e32 v[0:1], v0
.LBB118_1980:
	s_or_b64 exec, exec, s[26:27]
.LBB118_1981:
	v_mov_b32_e32 v2, 0
	v_mov_b32_e32 v3, 0
	s_mov_b64 s[24:25], -1
.LBB118_1982:
	s_branch .LBB118_1879
.LBB118_1983:
	s_cmp_gt_i32 s15, 22
	s_cbranch_scc0 .LBB118_1995
; %bb.1984:
	s_cmp_lt_i32 s15, 24
	s_cbranch_scc1 .LBB118_1996
; %bb.1985:
	s_cmp_gt_i32 s15, 24
	s_cbranch_scc0 .LBB118_1997
; %bb.1986:
	global_load_ubyte v2, v[4:5], off
	s_movk_i32 s22, 0x7f
	s_waitcnt vmcnt(0)
	v_cmp_lt_i16_e32 vcc, s22, v2
	s_mov_b64 s[22:23], 0
	s_and_saveexec_b64 s[24:25], vcc
	s_xor_b64 s[24:25], exec, s[24:25]
	s_cbranch_execz .LBB118_1990
; %bb.1987:
	s_movk_i32 s22, 0x80
	v_cmp_eq_u16_e32 vcc, s22, v2
	s_mov_b64 s[22:23], -1
	s_and_saveexec_b64 s[26:27], vcc
; %bb.1988:
	s_xor_b64 s[22:23], exec, -1
; %bb.1989:
	s_or_b64 exec, exec, s[26:27]
	s_and_b64 s[22:23], s[22:23], exec
.LBB118_1990:
	s_or_saveexec_b64 s[24:25], s[24:25]
	v_bfrev_b32_e32 v0, 4
	v_mov_b32_e32 v1, 0x7ff80000
	s_xor_b64 exec, exec, s[24:25]
; %bb.1991:
	v_cmp_ne_u16_e32 vcc, 0, v2
	v_mov_b32_e32 v0, 0
	s_andn2_b64 s[22:23], s[22:23], exec
	s_and_b64 s[26:27], vcc, exec
	v_mov_b32_e32 v1, 0
	s_or_b64 s[22:23], s[22:23], s[26:27]
; %bb.1992:
	s_or_b64 exec, exec, s[24:25]
	s_and_saveexec_b64 s[24:25], s[22:23]
	s_cbranch_execz .LBB118_1994
; %bb.1993:
	v_and_b32_e32 v1, 0xffff, v2
	v_lshlrev_b32_e32 v0, 24, v2
	v_and_b32_e32 v2, 3, v1
	v_ffbh_u32_e32 v6, v2
	v_min_u32_e32 v6, 32, v6
	v_subrev_u32_e32 v7, 29, v6
	v_bfe_u32 v3, v1, 2, 5
	v_lshlrev_b32_e32 v1, v7, v1
	v_sub_u32_e32 v6, 30, v6
	v_and_b32_e32 v1, 3, v1
	v_cmp_eq_u32_e32 vcc, 0, v3
	v_cndmask_b32_e32 v3, v3, v6, vcc
	v_cndmask_b32_e32 v1, v2, v1, vcc
	v_mov_b32_e32 v2, 0x37800000
	v_lshlrev_b32_e32 v1, 21, v1
	v_and_b32_e32 v0, 0x80000000, v0
	v_lshl_add_u32 v2, v3, 23, v2
	v_or3_b32 v0, v0, v2, v1
	v_cvt_f64_f32_e32 v[0:1], v0
.LBB118_1994:
	s_or_b64 exec, exec, s[24:25]
	s_mov_b64 s[22:23], 0
	s_branch .LBB118_1998
.LBB118_1995:
	s_mov_b64 s[22:23], -1
                                        ; implicit-def: $vgpr0_vgpr1
	s_branch .LBB118_2004
.LBB118_1996:
	s_mov_b64 s[22:23], -1
                                        ; implicit-def: $vgpr0_vgpr1
	s_branch .LBB118_2001
.LBB118_1997:
	s_mov_b64 s[22:23], -1
                                        ; implicit-def: $vgpr0_vgpr1
.LBB118_1998:
	s_and_b64 vcc, exec, s[22:23]
	s_cbranch_vccz .LBB118_2000
; %bb.1999:
	global_load_ubyte v0, v[4:5], off
	s_mov_b32 s22, 0x7f800000
	s_waitcnt vmcnt(0)
	v_lshlrev_b32_e32 v0, 24, v0
	v_and_b32_e32 v1, 0x7f000000, v0
	v_ffbh_u32_e32 v2, v1
	v_min_u32_e32 v2, 32, v2
	v_sub_u32_e64 v2, v2, 4 clamp
	v_lshlrev_b32_e32 v6, v2, v1
	v_lshlrev_b32_e32 v2, 23, v2
	v_lshrrev_b32_e32 v6, 4, v6
	v_add_u32_e32 v3, 0x1000000, v1
	v_sub_u32_e32 v2, v6, v2
	v_ashrrev_i32_e32 v3, 8, v3
	v_add_u32_e32 v2, 0x3c000000, v2
	v_and_or_b32 v2, v3, s22, v2
	v_cmp_ne_u32_e32 vcc, 0, v1
	v_cndmask_b32_e32 v1, 0, v2, vcc
	s_brev_b32 s22, 1
	v_and_or_b32 v0, v0, s22, v1
	v_cvt_f64_f32_e32 v[0:1], v0
.LBB118_2000:
	s_mov_b64 s[22:23], 0
.LBB118_2001:
	s_andn2_b64 vcc, exec, s[22:23]
	s_cbranch_vccnz .LBB118_2003
; %bb.2002:
	global_load_ubyte v0, v[4:5], off
	s_movk_i32 s22, 0x7f00
	s_brev_b32 s23, 16
	s_waitcnt vmcnt(0)
	v_lshlrev_b16_e32 v1, 8, v0
	v_lshlrev_b32_e32 v0, 25, v0
	v_lshrrev_b32_e32 v2, 4, v0
	v_and_or_b32 v3, v1, s22, 0.5
	v_or_b32_e32 v2, 0x70000000, v2
	v_add_f32_e32 v3, -0.5, v3
	v_mul_f32_e32 v2, 0x7800000, v2
	v_cmp_gt_u32_e32 vcc, s23, v0
	v_bfe_i32 v1, v1, 0, 16
	v_cndmask_b32_e32 v0, v2, v3, vcc
	s_brev_b32 s22, 1
	v_and_or_b32 v0, v1, s22, v0
	v_cvt_f64_f32_e32 v[0:1], v0
.LBB118_2003:
	s_mov_b64 s[22:23], 0
	s_mov_b64 s[24:25], -1
.LBB118_2004:
	s_andn2_b64 vcc, exec, s[22:23]
	s_mov_b64 s[22:23], 0
	s_cbranch_vccnz .LBB118_2013
; %bb.2005:
	s_cmp_gt_i32 s15, 14
	s_cbranch_scc0 .LBB118_2008
; %bb.2006:
	s_cmp_eq_u32 s15, 15
	s_cbranch_scc0 .LBB118_2009
; %bb.2007:
	global_load_ushort v0, v[4:5], off
	s_mov_b64 s[0:1], 0
	s_mov_b64 s[24:25], -1
	s_waitcnt vmcnt(0)
	v_lshlrev_b32_e32 v0, 16, v0
	v_cvt_f64_f32_e32 v[0:1], v0
	s_branch .LBB118_2010
.LBB118_2008:
	s_mov_b64 s[26:27], -1
                                        ; implicit-def: $vgpr0_vgpr1
	s_branch .LBB118_2011
.LBB118_2009:
	s_mov_b64 s[0:1], -1
                                        ; implicit-def: $vgpr0_vgpr1
.LBB118_2010:
	s_mov_b64 s[26:27], 0
.LBB118_2011:
	s_and_b64 vcc, exec, s[26:27]
	s_cbranch_vccz .LBB118_2013
; %bb.2012:
	s_cmp_lg_u32 s15, 11
	s_mov_b64 s[22:23], -1
	s_cselect_b64 s[0:1], -1, 0
.LBB118_2013:
	v_mov_b32_e32 v2, 0
	v_mov_b32_e32 v3, 0
	s_and_b64 vcc, exec, s[0:1]
	s_cbranch_vccz .LBB118_1880
.LBB118_2014:
	s_trap 2
	s_or_b64 s[18:19], s[18:19], exec
	s_cbranch_execz .LBB118_1881
	s_branch .LBB118_1882
.LBB118_2015:
	s_mov_b64 s[0:1], -1
                                        ; implicit-def: $vgpr6_vgpr7
	s_mov_b64 s[22:23], 0
.LBB118_2016:
	s_and_b64 vcc, exec, s[24:25]
	s_cbranch_vccz .LBB118_2021
; %bb.2017:
	s_cmp_eq_u32 s28, 44
	s_cbranch_scc0 .LBB118_2019
; %bb.2018:
	global_load_ubyte v6, v[8:9], off
	s_movk_i32 s22, 0xff
	v_bfrev_b32_e32 v7, 4
	v_mov_b32_e32 v13, 0x7ff80000
	v_bfrev_b32_e32 v14, 28
	s_mov_b64 s[0:1], 0
	s_waitcnt vmcnt(0)
	v_lshlrev_b32_e32 v4, 23, v6
	v_cvt_f64_f32_e32 v[4:5], v4
	v_cmp_ne_u32_e32 vcc, s22, v6
	s_mov_b64 s[22:23], -1
	v_cndmask_b32_e32 v4, v7, v4, vcc
	v_cndmask_b32_e32 v5, v13, v5, vcc
	v_cmp_ne_u32_e32 vcc, 0, v6
	v_cndmask_b32_e32 v5, v14, v5, vcc
	v_cndmask_b32_e32 v4, 0, v4, vcc
	s_branch .LBB118_2020
.LBB118_2019:
	s_mov_b64 s[0:1], -1
                                        ; implicit-def: $vgpr4_vgpr5
.LBB118_2020:
	v_mov_b32_e32 v6, 0
	v_mov_b32_e32 v7, 0
.LBB118_2021:
	s_mov_b64 s[24:25], 0
.LBB118_2022:
	s_and_b64 vcc, exec, s[24:25]
	s_cbranch_vccz .LBB118_2027
; %bb.2023:
	s_cmp_eq_u32 s28, 29
	s_cbranch_scc0 .LBB118_2025
; %bb.2024:
	global_load_dwordx2 v[4:5], v[8:9], off
	s_mov_b64 s[0:1], 0
	s_mov_b64 s[22:23], -1
	s_waitcnt vmcnt(0)
	v_cvt_f64_u32_e32 v[5:6], v5
	v_cvt_f64_u32_e32 v[13:14], v4
	v_ldexp_f64 v[5:6], v[5:6], 32
	v_add_f64 v[4:5], v[5:6], v[13:14]
	s_branch .LBB118_2026
.LBB118_2025:
	s_mov_b64 s[0:1], -1
                                        ; implicit-def: $vgpr4_vgpr5
.LBB118_2026:
	v_mov_b32_e32 v6, 0
	v_mov_b32_e32 v7, 0
.LBB118_2027:
	s_mov_b64 s[24:25], 0
.LBB118_2028:
	s_and_b64 vcc, exec, s[24:25]
	s_cbranch_vccz .LBB118_2048
; %bb.2029:
	s_cmp_lt_i32 s28, 27
	s_cbranch_scc1 .LBB118_2032
; %bb.2030:
	s_cmp_gt_i32 s28, 27
	s_cbranch_scc0 .LBB118_2033
; %bb.2031:
	global_load_dword v4, v[8:9], off
	s_mov_b64 s[22:23], 0
	s_waitcnt vmcnt(0)
	v_cvt_f64_u32_e32 v[4:5], v4
	s_branch .LBB118_2034
.LBB118_2032:
	s_mov_b64 s[22:23], -1
                                        ; implicit-def: $vgpr4_vgpr5
	s_branch .LBB118_2037
.LBB118_2033:
	s_mov_b64 s[22:23], -1
                                        ; implicit-def: $vgpr4_vgpr5
.LBB118_2034:
	s_andn2_b64 vcc, exec, s[22:23]
	s_cbranch_vccnz .LBB118_2036
; %bb.2035:
	global_load_ushort v4, v[8:9], off
	s_waitcnt vmcnt(0)
	v_cvt_f64_u32_e32 v[4:5], v4
.LBB118_2036:
	s_mov_b64 s[22:23], 0
.LBB118_2037:
	s_andn2_b64 vcc, exec, s[22:23]
	s_cbranch_vccnz .LBB118_2047
; %bb.2038:
	global_load_ubyte v6, v[8:9], off
	s_movk_i32 s22, 0x7f
	s_waitcnt vmcnt(0)
	v_cmp_lt_i16_e32 vcc, s22, v6
	s_mov_b64 s[22:23], 0
	s_and_saveexec_b64 s[24:25], vcc
	s_xor_b64 s[24:25], exec, s[24:25]
	s_cbranch_execz .LBB118_2042
; %bb.2039:
	s_movk_i32 s22, 0x80
	v_cmp_eq_u16_e32 vcc, s22, v6
	s_mov_b64 s[22:23], -1
	s_and_saveexec_b64 s[26:27], vcc
; %bb.2040:
	s_xor_b64 s[22:23], exec, -1
; %bb.2041:
	s_or_b64 exec, exec, s[26:27]
	s_and_b64 s[22:23], s[22:23], exec
.LBB118_2042:
	s_or_saveexec_b64 s[24:25], s[24:25]
	v_bfrev_b32_e32 v4, 4
	v_mov_b32_e32 v5, 0x7ff80000
	s_xor_b64 exec, exec, s[24:25]
; %bb.2043:
	v_cmp_ne_u16_e32 vcc, 0, v6
	v_mov_b32_e32 v4, 0
	s_andn2_b64 s[22:23], s[22:23], exec
	s_and_b64 s[26:27], vcc, exec
	v_mov_b32_e32 v5, 0
	s_or_b64 s[22:23], s[22:23], s[26:27]
; %bb.2044:
	s_or_b64 exec, exec, s[24:25]
	s_and_saveexec_b64 s[24:25], s[22:23]
	s_cbranch_execz .LBB118_2046
; %bb.2045:
	v_and_b32_e32 v5, 0xffff, v6
	v_lshlrev_b32_e32 v4, 24, v6
	v_and_b32_e32 v6, 7, v5
	v_ffbh_u32_e32 v13, v6
	v_min_u32_e32 v13, 32, v13
	v_subrev_u32_e32 v14, 28, v13
	v_bfe_u32 v7, v5, 3, 4
	v_lshlrev_b32_e32 v5, v14, v5
	v_sub_u32_e32 v13, 29, v13
	v_and_b32_e32 v5, 7, v5
	v_cmp_eq_u32_e32 vcc, 0, v7
	v_cndmask_b32_e32 v7, v7, v13, vcc
	v_cndmask_b32_e32 v5, v6, v5, vcc
	v_mov_b32_e32 v6, 0x3b800000
	v_lshlrev_b32_e32 v5, 20, v5
	v_and_b32_e32 v4, 0x80000000, v4
	v_lshl_add_u32 v6, v7, 23, v6
	v_or3_b32 v4, v4, v6, v5
	v_cvt_f64_f32_e32 v[4:5], v4
.LBB118_2046:
	s_or_b64 exec, exec, s[24:25]
.LBB118_2047:
	v_mov_b32_e32 v6, 0
	v_mov_b32_e32 v7, 0
	s_mov_b64 s[22:23], -1
.LBB118_2048:
	s_mov_b64 s[24:25], 0
.LBB118_2049:
	s_and_b64 vcc, exec, s[24:25]
	s_cbranch_vccz .LBB118_2062
; %bb.2050:
	s_cmp_gt_i32 s28, 22
	s_cbranch_scc0 .LBB118_2073
; %bb.2051:
	s_cmp_lt_i32 s28, 24
	s_cbranch_scc1 .LBB118_2075
; %bb.2052:
	s_cmp_gt_i32 s28, 24
	s_cbranch_scc0 .LBB118_2077
; %bb.2053:
	global_load_ubyte v6, v[8:9], off
	s_movk_i32 s14, 0x7f
	s_waitcnt vmcnt(0)
	v_cmp_lt_i16_e32 vcc, s14, v6
	s_mov_b64 s[14:15], 0
	s_and_saveexec_b64 s[22:23], vcc
	s_xor_b64 s[22:23], exec, s[22:23]
	s_cbranch_execz .LBB118_2057
; %bb.2054:
	s_movk_i32 s14, 0x80
	v_cmp_eq_u16_e32 vcc, s14, v6
	s_mov_b64 s[14:15], -1
	s_and_saveexec_b64 s[24:25], vcc
; %bb.2055:
	s_xor_b64 s[14:15], exec, -1
; %bb.2056:
	s_or_b64 exec, exec, s[24:25]
	s_and_b64 s[14:15], s[14:15], exec
.LBB118_2057:
	s_or_saveexec_b64 s[22:23], s[22:23]
	v_bfrev_b32_e32 v4, 4
	v_mov_b32_e32 v5, 0x7ff80000
	s_xor_b64 exec, exec, s[22:23]
; %bb.2058:
	v_cmp_ne_u16_e32 vcc, 0, v6
	v_mov_b32_e32 v4, 0
	s_andn2_b64 s[14:15], s[14:15], exec
	s_and_b64 s[24:25], vcc, exec
	v_mov_b32_e32 v5, 0
	s_or_b64 s[14:15], s[14:15], s[24:25]
; %bb.2059:
	s_or_b64 exec, exec, s[22:23]
	s_and_saveexec_b64 s[22:23], s[14:15]
	s_cbranch_execz .LBB118_2061
; %bb.2060:
	v_and_b32_e32 v5, 0xffff, v6
	v_lshlrev_b32_e32 v4, 24, v6
	v_and_b32_e32 v6, 3, v5
	v_ffbh_u32_e32 v13, v6
	v_min_u32_e32 v13, 32, v13
	v_subrev_u32_e32 v14, 29, v13
	v_bfe_u32 v7, v5, 2, 5
	v_lshlrev_b32_e32 v5, v14, v5
	v_sub_u32_e32 v13, 30, v13
	v_and_b32_e32 v5, 3, v5
	v_cmp_eq_u32_e32 vcc, 0, v7
	v_cndmask_b32_e32 v7, v7, v13, vcc
	v_cndmask_b32_e32 v5, v6, v5, vcc
	v_mov_b32_e32 v6, 0x37800000
	v_lshlrev_b32_e32 v5, 21, v5
	v_and_b32_e32 v4, 0x80000000, v4
	v_lshl_add_u32 v6, v7, 23, v6
	v_or3_b32 v4, v4, v6, v5
	v_cvt_f64_f32_e32 v[4:5], v4
.LBB118_2061:
	s_or_b64 exec, exec, s[22:23]
	s_mov_b64 s[14:15], 0
	s_branch .LBB118_2078
.LBB118_2062:
	s_and_b64 vcc, exec, s[0:1]
	s_cbranch_vccnz .LBB118_2106
.LBB118_2063:
	s_andn2_b64 vcc, exec, s[14:15]
	s_cbranch_vccnz .LBB118_2065
.LBB118_2064:
	global_load_ubyte v5, v[8:9], off
	v_mov_b32_e32 v13, 0x3ff00000
	v_mov_b32_e32 v6, 0
	;; [unrolled: 1-line block ×4, first 2 shown]
	s_mov_b64 s[22:23], -1
	s_waitcnt vmcnt(0)
	v_cmp_ne_u16_e32 vcc, 0, v5
	v_cndmask_b32_e32 v5, 0, v13, vcc
.LBB118_2065:
	s_mov_b64 s[0:1], 0
.LBB118_2066:
	s_and_b64 vcc, exec, s[0:1]
	s_cbranch_vccz .LBB118_2137
; %bb.2067:
	s_and_b32 s14, 0xffff, s31
	s_cmp_lt_i32 s14, 5
	s_cbranch_scc1 .LBB118_2072
; %bb.2068:
	s_cmp_lt_i32 s14, 8
	s_cbranch_scc1 .LBB118_2074
; %bb.2069:
	;; [unrolled: 3-line block ×3, first 2 shown]
	s_cmp_gt_i32 s14, 9
	s_cbranch_scc0 .LBB118_2089
; %bb.2071:
	global_load_dwordx4 v[4:7], v[8:9], off
	s_mov_b64 s[0:1], 0
	s_branch .LBB118_2090
.LBB118_2072:
	s_mov_b64 s[0:1], -1
                                        ; implicit-def: $vgpr6_vgpr7
	s_branch .LBB118_2115
.LBB118_2073:
	s_mov_b64 s[14:15], -1
                                        ; implicit-def: $vgpr4_vgpr5
	s_branch .LBB118_2084
.LBB118_2074:
	s_mov_b64 s[0:1], -1
                                        ; implicit-def: $vgpr6_vgpr7
	s_branch .LBB118_2096
.LBB118_2075:
	s_mov_b64 s[14:15], -1
                                        ; implicit-def: $vgpr4_vgpr5
	s_branch .LBB118_2081
.LBB118_2076:
	s_mov_b64 s[0:1], -1
                                        ; implicit-def: $vgpr6_vgpr7
	s_branch .LBB118_2093
.LBB118_2077:
	s_mov_b64 s[14:15], -1
                                        ; implicit-def: $vgpr4_vgpr5
.LBB118_2078:
	s_and_b64 vcc, exec, s[14:15]
	s_cbranch_vccz .LBB118_2080
; %bb.2079:
	global_load_ubyte v4, v[8:9], off
	s_mov_b32 s14, 0x7f800000
	s_waitcnt vmcnt(0)
	v_lshlrev_b32_e32 v4, 24, v4
	v_and_b32_e32 v5, 0x7f000000, v4
	v_ffbh_u32_e32 v6, v5
	v_min_u32_e32 v6, 32, v6
	v_sub_u32_e64 v6, v6, 4 clamp
	v_lshlrev_b32_e32 v13, v6, v5
	v_lshlrev_b32_e32 v6, 23, v6
	v_lshrrev_b32_e32 v13, 4, v13
	v_add_u32_e32 v7, 0x1000000, v5
	v_sub_u32_e32 v6, v13, v6
	v_ashrrev_i32_e32 v7, 8, v7
	v_add_u32_e32 v6, 0x3c000000, v6
	v_and_or_b32 v6, v7, s14, v6
	v_cmp_ne_u32_e32 vcc, 0, v5
	v_cndmask_b32_e32 v5, 0, v6, vcc
	s_brev_b32 s14, 1
	v_and_or_b32 v4, v4, s14, v5
	v_cvt_f64_f32_e32 v[4:5], v4
.LBB118_2080:
	s_mov_b64 s[14:15], 0
.LBB118_2081:
	s_andn2_b64 vcc, exec, s[14:15]
	s_cbranch_vccnz .LBB118_2083
; %bb.2082:
	global_load_ubyte v4, v[8:9], off
	s_movk_i32 s14, 0x7f00
	s_brev_b32 s15, 16
	s_waitcnt vmcnt(0)
	v_lshlrev_b16_e32 v5, 8, v4
	v_lshlrev_b32_e32 v4, 25, v4
	v_lshrrev_b32_e32 v6, 4, v4
	v_and_or_b32 v7, v5, s14, 0.5
	v_or_b32_e32 v6, 0x70000000, v6
	v_add_f32_e32 v7, -0.5, v7
	v_mul_f32_e32 v6, 0x7800000, v6
	v_cmp_gt_u32_e32 vcc, s15, v4
	v_bfe_i32 v5, v5, 0, 16
	v_cndmask_b32_e32 v4, v6, v7, vcc
	s_brev_b32 s14, 1
	v_and_or_b32 v4, v5, s14, v4
	v_cvt_f64_f32_e32 v[4:5], v4
.LBB118_2083:
	s_mov_b64 s[14:15], 0
	s_mov_b64 s[22:23], -1
.LBB118_2084:
	s_andn2_b64 vcc, exec, s[14:15]
	s_mov_b64 s[14:15], 0
	s_cbranch_vccnz .LBB118_2105
; %bb.2085:
	s_cmp_gt_i32 s28, 14
	s_cbranch_scc0 .LBB118_2088
; %bb.2086:
	s_cmp_eq_u32 s28, 15
	s_cbranch_scc0 .LBB118_2101
; %bb.2087:
	global_load_ushort v4, v[8:9], off
	s_mov_b64 s[0:1], 0
	s_mov_b64 s[22:23], -1
	s_waitcnt vmcnt(0)
	v_lshlrev_b32_e32 v4, 16, v4
	v_cvt_f64_f32_e32 v[4:5], v4
	s_branch .LBB118_2102
.LBB118_2088:
	s_mov_b64 s[24:25], -1
                                        ; implicit-def: $vgpr4_vgpr5
	s_branch .LBB118_2103
.LBB118_2089:
	s_mov_b64 s[0:1], -1
                                        ; implicit-def: $vgpr6_vgpr7
.LBB118_2090:
	s_andn2_b64 vcc, exec, s[0:1]
	s_cbranch_vccnz .LBB118_2092
; %bb.2091:
	global_load_dwordx2 v[5:6], v[8:9], off
	s_waitcnt vmcnt(0)
	v_cvt_f64_f32_e32 v[4:5], v5
	v_cvt_f64_f32_e32 v[6:7], v6
.LBB118_2092:
	s_mov_b64 s[0:1], 0
.LBB118_2093:
	s_andn2_b64 vcc, exec, s[0:1]
	s_cbranch_vccnz .LBB118_2095
; %bb.2094:
	global_load_dword v4, v[8:9], off
	s_waitcnt vmcnt(0)
	v_cvt_f32_f16_e32 v5, v4
	v_cvt_f32_f16_sdwa v6, v4 dst_sel:DWORD dst_unused:UNUSED_PAD src0_sel:WORD_1
	v_cvt_f64_f32_e32 v[4:5], v5
	v_cvt_f64_f32_e32 v[6:7], v6
.LBB118_2095:
	s_mov_b64 s[0:1], 0
.LBB118_2096:
	s_andn2_b64 vcc, exec, s[0:1]
	s_cbranch_vccnz .LBB118_2114
; %bb.2097:
	s_cmp_lt_i32 s14, 6
	s_cbranch_scc1 .LBB118_2100
; %bb.2098:
	s_cmp_gt_i32 s14, 6
	s_cbranch_scc0 .LBB118_2107
; %bb.2099:
	global_load_dwordx2 v[4:5], v[8:9], off
	s_mov_b64 s[0:1], 0
	s_branch .LBB118_2108
.LBB118_2100:
	s_mov_b64 s[0:1], -1
                                        ; implicit-def: $vgpr4_vgpr5
	s_branch .LBB118_2111
.LBB118_2101:
	s_mov_b64 s[0:1], -1
                                        ; implicit-def: $vgpr4_vgpr5
.LBB118_2102:
	s_mov_b64 s[24:25], 0
.LBB118_2103:
	s_and_b64 vcc, exec, s[24:25]
	s_cbranch_vccz .LBB118_2105
; %bb.2104:
	s_cmp_lg_u32 s28, 11
	s_mov_b64 s[14:15], -1
	s_cselect_b64 s[0:1], -1, 0
.LBB118_2105:
	v_mov_b32_e32 v6, 0
	v_mov_b32_e32 v7, 0
	s_and_b64 vcc, exec, s[0:1]
	s_cbranch_vccz .LBB118_2063
.LBB118_2106:
	s_trap 2
	s_or_b64 s[18:19], s[18:19], exec
	s_cbranch_execz .LBB118_2064
	s_branch .LBB118_2065
.LBB118_2107:
	s_mov_b64 s[0:1], -1
                                        ; implicit-def: $vgpr4_vgpr5
.LBB118_2108:
	s_andn2_b64 vcc, exec, s[0:1]
	s_cbranch_vccnz .LBB118_2110
; %bb.2109:
	global_load_dword v4, v[8:9], off
	s_waitcnt vmcnt(0)
	v_cvt_f64_f32_e32 v[4:5], v4
.LBB118_2110:
	s_mov_b64 s[0:1], 0
.LBB118_2111:
	s_andn2_b64 vcc, exec, s[0:1]
	s_cbranch_vccnz .LBB118_2113
; %bb.2112:
	global_load_ushort v4, v[8:9], off
	s_waitcnt vmcnt(0)
	v_cvt_f32_f16_e32 v4, v4
	v_cvt_f64_f32_e32 v[4:5], v4
.LBB118_2113:
	s_waitcnt vmcnt(0)
	v_mov_b32_e32 v6, 0
	v_mov_b32_e32 v7, 0
.LBB118_2114:
	s_mov_b64 s[0:1], 0
.LBB118_2115:
	s_andn2_b64 vcc, exec, s[0:1]
	s_cbranch_vccnz .LBB118_2136
; %bb.2116:
	s_cmp_lt_i32 s14, 2
	s_cbranch_scc1 .LBB118_2120
; %bb.2117:
	s_cmp_lt_i32 s14, 3
	s_cbranch_scc1 .LBB118_2121
; %bb.2118:
	s_cmp_gt_i32 s14, 3
	s_cbranch_scc0 .LBB118_2122
; %bb.2119:
	global_load_dwordx2 v[4:5], v[8:9], off
	s_mov_b64 s[0:1], 0
	s_waitcnt vmcnt(0)
	v_cvt_f64_i32_e32 v[5:6], v5
	v_cvt_f64_u32_e32 v[13:14], v4
	v_ldexp_f64 v[5:6], v[5:6], 32
	v_add_f64 v[4:5], v[5:6], v[13:14]
	s_branch .LBB118_2123
.LBB118_2120:
	s_mov_b64 s[0:1], -1
                                        ; implicit-def: $vgpr4_vgpr5
	s_branch .LBB118_2129
.LBB118_2121:
	s_mov_b64 s[0:1], -1
                                        ; implicit-def: $vgpr4_vgpr5
	s_branch .LBB118_2126
.LBB118_2122:
	s_mov_b64 s[0:1], -1
                                        ; implicit-def: $vgpr4_vgpr5
.LBB118_2123:
	s_andn2_b64 vcc, exec, s[0:1]
	s_cbranch_vccnz .LBB118_2125
; %bb.2124:
	global_load_dword v4, v[8:9], off
	s_waitcnt vmcnt(0)
	v_cvt_f64_i32_e32 v[4:5], v4
.LBB118_2125:
	s_mov_b64 s[0:1], 0
.LBB118_2126:
	s_andn2_b64 vcc, exec, s[0:1]
	s_cbranch_vccnz .LBB118_2128
; %bb.2127:
	global_load_sshort v4, v[8:9], off
	s_waitcnt vmcnt(0)
	v_cvt_f64_i32_e32 v[4:5], v4
.LBB118_2128:
	s_mov_b64 s[0:1], 0
.LBB118_2129:
	s_andn2_b64 vcc, exec, s[0:1]
	s_cbranch_vccnz .LBB118_2135
; %bb.2130:
	s_cmp_gt_i32 s14, 0
	s_cbranch_scc0 .LBB118_2132
; %bb.2131:
	global_load_sbyte v4, v[8:9], off
	s_mov_b64 s[0:1], 0
	s_waitcnt vmcnt(0)
	v_cvt_f64_i32_e32 v[4:5], v4
	s_branch .LBB118_2133
.LBB118_2132:
	s_mov_b64 s[0:1], -1
                                        ; implicit-def: $vgpr4_vgpr5
.LBB118_2133:
	s_andn2_b64 vcc, exec, s[0:1]
	s_cbranch_vccnz .LBB118_2135
; %bb.2134:
	global_load_ubyte v4, v[8:9], off
	s_waitcnt vmcnt(0)
	v_cvt_f64_u32_e32 v[4:5], v4
.LBB118_2135:
	s_waitcnt vmcnt(0)
	v_mov_b32_e32 v6, 0
	v_mov_b32_e32 v7, 0
.LBB118_2136:
	s_mov_b64 s[22:23], -1
.LBB118_2137:
	s_andn2_b64 vcc, exec, s[22:23]
	s_cbranch_vccnz .LBB118_2692
; %bb.2138:
	s_and_b64 vcc, exec, s[20:21]
	s_cbranch_vccz .LBB118_2140
; %bb.2139:
	s_waitcnt vmcnt(0)
	v_cmp_neq_f64_e32 vcc, v[0:1], v[4:5]
	v_cmp_neq_f64_e64 s[0:1], v[2:3], v[6:7]
	s_or_b64 s[14:15], vcc, s[0:1]
	s_mov_b64 s[0:1], 0
	s_branch .LBB118_2141
.LBB118_2140:
	s_mov_b64 s[0:1], -1
                                        ; implicit-def: $sgpr14_sgpr15
.LBB118_2141:
	s_andn2_b64 vcc, exec, s[0:1]
	s_cbranch_vccnz .LBB118_2143
; %bb.2142:
	s_waitcnt vmcnt(0)
	v_cmp_eq_f64_e32 vcc, v[0:1], v[4:5]
	v_cmp_eq_f64_e64 s[0:1], v[2:3], v[6:7]
	s_andn2_b64 s[14:15], s[14:15], exec
	s_and_b64 s[0:1], vcc, s[0:1]
	s_and_b64 s[0:1], s[0:1], exec
	s_or_b64 s[14:15], s[14:15], s[0:1]
.LBB118_2143:
	v_add_u32_e32 v11, s13, v11
	s_waitcnt vmcnt(0)
	v_ashrrev_i32_e32 v0, 31, v11
	v_mov_b32_e32 v1, s11
	v_add_co_u32_e32 v4, vcc, s10, v11
	s_cmp_lt_i32 s30, 11
	v_addc_co_u32_e32 v5, vcc, v1, v0, vcc
	s_cbranch_scc1 .LBB118_2150
; %bb.2144:
	s_and_b32 s35, 0xffff, s30
	s_cmp_gt_i32 s35, 25
	s_mov_b64 s[22:23], 0
	s_cbranch_scc0 .LBB118_2151
; %bb.2145:
	s_cmp_gt_i32 s35, 28
	s_cbranch_scc0 .LBB118_2152
; %bb.2146:
	s_cmp_gt_i32 s35, 43
	s_cbranch_scc0 .LBB118_2153
; %bb.2147:
	s_cmp_gt_i32 s35, 45
	s_cbranch_scc0 .LBB118_2154
; %bb.2148:
	s_cmp_eq_u32 s35, 46
	s_mov_b64 s[26:27], 0
	s_cbranch_scc0 .LBB118_2155
; %bb.2149:
	global_load_dword v0, v[4:5], off
	s_mov_b64 s[0:1], 0
	s_mov_b64 s[24:25], -1
	s_waitcnt vmcnt(0)
	v_and_b32_e32 v2, 0xffff0000, v0
	v_lshlrev_b32_e32 v0, 16, v0
	v_cvt_f64_f32_e32 v[0:1], v0
	v_cvt_f64_f32_e32 v[2:3], v2
	s_branch .LBB118_2156
.LBB118_2150:
	s_mov_b64 s[0:1], -1
	s_mov_b64 s[24:25], 0
                                        ; implicit-def: $vgpr2_vgpr3
	s_branch .LBB118_2206
.LBB118_2151:
	s_mov_b64 s[26:27], -1
	s_mov_b64 s[24:25], 0
	s_mov_b64 s[0:1], 0
                                        ; implicit-def: $vgpr2_vgpr3
	s_branch .LBB118_2189
.LBB118_2152:
	s_mov_b64 s[26:27], -1
	s_mov_b64 s[24:25], 0
	s_mov_b64 s[0:1], 0
                                        ; implicit-def: $vgpr2_vgpr3
	s_branch .LBB118_2168
.LBB118_2153:
	s_mov_b64 s[26:27], -1
	s_mov_b64 s[24:25], 0
	s_mov_b64 s[0:1], 0
                                        ; implicit-def: $vgpr2_vgpr3
	s_branch .LBB118_2162
.LBB118_2154:
	s_mov_b64 s[26:27], -1
	s_mov_b64 s[24:25], 0
	s_mov_b64 s[0:1], 0
                                        ; implicit-def: $vgpr2_vgpr3
	s_branch .LBB118_2156
.LBB118_2155:
	s_mov_b64 s[0:1], -1
                                        ; implicit-def: $vgpr2_vgpr3
	s_mov_b64 s[24:25], 0
.LBB118_2156:
	s_and_b64 vcc, exec, s[26:27]
	s_cbranch_vccz .LBB118_2161
; %bb.2157:
	s_cmp_eq_u32 s35, 44
	s_cbranch_scc0 .LBB118_2159
; %bb.2158:
	global_load_ubyte v2, v[4:5], off
	s_movk_i32 s24, 0xff
	v_bfrev_b32_e32 v3, 4
	v_mov_b32_e32 v6, 0x7ff80000
	v_bfrev_b32_e32 v7, 28
	s_mov_b64 s[0:1], 0
	s_waitcnt vmcnt(0)
	v_lshlrev_b32_e32 v0, 23, v2
	v_cvt_f64_f32_e32 v[0:1], v0
	v_cmp_ne_u32_e32 vcc, s24, v2
	s_mov_b64 s[24:25], -1
	v_cndmask_b32_e32 v0, v3, v0, vcc
	v_cndmask_b32_e32 v1, v6, v1, vcc
	v_cmp_ne_u32_e32 vcc, 0, v2
	v_cndmask_b32_e32 v1, v7, v1, vcc
	v_cndmask_b32_e32 v0, 0, v0, vcc
	s_branch .LBB118_2160
.LBB118_2159:
	s_mov_b64 s[0:1], -1
                                        ; implicit-def: $vgpr0_vgpr1
.LBB118_2160:
	v_mov_b32_e32 v2, 0
	v_mov_b32_e32 v3, 0
.LBB118_2161:
	s_mov_b64 s[26:27], 0
.LBB118_2162:
	s_and_b64 vcc, exec, s[26:27]
	s_cbranch_vccz .LBB118_2167
; %bb.2163:
	s_cmp_eq_u32 s35, 29
	s_cbranch_scc0 .LBB118_2165
; %bb.2164:
	global_load_dwordx2 v[0:1], v[4:5], off
	s_mov_b64 s[0:1], 0
	s_mov_b64 s[24:25], -1
	s_waitcnt vmcnt(0)
	v_cvt_f64_u32_e32 v[1:2], v1
	v_cvt_f64_u32_e32 v[6:7], v0
	v_ldexp_f64 v[1:2], v[1:2], 32
	v_add_f64 v[0:1], v[1:2], v[6:7]
	s_branch .LBB118_2166
.LBB118_2165:
	s_mov_b64 s[0:1], -1
                                        ; implicit-def: $vgpr0_vgpr1
.LBB118_2166:
	v_mov_b32_e32 v2, 0
	v_mov_b32_e32 v3, 0
.LBB118_2167:
	s_mov_b64 s[26:27], 0
.LBB118_2168:
	s_and_b64 vcc, exec, s[26:27]
	s_cbranch_vccz .LBB118_2188
; %bb.2169:
	s_cmp_lt_i32 s35, 27
	s_cbranch_scc1 .LBB118_2172
; %bb.2170:
	s_cmp_gt_i32 s35, 27
	s_cbranch_scc0 .LBB118_2173
; %bb.2171:
	global_load_dword v0, v[4:5], off
	s_mov_b64 s[24:25], 0
	s_waitcnt vmcnt(0)
	v_cvt_f64_u32_e32 v[0:1], v0
	s_branch .LBB118_2174
.LBB118_2172:
	s_mov_b64 s[24:25], -1
                                        ; implicit-def: $vgpr0_vgpr1
	s_branch .LBB118_2177
.LBB118_2173:
	s_mov_b64 s[24:25], -1
                                        ; implicit-def: $vgpr0_vgpr1
.LBB118_2174:
	s_andn2_b64 vcc, exec, s[24:25]
	s_cbranch_vccnz .LBB118_2176
; %bb.2175:
	global_load_ushort v0, v[4:5], off
	s_waitcnt vmcnt(0)
	v_cvt_f64_u32_e32 v[0:1], v0
.LBB118_2176:
	s_mov_b64 s[24:25], 0
.LBB118_2177:
	s_andn2_b64 vcc, exec, s[24:25]
	s_cbranch_vccnz .LBB118_2187
; %bb.2178:
	global_load_ubyte v2, v[4:5], off
	s_movk_i32 s24, 0x7f
	s_waitcnt vmcnt(0)
	v_cmp_lt_i16_e32 vcc, s24, v2
	s_mov_b64 s[24:25], 0
	s_and_saveexec_b64 s[26:27], vcc
	s_xor_b64 s[26:27], exec, s[26:27]
	s_cbranch_execz .LBB118_2182
; %bb.2179:
	s_movk_i32 s24, 0x80
	v_cmp_eq_u16_e32 vcc, s24, v2
	s_mov_b64 s[24:25], -1
	s_and_saveexec_b64 s[28:29], vcc
; %bb.2180:
	s_xor_b64 s[24:25], exec, -1
; %bb.2181:
	s_or_b64 exec, exec, s[28:29]
	s_and_b64 s[24:25], s[24:25], exec
.LBB118_2182:
	s_or_saveexec_b64 s[26:27], s[26:27]
	v_bfrev_b32_e32 v0, 4
	v_mov_b32_e32 v1, 0x7ff80000
	s_xor_b64 exec, exec, s[26:27]
; %bb.2183:
	v_cmp_ne_u16_e32 vcc, 0, v2
	v_mov_b32_e32 v0, 0
	s_andn2_b64 s[24:25], s[24:25], exec
	s_and_b64 s[28:29], vcc, exec
	v_mov_b32_e32 v1, 0
	s_or_b64 s[24:25], s[24:25], s[28:29]
; %bb.2184:
	s_or_b64 exec, exec, s[26:27]
	s_and_saveexec_b64 s[26:27], s[24:25]
	s_cbranch_execz .LBB118_2186
; %bb.2185:
	v_and_b32_e32 v1, 0xffff, v2
	v_lshlrev_b32_e32 v0, 24, v2
	v_and_b32_e32 v2, 7, v1
	v_ffbh_u32_e32 v6, v2
	v_min_u32_e32 v6, 32, v6
	v_subrev_u32_e32 v7, 28, v6
	v_bfe_u32 v3, v1, 3, 4
	v_lshlrev_b32_e32 v1, v7, v1
	v_sub_u32_e32 v6, 29, v6
	v_and_b32_e32 v1, 7, v1
	v_cmp_eq_u32_e32 vcc, 0, v3
	v_cndmask_b32_e32 v3, v3, v6, vcc
	v_cndmask_b32_e32 v1, v2, v1, vcc
	v_mov_b32_e32 v2, 0x3b800000
	v_lshlrev_b32_e32 v1, 20, v1
	v_and_b32_e32 v0, 0x80000000, v0
	v_lshl_add_u32 v2, v3, 23, v2
	v_or3_b32 v0, v0, v2, v1
	v_cvt_f64_f32_e32 v[0:1], v0
.LBB118_2186:
	s_or_b64 exec, exec, s[26:27]
.LBB118_2187:
	v_mov_b32_e32 v2, 0
	v_mov_b32_e32 v3, 0
	s_mov_b64 s[24:25], -1
.LBB118_2188:
	s_mov_b64 s[26:27], 0
.LBB118_2189:
	s_and_b64 vcc, exec, s[26:27]
	s_cbranch_vccz .LBB118_2202
; %bb.2190:
	s_cmp_gt_i32 s35, 22
	s_cbranch_scc0 .LBB118_2213
; %bb.2191:
	s_cmp_lt_i32 s35, 24
	s_cbranch_scc1 .LBB118_2215
; %bb.2192:
	s_cmp_gt_i32 s35, 24
	s_cbranch_scc0 .LBB118_2217
; %bb.2193:
	global_load_ubyte v2, v[4:5], off
	s_movk_i32 s22, 0x7f
	s_waitcnt vmcnt(0)
	v_cmp_lt_i16_e32 vcc, s22, v2
	s_mov_b64 s[22:23], 0
	s_and_saveexec_b64 s[24:25], vcc
	s_xor_b64 s[24:25], exec, s[24:25]
	s_cbranch_execz .LBB118_2197
; %bb.2194:
	s_movk_i32 s22, 0x80
	v_cmp_eq_u16_e32 vcc, s22, v2
	s_mov_b64 s[22:23], -1
	s_and_saveexec_b64 s[26:27], vcc
; %bb.2195:
	s_xor_b64 s[22:23], exec, -1
; %bb.2196:
	s_or_b64 exec, exec, s[26:27]
	s_and_b64 s[22:23], s[22:23], exec
.LBB118_2197:
	s_or_saveexec_b64 s[24:25], s[24:25]
	v_bfrev_b32_e32 v0, 4
	v_mov_b32_e32 v1, 0x7ff80000
	s_xor_b64 exec, exec, s[24:25]
; %bb.2198:
	v_cmp_ne_u16_e32 vcc, 0, v2
	v_mov_b32_e32 v0, 0
	s_andn2_b64 s[22:23], s[22:23], exec
	s_and_b64 s[26:27], vcc, exec
	v_mov_b32_e32 v1, 0
	s_or_b64 s[22:23], s[22:23], s[26:27]
; %bb.2199:
	s_or_b64 exec, exec, s[24:25]
	s_and_saveexec_b64 s[24:25], s[22:23]
	s_cbranch_execz .LBB118_2201
; %bb.2200:
	v_and_b32_e32 v1, 0xffff, v2
	v_lshlrev_b32_e32 v0, 24, v2
	v_and_b32_e32 v2, 3, v1
	v_ffbh_u32_e32 v6, v2
	v_min_u32_e32 v6, 32, v6
	v_subrev_u32_e32 v7, 29, v6
	v_bfe_u32 v3, v1, 2, 5
	v_lshlrev_b32_e32 v1, v7, v1
	v_sub_u32_e32 v6, 30, v6
	v_and_b32_e32 v1, 3, v1
	v_cmp_eq_u32_e32 vcc, 0, v3
	v_cndmask_b32_e32 v3, v3, v6, vcc
	v_cndmask_b32_e32 v1, v2, v1, vcc
	v_mov_b32_e32 v2, 0x37800000
	v_lshlrev_b32_e32 v1, 21, v1
	v_and_b32_e32 v0, 0x80000000, v0
	v_lshl_add_u32 v2, v3, 23, v2
	v_or3_b32 v0, v0, v2, v1
	v_cvt_f64_f32_e32 v[0:1], v0
.LBB118_2201:
	s_or_b64 exec, exec, s[24:25]
	s_mov_b64 s[22:23], 0
	s_branch .LBB118_2218
.LBB118_2202:
	s_and_b64 vcc, exec, s[0:1]
	s_cbranch_vccnz .LBB118_2246
.LBB118_2203:
	s_andn2_b64 vcc, exec, s[22:23]
	s_cbranch_vccnz .LBB118_2205
.LBB118_2204:
	global_load_ubyte v1, v[4:5], off
	v_mov_b32_e32 v6, 0x3ff00000
	v_mov_b32_e32 v2, 0
	;; [unrolled: 1-line block ×4, first 2 shown]
	s_mov_b64 s[24:25], -1
	s_waitcnt vmcnt(0)
	v_cmp_ne_u16_e32 vcc, 0, v1
	v_cndmask_b32_e32 v1, 0, v6, vcc
.LBB118_2205:
	s_mov_b64 s[0:1], 0
.LBB118_2206:
	s_and_b64 vcc, exec, s[0:1]
	s_cbranch_vccz .LBB118_2277
; %bb.2207:
	s_and_b32 s22, 0xffff, s30
	s_cmp_lt_i32 s22, 5
	s_cbranch_scc1 .LBB118_2212
; %bb.2208:
	s_cmp_lt_i32 s22, 8
	s_cbranch_scc1 .LBB118_2214
; %bb.2209:
	;; [unrolled: 3-line block ×3, first 2 shown]
	s_cmp_gt_i32 s22, 9
	s_cbranch_scc0 .LBB118_2229
; %bb.2211:
	global_load_dwordx4 v[0:3], v[4:5], off
	s_mov_b64 s[0:1], 0
	s_branch .LBB118_2230
.LBB118_2212:
	s_mov_b64 s[0:1], -1
                                        ; implicit-def: $vgpr2_vgpr3
	s_branch .LBB118_2255
.LBB118_2213:
	s_mov_b64 s[22:23], -1
                                        ; implicit-def: $vgpr0_vgpr1
	s_branch .LBB118_2224
.LBB118_2214:
	s_mov_b64 s[0:1], -1
                                        ; implicit-def: $vgpr2_vgpr3
	s_branch .LBB118_2236
.LBB118_2215:
	s_mov_b64 s[22:23], -1
                                        ; implicit-def: $vgpr0_vgpr1
	s_branch .LBB118_2221
.LBB118_2216:
	s_mov_b64 s[0:1], -1
                                        ; implicit-def: $vgpr2_vgpr3
	s_branch .LBB118_2233
.LBB118_2217:
	s_mov_b64 s[22:23], -1
                                        ; implicit-def: $vgpr0_vgpr1
.LBB118_2218:
	s_and_b64 vcc, exec, s[22:23]
	s_cbranch_vccz .LBB118_2220
; %bb.2219:
	global_load_ubyte v0, v[4:5], off
	s_mov_b32 s22, 0x7f800000
	s_waitcnt vmcnt(0)
	v_lshlrev_b32_e32 v0, 24, v0
	v_and_b32_e32 v1, 0x7f000000, v0
	v_ffbh_u32_e32 v2, v1
	v_min_u32_e32 v2, 32, v2
	v_sub_u32_e64 v2, v2, 4 clamp
	v_lshlrev_b32_e32 v6, v2, v1
	v_lshlrev_b32_e32 v2, 23, v2
	v_lshrrev_b32_e32 v6, 4, v6
	v_add_u32_e32 v3, 0x1000000, v1
	v_sub_u32_e32 v2, v6, v2
	v_ashrrev_i32_e32 v3, 8, v3
	v_add_u32_e32 v2, 0x3c000000, v2
	v_and_or_b32 v2, v3, s22, v2
	v_cmp_ne_u32_e32 vcc, 0, v1
	v_cndmask_b32_e32 v1, 0, v2, vcc
	s_brev_b32 s22, 1
	v_and_or_b32 v0, v0, s22, v1
	v_cvt_f64_f32_e32 v[0:1], v0
.LBB118_2220:
	s_mov_b64 s[22:23], 0
.LBB118_2221:
	s_andn2_b64 vcc, exec, s[22:23]
	s_cbranch_vccnz .LBB118_2223
; %bb.2222:
	global_load_ubyte v0, v[4:5], off
	s_movk_i32 s22, 0x7f00
	s_brev_b32 s23, 16
	s_waitcnt vmcnt(0)
	v_lshlrev_b16_e32 v1, 8, v0
	v_lshlrev_b32_e32 v0, 25, v0
	v_lshrrev_b32_e32 v2, 4, v0
	v_and_or_b32 v3, v1, s22, 0.5
	v_or_b32_e32 v2, 0x70000000, v2
	v_add_f32_e32 v3, -0.5, v3
	v_mul_f32_e32 v2, 0x7800000, v2
	v_cmp_gt_u32_e32 vcc, s23, v0
	v_bfe_i32 v1, v1, 0, 16
	v_cndmask_b32_e32 v0, v2, v3, vcc
	s_brev_b32 s22, 1
	v_and_or_b32 v0, v1, s22, v0
	v_cvt_f64_f32_e32 v[0:1], v0
.LBB118_2223:
	s_mov_b64 s[22:23], 0
	s_mov_b64 s[24:25], -1
.LBB118_2224:
	s_andn2_b64 vcc, exec, s[22:23]
	s_mov_b64 s[22:23], 0
	s_cbranch_vccnz .LBB118_2245
; %bb.2225:
	s_cmp_gt_i32 s35, 14
	s_cbranch_scc0 .LBB118_2228
; %bb.2226:
	s_cmp_eq_u32 s35, 15
	s_cbranch_scc0 .LBB118_2241
; %bb.2227:
	global_load_ushort v0, v[4:5], off
	s_mov_b64 s[0:1], 0
	s_mov_b64 s[24:25], -1
	s_waitcnt vmcnt(0)
	v_lshlrev_b32_e32 v0, 16, v0
	v_cvt_f64_f32_e32 v[0:1], v0
	s_branch .LBB118_2242
.LBB118_2228:
	s_mov_b64 s[26:27], -1
                                        ; implicit-def: $vgpr0_vgpr1
	s_branch .LBB118_2243
.LBB118_2229:
	s_mov_b64 s[0:1], -1
                                        ; implicit-def: $vgpr2_vgpr3
.LBB118_2230:
	s_andn2_b64 vcc, exec, s[0:1]
	s_cbranch_vccnz .LBB118_2232
; %bb.2231:
	global_load_dwordx2 v[1:2], v[4:5], off
	s_waitcnt vmcnt(0)
	v_cvt_f64_f32_e32 v[0:1], v1
	v_cvt_f64_f32_e32 v[2:3], v2
.LBB118_2232:
	s_mov_b64 s[0:1], 0
.LBB118_2233:
	s_andn2_b64 vcc, exec, s[0:1]
	s_cbranch_vccnz .LBB118_2235
; %bb.2234:
	global_load_dword v0, v[4:5], off
	s_waitcnt vmcnt(0)
	v_cvt_f32_f16_e32 v1, v0
	v_cvt_f32_f16_sdwa v2, v0 dst_sel:DWORD dst_unused:UNUSED_PAD src0_sel:WORD_1
	v_cvt_f64_f32_e32 v[0:1], v1
	v_cvt_f64_f32_e32 v[2:3], v2
.LBB118_2235:
	s_mov_b64 s[0:1], 0
.LBB118_2236:
	s_andn2_b64 vcc, exec, s[0:1]
	s_cbranch_vccnz .LBB118_2254
; %bb.2237:
	s_cmp_lt_i32 s22, 6
	s_cbranch_scc1 .LBB118_2240
; %bb.2238:
	s_cmp_gt_i32 s22, 6
	s_cbranch_scc0 .LBB118_2247
; %bb.2239:
	global_load_dwordx2 v[0:1], v[4:5], off
	s_mov_b64 s[0:1], 0
	s_branch .LBB118_2248
.LBB118_2240:
	s_mov_b64 s[0:1], -1
                                        ; implicit-def: $vgpr0_vgpr1
	s_branch .LBB118_2251
.LBB118_2241:
	s_mov_b64 s[0:1], -1
                                        ; implicit-def: $vgpr0_vgpr1
.LBB118_2242:
	s_mov_b64 s[26:27], 0
.LBB118_2243:
	s_and_b64 vcc, exec, s[26:27]
	s_cbranch_vccz .LBB118_2245
; %bb.2244:
	s_cmp_lg_u32 s35, 11
	s_mov_b64 s[22:23], -1
	s_cselect_b64 s[0:1], -1, 0
.LBB118_2245:
	v_mov_b32_e32 v2, 0
	v_mov_b32_e32 v3, 0
	s_and_b64 vcc, exec, s[0:1]
	s_cbranch_vccz .LBB118_2203
.LBB118_2246:
	s_trap 2
	s_or_b64 s[18:19], s[18:19], exec
	s_cbranch_execz .LBB118_2204
	s_branch .LBB118_2205
.LBB118_2247:
	s_mov_b64 s[0:1], -1
                                        ; implicit-def: $vgpr0_vgpr1
.LBB118_2248:
	s_andn2_b64 vcc, exec, s[0:1]
	s_cbranch_vccnz .LBB118_2250
; %bb.2249:
	global_load_dword v0, v[4:5], off
	s_waitcnt vmcnt(0)
	v_cvt_f64_f32_e32 v[0:1], v0
.LBB118_2250:
	s_mov_b64 s[0:1], 0
.LBB118_2251:
	s_andn2_b64 vcc, exec, s[0:1]
	s_cbranch_vccnz .LBB118_2253
; %bb.2252:
	global_load_ushort v0, v[4:5], off
	s_waitcnt vmcnt(0)
	v_cvt_f32_f16_e32 v0, v0
	v_cvt_f64_f32_e32 v[0:1], v0
.LBB118_2253:
	s_waitcnt vmcnt(0)
	v_mov_b32_e32 v2, 0
	v_mov_b32_e32 v3, 0
.LBB118_2254:
	s_mov_b64 s[0:1], 0
.LBB118_2255:
	s_andn2_b64 vcc, exec, s[0:1]
	s_cbranch_vccnz .LBB118_2276
; %bb.2256:
	s_cmp_lt_i32 s22, 2
	s_cbranch_scc1 .LBB118_2260
; %bb.2257:
	s_cmp_lt_i32 s22, 3
	s_cbranch_scc1 .LBB118_2261
; %bb.2258:
	s_cmp_gt_i32 s22, 3
	s_cbranch_scc0 .LBB118_2262
; %bb.2259:
	global_load_dwordx2 v[0:1], v[4:5], off
	s_mov_b64 s[0:1], 0
	s_waitcnt vmcnt(0)
	v_cvt_f64_i32_e32 v[1:2], v1
	v_cvt_f64_u32_e32 v[6:7], v0
	v_ldexp_f64 v[1:2], v[1:2], 32
	v_add_f64 v[0:1], v[1:2], v[6:7]
	s_branch .LBB118_2263
.LBB118_2260:
	s_mov_b64 s[0:1], -1
                                        ; implicit-def: $vgpr0_vgpr1
	s_branch .LBB118_2269
.LBB118_2261:
	s_mov_b64 s[0:1], -1
                                        ; implicit-def: $vgpr0_vgpr1
	s_branch .LBB118_2266
.LBB118_2262:
	s_mov_b64 s[0:1], -1
                                        ; implicit-def: $vgpr0_vgpr1
.LBB118_2263:
	s_andn2_b64 vcc, exec, s[0:1]
	s_cbranch_vccnz .LBB118_2265
; %bb.2264:
	global_load_dword v0, v[4:5], off
	s_waitcnt vmcnt(0)
	v_cvt_f64_i32_e32 v[0:1], v0
.LBB118_2265:
	s_mov_b64 s[0:1], 0
.LBB118_2266:
	s_andn2_b64 vcc, exec, s[0:1]
	s_cbranch_vccnz .LBB118_2268
; %bb.2267:
	global_load_sshort v0, v[4:5], off
	s_waitcnt vmcnt(0)
	v_cvt_f64_i32_e32 v[0:1], v0
.LBB118_2268:
	s_mov_b64 s[0:1], 0
.LBB118_2269:
	s_andn2_b64 vcc, exec, s[0:1]
	s_cbranch_vccnz .LBB118_2275
; %bb.2270:
	s_cmp_gt_i32 s22, 0
	s_cbranch_scc0 .LBB118_2272
; %bb.2271:
	global_load_sbyte v0, v[4:5], off
	s_mov_b64 s[0:1], 0
	s_waitcnt vmcnt(0)
	v_cvt_f64_i32_e32 v[0:1], v0
	s_branch .LBB118_2273
.LBB118_2272:
	s_mov_b64 s[0:1], -1
                                        ; implicit-def: $vgpr0_vgpr1
.LBB118_2273:
	s_andn2_b64 vcc, exec, s[0:1]
	s_cbranch_vccnz .LBB118_2275
; %bb.2274:
	global_load_ubyte v0, v[4:5], off
	s_waitcnt vmcnt(0)
	v_cvt_f64_u32_e32 v[0:1], v0
.LBB118_2275:
	s_waitcnt vmcnt(0)
	v_mov_b32_e32 v2, 0
	v_mov_b32_e32 v3, 0
.LBB118_2276:
	s_mov_b64 s[24:25], -1
.LBB118_2277:
	s_andn2_b64 vcc, exec, s[24:25]
	s_cbranch_vccnz .LBB118_2692
; %bb.2278:
	v_add_u32_e32 v12, s34, v12
	v_ashrrev_i32_e32 v4, 31, v12
	v_mov_b32_e32 v5, s3
	v_add_co_u32_e32 v8, vcc, s2, v12
	s_cmp_lt_i32 s31, 11
	v_addc_co_u32_e32 v9, vcc, v5, v4, vcc
	s_cbranch_scc1 .LBB118_2285
; %bb.2279:
	s_and_b32 s35, 0xffff, s31
	s_cmp_gt_i32 s35, 25
	s_mov_b64 s[22:23], 0
	s_cbranch_scc0 .LBB118_2286
; %bb.2280:
	s_cmp_gt_i32 s35, 28
	s_cbranch_scc0 .LBB118_2287
; %bb.2281:
	s_cmp_gt_i32 s35, 43
	;; [unrolled: 3-line block ×3, first 2 shown]
	s_cbranch_scc0 .LBB118_2289
; %bb.2283:
	s_cmp_eq_u32 s35, 46
	s_mov_b64 s[26:27], 0
	s_cbranch_scc0 .LBB118_2292
; %bb.2284:
	global_load_dword v4, v[8:9], off
	s_mov_b64 s[0:1], 0
	s_mov_b64 s[24:25], -1
	s_waitcnt vmcnt(0)
	v_and_b32_e32 v6, 0xffff0000, v4
	v_lshlrev_b32_e32 v4, 16, v4
	v_cvt_f64_f32_e32 v[4:5], v4
	v_cvt_f64_f32_e32 v[6:7], v6
	s_branch .LBB118_2293
.LBB118_2285:
	s_mov_b64 s[0:1], -1
	s_mov_b64 s[24:25], 0
                                        ; implicit-def: $vgpr6_vgpr7
	s_branch .LBB118_2343
.LBB118_2286:
	s_mov_b64 s[26:27], -1
	s_mov_b64 s[24:25], 0
	s_mov_b64 s[0:1], 0
                                        ; implicit-def: $vgpr6_vgpr7
	s_branch .LBB118_2326
.LBB118_2287:
	s_mov_b64 s[26:27], -1
	s_mov_b64 s[24:25], 0
	s_mov_b64 s[0:1], 0
                                        ; implicit-def: $vgpr6_vgpr7
	s_branch .LBB118_2305
.LBB118_2288:
	s_mov_b64 s[26:27], -1
	s_mov_b64 s[24:25], 0
	s_mov_b64 s[0:1], 0
                                        ; implicit-def: $vgpr6_vgpr7
	s_branch .LBB118_2299
.LBB118_2289:
	s_mov_b64 s[26:27], -1
	s_mov_b64 s[24:25], 0
	s_mov_b64 s[0:1], 0
                                        ; implicit-def: $vgpr6_vgpr7
	s_branch .LBB118_2293
.LBB118_2290:
	s_andn2_saveexec_b64 s[48:49], s[48:49]
	s_cbranch_execz .LBB118_1128
.LBB118_2291:
	v_add_f32_e32 v2, 0x42800000, v3
	v_and_b32_e32 v2, 0xff, v2
	v_cmp_ne_u32_e32 vcc, 0, v2
	s_andn2_b64 s[46:47], s[46:47], exec
	s_and_b64 s[54:55], vcc, exec
	s_or_b64 s[46:47], s[46:47], s[54:55]
	s_or_b64 exec, exec, s[48:49]
	v_mov_b32_e32 v4, 0
	s_and_saveexec_b64 s[48:49], s[46:47]
	s_cbranch_execnz .LBB118_1129
	s_branch .LBB118_1130
.LBB118_2292:
	s_mov_b64 s[0:1], -1
                                        ; implicit-def: $vgpr6_vgpr7
	s_mov_b64 s[24:25], 0
.LBB118_2293:
	s_and_b64 vcc, exec, s[26:27]
	s_cbranch_vccz .LBB118_2298
; %bb.2294:
	s_cmp_eq_u32 s35, 44
	s_cbranch_scc0 .LBB118_2296
; %bb.2295:
	global_load_ubyte v6, v[8:9], off
	s_movk_i32 s24, 0xff
	v_bfrev_b32_e32 v7, 4
	v_mov_b32_e32 v13, 0x7ff80000
	v_bfrev_b32_e32 v14, 28
	s_mov_b64 s[0:1], 0
	s_waitcnt vmcnt(0)
	v_lshlrev_b32_e32 v4, 23, v6
	v_cvt_f64_f32_e32 v[4:5], v4
	v_cmp_ne_u32_e32 vcc, s24, v6
	s_mov_b64 s[24:25], -1
	v_cndmask_b32_e32 v4, v7, v4, vcc
	v_cndmask_b32_e32 v5, v13, v5, vcc
	v_cmp_ne_u32_e32 vcc, 0, v6
	v_cndmask_b32_e32 v5, v14, v5, vcc
	v_cndmask_b32_e32 v4, 0, v4, vcc
	s_branch .LBB118_2297
.LBB118_2296:
	s_mov_b64 s[0:1], -1
                                        ; implicit-def: $vgpr4_vgpr5
.LBB118_2297:
	v_mov_b32_e32 v6, 0
	v_mov_b32_e32 v7, 0
.LBB118_2298:
	s_mov_b64 s[26:27], 0
.LBB118_2299:
	s_and_b64 vcc, exec, s[26:27]
	s_cbranch_vccz .LBB118_2304
; %bb.2300:
	s_cmp_eq_u32 s35, 29
	s_cbranch_scc0 .LBB118_2302
; %bb.2301:
	global_load_dwordx2 v[4:5], v[8:9], off
	s_mov_b64 s[0:1], 0
	s_mov_b64 s[24:25], -1
	s_waitcnt vmcnt(0)
	v_cvt_f64_u32_e32 v[5:6], v5
	v_cvt_f64_u32_e32 v[13:14], v4
	v_ldexp_f64 v[5:6], v[5:6], 32
	v_add_f64 v[4:5], v[5:6], v[13:14]
	s_branch .LBB118_2303
.LBB118_2302:
	s_mov_b64 s[0:1], -1
                                        ; implicit-def: $vgpr4_vgpr5
.LBB118_2303:
	v_mov_b32_e32 v6, 0
	v_mov_b32_e32 v7, 0
.LBB118_2304:
	s_mov_b64 s[26:27], 0
.LBB118_2305:
	s_and_b64 vcc, exec, s[26:27]
	s_cbranch_vccz .LBB118_2325
; %bb.2306:
	s_cmp_lt_i32 s35, 27
	s_cbranch_scc1 .LBB118_2309
; %bb.2307:
	s_cmp_gt_i32 s35, 27
	s_cbranch_scc0 .LBB118_2310
; %bb.2308:
	global_load_dword v4, v[8:9], off
	s_mov_b64 s[24:25], 0
	s_waitcnt vmcnt(0)
	v_cvt_f64_u32_e32 v[4:5], v4
	s_branch .LBB118_2311
.LBB118_2309:
	s_mov_b64 s[24:25], -1
                                        ; implicit-def: $vgpr4_vgpr5
	s_branch .LBB118_2314
.LBB118_2310:
	s_mov_b64 s[24:25], -1
                                        ; implicit-def: $vgpr4_vgpr5
.LBB118_2311:
	s_andn2_b64 vcc, exec, s[24:25]
	s_cbranch_vccnz .LBB118_2313
; %bb.2312:
	global_load_ushort v4, v[8:9], off
	s_waitcnt vmcnt(0)
	v_cvt_f64_u32_e32 v[4:5], v4
.LBB118_2313:
	s_mov_b64 s[24:25], 0
.LBB118_2314:
	s_andn2_b64 vcc, exec, s[24:25]
	s_cbranch_vccnz .LBB118_2324
; %bb.2315:
	global_load_ubyte v6, v[8:9], off
	s_movk_i32 s24, 0x7f
	s_waitcnt vmcnt(0)
	v_cmp_lt_i16_e32 vcc, s24, v6
	s_mov_b64 s[24:25], 0
	s_and_saveexec_b64 s[26:27], vcc
	s_xor_b64 s[26:27], exec, s[26:27]
	s_cbranch_execz .LBB118_2319
; %bb.2316:
	s_movk_i32 s24, 0x80
	v_cmp_eq_u16_e32 vcc, s24, v6
	s_mov_b64 s[24:25], -1
	s_and_saveexec_b64 s[28:29], vcc
; %bb.2317:
	s_xor_b64 s[24:25], exec, -1
; %bb.2318:
	s_or_b64 exec, exec, s[28:29]
	s_and_b64 s[24:25], s[24:25], exec
.LBB118_2319:
	s_or_saveexec_b64 s[26:27], s[26:27]
	v_bfrev_b32_e32 v4, 4
	v_mov_b32_e32 v5, 0x7ff80000
	s_xor_b64 exec, exec, s[26:27]
; %bb.2320:
	v_cmp_ne_u16_e32 vcc, 0, v6
	v_mov_b32_e32 v4, 0
	s_andn2_b64 s[24:25], s[24:25], exec
	s_and_b64 s[28:29], vcc, exec
	v_mov_b32_e32 v5, 0
	s_or_b64 s[24:25], s[24:25], s[28:29]
; %bb.2321:
	s_or_b64 exec, exec, s[26:27]
	s_and_saveexec_b64 s[26:27], s[24:25]
	s_cbranch_execz .LBB118_2323
; %bb.2322:
	v_and_b32_e32 v5, 0xffff, v6
	v_lshlrev_b32_e32 v4, 24, v6
	v_and_b32_e32 v6, 7, v5
	v_ffbh_u32_e32 v13, v6
	v_min_u32_e32 v13, 32, v13
	v_subrev_u32_e32 v14, 28, v13
	v_bfe_u32 v7, v5, 3, 4
	v_lshlrev_b32_e32 v5, v14, v5
	v_sub_u32_e32 v13, 29, v13
	v_and_b32_e32 v5, 7, v5
	v_cmp_eq_u32_e32 vcc, 0, v7
	v_cndmask_b32_e32 v7, v7, v13, vcc
	v_cndmask_b32_e32 v5, v6, v5, vcc
	v_mov_b32_e32 v6, 0x3b800000
	v_lshlrev_b32_e32 v5, 20, v5
	v_and_b32_e32 v4, 0x80000000, v4
	v_lshl_add_u32 v6, v7, 23, v6
	v_or3_b32 v4, v4, v6, v5
	v_cvt_f64_f32_e32 v[4:5], v4
.LBB118_2323:
	s_or_b64 exec, exec, s[26:27]
.LBB118_2324:
	v_mov_b32_e32 v6, 0
	v_mov_b32_e32 v7, 0
	s_mov_b64 s[24:25], -1
.LBB118_2325:
	s_mov_b64 s[26:27], 0
.LBB118_2326:
	s_and_b64 vcc, exec, s[26:27]
	s_cbranch_vccz .LBB118_2339
; %bb.2327:
	s_cmp_gt_i32 s35, 22
	s_cbranch_scc0 .LBB118_2350
; %bb.2328:
	s_cmp_lt_i32 s35, 24
	s_cbranch_scc1 .LBB118_2352
; %bb.2329:
	s_cmp_gt_i32 s35, 24
	s_cbranch_scc0 .LBB118_2354
; %bb.2330:
	global_load_ubyte v6, v[8:9], off
	s_movk_i32 s22, 0x7f
	s_waitcnt vmcnt(0)
	v_cmp_lt_i16_e32 vcc, s22, v6
	s_mov_b64 s[22:23], 0
	s_and_saveexec_b64 s[24:25], vcc
	s_xor_b64 s[24:25], exec, s[24:25]
	s_cbranch_execz .LBB118_2334
; %bb.2331:
	s_movk_i32 s22, 0x80
	v_cmp_eq_u16_e32 vcc, s22, v6
	s_mov_b64 s[22:23], -1
	s_and_saveexec_b64 s[26:27], vcc
; %bb.2332:
	s_xor_b64 s[22:23], exec, -1
; %bb.2333:
	s_or_b64 exec, exec, s[26:27]
	s_and_b64 s[22:23], s[22:23], exec
.LBB118_2334:
	s_or_saveexec_b64 s[24:25], s[24:25]
	v_bfrev_b32_e32 v4, 4
	v_mov_b32_e32 v5, 0x7ff80000
	s_xor_b64 exec, exec, s[24:25]
; %bb.2335:
	v_cmp_ne_u16_e32 vcc, 0, v6
	v_mov_b32_e32 v4, 0
	s_andn2_b64 s[22:23], s[22:23], exec
	s_and_b64 s[26:27], vcc, exec
	v_mov_b32_e32 v5, 0
	s_or_b64 s[22:23], s[22:23], s[26:27]
; %bb.2336:
	s_or_b64 exec, exec, s[24:25]
	s_and_saveexec_b64 s[24:25], s[22:23]
	s_cbranch_execz .LBB118_2338
; %bb.2337:
	v_and_b32_e32 v5, 0xffff, v6
	v_lshlrev_b32_e32 v4, 24, v6
	v_and_b32_e32 v6, 3, v5
	v_ffbh_u32_e32 v13, v6
	v_min_u32_e32 v13, 32, v13
	v_subrev_u32_e32 v14, 29, v13
	v_bfe_u32 v7, v5, 2, 5
	v_lshlrev_b32_e32 v5, v14, v5
	v_sub_u32_e32 v13, 30, v13
	v_and_b32_e32 v5, 3, v5
	v_cmp_eq_u32_e32 vcc, 0, v7
	v_cndmask_b32_e32 v7, v7, v13, vcc
	v_cndmask_b32_e32 v5, v6, v5, vcc
	v_mov_b32_e32 v6, 0x37800000
	v_lshlrev_b32_e32 v5, 21, v5
	v_and_b32_e32 v4, 0x80000000, v4
	v_lshl_add_u32 v6, v7, 23, v6
	v_or3_b32 v4, v4, v6, v5
	v_cvt_f64_f32_e32 v[4:5], v4
.LBB118_2338:
	s_or_b64 exec, exec, s[24:25]
	s_mov_b64 s[22:23], 0
	s_branch .LBB118_2355
.LBB118_2339:
	s_and_b64 vcc, exec, s[0:1]
	s_cbranch_vccnz .LBB118_2383
.LBB118_2340:
	s_andn2_b64 vcc, exec, s[22:23]
	s_cbranch_vccnz .LBB118_2342
.LBB118_2341:
	global_load_ubyte v5, v[8:9], off
	v_mov_b32_e32 v13, 0x3ff00000
	v_mov_b32_e32 v6, 0
	;; [unrolled: 1-line block ×4, first 2 shown]
	s_mov_b64 s[24:25], -1
	s_waitcnt vmcnt(0)
	v_cmp_ne_u16_e32 vcc, 0, v5
	v_cndmask_b32_e32 v5, 0, v13, vcc
.LBB118_2342:
	s_mov_b64 s[0:1], 0
.LBB118_2343:
	s_and_b64 vcc, exec, s[0:1]
	s_cbranch_vccz .LBB118_2414
; %bb.2344:
	s_and_b32 s22, 0xffff, s31
	s_cmp_lt_i32 s22, 5
	s_cbranch_scc1 .LBB118_2349
; %bb.2345:
	s_cmp_lt_i32 s22, 8
	s_cbranch_scc1 .LBB118_2351
; %bb.2346:
	;; [unrolled: 3-line block ×3, first 2 shown]
	s_cmp_gt_i32 s22, 9
	s_cbranch_scc0 .LBB118_2366
; %bb.2348:
	global_load_dwordx4 v[4:7], v[8:9], off
	s_mov_b64 s[0:1], 0
	s_branch .LBB118_2367
.LBB118_2349:
	s_mov_b64 s[0:1], -1
                                        ; implicit-def: $vgpr6_vgpr7
	s_branch .LBB118_2392
.LBB118_2350:
	s_mov_b64 s[22:23], -1
                                        ; implicit-def: $vgpr4_vgpr5
	s_branch .LBB118_2361
.LBB118_2351:
	s_mov_b64 s[0:1], -1
                                        ; implicit-def: $vgpr6_vgpr7
	s_branch .LBB118_2373
.LBB118_2352:
	s_mov_b64 s[22:23], -1
                                        ; implicit-def: $vgpr4_vgpr5
	s_branch .LBB118_2358
.LBB118_2353:
	s_mov_b64 s[0:1], -1
                                        ; implicit-def: $vgpr6_vgpr7
	s_branch .LBB118_2370
.LBB118_2354:
	s_mov_b64 s[22:23], -1
                                        ; implicit-def: $vgpr4_vgpr5
.LBB118_2355:
	s_and_b64 vcc, exec, s[22:23]
	s_cbranch_vccz .LBB118_2357
; %bb.2356:
	global_load_ubyte v4, v[8:9], off
	s_mov_b32 s22, 0x7f800000
	s_waitcnt vmcnt(0)
	v_lshlrev_b32_e32 v4, 24, v4
	v_and_b32_e32 v5, 0x7f000000, v4
	v_ffbh_u32_e32 v6, v5
	v_min_u32_e32 v6, 32, v6
	v_sub_u32_e64 v6, v6, 4 clamp
	v_lshlrev_b32_e32 v13, v6, v5
	v_lshlrev_b32_e32 v6, 23, v6
	v_lshrrev_b32_e32 v13, 4, v13
	v_add_u32_e32 v7, 0x1000000, v5
	v_sub_u32_e32 v6, v13, v6
	v_ashrrev_i32_e32 v7, 8, v7
	v_add_u32_e32 v6, 0x3c000000, v6
	v_and_or_b32 v6, v7, s22, v6
	v_cmp_ne_u32_e32 vcc, 0, v5
	v_cndmask_b32_e32 v5, 0, v6, vcc
	s_brev_b32 s22, 1
	v_and_or_b32 v4, v4, s22, v5
	v_cvt_f64_f32_e32 v[4:5], v4
.LBB118_2357:
	s_mov_b64 s[22:23], 0
.LBB118_2358:
	s_andn2_b64 vcc, exec, s[22:23]
	s_cbranch_vccnz .LBB118_2360
; %bb.2359:
	global_load_ubyte v4, v[8:9], off
	s_movk_i32 s22, 0x7f00
	s_brev_b32 s23, 16
	s_waitcnt vmcnt(0)
	v_lshlrev_b16_e32 v5, 8, v4
	v_lshlrev_b32_e32 v4, 25, v4
	v_lshrrev_b32_e32 v6, 4, v4
	v_and_or_b32 v7, v5, s22, 0.5
	v_or_b32_e32 v6, 0x70000000, v6
	v_add_f32_e32 v7, -0.5, v7
	v_mul_f32_e32 v6, 0x7800000, v6
	v_cmp_gt_u32_e32 vcc, s23, v4
	v_bfe_i32 v5, v5, 0, 16
	v_cndmask_b32_e32 v4, v6, v7, vcc
	s_brev_b32 s22, 1
	v_and_or_b32 v4, v5, s22, v4
	v_cvt_f64_f32_e32 v[4:5], v4
.LBB118_2360:
	s_mov_b64 s[22:23], 0
	s_mov_b64 s[24:25], -1
.LBB118_2361:
	s_andn2_b64 vcc, exec, s[22:23]
	s_mov_b64 s[22:23], 0
	s_cbranch_vccnz .LBB118_2382
; %bb.2362:
	s_cmp_gt_i32 s35, 14
	s_cbranch_scc0 .LBB118_2365
; %bb.2363:
	s_cmp_eq_u32 s35, 15
	s_cbranch_scc0 .LBB118_2378
; %bb.2364:
	global_load_ushort v4, v[8:9], off
	s_mov_b64 s[0:1], 0
	s_mov_b64 s[24:25], -1
	s_waitcnt vmcnt(0)
	v_lshlrev_b32_e32 v4, 16, v4
	v_cvt_f64_f32_e32 v[4:5], v4
	s_branch .LBB118_2379
.LBB118_2365:
	s_mov_b64 s[26:27], -1
                                        ; implicit-def: $vgpr4_vgpr5
	s_branch .LBB118_2380
.LBB118_2366:
	s_mov_b64 s[0:1], -1
                                        ; implicit-def: $vgpr6_vgpr7
.LBB118_2367:
	s_andn2_b64 vcc, exec, s[0:1]
	s_cbranch_vccnz .LBB118_2369
; %bb.2368:
	global_load_dwordx2 v[5:6], v[8:9], off
	s_waitcnt vmcnt(0)
	v_cvt_f64_f32_e32 v[4:5], v5
	v_cvt_f64_f32_e32 v[6:7], v6
.LBB118_2369:
	s_mov_b64 s[0:1], 0
.LBB118_2370:
	s_andn2_b64 vcc, exec, s[0:1]
	s_cbranch_vccnz .LBB118_2372
; %bb.2371:
	global_load_dword v4, v[8:9], off
	s_waitcnt vmcnt(0)
	v_cvt_f32_f16_e32 v5, v4
	v_cvt_f32_f16_sdwa v6, v4 dst_sel:DWORD dst_unused:UNUSED_PAD src0_sel:WORD_1
	v_cvt_f64_f32_e32 v[4:5], v5
	v_cvt_f64_f32_e32 v[6:7], v6
.LBB118_2372:
	s_mov_b64 s[0:1], 0
.LBB118_2373:
	s_andn2_b64 vcc, exec, s[0:1]
	s_cbranch_vccnz .LBB118_2391
; %bb.2374:
	s_cmp_lt_i32 s22, 6
	s_cbranch_scc1 .LBB118_2377
; %bb.2375:
	s_cmp_gt_i32 s22, 6
	s_cbranch_scc0 .LBB118_2384
; %bb.2376:
	global_load_dwordx2 v[4:5], v[8:9], off
	s_mov_b64 s[0:1], 0
	s_branch .LBB118_2385
.LBB118_2377:
	s_mov_b64 s[0:1], -1
                                        ; implicit-def: $vgpr4_vgpr5
	s_branch .LBB118_2388
.LBB118_2378:
	s_mov_b64 s[0:1], -1
                                        ; implicit-def: $vgpr4_vgpr5
.LBB118_2379:
	s_mov_b64 s[26:27], 0
.LBB118_2380:
	s_and_b64 vcc, exec, s[26:27]
	s_cbranch_vccz .LBB118_2382
; %bb.2381:
	s_cmp_lg_u32 s35, 11
	s_mov_b64 s[22:23], -1
	s_cselect_b64 s[0:1], -1, 0
.LBB118_2382:
	v_mov_b32_e32 v6, 0
	v_mov_b32_e32 v7, 0
	s_and_b64 vcc, exec, s[0:1]
	s_cbranch_vccz .LBB118_2340
.LBB118_2383:
	s_trap 2
	s_or_b64 s[18:19], s[18:19], exec
	s_cbranch_execz .LBB118_2341
	s_branch .LBB118_2342
.LBB118_2384:
	s_mov_b64 s[0:1], -1
                                        ; implicit-def: $vgpr4_vgpr5
.LBB118_2385:
	s_andn2_b64 vcc, exec, s[0:1]
	s_cbranch_vccnz .LBB118_2387
; %bb.2386:
	global_load_dword v4, v[8:9], off
	s_waitcnt vmcnt(0)
	v_cvt_f64_f32_e32 v[4:5], v4
.LBB118_2387:
	s_mov_b64 s[0:1], 0
.LBB118_2388:
	s_andn2_b64 vcc, exec, s[0:1]
	s_cbranch_vccnz .LBB118_2390
; %bb.2389:
	global_load_ushort v4, v[8:9], off
	s_waitcnt vmcnt(0)
	v_cvt_f32_f16_e32 v4, v4
	v_cvt_f64_f32_e32 v[4:5], v4
.LBB118_2390:
	s_waitcnt vmcnt(0)
	v_mov_b32_e32 v6, 0
	v_mov_b32_e32 v7, 0
.LBB118_2391:
	s_mov_b64 s[0:1], 0
.LBB118_2392:
	s_andn2_b64 vcc, exec, s[0:1]
	s_cbranch_vccnz .LBB118_2413
; %bb.2393:
	s_cmp_lt_i32 s22, 2
	s_cbranch_scc1 .LBB118_2397
; %bb.2394:
	s_cmp_lt_i32 s22, 3
	s_cbranch_scc1 .LBB118_2398
; %bb.2395:
	s_cmp_gt_i32 s22, 3
	s_cbranch_scc0 .LBB118_2399
; %bb.2396:
	global_load_dwordx2 v[4:5], v[8:9], off
	s_mov_b64 s[0:1], 0
	s_waitcnt vmcnt(0)
	v_cvt_f64_i32_e32 v[5:6], v5
	v_cvt_f64_u32_e32 v[13:14], v4
	v_ldexp_f64 v[5:6], v[5:6], 32
	v_add_f64 v[4:5], v[5:6], v[13:14]
	s_branch .LBB118_2400
.LBB118_2397:
	s_mov_b64 s[0:1], -1
                                        ; implicit-def: $vgpr4_vgpr5
	s_branch .LBB118_2406
.LBB118_2398:
	s_mov_b64 s[0:1], -1
                                        ; implicit-def: $vgpr4_vgpr5
	s_branch .LBB118_2403
.LBB118_2399:
	s_mov_b64 s[0:1], -1
                                        ; implicit-def: $vgpr4_vgpr5
.LBB118_2400:
	s_andn2_b64 vcc, exec, s[0:1]
	s_cbranch_vccnz .LBB118_2402
; %bb.2401:
	global_load_dword v4, v[8:9], off
	s_waitcnt vmcnt(0)
	v_cvt_f64_i32_e32 v[4:5], v4
.LBB118_2402:
	s_mov_b64 s[0:1], 0
.LBB118_2403:
	s_andn2_b64 vcc, exec, s[0:1]
	s_cbranch_vccnz .LBB118_2405
; %bb.2404:
	global_load_sshort v4, v[8:9], off
	s_waitcnt vmcnt(0)
	v_cvt_f64_i32_e32 v[4:5], v4
.LBB118_2405:
	s_mov_b64 s[0:1], 0
.LBB118_2406:
	s_andn2_b64 vcc, exec, s[0:1]
	s_cbranch_vccnz .LBB118_2412
; %bb.2407:
	s_cmp_gt_i32 s22, 0
	s_cbranch_scc0 .LBB118_2409
; %bb.2408:
	global_load_sbyte v4, v[8:9], off
	s_mov_b64 s[0:1], 0
	s_waitcnt vmcnt(0)
	v_cvt_f64_i32_e32 v[4:5], v4
	s_branch .LBB118_2410
.LBB118_2409:
	s_mov_b64 s[0:1], -1
                                        ; implicit-def: $vgpr4_vgpr5
.LBB118_2410:
	s_andn2_b64 vcc, exec, s[0:1]
	s_cbranch_vccnz .LBB118_2412
; %bb.2411:
	global_load_ubyte v4, v[8:9], off
	s_waitcnt vmcnt(0)
	v_cvt_f64_u32_e32 v[4:5], v4
.LBB118_2412:
	s_waitcnt vmcnt(0)
	v_mov_b32_e32 v6, 0
	v_mov_b32_e32 v7, 0
.LBB118_2413:
	s_mov_b64 s[24:25], -1
.LBB118_2414:
	s_andn2_b64 vcc, exec, s[24:25]
	s_cbranch_vccnz .LBB118_2692
; %bb.2415:
	s_and_b64 vcc, exec, s[20:21]
	s_cbranch_vccz .LBB118_2417
; %bb.2416:
	s_waitcnt vmcnt(0)
	v_cmp_neq_f64_e32 vcc, v[0:1], v[4:5]
	v_cmp_neq_f64_e64 s[0:1], v[2:3], v[6:7]
	s_or_b64 s[22:23], vcc, s[0:1]
	s_mov_b64 s[0:1], 0
	s_branch .LBB118_2418
.LBB118_2417:
	s_mov_b64 s[0:1], -1
                                        ; implicit-def: $sgpr22_sgpr23
.LBB118_2418:
	s_andn2_b64 vcc, exec, s[0:1]
	s_cbranch_vccnz .LBB118_2420
; %bb.2419:
	s_waitcnt vmcnt(0)
	v_cmp_eq_f64_e32 vcc, v[0:1], v[4:5]
	v_cmp_eq_f64_e64 s[0:1], v[2:3], v[6:7]
	s_andn2_b64 s[22:23], s[22:23], exec
	s_and_b64 s[0:1], vcc, s[0:1]
	s_and_b64 s[0:1], s[0:1], exec
	s_or_b64 s[22:23], s[22:23], s[0:1]
.LBB118_2420:
	s_waitcnt vmcnt(0)
	v_add_u32_e32 v0, s13, v11
	v_ashrrev_i32_e32 v1, 31, v0
	v_mov_b32_e32 v2, s11
	v_add_co_u32_e32 v4, vcc, s10, v0
	s_cmp_lt_i32 s30, 11
	v_addc_co_u32_e32 v5, vcc, v2, v1, vcc
	s_cbranch_scc1 .LBB118_2427
; %bb.2421:
	s_and_b32 s13, 0xffff, s30
	s_cmp_gt_i32 s13, 25
	s_mov_b64 s[10:11], 0
	s_cbranch_scc0 .LBB118_2428
; %bb.2422:
	s_cmp_gt_i32 s13, 28
	s_cbranch_scc0 .LBB118_2429
; %bb.2423:
	s_cmp_gt_i32 s13, 43
	;; [unrolled: 3-line block ×3, first 2 shown]
	s_cbranch_scc0 .LBB118_2431
; %bb.2425:
	s_cmp_eq_u32 s13, 46
	s_mov_b64 s[26:27], 0
	s_cbranch_scc0 .LBB118_2432
; %bb.2426:
	global_load_dword v0, v[4:5], off
	s_mov_b64 s[0:1], 0
	s_mov_b64 s[24:25], -1
	s_waitcnt vmcnt(0)
	v_and_b32_e32 v2, 0xffff0000, v0
	v_lshlrev_b32_e32 v0, 16, v0
	v_cvt_f64_f32_e32 v[0:1], v0
	v_cvt_f64_f32_e32 v[2:3], v2
	s_branch .LBB118_2433
.LBB118_2427:
	s_mov_b64 s[0:1], -1
	s_mov_b64 s[24:25], 0
                                        ; implicit-def: $vgpr2_vgpr3
	s_branch .LBB118_2483
.LBB118_2428:
	s_mov_b64 s[26:27], -1
	s_mov_b64 s[24:25], 0
	s_mov_b64 s[0:1], 0
                                        ; implicit-def: $vgpr2_vgpr3
	s_branch .LBB118_2466
.LBB118_2429:
	s_mov_b64 s[26:27], -1
	s_mov_b64 s[24:25], 0
	s_mov_b64 s[0:1], 0
                                        ; implicit-def: $vgpr2_vgpr3
	s_branch .LBB118_2445
.LBB118_2430:
	s_mov_b64 s[26:27], -1
	s_mov_b64 s[24:25], 0
	s_mov_b64 s[0:1], 0
                                        ; implicit-def: $vgpr2_vgpr3
	s_branch .LBB118_2439
.LBB118_2431:
	s_mov_b64 s[26:27], -1
	s_mov_b64 s[24:25], 0
	s_mov_b64 s[0:1], 0
                                        ; implicit-def: $vgpr2_vgpr3
	s_branch .LBB118_2433
.LBB118_2432:
	s_mov_b64 s[0:1], -1
                                        ; implicit-def: $vgpr2_vgpr3
	s_mov_b64 s[24:25], 0
.LBB118_2433:
	s_and_b64 vcc, exec, s[26:27]
	s_cbranch_vccz .LBB118_2438
; %bb.2434:
	s_cmp_eq_u32 s13, 44
	s_cbranch_scc0 .LBB118_2436
; %bb.2435:
	global_load_ubyte v2, v[4:5], off
	s_movk_i32 s24, 0xff
	v_bfrev_b32_e32 v3, 4
	v_mov_b32_e32 v6, 0x7ff80000
	v_bfrev_b32_e32 v7, 28
	s_mov_b64 s[0:1], 0
	s_waitcnt vmcnt(0)
	v_lshlrev_b32_e32 v0, 23, v2
	v_cvt_f64_f32_e32 v[0:1], v0
	v_cmp_ne_u32_e32 vcc, s24, v2
	s_mov_b64 s[24:25], -1
	v_cndmask_b32_e32 v0, v3, v0, vcc
	v_cndmask_b32_e32 v1, v6, v1, vcc
	v_cmp_ne_u32_e32 vcc, 0, v2
	v_cndmask_b32_e32 v1, v7, v1, vcc
	v_cndmask_b32_e32 v0, 0, v0, vcc
	s_branch .LBB118_2437
.LBB118_2436:
	s_mov_b64 s[0:1], -1
                                        ; implicit-def: $vgpr0_vgpr1
.LBB118_2437:
	v_mov_b32_e32 v2, 0
	v_mov_b32_e32 v3, 0
.LBB118_2438:
	s_mov_b64 s[26:27], 0
.LBB118_2439:
	s_and_b64 vcc, exec, s[26:27]
	s_cbranch_vccz .LBB118_2444
; %bb.2440:
	s_cmp_eq_u32 s13, 29
	s_cbranch_scc0 .LBB118_2442
; %bb.2441:
	global_load_dwordx2 v[0:1], v[4:5], off
	s_mov_b64 s[0:1], 0
	s_mov_b64 s[24:25], -1
	s_waitcnt vmcnt(0)
	v_cvt_f64_u32_e32 v[1:2], v1
	v_cvt_f64_u32_e32 v[6:7], v0
	v_ldexp_f64 v[1:2], v[1:2], 32
	v_add_f64 v[0:1], v[1:2], v[6:7]
	s_branch .LBB118_2443
.LBB118_2442:
	s_mov_b64 s[0:1], -1
                                        ; implicit-def: $vgpr0_vgpr1
.LBB118_2443:
	v_mov_b32_e32 v2, 0
	v_mov_b32_e32 v3, 0
.LBB118_2444:
	s_mov_b64 s[26:27], 0
.LBB118_2445:
	s_and_b64 vcc, exec, s[26:27]
	s_cbranch_vccz .LBB118_2465
; %bb.2446:
	s_cmp_lt_i32 s13, 27
	s_cbranch_scc1 .LBB118_2449
; %bb.2447:
	s_cmp_gt_i32 s13, 27
	s_cbranch_scc0 .LBB118_2450
; %bb.2448:
	global_load_dword v0, v[4:5], off
	s_mov_b64 s[24:25], 0
	s_waitcnt vmcnt(0)
	v_cvt_f64_u32_e32 v[0:1], v0
	s_branch .LBB118_2451
.LBB118_2449:
	s_mov_b64 s[24:25], -1
                                        ; implicit-def: $vgpr0_vgpr1
	s_branch .LBB118_2454
.LBB118_2450:
	s_mov_b64 s[24:25], -1
                                        ; implicit-def: $vgpr0_vgpr1
.LBB118_2451:
	s_andn2_b64 vcc, exec, s[24:25]
	s_cbranch_vccnz .LBB118_2453
; %bb.2452:
	global_load_ushort v0, v[4:5], off
	s_waitcnt vmcnt(0)
	v_cvt_f64_u32_e32 v[0:1], v0
.LBB118_2453:
	s_mov_b64 s[24:25], 0
.LBB118_2454:
	s_andn2_b64 vcc, exec, s[24:25]
	s_cbranch_vccnz .LBB118_2464
; %bb.2455:
	global_load_ubyte v2, v[4:5], off
	s_movk_i32 s24, 0x7f
	s_waitcnt vmcnt(0)
	v_cmp_lt_i16_e32 vcc, s24, v2
	s_mov_b64 s[24:25], 0
	s_and_saveexec_b64 s[26:27], vcc
	s_xor_b64 s[26:27], exec, s[26:27]
	s_cbranch_execz .LBB118_2459
; %bb.2456:
	s_movk_i32 s24, 0x80
	v_cmp_eq_u16_e32 vcc, s24, v2
	s_mov_b64 s[24:25], -1
	s_and_saveexec_b64 s[28:29], vcc
; %bb.2457:
	s_xor_b64 s[24:25], exec, -1
; %bb.2458:
	s_or_b64 exec, exec, s[28:29]
	s_and_b64 s[24:25], s[24:25], exec
.LBB118_2459:
	s_or_saveexec_b64 s[26:27], s[26:27]
	v_bfrev_b32_e32 v0, 4
	v_mov_b32_e32 v1, 0x7ff80000
	s_xor_b64 exec, exec, s[26:27]
; %bb.2460:
	v_cmp_ne_u16_e32 vcc, 0, v2
	v_mov_b32_e32 v0, 0
	s_andn2_b64 s[24:25], s[24:25], exec
	s_and_b64 s[28:29], vcc, exec
	v_mov_b32_e32 v1, 0
	s_or_b64 s[24:25], s[24:25], s[28:29]
; %bb.2461:
	s_or_b64 exec, exec, s[26:27]
	s_and_saveexec_b64 s[26:27], s[24:25]
	s_cbranch_execz .LBB118_2463
; %bb.2462:
	v_and_b32_e32 v1, 0xffff, v2
	v_lshlrev_b32_e32 v0, 24, v2
	v_and_b32_e32 v2, 7, v1
	v_ffbh_u32_e32 v6, v2
	v_min_u32_e32 v6, 32, v6
	v_subrev_u32_e32 v7, 28, v6
	v_bfe_u32 v3, v1, 3, 4
	v_lshlrev_b32_e32 v1, v7, v1
	v_sub_u32_e32 v6, 29, v6
	v_and_b32_e32 v1, 7, v1
	v_cmp_eq_u32_e32 vcc, 0, v3
	v_cndmask_b32_e32 v3, v3, v6, vcc
	v_cndmask_b32_e32 v1, v2, v1, vcc
	v_mov_b32_e32 v2, 0x3b800000
	v_lshlrev_b32_e32 v1, 20, v1
	v_and_b32_e32 v0, 0x80000000, v0
	v_lshl_add_u32 v2, v3, 23, v2
	v_or3_b32 v0, v0, v2, v1
	v_cvt_f64_f32_e32 v[0:1], v0
.LBB118_2463:
	s_or_b64 exec, exec, s[26:27]
.LBB118_2464:
	v_mov_b32_e32 v2, 0
	v_mov_b32_e32 v3, 0
	s_mov_b64 s[24:25], -1
.LBB118_2465:
	s_mov_b64 s[26:27], 0
.LBB118_2466:
	s_and_b64 vcc, exec, s[26:27]
	s_cbranch_vccz .LBB118_2479
; %bb.2467:
	s_cmp_gt_i32 s13, 22
	s_cbranch_scc0 .LBB118_2490
; %bb.2468:
	s_cmp_lt_i32 s13, 24
	s_cbranch_scc1 .LBB118_2492
; %bb.2469:
	s_cmp_gt_i32 s13, 24
	s_cbranch_scc0 .LBB118_2494
; %bb.2470:
	global_load_ubyte v2, v[4:5], off
	s_movk_i32 s10, 0x7f
	s_waitcnt vmcnt(0)
	v_cmp_lt_i16_e32 vcc, s10, v2
	s_mov_b64 s[10:11], 0
	s_and_saveexec_b64 s[24:25], vcc
	s_xor_b64 s[24:25], exec, s[24:25]
	s_cbranch_execz .LBB118_2474
; %bb.2471:
	s_movk_i32 s10, 0x80
	v_cmp_eq_u16_e32 vcc, s10, v2
	s_mov_b64 s[10:11], -1
	s_and_saveexec_b64 s[26:27], vcc
; %bb.2472:
	s_xor_b64 s[10:11], exec, -1
; %bb.2473:
	s_or_b64 exec, exec, s[26:27]
	s_and_b64 s[10:11], s[10:11], exec
.LBB118_2474:
	s_or_saveexec_b64 s[24:25], s[24:25]
	v_bfrev_b32_e32 v0, 4
	v_mov_b32_e32 v1, 0x7ff80000
	s_xor_b64 exec, exec, s[24:25]
; %bb.2475:
	v_cmp_ne_u16_e32 vcc, 0, v2
	v_mov_b32_e32 v0, 0
	s_andn2_b64 s[10:11], s[10:11], exec
	s_and_b64 s[26:27], vcc, exec
	v_mov_b32_e32 v1, 0
	s_or_b64 s[10:11], s[10:11], s[26:27]
; %bb.2476:
	s_or_b64 exec, exec, s[24:25]
	s_and_saveexec_b64 s[24:25], s[10:11]
	s_cbranch_execz .LBB118_2478
; %bb.2477:
	v_and_b32_e32 v1, 0xffff, v2
	v_lshlrev_b32_e32 v0, 24, v2
	v_and_b32_e32 v2, 3, v1
	v_ffbh_u32_e32 v6, v2
	v_min_u32_e32 v6, 32, v6
	v_subrev_u32_e32 v7, 29, v6
	v_bfe_u32 v3, v1, 2, 5
	v_lshlrev_b32_e32 v1, v7, v1
	v_sub_u32_e32 v6, 30, v6
	v_and_b32_e32 v1, 3, v1
	v_cmp_eq_u32_e32 vcc, 0, v3
	v_cndmask_b32_e32 v3, v3, v6, vcc
	v_cndmask_b32_e32 v1, v2, v1, vcc
	v_mov_b32_e32 v2, 0x37800000
	v_lshlrev_b32_e32 v1, 21, v1
	v_and_b32_e32 v0, 0x80000000, v0
	v_lshl_add_u32 v2, v3, 23, v2
	v_or3_b32 v0, v0, v2, v1
	v_cvt_f64_f32_e32 v[0:1], v0
.LBB118_2478:
	s_or_b64 exec, exec, s[24:25]
	s_mov_b64 s[10:11], 0
	s_branch .LBB118_2495
.LBB118_2479:
	s_and_b64 vcc, exec, s[0:1]
	s_cbranch_vccnz .LBB118_2523
.LBB118_2480:
	s_andn2_b64 vcc, exec, s[10:11]
	s_cbranch_vccnz .LBB118_2482
.LBB118_2481:
	global_load_ubyte v1, v[4:5], off
	v_mov_b32_e32 v6, 0x3ff00000
	v_mov_b32_e32 v2, 0
	;; [unrolled: 1-line block ×4, first 2 shown]
	s_mov_b64 s[24:25], -1
	s_waitcnt vmcnt(0)
	v_cmp_ne_u16_e32 vcc, 0, v1
	v_cndmask_b32_e32 v1, 0, v6, vcc
.LBB118_2482:
	s_mov_b64 s[0:1], 0
.LBB118_2483:
	s_and_b64 vcc, exec, s[0:1]
	s_cbranch_vccz .LBB118_2554
; %bb.2484:
	s_and_b32 s10, 0xffff, s30
	s_cmp_lt_i32 s10, 5
	s_cbranch_scc1 .LBB118_2489
; %bb.2485:
	s_cmp_lt_i32 s10, 8
	s_cbranch_scc1 .LBB118_2491
; %bb.2486:
	;; [unrolled: 3-line block ×3, first 2 shown]
	s_cmp_gt_i32 s10, 9
	s_cbranch_scc0 .LBB118_2506
; %bb.2488:
	global_load_dwordx4 v[0:3], v[4:5], off
	s_mov_b64 s[0:1], 0
	s_branch .LBB118_2507
.LBB118_2489:
	s_mov_b64 s[0:1], -1
                                        ; implicit-def: $vgpr2_vgpr3
	s_branch .LBB118_2532
.LBB118_2490:
	s_mov_b64 s[10:11], -1
                                        ; implicit-def: $vgpr0_vgpr1
	s_branch .LBB118_2501
.LBB118_2491:
	s_mov_b64 s[0:1], -1
                                        ; implicit-def: $vgpr2_vgpr3
	s_branch .LBB118_2513
.LBB118_2492:
	s_mov_b64 s[10:11], -1
                                        ; implicit-def: $vgpr0_vgpr1
	s_branch .LBB118_2498
.LBB118_2493:
	s_mov_b64 s[0:1], -1
                                        ; implicit-def: $vgpr2_vgpr3
	s_branch .LBB118_2510
.LBB118_2494:
	s_mov_b64 s[10:11], -1
                                        ; implicit-def: $vgpr0_vgpr1
.LBB118_2495:
	s_and_b64 vcc, exec, s[10:11]
	s_cbranch_vccz .LBB118_2497
; %bb.2496:
	global_load_ubyte v0, v[4:5], off
	s_mov_b32 s10, 0x7f800000
	s_waitcnt vmcnt(0)
	v_lshlrev_b32_e32 v0, 24, v0
	v_and_b32_e32 v1, 0x7f000000, v0
	v_ffbh_u32_e32 v2, v1
	v_min_u32_e32 v2, 32, v2
	v_sub_u32_e64 v2, v2, 4 clamp
	v_lshlrev_b32_e32 v6, v2, v1
	v_lshlrev_b32_e32 v2, 23, v2
	v_lshrrev_b32_e32 v6, 4, v6
	v_add_u32_e32 v3, 0x1000000, v1
	v_sub_u32_e32 v2, v6, v2
	v_ashrrev_i32_e32 v3, 8, v3
	v_add_u32_e32 v2, 0x3c000000, v2
	v_and_or_b32 v2, v3, s10, v2
	v_cmp_ne_u32_e32 vcc, 0, v1
	v_cndmask_b32_e32 v1, 0, v2, vcc
	s_brev_b32 s10, 1
	v_and_or_b32 v0, v0, s10, v1
	v_cvt_f64_f32_e32 v[0:1], v0
.LBB118_2497:
	s_mov_b64 s[10:11], 0
.LBB118_2498:
	s_andn2_b64 vcc, exec, s[10:11]
	s_cbranch_vccnz .LBB118_2500
; %bb.2499:
	global_load_ubyte v0, v[4:5], off
	s_movk_i32 s10, 0x7f00
	s_brev_b32 s11, 16
	s_waitcnt vmcnt(0)
	v_lshlrev_b16_e32 v1, 8, v0
	v_lshlrev_b32_e32 v0, 25, v0
	v_lshrrev_b32_e32 v2, 4, v0
	v_and_or_b32 v3, v1, s10, 0.5
	v_or_b32_e32 v2, 0x70000000, v2
	v_add_f32_e32 v3, -0.5, v3
	v_mul_f32_e32 v2, 0x7800000, v2
	v_cmp_gt_u32_e32 vcc, s11, v0
	v_bfe_i32 v1, v1, 0, 16
	v_cndmask_b32_e32 v0, v2, v3, vcc
	s_brev_b32 s10, 1
	v_and_or_b32 v0, v1, s10, v0
	v_cvt_f64_f32_e32 v[0:1], v0
.LBB118_2500:
	s_mov_b64 s[10:11], 0
	s_mov_b64 s[24:25], -1
.LBB118_2501:
	s_andn2_b64 vcc, exec, s[10:11]
	s_mov_b64 s[10:11], 0
	s_cbranch_vccnz .LBB118_2522
; %bb.2502:
	s_cmp_gt_i32 s13, 14
	s_cbranch_scc0 .LBB118_2505
; %bb.2503:
	s_cmp_eq_u32 s13, 15
	s_cbranch_scc0 .LBB118_2518
; %bb.2504:
	global_load_ushort v0, v[4:5], off
	s_mov_b64 s[0:1], 0
	s_mov_b64 s[24:25], -1
	s_waitcnt vmcnt(0)
	v_lshlrev_b32_e32 v0, 16, v0
	v_cvt_f64_f32_e32 v[0:1], v0
	s_branch .LBB118_2519
.LBB118_2505:
	s_mov_b64 s[26:27], -1
                                        ; implicit-def: $vgpr0_vgpr1
	s_branch .LBB118_2520
.LBB118_2506:
	s_mov_b64 s[0:1], -1
                                        ; implicit-def: $vgpr2_vgpr3
.LBB118_2507:
	s_andn2_b64 vcc, exec, s[0:1]
	s_cbranch_vccnz .LBB118_2509
; %bb.2508:
	global_load_dwordx2 v[1:2], v[4:5], off
	s_waitcnt vmcnt(0)
	v_cvt_f64_f32_e32 v[0:1], v1
	v_cvt_f64_f32_e32 v[2:3], v2
.LBB118_2509:
	s_mov_b64 s[0:1], 0
.LBB118_2510:
	s_andn2_b64 vcc, exec, s[0:1]
	s_cbranch_vccnz .LBB118_2512
; %bb.2511:
	global_load_dword v0, v[4:5], off
	s_waitcnt vmcnt(0)
	v_cvt_f32_f16_e32 v1, v0
	v_cvt_f32_f16_sdwa v2, v0 dst_sel:DWORD dst_unused:UNUSED_PAD src0_sel:WORD_1
	v_cvt_f64_f32_e32 v[0:1], v1
	v_cvt_f64_f32_e32 v[2:3], v2
.LBB118_2512:
	s_mov_b64 s[0:1], 0
.LBB118_2513:
	s_andn2_b64 vcc, exec, s[0:1]
	s_cbranch_vccnz .LBB118_2531
; %bb.2514:
	s_cmp_lt_i32 s10, 6
	s_cbranch_scc1 .LBB118_2517
; %bb.2515:
	s_cmp_gt_i32 s10, 6
	s_cbranch_scc0 .LBB118_2524
; %bb.2516:
	global_load_dwordx2 v[0:1], v[4:5], off
	s_mov_b64 s[0:1], 0
	s_branch .LBB118_2525
.LBB118_2517:
	s_mov_b64 s[0:1], -1
                                        ; implicit-def: $vgpr0_vgpr1
	s_branch .LBB118_2528
.LBB118_2518:
	s_mov_b64 s[0:1], -1
                                        ; implicit-def: $vgpr0_vgpr1
.LBB118_2519:
	s_mov_b64 s[26:27], 0
.LBB118_2520:
	s_and_b64 vcc, exec, s[26:27]
	s_cbranch_vccz .LBB118_2522
; %bb.2521:
	s_cmp_lg_u32 s13, 11
	s_mov_b64 s[10:11], -1
	s_cselect_b64 s[0:1], -1, 0
.LBB118_2522:
	v_mov_b32_e32 v2, 0
	v_mov_b32_e32 v3, 0
	s_and_b64 vcc, exec, s[0:1]
	s_cbranch_vccz .LBB118_2480
.LBB118_2523:
	s_trap 2
	s_or_b64 s[18:19], s[18:19], exec
	s_cbranch_execz .LBB118_2481
	s_branch .LBB118_2482
.LBB118_2524:
	s_mov_b64 s[0:1], -1
                                        ; implicit-def: $vgpr0_vgpr1
.LBB118_2525:
	s_andn2_b64 vcc, exec, s[0:1]
	s_cbranch_vccnz .LBB118_2527
; %bb.2526:
	global_load_dword v0, v[4:5], off
	s_waitcnt vmcnt(0)
	v_cvt_f64_f32_e32 v[0:1], v0
.LBB118_2527:
	s_mov_b64 s[0:1], 0
.LBB118_2528:
	s_andn2_b64 vcc, exec, s[0:1]
	s_cbranch_vccnz .LBB118_2530
; %bb.2529:
	global_load_ushort v0, v[4:5], off
	s_waitcnt vmcnt(0)
	v_cvt_f32_f16_e32 v0, v0
	v_cvt_f64_f32_e32 v[0:1], v0
.LBB118_2530:
	s_waitcnt vmcnt(0)
	v_mov_b32_e32 v2, 0
	v_mov_b32_e32 v3, 0
.LBB118_2531:
	s_mov_b64 s[0:1], 0
.LBB118_2532:
	s_andn2_b64 vcc, exec, s[0:1]
	s_cbranch_vccnz .LBB118_2553
; %bb.2533:
	s_cmp_lt_i32 s10, 2
	s_cbranch_scc1 .LBB118_2537
; %bb.2534:
	s_cmp_lt_i32 s10, 3
	s_cbranch_scc1 .LBB118_2538
; %bb.2535:
	s_cmp_gt_i32 s10, 3
	s_cbranch_scc0 .LBB118_2539
; %bb.2536:
	global_load_dwordx2 v[0:1], v[4:5], off
	s_mov_b64 s[0:1], 0
	s_waitcnt vmcnt(0)
	v_cvt_f64_i32_e32 v[1:2], v1
	v_cvt_f64_u32_e32 v[6:7], v0
	v_ldexp_f64 v[1:2], v[1:2], 32
	v_add_f64 v[0:1], v[1:2], v[6:7]
	s_branch .LBB118_2540
.LBB118_2537:
	s_mov_b64 s[0:1], -1
                                        ; implicit-def: $vgpr0_vgpr1
	s_branch .LBB118_2546
.LBB118_2538:
	s_mov_b64 s[0:1], -1
                                        ; implicit-def: $vgpr0_vgpr1
	s_branch .LBB118_2543
.LBB118_2539:
	s_mov_b64 s[0:1], -1
                                        ; implicit-def: $vgpr0_vgpr1
.LBB118_2540:
	s_andn2_b64 vcc, exec, s[0:1]
	s_cbranch_vccnz .LBB118_2542
; %bb.2541:
	global_load_dword v0, v[4:5], off
	s_waitcnt vmcnt(0)
	v_cvt_f64_i32_e32 v[0:1], v0
.LBB118_2542:
	s_mov_b64 s[0:1], 0
.LBB118_2543:
	s_andn2_b64 vcc, exec, s[0:1]
	s_cbranch_vccnz .LBB118_2545
; %bb.2544:
	global_load_sshort v0, v[4:5], off
	s_waitcnt vmcnt(0)
	v_cvt_f64_i32_e32 v[0:1], v0
.LBB118_2545:
	s_mov_b64 s[0:1], 0
.LBB118_2546:
	s_andn2_b64 vcc, exec, s[0:1]
	s_cbranch_vccnz .LBB118_2552
; %bb.2547:
	s_cmp_gt_i32 s10, 0
	s_cbranch_scc0 .LBB118_2549
; %bb.2548:
	global_load_sbyte v0, v[4:5], off
	s_mov_b64 s[0:1], 0
	s_waitcnt vmcnt(0)
	v_cvt_f64_i32_e32 v[0:1], v0
	s_branch .LBB118_2550
.LBB118_2549:
	s_mov_b64 s[0:1], -1
                                        ; implicit-def: $vgpr0_vgpr1
.LBB118_2550:
	s_andn2_b64 vcc, exec, s[0:1]
	s_cbranch_vccnz .LBB118_2552
; %bb.2551:
	global_load_ubyte v0, v[4:5], off
	s_waitcnt vmcnt(0)
	v_cvt_f64_u32_e32 v[0:1], v0
.LBB118_2552:
	s_waitcnt vmcnt(0)
	v_mov_b32_e32 v2, 0
	v_mov_b32_e32 v3, 0
.LBB118_2553:
	s_mov_b64 s[24:25], -1
.LBB118_2554:
	s_andn2_b64 vcc, exec, s[24:25]
	s_cbranch_vccnz .LBB118_2692
; %bb.2555:
	v_add_u32_e32 v4, s34, v12
	v_ashrrev_i32_e32 v5, 31, v4
	v_mov_b32_e32 v6, s3
	v_add_co_u32_e32 v8, vcc, s2, v4
	s_cmp_lt_i32 s31, 11
	v_addc_co_u32_e32 v9, vcc, v6, v5, vcc
	s_cbranch_scc1 .LBB118_2562
; %bb.2556:
	s_and_b32 s13, 0xffff, s31
	s_cmp_gt_i32 s13, 25
	s_mov_b64 s[2:3], 0
	s_cbranch_scc0 .LBB118_2563
; %bb.2557:
	s_cmp_gt_i32 s13, 28
	s_cbranch_scc0 .LBB118_2564
; %bb.2558:
	s_cmp_gt_i32 s13, 43
	;; [unrolled: 3-line block ×3, first 2 shown]
	s_cbranch_scc0 .LBB118_2566
; %bb.2560:
	s_cmp_eq_u32 s13, 46
	s_mov_b64 s[24:25], 0
	s_cbranch_scc0 .LBB118_2567
; %bb.2561:
	global_load_dword v4, v[8:9], off
	s_mov_b64 s[0:1], 0
	s_mov_b64 s[10:11], -1
	s_waitcnt vmcnt(0)
	v_and_b32_e32 v6, 0xffff0000, v4
	v_lshlrev_b32_e32 v4, 16, v4
	v_cvt_f64_f32_e32 v[4:5], v4
	v_cvt_f64_f32_e32 v[6:7], v6
	s_branch .LBB118_2568
.LBB118_2562:
	s_mov_b64 s[0:1], -1
	s_mov_b64 s[10:11], 0
                                        ; implicit-def: $vgpr6_vgpr7
	s_branch .LBB118_2618
.LBB118_2563:
	s_mov_b64 s[24:25], -1
	s_mov_b64 s[10:11], 0
	s_mov_b64 s[0:1], 0
                                        ; implicit-def: $vgpr6_vgpr7
	s_branch .LBB118_2601
.LBB118_2564:
	s_mov_b64 s[24:25], -1
	s_mov_b64 s[10:11], 0
	s_mov_b64 s[0:1], 0
                                        ; implicit-def: $vgpr6_vgpr7
	s_branch .LBB118_2580
.LBB118_2565:
	s_mov_b64 s[24:25], -1
	s_mov_b64 s[10:11], 0
	s_mov_b64 s[0:1], 0
                                        ; implicit-def: $vgpr6_vgpr7
	s_branch .LBB118_2574
.LBB118_2566:
	s_mov_b64 s[24:25], -1
	s_mov_b64 s[10:11], 0
	s_mov_b64 s[0:1], 0
                                        ; implicit-def: $vgpr6_vgpr7
	s_branch .LBB118_2568
.LBB118_2567:
	s_mov_b64 s[0:1], -1
                                        ; implicit-def: $vgpr6_vgpr7
	s_mov_b64 s[10:11], 0
.LBB118_2568:
	s_and_b64 vcc, exec, s[24:25]
	s_cbranch_vccz .LBB118_2573
; %bb.2569:
	s_cmp_eq_u32 s13, 44
	s_cbranch_scc0 .LBB118_2571
; %bb.2570:
	global_load_ubyte v6, v[8:9], off
	s_movk_i32 s10, 0xff
	v_bfrev_b32_e32 v7, 4
	v_mov_b32_e32 v11, 0x7ff80000
	v_bfrev_b32_e32 v12, 28
	s_mov_b64 s[0:1], 0
	s_waitcnt vmcnt(0)
	v_lshlrev_b32_e32 v4, 23, v6
	v_cvt_f64_f32_e32 v[4:5], v4
	v_cmp_ne_u32_e32 vcc, s10, v6
	s_mov_b64 s[10:11], -1
	v_cndmask_b32_e32 v4, v7, v4, vcc
	v_cndmask_b32_e32 v5, v11, v5, vcc
	v_cmp_ne_u32_e32 vcc, 0, v6
	v_cndmask_b32_e32 v5, v12, v5, vcc
	v_cndmask_b32_e32 v4, 0, v4, vcc
	s_branch .LBB118_2572
.LBB118_2571:
	s_mov_b64 s[0:1], -1
                                        ; implicit-def: $vgpr4_vgpr5
.LBB118_2572:
	v_mov_b32_e32 v6, 0
	v_mov_b32_e32 v7, 0
.LBB118_2573:
	s_mov_b64 s[24:25], 0
.LBB118_2574:
	s_and_b64 vcc, exec, s[24:25]
	s_cbranch_vccz .LBB118_2579
; %bb.2575:
	s_cmp_eq_u32 s13, 29
	s_cbranch_scc0 .LBB118_2577
; %bb.2576:
	global_load_dwordx2 v[4:5], v[8:9], off
	s_mov_b64 s[0:1], 0
	s_mov_b64 s[10:11], -1
	s_waitcnt vmcnt(0)
	v_cvt_f64_u32_e32 v[5:6], v5
	v_cvt_f64_u32_e32 v[11:12], v4
	v_ldexp_f64 v[5:6], v[5:6], 32
	v_add_f64 v[4:5], v[5:6], v[11:12]
	s_branch .LBB118_2578
.LBB118_2577:
	s_mov_b64 s[0:1], -1
                                        ; implicit-def: $vgpr4_vgpr5
.LBB118_2578:
	v_mov_b32_e32 v6, 0
	v_mov_b32_e32 v7, 0
.LBB118_2579:
	s_mov_b64 s[24:25], 0
.LBB118_2580:
	s_and_b64 vcc, exec, s[24:25]
	s_cbranch_vccz .LBB118_2600
; %bb.2581:
	s_cmp_lt_i32 s13, 27
	s_cbranch_scc1 .LBB118_2584
; %bb.2582:
	s_cmp_gt_i32 s13, 27
	s_cbranch_scc0 .LBB118_2585
; %bb.2583:
	global_load_dword v4, v[8:9], off
	s_mov_b64 s[10:11], 0
	s_waitcnt vmcnt(0)
	v_cvt_f64_u32_e32 v[4:5], v4
	s_branch .LBB118_2586
.LBB118_2584:
	s_mov_b64 s[10:11], -1
                                        ; implicit-def: $vgpr4_vgpr5
	s_branch .LBB118_2589
.LBB118_2585:
	s_mov_b64 s[10:11], -1
                                        ; implicit-def: $vgpr4_vgpr5
.LBB118_2586:
	s_andn2_b64 vcc, exec, s[10:11]
	s_cbranch_vccnz .LBB118_2588
; %bb.2587:
	global_load_ushort v4, v[8:9], off
	s_waitcnt vmcnt(0)
	v_cvt_f64_u32_e32 v[4:5], v4
.LBB118_2588:
	s_mov_b64 s[10:11], 0
.LBB118_2589:
	s_andn2_b64 vcc, exec, s[10:11]
	s_cbranch_vccnz .LBB118_2599
; %bb.2590:
	global_load_ubyte v6, v[8:9], off
	s_movk_i32 s10, 0x7f
	s_waitcnt vmcnt(0)
	v_cmp_lt_i16_e32 vcc, s10, v6
	s_mov_b64 s[10:11], 0
	s_and_saveexec_b64 s[24:25], vcc
	s_xor_b64 s[24:25], exec, s[24:25]
	s_cbranch_execz .LBB118_2594
; %bb.2591:
	s_movk_i32 s10, 0x80
	v_cmp_eq_u16_e32 vcc, s10, v6
	s_mov_b64 s[10:11], -1
	s_and_saveexec_b64 s[26:27], vcc
; %bb.2592:
	s_xor_b64 s[10:11], exec, -1
; %bb.2593:
	s_or_b64 exec, exec, s[26:27]
	s_and_b64 s[10:11], s[10:11], exec
.LBB118_2594:
	s_or_saveexec_b64 s[24:25], s[24:25]
	v_bfrev_b32_e32 v4, 4
	v_mov_b32_e32 v5, 0x7ff80000
	s_xor_b64 exec, exec, s[24:25]
; %bb.2595:
	v_cmp_ne_u16_e32 vcc, 0, v6
	v_mov_b32_e32 v4, 0
	s_andn2_b64 s[10:11], s[10:11], exec
	s_and_b64 s[26:27], vcc, exec
	v_mov_b32_e32 v5, 0
	s_or_b64 s[10:11], s[10:11], s[26:27]
; %bb.2596:
	s_or_b64 exec, exec, s[24:25]
	s_and_saveexec_b64 s[24:25], s[10:11]
	s_cbranch_execz .LBB118_2598
; %bb.2597:
	v_and_b32_e32 v5, 0xffff, v6
	v_lshlrev_b32_e32 v4, 24, v6
	v_and_b32_e32 v6, 7, v5
	v_ffbh_u32_e32 v11, v6
	v_min_u32_e32 v11, 32, v11
	v_subrev_u32_e32 v12, 28, v11
	v_bfe_u32 v7, v5, 3, 4
	v_lshlrev_b32_e32 v5, v12, v5
	v_sub_u32_e32 v11, 29, v11
	v_and_b32_e32 v5, 7, v5
	v_cmp_eq_u32_e32 vcc, 0, v7
	v_cndmask_b32_e32 v7, v7, v11, vcc
	v_cndmask_b32_e32 v5, v6, v5, vcc
	v_mov_b32_e32 v6, 0x3b800000
	v_lshlrev_b32_e32 v5, 20, v5
	v_and_b32_e32 v4, 0x80000000, v4
	v_lshl_add_u32 v6, v7, 23, v6
	v_or3_b32 v4, v4, v6, v5
	v_cvt_f64_f32_e32 v[4:5], v4
.LBB118_2598:
	s_or_b64 exec, exec, s[24:25]
.LBB118_2599:
	v_mov_b32_e32 v6, 0
	v_mov_b32_e32 v7, 0
	s_mov_b64 s[10:11], -1
.LBB118_2600:
	s_mov_b64 s[24:25], 0
.LBB118_2601:
	s_and_b64 vcc, exec, s[24:25]
	s_cbranch_vccz .LBB118_2614
; %bb.2602:
	s_cmp_gt_i32 s13, 22
	s_cbranch_scc0 .LBB118_2625
; %bb.2603:
	s_cmp_lt_i32 s13, 24
	s_cbranch_scc1 .LBB118_2627
; %bb.2604:
	s_cmp_gt_i32 s13, 24
	s_cbranch_scc0 .LBB118_2629
; %bb.2605:
	global_load_ubyte v6, v[8:9], off
	s_movk_i32 s2, 0x7f
	s_waitcnt vmcnt(0)
	v_cmp_lt_i16_e32 vcc, s2, v6
	s_mov_b64 s[2:3], 0
	s_and_saveexec_b64 s[10:11], vcc
	s_xor_b64 s[10:11], exec, s[10:11]
	s_cbranch_execz .LBB118_2609
; %bb.2606:
	s_movk_i32 s2, 0x80
	v_cmp_eq_u16_e32 vcc, s2, v6
	s_mov_b64 s[2:3], -1
	s_and_saveexec_b64 s[24:25], vcc
; %bb.2607:
	s_xor_b64 s[2:3], exec, -1
; %bb.2608:
	s_or_b64 exec, exec, s[24:25]
	s_and_b64 s[2:3], s[2:3], exec
.LBB118_2609:
	s_or_saveexec_b64 s[10:11], s[10:11]
	v_bfrev_b32_e32 v4, 4
	v_mov_b32_e32 v5, 0x7ff80000
	s_xor_b64 exec, exec, s[10:11]
; %bb.2610:
	v_cmp_ne_u16_e32 vcc, 0, v6
	v_mov_b32_e32 v4, 0
	s_andn2_b64 s[2:3], s[2:3], exec
	s_and_b64 s[24:25], vcc, exec
	v_mov_b32_e32 v5, 0
	s_or_b64 s[2:3], s[2:3], s[24:25]
; %bb.2611:
	s_or_b64 exec, exec, s[10:11]
	s_and_saveexec_b64 s[10:11], s[2:3]
	s_cbranch_execz .LBB118_2613
; %bb.2612:
	v_and_b32_e32 v5, 0xffff, v6
	v_lshlrev_b32_e32 v4, 24, v6
	v_and_b32_e32 v6, 3, v5
	v_ffbh_u32_e32 v11, v6
	v_min_u32_e32 v11, 32, v11
	v_subrev_u32_e32 v12, 29, v11
	v_bfe_u32 v7, v5, 2, 5
	v_lshlrev_b32_e32 v5, v12, v5
	v_sub_u32_e32 v11, 30, v11
	v_and_b32_e32 v5, 3, v5
	v_cmp_eq_u32_e32 vcc, 0, v7
	v_cndmask_b32_e32 v7, v7, v11, vcc
	v_cndmask_b32_e32 v5, v6, v5, vcc
	v_mov_b32_e32 v6, 0x37800000
	v_lshlrev_b32_e32 v5, 21, v5
	v_and_b32_e32 v4, 0x80000000, v4
	v_lshl_add_u32 v6, v7, 23, v6
	v_or3_b32 v4, v4, v6, v5
	v_cvt_f64_f32_e32 v[4:5], v4
.LBB118_2613:
	s_or_b64 exec, exec, s[10:11]
	s_mov_b64 s[2:3], 0
	s_branch .LBB118_2630
.LBB118_2614:
	s_and_b64 vcc, exec, s[0:1]
	s_cbranch_vccnz .LBB118_2658
.LBB118_2615:
	s_andn2_b64 vcc, exec, s[2:3]
	s_cbranch_vccnz .LBB118_2617
.LBB118_2616:
	global_load_ubyte v5, v[8:9], off
	v_mov_b32_e32 v11, 0x3ff00000
	v_mov_b32_e32 v6, 0
	v_mov_b32_e32 v4, 0
	v_mov_b32_e32 v7, 0
	s_mov_b64 s[10:11], -1
	s_waitcnt vmcnt(0)
	v_cmp_ne_u16_e32 vcc, 0, v5
	v_cndmask_b32_e32 v5, 0, v11, vcc
.LBB118_2617:
	s_mov_b64 s[0:1], 0
.LBB118_2618:
	s_and_b64 vcc, exec, s[0:1]
	s_cbranch_vccz .LBB118_2689
; %bb.2619:
	s_and_b32 s2, 0xffff, s31
	s_cmp_lt_i32 s2, 5
	s_cbranch_scc1 .LBB118_2624
; %bb.2620:
	s_cmp_lt_i32 s2, 8
	s_cbranch_scc1 .LBB118_2626
; %bb.2621:
	;; [unrolled: 3-line block ×3, first 2 shown]
	s_cmp_gt_i32 s2, 9
	s_cbranch_scc0 .LBB118_2641
; %bb.2623:
	global_load_dwordx4 v[4:7], v[8:9], off
	s_mov_b64 s[0:1], 0
	s_branch .LBB118_2642
.LBB118_2624:
	s_mov_b64 s[0:1], -1
                                        ; implicit-def: $vgpr6_vgpr7
	s_branch .LBB118_2667
.LBB118_2625:
	s_mov_b64 s[2:3], -1
                                        ; implicit-def: $vgpr4_vgpr5
	s_branch .LBB118_2636
.LBB118_2626:
	s_mov_b64 s[0:1], -1
                                        ; implicit-def: $vgpr6_vgpr7
	s_branch .LBB118_2648
.LBB118_2627:
	s_mov_b64 s[2:3], -1
                                        ; implicit-def: $vgpr4_vgpr5
	s_branch .LBB118_2633
.LBB118_2628:
	s_mov_b64 s[0:1], -1
                                        ; implicit-def: $vgpr6_vgpr7
	s_branch .LBB118_2645
.LBB118_2629:
	s_mov_b64 s[2:3], -1
                                        ; implicit-def: $vgpr4_vgpr5
.LBB118_2630:
	s_and_b64 vcc, exec, s[2:3]
	s_cbranch_vccz .LBB118_2632
; %bb.2631:
	global_load_ubyte v4, v[8:9], off
	s_mov_b32 s2, 0x7f800000
	s_waitcnt vmcnt(0)
	v_lshlrev_b32_e32 v4, 24, v4
	v_and_b32_e32 v5, 0x7f000000, v4
	v_ffbh_u32_e32 v6, v5
	v_min_u32_e32 v6, 32, v6
	v_sub_u32_e64 v6, v6, 4 clamp
	v_lshlrev_b32_e32 v11, v6, v5
	v_lshlrev_b32_e32 v6, 23, v6
	v_lshrrev_b32_e32 v11, 4, v11
	v_add_u32_e32 v7, 0x1000000, v5
	v_sub_u32_e32 v6, v11, v6
	v_ashrrev_i32_e32 v7, 8, v7
	v_add_u32_e32 v6, 0x3c000000, v6
	v_and_or_b32 v6, v7, s2, v6
	v_cmp_ne_u32_e32 vcc, 0, v5
	v_cndmask_b32_e32 v5, 0, v6, vcc
	s_brev_b32 s2, 1
	v_and_or_b32 v4, v4, s2, v5
	v_cvt_f64_f32_e32 v[4:5], v4
.LBB118_2632:
	s_mov_b64 s[2:3], 0
.LBB118_2633:
	s_andn2_b64 vcc, exec, s[2:3]
	s_cbranch_vccnz .LBB118_2635
; %bb.2634:
	global_load_ubyte v4, v[8:9], off
	s_movk_i32 s2, 0x7f00
	s_brev_b32 s3, 16
	s_waitcnt vmcnt(0)
	v_lshlrev_b16_e32 v5, 8, v4
	v_lshlrev_b32_e32 v4, 25, v4
	v_lshrrev_b32_e32 v6, 4, v4
	v_and_or_b32 v7, v5, s2, 0.5
	v_or_b32_e32 v6, 0x70000000, v6
	v_add_f32_e32 v7, -0.5, v7
	v_mul_f32_e32 v6, 0x7800000, v6
	v_cmp_gt_u32_e32 vcc, s3, v4
	v_bfe_i32 v5, v5, 0, 16
	v_cndmask_b32_e32 v4, v6, v7, vcc
	s_brev_b32 s2, 1
	v_and_or_b32 v4, v5, s2, v4
	v_cvt_f64_f32_e32 v[4:5], v4
.LBB118_2635:
	s_mov_b64 s[2:3], 0
	s_mov_b64 s[10:11], -1
.LBB118_2636:
	s_andn2_b64 vcc, exec, s[2:3]
	s_mov_b64 s[2:3], 0
	s_cbranch_vccnz .LBB118_2657
; %bb.2637:
	s_cmp_gt_i32 s13, 14
	s_cbranch_scc0 .LBB118_2640
; %bb.2638:
	s_cmp_eq_u32 s13, 15
	s_cbranch_scc0 .LBB118_2653
; %bb.2639:
	global_load_ushort v4, v[8:9], off
	s_mov_b64 s[0:1], 0
	s_mov_b64 s[10:11], -1
	s_waitcnt vmcnt(0)
	v_lshlrev_b32_e32 v4, 16, v4
	v_cvt_f64_f32_e32 v[4:5], v4
	s_branch .LBB118_2654
.LBB118_2640:
	s_mov_b64 s[24:25], -1
                                        ; implicit-def: $vgpr4_vgpr5
	s_branch .LBB118_2655
.LBB118_2641:
	s_mov_b64 s[0:1], -1
                                        ; implicit-def: $vgpr6_vgpr7
.LBB118_2642:
	s_andn2_b64 vcc, exec, s[0:1]
	s_cbranch_vccnz .LBB118_2644
; %bb.2643:
	global_load_dwordx2 v[5:6], v[8:9], off
	s_waitcnt vmcnt(0)
	v_cvt_f64_f32_e32 v[4:5], v5
	v_cvt_f64_f32_e32 v[6:7], v6
.LBB118_2644:
	s_mov_b64 s[0:1], 0
.LBB118_2645:
	s_andn2_b64 vcc, exec, s[0:1]
	s_cbranch_vccnz .LBB118_2647
; %bb.2646:
	global_load_dword v4, v[8:9], off
	s_waitcnt vmcnt(0)
	v_cvt_f32_f16_e32 v5, v4
	v_cvt_f32_f16_sdwa v6, v4 dst_sel:DWORD dst_unused:UNUSED_PAD src0_sel:WORD_1
	v_cvt_f64_f32_e32 v[4:5], v5
	v_cvt_f64_f32_e32 v[6:7], v6
.LBB118_2647:
	s_mov_b64 s[0:1], 0
.LBB118_2648:
	s_andn2_b64 vcc, exec, s[0:1]
	s_cbranch_vccnz .LBB118_2666
; %bb.2649:
	s_cmp_lt_i32 s2, 6
	s_cbranch_scc1 .LBB118_2652
; %bb.2650:
	s_cmp_gt_i32 s2, 6
	s_cbranch_scc0 .LBB118_2659
; %bb.2651:
	global_load_dwordx2 v[4:5], v[8:9], off
	s_mov_b64 s[0:1], 0
	s_branch .LBB118_2660
.LBB118_2652:
	s_mov_b64 s[0:1], -1
                                        ; implicit-def: $vgpr4_vgpr5
	s_branch .LBB118_2663
.LBB118_2653:
	s_mov_b64 s[0:1], -1
                                        ; implicit-def: $vgpr4_vgpr5
.LBB118_2654:
	s_mov_b64 s[24:25], 0
.LBB118_2655:
	s_and_b64 vcc, exec, s[24:25]
	s_cbranch_vccz .LBB118_2657
; %bb.2656:
	s_cmp_lg_u32 s13, 11
	s_mov_b64 s[2:3], -1
	s_cselect_b64 s[0:1], -1, 0
.LBB118_2657:
	v_mov_b32_e32 v6, 0
	v_mov_b32_e32 v7, 0
	s_and_b64 vcc, exec, s[0:1]
	s_cbranch_vccz .LBB118_2615
.LBB118_2658:
	s_trap 2
	s_or_b64 s[18:19], s[18:19], exec
	s_cbranch_execz .LBB118_2616
	s_branch .LBB118_2617
.LBB118_2659:
	s_mov_b64 s[0:1], -1
                                        ; implicit-def: $vgpr4_vgpr5
.LBB118_2660:
	s_andn2_b64 vcc, exec, s[0:1]
	s_cbranch_vccnz .LBB118_2662
; %bb.2661:
	global_load_dword v4, v[8:9], off
	s_waitcnt vmcnt(0)
	v_cvt_f64_f32_e32 v[4:5], v4
.LBB118_2662:
	s_mov_b64 s[0:1], 0
.LBB118_2663:
	s_andn2_b64 vcc, exec, s[0:1]
	s_cbranch_vccnz .LBB118_2665
; %bb.2664:
	global_load_ushort v4, v[8:9], off
	s_waitcnt vmcnt(0)
	v_cvt_f32_f16_e32 v4, v4
	v_cvt_f64_f32_e32 v[4:5], v4
.LBB118_2665:
	s_waitcnt vmcnt(0)
	v_mov_b32_e32 v6, 0
	v_mov_b32_e32 v7, 0
.LBB118_2666:
	s_mov_b64 s[0:1], 0
.LBB118_2667:
	s_andn2_b64 vcc, exec, s[0:1]
	s_cbranch_vccnz .LBB118_2688
; %bb.2668:
	s_cmp_lt_i32 s2, 2
	s_cbranch_scc1 .LBB118_2672
; %bb.2669:
	s_cmp_lt_i32 s2, 3
	s_cbranch_scc1 .LBB118_2673
; %bb.2670:
	s_cmp_gt_i32 s2, 3
	s_cbranch_scc0 .LBB118_2674
; %bb.2671:
	global_load_dwordx2 v[4:5], v[8:9], off
	s_mov_b64 s[0:1], 0
	s_waitcnt vmcnt(0)
	v_cvt_f64_i32_e32 v[5:6], v5
	v_cvt_f64_u32_e32 v[11:12], v4
	v_ldexp_f64 v[5:6], v[5:6], 32
	v_add_f64 v[4:5], v[5:6], v[11:12]
	s_branch .LBB118_2675
.LBB118_2672:
	s_mov_b64 s[0:1], -1
                                        ; implicit-def: $vgpr4_vgpr5
	s_branch .LBB118_2681
.LBB118_2673:
	s_mov_b64 s[0:1], -1
                                        ; implicit-def: $vgpr4_vgpr5
	s_branch .LBB118_2678
.LBB118_2674:
	s_mov_b64 s[0:1], -1
                                        ; implicit-def: $vgpr4_vgpr5
.LBB118_2675:
	s_andn2_b64 vcc, exec, s[0:1]
	s_cbranch_vccnz .LBB118_2677
; %bb.2676:
	global_load_dword v4, v[8:9], off
	s_waitcnt vmcnt(0)
	v_cvt_f64_i32_e32 v[4:5], v4
.LBB118_2677:
	s_mov_b64 s[0:1], 0
.LBB118_2678:
	s_andn2_b64 vcc, exec, s[0:1]
	s_cbranch_vccnz .LBB118_2680
; %bb.2679:
	global_load_sshort v4, v[8:9], off
	s_waitcnt vmcnt(0)
	v_cvt_f64_i32_e32 v[4:5], v4
.LBB118_2680:
	s_mov_b64 s[0:1], 0
.LBB118_2681:
	s_andn2_b64 vcc, exec, s[0:1]
	s_cbranch_vccnz .LBB118_2687
; %bb.2682:
	s_cmp_gt_i32 s2, 0
	s_cbranch_scc0 .LBB118_2684
; %bb.2683:
	global_load_sbyte v4, v[8:9], off
	s_mov_b64 s[0:1], 0
	s_waitcnt vmcnt(0)
	v_cvt_f64_i32_e32 v[4:5], v4
	s_branch .LBB118_2685
.LBB118_2684:
	s_mov_b64 s[0:1], -1
                                        ; implicit-def: $vgpr4_vgpr5
.LBB118_2685:
	s_andn2_b64 vcc, exec, s[0:1]
	s_cbranch_vccnz .LBB118_2687
; %bb.2686:
	global_load_ubyte v4, v[8:9], off
	s_waitcnt vmcnt(0)
	v_cvt_f64_u32_e32 v[4:5], v4
.LBB118_2687:
	s_waitcnt vmcnt(0)
	v_mov_b32_e32 v6, 0
	v_mov_b32_e32 v7, 0
.LBB118_2688:
	s_mov_b64 s[10:11], -1
.LBB118_2689:
	s_andn2_b64 vcc, exec, s[10:11]
	s_cbranch_vccnz .LBB118_2692
; %bb.2690:
	s_and_b64 vcc, exec, s[20:21]
	s_cbranch_vccz .LBB118_2738
; %bb.2691:
	s_waitcnt vmcnt(0)
	v_cmp_neq_f64_e32 vcc, v[0:1], v[4:5]
	v_cmp_neq_f64_e64 s[0:1], v[2:3], v[6:7]
	s_or_b64 s[20:21], vcc, s[0:1]
	s_mov_b64 s[0:1], 0
	s_branch .LBB118_2739
.LBB118_2692:
	s_mov_b64 s[0:1], 0
                                        ; implicit-def: $sgpr20_sgpr21
.LBB118_2693:
                                        ; implicit-def: $sgpr28
                                        ; implicit-def: $vgpr0_vgpr1
	s_mov_b64 s[2:3], 0
.LBB118_2694:
	s_and_b64 s[4:5], s[2:3], exec
	s_andn2_b64 s[2:3], s[16:17], exec
	s_and_b64 s[8:9], s[18:19], exec
	s_and_b64 s[0:1], s[0:1], exec
	s_or_b64 s[16:17], s[2:3], s[8:9]
.LBB118_2695:
	s_or_b64 exec, exec, s[6:7]
	s_and_saveexec_b64 s[2:3], s[16:17]
	s_cbranch_execz .LBB118_2698
; %bb.2696:
	; divergent unreachable
	s_or_b64 exec, exec, s[2:3]
	s_and_saveexec_b64 s[2:3], s[4:5]
	s_xor_b64 s[2:3], exec, s[2:3]
	s_cbranch_execnz .LBB118_2699
.LBB118_2697:
	s_or_b64 exec, exec, s[2:3]
	s_and_saveexec_b64 s[2:3], s[0:1]
	s_cbranch_execnz .LBB118_2700
	s_branch .LBB118_2737
.LBB118_2698:
	s_or_b64 exec, exec, s[2:3]
	s_and_saveexec_b64 s[2:3], s[4:5]
	s_xor_b64 s[2:3], exec, s[2:3]
	s_cbranch_execz .LBB118_2697
.LBB118_2699:
	s_waitcnt vmcnt(0)
	v_cndmask_b32_e64 v2, 0, 1, s[20:21]
	global_store_byte v[0:1], v2, off
	s_or_b64 exec, exec, s[2:3]
	s_and_saveexec_b64 s[2:3], s[0:1]
	s_cbranch_execz .LBB118_2737
.LBB118_2700:
	s_sext_i32_i16 s2, s28
	s_cmp_lt_i32 s2, 5
	s_mov_b64 s[0:1], -1
	s_cbranch_scc1 .LBB118_2721
; %bb.2701:
	s_cmp_lt_i32 s2, 8
	s_cbranch_scc1 .LBB118_2711
; %bb.2702:
	s_cmp_lt_i32 s2, 9
	s_cbranch_scc1 .LBB118_2708
; %bb.2703:
	s_cmp_gt_i32 s2, 9
	s_cbranch_scc0 .LBB118_2705
; %bb.2704:
	s_waitcnt vmcnt(0)
	v_cndmask_b32_e64 v2, 0, 1, s[20:21]
	v_cvt_f64_u32_e32 v[2:3], v2
	v_mov_b32_e32 v4, 0
	v_mov_b32_e32 v5, v4
	s_mov_b64 s[0:1], 0
	global_store_dwordx4 v[0:1], v[2:5], off
.LBB118_2705:
	s_andn2_b64 vcc, exec, s[0:1]
	s_cbranch_vccnz .LBB118_2707
; %bb.2706:
	s_waitcnt vmcnt(0)
	v_cndmask_b32_e64 v2, 0, 1.0, s[20:21]
	v_mov_b32_e32 v3, 0
	global_store_dwordx2 v[0:1], v[2:3], off
.LBB118_2707:
	s_mov_b64 s[0:1], 0
.LBB118_2708:
	s_andn2_b64 vcc, exec, s[0:1]
	s_cbranch_vccnz .LBB118_2710
; %bb.2709:
	s_waitcnt vmcnt(0)
	v_cndmask_b32_e64 v2, 0, 1.0, s[20:21]
	v_cvt_f16_f32_e32 v2, v2
	global_store_dword v[0:1], v2, off
.LBB118_2710:
	s_mov_b64 s[0:1], 0
.LBB118_2711:
	s_andn2_b64 vcc, exec, s[0:1]
	s_cbranch_vccnz .LBB118_2720
; %bb.2712:
	s_sext_i32_i16 s2, s28
	s_cmp_lt_i32 s2, 6
	s_mov_b64 s[0:1], -1
	s_cbranch_scc1 .LBB118_2718
; %bb.2713:
	s_cmp_gt_i32 s2, 6
	s_cbranch_scc0 .LBB118_2715
; %bb.2714:
	s_waitcnt vmcnt(0)
	v_cndmask_b32_e64 v2, 0, 1, s[20:21]
	v_cvt_f64_u32_e32 v[2:3], v2
	s_mov_b64 s[0:1], 0
	global_store_dwordx2 v[0:1], v[2:3], off
.LBB118_2715:
	s_andn2_b64 vcc, exec, s[0:1]
	s_cbranch_vccnz .LBB118_2717
; %bb.2716:
	s_waitcnt vmcnt(0)
	v_cndmask_b32_e64 v2, 0, 1.0, s[20:21]
	global_store_dword v[0:1], v2, off
.LBB118_2717:
	s_mov_b64 s[0:1], 0
.LBB118_2718:
	s_andn2_b64 vcc, exec, s[0:1]
	s_cbranch_vccnz .LBB118_2720
; %bb.2719:
	s_waitcnt vmcnt(0)
	v_cndmask_b32_e64 v2, 0, 1.0, s[20:21]
	v_cvt_f16_f32_e32 v2, v2
	global_store_short v[0:1], v2, off
.LBB118_2720:
	s_mov_b64 s[0:1], 0
.LBB118_2721:
	s_andn2_b64 vcc, exec, s[0:1]
	s_cbranch_vccnz .LBB118_2737
; %bb.2722:
	s_sext_i32_i16 s2, s28
	s_cmp_lt_i32 s2, 2
	s_mov_b64 s[0:1], -1
	s_cbranch_scc1 .LBB118_2732
; %bb.2723:
	s_cmp_lt_i32 s2, 3
	s_cbranch_scc1 .LBB118_2729
; %bb.2724:
	s_cmp_gt_i32 s2, 3
	s_cbranch_scc0 .LBB118_2726
; %bb.2725:
	s_mov_b32 s0, 0
	s_waitcnt vmcnt(0)
	v_cndmask_b32_e64 v2, 0, 1, s[20:21]
	v_mov_b32_e32 v3, s0
	global_store_dwordx2 v[0:1], v[2:3], off
	s_mov_b64 s[0:1], 0
.LBB118_2726:
	s_andn2_b64 vcc, exec, s[0:1]
	s_cbranch_vccnz .LBB118_2728
; %bb.2727:
	s_waitcnt vmcnt(0)
	v_cndmask_b32_e64 v2, 0, 1, s[20:21]
	global_store_dword v[0:1], v2, off
.LBB118_2728:
	s_mov_b64 s[0:1], 0
.LBB118_2729:
	s_andn2_b64 vcc, exec, s[0:1]
	s_cbranch_vccnz .LBB118_2731
; %bb.2730:
	s_waitcnt vmcnt(0)
	v_cndmask_b32_e64 v2, 0, 1, s[20:21]
	global_store_short v[0:1], v2, off
.LBB118_2731:
	s_mov_b64 s[0:1], 0
.LBB118_2732:
	s_andn2_b64 vcc, exec, s[0:1]
	s_cbranch_vccnz .LBB118_2737
; %bb.2733:
	s_sext_i32_i16 s2, s28
	s_mov_b64 s[0:1], -1
	s_cmp_gt_i32 s2, 0
	s_waitcnt vmcnt(0)
	v_cndmask_b32_e64 v2, 0, 1, s[20:21]
	s_cbranch_scc0 .LBB118_2735
; %bb.2734:
	global_store_byte v[0:1], v2, off
	s_mov_b64 s[0:1], 0
.LBB118_2735:
	s_andn2_b64 vcc, exec, s[0:1]
	s_cbranch_vccnz .LBB118_2737
; %bb.2736:
	global_store_byte v[0:1], v2, off
	s_endpgm
.LBB118_2737:
	s_endpgm
.LBB118_2738:
	s_mov_b64 s[0:1], -1
                                        ; implicit-def: $sgpr20_sgpr21
.LBB118_2739:
	s_andn2_b64 vcc, exec, s[0:1]
	s_cbranch_vccnz .LBB118_2741
; %bb.2740:
	s_waitcnt vmcnt(0)
	v_cmp_eq_f64_e32 vcc, v[0:1], v[4:5]
	v_cmp_eq_f64_e64 s[0:1], v[2:3], v[6:7]
	s_andn2_b64 s[2:3], s[20:21], exec
	s_and_b64 s[0:1], vcc, s[0:1]
	s_and_b64 s[0:1], s[0:1], exec
	s_or_b64 s[20:21], s[2:3], s[0:1]
.LBB118_2741:
	s_waitcnt vmcnt(0)
	v_mul_lo_u32 v2, s12, v10
	v_mov_b32_e32 v1, s9
	s_and_b32 s28, s33, 0xff
	s_cmp_lt_i32 s28, 11
	v_ashrrev_i32_e32 v3, 31, v2
	v_add_co_u32_e32 v0, vcc, s8, v2
	v_addc_co_u32_e32 v1, vcc, v1, v3, vcc
	s_cbranch_scc1 .LBB118_2819
; %bb.2742:
	s_and_b32 s13, 0xffff, s28
	s_mov_b64 s[24:25], -1
	s_mov_b64 s[2:3], 0
	s_cmp_gt_i32 s13, 25
	s_mov_b64 s[10:11], 0
	s_mov_b64 s[0:1], 0
	s_cbranch_scc0 .LBB118_2775
; %bb.2743:
	s_cmp_gt_i32 s13, 28
	s_cbranch_scc0 .LBB118_2758
; %bb.2744:
	s_cmp_gt_i32 s13, 43
	;; [unrolled: 3-line block ×3, first 2 shown]
	s_cbranch_scc0 .LBB118_2748
; %bb.2746:
	s_mov_b64 s[0:1], -1
	s_mov_b64 s[24:25], 0
	s_cmp_eq_u32 s13, 46
	s_cbranch_scc0 .LBB118_2748
; %bb.2747:
	v_cndmask_b32_e64 v3, 0, 1.0, s[4:5]
	v_bfe_u32 v4, v3, 16, 1
	s_movk_i32 s0, 0x7fff
	v_add3_u32 v3, v3, v4, s0
	v_lshrrev_b32_e32 v3, 16, v3
	global_store_dword v[0:1], v3, off
	s_mov_b64 s[0:1], 0
	s_mov_b64 s[10:11], -1
.LBB118_2748:
	s_and_b64 vcc, exec, s[24:25]
	s_cbranch_vccz .LBB118_2753
; %bb.2749:
	s_cmp_eq_u32 s13, 44
	s_mov_b64 s[0:1], -1
	s_cbranch_scc0 .LBB118_2753
; %bb.2750:
	v_cndmask_b32_e64 v4, 0, 1.0, s[4:5]
	v_lshrrev_b32_e32 v3, 23, v4
	s_movk_i32 s0, 0xff
	v_cmp_ne_u32_e32 vcc, s0, v3
	v_mov_b32_e32 v5, 0xff
	s_and_saveexec_b64 s[10:11], vcc
; %bb.2751:
	s_mov_b32 s0, 0x3fffff
	v_and_b32_e32 v5, 0x400000, v4
	v_and_or_b32 v4, v4, s0, v3
	v_cmp_ne_u32_e32 vcc, 0, v5
	v_cmp_ne_u32_e64 s[0:1], 0, v4
	s_and_b64 s[0:1], vcc, s[0:1]
	v_cndmask_b32_e64 v4, 0, 1, s[0:1]
	v_add_u32_e32 v5, v3, v4
; %bb.2752:
	s_or_b64 exec, exec, s[10:11]
	s_mov_b64 s[0:1], 0
	s_mov_b64 s[10:11], -1
	global_store_byte v[0:1], v5, off
.LBB118_2753:
	s_mov_b64 s[24:25], 0
.LBB118_2754:
	s_and_b64 vcc, exec, s[24:25]
	s_cbranch_vccz .LBB118_2757
; %bb.2755:
	s_cmp_eq_u32 s13, 29
	s_mov_b64 s[0:1], -1
	s_cbranch_scc0 .LBB118_2757
; %bb.2756:
	s_mov_b32 s0, 0
	v_cndmask_b32_e64 v3, 0, 1, s[4:5]
	v_mov_b32_e32 v4, s0
	global_store_dwordx2 v[0:1], v[3:4], off
	s_mov_b64 s[0:1], 0
	s_mov_b64 s[10:11], -1
.LBB118_2757:
	s_mov_b64 s[24:25], 0
.LBB118_2758:
	s_and_b64 vcc, exec, s[24:25]
	s_cbranch_vccz .LBB118_2774
; %bb.2759:
	s_cmp_lt_i32 s13, 27
	s_mov_b64 s[10:11], -1
	s_cbranch_scc1 .LBB118_2765
; %bb.2760:
	s_cmp_gt_i32 s13, 27
	s_cbranch_scc0 .LBB118_2762
; %bb.2761:
	v_cndmask_b32_e64 v3, 0, 1, s[4:5]
	s_mov_b64 s[10:11], 0
	global_store_dword v[0:1], v3, off
.LBB118_2762:
	s_andn2_b64 vcc, exec, s[10:11]
	s_cbranch_vccnz .LBB118_2764
; %bb.2763:
	v_cndmask_b32_e64 v3, 0, 1, s[4:5]
	global_store_short v[0:1], v3, off
.LBB118_2764:
	s_mov_b64 s[10:11], 0
.LBB118_2765:
	s_andn2_b64 vcc, exec, s[10:11]
	s_cbranch_vccnz .LBB118_2773
; %bb.2766:
	v_cndmask_b32_e64 v4, 0, 1.0, s[4:5]
	s_mov_b32 s10, 0x43800000
	v_cmp_gt_u32_e32 vcc, s10, v4
	v_mov_b32_e32 v5, 0x80
	s_and_saveexec_b64 s[10:11], vcc
	s_cbranch_execz .LBB118_2772
; %bb.2767:
	s_mov_b32 s24, 0x3bffffff
	v_cmp_lt_u32_e32 vcc, s24, v4
	s_mov_b64 s[24:25], 0
                                        ; implicit-def: $vgpr3
	s_and_saveexec_b64 s[26:27], vcc
	s_xor_b64 s[26:27], exec, s[26:27]
	s_cbranch_execz .LBB118_3176
; %bb.2768:
	v_bfe_u32 v3, v4, 20, 1
	s_mov_b32 s29, 0x487ffff
	v_add3_u32 v3, v4, v3, s29
	s_mov_b64 s[24:25], exec
	v_lshrrev_b32_e32 v3, 20, v3
                                        ; implicit-def: $vgpr4
	s_andn2_saveexec_b64 s[26:27], s[26:27]
	s_cbranch_execnz .LBB118_3177
.LBB118_2769:
	s_or_b64 exec, exec, s[26:27]
	v_mov_b32_e32 v5, 0
	s_and_saveexec_b64 s[26:27], s[24:25]
.LBB118_2770:
	v_mov_b32_e32 v5, v3
.LBB118_2771:
	s_or_b64 exec, exec, s[26:27]
.LBB118_2772:
	s_or_b64 exec, exec, s[10:11]
	global_store_byte v[0:1], v5, off
.LBB118_2773:
	s_mov_b64 s[10:11], -1
.LBB118_2774:
	s_mov_b64 s[24:25], 0
.LBB118_2775:
	s_and_b64 vcc, exec, s[24:25]
	s_cbranch_vccz .LBB118_2815
; %bb.2776:
	s_cmp_gt_i32 s13, 22
	s_mov_b64 s[2:3], -1
	s_cbranch_scc0 .LBB118_2808
; %bb.2777:
	s_cmp_lt_i32 s13, 24
	s_cbranch_scc1 .LBB118_2797
; %bb.2778:
	s_cmp_gt_i32 s13, 24
	s_cbranch_scc0 .LBB118_2786
; %bb.2779:
	v_cndmask_b32_e64 v4, 0, 1.0, s[4:5]
	s_mov_b32 s2, 0x47800000
	v_cmp_gt_u32_e32 vcc, s2, v4
	v_mov_b32_e32 v5, 0x80
	s_and_saveexec_b64 s[2:3], vcc
	s_cbranch_execz .LBB118_2785
; %bb.2780:
	s_mov_b32 s10, 0x37ffffff
	v_cmp_lt_u32_e32 vcc, s10, v4
	s_mov_b64 s[10:11], 0
                                        ; implicit-def: $vgpr3
	s_and_saveexec_b64 s[24:25], vcc
	s_xor_b64 s[24:25], exec, s[24:25]
	s_cbranch_execz .LBB118_3179
; %bb.2781:
	v_bfe_u32 v3, v4, 21, 1
	s_mov_b32 s26, 0x88fffff
	v_add3_u32 v3, v4, v3, s26
	s_mov_b64 s[10:11], exec
	v_lshrrev_b32_e32 v3, 21, v3
                                        ; implicit-def: $vgpr4
	s_andn2_saveexec_b64 s[24:25], s[24:25]
	s_cbranch_execnz .LBB118_3180
.LBB118_2782:
	s_or_b64 exec, exec, s[24:25]
	v_mov_b32_e32 v5, 0
	s_and_saveexec_b64 s[24:25], s[10:11]
.LBB118_2783:
	v_mov_b32_e32 v5, v3
.LBB118_2784:
	s_or_b64 exec, exec, s[24:25]
.LBB118_2785:
	s_or_b64 exec, exec, s[2:3]
	s_mov_b64 s[2:3], 0
	global_store_byte v[0:1], v5, off
.LBB118_2786:
	s_and_b64 vcc, exec, s[2:3]
	s_cbranch_vccz .LBB118_2796
; %bb.2787:
	v_cndmask_b32_e64 v3, 0, 1.0, s[4:5]
	s_mov_b32 s2, 0x43f00000
	v_cmp_gt_u32_e32 vcc, s2, v3
                                        ; implicit-def: $vgpr4
	s_and_saveexec_b64 s[2:3], vcc
	s_xor_b64 s[2:3], exec, s[2:3]
	s_cbranch_execz .LBB118_2793
; %bb.2788:
	s_mov_b32 s10, 0x3c7fffff
	v_cmp_lt_u32_e32 vcc, s10, v3
                                        ; implicit-def: $vgpr4
	s_and_saveexec_b64 s[10:11], vcc
	s_xor_b64 s[10:11], exec, s[10:11]
; %bb.2789:
	v_bfe_u32 v4, v3, 20, 1
	s_mov_b32 s24, 0x407ffff
	v_add3_u32 v3, v3, v4, s24
	v_lshrrev_b32_e32 v4, 20, v3
	v_and_b32_e32 v3, 0xff00000, v3
	s_mov_b32 s24, 0x7f00000
	v_mov_b32_e32 v5, 0x7e
	v_cmp_ne_u32_e32 vcc, s24, v3
	v_cndmask_b32_e32 v4, v5, v4, vcc
                                        ; implicit-def: $vgpr3
; %bb.2790:
	s_andn2_saveexec_b64 s[10:11], s[10:11]
; %bb.2791:
	v_add_f32_e32 v4, 0x46800000, v3
; %bb.2792:
	s_or_b64 exec, exec, s[10:11]
                                        ; implicit-def: $vgpr3
.LBB118_2793:
	s_andn2_saveexec_b64 s[2:3], s[2:3]
; %bb.2794:
	s_mov_b32 s10, 0x7f800000
	v_mov_b32_e32 v4, 0x7e
	v_mov_b32_e32 v5, 0x7f
	v_cmp_lt_u32_e32 vcc, s10, v3
	v_cndmask_b32_e32 v4, v4, v5, vcc
; %bb.2795:
	s_or_b64 exec, exec, s[2:3]
	global_store_byte v[0:1], v4, off
.LBB118_2796:
	s_mov_b64 s[2:3], 0
.LBB118_2797:
	s_andn2_b64 vcc, exec, s[2:3]
	s_cbranch_vccnz .LBB118_2807
; %bb.2798:
	v_cndmask_b32_e64 v3, 0, 1.0, s[4:5]
	s_mov_b32 s2, 0x47800000
	v_cmp_gt_u32_e32 vcc, s2, v3
                                        ; implicit-def: $vgpr4
	s_and_saveexec_b64 s[2:3], vcc
	s_xor_b64 s[2:3], exec, s[2:3]
	s_cbranch_execz .LBB118_2804
; %bb.2799:
	s_mov_b32 s10, 0x387fffff
	v_cmp_lt_u32_e32 vcc, s10, v3
                                        ; implicit-def: $vgpr4
	s_and_saveexec_b64 s[10:11], vcc
	s_xor_b64 s[10:11], exec, s[10:11]
; %bb.2800:
	v_bfe_u32 v4, v3, 21, 1
	s_mov_b32 s24, 0x80fffff
	v_add3_u32 v3, v3, v4, s24
	v_lshrrev_b32_e32 v4, 21, v3
                                        ; implicit-def: $vgpr3
; %bb.2801:
	s_andn2_saveexec_b64 s[10:11], s[10:11]
; %bb.2802:
	v_add_f32_e32 v4, 0x43000000, v3
; %bb.2803:
	s_or_b64 exec, exec, s[10:11]
                                        ; implicit-def: $vgpr3
.LBB118_2804:
	s_andn2_saveexec_b64 s[2:3], s[2:3]
; %bb.2805:
	s_mov_b32 s10, 0x7f800000
	v_mov_b32_e32 v4, 0x7c
	v_mov_b32_e32 v5, 0x7f
	v_cmp_lt_u32_e32 vcc, s10, v3
	v_cndmask_b32_e32 v4, v4, v5, vcc
; %bb.2806:
	s_or_b64 exec, exec, s[2:3]
	global_store_byte v[0:1], v4, off
.LBB118_2807:
	s_mov_b64 s[2:3], 0
	s_mov_b64 s[10:11], -1
.LBB118_2808:
	s_andn2_b64 vcc, exec, s[2:3]
	s_mov_b64 s[2:3], 0
	s_cbranch_vccnz .LBB118_2815
; %bb.2809:
	s_cmp_gt_i32 s13, 14
	s_mov_b64 s[24:25], -1
	s_cbranch_scc0 .LBB118_2813
; %bb.2810:
	s_cmp_eq_u32 s13, 15
	s_mov_b64 s[0:1], -1
	s_cbranch_scc0 .LBB118_2812
; %bb.2811:
	v_cndmask_b32_e64 v3, 0, 1.0, s[4:5]
	v_bfe_u32 v4, v3, 16, 1
	s_movk_i32 s0, 0x7fff
	v_add3_u32 v3, v3, v4, s0
	global_store_short_d16_hi v[0:1], v3, off
	s_mov_b64 s[0:1], 0
	s_mov_b64 s[10:11], -1
.LBB118_2812:
	s_mov_b64 s[24:25], 0
.LBB118_2813:
	s_and_b64 vcc, exec, s[24:25]
	s_cbranch_vccz .LBB118_2815
; %bb.2814:
	s_cmp_lg_u32 s13, 11
	s_mov_b64 s[2:3], -1
	s_cselect_b64 s[0:1], -1, 0
.LBB118_2815:
	s_and_b64 vcc, exec, s[0:1]
	s_cbranch_vccnz .LBB118_3178
; %bb.2816:
	s_andn2_b64 vcc, exec, s[2:3]
	s_cbranch_vccnz .LBB118_2818
.LBB118_2817:
	v_cndmask_b32_e64 v3, 0, 1, s[4:5]
	s_mov_b64 s[10:11], -1
	global_store_byte v[0:1], v3, off
.LBB118_2818:
	s_mov_b64 s[0:1], 0
	s_branch .LBB118_2820
.LBB118_2819:
	s_mov_b64 s[0:1], -1
	s_mov_b64 s[10:11], 0
.LBB118_2820:
	s_and_b64 vcc, exec, s[0:1]
	s_cbranch_vccz .LBB118_2859
; %bb.2821:
	s_and_b32 s2, 0xffff, s28
	s_cmp_lt_i32 s2, 5
	s_mov_b64 s[0:1], -1
	s_cbranch_scc1 .LBB118_2842
; %bb.2822:
	s_cmp_lt_i32 s2, 8
	s_cbranch_scc1 .LBB118_2832
; %bb.2823:
	s_cmp_lt_i32 s2, 9
	s_cbranch_scc1 .LBB118_2829
; %bb.2824:
	s_cmp_gt_i32 s2, 9
	s_cbranch_scc0 .LBB118_2826
; %bb.2825:
	v_cndmask_b32_e64 v3, 0, 1, s[4:5]
	v_cvt_f64_u32_e32 v[3:4], v3
	v_mov_b32_e32 v5, 0
	v_mov_b32_e32 v6, v5
	s_mov_b64 s[0:1], 0
	global_store_dwordx4 v[0:1], v[3:6], off
.LBB118_2826:
	s_andn2_b64 vcc, exec, s[0:1]
	s_cbranch_vccnz .LBB118_2828
; %bb.2827:
	v_cndmask_b32_e64 v3, 0, 1.0, s[4:5]
	v_mov_b32_e32 v4, 0
	global_store_dwordx2 v[0:1], v[3:4], off
.LBB118_2828:
	s_mov_b64 s[0:1], 0
.LBB118_2829:
	s_andn2_b64 vcc, exec, s[0:1]
	s_cbranch_vccnz .LBB118_2831
; %bb.2830:
	v_cndmask_b32_e64 v3, 0, 1.0, s[4:5]
	v_cvt_f16_f32_e32 v3, v3
	global_store_dword v[0:1], v3, off
.LBB118_2831:
	s_mov_b64 s[0:1], 0
.LBB118_2832:
	s_andn2_b64 vcc, exec, s[0:1]
	s_cbranch_vccnz .LBB118_2841
; %bb.2833:
	s_cmp_lt_i32 s2, 6
	s_mov_b64 s[0:1], -1
	s_cbranch_scc1 .LBB118_2839
; %bb.2834:
	s_cmp_gt_i32 s2, 6
	s_cbranch_scc0 .LBB118_2836
; %bb.2835:
	v_cndmask_b32_e64 v3, 0, 1, s[4:5]
	v_cvt_f64_u32_e32 v[3:4], v3
	s_mov_b64 s[0:1], 0
	global_store_dwordx2 v[0:1], v[3:4], off
.LBB118_2836:
	s_andn2_b64 vcc, exec, s[0:1]
	s_cbranch_vccnz .LBB118_2838
; %bb.2837:
	v_cndmask_b32_e64 v3, 0, 1.0, s[4:5]
	global_store_dword v[0:1], v3, off
.LBB118_2838:
	s_mov_b64 s[0:1], 0
.LBB118_2839:
	s_andn2_b64 vcc, exec, s[0:1]
	s_cbranch_vccnz .LBB118_2841
; %bb.2840:
	v_cndmask_b32_e64 v3, 0, 1.0, s[4:5]
	v_cvt_f16_f32_e32 v3, v3
	global_store_short v[0:1], v3, off
.LBB118_2841:
	s_mov_b64 s[0:1], 0
.LBB118_2842:
	s_andn2_b64 vcc, exec, s[0:1]
	s_cbranch_vccnz .LBB118_2858
; %bb.2843:
	s_cmp_lt_i32 s2, 2
	s_mov_b64 s[0:1], -1
	s_cbranch_scc1 .LBB118_2853
; %bb.2844:
	s_cmp_lt_i32 s2, 3
	s_cbranch_scc1 .LBB118_2850
; %bb.2845:
	s_cmp_gt_i32 s2, 3
	s_cbranch_scc0 .LBB118_2847
; %bb.2846:
	s_mov_b32 s0, 0
	v_cndmask_b32_e64 v3, 0, 1, s[4:5]
	v_mov_b32_e32 v4, s0
	global_store_dwordx2 v[0:1], v[3:4], off
	s_mov_b64 s[0:1], 0
.LBB118_2847:
	s_andn2_b64 vcc, exec, s[0:1]
	s_cbranch_vccnz .LBB118_2849
; %bb.2848:
	v_cndmask_b32_e64 v3, 0, 1, s[4:5]
	global_store_dword v[0:1], v3, off
.LBB118_2849:
	s_mov_b64 s[0:1], 0
.LBB118_2850:
	s_andn2_b64 vcc, exec, s[0:1]
	s_cbranch_vccnz .LBB118_2852
; %bb.2851:
	v_cndmask_b32_e64 v3, 0, 1, s[4:5]
	global_store_short v[0:1], v3, off
.LBB118_2852:
	s_mov_b64 s[0:1], 0
.LBB118_2853:
	s_andn2_b64 vcc, exec, s[0:1]
	s_cbranch_vccnz .LBB118_2858
; %bb.2854:
	s_mov_b64 s[0:1], -1
	s_cmp_gt_i32 s2, 0
	v_cndmask_b32_e64 v3, 0, 1, s[4:5]
	s_cbranch_scc0 .LBB118_2856
; %bb.2855:
	global_store_byte v[0:1], v3, off
	s_mov_b64 s[0:1], 0
.LBB118_2856:
	s_andn2_b64 vcc, exec, s[0:1]
	s_cbranch_vccnz .LBB118_2858
; %bb.2857:
	global_store_byte v[0:1], v3, off
.LBB118_2858:
	s_mov_b64 s[10:11], -1
.LBB118_2859:
	s_andn2_b64 vcc, exec, s[10:11]
	s_cbranch_vccnz .LBB118_3174
; %bb.2860:
	s_lshl_b32 s24, s12, 7
	v_add_u32_e32 v2, s24, v2
	v_ashrrev_i32_e32 v1, 31, v2
	v_mov_b32_e32 v3, s9
	v_add_co_u32_e32 v0, vcc, s8, v2
	s_cmp_lt_i32 s28, 11
	v_addc_co_u32_e32 v1, vcc, v3, v1, vcc
	s_cbranch_scc1 .LBB118_2938
; %bb.2861:
	s_and_b32 s25, 0xffff, s28
	s_mov_b64 s[10:11], -1
	s_mov_b64 s[2:3], 0
	s_cmp_gt_i32 s25, 25
	s_mov_b64 s[4:5], 0
	s_mov_b64 s[0:1], 0
	s_cbranch_scc0 .LBB118_2894
; %bb.2862:
	s_cmp_gt_i32 s25, 28
	s_cbranch_scc0 .LBB118_2877
; %bb.2863:
	s_cmp_gt_i32 s25, 43
	;; [unrolled: 3-line block ×3, first 2 shown]
	s_cbranch_scc0 .LBB118_2867
; %bb.2865:
	s_mov_b64 s[0:1], -1
	s_mov_b64 s[10:11], 0
	s_cmp_eq_u32 s25, 46
	s_cbranch_scc0 .LBB118_2867
; %bb.2866:
	v_cndmask_b32_e64 v3, 0, 1.0, s[14:15]
	v_bfe_u32 v4, v3, 16, 1
	s_movk_i32 s0, 0x7fff
	v_add3_u32 v3, v3, v4, s0
	v_lshrrev_b32_e32 v3, 16, v3
	global_store_dword v[0:1], v3, off
	s_mov_b64 s[0:1], 0
	s_mov_b64 s[4:5], -1
.LBB118_2867:
	s_and_b64 vcc, exec, s[10:11]
	s_cbranch_vccz .LBB118_2872
; %bb.2868:
	s_cmp_eq_u32 s25, 44
	s_mov_b64 s[0:1], -1
	s_cbranch_scc0 .LBB118_2872
; %bb.2869:
	v_cndmask_b32_e64 v4, 0, 1.0, s[14:15]
	v_lshrrev_b32_e32 v3, 23, v4
	s_movk_i32 s0, 0xff
	v_cmp_ne_u32_e32 vcc, s0, v3
	v_mov_b32_e32 v5, 0xff
	s_and_saveexec_b64 s[4:5], vcc
; %bb.2870:
	s_mov_b32 s0, 0x3fffff
	v_and_b32_e32 v5, 0x400000, v4
	v_and_or_b32 v4, v4, s0, v3
	v_cmp_ne_u32_e32 vcc, 0, v5
	v_cmp_ne_u32_e64 s[0:1], 0, v4
	s_and_b64 s[0:1], vcc, s[0:1]
	v_cndmask_b32_e64 v4, 0, 1, s[0:1]
	v_add_u32_e32 v5, v3, v4
; %bb.2871:
	s_or_b64 exec, exec, s[4:5]
	s_mov_b64 s[0:1], 0
	s_mov_b64 s[4:5], -1
	global_store_byte v[0:1], v5, off
.LBB118_2872:
	s_mov_b64 s[10:11], 0
.LBB118_2873:
	s_and_b64 vcc, exec, s[10:11]
	s_cbranch_vccz .LBB118_2876
; %bb.2874:
	s_cmp_eq_u32 s25, 29
	s_mov_b64 s[0:1], -1
	s_cbranch_scc0 .LBB118_2876
; %bb.2875:
	s_mov_b32 s0, 0
	v_cndmask_b32_e64 v3, 0, 1, s[14:15]
	v_mov_b32_e32 v4, s0
	global_store_dwordx2 v[0:1], v[3:4], off
	s_mov_b64 s[0:1], 0
	s_mov_b64 s[4:5], -1
.LBB118_2876:
	s_mov_b64 s[10:11], 0
.LBB118_2877:
	s_and_b64 vcc, exec, s[10:11]
	s_cbranch_vccz .LBB118_2893
; %bb.2878:
	s_cmp_lt_i32 s25, 27
	s_mov_b64 s[4:5], -1
	s_cbranch_scc1 .LBB118_2884
; %bb.2879:
	s_cmp_gt_i32 s25, 27
	s_cbranch_scc0 .LBB118_2881
; %bb.2880:
	v_cndmask_b32_e64 v3, 0, 1, s[14:15]
	s_mov_b64 s[4:5], 0
	global_store_dword v[0:1], v3, off
.LBB118_2881:
	s_andn2_b64 vcc, exec, s[4:5]
	s_cbranch_vccnz .LBB118_2883
; %bb.2882:
	v_cndmask_b32_e64 v3, 0, 1, s[14:15]
	global_store_short v[0:1], v3, off
.LBB118_2883:
	s_mov_b64 s[4:5], 0
.LBB118_2884:
	s_andn2_b64 vcc, exec, s[4:5]
	s_cbranch_vccnz .LBB118_2892
; %bb.2885:
	v_cndmask_b32_e64 v4, 0, 1.0, s[14:15]
	s_mov_b32 s4, 0x43800000
	v_cmp_gt_u32_e32 vcc, s4, v4
	v_mov_b32_e32 v5, 0x80
	s_and_saveexec_b64 s[4:5], vcc
	s_cbranch_execz .LBB118_2891
; %bb.2886:
	s_mov_b32 s10, 0x3bffffff
	v_cmp_lt_u32_e32 vcc, s10, v4
	s_mov_b64 s[10:11], 0
                                        ; implicit-def: $vgpr3
	s_and_saveexec_b64 s[12:13], vcc
	s_xor_b64 s[12:13], exec, s[12:13]
	s_cbranch_execz .LBB118_3181
; %bb.2887:
	v_bfe_u32 v3, v4, 20, 1
	s_mov_b32 s26, 0x487ffff
	v_add3_u32 v3, v4, v3, s26
	s_mov_b64 s[10:11], exec
	v_lshrrev_b32_e32 v3, 20, v3
                                        ; implicit-def: $vgpr4
	s_andn2_saveexec_b64 s[12:13], s[12:13]
	s_cbranch_execnz .LBB118_3182
.LBB118_2888:
	s_or_b64 exec, exec, s[12:13]
	v_mov_b32_e32 v5, 0
	s_and_saveexec_b64 s[12:13], s[10:11]
.LBB118_2889:
	v_mov_b32_e32 v5, v3
.LBB118_2890:
	s_or_b64 exec, exec, s[12:13]
.LBB118_2891:
	s_or_b64 exec, exec, s[4:5]
	global_store_byte v[0:1], v5, off
.LBB118_2892:
	s_mov_b64 s[4:5], -1
.LBB118_2893:
	s_mov_b64 s[10:11], 0
.LBB118_2894:
	s_and_b64 vcc, exec, s[10:11]
	s_cbranch_vccz .LBB118_2934
; %bb.2895:
	s_cmp_gt_i32 s25, 22
	s_mov_b64 s[2:3], -1
	s_cbranch_scc0 .LBB118_2927
; %bb.2896:
	s_cmp_lt_i32 s25, 24
	s_cbranch_scc1 .LBB118_2916
; %bb.2897:
	s_cmp_gt_i32 s25, 24
	s_cbranch_scc0 .LBB118_2905
; %bb.2898:
	v_cndmask_b32_e64 v4, 0, 1.0, s[14:15]
	s_mov_b32 s2, 0x47800000
	v_cmp_gt_u32_e32 vcc, s2, v4
	v_mov_b32_e32 v5, 0x80
	s_and_saveexec_b64 s[2:3], vcc
	s_cbranch_execz .LBB118_2904
; %bb.2899:
	s_mov_b32 s4, 0x37ffffff
	v_cmp_lt_u32_e32 vcc, s4, v4
	s_mov_b64 s[4:5], 0
                                        ; implicit-def: $vgpr3
	s_and_saveexec_b64 s[10:11], vcc
	s_xor_b64 s[10:11], exec, s[10:11]
	s_cbranch_execz .LBB118_3184
; %bb.2900:
	v_bfe_u32 v3, v4, 21, 1
	s_mov_b32 s12, 0x88fffff
	v_add3_u32 v3, v4, v3, s12
	s_mov_b64 s[4:5], exec
	v_lshrrev_b32_e32 v3, 21, v3
                                        ; implicit-def: $vgpr4
	s_andn2_saveexec_b64 s[10:11], s[10:11]
	s_cbranch_execnz .LBB118_3185
.LBB118_2901:
	s_or_b64 exec, exec, s[10:11]
	v_mov_b32_e32 v5, 0
	s_and_saveexec_b64 s[10:11], s[4:5]
.LBB118_2902:
	v_mov_b32_e32 v5, v3
.LBB118_2903:
	s_or_b64 exec, exec, s[10:11]
.LBB118_2904:
	s_or_b64 exec, exec, s[2:3]
	s_mov_b64 s[2:3], 0
	global_store_byte v[0:1], v5, off
.LBB118_2905:
	s_and_b64 vcc, exec, s[2:3]
	s_cbranch_vccz .LBB118_2915
; %bb.2906:
	v_cndmask_b32_e64 v3, 0, 1.0, s[14:15]
	s_mov_b32 s2, 0x43f00000
	v_cmp_gt_u32_e32 vcc, s2, v3
                                        ; implicit-def: $vgpr4
	s_and_saveexec_b64 s[2:3], vcc
	s_xor_b64 s[2:3], exec, s[2:3]
	s_cbranch_execz .LBB118_2912
; %bb.2907:
	s_mov_b32 s4, 0x3c7fffff
	v_cmp_lt_u32_e32 vcc, s4, v3
                                        ; implicit-def: $vgpr4
	s_and_saveexec_b64 s[4:5], vcc
	s_xor_b64 s[4:5], exec, s[4:5]
; %bb.2908:
	v_bfe_u32 v4, v3, 20, 1
	s_mov_b32 s10, 0x407ffff
	v_add3_u32 v3, v3, v4, s10
	v_lshrrev_b32_e32 v4, 20, v3
	v_and_b32_e32 v3, 0xff00000, v3
	s_mov_b32 s10, 0x7f00000
	v_mov_b32_e32 v5, 0x7e
	v_cmp_ne_u32_e32 vcc, s10, v3
	v_cndmask_b32_e32 v4, v5, v4, vcc
                                        ; implicit-def: $vgpr3
; %bb.2909:
	s_andn2_saveexec_b64 s[4:5], s[4:5]
; %bb.2910:
	v_add_f32_e32 v4, 0x46800000, v3
; %bb.2911:
	s_or_b64 exec, exec, s[4:5]
                                        ; implicit-def: $vgpr3
.LBB118_2912:
	s_andn2_saveexec_b64 s[2:3], s[2:3]
; %bb.2913:
	s_mov_b32 s4, 0x7f800000
	v_mov_b32_e32 v4, 0x7e
	v_mov_b32_e32 v5, 0x7f
	v_cmp_lt_u32_e32 vcc, s4, v3
	v_cndmask_b32_e32 v4, v4, v5, vcc
; %bb.2914:
	s_or_b64 exec, exec, s[2:3]
	global_store_byte v[0:1], v4, off
.LBB118_2915:
	s_mov_b64 s[2:3], 0
.LBB118_2916:
	s_andn2_b64 vcc, exec, s[2:3]
	s_cbranch_vccnz .LBB118_2926
; %bb.2917:
	v_cndmask_b32_e64 v3, 0, 1.0, s[14:15]
	s_mov_b32 s2, 0x47800000
	v_cmp_gt_u32_e32 vcc, s2, v3
                                        ; implicit-def: $vgpr4
	s_and_saveexec_b64 s[2:3], vcc
	s_xor_b64 s[2:3], exec, s[2:3]
	s_cbranch_execz .LBB118_2923
; %bb.2918:
	s_mov_b32 s4, 0x387fffff
	v_cmp_lt_u32_e32 vcc, s4, v3
                                        ; implicit-def: $vgpr4
	s_and_saveexec_b64 s[4:5], vcc
	s_xor_b64 s[4:5], exec, s[4:5]
; %bb.2919:
	v_bfe_u32 v4, v3, 21, 1
	s_mov_b32 s10, 0x80fffff
	v_add3_u32 v3, v3, v4, s10
	v_lshrrev_b32_e32 v4, 21, v3
                                        ; implicit-def: $vgpr3
; %bb.2920:
	s_andn2_saveexec_b64 s[4:5], s[4:5]
; %bb.2921:
	v_add_f32_e32 v4, 0x43000000, v3
; %bb.2922:
	s_or_b64 exec, exec, s[4:5]
                                        ; implicit-def: $vgpr3
.LBB118_2923:
	s_andn2_saveexec_b64 s[2:3], s[2:3]
; %bb.2924:
	s_mov_b32 s4, 0x7f800000
	v_mov_b32_e32 v4, 0x7c
	v_mov_b32_e32 v5, 0x7f
	v_cmp_lt_u32_e32 vcc, s4, v3
	v_cndmask_b32_e32 v4, v4, v5, vcc
; %bb.2925:
	s_or_b64 exec, exec, s[2:3]
	global_store_byte v[0:1], v4, off
.LBB118_2926:
	s_mov_b64 s[2:3], 0
	s_mov_b64 s[4:5], -1
.LBB118_2927:
	s_andn2_b64 vcc, exec, s[2:3]
	s_mov_b64 s[2:3], 0
	s_cbranch_vccnz .LBB118_2934
; %bb.2928:
	s_cmp_gt_i32 s25, 14
	s_mov_b64 s[10:11], -1
	s_cbranch_scc0 .LBB118_2932
; %bb.2929:
	s_cmp_eq_u32 s25, 15
	s_mov_b64 s[0:1], -1
	s_cbranch_scc0 .LBB118_2931
; %bb.2930:
	v_cndmask_b32_e64 v3, 0, 1.0, s[14:15]
	v_bfe_u32 v4, v3, 16, 1
	s_movk_i32 s0, 0x7fff
	v_add3_u32 v3, v3, v4, s0
	global_store_short_d16_hi v[0:1], v3, off
	s_mov_b64 s[0:1], 0
	s_mov_b64 s[4:5], -1
.LBB118_2931:
	s_mov_b64 s[10:11], 0
.LBB118_2932:
	s_and_b64 vcc, exec, s[10:11]
	s_cbranch_vccz .LBB118_2934
; %bb.2933:
	s_cmp_lg_u32 s25, 11
	s_mov_b64 s[2:3], -1
	s_cselect_b64 s[0:1], -1, 0
.LBB118_2934:
	s_and_b64 vcc, exec, s[0:1]
	s_cbranch_vccnz .LBB118_3183
; %bb.2935:
	s_andn2_b64 vcc, exec, s[2:3]
	s_cbranch_vccnz .LBB118_2937
.LBB118_2936:
	v_cndmask_b32_e64 v3, 0, 1, s[14:15]
	s_mov_b64 s[4:5], -1
	global_store_byte v[0:1], v3, off
.LBB118_2937:
	s_mov_b64 s[0:1], 0
	s_branch .LBB118_2939
.LBB118_2938:
	s_mov_b64 s[0:1], -1
	s_mov_b64 s[4:5], 0
.LBB118_2939:
	s_and_b64 vcc, exec, s[0:1]
	s_cbranch_vccz .LBB118_2978
; %bb.2940:
	s_and_b32 s2, 0xffff, s28
	s_cmp_lt_i32 s2, 5
	s_mov_b64 s[0:1], -1
	s_cbranch_scc1 .LBB118_2961
; %bb.2941:
	s_cmp_lt_i32 s2, 8
	s_cbranch_scc1 .LBB118_2951
; %bb.2942:
	s_cmp_lt_i32 s2, 9
	s_cbranch_scc1 .LBB118_2948
; %bb.2943:
	s_cmp_gt_i32 s2, 9
	s_cbranch_scc0 .LBB118_2945
; %bb.2944:
	v_cndmask_b32_e64 v3, 0, 1, s[14:15]
	v_cvt_f64_u32_e32 v[3:4], v3
	v_mov_b32_e32 v5, 0
	v_mov_b32_e32 v6, v5
	s_mov_b64 s[0:1], 0
	global_store_dwordx4 v[0:1], v[3:6], off
.LBB118_2945:
	s_andn2_b64 vcc, exec, s[0:1]
	s_cbranch_vccnz .LBB118_2947
; %bb.2946:
	v_cndmask_b32_e64 v3, 0, 1.0, s[14:15]
	v_mov_b32_e32 v4, 0
	global_store_dwordx2 v[0:1], v[3:4], off
.LBB118_2947:
	s_mov_b64 s[0:1], 0
.LBB118_2948:
	s_andn2_b64 vcc, exec, s[0:1]
	s_cbranch_vccnz .LBB118_2950
; %bb.2949:
	v_cndmask_b32_e64 v3, 0, 1.0, s[14:15]
	v_cvt_f16_f32_e32 v3, v3
	global_store_dword v[0:1], v3, off
.LBB118_2950:
	s_mov_b64 s[0:1], 0
.LBB118_2951:
	s_andn2_b64 vcc, exec, s[0:1]
	s_cbranch_vccnz .LBB118_2960
; %bb.2952:
	s_cmp_lt_i32 s2, 6
	s_mov_b64 s[0:1], -1
	s_cbranch_scc1 .LBB118_2958
; %bb.2953:
	s_cmp_gt_i32 s2, 6
	s_cbranch_scc0 .LBB118_2955
; %bb.2954:
	v_cndmask_b32_e64 v3, 0, 1, s[14:15]
	v_cvt_f64_u32_e32 v[3:4], v3
	s_mov_b64 s[0:1], 0
	global_store_dwordx2 v[0:1], v[3:4], off
.LBB118_2955:
	s_andn2_b64 vcc, exec, s[0:1]
	s_cbranch_vccnz .LBB118_2957
; %bb.2956:
	v_cndmask_b32_e64 v3, 0, 1.0, s[14:15]
	global_store_dword v[0:1], v3, off
.LBB118_2957:
	s_mov_b64 s[0:1], 0
.LBB118_2958:
	s_andn2_b64 vcc, exec, s[0:1]
	s_cbranch_vccnz .LBB118_2960
; %bb.2959:
	v_cndmask_b32_e64 v3, 0, 1.0, s[14:15]
	v_cvt_f16_f32_e32 v3, v3
	global_store_short v[0:1], v3, off
.LBB118_2960:
	s_mov_b64 s[0:1], 0
.LBB118_2961:
	s_andn2_b64 vcc, exec, s[0:1]
	s_cbranch_vccnz .LBB118_2977
; %bb.2962:
	s_cmp_lt_i32 s2, 2
	s_mov_b64 s[0:1], -1
	s_cbranch_scc1 .LBB118_2972
; %bb.2963:
	s_cmp_lt_i32 s2, 3
	s_cbranch_scc1 .LBB118_2969
; %bb.2964:
	s_cmp_gt_i32 s2, 3
	s_cbranch_scc0 .LBB118_2966
; %bb.2965:
	s_mov_b32 s0, 0
	v_cndmask_b32_e64 v3, 0, 1, s[14:15]
	v_mov_b32_e32 v4, s0
	global_store_dwordx2 v[0:1], v[3:4], off
	s_mov_b64 s[0:1], 0
.LBB118_2966:
	s_andn2_b64 vcc, exec, s[0:1]
	s_cbranch_vccnz .LBB118_2968
; %bb.2967:
	v_cndmask_b32_e64 v3, 0, 1, s[14:15]
	global_store_dword v[0:1], v3, off
.LBB118_2968:
	s_mov_b64 s[0:1], 0
.LBB118_2969:
	s_andn2_b64 vcc, exec, s[0:1]
	s_cbranch_vccnz .LBB118_2971
; %bb.2970:
	v_cndmask_b32_e64 v3, 0, 1, s[14:15]
	global_store_short v[0:1], v3, off
.LBB118_2971:
	s_mov_b64 s[0:1], 0
.LBB118_2972:
	s_andn2_b64 vcc, exec, s[0:1]
	s_cbranch_vccnz .LBB118_2977
; %bb.2973:
	s_mov_b64 s[0:1], -1
	s_cmp_gt_i32 s2, 0
	v_cndmask_b32_e64 v3, 0, 1, s[14:15]
	s_cbranch_scc0 .LBB118_2975
; %bb.2974:
	global_store_byte v[0:1], v3, off
	s_mov_b64 s[0:1], 0
.LBB118_2975:
	s_andn2_b64 vcc, exec, s[0:1]
	s_cbranch_vccnz .LBB118_2977
; %bb.2976:
	global_store_byte v[0:1], v3, off
.LBB118_2977:
	s_mov_b64 s[4:5], -1
.LBB118_2978:
	s_andn2_b64 vcc, exec, s[4:5]
	s_cbranch_vccnz .LBB118_3174
; %bb.2979:
	v_add_u32_e32 v2, s24, v2
	v_ashrrev_i32_e32 v1, 31, v2
	v_mov_b32_e32 v3, s9
	v_add_co_u32_e32 v0, vcc, s8, v2
	s_cmp_lt_i32 s28, 11
	v_addc_co_u32_e32 v1, vcc, v3, v1, vcc
	s_cbranch_scc1 .LBB118_3057
; %bb.2980:
	s_and_b32 s14, 0xffff, s28
	s_mov_b64 s[10:11], -1
	s_mov_b64 s[2:3], 0
	s_cmp_gt_i32 s14, 25
	s_mov_b64 s[4:5], 0
	s_mov_b64 s[0:1], 0
	s_cbranch_scc0 .LBB118_3013
; %bb.2981:
	s_cmp_gt_i32 s14, 28
	s_cbranch_scc0 .LBB118_2996
; %bb.2982:
	s_cmp_gt_i32 s14, 43
	s_cbranch_scc0 .LBB118_2992
; %bb.2983:
	s_cmp_gt_i32 s14, 45
	s_cbranch_scc0 .LBB118_2986
; %bb.2984:
	s_mov_b64 s[0:1], -1
	s_mov_b64 s[10:11], 0
	s_cmp_eq_u32 s14, 46
	s_cbranch_scc0 .LBB118_2986
; %bb.2985:
	v_cndmask_b32_e64 v3, 0, 1.0, s[22:23]
	v_bfe_u32 v4, v3, 16, 1
	s_movk_i32 s0, 0x7fff
	v_add3_u32 v3, v3, v4, s0
	v_lshrrev_b32_e32 v3, 16, v3
	global_store_dword v[0:1], v3, off
	s_mov_b64 s[0:1], 0
	s_mov_b64 s[4:5], -1
.LBB118_2986:
	s_and_b64 vcc, exec, s[10:11]
	s_cbranch_vccz .LBB118_2991
; %bb.2987:
	s_cmp_eq_u32 s14, 44
	s_mov_b64 s[0:1], -1
	s_cbranch_scc0 .LBB118_2991
; %bb.2988:
	v_cndmask_b32_e64 v4, 0, 1.0, s[22:23]
	v_lshrrev_b32_e32 v3, 23, v4
	s_movk_i32 s0, 0xff
	v_cmp_ne_u32_e32 vcc, s0, v3
	v_mov_b32_e32 v5, 0xff
	s_and_saveexec_b64 s[4:5], vcc
; %bb.2989:
	s_mov_b32 s0, 0x3fffff
	v_and_b32_e32 v5, 0x400000, v4
	v_and_or_b32 v4, v4, s0, v3
	v_cmp_ne_u32_e32 vcc, 0, v5
	v_cmp_ne_u32_e64 s[0:1], 0, v4
	s_and_b64 s[0:1], vcc, s[0:1]
	v_cndmask_b32_e64 v4, 0, 1, s[0:1]
	v_add_u32_e32 v5, v3, v4
; %bb.2990:
	s_or_b64 exec, exec, s[4:5]
	s_mov_b64 s[0:1], 0
	s_mov_b64 s[4:5], -1
	global_store_byte v[0:1], v5, off
.LBB118_2991:
	s_mov_b64 s[10:11], 0
.LBB118_2992:
	s_and_b64 vcc, exec, s[10:11]
	s_cbranch_vccz .LBB118_2995
; %bb.2993:
	s_cmp_eq_u32 s14, 29
	s_mov_b64 s[0:1], -1
	s_cbranch_scc0 .LBB118_2995
; %bb.2994:
	s_mov_b32 s0, 0
	v_cndmask_b32_e64 v3, 0, 1, s[22:23]
	v_mov_b32_e32 v4, s0
	global_store_dwordx2 v[0:1], v[3:4], off
	s_mov_b64 s[0:1], 0
	s_mov_b64 s[4:5], -1
.LBB118_2995:
	s_mov_b64 s[10:11], 0
.LBB118_2996:
	s_and_b64 vcc, exec, s[10:11]
	s_cbranch_vccz .LBB118_3012
; %bb.2997:
	s_cmp_lt_i32 s14, 27
	s_mov_b64 s[4:5], -1
	s_cbranch_scc1 .LBB118_3003
; %bb.2998:
	s_cmp_gt_i32 s14, 27
	s_cbranch_scc0 .LBB118_3000
; %bb.2999:
	v_cndmask_b32_e64 v3, 0, 1, s[22:23]
	s_mov_b64 s[4:5], 0
	global_store_dword v[0:1], v3, off
.LBB118_3000:
	s_andn2_b64 vcc, exec, s[4:5]
	s_cbranch_vccnz .LBB118_3002
; %bb.3001:
	v_cndmask_b32_e64 v3, 0, 1, s[22:23]
	global_store_short v[0:1], v3, off
.LBB118_3002:
	s_mov_b64 s[4:5], 0
.LBB118_3003:
	s_andn2_b64 vcc, exec, s[4:5]
	s_cbranch_vccnz .LBB118_3011
; %bb.3004:
	v_cndmask_b32_e64 v4, 0, 1.0, s[22:23]
	s_mov_b32 s4, 0x43800000
	v_cmp_gt_u32_e32 vcc, s4, v4
	v_mov_b32_e32 v5, 0x80
	s_and_saveexec_b64 s[4:5], vcc
	s_cbranch_execz .LBB118_3010
; %bb.3005:
	s_mov_b32 s10, 0x3bffffff
	v_cmp_lt_u32_e32 vcc, s10, v4
	s_mov_b64 s[10:11], 0
                                        ; implicit-def: $vgpr3
	s_and_saveexec_b64 s[12:13], vcc
	s_xor_b64 s[12:13], exec, s[12:13]
	s_cbranch_execz .LBB118_3186
; %bb.3006:
	v_bfe_u32 v3, v4, 20, 1
	s_mov_b32 s15, 0x487ffff
	v_add3_u32 v3, v4, v3, s15
	s_mov_b64 s[10:11], exec
	v_lshrrev_b32_e32 v3, 20, v3
                                        ; implicit-def: $vgpr4
	s_andn2_saveexec_b64 s[12:13], s[12:13]
	s_cbranch_execnz .LBB118_3187
.LBB118_3007:
	s_or_b64 exec, exec, s[12:13]
	v_mov_b32_e32 v5, 0
	s_and_saveexec_b64 s[12:13], s[10:11]
.LBB118_3008:
	v_mov_b32_e32 v5, v3
.LBB118_3009:
	s_or_b64 exec, exec, s[12:13]
.LBB118_3010:
	s_or_b64 exec, exec, s[4:5]
	global_store_byte v[0:1], v5, off
.LBB118_3011:
	s_mov_b64 s[4:5], -1
.LBB118_3012:
	s_mov_b64 s[10:11], 0
.LBB118_3013:
	s_and_b64 vcc, exec, s[10:11]
	s_cbranch_vccz .LBB118_3053
; %bb.3014:
	s_cmp_gt_i32 s14, 22
	s_mov_b64 s[2:3], -1
	s_cbranch_scc0 .LBB118_3046
; %bb.3015:
	s_cmp_lt_i32 s14, 24
	s_cbranch_scc1 .LBB118_3035
; %bb.3016:
	s_cmp_gt_i32 s14, 24
	s_cbranch_scc0 .LBB118_3024
; %bb.3017:
	v_cndmask_b32_e64 v4, 0, 1.0, s[22:23]
	s_mov_b32 s2, 0x47800000
	v_cmp_gt_u32_e32 vcc, s2, v4
	v_mov_b32_e32 v5, 0x80
	s_and_saveexec_b64 s[2:3], vcc
	s_cbranch_execz .LBB118_3023
; %bb.3018:
	s_mov_b32 s4, 0x37ffffff
	v_cmp_lt_u32_e32 vcc, s4, v4
	s_mov_b64 s[4:5], 0
                                        ; implicit-def: $vgpr3
	s_and_saveexec_b64 s[10:11], vcc
	s_xor_b64 s[10:11], exec, s[10:11]
	s_cbranch_execz .LBB118_3189
; %bb.3019:
	v_bfe_u32 v3, v4, 21, 1
	s_mov_b32 s12, 0x88fffff
	v_add3_u32 v3, v4, v3, s12
	s_mov_b64 s[4:5], exec
	v_lshrrev_b32_e32 v3, 21, v3
                                        ; implicit-def: $vgpr4
	s_andn2_saveexec_b64 s[10:11], s[10:11]
	s_cbranch_execnz .LBB118_3190
.LBB118_3020:
	s_or_b64 exec, exec, s[10:11]
	v_mov_b32_e32 v5, 0
	s_and_saveexec_b64 s[10:11], s[4:5]
.LBB118_3021:
	v_mov_b32_e32 v5, v3
.LBB118_3022:
	s_or_b64 exec, exec, s[10:11]
.LBB118_3023:
	s_or_b64 exec, exec, s[2:3]
	s_mov_b64 s[2:3], 0
	global_store_byte v[0:1], v5, off
.LBB118_3024:
	s_and_b64 vcc, exec, s[2:3]
	s_cbranch_vccz .LBB118_3034
; %bb.3025:
	v_cndmask_b32_e64 v3, 0, 1.0, s[22:23]
	s_mov_b32 s2, 0x43f00000
	v_cmp_gt_u32_e32 vcc, s2, v3
                                        ; implicit-def: $vgpr4
	s_and_saveexec_b64 s[2:3], vcc
	s_xor_b64 s[2:3], exec, s[2:3]
	s_cbranch_execz .LBB118_3031
; %bb.3026:
	s_mov_b32 s4, 0x3c7fffff
	v_cmp_lt_u32_e32 vcc, s4, v3
                                        ; implicit-def: $vgpr4
	s_and_saveexec_b64 s[4:5], vcc
	s_xor_b64 s[4:5], exec, s[4:5]
; %bb.3027:
	v_bfe_u32 v4, v3, 20, 1
	s_mov_b32 s10, 0x407ffff
	v_add3_u32 v3, v3, v4, s10
	v_lshrrev_b32_e32 v4, 20, v3
	v_and_b32_e32 v3, 0xff00000, v3
	s_mov_b32 s10, 0x7f00000
	v_mov_b32_e32 v5, 0x7e
	v_cmp_ne_u32_e32 vcc, s10, v3
	v_cndmask_b32_e32 v4, v5, v4, vcc
                                        ; implicit-def: $vgpr3
; %bb.3028:
	s_andn2_saveexec_b64 s[4:5], s[4:5]
; %bb.3029:
	v_add_f32_e32 v4, 0x46800000, v3
; %bb.3030:
	s_or_b64 exec, exec, s[4:5]
                                        ; implicit-def: $vgpr3
.LBB118_3031:
	s_andn2_saveexec_b64 s[2:3], s[2:3]
; %bb.3032:
	s_mov_b32 s4, 0x7f800000
	v_mov_b32_e32 v4, 0x7e
	v_mov_b32_e32 v5, 0x7f
	v_cmp_lt_u32_e32 vcc, s4, v3
	v_cndmask_b32_e32 v4, v4, v5, vcc
; %bb.3033:
	s_or_b64 exec, exec, s[2:3]
	global_store_byte v[0:1], v4, off
.LBB118_3034:
	s_mov_b64 s[2:3], 0
.LBB118_3035:
	s_andn2_b64 vcc, exec, s[2:3]
	s_cbranch_vccnz .LBB118_3045
; %bb.3036:
	v_cndmask_b32_e64 v3, 0, 1.0, s[22:23]
	s_mov_b32 s2, 0x47800000
	v_cmp_gt_u32_e32 vcc, s2, v3
                                        ; implicit-def: $vgpr4
	s_and_saveexec_b64 s[2:3], vcc
	s_xor_b64 s[2:3], exec, s[2:3]
	s_cbranch_execz .LBB118_3042
; %bb.3037:
	s_mov_b32 s4, 0x387fffff
	v_cmp_lt_u32_e32 vcc, s4, v3
                                        ; implicit-def: $vgpr4
	s_and_saveexec_b64 s[4:5], vcc
	s_xor_b64 s[4:5], exec, s[4:5]
; %bb.3038:
	v_bfe_u32 v4, v3, 21, 1
	s_mov_b32 s10, 0x80fffff
	v_add3_u32 v3, v3, v4, s10
	v_lshrrev_b32_e32 v4, 21, v3
                                        ; implicit-def: $vgpr3
; %bb.3039:
	s_andn2_saveexec_b64 s[4:5], s[4:5]
; %bb.3040:
	v_add_f32_e32 v4, 0x43000000, v3
; %bb.3041:
	s_or_b64 exec, exec, s[4:5]
                                        ; implicit-def: $vgpr3
.LBB118_3042:
	s_andn2_saveexec_b64 s[2:3], s[2:3]
; %bb.3043:
	s_mov_b32 s4, 0x7f800000
	v_mov_b32_e32 v4, 0x7c
	v_mov_b32_e32 v5, 0x7f
	v_cmp_lt_u32_e32 vcc, s4, v3
	v_cndmask_b32_e32 v4, v4, v5, vcc
; %bb.3044:
	s_or_b64 exec, exec, s[2:3]
	global_store_byte v[0:1], v4, off
.LBB118_3045:
	s_mov_b64 s[2:3], 0
	s_mov_b64 s[4:5], -1
.LBB118_3046:
	s_andn2_b64 vcc, exec, s[2:3]
	s_mov_b64 s[2:3], 0
	s_cbranch_vccnz .LBB118_3053
; %bb.3047:
	s_cmp_gt_i32 s14, 14
	s_mov_b64 s[10:11], -1
	s_cbranch_scc0 .LBB118_3051
; %bb.3048:
	s_cmp_eq_u32 s14, 15
	s_mov_b64 s[0:1], -1
	s_cbranch_scc0 .LBB118_3050
; %bb.3049:
	v_cndmask_b32_e64 v3, 0, 1.0, s[22:23]
	v_bfe_u32 v4, v3, 16, 1
	s_movk_i32 s0, 0x7fff
	v_add3_u32 v3, v3, v4, s0
	global_store_short_d16_hi v[0:1], v3, off
	s_mov_b64 s[0:1], 0
	s_mov_b64 s[4:5], -1
.LBB118_3050:
	s_mov_b64 s[10:11], 0
.LBB118_3051:
	s_and_b64 vcc, exec, s[10:11]
	s_cbranch_vccz .LBB118_3053
; %bb.3052:
	s_cmp_lg_u32 s14, 11
	s_mov_b64 s[2:3], -1
	s_cselect_b64 s[0:1], -1, 0
.LBB118_3053:
	s_and_b64 vcc, exec, s[0:1]
	s_cbranch_vccnz .LBB118_3188
; %bb.3054:
	s_andn2_b64 vcc, exec, s[2:3]
	s_cbranch_vccnz .LBB118_3056
.LBB118_3055:
	v_cndmask_b32_e64 v3, 0, 1, s[22:23]
	s_mov_b64 s[4:5], -1
	global_store_byte v[0:1], v3, off
.LBB118_3056:
	s_mov_b64 s[0:1], 0
	s_branch .LBB118_3058
.LBB118_3057:
	s_mov_b64 s[0:1], -1
	s_mov_b64 s[4:5], 0
.LBB118_3058:
	s_and_b64 vcc, exec, s[0:1]
	s_cbranch_vccz .LBB118_3097
; %bb.3059:
	s_and_b32 s2, 0xffff, s28
	s_cmp_lt_i32 s2, 5
	s_mov_b64 s[0:1], -1
	s_cbranch_scc1 .LBB118_3080
; %bb.3060:
	s_cmp_lt_i32 s2, 8
	s_cbranch_scc1 .LBB118_3070
; %bb.3061:
	s_cmp_lt_i32 s2, 9
	s_cbranch_scc1 .LBB118_3067
; %bb.3062:
	s_cmp_gt_i32 s2, 9
	s_cbranch_scc0 .LBB118_3064
; %bb.3063:
	v_cndmask_b32_e64 v3, 0, 1, s[22:23]
	v_cvt_f64_u32_e32 v[3:4], v3
	v_mov_b32_e32 v5, 0
	v_mov_b32_e32 v6, v5
	s_mov_b64 s[0:1], 0
	global_store_dwordx4 v[0:1], v[3:6], off
.LBB118_3064:
	s_andn2_b64 vcc, exec, s[0:1]
	s_cbranch_vccnz .LBB118_3066
; %bb.3065:
	v_cndmask_b32_e64 v3, 0, 1.0, s[22:23]
	v_mov_b32_e32 v4, 0
	global_store_dwordx2 v[0:1], v[3:4], off
.LBB118_3066:
	s_mov_b64 s[0:1], 0
.LBB118_3067:
	s_andn2_b64 vcc, exec, s[0:1]
	s_cbranch_vccnz .LBB118_3069
; %bb.3068:
	v_cndmask_b32_e64 v3, 0, 1.0, s[22:23]
	v_cvt_f16_f32_e32 v3, v3
	global_store_dword v[0:1], v3, off
.LBB118_3069:
	s_mov_b64 s[0:1], 0
.LBB118_3070:
	s_andn2_b64 vcc, exec, s[0:1]
	s_cbranch_vccnz .LBB118_3079
; %bb.3071:
	s_cmp_lt_i32 s2, 6
	s_mov_b64 s[0:1], -1
	s_cbranch_scc1 .LBB118_3077
; %bb.3072:
	s_cmp_gt_i32 s2, 6
	s_cbranch_scc0 .LBB118_3074
; %bb.3073:
	v_cndmask_b32_e64 v3, 0, 1, s[22:23]
	v_cvt_f64_u32_e32 v[3:4], v3
	s_mov_b64 s[0:1], 0
	global_store_dwordx2 v[0:1], v[3:4], off
.LBB118_3074:
	s_andn2_b64 vcc, exec, s[0:1]
	s_cbranch_vccnz .LBB118_3076
; %bb.3075:
	v_cndmask_b32_e64 v3, 0, 1.0, s[22:23]
	global_store_dword v[0:1], v3, off
.LBB118_3076:
	s_mov_b64 s[0:1], 0
.LBB118_3077:
	s_andn2_b64 vcc, exec, s[0:1]
	s_cbranch_vccnz .LBB118_3079
; %bb.3078:
	v_cndmask_b32_e64 v3, 0, 1.0, s[22:23]
	v_cvt_f16_f32_e32 v3, v3
	global_store_short v[0:1], v3, off
.LBB118_3079:
	s_mov_b64 s[0:1], 0
.LBB118_3080:
	s_andn2_b64 vcc, exec, s[0:1]
	s_cbranch_vccnz .LBB118_3096
; %bb.3081:
	s_cmp_lt_i32 s2, 2
	s_mov_b64 s[0:1], -1
	s_cbranch_scc1 .LBB118_3091
; %bb.3082:
	s_cmp_lt_i32 s2, 3
	s_cbranch_scc1 .LBB118_3088
; %bb.3083:
	s_cmp_gt_i32 s2, 3
	s_cbranch_scc0 .LBB118_3085
; %bb.3084:
	s_mov_b32 s0, 0
	v_cndmask_b32_e64 v3, 0, 1, s[22:23]
	v_mov_b32_e32 v4, s0
	global_store_dwordx2 v[0:1], v[3:4], off
	s_mov_b64 s[0:1], 0
.LBB118_3085:
	s_andn2_b64 vcc, exec, s[0:1]
	s_cbranch_vccnz .LBB118_3087
; %bb.3086:
	v_cndmask_b32_e64 v3, 0, 1, s[22:23]
	global_store_dword v[0:1], v3, off
.LBB118_3087:
	s_mov_b64 s[0:1], 0
.LBB118_3088:
	s_andn2_b64 vcc, exec, s[0:1]
	s_cbranch_vccnz .LBB118_3090
; %bb.3089:
	v_cndmask_b32_e64 v3, 0, 1, s[22:23]
	global_store_short v[0:1], v3, off
.LBB118_3090:
	s_mov_b64 s[0:1], 0
.LBB118_3091:
	s_andn2_b64 vcc, exec, s[0:1]
	s_cbranch_vccnz .LBB118_3096
; %bb.3092:
	s_mov_b64 s[0:1], -1
	s_cmp_gt_i32 s2, 0
	v_cndmask_b32_e64 v3, 0, 1, s[22:23]
	s_cbranch_scc0 .LBB118_3094
; %bb.3093:
	global_store_byte v[0:1], v3, off
	s_mov_b64 s[0:1], 0
.LBB118_3094:
	s_andn2_b64 vcc, exec, s[0:1]
	s_cbranch_vccnz .LBB118_3096
; %bb.3095:
	global_store_byte v[0:1], v3, off
.LBB118_3096:
	s_mov_b64 s[4:5], -1
.LBB118_3097:
	s_andn2_b64 vcc, exec, s[4:5]
	s_cbranch_vccnz .LBB118_3174
; %bb.3098:
	v_add_u32_e32 v0, s24, v2
	v_ashrrev_i32_e32 v1, 31, v0
	v_mov_b32_e32 v2, s9
	v_add_co_u32_e32 v0, vcc, s8, v0
	s_cmp_lt_i32 s28, 11
	v_addc_co_u32_e32 v1, vcc, v2, v1, vcc
	s_cbranch_scc1 .LBB118_3175
; %bb.3099:
	s_and_b32 s12, 0xffff, s28
	s_mov_b64 s[4:5], -1
	s_mov_b64 s[2:3], 0
	s_cmp_gt_i32 s12, 25
	s_mov_b64 s[0:1], 0
	s_cbranch_scc0 .LBB118_3132
; %bb.3100:
	s_cmp_gt_i32 s12, 28
	s_cbranch_scc0 .LBB118_3116
; %bb.3101:
	s_cmp_gt_i32 s12, 43
	;; [unrolled: 3-line block ×3, first 2 shown]
	s_cbranch_scc0 .LBB118_3106
; %bb.3103:
	s_cmp_eq_u32 s12, 46
	s_mov_b64 s[0:1], -1
	s_cbranch_scc0 .LBB118_3105
; %bb.3104:
	v_cndmask_b32_e64 v2, 0, 1.0, s[20:21]
	v_bfe_u32 v3, v2, 16, 1
	s_movk_i32 s0, 0x7fff
	v_add3_u32 v2, v2, v3, s0
	v_lshrrev_b32_e32 v2, 16, v2
	global_store_dword v[0:1], v2, off
	s_mov_b64 s[0:1], 0
.LBB118_3105:
	s_mov_b64 s[4:5], 0
.LBB118_3106:
	s_and_b64 vcc, exec, s[4:5]
	s_cbranch_vccz .LBB118_3111
; %bb.3107:
	s_cmp_eq_u32 s12, 44
	s_mov_b64 s[0:1], -1
	s_cbranch_scc0 .LBB118_3111
; %bb.3108:
	v_cndmask_b32_e64 v3, 0, 1.0, s[20:21]
	v_lshrrev_b32_e32 v2, 23, v3
	s_movk_i32 s0, 0xff
	v_cmp_ne_u32_e32 vcc, s0, v2
	v_mov_b32_e32 v4, 0xff
	s_and_saveexec_b64 s[4:5], vcc
; %bb.3109:
	s_mov_b32 s0, 0x3fffff
	v_and_b32_e32 v4, 0x400000, v3
	v_and_or_b32 v3, v3, s0, v2
	v_cmp_ne_u32_e32 vcc, 0, v4
	v_cmp_ne_u32_e64 s[0:1], 0, v3
	s_and_b64 s[0:1], vcc, s[0:1]
	v_cndmask_b32_e64 v3, 0, 1, s[0:1]
	v_add_u32_e32 v4, v2, v3
; %bb.3110:
	s_or_b64 exec, exec, s[4:5]
	s_mov_b64 s[0:1], 0
	global_store_byte v[0:1], v4, off
.LBB118_3111:
	s_mov_b64 s[4:5], 0
.LBB118_3112:
	s_and_b64 vcc, exec, s[4:5]
	s_cbranch_vccz .LBB118_3115
; %bb.3113:
	s_cmp_eq_u32 s12, 29
	s_mov_b64 s[0:1], -1
	s_cbranch_scc0 .LBB118_3115
; %bb.3114:
	s_mov_b32 s0, 0
	v_cndmask_b32_e64 v2, 0, 1, s[20:21]
	v_mov_b32_e32 v3, s0
	global_store_dwordx2 v[0:1], v[2:3], off
	s_mov_b64 s[0:1], 0
.LBB118_3115:
	s_mov_b64 s[4:5], 0
.LBB118_3116:
	s_and_b64 vcc, exec, s[4:5]
	s_cbranch_vccz .LBB118_3131
; %bb.3117:
	s_cmp_lt_i32 s12, 27
	s_mov_b64 s[4:5], -1
	s_cbranch_scc1 .LBB118_3123
; %bb.3118:
	s_cmp_gt_i32 s12, 27
	v_cndmask_b32_e64 v2, 0, 1, s[20:21]
	s_cbranch_scc0 .LBB118_3120
; %bb.3119:
	global_store_dword v[0:1], v2, off
	s_mov_b64 s[4:5], 0
.LBB118_3120:
	s_andn2_b64 vcc, exec, s[4:5]
	s_cbranch_vccnz .LBB118_3122
; %bb.3121:
	global_store_short v[0:1], v2, off
.LBB118_3122:
	s_mov_b64 s[4:5], 0
.LBB118_3123:
	s_andn2_b64 vcc, exec, s[4:5]
	s_cbranch_vccnz .LBB118_3131
; %bb.3124:
	v_cndmask_b32_e64 v3, 0, 1.0, s[20:21]
	s_mov_b32 s4, 0x43800000
	v_cmp_gt_u32_e32 vcc, s4, v3
	v_mov_b32_e32 v4, 0x80
	s_and_saveexec_b64 s[4:5], vcc
	s_cbranch_execz .LBB118_3130
; %bb.3125:
	s_mov_b32 s8, 0x3bffffff
	v_cmp_lt_u32_e32 vcc, s8, v3
	s_mov_b64 s[8:9], 0
                                        ; implicit-def: $vgpr2
	s_and_saveexec_b64 s[10:11], vcc
	s_xor_b64 s[10:11], exec, s[10:11]
	s_cbranch_execz .LBB118_3191
; %bb.3126:
	v_bfe_u32 v2, v3, 20, 1
	s_mov_b32 s13, 0x487ffff
	v_add3_u32 v2, v3, v2, s13
	s_mov_b64 s[8:9], exec
	v_lshrrev_b32_e32 v2, 20, v2
                                        ; implicit-def: $vgpr3
	s_andn2_saveexec_b64 s[10:11], s[10:11]
	s_cbranch_execnz .LBB118_3192
.LBB118_3127:
	s_or_b64 exec, exec, s[10:11]
	v_mov_b32_e32 v4, 0
	s_and_saveexec_b64 s[10:11], s[8:9]
.LBB118_3128:
	v_mov_b32_e32 v4, v2
.LBB118_3129:
	s_or_b64 exec, exec, s[10:11]
.LBB118_3130:
	s_or_b64 exec, exec, s[4:5]
	global_store_byte v[0:1], v4, off
.LBB118_3131:
	s_mov_b64 s[4:5], 0
.LBB118_3132:
	s_and_b64 vcc, exec, s[4:5]
	s_cbranch_vccz .LBB118_3172
; %bb.3133:
	s_cmp_gt_i32 s12, 22
	s_mov_b64 s[2:3], -1
	s_cbranch_scc0 .LBB118_3165
; %bb.3134:
	s_cmp_lt_i32 s12, 24
	s_cbranch_scc1 .LBB118_3154
; %bb.3135:
	s_cmp_gt_i32 s12, 24
	s_cbranch_scc0 .LBB118_3143
; %bb.3136:
	v_cndmask_b32_e64 v3, 0, 1.0, s[20:21]
	s_mov_b32 s2, 0x47800000
	v_cmp_gt_u32_e32 vcc, s2, v3
	v_mov_b32_e32 v4, 0x80
	s_and_saveexec_b64 s[2:3], vcc
	s_cbranch_execz .LBB118_3142
; %bb.3137:
	s_mov_b32 s4, 0x37ffffff
	v_cmp_lt_u32_e32 vcc, s4, v3
	s_mov_b64 s[4:5], 0
                                        ; implicit-def: $vgpr2
	s_and_saveexec_b64 s[8:9], vcc
	s_xor_b64 s[8:9], exec, s[8:9]
	s_cbranch_execz .LBB118_3194
; %bb.3138:
	v_bfe_u32 v2, v3, 21, 1
	s_mov_b32 s10, 0x88fffff
	v_add3_u32 v2, v3, v2, s10
	s_mov_b64 s[4:5], exec
	v_lshrrev_b32_e32 v2, 21, v2
                                        ; implicit-def: $vgpr3
	s_andn2_saveexec_b64 s[8:9], s[8:9]
	s_cbranch_execnz .LBB118_3195
.LBB118_3139:
	s_or_b64 exec, exec, s[8:9]
	v_mov_b32_e32 v4, 0
	s_and_saveexec_b64 s[8:9], s[4:5]
.LBB118_3140:
	v_mov_b32_e32 v4, v2
.LBB118_3141:
	s_or_b64 exec, exec, s[8:9]
.LBB118_3142:
	s_or_b64 exec, exec, s[2:3]
	s_mov_b64 s[2:3], 0
	global_store_byte v[0:1], v4, off
.LBB118_3143:
	s_and_b64 vcc, exec, s[2:3]
	s_cbranch_vccz .LBB118_3153
; %bb.3144:
	v_cndmask_b32_e64 v2, 0, 1.0, s[20:21]
	s_mov_b32 s2, 0x43f00000
	v_cmp_gt_u32_e32 vcc, s2, v2
                                        ; implicit-def: $vgpr3
	s_and_saveexec_b64 s[2:3], vcc
	s_xor_b64 s[2:3], exec, s[2:3]
	s_cbranch_execz .LBB118_3150
; %bb.3145:
	s_mov_b32 s4, 0x3c7fffff
	v_cmp_lt_u32_e32 vcc, s4, v2
                                        ; implicit-def: $vgpr3
	s_and_saveexec_b64 s[4:5], vcc
	s_xor_b64 s[4:5], exec, s[4:5]
; %bb.3146:
	v_bfe_u32 v3, v2, 20, 1
	s_mov_b32 s8, 0x407ffff
	v_add3_u32 v2, v2, v3, s8
	v_lshrrev_b32_e32 v3, 20, v2
	v_and_b32_e32 v2, 0xff00000, v2
	s_mov_b32 s8, 0x7f00000
	v_mov_b32_e32 v4, 0x7e
	v_cmp_ne_u32_e32 vcc, s8, v2
	v_cndmask_b32_e32 v3, v4, v3, vcc
                                        ; implicit-def: $vgpr2
; %bb.3147:
	s_andn2_saveexec_b64 s[4:5], s[4:5]
; %bb.3148:
	v_add_f32_e32 v3, 0x46800000, v2
; %bb.3149:
	s_or_b64 exec, exec, s[4:5]
                                        ; implicit-def: $vgpr2
.LBB118_3150:
	s_andn2_saveexec_b64 s[2:3], s[2:3]
; %bb.3151:
	s_mov_b32 s4, 0x7f800000
	v_mov_b32_e32 v3, 0x7e
	v_mov_b32_e32 v4, 0x7f
	v_cmp_lt_u32_e32 vcc, s4, v2
	v_cndmask_b32_e32 v3, v3, v4, vcc
; %bb.3152:
	s_or_b64 exec, exec, s[2:3]
	global_store_byte v[0:1], v3, off
.LBB118_3153:
	s_mov_b64 s[2:3], 0
.LBB118_3154:
	s_andn2_b64 vcc, exec, s[2:3]
	s_cbranch_vccnz .LBB118_3164
; %bb.3155:
	v_cndmask_b32_e64 v2, 0, 1.0, s[20:21]
	s_mov_b32 s2, 0x47800000
	v_cmp_gt_u32_e32 vcc, s2, v2
                                        ; implicit-def: $vgpr3
	s_and_saveexec_b64 s[2:3], vcc
	s_xor_b64 s[2:3], exec, s[2:3]
	s_cbranch_execz .LBB118_3161
; %bb.3156:
	s_mov_b32 s4, 0x387fffff
	v_cmp_lt_u32_e32 vcc, s4, v2
                                        ; implicit-def: $vgpr3
	s_and_saveexec_b64 s[4:5], vcc
	s_xor_b64 s[4:5], exec, s[4:5]
; %bb.3157:
	v_bfe_u32 v3, v2, 21, 1
	s_mov_b32 s8, 0x80fffff
	v_add3_u32 v2, v2, v3, s8
	v_lshrrev_b32_e32 v3, 21, v2
                                        ; implicit-def: $vgpr2
; %bb.3158:
	s_andn2_saveexec_b64 s[4:5], s[4:5]
; %bb.3159:
	v_add_f32_e32 v3, 0x43000000, v2
; %bb.3160:
	s_or_b64 exec, exec, s[4:5]
                                        ; implicit-def: $vgpr2
.LBB118_3161:
	s_andn2_saveexec_b64 s[2:3], s[2:3]
; %bb.3162:
	s_mov_b32 s4, 0x7f800000
	v_mov_b32_e32 v3, 0x7c
	v_mov_b32_e32 v4, 0x7f
	v_cmp_lt_u32_e32 vcc, s4, v2
	v_cndmask_b32_e32 v3, v3, v4, vcc
; %bb.3163:
	s_or_b64 exec, exec, s[2:3]
	global_store_byte v[0:1], v3, off
.LBB118_3164:
	s_mov_b64 s[2:3], 0
.LBB118_3165:
	s_andn2_b64 vcc, exec, s[2:3]
	s_mov_b64 s[2:3], 0
	s_cbranch_vccnz .LBB118_3172
; %bb.3166:
	s_cmp_gt_i32 s12, 14
	s_mov_b64 s[4:5], -1
	s_cbranch_scc0 .LBB118_3170
; %bb.3167:
	s_cmp_eq_u32 s12, 15
	s_mov_b64 s[0:1], -1
	s_cbranch_scc0 .LBB118_3169
; %bb.3168:
	v_cndmask_b32_e64 v2, 0, 1.0, s[20:21]
	v_bfe_u32 v3, v2, 16, 1
	s_movk_i32 s0, 0x7fff
	v_add3_u32 v2, v2, v3, s0
	global_store_short_d16_hi v[0:1], v2, off
	s_mov_b64 s[0:1], 0
.LBB118_3169:
	s_mov_b64 s[4:5], 0
.LBB118_3170:
	s_and_b64 vcc, exec, s[4:5]
	s_cbranch_vccz .LBB118_3172
; %bb.3171:
	s_cmp_lg_u32 s12, 11
	s_mov_b64 s[2:3], -1
	s_cselect_b64 s[0:1], -1, 0
.LBB118_3172:
	s_and_b64 vcc, exec, s[0:1]
	s_cbranch_vccnz .LBB118_3193
.LBB118_3173:
	s_mov_b64 s[0:1], 0
	s_branch .LBB118_2694
.LBB118_3174:
	s_mov_b64 s[0:1], 0
	s_branch .LBB118_2693
.LBB118_3175:
	s_mov_b64 s[2:3], 0
	s_mov_b64 s[0:1], -1
	s_branch .LBB118_2694
.LBB118_3176:
	s_andn2_saveexec_b64 s[26:27], s[26:27]
	s_cbranch_execz .LBB118_2769
.LBB118_3177:
	v_add_f32_e32 v3, 0x46000000, v4
	v_and_b32_e32 v3, 0xff, v3
	v_cmp_ne_u32_e32 vcc, 0, v3
	s_andn2_b64 s[24:25], s[24:25], exec
	s_and_b64 s[30:31], vcc, exec
	s_or_b64 s[24:25], s[24:25], s[30:31]
	s_or_b64 exec, exec, s[26:27]
	v_mov_b32_e32 v5, 0
	s_and_saveexec_b64 s[26:27], s[24:25]
	s_cbranch_execnz .LBB118_2770
	s_branch .LBB118_2771
.LBB118_3178:
	s_trap 2
	s_or_b64 s[18:19], s[18:19], exec
	s_cbranch_execz .LBB118_2817
	s_branch .LBB118_2818
.LBB118_3179:
	s_andn2_saveexec_b64 s[24:25], s[24:25]
	s_cbranch_execz .LBB118_2782
.LBB118_3180:
	v_add_f32_e32 v3, 0x42800000, v4
	v_and_b32_e32 v3, 0xff, v3
	v_cmp_ne_u32_e32 vcc, 0, v3
	s_andn2_b64 s[10:11], s[10:11], exec
	s_and_b64 s[26:27], vcc, exec
	s_or_b64 s[10:11], s[10:11], s[26:27]
	s_or_b64 exec, exec, s[24:25]
	v_mov_b32_e32 v5, 0
	s_and_saveexec_b64 s[24:25], s[10:11]
	s_cbranch_execnz .LBB118_2783
	s_branch .LBB118_2784
.LBB118_3181:
	s_andn2_saveexec_b64 s[12:13], s[12:13]
	s_cbranch_execz .LBB118_2888
.LBB118_3182:
	v_add_f32_e32 v3, 0x46000000, v4
	v_and_b32_e32 v3, 0xff, v3
	v_cmp_ne_u32_e32 vcc, 0, v3
	s_andn2_b64 s[10:11], s[10:11], exec
	s_and_b64 s[26:27], vcc, exec
	s_or_b64 s[10:11], s[10:11], s[26:27]
	s_or_b64 exec, exec, s[12:13]
	v_mov_b32_e32 v5, 0
	s_and_saveexec_b64 s[12:13], s[10:11]
	s_cbranch_execnz .LBB118_2889
	s_branch .LBB118_2890
.LBB118_3183:
	s_trap 2
	s_or_b64 s[18:19], s[18:19], exec
	s_cbranch_execz .LBB118_2936
	s_branch .LBB118_2937
.LBB118_3184:
	s_andn2_saveexec_b64 s[10:11], s[10:11]
	s_cbranch_execz .LBB118_2901
.LBB118_3185:
	v_add_f32_e32 v3, 0x42800000, v4
	v_and_b32_e32 v3, 0xff, v3
	v_cmp_ne_u32_e32 vcc, 0, v3
	s_andn2_b64 s[4:5], s[4:5], exec
	s_and_b64 s[12:13], vcc, exec
	s_or_b64 s[4:5], s[4:5], s[12:13]
	s_or_b64 exec, exec, s[10:11]
	v_mov_b32_e32 v5, 0
	s_and_saveexec_b64 s[10:11], s[4:5]
	s_cbranch_execnz .LBB118_2902
	s_branch .LBB118_2903
.LBB118_3186:
	s_andn2_saveexec_b64 s[12:13], s[12:13]
	s_cbranch_execz .LBB118_3007
.LBB118_3187:
	v_add_f32_e32 v3, 0x46000000, v4
	v_and_b32_e32 v3, 0xff, v3
	v_cmp_ne_u32_e32 vcc, 0, v3
	s_andn2_b64 s[10:11], s[10:11], exec
	s_and_b64 s[26:27], vcc, exec
	s_or_b64 s[10:11], s[10:11], s[26:27]
	s_or_b64 exec, exec, s[12:13]
	v_mov_b32_e32 v5, 0
	s_and_saveexec_b64 s[12:13], s[10:11]
	s_cbranch_execnz .LBB118_3008
	s_branch .LBB118_3009
.LBB118_3188:
	s_trap 2
	s_or_b64 s[18:19], s[18:19], exec
	s_cbranch_execz .LBB118_3055
	s_branch .LBB118_3056
.LBB118_3189:
	s_andn2_saveexec_b64 s[10:11], s[10:11]
	s_cbranch_execz .LBB118_3020
.LBB118_3190:
	v_add_f32_e32 v3, 0x42800000, v4
	v_and_b32_e32 v3, 0xff, v3
	v_cmp_ne_u32_e32 vcc, 0, v3
	s_andn2_b64 s[4:5], s[4:5], exec
	s_and_b64 s[12:13], vcc, exec
	s_or_b64 s[4:5], s[4:5], s[12:13]
	s_or_b64 exec, exec, s[10:11]
	v_mov_b32_e32 v5, 0
	s_and_saveexec_b64 s[10:11], s[4:5]
	s_cbranch_execnz .LBB118_3021
	s_branch .LBB118_3022
.LBB118_3191:
	s_andn2_saveexec_b64 s[10:11], s[10:11]
	s_cbranch_execz .LBB118_3127
.LBB118_3192:
	v_add_f32_e32 v2, 0x46000000, v3
	v_and_b32_e32 v2, 0xff, v2
	v_cmp_ne_u32_e32 vcc, 0, v2
	s_andn2_b64 s[8:9], s[8:9], exec
	s_and_b64 s[14:15], vcc, exec
	s_or_b64 s[8:9], s[8:9], s[14:15]
	s_or_b64 exec, exec, s[10:11]
	v_mov_b32_e32 v4, 0
	s_and_saveexec_b64 s[10:11], s[8:9]
	s_cbranch_execnz .LBB118_3128
	s_branch .LBB118_3129
.LBB118_3193:
	s_mov_b64 s[2:3], 0
	s_or_b64 s[18:19], s[18:19], exec
	s_trap 2
	s_branch .LBB118_3173
.LBB118_3194:
	s_andn2_saveexec_b64 s[8:9], s[8:9]
	s_cbranch_execz .LBB118_3139
.LBB118_3195:
	v_add_f32_e32 v2, 0x42800000, v3
	v_and_b32_e32 v2, 0xff, v2
	v_cmp_ne_u32_e32 vcc, 0, v2
	s_andn2_b64 s[4:5], s[4:5], exec
	s_and_b64 s[10:11], vcc, exec
	s_or_b64 s[4:5], s[4:5], s[10:11]
	s_or_b64 exec, exec, s[8:9]
	v_mov_b32_e32 v4, 0
	s_and_saveexec_b64 s[8:9], s[4:5]
	s_cbranch_execnz .LBB118_3140
	s_branch .LBB118_3141
	.section	.rodata,"a",@progbits
	.p2align	6, 0x0
	.amdhsa_kernel _ZN2at6native32elementwise_kernel_manual_unrollILi128ELi4EZNS0_15gpu_kernel_implINS0_13BinaryFunctorIN3c107complexIdEES6_bNS0_12_GLOBAL__N_116CompareEqFunctorIS6_EEEEEEvRNS_18TensorIteratorBaseERKT_EUlibE_EEviT1_
		.amdhsa_group_segment_fixed_size 0
		.amdhsa_private_segment_fixed_size 0
		.amdhsa_kernarg_size 56
		.amdhsa_user_sgpr_count 6
		.amdhsa_user_sgpr_private_segment_buffer 1
		.amdhsa_user_sgpr_dispatch_ptr 0
		.amdhsa_user_sgpr_queue_ptr 0
		.amdhsa_user_sgpr_kernarg_segment_ptr 1
		.amdhsa_user_sgpr_dispatch_id 0
		.amdhsa_user_sgpr_flat_scratch_init 0
		.amdhsa_user_sgpr_private_segment_size 0
		.amdhsa_uses_dynamic_stack 0
		.amdhsa_system_sgpr_private_segment_wavefront_offset 0
		.amdhsa_system_sgpr_workgroup_id_x 1
		.amdhsa_system_sgpr_workgroup_id_y 0
		.amdhsa_system_sgpr_workgroup_id_z 0
		.amdhsa_system_sgpr_workgroup_info 0
		.amdhsa_system_vgpr_workitem_id 0
		.amdhsa_next_free_vgpr 15
		.amdhsa_next_free_sgpr 59
		.amdhsa_reserve_vcc 1
		.amdhsa_reserve_flat_scratch 0
		.amdhsa_float_round_mode_32 0
		.amdhsa_float_round_mode_16_64 0
		.amdhsa_float_denorm_mode_32 3
		.amdhsa_float_denorm_mode_16_64 3
		.amdhsa_dx10_clamp 1
		.amdhsa_ieee_mode 1
		.amdhsa_fp16_overflow 0
		.amdhsa_exception_fp_ieee_invalid_op 0
		.amdhsa_exception_fp_denorm_src 0
		.amdhsa_exception_fp_ieee_div_zero 0
		.amdhsa_exception_fp_ieee_overflow 0
		.amdhsa_exception_fp_ieee_underflow 0
		.amdhsa_exception_fp_ieee_inexact 0
		.amdhsa_exception_int_div_zero 0
	.end_amdhsa_kernel
	.section	.text._ZN2at6native32elementwise_kernel_manual_unrollILi128ELi4EZNS0_15gpu_kernel_implINS0_13BinaryFunctorIN3c107complexIdEES6_bNS0_12_GLOBAL__N_116CompareEqFunctorIS6_EEEEEEvRNS_18TensorIteratorBaseERKT_EUlibE_EEviT1_,"axG",@progbits,_ZN2at6native32elementwise_kernel_manual_unrollILi128ELi4EZNS0_15gpu_kernel_implINS0_13BinaryFunctorIN3c107complexIdEES6_bNS0_12_GLOBAL__N_116CompareEqFunctorIS6_EEEEEEvRNS_18TensorIteratorBaseERKT_EUlibE_EEviT1_,comdat
.Lfunc_end118:
	.size	_ZN2at6native32elementwise_kernel_manual_unrollILi128ELi4EZNS0_15gpu_kernel_implINS0_13BinaryFunctorIN3c107complexIdEES6_bNS0_12_GLOBAL__N_116CompareEqFunctorIS6_EEEEEEvRNS_18TensorIteratorBaseERKT_EUlibE_EEviT1_, .Lfunc_end118-_ZN2at6native32elementwise_kernel_manual_unrollILi128ELi4EZNS0_15gpu_kernel_implINS0_13BinaryFunctorIN3c107complexIdEES6_bNS0_12_GLOBAL__N_116CompareEqFunctorIS6_EEEEEEvRNS_18TensorIteratorBaseERKT_EUlibE_EEviT1_
                                        ; -- End function
	.set _ZN2at6native32elementwise_kernel_manual_unrollILi128ELi4EZNS0_15gpu_kernel_implINS0_13BinaryFunctorIN3c107complexIdEES6_bNS0_12_GLOBAL__N_116CompareEqFunctorIS6_EEEEEEvRNS_18TensorIteratorBaseERKT_EUlibE_EEviT1_.num_vgpr, 15
	.set _ZN2at6native32elementwise_kernel_manual_unrollILi128ELi4EZNS0_15gpu_kernel_implINS0_13BinaryFunctorIN3c107complexIdEES6_bNS0_12_GLOBAL__N_116CompareEqFunctorIS6_EEEEEEvRNS_18TensorIteratorBaseERKT_EUlibE_EEviT1_.num_agpr, 0
	.set _ZN2at6native32elementwise_kernel_manual_unrollILi128ELi4EZNS0_15gpu_kernel_implINS0_13BinaryFunctorIN3c107complexIdEES6_bNS0_12_GLOBAL__N_116CompareEqFunctorIS6_EEEEEEvRNS_18TensorIteratorBaseERKT_EUlibE_EEviT1_.numbered_sgpr, 59
	.set _ZN2at6native32elementwise_kernel_manual_unrollILi128ELi4EZNS0_15gpu_kernel_implINS0_13BinaryFunctorIN3c107complexIdEES6_bNS0_12_GLOBAL__N_116CompareEqFunctorIS6_EEEEEEvRNS_18TensorIteratorBaseERKT_EUlibE_EEviT1_.num_named_barrier, 0
	.set _ZN2at6native32elementwise_kernel_manual_unrollILi128ELi4EZNS0_15gpu_kernel_implINS0_13BinaryFunctorIN3c107complexIdEES6_bNS0_12_GLOBAL__N_116CompareEqFunctorIS6_EEEEEEvRNS_18TensorIteratorBaseERKT_EUlibE_EEviT1_.private_seg_size, 0
	.set _ZN2at6native32elementwise_kernel_manual_unrollILi128ELi4EZNS0_15gpu_kernel_implINS0_13BinaryFunctorIN3c107complexIdEES6_bNS0_12_GLOBAL__N_116CompareEqFunctorIS6_EEEEEEvRNS_18TensorIteratorBaseERKT_EUlibE_EEviT1_.uses_vcc, 1
	.set _ZN2at6native32elementwise_kernel_manual_unrollILi128ELi4EZNS0_15gpu_kernel_implINS0_13BinaryFunctorIN3c107complexIdEES6_bNS0_12_GLOBAL__N_116CompareEqFunctorIS6_EEEEEEvRNS_18TensorIteratorBaseERKT_EUlibE_EEviT1_.uses_flat_scratch, 0
	.set _ZN2at6native32elementwise_kernel_manual_unrollILi128ELi4EZNS0_15gpu_kernel_implINS0_13BinaryFunctorIN3c107complexIdEES6_bNS0_12_GLOBAL__N_116CompareEqFunctorIS6_EEEEEEvRNS_18TensorIteratorBaseERKT_EUlibE_EEviT1_.has_dyn_sized_stack, 0
	.set _ZN2at6native32elementwise_kernel_manual_unrollILi128ELi4EZNS0_15gpu_kernel_implINS0_13BinaryFunctorIN3c107complexIdEES6_bNS0_12_GLOBAL__N_116CompareEqFunctorIS6_EEEEEEvRNS_18TensorIteratorBaseERKT_EUlibE_EEviT1_.has_recursion, 0
	.set _ZN2at6native32elementwise_kernel_manual_unrollILi128ELi4EZNS0_15gpu_kernel_implINS0_13BinaryFunctorIN3c107complexIdEES6_bNS0_12_GLOBAL__N_116CompareEqFunctorIS6_EEEEEEvRNS_18TensorIteratorBaseERKT_EUlibE_EEviT1_.has_indirect_call, 0
	.section	.AMDGPU.csdata,"",@progbits
; Kernel info:
; codeLenInByte = 47784
; TotalNumSgprs: 63
; NumVgprs: 15
; ScratchSize: 0
; MemoryBound: 1
; FloatMode: 240
; IeeeMode: 1
; LDSByteSize: 0 bytes/workgroup (compile time only)
; SGPRBlocks: 7
; VGPRBlocks: 3
; NumSGPRsForWavesPerEU: 63
; NumVGPRsForWavesPerEU: 15
; Occupancy: 10
; WaveLimiterHint : 0
; COMPUTE_PGM_RSRC2:SCRATCH_EN: 0
; COMPUTE_PGM_RSRC2:USER_SGPR: 6
; COMPUTE_PGM_RSRC2:TRAP_HANDLER: 0
; COMPUTE_PGM_RSRC2:TGID_X_EN: 1
; COMPUTE_PGM_RSRC2:TGID_Y_EN: 0
; COMPUTE_PGM_RSRC2:TGID_Z_EN: 0
; COMPUTE_PGM_RSRC2:TIDIG_COMP_CNT: 0
	.section	.text._ZN2at6native32elementwise_kernel_manual_unrollILi128ELi4EZNS0_15gpu_kernel_implINS0_13BinaryFunctorIN3c107complexIdEES6_bNS0_12_GLOBAL__N_116CompareEqFunctorIS6_EEEEEEvRNS_18TensorIteratorBaseERKT_EUlibE0_EEviT1_,"axG",@progbits,_ZN2at6native32elementwise_kernel_manual_unrollILi128ELi4EZNS0_15gpu_kernel_implINS0_13BinaryFunctorIN3c107complexIdEES6_bNS0_12_GLOBAL__N_116CompareEqFunctorIS6_EEEEEEvRNS_18TensorIteratorBaseERKT_EUlibE0_EEviT1_,comdat
	.globl	_ZN2at6native32elementwise_kernel_manual_unrollILi128ELi4EZNS0_15gpu_kernel_implINS0_13BinaryFunctorIN3c107complexIdEES6_bNS0_12_GLOBAL__N_116CompareEqFunctorIS6_EEEEEEvRNS_18TensorIteratorBaseERKT_EUlibE0_EEviT1_ ; -- Begin function _ZN2at6native32elementwise_kernel_manual_unrollILi128ELi4EZNS0_15gpu_kernel_implINS0_13BinaryFunctorIN3c107complexIdEES6_bNS0_12_GLOBAL__N_116CompareEqFunctorIS6_EEEEEEvRNS_18TensorIteratorBaseERKT_EUlibE0_EEviT1_
	.p2align	8
	.type	_ZN2at6native32elementwise_kernel_manual_unrollILi128ELi4EZNS0_15gpu_kernel_implINS0_13BinaryFunctorIN3c107complexIdEES6_bNS0_12_GLOBAL__N_116CompareEqFunctorIS6_EEEEEEvRNS_18TensorIteratorBaseERKT_EUlibE0_EEviT1_,@function
_ZN2at6native32elementwise_kernel_manual_unrollILi128ELi4EZNS0_15gpu_kernel_implINS0_13BinaryFunctorIN3c107complexIdEES6_bNS0_12_GLOBAL__N_116CompareEqFunctorIS6_EEEEEEvRNS_18TensorIteratorBaseERKT_EUlibE0_EEviT1_: ; @_ZN2at6native32elementwise_kernel_manual_unrollILi128ELi4EZNS0_15gpu_kernel_implINS0_13BinaryFunctorIN3c107complexIdEES6_bNS0_12_GLOBAL__N_116CompareEqFunctorIS6_EEEEEEvRNS_18TensorIteratorBaseERKT_EUlibE0_EEviT1_
; %bb.0:
	s_load_dword s70, s[4:5], 0x0
	s_load_dword s33, s[4:5], 0x8
	s_add_u32 s2, s4, 8
	s_addc_u32 s3, s5, 0
	v_lshl_or_b32 v11, s6, 9, v0
	v_or_b32_e32 v2, 0x180, v11
	s_waitcnt lgkmcnt(0)
	s_add_i32 s72, s33, -1
	s_cmp_gt_u32 s72, 1
	v_cmp_le_i32_e32 vcc, s70, v2
	s_cselect_b64 s[24:25], -1, 0
	s_mov_b64 s[6:7], 0
	s_mov_b64 s[12:13], 0
	s_and_saveexec_b64 s[0:1], vcc
	s_xor_b64 s[26:27], exec, s[0:1]
	s_cbranch_execz .LBB119_1646
; %bb.1:
	s_cmp_lg_u32 s33, 0
	s_load_dwordx4 s[16:19], s[2:3], 0x4
	s_load_dwordx2 s[34:35], s[2:3], 0x14
	s_load_dwordx8 s[8:15], s[2:3], 0x188
	s_load_dwordx4 s[20:23], s[2:3], 0xc4
	s_load_dwordx2 s[30:31], s[2:3], 0xd4
	s_cselect_b64 s[38:39], -1, 0
	s_min_u32 s75, s72, 15
	s_cmp_gt_u32 s33, 1
	s_cselect_b64 s[36:37], -1, 0
	s_waitcnt lgkmcnt(0)
	s_lshr_b32 s74, s15, 8
	s_lshr_b32 s73, s15, 16
	s_cmp_lg_u32 s14, 0
	s_cselect_b64 s[28:29], -1, 0
	v_cmp_gt_i32_e32 vcc, s70, v11
	s_mov_b64 s[0:1], -1
	s_mov_b64 s[50:51], 0
	s_mov_b64 s[44:45], 0
	;; [unrolled: 1-line block ×4, first 2 shown]
	s_and_saveexec_b64 s[46:47], vcc
	s_cbranch_execz .LBB119_407
; %bb.2:
	s_andn2_b64 vcc, exec, s[24:25]
	s_cbranch_vccnz .LBB119_8
; %bb.3:
	s_andn2_b64 vcc, exec, s[38:39]
	s_cbranch_vccnz .LBB119_9
; %bb.4:
	s_add_i32 s0, s75, 1
	s_and_b32 s14, s0, 30
	s_add_u32 s0, s2, 0xffffffe8
	s_addc_u32 s1, s3, -1
	v_mov_b32_e32 v4, 0
	v_mov_b32_e32 v0, 0
	;; [unrolled: 1-line block ×4, first 2 shown]
.LBB119_5:                              ; =>This Inner Loop Header: Depth=1
	s_load_dwordx4 s[40:43], s[0:1], 0x1c
	s_load_dwordx2 s[44:45], s[0:1], 0x2c
	s_load_dwordx2 s[48:49], s[0:1], 0xec
	s_load_dwordx4 s[52:55], s[0:1], 0xdc
	s_add_u32 s0, s0, 24
	s_waitcnt lgkmcnt(0)
	v_mul_hi_u32 v2, s41, v1
	s_addc_u32 s1, s1, 0
	s_add_i32 s14, s14, -2
	s_cmp_lg_u32 s14, 0
	v_add_u32_e32 v2, v1, v2
	v_lshrrev_b32_e32 v2, s42, v2
	v_mul_lo_u32 v3, v2, s40
	v_mul_hi_u32 v5, s44, v2
	v_sub_u32_e32 v3, v1, v3
	v_add_u32_e32 v1, v2, v5
	v_lshrrev_b32_e32 v1, s45, v1
	v_mul_lo_u32 v7, v1, s43
	v_mul_lo_u32 v5, v3, s52
	;; [unrolled: 1-line block ×4, first 2 shown]
	v_sub_u32_e32 v2, v2, v7
	v_mul_lo_u32 v7, v2, s55
	v_mul_lo_u32 v9, v2, s48
	;; [unrolled: 1-line block ×3, first 2 shown]
	v_add3_u32 v8, v5, v8, v7
	v_add3_u32 v0, v6, v0, v9
	;; [unrolled: 1-line block ×3, first 2 shown]
	s_cbranch_scc1 .LBB119_5
; %bb.6:
	s_bitcmp1_b32 s75, 0
	s_cselect_b64 s[40:41], -1, 0
	s_and_b64 vcc, exec, s[40:41]
	s_cbranch_vccnz .LBB119_10
; %bb.7:
	s_load_dwordx2 s[40:41], s[0:1], 0x1c
	s_load_dword s14, s[0:1], 0x24
	s_load_dwordx2 s[42:43], s[0:1], 0xdc
	s_waitcnt lgkmcnt(0)
	v_mul_hi_u32 v2, s41, v1
	v_add_u32_e32 v2, v1, v2
	v_lshrrev_b32_e32 v2, s14, v2
	v_mul_lo_u32 v2, v2, s40
	s_load_dword s14, s[0:1], 0xe4
	v_sub_u32_e32 v2, v1, v2
	v_mad_u64_u32 v[8:9], s[0:1], v2, s42, v[8:9]
	v_mad_u64_u32 v[0:1], s[0:1], v2, s43, v[0:1]
	s_waitcnt lgkmcnt(0)
	v_mad_u64_u32 v[4:5], s[0:1], v2, s14, v[4:5]
	s_cbranch_execz .LBB119_11
	s_branch .LBB119_13
.LBB119_8:
                                        ; implicit-def: $vgpr8
                                        ; implicit-def: $vgpr0
                                        ; implicit-def: $vgpr4
	s_andn2_b64 vcc, exec, s[0:1]
	s_cbranch_vccz .LBB119_11
	s_branch .LBB119_13
.LBB119_9:
	v_mov_b32_e32 v8, 0
	v_mov_b32_e32 v0, 0
	;; [unrolled: 1-line block ×3, first 2 shown]
.LBB119_10:
	s_cbranch_execnz .LBB119_13
.LBB119_11:
	v_mul_hi_u32 v0, s17, v11
	s_andn2_b64 vcc, exec, s[36:37]
	v_add_u32_e32 v0, v11, v0
	v_lshrrev_b32_e32 v1, s18, v0
	v_mul_lo_u32 v0, v1, s16
	v_sub_u32_e32 v2, v11, v0
	v_mul_lo_u32 v8, v2, s20
	v_mul_lo_u32 v0, v2, s21
	;; [unrolled: 1-line block ×3, first 2 shown]
	s_cbranch_vccnz .LBB119_13
; %bb.12:
	v_mul_hi_u32 v2, s34, v1
	v_add_u32_e32 v2, v1, v2
	v_lshrrev_b32_e32 v2, s35, v2
	v_mul_lo_u32 v2, v2, s19
	v_sub_u32_e32 v2, v1, v2
	v_mad_u64_u32 v[8:9], s[0:1], v2, s23, v[8:9]
	v_mad_u64_u32 v[0:1], s[0:1], v2, s30, v[0:1]
	;; [unrolled: 1-line block ×3, first 2 shown]
.LBB119_13:
	v_mov_b32_e32 v1, s11
	s_and_b32 s14, s74, 0xff
	v_add_co_u32_e32 v5, vcc, s10, v0
	s_cmp_lt_i32 s14, 11
	v_addc_co_u32_e32 v6, vcc, 0, v1, vcc
	s_cbranch_scc1 .LBB119_20
; %bb.14:
	s_and_b32 s48, 0xffff, s14
	s_cmp_gt_i32 s48, 25
	s_cbranch_scc0 .LBB119_29
; %bb.15:
	s_cmp_gt_i32 s48, 28
	s_cbranch_scc0 .LBB119_42
; %bb.16:
	;; [unrolled: 3-line block ×4, first 2 shown]
	s_cmp_eq_u32 s48, 46
	s_mov_b64 s[40:41], 0
	s_cbranch_scc0 .LBB119_52
; %bb.19:
	global_load_dword v0, v[5:6], off
	s_mov_b64 s[0:1], -1
	s_mov_b64 s[44:45], 0
	s_waitcnt vmcnt(0)
	v_and_b32_e32 v2, 0xffff0000, v0
	v_lshlrev_b32_e32 v0, 16, v0
	v_cvt_f64_f32_e32 v[0:1], v0
	v_cvt_f64_f32_e32 v[2:3], v2
	s_branch .LBB119_54
.LBB119_20:
	s_mov_b64 s[44:45], 0
                                        ; implicit-def: $vgpr2_vgpr3
	s_mov_b64 s[0:1], 0
	s_cbranch_execnz .LBB119_122
.LBB119_21:
	s_andn2_b64 vcc, exec, s[0:1]
	s_cbranch_vccnz .LBB119_171
.LBB119_22:
	v_mov_b32_e32 v5, s13
	s_and_b32 s14, s73, 0xff
	v_add_co_u32_e32 v9, vcc, s12, v4
	s_cmp_lt_i32 s14, 11
	v_addc_co_u32_e32 v10, vcc, 0, v5, vcc
	s_cbranch_scc1 .LBB119_30
; %bb.23:
	s_and_b32 s52, 0xffff, s14
	s_cmp_gt_i32 s52, 25
	s_cbranch_scc0 .LBB119_43
; %bb.24:
	s_cmp_gt_i32 s52, 28
	s_cbranch_scc0 .LBB119_47
; %bb.25:
	;; [unrolled: 3-line block ×4, first 2 shown]
	s_cmp_eq_u32 s52, 46
	s_mov_b64 s[40:41], 0
	s_cbranch_scc0 .LBB119_172
; %bb.28:
	global_load_dword v4, v[9:10], off
	s_mov_b64 s[0:1], -1
	s_mov_b64 s[42:43], 0
	s_waitcnt vmcnt(0)
	v_and_b32_e32 v6, 0xffff0000, v4
	v_lshlrev_b32_e32 v4, 16, v4
	v_cvt_f64_f32_e32 v[4:5], v4
	v_cvt_f64_f32_e32 v[6:7], v6
	s_branch .LBB119_174
.LBB119_29:
	s_mov_b64 s[44:45], 0
	s_mov_b64 s[0:1], 0
                                        ; implicit-def: $vgpr2_vgpr3
	s_cbranch_execnz .LBB119_89
	s_branch .LBB119_121
.LBB119_30:
	s_mov_b64 s[42:43], 0
                                        ; implicit-def: $vgpr6_vgpr7
	s_mov_b64 s[0:1], 0
	s_cbranch_execnz .LBB119_354
.LBB119_31:
	s_andn2_b64 vcc, exec, s[0:1]
	s_cbranch_vccnz .LBB119_404
.LBB119_32:
	s_and_b64 vcc, exec, s[28:29]
	s_cbranch_vccz .LBB119_45
; %bb.33:
	s_waitcnt vmcnt(0)
	v_cmp_neq_f64_e32 vcc, v[0:1], v[4:5]
	v_cmp_neq_f64_e64 s[0:1], v[2:3], v[6:7]
	s_or_b64 s[40:41], vcc, s[0:1]
	s_cbranch_execnz .LBB119_35
.LBB119_34:
	s_waitcnt vmcnt(0)
	v_cmp_eq_f64_e32 vcc, v[0:1], v[4:5]
	v_cmp_eq_f64_e64 s[0:1], v[2:3], v[6:7]
	s_andn2_b64 s[40:41], s[40:41], exec
	s_and_b64 s[0:1], vcc, s[0:1]
	s_and_b64 s[0:1], s[0:1], exec
	s_or_b64 s[40:41], s[40:41], s[0:1]
.LBB119_35:
	s_waitcnt vmcnt(0)
	v_mov_b32_e32 v1, s9
	s_and_b32 s14, s15, 0xff
	v_add_co_u32_e32 v0, vcc, s8, v8
	s_cmp_lt_i32 s14, 11
	v_addc_co_u32_e32 v1, vcc, 0, v1, vcc
	s_cbranch_scc1 .LBB119_44
; %bb.36:
	s_and_b32 s56, 0xffff, s14
	s_cmp_gt_i32 s56, 25
	s_cbranch_scc0 .LBB119_48
; %bb.37:
	s_cmp_gt_i32 s56, 28
	s_cbranch_scc0 .LBB119_51
; %bb.38:
	;; [unrolled: 3-line block ×4, first 2 shown]
	s_mov_b64 s[52:53], 0
	s_mov_b64 s[0:1], -1
	s_cmp_eq_u32 s56, 46
	s_mov_b64 s[48:49], 0
	s_cbranch_scc0 .LBB119_178
; %bb.41:
	v_cndmask_b32_e64 v2, 0, 1.0, s[40:41]
	v_bfe_u32 v3, v2, 16, 1
	s_movk_i32 s0, 0x7fff
	v_add3_u32 v2, v2, v3, s0
	v_lshrrev_b32_e32 v2, 16, v2
	global_store_dword v[0:1], v2, off
	s_mov_b64 s[48:49], -1
	s_mov_b64 s[0:1], 0
	s_branch .LBB119_178
.LBB119_42:
	s_mov_b64 s[40:41], -1
	s_mov_b64 s[44:45], 0
	s_mov_b64 s[0:1], 0
                                        ; implicit-def: $vgpr2_vgpr3
	s_branch .LBB119_68
.LBB119_43:
	s_mov_b64 s[40:41], -1
	s_mov_b64 s[42:43], 0
	s_mov_b64 s[0:1], 0
                                        ; implicit-def: $vgpr6_vgpr7
	s_branch .LBB119_319
.LBB119_44:
	s_mov_b64 s[52:53], -1
	s_mov_b64 s[0:1], 0
	s_mov_b64 s[48:49], 0
	s_branch .LBB119_247
.LBB119_45:
                                        ; implicit-def: $sgpr40_sgpr41
	s_branch .LBB119_34
.LBB119_46:
	s_mov_b64 s[40:41], -1
	s_mov_b64 s[44:45], 0
	s_mov_b64 s[0:1], 0
                                        ; implicit-def: $vgpr2_vgpr3
	s_branch .LBB119_62
.LBB119_47:
	s_mov_b64 s[40:41], -1
	s_mov_b64 s[42:43], 0
	s_mov_b64 s[0:1], 0
                                        ; implicit-def: $vgpr6_vgpr7
	s_branch .LBB119_298
.LBB119_48:
	s_mov_b64 s[52:53], -1
	s_mov_b64 s[0:1], 0
	s_mov_b64 s[48:49], 0
	s_branch .LBB119_205
.LBB119_49:
	s_mov_b64 s[40:41], -1
	s_mov_b64 s[44:45], 0
	s_branch .LBB119_53
.LBB119_50:
	s_mov_b64 s[40:41], -1
	s_mov_b64 s[42:43], 0
	s_mov_b64 s[0:1], 0
                                        ; implicit-def: $vgpr6_vgpr7
	s_branch .LBB119_292
.LBB119_51:
	s_mov_b64 s[52:53], -1
	s_mov_b64 s[0:1], 0
	s_mov_b64 s[48:49], 0
	s_branch .LBB119_188
.LBB119_52:
	s_mov_b64 s[44:45], -1
.LBB119_53:
	s_mov_b64 s[0:1], 0
                                        ; implicit-def: $vgpr2_vgpr3
.LBB119_54:
	s_and_b64 vcc, exec, s[40:41]
	s_cbranch_vccz .LBB119_61
; %bb.55:
	s_cmp_eq_u32 s48, 44
	s_cbranch_scc0 .LBB119_59
; %bb.56:
	global_load_ubyte v2, v[5:6], off
	s_movk_i32 s40, 0xff
	v_bfrev_b32_e32 v3, 4
	v_mov_b32_e32 v7, 0x7ff80000
	v_bfrev_b32_e32 v9, 28
	s_mov_b64 s[0:1], -1
	s_mov_b64 s[44:45], 0
	s_waitcnt vmcnt(0)
	v_lshlrev_b32_e32 v0, 23, v2
	v_cvt_f64_f32_e32 v[0:1], v0
	v_cmp_ne_u32_e32 vcc, s40, v2
	v_cndmask_b32_e32 v0, v3, v0, vcc
	v_cndmask_b32_e32 v1, v7, v1, vcc
	v_cmp_ne_u32_e32 vcc, 0, v2
	v_cndmask_b32_e32 v1, v9, v1, vcc
	v_cndmask_b32_e32 v0, 0, v0, vcc
	s_branch .LBB119_60
.LBB119_57:
	s_mov_b64 s[40:41], -1
	s_mov_b64 s[42:43], 0
	s_branch .LBB119_173
.LBB119_58:
	s_mov_b64 s[52:53], -1
	s_mov_b64 s[0:1], 0
	s_mov_b64 s[48:49], 0
	s_branch .LBB119_184
.LBB119_59:
	s_mov_b64 s[44:45], -1
                                        ; implicit-def: $vgpr0_vgpr1
.LBB119_60:
	v_mov_b32_e32 v2, 0
	v_mov_b32_e32 v3, 0
.LBB119_61:
	s_mov_b64 s[40:41], 0
.LBB119_62:
	s_and_b64 vcc, exec, s[40:41]
	s_cbranch_vccz .LBB119_67
; %bb.63:
	s_cmp_eq_u32 s48, 29
	s_cbranch_scc0 .LBB119_65
; %bb.64:
	global_load_dwordx2 v[0:1], v[5:6], off
	s_mov_b64 s[0:1], -1
	s_mov_b64 s[44:45], 0
	s_waitcnt vmcnt(0)
	v_cvt_f64_u32_e32 v[1:2], v1
	v_cvt_f64_u32_e32 v[9:10], v0
	v_ldexp_f64 v[1:2], v[1:2], 32
	v_add_f64 v[0:1], v[1:2], v[9:10]
	s_branch .LBB119_66
.LBB119_65:
	s_mov_b64 s[44:45], -1
                                        ; implicit-def: $vgpr0_vgpr1
.LBB119_66:
	v_mov_b32_e32 v2, 0
	v_mov_b32_e32 v3, 0
.LBB119_67:
	s_mov_b64 s[40:41], 0
.LBB119_68:
	s_and_b64 vcc, exec, s[40:41]
	s_cbranch_vccz .LBB119_88
; %bb.69:
	s_cmp_lt_i32 s48, 27
	s_cbranch_scc1 .LBB119_72
; %bb.70:
	s_cmp_gt_i32 s48, 27
	s_cbranch_scc0 .LBB119_73
; %bb.71:
	global_load_dword v0, v[5:6], off
	s_mov_b64 s[0:1], 0
	s_waitcnt vmcnt(0)
	v_cvt_f64_u32_e32 v[0:1], v0
	s_branch .LBB119_74
.LBB119_72:
	s_mov_b64 s[0:1], -1
                                        ; implicit-def: $vgpr0_vgpr1
	s_branch .LBB119_77
.LBB119_73:
	s_mov_b64 s[0:1], -1
                                        ; implicit-def: $vgpr0_vgpr1
.LBB119_74:
	s_andn2_b64 vcc, exec, s[0:1]
	s_cbranch_vccnz .LBB119_76
; %bb.75:
	global_load_ushort v0, v[5:6], off
	s_waitcnt vmcnt(0)
	v_cvt_f64_u32_e32 v[0:1], v0
.LBB119_76:
	s_mov_b64 s[0:1], 0
.LBB119_77:
	s_andn2_b64 vcc, exec, s[0:1]
	s_cbranch_vccnz .LBB119_87
; %bb.78:
	global_load_ubyte v2, v[5:6], off
	s_movk_i32 s0, 0x7f
	s_waitcnt vmcnt(0)
	v_cmp_lt_i16_e32 vcc, s0, v2
	s_mov_b64 s[0:1], 0
	s_and_saveexec_b64 s[40:41], vcc
	s_xor_b64 s[40:41], exec, s[40:41]
	s_cbranch_execz .LBB119_82
; %bb.79:
	s_movk_i32 s0, 0x80
	v_cmp_eq_u16_e32 vcc, s0, v2
	s_mov_b64 s[0:1], -1
	s_and_saveexec_b64 s[42:43], vcc
; %bb.80:
	s_xor_b64 s[0:1], exec, -1
; %bb.81:
	s_or_b64 exec, exec, s[42:43]
	s_and_b64 s[0:1], s[0:1], exec
.LBB119_82:
	s_or_saveexec_b64 s[40:41], s[40:41]
	v_bfrev_b32_e32 v0, 4
	v_mov_b32_e32 v1, 0x7ff80000
	s_xor_b64 exec, exec, s[40:41]
; %bb.83:
	v_cmp_ne_u16_e32 vcc, 0, v2
	v_mov_b32_e32 v0, 0
	s_andn2_b64 s[0:1], s[0:1], exec
	s_and_b64 s[42:43], vcc, exec
	v_mov_b32_e32 v1, 0
	s_or_b64 s[0:1], s[0:1], s[42:43]
; %bb.84:
	s_or_b64 exec, exec, s[40:41]
	s_and_saveexec_b64 s[40:41], s[0:1]
	s_cbranch_execz .LBB119_86
; %bb.85:
	v_and_b32_e32 v1, 0xffff, v2
	v_lshlrev_b32_e32 v0, 24, v2
	v_and_b32_e32 v2, 7, v1
	v_ffbh_u32_e32 v7, v2
	v_min_u32_e32 v7, 32, v7
	v_subrev_u32_e32 v9, 28, v7
	v_bfe_u32 v3, v1, 3, 4
	v_lshlrev_b32_e32 v1, v9, v1
	v_sub_u32_e32 v7, 29, v7
	v_and_b32_e32 v1, 7, v1
	v_cmp_eq_u32_e32 vcc, 0, v3
	v_cndmask_b32_e32 v3, v3, v7, vcc
	v_cndmask_b32_e32 v1, v2, v1, vcc
	v_mov_b32_e32 v2, 0x3b800000
	v_lshlrev_b32_e32 v1, 20, v1
	v_and_b32_e32 v0, 0x80000000, v0
	v_lshl_add_u32 v2, v3, 23, v2
	v_or3_b32 v0, v0, v2, v1
	v_cvt_f64_f32_e32 v[0:1], v0
.LBB119_86:
	s_or_b64 exec, exec, s[40:41]
.LBB119_87:
	v_mov_b32_e32 v2, 0
	v_mov_b32_e32 v3, 0
	s_mov_b64 s[0:1], -1
.LBB119_88:
	s_branch .LBB119_121
.LBB119_89:
	s_cmp_gt_i32 s48, 22
	s_cbranch_scc0 .LBB119_101
; %bb.90:
	s_cmp_lt_i32 s48, 24
	s_cbranch_scc1 .LBB119_102
; %bb.91:
	s_cmp_gt_i32 s48, 24
	s_cbranch_scc0 .LBB119_103
; %bb.92:
	global_load_ubyte v2, v[5:6], off
	s_movk_i32 s0, 0x7f
	s_waitcnt vmcnt(0)
	v_cmp_lt_i16_e32 vcc, s0, v2
	s_mov_b64 s[0:1], 0
	s_and_saveexec_b64 s[40:41], vcc
	s_xor_b64 s[40:41], exec, s[40:41]
	s_cbranch_execz .LBB119_96
; %bb.93:
	s_movk_i32 s0, 0x80
	v_cmp_eq_u16_e32 vcc, s0, v2
	s_mov_b64 s[0:1], -1
	s_and_saveexec_b64 s[42:43], vcc
; %bb.94:
	s_xor_b64 s[0:1], exec, -1
; %bb.95:
	s_or_b64 exec, exec, s[42:43]
	s_and_b64 s[0:1], s[0:1], exec
.LBB119_96:
	s_or_saveexec_b64 s[40:41], s[40:41]
	v_bfrev_b32_e32 v0, 4
	v_mov_b32_e32 v1, 0x7ff80000
	s_xor_b64 exec, exec, s[40:41]
; %bb.97:
	v_cmp_ne_u16_e32 vcc, 0, v2
	v_mov_b32_e32 v0, 0
	s_andn2_b64 s[0:1], s[0:1], exec
	s_and_b64 s[42:43], vcc, exec
	v_mov_b32_e32 v1, 0
	s_or_b64 s[0:1], s[0:1], s[42:43]
; %bb.98:
	s_or_b64 exec, exec, s[40:41]
	s_and_saveexec_b64 s[40:41], s[0:1]
	s_cbranch_execz .LBB119_100
; %bb.99:
	v_and_b32_e32 v1, 0xffff, v2
	v_lshlrev_b32_e32 v0, 24, v2
	v_and_b32_e32 v2, 3, v1
	v_ffbh_u32_e32 v7, v2
	v_min_u32_e32 v7, 32, v7
	v_subrev_u32_e32 v9, 29, v7
	v_bfe_u32 v3, v1, 2, 5
	v_lshlrev_b32_e32 v1, v9, v1
	v_sub_u32_e32 v7, 30, v7
	v_and_b32_e32 v1, 3, v1
	v_cmp_eq_u32_e32 vcc, 0, v3
	v_cndmask_b32_e32 v3, v3, v7, vcc
	v_cndmask_b32_e32 v1, v2, v1, vcc
	v_mov_b32_e32 v2, 0x37800000
	v_lshlrev_b32_e32 v1, 21, v1
	v_and_b32_e32 v0, 0x80000000, v0
	v_lshl_add_u32 v2, v3, 23, v2
	v_or3_b32 v0, v0, v2, v1
	v_cvt_f64_f32_e32 v[0:1], v0
.LBB119_100:
	s_or_b64 exec, exec, s[40:41]
	s_mov_b64 s[0:1], 0
	s_branch .LBB119_104
.LBB119_101:
                                        ; implicit-def: $vgpr0_vgpr1
	s_branch .LBB119_110
.LBB119_102:
	s_mov_b64 s[0:1], -1
                                        ; implicit-def: $vgpr0_vgpr1
	s_branch .LBB119_107
.LBB119_103:
	s_mov_b64 s[0:1], -1
                                        ; implicit-def: $vgpr0_vgpr1
.LBB119_104:
	s_and_b64 vcc, exec, s[0:1]
	s_cbranch_vccz .LBB119_106
; %bb.105:
	global_load_ubyte v0, v[5:6], off
	s_mov_b32 s0, 0x7f800000
	s_waitcnt vmcnt(0)
	v_lshlrev_b32_e32 v0, 24, v0
	v_and_b32_e32 v1, 0x7f000000, v0
	v_ffbh_u32_e32 v2, v1
	v_min_u32_e32 v2, 32, v2
	v_sub_u32_e64 v2, v2, 4 clamp
	v_lshlrev_b32_e32 v7, v2, v1
	v_lshlrev_b32_e32 v2, 23, v2
	v_lshrrev_b32_e32 v7, 4, v7
	v_add_u32_e32 v3, 0x1000000, v1
	v_sub_u32_e32 v2, v7, v2
	v_ashrrev_i32_e32 v3, 8, v3
	v_add_u32_e32 v2, 0x3c000000, v2
	v_and_or_b32 v2, v3, s0, v2
	v_cmp_ne_u32_e32 vcc, 0, v1
	v_cndmask_b32_e32 v1, 0, v2, vcc
	s_brev_b32 s0, 1
	v_and_or_b32 v0, v0, s0, v1
	v_cvt_f64_f32_e32 v[0:1], v0
.LBB119_106:
	s_mov_b64 s[0:1], 0
.LBB119_107:
	s_andn2_b64 vcc, exec, s[0:1]
	s_cbranch_vccnz .LBB119_109
; %bb.108:
	global_load_ubyte v0, v[5:6], off
	s_movk_i32 s0, 0x7f00
	s_brev_b32 s1, 16
	s_waitcnt vmcnt(0)
	v_lshlrev_b16_e32 v1, 8, v0
	v_lshlrev_b32_e32 v0, 25, v0
	v_lshrrev_b32_e32 v2, 4, v0
	v_and_or_b32 v3, v1, s0, 0.5
	v_or_b32_e32 v2, 0x70000000, v2
	v_add_f32_e32 v3, -0.5, v3
	v_mul_f32_e32 v2, 0x7800000, v2
	v_cmp_gt_u32_e32 vcc, s1, v0
	v_bfe_i32 v1, v1, 0, 16
	v_cndmask_b32_e32 v0, v2, v3, vcc
	s_brev_b32 s0, 1
	v_and_or_b32 v0, v1, s0, v0
	v_cvt_f64_f32_e32 v[0:1], v0
.LBB119_109:
	s_mov_b64 s[0:1], -1
	s_cbranch_execnz .LBB119_120
.LBB119_110:
	s_cmp_gt_i32 s48, 14
	s_cbranch_scc0 .LBB119_113
; %bb.111:
	s_cmp_eq_u32 s48, 15
	s_cbranch_scc0 .LBB119_114
; %bb.112:
	global_load_ushort v0, v[5:6], off
	s_mov_b64 s[0:1], -1
	s_mov_b64 s[44:45], 0
	s_waitcnt vmcnt(0)
	v_lshlrev_b32_e32 v0, 16, v0
	v_cvt_f64_f32_e32 v[0:1], v0
	s_branch .LBB119_115
.LBB119_113:
	s_mov_b64 s[40:41], -1
                                        ; implicit-def: $vgpr0_vgpr1
	s_branch .LBB119_116
.LBB119_114:
	s_mov_b64 s[44:45], -1
                                        ; implicit-def: $vgpr0_vgpr1
.LBB119_115:
	s_mov_b64 s[40:41], 0
.LBB119_116:
	s_and_b64 vcc, exec, s[40:41]
	s_cbranch_vccz .LBB119_120
; %bb.117:
	s_cmp_eq_u32 s48, 11
	s_cbranch_scc0 .LBB119_119
; %bb.118:
	global_load_ubyte v1, v[5:6], off
	v_mov_b32_e32 v2, 0x3ff00000
	v_mov_b32_e32 v0, 0
	s_mov_b64 s[0:1], -1
	s_mov_b64 s[44:45], 0
	s_waitcnt vmcnt(0)
	v_cmp_ne_u16_e32 vcc, 0, v1
	v_cndmask_b32_e32 v1, 0, v2, vcc
	s_branch .LBB119_120
.LBB119_119:
	s_mov_b64 s[44:45], -1
                                        ; implicit-def: $vgpr0_vgpr1
.LBB119_120:
	v_mov_b32_e32 v2, 0
	v_mov_b32_e32 v3, 0
.LBB119_121:
	s_branch .LBB119_21
.LBB119_122:
	s_and_b32 s14, 0xffff, s14
	s_cmp_lt_i32 s14, 5
	s_cbranch_scc1 .LBB119_127
; %bb.123:
	s_cmp_lt_i32 s14, 8
	s_cbranch_scc1 .LBB119_128
; %bb.124:
	s_cmp_lt_i32 s14, 9
	s_cbranch_scc1 .LBB119_129
; %bb.125:
	s_cmp_gt_i32 s14, 9
	s_cbranch_scc0 .LBB119_130
; %bb.126:
	global_load_dwordx4 v[0:3], v[5:6], off
	s_mov_b64 s[0:1], 0
	s_branch .LBB119_131
.LBB119_127:
                                        ; implicit-def: $vgpr2_vgpr3
	s_branch .LBB119_150
.LBB119_128:
	s_mov_b64 s[0:1], -1
                                        ; implicit-def: $vgpr2_vgpr3
	s_branch .LBB119_137
.LBB119_129:
	s_mov_b64 s[0:1], -1
                                        ; implicit-def: $vgpr2_vgpr3
	s_branch .LBB119_134
.LBB119_130:
	s_mov_b64 s[0:1], -1
                                        ; implicit-def: $vgpr2_vgpr3
.LBB119_131:
	s_andn2_b64 vcc, exec, s[0:1]
	s_cbranch_vccnz .LBB119_133
; %bb.132:
	global_load_dwordx2 v[1:2], v[5:6], off
	s_waitcnt vmcnt(0)
	v_cvt_f64_f32_e32 v[0:1], v1
	v_cvt_f64_f32_e32 v[2:3], v2
.LBB119_133:
	s_mov_b64 s[0:1], 0
.LBB119_134:
	s_andn2_b64 vcc, exec, s[0:1]
	s_cbranch_vccnz .LBB119_136
; %bb.135:
	global_load_dword v0, v[5:6], off
	s_waitcnt vmcnt(0)
	v_cvt_f32_f16_e32 v1, v0
	v_cvt_f32_f16_sdwa v2, v0 dst_sel:DWORD dst_unused:UNUSED_PAD src0_sel:WORD_1
	v_cvt_f64_f32_e32 v[0:1], v1
	v_cvt_f64_f32_e32 v[2:3], v2
.LBB119_136:
	s_mov_b64 s[0:1], 0
.LBB119_137:
	s_andn2_b64 vcc, exec, s[0:1]
	s_cbranch_vccnz .LBB119_149
; %bb.138:
	s_cmp_lt_i32 s14, 6
	s_cbranch_scc1 .LBB119_141
; %bb.139:
	s_cmp_gt_i32 s14, 6
	s_cbranch_scc0 .LBB119_142
; %bb.140:
	global_load_dwordx2 v[0:1], v[5:6], off
	s_mov_b64 s[0:1], 0
	s_branch .LBB119_143
.LBB119_141:
	s_mov_b64 s[0:1], -1
                                        ; implicit-def: $vgpr0_vgpr1
	s_branch .LBB119_146
.LBB119_142:
	s_mov_b64 s[0:1], -1
                                        ; implicit-def: $vgpr0_vgpr1
.LBB119_143:
	s_andn2_b64 vcc, exec, s[0:1]
	s_cbranch_vccnz .LBB119_145
; %bb.144:
	global_load_dword v0, v[5:6], off
	s_waitcnt vmcnt(0)
	v_cvt_f64_f32_e32 v[0:1], v0
.LBB119_145:
	s_mov_b64 s[0:1], 0
.LBB119_146:
	s_andn2_b64 vcc, exec, s[0:1]
	s_cbranch_vccnz .LBB119_148
; %bb.147:
	global_load_ushort v0, v[5:6], off
	s_waitcnt vmcnt(0)
	v_cvt_f32_f16_e32 v0, v0
	v_cvt_f64_f32_e32 v[0:1], v0
.LBB119_148:
	s_waitcnt vmcnt(0)
	v_mov_b32_e32 v2, 0
	v_mov_b32_e32 v3, 0
.LBB119_149:
	s_cbranch_execnz .LBB119_170
.LBB119_150:
	s_cmp_lt_i32 s14, 2
	s_cbranch_scc1 .LBB119_154
; %bb.151:
	s_cmp_lt_i32 s14, 3
	s_cbranch_scc1 .LBB119_155
; %bb.152:
	s_cmp_gt_i32 s14, 3
	s_cbranch_scc0 .LBB119_156
; %bb.153:
	global_load_dwordx2 v[0:1], v[5:6], off
	s_mov_b64 s[0:1], 0
	s_waitcnt vmcnt(0)
	v_cvt_f64_i32_e32 v[1:2], v1
	v_cvt_f64_u32_e32 v[9:10], v0
	v_ldexp_f64 v[1:2], v[1:2], 32
	v_add_f64 v[0:1], v[1:2], v[9:10]
	s_branch .LBB119_157
.LBB119_154:
	s_mov_b64 s[0:1], -1
                                        ; implicit-def: $vgpr0_vgpr1
	s_branch .LBB119_163
.LBB119_155:
	s_mov_b64 s[0:1], -1
                                        ; implicit-def: $vgpr0_vgpr1
	s_branch .LBB119_160
.LBB119_156:
	s_mov_b64 s[0:1], -1
                                        ; implicit-def: $vgpr0_vgpr1
.LBB119_157:
	s_andn2_b64 vcc, exec, s[0:1]
	s_cbranch_vccnz .LBB119_159
; %bb.158:
	global_load_dword v0, v[5:6], off
	s_waitcnt vmcnt(0)
	v_cvt_f64_i32_e32 v[0:1], v0
.LBB119_159:
	s_mov_b64 s[0:1], 0
.LBB119_160:
	s_andn2_b64 vcc, exec, s[0:1]
	s_cbranch_vccnz .LBB119_162
; %bb.161:
	global_load_sshort v0, v[5:6], off
	s_waitcnt vmcnt(0)
	v_cvt_f64_i32_e32 v[0:1], v0
.LBB119_162:
	s_mov_b64 s[0:1], 0
.LBB119_163:
	s_andn2_b64 vcc, exec, s[0:1]
	s_cbranch_vccnz .LBB119_169
; %bb.164:
	s_cmp_gt_i32 s14, 0
	s_cbranch_scc0 .LBB119_166
; %bb.165:
	global_load_sbyte v0, v[5:6], off
	s_mov_b64 s[0:1], 0
	s_waitcnt vmcnt(0)
	v_cvt_f64_i32_e32 v[0:1], v0
	s_branch .LBB119_167
.LBB119_166:
	s_mov_b64 s[0:1], -1
                                        ; implicit-def: $vgpr0_vgpr1
.LBB119_167:
	s_andn2_b64 vcc, exec, s[0:1]
	s_cbranch_vccnz .LBB119_169
; %bb.168:
	global_load_ubyte v0, v[5:6], off
	s_waitcnt vmcnt(0)
	v_cvt_f64_u32_e32 v[0:1], v0
.LBB119_169:
	s_waitcnt vmcnt(0)
	v_mov_b32_e32 v2, 0
	v_mov_b32_e32 v3, 0
.LBB119_170:
	s_branch .LBB119_22
.LBB119_171:
	s_mov_b64 s[0:1], 0
	s_mov_b64 s[42:43], 0
	s_branch .LBB119_405
.LBB119_172:
	s_mov_b64 s[42:43], -1
.LBB119_173:
	s_mov_b64 s[0:1], 0
                                        ; implicit-def: $vgpr6_vgpr7
.LBB119_174:
	s_and_b64 vcc, exec, s[40:41]
	s_cbranch_vccz .LBB119_291
; %bb.175:
	s_cmp_eq_u32 s52, 44
	s_cbranch_scc0 .LBB119_289
; %bb.176:
	global_load_ubyte v6, v[9:10], off
	s_movk_i32 s40, 0xff
	v_bfrev_b32_e32 v7, 4
	v_mov_b32_e32 v12, 0x7ff80000
	v_bfrev_b32_e32 v13, 28
	s_mov_b64 s[0:1], -1
	s_mov_b64 s[42:43], 0
	s_waitcnt vmcnt(0)
	v_lshlrev_b32_e32 v4, 23, v6
	v_cvt_f64_f32_e32 v[4:5], v4
	v_cmp_ne_u32_e32 vcc, s40, v6
	v_cndmask_b32_e32 v4, v7, v4, vcc
	v_cndmask_b32_e32 v5, v12, v5, vcc
	v_cmp_ne_u32_e32 vcc, 0, v6
	v_cndmask_b32_e32 v5, v13, v5, vcc
	v_cndmask_b32_e32 v4, 0, v4, vcc
	s_branch .LBB119_290
.LBB119_177:
	s_mov_b64 s[52:53], -1
	s_mov_b64 s[0:1], 0
	s_mov_b64 s[48:49], 0
.LBB119_178:
	s_and_b64 vcc, exec, s[52:53]
	s_cbranch_vccz .LBB119_183
; %bb.179:
	s_cmp_eq_u32 s56, 44
	s_mov_b64 s[0:1], -1
	s_cbranch_scc0 .LBB119_183
; %bb.180:
	v_cndmask_b32_e64 v3, 0, 1.0, s[40:41]
	v_lshrrev_b32_e32 v2, 23, v3
	s_movk_i32 s0, 0xff
	v_cmp_ne_u32_e32 vcc, s0, v2
	v_mov_b32_e32 v4, 0xff
	s_and_saveexec_b64 s[48:49], vcc
; %bb.181:
	s_mov_b32 s0, 0x3fffff
	v_and_b32_e32 v4, 0x400000, v3
	v_and_or_b32 v3, v3, s0, v2
	v_cmp_ne_u32_e32 vcc, 0, v4
	v_cmp_ne_u32_e64 s[0:1], 0, v3
	s_and_b64 s[0:1], vcc, s[0:1]
	v_cndmask_b32_e64 v3, 0, 1, s[0:1]
	v_add_u32_e32 v4, v2, v3
; %bb.182:
	s_or_b64 exec, exec, s[48:49]
	s_mov_b64 s[48:49], -1
	s_mov_b64 s[0:1], 0
	global_store_byte v[0:1], v4, off
.LBB119_183:
	s_mov_b64 s[52:53], 0
.LBB119_184:
	s_and_b64 vcc, exec, s[52:53]
	s_cbranch_vccz .LBB119_187
; %bb.185:
	s_cmp_eq_u32 s56, 29
	s_mov_b64 s[0:1], -1
	s_cbranch_scc0 .LBB119_187
; %bb.186:
	s_mov_b32 s0, 0
	v_cndmask_b32_e64 v2, 0, 1, s[40:41]
	v_mov_b32_e32 v3, s0
	global_store_dwordx2 v[0:1], v[2:3], off
	s_mov_b64 s[48:49], -1
	s_mov_b64 s[0:1], 0
.LBB119_187:
	s_mov_b64 s[52:53], 0
.LBB119_188:
	s_and_b64 vcc, exec, s[52:53]
	s_cbranch_vccz .LBB119_204
; %bb.189:
	s_cmp_lt_i32 s56, 27
	s_mov_b64 s[48:49], -1
	s_cbranch_scc1 .LBB119_195
; %bb.190:
	s_cmp_gt_i32 s56, 27
	s_cbranch_scc0 .LBB119_192
; %bb.191:
	v_cndmask_b32_e64 v2, 0, 1, s[40:41]
	s_mov_b64 s[48:49], 0
	global_store_dword v[0:1], v2, off
.LBB119_192:
	s_andn2_b64 vcc, exec, s[48:49]
	s_cbranch_vccnz .LBB119_194
; %bb.193:
	v_cndmask_b32_e64 v2, 0, 1, s[40:41]
	global_store_short v[0:1], v2, off
.LBB119_194:
	s_mov_b64 s[48:49], 0
.LBB119_195:
	s_andn2_b64 vcc, exec, s[48:49]
	s_cbranch_vccnz .LBB119_203
; %bb.196:
	v_cndmask_b32_e64 v3, 0, 1.0, s[40:41]
	s_mov_b32 s48, 0x43800000
	v_cmp_gt_u32_e32 vcc, s48, v3
	v_mov_b32_e32 v4, 0x80
	s_and_saveexec_b64 s[48:49], vcc
	s_cbranch_execz .LBB119_202
; %bb.197:
	s_mov_b32 s52, 0x3bffffff
	v_cmp_lt_u32_e32 vcc, s52, v3
	s_mov_b64 s[52:53], 0
                                        ; implicit-def: $vgpr2
	s_and_saveexec_b64 s[54:55], vcc
	s_xor_b64 s[54:55], exec, s[54:55]
	s_cbranch_execz .LBB119_447
; %bb.198:
	v_bfe_u32 v2, v3, 20, 1
	s_mov_b32 s57, 0x487ffff
	v_add3_u32 v2, v3, v2, s57
	s_mov_b64 s[52:53], exec
	v_lshrrev_b32_e32 v2, 20, v2
                                        ; implicit-def: $vgpr3
	s_andn2_saveexec_b64 s[54:55], s[54:55]
	s_cbranch_execnz .LBB119_448
.LBB119_199:
	s_or_b64 exec, exec, s[54:55]
	v_mov_b32_e32 v4, 0
	s_and_saveexec_b64 s[54:55], s[52:53]
.LBB119_200:
	v_mov_b32_e32 v4, v2
.LBB119_201:
	s_or_b64 exec, exec, s[54:55]
.LBB119_202:
	s_or_b64 exec, exec, s[48:49]
	global_store_byte v[0:1], v4, off
.LBB119_203:
	s_mov_b64 s[48:49], -1
.LBB119_204:
	s_mov_b64 s[52:53], 0
.LBB119_205:
	s_and_b64 vcc, exec, s[52:53]
	s_cbranch_vccz .LBB119_246
; %bb.206:
	s_cmp_gt_i32 s56, 22
	s_mov_b64 s[52:53], -1
	s_cbranch_scc0 .LBB119_238
; %bb.207:
	s_cmp_lt_i32 s56, 24
	s_mov_b64 s[48:49], -1
	s_cbranch_scc1 .LBB119_227
; %bb.208:
	s_cmp_gt_i32 s56, 24
	s_cbranch_scc0 .LBB119_216
; %bb.209:
	v_cndmask_b32_e64 v3, 0, 1.0, s[40:41]
	s_mov_b32 s48, 0x47800000
	v_cmp_gt_u32_e32 vcc, s48, v3
	v_mov_b32_e32 v4, 0x80
	s_and_saveexec_b64 s[48:49], vcc
	s_cbranch_execz .LBB119_215
; %bb.210:
	s_mov_b32 s52, 0x37ffffff
	v_cmp_lt_u32_e32 vcc, s52, v3
	s_mov_b64 s[52:53], 0
                                        ; implicit-def: $vgpr2
	s_and_saveexec_b64 s[54:55], vcc
	s_xor_b64 s[54:55], exec, s[54:55]
	s_cbranch_execz .LBB119_571
; %bb.211:
	v_bfe_u32 v2, v3, 21, 1
	s_mov_b32 s57, 0x88fffff
	v_add3_u32 v2, v3, v2, s57
	s_mov_b64 s[52:53], exec
	v_lshrrev_b32_e32 v2, 21, v2
                                        ; implicit-def: $vgpr3
	s_andn2_saveexec_b64 s[54:55], s[54:55]
	s_cbranch_execnz .LBB119_572
.LBB119_212:
	s_or_b64 exec, exec, s[54:55]
	v_mov_b32_e32 v4, 0
	s_and_saveexec_b64 s[54:55], s[52:53]
.LBB119_213:
	v_mov_b32_e32 v4, v2
.LBB119_214:
	s_or_b64 exec, exec, s[54:55]
.LBB119_215:
	s_or_b64 exec, exec, s[48:49]
	s_mov_b64 s[48:49], 0
	global_store_byte v[0:1], v4, off
.LBB119_216:
	s_and_b64 vcc, exec, s[48:49]
	s_cbranch_vccz .LBB119_226
; %bb.217:
	v_cndmask_b32_e64 v2, 0, 1.0, s[40:41]
	s_mov_b32 s48, 0x43f00000
	v_cmp_gt_u32_e32 vcc, s48, v2
                                        ; implicit-def: $vgpr3
	s_and_saveexec_b64 s[48:49], vcc
	s_xor_b64 s[48:49], exec, s[48:49]
	s_cbranch_execz .LBB119_223
; %bb.218:
	s_mov_b32 s52, 0x3c7fffff
	v_cmp_lt_u32_e32 vcc, s52, v2
                                        ; implicit-def: $vgpr3
	s_and_saveexec_b64 s[52:53], vcc
	s_xor_b64 s[52:53], exec, s[52:53]
; %bb.219:
	v_bfe_u32 v3, v2, 20, 1
	s_mov_b32 s54, 0x407ffff
	v_add3_u32 v2, v2, v3, s54
	v_lshrrev_b32_e32 v3, 20, v2
	v_and_b32_e32 v2, 0xff00000, v2
	s_mov_b32 s54, 0x7f00000
	v_mov_b32_e32 v4, 0x7e
	v_cmp_ne_u32_e32 vcc, s54, v2
	v_cndmask_b32_e32 v3, v4, v3, vcc
                                        ; implicit-def: $vgpr2
; %bb.220:
	s_andn2_saveexec_b64 s[52:53], s[52:53]
; %bb.221:
	v_add_f32_e32 v3, 0x46800000, v2
; %bb.222:
	s_or_b64 exec, exec, s[52:53]
                                        ; implicit-def: $vgpr2
.LBB119_223:
	s_andn2_saveexec_b64 s[48:49], s[48:49]
; %bb.224:
	s_mov_b32 s52, 0x7f800000
	v_mov_b32_e32 v3, 0x7e
	v_mov_b32_e32 v4, 0x7f
	v_cmp_lt_u32_e32 vcc, s52, v2
	v_cndmask_b32_e32 v3, v3, v4, vcc
; %bb.225:
	s_or_b64 exec, exec, s[48:49]
	global_store_byte v[0:1], v3, off
.LBB119_226:
	s_mov_b64 s[48:49], 0
.LBB119_227:
	s_andn2_b64 vcc, exec, s[48:49]
	s_cbranch_vccnz .LBB119_237
; %bb.228:
	v_cndmask_b32_e64 v2, 0, 1.0, s[40:41]
	s_mov_b32 s48, 0x47800000
	v_cmp_gt_u32_e32 vcc, s48, v2
                                        ; implicit-def: $vgpr3
	s_and_saveexec_b64 s[48:49], vcc
	s_xor_b64 s[48:49], exec, s[48:49]
	s_cbranch_execz .LBB119_234
; %bb.229:
	s_mov_b32 s52, 0x387fffff
	v_cmp_lt_u32_e32 vcc, s52, v2
                                        ; implicit-def: $vgpr3
	s_and_saveexec_b64 s[52:53], vcc
	s_xor_b64 s[52:53], exec, s[52:53]
; %bb.230:
	v_bfe_u32 v3, v2, 21, 1
	s_mov_b32 s54, 0x80fffff
	v_add3_u32 v2, v2, v3, s54
	v_lshrrev_b32_e32 v3, 21, v2
                                        ; implicit-def: $vgpr2
; %bb.231:
	s_andn2_saveexec_b64 s[52:53], s[52:53]
; %bb.232:
	v_add_f32_e32 v3, 0x43000000, v2
; %bb.233:
	s_or_b64 exec, exec, s[52:53]
                                        ; implicit-def: $vgpr2
.LBB119_234:
	s_andn2_saveexec_b64 s[48:49], s[48:49]
; %bb.235:
	s_mov_b32 s52, 0x7f800000
	v_mov_b32_e32 v3, 0x7c
	v_mov_b32_e32 v4, 0x7f
	v_cmp_lt_u32_e32 vcc, s52, v2
	v_cndmask_b32_e32 v3, v3, v4, vcc
; %bb.236:
	s_or_b64 exec, exec, s[48:49]
	global_store_byte v[0:1], v3, off
.LBB119_237:
	s_mov_b64 s[52:53], 0
	s_mov_b64 s[48:49], -1
.LBB119_238:
	s_andn2_b64 vcc, exec, s[52:53]
	s_cbranch_vccnz .LBB119_246
; %bb.239:
	s_cmp_gt_i32 s56, 14
	s_mov_b64 s[52:53], -1
	s_cbranch_scc0 .LBB119_243
; %bb.240:
	s_cmp_eq_u32 s56, 15
	s_mov_b64 s[0:1], -1
	s_cbranch_scc0 .LBB119_242
; %bb.241:
	v_cndmask_b32_e64 v2, 0, 1.0, s[40:41]
	v_bfe_u32 v3, v2, 16, 1
	s_movk_i32 s0, 0x7fff
	v_add3_u32 v2, v2, v3, s0
	global_store_short_d16_hi v[0:1], v2, off
	s_mov_b64 s[48:49], -1
	s_mov_b64 s[0:1], 0
.LBB119_242:
	s_mov_b64 s[52:53], 0
.LBB119_243:
	s_and_b64 vcc, exec, s[52:53]
	s_cbranch_vccz .LBB119_246
; %bb.244:
	s_cmp_eq_u32 s56, 11
	s_mov_b64 s[0:1], -1
	s_cbranch_scc0 .LBB119_246
; %bb.245:
	v_cndmask_b32_e64 v2, 0, 1, s[40:41]
	s_mov_b64 s[48:49], -1
	s_mov_b64 s[0:1], 0
	global_store_byte v[0:1], v2, off
.LBB119_246:
	s_mov_b64 s[52:53], 0
.LBB119_247:
	s_and_b64 vcc, exec, s[52:53]
	s_cbranch_vccz .LBB119_286
; %bb.248:
	s_and_b32 s14, 0xffff, s14
	s_cmp_lt_i32 s14, 5
	s_mov_b64 s[48:49], -1
	s_cbranch_scc1 .LBB119_269
; %bb.249:
	s_cmp_lt_i32 s14, 8
	s_cbranch_scc1 .LBB119_259
; %bb.250:
	s_cmp_lt_i32 s14, 9
	s_cbranch_scc1 .LBB119_256
; %bb.251:
	s_cmp_gt_i32 s14, 9
	s_cbranch_scc0 .LBB119_253
; %bb.252:
	v_cndmask_b32_e64 v2, 0, 1, s[40:41]
	v_cvt_f64_u32_e32 v[2:3], v2
	v_mov_b32_e32 v4, 0
	v_mov_b32_e32 v5, v4
	s_mov_b64 s[48:49], 0
	global_store_dwordx4 v[0:1], v[2:5], off
.LBB119_253:
	s_andn2_b64 vcc, exec, s[48:49]
	s_cbranch_vccnz .LBB119_255
; %bb.254:
	v_cndmask_b32_e64 v2, 0, 1.0, s[40:41]
	v_mov_b32_e32 v3, 0
	global_store_dwordx2 v[0:1], v[2:3], off
.LBB119_255:
	s_mov_b64 s[48:49], 0
.LBB119_256:
	s_andn2_b64 vcc, exec, s[48:49]
	s_cbranch_vccnz .LBB119_258
; %bb.257:
	v_cndmask_b32_e64 v2, 0, 1.0, s[40:41]
	v_cvt_f16_f32_e32 v2, v2
	global_store_dword v[0:1], v2, off
.LBB119_258:
	s_mov_b64 s[48:49], 0
.LBB119_259:
	s_andn2_b64 vcc, exec, s[48:49]
	s_cbranch_vccnz .LBB119_268
; %bb.260:
	s_cmp_lt_i32 s14, 6
	s_mov_b64 s[48:49], -1
	s_cbranch_scc1 .LBB119_266
; %bb.261:
	s_cmp_gt_i32 s14, 6
	s_cbranch_scc0 .LBB119_263
; %bb.262:
	v_cndmask_b32_e64 v2, 0, 1, s[40:41]
	v_cvt_f64_u32_e32 v[2:3], v2
	s_mov_b64 s[48:49], 0
	global_store_dwordx2 v[0:1], v[2:3], off
.LBB119_263:
	s_andn2_b64 vcc, exec, s[48:49]
	s_cbranch_vccnz .LBB119_265
; %bb.264:
	v_cndmask_b32_e64 v2, 0, 1.0, s[40:41]
	global_store_dword v[0:1], v2, off
.LBB119_265:
	s_mov_b64 s[48:49], 0
.LBB119_266:
	s_andn2_b64 vcc, exec, s[48:49]
	s_cbranch_vccnz .LBB119_268
; %bb.267:
	v_cndmask_b32_e64 v2, 0, 1.0, s[40:41]
	v_cvt_f16_f32_e32 v2, v2
	global_store_short v[0:1], v2, off
.LBB119_268:
	s_mov_b64 s[48:49], 0
.LBB119_269:
	s_andn2_b64 vcc, exec, s[48:49]
	s_cbranch_vccnz .LBB119_285
; %bb.270:
	s_cmp_lt_i32 s14, 2
	s_mov_b64 s[48:49], -1
	s_cbranch_scc1 .LBB119_280
; %bb.271:
	s_cmp_lt_i32 s14, 3
	s_cbranch_scc1 .LBB119_277
; %bb.272:
	s_cmp_gt_i32 s14, 3
	s_cbranch_scc0 .LBB119_274
; %bb.273:
	s_mov_b32 s48, 0
	v_cndmask_b32_e64 v2, 0, 1, s[40:41]
	v_mov_b32_e32 v3, s48
	global_store_dwordx2 v[0:1], v[2:3], off
	s_mov_b64 s[48:49], 0
.LBB119_274:
	s_andn2_b64 vcc, exec, s[48:49]
	s_cbranch_vccnz .LBB119_276
; %bb.275:
	v_cndmask_b32_e64 v2, 0, 1, s[40:41]
	global_store_dword v[0:1], v2, off
.LBB119_276:
	s_mov_b64 s[48:49], 0
.LBB119_277:
	s_andn2_b64 vcc, exec, s[48:49]
	s_cbranch_vccnz .LBB119_279
; %bb.278:
	v_cndmask_b32_e64 v2, 0, 1, s[40:41]
	global_store_short v[0:1], v2, off
.LBB119_279:
	s_mov_b64 s[48:49], 0
.LBB119_280:
	s_andn2_b64 vcc, exec, s[48:49]
	s_cbranch_vccnz .LBB119_285
; %bb.281:
	s_cmp_gt_i32 s14, 0
	s_mov_b64 s[48:49], -1
	s_cbranch_scc0 .LBB119_283
; %bb.282:
	v_cndmask_b32_e64 v2, 0, 1, s[40:41]
	global_store_byte v[0:1], v2, off
	s_mov_b64 s[48:49], 0
.LBB119_283:
	s_andn2_b64 vcc, exec, s[48:49]
	s_cbranch_vccnz .LBB119_285
; %bb.284:
	v_cndmask_b32_e64 v2, 0, 1, s[40:41]
	global_store_byte v[0:1], v2, off
.LBB119_285:
	s_mov_b64 s[48:49], -1
.LBB119_286:
	s_andn2_b64 vcc, exec, s[48:49]
	s_cbranch_vccnz .LBB119_288
; %bb.287:
	v_add_u32_e32 v11, 0x80, v11
	s_mov_b64 s[48:49], -1
	s_branch .LBB119_406
.LBB119_288:
	s_mov_b64 s[48:49], 0
                                        ; implicit-def: $vgpr11
	s_branch .LBB119_406
.LBB119_289:
	s_mov_b64 s[42:43], -1
                                        ; implicit-def: $vgpr4_vgpr5
.LBB119_290:
	v_mov_b32_e32 v6, 0
	v_mov_b32_e32 v7, 0
.LBB119_291:
	s_mov_b64 s[40:41], 0
.LBB119_292:
	s_and_b64 vcc, exec, s[40:41]
	s_cbranch_vccz .LBB119_297
; %bb.293:
	s_cmp_eq_u32 s52, 29
	s_cbranch_scc0 .LBB119_295
; %bb.294:
	global_load_dwordx2 v[4:5], v[9:10], off
	s_mov_b64 s[0:1], -1
	s_mov_b64 s[42:43], 0
	s_waitcnt vmcnt(0)
	v_cvt_f64_u32_e32 v[5:6], v5
	v_cvt_f64_u32_e32 v[12:13], v4
	v_ldexp_f64 v[5:6], v[5:6], 32
	v_add_f64 v[4:5], v[5:6], v[12:13]
	s_branch .LBB119_296
.LBB119_295:
	s_mov_b64 s[42:43], -1
                                        ; implicit-def: $vgpr4_vgpr5
.LBB119_296:
	v_mov_b32_e32 v6, 0
	v_mov_b32_e32 v7, 0
.LBB119_297:
	s_mov_b64 s[40:41], 0
.LBB119_298:
	s_and_b64 vcc, exec, s[40:41]
	s_cbranch_vccz .LBB119_318
; %bb.299:
	s_cmp_lt_i32 s52, 27
	s_cbranch_scc1 .LBB119_302
; %bb.300:
	s_cmp_gt_i32 s52, 27
	s_cbranch_scc0 .LBB119_303
; %bb.301:
	global_load_dword v4, v[9:10], off
	s_mov_b64 s[0:1], 0
	s_waitcnt vmcnt(0)
	v_cvt_f64_u32_e32 v[4:5], v4
	s_branch .LBB119_304
.LBB119_302:
	s_mov_b64 s[0:1], -1
                                        ; implicit-def: $vgpr4_vgpr5
	s_branch .LBB119_307
.LBB119_303:
	s_mov_b64 s[0:1], -1
                                        ; implicit-def: $vgpr4_vgpr5
.LBB119_304:
	s_andn2_b64 vcc, exec, s[0:1]
	s_cbranch_vccnz .LBB119_306
; %bb.305:
	global_load_ushort v4, v[9:10], off
	s_waitcnt vmcnt(0)
	v_cvt_f64_u32_e32 v[4:5], v4
.LBB119_306:
	s_mov_b64 s[0:1], 0
.LBB119_307:
	s_andn2_b64 vcc, exec, s[0:1]
	s_cbranch_vccnz .LBB119_317
; %bb.308:
	global_load_ubyte v6, v[9:10], off
	s_movk_i32 s0, 0x7f
	s_waitcnt vmcnt(0)
	v_cmp_lt_i16_e32 vcc, s0, v6
	s_mov_b64 s[0:1], 0
	s_and_saveexec_b64 s[40:41], vcc
	s_xor_b64 s[40:41], exec, s[40:41]
	s_cbranch_execz .LBB119_312
; %bb.309:
	s_movk_i32 s0, 0x80
	v_cmp_eq_u16_e32 vcc, s0, v6
	s_mov_b64 s[0:1], -1
	s_and_saveexec_b64 s[48:49], vcc
; %bb.310:
	s_xor_b64 s[0:1], exec, -1
; %bb.311:
	s_or_b64 exec, exec, s[48:49]
	s_and_b64 s[0:1], s[0:1], exec
.LBB119_312:
	s_or_saveexec_b64 s[40:41], s[40:41]
	v_bfrev_b32_e32 v4, 4
	v_mov_b32_e32 v5, 0x7ff80000
	s_xor_b64 exec, exec, s[40:41]
; %bb.313:
	v_cmp_ne_u16_e32 vcc, 0, v6
	v_mov_b32_e32 v4, 0
	s_andn2_b64 s[0:1], s[0:1], exec
	s_and_b64 s[48:49], vcc, exec
	v_mov_b32_e32 v5, 0
	s_or_b64 s[0:1], s[0:1], s[48:49]
; %bb.314:
	s_or_b64 exec, exec, s[40:41]
	s_and_saveexec_b64 s[40:41], s[0:1]
	s_cbranch_execz .LBB119_316
; %bb.315:
	v_and_b32_e32 v5, 0xffff, v6
	v_lshlrev_b32_e32 v4, 24, v6
	v_and_b32_e32 v6, 7, v5
	v_ffbh_u32_e32 v12, v6
	v_min_u32_e32 v12, 32, v12
	v_subrev_u32_e32 v13, 28, v12
	v_bfe_u32 v7, v5, 3, 4
	v_lshlrev_b32_e32 v5, v13, v5
	v_sub_u32_e32 v12, 29, v12
	v_and_b32_e32 v5, 7, v5
	v_cmp_eq_u32_e32 vcc, 0, v7
	v_cndmask_b32_e32 v7, v7, v12, vcc
	v_cndmask_b32_e32 v5, v6, v5, vcc
	v_mov_b32_e32 v6, 0x3b800000
	v_lshlrev_b32_e32 v5, 20, v5
	v_and_b32_e32 v4, 0x80000000, v4
	v_lshl_add_u32 v6, v7, 23, v6
	v_or3_b32 v4, v4, v6, v5
	v_cvt_f64_f32_e32 v[4:5], v4
.LBB119_316:
	s_or_b64 exec, exec, s[40:41]
.LBB119_317:
	v_mov_b32_e32 v6, 0
	v_mov_b32_e32 v7, 0
	s_mov_b64 s[0:1], -1
.LBB119_318:
	s_mov_b64 s[40:41], 0
.LBB119_319:
	s_and_b64 vcc, exec, s[40:41]
	s_cbranch_vccz .LBB119_353
; %bb.320:
	s_cmp_gt_i32 s52, 22
	s_cbranch_scc0 .LBB119_332
; %bb.321:
	s_cmp_lt_i32 s52, 24
	s_cbranch_scc1 .LBB119_333
; %bb.322:
	s_cmp_gt_i32 s52, 24
	s_cbranch_scc0 .LBB119_334
; %bb.323:
	global_load_ubyte v6, v[9:10], off
	s_movk_i32 s0, 0x7f
	s_waitcnt vmcnt(0)
	v_cmp_lt_i16_e32 vcc, s0, v6
	s_mov_b64 s[0:1], 0
	s_and_saveexec_b64 s[40:41], vcc
	s_xor_b64 s[40:41], exec, s[40:41]
	s_cbranch_execz .LBB119_327
; %bb.324:
	s_movk_i32 s0, 0x80
	v_cmp_eq_u16_e32 vcc, s0, v6
	s_mov_b64 s[0:1], -1
	s_and_saveexec_b64 s[48:49], vcc
; %bb.325:
	s_xor_b64 s[0:1], exec, -1
; %bb.326:
	s_or_b64 exec, exec, s[48:49]
	s_and_b64 s[0:1], s[0:1], exec
.LBB119_327:
	s_or_saveexec_b64 s[40:41], s[40:41]
	v_bfrev_b32_e32 v4, 4
	v_mov_b32_e32 v5, 0x7ff80000
	s_xor_b64 exec, exec, s[40:41]
; %bb.328:
	v_cmp_ne_u16_e32 vcc, 0, v6
	v_mov_b32_e32 v4, 0
	s_andn2_b64 s[0:1], s[0:1], exec
	s_and_b64 s[48:49], vcc, exec
	v_mov_b32_e32 v5, 0
	s_or_b64 s[0:1], s[0:1], s[48:49]
; %bb.329:
	s_or_b64 exec, exec, s[40:41]
	s_and_saveexec_b64 s[40:41], s[0:1]
	s_cbranch_execz .LBB119_331
; %bb.330:
	v_and_b32_e32 v5, 0xffff, v6
	v_lshlrev_b32_e32 v4, 24, v6
	v_and_b32_e32 v6, 3, v5
	v_ffbh_u32_e32 v12, v6
	v_min_u32_e32 v12, 32, v12
	v_subrev_u32_e32 v13, 29, v12
	v_bfe_u32 v7, v5, 2, 5
	v_lshlrev_b32_e32 v5, v13, v5
	v_sub_u32_e32 v12, 30, v12
	v_and_b32_e32 v5, 3, v5
	v_cmp_eq_u32_e32 vcc, 0, v7
	v_cndmask_b32_e32 v7, v7, v12, vcc
	v_cndmask_b32_e32 v5, v6, v5, vcc
	v_mov_b32_e32 v6, 0x37800000
	v_lshlrev_b32_e32 v5, 21, v5
	v_and_b32_e32 v4, 0x80000000, v4
	v_lshl_add_u32 v6, v7, 23, v6
	v_or3_b32 v4, v4, v6, v5
	v_cvt_f64_f32_e32 v[4:5], v4
.LBB119_331:
	s_or_b64 exec, exec, s[40:41]
	s_mov_b64 s[0:1], 0
	s_branch .LBB119_335
.LBB119_332:
	s_mov_b64 s[40:41], -1
                                        ; implicit-def: $vgpr4_vgpr5
	s_branch .LBB119_341
.LBB119_333:
	s_mov_b64 s[0:1], -1
                                        ; implicit-def: $vgpr4_vgpr5
	s_branch .LBB119_338
.LBB119_334:
	s_mov_b64 s[0:1], -1
                                        ; implicit-def: $vgpr4_vgpr5
.LBB119_335:
	s_and_b64 vcc, exec, s[0:1]
	s_cbranch_vccz .LBB119_337
; %bb.336:
	global_load_ubyte v4, v[9:10], off
	s_mov_b32 s0, 0x7f800000
	s_waitcnt vmcnt(0)
	v_lshlrev_b32_e32 v4, 24, v4
	v_and_b32_e32 v5, 0x7f000000, v4
	v_ffbh_u32_e32 v6, v5
	v_min_u32_e32 v6, 32, v6
	v_sub_u32_e64 v6, v6, 4 clamp
	v_lshlrev_b32_e32 v12, v6, v5
	v_lshlrev_b32_e32 v6, 23, v6
	v_lshrrev_b32_e32 v12, 4, v12
	v_add_u32_e32 v7, 0x1000000, v5
	v_sub_u32_e32 v6, v12, v6
	v_ashrrev_i32_e32 v7, 8, v7
	v_add_u32_e32 v6, 0x3c000000, v6
	v_and_or_b32 v6, v7, s0, v6
	v_cmp_ne_u32_e32 vcc, 0, v5
	v_cndmask_b32_e32 v5, 0, v6, vcc
	s_brev_b32 s0, 1
	v_and_or_b32 v4, v4, s0, v5
	v_cvt_f64_f32_e32 v[4:5], v4
.LBB119_337:
	s_mov_b64 s[0:1], 0
.LBB119_338:
	s_andn2_b64 vcc, exec, s[0:1]
	s_cbranch_vccnz .LBB119_340
; %bb.339:
	global_load_ubyte v4, v[9:10], off
	s_movk_i32 s0, 0x7f00
	s_brev_b32 s1, 16
	s_waitcnt vmcnt(0)
	v_lshlrev_b16_e32 v5, 8, v4
	v_lshlrev_b32_e32 v4, 25, v4
	v_lshrrev_b32_e32 v6, 4, v4
	v_and_or_b32 v7, v5, s0, 0.5
	v_or_b32_e32 v6, 0x70000000, v6
	v_add_f32_e32 v7, -0.5, v7
	v_mul_f32_e32 v6, 0x7800000, v6
	v_cmp_gt_u32_e32 vcc, s1, v4
	v_bfe_i32 v5, v5, 0, 16
	v_cndmask_b32_e32 v4, v6, v7, vcc
	s_brev_b32 s0, 1
	v_and_or_b32 v4, v5, s0, v4
	v_cvt_f64_f32_e32 v[4:5], v4
.LBB119_340:
	s_mov_b64 s[40:41], 0
	s_mov_b64 s[0:1], -1
.LBB119_341:
	s_andn2_b64 vcc, exec, s[40:41]
	s_cbranch_vccnz .LBB119_352
; %bb.342:
	s_cmp_gt_i32 s52, 14
	s_cbranch_scc0 .LBB119_345
; %bb.343:
	s_cmp_eq_u32 s52, 15
	s_cbranch_scc0 .LBB119_346
; %bb.344:
	global_load_ushort v4, v[9:10], off
	s_mov_b64 s[0:1], -1
	s_mov_b64 s[42:43], 0
	s_waitcnt vmcnt(0)
	v_lshlrev_b32_e32 v4, 16, v4
	v_cvt_f64_f32_e32 v[4:5], v4
	s_branch .LBB119_347
.LBB119_345:
	s_mov_b64 s[40:41], -1
                                        ; implicit-def: $vgpr4_vgpr5
	s_branch .LBB119_348
.LBB119_346:
	s_mov_b64 s[42:43], -1
                                        ; implicit-def: $vgpr4_vgpr5
.LBB119_347:
	s_mov_b64 s[40:41], 0
.LBB119_348:
	s_and_b64 vcc, exec, s[40:41]
	s_cbranch_vccz .LBB119_352
; %bb.349:
	s_cmp_eq_u32 s52, 11
	s_cbranch_scc0 .LBB119_351
; %bb.350:
	global_load_ubyte v5, v[9:10], off
	v_mov_b32_e32 v6, 0x3ff00000
	v_mov_b32_e32 v4, 0
	s_mov_b64 s[0:1], -1
	s_mov_b64 s[42:43], 0
	s_waitcnt vmcnt(0)
	v_cmp_ne_u16_e32 vcc, 0, v5
	v_cndmask_b32_e32 v5, 0, v6, vcc
	s_branch .LBB119_352
.LBB119_351:
	s_mov_b64 s[42:43], -1
                                        ; implicit-def: $vgpr4_vgpr5
.LBB119_352:
	v_mov_b32_e32 v6, 0
	v_mov_b32_e32 v7, 0
.LBB119_353:
	s_branch .LBB119_31
.LBB119_354:
	s_and_b32 s14, 0xffff, s14
	s_cmp_lt_i32 s14, 5
	s_cbranch_scc1 .LBB119_359
; %bb.355:
	s_cmp_lt_i32 s14, 8
	s_cbranch_scc1 .LBB119_360
; %bb.356:
	;; [unrolled: 3-line block ×3, first 2 shown]
	s_cmp_gt_i32 s14, 9
	s_cbranch_scc0 .LBB119_362
; %bb.358:
	global_load_dwordx4 v[4:7], v[9:10], off
	s_mov_b64 s[0:1], 0
	s_branch .LBB119_363
.LBB119_359:
	s_mov_b64 s[0:1], -1
                                        ; implicit-def: $vgpr6_vgpr7
	s_branch .LBB119_382
.LBB119_360:
	s_mov_b64 s[0:1], -1
                                        ; implicit-def: $vgpr6_vgpr7
	s_branch .LBB119_369
.LBB119_361:
	s_mov_b64 s[0:1], -1
                                        ; implicit-def: $vgpr6_vgpr7
	s_branch .LBB119_366
.LBB119_362:
	s_mov_b64 s[0:1], -1
                                        ; implicit-def: $vgpr6_vgpr7
.LBB119_363:
	s_andn2_b64 vcc, exec, s[0:1]
	s_cbranch_vccnz .LBB119_365
; %bb.364:
	global_load_dwordx2 v[5:6], v[9:10], off
	s_waitcnt vmcnt(0)
	v_cvt_f64_f32_e32 v[4:5], v5
	v_cvt_f64_f32_e32 v[6:7], v6
.LBB119_365:
	s_mov_b64 s[0:1], 0
.LBB119_366:
	s_andn2_b64 vcc, exec, s[0:1]
	s_cbranch_vccnz .LBB119_368
; %bb.367:
	global_load_dword v4, v[9:10], off
	s_waitcnt vmcnt(0)
	v_cvt_f32_f16_e32 v5, v4
	v_cvt_f32_f16_sdwa v6, v4 dst_sel:DWORD dst_unused:UNUSED_PAD src0_sel:WORD_1
	v_cvt_f64_f32_e32 v[4:5], v5
	v_cvt_f64_f32_e32 v[6:7], v6
.LBB119_368:
	s_mov_b64 s[0:1], 0
.LBB119_369:
	s_andn2_b64 vcc, exec, s[0:1]
	s_cbranch_vccnz .LBB119_381
; %bb.370:
	s_cmp_lt_i32 s14, 6
	s_cbranch_scc1 .LBB119_373
; %bb.371:
	s_cmp_gt_i32 s14, 6
	s_cbranch_scc0 .LBB119_374
; %bb.372:
	global_load_dwordx2 v[4:5], v[9:10], off
	s_mov_b64 s[0:1], 0
	s_branch .LBB119_375
.LBB119_373:
	s_mov_b64 s[0:1], -1
                                        ; implicit-def: $vgpr4_vgpr5
	s_branch .LBB119_378
.LBB119_374:
	s_mov_b64 s[0:1], -1
                                        ; implicit-def: $vgpr4_vgpr5
.LBB119_375:
	s_andn2_b64 vcc, exec, s[0:1]
	s_cbranch_vccnz .LBB119_377
; %bb.376:
	global_load_dword v4, v[9:10], off
	s_waitcnt vmcnt(0)
	v_cvt_f64_f32_e32 v[4:5], v4
.LBB119_377:
	s_mov_b64 s[0:1], 0
.LBB119_378:
	s_andn2_b64 vcc, exec, s[0:1]
	s_cbranch_vccnz .LBB119_380
; %bb.379:
	global_load_ushort v4, v[9:10], off
	s_waitcnt vmcnt(0)
	v_cvt_f32_f16_e32 v4, v4
	v_cvt_f64_f32_e32 v[4:5], v4
.LBB119_380:
	s_waitcnt vmcnt(0)
	v_mov_b32_e32 v6, 0
	v_mov_b32_e32 v7, 0
.LBB119_381:
	s_mov_b64 s[0:1], 0
.LBB119_382:
	s_andn2_b64 vcc, exec, s[0:1]
	s_cbranch_vccnz .LBB119_403
; %bb.383:
	s_cmp_lt_i32 s14, 2
	s_cbranch_scc1 .LBB119_387
; %bb.384:
	s_cmp_lt_i32 s14, 3
	s_cbranch_scc1 .LBB119_388
; %bb.385:
	s_cmp_gt_i32 s14, 3
	s_cbranch_scc0 .LBB119_389
; %bb.386:
	global_load_dwordx2 v[4:5], v[9:10], off
	s_mov_b64 s[0:1], 0
	s_waitcnt vmcnt(0)
	v_cvt_f64_i32_e32 v[5:6], v5
	v_cvt_f64_u32_e32 v[12:13], v4
	v_ldexp_f64 v[5:6], v[5:6], 32
	v_add_f64 v[4:5], v[5:6], v[12:13]
	s_branch .LBB119_390
.LBB119_387:
	s_mov_b64 s[0:1], -1
                                        ; implicit-def: $vgpr4_vgpr5
	s_branch .LBB119_396
.LBB119_388:
	s_mov_b64 s[0:1], -1
                                        ; implicit-def: $vgpr4_vgpr5
	s_branch .LBB119_393
.LBB119_389:
	s_mov_b64 s[0:1], -1
                                        ; implicit-def: $vgpr4_vgpr5
.LBB119_390:
	s_andn2_b64 vcc, exec, s[0:1]
	s_cbranch_vccnz .LBB119_392
; %bb.391:
	global_load_dword v4, v[9:10], off
	s_waitcnt vmcnt(0)
	v_cvt_f64_i32_e32 v[4:5], v4
.LBB119_392:
	s_mov_b64 s[0:1], 0
.LBB119_393:
	s_andn2_b64 vcc, exec, s[0:1]
	s_cbranch_vccnz .LBB119_395
; %bb.394:
	global_load_sshort v4, v[9:10], off
	s_waitcnt vmcnt(0)
	v_cvt_f64_i32_e32 v[4:5], v4
.LBB119_395:
	s_mov_b64 s[0:1], 0
.LBB119_396:
	s_andn2_b64 vcc, exec, s[0:1]
	s_cbranch_vccnz .LBB119_402
; %bb.397:
	s_cmp_gt_i32 s14, 0
	s_cbranch_scc0 .LBB119_399
; %bb.398:
	global_load_sbyte v4, v[9:10], off
	s_mov_b64 s[0:1], 0
	s_waitcnt vmcnt(0)
	v_cvt_f64_i32_e32 v[4:5], v4
	s_branch .LBB119_400
.LBB119_399:
	s_mov_b64 s[0:1], -1
                                        ; implicit-def: $vgpr4_vgpr5
.LBB119_400:
	s_andn2_b64 vcc, exec, s[0:1]
	s_cbranch_vccnz .LBB119_402
; %bb.401:
	global_load_ubyte v4, v[9:10], off
	s_waitcnt vmcnt(0)
	v_cvt_f64_u32_e32 v[4:5], v4
.LBB119_402:
	s_waitcnt vmcnt(0)
	v_mov_b32_e32 v6, 0
	v_mov_b32_e32 v7, 0
.LBB119_403:
	s_branch .LBB119_32
.LBB119_404:
	s_mov_b64 s[0:1], 0
.LBB119_405:
                                        ; implicit-def: $vgpr11
	s_mov_b64 s[48:49], 0
.LBB119_406:
	s_and_b64 s[40:41], s[0:1], exec
	s_and_b64 s[42:43], s[42:43], exec
	;; [unrolled: 1-line block ×3, first 2 shown]
	s_orn2_b64 s[0:1], s[48:49], exec
.LBB119_407:
	s_or_b64 exec, exec, s[46:47]
	s_mov_b64 s[54:55], 0
	s_mov_b64 s[52:53], 0
                                        ; implicit-def: $sgpr14
                                        ; implicit-def: $vgpr5_vgpr6
                                        ; implicit-def: $vgpr8
                                        ; implicit-def: $vgpr4
                                        ; implicit-def: $vgpr2_vgpr3
	s_and_saveexec_b64 s[46:47], s[0:1]
	s_cbranch_execz .LBB119_415
; %bb.408:
	v_cmp_gt_i32_e32 vcc, s70, v11
	s_mov_b64 s[0:1], -1
	s_mov_b64 s[48:49], s[44:45]
	s_mov_b64 s[50:51], s[42:43]
	;; [unrolled: 1-line block ×3, first 2 shown]
	s_and_saveexec_b64 s[54:55], vcc
	s_cbranch_execz .LBB119_823
; %bb.409:
	s_andn2_b64 vcc, exec, s[24:25]
	s_cbranch_vccnz .LBB119_418
; %bb.410:
	s_andn2_b64 vcc, exec, s[38:39]
	s_cbranch_vccnz .LBB119_419
; %bb.411:
	s_add_i32 s0, s75, 1
	s_and_b32 s14, s0, 30
	s_add_u32 s0, s2, 0xffffffe8
	s_addc_u32 s1, s3, -1
	s_waitcnt vmcnt(0)
	v_mov_b32_e32 v4, 0
	v_mov_b32_e32 v0, 0
	;; [unrolled: 1-line block ×4, first 2 shown]
.LBB119_412:                            ; =>This Inner Loop Header: Depth=1
	s_load_dwordx4 s[48:51], s[0:1], 0x1c
	s_load_dwordx2 s[52:53], s[0:1], 0x2c
	s_load_dwordx2 s[60:61], s[0:1], 0xec
	s_load_dwordx4 s[56:59], s[0:1], 0xdc
	s_add_u32 s0, s0, 24
	s_waitcnt lgkmcnt(0)
	v_mul_hi_u32 v2, s49, v1
	s_addc_u32 s1, s1, 0
	s_add_i32 s14, s14, -2
	s_cmp_eq_u32 s14, 0
	v_add_u32_e32 v2, v1, v2
	v_lshrrev_b32_e32 v2, s50, v2
	v_mul_lo_u32 v3, v2, s48
	v_mul_hi_u32 v5, s52, v2
	v_sub_u32_e32 v3, v1, v3
	v_add_u32_e32 v1, v2, v5
	v_lshrrev_b32_e32 v1, s53, v1
	v_mul_lo_u32 v7, v1, s51
	v_mul_lo_u32 v5, v3, s56
	;; [unrolled: 1-line block ×4, first 2 shown]
	v_sub_u32_e32 v2, v2, v7
	v_mul_lo_u32 v7, v2, s59
	v_mul_lo_u32 v9, v2, s60
	;; [unrolled: 1-line block ×3, first 2 shown]
	v_add3_u32 v8, v5, v8, v7
	v_add3_u32 v0, v6, v0, v9
	;; [unrolled: 1-line block ×3, first 2 shown]
	s_cbranch_scc0 .LBB119_412
; %bb.413:
	s_bitcmp1_b32 s75, 0
	s_cselect_b64 s[48:49], -1, 0
	s_and_b64 vcc, exec, s[48:49]
	s_cbranch_vccnz .LBB119_420
; %bb.414:
	s_load_dwordx2 s[48:49], s[0:1], 0x1c
	s_load_dword s14, s[0:1], 0x24
	s_load_dwordx2 s[50:51], s[0:1], 0xdc
	s_waitcnt lgkmcnt(0)
	v_mul_hi_u32 v2, s49, v1
	v_add_u32_e32 v2, v1, v2
	v_lshrrev_b32_e32 v2, s14, v2
	v_mul_lo_u32 v2, v2, s48
	s_load_dword s14, s[0:1], 0xe4
	v_sub_u32_e32 v2, v1, v2
	v_mad_u64_u32 v[8:9], s[0:1], v2, s50, v[8:9]
	v_mad_u64_u32 v[0:1], s[0:1], v2, s51, v[0:1]
	s_waitcnt lgkmcnt(0)
	v_mad_u64_u32 v[4:5], s[0:1], v2, s14, v[4:5]
	s_branch .LBB119_420
.LBB119_415:
	s_or_b64 exec, exec, s[46:47]
	s_mov_b64 s[10:11], 0
	s_and_saveexec_b64 s[0:1], s[44:45]
	s_cbranch_execnz .LBB119_1339
.LBB119_416:
	s_or_b64 exec, exec, s[0:1]
	s_and_saveexec_b64 s[0:1], s[50:51]
	s_xor_b64 s[0:1], exec, s[0:1]
	s_cbranch_execz .LBB119_1340
.LBB119_417:
	s_waitcnt vmcnt(0)
	global_load_ubyte v1, v[5:6], off
	v_mov_b32_e32 v7, 0x3ff00000
	v_mov_b32_e32 v2, 0
	;; [unrolled: 1-line block ×4, first 2 shown]
	s_or_b64 s[52:53], s[52:53], exec
	s_waitcnt vmcnt(0)
	v_cmp_ne_u16_e32 vcc, 0, v1
	v_cndmask_b32_e32 v1, 0, v7, vcc
	s_or_b64 exec, exec, s[0:1]
	s_and_saveexec_b64 s[0:1], s[54:55]
	s_cbranch_execz .LBB119_1388
	s_branch .LBB119_1341
.LBB119_418:
                                        ; implicit-def: $vgpr8
                                        ; implicit-def: $vgpr0
                                        ; implicit-def: $vgpr4
	s_andn2_b64 vcc, exec, s[0:1]
	s_cbranch_vccz .LBB119_421
	s_branch .LBB119_423
.LBB119_419:
	v_mov_b32_e32 v8, 0
	s_waitcnt vmcnt(0)
	v_mov_b32_e32 v0, 0
	v_mov_b32_e32 v4, 0
.LBB119_420:
	s_cbranch_execnz .LBB119_423
.LBB119_421:
	s_waitcnt vmcnt(0)
	v_mul_hi_u32 v0, s17, v11
	s_andn2_b64 vcc, exec, s[36:37]
	v_add_u32_e32 v0, v11, v0
	v_lshrrev_b32_e32 v1, s18, v0
	v_mul_lo_u32 v0, v1, s16
	v_sub_u32_e32 v2, v11, v0
	v_mul_lo_u32 v8, v2, s20
	v_mul_lo_u32 v0, v2, s21
	;; [unrolled: 1-line block ×3, first 2 shown]
	s_cbranch_vccnz .LBB119_423
; %bb.422:
	v_mul_hi_u32 v2, s34, v1
	v_add_u32_e32 v2, v1, v2
	v_lshrrev_b32_e32 v2, s35, v2
	v_mul_lo_u32 v2, v2, s19
	v_sub_u32_e32 v2, v1, v2
	v_mad_u64_u32 v[8:9], s[0:1], v2, s23, v[8:9]
	v_mad_u64_u32 v[0:1], s[0:1], v2, s30, v[0:1]
	;; [unrolled: 1-line block ×3, first 2 shown]
.LBB119_423:
	s_waitcnt vmcnt(0)
	v_mov_b32_e32 v1, s11
	s_and_b32 s14, s74, 0xff
	v_add_co_u32_e32 v5, vcc, s10, v0
	s_cmp_lt_i32 s14, 11
	v_addc_co_u32_e32 v6, vcc, 0, v1, vcc
	s_cbranch_scc1 .LBB119_430
; %bb.424:
	s_and_b32 s56, 0xffff, s14
	s_cmp_gt_i32 s56, 25
	s_cbranch_scc0 .LBB119_439
; %bb.425:
	s_cmp_gt_i32 s56, 28
	s_cbranch_scc0 .LBB119_441
; %bb.426:
	;; [unrolled: 3-line block ×4, first 2 shown]
	s_cmp_eq_u32 s56, 46
	s_mov_b64 s[50:51], 0
	s_cbranch_scc0 .LBB119_449
; %bb.429:
	global_load_dword v0, v[5:6], off
	s_mov_b64 s[0:1], -1
	s_mov_b64 s[48:49], 0
	s_waitcnt vmcnt(0)
	v_and_b32_e32 v2, 0xffff0000, v0
	v_lshlrev_b32_e32 v0, 16, v0
	v_cvt_f64_f32_e32 v[0:1], v0
	v_cvt_f64_f32_e32 v[2:3], v2
	s_branch .LBB119_450
.LBB119_430:
	s_mov_b64 s[0:1], 0
                                        ; implicit-def: $vgpr2_vgpr3
	s_mov_b64 s[48:49], s[44:45]
	s_cbranch_execnz .LBB119_519
.LBB119_431:
	s_andn2_b64 vcc, exec, s[0:1]
	s_cbranch_vccnz .LBB119_569
.LBB119_432:
	v_mov_b32_e32 v5, s13
	s_and_b32 s14, s73, 0xff
	v_add_co_u32_e32 v9, vcc, s12, v4
	s_cmp_lt_i32 s14, 11
	v_addc_co_u32_e32 v10, vcc, 0, v5, vcc
	s_cbranch_scc1 .LBB119_440
; %bb.433:
	s_and_b32 s58, 0xffff, s14
	s_cmp_gt_i32 s58, 25
	s_cbranch_scc0 .LBB119_442
; %bb.434:
	s_cmp_gt_i32 s58, 28
	s_cbranch_scc0 .LBB119_444
; %bb.435:
	;; [unrolled: 3-line block ×4, first 2 shown]
	s_cmp_eq_u32 s58, 46
	s_mov_b64 s[52:53], 0
	s_cbranch_scc0 .LBB119_573
; %bb.438:
	global_load_dword v4, v[9:10], off
	s_mov_b64 s[0:1], -1
	s_mov_b64 s[50:51], 0
	s_waitcnt vmcnt(0)
	v_and_b32_e32 v6, 0xffff0000, v4
	v_lshlrev_b32_e32 v4, 16, v4
	v_cvt_f64_f32_e32 v[4:5], v4
	v_cvt_f64_f32_e32 v[6:7], v6
	s_branch .LBB119_574
.LBB119_439:
	s_mov_b64 s[50:51], -1
	s_mov_b64 s[0:1], 0
	s_mov_b64 s[48:49], s[44:45]
                                        ; implicit-def: $vgpr2_vgpr3
	s_branch .LBB119_484
.LBB119_440:
	s_mov_b64 s[52:53], -1
	s_mov_b64 s[0:1], 0
                                        ; implicit-def: $vgpr6_vgpr7
	s_mov_b64 s[50:51], s[42:43]
	s_branch .LBB119_642
.LBB119_441:
	s_mov_b64 s[50:51], -1
	s_mov_b64 s[0:1], 0
	s_mov_b64 s[48:49], s[44:45]
                                        ; implicit-def: $vgpr2_vgpr3
	s_branch .LBB119_463
.LBB119_442:
	s_mov_b64 s[52:53], -1
	s_mov_b64 s[0:1], 0
	s_mov_b64 s[50:51], s[42:43]
                                        ; implicit-def: $vgpr6_vgpr7
	s_branch .LBB119_607
.LBB119_443:
	s_mov_b64 s[50:51], -1
	s_mov_b64 s[0:1], 0
	s_mov_b64 s[48:49], s[44:45]
                                        ; implicit-def: $vgpr2_vgpr3
	s_branch .LBB119_457
.LBB119_444:
	s_mov_b64 s[52:53], -1
	s_mov_b64 s[0:1], 0
	s_mov_b64 s[50:51], s[42:43]
                                        ; implicit-def: $vgpr6_vgpr7
	s_branch .LBB119_586
.LBB119_445:
	s_mov_b64 s[50:51], -1
	s_mov_b64 s[0:1], 0
	s_mov_b64 s[48:49], s[44:45]
                                        ; implicit-def: $vgpr2_vgpr3
	s_branch .LBB119_450
.LBB119_446:
	s_mov_b64 s[52:53], -1
	s_mov_b64 s[0:1], 0
	s_mov_b64 s[50:51], s[42:43]
                                        ; implicit-def: $vgpr6_vgpr7
	s_branch .LBB119_580
.LBB119_447:
	s_andn2_saveexec_b64 s[54:55], s[54:55]
	s_cbranch_execz .LBB119_199
.LBB119_448:
	v_add_f32_e32 v2, 0x46000000, v3
	v_and_b32_e32 v2, 0xff, v2
	v_cmp_ne_u32_e32 vcc, 0, v2
	s_andn2_b64 s[52:53], s[52:53], exec
	s_and_b64 s[58:59], vcc, exec
	s_or_b64 s[52:53], s[52:53], s[58:59]
	s_or_b64 exec, exec, s[54:55]
	v_mov_b32_e32 v4, 0
	s_and_saveexec_b64 s[54:55], s[52:53]
	s_cbranch_execnz .LBB119_200
	s_branch .LBB119_201
.LBB119_449:
	s_mov_b64 s[48:49], -1
                                        ; implicit-def: $vgpr2_vgpr3
	s_mov_b64 s[0:1], 0
.LBB119_450:
	s_and_b64 vcc, exec, s[50:51]
	s_cbranch_vccz .LBB119_456
; %bb.451:
	s_cmp_eq_u32 s56, 44
	s_cbranch_scc0 .LBB119_454
; %bb.452:
	global_load_ubyte v2, v[5:6], off
	s_movk_i32 s48, 0xff
	v_bfrev_b32_e32 v3, 4
	v_mov_b32_e32 v7, 0x7ff80000
	v_bfrev_b32_e32 v9, 28
	s_mov_b64 s[0:1], -1
	s_waitcnt vmcnt(0)
	v_lshlrev_b32_e32 v0, 23, v2
	v_cvt_f64_f32_e32 v[0:1], v0
	v_cmp_ne_u32_e32 vcc, s48, v2
	s_mov_b64 s[48:49], 0
	v_cndmask_b32_e32 v0, v3, v0, vcc
	v_cndmask_b32_e32 v1, v7, v1, vcc
	v_cmp_ne_u32_e32 vcc, 0, v2
	v_cndmask_b32_e32 v1, v9, v1, vcc
	v_cndmask_b32_e32 v0, 0, v0, vcc
	s_branch .LBB119_455
.LBB119_453:
	s_mov_b64 s[52:53], -1
	s_mov_b64 s[0:1], 0
	s_mov_b64 s[50:51], s[42:43]
                                        ; implicit-def: $vgpr6_vgpr7
	s_branch .LBB119_574
.LBB119_454:
	s_mov_b64 s[48:49], -1
                                        ; implicit-def: $vgpr0_vgpr1
.LBB119_455:
	v_mov_b32_e32 v2, 0
	v_mov_b32_e32 v3, 0
.LBB119_456:
	s_mov_b64 s[50:51], 0
.LBB119_457:
	s_and_b64 vcc, exec, s[50:51]
	s_cbranch_vccz .LBB119_462
; %bb.458:
	s_cmp_eq_u32 s56, 29
	s_cbranch_scc0 .LBB119_460
; %bb.459:
	global_load_dwordx2 v[0:1], v[5:6], off
	s_mov_b64 s[0:1], -1
	s_mov_b64 s[48:49], 0
	s_waitcnt vmcnt(0)
	v_cvt_f64_u32_e32 v[1:2], v1
	v_cvt_f64_u32_e32 v[9:10], v0
	v_ldexp_f64 v[1:2], v[1:2], 32
	v_add_f64 v[0:1], v[1:2], v[9:10]
	s_branch .LBB119_461
.LBB119_460:
	s_mov_b64 s[48:49], -1
                                        ; implicit-def: $vgpr0_vgpr1
.LBB119_461:
	v_mov_b32_e32 v2, 0
	v_mov_b32_e32 v3, 0
.LBB119_462:
	s_mov_b64 s[50:51], 0
.LBB119_463:
	s_and_b64 vcc, exec, s[50:51]
	s_cbranch_vccz .LBB119_483
; %bb.464:
	s_cmp_lt_i32 s56, 27
	s_cbranch_scc1 .LBB119_467
; %bb.465:
	s_cmp_gt_i32 s56, 27
	s_cbranch_scc0 .LBB119_468
; %bb.466:
	global_load_dword v0, v[5:6], off
	s_mov_b64 s[0:1], 0
	s_waitcnt vmcnt(0)
	v_cvt_f64_u32_e32 v[0:1], v0
	s_branch .LBB119_469
.LBB119_467:
	s_mov_b64 s[0:1], -1
                                        ; implicit-def: $vgpr0_vgpr1
	s_branch .LBB119_472
.LBB119_468:
	s_mov_b64 s[0:1], -1
                                        ; implicit-def: $vgpr0_vgpr1
.LBB119_469:
	s_andn2_b64 vcc, exec, s[0:1]
	s_cbranch_vccnz .LBB119_471
; %bb.470:
	global_load_ushort v0, v[5:6], off
	s_waitcnt vmcnt(0)
	v_cvt_f64_u32_e32 v[0:1], v0
.LBB119_471:
	s_mov_b64 s[0:1], 0
.LBB119_472:
	s_andn2_b64 vcc, exec, s[0:1]
	s_cbranch_vccnz .LBB119_482
; %bb.473:
	global_load_ubyte v2, v[5:6], off
	s_movk_i32 s0, 0x7f
	s_waitcnt vmcnt(0)
	v_cmp_lt_i16_e32 vcc, s0, v2
	s_mov_b64 s[0:1], 0
	s_and_saveexec_b64 s[50:51], vcc
	s_xor_b64 s[50:51], exec, s[50:51]
	s_cbranch_execz .LBB119_477
; %bb.474:
	s_movk_i32 s0, 0x80
	v_cmp_eq_u16_e32 vcc, s0, v2
	s_mov_b64 s[0:1], -1
	s_and_saveexec_b64 s[52:53], vcc
; %bb.475:
	s_xor_b64 s[0:1], exec, -1
; %bb.476:
	s_or_b64 exec, exec, s[52:53]
	s_and_b64 s[0:1], s[0:1], exec
.LBB119_477:
	s_or_saveexec_b64 s[50:51], s[50:51]
	v_bfrev_b32_e32 v0, 4
	v_mov_b32_e32 v1, 0x7ff80000
	s_xor_b64 exec, exec, s[50:51]
; %bb.478:
	v_cmp_ne_u16_e32 vcc, 0, v2
	v_mov_b32_e32 v0, 0
	s_andn2_b64 s[0:1], s[0:1], exec
	s_and_b64 s[52:53], vcc, exec
	v_mov_b32_e32 v1, 0
	s_or_b64 s[0:1], s[0:1], s[52:53]
; %bb.479:
	s_or_b64 exec, exec, s[50:51]
	s_and_saveexec_b64 s[50:51], s[0:1]
	s_cbranch_execz .LBB119_481
; %bb.480:
	v_and_b32_e32 v1, 0xffff, v2
	v_lshlrev_b32_e32 v0, 24, v2
	v_and_b32_e32 v2, 7, v1
	v_ffbh_u32_e32 v7, v2
	v_min_u32_e32 v7, 32, v7
	v_subrev_u32_e32 v9, 28, v7
	v_bfe_u32 v3, v1, 3, 4
	v_lshlrev_b32_e32 v1, v9, v1
	v_sub_u32_e32 v7, 29, v7
	v_and_b32_e32 v1, 7, v1
	v_cmp_eq_u32_e32 vcc, 0, v3
	v_cndmask_b32_e32 v3, v3, v7, vcc
	v_cndmask_b32_e32 v1, v2, v1, vcc
	v_mov_b32_e32 v2, 0x3b800000
	v_lshlrev_b32_e32 v1, 20, v1
	v_and_b32_e32 v0, 0x80000000, v0
	v_lshl_add_u32 v2, v3, 23, v2
	v_or3_b32 v0, v0, v2, v1
	v_cvt_f64_f32_e32 v[0:1], v0
.LBB119_481:
	s_or_b64 exec, exec, s[50:51]
.LBB119_482:
	v_mov_b32_e32 v2, 0
	v_mov_b32_e32 v3, 0
	s_mov_b64 s[0:1], -1
.LBB119_483:
	s_mov_b64 s[50:51], 0
.LBB119_484:
	s_and_b64 vcc, exec, s[50:51]
	s_cbranch_vccz .LBB119_518
; %bb.485:
	s_cmp_gt_i32 s56, 22
	s_cbranch_scc0 .LBB119_497
; %bb.486:
	s_cmp_lt_i32 s56, 24
	s_cbranch_scc1 .LBB119_498
; %bb.487:
	s_cmp_gt_i32 s56, 24
	s_cbranch_scc0 .LBB119_499
; %bb.488:
	global_load_ubyte v2, v[5:6], off
	s_movk_i32 s0, 0x7f
	s_waitcnt vmcnt(0)
	v_cmp_lt_i16_e32 vcc, s0, v2
	s_mov_b64 s[0:1], 0
	s_and_saveexec_b64 s[50:51], vcc
	s_xor_b64 s[50:51], exec, s[50:51]
	s_cbranch_execz .LBB119_492
; %bb.489:
	s_movk_i32 s0, 0x80
	v_cmp_eq_u16_e32 vcc, s0, v2
	s_mov_b64 s[0:1], -1
	s_and_saveexec_b64 s[52:53], vcc
; %bb.490:
	s_xor_b64 s[0:1], exec, -1
; %bb.491:
	s_or_b64 exec, exec, s[52:53]
	s_and_b64 s[0:1], s[0:1], exec
.LBB119_492:
	s_or_saveexec_b64 s[50:51], s[50:51]
	v_bfrev_b32_e32 v0, 4
	v_mov_b32_e32 v1, 0x7ff80000
	s_xor_b64 exec, exec, s[50:51]
; %bb.493:
	v_cmp_ne_u16_e32 vcc, 0, v2
	v_mov_b32_e32 v0, 0
	s_andn2_b64 s[0:1], s[0:1], exec
	s_and_b64 s[52:53], vcc, exec
	v_mov_b32_e32 v1, 0
	s_or_b64 s[0:1], s[0:1], s[52:53]
; %bb.494:
	s_or_b64 exec, exec, s[50:51]
	s_and_saveexec_b64 s[50:51], s[0:1]
	s_cbranch_execz .LBB119_496
; %bb.495:
	v_and_b32_e32 v1, 0xffff, v2
	v_lshlrev_b32_e32 v0, 24, v2
	v_and_b32_e32 v2, 3, v1
	v_ffbh_u32_e32 v7, v2
	v_min_u32_e32 v7, 32, v7
	v_subrev_u32_e32 v9, 29, v7
	v_bfe_u32 v3, v1, 2, 5
	v_lshlrev_b32_e32 v1, v9, v1
	v_sub_u32_e32 v7, 30, v7
	v_and_b32_e32 v1, 3, v1
	v_cmp_eq_u32_e32 vcc, 0, v3
	v_cndmask_b32_e32 v3, v3, v7, vcc
	v_cndmask_b32_e32 v1, v2, v1, vcc
	v_mov_b32_e32 v2, 0x37800000
	v_lshlrev_b32_e32 v1, 21, v1
	v_and_b32_e32 v0, 0x80000000, v0
	v_lshl_add_u32 v2, v3, 23, v2
	v_or3_b32 v0, v0, v2, v1
	v_cvt_f64_f32_e32 v[0:1], v0
.LBB119_496:
	s_or_b64 exec, exec, s[50:51]
	s_mov_b64 s[0:1], 0
	s_branch .LBB119_500
.LBB119_497:
	s_mov_b64 s[50:51], -1
                                        ; implicit-def: $vgpr0_vgpr1
	s_branch .LBB119_506
.LBB119_498:
	s_mov_b64 s[0:1], -1
                                        ; implicit-def: $vgpr0_vgpr1
	s_branch .LBB119_503
.LBB119_499:
	s_mov_b64 s[0:1], -1
                                        ; implicit-def: $vgpr0_vgpr1
.LBB119_500:
	s_and_b64 vcc, exec, s[0:1]
	s_cbranch_vccz .LBB119_502
; %bb.501:
	global_load_ubyte v0, v[5:6], off
	s_mov_b32 s0, 0x7f800000
	s_waitcnt vmcnt(0)
	v_lshlrev_b32_e32 v0, 24, v0
	v_and_b32_e32 v1, 0x7f000000, v0
	v_ffbh_u32_e32 v2, v1
	v_min_u32_e32 v2, 32, v2
	v_sub_u32_e64 v2, v2, 4 clamp
	v_lshlrev_b32_e32 v7, v2, v1
	v_lshlrev_b32_e32 v2, 23, v2
	v_lshrrev_b32_e32 v7, 4, v7
	v_add_u32_e32 v3, 0x1000000, v1
	v_sub_u32_e32 v2, v7, v2
	v_ashrrev_i32_e32 v3, 8, v3
	v_add_u32_e32 v2, 0x3c000000, v2
	v_and_or_b32 v2, v3, s0, v2
	v_cmp_ne_u32_e32 vcc, 0, v1
	v_cndmask_b32_e32 v1, 0, v2, vcc
	s_brev_b32 s0, 1
	v_and_or_b32 v0, v0, s0, v1
	v_cvt_f64_f32_e32 v[0:1], v0
.LBB119_502:
	s_mov_b64 s[0:1], 0
.LBB119_503:
	s_andn2_b64 vcc, exec, s[0:1]
	s_cbranch_vccnz .LBB119_505
; %bb.504:
	global_load_ubyte v0, v[5:6], off
	s_movk_i32 s0, 0x7f00
	s_brev_b32 s1, 16
	s_waitcnt vmcnt(0)
	v_lshlrev_b16_e32 v1, 8, v0
	v_lshlrev_b32_e32 v0, 25, v0
	v_lshrrev_b32_e32 v2, 4, v0
	v_and_or_b32 v3, v1, s0, 0.5
	v_or_b32_e32 v2, 0x70000000, v2
	v_add_f32_e32 v3, -0.5, v3
	v_mul_f32_e32 v2, 0x7800000, v2
	v_cmp_gt_u32_e32 vcc, s1, v0
	v_bfe_i32 v1, v1, 0, 16
	v_cndmask_b32_e32 v0, v2, v3, vcc
	s_brev_b32 s0, 1
	v_and_or_b32 v0, v1, s0, v0
	v_cvt_f64_f32_e32 v[0:1], v0
.LBB119_505:
	s_mov_b64 s[50:51], 0
	s_mov_b64 s[0:1], -1
.LBB119_506:
	s_andn2_b64 vcc, exec, s[50:51]
	s_cbranch_vccnz .LBB119_517
; %bb.507:
	s_cmp_gt_i32 s56, 14
	s_cbranch_scc0 .LBB119_510
; %bb.508:
	s_cmp_eq_u32 s56, 15
	s_cbranch_scc0 .LBB119_511
; %bb.509:
	global_load_ushort v0, v[5:6], off
	s_mov_b64 s[0:1], -1
	s_mov_b64 s[48:49], 0
	s_waitcnt vmcnt(0)
	v_lshlrev_b32_e32 v0, 16, v0
	v_cvt_f64_f32_e32 v[0:1], v0
	s_branch .LBB119_512
.LBB119_510:
	s_mov_b64 s[50:51], -1
                                        ; implicit-def: $vgpr0_vgpr1
	s_branch .LBB119_513
.LBB119_511:
	s_mov_b64 s[48:49], -1
                                        ; implicit-def: $vgpr0_vgpr1
.LBB119_512:
	s_mov_b64 s[50:51], 0
.LBB119_513:
	s_and_b64 vcc, exec, s[50:51]
	s_cbranch_vccz .LBB119_517
; %bb.514:
	s_cmp_eq_u32 s56, 11
	s_cbranch_scc0 .LBB119_516
; %bb.515:
	global_load_ubyte v1, v[5:6], off
	v_mov_b32_e32 v2, 0x3ff00000
	v_mov_b32_e32 v0, 0
	s_mov_b64 s[0:1], -1
	s_mov_b64 s[48:49], 0
	s_waitcnt vmcnt(0)
	v_cmp_ne_u16_e32 vcc, 0, v1
	v_cndmask_b32_e32 v1, 0, v2, vcc
	s_branch .LBB119_517
.LBB119_516:
	s_mov_b64 s[48:49], -1
                                        ; implicit-def: $vgpr0_vgpr1
.LBB119_517:
	v_mov_b32_e32 v2, 0
	v_mov_b32_e32 v3, 0
.LBB119_518:
	s_branch .LBB119_431
.LBB119_519:
	s_and_b32 s14, 0xffff, s14
	s_cmp_lt_i32 s14, 5
	s_cbranch_scc1 .LBB119_524
; %bb.520:
	s_cmp_lt_i32 s14, 8
	s_cbranch_scc1 .LBB119_525
; %bb.521:
	;; [unrolled: 3-line block ×3, first 2 shown]
	s_cmp_gt_i32 s14, 9
	s_cbranch_scc0 .LBB119_527
; %bb.523:
	global_load_dwordx4 v[0:3], v[5:6], off
	s_mov_b64 s[0:1], 0
	s_branch .LBB119_528
.LBB119_524:
	s_mov_b64 s[0:1], -1
                                        ; implicit-def: $vgpr2_vgpr3
	s_branch .LBB119_547
.LBB119_525:
	s_mov_b64 s[0:1], -1
                                        ; implicit-def: $vgpr2_vgpr3
	s_branch .LBB119_534
.LBB119_526:
	s_mov_b64 s[0:1], -1
                                        ; implicit-def: $vgpr2_vgpr3
	s_branch .LBB119_531
.LBB119_527:
	s_mov_b64 s[0:1], -1
                                        ; implicit-def: $vgpr2_vgpr3
.LBB119_528:
	s_andn2_b64 vcc, exec, s[0:1]
	s_cbranch_vccnz .LBB119_530
; %bb.529:
	global_load_dwordx2 v[1:2], v[5:6], off
	s_waitcnt vmcnt(0)
	v_cvt_f64_f32_e32 v[0:1], v1
	v_cvt_f64_f32_e32 v[2:3], v2
.LBB119_530:
	s_mov_b64 s[0:1], 0
.LBB119_531:
	s_andn2_b64 vcc, exec, s[0:1]
	s_cbranch_vccnz .LBB119_533
; %bb.532:
	global_load_dword v0, v[5:6], off
	s_waitcnt vmcnt(0)
	v_cvt_f32_f16_e32 v1, v0
	v_cvt_f32_f16_sdwa v2, v0 dst_sel:DWORD dst_unused:UNUSED_PAD src0_sel:WORD_1
	v_cvt_f64_f32_e32 v[0:1], v1
	v_cvt_f64_f32_e32 v[2:3], v2
.LBB119_533:
	s_mov_b64 s[0:1], 0
.LBB119_534:
	s_andn2_b64 vcc, exec, s[0:1]
	s_cbranch_vccnz .LBB119_546
; %bb.535:
	s_cmp_lt_i32 s14, 6
	s_cbranch_scc1 .LBB119_538
; %bb.536:
	s_cmp_gt_i32 s14, 6
	s_cbranch_scc0 .LBB119_539
; %bb.537:
	global_load_dwordx2 v[0:1], v[5:6], off
	s_mov_b64 s[0:1], 0
	s_branch .LBB119_540
.LBB119_538:
	s_mov_b64 s[0:1], -1
                                        ; implicit-def: $vgpr0_vgpr1
	s_branch .LBB119_543
.LBB119_539:
	s_mov_b64 s[0:1], -1
                                        ; implicit-def: $vgpr0_vgpr1
.LBB119_540:
	s_andn2_b64 vcc, exec, s[0:1]
	s_cbranch_vccnz .LBB119_542
; %bb.541:
	global_load_dword v0, v[5:6], off
	s_waitcnt vmcnt(0)
	v_cvt_f64_f32_e32 v[0:1], v0
.LBB119_542:
	s_mov_b64 s[0:1], 0
.LBB119_543:
	s_andn2_b64 vcc, exec, s[0:1]
	s_cbranch_vccnz .LBB119_545
; %bb.544:
	global_load_ushort v0, v[5:6], off
	s_waitcnt vmcnt(0)
	v_cvt_f32_f16_e32 v0, v0
	v_cvt_f64_f32_e32 v[0:1], v0
.LBB119_545:
	s_waitcnt vmcnt(0)
	v_mov_b32_e32 v2, 0
	v_mov_b32_e32 v3, 0
.LBB119_546:
	s_mov_b64 s[0:1], 0
.LBB119_547:
	s_andn2_b64 vcc, exec, s[0:1]
	s_cbranch_vccnz .LBB119_568
; %bb.548:
	s_cmp_lt_i32 s14, 2
	s_cbranch_scc1 .LBB119_552
; %bb.549:
	s_cmp_lt_i32 s14, 3
	s_cbranch_scc1 .LBB119_553
; %bb.550:
	s_cmp_gt_i32 s14, 3
	s_cbranch_scc0 .LBB119_554
; %bb.551:
	global_load_dwordx2 v[0:1], v[5:6], off
	s_mov_b64 s[0:1], 0
	s_waitcnt vmcnt(0)
	v_cvt_f64_i32_e32 v[1:2], v1
	v_cvt_f64_u32_e32 v[9:10], v0
	v_ldexp_f64 v[1:2], v[1:2], 32
	v_add_f64 v[0:1], v[1:2], v[9:10]
	s_branch .LBB119_555
.LBB119_552:
	s_mov_b64 s[0:1], -1
                                        ; implicit-def: $vgpr0_vgpr1
	s_branch .LBB119_561
.LBB119_553:
	s_mov_b64 s[0:1], -1
                                        ; implicit-def: $vgpr0_vgpr1
	s_branch .LBB119_558
.LBB119_554:
	s_mov_b64 s[0:1], -1
                                        ; implicit-def: $vgpr0_vgpr1
.LBB119_555:
	s_andn2_b64 vcc, exec, s[0:1]
	s_cbranch_vccnz .LBB119_557
; %bb.556:
	global_load_dword v0, v[5:6], off
	s_waitcnt vmcnt(0)
	v_cvt_f64_i32_e32 v[0:1], v0
.LBB119_557:
	s_mov_b64 s[0:1], 0
.LBB119_558:
	s_andn2_b64 vcc, exec, s[0:1]
	s_cbranch_vccnz .LBB119_560
; %bb.559:
	global_load_sshort v0, v[5:6], off
	s_waitcnt vmcnt(0)
	v_cvt_f64_i32_e32 v[0:1], v0
.LBB119_560:
	s_mov_b64 s[0:1], 0
.LBB119_561:
	s_andn2_b64 vcc, exec, s[0:1]
	s_cbranch_vccnz .LBB119_567
; %bb.562:
	s_cmp_gt_i32 s14, 0
	s_cbranch_scc0 .LBB119_564
; %bb.563:
	global_load_sbyte v0, v[5:6], off
	s_mov_b64 s[0:1], 0
	s_waitcnt vmcnt(0)
	v_cvt_f64_i32_e32 v[0:1], v0
	s_branch .LBB119_565
.LBB119_564:
	s_mov_b64 s[0:1], -1
                                        ; implicit-def: $vgpr0_vgpr1
.LBB119_565:
	s_andn2_b64 vcc, exec, s[0:1]
	s_cbranch_vccnz .LBB119_567
; %bb.566:
	global_load_ubyte v0, v[5:6], off
	s_waitcnt vmcnt(0)
	v_cvt_f64_u32_e32 v[0:1], v0
.LBB119_567:
	s_waitcnt vmcnt(0)
	v_mov_b32_e32 v2, 0
	v_mov_b32_e32 v3, 0
.LBB119_568:
	s_branch .LBB119_432
.LBB119_569:
	s_mov_b64 s[56:57], 0
	s_mov_b64 s[0:1], s[40:41]
	;; [unrolled: 1-line block ×3, first 2 shown]
.LBB119_570:
                                        ; implicit-def: $vgpr11
	s_branch .LBB119_822
.LBB119_571:
	s_andn2_saveexec_b64 s[54:55], s[54:55]
	s_cbranch_execz .LBB119_212
.LBB119_572:
	v_add_f32_e32 v2, 0x42800000, v3
	v_and_b32_e32 v2, 0xff, v2
	v_cmp_ne_u32_e32 vcc, 0, v2
	s_andn2_b64 s[52:53], s[52:53], exec
	s_and_b64 s[58:59], vcc, exec
	s_or_b64 s[52:53], s[52:53], s[58:59]
	s_or_b64 exec, exec, s[54:55]
	v_mov_b32_e32 v4, 0
	s_and_saveexec_b64 s[54:55], s[52:53]
	s_cbranch_execnz .LBB119_213
	s_branch .LBB119_214
.LBB119_573:
	s_mov_b64 s[50:51], -1
                                        ; implicit-def: $vgpr6_vgpr7
	s_mov_b64 s[0:1], 0
.LBB119_574:
	s_and_b64 vcc, exec, s[52:53]
	s_cbranch_vccz .LBB119_579
; %bb.575:
	s_cmp_eq_u32 s58, 44
	s_cbranch_scc0 .LBB119_577
; %bb.576:
	global_load_ubyte v6, v[9:10], off
	s_movk_i32 s50, 0xff
	v_bfrev_b32_e32 v7, 4
	v_mov_b32_e32 v12, 0x7ff80000
	v_bfrev_b32_e32 v13, 28
	s_mov_b64 s[0:1], -1
	s_waitcnt vmcnt(0)
	v_lshlrev_b32_e32 v4, 23, v6
	v_cvt_f64_f32_e32 v[4:5], v4
	v_cmp_ne_u32_e32 vcc, s50, v6
	s_mov_b64 s[50:51], 0
	v_cndmask_b32_e32 v4, v7, v4, vcc
	v_cndmask_b32_e32 v5, v12, v5, vcc
	v_cmp_ne_u32_e32 vcc, 0, v6
	v_cndmask_b32_e32 v5, v13, v5, vcc
	v_cndmask_b32_e32 v4, 0, v4, vcc
	s_branch .LBB119_578
.LBB119_577:
	s_mov_b64 s[50:51], -1
                                        ; implicit-def: $vgpr4_vgpr5
.LBB119_578:
	v_mov_b32_e32 v6, 0
	v_mov_b32_e32 v7, 0
.LBB119_579:
	s_mov_b64 s[52:53], 0
.LBB119_580:
	s_and_b64 vcc, exec, s[52:53]
	s_cbranch_vccz .LBB119_585
; %bb.581:
	s_cmp_eq_u32 s58, 29
	s_cbranch_scc0 .LBB119_583
; %bb.582:
	global_load_dwordx2 v[4:5], v[9:10], off
	s_mov_b64 s[0:1], -1
	s_mov_b64 s[50:51], 0
	s_waitcnt vmcnt(0)
	v_cvt_f64_u32_e32 v[5:6], v5
	v_cvt_f64_u32_e32 v[12:13], v4
	v_ldexp_f64 v[5:6], v[5:6], 32
	v_add_f64 v[4:5], v[5:6], v[12:13]
	s_branch .LBB119_584
.LBB119_583:
	s_mov_b64 s[50:51], -1
                                        ; implicit-def: $vgpr4_vgpr5
.LBB119_584:
	v_mov_b32_e32 v6, 0
	v_mov_b32_e32 v7, 0
.LBB119_585:
	s_mov_b64 s[52:53], 0
.LBB119_586:
	s_and_b64 vcc, exec, s[52:53]
	s_cbranch_vccz .LBB119_606
; %bb.587:
	s_cmp_lt_i32 s58, 27
	s_cbranch_scc1 .LBB119_590
; %bb.588:
	s_cmp_gt_i32 s58, 27
	s_cbranch_scc0 .LBB119_591
; %bb.589:
	global_load_dword v4, v[9:10], off
	s_mov_b64 s[0:1], 0
	s_waitcnt vmcnt(0)
	v_cvt_f64_u32_e32 v[4:5], v4
	s_branch .LBB119_592
.LBB119_590:
	s_mov_b64 s[0:1], -1
                                        ; implicit-def: $vgpr4_vgpr5
	s_branch .LBB119_595
.LBB119_591:
	s_mov_b64 s[0:1], -1
                                        ; implicit-def: $vgpr4_vgpr5
.LBB119_592:
	s_andn2_b64 vcc, exec, s[0:1]
	s_cbranch_vccnz .LBB119_594
; %bb.593:
	global_load_ushort v4, v[9:10], off
	s_waitcnt vmcnt(0)
	v_cvt_f64_u32_e32 v[4:5], v4
.LBB119_594:
	s_mov_b64 s[0:1], 0
.LBB119_595:
	s_andn2_b64 vcc, exec, s[0:1]
	s_cbranch_vccnz .LBB119_605
; %bb.596:
	global_load_ubyte v6, v[9:10], off
	s_movk_i32 s0, 0x7f
	s_waitcnt vmcnt(0)
	v_cmp_lt_i16_e32 vcc, s0, v6
	s_mov_b64 s[0:1], 0
	s_and_saveexec_b64 s[52:53], vcc
	s_xor_b64 s[52:53], exec, s[52:53]
	s_cbranch_execz .LBB119_600
; %bb.597:
	s_movk_i32 s0, 0x80
	v_cmp_eq_u16_e32 vcc, s0, v6
	s_mov_b64 s[0:1], -1
	s_and_saveexec_b64 s[56:57], vcc
; %bb.598:
	s_xor_b64 s[0:1], exec, -1
; %bb.599:
	s_or_b64 exec, exec, s[56:57]
	s_and_b64 s[0:1], s[0:1], exec
.LBB119_600:
	s_or_saveexec_b64 s[52:53], s[52:53]
	v_bfrev_b32_e32 v4, 4
	v_mov_b32_e32 v5, 0x7ff80000
	s_xor_b64 exec, exec, s[52:53]
; %bb.601:
	v_cmp_ne_u16_e32 vcc, 0, v6
	v_mov_b32_e32 v4, 0
	s_andn2_b64 s[0:1], s[0:1], exec
	s_and_b64 s[56:57], vcc, exec
	v_mov_b32_e32 v5, 0
	s_or_b64 s[0:1], s[0:1], s[56:57]
; %bb.602:
	s_or_b64 exec, exec, s[52:53]
	s_and_saveexec_b64 s[52:53], s[0:1]
	s_cbranch_execz .LBB119_604
; %bb.603:
	v_and_b32_e32 v5, 0xffff, v6
	v_lshlrev_b32_e32 v4, 24, v6
	v_and_b32_e32 v6, 7, v5
	v_ffbh_u32_e32 v12, v6
	v_min_u32_e32 v12, 32, v12
	v_subrev_u32_e32 v13, 28, v12
	v_bfe_u32 v7, v5, 3, 4
	v_lshlrev_b32_e32 v5, v13, v5
	v_sub_u32_e32 v12, 29, v12
	v_and_b32_e32 v5, 7, v5
	v_cmp_eq_u32_e32 vcc, 0, v7
	v_cndmask_b32_e32 v7, v7, v12, vcc
	v_cndmask_b32_e32 v5, v6, v5, vcc
	v_mov_b32_e32 v6, 0x3b800000
	v_lshlrev_b32_e32 v5, 20, v5
	v_and_b32_e32 v4, 0x80000000, v4
	v_lshl_add_u32 v6, v7, 23, v6
	v_or3_b32 v4, v4, v6, v5
	v_cvt_f64_f32_e32 v[4:5], v4
.LBB119_604:
	s_or_b64 exec, exec, s[52:53]
.LBB119_605:
	v_mov_b32_e32 v6, 0
	v_mov_b32_e32 v7, 0
	s_mov_b64 s[0:1], -1
.LBB119_606:
	s_mov_b64 s[52:53], 0
.LBB119_607:
	s_and_b64 vcc, exec, s[52:53]
	s_cbranch_vccz .LBB119_641
; %bb.608:
	s_cmp_gt_i32 s58, 22
	s_cbranch_scc0 .LBB119_620
; %bb.609:
	s_cmp_lt_i32 s58, 24
	s_cbranch_scc1 .LBB119_621
; %bb.610:
	s_cmp_gt_i32 s58, 24
	s_cbranch_scc0 .LBB119_622
; %bb.611:
	global_load_ubyte v6, v[9:10], off
	s_movk_i32 s0, 0x7f
	s_waitcnt vmcnt(0)
	v_cmp_lt_i16_e32 vcc, s0, v6
	s_mov_b64 s[0:1], 0
	s_and_saveexec_b64 s[52:53], vcc
	s_xor_b64 s[52:53], exec, s[52:53]
	s_cbranch_execz .LBB119_615
; %bb.612:
	s_movk_i32 s0, 0x80
	v_cmp_eq_u16_e32 vcc, s0, v6
	s_mov_b64 s[0:1], -1
	s_and_saveexec_b64 s[56:57], vcc
; %bb.613:
	s_xor_b64 s[0:1], exec, -1
; %bb.614:
	s_or_b64 exec, exec, s[56:57]
	s_and_b64 s[0:1], s[0:1], exec
.LBB119_615:
	s_or_saveexec_b64 s[52:53], s[52:53]
	v_bfrev_b32_e32 v4, 4
	v_mov_b32_e32 v5, 0x7ff80000
	s_xor_b64 exec, exec, s[52:53]
; %bb.616:
	v_cmp_ne_u16_e32 vcc, 0, v6
	v_mov_b32_e32 v4, 0
	s_andn2_b64 s[0:1], s[0:1], exec
	s_and_b64 s[56:57], vcc, exec
	v_mov_b32_e32 v5, 0
	s_or_b64 s[0:1], s[0:1], s[56:57]
; %bb.617:
	s_or_b64 exec, exec, s[52:53]
	s_and_saveexec_b64 s[52:53], s[0:1]
	s_cbranch_execz .LBB119_619
; %bb.618:
	v_and_b32_e32 v5, 0xffff, v6
	v_lshlrev_b32_e32 v4, 24, v6
	v_and_b32_e32 v6, 3, v5
	v_ffbh_u32_e32 v12, v6
	v_min_u32_e32 v12, 32, v12
	v_subrev_u32_e32 v13, 29, v12
	v_bfe_u32 v7, v5, 2, 5
	v_lshlrev_b32_e32 v5, v13, v5
	v_sub_u32_e32 v12, 30, v12
	v_and_b32_e32 v5, 3, v5
	v_cmp_eq_u32_e32 vcc, 0, v7
	v_cndmask_b32_e32 v7, v7, v12, vcc
	v_cndmask_b32_e32 v5, v6, v5, vcc
	v_mov_b32_e32 v6, 0x37800000
	v_lshlrev_b32_e32 v5, 21, v5
	v_and_b32_e32 v4, 0x80000000, v4
	v_lshl_add_u32 v6, v7, 23, v6
	v_or3_b32 v4, v4, v6, v5
	v_cvt_f64_f32_e32 v[4:5], v4
.LBB119_619:
	s_or_b64 exec, exec, s[52:53]
	s_mov_b64 s[0:1], 0
	s_branch .LBB119_623
.LBB119_620:
	s_mov_b64 s[52:53], -1
                                        ; implicit-def: $vgpr4_vgpr5
	s_branch .LBB119_629
.LBB119_621:
	s_mov_b64 s[0:1], -1
                                        ; implicit-def: $vgpr4_vgpr5
	s_branch .LBB119_626
.LBB119_622:
	s_mov_b64 s[0:1], -1
                                        ; implicit-def: $vgpr4_vgpr5
.LBB119_623:
	s_and_b64 vcc, exec, s[0:1]
	s_cbranch_vccz .LBB119_625
; %bb.624:
	global_load_ubyte v4, v[9:10], off
	s_mov_b32 s0, 0x7f800000
	s_waitcnt vmcnt(0)
	v_lshlrev_b32_e32 v4, 24, v4
	v_and_b32_e32 v5, 0x7f000000, v4
	v_ffbh_u32_e32 v6, v5
	v_min_u32_e32 v6, 32, v6
	v_sub_u32_e64 v6, v6, 4 clamp
	v_lshlrev_b32_e32 v12, v6, v5
	v_lshlrev_b32_e32 v6, 23, v6
	v_lshrrev_b32_e32 v12, 4, v12
	v_add_u32_e32 v7, 0x1000000, v5
	v_sub_u32_e32 v6, v12, v6
	v_ashrrev_i32_e32 v7, 8, v7
	v_add_u32_e32 v6, 0x3c000000, v6
	v_and_or_b32 v6, v7, s0, v6
	v_cmp_ne_u32_e32 vcc, 0, v5
	v_cndmask_b32_e32 v5, 0, v6, vcc
	s_brev_b32 s0, 1
	v_and_or_b32 v4, v4, s0, v5
	v_cvt_f64_f32_e32 v[4:5], v4
.LBB119_625:
	s_mov_b64 s[0:1], 0
.LBB119_626:
	s_andn2_b64 vcc, exec, s[0:1]
	s_cbranch_vccnz .LBB119_628
; %bb.627:
	global_load_ubyte v4, v[9:10], off
	s_movk_i32 s0, 0x7f00
	s_brev_b32 s1, 16
	s_waitcnt vmcnt(0)
	v_lshlrev_b16_e32 v5, 8, v4
	v_lshlrev_b32_e32 v4, 25, v4
	v_lshrrev_b32_e32 v6, 4, v4
	v_and_or_b32 v7, v5, s0, 0.5
	v_or_b32_e32 v6, 0x70000000, v6
	v_add_f32_e32 v7, -0.5, v7
	v_mul_f32_e32 v6, 0x7800000, v6
	v_cmp_gt_u32_e32 vcc, s1, v4
	v_bfe_i32 v5, v5, 0, 16
	v_cndmask_b32_e32 v4, v6, v7, vcc
	s_brev_b32 s0, 1
	v_and_or_b32 v4, v5, s0, v4
	v_cvt_f64_f32_e32 v[4:5], v4
.LBB119_628:
	s_mov_b64 s[52:53], 0
	s_mov_b64 s[0:1], -1
.LBB119_629:
	s_andn2_b64 vcc, exec, s[52:53]
	s_cbranch_vccnz .LBB119_640
; %bb.630:
	s_cmp_gt_i32 s58, 14
	s_cbranch_scc0 .LBB119_633
; %bb.631:
	s_cmp_eq_u32 s58, 15
	s_cbranch_scc0 .LBB119_634
; %bb.632:
	global_load_ushort v4, v[9:10], off
	s_mov_b64 s[0:1], -1
	s_mov_b64 s[50:51], 0
	s_waitcnt vmcnt(0)
	v_lshlrev_b32_e32 v4, 16, v4
	v_cvt_f64_f32_e32 v[4:5], v4
	s_branch .LBB119_635
.LBB119_633:
	s_mov_b64 s[52:53], -1
                                        ; implicit-def: $vgpr4_vgpr5
	s_branch .LBB119_636
.LBB119_634:
	s_mov_b64 s[50:51], -1
                                        ; implicit-def: $vgpr4_vgpr5
.LBB119_635:
	s_mov_b64 s[52:53], 0
.LBB119_636:
	s_and_b64 vcc, exec, s[52:53]
	s_cbranch_vccz .LBB119_640
; %bb.637:
	s_cmp_eq_u32 s58, 11
	s_cbranch_scc0 .LBB119_639
; %bb.638:
	global_load_ubyte v5, v[9:10], off
	v_mov_b32_e32 v6, 0x3ff00000
	v_mov_b32_e32 v4, 0
	s_mov_b64 s[0:1], -1
	s_mov_b64 s[50:51], 0
	s_waitcnt vmcnt(0)
	v_cmp_ne_u16_e32 vcc, 0, v5
	v_cndmask_b32_e32 v5, 0, v6, vcc
	s_branch .LBB119_640
.LBB119_639:
	s_mov_b64 s[50:51], -1
                                        ; implicit-def: $vgpr4_vgpr5
.LBB119_640:
	v_mov_b32_e32 v6, 0
	v_mov_b32_e32 v7, 0
.LBB119_641:
	s_mov_b64 s[52:53], 0
.LBB119_642:
	s_and_b64 vcc, exec, s[52:53]
	s_cbranch_vccz .LBB119_693
; %bb.643:
	s_and_b32 s14, 0xffff, s14
	s_cmp_lt_i32 s14, 5
	s_cbranch_scc1 .LBB119_648
; %bb.644:
	s_cmp_lt_i32 s14, 8
	s_cbranch_scc1 .LBB119_649
; %bb.645:
	;; [unrolled: 3-line block ×3, first 2 shown]
	s_cmp_gt_i32 s14, 9
	s_cbranch_scc0 .LBB119_651
; %bb.647:
	global_load_dwordx4 v[4:7], v[9:10], off
	s_mov_b64 s[0:1], 0
	s_branch .LBB119_652
.LBB119_648:
	s_mov_b64 s[0:1], -1
                                        ; implicit-def: $vgpr6_vgpr7
	s_branch .LBB119_671
.LBB119_649:
	s_mov_b64 s[0:1], -1
                                        ; implicit-def: $vgpr6_vgpr7
	s_branch .LBB119_658
.LBB119_650:
	s_mov_b64 s[0:1], -1
                                        ; implicit-def: $vgpr6_vgpr7
	s_branch .LBB119_655
.LBB119_651:
	s_mov_b64 s[0:1], -1
                                        ; implicit-def: $vgpr6_vgpr7
.LBB119_652:
	s_andn2_b64 vcc, exec, s[0:1]
	s_cbranch_vccnz .LBB119_654
; %bb.653:
	global_load_dwordx2 v[5:6], v[9:10], off
	s_waitcnt vmcnt(0)
	v_cvt_f64_f32_e32 v[4:5], v5
	v_cvt_f64_f32_e32 v[6:7], v6
.LBB119_654:
	s_mov_b64 s[0:1], 0
.LBB119_655:
	s_andn2_b64 vcc, exec, s[0:1]
	s_cbranch_vccnz .LBB119_657
; %bb.656:
	global_load_dword v4, v[9:10], off
	s_waitcnt vmcnt(0)
	v_cvt_f32_f16_e32 v5, v4
	v_cvt_f32_f16_sdwa v6, v4 dst_sel:DWORD dst_unused:UNUSED_PAD src0_sel:WORD_1
	v_cvt_f64_f32_e32 v[4:5], v5
	v_cvt_f64_f32_e32 v[6:7], v6
.LBB119_657:
	s_mov_b64 s[0:1], 0
.LBB119_658:
	s_andn2_b64 vcc, exec, s[0:1]
	s_cbranch_vccnz .LBB119_670
; %bb.659:
	s_cmp_lt_i32 s14, 6
	s_cbranch_scc1 .LBB119_662
; %bb.660:
	s_cmp_gt_i32 s14, 6
	s_cbranch_scc0 .LBB119_663
; %bb.661:
	global_load_dwordx2 v[4:5], v[9:10], off
	s_mov_b64 s[0:1], 0
	s_branch .LBB119_664
.LBB119_662:
	s_mov_b64 s[0:1], -1
                                        ; implicit-def: $vgpr4_vgpr5
	s_branch .LBB119_667
.LBB119_663:
	s_mov_b64 s[0:1], -1
                                        ; implicit-def: $vgpr4_vgpr5
.LBB119_664:
	s_andn2_b64 vcc, exec, s[0:1]
	s_cbranch_vccnz .LBB119_666
; %bb.665:
	global_load_dword v4, v[9:10], off
	s_waitcnt vmcnt(0)
	v_cvt_f64_f32_e32 v[4:5], v4
.LBB119_666:
	s_mov_b64 s[0:1], 0
.LBB119_667:
	s_andn2_b64 vcc, exec, s[0:1]
	s_cbranch_vccnz .LBB119_669
; %bb.668:
	global_load_ushort v4, v[9:10], off
	s_waitcnt vmcnt(0)
	v_cvt_f32_f16_e32 v4, v4
	v_cvt_f64_f32_e32 v[4:5], v4
.LBB119_669:
	s_waitcnt vmcnt(0)
	v_mov_b32_e32 v6, 0
	v_mov_b32_e32 v7, 0
.LBB119_670:
	s_mov_b64 s[0:1], 0
.LBB119_671:
	s_andn2_b64 vcc, exec, s[0:1]
	s_cbranch_vccnz .LBB119_692
; %bb.672:
	s_cmp_lt_i32 s14, 2
	s_cbranch_scc1 .LBB119_676
; %bb.673:
	s_cmp_lt_i32 s14, 3
	s_cbranch_scc1 .LBB119_677
; %bb.674:
	s_cmp_gt_i32 s14, 3
	s_cbranch_scc0 .LBB119_678
; %bb.675:
	global_load_dwordx2 v[4:5], v[9:10], off
	s_mov_b64 s[0:1], 0
	s_waitcnt vmcnt(0)
	v_cvt_f64_i32_e32 v[5:6], v5
	v_cvt_f64_u32_e32 v[12:13], v4
	v_ldexp_f64 v[5:6], v[5:6], 32
	v_add_f64 v[4:5], v[5:6], v[12:13]
	s_branch .LBB119_679
.LBB119_676:
	s_mov_b64 s[0:1], -1
                                        ; implicit-def: $vgpr4_vgpr5
	s_branch .LBB119_685
.LBB119_677:
	s_mov_b64 s[0:1], -1
                                        ; implicit-def: $vgpr4_vgpr5
	s_branch .LBB119_682
.LBB119_678:
	s_mov_b64 s[0:1], -1
                                        ; implicit-def: $vgpr4_vgpr5
.LBB119_679:
	s_andn2_b64 vcc, exec, s[0:1]
	s_cbranch_vccnz .LBB119_681
; %bb.680:
	global_load_dword v4, v[9:10], off
	s_waitcnt vmcnt(0)
	v_cvt_f64_i32_e32 v[4:5], v4
.LBB119_681:
	s_mov_b64 s[0:1], 0
.LBB119_682:
	s_andn2_b64 vcc, exec, s[0:1]
	s_cbranch_vccnz .LBB119_684
; %bb.683:
	global_load_sshort v4, v[9:10], off
	s_waitcnt vmcnt(0)
	v_cvt_f64_i32_e32 v[4:5], v4
.LBB119_684:
	s_mov_b64 s[0:1], 0
.LBB119_685:
	s_andn2_b64 vcc, exec, s[0:1]
	s_cbranch_vccnz .LBB119_691
; %bb.686:
	s_cmp_gt_i32 s14, 0
	s_cbranch_scc0 .LBB119_688
; %bb.687:
	global_load_sbyte v4, v[9:10], off
	s_mov_b64 s[0:1], 0
	s_waitcnt vmcnt(0)
	v_cvt_f64_i32_e32 v[4:5], v4
	s_branch .LBB119_689
.LBB119_688:
	s_mov_b64 s[0:1], -1
                                        ; implicit-def: $vgpr4_vgpr5
.LBB119_689:
	s_andn2_b64 vcc, exec, s[0:1]
	s_cbranch_vccnz .LBB119_691
; %bb.690:
	global_load_ubyte v4, v[9:10], off
	s_waitcnt vmcnt(0)
	v_cvt_f64_u32_e32 v[4:5], v4
.LBB119_691:
	s_waitcnt vmcnt(0)
	v_mov_b32_e32 v6, 0
	v_mov_b32_e32 v7, 0
.LBB119_692:
	s_mov_b64 s[0:1], -1
.LBB119_693:
	s_andn2_b64 vcc, exec, s[0:1]
	s_cbranch_vccnz .LBB119_696
; %bb.694:
	s_andn2_b64 vcc, exec, s[28:29]
	s_cbranch_vccnz .LBB119_697
; %bb.695:
	s_waitcnt vmcnt(0)
	v_cmp_neq_f64_e32 vcc, v[0:1], v[4:5]
	v_cmp_neq_f64_e64 s[0:1], v[2:3], v[6:7]
	s_or_b64 s[52:53], vcc, s[0:1]
	s_mov_b64 s[0:1], 0
	s_branch .LBB119_698
.LBB119_696:
	s_mov_b64 s[56:57], 0
                                        ; implicit-def: $vgpr11
	s_mov_b64 s[0:1], s[40:41]
	s_branch .LBB119_822
.LBB119_697:
	s_mov_b64 s[0:1], -1
                                        ; implicit-def: $sgpr52_sgpr53
.LBB119_698:
	s_andn2_b64 vcc, exec, s[0:1]
	s_cbranch_vccnz .LBB119_700
; %bb.699:
	s_waitcnt vmcnt(0)
	v_cmp_eq_f64_e32 vcc, v[0:1], v[4:5]
	v_cmp_eq_f64_e64 s[0:1], v[2:3], v[6:7]
	s_andn2_b64 s[52:53], s[52:53], exec
	s_and_b64 s[0:1], vcc, s[0:1]
	s_and_b64 s[0:1], s[0:1], exec
	s_or_b64 s[52:53], s[52:53], s[0:1]
.LBB119_700:
	s_waitcnt vmcnt(0)
	v_mov_b32_e32 v1, s9
	s_and_b32 s14, s15, 0xff
	v_add_co_u32_e32 v0, vcc, s8, v8
	s_cmp_lt_i32 s14, 11
	v_addc_co_u32_e32 v1, vcc, 0, v1, vcc
	s_cbranch_scc1 .LBB119_707
; %bb.701:
	s_and_b32 s62, 0xffff, s14
	s_cmp_gt_i32 s62, 25
	s_cbranch_scc0 .LBB119_708
; %bb.702:
	s_cmp_gt_i32 s62, 28
	s_cbranch_scc0 .LBB119_709
; %bb.703:
	;; [unrolled: 3-line block ×4, first 2 shown]
	s_mov_b64 s[58:59], 0
	s_mov_b64 s[0:1], -1
	s_cmp_eq_u32 s62, 46
	s_mov_b64 s[56:57], 0
	s_cbranch_scc0 .LBB119_712
; %bb.706:
	v_cndmask_b32_e64 v2, 0, 1.0, s[52:53]
	v_bfe_u32 v3, v2, 16, 1
	s_movk_i32 s0, 0x7fff
	v_add3_u32 v2, v2, v3, s0
	v_lshrrev_b32_e32 v2, 16, v2
	global_store_dword v[0:1], v2, off
	s_mov_b64 s[56:57], -1
	s_mov_b64 s[0:1], 0
	s_branch .LBB119_712
.LBB119_707:
	s_mov_b64 s[58:59], -1
	s_mov_b64 s[56:57], 0
	s_mov_b64 s[0:1], s[40:41]
	s_branch .LBB119_781
.LBB119_708:
	s_mov_b64 s[58:59], -1
	s_mov_b64 s[56:57], 0
	s_mov_b64 s[0:1], s[40:41]
	s_branch .LBB119_739
.LBB119_709:
	s_mov_b64 s[58:59], -1
	s_mov_b64 s[56:57], 0
	s_mov_b64 s[0:1], s[40:41]
	s_branch .LBB119_722
.LBB119_710:
	s_mov_b64 s[58:59], -1
	s_mov_b64 s[56:57], 0
	s_mov_b64 s[0:1], s[40:41]
	s_branch .LBB119_718
.LBB119_711:
	s_mov_b64 s[58:59], -1
	s_mov_b64 s[56:57], 0
	s_mov_b64 s[0:1], s[40:41]
.LBB119_712:
	s_and_b64 vcc, exec, s[58:59]
	s_cbranch_vccz .LBB119_717
; %bb.713:
	s_cmp_eq_u32 s62, 44
	s_mov_b64 s[0:1], -1
	s_cbranch_scc0 .LBB119_717
; %bb.714:
	v_cndmask_b32_e64 v3, 0, 1.0, s[52:53]
	v_lshrrev_b32_e32 v2, 23, v3
	s_movk_i32 s0, 0xff
	v_cmp_ne_u32_e32 vcc, s0, v2
	v_mov_b32_e32 v4, 0xff
	s_and_saveexec_b64 s[56:57], vcc
; %bb.715:
	s_mov_b32 s0, 0x3fffff
	v_and_b32_e32 v4, 0x400000, v3
	v_and_or_b32 v3, v3, s0, v2
	v_cmp_ne_u32_e32 vcc, 0, v4
	v_cmp_ne_u32_e64 s[0:1], 0, v3
	s_and_b64 s[0:1], vcc, s[0:1]
	v_cndmask_b32_e64 v3, 0, 1, s[0:1]
	v_add_u32_e32 v4, v2, v3
; %bb.716:
	s_or_b64 exec, exec, s[56:57]
	s_mov_b64 s[56:57], -1
	s_mov_b64 s[0:1], 0
	global_store_byte v[0:1], v4, off
.LBB119_717:
	s_mov_b64 s[58:59], 0
.LBB119_718:
	s_and_b64 vcc, exec, s[58:59]
	s_cbranch_vccz .LBB119_721
; %bb.719:
	s_cmp_eq_u32 s62, 29
	s_mov_b64 s[0:1], -1
	s_cbranch_scc0 .LBB119_721
; %bb.720:
	s_mov_b32 s0, 0
	v_cndmask_b32_e64 v2, 0, 1, s[52:53]
	v_mov_b32_e32 v3, s0
	global_store_dwordx2 v[0:1], v[2:3], off
	s_mov_b64 s[56:57], -1
	s_mov_b64 s[0:1], 0
.LBB119_721:
	s_mov_b64 s[58:59], 0
.LBB119_722:
	s_and_b64 vcc, exec, s[58:59]
	s_cbranch_vccz .LBB119_738
; %bb.723:
	s_cmp_lt_i32 s62, 27
	s_mov_b64 s[56:57], -1
	s_cbranch_scc1 .LBB119_729
; %bb.724:
	s_cmp_gt_i32 s62, 27
	s_cbranch_scc0 .LBB119_726
; %bb.725:
	v_cndmask_b32_e64 v2, 0, 1, s[52:53]
	s_mov_b64 s[56:57], 0
	global_store_dword v[0:1], v2, off
.LBB119_726:
	s_andn2_b64 vcc, exec, s[56:57]
	s_cbranch_vccnz .LBB119_728
; %bb.727:
	v_cndmask_b32_e64 v2, 0, 1, s[52:53]
	global_store_short v[0:1], v2, off
.LBB119_728:
	s_mov_b64 s[56:57], 0
.LBB119_729:
	s_andn2_b64 vcc, exec, s[56:57]
	s_cbranch_vccnz .LBB119_737
; %bb.730:
	v_cndmask_b32_e64 v3, 0, 1.0, s[52:53]
	s_mov_b32 s56, 0x43800000
	v_cmp_gt_u32_e32 vcc, s56, v3
	v_mov_b32_e32 v4, 0x80
	s_and_saveexec_b64 s[56:57], vcc
	s_cbranch_execz .LBB119_736
; %bb.731:
	s_mov_b32 s58, 0x3bffffff
	v_cmp_lt_u32_e32 vcc, s58, v3
	s_mov_b64 s[58:59], 0
                                        ; implicit-def: $vgpr2
	s_and_saveexec_b64 s[60:61], vcc
	s_xor_b64 s[60:61], exec, s[60:61]
	s_cbranch_execz .LBB119_850
; %bb.732:
	v_bfe_u32 v2, v3, 20, 1
	s_mov_b32 s63, 0x487ffff
	v_add3_u32 v2, v3, v2, s63
	s_mov_b64 s[58:59], exec
	v_lshrrev_b32_e32 v2, 20, v2
                                        ; implicit-def: $vgpr3
	s_andn2_saveexec_b64 s[60:61], s[60:61]
	s_cbranch_execnz .LBB119_851
.LBB119_733:
	s_or_b64 exec, exec, s[60:61]
	v_mov_b32_e32 v4, 0
	s_and_saveexec_b64 s[60:61], s[58:59]
.LBB119_734:
	v_mov_b32_e32 v4, v2
.LBB119_735:
	s_or_b64 exec, exec, s[60:61]
.LBB119_736:
	s_or_b64 exec, exec, s[56:57]
	global_store_byte v[0:1], v4, off
.LBB119_737:
	s_mov_b64 s[56:57], -1
.LBB119_738:
	s_mov_b64 s[58:59], 0
.LBB119_739:
	s_and_b64 vcc, exec, s[58:59]
	s_cbranch_vccz .LBB119_780
; %bb.740:
	s_cmp_gt_i32 s62, 22
	s_mov_b64 s[58:59], -1
	s_cbranch_scc0 .LBB119_772
; %bb.741:
	s_cmp_lt_i32 s62, 24
	s_mov_b64 s[56:57], -1
	s_cbranch_scc1 .LBB119_761
; %bb.742:
	s_cmp_gt_i32 s62, 24
	s_cbranch_scc0 .LBB119_750
; %bb.743:
	v_cndmask_b32_e64 v3, 0, 1.0, s[52:53]
	s_mov_b32 s56, 0x47800000
	v_cmp_gt_u32_e32 vcc, s56, v3
	v_mov_b32_e32 v4, 0x80
	s_and_saveexec_b64 s[56:57], vcc
	s_cbranch_execz .LBB119_749
; %bb.744:
	s_mov_b32 s58, 0x37ffffff
	v_cmp_lt_u32_e32 vcc, s58, v3
	s_mov_b64 s[58:59], 0
                                        ; implicit-def: $vgpr2
	s_and_saveexec_b64 s[60:61], vcc
	s_xor_b64 s[60:61], exec, s[60:61]
	s_cbranch_execz .LBB119_987
; %bb.745:
	v_bfe_u32 v2, v3, 21, 1
	s_mov_b32 s63, 0x88fffff
	v_add3_u32 v2, v3, v2, s63
	s_mov_b64 s[58:59], exec
	v_lshrrev_b32_e32 v2, 21, v2
                                        ; implicit-def: $vgpr3
	s_andn2_saveexec_b64 s[60:61], s[60:61]
	s_cbranch_execnz .LBB119_988
.LBB119_746:
	s_or_b64 exec, exec, s[60:61]
	v_mov_b32_e32 v4, 0
	s_and_saveexec_b64 s[60:61], s[58:59]
.LBB119_747:
	v_mov_b32_e32 v4, v2
.LBB119_748:
	s_or_b64 exec, exec, s[60:61]
.LBB119_749:
	s_or_b64 exec, exec, s[56:57]
	s_mov_b64 s[56:57], 0
	global_store_byte v[0:1], v4, off
.LBB119_750:
	s_and_b64 vcc, exec, s[56:57]
	s_cbranch_vccz .LBB119_760
; %bb.751:
	v_cndmask_b32_e64 v2, 0, 1.0, s[52:53]
	s_mov_b32 s56, 0x43f00000
	v_cmp_gt_u32_e32 vcc, s56, v2
                                        ; implicit-def: $vgpr3
	s_and_saveexec_b64 s[56:57], vcc
	s_xor_b64 s[56:57], exec, s[56:57]
	s_cbranch_execz .LBB119_757
; %bb.752:
	s_mov_b32 s58, 0x3c7fffff
	v_cmp_lt_u32_e32 vcc, s58, v2
                                        ; implicit-def: $vgpr3
	s_and_saveexec_b64 s[58:59], vcc
	s_xor_b64 s[58:59], exec, s[58:59]
; %bb.753:
	v_bfe_u32 v3, v2, 20, 1
	s_mov_b32 s60, 0x407ffff
	v_add3_u32 v2, v2, v3, s60
	v_lshrrev_b32_e32 v3, 20, v2
	v_and_b32_e32 v2, 0xff00000, v2
	s_mov_b32 s60, 0x7f00000
	v_mov_b32_e32 v4, 0x7e
	v_cmp_ne_u32_e32 vcc, s60, v2
	v_cndmask_b32_e32 v3, v4, v3, vcc
                                        ; implicit-def: $vgpr2
; %bb.754:
	s_andn2_saveexec_b64 s[58:59], s[58:59]
; %bb.755:
	v_add_f32_e32 v3, 0x46800000, v2
; %bb.756:
	s_or_b64 exec, exec, s[58:59]
                                        ; implicit-def: $vgpr2
.LBB119_757:
	s_andn2_saveexec_b64 s[56:57], s[56:57]
; %bb.758:
	s_mov_b32 s58, 0x7f800000
	v_mov_b32_e32 v3, 0x7e
	v_mov_b32_e32 v4, 0x7f
	v_cmp_lt_u32_e32 vcc, s58, v2
	v_cndmask_b32_e32 v3, v3, v4, vcc
; %bb.759:
	s_or_b64 exec, exec, s[56:57]
	global_store_byte v[0:1], v3, off
.LBB119_760:
	s_mov_b64 s[56:57], 0
.LBB119_761:
	s_andn2_b64 vcc, exec, s[56:57]
	s_cbranch_vccnz .LBB119_771
; %bb.762:
	v_cndmask_b32_e64 v2, 0, 1.0, s[52:53]
	s_mov_b32 s56, 0x47800000
	v_cmp_gt_u32_e32 vcc, s56, v2
                                        ; implicit-def: $vgpr3
	s_and_saveexec_b64 s[56:57], vcc
	s_xor_b64 s[56:57], exec, s[56:57]
	s_cbranch_execz .LBB119_768
; %bb.763:
	s_mov_b32 s58, 0x387fffff
	v_cmp_lt_u32_e32 vcc, s58, v2
                                        ; implicit-def: $vgpr3
	s_and_saveexec_b64 s[58:59], vcc
	s_xor_b64 s[58:59], exec, s[58:59]
; %bb.764:
	v_bfe_u32 v3, v2, 21, 1
	s_mov_b32 s60, 0x80fffff
	v_add3_u32 v2, v2, v3, s60
	v_lshrrev_b32_e32 v3, 21, v2
                                        ; implicit-def: $vgpr2
; %bb.765:
	s_andn2_saveexec_b64 s[58:59], s[58:59]
; %bb.766:
	v_add_f32_e32 v3, 0x43000000, v2
; %bb.767:
	s_or_b64 exec, exec, s[58:59]
                                        ; implicit-def: $vgpr2
.LBB119_768:
	s_andn2_saveexec_b64 s[56:57], s[56:57]
; %bb.769:
	s_mov_b32 s58, 0x7f800000
	v_mov_b32_e32 v3, 0x7c
	v_mov_b32_e32 v4, 0x7f
	v_cmp_lt_u32_e32 vcc, s58, v2
	v_cndmask_b32_e32 v3, v3, v4, vcc
; %bb.770:
	s_or_b64 exec, exec, s[56:57]
	global_store_byte v[0:1], v3, off
.LBB119_771:
	s_mov_b64 s[58:59], 0
	s_mov_b64 s[56:57], -1
.LBB119_772:
	s_andn2_b64 vcc, exec, s[58:59]
	s_cbranch_vccnz .LBB119_780
; %bb.773:
	s_cmp_gt_i32 s62, 14
	s_mov_b64 s[58:59], -1
	s_cbranch_scc0 .LBB119_777
; %bb.774:
	s_cmp_eq_u32 s62, 15
	s_mov_b64 s[0:1], -1
	s_cbranch_scc0 .LBB119_776
; %bb.775:
	v_cndmask_b32_e64 v2, 0, 1.0, s[52:53]
	v_bfe_u32 v3, v2, 16, 1
	s_movk_i32 s0, 0x7fff
	v_add3_u32 v2, v2, v3, s0
	global_store_short_d16_hi v[0:1], v2, off
	s_mov_b64 s[56:57], -1
	s_mov_b64 s[0:1], 0
.LBB119_776:
	s_mov_b64 s[58:59], 0
.LBB119_777:
	s_and_b64 vcc, exec, s[58:59]
	s_cbranch_vccz .LBB119_780
; %bb.778:
	s_cmp_eq_u32 s62, 11
	s_mov_b64 s[0:1], -1
	s_cbranch_scc0 .LBB119_780
; %bb.779:
	v_cndmask_b32_e64 v2, 0, 1, s[52:53]
	s_mov_b64 s[56:57], -1
	s_mov_b64 s[0:1], 0
	global_store_byte v[0:1], v2, off
.LBB119_780:
	s_mov_b64 s[58:59], 0
.LBB119_781:
	s_and_b64 vcc, exec, s[58:59]
	s_cbranch_vccz .LBB119_820
; %bb.782:
	s_and_b32 s14, 0xffff, s14
	s_cmp_lt_i32 s14, 5
	s_mov_b64 s[56:57], -1
	s_cbranch_scc1 .LBB119_803
; %bb.783:
	s_cmp_lt_i32 s14, 8
	s_cbranch_scc1 .LBB119_793
; %bb.784:
	s_cmp_lt_i32 s14, 9
	s_cbranch_scc1 .LBB119_790
; %bb.785:
	s_cmp_gt_i32 s14, 9
	s_cbranch_scc0 .LBB119_787
; %bb.786:
	v_cndmask_b32_e64 v2, 0, 1, s[52:53]
	v_cvt_f64_u32_e32 v[2:3], v2
	v_mov_b32_e32 v4, 0
	v_mov_b32_e32 v5, v4
	s_mov_b64 s[56:57], 0
	global_store_dwordx4 v[0:1], v[2:5], off
.LBB119_787:
	s_andn2_b64 vcc, exec, s[56:57]
	s_cbranch_vccnz .LBB119_789
; %bb.788:
	v_cndmask_b32_e64 v2, 0, 1.0, s[52:53]
	v_mov_b32_e32 v3, 0
	global_store_dwordx2 v[0:1], v[2:3], off
.LBB119_789:
	s_mov_b64 s[56:57], 0
.LBB119_790:
	s_andn2_b64 vcc, exec, s[56:57]
	s_cbranch_vccnz .LBB119_792
; %bb.791:
	v_cndmask_b32_e64 v2, 0, 1.0, s[52:53]
	v_cvt_f16_f32_e32 v2, v2
	global_store_dword v[0:1], v2, off
.LBB119_792:
	s_mov_b64 s[56:57], 0
.LBB119_793:
	s_andn2_b64 vcc, exec, s[56:57]
	s_cbranch_vccnz .LBB119_802
; %bb.794:
	s_cmp_lt_i32 s14, 6
	s_mov_b64 s[56:57], -1
	s_cbranch_scc1 .LBB119_800
; %bb.795:
	s_cmp_gt_i32 s14, 6
	s_cbranch_scc0 .LBB119_797
; %bb.796:
	v_cndmask_b32_e64 v2, 0, 1, s[52:53]
	v_cvt_f64_u32_e32 v[2:3], v2
	s_mov_b64 s[56:57], 0
	global_store_dwordx2 v[0:1], v[2:3], off
.LBB119_797:
	s_andn2_b64 vcc, exec, s[56:57]
	s_cbranch_vccnz .LBB119_799
; %bb.798:
	v_cndmask_b32_e64 v2, 0, 1.0, s[52:53]
	global_store_dword v[0:1], v2, off
.LBB119_799:
	s_mov_b64 s[56:57], 0
.LBB119_800:
	s_andn2_b64 vcc, exec, s[56:57]
	s_cbranch_vccnz .LBB119_802
; %bb.801:
	v_cndmask_b32_e64 v2, 0, 1.0, s[52:53]
	v_cvt_f16_f32_e32 v2, v2
	global_store_short v[0:1], v2, off
.LBB119_802:
	s_mov_b64 s[56:57], 0
.LBB119_803:
	s_andn2_b64 vcc, exec, s[56:57]
	s_cbranch_vccnz .LBB119_819
; %bb.804:
	s_cmp_lt_i32 s14, 2
	s_mov_b64 s[56:57], -1
	s_cbranch_scc1 .LBB119_814
; %bb.805:
	s_cmp_lt_i32 s14, 3
	s_cbranch_scc1 .LBB119_811
; %bb.806:
	s_cmp_gt_i32 s14, 3
	s_cbranch_scc0 .LBB119_808
; %bb.807:
	s_mov_b32 s56, 0
	v_cndmask_b32_e64 v2, 0, 1, s[52:53]
	v_mov_b32_e32 v3, s56
	s_mov_b64 s[56:57], 0
	global_store_dwordx2 v[0:1], v[2:3], off
.LBB119_808:
	s_andn2_b64 vcc, exec, s[56:57]
	s_cbranch_vccnz .LBB119_810
; %bb.809:
	v_cndmask_b32_e64 v2, 0, 1, s[52:53]
	global_store_dword v[0:1], v2, off
.LBB119_810:
	s_mov_b64 s[56:57], 0
.LBB119_811:
	s_andn2_b64 vcc, exec, s[56:57]
	s_cbranch_vccnz .LBB119_813
; %bb.812:
	v_cndmask_b32_e64 v2, 0, 1, s[52:53]
	global_store_short v[0:1], v2, off
.LBB119_813:
	s_mov_b64 s[56:57], 0
.LBB119_814:
	s_andn2_b64 vcc, exec, s[56:57]
	s_cbranch_vccnz .LBB119_819
; %bb.815:
	s_mov_b64 s[56:57], -1
	s_cmp_gt_i32 s14, 0
	v_cndmask_b32_e64 v2, 0, 1, s[52:53]
	s_cbranch_scc0 .LBB119_817
; %bb.816:
	s_mov_b64 s[56:57], 0
	global_store_byte v[0:1], v2, off
.LBB119_817:
	s_andn2_b64 vcc, exec, s[56:57]
	s_cbranch_vccnz .LBB119_819
; %bb.818:
	global_store_byte v[0:1], v2, off
.LBB119_819:
	s_mov_b64 s[56:57], -1
.LBB119_820:
	s_andn2_b64 vcc, exec, s[56:57]
	s_cbranch_vccnz .LBB119_832
; %bb.821:
	v_add_u32_e32 v11, 0x80, v11
	s_mov_b64 s[56:57], -1
.LBB119_822:
	s_andn2_b64 s[52:53], s[40:41], exec
	s_and_b64 s[0:1], s[0:1], exec
	s_or_b64 s[52:53], s[52:53], s[0:1]
	s_andn2_b64 s[0:1], s[42:43], exec
	s_and_b64 s[50:51], s[50:51], exec
	s_or_b64 s[50:51], s[0:1], s[50:51]
	;; [unrolled: 3-line block ×3, first 2 shown]
	s_orn2_b64 s[0:1], s[56:57], exec
.LBB119_823:
	s_or_b64 exec, exec, s[54:55]
	s_mov_b64 s[56:57], 0
	s_mov_b64 s[58:59], 0
	;; [unrolled: 1-line block ×3, first 2 shown]
                                        ; implicit-def: $sgpr14
                                        ; implicit-def: $vgpr5_vgpr6
                                        ; implicit-def: $vgpr8
                                        ; implicit-def: $vgpr4
                                        ; implicit-def: $vgpr2_vgpr3
	s_and_saveexec_b64 s[54:55], s[0:1]
	s_cbranch_execz .LBB119_1338
; %bb.824:
	v_cmp_gt_i32_e32 vcc, s70, v11
	s_mov_b64 s[68:69], -1
	s_mov_b64 s[0:1], s[48:49]
	s_mov_b64 s[60:61], s[50:51]
	;; [unrolled: 1-line block ×3, first 2 shown]
	s_and_saveexec_b64 s[56:57], vcc
	s_cbranch_execz .LBB119_1239
; %bb.825:
	s_andn2_b64 vcc, exec, s[24:25]
	s_cbranch_vccnz .LBB119_831
; %bb.826:
	s_andn2_b64 vcc, exec, s[38:39]
	s_cbranch_vccnz .LBB119_833
; %bb.827:
	s_add_i32 s0, s75, 1
	s_and_b32 s14, s0, 30
	s_add_u32 s0, s2, 0xffffffe8
	s_addc_u32 s1, s3, -1
	s_waitcnt vmcnt(0)
	v_mov_b32_e32 v4, 0
	v_mov_b32_e32 v0, 0
	;; [unrolled: 1-line block ×4, first 2 shown]
.LBB119_828:                            ; =>This Inner Loop Header: Depth=1
	s_load_dwordx4 s[60:63], s[0:1], 0x1c
	s_load_dwordx2 s[58:59], s[0:1], 0x2c
	s_load_dwordx2 s[68:69], s[0:1], 0xec
	s_load_dwordx4 s[64:67], s[0:1], 0xdc
	s_add_u32 s0, s0, 24
	s_waitcnt lgkmcnt(0)
	v_mul_hi_u32 v2, s61, v1
	s_addc_u32 s1, s1, 0
	s_add_i32 s14, s14, -2
	s_cmp_eq_u32 s14, 0
	v_add_u32_e32 v2, v1, v2
	v_lshrrev_b32_e32 v2, s62, v2
	v_mul_lo_u32 v3, v2, s60
	v_mul_hi_u32 v5, s58, v2
	v_sub_u32_e32 v3, v1, v3
	v_add_u32_e32 v1, v2, v5
	v_lshrrev_b32_e32 v1, s59, v1
	v_mul_lo_u32 v7, v1, s63
	v_mul_lo_u32 v5, v3, s64
	;; [unrolled: 1-line block ×4, first 2 shown]
	v_sub_u32_e32 v2, v2, v7
	v_mul_lo_u32 v7, v2, s67
	v_mul_lo_u32 v9, v2, s68
	;; [unrolled: 1-line block ×3, first 2 shown]
	v_add3_u32 v8, v5, v8, v7
	v_add3_u32 v0, v6, v0, v9
	;; [unrolled: 1-line block ×3, first 2 shown]
	s_cbranch_scc0 .LBB119_828
; %bb.829:
	s_bitcmp1_b32 s75, 0
	s_cselect_b64 s[58:59], -1, 0
	s_and_b64 vcc, exec, s[58:59]
	s_cbranch_vccnz .LBB119_834
; %bb.830:
	s_load_dwordx2 s[58:59], s[0:1], 0x1c
	s_load_dword s14, s[0:1], 0x24
	s_load_dwordx2 s[60:61], s[0:1], 0xdc
	s_waitcnt lgkmcnt(0)
	v_mul_hi_u32 v2, s59, v1
	v_add_u32_e32 v2, v1, v2
	v_lshrrev_b32_e32 v2, s14, v2
	v_mul_lo_u32 v2, v2, s58
	s_load_dword s14, s[0:1], 0xe4
	v_sub_u32_e32 v2, v1, v2
	v_mad_u64_u32 v[8:9], s[0:1], v2, s60, v[8:9]
	v_mad_u64_u32 v[0:1], s[0:1], v2, s61, v[0:1]
	s_waitcnt lgkmcnt(0)
	v_mad_u64_u32 v[4:5], s[0:1], v2, s14, v[4:5]
	s_branch .LBB119_834
.LBB119_831:
	s_mov_b64 s[0:1], -1
                                        ; implicit-def: $vgpr8
                                        ; implicit-def: $vgpr0
                                        ; implicit-def: $vgpr4
	s_branch .LBB119_835
.LBB119_832:
	s_mov_b64 s[56:57], 0
	s_branch .LBB119_570
.LBB119_833:
	v_mov_b32_e32 v8, 0
	s_waitcnt vmcnt(0)
	v_mov_b32_e32 v0, 0
	v_mov_b32_e32 v4, 0
.LBB119_834:
	s_mov_b64 s[0:1], 0
.LBB119_835:
	s_andn2_b64 vcc, exec, s[0:1]
	s_cbranch_vccnz .LBB119_838
; %bb.836:
	s_waitcnt vmcnt(0)
	v_mul_hi_u32 v0, s17, v11
	s_andn2_b64 vcc, exec, s[36:37]
	v_add_u32_e32 v0, v11, v0
	v_lshrrev_b32_e32 v1, s18, v0
	v_mul_lo_u32 v0, v1, s16
	v_sub_u32_e32 v2, v11, v0
	v_mul_lo_u32 v8, v2, s20
	v_mul_lo_u32 v0, v2, s21
	v_mul_lo_u32 v4, v2, s22
	s_cbranch_vccnz .LBB119_838
; %bb.837:
	v_mul_hi_u32 v2, s34, v1
	v_add_u32_e32 v2, v1, v2
	v_lshrrev_b32_e32 v2, s35, v2
	v_mul_lo_u32 v2, v2, s19
	v_sub_u32_e32 v2, v1, v2
	v_mad_u64_u32 v[8:9], s[0:1], v2, s23, v[8:9]
	v_mad_u64_u32 v[0:1], s[0:1], v2, s30, v[0:1]
	;; [unrolled: 1-line block ×3, first 2 shown]
.LBB119_838:
	s_waitcnt vmcnt(0)
	v_mov_b32_e32 v1, s11
	s_and_b32 s14, s74, 0xff
	v_add_co_u32_e32 v5, vcc, s10, v0
	s_cmp_lt_i32 s14, 11
	v_addc_co_u32_e32 v6, vcc, 0, v1, vcc
	s_cbranch_scc1 .LBB119_845
; %bb.839:
	s_and_b32 s64, 0xffff, s14
	s_cmp_gt_i32 s64, 25
	s_cbranch_scc0 .LBB119_846
; %bb.840:
	s_cmp_gt_i32 s64, 28
	s_cbranch_scc0 .LBB119_847
; %bb.841:
	;; [unrolled: 3-line block ×4, first 2 shown]
	s_cmp_eq_u32 s64, 46
	s_mov_b64 s[60:61], 0
	s_cbranch_scc0 .LBB119_852
; %bb.844:
	global_load_dword v0, v[5:6], off
	s_mov_b64 s[0:1], -1
	s_mov_b64 s[58:59], 0
	s_waitcnt vmcnt(0)
	v_and_b32_e32 v2, 0xffff0000, v0
	v_lshlrev_b32_e32 v0, 16, v0
	v_cvt_f64_f32_e32 v[0:1], v0
	v_cvt_f64_f32_e32 v[2:3], v2
	s_branch .LBB119_853
.LBB119_845:
	s_mov_b64 s[60:61], -1
	s_mov_b64 s[0:1], 0
                                        ; implicit-def: $vgpr2_vgpr3
	s_mov_b64 s[58:59], s[48:49]
	s_branch .LBB119_921
.LBB119_846:
	s_mov_b64 s[60:61], -1
	s_mov_b64 s[0:1], 0
	s_mov_b64 s[58:59], s[48:49]
                                        ; implicit-def: $vgpr2_vgpr3
	s_branch .LBB119_886
.LBB119_847:
	s_mov_b64 s[60:61], -1
	s_mov_b64 s[0:1], 0
	s_mov_b64 s[58:59], s[48:49]
                                        ; implicit-def: $vgpr2_vgpr3
	s_branch .LBB119_865
.LBB119_848:
	s_mov_b64 s[60:61], -1
	s_mov_b64 s[0:1], 0
	s_mov_b64 s[58:59], s[48:49]
                                        ; implicit-def: $vgpr2_vgpr3
	s_branch .LBB119_859
.LBB119_849:
	s_mov_b64 s[60:61], -1
	s_mov_b64 s[0:1], 0
	s_mov_b64 s[58:59], s[48:49]
                                        ; implicit-def: $vgpr2_vgpr3
	s_branch .LBB119_853
.LBB119_850:
	s_andn2_saveexec_b64 s[60:61], s[60:61]
	s_cbranch_execz .LBB119_733
.LBB119_851:
	v_add_f32_e32 v2, 0x46000000, v3
	v_and_b32_e32 v2, 0xff, v2
	v_cmp_ne_u32_e32 vcc, 0, v2
	s_andn2_b64 s[58:59], s[58:59], exec
	s_and_b64 s[64:65], vcc, exec
	s_or_b64 s[58:59], s[58:59], s[64:65]
	s_or_b64 exec, exec, s[60:61]
	v_mov_b32_e32 v4, 0
	s_and_saveexec_b64 s[60:61], s[58:59]
	s_cbranch_execnz .LBB119_734
	s_branch .LBB119_735
.LBB119_852:
	s_mov_b64 s[58:59], -1
                                        ; implicit-def: $vgpr2_vgpr3
	s_mov_b64 s[0:1], 0
.LBB119_853:
	s_and_b64 vcc, exec, s[60:61]
	s_cbranch_vccz .LBB119_858
; %bb.854:
	s_cmp_eq_u32 s64, 44
	s_cbranch_scc0 .LBB119_856
; %bb.855:
	global_load_ubyte v2, v[5:6], off
	s_movk_i32 s58, 0xff
	v_bfrev_b32_e32 v3, 4
	v_mov_b32_e32 v7, 0x7ff80000
	v_bfrev_b32_e32 v9, 28
	s_mov_b64 s[0:1], -1
	s_waitcnt vmcnt(0)
	v_lshlrev_b32_e32 v0, 23, v2
	v_cvt_f64_f32_e32 v[0:1], v0
	v_cmp_ne_u32_e32 vcc, s58, v2
	s_mov_b64 s[58:59], 0
	v_cndmask_b32_e32 v0, v3, v0, vcc
	v_cndmask_b32_e32 v1, v7, v1, vcc
	v_cmp_ne_u32_e32 vcc, 0, v2
	v_cndmask_b32_e32 v1, v9, v1, vcc
	v_cndmask_b32_e32 v0, 0, v0, vcc
	s_branch .LBB119_857
.LBB119_856:
	s_mov_b64 s[58:59], -1
                                        ; implicit-def: $vgpr0_vgpr1
.LBB119_857:
	v_mov_b32_e32 v2, 0
	v_mov_b32_e32 v3, 0
.LBB119_858:
	s_mov_b64 s[60:61], 0
.LBB119_859:
	s_and_b64 vcc, exec, s[60:61]
	s_cbranch_vccz .LBB119_864
; %bb.860:
	s_cmp_eq_u32 s64, 29
	s_cbranch_scc0 .LBB119_862
; %bb.861:
	global_load_dwordx2 v[0:1], v[5:6], off
	s_mov_b64 s[0:1], -1
	s_mov_b64 s[58:59], 0
	s_waitcnt vmcnt(0)
	v_cvt_f64_u32_e32 v[1:2], v1
	v_cvt_f64_u32_e32 v[9:10], v0
	v_ldexp_f64 v[1:2], v[1:2], 32
	v_add_f64 v[0:1], v[1:2], v[9:10]
	s_branch .LBB119_863
.LBB119_862:
	s_mov_b64 s[58:59], -1
                                        ; implicit-def: $vgpr0_vgpr1
.LBB119_863:
	v_mov_b32_e32 v2, 0
	v_mov_b32_e32 v3, 0
.LBB119_864:
	s_mov_b64 s[60:61], 0
.LBB119_865:
	s_and_b64 vcc, exec, s[60:61]
	s_cbranch_vccz .LBB119_885
; %bb.866:
	s_cmp_lt_i32 s64, 27
	s_cbranch_scc1 .LBB119_869
; %bb.867:
	s_cmp_gt_i32 s64, 27
	s_cbranch_scc0 .LBB119_870
; %bb.868:
	global_load_dword v0, v[5:6], off
	s_mov_b64 s[0:1], 0
	s_waitcnt vmcnt(0)
	v_cvt_f64_u32_e32 v[0:1], v0
	s_branch .LBB119_871
.LBB119_869:
	s_mov_b64 s[0:1], -1
                                        ; implicit-def: $vgpr0_vgpr1
	s_branch .LBB119_874
.LBB119_870:
	s_mov_b64 s[0:1], -1
                                        ; implicit-def: $vgpr0_vgpr1
.LBB119_871:
	s_andn2_b64 vcc, exec, s[0:1]
	s_cbranch_vccnz .LBB119_873
; %bb.872:
	global_load_ushort v0, v[5:6], off
	s_waitcnt vmcnt(0)
	v_cvt_f64_u32_e32 v[0:1], v0
.LBB119_873:
	s_mov_b64 s[0:1], 0
.LBB119_874:
	s_andn2_b64 vcc, exec, s[0:1]
	s_cbranch_vccnz .LBB119_884
; %bb.875:
	global_load_ubyte v2, v[5:6], off
	s_movk_i32 s0, 0x7f
	s_waitcnt vmcnt(0)
	v_cmp_lt_i16_e32 vcc, s0, v2
	s_mov_b64 s[0:1], 0
	s_and_saveexec_b64 s[60:61], vcc
	s_xor_b64 s[60:61], exec, s[60:61]
	s_cbranch_execz .LBB119_879
; %bb.876:
	s_movk_i32 s0, 0x80
	v_cmp_eq_u16_e32 vcc, s0, v2
	s_mov_b64 s[0:1], -1
	s_and_saveexec_b64 s[62:63], vcc
; %bb.877:
	s_xor_b64 s[0:1], exec, -1
; %bb.878:
	s_or_b64 exec, exec, s[62:63]
	s_and_b64 s[0:1], s[0:1], exec
.LBB119_879:
	s_or_saveexec_b64 s[60:61], s[60:61]
	v_bfrev_b32_e32 v0, 4
	v_mov_b32_e32 v1, 0x7ff80000
	s_xor_b64 exec, exec, s[60:61]
; %bb.880:
	v_cmp_ne_u16_e32 vcc, 0, v2
	v_mov_b32_e32 v0, 0
	s_andn2_b64 s[0:1], s[0:1], exec
	s_and_b64 s[62:63], vcc, exec
	v_mov_b32_e32 v1, 0
	s_or_b64 s[0:1], s[0:1], s[62:63]
; %bb.881:
	s_or_b64 exec, exec, s[60:61]
	s_and_saveexec_b64 s[60:61], s[0:1]
	s_cbranch_execz .LBB119_883
; %bb.882:
	v_and_b32_e32 v1, 0xffff, v2
	v_lshlrev_b32_e32 v0, 24, v2
	v_and_b32_e32 v2, 7, v1
	v_ffbh_u32_e32 v7, v2
	v_min_u32_e32 v7, 32, v7
	v_subrev_u32_e32 v9, 28, v7
	v_bfe_u32 v3, v1, 3, 4
	v_lshlrev_b32_e32 v1, v9, v1
	v_sub_u32_e32 v7, 29, v7
	v_and_b32_e32 v1, 7, v1
	v_cmp_eq_u32_e32 vcc, 0, v3
	v_cndmask_b32_e32 v3, v3, v7, vcc
	v_cndmask_b32_e32 v1, v2, v1, vcc
	v_mov_b32_e32 v2, 0x3b800000
	v_lshlrev_b32_e32 v1, 20, v1
	v_and_b32_e32 v0, 0x80000000, v0
	v_lshl_add_u32 v2, v3, 23, v2
	v_or3_b32 v0, v0, v2, v1
	v_cvt_f64_f32_e32 v[0:1], v0
.LBB119_883:
	s_or_b64 exec, exec, s[60:61]
.LBB119_884:
	v_mov_b32_e32 v2, 0
	v_mov_b32_e32 v3, 0
	s_mov_b64 s[0:1], -1
.LBB119_885:
	s_mov_b64 s[60:61], 0
.LBB119_886:
	s_and_b64 vcc, exec, s[60:61]
	s_cbranch_vccz .LBB119_920
; %bb.887:
	s_cmp_gt_i32 s64, 22
	s_cbranch_scc0 .LBB119_899
; %bb.888:
	s_cmp_lt_i32 s64, 24
	s_cbranch_scc1 .LBB119_900
; %bb.889:
	s_cmp_gt_i32 s64, 24
	s_cbranch_scc0 .LBB119_901
; %bb.890:
	global_load_ubyte v2, v[5:6], off
	s_movk_i32 s0, 0x7f
	s_waitcnt vmcnt(0)
	v_cmp_lt_i16_e32 vcc, s0, v2
	s_mov_b64 s[0:1], 0
	s_and_saveexec_b64 s[60:61], vcc
	s_xor_b64 s[60:61], exec, s[60:61]
	s_cbranch_execz .LBB119_894
; %bb.891:
	s_movk_i32 s0, 0x80
	v_cmp_eq_u16_e32 vcc, s0, v2
	s_mov_b64 s[0:1], -1
	s_and_saveexec_b64 s[62:63], vcc
; %bb.892:
	s_xor_b64 s[0:1], exec, -1
; %bb.893:
	s_or_b64 exec, exec, s[62:63]
	s_and_b64 s[0:1], s[0:1], exec
.LBB119_894:
	s_or_saveexec_b64 s[60:61], s[60:61]
	v_bfrev_b32_e32 v0, 4
	v_mov_b32_e32 v1, 0x7ff80000
	s_xor_b64 exec, exec, s[60:61]
; %bb.895:
	v_cmp_ne_u16_e32 vcc, 0, v2
	v_mov_b32_e32 v0, 0
	s_andn2_b64 s[0:1], s[0:1], exec
	s_and_b64 s[62:63], vcc, exec
	v_mov_b32_e32 v1, 0
	s_or_b64 s[0:1], s[0:1], s[62:63]
; %bb.896:
	s_or_b64 exec, exec, s[60:61]
	s_and_saveexec_b64 s[60:61], s[0:1]
	s_cbranch_execz .LBB119_898
; %bb.897:
	v_and_b32_e32 v1, 0xffff, v2
	v_lshlrev_b32_e32 v0, 24, v2
	v_and_b32_e32 v2, 3, v1
	v_ffbh_u32_e32 v7, v2
	v_min_u32_e32 v7, 32, v7
	v_subrev_u32_e32 v9, 29, v7
	v_bfe_u32 v3, v1, 2, 5
	v_lshlrev_b32_e32 v1, v9, v1
	v_sub_u32_e32 v7, 30, v7
	v_and_b32_e32 v1, 3, v1
	v_cmp_eq_u32_e32 vcc, 0, v3
	v_cndmask_b32_e32 v3, v3, v7, vcc
	v_cndmask_b32_e32 v1, v2, v1, vcc
	v_mov_b32_e32 v2, 0x37800000
	v_lshlrev_b32_e32 v1, 21, v1
	v_and_b32_e32 v0, 0x80000000, v0
	v_lshl_add_u32 v2, v3, 23, v2
	v_or3_b32 v0, v0, v2, v1
	v_cvt_f64_f32_e32 v[0:1], v0
.LBB119_898:
	s_or_b64 exec, exec, s[60:61]
	s_mov_b64 s[0:1], 0
	s_branch .LBB119_902
.LBB119_899:
	s_mov_b64 s[60:61], -1
                                        ; implicit-def: $vgpr0_vgpr1
	s_branch .LBB119_908
.LBB119_900:
	s_mov_b64 s[0:1], -1
                                        ; implicit-def: $vgpr0_vgpr1
	s_branch .LBB119_905
.LBB119_901:
	s_mov_b64 s[0:1], -1
                                        ; implicit-def: $vgpr0_vgpr1
.LBB119_902:
	s_and_b64 vcc, exec, s[0:1]
	s_cbranch_vccz .LBB119_904
; %bb.903:
	global_load_ubyte v0, v[5:6], off
	s_mov_b32 s0, 0x7f800000
	s_waitcnt vmcnt(0)
	v_lshlrev_b32_e32 v0, 24, v0
	v_and_b32_e32 v1, 0x7f000000, v0
	v_ffbh_u32_e32 v2, v1
	v_min_u32_e32 v2, 32, v2
	v_sub_u32_e64 v2, v2, 4 clamp
	v_lshlrev_b32_e32 v7, v2, v1
	v_lshlrev_b32_e32 v2, 23, v2
	v_lshrrev_b32_e32 v7, 4, v7
	v_add_u32_e32 v3, 0x1000000, v1
	v_sub_u32_e32 v2, v7, v2
	v_ashrrev_i32_e32 v3, 8, v3
	v_add_u32_e32 v2, 0x3c000000, v2
	v_and_or_b32 v2, v3, s0, v2
	v_cmp_ne_u32_e32 vcc, 0, v1
	v_cndmask_b32_e32 v1, 0, v2, vcc
	s_brev_b32 s0, 1
	v_and_or_b32 v0, v0, s0, v1
	v_cvt_f64_f32_e32 v[0:1], v0
.LBB119_904:
	s_mov_b64 s[0:1], 0
.LBB119_905:
	s_andn2_b64 vcc, exec, s[0:1]
	s_cbranch_vccnz .LBB119_907
; %bb.906:
	global_load_ubyte v0, v[5:6], off
	s_movk_i32 s0, 0x7f00
	s_brev_b32 s1, 16
	s_waitcnt vmcnt(0)
	v_lshlrev_b16_e32 v1, 8, v0
	v_lshlrev_b32_e32 v0, 25, v0
	v_lshrrev_b32_e32 v2, 4, v0
	v_and_or_b32 v3, v1, s0, 0.5
	v_or_b32_e32 v2, 0x70000000, v2
	v_add_f32_e32 v3, -0.5, v3
	v_mul_f32_e32 v2, 0x7800000, v2
	v_cmp_gt_u32_e32 vcc, s1, v0
	v_bfe_i32 v1, v1, 0, 16
	v_cndmask_b32_e32 v0, v2, v3, vcc
	s_brev_b32 s0, 1
	v_and_or_b32 v0, v1, s0, v0
	v_cvt_f64_f32_e32 v[0:1], v0
.LBB119_907:
	s_mov_b64 s[60:61], 0
	s_mov_b64 s[0:1], -1
.LBB119_908:
	s_andn2_b64 vcc, exec, s[60:61]
	s_cbranch_vccnz .LBB119_919
; %bb.909:
	s_cmp_gt_i32 s64, 14
	s_cbranch_scc0 .LBB119_912
; %bb.910:
	s_cmp_eq_u32 s64, 15
	s_cbranch_scc0 .LBB119_913
; %bb.911:
	global_load_ushort v0, v[5:6], off
	s_mov_b64 s[0:1], -1
	s_mov_b64 s[58:59], 0
	s_waitcnt vmcnt(0)
	v_lshlrev_b32_e32 v0, 16, v0
	v_cvt_f64_f32_e32 v[0:1], v0
	s_branch .LBB119_914
.LBB119_912:
	s_mov_b64 s[60:61], -1
                                        ; implicit-def: $vgpr0_vgpr1
	s_branch .LBB119_915
.LBB119_913:
	s_mov_b64 s[58:59], -1
                                        ; implicit-def: $vgpr0_vgpr1
.LBB119_914:
	s_mov_b64 s[60:61], 0
.LBB119_915:
	s_and_b64 vcc, exec, s[60:61]
	s_cbranch_vccz .LBB119_919
; %bb.916:
	s_cmp_eq_u32 s64, 11
	s_cbranch_scc0 .LBB119_918
; %bb.917:
	global_load_ubyte v1, v[5:6], off
	v_mov_b32_e32 v2, 0x3ff00000
	v_mov_b32_e32 v0, 0
	s_mov_b64 s[0:1], -1
	s_mov_b64 s[58:59], 0
	s_waitcnt vmcnt(0)
	v_cmp_ne_u16_e32 vcc, 0, v1
	v_cndmask_b32_e32 v1, 0, v2, vcc
	s_branch .LBB119_919
.LBB119_918:
	s_mov_b64 s[58:59], -1
                                        ; implicit-def: $vgpr0_vgpr1
.LBB119_919:
	v_mov_b32_e32 v2, 0
	v_mov_b32_e32 v3, 0
.LBB119_920:
	s_mov_b64 s[60:61], 0
.LBB119_921:
	s_and_b64 vcc, exec, s[60:61]
	s_cbranch_vccz .LBB119_972
; %bb.922:
	s_and_b32 s14, 0xffff, s14
	s_cmp_lt_i32 s14, 5
	s_cbranch_scc1 .LBB119_927
; %bb.923:
	s_cmp_lt_i32 s14, 8
	s_cbranch_scc1 .LBB119_928
; %bb.924:
	;; [unrolled: 3-line block ×3, first 2 shown]
	s_cmp_gt_i32 s14, 9
	s_cbranch_scc0 .LBB119_930
; %bb.926:
	global_load_dwordx4 v[0:3], v[5:6], off
	s_mov_b64 s[0:1], 0
	s_branch .LBB119_931
.LBB119_927:
	s_mov_b64 s[0:1], -1
                                        ; implicit-def: $vgpr2_vgpr3
	s_branch .LBB119_950
.LBB119_928:
	s_mov_b64 s[0:1], -1
                                        ; implicit-def: $vgpr2_vgpr3
	s_branch .LBB119_937
.LBB119_929:
	s_mov_b64 s[0:1], -1
                                        ; implicit-def: $vgpr2_vgpr3
	s_branch .LBB119_934
.LBB119_930:
	s_mov_b64 s[0:1], -1
                                        ; implicit-def: $vgpr2_vgpr3
.LBB119_931:
	s_andn2_b64 vcc, exec, s[0:1]
	s_cbranch_vccnz .LBB119_933
; %bb.932:
	global_load_dwordx2 v[1:2], v[5:6], off
	s_waitcnt vmcnt(0)
	v_cvt_f64_f32_e32 v[0:1], v1
	v_cvt_f64_f32_e32 v[2:3], v2
.LBB119_933:
	s_mov_b64 s[0:1], 0
.LBB119_934:
	s_andn2_b64 vcc, exec, s[0:1]
	s_cbranch_vccnz .LBB119_936
; %bb.935:
	global_load_dword v0, v[5:6], off
	s_waitcnt vmcnt(0)
	v_cvt_f32_f16_e32 v1, v0
	v_cvt_f32_f16_sdwa v2, v0 dst_sel:DWORD dst_unused:UNUSED_PAD src0_sel:WORD_1
	v_cvt_f64_f32_e32 v[0:1], v1
	v_cvt_f64_f32_e32 v[2:3], v2
.LBB119_936:
	s_mov_b64 s[0:1], 0
.LBB119_937:
	s_andn2_b64 vcc, exec, s[0:1]
	s_cbranch_vccnz .LBB119_949
; %bb.938:
	s_cmp_lt_i32 s14, 6
	s_cbranch_scc1 .LBB119_941
; %bb.939:
	s_cmp_gt_i32 s14, 6
	s_cbranch_scc0 .LBB119_942
; %bb.940:
	global_load_dwordx2 v[0:1], v[5:6], off
	s_mov_b64 s[0:1], 0
	s_branch .LBB119_943
.LBB119_941:
	s_mov_b64 s[0:1], -1
                                        ; implicit-def: $vgpr0_vgpr1
	s_branch .LBB119_946
.LBB119_942:
	s_mov_b64 s[0:1], -1
                                        ; implicit-def: $vgpr0_vgpr1
.LBB119_943:
	s_andn2_b64 vcc, exec, s[0:1]
	s_cbranch_vccnz .LBB119_945
; %bb.944:
	global_load_dword v0, v[5:6], off
	s_waitcnt vmcnt(0)
	v_cvt_f64_f32_e32 v[0:1], v0
.LBB119_945:
	s_mov_b64 s[0:1], 0
.LBB119_946:
	s_andn2_b64 vcc, exec, s[0:1]
	s_cbranch_vccnz .LBB119_948
; %bb.947:
	global_load_ushort v0, v[5:6], off
	s_waitcnt vmcnt(0)
	v_cvt_f32_f16_e32 v0, v0
	v_cvt_f64_f32_e32 v[0:1], v0
.LBB119_948:
	s_waitcnt vmcnt(0)
	v_mov_b32_e32 v2, 0
	v_mov_b32_e32 v3, 0
.LBB119_949:
	s_mov_b64 s[0:1], 0
.LBB119_950:
	s_andn2_b64 vcc, exec, s[0:1]
	s_cbranch_vccnz .LBB119_971
; %bb.951:
	s_cmp_lt_i32 s14, 2
	s_cbranch_scc1 .LBB119_955
; %bb.952:
	s_cmp_lt_i32 s14, 3
	s_cbranch_scc1 .LBB119_956
; %bb.953:
	s_cmp_gt_i32 s14, 3
	s_cbranch_scc0 .LBB119_957
; %bb.954:
	global_load_dwordx2 v[0:1], v[5:6], off
	s_mov_b64 s[0:1], 0
	s_waitcnt vmcnt(0)
	v_cvt_f64_i32_e32 v[1:2], v1
	v_cvt_f64_u32_e32 v[9:10], v0
	v_ldexp_f64 v[1:2], v[1:2], 32
	v_add_f64 v[0:1], v[1:2], v[9:10]
	s_branch .LBB119_958
.LBB119_955:
	s_mov_b64 s[0:1], -1
                                        ; implicit-def: $vgpr0_vgpr1
	s_branch .LBB119_964
.LBB119_956:
	s_mov_b64 s[0:1], -1
                                        ; implicit-def: $vgpr0_vgpr1
	s_branch .LBB119_961
.LBB119_957:
	s_mov_b64 s[0:1], -1
                                        ; implicit-def: $vgpr0_vgpr1
.LBB119_958:
	s_andn2_b64 vcc, exec, s[0:1]
	s_cbranch_vccnz .LBB119_960
; %bb.959:
	global_load_dword v0, v[5:6], off
	s_waitcnt vmcnt(0)
	v_cvt_f64_i32_e32 v[0:1], v0
.LBB119_960:
	s_mov_b64 s[0:1], 0
.LBB119_961:
	s_andn2_b64 vcc, exec, s[0:1]
	s_cbranch_vccnz .LBB119_963
; %bb.962:
	global_load_sshort v0, v[5:6], off
	s_waitcnt vmcnt(0)
	v_cvt_f64_i32_e32 v[0:1], v0
.LBB119_963:
	s_mov_b64 s[0:1], 0
.LBB119_964:
	s_andn2_b64 vcc, exec, s[0:1]
	s_cbranch_vccnz .LBB119_970
; %bb.965:
	s_cmp_gt_i32 s14, 0
	s_cbranch_scc0 .LBB119_967
; %bb.966:
	global_load_sbyte v0, v[5:6], off
	s_mov_b64 s[0:1], 0
	s_waitcnt vmcnt(0)
	v_cvt_f64_i32_e32 v[0:1], v0
	s_branch .LBB119_968
.LBB119_967:
	s_mov_b64 s[0:1], -1
                                        ; implicit-def: $vgpr0_vgpr1
.LBB119_968:
	s_andn2_b64 vcc, exec, s[0:1]
	s_cbranch_vccnz .LBB119_970
; %bb.969:
	global_load_ubyte v0, v[5:6], off
	s_waitcnt vmcnt(0)
	v_cvt_f64_u32_e32 v[0:1], v0
.LBB119_970:
	s_waitcnt vmcnt(0)
	v_mov_b32_e32 v2, 0
	v_mov_b32_e32 v3, 0
.LBB119_971:
	s_mov_b64 s[0:1], -1
.LBB119_972:
	s_andn2_b64 vcc, exec, s[0:1]
	s_cbranch_vccnz .LBB119_980
; %bb.973:
	v_mov_b32_e32 v5, s13
	s_and_b32 s14, s73, 0xff
	v_add_co_u32_e32 v9, vcc, s12, v4
	s_cmp_lt_i32 s14, 11
	v_addc_co_u32_e32 v10, vcc, 0, v5, vcc
	s_cbranch_scc1 .LBB119_982
; %bb.974:
	s_and_b32 s66, 0xffff, s14
	s_cmp_gt_i32 s66, 25
	s_cbranch_scc0 .LBB119_983
; %bb.975:
	s_cmp_gt_i32 s66, 28
	s_cbranch_scc0 .LBB119_984
; %bb.976:
	;; [unrolled: 3-line block ×4, first 2 shown]
	s_cmp_eq_u32 s66, 46
	s_mov_b64 s[62:63], 0
	s_cbranch_scc0 .LBB119_989
; %bb.979:
	global_load_dword v4, v[9:10], off
	s_mov_b64 s[0:1], -1
	s_mov_b64 s[60:61], 0
	s_waitcnt vmcnt(0)
	v_and_b32_e32 v6, 0xffff0000, v4
	v_lshlrev_b32_e32 v4, 16, v4
	v_cvt_f64_f32_e32 v[4:5], v4
	v_cvt_f64_f32_e32 v[6:7], v6
	s_branch .LBB119_990
.LBB119_980:
	s_mov_b64 s[64:65], 0
	s_mov_b64 s[0:1], s[52:53]
	;; [unrolled: 1-line block ×3, first 2 shown]
.LBB119_981:
                                        ; implicit-def: $vgpr11
	s_branch .LBB119_1238
.LBB119_982:
	s_mov_b64 s[62:63], -1
	s_mov_b64 s[0:1], 0
                                        ; implicit-def: $vgpr6_vgpr7
	s_mov_b64 s[60:61], s[50:51]
	s_branch .LBB119_1058
.LBB119_983:
	s_mov_b64 s[62:63], -1
	s_mov_b64 s[0:1], 0
	s_mov_b64 s[60:61], s[50:51]
                                        ; implicit-def: $vgpr6_vgpr7
	s_branch .LBB119_1023
.LBB119_984:
	s_mov_b64 s[62:63], -1
	s_mov_b64 s[0:1], 0
	s_mov_b64 s[60:61], s[50:51]
                                        ; implicit-def: $vgpr6_vgpr7
	s_branch .LBB119_1002
.LBB119_985:
	s_mov_b64 s[62:63], -1
	s_mov_b64 s[0:1], 0
	s_mov_b64 s[60:61], s[50:51]
                                        ; implicit-def: $vgpr6_vgpr7
	s_branch .LBB119_996
.LBB119_986:
	s_mov_b64 s[62:63], -1
	s_mov_b64 s[0:1], 0
	s_mov_b64 s[60:61], s[50:51]
                                        ; implicit-def: $vgpr6_vgpr7
	s_branch .LBB119_990
.LBB119_987:
	s_andn2_saveexec_b64 s[60:61], s[60:61]
	s_cbranch_execz .LBB119_746
.LBB119_988:
	v_add_f32_e32 v2, 0x42800000, v3
	v_and_b32_e32 v2, 0xff, v2
	v_cmp_ne_u32_e32 vcc, 0, v2
	s_andn2_b64 s[58:59], s[58:59], exec
	s_and_b64 s[64:65], vcc, exec
	s_or_b64 s[58:59], s[58:59], s[64:65]
	s_or_b64 exec, exec, s[60:61]
	v_mov_b32_e32 v4, 0
	s_and_saveexec_b64 s[60:61], s[58:59]
	s_cbranch_execnz .LBB119_747
	s_branch .LBB119_748
.LBB119_989:
	s_mov_b64 s[60:61], -1
                                        ; implicit-def: $vgpr6_vgpr7
	s_mov_b64 s[0:1], 0
.LBB119_990:
	s_and_b64 vcc, exec, s[62:63]
	s_cbranch_vccz .LBB119_995
; %bb.991:
	s_cmp_eq_u32 s66, 44
	s_cbranch_scc0 .LBB119_993
; %bb.992:
	global_load_ubyte v6, v[9:10], off
	s_movk_i32 s60, 0xff
	v_bfrev_b32_e32 v7, 4
	v_mov_b32_e32 v12, 0x7ff80000
	v_bfrev_b32_e32 v13, 28
	s_mov_b64 s[0:1], -1
	s_waitcnt vmcnt(0)
	v_lshlrev_b32_e32 v4, 23, v6
	v_cvt_f64_f32_e32 v[4:5], v4
	v_cmp_ne_u32_e32 vcc, s60, v6
	s_mov_b64 s[60:61], 0
	v_cndmask_b32_e32 v4, v7, v4, vcc
	v_cndmask_b32_e32 v5, v12, v5, vcc
	v_cmp_ne_u32_e32 vcc, 0, v6
	v_cndmask_b32_e32 v5, v13, v5, vcc
	v_cndmask_b32_e32 v4, 0, v4, vcc
	s_branch .LBB119_994
.LBB119_993:
	s_mov_b64 s[60:61], -1
                                        ; implicit-def: $vgpr4_vgpr5
.LBB119_994:
	v_mov_b32_e32 v6, 0
	v_mov_b32_e32 v7, 0
.LBB119_995:
	s_mov_b64 s[62:63], 0
.LBB119_996:
	s_and_b64 vcc, exec, s[62:63]
	s_cbranch_vccz .LBB119_1001
; %bb.997:
	s_cmp_eq_u32 s66, 29
	s_cbranch_scc0 .LBB119_999
; %bb.998:
	global_load_dwordx2 v[4:5], v[9:10], off
	s_mov_b64 s[0:1], -1
	s_mov_b64 s[60:61], 0
	s_waitcnt vmcnt(0)
	v_cvt_f64_u32_e32 v[5:6], v5
	v_cvt_f64_u32_e32 v[12:13], v4
	v_ldexp_f64 v[5:6], v[5:6], 32
	v_add_f64 v[4:5], v[5:6], v[12:13]
	s_branch .LBB119_1000
.LBB119_999:
	s_mov_b64 s[60:61], -1
                                        ; implicit-def: $vgpr4_vgpr5
.LBB119_1000:
	v_mov_b32_e32 v6, 0
	v_mov_b32_e32 v7, 0
.LBB119_1001:
	s_mov_b64 s[62:63], 0
.LBB119_1002:
	s_and_b64 vcc, exec, s[62:63]
	s_cbranch_vccz .LBB119_1022
; %bb.1003:
	s_cmp_lt_i32 s66, 27
	s_cbranch_scc1 .LBB119_1006
; %bb.1004:
	s_cmp_gt_i32 s66, 27
	s_cbranch_scc0 .LBB119_1007
; %bb.1005:
	global_load_dword v4, v[9:10], off
	s_mov_b64 s[0:1], 0
	s_waitcnt vmcnt(0)
	v_cvt_f64_u32_e32 v[4:5], v4
	s_branch .LBB119_1008
.LBB119_1006:
	s_mov_b64 s[0:1], -1
                                        ; implicit-def: $vgpr4_vgpr5
	s_branch .LBB119_1011
.LBB119_1007:
	s_mov_b64 s[0:1], -1
                                        ; implicit-def: $vgpr4_vgpr5
.LBB119_1008:
	s_andn2_b64 vcc, exec, s[0:1]
	s_cbranch_vccnz .LBB119_1010
; %bb.1009:
	global_load_ushort v4, v[9:10], off
	s_waitcnt vmcnt(0)
	v_cvt_f64_u32_e32 v[4:5], v4
.LBB119_1010:
	s_mov_b64 s[0:1], 0
.LBB119_1011:
	s_andn2_b64 vcc, exec, s[0:1]
	s_cbranch_vccnz .LBB119_1021
; %bb.1012:
	global_load_ubyte v6, v[9:10], off
	s_movk_i32 s0, 0x7f
	s_waitcnt vmcnt(0)
	v_cmp_lt_i16_e32 vcc, s0, v6
	s_mov_b64 s[0:1], 0
	s_and_saveexec_b64 s[62:63], vcc
	s_xor_b64 s[62:63], exec, s[62:63]
	s_cbranch_execz .LBB119_1016
; %bb.1013:
	s_movk_i32 s0, 0x80
	v_cmp_eq_u16_e32 vcc, s0, v6
	s_mov_b64 s[0:1], -1
	s_and_saveexec_b64 s[64:65], vcc
; %bb.1014:
	s_xor_b64 s[0:1], exec, -1
; %bb.1015:
	s_or_b64 exec, exec, s[64:65]
	s_and_b64 s[0:1], s[0:1], exec
.LBB119_1016:
	s_or_saveexec_b64 s[62:63], s[62:63]
	v_bfrev_b32_e32 v4, 4
	v_mov_b32_e32 v5, 0x7ff80000
	s_xor_b64 exec, exec, s[62:63]
; %bb.1017:
	v_cmp_ne_u16_e32 vcc, 0, v6
	v_mov_b32_e32 v4, 0
	s_andn2_b64 s[0:1], s[0:1], exec
	s_and_b64 s[64:65], vcc, exec
	v_mov_b32_e32 v5, 0
	s_or_b64 s[0:1], s[0:1], s[64:65]
; %bb.1018:
	s_or_b64 exec, exec, s[62:63]
	s_and_saveexec_b64 s[62:63], s[0:1]
	s_cbranch_execz .LBB119_1020
; %bb.1019:
	v_and_b32_e32 v5, 0xffff, v6
	v_lshlrev_b32_e32 v4, 24, v6
	v_and_b32_e32 v6, 7, v5
	v_ffbh_u32_e32 v12, v6
	v_min_u32_e32 v12, 32, v12
	v_subrev_u32_e32 v13, 28, v12
	v_bfe_u32 v7, v5, 3, 4
	v_lshlrev_b32_e32 v5, v13, v5
	v_sub_u32_e32 v12, 29, v12
	v_and_b32_e32 v5, 7, v5
	v_cmp_eq_u32_e32 vcc, 0, v7
	v_cndmask_b32_e32 v7, v7, v12, vcc
	v_cndmask_b32_e32 v5, v6, v5, vcc
	v_mov_b32_e32 v6, 0x3b800000
	v_lshlrev_b32_e32 v5, 20, v5
	v_and_b32_e32 v4, 0x80000000, v4
	v_lshl_add_u32 v6, v7, 23, v6
	v_or3_b32 v4, v4, v6, v5
	v_cvt_f64_f32_e32 v[4:5], v4
.LBB119_1020:
	s_or_b64 exec, exec, s[62:63]
.LBB119_1021:
	v_mov_b32_e32 v6, 0
	v_mov_b32_e32 v7, 0
	s_mov_b64 s[0:1], -1
.LBB119_1022:
	s_mov_b64 s[62:63], 0
.LBB119_1023:
	s_and_b64 vcc, exec, s[62:63]
	s_cbranch_vccz .LBB119_1057
; %bb.1024:
	s_cmp_gt_i32 s66, 22
	s_cbranch_scc0 .LBB119_1036
; %bb.1025:
	s_cmp_lt_i32 s66, 24
	s_cbranch_scc1 .LBB119_1037
; %bb.1026:
	s_cmp_gt_i32 s66, 24
	s_cbranch_scc0 .LBB119_1038
; %bb.1027:
	global_load_ubyte v6, v[9:10], off
	s_movk_i32 s0, 0x7f
	s_waitcnt vmcnt(0)
	v_cmp_lt_i16_e32 vcc, s0, v6
	s_mov_b64 s[0:1], 0
	s_and_saveexec_b64 s[62:63], vcc
	s_xor_b64 s[62:63], exec, s[62:63]
	s_cbranch_execz .LBB119_1031
; %bb.1028:
	s_movk_i32 s0, 0x80
	v_cmp_eq_u16_e32 vcc, s0, v6
	s_mov_b64 s[0:1], -1
	s_and_saveexec_b64 s[64:65], vcc
; %bb.1029:
	s_xor_b64 s[0:1], exec, -1
; %bb.1030:
	s_or_b64 exec, exec, s[64:65]
	s_and_b64 s[0:1], s[0:1], exec
.LBB119_1031:
	s_or_saveexec_b64 s[62:63], s[62:63]
	v_bfrev_b32_e32 v4, 4
	v_mov_b32_e32 v5, 0x7ff80000
	s_xor_b64 exec, exec, s[62:63]
; %bb.1032:
	v_cmp_ne_u16_e32 vcc, 0, v6
	v_mov_b32_e32 v4, 0
	s_andn2_b64 s[0:1], s[0:1], exec
	s_and_b64 s[64:65], vcc, exec
	v_mov_b32_e32 v5, 0
	s_or_b64 s[0:1], s[0:1], s[64:65]
; %bb.1033:
	s_or_b64 exec, exec, s[62:63]
	s_and_saveexec_b64 s[62:63], s[0:1]
	s_cbranch_execz .LBB119_1035
; %bb.1034:
	v_and_b32_e32 v5, 0xffff, v6
	v_lshlrev_b32_e32 v4, 24, v6
	v_and_b32_e32 v6, 3, v5
	v_ffbh_u32_e32 v12, v6
	v_min_u32_e32 v12, 32, v12
	v_subrev_u32_e32 v13, 29, v12
	v_bfe_u32 v7, v5, 2, 5
	v_lshlrev_b32_e32 v5, v13, v5
	v_sub_u32_e32 v12, 30, v12
	v_and_b32_e32 v5, 3, v5
	v_cmp_eq_u32_e32 vcc, 0, v7
	v_cndmask_b32_e32 v7, v7, v12, vcc
	v_cndmask_b32_e32 v5, v6, v5, vcc
	v_mov_b32_e32 v6, 0x37800000
	v_lshlrev_b32_e32 v5, 21, v5
	v_and_b32_e32 v4, 0x80000000, v4
	v_lshl_add_u32 v6, v7, 23, v6
	v_or3_b32 v4, v4, v6, v5
	v_cvt_f64_f32_e32 v[4:5], v4
.LBB119_1035:
	s_or_b64 exec, exec, s[62:63]
	s_mov_b64 s[0:1], 0
	s_branch .LBB119_1039
.LBB119_1036:
	s_mov_b64 s[62:63], -1
                                        ; implicit-def: $vgpr4_vgpr5
	s_branch .LBB119_1045
.LBB119_1037:
	s_mov_b64 s[0:1], -1
                                        ; implicit-def: $vgpr4_vgpr5
	s_branch .LBB119_1042
.LBB119_1038:
	s_mov_b64 s[0:1], -1
                                        ; implicit-def: $vgpr4_vgpr5
.LBB119_1039:
	s_and_b64 vcc, exec, s[0:1]
	s_cbranch_vccz .LBB119_1041
; %bb.1040:
	global_load_ubyte v4, v[9:10], off
	s_mov_b32 s0, 0x7f800000
	s_waitcnt vmcnt(0)
	v_lshlrev_b32_e32 v4, 24, v4
	v_and_b32_e32 v5, 0x7f000000, v4
	v_ffbh_u32_e32 v6, v5
	v_min_u32_e32 v6, 32, v6
	v_sub_u32_e64 v6, v6, 4 clamp
	v_lshlrev_b32_e32 v12, v6, v5
	v_lshlrev_b32_e32 v6, 23, v6
	v_lshrrev_b32_e32 v12, 4, v12
	v_add_u32_e32 v7, 0x1000000, v5
	v_sub_u32_e32 v6, v12, v6
	v_ashrrev_i32_e32 v7, 8, v7
	v_add_u32_e32 v6, 0x3c000000, v6
	v_and_or_b32 v6, v7, s0, v6
	v_cmp_ne_u32_e32 vcc, 0, v5
	v_cndmask_b32_e32 v5, 0, v6, vcc
	s_brev_b32 s0, 1
	v_and_or_b32 v4, v4, s0, v5
	v_cvt_f64_f32_e32 v[4:5], v4
.LBB119_1041:
	s_mov_b64 s[0:1], 0
.LBB119_1042:
	s_andn2_b64 vcc, exec, s[0:1]
	s_cbranch_vccnz .LBB119_1044
; %bb.1043:
	global_load_ubyte v4, v[9:10], off
	s_movk_i32 s0, 0x7f00
	s_brev_b32 s1, 16
	s_waitcnt vmcnt(0)
	v_lshlrev_b16_e32 v5, 8, v4
	v_lshlrev_b32_e32 v4, 25, v4
	v_lshrrev_b32_e32 v6, 4, v4
	v_and_or_b32 v7, v5, s0, 0.5
	v_or_b32_e32 v6, 0x70000000, v6
	v_add_f32_e32 v7, -0.5, v7
	v_mul_f32_e32 v6, 0x7800000, v6
	v_cmp_gt_u32_e32 vcc, s1, v4
	v_bfe_i32 v5, v5, 0, 16
	v_cndmask_b32_e32 v4, v6, v7, vcc
	s_brev_b32 s0, 1
	v_and_or_b32 v4, v5, s0, v4
	v_cvt_f64_f32_e32 v[4:5], v4
.LBB119_1044:
	s_mov_b64 s[62:63], 0
	s_mov_b64 s[0:1], -1
.LBB119_1045:
	s_andn2_b64 vcc, exec, s[62:63]
	s_cbranch_vccnz .LBB119_1056
; %bb.1046:
	s_cmp_gt_i32 s66, 14
	s_cbranch_scc0 .LBB119_1049
; %bb.1047:
	s_cmp_eq_u32 s66, 15
	s_cbranch_scc0 .LBB119_1050
; %bb.1048:
	global_load_ushort v4, v[9:10], off
	s_mov_b64 s[0:1], -1
	s_mov_b64 s[60:61], 0
	s_waitcnt vmcnt(0)
	v_lshlrev_b32_e32 v4, 16, v4
	v_cvt_f64_f32_e32 v[4:5], v4
	s_branch .LBB119_1051
.LBB119_1049:
	s_mov_b64 s[62:63], -1
                                        ; implicit-def: $vgpr4_vgpr5
	s_branch .LBB119_1052
.LBB119_1050:
	s_mov_b64 s[60:61], -1
                                        ; implicit-def: $vgpr4_vgpr5
.LBB119_1051:
	s_mov_b64 s[62:63], 0
.LBB119_1052:
	s_and_b64 vcc, exec, s[62:63]
	s_cbranch_vccz .LBB119_1056
; %bb.1053:
	s_cmp_eq_u32 s66, 11
	s_cbranch_scc0 .LBB119_1055
; %bb.1054:
	global_load_ubyte v5, v[9:10], off
	v_mov_b32_e32 v6, 0x3ff00000
	v_mov_b32_e32 v4, 0
	s_mov_b64 s[0:1], -1
	s_mov_b64 s[60:61], 0
	s_waitcnt vmcnt(0)
	v_cmp_ne_u16_e32 vcc, 0, v5
	v_cndmask_b32_e32 v5, 0, v6, vcc
	s_branch .LBB119_1056
.LBB119_1055:
	s_mov_b64 s[60:61], -1
                                        ; implicit-def: $vgpr4_vgpr5
.LBB119_1056:
	v_mov_b32_e32 v6, 0
	v_mov_b32_e32 v7, 0
.LBB119_1057:
	s_mov_b64 s[62:63], 0
.LBB119_1058:
	s_and_b64 vcc, exec, s[62:63]
	s_cbranch_vccz .LBB119_1109
; %bb.1059:
	s_and_b32 s14, 0xffff, s14
	s_cmp_lt_i32 s14, 5
	s_cbranch_scc1 .LBB119_1064
; %bb.1060:
	s_cmp_lt_i32 s14, 8
	s_cbranch_scc1 .LBB119_1065
; %bb.1061:
	;; [unrolled: 3-line block ×3, first 2 shown]
	s_cmp_gt_i32 s14, 9
	s_cbranch_scc0 .LBB119_1067
; %bb.1063:
	global_load_dwordx4 v[4:7], v[9:10], off
	s_mov_b64 s[0:1], 0
	s_branch .LBB119_1068
.LBB119_1064:
	s_mov_b64 s[0:1], -1
                                        ; implicit-def: $vgpr6_vgpr7
	s_branch .LBB119_1087
.LBB119_1065:
	s_mov_b64 s[0:1], -1
                                        ; implicit-def: $vgpr6_vgpr7
	s_branch .LBB119_1074
.LBB119_1066:
	s_mov_b64 s[0:1], -1
                                        ; implicit-def: $vgpr6_vgpr7
	s_branch .LBB119_1071
.LBB119_1067:
	s_mov_b64 s[0:1], -1
                                        ; implicit-def: $vgpr6_vgpr7
.LBB119_1068:
	s_andn2_b64 vcc, exec, s[0:1]
	s_cbranch_vccnz .LBB119_1070
; %bb.1069:
	global_load_dwordx2 v[5:6], v[9:10], off
	s_waitcnt vmcnt(0)
	v_cvt_f64_f32_e32 v[4:5], v5
	v_cvt_f64_f32_e32 v[6:7], v6
.LBB119_1070:
	s_mov_b64 s[0:1], 0
.LBB119_1071:
	s_andn2_b64 vcc, exec, s[0:1]
	s_cbranch_vccnz .LBB119_1073
; %bb.1072:
	global_load_dword v4, v[9:10], off
	s_waitcnt vmcnt(0)
	v_cvt_f32_f16_e32 v5, v4
	v_cvt_f32_f16_sdwa v6, v4 dst_sel:DWORD dst_unused:UNUSED_PAD src0_sel:WORD_1
	v_cvt_f64_f32_e32 v[4:5], v5
	v_cvt_f64_f32_e32 v[6:7], v6
.LBB119_1073:
	s_mov_b64 s[0:1], 0
.LBB119_1074:
	s_andn2_b64 vcc, exec, s[0:1]
	s_cbranch_vccnz .LBB119_1086
; %bb.1075:
	s_cmp_lt_i32 s14, 6
	s_cbranch_scc1 .LBB119_1078
; %bb.1076:
	s_cmp_gt_i32 s14, 6
	s_cbranch_scc0 .LBB119_1079
; %bb.1077:
	global_load_dwordx2 v[4:5], v[9:10], off
	s_mov_b64 s[0:1], 0
	s_branch .LBB119_1080
.LBB119_1078:
	s_mov_b64 s[0:1], -1
                                        ; implicit-def: $vgpr4_vgpr5
	s_branch .LBB119_1083
.LBB119_1079:
	s_mov_b64 s[0:1], -1
                                        ; implicit-def: $vgpr4_vgpr5
.LBB119_1080:
	s_andn2_b64 vcc, exec, s[0:1]
	s_cbranch_vccnz .LBB119_1082
; %bb.1081:
	global_load_dword v4, v[9:10], off
	s_waitcnt vmcnt(0)
	v_cvt_f64_f32_e32 v[4:5], v4
.LBB119_1082:
	s_mov_b64 s[0:1], 0
.LBB119_1083:
	s_andn2_b64 vcc, exec, s[0:1]
	s_cbranch_vccnz .LBB119_1085
; %bb.1084:
	global_load_ushort v4, v[9:10], off
	s_waitcnt vmcnt(0)
	v_cvt_f32_f16_e32 v4, v4
	v_cvt_f64_f32_e32 v[4:5], v4
.LBB119_1085:
	s_waitcnt vmcnt(0)
	v_mov_b32_e32 v6, 0
	v_mov_b32_e32 v7, 0
.LBB119_1086:
	s_mov_b64 s[0:1], 0
.LBB119_1087:
	s_andn2_b64 vcc, exec, s[0:1]
	s_cbranch_vccnz .LBB119_1108
; %bb.1088:
	s_cmp_lt_i32 s14, 2
	s_cbranch_scc1 .LBB119_1092
; %bb.1089:
	s_cmp_lt_i32 s14, 3
	s_cbranch_scc1 .LBB119_1093
; %bb.1090:
	s_cmp_gt_i32 s14, 3
	s_cbranch_scc0 .LBB119_1094
; %bb.1091:
	global_load_dwordx2 v[4:5], v[9:10], off
	s_mov_b64 s[0:1], 0
	s_waitcnt vmcnt(0)
	v_cvt_f64_i32_e32 v[5:6], v5
	v_cvt_f64_u32_e32 v[12:13], v4
	v_ldexp_f64 v[5:6], v[5:6], 32
	v_add_f64 v[4:5], v[5:6], v[12:13]
	s_branch .LBB119_1095
.LBB119_1092:
	s_mov_b64 s[0:1], -1
                                        ; implicit-def: $vgpr4_vgpr5
	s_branch .LBB119_1101
.LBB119_1093:
	s_mov_b64 s[0:1], -1
                                        ; implicit-def: $vgpr4_vgpr5
	s_branch .LBB119_1098
.LBB119_1094:
	s_mov_b64 s[0:1], -1
                                        ; implicit-def: $vgpr4_vgpr5
.LBB119_1095:
	s_andn2_b64 vcc, exec, s[0:1]
	s_cbranch_vccnz .LBB119_1097
; %bb.1096:
	global_load_dword v4, v[9:10], off
	s_waitcnt vmcnt(0)
	v_cvt_f64_i32_e32 v[4:5], v4
.LBB119_1097:
	s_mov_b64 s[0:1], 0
.LBB119_1098:
	s_andn2_b64 vcc, exec, s[0:1]
	s_cbranch_vccnz .LBB119_1100
; %bb.1099:
	global_load_sshort v4, v[9:10], off
	s_waitcnt vmcnt(0)
	v_cvt_f64_i32_e32 v[4:5], v4
.LBB119_1100:
	s_mov_b64 s[0:1], 0
.LBB119_1101:
	s_andn2_b64 vcc, exec, s[0:1]
	s_cbranch_vccnz .LBB119_1107
; %bb.1102:
	s_cmp_gt_i32 s14, 0
	s_cbranch_scc0 .LBB119_1104
; %bb.1103:
	global_load_sbyte v4, v[9:10], off
	s_mov_b64 s[0:1], 0
	s_waitcnt vmcnt(0)
	v_cvt_f64_i32_e32 v[4:5], v4
	s_branch .LBB119_1105
.LBB119_1104:
	s_mov_b64 s[0:1], -1
                                        ; implicit-def: $vgpr4_vgpr5
.LBB119_1105:
	s_andn2_b64 vcc, exec, s[0:1]
	s_cbranch_vccnz .LBB119_1107
; %bb.1106:
	global_load_ubyte v4, v[9:10], off
	s_waitcnt vmcnt(0)
	v_cvt_f64_u32_e32 v[4:5], v4
.LBB119_1107:
	s_waitcnt vmcnt(0)
	v_mov_b32_e32 v6, 0
	v_mov_b32_e32 v7, 0
.LBB119_1108:
	s_mov_b64 s[0:1], -1
.LBB119_1109:
	s_andn2_b64 vcc, exec, s[0:1]
	s_cbranch_vccnz .LBB119_1112
; %bb.1110:
	s_andn2_b64 vcc, exec, s[28:29]
	s_cbranch_vccnz .LBB119_1113
; %bb.1111:
	s_waitcnt vmcnt(0)
	v_cmp_neq_f64_e32 vcc, v[0:1], v[4:5]
	v_cmp_neq_f64_e64 s[0:1], v[2:3], v[6:7]
	s_or_b64 s[62:63], vcc, s[0:1]
	s_mov_b64 s[0:1], 0
	s_branch .LBB119_1114
.LBB119_1112:
	s_mov_b64 s[64:65], 0
                                        ; implicit-def: $vgpr11
	s_mov_b64 s[0:1], s[52:53]
	s_branch .LBB119_1238
.LBB119_1113:
	s_mov_b64 s[0:1], -1
                                        ; implicit-def: $sgpr62_sgpr63
.LBB119_1114:
	s_andn2_b64 vcc, exec, s[0:1]
	s_cbranch_vccnz .LBB119_1116
; %bb.1115:
	s_waitcnt vmcnt(0)
	v_cmp_eq_f64_e32 vcc, v[0:1], v[4:5]
	v_cmp_eq_f64_e64 s[0:1], v[2:3], v[6:7]
	s_andn2_b64 s[62:63], s[62:63], exec
	s_and_b64 s[0:1], vcc, s[0:1]
	s_and_b64 s[0:1], s[0:1], exec
	s_or_b64 s[62:63], s[62:63], s[0:1]
.LBB119_1116:
	s_waitcnt vmcnt(0)
	v_mov_b32_e32 v1, s9
	s_and_b32 s14, s15, 0xff
	v_add_co_u32_e32 v0, vcc, s8, v8
	s_cmp_lt_i32 s14, 11
	v_addc_co_u32_e32 v1, vcc, 0, v1, vcc
	s_cbranch_scc1 .LBB119_1123
; %bb.1117:
	s_and_b32 s71, 0xffff, s14
	s_cmp_gt_i32 s71, 25
	s_cbranch_scc0 .LBB119_1124
; %bb.1118:
	s_cmp_gt_i32 s71, 28
	s_cbranch_scc0 .LBB119_1125
; %bb.1119:
	;; [unrolled: 3-line block ×4, first 2 shown]
	s_mov_b64 s[66:67], 0
	s_mov_b64 s[0:1], -1
	s_cmp_eq_u32 s71, 46
	s_mov_b64 s[64:65], 0
	s_cbranch_scc0 .LBB119_1128
; %bb.1122:
	v_cndmask_b32_e64 v2, 0, 1.0, s[62:63]
	v_bfe_u32 v3, v2, 16, 1
	s_movk_i32 s0, 0x7fff
	v_add3_u32 v2, v2, v3, s0
	v_lshrrev_b32_e32 v2, 16, v2
	global_store_dword v[0:1], v2, off
	s_mov_b64 s[64:65], -1
	s_mov_b64 s[0:1], 0
	s_branch .LBB119_1128
.LBB119_1123:
	s_mov_b64 s[66:67], -1
	s_mov_b64 s[64:65], 0
	s_mov_b64 s[0:1], s[52:53]
	s_branch .LBB119_1197
.LBB119_1124:
	s_mov_b64 s[66:67], -1
	s_mov_b64 s[64:65], 0
	s_mov_b64 s[0:1], s[52:53]
	s_branch .LBB119_1155
.LBB119_1125:
	s_mov_b64 s[66:67], -1
	s_mov_b64 s[64:65], 0
	s_mov_b64 s[0:1], s[52:53]
	s_branch .LBB119_1138
.LBB119_1126:
	s_mov_b64 s[66:67], -1
	s_mov_b64 s[64:65], 0
	s_mov_b64 s[0:1], s[52:53]
	s_branch .LBB119_1134
.LBB119_1127:
	s_mov_b64 s[66:67], -1
	s_mov_b64 s[64:65], 0
	s_mov_b64 s[0:1], s[52:53]
.LBB119_1128:
	s_and_b64 vcc, exec, s[66:67]
	s_cbranch_vccz .LBB119_1133
; %bb.1129:
	s_cmp_eq_u32 s71, 44
	s_mov_b64 s[0:1], -1
	s_cbranch_scc0 .LBB119_1133
; %bb.1130:
	v_cndmask_b32_e64 v3, 0, 1.0, s[62:63]
	v_lshrrev_b32_e32 v2, 23, v3
	s_movk_i32 s0, 0xff
	v_cmp_ne_u32_e32 vcc, s0, v2
	v_mov_b32_e32 v4, 0xff
	s_and_saveexec_b64 s[64:65], vcc
; %bb.1131:
	s_mov_b32 s0, 0x3fffff
	v_and_b32_e32 v4, 0x400000, v3
	v_and_or_b32 v3, v3, s0, v2
	v_cmp_ne_u32_e32 vcc, 0, v4
	v_cmp_ne_u32_e64 s[0:1], 0, v3
	s_and_b64 s[0:1], vcc, s[0:1]
	v_cndmask_b32_e64 v3, 0, 1, s[0:1]
	v_add_u32_e32 v4, v2, v3
; %bb.1132:
	s_or_b64 exec, exec, s[64:65]
	s_mov_b64 s[64:65], -1
	s_mov_b64 s[0:1], 0
	global_store_byte v[0:1], v4, off
.LBB119_1133:
	s_mov_b64 s[66:67], 0
.LBB119_1134:
	s_and_b64 vcc, exec, s[66:67]
	s_cbranch_vccz .LBB119_1137
; %bb.1135:
	s_cmp_eq_u32 s71, 29
	s_mov_b64 s[0:1], -1
	s_cbranch_scc0 .LBB119_1137
; %bb.1136:
	s_mov_b32 s0, 0
	v_cndmask_b32_e64 v2, 0, 1, s[62:63]
	v_mov_b32_e32 v3, s0
	global_store_dwordx2 v[0:1], v[2:3], off
	s_mov_b64 s[64:65], -1
	s_mov_b64 s[0:1], 0
.LBB119_1137:
	s_mov_b64 s[66:67], 0
.LBB119_1138:
	s_and_b64 vcc, exec, s[66:67]
	s_cbranch_vccz .LBB119_1154
; %bb.1139:
	s_cmp_lt_i32 s71, 27
	s_mov_b64 s[64:65], -1
	s_cbranch_scc1 .LBB119_1145
; %bb.1140:
	s_cmp_gt_i32 s71, 27
	s_cbranch_scc0 .LBB119_1142
; %bb.1141:
	v_cndmask_b32_e64 v2, 0, 1, s[62:63]
	s_mov_b64 s[64:65], 0
	global_store_dword v[0:1], v2, off
.LBB119_1142:
	s_andn2_b64 vcc, exec, s[64:65]
	s_cbranch_vccnz .LBB119_1144
; %bb.1143:
	v_cndmask_b32_e64 v2, 0, 1, s[62:63]
	global_store_short v[0:1], v2, off
.LBB119_1144:
	s_mov_b64 s[64:65], 0
.LBB119_1145:
	s_andn2_b64 vcc, exec, s[64:65]
	s_cbranch_vccnz .LBB119_1153
; %bb.1146:
	v_cndmask_b32_e64 v3, 0, 1.0, s[62:63]
	s_mov_b32 s64, 0x43800000
	v_cmp_gt_u32_e32 vcc, s64, v3
	v_mov_b32_e32 v4, 0x80
	s_and_saveexec_b64 s[64:65], vcc
	s_cbranch_execz .LBB119_1152
; %bb.1147:
	s_mov_b32 s66, 0x3bffffff
	v_cmp_lt_u32_e32 vcc, s66, v3
	s_mov_b64 s[66:67], 0
                                        ; implicit-def: $vgpr2
	s_and_saveexec_b64 s[68:69], vcc
	s_xor_b64 s[68:69], exec, s[68:69]
	s_cbranch_execz .LBB119_1266
; %bb.1148:
	v_bfe_u32 v2, v3, 20, 1
	s_mov_b32 s76, 0x487ffff
	v_add3_u32 v2, v3, v2, s76
	s_mov_b64 s[66:67], exec
	v_lshrrev_b32_e32 v2, 20, v2
                                        ; implicit-def: $vgpr3
	s_andn2_saveexec_b64 s[68:69], s[68:69]
	s_cbranch_execnz .LBB119_1267
.LBB119_1149:
	s_or_b64 exec, exec, s[68:69]
	v_mov_b32_e32 v4, 0
	s_and_saveexec_b64 s[68:69], s[66:67]
.LBB119_1150:
	v_mov_b32_e32 v4, v2
.LBB119_1151:
	s_or_b64 exec, exec, s[68:69]
.LBB119_1152:
	s_or_b64 exec, exec, s[64:65]
	global_store_byte v[0:1], v4, off
.LBB119_1153:
	s_mov_b64 s[64:65], -1
.LBB119_1154:
	s_mov_b64 s[66:67], 0
.LBB119_1155:
	s_and_b64 vcc, exec, s[66:67]
	s_cbranch_vccz .LBB119_1196
; %bb.1156:
	s_cmp_gt_i32 s71, 22
	s_mov_b64 s[66:67], -1
	s_cbranch_scc0 .LBB119_1188
; %bb.1157:
	s_cmp_lt_i32 s71, 24
	s_mov_b64 s[64:65], -1
	s_cbranch_scc1 .LBB119_1177
; %bb.1158:
	s_cmp_gt_i32 s71, 24
	s_cbranch_scc0 .LBB119_1166
; %bb.1159:
	v_cndmask_b32_e64 v3, 0, 1.0, s[62:63]
	s_mov_b32 s64, 0x47800000
	v_cmp_gt_u32_e32 vcc, s64, v3
	v_mov_b32_e32 v4, 0x80
	s_and_saveexec_b64 s[64:65], vcc
	s_cbranch_execz .LBB119_1165
; %bb.1160:
	s_mov_b32 s66, 0x37ffffff
	v_cmp_lt_u32_e32 vcc, s66, v3
	s_mov_b64 s[66:67], 0
                                        ; implicit-def: $vgpr2
	s_and_saveexec_b64 s[68:69], vcc
	s_xor_b64 s[68:69], exec, s[68:69]
	s_cbranch_execz .LBB119_2379
; %bb.1161:
	v_bfe_u32 v2, v3, 21, 1
	s_mov_b32 s76, 0x88fffff
	v_add3_u32 v2, v3, v2, s76
	s_mov_b64 s[66:67], exec
	v_lshrrev_b32_e32 v2, 21, v2
                                        ; implicit-def: $vgpr3
	s_andn2_saveexec_b64 s[68:69], s[68:69]
	s_cbranch_execnz .LBB119_2380
.LBB119_1162:
	s_or_b64 exec, exec, s[68:69]
	v_mov_b32_e32 v4, 0
	s_and_saveexec_b64 s[68:69], s[66:67]
.LBB119_1163:
	v_mov_b32_e32 v4, v2
.LBB119_1164:
	s_or_b64 exec, exec, s[68:69]
.LBB119_1165:
	s_or_b64 exec, exec, s[64:65]
	s_mov_b64 s[64:65], 0
	global_store_byte v[0:1], v4, off
.LBB119_1166:
	s_and_b64 vcc, exec, s[64:65]
	s_cbranch_vccz .LBB119_1176
; %bb.1167:
	v_cndmask_b32_e64 v2, 0, 1.0, s[62:63]
	s_mov_b32 s64, 0x43f00000
	v_cmp_gt_u32_e32 vcc, s64, v2
                                        ; implicit-def: $vgpr3
	s_and_saveexec_b64 s[64:65], vcc
	s_xor_b64 s[64:65], exec, s[64:65]
	s_cbranch_execz .LBB119_1173
; %bb.1168:
	s_mov_b32 s66, 0x3c7fffff
	v_cmp_lt_u32_e32 vcc, s66, v2
                                        ; implicit-def: $vgpr3
	s_and_saveexec_b64 s[66:67], vcc
	s_xor_b64 s[66:67], exec, s[66:67]
; %bb.1169:
	v_bfe_u32 v3, v2, 20, 1
	s_mov_b32 s68, 0x407ffff
	v_add3_u32 v2, v2, v3, s68
	v_lshrrev_b32_e32 v3, 20, v2
	v_and_b32_e32 v2, 0xff00000, v2
	s_mov_b32 s68, 0x7f00000
	v_mov_b32_e32 v4, 0x7e
	v_cmp_ne_u32_e32 vcc, s68, v2
	v_cndmask_b32_e32 v3, v4, v3, vcc
                                        ; implicit-def: $vgpr2
; %bb.1170:
	s_andn2_saveexec_b64 s[66:67], s[66:67]
; %bb.1171:
	v_add_f32_e32 v3, 0x46800000, v2
; %bb.1172:
	s_or_b64 exec, exec, s[66:67]
                                        ; implicit-def: $vgpr2
.LBB119_1173:
	s_andn2_saveexec_b64 s[64:65], s[64:65]
; %bb.1174:
	s_mov_b32 s66, 0x7f800000
	v_mov_b32_e32 v3, 0x7e
	v_mov_b32_e32 v4, 0x7f
	v_cmp_lt_u32_e32 vcc, s66, v2
	v_cndmask_b32_e32 v3, v3, v4, vcc
; %bb.1175:
	s_or_b64 exec, exec, s[64:65]
	global_store_byte v[0:1], v3, off
.LBB119_1176:
	s_mov_b64 s[64:65], 0
.LBB119_1177:
	s_andn2_b64 vcc, exec, s[64:65]
	s_cbranch_vccnz .LBB119_1187
; %bb.1178:
	v_cndmask_b32_e64 v2, 0, 1.0, s[62:63]
	s_mov_b32 s64, 0x47800000
	v_cmp_gt_u32_e32 vcc, s64, v2
                                        ; implicit-def: $vgpr3
	s_and_saveexec_b64 s[64:65], vcc
	s_xor_b64 s[64:65], exec, s[64:65]
	s_cbranch_execz .LBB119_1184
; %bb.1179:
	s_mov_b32 s66, 0x387fffff
	v_cmp_lt_u32_e32 vcc, s66, v2
                                        ; implicit-def: $vgpr3
	s_and_saveexec_b64 s[66:67], vcc
	s_xor_b64 s[66:67], exec, s[66:67]
; %bb.1180:
	v_bfe_u32 v3, v2, 21, 1
	s_mov_b32 s68, 0x80fffff
	v_add3_u32 v2, v2, v3, s68
	v_lshrrev_b32_e32 v3, 21, v2
                                        ; implicit-def: $vgpr2
; %bb.1181:
	s_andn2_saveexec_b64 s[66:67], s[66:67]
; %bb.1182:
	v_add_f32_e32 v3, 0x43000000, v2
; %bb.1183:
	s_or_b64 exec, exec, s[66:67]
                                        ; implicit-def: $vgpr2
.LBB119_1184:
	s_andn2_saveexec_b64 s[64:65], s[64:65]
; %bb.1185:
	s_mov_b32 s66, 0x7f800000
	v_mov_b32_e32 v3, 0x7c
	v_mov_b32_e32 v4, 0x7f
	v_cmp_lt_u32_e32 vcc, s66, v2
	v_cndmask_b32_e32 v3, v3, v4, vcc
; %bb.1186:
	s_or_b64 exec, exec, s[64:65]
	global_store_byte v[0:1], v3, off
.LBB119_1187:
	s_mov_b64 s[66:67], 0
	s_mov_b64 s[64:65], -1
.LBB119_1188:
	s_andn2_b64 vcc, exec, s[66:67]
	s_cbranch_vccnz .LBB119_1196
; %bb.1189:
	s_cmp_gt_i32 s71, 14
	s_mov_b64 s[66:67], -1
	s_cbranch_scc0 .LBB119_1193
; %bb.1190:
	s_cmp_eq_u32 s71, 15
	s_mov_b64 s[0:1], -1
	s_cbranch_scc0 .LBB119_1192
; %bb.1191:
	v_cndmask_b32_e64 v2, 0, 1.0, s[62:63]
	v_bfe_u32 v3, v2, 16, 1
	s_movk_i32 s0, 0x7fff
	v_add3_u32 v2, v2, v3, s0
	global_store_short_d16_hi v[0:1], v2, off
	s_mov_b64 s[64:65], -1
	s_mov_b64 s[0:1], 0
.LBB119_1192:
	s_mov_b64 s[66:67], 0
.LBB119_1193:
	s_and_b64 vcc, exec, s[66:67]
	s_cbranch_vccz .LBB119_1196
; %bb.1194:
	s_cmp_eq_u32 s71, 11
	s_mov_b64 s[0:1], -1
	s_cbranch_scc0 .LBB119_1196
; %bb.1195:
	v_cndmask_b32_e64 v2, 0, 1, s[62:63]
	s_mov_b64 s[64:65], -1
	s_mov_b64 s[0:1], 0
	global_store_byte v[0:1], v2, off
.LBB119_1196:
	s_mov_b64 s[66:67], 0
.LBB119_1197:
	s_and_b64 vcc, exec, s[66:67]
	s_cbranch_vccz .LBB119_1236
; %bb.1198:
	s_and_b32 s14, 0xffff, s14
	s_cmp_lt_i32 s14, 5
	s_mov_b64 s[64:65], -1
	s_cbranch_scc1 .LBB119_1219
; %bb.1199:
	s_cmp_lt_i32 s14, 8
	s_cbranch_scc1 .LBB119_1209
; %bb.1200:
	s_cmp_lt_i32 s14, 9
	s_cbranch_scc1 .LBB119_1206
; %bb.1201:
	s_cmp_gt_i32 s14, 9
	s_cbranch_scc0 .LBB119_1203
; %bb.1202:
	v_cndmask_b32_e64 v2, 0, 1, s[62:63]
	v_cvt_f64_u32_e32 v[2:3], v2
	v_mov_b32_e32 v4, 0
	v_mov_b32_e32 v5, v4
	s_mov_b64 s[64:65], 0
	global_store_dwordx4 v[0:1], v[2:5], off
.LBB119_1203:
	s_andn2_b64 vcc, exec, s[64:65]
	s_cbranch_vccnz .LBB119_1205
; %bb.1204:
	v_cndmask_b32_e64 v2, 0, 1.0, s[62:63]
	v_mov_b32_e32 v3, 0
	global_store_dwordx2 v[0:1], v[2:3], off
.LBB119_1205:
	s_mov_b64 s[64:65], 0
.LBB119_1206:
	s_andn2_b64 vcc, exec, s[64:65]
	s_cbranch_vccnz .LBB119_1208
; %bb.1207:
	v_cndmask_b32_e64 v2, 0, 1.0, s[62:63]
	v_cvt_f16_f32_e32 v2, v2
	global_store_dword v[0:1], v2, off
.LBB119_1208:
	s_mov_b64 s[64:65], 0
.LBB119_1209:
	s_andn2_b64 vcc, exec, s[64:65]
	s_cbranch_vccnz .LBB119_1218
; %bb.1210:
	s_cmp_lt_i32 s14, 6
	s_mov_b64 s[64:65], -1
	s_cbranch_scc1 .LBB119_1216
; %bb.1211:
	s_cmp_gt_i32 s14, 6
	s_cbranch_scc0 .LBB119_1213
; %bb.1212:
	v_cndmask_b32_e64 v2, 0, 1, s[62:63]
	v_cvt_f64_u32_e32 v[2:3], v2
	s_mov_b64 s[64:65], 0
	global_store_dwordx2 v[0:1], v[2:3], off
.LBB119_1213:
	s_andn2_b64 vcc, exec, s[64:65]
	s_cbranch_vccnz .LBB119_1215
; %bb.1214:
	v_cndmask_b32_e64 v2, 0, 1.0, s[62:63]
	global_store_dword v[0:1], v2, off
.LBB119_1215:
	s_mov_b64 s[64:65], 0
.LBB119_1216:
	s_andn2_b64 vcc, exec, s[64:65]
	s_cbranch_vccnz .LBB119_1218
; %bb.1217:
	v_cndmask_b32_e64 v2, 0, 1.0, s[62:63]
	v_cvt_f16_f32_e32 v2, v2
	global_store_short v[0:1], v2, off
.LBB119_1218:
	s_mov_b64 s[64:65], 0
.LBB119_1219:
	s_andn2_b64 vcc, exec, s[64:65]
	s_cbranch_vccnz .LBB119_1235
; %bb.1220:
	s_cmp_lt_i32 s14, 2
	s_mov_b64 s[64:65], -1
	s_cbranch_scc1 .LBB119_1230
; %bb.1221:
	s_cmp_lt_i32 s14, 3
	s_cbranch_scc1 .LBB119_1227
; %bb.1222:
	s_cmp_gt_i32 s14, 3
	s_cbranch_scc0 .LBB119_1224
; %bb.1223:
	s_mov_b32 s64, 0
	v_cndmask_b32_e64 v2, 0, 1, s[62:63]
	v_mov_b32_e32 v3, s64
	s_mov_b64 s[64:65], 0
	global_store_dwordx2 v[0:1], v[2:3], off
.LBB119_1224:
	s_andn2_b64 vcc, exec, s[64:65]
	s_cbranch_vccnz .LBB119_1226
; %bb.1225:
	v_cndmask_b32_e64 v2, 0, 1, s[62:63]
	global_store_dword v[0:1], v2, off
.LBB119_1226:
	s_mov_b64 s[64:65], 0
.LBB119_1227:
	s_andn2_b64 vcc, exec, s[64:65]
	s_cbranch_vccnz .LBB119_1229
; %bb.1228:
	v_cndmask_b32_e64 v2, 0, 1, s[62:63]
	global_store_short v[0:1], v2, off
.LBB119_1229:
	s_mov_b64 s[64:65], 0
.LBB119_1230:
	s_andn2_b64 vcc, exec, s[64:65]
	s_cbranch_vccnz .LBB119_1235
; %bb.1231:
	s_mov_b64 s[64:65], -1
	s_cmp_gt_i32 s14, 0
	v_cndmask_b32_e64 v2, 0, 1, s[62:63]
	s_cbranch_scc0 .LBB119_1233
; %bb.1232:
	s_mov_b64 s[64:65], 0
	global_store_byte v[0:1], v2, off
.LBB119_1233:
	s_andn2_b64 vcc, exec, s[64:65]
	s_cbranch_vccnz .LBB119_1235
; %bb.1234:
	global_store_byte v[0:1], v2, off
.LBB119_1235:
	s_mov_b64 s[64:65], -1
.LBB119_1236:
	s_andn2_b64 vcc, exec, s[64:65]
	s_cbranch_vccnz .LBB119_1248
; %bb.1237:
	v_add_u32_e32 v11, 0x80, v11
	s_mov_b64 s[64:65], -1
.LBB119_1238:
	s_andn2_b64 s[62:63], s[52:53], exec
	s_and_b64 s[0:1], s[0:1], exec
	s_or_b64 s[62:63], s[62:63], s[0:1]
	s_andn2_b64 s[0:1], s[50:51], exec
	s_and_b64 s[60:61], s[60:61], exec
	s_or_b64 s[60:61], s[0:1], s[60:61]
	;; [unrolled: 3-line block ×3, first 2 shown]
	s_orn2_b64 s[68:69], s[64:65], exec
.LBB119_1239:
	s_or_b64 exec, exec, s[56:57]
	s_mov_b64 s[64:65], 0
	s_mov_b64 s[58:59], 0
	s_mov_b64 s[66:67], 0
                                        ; implicit-def: $sgpr14
                                        ; implicit-def: $vgpr5_vgpr6
                                        ; implicit-def: $vgpr8
                                        ; implicit-def: $vgpr4
                                        ; implicit-def: $vgpr2_vgpr3
	s_and_saveexec_b64 s[56:57], s[68:69]
	s_cbranch_execz .LBB119_1337
; %bb.1240:
	v_cmp_gt_i32_e32 vcc, s70, v11
	s_mov_b64 s[68:69], s[0:1]
	s_mov_b64 s[70:71], 0
                                        ; implicit-def: $sgpr14
                                        ; implicit-def: $vgpr5_vgpr6
                                        ; implicit-def: $vgpr8
                                        ; implicit-def: $vgpr4
                                        ; implicit-def: $vgpr2_vgpr3
	s_and_saveexec_b64 s[58:59], vcc
	s_cbranch_execz .LBB119_1336
; %bb.1241:
	s_andn2_b64 vcc, exec, s[24:25]
	s_cbranch_vccnz .LBB119_1247
; %bb.1242:
	s_andn2_b64 vcc, exec, s[38:39]
	s_cbranch_vccnz .LBB119_1249
; %bb.1243:
	s_add_i32 s14, s75, 1
	s_and_b32 s14, s14, 30
	s_add_u32 s38, s2, 0xffffffe8
	s_addc_u32 s39, s3, -1
	s_waitcnt vmcnt(0)
	v_mov_b32_e32 v4, 0
	v_mov_b32_e32 v0, 0
	;; [unrolled: 1-line block ×4, first 2 shown]
.LBB119_1244:                           ; =>This Inner Loop Header: Depth=1
	s_load_dwordx4 s[64:67], s[38:39], 0x1c
	s_load_dwordx2 s[76:77], s[38:39], 0x2c
	s_load_dwordx2 s[78:79], s[38:39], 0xec
	s_load_dwordx4 s[68:71], s[38:39], 0xdc
	s_add_u32 s38, s38, 24
	s_waitcnt lgkmcnt(0)
	v_mul_hi_u32 v2, s65, v1
	s_addc_u32 s39, s39, 0
	s_add_i32 s14, s14, -2
	s_cmp_eq_u32 s14, 0
	v_add_u32_e32 v2, v1, v2
	v_lshrrev_b32_e32 v2, s66, v2
	v_mul_lo_u32 v3, v2, s64
	v_mul_hi_u32 v5, s76, v2
	v_sub_u32_e32 v3, v1, v3
	v_add_u32_e32 v1, v2, v5
	v_lshrrev_b32_e32 v1, s77, v1
	v_mul_lo_u32 v7, v1, s67
	v_mul_lo_u32 v5, v3, s68
	v_mul_lo_u32 v6, v3, s69
	v_mul_lo_u32 v3, v3, s70
	v_sub_u32_e32 v2, v2, v7
	v_mul_lo_u32 v7, v2, s71
	v_mul_lo_u32 v9, v2, s78
	;; [unrolled: 1-line block ×3, first 2 shown]
	v_add3_u32 v8, v5, v8, v7
	v_add3_u32 v0, v6, v0, v9
	v_add3_u32 v4, v3, v4, v2
	s_cbranch_scc0 .LBB119_1244
; %bb.1245:
	s_bitcmp1_b32 s75, 0
	s_cselect_b64 s[64:65], -1, 0
	s_and_b64 vcc, exec, s[64:65]
	s_cbranch_vccnz .LBB119_1250
; %bb.1246:
	s_load_dwordx2 s[64:65], s[38:39], 0x1c
	s_load_dword s14, s[38:39], 0x24
	s_load_dwordx2 s[66:67], s[38:39], 0xdc
	s_waitcnt lgkmcnt(0)
	v_mul_hi_u32 v2, s65, v1
	v_add_u32_e32 v2, v1, v2
	v_lshrrev_b32_e32 v2, s14, v2
	v_mul_lo_u32 v2, v2, s64
	s_load_dword s14, s[38:39], 0xe4
	v_sub_u32_e32 v2, v1, v2
	v_mad_u64_u32 v[8:9], s[38:39], v2, s66, v[8:9]
	v_mad_u64_u32 v[0:1], s[38:39], v2, s67, v[0:1]
	s_waitcnt lgkmcnt(0)
	v_mad_u64_u32 v[4:5], s[38:39], v2, s14, v[4:5]
	s_branch .LBB119_1250
.LBB119_1247:
	s_mov_b64 s[38:39], -1
                                        ; implicit-def: $vgpr8
                                        ; implicit-def: $vgpr0
                                        ; implicit-def: $vgpr4
	s_branch .LBB119_1251
.LBB119_1248:
	s_mov_b64 s[64:65], 0
	s_branch .LBB119_981
.LBB119_1249:
	v_mov_b32_e32 v8, 0
	s_waitcnt vmcnt(0)
	v_mov_b32_e32 v0, 0
	v_mov_b32_e32 v4, 0
.LBB119_1250:
	s_mov_b64 s[38:39], 0
.LBB119_1251:
	s_andn2_b64 vcc, exec, s[38:39]
	s_cbranch_vccnz .LBB119_1254
; %bb.1252:
	s_waitcnt vmcnt(0)
	v_mul_hi_u32 v0, s17, v11
	s_andn2_b64 vcc, exec, s[36:37]
	v_add_u32_e32 v0, v11, v0
	v_lshrrev_b32_e32 v1, s18, v0
	v_mul_lo_u32 v0, v1, s16
	v_sub_u32_e32 v2, v11, v0
	v_mul_lo_u32 v8, v2, s20
	v_mul_lo_u32 v0, v2, s21
	;; [unrolled: 1-line block ×3, first 2 shown]
	s_cbranch_vccnz .LBB119_1254
; %bb.1253:
	v_mul_hi_u32 v2, s34, v1
	v_add_u32_e32 v2, v1, v2
	v_lshrrev_b32_e32 v2, s35, v2
	v_mul_lo_u32 v2, v2, s19
	v_sub_u32_e32 v2, v1, v2
	v_mad_u64_u32 v[8:9], s[16:17], v2, s23, v[8:9]
	v_mad_u64_u32 v[0:1], s[16:17], v2, s30, v[0:1]
	;; [unrolled: 1-line block ×3, first 2 shown]
.LBB119_1254:
	s_waitcnt vmcnt(0)
	v_mov_b32_e32 v1, s11
	s_and_b32 s14, s74, 0xff
	v_add_co_u32_e32 v5, vcc, s10, v0
	s_cmp_lt_i32 s14, 11
	v_addc_co_u32_e32 v6, vcc, 0, v1, vcc
	s_cbranch_scc1 .LBB119_1261
; %bb.1255:
	s_and_b32 s30, 0xffff, s14
	s_cmp_gt_i32 s30, 25
	s_mov_b64 s[16:17], 0
	s_cbranch_scc0 .LBB119_1262
; %bb.1256:
	s_cmp_gt_i32 s30, 28
	s_cbranch_scc0 .LBB119_1263
; %bb.1257:
	s_cmp_gt_i32 s30, 43
	s_cbranch_scc0 .LBB119_1264
; %bb.1258:
	s_cmp_gt_i32 s30, 45
	s_cbranch_scc0 .LBB119_1265
; %bb.1259:
	s_cmp_eq_u32 s30, 46
	s_mov_b64 s[20:21], 0
	s_cbranch_scc0 .LBB119_1268
; %bb.1260:
	global_load_dword v0, v[5:6], off
	s_mov_b64 s[10:11], 0
	s_mov_b64 s[18:19], -1
	s_waitcnt vmcnt(0)
	v_and_b32_e32 v2, 0xffff0000, v0
	v_lshlrev_b32_e32 v0, 16, v0
	v_cvt_f64_f32_e32 v[0:1], v0
	v_cvt_f64_f32_e32 v[2:3], v2
	s_branch .LBB119_1269
.LBB119_1261:
	s_mov_b64 s[20:21], -1
	s_mov_b64 s[18:19], 0
	s_mov_b64 s[16:17], 0
	s_mov_b64 s[10:11], s[0:1]
                                        ; implicit-def: $vgpr2_vgpr3
	s_branch .LBB119_1335
.LBB119_1262:
	s_mov_b64 s[20:21], -1
	s_mov_b64 s[18:19], 0
	s_mov_b64 s[10:11], s[0:1]
                                        ; implicit-def: $vgpr2_vgpr3
	s_branch .LBB119_1302
.LBB119_1263:
	s_mov_b64 s[20:21], -1
	s_mov_b64 s[18:19], 0
	s_mov_b64 s[10:11], s[0:1]
                                        ; implicit-def: $vgpr2_vgpr3
	s_branch .LBB119_1281
.LBB119_1264:
	s_mov_b64 s[20:21], -1
	s_mov_b64 s[18:19], 0
	s_mov_b64 s[10:11], s[0:1]
                                        ; implicit-def: $vgpr2_vgpr3
	s_branch .LBB119_1275
.LBB119_1265:
	s_mov_b64 s[20:21], -1
	s_mov_b64 s[18:19], 0
	s_mov_b64 s[10:11], s[0:1]
                                        ; implicit-def: $vgpr2_vgpr3
	s_branch .LBB119_1269
.LBB119_1266:
	s_andn2_saveexec_b64 s[68:69], s[68:69]
	s_cbranch_execz .LBB119_1149
.LBB119_1267:
	v_add_f32_e32 v2, 0x46000000, v3
	v_and_b32_e32 v2, 0xff, v2
	v_cmp_ne_u32_e32 vcc, 0, v2
	s_andn2_b64 s[66:67], s[66:67], exec
	s_and_b64 s[76:77], vcc, exec
	s_or_b64 s[66:67], s[66:67], s[76:77]
	s_or_b64 exec, exec, s[68:69]
	v_mov_b32_e32 v4, 0
	s_and_saveexec_b64 s[68:69], s[66:67]
	s_cbranch_execnz .LBB119_1150
	s_branch .LBB119_1151
.LBB119_1268:
	s_mov_b64 s[10:11], -1
                                        ; implicit-def: $vgpr2_vgpr3
	s_mov_b64 s[18:19], 0
.LBB119_1269:
	s_and_b64 vcc, exec, s[20:21]
	s_cbranch_vccz .LBB119_1274
; %bb.1270:
	s_cmp_eq_u32 s30, 44
	s_cbranch_scc0 .LBB119_1272
; %bb.1271:
	global_load_ubyte v2, v[5:6], off
	s_movk_i32 s18, 0xff
	v_bfrev_b32_e32 v3, 4
	v_mov_b32_e32 v7, 0x7ff80000
	v_bfrev_b32_e32 v9, 28
	s_mov_b64 s[10:11], 0
	s_waitcnt vmcnt(0)
	v_lshlrev_b32_e32 v0, 23, v2
	v_cvt_f64_f32_e32 v[0:1], v0
	v_cmp_ne_u32_e32 vcc, s18, v2
	s_mov_b64 s[18:19], -1
	v_cndmask_b32_e32 v0, v3, v0, vcc
	v_cndmask_b32_e32 v1, v7, v1, vcc
	v_cmp_ne_u32_e32 vcc, 0, v2
	v_cndmask_b32_e32 v1, v9, v1, vcc
	v_cndmask_b32_e32 v0, 0, v0, vcc
	s_branch .LBB119_1273
.LBB119_1272:
	s_mov_b64 s[10:11], -1
                                        ; implicit-def: $vgpr0_vgpr1
.LBB119_1273:
	v_mov_b32_e32 v2, 0
	v_mov_b32_e32 v3, 0
.LBB119_1274:
	s_mov_b64 s[20:21], 0
.LBB119_1275:
	s_and_b64 vcc, exec, s[20:21]
	s_cbranch_vccz .LBB119_1280
; %bb.1276:
	s_cmp_eq_u32 s30, 29
	s_cbranch_scc0 .LBB119_1278
; %bb.1277:
	global_load_dwordx2 v[0:1], v[5:6], off
	s_mov_b64 s[10:11], 0
	s_mov_b64 s[18:19], -1
	s_waitcnt vmcnt(0)
	v_cvt_f64_u32_e32 v[1:2], v1
	v_cvt_f64_u32_e32 v[9:10], v0
	v_ldexp_f64 v[1:2], v[1:2], 32
	v_add_f64 v[0:1], v[1:2], v[9:10]
	s_branch .LBB119_1279
.LBB119_1278:
	s_mov_b64 s[10:11], -1
                                        ; implicit-def: $vgpr0_vgpr1
.LBB119_1279:
	v_mov_b32_e32 v2, 0
	v_mov_b32_e32 v3, 0
.LBB119_1280:
	s_mov_b64 s[20:21], 0
.LBB119_1281:
	s_and_b64 vcc, exec, s[20:21]
	s_cbranch_vccz .LBB119_1301
; %bb.1282:
	s_cmp_lt_i32 s30, 27
	s_cbranch_scc1 .LBB119_1285
; %bb.1283:
	s_cmp_gt_i32 s30, 27
	s_cbranch_scc0 .LBB119_1286
; %bb.1284:
	global_load_dword v0, v[5:6], off
	s_mov_b64 s[18:19], 0
	s_waitcnt vmcnt(0)
	v_cvt_f64_u32_e32 v[0:1], v0
	s_branch .LBB119_1287
.LBB119_1285:
	s_mov_b64 s[18:19], -1
                                        ; implicit-def: $vgpr0_vgpr1
	s_branch .LBB119_1290
.LBB119_1286:
	s_mov_b64 s[18:19], -1
                                        ; implicit-def: $vgpr0_vgpr1
.LBB119_1287:
	s_andn2_b64 vcc, exec, s[18:19]
	s_cbranch_vccnz .LBB119_1289
; %bb.1288:
	global_load_ushort v0, v[5:6], off
	s_waitcnt vmcnt(0)
	v_cvt_f64_u32_e32 v[0:1], v0
.LBB119_1289:
	s_mov_b64 s[18:19], 0
.LBB119_1290:
	s_andn2_b64 vcc, exec, s[18:19]
	s_cbranch_vccnz .LBB119_1300
; %bb.1291:
	global_load_ubyte v2, v[5:6], off
	s_movk_i32 s18, 0x7f
	s_waitcnt vmcnt(0)
	v_cmp_lt_i16_e32 vcc, s18, v2
	s_mov_b64 s[18:19], 0
	s_and_saveexec_b64 s[20:21], vcc
	s_xor_b64 s[20:21], exec, s[20:21]
	s_cbranch_execz .LBB119_1295
; %bb.1292:
	s_movk_i32 s18, 0x80
	v_cmp_eq_u16_e32 vcc, s18, v2
	s_mov_b64 s[18:19], -1
	s_and_saveexec_b64 s[22:23], vcc
; %bb.1293:
	s_xor_b64 s[18:19], exec, -1
; %bb.1294:
	s_or_b64 exec, exec, s[22:23]
	s_and_b64 s[18:19], s[18:19], exec
.LBB119_1295:
	s_or_saveexec_b64 s[20:21], s[20:21]
	v_bfrev_b32_e32 v0, 4
	v_mov_b32_e32 v1, 0x7ff80000
	s_xor_b64 exec, exec, s[20:21]
; %bb.1296:
	v_cmp_ne_u16_e32 vcc, 0, v2
	v_mov_b32_e32 v0, 0
	s_andn2_b64 s[18:19], s[18:19], exec
	s_and_b64 s[22:23], vcc, exec
	v_mov_b32_e32 v1, 0
	s_or_b64 s[18:19], s[18:19], s[22:23]
; %bb.1297:
	s_or_b64 exec, exec, s[20:21]
	s_and_saveexec_b64 s[20:21], s[18:19]
	s_cbranch_execz .LBB119_1299
; %bb.1298:
	v_and_b32_e32 v1, 0xffff, v2
	v_lshlrev_b32_e32 v0, 24, v2
	v_and_b32_e32 v2, 7, v1
	v_ffbh_u32_e32 v7, v2
	v_min_u32_e32 v7, 32, v7
	v_subrev_u32_e32 v9, 28, v7
	v_bfe_u32 v3, v1, 3, 4
	v_lshlrev_b32_e32 v1, v9, v1
	v_sub_u32_e32 v7, 29, v7
	v_and_b32_e32 v1, 7, v1
	v_cmp_eq_u32_e32 vcc, 0, v3
	v_cndmask_b32_e32 v3, v3, v7, vcc
	v_cndmask_b32_e32 v1, v2, v1, vcc
	v_mov_b32_e32 v2, 0x3b800000
	v_lshlrev_b32_e32 v1, 20, v1
	v_and_b32_e32 v0, 0x80000000, v0
	v_lshl_add_u32 v2, v3, 23, v2
	v_or3_b32 v0, v0, v2, v1
	v_cvt_f64_f32_e32 v[0:1], v0
.LBB119_1299:
	s_or_b64 exec, exec, s[20:21]
.LBB119_1300:
	v_mov_b32_e32 v2, 0
	v_mov_b32_e32 v3, 0
	s_mov_b64 s[18:19], -1
.LBB119_1301:
	s_mov_b64 s[20:21], 0
.LBB119_1302:
	s_and_b64 vcc, exec, s[20:21]
	s_cbranch_vccz .LBB119_1334
; %bb.1303:
	s_cmp_gt_i32 s30, 22
	s_cbranch_scc0 .LBB119_1315
; %bb.1304:
	s_cmp_lt_i32 s30, 24
	s_cbranch_scc1 .LBB119_1316
; %bb.1305:
	s_cmp_gt_i32 s30, 24
	s_cbranch_scc0 .LBB119_1317
; %bb.1306:
	global_load_ubyte v2, v[5:6], off
	s_movk_i32 s16, 0x7f
	s_waitcnt vmcnt(0)
	v_cmp_lt_i16_e32 vcc, s16, v2
	s_mov_b64 s[16:17], 0
	s_and_saveexec_b64 s[18:19], vcc
	s_xor_b64 s[18:19], exec, s[18:19]
	s_cbranch_execz .LBB119_1310
; %bb.1307:
	s_movk_i32 s16, 0x80
	v_cmp_eq_u16_e32 vcc, s16, v2
	s_mov_b64 s[16:17], -1
	s_and_saveexec_b64 s[20:21], vcc
; %bb.1308:
	s_xor_b64 s[16:17], exec, -1
; %bb.1309:
	s_or_b64 exec, exec, s[20:21]
	s_and_b64 s[16:17], s[16:17], exec
.LBB119_1310:
	s_or_saveexec_b64 s[18:19], s[18:19]
	v_bfrev_b32_e32 v0, 4
	v_mov_b32_e32 v1, 0x7ff80000
	s_xor_b64 exec, exec, s[18:19]
; %bb.1311:
	v_cmp_ne_u16_e32 vcc, 0, v2
	v_mov_b32_e32 v0, 0
	s_andn2_b64 s[16:17], s[16:17], exec
	s_and_b64 s[20:21], vcc, exec
	v_mov_b32_e32 v1, 0
	s_or_b64 s[16:17], s[16:17], s[20:21]
; %bb.1312:
	s_or_b64 exec, exec, s[18:19]
	s_and_saveexec_b64 s[18:19], s[16:17]
	s_cbranch_execz .LBB119_1314
; %bb.1313:
	v_and_b32_e32 v1, 0xffff, v2
	v_lshlrev_b32_e32 v0, 24, v2
	v_and_b32_e32 v2, 3, v1
	v_ffbh_u32_e32 v7, v2
	v_min_u32_e32 v7, 32, v7
	v_subrev_u32_e32 v9, 29, v7
	v_bfe_u32 v3, v1, 2, 5
	v_lshlrev_b32_e32 v1, v9, v1
	v_sub_u32_e32 v7, 30, v7
	v_and_b32_e32 v1, 3, v1
	v_cmp_eq_u32_e32 vcc, 0, v3
	v_cndmask_b32_e32 v3, v3, v7, vcc
	v_cndmask_b32_e32 v1, v2, v1, vcc
	v_mov_b32_e32 v2, 0x37800000
	v_lshlrev_b32_e32 v1, 21, v1
	v_and_b32_e32 v0, 0x80000000, v0
	v_lshl_add_u32 v2, v3, 23, v2
	v_or3_b32 v0, v0, v2, v1
	v_cvt_f64_f32_e32 v[0:1], v0
.LBB119_1314:
	s_or_b64 exec, exec, s[18:19]
	s_mov_b64 s[16:17], 0
	s_branch .LBB119_1318
.LBB119_1315:
	s_mov_b64 s[16:17], -1
                                        ; implicit-def: $vgpr0_vgpr1
	s_branch .LBB119_1324
.LBB119_1316:
	s_mov_b64 s[16:17], -1
                                        ; implicit-def: $vgpr0_vgpr1
	s_branch .LBB119_1321
.LBB119_1317:
	s_mov_b64 s[16:17], -1
                                        ; implicit-def: $vgpr0_vgpr1
.LBB119_1318:
	s_and_b64 vcc, exec, s[16:17]
	s_cbranch_vccz .LBB119_1320
; %bb.1319:
	global_load_ubyte v0, v[5:6], off
	s_mov_b32 s16, 0x7f800000
	s_waitcnt vmcnt(0)
	v_lshlrev_b32_e32 v0, 24, v0
	v_and_b32_e32 v1, 0x7f000000, v0
	v_ffbh_u32_e32 v2, v1
	v_min_u32_e32 v2, 32, v2
	v_sub_u32_e64 v2, v2, 4 clamp
	v_lshlrev_b32_e32 v7, v2, v1
	v_lshlrev_b32_e32 v2, 23, v2
	v_lshrrev_b32_e32 v7, 4, v7
	v_add_u32_e32 v3, 0x1000000, v1
	v_sub_u32_e32 v2, v7, v2
	v_ashrrev_i32_e32 v3, 8, v3
	v_add_u32_e32 v2, 0x3c000000, v2
	v_and_or_b32 v2, v3, s16, v2
	v_cmp_ne_u32_e32 vcc, 0, v1
	v_cndmask_b32_e32 v1, 0, v2, vcc
	s_brev_b32 s16, 1
	v_and_or_b32 v0, v0, s16, v1
	v_cvt_f64_f32_e32 v[0:1], v0
.LBB119_1320:
	s_mov_b64 s[16:17], 0
.LBB119_1321:
	s_andn2_b64 vcc, exec, s[16:17]
	s_cbranch_vccnz .LBB119_1323
; %bb.1322:
	global_load_ubyte v0, v[5:6], off
	s_movk_i32 s16, 0x7f00
	s_brev_b32 s17, 16
	s_waitcnt vmcnt(0)
	v_lshlrev_b16_e32 v1, 8, v0
	v_lshlrev_b32_e32 v0, 25, v0
	v_lshrrev_b32_e32 v2, 4, v0
	v_and_or_b32 v3, v1, s16, 0.5
	v_or_b32_e32 v2, 0x70000000, v2
	v_add_f32_e32 v3, -0.5, v3
	v_mul_f32_e32 v2, 0x7800000, v2
	v_cmp_gt_u32_e32 vcc, s17, v0
	v_bfe_i32 v1, v1, 0, 16
	v_cndmask_b32_e32 v0, v2, v3, vcc
	s_brev_b32 s16, 1
	v_and_or_b32 v0, v1, s16, v0
	v_cvt_f64_f32_e32 v[0:1], v0
.LBB119_1323:
	s_mov_b64 s[16:17], 0
	s_mov_b64 s[18:19], -1
.LBB119_1324:
	s_andn2_b64 vcc, exec, s[16:17]
	s_mov_b64 s[16:17], 0
	s_cbranch_vccnz .LBB119_1333
; %bb.1325:
	s_cmp_gt_i32 s30, 14
	s_cbranch_scc0 .LBB119_1328
; %bb.1326:
	s_cmp_eq_u32 s30, 15
	s_cbranch_scc0 .LBB119_1329
; %bb.1327:
	global_load_ushort v0, v[5:6], off
	s_mov_b64 s[10:11], 0
	s_mov_b64 s[18:19], -1
	s_waitcnt vmcnt(0)
	v_lshlrev_b32_e32 v0, 16, v0
	v_cvt_f64_f32_e32 v[0:1], v0
	s_branch .LBB119_1330
.LBB119_1328:
	s_mov_b64 s[20:21], -1
                                        ; implicit-def: $vgpr0_vgpr1
	s_branch .LBB119_1331
.LBB119_1329:
	s_mov_b64 s[10:11], -1
                                        ; implicit-def: $vgpr0_vgpr1
.LBB119_1330:
	s_mov_b64 s[20:21], 0
.LBB119_1331:
	s_and_b64 vcc, exec, s[20:21]
	s_cbranch_vccz .LBB119_1333
; %bb.1332:
	s_cmp_lg_u32 s30, 11
	s_cselect_b64 s[20:21], -1, 0
	s_andn2_b64 s[10:11], s[10:11], exec
	s_and_b64 s[20:21], s[20:21], exec
	s_mov_b64 s[16:17], -1
	s_or_b64 s[10:11], s[10:11], s[20:21]
.LBB119_1333:
	v_mov_b32_e32 v2, 0
	v_mov_b32_e32 v3, 0
.LBB119_1334:
	s_mov_b64 s[20:21], 0
.LBB119_1335:
	s_and_b64 s[64:65], s[16:17], exec
	s_andn2_b64 s[16:17], s[0:1], exec
	s_and_b64 s[10:11], s[10:11], exec
	s_and_b64 s[66:67], s[18:19], exec
	s_and_b64 s[70:71], s[20:21], exec
	s_or_b64 s[68:69], s[16:17], s[10:11]
.LBB119_1336:
	s_or_b64 exec, exec, s[58:59]
	s_andn2_b64 s[0:1], s[0:1], exec
	s_and_b64 s[10:11], s[68:69], exec
	s_and_b64 s[66:67], s[66:67], exec
	;; [unrolled: 1-line block ×4, first 2 shown]
	s_or_b64 s[0:1], s[0:1], s[10:11]
.LBB119_1337:
	s_or_b64 exec, exec, s[56:57]
	s_andn2_b64 s[10:11], s[52:53], exec
	s_and_b64 s[16:17], s[62:63], exec
	s_or_b64 s[52:53], s[10:11], s[16:17]
	s_andn2_b64 s[10:11], s[50:51], exec
	s_and_b64 s[16:17], s[60:61], exec
	s_or_b64 s[50:51], s[10:11], s[16:17]
	s_andn2_b64 s[10:11], s[48:49], exec
	s_and_b64 s[0:1], s[0:1], exec
	s_and_b64 s[60:61], s[66:67], exec
	;; [unrolled: 1-line block ×4, first 2 shown]
	s_or_b64 s[48:49], s[10:11], s[0:1]
.LBB119_1338:
	s_or_b64 exec, exec, s[54:55]
	s_andn2_b64 s[0:1], s[40:41], exec
	s_and_b64 s[10:11], s[52:53], exec
	s_or_b64 s[40:41], s[0:1], s[10:11]
	s_andn2_b64 s[0:1], s[42:43], exec
	s_and_b64 s[10:11], s[50:51], exec
	s_or_b64 s[42:43], s[0:1], s[10:11]
	s_andn2_b64 s[0:1], s[44:45], exec
	s_and_b64 s[10:11], s[48:49], exec
	s_and_b64 s[52:53], s[60:61], exec
	;; [unrolled: 1-line block ×4, first 2 shown]
	s_or_b64 s[44:45], s[0:1], s[10:11]
	s_or_b64 exec, exec, s[46:47]
	s_mov_b64 s[10:11], 0
	s_and_saveexec_b64 s[0:1], s[44:45]
	s_cbranch_execz .LBB119_416
.LBB119_1339:
	s_mov_b64 s[10:11], exec
	s_andn2_b64 s[50:51], s[50:51], exec
	s_trap 2
	s_or_b64 exec, exec, s[0:1]
	s_and_saveexec_b64 s[0:1], s[50:51]
	s_xor_b64 s[0:1], exec, s[0:1]
	s_cbranch_execnz .LBB119_417
.LBB119_1340:
	s_or_b64 exec, exec, s[0:1]
	s_and_saveexec_b64 s[0:1], s[54:55]
	s_cbranch_execz .LBB119_1388
.LBB119_1341:
	s_sext_i32_i16 s16, s14
	s_cmp_lt_i32 s16, 5
	s_cbranch_scc1 .LBB119_1346
; %bb.1342:
	s_cmp_lt_i32 s16, 8
	s_cbranch_scc1 .LBB119_1347
; %bb.1343:
	;; [unrolled: 3-line block ×3, first 2 shown]
	s_cmp_gt_i32 s16, 9
	s_cbranch_scc0 .LBB119_1349
; %bb.1345:
	s_waitcnt vmcnt(0)
	global_load_dwordx4 v[0:3], v[5:6], off
	s_mov_b64 s[16:17], 0
	s_branch .LBB119_1350
.LBB119_1346:
                                        ; implicit-def: $vgpr2_vgpr3
	s_branch .LBB119_1368
.LBB119_1347:
                                        ; implicit-def: $vgpr2_vgpr3
	s_branch .LBB119_1356
.LBB119_1348:
	s_mov_b64 s[16:17], -1
                                        ; implicit-def: $vgpr2_vgpr3
	s_branch .LBB119_1353
.LBB119_1349:
	s_mov_b64 s[16:17], -1
                                        ; implicit-def: $vgpr2_vgpr3
.LBB119_1350:
	s_andn2_b64 vcc, exec, s[16:17]
	s_cbranch_vccnz .LBB119_1352
; %bb.1351:
	s_waitcnt vmcnt(0)
	global_load_dwordx2 v[1:2], v[5:6], off
	s_waitcnt vmcnt(0)
	v_cvt_f64_f32_e32 v[0:1], v1
	v_cvt_f64_f32_e32 v[2:3], v2
.LBB119_1352:
	s_mov_b64 s[16:17], 0
.LBB119_1353:
	s_andn2_b64 vcc, exec, s[16:17]
	s_cbranch_vccnz .LBB119_1355
; %bb.1354:
	s_waitcnt vmcnt(0)
	global_load_dword v0, v[5:6], off
	s_waitcnt vmcnt(0)
	v_cvt_f32_f16_e32 v1, v0
	v_cvt_f32_f16_sdwa v2, v0 dst_sel:DWORD dst_unused:UNUSED_PAD src0_sel:WORD_1
	v_cvt_f64_f32_e32 v[0:1], v1
	v_cvt_f64_f32_e32 v[2:3], v2
.LBB119_1355:
	s_cbranch_execnz .LBB119_1367
.LBB119_1356:
	s_sext_i32_i16 s16, s14
	s_cmp_lt_i32 s16, 6
	s_cbranch_scc1 .LBB119_1359
; %bb.1357:
	s_cmp_gt_i32 s16, 6
	s_cbranch_scc0 .LBB119_1360
; %bb.1358:
	s_waitcnt vmcnt(0)
	global_load_dwordx2 v[0:1], v[5:6], off
	s_mov_b64 s[16:17], 0
	s_branch .LBB119_1361
.LBB119_1359:
	s_mov_b64 s[16:17], -1
                                        ; implicit-def: $vgpr0_vgpr1
	s_branch .LBB119_1364
.LBB119_1360:
	s_mov_b64 s[16:17], -1
                                        ; implicit-def: $vgpr0_vgpr1
.LBB119_1361:
	s_andn2_b64 vcc, exec, s[16:17]
	s_cbranch_vccnz .LBB119_1363
; %bb.1362:
	s_waitcnt vmcnt(0)
	global_load_dword v0, v[5:6], off
	s_waitcnt vmcnt(0)
	v_cvt_f64_f32_e32 v[0:1], v0
.LBB119_1363:
	s_mov_b64 s[16:17], 0
.LBB119_1364:
	s_andn2_b64 vcc, exec, s[16:17]
	s_cbranch_vccnz .LBB119_1366
; %bb.1365:
	s_waitcnt vmcnt(0)
	global_load_ushort v0, v[5:6], off
	s_waitcnt vmcnt(0)
	v_cvt_f32_f16_e32 v0, v0
	v_cvt_f64_f32_e32 v[0:1], v0
.LBB119_1366:
	s_waitcnt vmcnt(0)
	v_mov_b32_e32 v2, 0
	v_mov_b32_e32 v3, 0
.LBB119_1367:
	s_cbranch_execnz .LBB119_1387
.LBB119_1368:
	s_sext_i32_i16 s16, s14
	s_cmp_lt_i32 s16, 2
	s_cbranch_scc1 .LBB119_1372
; %bb.1369:
	s_cmp_lt_i32 s16, 3
	s_cbranch_scc1 .LBB119_1373
; %bb.1370:
	s_cmp_gt_i32 s16, 3
	s_cbranch_scc0 .LBB119_1374
; %bb.1371:
	s_waitcnt vmcnt(0)
	global_load_dwordx2 v[0:1], v[5:6], off
	s_mov_b64 s[16:17], 0
	s_waitcnt vmcnt(0)
	v_cvt_f64_i32_e32 v[1:2], v1
	v_cvt_f64_u32_e32 v[9:10], v0
	v_ldexp_f64 v[1:2], v[1:2], 32
	v_add_f64 v[0:1], v[1:2], v[9:10]
	s_branch .LBB119_1375
.LBB119_1372:
                                        ; implicit-def: $vgpr0_vgpr1
	s_branch .LBB119_1381
.LBB119_1373:
	s_mov_b64 s[16:17], -1
                                        ; implicit-def: $vgpr0_vgpr1
	s_branch .LBB119_1378
.LBB119_1374:
	s_mov_b64 s[16:17], -1
                                        ; implicit-def: $vgpr0_vgpr1
.LBB119_1375:
	s_andn2_b64 vcc, exec, s[16:17]
	s_cbranch_vccnz .LBB119_1377
; %bb.1376:
	s_waitcnt vmcnt(0)
	global_load_dword v0, v[5:6], off
	s_waitcnt vmcnt(0)
	v_cvt_f64_i32_e32 v[0:1], v0
.LBB119_1377:
	s_mov_b64 s[16:17], 0
.LBB119_1378:
	s_andn2_b64 vcc, exec, s[16:17]
	s_cbranch_vccnz .LBB119_1380
; %bb.1379:
	s_waitcnt vmcnt(0)
	global_load_sshort v0, v[5:6], off
	s_waitcnt vmcnt(0)
	v_cvt_f64_i32_e32 v[0:1], v0
.LBB119_1380:
	s_cbranch_execnz .LBB119_1386
.LBB119_1381:
	s_sext_i32_i16 s14, s14
	s_cmp_gt_i32 s14, 0
	s_cbranch_scc0 .LBB119_1383
; %bb.1382:
	s_waitcnt vmcnt(0)
	global_load_sbyte v0, v[5:6], off
	s_mov_b64 s[16:17], 0
	s_waitcnt vmcnt(0)
	v_cvt_f64_i32_e32 v[0:1], v0
	s_branch .LBB119_1384
.LBB119_1383:
	s_mov_b64 s[16:17], -1
                                        ; implicit-def: $vgpr0_vgpr1
.LBB119_1384:
	s_andn2_b64 vcc, exec, s[16:17]
	s_cbranch_vccnz .LBB119_1386
; %bb.1385:
	s_waitcnt vmcnt(0)
	global_load_ubyte v0, v[5:6], off
	s_waitcnt vmcnt(0)
	v_cvt_f64_u32_e32 v[0:1], v0
.LBB119_1386:
	s_waitcnt vmcnt(0)
	v_mov_b32_e32 v2, 0
	v_mov_b32_e32 v3, 0
.LBB119_1387:
	s_or_b64 s[52:53], s[52:53], exec
.LBB119_1388:
	s_or_b64 exec, exec, s[0:1]
	s_mov_b64 s[16:17], 0
	s_mov_b64 s[20:21], 0
	;; [unrolled: 1-line block ×3, first 2 shown]
                                        ; implicit-def: $sgpr14
                                        ; implicit-def: $vgpr9_vgpr10
                                        ; implicit-def: $vgpr6_vgpr7
	s_and_saveexec_b64 s[0:1], s[52:53]
	s_cbranch_execz .LBB119_1396
; %bb.1389:
	s_waitcnt vmcnt(0)
	v_mov_b32_e32 v5, s13
	s_and_b32 s14, s73, 0xff
	v_add_co_u32_e32 v9, vcc, s12, v4
	s_cmp_lt_i32 s14, 11
	v_addc_co_u32_e32 v10, vcc, 0, v5, vcc
	s_cbranch_scc1 .LBB119_1399
; %bb.1390:
	s_and_b32 s30, 0xffff, s14
	s_cmp_gt_i32 s30, 25
	s_cbranch_scc0 .LBB119_1400
; %bb.1391:
	s_cmp_gt_i32 s30, 28
	s_cbranch_scc0 .LBB119_1401
; %bb.1392:
	;; [unrolled: 3-line block ×4, first 2 shown]
	s_cmp_eq_u32 s30, 46
	s_cbranch_scc0 .LBB119_1404
; %bb.1395:
	global_load_dword v4, v[9:10], off
	s_mov_b64 s[12:13], 0
	s_mov_b64 s[18:19], -1
	s_waitcnt vmcnt(0)
	v_and_b32_e32 v6, 0xffff0000, v4
	v_lshlrev_b32_e32 v4, 16, v4
	v_cvt_f64_f32_e32 v[4:5], v4
	v_cvt_f64_f32_e32 v[6:7], v6
	s_branch .LBB119_1406
.LBB119_1396:
	s_or_b64 exec, exec, s[0:1]
	s_and_saveexec_b64 s[0:1], s[42:43]
	s_cbranch_execnz .LBB119_1472
.LBB119_1397:
	s_or_b64 exec, exec, s[0:1]
	s_and_saveexec_b64 s[0:1], s[16:17]
	s_xor_b64 s[0:1], exec, s[0:1]
	s_cbranch_execz .LBB119_1473
.LBB119_1398:
	global_load_ubyte v5, v[9:10], off
	v_mov_b32_e32 v11, 0x3ff00000
	s_waitcnt vmcnt(1)
	v_mov_b32_e32 v6, 0
	v_mov_b32_e32 v4, 0
	;; [unrolled: 1-line block ×3, first 2 shown]
	s_or_b64 s[18:19], s[18:19], exec
	s_waitcnt vmcnt(0)
	v_cmp_ne_u16_e32 vcc, 0, v5
	v_cndmask_b32_e32 v5, 0, v11, vcc
	s_or_b64 exec, exec, s[0:1]
	s_and_saveexec_b64 s[0:1], s[20:21]
	s_cbranch_execz .LBB119_1521
	s_branch .LBB119_1474
.LBB119_1399:
	s_mov_b64 s[20:21], -1
                                        ; implicit-def: $vgpr6_vgpr7
	s_mov_b64 s[12:13], s[42:43]
	s_branch .LBB119_1471
.LBB119_1400:
	s_mov_b64 s[12:13], s[42:43]
                                        ; implicit-def: $vgpr6_vgpr7
	s_cbranch_execnz .LBB119_1439
	s_branch .LBB119_1470
.LBB119_1401:
	s_mov_b64 s[20:21], -1
	s_mov_b64 s[12:13], s[42:43]
                                        ; implicit-def: $vgpr6_vgpr7
	s_branch .LBB119_1418
.LBB119_1402:
	s_mov_b64 s[20:21], -1
	s_mov_b64 s[12:13], s[42:43]
                                        ; implicit-def: $vgpr6_vgpr7
	s_branch .LBB119_1412
.LBB119_1403:
	s_mov_b64 s[20:21], -1
	s_mov_b64 s[12:13], s[42:43]
	s_branch .LBB119_1405
.LBB119_1404:
	s_mov_b64 s[12:13], -1
.LBB119_1405:
                                        ; implicit-def: $vgpr6_vgpr7
.LBB119_1406:
	s_and_b64 vcc, exec, s[20:21]
	s_cbranch_vccz .LBB119_1411
; %bb.1407:
	s_cmp_eq_u32 s30, 44
	s_cbranch_scc0 .LBB119_1409
; %bb.1408:
	global_load_ubyte v6, v[9:10], off
	s_movk_i32 s18, 0xff
	v_bfrev_b32_e32 v7, 4
	v_mov_b32_e32 v11, 0x7ff80000
	v_bfrev_b32_e32 v12, 28
	s_mov_b64 s[12:13], 0
	s_waitcnt vmcnt(0)
	v_lshlrev_b32_e32 v4, 23, v6
	v_cvt_f64_f32_e32 v[4:5], v4
	v_cmp_ne_u32_e32 vcc, s18, v6
	s_mov_b64 s[18:19], -1
	v_cndmask_b32_e32 v4, v7, v4, vcc
	v_cndmask_b32_e32 v5, v11, v5, vcc
	v_cmp_ne_u32_e32 vcc, 0, v6
	v_cndmask_b32_e32 v5, v12, v5, vcc
	v_cndmask_b32_e32 v4, 0, v4, vcc
	s_branch .LBB119_1410
.LBB119_1409:
	s_mov_b64 s[12:13], -1
                                        ; implicit-def: $vgpr4_vgpr5
.LBB119_1410:
	v_mov_b32_e32 v6, 0
	v_mov_b32_e32 v7, 0
.LBB119_1411:
	s_mov_b64 s[20:21], 0
.LBB119_1412:
	s_and_b64 vcc, exec, s[20:21]
	s_cbranch_vccz .LBB119_1417
; %bb.1413:
	s_cmp_eq_u32 s30, 29
	s_cbranch_scc0 .LBB119_1415
; %bb.1414:
	global_load_dwordx2 v[4:5], v[9:10], off
	s_mov_b64 s[12:13], 0
	s_mov_b64 s[18:19], -1
	s_waitcnt vmcnt(0)
	v_cvt_f64_u32_e32 v[5:6], v5
	v_cvt_f64_u32_e32 v[11:12], v4
	v_ldexp_f64 v[5:6], v[5:6], 32
	v_add_f64 v[4:5], v[5:6], v[11:12]
	s_branch .LBB119_1416
.LBB119_1415:
	s_mov_b64 s[12:13], -1
                                        ; implicit-def: $vgpr4_vgpr5
.LBB119_1416:
	v_mov_b32_e32 v6, 0
	v_mov_b32_e32 v7, 0
.LBB119_1417:
	s_mov_b64 s[20:21], 0
.LBB119_1418:
	s_and_b64 vcc, exec, s[20:21]
	s_cbranch_vccz .LBB119_1438
; %bb.1419:
	s_cmp_lt_i32 s30, 27
	s_cbranch_scc1 .LBB119_1422
; %bb.1420:
	s_cmp_gt_i32 s30, 27
	s_cbranch_scc0 .LBB119_1423
; %bb.1421:
	global_load_dword v4, v[9:10], off
	s_mov_b64 s[18:19], 0
	s_waitcnt vmcnt(0)
	v_cvt_f64_u32_e32 v[4:5], v4
	s_branch .LBB119_1424
.LBB119_1422:
	s_mov_b64 s[18:19], -1
                                        ; implicit-def: $vgpr4_vgpr5
	s_branch .LBB119_1427
.LBB119_1423:
	s_mov_b64 s[18:19], -1
                                        ; implicit-def: $vgpr4_vgpr5
.LBB119_1424:
	s_andn2_b64 vcc, exec, s[18:19]
	s_cbranch_vccnz .LBB119_1426
; %bb.1425:
	global_load_ushort v4, v[9:10], off
	s_waitcnt vmcnt(0)
	v_cvt_f64_u32_e32 v[4:5], v4
.LBB119_1426:
	s_mov_b64 s[18:19], 0
.LBB119_1427:
	s_andn2_b64 vcc, exec, s[18:19]
	s_cbranch_vccnz .LBB119_1437
; %bb.1428:
	global_load_ubyte v6, v[9:10], off
	s_movk_i32 s18, 0x7f
	s_waitcnt vmcnt(0)
	v_cmp_lt_i16_e32 vcc, s18, v6
	s_mov_b64 s[18:19], 0
	s_and_saveexec_b64 s[20:21], vcc
	s_xor_b64 s[20:21], exec, s[20:21]
	s_cbranch_execz .LBB119_1432
; %bb.1429:
	s_movk_i32 s18, 0x80
	v_cmp_eq_u16_e32 vcc, s18, v6
	s_mov_b64 s[18:19], -1
	s_and_saveexec_b64 s[22:23], vcc
; %bb.1430:
	s_xor_b64 s[18:19], exec, -1
; %bb.1431:
	s_or_b64 exec, exec, s[22:23]
	s_and_b64 s[18:19], s[18:19], exec
.LBB119_1432:
	s_or_saveexec_b64 s[20:21], s[20:21]
	v_bfrev_b32_e32 v4, 4
	v_mov_b32_e32 v5, 0x7ff80000
	s_xor_b64 exec, exec, s[20:21]
; %bb.1433:
	v_cmp_ne_u16_e32 vcc, 0, v6
	v_mov_b32_e32 v4, 0
	s_andn2_b64 s[18:19], s[18:19], exec
	s_and_b64 s[22:23], vcc, exec
	v_mov_b32_e32 v5, 0
	s_or_b64 s[18:19], s[18:19], s[22:23]
; %bb.1434:
	s_or_b64 exec, exec, s[20:21]
	s_and_saveexec_b64 s[20:21], s[18:19]
	s_cbranch_execz .LBB119_1436
; %bb.1435:
	v_and_b32_e32 v5, 0xffff, v6
	v_lshlrev_b32_e32 v4, 24, v6
	v_and_b32_e32 v6, 7, v5
	v_ffbh_u32_e32 v11, v6
	v_min_u32_e32 v11, 32, v11
	v_subrev_u32_e32 v12, 28, v11
	v_bfe_u32 v7, v5, 3, 4
	v_lshlrev_b32_e32 v5, v12, v5
	v_sub_u32_e32 v11, 29, v11
	v_and_b32_e32 v5, 7, v5
	v_cmp_eq_u32_e32 vcc, 0, v7
	v_cndmask_b32_e32 v7, v7, v11, vcc
	v_cndmask_b32_e32 v5, v6, v5, vcc
	v_mov_b32_e32 v6, 0x3b800000
	v_lshlrev_b32_e32 v5, 20, v5
	v_and_b32_e32 v4, 0x80000000, v4
	v_lshl_add_u32 v6, v7, 23, v6
	v_or3_b32 v4, v4, v6, v5
	v_cvt_f64_f32_e32 v[4:5], v4
.LBB119_1436:
	s_or_b64 exec, exec, s[20:21]
.LBB119_1437:
	v_mov_b32_e32 v6, 0
	v_mov_b32_e32 v7, 0
	s_mov_b64 s[18:19], -1
.LBB119_1438:
	s_branch .LBB119_1470
.LBB119_1439:
	s_cmp_gt_i32 s30, 22
	s_cbranch_scc0 .LBB119_1451
; %bb.1440:
	s_cmp_lt_i32 s30, 24
	s_cbranch_scc1 .LBB119_1452
; %bb.1441:
	s_cmp_gt_i32 s30, 24
	s_cbranch_scc0 .LBB119_1453
; %bb.1442:
	global_load_ubyte v6, v[9:10], off
	s_movk_i32 s16, 0x7f
	s_waitcnt vmcnt(0)
	v_cmp_lt_i16_e32 vcc, s16, v6
	s_mov_b64 s[16:17], 0
	s_and_saveexec_b64 s[18:19], vcc
	s_xor_b64 s[18:19], exec, s[18:19]
	s_cbranch_execz .LBB119_1446
; %bb.1443:
	s_movk_i32 s16, 0x80
	v_cmp_eq_u16_e32 vcc, s16, v6
	s_mov_b64 s[16:17], -1
	s_and_saveexec_b64 s[20:21], vcc
; %bb.1444:
	s_xor_b64 s[16:17], exec, -1
; %bb.1445:
	s_or_b64 exec, exec, s[20:21]
	s_and_b64 s[16:17], s[16:17], exec
.LBB119_1446:
	s_or_saveexec_b64 s[18:19], s[18:19]
	v_bfrev_b32_e32 v4, 4
	v_mov_b32_e32 v5, 0x7ff80000
	s_xor_b64 exec, exec, s[18:19]
; %bb.1447:
	v_cmp_ne_u16_e32 vcc, 0, v6
	v_mov_b32_e32 v4, 0
	s_andn2_b64 s[16:17], s[16:17], exec
	s_and_b64 s[20:21], vcc, exec
	v_mov_b32_e32 v5, 0
	s_or_b64 s[16:17], s[16:17], s[20:21]
; %bb.1448:
	s_or_b64 exec, exec, s[18:19]
	s_and_saveexec_b64 s[18:19], s[16:17]
	s_cbranch_execz .LBB119_1450
; %bb.1449:
	v_and_b32_e32 v5, 0xffff, v6
	v_lshlrev_b32_e32 v4, 24, v6
	v_and_b32_e32 v6, 3, v5
	v_ffbh_u32_e32 v11, v6
	v_min_u32_e32 v11, 32, v11
	v_subrev_u32_e32 v12, 29, v11
	v_bfe_u32 v7, v5, 2, 5
	v_lshlrev_b32_e32 v5, v12, v5
	v_sub_u32_e32 v11, 30, v11
	v_and_b32_e32 v5, 3, v5
	v_cmp_eq_u32_e32 vcc, 0, v7
	v_cndmask_b32_e32 v7, v7, v11, vcc
	v_cndmask_b32_e32 v5, v6, v5, vcc
	v_mov_b32_e32 v6, 0x37800000
	v_lshlrev_b32_e32 v5, 21, v5
	v_and_b32_e32 v4, 0x80000000, v4
	v_lshl_add_u32 v6, v7, 23, v6
	v_or3_b32 v4, v4, v6, v5
	v_cvt_f64_f32_e32 v[4:5], v4
.LBB119_1450:
	s_or_b64 exec, exec, s[18:19]
	s_mov_b64 s[16:17], 0
	s_branch .LBB119_1454
.LBB119_1451:
	s_mov_b64 s[16:17], -1
                                        ; implicit-def: $vgpr4_vgpr5
	s_branch .LBB119_1460
.LBB119_1452:
	s_mov_b64 s[16:17], -1
                                        ; implicit-def: $vgpr4_vgpr5
	s_branch .LBB119_1457
.LBB119_1453:
	s_mov_b64 s[16:17], -1
                                        ; implicit-def: $vgpr4_vgpr5
.LBB119_1454:
	s_and_b64 vcc, exec, s[16:17]
	s_cbranch_vccz .LBB119_1456
; %bb.1455:
	global_load_ubyte v4, v[9:10], off
	s_mov_b32 s16, 0x7f800000
	s_waitcnt vmcnt(0)
	v_lshlrev_b32_e32 v4, 24, v4
	v_and_b32_e32 v5, 0x7f000000, v4
	v_ffbh_u32_e32 v6, v5
	v_min_u32_e32 v6, 32, v6
	v_sub_u32_e64 v6, v6, 4 clamp
	v_lshlrev_b32_e32 v11, v6, v5
	v_lshlrev_b32_e32 v6, 23, v6
	v_lshrrev_b32_e32 v11, 4, v11
	v_add_u32_e32 v7, 0x1000000, v5
	v_sub_u32_e32 v6, v11, v6
	v_ashrrev_i32_e32 v7, 8, v7
	v_add_u32_e32 v6, 0x3c000000, v6
	v_and_or_b32 v6, v7, s16, v6
	v_cmp_ne_u32_e32 vcc, 0, v5
	v_cndmask_b32_e32 v5, 0, v6, vcc
	s_brev_b32 s16, 1
	v_and_or_b32 v4, v4, s16, v5
	v_cvt_f64_f32_e32 v[4:5], v4
.LBB119_1456:
	s_mov_b64 s[16:17], 0
.LBB119_1457:
	s_andn2_b64 vcc, exec, s[16:17]
	s_cbranch_vccnz .LBB119_1459
; %bb.1458:
	global_load_ubyte v4, v[9:10], off
	s_movk_i32 s16, 0x7f00
	s_brev_b32 s17, 16
	s_waitcnt vmcnt(0)
	v_lshlrev_b16_e32 v5, 8, v4
	v_lshlrev_b32_e32 v4, 25, v4
	v_lshrrev_b32_e32 v6, 4, v4
	v_and_or_b32 v7, v5, s16, 0.5
	v_or_b32_e32 v6, 0x70000000, v6
	v_add_f32_e32 v7, -0.5, v7
	v_mul_f32_e32 v6, 0x7800000, v6
	v_cmp_gt_u32_e32 vcc, s17, v4
	v_bfe_i32 v5, v5, 0, 16
	v_cndmask_b32_e32 v4, v6, v7, vcc
	s_brev_b32 s16, 1
	v_and_or_b32 v4, v5, s16, v4
	v_cvt_f64_f32_e32 v[4:5], v4
.LBB119_1459:
	s_mov_b64 s[16:17], 0
	s_mov_b64 s[18:19], -1
.LBB119_1460:
	s_andn2_b64 vcc, exec, s[16:17]
	s_mov_b64 s[16:17], 0
	s_cbranch_vccnz .LBB119_1469
; %bb.1461:
	s_cmp_gt_i32 s30, 14
	s_cbranch_scc0 .LBB119_1464
; %bb.1462:
	s_cmp_eq_u32 s30, 15
	s_cbranch_scc0 .LBB119_1465
; %bb.1463:
	global_load_ushort v4, v[9:10], off
	s_mov_b64 s[12:13], 0
	s_mov_b64 s[18:19], -1
	s_waitcnt vmcnt(0)
	v_lshlrev_b32_e32 v4, 16, v4
	v_cvt_f64_f32_e32 v[4:5], v4
	s_branch .LBB119_1466
.LBB119_1464:
	s_mov_b64 s[20:21], -1
                                        ; implicit-def: $vgpr4_vgpr5
	s_branch .LBB119_1467
.LBB119_1465:
	s_mov_b64 s[12:13], -1
                                        ; implicit-def: $vgpr4_vgpr5
.LBB119_1466:
	s_mov_b64 s[20:21], 0
.LBB119_1467:
	s_and_b64 vcc, exec, s[20:21]
	s_cbranch_vccz .LBB119_1469
; %bb.1468:
	s_cmp_lg_u32 s30, 11
	s_cselect_b64 s[20:21], -1, 0
	s_andn2_b64 s[12:13], s[12:13], exec
	s_and_b64 s[20:21], s[20:21], exec
	s_mov_b64 s[16:17], -1
	s_or_b64 s[12:13], s[12:13], s[20:21]
.LBB119_1469:
	v_mov_b32_e32 v6, 0
	v_mov_b32_e32 v7, 0
.LBB119_1470:
	s_mov_b64 s[20:21], 0
.LBB119_1471:
	s_andn2_b64 s[22:23], s[42:43], exec
	s_and_b64 s[12:13], s[12:13], exec
	s_and_b64 s[18:19], s[18:19], exec
	s_and_b64 s[20:21], s[20:21], exec
	s_and_b64 s[16:17], s[16:17], exec
	s_or_b64 s[42:43], s[22:23], s[12:13]
	s_or_b64 exec, exec, s[0:1]
	s_and_saveexec_b64 s[0:1], s[42:43]
	s_cbranch_execz .LBB119_1397
.LBB119_1472:
	s_or_b64 s[10:11], s[10:11], exec
	s_andn2_b64 s[16:17], s[16:17], exec
	s_trap 2
	s_or_b64 exec, exec, s[0:1]
	s_and_saveexec_b64 s[0:1], s[16:17]
	s_xor_b64 s[0:1], exec, s[0:1]
	s_cbranch_execnz .LBB119_1398
.LBB119_1473:
	s_or_b64 exec, exec, s[0:1]
	s_and_saveexec_b64 s[0:1], s[20:21]
	s_cbranch_execz .LBB119_1521
.LBB119_1474:
	s_sext_i32_i16 s12, s14
	s_cmp_lt_i32 s12, 5
	s_cbranch_scc1 .LBB119_1479
; %bb.1475:
	s_cmp_lt_i32 s12, 8
	s_cbranch_scc1 .LBB119_1480
; %bb.1476:
	;; [unrolled: 3-line block ×3, first 2 shown]
	s_cmp_gt_i32 s12, 9
	s_cbranch_scc0 .LBB119_1482
; %bb.1478:
	global_load_dwordx4 v[4:7], v[9:10], off
	s_mov_b64 s[12:13], 0
	s_branch .LBB119_1483
.LBB119_1479:
                                        ; implicit-def: $vgpr6_vgpr7
	s_branch .LBB119_1501
.LBB119_1480:
                                        ; implicit-def: $vgpr6_vgpr7
	s_branch .LBB119_1489
.LBB119_1481:
	s_mov_b64 s[12:13], -1
                                        ; implicit-def: $vgpr6_vgpr7
	s_branch .LBB119_1486
.LBB119_1482:
	s_mov_b64 s[12:13], -1
                                        ; implicit-def: $vgpr6_vgpr7
.LBB119_1483:
	s_andn2_b64 vcc, exec, s[12:13]
	s_cbranch_vccnz .LBB119_1485
; %bb.1484:
	global_load_dwordx2 v[5:6], v[9:10], off
	s_waitcnt vmcnt(0)
	v_cvt_f64_f32_e32 v[4:5], v5
	v_cvt_f64_f32_e32 v[6:7], v6
.LBB119_1485:
	s_mov_b64 s[12:13], 0
.LBB119_1486:
	s_andn2_b64 vcc, exec, s[12:13]
	s_cbranch_vccnz .LBB119_1488
; %bb.1487:
	global_load_dword v4, v[9:10], off
	s_waitcnt vmcnt(0)
	v_cvt_f32_f16_e32 v5, v4
	v_cvt_f32_f16_sdwa v6, v4 dst_sel:DWORD dst_unused:UNUSED_PAD src0_sel:WORD_1
	v_cvt_f64_f32_e32 v[4:5], v5
	v_cvt_f64_f32_e32 v[6:7], v6
.LBB119_1488:
	s_cbranch_execnz .LBB119_1500
.LBB119_1489:
	s_sext_i32_i16 s12, s14
	s_cmp_lt_i32 s12, 6
	s_cbranch_scc1 .LBB119_1492
; %bb.1490:
	s_cmp_gt_i32 s12, 6
	s_cbranch_scc0 .LBB119_1493
; %bb.1491:
	global_load_dwordx2 v[4:5], v[9:10], off
	s_mov_b64 s[12:13], 0
	s_branch .LBB119_1494
.LBB119_1492:
	s_mov_b64 s[12:13], -1
                                        ; implicit-def: $vgpr4_vgpr5
	s_branch .LBB119_1497
.LBB119_1493:
	s_mov_b64 s[12:13], -1
                                        ; implicit-def: $vgpr4_vgpr5
.LBB119_1494:
	s_andn2_b64 vcc, exec, s[12:13]
	s_cbranch_vccnz .LBB119_1496
; %bb.1495:
	global_load_dword v4, v[9:10], off
	s_waitcnt vmcnt(0)
	v_cvt_f64_f32_e32 v[4:5], v4
.LBB119_1496:
	s_mov_b64 s[12:13], 0
.LBB119_1497:
	s_andn2_b64 vcc, exec, s[12:13]
	s_cbranch_vccnz .LBB119_1499
; %bb.1498:
	global_load_ushort v4, v[9:10], off
	s_waitcnt vmcnt(0)
	v_cvt_f32_f16_e32 v4, v4
	v_cvt_f64_f32_e32 v[4:5], v4
.LBB119_1499:
	s_waitcnt vmcnt(0)
	v_mov_b32_e32 v6, 0
	v_mov_b32_e32 v7, 0
.LBB119_1500:
	s_cbranch_execnz .LBB119_1520
.LBB119_1501:
	s_sext_i32_i16 s12, s14
	s_cmp_lt_i32 s12, 2
	s_cbranch_scc1 .LBB119_1505
; %bb.1502:
	s_cmp_lt_i32 s12, 3
	s_cbranch_scc1 .LBB119_1506
; %bb.1503:
	s_cmp_gt_i32 s12, 3
	s_cbranch_scc0 .LBB119_1507
; %bb.1504:
	global_load_dwordx2 v[4:5], v[9:10], off
	s_mov_b64 s[12:13], 0
	s_waitcnt vmcnt(0)
	v_cvt_f64_i32_e32 v[5:6], v5
	v_cvt_f64_u32_e32 v[11:12], v4
	v_ldexp_f64 v[5:6], v[5:6], 32
	v_add_f64 v[4:5], v[5:6], v[11:12]
	s_branch .LBB119_1508
.LBB119_1505:
                                        ; implicit-def: $vgpr4_vgpr5
	s_branch .LBB119_1514
.LBB119_1506:
	s_mov_b64 s[12:13], -1
                                        ; implicit-def: $vgpr4_vgpr5
	s_branch .LBB119_1511
.LBB119_1507:
	s_mov_b64 s[12:13], -1
                                        ; implicit-def: $vgpr4_vgpr5
.LBB119_1508:
	s_andn2_b64 vcc, exec, s[12:13]
	s_cbranch_vccnz .LBB119_1510
; %bb.1509:
	global_load_dword v4, v[9:10], off
	s_waitcnt vmcnt(0)
	v_cvt_f64_i32_e32 v[4:5], v4
.LBB119_1510:
	s_mov_b64 s[12:13], 0
.LBB119_1511:
	s_andn2_b64 vcc, exec, s[12:13]
	s_cbranch_vccnz .LBB119_1513
; %bb.1512:
	global_load_sshort v4, v[9:10], off
	s_waitcnt vmcnt(0)
	v_cvt_f64_i32_e32 v[4:5], v4
.LBB119_1513:
	s_cbranch_execnz .LBB119_1519
.LBB119_1514:
	s_sext_i32_i16 s12, s14
	s_cmp_gt_i32 s12, 0
	s_cbranch_scc0 .LBB119_1516
; %bb.1515:
	global_load_sbyte v4, v[9:10], off
	s_mov_b64 s[12:13], 0
	s_waitcnt vmcnt(0)
	v_cvt_f64_i32_e32 v[4:5], v4
	s_branch .LBB119_1517
.LBB119_1516:
	s_mov_b64 s[12:13], -1
                                        ; implicit-def: $vgpr4_vgpr5
.LBB119_1517:
	s_andn2_b64 vcc, exec, s[12:13]
	s_cbranch_vccnz .LBB119_1519
; %bb.1518:
	global_load_ubyte v4, v[9:10], off
	s_waitcnt vmcnt(0)
	v_cvt_f64_u32_e32 v[4:5], v4
.LBB119_1519:
	s_waitcnt vmcnt(0)
	v_mov_b32_e32 v6, 0
	v_mov_b32_e32 v7, 0
.LBB119_1520:
	s_or_b64 s[18:19], s[18:19], exec
.LBB119_1521:
	s_or_b64 exec, exec, s[0:1]
	s_mov_b64 s[22:23], 0
	s_mov_b64 s[20:21], 0
                                        ; implicit-def: $sgpr12_sgpr13
                                        ; implicit-def: $sgpr30
                                        ; implicit-def: $vgpr9_vgpr10
	s_and_saveexec_b64 s[16:17], s[18:19]
	s_cbranch_execz .LBB119_1599
; %bb.1522:
	s_andn2_b64 vcc, exec, s[28:29]
	s_cbranch_vccnz .LBB119_1603
; %bb.1523:
	s_waitcnt vmcnt(0)
	v_cmp_neq_f64_e32 vcc, v[0:1], v[4:5]
	v_cmp_neq_f64_e64 s[0:1], v[2:3], v[6:7]
	s_or_b64 s[12:13], vcc, s[0:1]
	s_cbranch_execnz .LBB119_1525
.LBB119_1524:
	s_waitcnt vmcnt(0)
	v_cmp_eq_f64_e32 vcc, v[0:1], v[4:5]
	v_cmp_eq_f64_e64 s[0:1], v[2:3], v[6:7]
	s_andn2_b64 s[12:13], s[12:13], exec
	s_and_b64 s[0:1], vcc, s[0:1]
	s_and_b64 s[0:1], s[0:1], exec
	s_or_b64 s[12:13], s[12:13], s[0:1]
.LBB119_1525:
	s_waitcnt vmcnt(0)
	v_mov_b32_e32 v0, s9
	s_and_b32 s30, s15, 0xff
	v_add_co_u32_e32 v9, vcc, s8, v8
	s_cmp_lt_i32 s30, 11
	v_addc_co_u32_e32 v10, vcc, 0, v0, vcc
	s_cbranch_scc1 .LBB119_1602
; %bb.1526:
	s_and_b32 s22, 0xffff, s30
	s_mov_b64 s[14:15], -1
	s_cmp_gt_i32 s22, 25
	s_mov_b64 s[0:1], s[40:41]
	s_cbranch_scc0 .LBB119_1559
; %bb.1527:
	s_mov_b64 s[8:9], -1
	s_cmp_gt_i32 s22, 28
	s_mov_b64 s[0:1], s[40:41]
	s_cbranch_scc0 .LBB119_1543
; %bb.1528:
	s_cmp_gt_i32 s22, 43
	s_mov_b64 s[0:1], s[40:41]
	s_cbranch_scc0 .LBB119_1539
; %bb.1529:
	;; [unrolled: 4-line block ×3, first 2 shown]
	s_cmp_eq_u32 s22, 46
	s_mov_b64 s[0:1], -1
	s_cbranch_scc0 .LBB119_1532
; %bb.1531:
	v_cndmask_b32_e64 v0, 0, 1.0, s[12:13]
	v_bfe_u32 v1, v0, 16, 1
	s_movk_i32 s0, 0x7fff
	v_add3_u32 v0, v0, v1, s0
	v_lshrrev_b32_e32 v0, 16, v0
	global_store_dword v[9:10], v0, off
	s_mov_b64 s[0:1], 0
.LBB119_1532:
	s_mov_b64 s[8:9], 0
.LBB119_1533:
	s_and_b64 vcc, exec, s[8:9]
	s_cbranch_vccz .LBB119_1538
; %bb.1534:
	s_cmp_eq_u32 s22, 44
	s_mov_b64 s[0:1], -1
	s_cbranch_scc0 .LBB119_1538
; %bb.1535:
	v_cndmask_b32_e64 v1, 0, 1.0, s[12:13]
	v_lshrrev_b32_e32 v0, 23, v1
	s_movk_i32 s0, 0xff
	v_cmp_ne_u32_e32 vcc, s0, v0
	v_mov_b32_e32 v2, 0xff
	s_and_saveexec_b64 s[8:9], vcc
; %bb.1536:
	s_mov_b32 s0, 0x3fffff
	v_and_b32_e32 v2, 0x400000, v1
	v_and_or_b32 v1, v1, s0, v0
	v_cmp_ne_u32_e32 vcc, 0, v2
	v_cmp_ne_u32_e64 s[0:1], 0, v1
	s_and_b64 s[0:1], vcc, s[0:1]
	v_cndmask_b32_e64 v1, 0, 1, s[0:1]
	v_add_u32_e32 v2, v0, v1
; %bb.1537:
	s_or_b64 exec, exec, s[8:9]
	s_mov_b64 s[0:1], 0
	global_store_byte v[9:10], v2, off
.LBB119_1538:
	s_mov_b64 s[8:9], 0
.LBB119_1539:
	s_and_b64 vcc, exec, s[8:9]
	s_cbranch_vccz .LBB119_1542
; %bb.1540:
	s_cmp_eq_u32 s22, 29
	s_mov_b64 s[0:1], -1
	s_cbranch_scc0 .LBB119_1542
; %bb.1541:
	s_mov_b32 s0, 0
	v_cndmask_b32_e64 v0, 0, 1, s[12:13]
	v_mov_b32_e32 v1, s0
	global_store_dwordx2 v[9:10], v[0:1], off
	s_mov_b64 s[0:1], 0
.LBB119_1542:
	s_mov_b64 s[8:9], 0
.LBB119_1543:
	s_and_b64 vcc, exec, s[8:9]
	s_cbranch_vccz .LBB119_1558
; %bb.1544:
	s_cmp_lt_i32 s22, 27
	s_mov_b64 s[8:9], -1
	s_cbranch_scc1 .LBB119_1550
; %bb.1545:
	s_cmp_gt_i32 s22, 27
	s_cbranch_scc0 .LBB119_1547
; %bb.1546:
	v_cndmask_b32_e64 v0, 0, 1, s[12:13]
	s_mov_b64 s[8:9], 0
	global_store_dword v[9:10], v0, off
.LBB119_1547:
	s_andn2_b64 vcc, exec, s[8:9]
	s_cbranch_vccnz .LBB119_1549
; %bb.1548:
	v_cndmask_b32_e64 v0, 0, 1, s[12:13]
	global_store_short v[9:10], v0, off
.LBB119_1549:
	s_mov_b64 s[8:9], 0
.LBB119_1550:
	s_andn2_b64 vcc, exec, s[8:9]
	s_cbranch_vccnz .LBB119_1558
; %bb.1551:
	v_cndmask_b32_e64 v1, 0, 1.0, s[12:13]
	s_mov_b32 s8, 0x43800000
	v_cmp_gt_u32_e32 vcc, s8, v1
	v_mov_b32_e32 v2, 0x80
	s_and_saveexec_b64 s[8:9], vcc
	s_cbranch_execz .LBB119_1557
; %bb.1552:
	s_mov_b32 s14, 0x3bffffff
	v_cmp_lt_u32_e32 vcc, s14, v1
	s_mov_b64 s[14:15], 0
                                        ; implicit-def: $vgpr0
	s_and_saveexec_b64 s[18:19], vcc
	s_xor_b64 s[18:19], exec, s[18:19]
	s_cbranch_execz .LBB119_1704
; %bb.1553:
	v_bfe_u32 v0, v1, 20, 1
	s_mov_b32 s20, 0x487ffff
	v_add3_u32 v0, v1, v0, s20
	s_mov_b64 s[14:15], exec
	v_lshrrev_b32_e32 v0, 20, v0
                                        ; implicit-def: $vgpr1
	s_andn2_saveexec_b64 s[18:19], s[18:19]
	s_cbranch_execnz .LBB119_1705
.LBB119_1554:
	s_or_b64 exec, exec, s[18:19]
	v_mov_b32_e32 v2, 0
	s_and_saveexec_b64 s[18:19], s[14:15]
.LBB119_1555:
	v_mov_b32_e32 v2, v0
.LBB119_1556:
	s_or_b64 exec, exec, s[18:19]
.LBB119_1557:
	s_or_b64 exec, exec, s[8:9]
	global_store_byte v[9:10], v2, off
.LBB119_1558:
	s_mov_b64 s[14:15], 0
.LBB119_1559:
	s_mov_b64 s[8:9], 0
	s_and_b64 vcc, exec, s[14:15]
	s_cbranch_vccz .LBB119_1604
; %bb.1560:
	s_cmp_gt_i32 s22, 22
	s_mov_b64 s[14:15], -1
	s_cbranch_scc0 .LBB119_1592
; %bb.1561:
	s_cmp_lt_i32 s22, 24
	s_cbranch_scc1 .LBB119_1581
; %bb.1562:
	s_cmp_gt_i32 s22, 24
	s_cbranch_scc0 .LBB119_1570
; %bb.1563:
	v_cndmask_b32_e64 v1, 0, 1.0, s[12:13]
	s_mov_b32 s14, 0x47800000
	v_cmp_gt_u32_e32 vcc, s14, v1
	v_mov_b32_e32 v2, 0x80
	s_and_saveexec_b64 s[14:15], vcc
	s_cbranch_execz .LBB119_1569
; %bb.1564:
	s_mov_b32 s18, 0x37ffffff
	v_cmp_lt_u32_e32 vcc, s18, v1
	s_mov_b64 s[18:19], 0
                                        ; implicit-def: $vgpr0
	s_and_saveexec_b64 s[20:21], vcc
	s_xor_b64 s[20:21], exec, s[20:21]
	s_cbranch_execz .LBB119_1834
; %bb.1565:
	v_bfe_u32 v0, v1, 21, 1
	s_mov_b32 s23, 0x88fffff
	v_add3_u32 v0, v1, v0, s23
	s_mov_b64 s[18:19], exec
	v_lshrrev_b32_e32 v0, 21, v0
                                        ; implicit-def: $vgpr1
	s_andn2_saveexec_b64 s[20:21], s[20:21]
	s_cbranch_execnz .LBB119_1835
.LBB119_1566:
	s_or_b64 exec, exec, s[20:21]
	v_mov_b32_e32 v2, 0
	s_and_saveexec_b64 s[20:21], s[18:19]
.LBB119_1567:
	v_mov_b32_e32 v2, v0
.LBB119_1568:
	s_or_b64 exec, exec, s[20:21]
.LBB119_1569:
	s_or_b64 exec, exec, s[14:15]
	s_mov_b64 s[14:15], 0
	global_store_byte v[9:10], v2, off
.LBB119_1570:
	s_and_b64 vcc, exec, s[14:15]
	s_cbranch_vccz .LBB119_1580
; %bb.1571:
	v_cndmask_b32_e64 v0, 0, 1.0, s[12:13]
	s_mov_b32 s14, 0x43f00000
	v_cmp_gt_u32_e32 vcc, s14, v0
                                        ; implicit-def: $vgpr1
	s_and_saveexec_b64 s[14:15], vcc
	s_xor_b64 s[14:15], exec, s[14:15]
	s_cbranch_execz .LBB119_1577
; %bb.1572:
	s_mov_b32 s18, 0x3c7fffff
	v_cmp_lt_u32_e32 vcc, s18, v0
                                        ; implicit-def: $vgpr1
	s_and_saveexec_b64 s[18:19], vcc
	s_xor_b64 s[18:19], exec, s[18:19]
; %bb.1573:
	v_bfe_u32 v1, v0, 20, 1
	s_mov_b32 s20, 0x407ffff
	v_add3_u32 v0, v0, v1, s20
	v_lshrrev_b32_e32 v1, 20, v0
	v_and_b32_e32 v0, 0xff00000, v0
	s_mov_b32 s20, 0x7f00000
	v_mov_b32_e32 v2, 0x7e
	v_cmp_ne_u32_e32 vcc, s20, v0
	v_cndmask_b32_e32 v1, v2, v1, vcc
                                        ; implicit-def: $vgpr0
; %bb.1574:
	s_andn2_saveexec_b64 s[18:19], s[18:19]
; %bb.1575:
	v_add_f32_e32 v1, 0x46800000, v0
; %bb.1576:
	s_or_b64 exec, exec, s[18:19]
                                        ; implicit-def: $vgpr0
.LBB119_1577:
	s_andn2_saveexec_b64 s[14:15], s[14:15]
; %bb.1578:
	s_mov_b32 s18, 0x7f800000
	v_mov_b32_e32 v1, 0x7e
	v_mov_b32_e32 v2, 0x7f
	v_cmp_lt_u32_e32 vcc, s18, v0
	v_cndmask_b32_e32 v1, v1, v2, vcc
; %bb.1579:
	s_or_b64 exec, exec, s[14:15]
	global_store_byte v[9:10], v1, off
.LBB119_1580:
	s_mov_b64 s[14:15], 0
.LBB119_1581:
	s_andn2_b64 vcc, exec, s[14:15]
	s_cbranch_vccnz .LBB119_1591
; %bb.1582:
	v_cndmask_b32_e64 v0, 0, 1.0, s[12:13]
	s_mov_b32 s14, 0x47800000
	v_cmp_gt_u32_e32 vcc, s14, v0
                                        ; implicit-def: $vgpr1
	s_and_saveexec_b64 s[14:15], vcc
	s_xor_b64 s[14:15], exec, s[14:15]
	s_cbranch_execz .LBB119_1588
; %bb.1583:
	s_mov_b32 s18, 0x387fffff
	v_cmp_lt_u32_e32 vcc, s18, v0
                                        ; implicit-def: $vgpr1
	s_and_saveexec_b64 s[18:19], vcc
	s_xor_b64 s[18:19], exec, s[18:19]
; %bb.1584:
	v_bfe_u32 v1, v0, 21, 1
	s_mov_b32 s20, 0x80fffff
	v_add3_u32 v0, v0, v1, s20
	v_lshrrev_b32_e32 v1, 21, v0
                                        ; implicit-def: $vgpr0
; %bb.1585:
	s_andn2_saveexec_b64 s[18:19], s[18:19]
; %bb.1586:
	v_add_f32_e32 v1, 0x43000000, v0
; %bb.1587:
	s_or_b64 exec, exec, s[18:19]
                                        ; implicit-def: $vgpr0
.LBB119_1588:
	s_andn2_saveexec_b64 s[14:15], s[14:15]
; %bb.1589:
	s_mov_b32 s18, 0x7f800000
	v_mov_b32_e32 v1, 0x7c
	v_mov_b32_e32 v2, 0x7f
	v_cmp_lt_u32_e32 vcc, s18, v0
	v_cndmask_b32_e32 v1, v1, v2, vcc
; %bb.1590:
	s_or_b64 exec, exec, s[14:15]
	global_store_byte v[9:10], v1, off
.LBB119_1591:
	s_mov_b64 s[14:15], 0
.LBB119_1592:
	s_andn2_b64 vcc, exec, s[14:15]
	s_mov_b64 s[14:15], 0
	s_cbranch_vccnz .LBB119_1605
; %bb.1593:
	s_cmp_gt_i32 s22, 14
	s_mov_b64 s[18:19], -1
	s_cbranch_scc0 .LBB119_1597
; %bb.1594:
	s_cmp_eq_u32 s22, 15
	s_mov_b64 s[0:1], -1
	s_cbranch_scc0 .LBB119_1596
; %bb.1595:
	v_cndmask_b32_e64 v0, 0, 1.0, s[12:13]
	v_bfe_u32 v1, v0, 16, 1
	s_movk_i32 s0, 0x7fff
	v_add3_u32 v0, v0, v1, s0
	global_store_short_d16_hi v[9:10], v0, off
	s_mov_b64 s[0:1], 0
.LBB119_1596:
	s_mov_b64 s[18:19], 0
.LBB119_1597:
	s_and_b64 vcc, exec, s[18:19]
	s_cbranch_vccz .LBB119_1605
; %bb.1598:
	s_cmp_lg_u32 s22, 11
	s_cselect_b64 s[18:19], -1, 0
	s_andn2_b64 s[0:1], s[0:1], exec
	s_and_b64 s[18:19], s[18:19], exec
	s_mov_b64 s[14:15], -1
	s_or_b64 s[0:1], s[0:1], s[18:19]
	s_branch .LBB119_1605
.LBB119_1599:
	s_or_b64 exec, exec, s[16:17]
	s_and_saveexec_b64 s[0:1], s[40:41]
	s_cbranch_execnz .LBB119_1606
.LBB119_1600:
	s_or_b64 exec, exec, s[0:1]
	s_and_saveexec_b64 s[0:1], s[22:23]
	s_xor_b64 s[0:1], exec, s[0:1]
	s_cbranch_execz .LBB119_1607
.LBB119_1601:
	s_waitcnt vmcnt(0)
	v_cndmask_b32_e64 v0, 0, 1, s[12:13]
	global_store_byte v[9:10], v0, off
	s_or_b64 exec, exec, s[0:1]
	s_and_saveexec_b64 s[0:1], s[20:21]
	s_xor_b64 s[0:1], exec, s[0:1]
	s_cbranch_execz .LBB119_1645
	s_branch .LBB119_1608
.LBB119_1602:
	s_mov_b64 s[14:15], 0
	s_mov_b64 s[8:9], -1
	s_mov_b64 s[0:1], s[40:41]
	s_branch .LBB119_1605
.LBB119_1603:
                                        ; implicit-def: $sgpr12_sgpr13
	s_branch .LBB119_1524
.LBB119_1604:
	s_mov_b64 s[14:15], 0
.LBB119_1605:
	s_and_b64 s[20:21], s[8:9], exec
	s_andn2_b64 s[8:9], s[40:41], exec
	s_and_b64 s[0:1], s[0:1], exec
	s_and_b64 s[22:23], s[14:15], exec
	s_or_b64 s[40:41], s[8:9], s[0:1]
	s_or_b64 exec, exec, s[16:17]
	s_and_saveexec_b64 s[0:1], s[40:41]
	s_cbranch_execz .LBB119_1600
.LBB119_1606:
	s_or_b64 s[10:11], s[10:11], exec
	s_andn2_b64 s[22:23], s[22:23], exec
	s_trap 2
	s_or_b64 exec, exec, s[0:1]
	s_and_saveexec_b64 s[0:1], s[22:23]
	s_xor_b64 s[0:1], exec, s[0:1]
	s_cbranch_execnz .LBB119_1601
.LBB119_1607:
	s_or_b64 exec, exec, s[0:1]
	s_and_saveexec_b64 s[0:1], s[20:21]
	s_xor_b64 s[0:1], exec, s[0:1]
	s_cbranch_execz .LBB119_1645
.LBB119_1608:
	s_sext_i32_i16 s14, s30
	s_cmp_lt_i32 s14, 5
	s_mov_b64 s[8:9], -1
	s_cbranch_scc1 .LBB119_1629
; %bb.1609:
	s_cmp_lt_i32 s14, 8
	s_cbranch_scc1 .LBB119_1619
; %bb.1610:
	s_cmp_lt_i32 s14, 9
	s_cbranch_scc1 .LBB119_1616
; %bb.1611:
	s_cmp_gt_i32 s14, 9
	s_cbranch_scc0 .LBB119_1613
; %bb.1612:
	s_waitcnt vmcnt(0)
	v_cndmask_b32_e64 v0, 0, 1, s[12:13]
	v_cvt_f64_u32_e32 v[0:1], v0
	v_mov_b32_e32 v2, 0
	v_mov_b32_e32 v3, v2
	s_mov_b64 s[8:9], 0
	global_store_dwordx4 v[9:10], v[0:3], off
.LBB119_1613:
	s_andn2_b64 vcc, exec, s[8:9]
	s_cbranch_vccnz .LBB119_1615
; %bb.1614:
	s_waitcnt vmcnt(0)
	v_cndmask_b32_e64 v0, 0, 1.0, s[12:13]
	v_mov_b32_e32 v1, 0
	global_store_dwordx2 v[9:10], v[0:1], off
.LBB119_1615:
	s_mov_b64 s[8:9], 0
.LBB119_1616:
	s_andn2_b64 vcc, exec, s[8:9]
	s_cbranch_vccnz .LBB119_1618
; %bb.1617:
	s_waitcnt vmcnt(0)
	v_cndmask_b32_e64 v0, 0, 1.0, s[12:13]
	v_cvt_f16_f32_e32 v0, v0
	global_store_dword v[9:10], v0, off
.LBB119_1618:
	s_mov_b64 s[8:9], 0
.LBB119_1619:
	s_andn2_b64 vcc, exec, s[8:9]
	s_cbranch_vccnz .LBB119_1628
; %bb.1620:
	s_sext_i32_i16 s14, s30
	s_cmp_lt_i32 s14, 6
	s_mov_b64 s[8:9], -1
	s_cbranch_scc1 .LBB119_1626
; %bb.1621:
	s_cmp_gt_i32 s14, 6
	s_cbranch_scc0 .LBB119_1623
; %bb.1622:
	s_waitcnt vmcnt(0)
	v_cndmask_b32_e64 v0, 0, 1, s[12:13]
	v_cvt_f64_u32_e32 v[0:1], v0
	s_mov_b64 s[8:9], 0
	global_store_dwordx2 v[9:10], v[0:1], off
.LBB119_1623:
	s_andn2_b64 vcc, exec, s[8:9]
	s_cbranch_vccnz .LBB119_1625
; %bb.1624:
	s_waitcnt vmcnt(0)
	v_cndmask_b32_e64 v0, 0, 1.0, s[12:13]
	global_store_dword v[9:10], v0, off
.LBB119_1625:
	s_mov_b64 s[8:9], 0
.LBB119_1626:
	s_andn2_b64 vcc, exec, s[8:9]
	s_cbranch_vccnz .LBB119_1628
; %bb.1627:
	s_waitcnt vmcnt(0)
	v_cndmask_b32_e64 v0, 0, 1.0, s[12:13]
	v_cvt_f16_f32_e32 v0, v0
	global_store_short v[9:10], v0, off
.LBB119_1628:
	s_mov_b64 s[8:9], 0
.LBB119_1629:
	s_andn2_b64 vcc, exec, s[8:9]
	s_cbranch_vccnz .LBB119_1645
; %bb.1630:
	s_sext_i32_i16 s14, s30
	s_cmp_lt_i32 s14, 2
	s_mov_b64 s[8:9], -1
	s_cbranch_scc1 .LBB119_1640
; %bb.1631:
	s_cmp_lt_i32 s14, 3
	s_cbranch_scc1 .LBB119_1637
; %bb.1632:
	s_cmp_gt_i32 s14, 3
	s_cbranch_scc0 .LBB119_1634
; %bb.1633:
	s_mov_b32 s8, 0
	s_waitcnt vmcnt(0)
	v_cndmask_b32_e64 v0, 0, 1, s[12:13]
	v_mov_b32_e32 v1, s8
	s_mov_b64 s[8:9], 0
	global_store_dwordx2 v[9:10], v[0:1], off
.LBB119_1634:
	s_andn2_b64 vcc, exec, s[8:9]
	s_cbranch_vccnz .LBB119_1636
; %bb.1635:
	s_waitcnt vmcnt(0)
	v_cndmask_b32_e64 v0, 0, 1, s[12:13]
	global_store_dword v[9:10], v0, off
.LBB119_1636:
	s_mov_b64 s[8:9], 0
.LBB119_1637:
	s_andn2_b64 vcc, exec, s[8:9]
	s_cbranch_vccnz .LBB119_1639
; %bb.1638:
	s_waitcnt vmcnt(0)
	v_cndmask_b32_e64 v0, 0, 1, s[12:13]
	global_store_short v[9:10], v0, off
.LBB119_1639:
	s_mov_b64 s[8:9], 0
.LBB119_1640:
	s_andn2_b64 vcc, exec, s[8:9]
	s_cbranch_vccnz .LBB119_1645
; %bb.1641:
	s_sext_i32_i16 s14, s30
	s_mov_b64 s[8:9], -1
	s_cmp_gt_i32 s14, 0
	s_waitcnt vmcnt(0)
	v_cndmask_b32_e64 v0, 0, 1, s[12:13]
	s_cbranch_scc0 .LBB119_1643
; %bb.1642:
	s_mov_b64 s[8:9], 0
	global_store_byte v[9:10], v0, off
.LBB119_1643:
	s_andn2_b64 vcc, exec, s[8:9]
	s_cbranch_vccnz .LBB119_1645
; %bb.1644:
	global_store_byte v[9:10], v0, off
.LBB119_1645:
	s_or_b64 exec, exec, s[0:1]
	s_and_b64 s[12:13], s[10:11], exec
                                        ; implicit-def: $vgpr2
                                        ; implicit-def: $vgpr11
.LBB119_1646:
	s_or_saveexec_b64 s[14:15], s[26:27]
	s_mov_b64 s[0:1], 0
                                        ; implicit-def: $sgpr10_sgpr11
                                        ; implicit-def: $vgpr0_vgpr1
                                        ; implicit-def: $sgpr26
	s_xor_b64 exec, exec, s[14:15]
	s_cbranch_execz .LBB119_2784
; %bb.1647:
	s_waitcnt vmcnt(0)
	v_cndmask_b32_e64 v0, 0, 1, s[24:25]
	v_cmp_ne_u32_e64 s[0:1], 1, v0
	s_andn2_b64 vcc, exec, s[24:25]
	s_cbranch_vccnz .LBB119_1653
; %bb.1648:
	s_cmp_lg_u32 s33, 0
	s_cbranch_scc0 .LBB119_1654
; %bb.1649:
	s_min_u32 s8, s72, 15
	s_add_i32 s6, s8, 1
	s_and_b32 s9, s6, 30
	s_add_u32 s6, s2, 0xffffffe8
	s_addc_u32 s7, s3, -1
	v_mov_b32_e32 v4, 0
	v_mov_b32_e32 v0, 0
	;; [unrolled: 1-line block ×4, first 2 shown]
.LBB119_1650:                           ; =>This Inner Loop Header: Depth=1
	s_load_dwordx4 s[16:19], s[6:7], 0x1c
	s_load_dwordx2 s[10:11], s[6:7], 0x2c
	s_load_dwordx2 s[24:25], s[6:7], 0xec
	s_load_dwordx4 s[20:23], s[6:7], 0xdc
	s_add_u32 s6, s6, 24
	s_waitcnt lgkmcnt(0)
	v_mul_hi_u32 v3, s17, v1
	s_addc_u32 s7, s7, 0
	s_add_i32 s9, s9, -2
	s_cmp_lg_u32 s9, 0
	v_add_u32_e32 v3, v1, v3
	v_lshrrev_b32_e32 v3, s18, v3
	v_mul_lo_u32 v5, v3, s16
	v_mul_hi_u32 v6, s10, v3
	v_sub_u32_e32 v5, v1, v5
	v_add_u32_e32 v1, v3, v6
	v_lshrrev_b32_e32 v1, s11, v1
	v_mul_lo_u32 v8, v1, s19
	v_mul_lo_u32 v6, v5, s20
	;; [unrolled: 1-line block ×4, first 2 shown]
	v_sub_u32_e32 v3, v3, v8
	v_mul_lo_u32 v8, v3, s23
	v_mul_lo_u32 v9, v3, s24
	;; [unrolled: 1-line block ×3, first 2 shown]
	v_add3_u32 v14, v6, v14, v8
	v_add3_u32 v0, v7, v0, v9
	;; [unrolled: 1-line block ×3, first 2 shown]
	s_cbranch_scc1 .LBB119_1650
; %bb.1651:
	s_bitcmp1_b32 s8, 0
	s_cselect_b64 s[8:9], -1, 0
	s_and_b64 vcc, exec, s[8:9]
	s_cbranch_vccnz .LBB119_1655
; %bb.1652:
	s_load_dwordx2 s[8:9], s[6:7], 0x1c
	s_load_dword s16, s[6:7], 0x24
	s_load_dwordx2 s[10:11], s[6:7], 0xdc
	s_waitcnt lgkmcnt(0)
	v_mul_hi_u32 v3, s9, v1
	v_add_u32_e32 v3, v1, v3
	v_lshrrev_b32_e32 v3, s16, v3
	v_mul_lo_u32 v3, v3, s8
	s_load_dword s8, s[6:7], 0xe4
	v_sub_u32_e32 v3, v1, v3
	v_mad_u64_u32 v[14:15], s[6:7], v3, s10, v[14:15]
	v_mad_u64_u32 v[0:1], s[6:7], v3, s11, v[0:1]
	s_waitcnt lgkmcnt(0)
	v_mad_u64_u32 v[4:5], s[6:7], v3, s8, v[4:5]
	s_cbranch_execz .LBB119_1656
	s_branch .LBB119_1658
.LBB119_1653:
                                        ; implicit-def: $vgpr14
                                        ; implicit-def: $vgpr0
                                        ; implicit-def: $vgpr4
	s_branch .LBB119_1656
.LBB119_1654:
	v_mov_b32_e32 v14, 0
	v_mov_b32_e32 v0, 0
	;; [unrolled: 1-line block ×3, first 2 shown]
.LBB119_1655:
	s_cbranch_execnz .LBB119_1658
.LBB119_1656:
	s_load_dwordx4 s[8:11], s[2:3], 0x4
	s_load_dwordx4 s[16:19], s[2:3], 0xc4
	s_cmp_lt_u32 s33, 2
	s_waitcnt lgkmcnt(0)
	v_mul_hi_u32 v0, s9, v11
	v_add_u32_e32 v0, v11, v0
	v_lshrrev_b32_e32 v1, s10, v0
	v_mul_lo_u32 v0, v1, s8
	v_sub_u32_e32 v3, v11, v0
	v_mul_lo_u32 v14, v3, s16
	v_mul_lo_u32 v0, v3, s17
	;; [unrolled: 1-line block ×3, first 2 shown]
	s_cbranch_scc1 .LBB119_1658
; %bb.1657:
	s_load_dwordx4 s[8:11], s[2:3], 0x10
	s_load_dwordx4 s[16:19], s[2:3], 0xd0
	s_waitcnt lgkmcnt(0)
	v_mul_hi_u32 v3, s9, v1
	v_add_u32_e32 v3, v1, v3
	v_lshrrev_b32_e32 v3, s10, v3
	v_mul_lo_u32 v3, v3, s8
	v_sub_u32_e32 v3, v1, v3
	v_mad_u64_u32 v[14:15], s[6:7], v3, s16, v[14:15]
	v_mad_u64_u32 v[0:1], s[6:7], v3, s17, v[0:1]
	;; [unrolled: 1-line block ×3, first 2 shown]
.LBB119_1658:
	s_and_b64 vcc, exec, s[0:1]
	v_add_u32_e32 v1, 0x80, v11
	s_cbranch_vccnz .LBB119_1664
; %bb.1659:
	s_cmp_lg_u32 s33, 0
	s_cbranch_scc0 .LBB119_1665
; %bb.1660:
	s_min_u32 s8, s72, 15
	s_add_i32 s6, s8, 1
	s_and_b32 s9, s6, 30
	s_add_u32 s6, s2, 0xffffffe8
	s_addc_u32 s7, s3, -1
	v_mov_b32_e32 v23, 0
	v_mov_b32_e32 v25, 0
	;; [unrolled: 1-line block ×4, first 2 shown]
.LBB119_1661:                           ; =>This Inner Loop Header: Depth=1
	s_load_dwordx4 s[16:19], s[6:7], 0x1c
	s_load_dwordx2 s[10:11], s[6:7], 0x2c
	s_load_dwordx2 s[24:25], s[6:7], 0xec
	s_load_dwordx4 s[20:23], s[6:7], 0xdc
	s_add_u32 s6, s6, 24
	s_waitcnt lgkmcnt(0)
	v_mul_hi_u32 v5, s17, v3
	s_addc_u32 s7, s7, 0
	s_add_i32 s9, s9, -2
	s_cmp_lg_u32 s9, 0
	v_add_u32_e32 v5, v3, v5
	v_lshrrev_b32_e32 v5, s18, v5
	v_mul_lo_u32 v6, v5, s16
	v_mul_hi_u32 v7, s10, v5
	v_sub_u32_e32 v6, v3, v6
	v_add_u32_e32 v3, v5, v7
	v_lshrrev_b32_e32 v3, s11, v3
	v_mul_lo_u32 v9, v3, s19
	v_mul_lo_u32 v7, v6, s20
	;; [unrolled: 1-line block ×4, first 2 shown]
	v_sub_u32_e32 v5, v5, v9
	v_mul_lo_u32 v9, v5, s23
	v_mul_lo_u32 v10, v5, s24
	v_mul_lo_u32 v5, v5, s25
	v_add3_u32 v12, v7, v12, v9
	v_add3_u32 v25, v8, v25, v10
	;; [unrolled: 1-line block ×3, first 2 shown]
	s_cbranch_scc1 .LBB119_1661
; %bb.1662:
	s_bitcmp1_b32 s8, 0
	s_cselect_b64 s[8:9], -1, 0
	s_and_b64 vcc, exec, s[8:9]
	s_cbranch_vccnz .LBB119_1666
; %bb.1663:
	s_load_dwordx2 s[8:9], s[6:7], 0x1c
	s_load_dword s16, s[6:7], 0x24
	s_load_dwordx2 s[10:11], s[6:7], 0xdc
	s_waitcnt lgkmcnt(0)
	v_mul_hi_u32 v5, s9, v3
	v_add_u32_e32 v5, v3, v5
	v_lshrrev_b32_e32 v5, s16, v5
	v_mul_lo_u32 v5, v5, s8
	s_load_dword s8, s[6:7], 0xe4
	v_sub_u32_e32 v3, v3, v5
	v_mad_u64_u32 v[12:13], s[6:7], v3, s10, v[12:13]
	v_mad_u64_u32 v[25:26], s[6:7], v3, s11, v[25:26]
	s_waitcnt lgkmcnt(0)
	v_mad_u64_u32 v[23:24], s[6:7], v3, s8, v[23:24]
	s_cbranch_execz .LBB119_1667
	s_branch .LBB119_1669
.LBB119_1664:
                                        ; implicit-def: $vgpr12
                                        ; implicit-def: $vgpr25
                                        ; implicit-def: $vgpr23
	s_branch .LBB119_1667
.LBB119_1665:
	v_mov_b32_e32 v12, 0
	v_mov_b32_e32 v25, 0
	;; [unrolled: 1-line block ×3, first 2 shown]
.LBB119_1666:
	s_cbranch_execnz .LBB119_1669
.LBB119_1667:
	s_load_dwordx4 s[8:11], s[2:3], 0x4
	s_load_dwordx4 s[16:19], s[2:3], 0xc4
	s_cmp_lt_u32 s33, 2
	s_waitcnt lgkmcnt(0)
	v_mul_hi_u32 v3, s9, v1
	v_add_u32_e32 v3, v1, v3
	v_lshrrev_b32_e32 v3, s10, v3
	v_mul_lo_u32 v5, v3, s8
	v_sub_u32_e32 v1, v1, v5
	v_mul_lo_u32 v12, v1, s16
	v_mul_lo_u32 v25, v1, s17
	;; [unrolled: 1-line block ×3, first 2 shown]
	s_cbranch_scc1 .LBB119_1669
; %bb.1668:
	s_load_dwordx4 s[8:11], s[2:3], 0x10
	s_load_dwordx4 s[16:19], s[2:3], 0xd0
	s_waitcnt lgkmcnt(0)
	v_mul_hi_u32 v1, s9, v3
	v_add_u32_e32 v1, v3, v1
	v_lshrrev_b32_e32 v1, s10, v1
	v_mul_lo_u32 v1, v1, s8
	v_sub_u32_e32 v1, v3, v1
	v_mad_u64_u32 v[12:13], s[6:7], v1, s16, v[12:13]
	v_mad_u64_u32 v[25:26], s[6:7], v1, s17, v[25:26]
	;; [unrolled: 1-line block ×3, first 2 shown]
.LBB119_1669:
	s_and_b64 vcc, exec, s[0:1]
	v_add_u32_e32 v1, 0x100, v11
	s_cbranch_vccnz .LBB119_1675
; %bb.1670:
	s_cmp_lg_u32 s33, 0
	s_cbranch_scc0 .LBB119_1676
; %bb.1671:
	s_min_u32 s8, s72, 15
	s_add_i32 s6, s8, 1
	s_and_b32 s9, s6, 30
	s_add_u32 s6, s2, 0xffffffe8
	s_addc_u32 s7, s3, -1
	v_mov_b32_e32 v19, 0
	v_mov_b32_e32 v21, 0
	;; [unrolled: 1-line block ×4, first 2 shown]
.LBB119_1672:                           ; =>This Inner Loop Header: Depth=1
	s_load_dwordx4 s[16:19], s[6:7], 0x1c
	s_load_dwordx2 s[10:11], s[6:7], 0x2c
	s_load_dwordx2 s[24:25], s[6:7], 0xec
	s_load_dwordx4 s[20:23], s[6:7], 0xdc
	s_add_u32 s6, s6, 24
	s_waitcnt lgkmcnt(0)
	v_mul_hi_u32 v5, s17, v3
	s_addc_u32 s7, s7, 0
	s_add_i32 s9, s9, -2
	s_cmp_lg_u32 s9, 0
	v_add_u32_e32 v5, v3, v5
	v_lshrrev_b32_e32 v5, s18, v5
	v_mul_lo_u32 v6, v5, s16
	v_mul_hi_u32 v7, s10, v5
	v_sub_u32_e32 v6, v3, v6
	v_add_u32_e32 v3, v5, v7
	v_lshrrev_b32_e32 v3, s11, v3
	v_mul_lo_u32 v9, v3, s19
	v_mul_lo_u32 v7, v6, s20
	;; [unrolled: 1-line block ×4, first 2 shown]
	v_sub_u32_e32 v5, v5, v9
	v_mul_lo_u32 v9, v5, s23
	v_mul_lo_u32 v11, v5, s24
	v_mul_lo_u32 v5, v5, s25
	v_add3_u32 v10, v7, v10, v9
	v_add3_u32 v21, v8, v21, v11
	;; [unrolled: 1-line block ×3, first 2 shown]
	s_cbranch_scc1 .LBB119_1672
; %bb.1673:
	s_bitcmp1_b32 s8, 0
	s_cselect_b64 s[8:9], -1, 0
	s_and_b64 vcc, exec, s[8:9]
	s_cbranch_vccnz .LBB119_1677
; %bb.1674:
	s_load_dwordx2 s[8:9], s[6:7], 0x1c
	s_load_dword s16, s[6:7], 0x24
	s_load_dwordx2 s[10:11], s[6:7], 0xdc
	s_waitcnt lgkmcnt(0)
	v_mul_hi_u32 v5, s9, v3
	v_add_u32_e32 v5, v3, v5
	v_lshrrev_b32_e32 v5, s16, v5
	v_mul_lo_u32 v5, v5, s8
	s_load_dword s8, s[6:7], 0xe4
	v_sub_u32_e32 v3, v3, v5
	v_mad_u64_u32 v[10:11], s[6:7], v3, s10, v[10:11]
	v_mad_u64_u32 v[21:22], s[6:7], v3, s11, v[21:22]
	s_waitcnt lgkmcnt(0)
	v_mad_u64_u32 v[19:20], s[6:7], v3, s8, v[19:20]
	s_cbranch_execz .LBB119_1678
	s_branch .LBB119_1680
.LBB119_1675:
                                        ; implicit-def: $vgpr10
                                        ; implicit-def: $vgpr21
                                        ; implicit-def: $vgpr19
	s_branch .LBB119_1678
.LBB119_1676:
	v_mov_b32_e32 v10, 0
	v_mov_b32_e32 v21, 0
	;; [unrolled: 1-line block ×3, first 2 shown]
.LBB119_1677:
	s_cbranch_execnz .LBB119_1680
.LBB119_1678:
	s_load_dwordx4 s[8:11], s[2:3], 0x4
	s_load_dwordx4 s[16:19], s[2:3], 0xc4
	s_cmp_lt_u32 s33, 2
	s_waitcnt lgkmcnt(0)
	v_mul_hi_u32 v3, s9, v1
	v_add_u32_e32 v3, v1, v3
	v_lshrrev_b32_e32 v3, s10, v3
	v_mul_lo_u32 v5, v3, s8
	v_sub_u32_e32 v1, v1, v5
	v_mul_lo_u32 v10, v1, s16
	v_mul_lo_u32 v21, v1, s17
	;; [unrolled: 1-line block ×3, first 2 shown]
	s_cbranch_scc1 .LBB119_1680
; %bb.1679:
	s_load_dwordx4 s[8:11], s[2:3], 0x10
	s_load_dwordx4 s[16:19], s[2:3], 0xd0
	s_waitcnt lgkmcnt(0)
	v_mul_hi_u32 v1, s9, v3
	v_add_u32_e32 v1, v3, v1
	v_lshrrev_b32_e32 v1, s10, v1
	v_mul_lo_u32 v1, v1, s8
	v_sub_u32_e32 v1, v3, v1
	v_mad_u64_u32 v[10:11], s[6:7], v1, s16, v[10:11]
	v_mad_u64_u32 v[21:22], s[6:7], v1, s17, v[21:22]
	;; [unrolled: 1-line block ×3, first 2 shown]
.LBB119_1680:
	s_and_b64 vcc, exec, s[0:1]
	s_cbranch_vccnz .LBB119_1686
; %bb.1681:
	s_cmp_lg_u32 s33, 0
	s_cbranch_scc0 .LBB119_1687
; %bb.1682:
	s_min_u32 s6, s72, 15
	s_add_i32 s0, s6, 1
	s_and_b32 s7, s0, 30
	s_add_u32 s0, s2, 0xffffffe8
	s_addc_u32 s1, s3, -1
	v_mov_b32_e32 v15, 0
	v_mov_b32_e32 v17, 0
	v_mov_b32_e32 v8, 0
	v_mov_b32_e32 v1, v2
.LBB119_1683:                           ; =>This Inner Loop Header: Depth=1
	s_load_dwordx4 s[8:11], s[0:1], 0x1c
	s_load_dwordx2 s[20:21], s[0:1], 0x2c
	s_load_dwordx2 s[22:23], s[0:1], 0xec
	s_load_dwordx4 s[16:19], s[0:1], 0xdc
	s_add_u32 s0, s0, 24
	s_waitcnt lgkmcnt(0)
	v_mul_hi_u32 v3, s9, v1
	s_addc_u32 s1, s1, 0
	s_add_i32 s7, s7, -2
	s_cmp_lg_u32 s7, 0
	v_add_u32_e32 v3, v1, v3
	v_lshrrev_b32_e32 v3, s10, v3
	v_mul_lo_u32 v5, v3, s8
	v_mul_hi_u32 v6, s20, v3
	v_sub_u32_e32 v5, v1, v5
	v_add_u32_e32 v1, v3, v6
	v_lshrrev_b32_e32 v1, s21, v1
	v_mul_lo_u32 v9, v1, s11
	v_mul_lo_u32 v6, v5, s16
	;; [unrolled: 1-line block ×4, first 2 shown]
	v_sub_u32_e32 v3, v3, v9
	v_mul_lo_u32 v9, v3, s19
	v_mul_lo_u32 v11, v3, s22
	;; [unrolled: 1-line block ×3, first 2 shown]
	v_add3_u32 v8, v6, v8, v9
	v_add3_u32 v17, v7, v17, v11
	;; [unrolled: 1-line block ×3, first 2 shown]
	s_cbranch_scc1 .LBB119_1683
; %bb.1684:
	s_bitcmp1_b32 s6, 0
	s_cselect_b64 s[6:7], -1, 0
	s_and_b64 vcc, exec, s[6:7]
	s_cbranch_vccnz .LBB119_1688
; %bb.1685:
	s_load_dwordx2 s[6:7], s[0:1], 0x1c
	s_load_dword s10, s[0:1], 0x24
	s_load_dwordx2 s[8:9], s[0:1], 0xdc
	s_waitcnt lgkmcnt(0)
	v_mul_hi_u32 v3, s7, v1
	v_add_u32_e32 v3, v1, v3
	v_lshrrev_b32_e32 v3, s10, v3
	v_mul_lo_u32 v3, v3, s6
	s_load_dword s6, s[0:1], 0xe4
	v_sub_u32_e32 v1, v1, v3
	v_mad_u64_u32 v[8:9], s[0:1], v1, s8, v[8:9]
	v_mad_u64_u32 v[17:18], s[0:1], v1, s9, v[17:18]
	s_waitcnt lgkmcnt(0)
	v_mad_u64_u32 v[15:16], s[0:1], v1, s6, v[15:16]
	s_cbranch_execz .LBB119_1689
	s_branch .LBB119_1691
.LBB119_1686:
                                        ; implicit-def: $vgpr8
                                        ; implicit-def: $vgpr17
                                        ; implicit-def: $vgpr15
	s_branch .LBB119_1689
.LBB119_1687:
	v_mov_b32_e32 v8, 0
	v_mov_b32_e32 v17, 0
	;; [unrolled: 1-line block ×3, first 2 shown]
.LBB119_1688:
	s_cbranch_execnz .LBB119_1691
.LBB119_1689:
	s_load_dwordx4 s[8:11], s[2:3], 0x4
	s_load_dwordx4 s[16:19], s[2:3], 0xc4
	s_cmp_lt_u32 s33, 2
	s_waitcnt lgkmcnt(0)
	v_mul_hi_u32 v1, s9, v2
	v_add_u32_e32 v1, v2, v1
	v_lshrrev_b32_e32 v1, s10, v1
	v_mul_lo_u32 v3, v1, s8
	v_sub_u32_e32 v2, v2, v3
	v_mul_lo_u32 v8, v2, s16
	v_mul_lo_u32 v17, v2, s17
	;; [unrolled: 1-line block ×3, first 2 shown]
	s_cbranch_scc1 .LBB119_1691
; %bb.1690:
	s_load_dwordx4 s[8:11], s[2:3], 0x10
	s_load_dwordx4 s[16:19], s[2:3], 0xd0
	s_waitcnt lgkmcnt(0)
	v_mul_hi_u32 v2, s9, v1
	v_add_u32_e32 v2, v1, v2
	v_lshrrev_b32_e32 v2, s10, v2
	v_mul_lo_u32 v2, v2, s8
	v_sub_u32_e32 v1, v1, v2
	v_mad_u64_u32 v[8:9], s[0:1], v1, s16, v[8:9]
	v_mad_u64_u32 v[17:18], s[0:1], v1, s17, v[17:18]
	;; [unrolled: 1-line block ×3, first 2 shown]
.LBB119_1691:
	s_load_dwordx4 s[8:11], s[2:3], 0x188
	s_load_dword s24, s[4:5], 0x1ac
	s_waitcnt lgkmcnt(0)
	v_mov_b32_e32 v1, s11
	s_bfe_u32 s20, s24, 0x80008
	v_add_co_u32_e32 v5, vcc, s10, v0
	s_cmp_lt_i32 s20, 11
	v_addc_co_u32_e32 v6, vcc, 0, v1, vcc
	s_cbranch_scc1 .LBB119_1698
; %bb.1692:
	s_and_b32 s21, 0xffff, s20
	s_cmp_gt_i32 s21, 25
	s_mov_b64 s[6:7], 0
	s_cbranch_scc0 .LBB119_1700
; %bb.1693:
	s_cmp_gt_i32 s21, 28
	s_cbranch_scc0 .LBB119_1701
; %bb.1694:
	s_cmp_gt_i32 s21, 43
	;; [unrolled: 3-line block ×3, first 2 shown]
	s_cbranch_scc0 .LBB119_1703
; %bb.1696:
	s_cmp_eq_u32 s21, 46
	s_mov_b64 s[4:5], 0
	s_cbranch_scc0 .LBB119_1706
; %bb.1697:
	global_load_dword v0, v[5:6], off
	s_mov_b64 s[0:1], 0
	s_mov_b64 s[16:17], -1
	s_waitcnt vmcnt(0)
	v_and_b32_e32 v2, 0xffff0000, v0
	v_lshlrev_b32_e32 v0, 16, v0
	v_cvt_f64_f32_e32 v[0:1], v0
	v_cvt_f64_f32_e32 v[2:3], v2
	s_branch .LBB119_1707
.LBB119_1698:
	s_mov_b64 s[16:17], 0
                                        ; implicit-def: $vgpr2_vgpr3
	s_mov_b64 s[4:5], s[12:13]
	s_cbranch_execnz .LBB119_1773
.LBB119_1699:
	s_andn2_b64 vcc, exec, s[16:17]
	s_cbranch_vccz .LBB119_1820
	s_branch .LBB119_2781
.LBB119_1700:
	s_mov_b64 s[16:17], 0
	s_mov_b64 s[0:1], 0
                                        ; implicit-def: $vgpr2_vgpr3
	s_cbranch_execnz .LBB119_1739
	s_branch .LBB119_1769
.LBB119_1701:
	s_mov_b64 s[16:17], 0
	s_mov_b64 s[0:1], 0
                                        ; implicit-def: $vgpr2_vgpr3
	s_cbranch_execnz .LBB119_1719
	s_branch .LBB119_1738
.LBB119_1702:
	s_mov_b64 s[4:5], -1
	s_mov_b64 s[16:17], 0
	s_mov_b64 s[0:1], 0
                                        ; implicit-def: $vgpr2_vgpr3
	s_branch .LBB119_1713
.LBB119_1703:
	s_mov_b64 s[4:5], -1
	s_mov_b64 s[16:17], 0
	s_mov_b64 s[0:1], 0
                                        ; implicit-def: $vgpr2_vgpr3
	s_branch .LBB119_1707
.LBB119_1704:
	s_andn2_saveexec_b64 s[18:19], s[18:19]
	s_cbranch_execz .LBB119_1554
.LBB119_1705:
	v_add_f32_e32 v0, 0x46000000, v1
	v_and_b32_e32 v0, 0xff, v0
	v_cmp_ne_u32_e32 vcc, 0, v0
	s_andn2_b64 s[14:15], s[14:15], exec
	s_and_b64 s[20:21], vcc, exec
	s_or_b64 s[14:15], s[14:15], s[20:21]
	s_or_b64 exec, exec, s[18:19]
	v_mov_b32_e32 v2, 0
	s_and_saveexec_b64 s[18:19], s[14:15]
	s_cbranch_execnz .LBB119_1555
	s_branch .LBB119_1556
.LBB119_1706:
	s_mov_b64 s[0:1], -1
                                        ; implicit-def: $vgpr2_vgpr3
	s_mov_b64 s[16:17], 0
.LBB119_1707:
	s_and_b64 vcc, exec, s[4:5]
	s_cbranch_vccz .LBB119_1712
; %bb.1708:
	s_cmp_eq_u32 s21, 44
	s_cbranch_scc0 .LBB119_1710
; %bb.1709:
	global_load_ubyte v2, v[5:6], off
	s_movk_i32 s4, 0xff
	v_bfrev_b32_e32 v3, 4
	v_mov_b32_e32 v7, 0x7ff80000
	v_bfrev_b32_e32 v9, 28
	s_mov_b64 s[0:1], 0
	s_mov_b64 s[16:17], -1
	s_waitcnt vmcnt(0)
	v_lshlrev_b32_e32 v0, 23, v2
	v_cvt_f64_f32_e32 v[0:1], v0
	v_cmp_ne_u32_e32 vcc, s4, v2
	v_cndmask_b32_e32 v0, v3, v0, vcc
	v_cndmask_b32_e32 v1, v7, v1, vcc
	v_cmp_ne_u32_e32 vcc, 0, v2
	v_cndmask_b32_e32 v1, v9, v1, vcc
	v_cndmask_b32_e32 v0, 0, v0, vcc
	s_branch .LBB119_1711
.LBB119_1710:
	s_mov_b64 s[0:1], -1
                                        ; implicit-def: $vgpr0_vgpr1
.LBB119_1711:
	v_mov_b32_e32 v2, 0
	v_mov_b32_e32 v3, 0
.LBB119_1712:
	s_mov_b64 s[4:5], 0
.LBB119_1713:
	s_and_b64 vcc, exec, s[4:5]
	s_cbranch_vccz .LBB119_1718
; %bb.1714:
	s_cmp_eq_u32 s21, 29
	s_cbranch_scc0 .LBB119_1716
; %bb.1715:
	global_load_dwordx2 v[0:1], v[5:6], off
	s_mov_b64 s[0:1], 0
	s_mov_b64 s[16:17], -1
	s_waitcnt vmcnt(0)
	v_cvt_f64_u32_e32 v[1:2], v1
	v_cvt_f64_u32_e32 v[26:27], v0
	v_ldexp_f64 v[1:2], v[1:2], 32
	v_add_f64 v[0:1], v[1:2], v[26:27]
	s_branch .LBB119_1717
.LBB119_1716:
	s_mov_b64 s[0:1], -1
                                        ; implicit-def: $vgpr0_vgpr1
.LBB119_1717:
	v_mov_b32_e32 v2, 0
	v_mov_b32_e32 v3, 0
.LBB119_1718:
	s_branch .LBB119_1738
.LBB119_1719:
	s_cmp_lt_i32 s21, 27
	s_cbranch_scc1 .LBB119_1722
; %bb.1720:
	s_cmp_gt_i32 s21, 27
	s_cbranch_scc0 .LBB119_1723
; %bb.1721:
	global_load_dword v0, v[5:6], off
	s_mov_b64 s[4:5], 0
	s_waitcnt vmcnt(0)
	v_cvt_f64_u32_e32 v[0:1], v0
	s_branch .LBB119_1724
.LBB119_1722:
	s_mov_b64 s[4:5], -1
                                        ; implicit-def: $vgpr0_vgpr1
	s_branch .LBB119_1727
.LBB119_1723:
	s_mov_b64 s[4:5], -1
                                        ; implicit-def: $vgpr0_vgpr1
.LBB119_1724:
	s_andn2_b64 vcc, exec, s[4:5]
	s_cbranch_vccnz .LBB119_1726
; %bb.1725:
	global_load_ushort v0, v[5:6], off
	s_waitcnt vmcnt(0)
	v_cvt_f64_u32_e32 v[0:1], v0
.LBB119_1726:
	s_mov_b64 s[4:5], 0
.LBB119_1727:
	s_andn2_b64 vcc, exec, s[4:5]
	s_cbranch_vccnz .LBB119_1737
; %bb.1728:
	global_load_ubyte v2, v[5:6], off
	s_movk_i32 s4, 0x7f
	s_waitcnt vmcnt(0)
	v_cmp_lt_i16_e32 vcc, s4, v2
	s_mov_b64 s[4:5], 0
	s_and_saveexec_b64 s[16:17], vcc
	s_xor_b64 s[16:17], exec, s[16:17]
	s_cbranch_execz .LBB119_1732
; %bb.1729:
	s_movk_i32 s4, 0x80
	v_cmp_eq_u16_e32 vcc, s4, v2
	s_mov_b64 s[4:5], -1
	s_and_saveexec_b64 s[18:19], vcc
; %bb.1730:
	s_xor_b64 s[4:5], exec, -1
; %bb.1731:
	s_or_b64 exec, exec, s[18:19]
	s_and_b64 s[4:5], s[4:5], exec
.LBB119_1732:
	s_or_saveexec_b64 s[16:17], s[16:17]
	v_bfrev_b32_e32 v0, 4
	v_mov_b32_e32 v1, 0x7ff80000
	s_xor_b64 exec, exec, s[16:17]
; %bb.1733:
	v_cmp_ne_u16_e32 vcc, 0, v2
	v_mov_b32_e32 v0, 0
	s_andn2_b64 s[4:5], s[4:5], exec
	s_and_b64 s[18:19], vcc, exec
	v_mov_b32_e32 v1, 0
	s_or_b64 s[4:5], s[4:5], s[18:19]
; %bb.1734:
	s_or_b64 exec, exec, s[16:17]
	s_and_saveexec_b64 s[16:17], s[4:5]
	s_cbranch_execz .LBB119_1736
; %bb.1735:
	v_and_b32_e32 v1, 0xffff, v2
	v_lshlrev_b32_e32 v0, 24, v2
	v_and_b32_e32 v2, 7, v1
	v_ffbh_u32_e32 v7, v2
	v_min_u32_e32 v7, 32, v7
	v_subrev_u32_e32 v9, 28, v7
	v_bfe_u32 v3, v1, 3, 4
	v_lshlrev_b32_e32 v1, v9, v1
	v_sub_u32_e32 v7, 29, v7
	v_and_b32_e32 v1, 7, v1
	v_cmp_eq_u32_e32 vcc, 0, v3
	v_cndmask_b32_e32 v3, v3, v7, vcc
	v_cndmask_b32_e32 v1, v2, v1, vcc
	v_mov_b32_e32 v2, 0x3b800000
	v_lshlrev_b32_e32 v1, 20, v1
	v_and_b32_e32 v0, 0x80000000, v0
	v_lshl_add_u32 v2, v3, 23, v2
	v_or3_b32 v0, v0, v2, v1
	v_cvt_f64_f32_e32 v[0:1], v0
.LBB119_1736:
	s_or_b64 exec, exec, s[16:17]
.LBB119_1737:
	v_mov_b32_e32 v2, 0
	v_mov_b32_e32 v3, 0
	s_mov_b64 s[16:17], -1
.LBB119_1738:
	s_branch .LBB119_1769
.LBB119_1739:
	s_cmp_gt_i32 s21, 22
	s_cbranch_scc0 .LBB119_1751
; %bb.1740:
	s_cmp_lt_i32 s21, 24
	s_cbranch_scc1 .LBB119_1752
; %bb.1741:
	s_cmp_gt_i32 s21, 24
	s_cbranch_scc0 .LBB119_1753
; %bb.1742:
	global_load_ubyte v2, v[5:6], off
	s_movk_i32 s4, 0x7f
	s_waitcnt vmcnt(0)
	v_cmp_lt_i16_e32 vcc, s4, v2
	s_mov_b64 s[4:5], 0
	s_and_saveexec_b64 s[6:7], vcc
	s_xor_b64 s[6:7], exec, s[6:7]
	s_cbranch_execz .LBB119_1746
; %bb.1743:
	s_movk_i32 s4, 0x80
	v_cmp_eq_u16_e32 vcc, s4, v2
	s_mov_b64 s[4:5], -1
	s_and_saveexec_b64 s[16:17], vcc
; %bb.1744:
	s_xor_b64 s[4:5], exec, -1
; %bb.1745:
	s_or_b64 exec, exec, s[16:17]
	s_and_b64 s[4:5], s[4:5], exec
.LBB119_1746:
	s_or_saveexec_b64 s[6:7], s[6:7]
	v_bfrev_b32_e32 v0, 4
	v_mov_b32_e32 v1, 0x7ff80000
	s_xor_b64 exec, exec, s[6:7]
; %bb.1747:
	v_cmp_ne_u16_e32 vcc, 0, v2
	v_mov_b32_e32 v0, 0
	s_andn2_b64 s[4:5], s[4:5], exec
	s_and_b64 s[16:17], vcc, exec
	v_mov_b32_e32 v1, 0
	s_or_b64 s[4:5], s[4:5], s[16:17]
; %bb.1748:
	s_or_b64 exec, exec, s[6:7]
	s_and_saveexec_b64 s[6:7], s[4:5]
	s_cbranch_execz .LBB119_1750
; %bb.1749:
	v_and_b32_e32 v1, 0xffff, v2
	v_lshlrev_b32_e32 v0, 24, v2
	v_and_b32_e32 v2, 3, v1
	v_ffbh_u32_e32 v7, v2
	v_min_u32_e32 v7, 32, v7
	v_subrev_u32_e32 v9, 29, v7
	v_bfe_u32 v3, v1, 2, 5
	v_lshlrev_b32_e32 v1, v9, v1
	v_sub_u32_e32 v7, 30, v7
	v_and_b32_e32 v1, 3, v1
	v_cmp_eq_u32_e32 vcc, 0, v3
	v_cndmask_b32_e32 v3, v3, v7, vcc
	v_cndmask_b32_e32 v1, v2, v1, vcc
	v_mov_b32_e32 v2, 0x37800000
	v_lshlrev_b32_e32 v1, 21, v1
	v_and_b32_e32 v0, 0x80000000, v0
	v_lshl_add_u32 v2, v3, 23, v2
	v_or3_b32 v0, v0, v2, v1
	v_cvt_f64_f32_e32 v[0:1], v0
.LBB119_1750:
	s_or_b64 exec, exec, s[6:7]
	s_mov_b64 s[4:5], 0
	s_branch .LBB119_1754
.LBB119_1751:
                                        ; implicit-def: $vgpr0_vgpr1
	s_mov_b64 s[6:7], 0
	s_branch .LBB119_1760
.LBB119_1752:
	s_mov_b64 s[4:5], -1
                                        ; implicit-def: $vgpr0_vgpr1
	s_branch .LBB119_1757
.LBB119_1753:
	s_mov_b64 s[4:5], -1
                                        ; implicit-def: $vgpr0_vgpr1
.LBB119_1754:
	s_and_b64 vcc, exec, s[4:5]
	s_cbranch_vccz .LBB119_1756
; %bb.1755:
	global_load_ubyte v0, v[5:6], off
	s_mov_b32 s4, 0x7f800000
	s_waitcnt vmcnt(0)
	v_lshlrev_b32_e32 v0, 24, v0
	v_and_b32_e32 v1, 0x7f000000, v0
	v_ffbh_u32_e32 v2, v1
	v_min_u32_e32 v2, 32, v2
	v_sub_u32_e64 v2, v2, 4 clamp
	v_lshlrev_b32_e32 v7, v2, v1
	v_lshlrev_b32_e32 v2, 23, v2
	v_lshrrev_b32_e32 v7, 4, v7
	v_add_u32_e32 v3, 0x1000000, v1
	v_sub_u32_e32 v2, v7, v2
	v_ashrrev_i32_e32 v3, 8, v3
	v_add_u32_e32 v2, 0x3c000000, v2
	v_and_or_b32 v2, v3, s4, v2
	v_cmp_ne_u32_e32 vcc, 0, v1
	v_cndmask_b32_e32 v1, 0, v2, vcc
	s_brev_b32 s4, 1
	v_and_or_b32 v0, v0, s4, v1
	v_cvt_f64_f32_e32 v[0:1], v0
.LBB119_1756:
	s_mov_b64 s[4:5], 0
.LBB119_1757:
	s_andn2_b64 vcc, exec, s[4:5]
	s_cbranch_vccnz .LBB119_1759
; %bb.1758:
	global_load_ubyte v0, v[5:6], off
	s_movk_i32 s4, 0x7f00
	s_brev_b32 s5, 16
	s_waitcnt vmcnt(0)
	v_lshlrev_b16_e32 v1, 8, v0
	v_lshlrev_b32_e32 v0, 25, v0
	v_lshrrev_b32_e32 v2, 4, v0
	v_and_or_b32 v3, v1, s4, 0.5
	v_or_b32_e32 v2, 0x70000000, v2
	v_add_f32_e32 v3, -0.5, v3
	v_mul_f32_e32 v2, 0x7800000, v2
	v_cmp_gt_u32_e32 vcc, s5, v0
	v_bfe_i32 v1, v1, 0, 16
	v_cndmask_b32_e32 v0, v2, v3, vcc
	s_brev_b32 s4, 1
	v_and_or_b32 v0, v1, s4, v0
	v_cvt_f64_f32_e32 v[0:1], v0
.LBB119_1759:
	s_mov_b64 s[16:17], -1
	s_mov_b64 s[6:7], 0
	s_cbranch_execnz .LBB119_1768
.LBB119_1760:
	s_cmp_gt_i32 s21, 14
	s_cbranch_scc0 .LBB119_1763
; %bb.1761:
	s_cmp_eq_u32 s21, 15
	s_cbranch_scc0 .LBB119_1764
; %bb.1762:
	global_load_ushort v0, v[5:6], off
	s_mov_b64 s[0:1], 0
	s_mov_b64 s[16:17], -1
	s_waitcnt vmcnt(0)
	v_lshlrev_b32_e32 v0, 16, v0
	v_cvt_f64_f32_e32 v[0:1], v0
	s_branch .LBB119_1765
.LBB119_1763:
	s_mov_b64 s[4:5], -1
                                        ; implicit-def: $vgpr0_vgpr1
	s_branch .LBB119_1766
.LBB119_1764:
	s_mov_b64 s[0:1], -1
                                        ; implicit-def: $vgpr0_vgpr1
.LBB119_1765:
	s_mov_b64 s[4:5], 0
.LBB119_1766:
	s_and_b64 vcc, exec, s[4:5]
	s_cbranch_vccz .LBB119_1768
; %bb.1767:
	s_cmp_lg_u32 s21, 11
	s_mov_b64 s[6:7], -1
	s_cselect_b64 s[0:1], -1, 0
.LBB119_1768:
	v_mov_b32_e32 v2, 0
	v_mov_b32_e32 v3, 0
.LBB119_1769:
	s_and_b64 vcc, exec, s[0:1]
	s_mov_b64 s[4:5], s[12:13]
	s_cbranch_vccnz .LBB119_1832
; %bb.1770:
	s_andn2_b64 vcc, exec, s[6:7]
	s_cbranch_vccnz .LBB119_1772
.LBB119_1771:
	global_load_ubyte v1, v[5:6], off
	v_mov_b32_e32 v7, 0x3ff00000
	v_mov_b32_e32 v2, 0
	v_mov_b32_e32 v0, 0
	v_mov_b32_e32 v3, 0
	s_mov_b64 s[16:17], -1
	s_waitcnt vmcnt(0)
	v_cmp_ne_u16_e32 vcc, 0, v1
	v_cndmask_b32_e32 v1, 0, v7, vcc
.LBB119_1772:
	s_branch .LBB119_1699
.LBB119_1773:
	s_and_b32 s6, 0xffff, s20
	s_cmp_lt_i32 s6, 5
	s_cbranch_scc1 .LBB119_1778
; %bb.1774:
	s_cmp_lt_i32 s6, 8
	s_cbranch_scc1 .LBB119_1780
; %bb.1775:
	;; [unrolled: 3-line block ×3, first 2 shown]
	s_cmp_gt_i32 s6, 9
	s_cbranch_scc0 .LBB119_1782
; %bb.1777:
	global_load_dwordx4 v[0:3], v[5:6], off
	s_mov_b64 s[0:1], 0
	s_branch .LBB119_1783
.LBB119_1778:
                                        ; implicit-def: $vgpr2_vgpr3
	s_branch .LBB119_1801
.LBB119_1779:
	s_branch .LBB119_1820
.LBB119_1780:
                                        ; implicit-def: $vgpr2_vgpr3
	s_branch .LBB119_1789
.LBB119_1781:
	s_mov_b64 s[0:1], -1
                                        ; implicit-def: $vgpr2_vgpr3
	s_branch .LBB119_1786
.LBB119_1782:
	s_mov_b64 s[0:1], -1
                                        ; implicit-def: $vgpr2_vgpr3
.LBB119_1783:
	s_andn2_b64 vcc, exec, s[0:1]
	s_cbranch_vccnz .LBB119_1785
; %bb.1784:
	global_load_dwordx2 v[1:2], v[5:6], off
	s_waitcnt vmcnt(0)
	v_cvt_f64_f32_e32 v[0:1], v1
	v_cvt_f64_f32_e32 v[2:3], v2
.LBB119_1785:
	s_mov_b64 s[0:1], 0
.LBB119_1786:
	s_andn2_b64 vcc, exec, s[0:1]
	s_cbranch_vccnz .LBB119_1788
; %bb.1787:
	global_load_dword v0, v[5:6], off
	s_waitcnt vmcnt(0)
	v_cvt_f32_f16_e32 v1, v0
	v_cvt_f32_f16_sdwa v2, v0 dst_sel:DWORD dst_unused:UNUSED_PAD src0_sel:WORD_1
	v_cvt_f64_f32_e32 v[0:1], v1
	v_cvt_f64_f32_e32 v[2:3], v2
.LBB119_1788:
	s_cbranch_execnz .LBB119_1800
.LBB119_1789:
	s_cmp_lt_i32 s6, 6
	s_cbranch_scc1 .LBB119_1792
; %bb.1790:
	s_cmp_gt_i32 s6, 6
	s_cbranch_scc0 .LBB119_1793
; %bb.1791:
	global_load_dwordx2 v[0:1], v[5:6], off
	s_mov_b64 s[0:1], 0
	s_branch .LBB119_1794
.LBB119_1792:
	s_mov_b64 s[0:1], -1
                                        ; implicit-def: $vgpr0_vgpr1
	s_branch .LBB119_1797
.LBB119_1793:
	s_mov_b64 s[0:1], -1
                                        ; implicit-def: $vgpr0_vgpr1
.LBB119_1794:
	s_andn2_b64 vcc, exec, s[0:1]
	s_cbranch_vccnz .LBB119_1796
; %bb.1795:
	global_load_dword v0, v[5:6], off
	s_waitcnt vmcnt(0)
	v_cvt_f64_f32_e32 v[0:1], v0
.LBB119_1796:
	s_mov_b64 s[0:1], 0
.LBB119_1797:
	s_andn2_b64 vcc, exec, s[0:1]
	s_cbranch_vccnz .LBB119_1799
; %bb.1798:
	global_load_ushort v0, v[5:6], off
	s_waitcnt vmcnt(0)
	v_cvt_f32_f16_e32 v0, v0
	v_cvt_f64_f32_e32 v[0:1], v0
.LBB119_1799:
	s_waitcnt vmcnt(0)
	v_mov_b32_e32 v2, 0
	v_mov_b32_e32 v3, 0
.LBB119_1800:
	s_cbranch_execnz .LBB119_1779
.LBB119_1801:
	s_cmp_lt_i32 s6, 2
	s_cbranch_scc1 .LBB119_1805
; %bb.1802:
	s_cmp_lt_i32 s6, 3
	s_cbranch_scc1 .LBB119_1806
; %bb.1803:
	s_cmp_gt_i32 s6, 3
	s_cbranch_scc0 .LBB119_1807
; %bb.1804:
	global_load_dwordx2 v[0:1], v[5:6], off
	s_mov_b64 s[0:1], 0
	s_waitcnt vmcnt(0)
	v_cvt_f64_i32_e32 v[1:2], v1
	v_cvt_f64_u32_e32 v[26:27], v0
	v_ldexp_f64 v[1:2], v[1:2], 32
	v_add_f64 v[0:1], v[1:2], v[26:27]
	s_branch .LBB119_1808
.LBB119_1805:
                                        ; implicit-def: $vgpr0_vgpr1
	s_branch .LBB119_1814
.LBB119_1806:
	s_mov_b64 s[0:1], -1
                                        ; implicit-def: $vgpr0_vgpr1
	s_branch .LBB119_1811
.LBB119_1807:
	s_mov_b64 s[0:1], -1
                                        ; implicit-def: $vgpr0_vgpr1
.LBB119_1808:
	s_andn2_b64 vcc, exec, s[0:1]
	s_cbranch_vccnz .LBB119_1810
; %bb.1809:
	global_load_dword v0, v[5:6], off
	s_waitcnt vmcnt(0)
	v_cvt_f64_i32_e32 v[0:1], v0
.LBB119_1810:
	s_mov_b64 s[0:1], 0
.LBB119_1811:
	s_andn2_b64 vcc, exec, s[0:1]
	s_cbranch_vccnz .LBB119_1813
; %bb.1812:
	global_load_sshort v0, v[5:6], off
	s_waitcnt vmcnt(0)
	v_cvt_f64_i32_e32 v[0:1], v0
.LBB119_1813:
	s_cbranch_execnz .LBB119_1819
.LBB119_1814:
	s_cmp_gt_i32 s6, 0
	s_cbranch_scc0 .LBB119_1816
; %bb.1815:
	global_load_sbyte v0, v[5:6], off
	s_mov_b64 s[0:1], 0
	s_waitcnt vmcnt(0)
	v_cvt_f64_i32_e32 v[0:1], v0
	s_branch .LBB119_1817
.LBB119_1816:
	s_mov_b64 s[0:1], -1
                                        ; implicit-def: $vgpr0_vgpr1
.LBB119_1817:
	s_andn2_b64 vcc, exec, s[0:1]
	s_cbranch_vccnz .LBB119_1819
; %bb.1818:
	global_load_ubyte v0, v[5:6], off
	s_waitcnt vmcnt(0)
	v_cvt_f64_u32_e32 v[0:1], v0
.LBB119_1819:
	s_waitcnt vmcnt(0)
	v_mov_b32_e32 v2, 0
	v_mov_b32_e32 v3, 0
.LBB119_1820:
	s_load_dwordx2 s[16:17], s[2:3], 0x198
	s_bfe_u32 s25, s24, 0x80010
	s_cmp_lt_i32 s25, 11
	s_waitcnt lgkmcnt(0)
	v_mov_b32_e32 v5, s17
	v_add_co_u32_e32 v26, vcc, s16, v4
	v_addc_co_u32_e32 v27, vcc, 0, v5, vcc
	s_cbranch_scc1 .LBB119_1827
; %bb.1821:
	s_and_b32 s26, 0xffff, s25
	s_cmp_gt_i32 s26, 25
	s_mov_b64 s[6:7], 0
	s_cbranch_scc0 .LBB119_1829
; %bb.1822:
	s_cmp_gt_i32 s26, 28
	s_cbranch_scc0 .LBB119_1830
; %bb.1823:
	s_cmp_gt_i32 s26, 43
	s_cbranch_scc0 .LBB119_1831
; %bb.1824:
	s_cmp_gt_i32 s26, 45
	s_cbranch_scc0 .LBB119_1833
; %bb.1825:
	s_cmp_eq_u32 s26, 46
	s_mov_b64 s[20:21], 0
	s_cbranch_scc0 .LBB119_1836
; %bb.1826:
	global_load_dword v4, v[26:27], off
	s_mov_b64 s[0:1], 0
	s_mov_b64 s[18:19], -1
	s_waitcnt vmcnt(0)
	v_and_b32_e32 v6, 0xffff0000, v4
	v_lshlrev_b32_e32 v4, 16, v4
	v_cvt_f64_f32_e32 v[4:5], v4
	v_cvt_f64_f32_e32 v[6:7], v6
	s_branch .LBB119_1837
.LBB119_1827:
	s_mov_b64 s[18:19], 0
                                        ; implicit-def: $vgpr6_vgpr7
	s_cbranch_execnz .LBB119_1905
.LBB119_1828:
	s_andn2_b64 vcc, exec, s[18:19]
	s_cbranch_vccnz .LBB119_2781
	s_branch .LBB119_1954
.LBB119_1829:
	s_mov_b64 s[18:19], 0
	s_mov_b64 s[0:1], 0
                                        ; implicit-def: $vgpr6_vgpr7
	s_cbranch_execnz .LBB119_1870
	s_branch .LBB119_1901
.LBB119_1830:
	s_mov_b64 s[20:21], -1
	s_mov_b64 s[18:19], 0
	s_mov_b64 s[0:1], 0
                                        ; implicit-def: $vgpr6_vgpr7
	s_branch .LBB119_1849
.LBB119_1831:
	s_mov_b64 s[20:21], -1
	s_mov_b64 s[18:19], 0
	s_mov_b64 s[0:1], 0
                                        ; implicit-def: $vgpr6_vgpr7
	s_branch .LBB119_1843
.LBB119_1832:
	s_trap 2
	s_or_b64 s[4:5], s[12:13], exec
	s_cbranch_execz .LBB119_1771
	s_branch .LBB119_1772
.LBB119_1833:
	s_mov_b64 s[20:21], -1
	s_mov_b64 s[18:19], 0
	s_mov_b64 s[0:1], 0
                                        ; implicit-def: $vgpr6_vgpr7
	s_branch .LBB119_1837
.LBB119_1834:
	s_andn2_saveexec_b64 s[20:21], s[20:21]
	s_cbranch_execz .LBB119_1566
.LBB119_1835:
	v_add_f32_e32 v0, 0x42800000, v1
	v_and_b32_e32 v0, 0xff, v0
	v_cmp_ne_u32_e32 vcc, 0, v0
	s_andn2_b64 s[18:19], s[18:19], exec
	s_and_b64 s[28:29], vcc, exec
	s_or_b64 s[18:19], s[18:19], s[28:29]
	s_or_b64 exec, exec, s[20:21]
	v_mov_b32_e32 v2, 0
	s_and_saveexec_b64 s[20:21], s[18:19]
	s_cbranch_execnz .LBB119_1567
	s_branch .LBB119_1568
.LBB119_1836:
	s_mov_b64 s[0:1], -1
                                        ; implicit-def: $vgpr6_vgpr7
	s_mov_b64 s[18:19], 0
.LBB119_1837:
	s_and_b64 vcc, exec, s[20:21]
	s_cbranch_vccz .LBB119_1842
; %bb.1838:
	s_cmp_eq_u32 s26, 44
	s_cbranch_scc0 .LBB119_1840
; %bb.1839:
	global_load_ubyte v6, v[26:27], off
	s_movk_i32 s18, 0xff
	v_bfrev_b32_e32 v7, 4
	v_mov_b32_e32 v9, 0x7ff80000
	v_bfrev_b32_e32 v11, 28
	s_mov_b64 s[0:1], 0
	s_waitcnt vmcnt(0)
	v_lshlrev_b32_e32 v4, 23, v6
	v_cvt_f64_f32_e32 v[4:5], v4
	v_cmp_ne_u32_e32 vcc, s18, v6
	s_mov_b64 s[18:19], -1
	v_cndmask_b32_e32 v4, v7, v4, vcc
	v_cndmask_b32_e32 v5, v9, v5, vcc
	v_cmp_ne_u32_e32 vcc, 0, v6
	v_cndmask_b32_e32 v5, v11, v5, vcc
	v_cndmask_b32_e32 v4, 0, v4, vcc
	s_branch .LBB119_1841
.LBB119_1840:
	s_mov_b64 s[0:1], -1
                                        ; implicit-def: $vgpr4_vgpr5
.LBB119_1841:
	v_mov_b32_e32 v6, 0
	v_mov_b32_e32 v7, 0
.LBB119_1842:
	s_mov_b64 s[20:21], 0
.LBB119_1843:
	s_and_b64 vcc, exec, s[20:21]
	s_cbranch_vccz .LBB119_1848
; %bb.1844:
	s_cmp_eq_u32 s26, 29
	s_cbranch_scc0 .LBB119_1846
; %bb.1845:
	global_load_dwordx2 v[4:5], v[26:27], off
	s_mov_b64 s[0:1], 0
	s_mov_b64 s[18:19], -1
	s_waitcnt vmcnt(0)
	v_cvt_f64_u32_e32 v[5:6], v5
	v_cvt_f64_u32_e32 v[28:29], v4
	v_ldexp_f64 v[5:6], v[5:6], 32
	v_add_f64 v[4:5], v[5:6], v[28:29]
	s_branch .LBB119_1847
.LBB119_1846:
	s_mov_b64 s[0:1], -1
                                        ; implicit-def: $vgpr4_vgpr5
.LBB119_1847:
	v_mov_b32_e32 v6, 0
	v_mov_b32_e32 v7, 0
.LBB119_1848:
	s_mov_b64 s[20:21], 0
.LBB119_1849:
	s_and_b64 vcc, exec, s[20:21]
	s_cbranch_vccz .LBB119_1869
; %bb.1850:
	s_cmp_lt_i32 s26, 27
	s_cbranch_scc1 .LBB119_1853
; %bb.1851:
	s_cmp_gt_i32 s26, 27
	s_cbranch_scc0 .LBB119_1854
; %bb.1852:
	global_load_dword v4, v[26:27], off
	s_mov_b64 s[18:19], 0
	s_waitcnt vmcnt(0)
	v_cvt_f64_u32_e32 v[4:5], v4
	s_branch .LBB119_1855
.LBB119_1853:
	s_mov_b64 s[18:19], -1
                                        ; implicit-def: $vgpr4_vgpr5
	s_branch .LBB119_1858
.LBB119_1854:
	s_mov_b64 s[18:19], -1
                                        ; implicit-def: $vgpr4_vgpr5
.LBB119_1855:
	s_andn2_b64 vcc, exec, s[18:19]
	s_cbranch_vccnz .LBB119_1857
; %bb.1856:
	global_load_ushort v4, v[26:27], off
	s_waitcnt vmcnt(0)
	v_cvt_f64_u32_e32 v[4:5], v4
.LBB119_1857:
	s_mov_b64 s[18:19], 0
.LBB119_1858:
	s_andn2_b64 vcc, exec, s[18:19]
	s_cbranch_vccnz .LBB119_1868
; %bb.1859:
	global_load_ubyte v6, v[26:27], off
	s_movk_i32 s18, 0x7f
	s_waitcnt vmcnt(0)
	v_cmp_lt_i16_e32 vcc, s18, v6
	s_mov_b64 s[18:19], 0
	s_and_saveexec_b64 s[20:21], vcc
	s_xor_b64 s[20:21], exec, s[20:21]
	s_cbranch_execz .LBB119_1863
; %bb.1860:
	s_movk_i32 s18, 0x80
	v_cmp_eq_u16_e32 vcc, s18, v6
	s_mov_b64 s[18:19], -1
	s_and_saveexec_b64 s[22:23], vcc
; %bb.1861:
	s_xor_b64 s[18:19], exec, -1
; %bb.1862:
	s_or_b64 exec, exec, s[22:23]
	s_and_b64 s[18:19], s[18:19], exec
.LBB119_1863:
	s_or_saveexec_b64 s[20:21], s[20:21]
	v_bfrev_b32_e32 v4, 4
	v_mov_b32_e32 v5, 0x7ff80000
	s_xor_b64 exec, exec, s[20:21]
; %bb.1864:
	v_cmp_ne_u16_e32 vcc, 0, v6
	v_mov_b32_e32 v4, 0
	s_andn2_b64 s[18:19], s[18:19], exec
	s_and_b64 s[22:23], vcc, exec
	v_mov_b32_e32 v5, 0
	s_or_b64 s[18:19], s[18:19], s[22:23]
; %bb.1865:
	s_or_b64 exec, exec, s[20:21]
	s_and_saveexec_b64 s[20:21], s[18:19]
	s_cbranch_execz .LBB119_1867
; %bb.1866:
	v_and_b32_e32 v5, 0xffff, v6
	v_lshlrev_b32_e32 v4, 24, v6
	v_and_b32_e32 v6, 7, v5
	v_ffbh_u32_e32 v9, v6
	v_min_u32_e32 v9, 32, v9
	v_subrev_u32_e32 v11, 28, v9
	v_bfe_u32 v7, v5, 3, 4
	v_lshlrev_b32_e32 v5, v11, v5
	v_sub_u32_e32 v9, 29, v9
	v_and_b32_e32 v5, 7, v5
	v_cmp_eq_u32_e32 vcc, 0, v7
	v_cndmask_b32_e32 v7, v7, v9, vcc
	v_cndmask_b32_e32 v5, v6, v5, vcc
	v_mov_b32_e32 v6, 0x3b800000
	v_lshlrev_b32_e32 v5, 20, v5
	v_and_b32_e32 v4, 0x80000000, v4
	v_lshl_add_u32 v6, v7, 23, v6
	v_or3_b32 v4, v4, v6, v5
	v_cvt_f64_f32_e32 v[4:5], v4
.LBB119_1867:
	s_or_b64 exec, exec, s[20:21]
.LBB119_1868:
	v_mov_b32_e32 v6, 0
	v_mov_b32_e32 v7, 0
	s_mov_b64 s[18:19], -1
.LBB119_1869:
	s_branch .LBB119_1901
.LBB119_1870:
	s_cmp_gt_i32 s26, 22
	s_cbranch_scc0 .LBB119_1882
; %bb.1871:
	s_cmp_lt_i32 s26, 24
	s_cbranch_scc1 .LBB119_1883
; %bb.1872:
	s_cmp_gt_i32 s26, 24
	s_cbranch_scc0 .LBB119_1884
; %bb.1873:
	global_load_ubyte v6, v[26:27], off
	s_movk_i32 s6, 0x7f
	s_waitcnt vmcnt(0)
	v_cmp_lt_i16_e32 vcc, s6, v6
	s_mov_b64 s[6:7], 0
	s_and_saveexec_b64 s[18:19], vcc
	s_xor_b64 s[18:19], exec, s[18:19]
	s_cbranch_execz .LBB119_1877
; %bb.1874:
	s_movk_i32 s6, 0x80
	v_cmp_eq_u16_e32 vcc, s6, v6
	s_mov_b64 s[6:7], -1
	s_and_saveexec_b64 s[20:21], vcc
; %bb.1875:
	s_xor_b64 s[6:7], exec, -1
; %bb.1876:
	s_or_b64 exec, exec, s[20:21]
	s_and_b64 s[6:7], s[6:7], exec
.LBB119_1877:
	s_or_saveexec_b64 s[18:19], s[18:19]
	v_bfrev_b32_e32 v4, 4
	v_mov_b32_e32 v5, 0x7ff80000
	s_xor_b64 exec, exec, s[18:19]
; %bb.1878:
	v_cmp_ne_u16_e32 vcc, 0, v6
	v_mov_b32_e32 v4, 0
	s_andn2_b64 s[6:7], s[6:7], exec
	s_and_b64 s[20:21], vcc, exec
	v_mov_b32_e32 v5, 0
	s_or_b64 s[6:7], s[6:7], s[20:21]
; %bb.1879:
	s_or_b64 exec, exec, s[18:19]
	s_and_saveexec_b64 s[18:19], s[6:7]
	s_cbranch_execz .LBB119_1881
; %bb.1880:
	v_and_b32_e32 v5, 0xffff, v6
	v_lshlrev_b32_e32 v4, 24, v6
	v_and_b32_e32 v6, 3, v5
	v_ffbh_u32_e32 v9, v6
	v_min_u32_e32 v9, 32, v9
	v_subrev_u32_e32 v11, 29, v9
	v_bfe_u32 v7, v5, 2, 5
	v_lshlrev_b32_e32 v5, v11, v5
	v_sub_u32_e32 v9, 30, v9
	v_and_b32_e32 v5, 3, v5
	v_cmp_eq_u32_e32 vcc, 0, v7
	v_cndmask_b32_e32 v7, v7, v9, vcc
	v_cndmask_b32_e32 v5, v6, v5, vcc
	v_mov_b32_e32 v6, 0x37800000
	v_lshlrev_b32_e32 v5, 21, v5
	v_and_b32_e32 v4, 0x80000000, v4
	v_lshl_add_u32 v6, v7, 23, v6
	v_or3_b32 v4, v4, v6, v5
	v_cvt_f64_f32_e32 v[4:5], v4
.LBB119_1881:
	s_or_b64 exec, exec, s[18:19]
	s_mov_b64 s[6:7], 0
	s_branch .LBB119_1885
.LBB119_1882:
	s_mov_b64 s[6:7], -1
                                        ; implicit-def: $vgpr4_vgpr5
	s_branch .LBB119_1891
.LBB119_1883:
	s_mov_b64 s[6:7], -1
                                        ; implicit-def: $vgpr4_vgpr5
	s_branch .LBB119_1888
.LBB119_1884:
	s_mov_b64 s[6:7], -1
                                        ; implicit-def: $vgpr4_vgpr5
.LBB119_1885:
	s_and_b64 vcc, exec, s[6:7]
	s_cbranch_vccz .LBB119_1887
; %bb.1886:
	global_load_ubyte v4, v[26:27], off
	s_mov_b32 s6, 0x7f800000
	s_waitcnt vmcnt(0)
	v_lshlrev_b32_e32 v4, 24, v4
	v_and_b32_e32 v5, 0x7f000000, v4
	v_ffbh_u32_e32 v6, v5
	v_min_u32_e32 v6, 32, v6
	v_sub_u32_e64 v6, v6, 4 clamp
	v_lshlrev_b32_e32 v9, v6, v5
	v_lshlrev_b32_e32 v6, 23, v6
	v_lshrrev_b32_e32 v9, 4, v9
	v_add_u32_e32 v7, 0x1000000, v5
	v_sub_u32_e32 v6, v9, v6
	v_ashrrev_i32_e32 v7, 8, v7
	v_add_u32_e32 v6, 0x3c000000, v6
	v_and_or_b32 v6, v7, s6, v6
	v_cmp_ne_u32_e32 vcc, 0, v5
	v_cndmask_b32_e32 v5, 0, v6, vcc
	s_brev_b32 s6, 1
	v_and_or_b32 v4, v4, s6, v5
	v_cvt_f64_f32_e32 v[4:5], v4
.LBB119_1887:
	s_mov_b64 s[6:7], 0
.LBB119_1888:
	s_andn2_b64 vcc, exec, s[6:7]
	s_cbranch_vccnz .LBB119_1890
; %bb.1889:
	global_load_ubyte v4, v[26:27], off
	s_movk_i32 s6, 0x7f00
	s_brev_b32 s7, 16
	s_waitcnt vmcnt(0)
	v_lshlrev_b16_e32 v5, 8, v4
	v_lshlrev_b32_e32 v4, 25, v4
	v_lshrrev_b32_e32 v6, 4, v4
	v_and_or_b32 v7, v5, s6, 0.5
	v_or_b32_e32 v6, 0x70000000, v6
	v_add_f32_e32 v7, -0.5, v7
	v_mul_f32_e32 v6, 0x7800000, v6
	v_cmp_gt_u32_e32 vcc, s7, v4
	v_bfe_i32 v5, v5, 0, 16
	v_cndmask_b32_e32 v4, v6, v7, vcc
	s_brev_b32 s6, 1
	v_and_or_b32 v4, v5, s6, v4
	v_cvt_f64_f32_e32 v[4:5], v4
.LBB119_1890:
	s_mov_b64 s[6:7], 0
	s_mov_b64 s[18:19], -1
.LBB119_1891:
	s_andn2_b64 vcc, exec, s[6:7]
	s_mov_b64 s[6:7], 0
	s_cbranch_vccnz .LBB119_1900
; %bb.1892:
	s_cmp_gt_i32 s26, 14
	s_cbranch_scc0 .LBB119_1895
; %bb.1893:
	s_cmp_eq_u32 s26, 15
	s_cbranch_scc0 .LBB119_1896
; %bb.1894:
	global_load_ushort v4, v[26:27], off
	s_mov_b64 s[0:1], 0
	s_mov_b64 s[18:19], -1
	s_waitcnt vmcnt(0)
	v_lshlrev_b32_e32 v4, 16, v4
	v_cvt_f64_f32_e32 v[4:5], v4
	s_branch .LBB119_1897
.LBB119_1895:
	s_mov_b64 s[20:21], -1
                                        ; implicit-def: $vgpr4_vgpr5
	s_branch .LBB119_1898
.LBB119_1896:
	s_mov_b64 s[0:1], -1
                                        ; implicit-def: $vgpr4_vgpr5
.LBB119_1897:
	s_mov_b64 s[20:21], 0
.LBB119_1898:
	s_and_b64 vcc, exec, s[20:21]
	s_cbranch_vccz .LBB119_1900
; %bb.1899:
	s_cmp_lg_u32 s26, 11
	s_mov_b64 s[6:7], -1
	s_cselect_b64 s[0:1], -1, 0
.LBB119_1900:
	v_mov_b32_e32 v6, 0
	v_mov_b32_e32 v7, 0
.LBB119_1901:
	s_and_b64 vcc, exec, s[0:1]
	s_cbranch_vccnz .LBB119_1982
; %bb.1902:
	s_andn2_b64 vcc, exec, s[6:7]
	s_cbranch_vccnz .LBB119_1904
.LBB119_1903:
	global_load_ubyte v5, v[26:27], off
	v_mov_b32_e32 v9, 0x3ff00000
	v_mov_b32_e32 v6, 0
	;; [unrolled: 1-line block ×4, first 2 shown]
	s_mov_b64 s[18:19], -1
	s_waitcnt vmcnt(0)
	v_cmp_ne_u16_e32 vcc, 0, v5
	v_cndmask_b32_e32 v5, 0, v9, vcc
.LBB119_1904:
	s_branch .LBB119_1828
.LBB119_1905:
	s_and_b32 s6, 0xffff, s25
	s_cmp_lt_i32 s6, 5
	s_cbranch_scc1 .LBB119_1910
; %bb.1906:
	s_cmp_lt_i32 s6, 8
	s_cbranch_scc1 .LBB119_1912
; %bb.1907:
	;; [unrolled: 3-line block ×3, first 2 shown]
	s_cmp_gt_i32 s6, 9
	s_cbranch_scc0 .LBB119_1914
; %bb.1909:
	global_load_dwordx4 v[4:7], v[26:27], off
	s_mov_b64 s[0:1], 0
	s_branch .LBB119_1915
.LBB119_1910:
                                        ; implicit-def: $vgpr6_vgpr7
	s_branch .LBB119_1934
.LBB119_1911:
	s_branch .LBB119_1954
.LBB119_1912:
	s_mov_b64 s[0:1], -1
                                        ; implicit-def: $vgpr6_vgpr7
	s_branch .LBB119_1921
.LBB119_1913:
	s_mov_b64 s[0:1], -1
                                        ; implicit-def: $vgpr6_vgpr7
	s_branch .LBB119_1918
.LBB119_1914:
	s_mov_b64 s[0:1], -1
                                        ; implicit-def: $vgpr6_vgpr7
.LBB119_1915:
	s_andn2_b64 vcc, exec, s[0:1]
	s_cbranch_vccnz .LBB119_1917
; %bb.1916:
	global_load_dwordx2 v[5:6], v[26:27], off
	s_waitcnt vmcnt(0)
	v_cvt_f64_f32_e32 v[4:5], v5
	v_cvt_f64_f32_e32 v[6:7], v6
.LBB119_1917:
	s_mov_b64 s[0:1], 0
.LBB119_1918:
	s_andn2_b64 vcc, exec, s[0:1]
	s_cbranch_vccnz .LBB119_1920
; %bb.1919:
	global_load_dword v4, v[26:27], off
	s_waitcnt vmcnt(0)
	v_cvt_f32_f16_e32 v5, v4
	v_cvt_f32_f16_sdwa v6, v4 dst_sel:DWORD dst_unused:UNUSED_PAD src0_sel:WORD_1
	v_cvt_f64_f32_e32 v[4:5], v5
	v_cvt_f64_f32_e32 v[6:7], v6
.LBB119_1920:
	s_mov_b64 s[0:1], 0
.LBB119_1921:
	s_andn2_b64 vcc, exec, s[0:1]
	s_cbranch_vccnz .LBB119_1933
; %bb.1922:
	s_cmp_lt_i32 s6, 6
	s_cbranch_scc1 .LBB119_1925
; %bb.1923:
	s_cmp_gt_i32 s6, 6
	s_cbranch_scc0 .LBB119_1926
; %bb.1924:
	global_load_dwordx2 v[4:5], v[26:27], off
	s_mov_b64 s[0:1], 0
	s_branch .LBB119_1927
.LBB119_1925:
	s_mov_b64 s[0:1], -1
                                        ; implicit-def: $vgpr4_vgpr5
	s_branch .LBB119_1930
.LBB119_1926:
	s_mov_b64 s[0:1], -1
                                        ; implicit-def: $vgpr4_vgpr5
.LBB119_1927:
	s_andn2_b64 vcc, exec, s[0:1]
	s_cbranch_vccnz .LBB119_1929
; %bb.1928:
	global_load_dword v4, v[26:27], off
	s_waitcnt vmcnt(0)
	v_cvt_f64_f32_e32 v[4:5], v4
.LBB119_1929:
	s_mov_b64 s[0:1], 0
.LBB119_1930:
	s_andn2_b64 vcc, exec, s[0:1]
	s_cbranch_vccnz .LBB119_1932
; %bb.1931:
	global_load_ushort v4, v[26:27], off
	s_waitcnt vmcnt(0)
	v_cvt_f32_f16_e32 v4, v4
	v_cvt_f64_f32_e32 v[4:5], v4
.LBB119_1932:
	s_waitcnt vmcnt(0)
	v_mov_b32_e32 v6, 0
	v_mov_b32_e32 v7, 0
.LBB119_1933:
	s_cbranch_execnz .LBB119_1911
.LBB119_1934:
	s_cmp_lt_i32 s6, 2
	s_cbranch_scc1 .LBB119_1938
; %bb.1935:
	s_cmp_lt_i32 s6, 3
	s_cbranch_scc1 .LBB119_1939
; %bb.1936:
	s_cmp_gt_i32 s6, 3
	s_cbranch_scc0 .LBB119_1940
; %bb.1937:
	global_load_dwordx2 v[4:5], v[26:27], off
	s_mov_b64 s[0:1], 0
	s_waitcnt vmcnt(0)
	v_cvt_f64_i32_e32 v[5:6], v5
	v_cvt_f64_u32_e32 v[28:29], v4
	v_ldexp_f64 v[5:6], v[5:6], 32
	v_add_f64 v[4:5], v[5:6], v[28:29]
	s_branch .LBB119_1941
.LBB119_1938:
	s_mov_b64 s[0:1], -1
                                        ; implicit-def: $vgpr4_vgpr5
	s_branch .LBB119_1947
.LBB119_1939:
	s_mov_b64 s[0:1], -1
                                        ; implicit-def: $vgpr4_vgpr5
	s_branch .LBB119_1944
.LBB119_1940:
	s_mov_b64 s[0:1], -1
                                        ; implicit-def: $vgpr4_vgpr5
.LBB119_1941:
	s_andn2_b64 vcc, exec, s[0:1]
	s_cbranch_vccnz .LBB119_1943
; %bb.1942:
	global_load_dword v4, v[26:27], off
	s_waitcnt vmcnt(0)
	v_cvt_f64_i32_e32 v[4:5], v4
.LBB119_1943:
	s_mov_b64 s[0:1], 0
.LBB119_1944:
	s_andn2_b64 vcc, exec, s[0:1]
	s_cbranch_vccnz .LBB119_1946
; %bb.1945:
	global_load_sshort v4, v[26:27], off
	s_waitcnt vmcnt(0)
	v_cvt_f64_i32_e32 v[4:5], v4
.LBB119_1946:
	s_mov_b64 s[0:1], 0
.LBB119_1947:
	s_andn2_b64 vcc, exec, s[0:1]
	s_cbranch_vccnz .LBB119_1953
; %bb.1948:
	s_cmp_gt_i32 s6, 0
	s_cbranch_scc0 .LBB119_1950
; %bb.1949:
	global_load_sbyte v4, v[26:27], off
	s_mov_b64 s[0:1], 0
	s_waitcnt vmcnt(0)
	v_cvt_f64_i32_e32 v[4:5], v4
	s_branch .LBB119_1951
.LBB119_1950:
	s_mov_b64 s[0:1], -1
                                        ; implicit-def: $vgpr4_vgpr5
.LBB119_1951:
	s_andn2_b64 vcc, exec, s[0:1]
	s_cbranch_vccnz .LBB119_1953
; %bb.1952:
	global_load_ubyte v4, v[26:27], off
	s_waitcnt vmcnt(0)
	v_cvt_f64_u32_e32 v[4:5], v4
.LBB119_1953:
	s_waitcnt vmcnt(0)
	v_mov_b32_e32 v6, 0
	v_mov_b32_e32 v7, 0
.LBB119_1954:
	s_load_dword s0, s[2:3], 0x1a0
	s_waitcnt lgkmcnt(0)
	s_cmp_lg_u32 s0, 0
	s_cselect_b64 s[18:19], -1, 0
	s_and_b64 vcc, exec, s[18:19]
	s_cbranch_vccz .LBB119_1966
; %bb.1955:
	s_waitcnt vmcnt(0)
	v_cmp_neq_f64_e32 vcc, v[0:1], v[4:5]
	v_cmp_neq_f64_e64 s[0:1], v[2:3], v[6:7]
	s_or_b64 s[6:7], vcc, s[0:1]
	s_cbranch_execnz .LBB119_1957
.LBB119_1956:
	s_waitcnt vmcnt(0)
	v_cmp_eq_f64_e32 vcc, v[0:1], v[4:5]
	v_cmp_eq_f64_e64 s[0:1], v[2:3], v[6:7]
	s_andn2_b64 s[6:7], s[6:7], exec
	s_and_b64 s[0:1], vcc, s[0:1]
	s_and_b64 s[0:1], s[0:1], exec
	s_or_b64 s[6:7], s[6:7], s[0:1]
.LBB119_1957:
	s_lshr_b32 s0, s24, 8
	s_lshr_b32 s28, s24, 16
	s_waitcnt vmcnt(0)
	v_mov_b32_e32 v0, s11
	s_and_b32 s30, s0, 0xff
	v_add_co_u32_e32 v4, vcc, s10, v25
	s_cmp_lt_i32 s30, 11
	v_addc_co_u32_e32 v5, vcc, 0, v0, vcc
	s_cbranch_scc1 .LBB119_1964
; %bb.1958:
	s_and_b32 s29, 0xffff, s30
	s_cmp_gt_i32 s29, 25
	s_mov_b64 s[20:21], 0
	s_cbranch_scc0 .LBB119_1967
; %bb.1959:
	s_cmp_gt_i32 s29, 28
	s_cbranch_scc0 .LBB119_1978
; %bb.1960:
	s_cmp_gt_i32 s29, 43
	;; [unrolled: 3-line block ×3, first 2 shown]
	s_cbranch_scc0 .LBB119_1983
; %bb.1962:
	s_cmp_eq_u32 s29, 46
	s_mov_b64 s[24:25], 0
	s_cbranch_scc0 .LBB119_2037
; %bb.1963:
	global_load_dword v0, v[4:5], off
	s_mov_b64 s[0:1], 0
	s_mov_b64 s[22:23], -1
	s_waitcnt vmcnt(0)
	v_and_b32_e32 v2, 0xffff0000, v0
	v_lshlrev_b32_e32 v0, 16, v0
	v_cvt_f64_f32_e32 v[0:1], v0
	v_cvt_f64_f32_e32 v[2:3], v2
	s_branch .LBB119_2038
.LBB119_1964:
	s_mov_b64 s[22:23], 0
                                        ; implicit-def: $vgpr2_vgpr3
	s_cbranch_execnz .LBB119_1972
.LBB119_1965:
	s_andn2_b64 vcc, exec, s[22:23]
	s_cbranch_vccnz .LBB119_2781
	s_branch .LBB119_2026
.LBB119_1966:
                                        ; implicit-def: $sgpr6_sgpr7
	s_branch .LBB119_1956
.LBB119_1967:
	s_mov_b64 s[22:23], 0
	s_mov_b64 s[0:1], 0
                                        ; implicit-def: $vgpr2_vgpr3
	s_cbranch_execnz .LBB119_2072
.LBB119_1968:
	s_and_b64 vcc, exec, s[0:1]
	s_cbranch_vccnz .LBB119_2103
.LBB119_1969:
	s_andn2_b64 vcc, exec, s[20:21]
	s_cbranch_vccnz .LBB119_1971
.LBB119_1970:
	global_load_ubyte v1, v[4:5], off
	v_mov_b32_e32 v6, 0x3ff00000
	v_mov_b32_e32 v2, 0
	;; [unrolled: 1-line block ×4, first 2 shown]
	s_mov_b64 s[22:23], -1
	s_waitcnt vmcnt(0)
	v_cmp_ne_u16_e32 vcc, 0, v1
	v_cndmask_b32_e32 v1, 0, v6, vcc
.LBB119_1971:
	s_branch .LBB119_1965
.LBB119_1972:
	s_and_b32 s20, 0xffff, s30
	s_cmp_lt_i32 s20, 5
	s_cbranch_scc1 .LBB119_1977
; %bb.1973:
	s_cmp_lt_i32 s20, 8
	s_cbranch_scc1 .LBB119_1979
; %bb.1974:
	;; [unrolled: 3-line block ×3, first 2 shown]
	s_cmp_gt_i32 s20, 9
	s_cbranch_scc0 .LBB119_1984
; %bb.1976:
	global_load_dwordx4 v[0:3], v[4:5], off
	s_mov_b64 s[0:1], 0
	s_branch .LBB119_1985
.LBB119_1977:
	s_mov_b64 s[0:1], -1
                                        ; implicit-def: $vgpr2_vgpr3
	s_branch .LBB119_2004
.LBB119_1978:
	s_mov_b64 s[24:25], -1
	s_mov_b64 s[22:23], 0
	s_mov_b64 s[0:1], 0
                                        ; implicit-def: $vgpr2_vgpr3
	s_branch .LBB119_2051
.LBB119_1979:
	s_mov_b64 s[0:1], -1
                                        ; implicit-def: $vgpr2_vgpr3
	s_branch .LBB119_1991
.LBB119_1980:
	s_mov_b64 s[24:25], -1
	s_mov_b64 s[22:23], 0
	s_mov_b64 s[0:1], 0
                                        ; implicit-def: $vgpr2_vgpr3
	s_branch .LBB119_2045
.LBB119_1981:
	s_mov_b64 s[0:1], -1
                                        ; implicit-def: $vgpr2_vgpr3
	s_branch .LBB119_1988
.LBB119_1982:
	s_trap 2
	s_or_b64 s[4:5], s[4:5], exec
	s_cbranch_execz .LBB119_1903
	s_branch .LBB119_1904
.LBB119_1983:
	s_mov_b64 s[24:25], -1
	s_mov_b64 s[22:23], 0
	s_mov_b64 s[0:1], 0
                                        ; implicit-def: $vgpr2_vgpr3
	s_branch .LBB119_2038
.LBB119_1984:
	s_mov_b64 s[0:1], -1
                                        ; implicit-def: $vgpr2_vgpr3
.LBB119_1985:
	s_andn2_b64 vcc, exec, s[0:1]
	s_cbranch_vccnz .LBB119_1987
; %bb.1986:
	global_load_dwordx2 v[1:2], v[4:5], off
	s_waitcnt vmcnt(0)
	v_cvt_f64_f32_e32 v[0:1], v1
	v_cvt_f64_f32_e32 v[2:3], v2
.LBB119_1987:
	s_mov_b64 s[0:1], 0
.LBB119_1988:
	s_andn2_b64 vcc, exec, s[0:1]
	s_cbranch_vccnz .LBB119_1990
; %bb.1989:
	global_load_dword v0, v[4:5], off
	s_waitcnt vmcnt(0)
	v_cvt_f32_f16_e32 v1, v0
	v_cvt_f32_f16_sdwa v2, v0 dst_sel:DWORD dst_unused:UNUSED_PAD src0_sel:WORD_1
	v_cvt_f64_f32_e32 v[0:1], v1
	v_cvt_f64_f32_e32 v[2:3], v2
.LBB119_1990:
	s_mov_b64 s[0:1], 0
.LBB119_1991:
	s_andn2_b64 vcc, exec, s[0:1]
	s_cbranch_vccnz .LBB119_2003
; %bb.1992:
	s_cmp_lt_i32 s20, 6
	s_cbranch_scc1 .LBB119_1995
; %bb.1993:
	s_cmp_gt_i32 s20, 6
	s_cbranch_scc0 .LBB119_1996
; %bb.1994:
	global_load_dwordx2 v[0:1], v[4:5], off
	s_mov_b64 s[0:1], 0
	s_branch .LBB119_1997
.LBB119_1995:
	s_mov_b64 s[0:1], -1
                                        ; implicit-def: $vgpr0_vgpr1
	s_branch .LBB119_2000
.LBB119_1996:
	s_mov_b64 s[0:1], -1
                                        ; implicit-def: $vgpr0_vgpr1
.LBB119_1997:
	s_andn2_b64 vcc, exec, s[0:1]
	s_cbranch_vccnz .LBB119_1999
; %bb.1998:
	global_load_dword v0, v[4:5], off
	s_waitcnt vmcnt(0)
	v_cvt_f64_f32_e32 v[0:1], v0
.LBB119_1999:
	s_mov_b64 s[0:1], 0
.LBB119_2000:
	s_andn2_b64 vcc, exec, s[0:1]
	s_cbranch_vccnz .LBB119_2002
; %bb.2001:
	global_load_ushort v0, v[4:5], off
	s_waitcnt vmcnt(0)
	v_cvt_f32_f16_e32 v0, v0
	v_cvt_f64_f32_e32 v[0:1], v0
.LBB119_2002:
	s_waitcnt vmcnt(0)
	v_mov_b32_e32 v2, 0
	v_mov_b32_e32 v3, 0
.LBB119_2003:
	s_mov_b64 s[0:1], 0
.LBB119_2004:
	s_andn2_b64 vcc, exec, s[0:1]
	s_cbranch_vccnz .LBB119_2025
; %bb.2005:
	s_cmp_lt_i32 s20, 2
	s_cbranch_scc1 .LBB119_2009
; %bb.2006:
	s_cmp_lt_i32 s20, 3
	s_cbranch_scc1 .LBB119_2010
; %bb.2007:
	s_cmp_gt_i32 s20, 3
	s_cbranch_scc0 .LBB119_2011
; %bb.2008:
	global_load_dwordx2 v[0:1], v[4:5], off
	s_mov_b64 s[0:1], 0
	s_waitcnt vmcnt(0)
	v_cvt_f64_i32_e32 v[1:2], v1
	v_cvt_f64_u32_e32 v[6:7], v0
	v_ldexp_f64 v[1:2], v[1:2], 32
	v_add_f64 v[0:1], v[1:2], v[6:7]
	s_branch .LBB119_2012
.LBB119_2009:
	s_mov_b64 s[0:1], -1
                                        ; implicit-def: $vgpr0_vgpr1
	s_branch .LBB119_2018
.LBB119_2010:
	s_mov_b64 s[0:1], -1
                                        ; implicit-def: $vgpr0_vgpr1
	s_branch .LBB119_2015
.LBB119_2011:
	s_mov_b64 s[0:1], -1
                                        ; implicit-def: $vgpr0_vgpr1
.LBB119_2012:
	s_andn2_b64 vcc, exec, s[0:1]
	s_cbranch_vccnz .LBB119_2014
; %bb.2013:
	global_load_dword v0, v[4:5], off
	s_waitcnt vmcnt(0)
	v_cvt_f64_i32_e32 v[0:1], v0
.LBB119_2014:
	s_mov_b64 s[0:1], 0
.LBB119_2015:
	s_andn2_b64 vcc, exec, s[0:1]
	s_cbranch_vccnz .LBB119_2017
; %bb.2016:
	global_load_sshort v0, v[4:5], off
	s_waitcnt vmcnt(0)
	v_cvt_f64_i32_e32 v[0:1], v0
.LBB119_2017:
	s_mov_b64 s[0:1], 0
.LBB119_2018:
	s_andn2_b64 vcc, exec, s[0:1]
	s_cbranch_vccnz .LBB119_2024
; %bb.2019:
	s_cmp_gt_i32 s20, 0
	s_cbranch_scc0 .LBB119_2021
; %bb.2020:
	global_load_sbyte v0, v[4:5], off
	s_mov_b64 s[0:1], 0
	s_waitcnt vmcnt(0)
	v_cvt_f64_i32_e32 v[0:1], v0
	s_branch .LBB119_2022
.LBB119_2021:
	s_mov_b64 s[0:1], -1
                                        ; implicit-def: $vgpr0_vgpr1
.LBB119_2022:
	s_andn2_b64 vcc, exec, s[0:1]
	s_cbranch_vccnz .LBB119_2024
; %bb.2023:
	global_load_ubyte v0, v[4:5], off
	s_waitcnt vmcnt(0)
	v_cvt_f64_u32_e32 v[0:1], v0
.LBB119_2024:
	s_waitcnt vmcnt(0)
	v_mov_b32_e32 v2, 0
	v_mov_b32_e32 v3, 0
.LBB119_2025:
.LBB119_2026:
	v_mov_b32_e32 v4, s17
	s_and_b32 s31, s28, 0xff
	v_add_co_u32_e32 v22, vcc, s16, v23
	s_cmp_lt_i32 s31, 11
	v_addc_co_u32_e32 v23, vcc, 0, v4, vcc
	s_cbranch_scc1 .LBB119_2033
; %bb.2027:
	s_and_b32 s28, 0xffff, s31
	s_cmp_gt_i32 s28, 25
	s_mov_b64 s[20:21], 0
	s_cbranch_scc0 .LBB119_2034
; %bb.2028:
	s_cmp_gt_i32 s28, 28
	s_cbranch_scc0 .LBB119_2035
; %bb.2029:
	s_cmp_gt_i32 s28, 43
	;; [unrolled: 3-line block ×3, first 2 shown]
	s_cbranch_scc0 .LBB119_2041
; %bb.2031:
	s_cmp_eq_u32 s28, 46
	s_mov_b64 s[24:25], 0
	s_cbranch_scc0 .LBB119_2104
; %bb.2032:
	global_load_dword v4, v[22:23], off
	s_mov_b64 s[0:1], 0
	s_mov_b64 s[22:23], -1
	s_waitcnt vmcnt(0)
	v_and_b32_e32 v6, 0xffff0000, v4
	v_lshlrev_b32_e32 v4, 16, v4
	v_cvt_f64_f32_e32 v[4:5], v4
	v_cvt_f64_f32_e32 v[6:7], v6
	s_branch .LBB119_2105
.LBB119_2033:
	s_mov_b64 s[0:1], -1
	s_mov_b64 s[22:23], 0
                                        ; implicit-def: $vgpr6_vgpr7
	s_branch .LBB119_2155
.LBB119_2034:
	s_mov_b64 s[24:25], -1
	s_mov_b64 s[22:23], 0
	s_mov_b64 s[0:1], 0
                                        ; implicit-def: $vgpr6_vgpr7
	s_branch .LBB119_2138
.LBB119_2035:
	s_mov_b64 s[24:25], -1
	s_mov_b64 s[22:23], 0
	s_mov_b64 s[0:1], 0
                                        ; implicit-def: $vgpr6_vgpr7
	s_branch .LBB119_2117
.LBB119_2036:
	s_mov_b64 s[24:25], -1
	s_mov_b64 s[22:23], 0
	s_mov_b64 s[0:1], 0
                                        ; implicit-def: $vgpr6_vgpr7
	s_branch .LBB119_2111
.LBB119_2037:
	s_mov_b64 s[0:1], -1
                                        ; implicit-def: $vgpr2_vgpr3
	s_mov_b64 s[22:23], 0
.LBB119_2038:
	s_and_b64 vcc, exec, s[24:25]
	s_cbranch_vccz .LBB119_2044
; %bb.2039:
	s_cmp_eq_u32 s29, 44
	s_cbranch_scc0 .LBB119_2042
; %bb.2040:
	global_load_ubyte v2, v[4:5], off
	s_movk_i32 s22, 0xff
	v_bfrev_b32_e32 v3, 4
	v_mov_b32_e32 v6, 0x7ff80000
	v_bfrev_b32_e32 v7, 28
	s_mov_b64 s[0:1], 0
	s_waitcnt vmcnt(0)
	v_lshlrev_b32_e32 v0, 23, v2
	v_cvt_f64_f32_e32 v[0:1], v0
	v_cmp_ne_u32_e32 vcc, s22, v2
	s_mov_b64 s[22:23], -1
	v_cndmask_b32_e32 v0, v3, v0, vcc
	v_cndmask_b32_e32 v1, v6, v1, vcc
	v_cmp_ne_u32_e32 vcc, 0, v2
	v_cndmask_b32_e32 v1, v7, v1, vcc
	v_cndmask_b32_e32 v0, 0, v0, vcc
	s_branch .LBB119_2043
.LBB119_2041:
	s_mov_b64 s[24:25], -1
	s_mov_b64 s[22:23], 0
	s_mov_b64 s[0:1], 0
                                        ; implicit-def: $vgpr6_vgpr7
	s_branch .LBB119_2105
.LBB119_2042:
	s_mov_b64 s[0:1], -1
                                        ; implicit-def: $vgpr0_vgpr1
.LBB119_2043:
	v_mov_b32_e32 v2, 0
	v_mov_b32_e32 v3, 0
.LBB119_2044:
	s_mov_b64 s[24:25], 0
.LBB119_2045:
	s_and_b64 vcc, exec, s[24:25]
	s_cbranch_vccz .LBB119_2050
; %bb.2046:
	s_cmp_eq_u32 s29, 29
	s_cbranch_scc0 .LBB119_2048
; %bb.2047:
	global_load_dwordx2 v[0:1], v[4:5], off
	s_mov_b64 s[0:1], 0
	s_mov_b64 s[22:23], -1
	s_waitcnt vmcnt(0)
	v_cvt_f64_u32_e32 v[1:2], v1
	v_cvt_f64_u32_e32 v[6:7], v0
	v_ldexp_f64 v[1:2], v[1:2], 32
	v_add_f64 v[0:1], v[1:2], v[6:7]
	s_branch .LBB119_2049
.LBB119_2048:
	s_mov_b64 s[0:1], -1
                                        ; implicit-def: $vgpr0_vgpr1
.LBB119_2049:
	v_mov_b32_e32 v2, 0
	v_mov_b32_e32 v3, 0
.LBB119_2050:
	s_mov_b64 s[24:25], 0
.LBB119_2051:
	s_and_b64 vcc, exec, s[24:25]
	s_cbranch_vccz .LBB119_2071
; %bb.2052:
	s_cmp_lt_i32 s29, 27
	s_cbranch_scc1 .LBB119_2055
; %bb.2053:
	s_cmp_gt_i32 s29, 27
	s_cbranch_scc0 .LBB119_2056
; %bb.2054:
	global_load_dword v0, v[4:5], off
	s_mov_b64 s[22:23], 0
	s_waitcnt vmcnt(0)
	v_cvt_f64_u32_e32 v[0:1], v0
	s_branch .LBB119_2057
.LBB119_2055:
	s_mov_b64 s[22:23], -1
                                        ; implicit-def: $vgpr0_vgpr1
	s_branch .LBB119_2060
.LBB119_2056:
	s_mov_b64 s[22:23], -1
                                        ; implicit-def: $vgpr0_vgpr1
.LBB119_2057:
	s_andn2_b64 vcc, exec, s[22:23]
	s_cbranch_vccnz .LBB119_2059
; %bb.2058:
	global_load_ushort v0, v[4:5], off
	s_waitcnt vmcnt(0)
	v_cvt_f64_u32_e32 v[0:1], v0
.LBB119_2059:
	s_mov_b64 s[22:23], 0
.LBB119_2060:
	s_andn2_b64 vcc, exec, s[22:23]
	s_cbranch_vccnz .LBB119_2070
; %bb.2061:
	global_load_ubyte v2, v[4:5], off
	s_movk_i32 s22, 0x7f
	s_waitcnt vmcnt(0)
	v_cmp_lt_i16_e32 vcc, s22, v2
	s_mov_b64 s[22:23], 0
	s_and_saveexec_b64 s[24:25], vcc
	s_xor_b64 s[24:25], exec, s[24:25]
	s_cbranch_execz .LBB119_2065
; %bb.2062:
	s_movk_i32 s22, 0x80
	v_cmp_eq_u16_e32 vcc, s22, v2
	s_mov_b64 s[22:23], -1
	s_and_saveexec_b64 s[26:27], vcc
; %bb.2063:
	s_xor_b64 s[22:23], exec, -1
; %bb.2064:
	s_or_b64 exec, exec, s[26:27]
	s_and_b64 s[22:23], s[22:23], exec
.LBB119_2065:
	s_or_saveexec_b64 s[24:25], s[24:25]
	v_bfrev_b32_e32 v0, 4
	v_mov_b32_e32 v1, 0x7ff80000
	s_xor_b64 exec, exec, s[24:25]
; %bb.2066:
	v_cmp_ne_u16_e32 vcc, 0, v2
	v_mov_b32_e32 v0, 0
	s_andn2_b64 s[22:23], s[22:23], exec
	s_and_b64 s[26:27], vcc, exec
	v_mov_b32_e32 v1, 0
	s_or_b64 s[22:23], s[22:23], s[26:27]
; %bb.2067:
	s_or_b64 exec, exec, s[24:25]
	s_and_saveexec_b64 s[24:25], s[22:23]
	s_cbranch_execz .LBB119_2069
; %bb.2068:
	v_and_b32_e32 v1, 0xffff, v2
	v_lshlrev_b32_e32 v0, 24, v2
	v_and_b32_e32 v2, 7, v1
	v_ffbh_u32_e32 v6, v2
	v_min_u32_e32 v6, 32, v6
	v_subrev_u32_e32 v7, 28, v6
	v_bfe_u32 v3, v1, 3, 4
	v_lshlrev_b32_e32 v1, v7, v1
	v_sub_u32_e32 v6, 29, v6
	v_and_b32_e32 v1, 7, v1
	v_cmp_eq_u32_e32 vcc, 0, v3
	v_cndmask_b32_e32 v3, v3, v6, vcc
	v_cndmask_b32_e32 v1, v2, v1, vcc
	v_mov_b32_e32 v2, 0x3b800000
	v_lshlrev_b32_e32 v1, 20, v1
	v_and_b32_e32 v0, 0x80000000, v0
	v_lshl_add_u32 v2, v3, 23, v2
	v_or3_b32 v0, v0, v2, v1
	v_cvt_f64_f32_e32 v[0:1], v0
.LBB119_2069:
	s_or_b64 exec, exec, s[24:25]
.LBB119_2070:
	v_mov_b32_e32 v2, 0
	v_mov_b32_e32 v3, 0
	s_mov_b64 s[22:23], -1
.LBB119_2071:
	s_branch .LBB119_1968
.LBB119_2072:
	s_cmp_gt_i32 s29, 22
	s_cbranch_scc0 .LBB119_2084
; %bb.2073:
	s_cmp_lt_i32 s29, 24
	s_cbranch_scc1 .LBB119_2085
; %bb.2074:
	s_cmp_gt_i32 s29, 24
	s_cbranch_scc0 .LBB119_2086
; %bb.2075:
	global_load_ubyte v2, v[4:5], off
	s_movk_i32 s20, 0x7f
	s_waitcnt vmcnt(0)
	v_cmp_lt_i16_e32 vcc, s20, v2
	s_mov_b64 s[20:21], 0
	s_and_saveexec_b64 s[22:23], vcc
	s_xor_b64 s[22:23], exec, s[22:23]
	s_cbranch_execz .LBB119_2079
; %bb.2076:
	s_movk_i32 s20, 0x80
	v_cmp_eq_u16_e32 vcc, s20, v2
	s_mov_b64 s[20:21], -1
	s_and_saveexec_b64 s[24:25], vcc
; %bb.2077:
	s_xor_b64 s[20:21], exec, -1
; %bb.2078:
	s_or_b64 exec, exec, s[24:25]
	s_and_b64 s[20:21], s[20:21], exec
.LBB119_2079:
	s_or_saveexec_b64 s[22:23], s[22:23]
	v_bfrev_b32_e32 v0, 4
	v_mov_b32_e32 v1, 0x7ff80000
	s_xor_b64 exec, exec, s[22:23]
; %bb.2080:
	v_cmp_ne_u16_e32 vcc, 0, v2
	v_mov_b32_e32 v0, 0
	s_andn2_b64 s[20:21], s[20:21], exec
	s_and_b64 s[24:25], vcc, exec
	v_mov_b32_e32 v1, 0
	s_or_b64 s[20:21], s[20:21], s[24:25]
; %bb.2081:
	s_or_b64 exec, exec, s[22:23]
	s_and_saveexec_b64 s[22:23], s[20:21]
	s_cbranch_execz .LBB119_2083
; %bb.2082:
	v_and_b32_e32 v1, 0xffff, v2
	v_lshlrev_b32_e32 v0, 24, v2
	v_and_b32_e32 v2, 3, v1
	v_ffbh_u32_e32 v6, v2
	v_min_u32_e32 v6, 32, v6
	v_subrev_u32_e32 v7, 29, v6
	v_bfe_u32 v3, v1, 2, 5
	v_lshlrev_b32_e32 v1, v7, v1
	v_sub_u32_e32 v6, 30, v6
	v_and_b32_e32 v1, 3, v1
	v_cmp_eq_u32_e32 vcc, 0, v3
	v_cndmask_b32_e32 v3, v3, v6, vcc
	v_cndmask_b32_e32 v1, v2, v1, vcc
	v_mov_b32_e32 v2, 0x37800000
	v_lshlrev_b32_e32 v1, 21, v1
	v_and_b32_e32 v0, 0x80000000, v0
	v_lshl_add_u32 v2, v3, 23, v2
	v_or3_b32 v0, v0, v2, v1
	v_cvt_f64_f32_e32 v[0:1], v0
.LBB119_2083:
	s_or_b64 exec, exec, s[22:23]
	s_mov_b64 s[20:21], 0
	s_branch .LBB119_2087
.LBB119_2084:
	s_mov_b64 s[20:21], -1
                                        ; implicit-def: $vgpr0_vgpr1
	s_branch .LBB119_2093
.LBB119_2085:
	s_mov_b64 s[20:21], -1
                                        ; implicit-def: $vgpr0_vgpr1
	s_branch .LBB119_2090
.LBB119_2086:
	s_mov_b64 s[20:21], -1
                                        ; implicit-def: $vgpr0_vgpr1
.LBB119_2087:
	s_and_b64 vcc, exec, s[20:21]
	s_cbranch_vccz .LBB119_2089
; %bb.2088:
	global_load_ubyte v0, v[4:5], off
	s_mov_b32 s20, 0x7f800000
	s_waitcnt vmcnt(0)
	v_lshlrev_b32_e32 v0, 24, v0
	v_and_b32_e32 v1, 0x7f000000, v0
	v_ffbh_u32_e32 v2, v1
	v_min_u32_e32 v2, 32, v2
	v_sub_u32_e64 v2, v2, 4 clamp
	v_lshlrev_b32_e32 v6, v2, v1
	v_lshlrev_b32_e32 v2, 23, v2
	v_lshrrev_b32_e32 v6, 4, v6
	v_add_u32_e32 v3, 0x1000000, v1
	v_sub_u32_e32 v2, v6, v2
	v_ashrrev_i32_e32 v3, 8, v3
	v_add_u32_e32 v2, 0x3c000000, v2
	v_and_or_b32 v2, v3, s20, v2
	v_cmp_ne_u32_e32 vcc, 0, v1
	v_cndmask_b32_e32 v1, 0, v2, vcc
	s_brev_b32 s20, 1
	v_and_or_b32 v0, v0, s20, v1
	v_cvt_f64_f32_e32 v[0:1], v0
.LBB119_2089:
	s_mov_b64 s[20:21], 0
.LBB119_2090:
	s_andn2_b64 vcc, exec, s[20:21]
	s_cbranch_vccnz .LBB119_2092
; %bb.2091:
	global_load_ubyte v0, v[4:5], off
	s_movk_i32 s20, 0x7f00
	s_brev_b32 s21, 16
	s_waitcnt vmcnt(0)
	v_lshlrev_b16_e32 v1, 8, v0
	v_lshlrev_b32_e32 v0, 25, v0
	v_lshrrev_b32_e32 v2, 4, v0
	v_and_or_b32 v3, v1, s20, 0.5
	v_or_b32_e32 v2, 0x70000000, v2
	v_add_f32_e32 v3, -0.5, v3
	v_mul_f32_e32 v2, 0x7800000, v2
	v_cmp_gt_u32_e32 vcc, s21, v0
	v_bfe_i32 v1, v1, 0, 16
	v_cndmask_b32_e32 v0, v2, v3, vcc
	s_brev_b32 s20, 1
	v_and_or_b32 v0, v1, s20, v0
	v_cvt_f64_f32_e32 v[0:1], v0
.LBB119_2092:
	s_mov_b64 s[20:21], 0
	s_mov_b64 s[22:23], -1
.LBB119_2093:
	s_andn2_b64 vcc, exec, s[20:21]
	s_mov_b64 s[20:21], 0
	s_cbranch_vccnz .LBB119_2102
; %bb.2094:
	s_cmp_gt_i32 s29, 14
	s_cbranch_scc0 .LBB119_2097
; %bb.2095:
	s_cmp_eq_u32 s29, 15
	s_cbranch_scc0 .LBB119_2098
; %bb.2096:
	global_load_ushort v0, v[4:5], off
	s_mov_b64 s[0:1], 0
	s_mov_b64 s[22:23], -1
	s_waitcnt vmcnt(0)
	v_lshlrev_b32_e32 v0, 16, v0
	v_cvt_f64_f32_e32 v[0:1], v0
	s_branch .LBB119_2099
.LBB119_2097:
	s_mov_b64 s[24:25], -1
                                        ; implicit-def: $vgpr0_vgpr1
	s_branch .LBB119_2100
.LBB119_2098:
	s_mov_b64 s[0:1], -1
                                        ; implicit-def: $vgpr0_vgpr1
.LBB119_2099:
	s_mov_b64 s[24:25], 0
.LBB119_2100:
	s_and_b64 vcc, exec, s[24:25]
	s_cbranch_vccz .LBB119_2102
; %bb.2101:
	s_cmp_lg_u32 s29, 11
	s_mov_b64 s[20:21], -1
	s_cselect_b64 s[0:1], -1, 0
.LBB119_2102:
	v_mov_b32_e32 v2, 0
	v_mov_b32_e32 v3, 0
	s_and_b64 vcc, exec, s[0:1]
	s_cbranch_vccz .LBB119_1969
.LBB119_2103:
	s_trap 2
	s_or_b64 s[4:5], s[4:5], exec
	s_cbranch_execz .LBB119_1970
	s_branch .LBB119_1971
.LBB119_2104:
	s_mov_b64 s[0:1], -1
                                        ; implicit-def: $vgpr6_vgpr7
	s_mov_b64 s[22:23], 0
.LBB119_2105:
	s_and_b64 vcc, exec, s[24:25]
	s_cbranch_vccz .LBB119_2110
; %bb.2106:
	s_cmp_eq_u32 s28, 44
	s_cbranch_scc0 .LBB119_2108
; %bb.2107:
	global_load_ubyte v6, v[22:23], off
	s_movk_i32 s22, 0xff
	v_bfrev_b32_e32 v7, 4
	v_mov_b32_e32 v9, 0x7ff80000
	v_bfrev_b32_e32 v11, 28
	s_mov_b64 s[0:1], 0
	s_waitcnt vmcnt(0)
	v_lshlrev_b32_e32 v4, 23, v6
	v_cvt_f64_f32_e32 v[4:5], v4
	v_cmp_ne_u32_e32 vcc, s22, v6
	s_mov_b64 s[22:23], -1
	v_cndmask_b32_e32 v4, v7, v4, vcc
	v_cndmask_b32_e32 v5, v9, v5, vcc
	v_cmp_ne_u32_e32 vcc, 0, v6
	v_cndmask_b32_e32 v5, v11, v5, vcc
	v_cndmask_b32_e32 v4, 0, v4, vcc
	s_branch .LBB119_2109
.LBB119_2108:
	s_mov_b64 s[0:1], -1
                                        ; implicit-def: $vgpr4_vgpr5
.LBB119_2109:
	v_mov_b32_e32 v6, 0
	v_mov_b32_e32 v7, 0
.LBB119_2110:
	s_mov_b64 s[24:25], 0
.LBB119_2111:
	s_and_b64 vcc, exec, s[24:25]
	s_cbranch_vccz .LBB119_2116
; %bb.2112:
	s_cmp_eq_u32 s28, 29
	s_cbranch_scc0 .LBB119_2114
; %bb.2113:
	global_load_dwordx2 v[4:5], v[22:23], off
	s_mov_b64 s[0:1], 0
	s_mov_b64 s[22:23], -1
	s_waitcnt vmcnt(0)
	v_cvt_f64_u32_e32 v[5:6], v5
	v_cvt_f64_u32_e32 v[24:25], v4
	v_ldexp_f64 v[5:6], v[5:6], 32
	v_add_f64 v[4:5], v[5:6], v[24:25]
	s_branch .LBB119_2115
.LBB119_2114:
	s_mov_b64 s[0:1], -1
                                        ; implicit-def: $vgpr4_vgpr5
.LBB119_2115:
	v_mov_b32_e32 v6, 0
	v_mov_b32_e32 v7, 0
.LBB119_2116:
	s_mov_b64 s[24:25], 0
.LBB119_2117:
	s_and_b64 vcc, exec, s[24:25]
	s_cbranch_vccz .LBB119_2137
; %bb.2118:
	s_cmp_lt_i32 s28, 27
	s_cbranch_scc1 .LBB119_2121
; %bb.2119:
	s_cmp_gt_i32 s28, 27
	s_cbranch_scc0 .LBB119_2122
; %bb.2120:
	global_load_dword v4, v[22:23], off
	s_mov_b64 s[22:23], 0
	s_waitcnt vmcnt(0)
	v_cvt_f64_u32_e32 v[4:5], v4
	s_branch .LBB119_2123
.LBB119_2121:
	s_mov_b64 s[22:23], -1
                                        ; implicit-def: $vgpr4_vgpr5
	s_branch .LBB119_2126
.LBB119_2122:
	s_mov_b64 s[22:23], -1
                                        ; implicit-def: $vgpr4_vgpr5
.LBB119_2123:
	s_andn2_b64 vcc, exec, s[22:23]
	s_cbranch_vccnz .LBB119_2125
; %bb.2124:
	global_load_ushort v4, v[22:23], off
	s_waitcnt vmcnt(0)
	v_cvt_f64_u32_e32 v[4:5], v4
.LBB119_2125:
	s_mov_b64 s[22:23], 0
.LBB119_2126:
	s_andn2_b64 vcc, exec, s[22:23]
	s_cbranch_vccnz .LBB119_2136
; %bb.2127:
	global_load_ubyte v6, v[22:23], off
	s_movk_i32 s22, 0x7f
	s_waitcnt vmcnt(0)
	v_cmp_lt_i16_e32 vcc, s22, v6
	s_mov_b64 s[22:23], 0
	s_and_saveexec_b64 s[24:25], vcc
	s_xor_b64 s[24:25], exec, s[24:25]
	s_cbranch_execz .LBB119_2131
; %bb.2128:
	s_movk_i32 s22, 0x80
	v_cmp_eq_u16_e32 vcc, s22, v6
	s_mov_b64 s[22:23], -1
	s_and_saveexec_b64 s[26:27], vcc
; %bb.2129:
	s_xor_b64 s[22:23], exec, -1
; %bb.2130:
	s_or_b64 exec, exec, s[26:27]
	s_and_b64 s[22:23], s[22:23], exec
.LBB119_2131:
	s_or_saveexec_b64 s[24:25], s[24:25]
	v_bfrev_b32_e32 v4, 4
	v_mov_b32_e32 v5, 0x7ff80000
	s_xor_b64 exec, exec, s[24:25]
; %bb.2132:
	v_cmp_ne_u16_e32 vcc, 0, v6
	v_mov_b32_e32 v4, 0
	s_andn2_b64 s[22:23], s[22:23], exec
	s_and_b64 s[26:27], vcc, exec
	v_mov_b32_e32 v5, 0
	s_or_b64 s[22:23], s[22:23], s[26:27]
; %bb.2133:
	s_or_b64 exec, exec, s[24:25]
	s_and_saveexec_b64 s[24:25], s[22:23]
	s_cbranch_execz .LBB119_2135
; %bb.2134:
	v_and_b32_e32 v5, 0xffff, v6
	v_lshlrev_b32_e32 v4, 24, v6
	v_and_b32_e32 v6, 7, v5
	v_ffbh_u32_e32 v9, v6
	v_min_u32_e32 v9, 32, v9
	v_subrev_u32_e32 v11, 28, v9
	v_bfe_u32 v7, v5, 3, 4
	v_lshlrev_b32_e32 v5, v11, v5
	v_sub_u32_e32 v9, 29, v9
	v_and_b32_e32 v5, 7, v5
	v_cmp_eq_u32_e32 vcc, 0, v7
	v_cndmask_b32_e32 v7, v7, v9, vcc
	v_cndmask_b32_e32 v5, v6, v5, vcc
	v_mov_b32_e32 v6, 0x3b800000
	v_lshlrev_b32_e32 v5, 20, v5
	v_and_b32_e32 v4, 0x80000000, v4
	v_lshl_add_u32 v6, v7, 23, v6
	v_or3_b32 v4, v4, v6, v5
	v_cvt_f64_f32_e32 v[4:5], v4
.LBB119_2135:
	s_or_b64 exec, exec, s[24:25]
.LBB119_2136:
	v_mov_b32_e32 v6, 0
	v_mov_b32_e32 v7, 0
	s_mov_b64 s[22:23], -1
.LBB119_2137:
	s_mov_b64 s[24:25], 0
.LBB119_2138:
	s_and_b64 vcc, exec, s[24:25]
	s_cbranch_vccz .LBB119_2151
; %bb.2139:
	s_cmp_gt_i32 s28, 22
	s_cbranch_scc0 .LBB119_2162
; %bb.2140:
	s_cmp_lt_i32 s28, 24
	s_cbranch_scc1 .LBB119_2164
; %bb.2141:
	s_cmp_gt_i32 s28, 24
	s_cbranch_scc0 .LBB119_2166
; %bb.2142:
	global_load_ubyte v6, v[22:23], off
	s_movk_i32 s20, 0x7f
	s_waitcnt vmcnt(0)
	v_cmp_lt_i16_e32 vcc, s20, v6
	s_mov_b64 s[20:21], 0
	s_and_saveexec_b64 s[22:23], vcc
	s_xor_b64 s[22:23], exec, s[22:23]
	s_cbranch_execz .LBB119_2146
; %bb.2143:
	s_movk_i32 s20, 0x80
	v_cmp_eq_u16_e32 vcc, s20, v6
	s_mov_b64 s[20:21], -1
	s_and_saveexec_b64 s[24:25], vcc
; %bb.2144:
	s_xor_b64 s[20:21], exec, -1
; %bb.2145:
	s_or_b64 exec, exec, s[24:25]
	s_and_b64 s[20:21], s[20:21], exec
.LBB119_2146:
	s_or_saveexec_b64 s[22:23], s[22:23]
	v_bfrev_b32_e32 v4, 4
	v_mov_b32_e32 v5, 0x7ff80000
	s_xor_b64 exec, exec, s[22:23]
; %bb.2147:
	v_cmp_ne_u16_e32 vcc, 0, v6
	v_mov_b32_e32 v4, 0
	s_andn2_b64 s[20:21], s[20:21], exec
	s_and_b64 s[24:25], vcc, exec
	v_mov_b32_e32 v5, 0
	s_or_b64 s[20:21], s[20:21], s[24:25]
; %bb.2148:
	s_or_b64 exec, exec, s[22:23]
	s_and_saveexec_b64 s[22:23], s[20:21]
	s_cbranch_execz .LBB119_2150
; %bb.2149:
	v_and_b32_e32 v5, 0xffff, v6
	v_lshlrev_b32_e32 v4, 24, v6
	v_and_b32_e32 v6, 3, v5
	v_ffbh_u32_e32 v9, v6
	v_min_u32_e32 v9, 32, v9
	v_subrev_u32_e32 v11, 29, v9
	v_bfe_u32 v7, v5, 2, 5
	v_lshlrev_b32_e32 v5, v11, v5
	v_sub_u32_e32 v9, 30, v9
	v_and_b32_e32 v5, 3, v5
	v_cmp_eq_u32_e32 vcc, 0, v7
	v_cndmask_b32_e32 v7, v7, v9, vcc
	v_cndmask_b32_e32 v5, v6, v5, vcc
	v_mov_b32_e32 v6, 0x37800000
	v_lshlrev_b32_e32 v5, 21, v5
	v_and_b32_e32 v4, 0x80000000, v4
	v_lshl_add_u32 v6, v7, 23, v6
	v_or3_b32 v4, v4, v6, v5
	v_cvt_f64_f32_e32 v[4:5], v4
.LBB119_2150:
	s_or_b64 exec, exec, s[22:23]
	s_mov_b64 s[20:21], 0
	s_branch .LBB119_2167
.LBB119_2151:
	s_and_b64 vcc, exec, s[0:1]
	s_cbranch_vccnz .LBB119_2195
.LBB119_2152:
	s_andn2_b64 vcc, exec, s[20:21]
	s_cbranch_vccnz .LBB119_2154
.LBB119_2153:
	global_load_ubyte v5, v[22:23], off
	v_mov_b32_e32 v9, 0x3ff00000
	v_mov_b32_e32 v6, 0
	;; [unrolled: 1-line block ×4, first 2 shown]
	s_mov_b64 s[22:23], -1
	s_waitcnt vmcnt(0)
	v_cmp_ne_u16_e32 vcc, 0, v5
	v_cndmask_b32_e32 v5, 0, v9, vcc
.LBB119_2154:
	s_mov_b64 s[0:1], 0
.LBB119_2155:
	s_and_b64 vcc, exec, s[0:1]
	s_cbranch_vccz .LBB119_2226
; %bb.2156:
	s_and_b32 s20, 0xffff, s31
	s_cmp_lt_i32 s20, 5
	s_cbranch_scc1 .LBB119_2161
; %bb.2157:
	s_cmp_lt_i32 s20, 8
	s_cbranch_scc1 .LBB119_2163
; %bb.2158:
	;; [unrolled: 3-line block ×3, first 2 shown]
	s_cmp_gt_i32 s20, 9
	s_cbranch_scc0 .LBB119_2178
; %bb.2160:
	global_load_dwordx4 v[4:7], v[22:23], off
	s_mov_b64 s[0:1], 0
	s_branch .LBB119_2179
.LBB119_2161:
	s_mov_b64 s[0:1], -1
                                        ; implicit-def: $vgpr6_vgpr7
	s_branch .LBB119_2204
.LBB119_2162:
	s_mov_b64 s[20:21], -1
                                        ; implicit-def: $vgpr4_vgpr5
	s_branch .LBB119_2173
.LBB119_2163:
	s_mov_b64 s[0:1], -1
                                        ; implicit-def: $vgpr6_vgpr7
	s_branch .LBB119_2185
.LBB119_2164:
	s_mov_b64 s[20:21], -1
                                        ; implicit-def: $vgpr4_vgpr5
	s_branch .LBB119_2170
.LBB119_2165:
	s_mov_b64 s[0:1], -1
                                        ; implicit-def: $vgpr6_vgpr7
	s_branch .LBB119_2182
.LBB119_2166:
	s_mov_b64 s[20:21], -1
                                        ; implicit-def: $vgpr4_vgpr5
.LBB119_2167:
	s_and_b64 vcc, exec, s[20:21]
	s_cbranch_vccz .LBB119_2169
; %bb.2168:
	global_load_ubyte v4, v[22:23], off
	s_mov_b32 s20, 0x7f800000
	s_waitcnt vmcnt(0)
	v_lshlrev_b32_e32 v4, 24, v4
	v_and_b32_e32 v5, 0x7f000000, v4
	v_ffbh_u32_e32 v6, v5
	v_min_u32_e32 v6, 32, v6
	v_sub_u32_e64 v6, v6, 4 clamp
	v_lshlrev_b32_e32 v9, v6, v5
	v_lshlrev_b32_e32 v6, 23, v6
	v_lshrrev_b32_e32 v9, 4, v9
	v_add_u32_e32 v7, 0x1000000, v5
	v_sub_u32_e32 v6, v9, v6
	v_ashrrev_i32_e32 v7, 8, v7
	v_add_u32_e32 v6, 0x3c000000, v6
	v_and_or_b32 v6, v7, s20, v6
	v_cmp_ne_u32_e32 vcc, 0, v5
	v_cndmask_b32_e32 v5, 0, v6, vcc
	s_brev_b32 s20, 1
	v_and_or_b32 v4, v4, s20, v5
	v_cvt_f64_f32_e32 v[4:5], v4
.LBB119_2169:
	s_mov_b64 s[20:21], 0
.LBB119_2170:
	s_andn2_b64 vcc, exec, s[20:21]
	s_cbranch_vccnz .LBB119_2172
; %bb.2171:
	global_load_ubyte v4, v[22:23], off
	s_movk_i32 s20, 0x7f00
	s_brev_b32 s21, 16
	s_waitcnt vmcnt(0)
	v_lshlrev_b16_e32 v5, 8, v4
	v_lshlrev_b32_e32 v4, 25, v4
	v_lshrrev_b32_e32 v6, 4, v4
	v_and_or_b32 v7, v5, s20, 0.5
	v_or_b32_e32 v6, 0x70000000, v6
	v_add_f32_e32 v7, -0.5, v7
	v_mul_f32_e32 v6, 0x7800000, v6
	v_cmp_gt_u32_e32 vcc, s21, v4
	v_bfe_i32 v5, v5, 0, 16
	v_cndmask_b32_e32 v4, v6, v7, vcc
	s_brev_b32 s20, 1
	v_and_or_b32 v4, v5, s20, v4
	v_cvt_f64_f32_e32 v[4:5], v4
.LBB119_2172:
	s_mov_b64 s[20:21], 0
	s_mov_b64 s[22:23], -1
.LBB119_2173:
	s_andn2_b64 vcc, exec, s[20:21]
	s_mov_b64 s[20:21], 0
	s_cbranch_vccnz .LBB119_2194
; %bb.2174:
	s_cmp_gt_i32 s28, 14
	s_cbranch_scc0 .LBB119_2177
; %bb.2175:
	s_cmp_eq_u32 s28, 15
	s_cbranch_scc0 .LBB119_2190
; %bb.2176:
	global_load_ushort v4, v[22:23], off
	s_mov_b64 s[0:1], 0
	s_mov_b64 s[22:23], -1
	s_waitcnt vmcnt(0)
	v_lshlrev_b32_e32 v4, 16, v4
	v_cvt_f64_f32_e32 v[4:5], v4
	s_branch .LBB119_2191
.LBB119_2177:
	s_mov_b64 s[24:25], -1
                                        ; implicit-def: $vgpr4_vgpr5
	s_branch .LBB119_2192
.LBB119_2178:
	s_mov_b64 s[0:1], -1
                                        ; implicit-def: $vgpr6_vgpr7
.LBB119_2179:
	s_andn2_b64 vcc, exec, s[0:1]
	s_cbranch_vccnz .LBB119_2181
; %bb.2180:
	global_load_dwordx2 v[5:6], v[22:23], off
	s_waitcnt vmcnt(0)
	v_cvt_f64_f32_e32 v[4:5], v5
	v_cvt_f64_f32_e32 v[6:7], v6
.LBB119_2181:
	s_mov_b64 s[0:1], 0
.LBB119_2182:
	s_andn2_b64 vcc, exec, s[0:1]
	s_cbranch_vccnz .LBB119_2184
; %bb.2183:
	global_load_dword v4, v[22:23], off
	s_waitcnt vmcnt(0)
	v_cvt_f32_f16_e32 v5, v4
	v_cvt_f32_f16_sdwa v6, v4 dst_sel:DWORD dst_unused:UNUSED_PAD src0_sel:WORD_1
	v_cvt_f64_f32_e32 v[4:5], v5
	v_cvt_f64_f32_e32 v[6:7], v6
.LBB119_2184:
	s_mov_b64 s[0:1], 0
.LBB119_2185:
	s_andn2_b64 vcc, exec, s[0:1]
	s_cbranch_vccnz .LBB119_2203
; %bb.2186:
	s_cmp_lt_i32 s20, 6
	s_cbranch_scc1 .LBB119_2189
; %bb.2187:
	s_cmp_gt_i32 s20, 6
	s_cbranch_scc0 .LBB119_2196
; %bb.2188:
	global_load_dwordx2 v[4:5], v[22:23], off
	s_mov_b64 s[0:1], 0
	s_branch .LBB119_2197
.LBB119_2189:
	s_mov_b64 s[0:1], -1
                                        ; implicit-def: $vgpr4_vgpr5
	s_branch .LBB119_2200
.LBB119_2190:
	s_mov_b64 s[0:1], -1
                                        ; implicit-def: $vgpr4_vgpr5
.LBB119_2191:
	s_mov_b64 s[24:25], 0
.LBB119_2192:
	s_and_b64 vcc, exec, s[24:25]
	s_cbranch_vccz .LBB119_2194
; %bb.2193:
	s_cmp_lg_u32 s28, 11
	s_mov_b64 s[20:21], -1
	s_cselect_b64 s[0:1], -1, 0
.LBB119_2194:
	v_mov_b32_e32 v6, 0
	v_mov_b32_e32 v7, 0
	s_and_b64 vcc, exec, s[0:1]
	s_cbranch_vccz .LBB119_2152
.LBB119_2195:
	s_trap 2
	s_or_b64 s[4:5], s[4:5], exec
	s_cbranch_execz .LBB119_2153
	s_branch .LBB119_2154
.LBB119_2196:
	s_mov_b64 s[0:1], -1
                                        ; implicit-def: $vgpr4_vgpr5
.LBB119_2197:
	s_andn2_b64 vcc, exec, s[0:1]
	s_cbranch_vccnz .LBB119_2199
; %bb.2198:
	global_load_dword v4, v[22:23], off
	s_waitcnt vmcnt(0)
	v_cvt_f64_f32_e32 v[4:5], v4
.LBB119_2199:
	s_mov_b64 s[0:1], 0
.LBB119_2200:
	s_andn2_b64 vcc, exec, s[0:1]
	s_cbranch_vccnz .LBB119_2202
; %bb.2201:
	global_load_ushort v4, v[22:23], off
	s_waitcnt vmcnt(0)
	v_cvt_f32_f16_e32 v4, v4
	v_cvt_f64_f32_e32 v[4:5], v4
.LBB119_2202:
	s_waitcnt vmcnt(0)
	v_mov_b32_e32 v6, 0
	v_mov_b32_e32 v7, 0
.LBB119_2203:
	s_mov_b64 s[0:1], 0
.LBB119_2204:
	s_andn2_b64 vcc, exec, s[0:1]
	s_cbranch_vccnz .LBB119_2225
; %bb.2205:
	s_cmp_lt_i32 s20, 2
	s_cbranch_scc1 .LBB119_2209
; %bb.2206:
	s_cmp_lt_i32 s20, 3
	s_cbranch_scc1 .LBB119_2210
; %bb.2207:
	s_cmp_gt_i32 s20, 3
	s_cbranch_scc0 .LBB119_2211
; %bb.2208:
	global_load_dwordx2 v[4:5], v[22:23], off
	s_mov_b64 s[0:1], 0
	s_waitcnt vmcnt(0)
	v_cvt_f64_i32_e32 v[5:6], v5
	v_cvt_f64_u32_e32 v[24:25], v4
	v_ldexp_f64 v[5:6], v[5:6], 32
	v_add_f64 v[4:5], v[5:6], v[24:25]
	s_branch .LBB119_2212
.LBB119_2209:
	s_mov_b64 s[0:1], -1
                                        ; implicit-def: $vgpr4_vgpr5
	s_branch .LBB119_2218
.LBB119_2210:
	s_mov_b64 s[0:1], -1
                                        ; implicit-def: $vgpr4_vgpr5
	s_branch .LBB119_2215
.LBB119_2211:
	s_mov_b64 s[0:1], -1
                                        ; implicit-def: $vgpr4_vgpr5
.LBB119_2212:
	s_andn2_b64 vcc, exec, s[0:1]
	s_cbranch_vccnz .LBB119_2214
; %bb.2213:
	global_load_dword v4, v[22:23], off
	s_waitcnt vmcnt(0)
	v_cvt_f64_i32_e32 v[4:5], v4
.LBB119_2214:
	s_mov_b64 s[0:1], 0
.LBB119_2215:
	s_andn2_b64 vcc, exec, s[0:1]
	s_cbranch_vccnz .LBB119_2217
; %bb.2216:
	global_load_sshort v4, v[22:23], off
	s_waitcnt vmcnt(0)
	v_cvt_f64_i32_e32 v[4:5], v4
.LBB119_2217:
	s_mov_b64 s[0:1], 0
.LBB119_2218:
	s_andn2_b64 vcc, exec, s[0:1]
	s_cbranch_vccnz .LBB119_2224
; %bb.2219:
	s_cmp_gt_i32 s20, 0
	s_cbranch_scc0 .LBB119_2221
; %bb.2220:
	global_load_sbyte v4, v[22:23], off
	s_mov_b64 s[0:1], 0
	s_waitcnt vmcnt(0)
	v_cvt_f64_i32_e32 v[4:5], v4
	s_branch .LBB119_2222
.LBB119_2221:
	s_mov_b64 s[0:1], -1
                                        ; implicit-def: $vgpr4_vgpr5
.LBB119_2222:
	s_andn2_b64 vcc, exec, s[0:1]
	s_cbranch_vccnz .LBB119_2224
; %bb.2223:
	global_load_ubyte v4, v[22:23], off
	s_waitcnt vmcnt(0)
	v_cvt_f64_u32_e32 v[4:5], v4
.LBB119_2224:
	s_waitcnt vmcnt(0)
	v_mov_b32_e32 v6, 0
	v_mov_b32_e32 v7, 0
.LBB119_2225:
	s_mov_b64 s[22:23], -1
.LBB119_2226:
	s_andn2_b64 vcc, exec, s[22:23]
	s_cbranch_vccnz .LBB119_2781
; %bb.2227:
	s_and_b64 vcc, exec, s[18:19]
	s_cbranch_vccz .LBB119_2229
; %bb.2228:
	s_waitcnt vmcnt(0)
	v_cmp_neq_f64_e32 vcc, v[0:1], v[4:5]
	v_cmp_neq_f64_e64 s[0:1], v[2:3], v[6:7]
	s_or_b64 s[20:21], vcc, s[0:1]
	s_mov_b64 s[0:1], 0
	s_branch .LBB119_2230
.LBB119_2229:
	s_mov_b64 s[0:1], -1
                                        ; implicit-def: $sgpr20_sgpr21
.LBB119_2230:
	s_andn2_b64 vcc, exec, s[0:1]
	s_cbranch_vccnz .LBB119_2232
; %bb.2231:
	s_waitcnt vmcnt(0)
	v_cmp_eq_f64_e32 vcc, v[0:1], v[4:5]
	v_cmp_eq_f64_e64 s[0:1], v[2:3], v[6:7]
	s_andn2_b64 s[20:21], s[20:21], exec
	s_and_b64 s[0:1], vcc, s[0:1]
	s_and_b64 s[0:1], s[0:1], exec
	s_or_b64 s[20:21], s[20:21], s[0:1]
.LBB119_2232:
	s_waitcnt vmcnt(0)
	v_mov_b32_e32 v0, s11
	v_add_co_u32_e32 v4, vcc, s10, v21
	s_cmp_lt_i32 s30, 11
	v_addc_co_u32_e32 v5, vcc, 0, v0, vcc
	s_cbranch_scc1 .LBB119_2239
; %bb.2233:
	s_and_b32 s33, 0xffff, s30
	s_cmp_gt_i32 s33, 25
	s_mov_b64 s[22:23], 0
	s_cbranch_scc0 .LBB119_2240
; %bb.2234:
	s_cmp_gt_i32 s33, 28
	s_cbranch_scc0 .LBB119_2241
; %bb.2235:
	s_cmp_gt_i32 s33, 43
	;; [unrolled: 3-line block ×3, first 2 shown]
	s_cbranch_scc0 .LBB119_2243
; %bb.2237:
	s_cmp_eq_u32 s33, 46
	s_mov_b64 s[26:27], 0
	s_cbranch_scc0 .LBB119_2244
; %bb.2238:
	global_load_dword v0, v[4:5], off
	s_mov_b64 s[0:1], 0
	s_mov_b64 s[24:25], -1
	s_waitcnt vmcnt(0)
	v_and_b32_e32 v2, 0xffff0000, v0
	v_lshlrev_b32_e32 v0, 16, v0
	v_cvt_f64_f32_e32 v[0:1], v0
	v_cvt_f64_f32_e32 v[2:3], v2
	s_branch .LBB119_2245
.LBB119_2239:
	s_mov_b64 s[0:1], -1
	s_mov_b64 s[24:25], 0
                                        ; implicit-def: $vgpr2_vgpr3
	s_branch .LBB119_2295
.LBB119_2240:
	s_mov_b64 s[26:27], -1
	s_mov_b64 s[24:25], 0
	s_mov_b64 s[0:1], 0
                                        ; implicit-def: $vgpr2_vgpr3
	s_branch .LBB119_2278
.LBB119_2241:
	s_mov_b64 s[26:27], -1
	s_mov_b64 s[24:25], 0
	s_mov_b64 s[0:1], 0
                                        ; implicit-def: $vgpr2_vgpr3
	s_branch .LBB119_2257
.LBB119_2242:
	s_mov_b64 s[26:27], -1
	s_mov_b64 s[24:25], 0
	s_mov_b64 s[0:1], 0
                                        ; implicit-def: $vgpr2_vgpr3
	s_branch .LBB119_2251
.LBB119_2243:
	s_mov_b64 s[26:27], -1
	s_mov_b64 s[24:25], 0
	s_mov_b64 s[0:1], 0
                                        ; implicit-def: $vgpr2_vgpr3
	s_branch .LBB119_2245
.LBB119_2244:
	s_mov_b64 s[0:1], -1
                                        ; implicit-def: $vgpr2_vgpr3
	s_mov_b64 s[24:25], 0
.LBB119_2245:
	s_and_b64 vcc, exec, s[26:27]
	s_cbranch_vccz .LBB119_2250
; %bb.2246:
	s_cmp_eq_u32 s33, 44
	s_cbranch_scc0 .LBB119_2248
; %bb.2247:
	global_load_ubyte v2, v[4:5], off
	s_movk_i32 s24, 0xff
	v_bfrev_b32_e32 v3, 4
	v_mov_b32_e32 v6, 0x7ff80000
	v_bfrev_b32_e32 v7, 28
	s_mov_b64 s[0:1], 0
	s_waitcnt vmcnt(0)
	v_lshlrev_b32_e32 v0, 23, v2
	v_cvt_f64_f32_e32 v[0:1], v0
	v_cmp_ne_u32_e32 vcc, s24, v2
	s_mov_b64 s[24:25], -1
	v_cndmask_b32_e32 v0, v3, v0, vcc
	v_cndmask_b32_e32 v1, v6, v1, vcc
	v_cmp_ne_u32_e32 vcc, 0, v2
	v_cndmask_b32_e32 v1, v7, v1, vcc
	v_cndmask_b32_e32 v0, 0, v0, vcc
	s_branch .LBB119_2249
.LBB119_2248:
	s_mov_b64 s[0:1], -1
                                        ; implicit-def: $vgpr0_vgpr1
.LBB119_2249:
	v_mov_b32_e32 v2, 0
	v_mov_b32_e32 v3, 0
.LBB119_2250:
	s_mov_b64 s[26:27], 0
.LBB119_2251:
	s_and_b64 vcc, exec, s[26:27]
	s_cbranch_vccz .LBB119_2256
; %bb.2252:
	s_cmp_eq_u32 s33, 29
	s_cbranch_scc0 .LBB119_2254
; %bb.2253:
	global_load_dwordx2 v[0:1], v[4:5], off
	s_mov_b64 s[0:1], 0
	s_mov_b64 s[24:25], -1
	s_waitcnt vmcnt(0)
	v_cvt_f64_u32_e32 v[1:2], v1
	v_cvt_f64_u32_e32 v[6:7], v0
	v_ldexp_f64 v[1:2], v[1:2], 32
	v_add_f64 v[0:1], v[1:2], v[6:7]
	s_branch .LBB119_2255
.LBB119_2254:
	s_mov_b64 s[0:1], -1
                                        ; implicit-def: $vgpr0_vgpr1
.LBB119_2255:
	v_mov_b32_e32 v2, 0
	v_mov_b32_e32 v3, 0
.LBB119_2256:
	s_mov_b64 s[26:27], 0
.LBB119_2257:
	s_and_b64 vcc, exec, s[26:27]
	s_cbranch_vccz .LBB119_2277
; %bb.2258:
	s_cmp_lt_i32 s33, 27
	s_cbranch_scc1 .LBB119_2261
; %bb.2259:
	s_cmp_gt_i32 s33, 27
	s_cbranch_scc0 .LBB119_2262
; %bb.2260:
	global_load_dword v0, v[4:5], off
	s_mov_b64 s[24:25], 0
	s_waitcnt vmcnt(0)
	v_cvt_f64_u32_e32 v[0:1], v0
	s_branch .LBB119_2263
.LBB119_2261:
	s_mov_b64 s[24:25], -1
                                        ; implicit-def: $vgpr0_vgpr1
	s_branch .LBB119_2266
.LBB119_2262:
	s_mov_b64 s[24:25], -1
                                        ; implicit-def: $vgpr0_vgpr1
.LBB119_2263:
	s_andn2_b64 vcc, exec, s[24:25]
	s_cbranch_vccnz .LBB119_2265
; %bb.2264:
	global_load_ushort v0, v[4:5], off
	s_waitcnt vmcnt(0)
	v_cvt_f64_u32_e32 v[0:1], v0
.LBB119_2265:
	s_mov_b64 s[24:25], 0
.LBB119_2266:
	s_andn2_b64 vcc, exec, s[24:25]
	s_cbranch_vccnz .LBB119_2276
; %bb.2267:
	global_load_ubyte v2, v[4:5], off
	s_movk_i32 s24, 0x7f
	s_waitcnt vmcnt(0)
	v_cmp_lt_i16_e32 vcc, s24, v2
	s_mov_b64 s[24:25], 0
	s_and_saveexec_b64 s[26:27], vcc
	s_xor_b64 s[26:27], exec, s[26:27]
	s_cbranch_execz .LBB119_2271
; %bb.2268:
	s_movk_i32 s24, 0x80
	v_cmp_eq_u16_e32 vcc, s24, v2
	s_mov_b64 s[24:25], -1
	s_and_saveexec_b64 s[28:29], vcc
; %bb.2269:
	s_xor_b64 s[24:25], exec, -1
; %bb.2270:
	s_or_b64 exec, exec, s[28:29]
	s_and_b64 s[24:25], s[24:25], exec
.LBB119_2271:
	s_or_saveexec_b64 s[26:27], s[26:27]
	v_bfrev_b32_e32 v0, 4
	v_mov_b32_e32 v1, 0x7ff80000
	s_xor_b64 exec, exec, s[26:27]
; %bb.2272:
	v_cmp_ne_u16_e32 vcc, 0, v2
	v_mov_b32_e32 v0, 0
	s_andn2_b64 s[24:25], s[24:25], exec
	s_and_b64 s[28:29], vcc, exec
	v_mov_b32_e32 v1, 0
	s_or_b64 s[24:25], s[24:25], s[28:29]
; %bb.2273:
	s_or_b64 exec, exec, s[26:27]
	s_and_saveexec_b64 s[26:27], s[24:25]
	s_cbranch_execz .LBB119_2275
; %bb.2274:
	v_and_b32_e32 v1, 0xffff, v2
	v_lshlrev_b32_e32 v0, 24, v2
	v_and_b32_e32 v2, 7, v1
	v_ffbh_u32_e32 v6, v2
	v_min_u32_e32 v6, 32, v6
	v_subrev_u32_e32 v7, 28, v6
	v_bfe_u32 v3, v1, 3, 4
	v_lshlrev_b32_e32 v1, v7, v1
	v_sub_u32_e32 v6, 29, v6
	v_and_b32_e32 v1, 7, v1
	v_cmp_eq_u32_e32 vcc, 0, v3
	v_cndmask_b32_e32 v3, v3, v6, vcc
	v_cndmask_b32_e32 v1, v2, v1, vcc
	v_mov_b32_e32 v2, 0x3b800000
	v_lshlrev_b32_e32 v1, 20, v1
	v_and_b32_e32 v0, 0x80000000, v0
	v_lshl_add_u32 v2, v3, 23, v2
	v_or3_b32 v0, v0, v2, v1
	v_cvt_f64_f32_e32 v[0:1], v0
.LBB119_2275:
	s_or_b64 exec, exec, s[26:27]
.LBB119_2276:
	v_mov_b32_e32 v2, 0
	v_mov_b32_e32 v3, 0
	s_mov_b64 s[24:25], -1
.LBB119_2277:
	s_mov_b64 s[26:27], 0
.LBB119_2278:
	s_and_b64 vcc, exec, s[26:27]
	s_cbranch_vccz .LBB119_2291
; %bb.2279:
	s_cmp_gt_i32 s33, 22
	s_cbranch_scc0 .LBB119_2302
; %bb.2280:
	s_cmp_lt_i32 s33, 24
	s_cbranch_scc1 .LBB119_2304
; %bb.2281:
	s_cmp_gt_i32 s33, 24
	s_cbranch_scc0 .LBB119_2306
; %bb.2282:
	global_load_ubyte v2, v[4:5], off
	s_movk_i32 s22, 0x7f
	s_waitcnt vmcnt(0)
	v_cmp_lt_i16_e32 vcc, s22, v2
	s_mov_b64 s[22:23], 0
	s_and_saveexec_b64 s[24:25], vcc
	s_xor_b64 s[24:25], exec, s[24:25]
	s_cbranch_execz .LBB119_2286
; %bb.2283:
	s_movk_i32 s22, 0x80
	v_cmp_eq_u16_e32 vcc, s22, v2
	s_mov_b64 s[22:23], -1
	s_and_saveexec_b64 s[26:27], vcc
; %bb.2284:
	s_xor_b64 s[22:23], exec, -1
; %bb.2285:
	s_or_b64 exec, exec, s[26:27]
	s_and_b64 s[22:23], s[22:23], exec
.LBB119_2286:
	s_or_saveexec_b64 s[24:25], s[24:25]
	v_bfrev_b32_e32 v0, 4
	v_mov_b32_e32 v1, 0x7ff80000
	s_xor_b64 exec, exec, s[24:25]
; %bb.2287:
	v_cmp_ne_u16_e32 vcc, 0, v2
	v_mov_b32_e32 v0, 0
	s_andn2_b64 s[22:23], s[22:23], exec
	s_and_b64 s[26:27], vcc, exec
	v_mov_b32_e32 v1, 0
	s_or_b64 s[22:23], s[22:23], s[26:27]
; %bb.2288:
	s_or_b64 exec, exec, s[24:25]
	s_and_saveexec_b64 s[24:25], s[22:23]
	s_cbranch_execz .LBB119_2290
; %bb.2289:
	v_and_b32_e32 v1, 0xffff, v2
	v_lshlrev_b32_e32 v0, 24, v2
	v_and_b32_e32 v2, 3, v1
	v_ffbh_u32_e32 v6, v2
	v_min_u32_e32 v6, 32, v6
	v_subrev_u32_e32 v7, 29, v6
	v_bfe_u32 v3, v1, 2, 5
	v_lshlrev_b32_e32 v1, v7, v1
	v_sub_u32_e32 v6, 30, v6
	v_and_b32_e32 v1, 3, v1
	v_cmp_eq_u32_e32 vcc, 0, v3
	v_cndmask_b32_e32 v3, v3, v6, vcc
	v_cndmask_b32_e32 v1, v2, v1, vcc
	v_mov_b32_e32 v2, 0x37800000
	v_lshlrev_b32_e32 v1, 21, v1
	v_and_b32_e32 v0, 0x80000000, v0
	v_lshl_add_u32 v2, v3, 23, v2
	v_or3_b32 v0, v0, v2, v1
	v_cvt_f64_f32_e32 v[0:1], v0
.LBB119_2290:
	s_or_b64 exec, exec, s[24:25]
	s_mov_b64 s[22:23], 0
	s_branch .LBB119_2307
.LBB119_2291:
	s_and_b64 vcc, exec, s[0:1]
	s_cbranch_vccnz .LBB119_2335
.LBB119_2292:
	s_andn2_b64 vcc, exec, s[22:23]
	s_cbranch_vccnz .LBB119_2294
.LBB119_2293:
	global_load_ubyte v1, v[4:5], off
	v_mov_b32_e32 v6, 0x3ff00000
	v_mov_b32_e32 v2, 0
	;; [unrolled: 1-line block ×4, first 2 shown]
	s_mov_b64 s[24:25], -1
	s_waitcnt vmcnt(0)
	v_cmp_ne_u16_e32 vcc, 0, v1
	v_cndmask_b32_e32 v1, 0, v6, vcc
.LBB119_2294:
	s_mov_b64 s[0:1], 0
.LBB119_2295:
	s_and_b64 vcc, exec, s[0:1]
	s_cbranch_vccz .LBB119_2366
; %bb.2296:
	s_and_b32 s22, 0xffff, s30
	s_cmp_lt_i32 s22, 5
	s_cbranch_scc1 .LBB119_2301
; %bb.2297:
	s_cmp_lt_i32 s22, 8
	s_cbranch_scc1 .LBB119_2303
; %bb.2298:
	s_cmp_lt_i32 s22, 9
	s_cbranch_scc1 .LBB119_2305
; %bb.2299:
	s_cmp_gt_i32 s22, 9
	s_cbranch_scc0 .LBB119_2318
; %bb.2300:
	global_load_dwordx4 v[0:3], v[4:5], off
	s_mov_b64 s[0:1], 0
	s_branch .LBB119_2319
.LBB119_2301:
	s_mov_b64 s[0:1], -1
                                        ; implicit-def: $vgpr2_vgpr3
	s_branch .LBB119_2344
.LBB119_2302:
	s_mov_b64 s[22:23], -1
                                        ; implicit-def: $vgpr0_vgpr1
	s_branch .LBB119_2313
.LBB119_2303:
	s_mov_b64 s[0:1], -1
                                        ; implicit-def: $vgpr2_vgpr3
	s_branch .LBB119_2325
.LBB119_2304:
	s_mov_b64 s[22:23], -1
                                        ; implicit-def: $vgpr0_vgpr1
	s_branch .LBB119_2310
.LBB119_2305:
	s_mov_b64 s[0:1], -1
                                        ; implicit-def: $vgpr2_vgpr3
	s_branch .LBB119_2322
.LBB119_2306:
	s_mov_b64 s[22:23], -1
                                        ; implicit-def: $vgpr0_vgpr1
.LBB119_2307:
	s_and_b64 vcc, exec, s[22:23]
	s_cbranch_vccz .LBB119_2309
; %bb.2308:
	global_load_ubyte v0, v[4:5], off
	s_mov_b32 s22, 0x7f800000
	s_waitcnt vmcnt(0)
	v_lshlrev_b32_e32 v0, 24, v0
	v_and_b32_e32 v1, 0x7f000000, v0
	v_ffbh_u32_e32 v2, v1
	v_min_u32_e32 v2, 32, v2
	v_sub_u32_e64 v2, v2, 4 clamp
	v_lshlrev_b32_e32 v6, v2, v1
	v_lshlrev_b32_e32 v2, 23, v2
	v_lshrrev_b32_e32 v6, 4, v6
	v_add_u32_e32 v3, 0x1000000, v1
	v_sub_u32_e32 v2, v6, v2
	v_ashrrev_i32_e32 v3, 8, v3
	v_add_u32_e32 v2, 0x3c000000, v2
	v_and_or_b32 v2, v3, s22, v2
	v_cmp_ne_u32_e32 vcc, 0, v1
	v_cndmask_b32_e32 v1, 0, v2, vcc
	s_brev_b32 s22, 1
	v_and_or_b32 v0, v0, s22, v1
	v_cvt_f64_f32_e32 v[0:1], v0
.LBB119_2309:
	s_mov_b64 s[22:23], 0
.LBB119_2310:
	s_andn2_b64 vcc, exec, s[22:23]
	s_cbranch_vccnz .LBB119_2312
; %bb.2311:
	global_load_ubyte v0, v[4:5], off
	s_movk_i32 s22, 0x7f00
	s_brev_b32 s23, 16
	s_waitcnt vmcnt(0)
	v_lshlrev_b16_e32 v1, 8, v0
	v_lshlrev_b32_e32 v0, 25, v0
	v_lshrrev_b32_e32 v2, 4, v0
	v_and_or_b32 v3, v1, s22, 0.5
	v_or_b32_e32 v2, 0x70000000, v2
	v_add_f32_e32 v3, -0.5, v3
	v_mul_f32_e32 v2, 0x7800000, v2
	v_cmp_gt_u32_e32 vcc, s23, v0
	v_bfe_i32 v1, v1, 0, 16
	v_cndmask_b32_e32 v0, v2, v3, vcc
	s_brev_b32 s22, 1
	v_and_or_b32 v0, v1, s22, v0
	v_cvt_f64_f32_e32 v[0:1], v0
.LBB119_2312:
	s_mov_b64 s[22:23], 0
	s_mov_b64 s[24:25], -1
.LBB119_2313:
	s_andn2_b64 vcc, exec, s[22:23]
	s_mov_b64 s[22:23], 0
	s_cbranch_vccnz .LBB119_2334
; %bb.2314:
	s_cmp_gt_i32 s33, 14
	s_cbranch_scc0 .LBB119_2317
; %bb.2315:
	s_cmp_eq_u32 s33, 15
	s_cbranch_scc0 .LBB119_2330
; %bb.2316:
	global_load_ushort v0, v[4:5], off
	s_mov_b64 s[0:1], 0
	s_mov_b64 s[24:25], -1
	s_waitcnt vmcnt(0)
	v_lshlrev_b32_e32 v0, 16, v0
	v_cvt_f64_f32_e32 v[0:1], v0
	s_branch .LBB119_2331
.LBB119_2317:
	s_mov_b64 s[26:27], -1
                                        ; implicit-def: $vgpr0_vgpr1
	s_branch .LBB119_2332
.LBB119_2318:
	s_mov_b64 s[0:1], -1
                                        ; implicit-def: $vgpr2_vgpr3
.LBB119_2319:
	s_andn2_b64 vcc, exec, s[0:1]
	s_cbranch_vccnz .LBB119_2321
; %bb.2320:
	global_load_dwordx2 v[1:2], v[4:5], off
	s_waitcnt vmcnt(0)
	v_cvt_f64_f32_e32 v[0:1], v1
	v_cvt_f64_f32_e32 v[2:3], v2
.LBB119_2321:
	s_mov_b64 s[0:1], 0
.LBB119_2322:
	s_andn2_b64 vcc, exec, s[0:1]
	s_cbranch_vccnz .LBB119_2324
; %bb.2323:
	global_load_dword v0, v[4:5], off
	s_waitcnt vmcnt(0)
	v_cvt_f32_f16_e32 v1, v0
	v_cvt_f32_f16_sdwa v2, v0 dst_sel:DWORD dst_unused:UNUSED_PAD src0_sel:WORD_1
	v_cvt_f64_f32_e32 v[0:1], v1
	v_cvt_f64_f32_e32 v[2:3], v2
.LBB119_2324:
	s_mov_b64 s[0:1], 0
.LBB119_2325:
	s_andn2_b64 vcc, exec, s[0:1]
	s_cbranch_vccnz .LBB119_2343
; %bb.2326:
	s_cmp_lt_i32 s22, 6
	s_cbranch_scc1 .LBB119_2329
; %bb.2327:
	s_cmp_gt_i32 s22, 6
	s_cbranch_scc0 .LBB119_2336
; %bb.2328:
	global_load_dwordx2 v[0:1], v[4:5], off
	s_mov_b64 s[0:1], 0
	s_branch .LBB119_2337
.LBB119_2329:
	s_mov_b64 s[0:1], -1
                                        ; implicit-def: $vgpr0_vgpr1
	s_branch .LBB119_2340
.LBB119_2330:
	s_mov_b64 s[0:1], -1
                                        ; implicit-def: $vgpr0_vgpr1
.LBB119_2331:
	s_mov_b64 s[26:27], 0
.LBB119_2332:
	s_and_b64 vcc, exec, s[26:27]
	s_cbranch_vccz .LBB119_2334
; %bb.2333:
	s_cmp_lg_u32 s33, 11
	s_mov_b64 s[22:23], -1
	s_cselect_b64 s[0:1], -1, 0
.LBB119_2334:
	v_mov_b32_e32 v2, 0
	v_mov_b32_e32 v3, 0
	s_and_b64 vcc, exec, s[0:1]
	s_cbranch_vccz .LBB119_2292
.LBB119_2335:
	s_trap 2
	s_or_b64 s[4:5], s[4:5], exec
	s_cbranch_execz .LBB119_2293
	s_branch .LBB119_2294
.LBB119_2336:
	s_mov_b64 s[0:1], -1
                                        ; implicit-def: $vgpr0_vgpr1
.LBB119_2337:
	s_andn2_b64 vcc, exec, s[0:1]
	s_cbranch_vccnz .LBB119_2339
; %bb.2338:
	global_load_dword v0, v[4:5], off
	s_waitcnt vmcnt(0)
	v_cvt_f64_f32_e32 v[0:1], v0
.LBB119_2339:
	s_mov_b64 s[0:1], 0
.LBB119_2340:
	s_andn2_b64 vcc, exec, s[0:1]
	s_cbranch_vccnz .LBB119_2342
; %bb.2341:
	global_load_ushort v0, v[4:5], off
	s_waitcnt vmcnt(0)
	v_cvt_f32_f16_e32 v0, v0
	v_cvt_f64_f32_e32 v[0:1], v0
.LBB119_2342:
	s_waitcnt vmcnt(0)
	v_mov_b32_e32 v2, 0
	v_mov_b32_e32 v3, 0
.LBB119_2343:
	s_mov_b64 s[0:1], 0
.LBB119_2344:
	s_andn2_b64 vcc, exec, s[0:1]
	s_cbranch_vccnz .LBB119_2365
; %bb.2345:
	s_cmp_lt_i32 s22, 2
	s_cbranch_scc1 .LBB119_2349
; %bb.2346:
	s_cmp_lt_i32 s22, 3
	s_cbranch_scc1 .LBB119_2350
; %bb.2347:
	s_cmp_gt_i32 s22, 3
	s_cbranch_scc0 .LBB119_2351
; %bb.2348:
	global_load_dwordx2 v[0:1], v[4:5], off
	s_mov_b64 s[0:1], 0
	s_waitcnt vmcnt(0)
	v_cvt_f64_i32_e32 v[1:2], v1
	v_cvt_f64_u32_e32 v[6:7], v0
	v_ldexp_f64 v[1:2], v[1:2], 32
	v_add_f64 v[0:1], v[1:2], v[6:7]
	s_branch .LBB119_2352
.LBB119_2349:
	s_mov_b64 s[0:1], -1
                                        ; implicit-def: $vgpr0_vgpr1
	s_branch .LBB119_2358
.LBB119_2350:
	s_mov_b64 s[0:1], -1
                                        ; implicit-def: $vgpr0_vgpr1
	s_branch .LBB119_2355
.LBB119_2351:
	s_mov_b64 s[0:1], -1
                                        ; implicit-def: $vgpr0_vgpr1
.LBB119_2352:
	s_andn2_b64 vcc, exec, s[0:1]
	s_cbranch_vccnz .LBB119_2354
; %bb.2353:
	global_load_dword v0, v[4:5], off
	s_waitcnt vmcnt(0)
	v_cvt_f64_i32_e32 v[0:1], v0
.LBB119_2354:
	s_mov_b64 s[0:1], 0
.LBB119_2355:
	s_andn2_b64 vcc, exec, s[0:1]
	s_cbranch_vccnz .LBB119_2357
; %bb.2356:
	global_load_sshort v0, v[4:5], off
	s_waitcnt vmcnt(0)
	v_cvt_f64_i32_e32 v[0:1], v0
.LBB119_2357:
	s_mov_b64 s[0:1], 0
.LBB119_2358:
	s_andn2_b64 vcc, exec, s[0:1]
	s_cbranch_vccnz .LBB119_2364
; %bb.2359:
	s_cmp_gt_i32 s22, 0
	s_cbranch_scc0 .LBB119_2361
; %bb.2360:
	global_load_sbyte v0, v[4:5], off
	s_mov_b64 s[0:1], 0
	s_waitcnt vmcnt(0)
	v_cvt_f64_i32_e32 v[0:1], v0
	s_branch .LBB119_2362
.LBB119_2361:
	s_mov_b64 s[0:1], -1
                                        ; implicit-def: $vgpr0_vgpr1
.LBB119_2362:
	s_andn2_b64 vcc, exec, s[0:1]
	s_cbranch_vccnz .LBB119_2364
; %bb.2363:
	global_load_ubyte v0, v[4:5], off
	s_waitcnt vmcnt(0)
	v_cvt_f64_u32_e32 v[0:1], v0
.LBB119_2364:
	s_waitcnt vmcnt(0)
	v_mov_b32_e32 v2, 0
	v_mov_b32_e32 v3, 0
.LBB119_2365:
	s_mov_b64 s[24:25], -1
.LBB119_2366:
	s_andn2_b64 vcc, exec, s[24:25]
	s_cbranch_vccnz .LBB119_2781
; %bb.2367:
	v_mov_b32_e32 v4, s17
	v_add_co_u32_e32 v18, vcc, s16, v19
	s_cmp_lt_i32 s31, 11
	v_addc_co_u32_e32 v19, vcc, 0, v4, vcc
	s_cbranch_scc1 .LBB119_2374
; %bb.2368:
	s_and_b32 s33, 0xffff, s31
	s_cmp_gt_i32 s33, 25
	s_mov_b64 s[22:23], 0
	s_cbranch_scc0 .LBB119_2375
; %bb.2369:
	s_cmp_gt_i32 s33, 28
	s_cbranch_scc0 .LBB119_2376
; %bb.2370:
	s_cmp_gt_i32 s33, 43
	;; [unrolled: 3-line block ×3, first 2 shown]
	s_cbranch_scc0 .LBB119_2378
; %bb.2372:
	s_cmp_eq_u32 s33, 46
	s_mov_b64 s[26:27], 0
	s_cbranch_scc0 .LBB119_2381
; %bb.2373:
	global_load_dword v4, v[18:19], off
	s_mov_b64 s[0:1], 0
	s_mov_b64 s[24:25], -1
	s_waitcnt vmcnt(0)
	v_and_b32_e32 v6, 0xffff0000, v4
	v_lshlrev_b32_e32 v4, 16, v4
	v_cvt_f64_f32_e32 v[4:5], v4
	v_cvt_f64_f32_e32 v[6:7], v6
	s_branch .LBB119_2382
.LBB119_2374:
	s_mov_b64 s[0:1], -1
	s_mov_b64 s[24:25], 0
                                        ; implicit-def: $vgpr6_vgpr7
	s_branch .LBB119_2432
.LBB119_2375:
	s_mov_b64 s[26:27], -1
	s_mov_b64 s[24:25], 0
	s_mov_b64 s[0:1], 0
                                        ; implicit-def: $vgpr6_vgpr7
	s_branch .LBB119_2415
.LBB119_2376:
	s_mov_b64 s[26:27], -1
	s_mov_b64 s[24:25], 0
	s_mov_b64 s[0:1], 0
                                        ; implicit-def: $vgpr6_vgpr7
	s_branch .LBB119_2394
.LBB119_2377:
	s_mov_b64 s[26:27], -1
	s_mov_b64 s[24:25], 0
	s_mov_b64 s[0:1], 0
                                        ; implicit-def: $vgpr6_vgpr7
	s_branch .LBB119_2388
.LBB119_2378:
	s_mov_b64 s[26:27], -1
	s_mov_b64 s[24:25], 0
	s_mov_b64 s[0:1], 0
                                        ; implicit-def: $vgpr6_vgpr7
	s_branch .LBB119_2382
.LBB119_2379:
	s_andn2_saveexec_b64 s[68:69], s[68:69]
	s_cbranch_execz .LBB119_1162
.LBB119_2380:
	v_add_f32_e32 v2, 0x42800000, v3
	v_and_b32_e32 v2, 0xff, v2
	v_cmp_ne_u32_e32 vcc, 0, v2
	s_andn2_b64 s[66:67], s[66:67], exec
	s_and_b64 s[76:77], vcc, exec
	s_or_b64 s[66:67], s[66:67], s[76:77]
	s_or_b64 exec, exec, s[68:69]
	v_mov_b32_e32 v4, 0
	s_and_saveexec_b64 s[68:69], s[66:67]
	s_cbranch_execnz .LBB119_1163
	s_branch .LBB119_1164
.LBB119_2381:
	s_mov_b64 s[0:1], -1
                                        ; implicit-def: $vgpr6_vgpr7
	s_mov_b64 s[24:25], 0
.LBB119_2382:
	s_and_b64 vcc, exec, s[26:27]
	s_cbranch_vccz .LBB119_2387
; %bb.2383:
	s_cmp_eq_u32 s33, 44
	s_cbranch_scc0 .LBB119_2385
; %bb.2384:
	global_load_ubyte v6, v[18:19], off
	s_movk_i32 s24, 0xff
	v_bfrev_b32_e32 v7, 4
	v_mov_b32_e32 v9, 0x7ff80000
	v_bfrev_b32_e32 v11, 28
	s_mov_b64 s[0:1], 0
	s_waitcnt vmcnt(0)
	v_lshlrev_b32_e32 v4, 23, v6
	v_cvt_f64_f32_e32 v[4:5], v4
	v_cmp_ne_u32_e32 vcc, s24, v6
	s_mov_b64 s[24:25], -1
	v_cndmask_b32_e32 v4, v7, v4, vcc
	v_cndmask_b32_e32 v5, v9, v5, vcc
	v_cmp_ne_u32_e32 vcc, 0, v6
	v_cndmask_b32_e32 v5, v11, v5, vcc
	v_cndmask_b32_e32 v4, 0, v4, vcc
	s_branch .LBB119_2386
.LBB119_2385:
	s_mov_b64 s[0:1], -1
                                        ; implicit-def: $vgpr4_vgpr5
.LBB119_2386:
	v_mov_b32_e32 v6, 0
	v_mov_b32_e32 v7, 0
.LBB119_2387:
	s_mov_b64 s[26:27], 0
.LBB119_2388:
	s_and_b64 vcc, exec, s[26:27]
	s_cbranch_vccz .LBB119_2393
; %bb.2389:
	s_cmp_eq_u32 s33, 29
	s_cbranch_scc0 .LBB119_2391
; %bb.2390:
	global_load_dwordx2 v[4:5], v[18:19], off
	s_mov_b64 s[0:1], 0
	s_mov_b64 s[24:25], -1
	s_waitcnt vmcnt(0)
	v_cvt_f64_u32_e32 v[5:6], v5
	v_cvt_f64_u32_e32 v[20:21], v4
	v_ldexp_f64 v[5:6], v[5:6], 32
	v_add_f64 v[4:5], v[5:6], v[20:21]
	s_branch .LBB119_2392
.LBB119_2391:
	s_mov_b64 s[0:1], -1
                                        ; implicit-def: $vgpr4_vgpr5
.LBB119_2392:
	v_mov_b32_e32 v6, 0
	v_mov_b32_e32 v7, 0
.LBB119_2393:
	s_mov_b64 s[26:27], 0
.LBB119_2394:
	s_and_b64 vcc, exec, s[26:27]
	s_cbranch_vccz .LBB119_2414
; %bb.2395:
	s_cmp_lt_i32 s33, 27
	s_cbranch_scc1 .LBB119_2398
; %bb.2396:
	s_cmp_gt_i32 s33, 27
	s_cbranch_scc0 .LBB119_2399
; %bb.2397:
	global_load_dword v4, v[18:19], off
	s_mov_b64 s[24:25], 0
	s_waitcnt vmcnt(0)
	v_cvt_f64_u32_e32 v[4:5], v4
	s_branch .LBB119_2400
.LBB119_2398:
	s_mov_b64 s[24:25], -1
                                        ; implicit-def: $vgpr4_vgpr5
	s_branch .LBB119_2403
.LBB119_2399:
	s_mov_b64 s[24:25], -1
                                        ; implicit-def: $vgpr4_vgpr5
.LBB119_2400:
	s_andn2_b64 vcc, exec, s[24:25]
	s_cbranch_vccnz .LBB119_2402
; %bb.2401:
	global_load_ushort v4, v[18:19], off
	s_waitcnt vmcnt(0)
	v_cvt_f64_u32_e32 v[4:5], v4
.LBB119_2402:
	s_mov_b64 s[24:25], 0
.LBB119_2403:
	s_andn2_b64 vcc, exec, s[24:25]
	s_cbranch_vccnz .LBB119_2413
; %bb.2404:
	global_load_ubyte v6, v[18:19], off
	s_movk_i32 s24, 0x7f
	s_waitcnt vmcnt(0)
	v_cmp_lt_i16_e32 vcc, s24, v6
	s_mov_b64 s[24:25], 0
	s_and_saveexec_b64 s[26:27], vcc
	s_xor_b64 s[26:27], exec, s[26:27]
	s_cbranch_execz .LBB119_2408
; %bb.2405:
	s_movk_i32 s24, 0x80
	v_cmp_eq_u16_e32 vcc, s24, v6
	s_mov_b64 s[24:25], -1
	s_and_saveexec_b64 s[28:29], vcc
; %bb.2406:
	s_xor_b64 s[24:25], exec, -1
; %bb.2407:
	s_or_b64 exec, exec, s[28:29]
	s_and_b64 s[24:25], s[24:25], exec
.LBB119_2408:
	s_or_saveexec_b64 s[26:27], s[26:27]
	v_bfrev_b32_e32 v4, 4
	v_mov_b32_e32 v5, 0x7ff80000
	s_xor_b64 exec, exec, s[26:27]
; %bb.2409:
	v_cmp_ne_u16_e32 vcc, 0, v6
	v_mov_b32_e32 v4, 0
	s_andn2_b64 s[24:25], s[24:25], exec
	s_and_b64 s[28:29], vcc, exec
	v_mov_b32_e32 v5, 0
	s_or_b64 s[24:25], s[24:25], s[28:29]
; %bb.2410:
	s_or_b64 exec, exec, s[26:27]
	s_and_saveexec_b64 s[26:27], s[24:25]
	s_cbranch_execz .LBB119_2412
; %bb.2411:
	v_and_b32_e32 v5, 0xffff, v6
	v_lshlrev_b32_e32 v4, 24, v6
	v_and_b32_e32 v6, 7, v5
	v_ffbh_u32_e32 v9, v6
	v_min_u32_e32 v9, 32, v9
	v_subrev_u32_e32 v11, 28, v9
	v_bfe_u32 v7, v5, 3, 4
	v_lshlrev_b32_e32 v5, v11, v5
	v_sub_u32_e32 v9, 29, v9
	v_and_b32_e32 v5, 7, v5
	v_cmp_eq_u32_e32 vcc, 0, v7
	v_cndmask_b32_e32 v7, v7, v9, vcc
	v_cndmask_b32_e32 v5, v6, v5, vcc
	v_mov_b32_e32 v6, 0x3b800000
	v_lshlrev_b32_e32 v5, 20, v5
	v_and_b32_e32 v4, 0x80000000, v4
	v_lshl_add_u32 v6, v7, 23, v6
	v_or3_b32 v4, v4, v6, v5
	v_cvt_f64_f32_e32 v[4:5], v4
.LBB119_2412:
	s_or_b64 exec, exec, s[26:27]
.LBB119_2413:
	v_mov_b32_e32 v6, 0
	v_mov_b32_e32 v7, 0
	s_mov_b64 s[24:25], -1
.LBB119_2414:
	s_mov_b64 s[26:27], 0
.LBB119_2415:
	s_and_b64 vcc, exec, s[26:27]
	s_cbranch_vccz .LBB119_2428
; %bb.2416:
	s_cmp_gt_i32 s33, 22
	s_cbranch_scc0 .LBB119_2439
; %bb.2417:
	s_cmp_lt_i32 s33, 24
	s_cbranch_scc1 .LBB119_2441
; %bb.2418:
	s_cmp_gt_i32 s33, 24
	s_cbranch_scc0 .LBB119_2443
; %bb.2419:
	global_load_ubyte v6, v[18:19], off
	s_movk_i32 s22, 0x7f
	s_waitcnt vmcnt(0)
	v_cmp_lt_i16_e32 vcc, s22, v6
	s_mov_b64 s[22:23], 0
	s_and_saveexec_b64 s[24:25], vcc
	s_xor_b64 s[24:25], exec, s[24:25]
	s_cbranch_execz .LBB119_2423
; %bb.2420:
	s_movk_i32 s22, 0x80
	v_cmp_eq_u16_e32 vcc, s22, v6
	s_mov_b64 s[22:23], -1
	s_and_saveexec_b64 s[26:27], vcc
; %bb.2421:
	s_xor_b64 s[22:23], exec, -1
; %bb.2422:
	s_or_b64 exec, exec, s[26:27]
	s_and_b64 s[22:23], s[22:23], exec
.LBB119_2423:
	s_or_saveexec_b64 s[24:25], s[24:25]
	v_bfrev_b32_e32 v4, 4
	v_mov_b32_e32 v5, 0x7ff80000
	s_xor_b64 exec, exec, s[24:25]
; %bb.2424:
	v_cmp_ne_u16_e32 vcc, 0, v6
	v_mov_b32_e32 v4, 0
	s_andn2_b64 s[22:23], s[22:23], exec
	s_and_b64 s[26:27], vcc, exec
	v_mov_b32_e32 v5, 0
	s_or_b64 s[22:23], s[22:23], s[26:27]
; %bb.2425:
	s_or_b64 exec, exec, s[24:25]
	s_and_saveexec_b64 s[24:25], s[22:23]
	s_cbranch_execz .LBB119_2427
; %bb.2426:
	v_and_b32_e32 v5, 0xffff, v6
	v_lshlrev_b32_e32 v4, 24, v6
	v_and_b32_e32 v6, 3, v5
	v_ffbh_u32_e32 v9, v6
	v_min_u32_e32 v9, 32, v9
	v_subrev_u32_e32 v11, 29, v9
	v_bfe_u32 v7, v5, 2, 5
	v_lshlrev_b32_e32 v5, v11, v5
	v_sub_u32_e32 v9, 30, v9
	v_and_b32_e32 v5, 3, v5
	v_cmp_eq_u32_e32 vcc, 0, v7
	v_cndmask_b32_e32 v7, v7, v9, vcc
	v_cndmask_b32_e32 v5, v6, v5, vcc
	v_mov_b32_e32 v6, 0x37800000
	v_lshlrev_b32_e32 v5, 21, v5
	v_and_b32_e32 v4, 0x80000000, v4
	v_lshl_add_u32 v6, v7, 23, v6
	v_or3_b32 v4, v4, v6, v5
	v_cvt_f64_f32_e32 v[4:5], v4
.LBB119_2427:
	s_or_b64 exec, exec, s[24:25]
	s_mov_b64 s[22:23], 0
	s_branch .LBB119_2444
.LBB119_2428:
	s_and_b64 vcc, exec, s[0:1]
	s_cbranch_vccnz .LBB119_2472
.LBB119_2429:
	s_andn2_b64 vcc, exec, s[22:23]
	s_cbranch_vccnz .LBB119_2431
.LBB119_2430:
	global_load_ubyte v5, v[18:19], off
	v_mov_b32_e32 v9, 0x3ff00000
	v_mov_b32_e32 v6, 0
	;; [unrolled: 1-line block ×4, first 2 shown]
	s_mov_b64 s[24:25], -1
	s_waitcnt vmcnt(0)
	v_cmp_ne_u16_e32 vcc, 0, v5
	v_cndmask_b32_e32 v5, 0, v9, vcc
.LBB119_2431:
	s_mov_b64 s[0:1], 0
.LBB119_2432:
	s_and_b64 vcc, exec, s[0:1]
	s_cbranch_vccz .LBB119_2503
; %bb.2433:
	s_and_b32 s22, 0xffff, s31
	s_cmp_lt_i32 s22, 5
	s_cbranch_scc1 .LBB119_2438
; %bb.2434:
	s_cmp_lt_i32 s22, 8
	s_cbranch_scc1 .LBB119_2440
; %bb.2435:
	;; [unrolled: 3-line block ×3, first 2 shown]
	s_cmp_gt_i32 s22, 9
	s_cbranch_scc0 .LBB119_2455
; %bb.2437:
	global_load_dwordx4 v[4:7], v[18:19], off
	s_mov_b64 s[0:1], 0
	s_branch .LBB119_2456
.LBB119_2438:
	s_mov_b64 s[0:1], -1
                                        ; implicit-def: $vgpr6_vgpr7
	s_branch .LBB119_2481
.LBB119_2439:
	s_mov_b64 s[22:23], -1
                                        ; implicit-def: $vgpr4_vgpr5
	s_branch .LBB119_2450
.LBB119_2440:
	s_mov_b64 s[0:1], -1
                                        ; implicit-def: $vgpr6_vgpr7
	s_branch .LBB119_2462
.LBB119_2441:
	s_mov_b64 s[22:23], -1
                                        ; implicit-def: $vgpr4_vgpr5
	s_branch .LBB119_2447
.LBB119_2442:
	s_mov_b64 s[0:1], -1
                                        ; implicit-def: $vgpr6_vgpr7
	s_branch .LBB119_2459
.LBB119_2443:
	s_mov_b64 s[22:23], -1
                                        ; implicit-def: $vgpr4_vgpr5
.LBB119_2444:
	s_and_b64 vcc, exec, s[22:23]
	s_cbranch_vccz .LBB119_2446
; %bb.2445:
	global_load_ubyte v4, v[18:19], off
	s_mov_b32 s22, 0x7f800000
	s_waitcnt vmcnt(0)
	v_lshlrev_b32_e32 v4, 24, v4
	v_and_b32_e32 v5, 0x7f000000, v4
	v_ffbh_u32_e32 v6, v5
	v_min_u32_e32 v6, 32, v6
	v_sub_u32_e64 v6, v6, 4 clamp
	v_lshlrev_b32_e32 v9, v6, v5
	v_lshlrev_b32_e32 v6, 23, v6
	v_lshrrev_b32_e32 v9, 4, v9
	v_add_u32_e32 v7, 0x1000000, v5
	v_sub_u32_e32 v6, v9, v6
	v_ashrrev_i32_e32 v7, 8, v7
	v_add_u32_e32 v6, 0x3c000000, v6
	v_and_or_b32 v6, v7, s22, v6
	v_cmp_ne_u32_e32 vcc, 0, v5
	v_cndmask_b32_e32 v5, 0, v6, vcc
	s_brev_b32 s22, 1
	v_and_or_b32 v4, v4, s22, v5
	v_cvt_f64_f32_e32 v[4:5], v4
.LBB119_2446:
	s_mov_b64 s[22:23], 0
.LBB119_2447:
	s_andn2_b64 vcc, exec, s[22:23]
	s_cbranch_vccnz .LBB119_2449
; %bb.2448:
	global_load_ubyte v4, v[18:19], off
	s_movk_i32 s22, 0x7f00
	s_brev_b32 s23, 16
	s_waitcnt vmcnt(0)
	v_lshlrev_b16_e32 v5, 8, v4
	v_lshlrev_b32_e32 v4, 25, v4
	v_lshrrev_b32_e32 v6, 4, v4
	v_and_or_b32 v7, v5, s22, 0.5
	v_or_b32_e32 v6, 0x70000000, v6
	v_add_f32_e32 v7, -0.5, v7
	v_mul_f32_e32 v6, 0x7800000, v6
	v_cmp_gt_u32_e32 vcc, s23, v4
	v_bfe_i32 v5, v5, 0, 16
	v_cndmask_b32_e32 v4, v6, v7, vcc
	s_brev_b32 s22, 1
	v_and_or_b32 v4, v5, s22, v4
	v_cvt_f64_f32_e32 v[4:5], v4
.LBB119_2449:
	s_mov_b64 s[22:23], 0
	s_mov_b64 s[24:25], -1
.LBB119_2450:
	s_andn2_b64 vcc, exec, s[22:23]
	s_mov_b64 s[22:23], 0
	s_cbranch_vccnz .LBB119_2471
; %bb.2451:
	s_cmp_gt_i32 s33, 14
	s_cbranch_scc0 .LBB119_2454
; %bb.2452:
	s_cmp_eq_u32 s33, 15
	s_cbranch_scc0 .LBB119_2467
; %bb.2453:
	global_load_ushort v4, v[18:19], off
	s_mov_b64 s[0:1], 0
	s_mov_b64 s[24:25], -1
	s_waitcnt vmcnt(0)
	v_lshlrev_b32_e32 v4, 16, v4
	v_cvt_f64_f32_e32 v[4:5], v4
	s_branch .LBB119_2468
.LBB119_2454:
	s_mov_b64 s[26:27], -1
                                        ; implicit-def: $vgpr4_vgpr5
	s_branch .LBB119_2469
.LBB119_2455:
	s_mov_b64 s[0:1], -1
                                        ; implicit-def: $vgpr6_vgpr7
.LBB119_2456:
	s_andn2_b64 vcc, exec, s[0:1]
	s_cbranch_vccnz .LBB119_2458
; %bb.2457:
	global_load_dwordx2 v[5:6], v[18:19], off
	s_waitcnt vmcnt(0)
	v_cvt_f64_f32_e32 v[4:5], v5
	v_cvt_f64_f32_e32 v[6:7], v6
.LBB119_2458:
	s_mov_b64 s[0:1], 0
.LBB119_2459:
	s_andn2_b64 vcc, exec, s[0:1]
	s_cbranch_vccnz .LBB119_2461
; %bb.2460:
	global_load_dword v4, v[18:19], off
	s_waitcnt vmcnt(0)
	v_cvt_f32_f16_e32 v5, v4
	v_cvt_f32_f16_sdwa v6, v4 dst_sel:DWORD dst_unused:UNUSED_PAD src0_sel:WORD_1
	v_cvt_f64_f32_e32 v[4:5], v5
	v_cvt_f64_f32_e32 v[6:7], v6
.LBB119_2461:
	s_mov_b64 s[0:1], 0
.LBB119_2462:
	s_andn2_b64 vcc, exec, s[0:1]
	s_cbranch_vccnz .LBB119_2480
; %bb.2463:
	s_cmp_lt_i32 s22, 6
	s_cbranch_scc1 .LBB119_2466
; %bb.2464:
	s_cmp_gt_i32 s22, 6
	s_cbranch_scc0 .LBB119_2473
; %bb.2465:
	global_load_dwordx2 v[4:5], v[18:19], off
	s_mov_b64 s[0:1], 0
	s_branch .LBB119_2474
.LBB119_2466:
	s_mov_b64 s[0:1], -1
                                        ; implicit-def: $vgpr4_vgpr5
	s_branch .LBB119_2477
.LBB119_2467:
	s_mov_b64 s[0:1], -1
                                        ; implicit-def: $vgpr4_vgpr5
.LBB119_2468:
	s_mov_b64 s[26:27], 0
.LBB119_2469:
	s_and_b64 vcc, exec, s[26:27]
	s_cbranch_vccz .LBB119_2471
; %bb.2470:
	s_cmp_lg_u32 s33, 11
	s_mov_b64 s[22:23], -1
	s_cselect_b64 s[0:1], -1, 0
.LBB119_2471:
	v_mov_b32_e32 v6, 0
	v_mov_b32_e32 v7, 0
	s_and_b64 vcc, exec, s[0:1]
	s_cbranch_vccz .LBB119_2429
.LBB119_2472:
	s_trap 2
	s_or_b64 s[4:5], s[4:5], exec
	s_cbranch_execz .LBB119_2430
	s_branch .LBB119_2431
.LBB119_2473:
	s_mov_b64 s[0:1], -1
                                        ; implicit-def: $vgpr4_vgpr5
.LBB119_2474:
	s_andn2_b64 vcc, exec, s[0:1]
	s_cbranch_vccnz .LBB119_2476
; %bb.2475:
	global_load_dword v4, v[18:19], off
	s_waitcnt vmcnt(0)
	v_cvt_f64_f32_e32 v[4:5], v4
.LBB119_2476:
	s_mov_b64 s[0:1], 0
.LBB119_2477:
	s_andn2_b64 vcc, exec, s[0:1]
	s_cbranch_vccnz .LBB119_2479
; %bb.2478:
	global_load_ushort v4, v[18:19], off
	s_waitcnt vmcnt(0)
	v_cvt_f32_f16_e32 v4, v4
	v_cvt_f64_f32_e32 v[4:5], v4
.LBB119_2479:
	s_waitcnt vmcnt(0)
	v_mov_b32_e32 v6, 0
	v_mov_b32_e32 v7, 0
.LBB119_2480:
	s_mov_b64 s[0:1], 0
.LBB119_2481:
	s_andn2_b64 vcc, exec, s[0:1]
	s_cbranch_vccnz .LBB119_2502
; %bb.2482:
	s_cmp_lt_i32 s22, 2
	s_cbranch_scc1 .LBB119_2486
; %bb.2483:
	s_cmp_lt_i32 s22, 3
	s_cbranch_scc1 .LBB119_2487
; %bb.2484:
	s_cmp_gt_i32 s22, 3
	s_cbranch_scc0 .LBB119_2488
; %bb.2485:
	global_load_dwordx2 v[4:5], v[18:19], off
	s_mov_b64 s[0:1], 0
	s_waitcnt vmcnt(0)
	v_cvt_f64_i32_e32 v[5:6], v5
	v_cvt_f64_u32_e32 v[20:21], v4
	v_ldexp_f64 v[5:6], v[5:6], 32
	v_add_f64 v[4:5], v[5:6], v[20:21]
	s_branch .LBB119_2489
.LBB119_2486:
	s_mov_b64 s[0:1], -1
                                        ; implicit-def: $vgpr4_vgpr5
	s_branch .LBB119_2495
.LBB119_2487:
	s_mov_b64 s[0:1], -1
                                        ; implicit-def: $vgpr4_vgpr5
	s_branch .LBB119_2492
.LBB119_2488:
	s_mov_b64 s[0:1], -1
                                        ; implicit-def: $vgpr4_vgpr5
.LBB119_2489:
	s_andn2_b64 vcc, exec, s[0:1]
	s_cbranch_vccnz .LBB119_2491
; %bb.2490:
	global_load_dword v4, v[18:19], off
	s_waitcnt vmcnt(0)
	v_cvt_f64_i32_e32 v[4:5], v4
.LBB119_2491:
	s_mov_b64 s[0:1], 0
.LBB119_2492:
	s_andn2_b64 vcc, exec, s[0:1]
	s_cbranch_vccnz .LBB119_2494
; %bb.2493:
	global_load_sshort v4, v[18:19], off
	s_waitcnt vmcnt(0)
	v_cvt_f64_i32_e32 v[4:5], v4
.LBB119_2494:
	s_mov_b64 s[0:1], 0
.LBB119_2495:
	s_andn2_b64 vcc, exec, s[0:1]
	s_cbranch_vccnz .LBB119_2501
; %bb.2496:
	s_cmp_gt_i32 s22, 0
	s_cbranch_scc0 .LBB119_2498
; %bb.2497:
	global_load_sbyte v4, v[18:19], off
	s_mov_b64 s[0:1], 0
	s_waitcnt vmcnt(0)
	v_cvt_f64_i32_e32 v[4:5], v4
	s_branch .LBB119_2499
.LBB119_2498:
	s_mov_b64 s[0:1], -1
                                        ; implicit-def: $vgpr4_vgpr5
.LBB119_2499:
	s_andn2_b64 vcc, exec, s[0:1]
	s_cbranch_vccnz .LBB119_2501
; %bb.2500:
	global_load_ubyte v4, v[18:19], off
	s_waitcnt vmcnt(0)
	v_cvt_f64_u32_e32 v[4:5], v4
.LBB119_2501:
	s_waitcnt vmcnt(0)
	v_mov_b32_e32 v6, 0
	v_mov_b32_e32 v7, 0
.LBB119_2502:
	s_mov_b64 s[24:25], -1
.LBB119_2503:
	s_andn2_b64 vcc, exec, s[24:25]
	s_cbranch_vccnz .LBB119_2781
; %bb.2504:
	s_and_b64 vcc, exec, s[18:19]
	s_cbranch_vccz .LBB119_2506
; %bb.2505:
	s_waitcnt vmcnt(0)
	v_cmp_neq_f64_e32 vcc, v[0:1], v[4:5]
	v_cmp_neq_f64_e64 s[0:1], v[2:3], v[6:7]
	s_or_b64 s[22:23], vcc, s[0:1]
	s_mov_b64 s[0:1], 0
	s_branch .LBB119_2507
.LBB119_2506:
	s_mov_b64 s[0:1], -1
                                        ; implicit-def: $sgpr22_sgpr23
.LBB119_2507:
	s_andn2_b64 vcc, exec, s[0:1]
	s_cbranch_vccnz .LBB119_2509
; %bb.2508:
	s_waitcnt vmcnt(0)
	v_cmp_eq_f64_e32 vcc, v[0:1], v[4:5]
	v_cmp_eq_f64_e64 s[0:1], v[2:3], v[6:7]
	s_andn2_b64 s[22:23], s[22:23], exec
	s_and_b64 s[0:1], vcc, s[0:1]
	s_and_b64 s[0:1], s[0:1], exec
	s_or_b64 s[22:23], s[22:23], s[0:1]
.LBB119_2509:
	s_waitcnt vmcnt(0)
	v_mov_b32_e32 v0, s11
	v_add_co_u32_e32 v4, vcc, s10, v17
	s_cmp_lt_i32 s30, 11
	v_addc_co_u32_e32 v5, vcc, 0, v0, vcc
	s_cbranch_scc1 .LBB119_2516
; %bb.2510:
	s_and_b32 s33, 0xffff, s30
	s_cmp_gt_i32 s33, 25
	s_mov_b64 s[10:11], 0
	s_cbranch_scc0 .LBB119_2517
; %bb.2511:
	s_cmp_gt_i32 s33, 28
	s_cbranch_scc0 .LBB119_2518
; %bb.2512:
	s_cmp_gt_i32 s33, 43
	;; [unrolled: 3-line block ×3, first 2 shown]
	s_cbranch_scc0 .LBB119_2520
; %bb.2514:
	s_cmp_eq_u32 s33, 46
	s_mov_b64 s[26:27], 0
	s_cbranch_scc0 .LBB119_2521
; %bb.2515:
	global_load_dword v0, v[4:5], off
	s_mov_b64 s[0:1], 0
	s_mov_b64 s[24:25], -1
	s_waitcnt vmcnt(0)
	v_and_b32_e32 v2, 0xffff0000, v0
	v_lshlrev_b32_e32 v0, 16, v0
	v_cvt_f64_f32_e32 v[0:1], v0
	v_cvt_f64_f32_e32 v[2:3], v2
	s_branch .LBB119_2522
.LBB119_2516:
	s_mov_b64 s[0:1], -1
	s_mov_b64 s[24:25], 0
                                        ; implicit-def: $vgpr2_vgpr3
	s_branch .LBB119_2572
.LBB119_2517:
	s_mov_b64 s[26:27], -1
	s_mov_b64 s[24:25], 0
	s_mov_b64 s[0:1], 0
                                        ; implicit-def: $vgpr2_vgpr3
	s_branch .LBB119_2555
.LBB119_2518:
	s_mov_b64 s[26:27], -1
	s_mov_b64 s[24:25], 0
	s_mov_b64 s[0:1], 0
                                        ; implicit-def: $vgpr2_vgpr3
	s_branch .LBB119_2534
.LBB119_2519:
	s_mov_b64 s[26:27], -1
	s_mov_b64 s[24:25], 0
	s_mov_b64 s[0:1], 0
                                        ; implicit-def: $vgpr2_vgpr3
	s_branch .LBB119_2528
.LBB119_2520:
	s_mov_b64 s[26:27], -1
	s_mov_b64 s[24:25], 0
	s_mov_b64 s[0:1], 0
                                        ; implicit-def: $vgpr2_vgpr3
	s_branch .LBB119_2522
.LBB119_2521:
	s_mov_b64 s[0:1], -1
                                        ; implicit-def: $vgpr2_vgpr3
	s_mov_b64 s[24:25], 0
.LBB119_2522:
	s_and_b64 vcc, exec, s[26:27]
	s_cbranch_vccz .LBB119_2527
; %bb.2523:
	s_cmp_eq_u32 s33, 44
	s_cbranch_scc0 .LBB119_2525
; %bb.2524:
	global_load_ubyte v2, v[4:5], off
	s_movk_i32 s24, 0xff
	v_bfrev_b32_e32 v3, 4
	v_mov_b32_e32 v6, 0x7ff80000
	v_bfrev_b32_e32 v7, 28
	s_mov_b64 s[0:1], 0
	s_waitcnt vmcnt(0)
	v_lshlrev_b32_e32 v0, 23, v2
	v_cvt_f64_f32_e32 v[0:1], v0
	v_cmp_ne_u32_e32 vcc, s24, v2
	s_mov_b64 s[24:25], -1
	v_cndmask_b32_e32 v0, v3, v0, vcc
	v_cndmask_b32_e32 v1, v6, v1, vcc
	v_cmp_ne_u32_e32 vcc, 0, v2
	v_cndmask_b32_e32 v1, v7, v1, vcc
	v_cndmask_b32_e32 v0, 0, v0, vcc
	s_branch .LBB119_2526
.LBB119_2525:
	s_mov_b64 s[0:1], -1
                                        ; implicit-def: $vgpr0_vgpr1
.LBB119_2526:
	v_mov_b32_e32 v2, 0
	v_mov_b32_e32 v3, 0
.LBB119_2527:
	s_mov_b64 s[26:27], 0
.LBB119_2528:
	s_and_b64 vcc, exec, s[26:27]
	s_cbranch_vccz .LBB119_2533
; %bb.2529:
	s_cmp_eq_u32 s33, 29
	s_cbranch_scc0 .LBB119_2531
; %bb.2530:
	global_load_dwordx2 v[0:1], v[4:5], off
	s_mov_b64 s[0:1], 0
	s_mov_b64 s[24:25], -1
	s_waitcnt vmcnt(0)
	v_cvt_f64_u32_e32 v[1:2], v1
	v_cvt_f64_u32_e32 v[6:7], v0
	v_ldexp_f64 v[1:2], v[1:2], 32
	v_add_f64 v[0:1], v[1:2], v[6:7]
	s_branch .LBB119_2532
.LBB119_2531:
	s_mov_b64 s[0:1], -1
                                        ; implicit-def: $vgpr0_vgpr1
.LBB119_2532:
	v_mov_b32_e32 v2, 0
	v_mov_b32_e32 v3, 0
.LBB119_2533:
	s_mov_b64 s[26:27], 0
.LBB119_2534:
	s_and_b64 vcc, exec, s[26:27]
	s_cbranch_vccz .LBB119_2554
; %bb.2535:
	s_cmp_lt_i32 s33, 27
	s_cbranch_scc1 .LBB119_2538
; %bb.2536:
	s_cmp_gt_i32 s33, 27
	s_cbranch_scc0 .LBB119_2539
; %bb.2537:
	global_load_dword v0, v[4:5], off
	s_mov_b64 s[24:25], 0
	s_waitcnt vmcnt(0)
	v_cvt_f64_u32_e32 v[0:1], v0
	s_branch .LBB119_2540
.LBB119_2538:
	s_mov_b64 s[24:25], -1
                                        ; implicit-def: $vgpr0_vgpr1
	s_branch .LBB119_2543
.LBB119_2539:
	s_mov_b64 s[24:25], -1
                                        ; implicit-def: $vgpr0_vgpr1
.LBB119_2540:
	s_andn2_b64 vcc, exec, s[24:25]
	s_cbranch_vccnz .LBB119_2542
; %bb.2541:
	global_load_ushort v0, v[4:5], off
	s_waitcnt vmcnt(0)
	v_cvt_f64_u32_e32 v[0:1], v0
.LBB119_2542:
	s_mov_b64 s[24:25], 0
.LBB119_2543:
	s_andn2_b64 vcc, exec, s[24:25]
	s_cbranch_vccnz .LBB119_2553
; %bb.2544:
	global_load_ubyte v2, v[4:5], off
	s_movk_i32 s24, 0x7f
	s_waitcnt vmcnt(0)
	v_cmp_lt_i16_e32 vcc, s24, v2
	s_mov_b64 s[24:25], 0
	s_and_saveexec_b64 s[26:27], vcc
	s_xor_b64 s[26:27], exec, s[26:27]
	s_cbranch_execz .LBB119_2548
; %bb.2545:
	s_movk_i32 s24, 0x80
	v_cmp_eq_u16_e32 vcc, s24, v2
	s_mov_b64 s[24:25], -1
	s_and_saveexec_b64 s[28:29], vcc
; %bb.2546:
	s_xor_b64 s[24:25], exec, -1
; %bb.2547:
	s_or_b64 exec, exec, s[28:29]
	s_and_b64 s[24:25], s[24:25], exec
.LBB119_2548:
	s_or_saveexec_b64 s[26:27], s[26:27]
	v_bfrev_b32_e32 v0, 4
	v_mov_b32_e32 v1, 0x7ff80000
	s_xor_b64 exec, exec, s[26:27]
; %bb.2549:
	v_cmp_ne_u16_e32 vcc, 0, v2
	v_mov_b32_e32 v0, 0
	s_andn2_b64 s[24:25], s[24:25], exec
	s_and_b64 s[28:29], vcc, exec
	v_mov_b32_e32 v1, 0
	s_or_b64 s[24:25], s[24:25], s[28:29]
; %bb.2550:
	s_or_b64 exec, exec, s[26:27]
	s_and_saveexec_b64 s[26:27], s[24:25]
	s_cbranch_execz .LBB119_2552
; %bb.2551:
	v_and_b32_e32 v1, 0xffff, v2
	v_lshlrev_b32_e32 v0, 24, v2
	v_and_b32_e32 v2, 7, v1
	v_ffbh_u32_e32 v6, v2
	v_min_u32_e32 v6, 32, v6
	v_subrev_u32_e32 v7, 28, v6
	v_bfe_u32 v3, v1, 3, 4
	v_lshlrev_b32_e32 v1, v7, v1
	v_sub_u32_e32 v6, 29, v6
	v_and_b32_e32 v1, 7, v1
	v_cmp_eq_u32_e32 vcc, 0, v3
	v_cndmask_b32_e32 v3, v3, v6, vcc
	v_cndmask_b32_e32 v1, v2, v1, vcc
	v_mov_b32_e32 v2, 0x3b800000
	v_lshlrev_b32_e32 v1, 20, v1
	v_and_b32_e32 v0, 0x80000000, v0
	v_lshl_add_u32 v2, v3, 23, v2
	v_or3_b32 v0, v0, v2, v1
	v_cvt_f64_f32_e32 v[0:1], v0
.LBB119_2552:
	s_or_b64 exec, exec, s[26:27]
.LBB119_2553:
	v_mov_b32_e32 v2, 0
	v_mov_b32_e32 v3, 0
	s_mov_b64 s[24:25], -1
.LBB119_2554:
	s_mov_b64 s[26:27], 0
.LBB119_2555:
	s_and_b64 vcc, exec, s[26:27]
	s_cbranch_vccz .LBB119_2568
; %bb.2556:
	s_cmp_gt_i32 s33, 22
	s_cbranch_scc0 .LBB119_2579
; %bb.2557:
	s_cmp_lt_i32 s33, 24
	s_cbranch_scc1 .LBB119_2581
; %bb.2558:
	s_cmp_gt_i32 s33, 24
	s_cbranch_scc0 .LBB119_2583
; %bb.2559:
	global_load_ubyte v2, v[4:5], off
	s_movk_i32 s10, 0x7f
	s_waitcnt vmcnt(0)
	v_cmp_lt_i16_e32 vcc, s10, v2
	s_mov_b64 s[10:11], 0
	s_and_saveexec_b64 s[24:25], vcc
	s_xor_b64 s[24:25], exec, s[24:25]
	s_cbranch_execz .LBB119_2563
; %bb.2560:
	s_movk_i32 s10, 0x80
	v_cmp_eq_u16_e32 vcc, s10, v2
	s_mov_b64 s[10:11], -1
	s_and_saveexec_b64 s[26:27], vcc
; %bb.2561:
	s_xor_b64 s[10:11], exec, -1
; %bb.2562:
	s_or_b64 exec, exec, s[26:27]
	s_and_b64 s[10:11], s[10:11], exec
.LBB119_2563:
	s_or_saveexec_b64 s[24:25], s[24:25]
	v_bfrev_b32_e32 v0, 4
	v_mov_b32_e32 v1, 0x7ff80000
	s_xor_b64 exec, exec, s[24:25]
; %bb.2564:
	v_cmp_ne_u16_e32 vcc, 0, v2
	v_mov_b32_e32 v0, 0
	s_andn2_b64 s[10:11], s[10:11], exec
	s_and_b64 s[26:27], vcc, exec
	v_mov_b32_e32 v1, 0
	s_or_b64 s[10:11], s[10:11], s[26:27]
; %bb.2565:
	s_or_b64 exec, exec, s[24:25]
	s_and_saveexec_b64 s[24:25], s[10:11]
	s_cbranch_execz .LBB119_2567
; %bb.2566:
	v_and_b32_e32 v1, 0xffff, v2
	v_lshlrev_b32_e32 v0, 24, v2
	v_and_b32_e32 v2, 3, v1
	v_ffbh_u32_e32 v6, v2
	v_min_u32_e32 v6, 32, v6
	v_subrev_u32_e32 v7, 29, v6
	v_bfe_u32 v3, v1, 2, 5
	v_lshlrev_b32_e32 v1, v7, v1
	v_sub_u32_e32 v6, 30, v6
	v_and_b32_e32 v1, 3, v1
	v_cmp_eq_u32_e32 vcc, 0, v3
	v_cndmask_b32_e32 v3, v3, v6, vcc
	v_cndmask_b32_e32 v1, v2, v1, vcc
	v_mov_b32_e32 v2, 0x37800000
	v_lshlrev_b32_e32 v1, 21, v1
	v_and_b32_e32 v0, 0x80000000, v0
	v_lshl_add_u32 v2, v3, 23, v2
	v_or3_b32 v0, v0, v2, v1
	v_cvt_f64_f32_e32 v[0:1], v0
.LBB119_2567:
	s_or_b64 exec, exec, s[24:25]
	s_mov_b64 s[10:11], 0
	s_branch .LBB119_2584
.LBB119_2568:
	s_and_b64 vcc, exec, s[0:1]
	s_cbranch_vccnz .LBB119_2612
.LBB119_2569:
	s_andn2_b64 vcc, exec, s[10:11]
	s_cbranch_vccnz .LBB119_2571
.LBB119_2570:
	global_load_ubyte v1, v[4:5], off
	v_mov_b32_e32 v6, 0x3ff00000
	v_mov_b32_e32 v2, 0
	;; [unrolled: 1-line block ×4, first 2 shown]
	s_mov_b64 s[24:25], -1
	s_waitcnt vmcnt(0)
	v_cmp_ne_u16_e32 vcc, 0, v1
	v_cndmask_b32_e32 v1, 0, v6, vcc
.LBB119_2571:
	s_mov_b64 s[0:1], 0
.LBB119_2572:
	s_and_b64 vcc, exec, s[0:1]
	s_cbranch_vccz .LBB119_2643
; %bb.2573:
	s_and_b32 s10, 0xffff, s30
	s_cmp_lt_i32 s10, 5
	s_cbranch_scc1 .LBB119_2578
; %bb.2574:
	s_cmp_lt_i32 s10, 8
	s_cbranch_scc1 .LBB119_2580
; %bb.2575:
	;; [unrolled: 3-line block ×3, first 2 shown]
	s_cmp_gt_i32 s10, 9
	s_cbranch_scc0 .LBB119_2595
; %bb.2577:
	global_load_dwordx4 v[0:3], v[4:5], off
	s_mov_b64 s[0:1], 0
	s_branch .LBB119_2596
.LBB119_2578:
	s_mov_b64 s[0:1], -1
                                        ; implicit-def: $vgpr2_vgpr3
	s_branch .LBB119_2621
.LBB119_2579:
	s_mov_b64 s[10:11], -1
                                        ; implicit-def: $vgpr0_vgpr1
	s_branch .LBB119_2590
.LBB119_2580:
	s_mov_b64 s[0:1], -1
                                        ; implicit-def: $vgpr2_vgpr3
	s_branch .LBB119_2602
.LBB119_2581:
	s_mov_b64 s[10:11], -1
                                        ; implicit-def: $vgpr0_vgpr1
	s_branch .LBB119_2587
.LBB119_2582:
	s_mov_b64 s[0:1], -1
                                        ; implicit-def: $vgpr2_vgpr3
	s_branch .LBB119_2599
.LBB119_2583:
	s_mov_b64 s[10:11], -1
                                        ; implicit-def: $vgpr0_vgpr1
.LBB119_2584:
	s_and_b64 vcc, exec, s[10:11]
	s_cbranch_vccz .LBB119_2586
; %bb.2585:
	global_load_ubyte v0, v[4:5], off
	s_mov_b32 s10, 0x7f800000
	s_waitcnt vmcnt(0)
	v_lshlrev_b32_e32 v0, 24, v0
	v_and_b32_e32 v1, 0x7f000000, v0
	v_ffbh_u32_e32 v2, v1
	v_min_u32_e32 v2, 32, v2
	v_sub_u32_e64 v2, v2, 4 clamp
	v_lshlrev_b32_e32 v6, v2, v1
	v_lshlrev_b32_e32 v2, 23, v2
	v_lshrrev_b32_e32 v6, 4, v6
	v_add_u32_e32 v3, 0x1000000, v1
	v_sub_u32_e32 v2, v6, v2
	v_ashrrev_i32_e32 v3, 8, v3
	v_add_u32_e32 v2, 0x3c000000, v2
	v_and_or_b32 v2, v3, s10, v2
	v_cmp_ne_u32_e32 vcc, 0, v1
	v_cndmask_b32_e32 v1, 0, v2, vcc
	s_brev_b32 s10, 1
	v_and_or_b32 v0, v0, s10, v1
	v_cvt_f64_f32_e32 v[0:1], v0
.LBB119_2586:
	s_mov_b64 s[10:11], 0
.LBB119_2587:
	s_andn2_b64 vcc, exec, s[10:11]
	s_cbranch_vccnz .LBB119_2589
; %bb.2588:
	global_load_ubyte v0, v[4:5], off
	s_movk_i32 s10, 0x7f00
	s_brev_b32 s11, 16
	s_waitcnt vmcnt(0)
	v_lshlrev_b16_e32 v1, 8, v0
	v_lshlrev_b32_e32 v0, 25, v0
	v_lshrrev_b32_e32 v2, 4, v0
	v_and_or_b32 v3, v1, s10, 0.5
	v_or_b32_e32 v2, 0x70000000, v2
	v_add_f32_e32 v3, -0.5, v3
	v_mul_f32_e32 v2, 0x7800000, v2
	v_cmp_gt_u32_e32 vcc, s11, v0
	v_bfe_i32 v1, v1, 0, 16
	v_cndmask_b32_e32 v0, v2, v3, vcc
	s_brev_b32 s10, 1
	v_and_or_b32 v0, v1, s10, v0
	v_cvt_f64_f32_e32 v[0:1], v0
.LBB119_2589:
	s_mov_b64 s[10:11], 0
	s_mov_b64 s[24:25], -1
.LBB119_2590:
	s_andn2_b64 vcc, exec, s[10:11]
	s_mov_b64 s[10:11], 0
	s_cbranch_vccnz .LBB119_2611
; %bb.2591:
	s_cmp_gt_i32 s33, 14
	s_cbranch_scc0 .LBB119_2594
; %bb.2592:
	s_cmp_eq_u32 s33, 15
	s_cbranch_scc0 .LBB119_2607
; %bb.2593:
	global_load_ushort v0, v[4:5], off
	s_mov_b64 s[0:1], 0
	s_mov_b64 s[24:25], -1
	s_waitcnt vmcnt(0)
	v_lshlrev_b32_e32 v0, 16, v0
	v_cvt_f64_f32_e32 v[0:1], v0
	s_branch .LBB119_2608
.LBB119_2594:
	s_mov_b64 s[26:27], -1
                                        ; implicit-def: $vgpr0_vgpr1
	s_branch .LBB119_2609
.LBB119_2595:
	s_mov_b64 s[0:1], -1
                                        ; implicit-def: $vgpr2_vgpr3
.LBB119_2596:
	s_andn2_b64 vcc, exec, s[0:1]
	s_cbranch_vccnz .LBB119_2598
; %bb.2597:
	global_load_dwordx2 v[1:2], v[4:5], off
	s_waitcnt vmcnt(0)
	v_cvt_f64_f32_e32 v[0:1], v1
	v_cvt_f64_f32_e32 v[2:3], v2
.LBB119_2598:
	s_mov_b64 s[0:1], 0
.LBB119_2599:
	s_andn2_b64 vcc, exec, s[0:1]
	s_cbranch_vccnz .LBB119_2601
; %bb.2600:
	global_load_dword v0, v[4:5], off
	s_waitcnt vmcnt(0)
	v_cvt_f32_f16_e32 v1, v0
	v_cvt_f32_f16_sdwa v2, v0 dst_sel:DWORD dst_unused:UNUSED_PAD src0_sel:WORD_1
	v_cvt_f64_f32_e32 v[0:1], v1
	v_cvt_f64_f32_e32 v[2:3], v2
.LBB119_2601:
	s_mov_b64 s[0:1], 0
.LBB119_2602:
	s_andn2_b64 vcc, exec, s[0:1]
	s_cbranch_vccnz .LBB119_2620
; %bb.2603:
	s_cmp_lt_i32 s10, 6
	s_cbranch_scc1 .LBB119_2606
; %bb.2604:
	s_cmp_gt_i32 s10, 6
	s_cbranch_scc0 .LBB119_2613
; %bb.2605:
	global_load_dwordx2 v[0:1], v[4:5], off
	s_mov_b64 s[0:1], 0
	s_branch .LBB119_2614
.LBB119_2606:
	s_mov_b64 s[0:1], -1
                                        ; implicit-def: $vgpr0_vgpr1
	s_branch .LBB119_2617
.LBB119_2607:
	s_mov_b64 s[0:1], -1
                                        ; implicit-def: $vgpr0_vgpr1
.LBB119_2608:
	s_mov_b64 s[26:27], 0
.LBB119_2609:
	s_and_b64 vcc, exec, s[26:27]
	s_cbranch_vccz .LBB119_2611
; %bb.2610:
	s_cmp_lg_u32 s33, 11
	s_mov_b64 s[10:11], -1
	s_cselect_b64 s[0:1], -1, 0
.LBB119_2611:
	v_mov_b32_e32 v2, 0
	v_mov_b32_e32 v3, 0
	s_and_b64 vcc, exec, s[0:1]
	s_cbranch_vccz .LBB119_2569
.LBB119_2612:
	s_trap 2
	s_or_b64 s[4:5], s[4:5], exec
	s_cbranch_execz .LBB119_2570
	s_branch .LBB119_2571
.LBB119_2613:
	s_mov_b64 s[0:1], -1
                                        ; implicit-def: $vgpr0_vgpr1
.LBB119_2614:
	s_andn2_b64 vcc, exec, s[0:1]
	s_cbranch_vccnz .LBB119_2616
; %bb.2615:
	global_load_dword v0, v[4:5], off
	s_waitcnt vmcnt(0)
	v_cvt_f64_f32_e32 v[0:1], v0
.LBB119_2616:
	s_mov_b64 s[0:1], 0
.LBB119_2617:
	s_andn2_b64 vcc, exec, s[0:1]
	s_cbranch_vccnz .LBB119_2619
; %bb.2618:
	global_load_ushort v0, v[4:5], off
	s_waitcnt vmcnt(0)
	v_cvt_f32_f16_e32 v0, v0
	v_cvt_f64_f32_e32 v[0:1], v0
.LBB119_2619:
	s_waitcnt vmcnt(0)
	v_mov_b32_e32 v2, 0
	v_mov_b32_e32 v3, 0
.LBB119_2620:
	s_mov_b64 s[0:1], 0
.LBB119_2621:
	s_andn2_b64 vcc, exec, s[0:1]
	s_cbranch_vccnz .LBB119_2642
; %bb.2622:
	s_cmp_lt_i32 s10, 2
	s_cbranch_scc1 .LBB119_2626
; %bb.2623:
	s_cmp_lt_i32 s10, 3
	s_cbranch_scc1 .LBB119_2627
; %bb.2624:
	s_cmp_gt_i32 s10, 3
	s_cbranch_scc0 .LBB119_2628
; %bb.2625:
	global_load_dwordx2 v[0:1], v[4:5], off
	s_mov_b64 s[0:1], 0
	s_waitcnt vmcnt(0)
	v_cvt_f64_i32_e32 v[1:2], v1
	v_cvt_f64_u32_e32 v[6:7], v0
	v_ldexp_f64 v[1:2], v[1:2], 32
	v_add_f64 v[0:1], v[1:2], v[6:7]
	s_branch .LBB119_2629
.LBB119_2626:
	s_mov_b64 s[0:1], -1
                                        ; implicit-def: $vgpr0_vgpr1
	s_branch .LBB119_2635
.LBB119_2627:
	s_mov_b64 s[0:1], -1
                                        ; implicit-def: $vgpr0_vgpr1
	s_branch .LBB119_2632
.LBB119_2628:
	s_mov_b64 s[0:1], -1
                                        ; implicit-def: $vgpr0_vgpr1
.LBB119_2629:
	s_andn2_b64 vcc, exec, s[0:1]
	s_cbranch_vccnz .LBB119_2631
; %bb.2630:
	global_load_dword v0, v[4:5], off
	s_waitcnt vmcnt(0)
	v_cvt_f64_i32_e32 v[0:1], v0
.LBB119_2631:
	s_mov_b64 s[0:1], 0
.LBB119_2632:
	s_andn2_b64 vcc, exec, s[0:1]
	s_cbranch_vccnz .LBB119_2634
; %bb.2633:
	global_load_sshort v0, v[4:5], off
	s_waitcnt vmcnt(0)
	v_cvt_f64_i32_e32 v[0:1], v0
.LBB119_2634:
	s_mov_b64 s[0:1], 0
.LBB119_2635:
	s_andn2_b64 vcc, exec, s[0:1]
	s_cbranch_vccnz .LBB119_2641
; %bb.2636:
	s_cmp_gt_i32 s10, 0
	s_cbranch_scc0 .LBB119_2638
; %bb.2637:
	global_load_sbyte v0, v[4:5], off
	s_mov_b64 s[0:1], 0
	s_waitcnt vmcnt(0)
	v_cvt_f64_i32_e32 v[0:1], v0
	s_branch .LBB119_2639
.LBB119_2638:
	s_mov_b64 s[0:1], -1
                                        ; implicit-def: $vgpr0_vgpr1
.LBB119_2639:
	s_andn2_b64 vcc, exec, s[0:1]
	s_cbranch_vccnz .LBB119_2641
; %bb.2640:
	global_load_ubyte v0, v[4:5], off
	s_waitcnt vmcnt(0)
	v_cvt_f64_u32_e32 v[0:1], v0
.LBB119_2641:
	s_waitcnt vmcnt(0)
	v_mov_b32_e32 v2, 0
	v_mov_b32_e32 v3, 0
.LBB119_2642:
	s_mov_b64 s[24:25], -1
.LBB119_2643:
	s_andn2_b64 vcc, exec, s[24:25]
	s_cbranch_vccnz .LBB119_2781
; %bb.2644:
	v_mov_b32_e32 v4, s17
	v_add_co_u32_e32 v15, vcc, s16, v15
	s_cmp_lt_i32 s31, 11
	v_addc_co_u32_e32 v16, vcc, 0, v4, vcc
	s_cbranch_scc1 .LBB119_2651
; %bb.2645:
	s_and_b32 s28, 0xffff, s31
	s_cmp_gt_i32 s28, 25
	s_mov_b64 s[10:11], 0
	s_cbranch_scc0 .LBB119_2652
; %bb.2646:
	s_cmp_gt_i32 s28, 28
	s_cbranch_scc0 .LBB119_2653
; %bb.2647:
	s_cmp_gt_i32 s28, 43
	;; [unrolled: 3-line block ×3, first 2 shown]
	s_cbranch_scc0 .LBB119_2655
; %bb.2649:
	s_cmp_eq_u32 s28, 46
	s_mov_b64 s[24:25], 0
	s_cbranch_scc0 .LBB119_2656
; %bb.2650:
	global_load_dword v4, v[15:16], off
	s_mov_b64 s[0:1], 0
	s_mov_b64 s[16:17], -1
	s_waitcnt vmcnt(0)
	v_and_b32_e32 v6, 0xffff0000, v4
	v_lshlrev_b32_e32 v4, 16, v4
	v_cvt_f64_f32_e32 v[4:5], v4
	v_cvt_f64_f32_e32 v[6:7], v6
	s_branch .LBB119_2657
.LBB119_2651:
	s_mov_b64 s[0:1], -1
	s_mov_b64 s[16:17], 0
                                        ; implicit-def: $vgpr6_vgpr7
	s_branch .LBB119_2707
.LBB119_2652:
	s_mov_b64 s[24:25], -1
	s_mov_b64 s[16:17], 0
	s_mov_b64 s[0:1], 0
                                        ; implicit-def: $vgpr6_vgpr7
	s_branch .LBB119_2690
.LBB119_2653:
	s_mov_b64 s[24:25], -1
	s_mov_b64 s[16:17], 0
	s_mov_b64 s[0:1], 0
                                        ; implicit-def: $vgpr6_vgpr7
	s_branch .LBB119_2669
.LBB119_2654:
	s_mov_b64 s[24:25], -1
	s_mov_b64 s[16:17], 0
	s_mov_b64 s[0:1], 0
                                        ; implicit-def: $vgpr6_vgpr7
	s_branch .LBB119_2663
.LBB119_2655:
	s_mov_b64 s[24:25], -1
	s_mov_b64 s[16:17], 0
	s_mov_b64 s[0:1], 0
                                        ; implicit-def: $vgpr6_vgpr7
	s_branch .LBB119_2657
.LBB119_2656:
	s_mov_b64 s[0:1], -1
                                        ; implicit-def: $vgpr6_vgpr7
	s_mov_b64 s[16:17], 0
.LBB119_2657:
	s_and_b64 vcc, exec, s[24:25]
	s_cbranch_vccz .LBB119_2662
; %bb.2658:
	s_cmp_eq_u32 s28, 44
	s_cbranch_scc0 .LBB119_2660
; %bb.2659:
	global_load_ubyte v6, v[15:16], off
	s_movk_i32 s16, 0xff
	v_bfrev_b32_e32 v7, 4
	v_mov_b32_e32 v9, 0x7ff80000
	v_bfrev_b32_e32 v11, 28
	s_mov_b64 s[0:1], 0
	s_waitcnt vmcnt(0)
	v_lshlrev_b32_e32 v4, 23, v6
	v_cvt_f64_f32_e32 v[4:5], v4
	v_cmp_ne_u32_e32 vcc, s16, v6
	s_mov_b64 s[16:17], -1
	v_cndmask_b32_e32 v4, v7, v4, vcc
	v_cndmask_b32_e32 v5, v9, v5, vcc
	v_cmp_ne_u32_e32 vcc, 0, v6
	v_cndmask_b32_e32 v5, v11, v5, vcc
	v_cndmask_b32_e32 v4, 0, v4, vcc
	s_branch .LBB119_2661
.LBB119_2660:
	s_mov_b64 s[0:1], -1
                                        ; implicit-def: $vgpr4_vgpr5
.LBB119_2661:
	v_mov_b32_e32 v6, 0
	v_mov_b32_e32 v7, 0
.LBB119_2662:
	s_mov_b64 s[24:25], 0
.LBB119_2663:
	s_and_b64 vcc, exec, s[24:25]
	s_cbranch_vccz .LBB119_2668
; %bb.2664:
	s_cmp_eq_u32 s28, 29
	s_cbranch_scc0 .LBB119_2666
; %bb.2665:
	global_load_dwordx2 v[4:5], v[15:16], off
	s_mov_b64 s[0:1], 0
	s_mov_b64 s[16:17], -1
	s_waitcnt vmcnt(0)
	v_cvt_f64_u32_e32 v[5:6], v5
	v_cvt_f64_u32_e32 v[17:18], v4
	v_ldexp_f64 v[5:6], v[5:6], 32
	v_add_f64 v[4:5], v[5:6], v[17:18]
	s_branch .LBB119_2667
.LBB119_2666:
	s_mov_b64 s[0:1], -1
                                        ; implicit-def: $vgpr4_vgpr5
.LBB119_2667:
	v_mov_b32_e32 v6, 0
	v_mov_b32_e32 v7, 0
.LBB119_2668:
	s_mov_b64 s[24:25], 0
.LBB119_2669:
	s_and_b64 vcc, exec, s[24:25]
	s_cbranch_vccz .LBB119_2689
; %bb.2670:
	s_cmp_lt_i32 s28, 27
	s_cbranch_scc1 .LBB119_2673
; %bb.2671:
	s_cmp_gt_i32 s28, 27
	s_cbranch_scc0 .LBB119_2674
; %bb.2672:
	global_load_dword v4, v[15:16], off
	s_mov_b64 s[16:17], 0
	s_waitcnt vmcnt(0)
	v_cvt_f64_u32_e32 v[4:5], v4
	s_branch .LBB119_2675
.LBB119_2673:
	s_mov_b64 s[16:17], -1
                                        ; implicit-def: $vgpr4_vgpr5
	s_branch .LBB119_2678
.LBB119_2674:
	s_mov_b64 s[16:17], -1
                                        ; implicit-def: $vgpr4_vgpr5
.LBB119_2675:
	s_andn2_b64 vcc, exec, s[16:17]
	s_cbranch_vccnz .LBB119_2677
; %bb.2676:
	global_load_ushort v4, v[15:16], off
	s_waitcnt vmcnt(0)
	v_cvt_f64_u32_e32 v[4:5], v4
.LBB119_2677:
	s_mov_b64 s[16:17], 0
.LBB119_2678:
	s_andn2_b64 vcc, exec, s[16:17]
	s_cbranch_vccnz .LBB119_2688
; %bb.2679:
	global_load_ubyte v6, v[15:16], off
	s_movk_i32 s16, 0x7f
	s_waitcnt vmcnt(0)
	v_cmp_lt_i16_e32 vcc, s16, v6
	s_mov_b64 s[16:17], 0
	s_and_saveexec_b64 s[24:25], vcc
	s_xor_b64 s[24:25], exec, s[24:25]
	s_cbranch_execz .LBB119_2683
; %bb.2680:
	s_movk_i32 s16, 0x80
	v_cmp_eq_u16_e32 vcc, s16, v6
	s_mov_b64 s[16:17], -1
	s_and_saveexec_b64 s[26:27], vcc
; %bb.2681:
	s_xor_b64 s[16:17], exec, -1
; %bb.2682:
	s_or_b64 exec, exec, s[26:27]
	s_and_b64 s[16:17], s[16:17], exec
.LBB119_2683:
	s_or_saveexec_b64 s[24:25], s[24:25]
	v_bfrev_b32_e32 v4, 4
	v_mov_b32_e32 v5, 0x7ff80000
	s_xor_b64 exec, exec, s[24:25]
; %bb.2684:
	v_cmp_ne_u16_e32 vcc, 0, v6
	v_mov_b32_e32 v4, 0
	s_andn2_b64 s[16:17], s[16:17], exec
	s_and_b64 s[26:27], vcc, exec
	v_mov_b32_e32 v5, 0
	s_or_b64 s[16:17], s[16:17], s[26:27]
; %bb.2685:
	s_or_b64 exec, exec, s[24:25]
	s_and_saveexec_b64 s[24:25], s[16:17]
	s_cbranch_execz .LBB119_2687
; %bb.2686:
	v_and_b32_e32 v5, 0xffff, v6
	v_lshlrev_b32_e32 v4, 24, v6
	v_and_b32_e32 v6, 7, v5
	v_ffbh_u32_e32 v9, v6
	v_min_u32_e32 v9, 32, v9
	v_subrev_u32_e32 v11, 28, v9
	v_bfe_u32 v7, v5, 3, 4
	v_lshlrev_b32_e32 v5, v11, v5
	v_sub_u32_e32 v9, 29, v9
	v_and_b32_e32 v5, 7, v5
	v_cmp_eq_u32_e32 vcc, 0, v7
	v_cndmask_b32_e32 v7, v7, v9, vcc
	v_cndmask_b32_e32 v5, v6, v5, vcc
	v_mov_b32_e32 v6, 0x3b800000
	v_lshlrev_b32_e32 v5, 20, v5
	v_and_b32_e32 v4, 0x80000000, v4
	v_lshl_add_u32 v6, v7, 23, v6
	v_or3_b32 v4, v4, v6, v5
	v_cvt_f64_f32_e32 v[4:5], v4
.LBB119_2687:
	s_or_b64 exec, exec, s[24:25]
.LBB119_2688:
	v_mov_b32_e32 v6, 0
	v_mov_b32_e32 v7, 0
	s_mov_b64 s[16:17], -1
.LBB119_2689:
	s_mov_b64 s[24:25], 0
.LBB119_2690:
	s_and_b64 vcc, exec, s[24:25]
	s_cbranch_vccz .LBB119_2703
; %bb.2691:
	s_cmp_gt_i32 s28, 22
	s_cbranch_scc0 .LBB119_2714
; %bb.2692:
	s_cmp_lt_i32 s28, 24
	s_cbranch_scc1 .LBB119_2716
; %bb.2693:
	s_cmp_gt_i32 s28, 24
	s_cbranch_scc0 .LBB119_2718
; %bb.2694:
	global_load_ubyte v6, v[15:16], off
	s_movk_i32 s10, 0x7f
	s_waitcnt vmcnt(0)
	v_cmp_lt_i16_e32 vcc, s10, v6
	s_mov_b64 s[10:11], 0
	s_and_saveexec_b64 s[16:17], vcc
	s_xor_b64 s[16:17], exec, s[16:17]
	s_cbranch_execz .LBB119_2698
; %bb.2695:
	s_movk_i32 s10, 0x80
	v_cmp_eq_u16_e32 vcc, s10, v6
	s_mov_b64 s[10:11], -1
	s_and_saveexec_b64 s[24:25], vcc
; %bb.2696:
	s_xor_b64 s[10:11], exec, -1
; %bb.2697:
	s_or_b64 exec, exec, s[24:25]
	s_and_b64 s[10:11], s[10:11], exec
.LBB119_2698:
	s_or_saveexec_b64 s[16:17], s[16:17]
	v_bfrev_b32_e32 v4, 4
	v_mov_b32_e32 v5, 0x7ff80000
	s_xor_b64 exec, exec, s[16:17]
; %bb.2699:
	v_cmp_ne_u16_e32 vcc, 0, v6
	v_mov_b32_e32 v4, 0
	s_andn2_b64 s[10:11], s[10:11], exec
	s_and_b64 s[24:25], vcc, exec
	v_mov_b32_e32 v5, 0
	s_or_b64 s[10:11], s[10:11], s[24:25]
; %bb.2700:
	s_or_b64 exec, exec, s[16:17]
	s_and_saveexec_b64 s[16:17], s[10:11]
	s_cbranch_execz .LBB119_2702
; %bb.2701:
	v_and_b32_e32 v5, 0xffff, v6
	v_lshlrev_b32_e32 v4, 24, v6
	v_and_b32_e32 v6, 3, v5
	v_ffbh_u32_e32 v9, v6
	v_min_u32_e32 v9, 32, v9
	v_subrev_u32_e32 v11, 29, v9
	v_bfe_u32 v7, v5, 2, 5
	v_lshlrev_b32_e32 v5, v11, v5
	v_sub_u32_e32 v9, 30, v9
	v_and_b32_e32 v5, 3, v5
	v_cmp_eq_u32_e32 vcc, 0, v7
	v_cndmask_b32_e32 v7, v7, v9, vcc
	v_cndmask_b32_e32 v5, v6, v5, vcc
	v_mov_b32_e32 v6, 0x37800000
	v_lshlrev_b32_e32 v5, 21, v5
	v_and_b32_e32 v4, 0x80000000, v4
	v_lshl_add_u32 v6, v7, 23, v6
	v_or3_b32 v4, v4, v6, v5
	v_cvt_f64_f32_e32 v[4:5], v4
.LBB119_2702:
	s_or_b64 exec, exec, s[16:17]
	s_mov_b64 s[10:11], 0
	s_branch .LBB119_2719
.LBB119_2703:
	s_and_b64 vcc, exec, s[0:1]
	s_cbranch_vccnz .LBB119_2747
.LBB119_2704:
	s_andn2_b64 vcc, exec, s[10:11]
	s_cbranch_vccnz .LBB119_2706
.LBB119_2705:
	global_load_ubyte v5, v[15:16], off
	v_mov_b32_e32 v9, 0x3ff00000
	v_mov_b32_e32 v6, 0
	;; [unrolled: 1-line block ×4, first 2 shown]
	s_mov_b64 s[16:17], -1
	s_waitcnt vmcnt(0)
	v_cmp_ne_u16_e32 vcc, 0, v5
	v_cndmask_b32_e32 v5, 0, v9, vcc
.LBB119_2706:
	s_mov_b64 s[0:1], 0
.LBB119_2707:
	s_and_b64 vcc, exec, s[0:1]
	s_cbranch_vccz .LBB119_2778
; %bb.2708:
	s_and_b32 s10, 0xffff, s31
	s_cmp_lt_i32 s10, 5
	s_cbranch_scc1 .LBB119_2713
; %bb.2709:
	s_cmp_lt_i32 s10, 8
	s_cbranch_scc1 .LBB119_2715
; %bb.2710:
	;; [unrolled: 3-line block ×3, first 2 shown]
	s_cmp_gt_i32 s10, 9
	s_cbranch_scc0 .LBB119_2730
; %bb.2712:
	global_load_dwordx4 v[4:7], v[15:16], off
	s_mov_b64 s[0:1], 0
	s_branch .LBB119_2731
.LBB119_2713:
	s_mov_b64 s[0:1], -1
                                        ; implicit-def: $vgpr6_vgpr7
	s_branch .LBB119_2756
.LBB119_2714:
	s_mov_b64 s[10:11], -1
                                        ; implicit-def: $vgpr4_vgpr5
	s_branch .LBB119_2725
.LBB119_2715:
	s_mov_b64 s[0:1], -1
                                        ; implicit-def: $vgpr6_vgpr7
	s_branch .LBB119_2737
.LBB119_2716:
	s_mov_b64 s[10:11], -1
                                        ; implicit-def: $vgpr4_vgpr5
	s_branch .LBB119_2722
.LBB119_2717:
	s_mov_b64 s[0:1], -1
                                        ; implicit-def: $vgpr6_vgpr7
	s_branch .LBB119_2734
.LBB119_2718:
	s_mov_b64 s[10:11], -1
                                        ; implicit-def: $vgpr4_vgpr5
.LBB119_2719:
	s_and_b64 vcc, exec, s[10:11]
	s_cbranch_vccz .LBB119_2721
; %bb.2720:
	global_load_ubyte v4, v[15:16], off
	s_mov_b32 s10, 0x7f800000
	s_waitcnt vmcnt(0)
	v_lshlrev_b32_e32 v4, 24, v4
	v_and_b32_e32 v5, 0x7f000000, v4
	v_ffbh_u32_e32 v6, v5
	v_min_u32_e32 v6, 32, v6
	v_sub_u32_e64 v6, v6, 4 clamp
	v_lshlrev_b32_e32 v9, v6, v5
	v_lshlrev_b32_e32 v6, 23, v6
	v_lshrrev_b32_e32 v9, 4, v9
	v_add_u32_e32 v7, 0x1000000, v5
	v_sub_u32_e32 v6, v9, v6
	v_ashrrev_i32_e32 v7, 8, v7
	v_add_u32_e32 v6, 0x3c000000, v6
	v_and_or_b32 v6, v7, s10, v6
	v_cmp_ne_u32_e32 vcc, 0, v5
	v_cndmask_b32_e32 v5, 0, v6, vcc
	s_brev_b32 s10, 1
	v_and_or_b32 v4, v4, s10, v5
	v_cvt_f64_f32_e32 v[4:5], v4
.LBB119_2721:
	s_mov_b64 s[10:11], 0
.LBB119_2722:
	s_andn2_b64 vcc, exec, s[10:11]
	s_cbranch_vccnz .LBB119_2724
; %bb.2723:
	global_load_ubyte v4, v[15:16], off
	s_movk_i32 s10, 0x7f00
	s_brev_b32 s11, 16
	s_waitcnt vmcnt(0)
	v_lshlrev_b16_e32 v5, 8, v4
	v_lshlrev_b32_e32 v4, 25, v4
	v_lshrrev_b32_e32 v6, 4, v4
	v_and_or_b32 v7, v5, s10, 0.5
	v_or_b32_e32 v6, 0x70000000, v6
	v_add_f32_e32 v7, -0.5, v7
	v_mul_f32_e32 v6, 0x7800000, v6
	v_cmp_gt_u32_e32 vcc, s11, v4
	v_bfe_i32 v5, v5, 0, 16
	v_cndmask_b32_e32 v4, v6, v7, vcc
	s_brev_b32 s10, 1
	v_and_or_b32 v4, v5, s10, v4
	v_cvt_f64_f32_e32 v[4:5], v4
.LBB119_2724:
	s_mov_b64 s[10:11], 0
	s_mov_b64 s[16:17], -1
.LBB119_2725:
	s_andn2_b64 vcc, exec, s[10:11]
	s_mov_b64 s[10:11], 0
	s_cbranch_vccnz .LBB119_2746
; %bb.2726:
	s_cmp_gt_i32 s28, 14
	s_cbranch_scc0 .LBB119_2729
; %bb.2727:
	s_cmp_eq_u32 s28, 15
	s_cbranch_scc0 .LBB119_2742
; %bb.2728:
	global_load_ushort v4, v[15:16], off
	s_mov_b64 s[0:1], 0
	s_mov_b64 s[16:17], -1
	s_waitcnt vmcnt(0)
	v_lshlrev_b32_e32 v4, 16, v4
	v_cvt_f64_f32_e32 v[4:5], v4
	s_branch .LBB119_2743
.LBB119_2729:
	s_mov_b64 s[24:25], -1
                                        ; implicit-def: $vgpr4_vgpr5
	s_branch .LBB119_2744
.LBB119_2730:
	s_mov_b64 s[0:1], -1
                                        ; implicit-def: $vgpr6_vgpr7
.LBB119_2731:
	s_andn2_b64 vcc, exec, s[0:1]
	s_cbranch_vccnz .LBB119_2733
; %bb.2732:
	global_load_dwordx2 v[5:6], v[15:16], off
	s_waitcnt vmcnt(0)
	v_cvt_f64_f32_e32 v[4:5], v5
	v_cvt_f64_f32_e32 v[6:7], v6
.LBB119_2733:
	s_mov_b64 s[0:1], 0
.LBB119_2734:
	s_andn2_b64 vcc, exec, s[0:1]
	s_cbranch_vccnz .LBB119_2736
; %bb.2735:
	global_load_dword v4, v[15:16], off
	s_waitcnt vmcnt(0)
	v_cvt_f32_f16_e32 v5, v4
	v_cvt_f32_f16_sdwa v6, v4 dst_sel:DWORD dst_unused:UNUSED_PAD src0_sel:WORD_1
	v_cvt_f64_f32_e32 v[4:5], v5
	v_cvt_f64_f32_e32 v[6:7], v6
.LBB119_2736:
	s_mov_b64 s[0:1], 0
.LBB119_2737:
	s_andn2_b64 vcc, exec, s[0:1]
	s_cbranch_vccnz .LBB119_2755
; %bb.2738:
	s_cmp_lt_i32 s10, 6
	s_cbranch_scc1 .LBB119_2741
; %bb.2739:
	s_cmp_gt_i32 s10, 6
	s_cbranch_scc0 .LBB119_2748
; %bb.2740:
	global_load_dwordx2 v[4:5], v[15:16], off
	s_mov_b64 s[0:1], 0
	s_branch .LBB119_2749
.LBB119_2741:
	s_mov_b64 s[0:1], -1
                                        ; implicit-def: $vgpr4_vgpr5
	s_branch .LBB119_2752
.LBB119_2742:
	s_mov_b64 s[0:1], -1
                                        ; implicit-def: $vgpr4_vgpr5
.LBB119_2743:
	s_mov_b64 s[24:25], 0
.LBB119_2744:
	s_and_b64 vcc, exec, s[24:25]
	s_cbranch_vccz .LBB119_2746
; %bb.2745:
	s_cmp_lg_u32 s28, 11
	s_mov_b64 s[10:11], -1
	s_cselect_b64 s[0:1], -1, 0
.LBB119_2746:
	v_mov_b32_e32 v6, 0
	v_mov_b32_e32 v7, 0
	s_and_b64 vcc, exec, s[0:1]
	s_cbranch_vccz .LBB119_2704
.LBB119_2747:
	s_trap 2
	s_or_b64 s[4:5], s[4:5], exec
	s_cbranch_execz .LBB119_2705
	s_branch .LBB119_2706
.LBB119_2748:
	s_mov_b64 s[0:1], -1
                                        ; implicit-def: $vgpr4_vgpr5
.LBB119_2749:
	s_andn2_b64 vcc, exec, s[0:1]
	s_cbranch_vccnz .LBB119_2751
; %bb.2750:
	global_load_dword v4, v[15:16], off
	s_waitcnt vmcnt(0)
	v_cvt_f64_f32_e32 v[4:5], v4
.LBB119_2751:
	s_mov_b64 s[0:1], 0
.LBB119_2752:
	s_andn2_b64 vcc, exec, s[0:1]
	s_cbranch_vccnz .LBB119_2754
; %bb.2753:
	global_load_ushort v4, v[15:16], off
	s_waitcnt vmcnt(0)
	v_cvt_f32_f16_e32 v4, v4
	v_cvt_f64_f32_e32 v[4:5], v4
.LBB119_2754:
	s_waitcnt vmcnt(0)
	v_mov_b32_e32 v6, 0
	v_mov_b32_e32 v7, 0
.LBB119_2755:
	s_mov_b64 s[0:1], 0
.LBB119_2756:
	s_andn2_b64 vcc, exec, s[0:1]
	s_cbranch_vccnz .LBB119_2777
; %bb.2757:
	s_cmp_lt_i32 s10, 2
	s_cbranch_scc1 .LBB119_2761
; %bb.2758:
	s_cmp_lt_i32 s10, 3
	s_cbranch_scc1 .LBB119_2762
; %bb.2759:
	s_cmp_gt_i32 s10, 3
	s_cbranch_scc0 .LBB119_2763
; %bb.2760:
	global_load_dwordx2 v[4:5], v[15:16], off
	s_mov_b64 s[0:1], 0
	s_waitcnt vmcnt(0)
	v_cvt_f64_i32_e32 v[5:6], v5
	v_cvt_f64_u32_e32 v[17:18], v4
	v_ldexp_f64 v[5:6], v[5:6], 32
	v_add_f64 v[4:5], v[5:6], v[17:18]
	s_branch .LBB119_2764
.LBB119_2761:
	s_mov_b64 s[0:1], -1
                                        ; implicit-def: $vgpr4_vgpr5
	s_branch .LBB119_2770
.LBB119_2762:
	s_mov_b64 s[0:1], -1
                                        ; implicit-def: $vgpr4_vgpr5
	s_branch .LBB119_2767
.LBB119_2763:
	s_mov_b64 s[0:1], -1
                                        ; implicit-def: $vgpr4_vgpr5
.LBB119_2764:
	s_andn2_b64 vcc, exec, s[0:1]
	s_cbranch_vccnz .LBB119_2766
; %bb.2765:
	global_load_dword v4, v[15:16], off
	s_waitcnt vmcnt(0)
	v_cvt_f64_i32_e32 v[4:5], v4
.LBB119_2766:
	s_mov_b64 s[0:1], 0
.LBB119_2767:
	s_andn2_b64 vcc, exec, s[0:1]
	s_cbranch_vccnz .LBB119_2769
; %bb.2768:
	global_load_sshort v4, v[15:16], off
	s_waitcnt vmcnt(0)
	v_cvt_f64_i32_e32 v[4:5], v4
.LBB119_2769:
	s_mov_b64 s[0:1], 0
.LBB119_2770:
	s_andn2_b64 vcc, exec, s[0:1]
	s_cbranch_vccnz .LBB119_2776
; %bb.2771:
	s_cmp_gt_i32 s10, 0
	s_cbranch_scc0 .LBB119_2773
; %bb.2772:
	global_load_sbyte v4, v[15:16], off
	s_mov_b64 s[0:1], 0
	s_waitcnt vmcnt(0)
	v_cvt_f64_i32_e32 v[4:5], v4
	s_branch .LBB119_2774
.LBB119_2773:
	s_mov_b64 s[0:1], -1
                                        ; implicit-def: $vgpr4_vgpr5
.LBB119_2774:
	s_andn2_b64 vcc, exec, s[0:1]
	s_cbranch_vccnz .LBB119_2776
; %bb.2775:
	global_load_ubyte v4, v[15:16], off
	s_waitcnt vmcnt(0)
	v_cvt_f64_u32_e32 v[4:5], v4
.LBB119_2776:
	s_waitcnt vmcnt(0)
	v_mov_b32_e32 v6, 0
	v_mov_b32_e32 v7, 0
.LBB119_2777:
	s_mov_b64 s[16:17], -1
.LBB119_2778:
	s_andn2_b64 vcc, exec, s[16:17]
	s_cbranch_vccnz .LBB119_2781
; %bb.2779:
	s_and_b64 vcc, exec, s[18:19]
	s_cbranch_vccz .LBB119_2827
; %bb.2780:
	s_waitcnt vmcnt(0)
	v_cmp_neq_f64_e32 vcc, v[0:1], v[4:5]
	v_cmp_neq_f64_e64 s[0:1], v[2:3], v[6:7]
	s_or_b64 s[10:11], vcc, s[0:1]
	s_mov_b64 s[0:1], 0
	s_branch .LBB119_2828
.LBB119_2781:
	s_mov_b64 s[0:1], 0
                                        ; implicit-def: $sgpr10_sgpr11
.LBB119_2782:
                                        ; implicit-def: $vgpr0_vgpr1
                                        ; implicit-def: $sgpr26
	s_mov_b64 s[2:3], 0
.LBB119_2783:
	s_and_b64 s[6:7], s[2:3], exec
	s_andn2_b64 s[2:3], s[12:13], exec
	s_and_b64 s[4:5], s[4:5], exec
	s_and_b64 s[0:1], s[0:1], exec
	s_or_b64 s[12:13], s[2:3], s[4:5]
.LBB119_2784:
	s_or_b64 exec, exec, s[14:15]
	s_and_saveexec_b64 s[2:3], s[12:13]
	s_cbranch_execz .LBB119_2787
; %bb.2785:
	; divergent unreachable
	s_or_b64 exec, exec, s[2:3]
	s_and_saveexec_b64 s[2:3], s[6:7]
	s_xor_b64 s[2:3], exec, s[2:3]
	s_cbranch_execnz .LBB119_2788
.LBB119_2786:
	s_or_b64 exec, exec, s[2:3]
	s_and_saveexec_b64 s[2:3], s[0:1]
	s_cbranch_execnz .LBB119_2789
	s_branch .LBB119_2826
.LBB119_2787:
	s_or_b64 exec, exec, s[2:3]
	s_and_saveexec_b64 s[2:3], s[6:7]
	s_xor_b64 s[2:3], exec, s[2:3]
	s_cbranch_execz .LBB119_2786
.LBB119_2788:
	s_waitcnt vmcnt(0)
	v_cndmask_b32_e64 v2, 0, 1, s[10:11]
	global_store_byte v[0:1], v2, off
	s_or_b64 exec, exec, s[2:3]
	s_and_saveexec_b64 s[2:3], s[0:1]
	s_cbranch_execz .LBB119_2826
.LBB119_2789:
	s_sext_i32_i16 s2, s26
	s_cmp_lt_i32 s2, 5
	s_mov_b64 s[0:1], -1
	s_cbranch_scc1 .LBB119_2810
; %bb.2790:
	s_cmp_lt_i32 s2, 8
	s_cbranch_scc1 .LBB119_2800
; %bb.2791:
	s_cmp_lt_i32 s2, 9
	s_cbranch_scc1 .LBB119_2797
; %bb.2792:
	s_cmp_gt_i32 s2, 9
	s_cbranch_scc0 .LBB119_2794
; %bb.2793:
	s_waitcnt vmcnt(0)
	v_cndmask_b32_e64 v2, 0, 1, s[10:11]
	v_cvt_f64_u32_e32 v[2:3], v2
	v_mov_b32_e32 v4, 0
	v_mov_b32_e32 v5, v4
	s_mov_b64 s[0:1], 0
	global_store_dwordx4 v[0:1], v[2:5], off
.LBB119_2794:
	s_andn2_b64 vcc, exec, s[0:1]
	s_cbranch_vccnz .LBB119_2796
; %bb.2795:
	s_waitcnt vmcnt(0)
	v_cndmask_b32_e64 v2, 0, 1.0, s[10:11]
	v_mov_b32_e32 v3, 0
	global_store_dwordx2 v[0:1], v[2:3], off
.LBB119_2796:
	s_mov_b64 s[0:1], 0
.LBB119_2797:
	s_andn2_b64 vcc, exec, s[0:1]
	s_cbranch_vccnz .LBB119_2799
; %bb.2798:
	s_waitcnt vmcnt(0)
	v_cndmask_b32_e64 v2, 0, 1.0, s[10:11]
	v_cvt_f16_f32_e32 v2, v2
	global_store_dword v[0:1], v2, off
.LBB119_2799:
	s_mov_b64 s[0:1], 0
.LBB119_2800:
	s_andn2_b64 vcc, exec, s[0:1]
	s_cbranch_vccnz .LBB119_2809
; %bb.2801:
	s_sext_i32_i16 s2, s26
	s_cmp_lt_i32 s2, 6
	s_mov_b64 s[0:1], -1
	s_cbranch_scc1 .LBB119_2807
; %bb.2802:
	s_cmp_gt_i32 s2, 6
	s_cbranch_scc0 .LBB119_2804
; %bb.2803:
	s_waitcnt vmcnt(0)
	v_cndmask_b32_e64 v2, 0, 1, s[10:11]
	v_cvt_f64_u32_e32 v[2:3], v2
	s_mov_b64 s[0:1], 0
	global_store_dwordx2 v[0:1], v[2:3], off
.LBB119_2804:
	s_andn2_b64 vcc, exec, s[0:1]
	s_cbranch_vccnz .LBB119_2806
; %bb.2805:
	s_waitcnt vmcnt(0)
	v_cndmask_b32_e64 v2, 0, 1.0, s[10:11]
	global_store_dword v[0:1], v2, off
.LBB119_2806:
	s_mov_b64 s[0:1], 0
.LBB119_2807:
	s_andn2_b64 vcc, exec, s[0:1]
	s_cbranch_vccnz .LBB119_2809
; %bb.2808:
	s_waitcnt vmcnt(0)
	v_cndmask_b32_e64 v2, 0, 1.0, s[10:11]
	v_cvt_f16_f32_e32 v2, v2
	global_store_short v[0:1], v2, off
.LBB119_2809:
	s_mov_b64 s[0:1], 0
.LBB119_2810:
	s_andn2_b64 vcc, exec, s[0:1]
	s_cbranch_vccnz .LBB119_2826
; %bb.2811:
	s_sext_i32_i16 s2, s26
	s_cmp_lt_i32 s2, 2
	s_mov_b64 s[0:1], -1
	s_cbranch_scc1 .LBB119_2821
; %bb.2812:
	s_cmp_lt_i32 s2, 3
	s_cbranch_scc1 .LBB119_2818
; %bb.2813:
	s_cmp_gt_i32 s2, 3
	s_cbranch_scc0 .LBB119_2815
; %bb.2814:
	s_mov_b32 s0, 0
	s_waitcnt vmcnt(0)
	v_cndmask_b32_e64 v2, 0, 1, s[10:11]
	v_mov_b32_e32 v3, s0
	global_store_dwordx2 v[0:1], v[2:3], off
	s_mov_b64 s[0:1], 0
.LBB119_2815:
	s_andn2_b64 vcc, exec, s[0:1]
	s_cbranch_vccnz .LBB119_2817
; %bb.2816:
	s_waitcnt vmcnt(0)
	v_cndmask_b32_e64 v2, 0, 1, s[10:11]
	global_store_dword v[0:1], v2, off
.LBB119_2817:
	s_mov_b64 s[0:1], 0
.LBB119_2818:
	s_andn2_b64 vcc, exec, s[0:1]
	s_cbranch_vccnz .LBB119_2820
; %bb.2819:
	s_waitcnt vmcnt(0)
	v_cndmask_b32_e64 v2, 0, 1, s[10:11]
	global_store_short v[0:1], v2, off
.LBB119_2820:
	s_mov_b64 s[0:1], 0
.LBB119_2821:
	s_andn2_b64 vcc, exec, s[0:1]
	s_cbranch_vccnz .LBB119_2826
; %bb.2822:
	s_sext_i32_i16 s0, s26
	s_cmp_gt_i32 s0, 0
	s_mov_b64 s[0:1], -1
	s_cbranch_scc0 .LBB119_2824
; %bb.2823:
	s_waitcnt vmcnt(0)
	v_cndmask_b32_e64 v2, 0, 1, s[10:11]
	global_store_byte v[0:1], v2, off
	s_mov_b64 s[0:1], 0
.LBB119_2824:
	s_andn2_b64 vcc, exec, s[0:1]
	s_cbranch_vccnz .LBB119_2826
; %bb.2825:
	s_waitcnt vmcnt(0)
	v_cndmask_b32_e64 v2, 0, 1, s[10:11]
	global_store_byte v[0:1], v2, off
	s_endpgm
.LBB119_2826:
	s_endpgm
.LBB119_2827:
	s_mov_b64 s[0:1], -1
                                        ; implicit-def: $sgpr10_sgpr11
.LBB119_2828:
	s_andn2_b64 vcc, exec, s[0:1]
	s_cbranch_vccnz .LBB119_2830
; %bb.2829:
	s_waitcnt vmcnt(0)
	v_cmp_eq_f64_e32 vcc, v[0:1], v[4:5]
	v_cmp_eq_f64_e64 s[0:1], v[2:3], v[6:7]
	s_andn2_b64 s[10:11], s[10:11], exec
	s_and_b64 s[0:1], vcc, s[0:1]
	s_and_b64 s[0:1], s[0:1], exec
	s_or_b64 s[10:11], s[10:11], s[0:1]
.LBB119_2830:
	s_load_dword s0, s[2:3], 0x1a4
	s_waitcnt vmcnt(0)
	v_mov_b32_e32 v1, s9
	v_add_co_u32_e32 v0, vcc, s8, v14
	v_addc_co_u32_e32 v1, vcc, 0, v1, vcc
	s_waitcnt lgkmcnt(0)
	s_and_b32 s26, s0, 0xff
	s_cmp_lt_i32 s26, 11
	s_cbranch_scc1 .LBB119_2908
; %bb.2831:
	s_and_b32 s27, 0xffff, s26
	s_mov_b64 s[18:19], -1
	s_mov_b64 s[2:3], 0
	s_cmp_gt_i32 s27, 25
	s_mov_b64 s[16:17], 0
	s_mov_b64 s[0:1], 0
	s_cbranch_scc0 .LBB119_2864
; %bb.2832:
	s_cmp_gt_i32 s27, 28
	s_cbranch_scc0 .LBB119_2847
; %bb.2833:
	s_cmp_gt_i32 s27, 43
	;; [unrolled: 3-line block ×3, first 2 shown]
	s_cbranch_scc0 .LBB119_2837
; %bb.2835:
	s_mov_b64 s[0:1], -1
	s_mov_b64 s[18:19], 0
	s_cmp_eq_u32 s27, 46
	s_cbranch_scc0 .LBB119_2837
; %bb.2836:
	v_cndmask_b32_e64 v2, 0, 1.0, s[6:7]
	v_bfe_u32 v3, v2, 16, 1
	s_movk_i32 s0, 0x7fff
	v_add3_u32 v2, v2, v3, s0
	v_lshrrev_b32_e32 v2, 16, v2
	global_store_dword v[0:1], v2, off
	s_mov_b64 s[0:1], 0
	s_mov_b64 s[16:17], -1
.LBB119_2837:
	s_and_b64 vcc, exec, s[18:19]
	s_cbranch_vccz .LBB119_2842
; %bb.2838:
	s_cmp_eq_u32 s27, 44
	s_mov_b64 s[0:1], -1
	s_cbranch_scc0 .LBB119_2842
; %bb.2839:
	v_cndmask_b32_e64 v3, 0, 1.0, s[6:7]
	v_lshrrev_b32_e32 v2, 23, v3
	s_movk_i32 s0, 0xff
	v_cmp_ne_u32_e32 vcc, s0, v2
	v_mov_b32_e32 v4, 0xff
	s_and_saveexec_b64 s[16:17], vcc
; %bb.2840:
	s_mov_b32 s0, 0x3fffff
	v_and_b32_e32 v4, 0x400000, v3
	v_and_or_b32 v3, v3, s0, v2
	v_cmp_ne_u32_e32 vcc, 0, v4
	v_cmp_ne_u32_e64 s[0:1], 0, v3
	s_and_b64 s[0:1], vcc, s[0:1]
	v_cndmask_b32_e64 v3, 0, 1, s[0:1]
	v_add_u32_e32 v4, v2, v3
; %bb.2841:
	s_or_b64 exec, exec, s[16:17]
	s_mov_b64 s[0:1], 0
	s_mov_b64 s[16:17], -1
	global_store_byte v[0:1], v4, off
.LBB119_2842:
	s_mov_b64 s[18:19], 0
.LBB119_2843:
	s_and_b64 vcc, exec, s[18:19]
	s_cbranch_vccz .LBB119_2846
; %bb.2844:
	s_cmp_eq_u32 s27, 29
	s_mov_b64 s[0:1], -1
	s_cbranch_scc0 .LBB119_2846
; %bb.2845:
	s_mov_b32 s0, 0
	v_cndmask_b32_e64 v2, 0, 1, s[6:7]
	v_mov_b32_e32 v3, s0
	global_store_dwordx2 v[0:1], v[2:3], off
	s_mov_b64 s[0:1], 0
	s_mov_b64 s[16:17], -1
.LBB119_2846:
	s_mov_b64 s[18:19], 0
.LBB119_2847:
	s_and_b64 vcc, exec, s[18:19]
	s_cbranch_vccz .LBB119_2863
; %bb.2848:
	s_cmp_lt_i32 s27, 27
	s_mov_b64 s[16:17], -1
	s_cbranch_scc1 .LBB119_2854
; %bb.2849:
	s_cmp_gt_i32 s27, 27
	s_cbranch_scc0 .LBB119_2851
; %bb.2850:
	v_cndmask_b32_e64 v2, 0, 1, s[6:7]
	s_mov_b64 s[16:17], 0
	global_store_dword v[0:1], v2, off
.LBB119_2851:
	s_andn2_b64 vcc, exec, s[16:17]
	s_cbranch_vccnz .LBB119_2853
; %bb.2852:
	v_cndmask_b32_e64 v2, 0, 1, s[6:7]
	global_store_short v[0:1], v2, off
.LBB119_2853:
	s_mov_b64 s[16:17], 0
.LBB119_2854:
	s_andn2_b64 vcc, exec, s[16:17]
	s_cbranch_vccnz .LBB119_2862
; %bb.2855:
	v_cndmask_b32_e64 v3, 0, 1.0, s[6:7]
	s_mov_b32 s16, 0x43800000
	v_cmp_gt_u32_e32 vcc, s16, v3
	v_mov_b32_e32 v4, 0x80
	s_and_saveexec_b64 s[16:17], vcc
	s_cbranch_execz .LBB119_2861
; %bb.2856:
	s_mov_b32 s18, 0x3bffffff
	v_cmp_lt_u32_e32 vcc, s18, v3
	s_mov_b64 s[18:19], 0
                                        ; implicit-def: $vgpr2
	s_and_saveexec_b64 s[24:25], vcc
	s_xor_b64 s[24:25], exec, s[24:25]
	s_cbranch_execz .LBB119_3265
; %bb.2857:
	v_bfe_u32 v2, v3, 20, 1
	s_mov_b32 s28, 0x487ffff
	v_add3_u32 v2, v3, v2, s28
	s_mov_b64 s[18:19], exec
	v_lshrrev_b32_e32 v2, 20, v2
                                        ; implicit-def: $vgpr3
	s_andn2_saveexec_b64 s[24:25], s[24:25]
	s_cbranch_execnz .LBB119_3266
.LBB119_2858:
	s_or_b64 exec, exec, s[24:25]
	v_mov_b32_e32 v4, 0
	s_and_saveexec_b64 s[24:25], s[18:19]
.LBB119_2859:
	v_mov_b32_e32 v4, v2
.LBB119_2860:
	s_or_b64 exec, exec, s[24:25]
.LBB119_2861:
	s_or_b64 exec, exec, s[16:17]
	global_store_byte v[0:1], v4, off
.LBB119_2862:
	s_mov_b64 s[16:17], -1
.LBB119_2863:
	s_mov_b64 s[18:19], 0
.LBB119_2864:
	s_and_b64 vcc, exec, s[18:19]
	s_cbranch_vccz .LBB119_2904
; %bb.2865:
	s_cmp_gt_i32 s27, 22
	s_mov_b64 s[2:3], -1
	s_cbranch_scc0 .LBB119_2897
; %bb.2866:
	s_cmp_lt_i32 s27, 24
	s_cbranch_scc1 .LBB119_2886
; %bb.2867:
	s_cmp_gt_i32 s27, 24
	s_cbranch_scc0 .LBB119_2875
; %bb.2868:
	v_cndmask_b32_e64 v3, 0, 1.0, s[6:7]
	s_mov_b32 s2, 0x47800000
	v_cmp_gt_u32_e32 vcc, s2, v3
	v_mov_b32_e32 v4, 0x80
	s_and_saveexec_b64 s[2:3], vcc
	s_cbranch_execz .LBB119_2874
; %bb.2869:
	s_mov_b32 s16, 0x37ffffff
	v_cmp_lt_u32_e32 vcc, s16, v3
	s_mov_b64 s[16:17], 0
                                        ; implicit-def: $vgpr2
	s_and_saveexec_b64 s[18:19], vcc
	s_xor_b64 s[18:19], exec, s[18:19]
	s_cbranch_execz .LBB119_3268
; %bb.2870:
	v_bfe_u32 v2, v3, 21, 1
	s_mov_b32 s24, 0x88fffff
	v_add3_u32 v2, v3, v2, s24
	s_mov_b64 s[16:17], exec
	v_lshrrev_b32_e32 v2, 21, v2
                                        ; implicit-def: $vgpr3
	s_andn2_saveexec_b64 s[18:19], s[18:19]
	s_cbranch_execnz .LBB119_3269
.LBB119_2871:
	s_or_b64 exec, exec, s[18:19]
	v_mov_b32_e32 v4, 0
	s_and_saveexec_b64 s[18:19], s[16:17]
.LBB119_2872:
	v_mov_b32_e32 v4, v2
.LBB119_2873:
	s_or_b64 exec, exec, s[18:19]
.LBB119_2874:
	s_or_b64 exec, exec, s[2:3]
	s_mov_b64 s[2:3], 0
	global_store_byte v[0:1], v4, off
.LBB119_2875:
	s_and_b64 vcc, exec, s[2:3]
	s_cbranch_vccz .LBB119_2885
; %bb.2876:
	v_cndmask_b32_e64 v2, 0, 1.0, s[6:7]
	s_mov_b32 s2, 0x43f00000
	v_cmp_gt_u32_e32 vcc, s2, v2
                                        ; implicit-def: $vgpr3
	s_and_saveexec_b64 s[2:3], vcc
	s_xor_b64 s[2:3], exec, s[2:3]
	s_cbranch_execz .LBB119_2882
; %bb.2877:
	s_mov_b32 s16, 0x3c7fffff
	v_cmp_lt_u32_e32 vcc, s16, v2
                                        ; implicit-def: $vgpr3
	s_and_saveexec_b64 s[16:17], vcc
	s_xor_b64 s[16:17], exec, s[16:17]
; %bb.2878:
	v_bfe_u32 v3, v2, 20, 1
	s_mov_b32 s18, 0x407ffff
	v_add3_u32 v2, v2, v3, s18
	v_lshrrev_b32_e32 v3, 20, v2
	v_and_b32_e32 v2, 0xff00000, v2
	s_mov_b32 s18, 0x7f00000
	v_mov_b32_e32 v4, 0x7e
	v_cmp_ne_u32_e32 vcc, s18, v2
	v_cndmask_b32_e32 v3, v4, v3, vcc
                                        ; implicit-def: $vgpr2
; %bb.2879:
	s_andn2_saveexec_b64 s[16:17], s[16:17]
; %bb.2880:
	v_add_f32_e32 v3, 0x46800000, v2
; %bb.2881:
	s_or_b64 exec, exec, s[16:17]
                                        ; implicit-def: $vgpr2
.LBB119_2882:
	s_andn2_saveexec_b64 s[2:3], s[2:3]
; %bb.2883:
	s_mov_b32 s16, 0x7f800000
	v_mov_b32_e32 v3, 0x7e
	v_mov_b32_e32 v4, 0x7f
	v_cmp_lt_u32_e32 vcc, s16, v2
	v_cndmask_b32_e32 v3, v3, v4, vcc
; %bb.2884:
	s_or_b64 exec, exec, s[2:3]
	global_store_byte v[0:1], v3, off
.LBB119_2885:
	s_mov_b64 s[2:3], 0
.LBB119_2886:
	s_andn2_b64 vcc, exec, s[2:3]
	s_cbranch_vccnz .LBB119_2896
; %bb.2887:
	v_cndmask_b32_e64 v2, 0, 1.0, s[6:7]
	s_mov_b32 s2, 0x47800000
	v_cmp_gt_u32_e32 vcc, s2, v2
                                        ; implicit-def: $vgpr3
	s_and_saveexec_b64 s[2:3], vcc
	s_xor_b64 s[2:3], exec, s[2:3]
	s_cbranch_execz .LBB119_2893
; %bb.2888:
	s_mov_b32 s16, 0x387fffff
	v_cmp_lt_u32_e32 vcc, s16, v2
                                        ; implicit-def: $vgpr3
	s_and_saveexec_b64 s[16:17], vcc
	s_xor_b64 s[16:17], exec, s[16:17]
; %bb.2889:
	v_bfe_u32 v3, v2, 21, 1
	s_mov_b32 s18, 0x80fffff
	v_add3_u32 v2, v2, v3, s18
	v_lshrrev_b32_e32 v3, 21, v2
                                        ; implicit-def: $vgpr2
; %bb.2890:
	s_andn2_saveexec_b64 s[16:17], s[16:17]
; %bb.2891:
	v_add_f32_e32 v3, 0x43000000, v2
; %bb.2892:
	s_or_b64 exec, exec, s[16:17]
                                        ; implicit-def: $vgpr2
.LBB119_2893:
	s_andn2_saveexec_b64 s[2:3], s[2:3]
; %bb.2894:
	s_mov_b32 s16, 0x7f800000
	v_mov_b32_e32 v3, 0x7c
	v_mov_b32_e32 v4, 0x7f
	v_cmp_lt_u32_e32 vcc, s16, v2
	v_cndmask_b32_e32 v3, v3, v4, vcc
; %bb.2895:
	s_or_b64 exec, exec, s[2:3]
	global_store_byte v[0:1], v3, off
.LBB119_2896:
	s_mov_b64 s[2:3], 0
	s_mov_b64 s[16:17], -1
.LBB119_2897:
	s_andn2_b64 vcc, exec, s[2:3]
	s_mov_b64 s[2:3], 0
	s_cbranch_vccnz .LBB119_2904
; %bb.2898:
	s_cmp_gt_i32 s27, 14
	s_mov_b64 s[18:19], -1
	s_cbranch_scc0 .LBB119_2902
; %bb.2899:
	s_cmp_eq_u32 s27, 15
	s_mov_b64 s[0:1], -1
	s_cbranch_scc0 .LBB119_2901
; %bb.2900:
	v_cndmask_b32_e64 v2, 0, 1.0, s[6:7]
	v_bfe_u32 v3, v2, 16, 1
	s_movk_i32 s0, 0x7fff
	v_add3_u32 v2, v2, v3, s0
	global_store_short_d16_hi v[0:1], v2, off
	s_mov_b64 s[0:1], 0
	s_mov_b64 s[16:17], -1
.LBB119_2901:
	s_mov_b64 s[18:19], 0
.LBB119_2902:
	s_and_b64 vcc, exec, s[18:19]
	s_cbranch_vccz .LBB119_2904
; %bb.2903:
	s_cmp_lg_u32 s27, 11
	s_mov_b64 s[2:3], -1
	s_cselect_b64 s[0:1], -1, 0
.LBB119_2904:
	s_and_b64 vcc, exec, s[0:1]
	s_cbranch_vccnz .LBB119_3267
; %bb.2905:
	s_andn2_b64 vcc, exec, s[2:3]
	s_cbranch_vccnz .LBB119_2907
.LBB119_2906:
	v_cndmask_b32_e64 v2, 0, 1, s[6:7]
	s_mov_b64 s[16:17], -1
	global_store_byte v[0:1], v2, off
.LBB119_2907:
	s_mov_b64 s[0:1], 0
	s_branch .LBB119_2909
.LBB119_2908:
	s_mov_b64 s[0:1], -1
	s_mov_b64 s[16:17], 0
.LBB119_2909:
	s_and_b64 vcc, exec, s[0:1]
	s_cbranch_vccz .LBB119_2948
; %bb.2910:
	s_and_b32 s2, 0xffff, s26
	s_cmp_lt_i32 s2, 5
	s_mov_b64 s[0:1], -1
	s_cbranch_scc1 .LBB119_2931
; %bb.2911:
	s_cmp_lt_i32 s2, 8
	s_cbranch_scc1 .LBB119_2921
; %bb.2912:
	s_cmp_lt_i32 s2, 9
	s_cbranch_scc1 .LBB119_2918
; %bb.2913:
	s_cmp_gt_i32 s2, 9
	s_cbranch_scc0 .LBB119_2915
; %bb.2914:
	v_cndmask_b32_e64 v2, 0, 1, s[6:7]
	v_cvt_f64_u32_e32 v[2:3], v2
	v_mov_b32_e32 v4, 0
	v_mov_b32_e32 v5, v4
	s_mov_b64 s[0:1], 0
	global_store_dwordx4 v[0:1], v[2:5], off
.LBB119_2915:
	s_andn2_b64 vcc, exec, s[0:1]
	s_cbranch_vccnz .LBB119_2917
; %bb.2916:
	v_cndmask_b32_e64 v2, 0, 1.0, s[6:7]
	v_mov_b32_e32 v3, 0
	global_store_dwordx2 v[0:1], v[2:3], off
.LBB119_2917:
	s_mov_b64 s[0:1], 0
.LBB119_2918:
	s_andn2_b64 vcc, exec, s[0:1]
	s_cbranch_vccnz .LBB119_2920
; %bb.2919:
	v_cndmask_b32_e64 v2, 0, 1.0, s[6:7]
	v_cvt_f16_f32_e32 v2, v2
	global_store_dword v[0:1], v2, off
.LBB119_2920:
	s_mov_b64 s[0:1], 0
.LBB119_2921:
	s_andn2_b64 vcc, exec, s[0:1]
	s_cbranch_vccnz .LBB119_2930
; %bb.2922:
	s_cmp_lt_i32 s2, 6
	s_mov_b64 s[0:1], -1
	s_cbranch_scc1 .LBB119_2928
; %bb.2923:
	s_cmp_gt_i32 s2, 6
	s_cbranch_scc0 .LBB119_2925
; %bb.2924:
	v_cndmask_b32_e64 v2, 0, 1, s[6:7]
	v_cvt_f64_u32_e32 v[2:3], v2
	s_mov_b64 s[0:1], 0
	global_store_dwordx2 v[0:1], v[2:3], off
.LBB119_2925:
	s_andn2_b64 vcc, exec, s[0:1]
	s_cbranch_vccnz .LBB119_2927
; %bb.2926:
	v_cndmask_b32_e64 v2, 0, 1.0, s[6:7]
	global_store_dword v[0:1], v2, off
.LBB119_2927:
	s_mov_b64 s[0:1], 0
.LBB119_2928:
	s_andn2_b64 vcc, exec, s[0:1]
	s_cbranch_vccnz .LBB119_2930
; %bb.2929:
	v_cndmask_b32_e64 v2, 0, 1.0, s[6:7]
	v_cvt_f16_f32_e32 v2, v2
	global_store_short v[0:1], v2, off
.LBB119_2930:
	s_mov_b64 s[0:1], 0
.LBB119_2931:
	s_andn2_b64 vcc, exec, s[0:1]
	s_cbranch_vccnz .LBB119_2947
; %bb.2932:
	s_cmp_lt_i32 s2, 2
	s_mov_b64 s[0:1], -1
	s_cbranch_scc1 .LBB119_2942
; %bb.2933:
	s_cmp_lt_i32 s2, 3
	s_cbranch_scc1 .LBB119_2939
; %bb.2934:
	s_cmp_gt_i32 s2, 3
	s_cbranch_scc0 .LBB119_2936
; %bb.2935:
	s_mov_b32 s0, 0
	v_cndmask_b32_e64 v2, 0, 1, s[6:7]
	v_mov_b32_e32 v3, s0
	global_store_dwordx2 v[0:1], v[2:3], off
	s_mov_b64 s[0:1], 0
.LBB119_2936:
	s_andn2_b64 vcc, exec, s[0:1]
	s_cbranch_vccnz .LBB119_2938
; %bb.2937:
	v_cndmask_b32_e64 v2, 0, 1, s[6:7]
	global_store_dword v[0:1], v2, off
.LBB119_2938:
	s_mov_b64 s[0:1], 0
.LBB119_2939:
	s_andn2_b64 vcc, exec, s[0:1]
	s_cbranch_vccnz .LBB119_2941
; %bb.2940:
	v_cndmask_b32_e64 v2, 0, 1, s[6:7]
	global_store_short v[0:1], v2, off
.LBB119_2941:
	s_mov_b64 s[0:1], 0
.LBB119_2942:
	s_andn2_b64 vcc, exec, s[0:1]
	s_cbranch_vccnz .LBB119_2947
; %bb.2943:
	s_mov_b64 s[0:1], -1
	s_cmp_gt_i32 s2, 0
	v_cndmask_b32_e64 v2, 0, 1, s[6:7]
	s_cbranch_scc0 .LBB119_2945
; %bb.2944:
	global_store_byte v[0:1], v2, off
	s_mov_b64 s[0:1], 0
.LBB119_2945:
	s_andn2_b64 vcc, exec, s[0:1]
	s_cbranch_vccnz .LBB119_2947
; %bb.2946:
	global_store_byte v[0:1], v2, off
.LBB119_2947:
	s_mov_b64 s[16:17], -1
.LBB119_2948:
	s_andn2_b64 vcc, exec, s[16:17]
	s_cbranch_vccnz .LBB119_3263
; %bb.2949:
	v_mov_b32_e32 v1, s9
	s_and_b32 s24, 0xffff, s26
	v_add_co_u32_e32 v0, vcc, s8, v12
	s_cmp_lt_i32 s24, 11
	v_addc_co_u32_e32 v1, vcc, 0, v1, vcc
	s_cbranch_scc1 .LBB119_3027
; %bb.2950:
	s_mov_b64 s[16:17], -1
	s_mov_b64 s[2:3], 0
	s_cmp_gt_i32 s24, 25
	s_mov_b64 s[6:7], 0
	s_mov_b64 s[0:1], 0
	s_cbranch_scc0 .LBB119_2983
; %bb.2951:
	s_cmp_gt_i32 s24, 28
	s_cbranch_scc0 .LBB119_2966
; %bb.2952:
	s_cmp_gt_i32 s24, 43
	;; [unrolled: 3-line block ×3, first 2 shown]
	s_cbranch_scc0 .LBB119_2956
; %bb.2954:
	s_mov_b64 s[0:1], -1
	s_mov_b64 s[16:17], 0
	s_cmp_eq_u32 s24, 46
	s_cbranch_scc0 .LBB119_2956
; %bb.2955:
	v_cndmask_b32_e64 v2, 0, 1.0, s[20:21]
	v_bfe_u32 v3, v2, 16, 1
	s_movk_i32 s0, 0x7fff
	v_add3_u32 v2, v2, v3, s0
	v_lshrrev_b32_e32 v2, 16, v2
	global_store_dword v[0:1], v2, off
	s_mov_b64 s[0:1], 0
	s_mov_b64 s[6:7], -1
.LBB119_2956:
	s_and_b64 vcc, exec, s[16:17]
	s_cbranch_vccz .LBB119_2961
; %bb.2957:
	s_cmp_eq_u32 s24, 44
	s_mov_b64 s[0:1], -1
	s_cbranch_scc0 .LBB119_2961
; %bb.2958:
	v_cndmask_b32_e64 v3, 0, 1.0, s[20:21]
	v_lshrrev_b32_e32 v2, 23, v3
	s_movk_i32 s0, 0xff
	v_cmp_ne_u32_e32 vcc, s0, v2
	v_mov_b32_e32 v4, 0xff
	s_and_saveexec_b64 s[6:7], vcc
; %bb.2959:
	s_mov_b32 s0, 0x3fffff
	v_and_b32_e32 v4, 0x400000, v3
	v_and_or_b32 v3, v3, s0, v2
	v_cmp_ne_u32_e32 vcc, 0, v4
	v_cmp_ne_u32_e64 s[0:1], 0, v3
	s_and_b64 s[0:1], vcc, s[0:1]
	v_cndmask_b32_e64 v3, 0, 1, s[0:1]
	v_add_u32_e32 v4, v2, v3
; %bb.2960:
	s_or_b64 exec, exec, s[6:7]
	s_mov_b64 s[0:1], 0
	s_mov_b64 s[6:7], -1
	global_store_byte v[0:1], v4, off
.LBB119_2961:
	s_mov_b64 s[16:17], 0
.LBB119_2962:
	s_and_b64 vcc, exec, s[16:17]
	s_cbranch_vccz .LBB119_2965
; %bb.2963:
	s_cmp_eq_u32 s24, 29
	s_mov_b64 s[0:1], -1
	s_cbranch_scc0 .LBB119_2965
; %bb.2964:
	s_mov_b32 s0, 0
	v_cndmask_b32_e64 v2, 0, 1, s[20:21]
	v_mov_b32_e32 v3, s0
	global_store_dwordx2 v[0:1], v[2:3], off
	s_mov_b64 s[0:1], 0
	s_mov_b64 s[6:7], -1
.LBB119_2965:
	s_mov_b64 s[16:17], 0
.LBB119_2966:
	s_and_b64 vcc, exec, s[16:17]
	s_cbranch_vccz .LBB119_2982
; %bb.2967:
	s_cmp_lt_i32 s24, 27
	s_mov_b64 s[6:7], -1
	s_cbranch_scc1 .LBB119_2973
; %bb.2968:
	s_cmp_gt_i32 s24, 27
	s_cbranch_scc0 .LBB119_2970
; %bb.2969:
	v_cndmask_b32_e64 v2, 0, 1, s[20:21]
	s_mov_b64 s[6:7], 0
	global_store_dword v[0:1], v2, off
.LBB119_2970:
	s_andn2_b64 vcc, exec, s[6:7]
	s_cbranch_vccnz .LBB119_2972
; %bb.2971:
	v_cndmask_b32_e64 v2, 0, 1, s[20:21]
	global_store_short v[0:1], v2, off
.LBB119_2972:
	s_mov_b64 s[6:7], 0
.LBB119_2973:
	s_andn2_b64 vcc, exec, s[6:7]
	s_cbranch_vccnz .LBB119_2981
; %bb.2974:
	v_cndmask_b32_e64 v3, 0, 1.0, s[20:21]
	s_mov_b32 s6, 0x43800000
	v_cmp_gt_u32_e32 vcc, s6, v3
	v_mov_b32_e32 v4, 0x80
	s_and_saveexec_b64 s[6:7], vcc
	s_cbranch_execz .LBB119_2980
; %bb.2975:
	s_mov_b32 s16, 0x3bffffff
	v_cmp_lt_u32_e32 vcc, s16, v3
	s_mov_b64 s[16:17], 0
                                        ; implicit-def: $vgpr2
	s_and_saveexec_b64 s[18:19], vcc
	s_xor_b64 s[18:19], exec, s[18:19]
	s_cbranch_execz .LBB119_3270
; %bb.2976:
	v_bfe_u32 v2, v3, 20, 1
	s_mov_b32 s25, 0x487ffff
	v_add3_u32 v2, v3, v2, s25
	s_mov_b64 s[16:17], exec
	v_lshrrev_b32_e32 v2, 20, v2
                                        ; implicit-def: $vgpr3
	s_andn2_saveexec_b64 s[18:19], s[18:19]
	s_cbranch_execnz .LBB119_3271
.LBB119_2977:
	s_or_b64 exec, exec, s[18:19]
	v_mov_b32_e32 v4, 0
	s_and_saveexec_b64 s[18:19], s[16:17]
.LBB119_2978:
	v_mov_b32_e32 v4, v2
.LBB119_2979:
	s_or_b64 exec, exec, s[18:19]
.LBB119_2980:
	s_or_b64 exec, exec, s[6:7]
	global_store_byte v[0:1], v4, off
.LBB119_2981:
	s_mov_b64 s[6:7], -1
.LBB119_2982:
	s_mov_b64 s[16:17], 0
.LBB119_2983:
	s_and_b64 vcc, exec, s[16:17]
	s_cbranch_vccz .LBB119_3023
; %bb.2984:
	s_cmp_gt_i32 s24, 22
	s_mov_b64 s[2:3], -1
	s_cbranch_scc0 .LBB119_3016
; %bb.2985:
	s_cmp_lt_i32 s24, 24
	s_cbranch_scc1 .LBB119_3005
; %bb.2986:
	s_cmp_gt_i32 s24, 24
	s_cbranch_scc0 .LBB119_2994
; %bb.2987:
	v_cndmask_b32_e64 v3, 0, 1.0, s[20:21]
	s_mov_b32 s2, 0x47800000
	v_cmp_gt_u32_e32 vcc, s2, v3
	v_mov_b32_e32 v4, 0x80
	s_and_saveexec_b64 s[2:3], vcc
	s_cbranch_execz .LBB119_2993
; %bb.2988:
	s_mov_b32 s6, 0x37ffffff
	v_cmp_lt_u32_e32 vcc, s6, v3
	s_mov_b64 s[6:7], 0
                                        ; implicit-def: $vgpr2
	s_and_saveexec_b64 s[16:17], vcc
	s_xor_b64 s[16:17], exec, s[16:17]
	s_cbranch_execz .LBB119_3273
; %bb.2989:
	v_bfe_u32 v2, v3, 21, 1
	s_mov_b32 s18, 0x88fffff
	v_add3_u32 v2, v3, v2, s18
	s_mov_b64 s[6:7], exec
	v_lshrrev_b32_e32 v2, 21, v2
                                        ; implicit-def: $vgpr3
	s_andn2_saveexec_b64 s[16:17], s[16:17]
	s_cbranch_execnz .LBB119_3274
.LBB119_2990:
	s_or_b64 exec, exec, s[16:17]
	v_mov_b32_e32 v4, 0
	s_and_saveexec_b64 s[16:17], s[6:7]
.LBB119_2991:
	v_mov_b32_e32 v4, v2
.LBB119_2992:
	s_or_b64 exec, exec, s[16:17]
.LBB119_2993:
	s_or_b64 exec, exec, s[2:3]
	s_mov_b64 s[2:3], 0
	global_store_byte v[0:1], v4, off
.LBB119_2994:
	s_and_b64 vcc, exec, s[2:3]
	s_cbranch_vccz .LBB119_3004
; %bb.2995:
	v_cndmask_b32_e64 v2, 0, 1.0, s[20:21]
	s_mov_b32 s2, 0x43f00000
	v_cmp_gt_u32_e32 vcc, s2, v2
                                        ; implicit-def: $vgpr3
	s_and_saveexec_b64 s[2:3], vcc
	s_xor_b64 s[2:3], exec, s[2:3]
	s_cbranch_execz .LBB119_3001
; %bb.2996:
	s_mov_b32 s6, 0x3c7fffff
	v_cmp_lt_u32_e32 vcc, s6, v2
                                        ; implicit-def: $vgpr3
	s_and_saveexec_b64 s[6:7], vcc
	s_xor_b64 s[6:7], exec, s[6:7]
; %bb.2997:
	v_bfe_u32 v3, v2, 20, 1
	s_mov_b32 s16, 0x407ffff
	v_add3_u32 v2, v2, v3, s16
	v_lshrrev_b32_e32 v3, 20, v2
	v_and_b32_e32 v2, 0xff00000, v2
	s_mov_b32 s16, 0x7f00000
	v_mov_b32_e32 v4, 0x7e
	v_cmp_ne_u32_e32 vcc, s16, v2
	v_cndmask_b32_e32 v3, v4, v3, vcc
                                        ; implicit-def: $vgpr2
; %bb.2998:
	s_andn2_saveexec_b64 s[6:7], s[6:7]
; %bb.2999:
	v_add_f32_e32 v3, 0x46800000, v2
; %bb.3000:
	s_or_b64 exec, exec, s[6:7]
                                        ; implicit-def: $vgpr2
.LBB119_3001:
	s_andn2_saveexec_b64 s[2:3], s[2:3]
; %bb.3002:
	s_mov_b32 s6, 0x7f800000
	v_mov_b32_e32 v3, 0x7e
	v_mov_b32_e32 v4, 0x7f
	v_cmp_lt_u32_e32 vcc, s6, v2
	v_cndmask_b32_e32 v3, v3, v4, vcc
; %bb.3003:
	s_or_b64 exec, exec, s[2:3]
	global_store_byte v[0:1], v3, off
.LBB119_3004:
	s_mov_b64 s[2:3], 0
.LBB119_3005:
	s_andn2_b64 vcc, exec, s[2:3]
	s_cbranch_vccnz .LBB119_3015
; %bb.3006:
	v_cndmask_b32_e64 v2, 0, 1.0, s[20:21]
	s_mov_b32 s2, 0x47800000
	v_cmp_gt_u32_e32 vcc, s2, v2
                                        ; implicit-def: $vgpr3
	s_and_saveexec_b64 s[2:3], vcc
	s_xor_b64 s[2:3], exec, s[2:3]
	s_cbranch_execz .LBB119_3012
; %bb.3007:
	s_mov_b32 s6, 0x387fffff
	v_cmp_lt_u32_e32 vcc, s6, v2
                                        ; implicit-def: $vgpr3
	s_and_saveexec_b64 s[6:7], vcc
	s_xor_b64 s[6:7], exec, s[6:7]
; %bb.3008:
	v_bfe_u32 v3, v2, 21, 1
	s_mov_b32 s16, 0x80fffff
	v_add3_u32 v2, v2, v3, s16
	v_lshrrev_b32_e32 v3, 21, v2
                                        ; implicit-def: $vgpr2
; %bb.3009:
	s_andn2_saveexec_b64 s[6:7], s[6:7]
; %bb.3010:
	v_add_f32_e32 v3, 0x43000000, v2
; %bb.3011:
	s_or_b64 exec, exec, s[6:7]
                                        ; implicit-def: $vgpr2
.LBB119_3012:
	s_andn2_saveexec_b64 s[2:3], s[2:3]
; %bb.3013:
	s_mov_b32 s6, 0x7f800000
	v_mov_b32_e32 v3, 0x7c
	v_mov_b32_e32 v4, 0x7f
	v_cmp_lt_u32_e32 vcc, s6, v2
	v_cndmask_b32_e32 v3, v3, v4, vcc
; %bb.3014:
	s_or_b64 exec, exec, s[2:3]
	global_store_byte v[0:1], v3, off
.LBB119_3015:
	s_mov_b64 s[2:3], 0
	s_mov_b64 s[6:7], -1
.LBB119_3016:
	s_andn2_b64 vcc, exec, s[2:3]
	s_mov_b64 s[2:3], 0
	s_cbranch_vccnz .LBB119_3023
; %bb.3017:
	s_cmp_gt_i32 s24, 14
	s_mov_b64 s[16:17], -1
	s_cbranch_scc0 .LBB119_3021
; %bb.3018:
	s_cmp_eq_u32 s24, 15
	s_mov_b64 s[0:1], -1
	s_cbranch_scc0 .LBB119_3020
; %bb.3019:
	v_cndmask_b32_e64 v2, 0, 1.0, s[20:21]
	v_bfe_u32 v3, v2, 16, 1
	s_movk_i32 s0, 0x7fff
	v_add3_u32 v2, v2, v3, s0
	global_store_short_d16_hi v[0:1], v2, off
	s_mov_b64 s[0:1], 0
	s_mov_b64 s[6:7], -1
.LBB119_3020:
	s_mov_b64 s[16:17], 0
.LBB119_3021:
	s_and_b64 vcc, exec, s[16:17]
	s_cbranch_vccz .LBB119_3023
; %bb.3022:
	s_cmp_lg_u32 s24, 11
	s_mov_b64 s[2:3], -1
	s_cselect_b64 s[0:1], -1, 0
.LBB119_3023:
	s_and_b64 vcc, exec, s[0:1]
	s_cbranch_vccnz .LBB119_3272
; %bb.3024:
	s_andn2_b64 vcc, exec, s[2:3]
	s_cbranch_vccnz .LBB119_3026
.LBB119_3025:
	v_cndmask_b32_e64 v2, 0, 1, s[20:21]
	s_mov_b64 s[6:7], -1
	global_store_byte v[0:1], v2, off
.LBB119_3026:
	s_mov_b64 s[0:1], 0
	s_branch .LBB119_3028
.LBB119_3027:
	s_mov_b64 s[0:1], -1
	s_mov_b64 s[6:7], 0
.LBB119_3028:
	s_and_b64 vcc, exec, s[0:1]
	s_cbranch_vccz .LBB119_3067
; %bb.3029:
	s_cmp_lt_i32 s24, 5
	s_mov_b64 s[0:1], -1
	s_cbranch_scc1 .LBB119_3050
; %bb.3030:
	s_cmp_lt_i32 s24, 8
	s_cbranch_scc1 .LBB119_3040
; %bb.3031:
	s_cmp_lt_i32 s24, 9
	s_cbranch_scc1 .LBB119_3037
; %bb.3032:
	s_cmp_gt_i32 s24, 9
	s_cbranch_scc0 .LBB119_3034
; %bb.3033:
	v_cndmask_b32_e64 v2, 0, 1, s[20:21]
	v_cvt_f64_u32_e32 v[2:3], v2
	v_mov_b32_e32 v4, 0
	v_mov_b32_e32 v5, v4
	s_mov_b64 s[0:1], 0
	global_store_dwordx4 v[0:1], v[2:5], off
.LBB119_3034:
	s_andn2_b64 vcc, exec, s[0:1]
	s_cbranch_vccnz .LBB119_3036
; %bb.3035:
	v_cndmask_b32_e64 v2, 0, 1.0, s[20:21]
	v_mov_b32_e32 v3, 0
	global_store_dwordx2 v[0:1], v[2:3], off
.LBB119_3036:
	s_mov_b64 s[0:1], 0
.LBB119_3037:
	s_andn2_b64 vcc, exec, s[0:1]
	s_cbranch_vccnz .LBB119_3039
; %bb.3038:
	v_cndmask_b32_e64 v2, 0, 1.0, s[20:21]
	v_cvt_f16_f32_e32 v2, v2
	global_store_dword v[0:1], v2, off
.LBB119_3039:
	s_mov_b64 s[0:1], 0
.LBB119_3040:
	s_andn2_b64 vcc, exec, s[0:1]
	s_cbranch_vccnz .LBB119_3049
; %bb.3041:
	s_cmp_lt_i32 s24, 6
	s_mov_b64 s[0:1], -1
	s_cbranch_scc1 .LBB119_3047
; %bb.3042:
	s_cmp_gt_i32 s24, 6
	s_cbranch_scc0 .LBB119_3044
; %bb.3043:
	v_cndmask_b32_e64 v2, 0, 1, s[20:21]
	v_cvt_f64_u32_e32 v[2:3], v2
	s_mov_b64 s[0:1], 0
	global_store_dwordx2 v[0:1], v[2:3], off
.LBB119_3044:
	s_andn2_b64 vcc, exec, s[0:1]
	s_cbranch_vccnz .LBB119_3046
; %bb.3045:
	v_cndmask_b32_e64 v2, 0, 1.0, s[20:21]
	global_store_dword v[0:1], v2, off
.LBB119_3046:
	s_mov_b64 s[0:1], 0
.LBB119_3047:
	s_andn2_b64 vcc, exec, s[0:1]
	s_cbranch_vccnz .LBB119_3049
; %bb.3048:
	v_cndmask_b32_e64 v2, 0, 1.0, s[20:21]
	v_cvt_f16_f32_e32 v2, v2
	global_store_short v[0:1], v2, off
.LBB119_3049:
	s_mov_b64 s[0:1], 0
.LBB119_3050:
	s_andn2_b64 vcc, exec, s[0:1]
	s_cbranch_vccnz .LBB119_3066
; %bb.3051:
	s_cmp_lt_i32 s24, 2
	s_mov_b64 s[0:1], -1
	s_cbranch_scc1 .LBB119_3061
; %bb.3052:
	s_cmp_lt_i32 s24, 3
	s_cbranch_scc1 .LBB119_3058
; %bb.3053:
	s_cmp_gt_i32 s24, 3
	s_cbranch_scc0 .LBB119_3055
; %bb.3054:
	s_mov_b32 s0, 0
	v_cndmask_b32_e64 v2, 0, 1, s[20:21]
	v_mov_b32_e32 v3, s0
	global_store_dwordx2 v[0:1], v[2:3], off
	s_mov_b64 s[0:1], 0
.LBB119_3055:
	s_andn2_b64 vcc, exec, s[0:1]
	s_cbranch_vccnz .LBB119_3057
; %bb.3056:
	v_cndmask_b32_e64 v2, 0, 1, s[20:21]
	global_store_dword v[0:1], v2, off
.LBB119_3057:
	s_mov_b64 s[0:1], 0
.LBB119_3058:
	s_andn2_b64 vcc, exec, s[0:1]
	s_cbranch_vccnz .LBB119_3060
; %bb.3059:
	v_cndmask_b32_e64 v2, 0, 1, s[20:21]
	global_store_short v[0:1], v2, off
.LBB119_3060:
	s_mov_b64 s[0:1], 0
.LBB119_3061:
	s_andn2_b64 vcc, exec, s[0:1]
	s_cbranch_vccnz .LBB119_3066
; %bb.3062:
	s_mov_b64 s[0:1], -1
	s_cmp_gt_i32 s24, 0
	v_cndmask_b32_e64 v2, 0, 1, s[20:21]
	s_cbranch_scc0 .LBB119_3064
; %bb.3063:
	global_store_byte v[0:1], v2, off
	s_mov_b64 s[0:1], 0
.LBB119_3064:
	s_andn2_b64 vcc, exec, s[0:1]
	s_cbranch_vccnz .LBB119_3066
; %bb.3065:
	global_store_byte v[0:1], v2, off
.LBB119_3066:
	s_mov_b64 s[6:7], -1
.LBB119_3067:
	s_andn2_b64 vcc, exec, s[6:7]
	s_cbranch_vccnz .LBB119_3263
; %bb.3068:
	v_mov_b32_e32 v1, s9
	v_add_co_u32_e32 v0, vcc, s8, v10
	s_cmp_lt_i32 s24, 11
	v_addc_co_u32_e32 v1, vcc, 0, v1, vcc
	s_cbranch_scc1 .LBB119_3146
; %bb.3069:
	s_mov_b64 s[16:17], -1
	s_mov_b64 s[2:3], 0
	s_cmp_gt_i32 s24, 25
	s_mov_b64 s[6:7], 0
	s_mov_b64 s[0:1], 0
	s_cbranch_scc0 .LBB119_3102
; %bb.3070:
	s_cmp_gt_i32 s24, 28
	s_cbranch_scc0 .LBB119_3085
; %bb.3071:
	s_cmp_gt_i32 s24, 43
	;; [unrolled: 3-line block ×3, first 2 shown]
	s_cbranch_scc0 .LBB119_3075
; %bb.3073:
	s_mov_b64 s[0:1], -1
	s_mov_b64 s[16:17], 0
	s_cmp_eq_u32 s24, 46
	s_cbranch_scc0 .LBB119_3075
; %bb.3074:
	v_cndmask_b32_e64 v2, 0, 1.0, s[22:23]
	v_bfe_u32 v3, v2, 16, 1
	s_movk_i32 s0, 0x7fff
	v_add3_u32 v2, v2, v3, s0
	v_lshrrev_b32_e32 v2, 16, v2
	global_store_dword v[0:1], v2, off
	s_mov_b64 s[0:1], 0
	s_mov_b64 s[6:7], -1
.LBB119_3075:
	s_and_b64 vcc, exec, s[16:17]
	s_cbranch_vccz .LBB119_3080
; %bb.3076:
	s_cmp_eq_u32 s24, 44
	s_mov_b64 s[0:1], -1
	s_cbranch_scc0 .LBB119_3080
; %bb.3077:
	v_cndmask_b32_e64 v3, 0, 1.0, s[22:23]
	v_lshrrev_b32_e32 v2, 23, v3
	s_movk_i32 s0, 0xff
	v_cmp_ne_u32_e32 vcc, s0, v2
	v_mov_b32_e32 v4, 0xff
	s_and_saveexec_b64 s[6:7], vcc
; %bb.3078:
	s_mov_b32 s0, 0x3fffff
	v_and_b32_e32 v4, 0x400000, v3
	v_and_or_b32 v3, v3, s0, v2
	v_cmp_ne_u32_e32 vcc, 0, v4
	v_cmp_ne_u32_e64 s[0:1], 0, v3
	s_and_b64 s[0:1], vcc, s[0:1]
	v_cndmask_b32_e64 v3, 0, 1, s[0:1]
	v_add_u32_e32 v4, v2, v3
; %bb.3079:
	s_or_b64 exec, exec, s[6:7]
	s_mov_b64 s[0:1], 0
	s_mov_b64 s[6:7], -1
	global_store_byte v[0:1], v4, off
.LBB119_3080:
	s_mov_b64 s[16:17], 0
.LBB119_3081:
	s_and_b64 vcc, exec, s[16:17]
	s_cbranch_vccz .LBB119_3084
; %bb.3082:
	s_cmp_eq_u32 s24, 29
	s_mov_b64 s[0:1], -1
	s_cbranch_scc0 .LBB119_3084
; %bb.3083:
	s_mov_b32 s0, 0
	v_cndmask_b32_e64 v2, 0, 1, s[22:23]
	v_mov_b32_e32 v3, s0
	global_store_dwordx2 v[0:1], v[2:3], off
	s_mov_b64 s[0:1], 0
	s_mov_b64 s[6:7], -1
.LBB119_3084:
	s_mov_b64 s[16:17], 0
.LBB119_3085:
	s_and_b64 vcc, exec, s[16:17]
	s_cbranch_vccz .LBB119_3101
; %bb.3086:
	s_cmp_lt_i32 s24, 27
	s_mov_b64 s[6:7], -1
	s_cbranch_scc1 .LBB119_3092
; %bb.3087:
	s_cmp_gt_i32 s24, 27
	s_cbranch_scc0 .LBB119_3089
; %bb.3088:
	v_cndmask_b32_e64 v2, 0, 1, s[22:23]
	s_mov_b64 s[6:7], 0
	global_store_dword v[0:1], v2, off
.LBB119_3089:
	s_andn2_b64 vcc, exec, s[6:7]
	s_cbranch_vccnz .LBB119_3091
; %bb.3090:
	v_cndmask_b32_e64 v2, 0, 1, s[22:23]
	global_store_short v[0:1], v2, off
.LBB119_3091:
	s_mov_b64 s[6:7], 0
.LBB119_3092:
	s_andn2_b64 vcc, exec, s[6:7]
	s_cbranch_vccnz .LBB119_3100
; %bb.3093:
	v_cndmask_b32_e64 v3, 0, 1.0, s[22:23]
	s_mov_b32 s6, 0x43800000
	v_cmp_gt_u32_e32 vcc, s6, v3
	v_mov_b32_e32 v4, 0x80
	s_and_saveexec_b64 s[6:7], vcc
	s_cbranch_execz .LBB119_3099
; %bb.3094:
	s_mov_b32 s16, 0x3bffffff
	v_cmp_lt_u32_e32 vcc, s16, v3
	s_mov_b64 s[16:17], 0
                                        ; implicit-def: $vgpr2
	s_and_saveexec_b64 s[18:19], vcc
	s_xor_b64 s[18:19], exec, s[18:19]
	s_cbranch_execz .LBB119_3275
; %bb.3095:
	v_bfe_u32 v2, v3, 20, 1
	s_mov_b32 s20, 0x487ffff
	v_add3_u32 v2, v3, v2, s20
	s_mov_b64 s[16:17], exec
	v_lshrrev_b32_e32 v2, 20, v2
                                        ; implicit-def: $vgpr3
	s_andn2_saveexec_b64 s[18:19], s[18:19]
	s_cbranch_execnz .LBB119_3276
.LBB119_3096:
	s_or_b64 exec, exec, s[18:19]
	v_mov_b32_e32 v4, 0
	s_and_saveexec_b64 s[18:19], s[16:17]
.LBB119_3097:
	v_mov_b32_e32 v4, v2
.LBB119_3098:
	s_or_b64 exec, exec, s[18:19]
.LBB119_3099:
	s_or_b64 exec, exec, s[6:7]
	global_store_byte v[0:1], v4, off
.LBB119_3100:
	s_mov_b64 s[6:7], -1
.LBB119_3101:
	s_mov_b64 s[16:17], 0
.LBB119_3102:
	s_and_b64 vcc, exec, s[16:17]
	s_cbranch_vccz .LBB119_3142
; %bb.3103:
	s_cmp_gt_i32 s24, 22
	s_mov_b64 s[2:3], -1
	s_cbranch_scc0 .LBB119_3135
; %bb.3104:
	s_cmp_lt_i32 s24, 24
	s_cbranch_scc1 .LBB119_3124
; %bb.3105:
	s_cmp_gt_i32 s24, 24
	s_cbranch_scc0 .LBB119_3113
; %bb.3106:
	v_cndmask_b32_e64 v3, 0, 1.0, s[22:23]
	s_mov_b32 s2, 0x47800000
	v_cmp_gt_u32_e32 vcc, s2, v3
	v_mov_b32_e32 v4, 0x80
	s_and_saveexec_b64 s[2:3], vcc
	s_cbranch_execz .LBB119_3112
; %bb.3107:
	s_mov_b32 s6, 0x37ffffff
	v_cmp_lt_u32_e32 vcc, s6, v3
	s_mov_b64 s[6:7], 0
                                        ; implicit-def: $vgpr2
	s_and_saveexec_b64 s[16:17], vcc
	s_xor_b64 s[16:17], exec, s[16:17]
	s_cbranch_execz .LBB119_3278
; %bb.3108:
	v_bfe_u32 v2, v3, 21, 1
	s_mov_b32 s18, 0x88fffff
	v_add3_u32 v2, v3, v2, s18
	s_mov_b64 s[6:7], exec
	v_lshrrev_b32_e32 v2, 21, v2
                                        ; implicit-def: $vgpr3
	s_andn2_saveexec_b64 s[16:17], s[16:17]
	s_cbranch_execnz .LBB119_3279
.LBB119_3109:
	s_or_b64 exec, exec, s[16:17]
	v_mov_b32_e32 v4, 0
	s_and_saveexec_b64 s[16:17], s[6:7]
.LBB119_3110:
	v_mov_b32_e32 v4, v2
.LBB119_3111:
	s_or_b64 exec, exec, s[16:17]
.LBB119_3112:
	s_or_b64 exec, exec, s[2:3]
	s_mov_b64 s[2:3], 0
	global_store_byte v[0:1], v4, off
.LBB119_3113:
	s_and_b64 vcc, exec, s[2:3]
	s_cbranch_vccz .LBB119_3123
; %bb.3114:
	v_cndmask_b32_e64 v2, 0, 1.0, s[22:23]
	s_mov_b32 s2, 0x43f00000
	v_cmp_gt_u32_e32 vcc, s2, v2
                                        ; implicit-def: $vgpr3
	s_and_saveexec_b64 s[2:3], vcc
	s_xor_b64 s[2:3], exec, s[2:3]
	s_cbranch_execz .LBB119_3120
; %bb.3115:
	s_mov_b32 s6, 0x3c7fffff
	v_cmp_lt_u32_e32 vcc, s6, v2
                                        ; implicit-def: $vgpr3
	s_and_saveexec_b64 s[6:7], vcc
	s_xor_b64 s[6:7], exec, s[6:7]
; %bb.3116:
	v_bfe_u32 v3, v2, 20, 1
	s_mov_b32 s16, 0x407ffff
	v_add3_u32 v2, v2, v3, s16
	v_lshrrev_b32_e32 v3, 20, v2
	v_and_b32_e32 v2, 0xff00000, v2
	s_mov_b32 s16, 0x7f00000
	v_mov_b32_e32 v4, 0x7e
	v_cmp_ne_u32_e32 vcc, s16, v2
	v_cndmask_b32_e32 v3, v4, v3, vcc
                                        ; implicit-def: $vgpr2
; %bb.3117:
	s_andn2_saveexec_b64 s[6:7], s[6:7]
; %bb.3118:
	v_add_f32_e32 v3, 0x46800000, v2
; %bb.3119:
	s_or_b64 exec, exec, s[6:7]
                                        ; implicit-def: $vgpr2
.LBB119_3120:
	s_andn2_saveexec_b64 s[2:3], s[2:3]
; %bb.3121:
	s_mov_b32 s6, 0x7f800000
	v_mov_b32_e32 v3, 0x7e
	v_mov_b32_e32 v4, 0x7f
	v_cmp_lt_u32_e32 vcc, s6, v2
	v_cndmask_b32_e32 v3, v3, v4, vcc
; %bb.3122:
	s_or_b64 exec, exec, s[2:3]
	global_store_byte v[0:1], v3, off
.LBB119_3123:
	s_mov_b64 s[2:3], 0
.LBB119_3124:
	s_andn2_b64 vcc, exec, s[2:3]
	s_cbranch_vccnz .LBB119_3134
; %bb.3125:
	v_cndmask_b32_e64 v2, 0, 1.0, s[22:23]
	s_mov_b32 s2, 0x47800000
	v_cmp_gt_u32_e32 vcc, s2, v2
                                        ; implicit-def: $vgpr3
	s_and_saveexec_b64 s[2:3], vcc
	s_xor_b64 s[2:3], exec, s[2:3]
	s_cbranch_execz .LBB119_3131
; %bb.3126:
	s_mov_b32 s6, 0x387fffff
	v_cmp_lt_u32_e32 vcc, s6, v2
                                        ; implicit-def: $vgpr3
	s_and_saveexec_b64 s[6:7], vcc
	s_xor_b64 s[6:7], exec, s[6:7]
; %bb.3127:
	v_bfe_u32 v3, v2, 21, 1
	s_mov_b32 s16, 0x80fffff
	v_add3_u32 v2, v2, v3, s16
	v_lshrrev_b32_e32 v3, 21, v2
                                        ; implicit-def: $vgpr2
; %bb.3128:
	s_andn2_saveexec_b64 s[6:7], s[6:7]
; %bb.3129:
	v_add_f32_e32 v3, 0x43000000, v2
; %bb.3130:
	s_or_b64 exec, exec, s[6:7]
                                        ; implicit-def: $vgpr2
.LBB119_3131:
	s_andn2_saveexec_b64 s[2:3], s[2:3]
; %bb.3132:
	s_mov_b32 s6, 0x7f800000
	v_mov_b32_e32 v3, 0x7c
	v_mov_b32_e32 v4, 0x7f
	v_cmp_lt_u32_e32 vcc, s6, v2
	v_cndmask_b32_e32 v3, v3, v4, vcc
; %bb.3133:
	s_or_b64 exec, exec, s[2:3]
	global_store_byte v[0:1], v3, off
.LBB119_3134:
	s_mov_b64 s[2:3], 0
	s_mov_b64 s[6:7], -1
.LBB119_3135:
	s_andn2_b64 vcc, exec, s[2:3]
	s_mov_b64 s[2:3], 0
	s_cbranch_vccnz .LBB119_3142
; %bb.3136:
	s_cmp_gt_i32 s24, 14
	s_mov_b64 s[16:17], -1
	s_cbranch_scc0 .LBB119_3140
; %bb.3137:
	s_cmp_eq_u32 s24, 15
	s_mov_b64 s[0:1], -1
	s_cbranch_scc0 .LBB119_3139
; %bb.3138:
	v_cndmask_b32_e64 v2, 0, 1.0, s[22:23]
	v_bfe_u32 v3, v2, 16, 1
	s_movk_i32 s0, 0x7fff
	v_add3_u32 v2, v2, v3, s0
	global_store_short_d16_hi v[0:1], v2, off
	s_mov_b64 s[0:1], 0
	s_mov_b64 s[6:7], -1
.LBB119_3139:
	s_mov_b64 s[16:17], 0
.LBB119_3140:
	s_and_b64 vcc, exec, s[16:17]
	s_cbranch_vccz .LBB119_3142
; %bb.3141:
	s_cmp_lg_u32 s24, 11
	s_mov_b64 s[2:3], -1
	s_cselect_b64 s[0:1], -1, 0
.LBB119_3142:
	s_and_b64 vcc, exec, s[0:1]
	s_cbranch_vccnz .LBB119_3277
; %bb.3143:
	s_andn2_b64 vcc, exec, s[2:3]
	s_cbranch_vccnz .LBB119_3145
.LBB119_3144:
	v_cndmask_b32_e64 v2, 0, 1, s[22:23]
	s_mov_b64 s[6:7], -1
	global_store_byte v[0:1], v2, off
.LBB119_3145:
	s_mov_b64 s[0:1], 0
	s_branch .LBB119_3147
.LBB119_3146:
	s_mov_b64 s[0:1], -1
	s_mov_b64 s[6:7], 0
.LBB119_3147:
	s_and_b64 vcc, exec, s[0:1]
	s_cbranch_vccz .LBB119_3186
; %bb.3148:
	s_cmp_lt_i32 s24, 5
	s_mov_b64 s[0:1], -1
	s_cbranch_scc1 .LBB119_3169
; %bb.3149:
	s_cmp_lt_i32 s24, 8
	s_cbranch_scc1 .LBB119_3159
; %bb.3150:
	s_cmp_lt_i32 s24, 9
	s_cbranch_scc1 .LBB119_3156
; %bb.3151:
	s_cmp_gt_i32 s24, 9
	s_cbranch_scc0 .LBB119_3153
; %bb.3152:
	v_cndmask_b32_e64 v2, 0, 1, s[22:23]
	v_cvt_f64_u32_e32 v[2:3], v2
	v_mov_b32_e32 v4, 0
	v_mov_b32_e32 v5, v4
	s_mov_b64 s[0:1], 0
	global_store_dwordx4 v[0:1], v[2:5], off
.LBB119_3153:
	s_andn2_b64 vcc, exec, s[0:1]
	s_cbranch_vccnz .LBB119_3155
; %bb.3154:
	v_cndmask_b32_e64 v2, 0, 1.0, s[22:23]
	v_mov_b32_e32 v3, 0
	global_store_dwordx2 v[0:1], v[2:3], off
.LBB119_3155:
	s_mov_b64 s[0:1], 0
.LBB119_3156:
	s_andn2_b64 vcc, exec, s[0:1]
	s_cbranch_vccnz .LBB119_3158
; %bb.3157:
	v_cndmask_b32_e64 v2, 0, 1.0, s[22:23]
	v_cvt_f16_f32_e32 v2, v2
	global_store_dword v[0:1], v2, off
.LBB119_3158:
	s_mov_b64 s[0:1], 0
.LBB119_3159:
	s_andn2_b64 vcc, exec, s[0:1]
	s_cbranch_vccnz .LBB119_3168
; %bb.3160:
	s_cmp_lt_i32 s24, 6
	s_mov_b64 s[0:1], -1
	s_cbranch_scc1 .LBB119_3166
; %bb.3161:
	s_cmp_gt_i32 s24, 6
	s_cbranch_scc0 .LBB119_3163
; %bb.3162:
	v_cndmask_b32_e64 v2, 0, 1, s[22:23]
	v_cvt_f64_u32_e32 v[2:3], v2
	s_mov_b64 s[0:1], 0
	global_store_dwordx2 v[0:1], v[2:3], off
.LBB119_3163:
	s_andn2_b64 vcc, exec, s[0:1]
	s_cbranch_vccnz .LBB119_3165
; %bb.3164:
	v_cndmask_b32_e64 v2, 0, 1.0, s[22:23]
	global_store_dword v[0:1], v2, off
.LBB119_3165:
	s_mov_b64 s[0:1], 0
.LBB119_3166:
	s_andn2_b64 vcc, exec, s[0:1]
	s_cbranch_vccnz .LBB119_3168
; %bb.3167:
	v_cndmask_b32_e64 v2, 0, 1.0, s[22:23]
	v_cvt_f16_f32_e32 v2, v2
	global_store_short v[0:1], v2, off
.LBB119_3168:
	s_mov_b64 s[0:1], 0
.LBB119_3169:
	s_andn2_b64 vcc, exec, s[0:1]
	s_cbranch_vccnz .LBB119_3185
; %bb.3170:
	s_cmp_lt_i32 s24, 2
	s_mov_b64 s[0:1], -1
	s_cbranch_scc1 .LBB119_3180
; %bb.3171:
	s_cmp_lt_i32 s24, 3
	s_cbranch_scc1 .LBB119_3177
; %bb.3172:
	s_cmp_gt_i32 s24, 3
	s_cbranch_scc0 .LBB119_3174
; %bb.3173:
	s_mov_b32 s0, 0
	v_cndmask_b32_e64 v2, 0, 1, s[22:23]
	v_mov_b32_e32 v3, s0
	global_store_dwordx2 v[0:1], v[2:3], off
	s_mov_b64 s[0:1], 0
.LBB119_3174:
	s_andn2_b64 vcc, exec, s[0:1]
	s_cbranch_vccnz .LBB119_3176
; %bb.3175:
	v_cndmask_b32_e64 v2, 0, 1, s[22:23]
	global_store_dword v[0:1], v2, off
.LBB119_3176:
	s_mov_b64 s[0:1], 0
.LBB119_3177:
	s_andn2_b64 vcc, exec, s[0:1]
	s_cbranch_vccnz .LBB119_3179
; %bb.3178:
	v_cndmask_b32_e64 v2, 0, 1, s[22:23]
	global_store_short v[0:1], v2, off
.LBB119_3179:
	s_mov_b64 s[0:1], 0
.LBB119_3180:
	s_andn2_b64 vcc, exec, s[0:1]
	s_cbranch_vccnz .LBB119_3185
; %bb.3181:
	s_cmp_gt_i32 s24, 0
	s_mov_b64 s[0:1], -1
	s_cbranch_scc0 .LBB119_3183
; %bb.3182:
	v_cndmask_b32_e64 v2, 0, 1, s[22:23]
	global_store_byte v[0:1], v2, off
	s_mov_b64 s[0:1], 0
.LBB119_3183:
	s_andn2_b64 vcc, exec, s[0:1]
	s_cbranch_vccnz .LBB119_3185
; %bb.3184:
	v_cndmask_b32_e64 v2, 0, 1, s[22:23]
	global_store_byte v[0:1], v2, off
.LBB119_3185:
	s_mov_b64 s[6:7], -1
.LBB119_3186:
	s_andn2_b64 vcc, exec, s[6:7]
	s_cbranch_vccnz .LBB119_3263
; %bb.3187:
	v_mov_b32_e32 v1, s9
	v_add_co_u32_e32 v0, vcc, s8, v8
	s_cmp_lt_i32 s24, 11
	v_addc_co_u32_e32 v1, vcc, 0, v1, vcc
	s_cbranch_scc1 .LBB119_3264
; %bb.3188:
	s_mov_b64 s[6:7], -1
	s_mov_b64 s[2:3], 0
	s_cmp_gt_i32 s24, 25
	s_mov_b64 s[0:1], 0
	s_cbranch_scc0 .LBB119_3221
; %bb.3189:
	s_cmp_gt_i32 s24, 28
	s_cbranch_scc0 .LBB119_3205
; %bb.3190:
	s_cmp_gt_i32 s24, 43
	;; [unrolled: 3-line block ×3, first 2 shown]
	s_cbranch_scc0 .LBB119_3195
; %bb.3192:
	s_cmp_eq_u32 s24, 46
	s_mov_b64 s[0:1], -1
	s_cbranch_scc0 .LBB119_3194
; %bb.3193:
	v_cndmask_b32_e64 v2, 0, 1.0, s[10:11]
	v_bfe_u32 v3, v2, 16, 1
	s_movk_i32 s0, 0x7fff
	v_add3_u32 v2, v2, v3, s0
	v_lshrrev_b32_e32 v2, 16, v2
	global_store_dword v[0:1], v2, off
	s_mov_b64 s[0:1], 0
.LBB119_3194:
	s_mov_b64 s[6:7], 0
.LBB119_3195:
	s_and_b64 vcc, exec, s[6:7]
	s_cbranch_vccz .LBB119_3200
; %bb.3196:
	s_cmp_eq_u32 s24, 44
	s_mov_b64 s[0:1], -1
	s_cbranch_scc0 .LBB119_3200
; %bb.3197:
	v_cndmask_b32_e64 v3, 0, 1.0, s[10:11]
	v_lshrrev_b32_e32 v2, 23, v3
	s_movk_i32 s0, 0xff
	v_cmp_ne_u32_e32 vcc, s0, v2
	v_mov_b32_e32 v4, 0xff
	s_and_saveexec_b64 s[6:7], vcc
; %bb.3198:
	s_mov_b32 s0, 0x3fffff
	v_and_b32_e32 v4, 0x400000, v3
	v_and_or_b32 v3, v3, s0, v2
	v_cmp_ne_u32_e32 vcc, 0, v4
	v_cmp_ne_u32_e64 s[0:1], 0, v3
	s_and_b64 s[0:1], vcc, s[0:1]
	v_cndmask_b32_e64 v3, 0, 1, s[0:1]
	v_add_u32_e32 v4, v2, v3
; %bb.3199:
	s_or_b64 exec, exec, s[6:7]
	s_mov_b64 s[0:1], 0
	global_store_byte v[0:1], v4, off
.LBB119_3200:
	s_mov_b64 s[6:7], 0
.LBB119_3201:
	s_and_b64 vcc, exec, s[6:7]
	s_cbranch_vccz .LBB119_3204
; %bb.3202:
	s_cmp_eq_u32 s24, 29
	s_mov_b64 s[0:1], -1
	s_cbranch_scc0 .LBB119_3204
; %bb.3203:
	s_mov_b32 s0, 0
	v_cndmask_b32_e64 v2, 0, 1, s[10:11]
	v_mov_b32_e32 v3, s0
	global_store_dwordx2 v[0:1], v[2:3], off
	s_mov_b64 s[0:1], 0
.LBB119_3204:
	s_mov_b64 s[6:7], 0
.LBB119_3205:
	s_and_b64 vcc, exec, s[6:7]
	s_cbranch_vccz .LBB119_3220
; %bb.3206:
	s_cmp_lt_i32 s24, 27
	s_mov_b64 s[6:7], -1
	s_cbranch_scc1 .LBB119_3212
; %bb.3207:
	s_cmp_gt_i32 s24, 27
	v_cndmask_b32_e64 v2, 0, 1, s[10:11]
	s_cbranch_scc0 .LBB119_3209
; %bb.3208:
	global_store_dword v[0:1], v2, off
	s_mov_b64 s[6:7], 0
.LBB119_3209:
	s_andn2_b64 vcc, exec, s[6:7]
	s_cbranch_vccnz .LBB119_3211
; %bb.3210:
	global_store_short v[0:1], v2, off
.LBB119_3211:
	s_mov_b64 s[6:7], 0
.LBB119_3212:
	s_andn2_b64 vcc, exec, s[6:7]
	s_cbranch_vccnz .LBB119_3220
; %bb.3213:
	v_cndmask_b32_e64 v3, 0, 1.0, s[10:11]
	s_mov_b32 s6, 0x43800000
	v_cmp_gt_u32_e32 vcc, s6, v3
	v_mov_b32_e32 v4, 0x80
	s_and_saveexec_b64 s[6:7], vcc
	s_cbranch_execz .LBB119_3219
; %bb.3214:
	s_mov_b32 s8, 0x3bffffff
	v_cmp_lt_u32_e32 vcc, s8, v3
	s_mov_b64 s[8:9], 0
                                        ; implicit-def: $vgpr2
	s_and_saveexec_b64 s[16:17], vcc
	s_xor_b64 s[16:17], exec, s[16:17]
	s_cbranch_execz .LBB119_3280
; %bb.3215:
	v_bfe_u32 v2, v3, 20, 1
	s_mov_b32 s18, 0x487ffff
	v_add3_u32 v2, v3, v2, s18
	s_mov_b64 s[8:9], exec
	v_lshrrev_b32_e32 v2, 20, v2
                                        ; implicit-def: $vgpr3
	s_andn2_saveexec_b64 s[16:17], s[16:17]
	s_cbranch_execnz .LBB119_3281
.LBB119_3216:
	s_or_b64 exec, exec, s[16:17]
	v_mov_b32_e32 v4, 0
	s_and_saveexec_b64 s[16:17], s[8:9]
.LBB119_3217:
	v_mov_b32_e32 v4, v2
.LBB119_3218:
	s_or_b64 exec, exec, s[16:17]
.LBB119_3219:
	s_or_b64 exec, exec, s[6:7]
	global_store_byte v[0:1], v4, off
.LBB119_3220:
	s_mov_b64 s[6:7], 0
.LBB119_3221:
	s_and_b64 vcc, exec, s[6:7]
	s_cbranch_vccz .LBB119_3261
; %bb.3222:
	s_cmp_gt_i32 s24, 22
	s_mov_b64 s[2:3], -1
	s_cbranch_scc0 .LBB119_3254
; %bb.3223:
	s_cmp_lt_i32 s24, 24
	s_cbranch_scc1 .LBB119_3243
; %bb.3224:
	s_cmp_gt_i32 s24, 24
	s_cbranch_scc0 .LBB119_3232
; %bb.3225:
	v_cndmask_b32_e64 v3, 0, 1.0, s[10:11]
	s_mov_b32 s2, 0x47800000
	v_cmp_gt_u32_e32 vcc, s2, v3
	v_mov_b32_e32 v4, 0x80
	s_and_saveexec_b64 s[2:3], vcc
	s_cbranch_execz .LBB119_3231
; %bb.3226:
	s_mov_b32 s6, 0x37ffffff
	v_cmp_lt_u32_e32 vcc, s6, v3
	s_mov_b64 s[6:7], 0
                                        ; implicit-def: $vgpr2
	s_and_saveexec_b64 s[8:9], vcc
	s_xor_b64 s[8:9], exec, s[8:9]
	s_cbranch_execz .LBB119_3283
; %bb.3227:
	v_bfe_u32 v2, v3, 21, 1
	s_mov_b32 s16, 0x88fffff
	v_add3_u32 v2, v3, v2, s16
	s_mov_b64 s[6:7], exec
	v_lshrrev_b32_e32 v2, 21, v2
                                        ; implicit-def: $vgpr3
	s_andn2_saveexec_b64 s[8:9], s[8:9]
	s_cbranch_execnz .LBB119_3284
.LBB119_3228:
	s_or_b64 exec, exec, s[8:9]
	v_mov_b32_e32 v4, 0
	s_and_saveexec_b64 s[8:9], s[6:7]
.LBB119_3229:
	v_mov_b32_e32 v4, v2
.LBB119_3230:
	s_or_b64 exec, exec, s[8:9]
.LBB119_3231:
	s_or_b64 exec, exec, s[2:3]
	s_mov_b64 s[2:3], 0
	global_store_byte v[0:1], v4, off
.LBB119_3232:
	s_and_b64 vcc, exec, s[2:3]
	s_cbranch_vccz .LBB119_3242
; %bb.3233:
	v_cndmask_b32_e64 v2, 0, 1.0, s[10:11]
	s_mov_b32 s2, 0x43f00000
	v_cmp_gt_u32_e32 vcc, s2, v2
                                        ; implicit-def: $vgpr3
	s_and_saveexec_b64 s[2:3], vcc
	s_xor_b64 s[2:3], exec, s[2:3]
	s_cbranch_execz .LBB119_3239
; %bb.3234:
	s_mov_b32 s6, 0x3c7fffff
	v_cmp_lt_u32_e32 vcc, s6, v2
                                        ; implicit-def: $vgpr3
	s_and_saveexec_b64 s[6:7], vcc
	s_xor_b64 s[6:7], exec, s[6:7]
; %bb.3235:
	v_bfe_u32 v3, v2, 20, 1
	s_mov_b32 s8, 0x407ffff
	v_add3_u32 v2, v2, v3, s8
	v_lshrrev_b32_e32 v3, 20, v2
	v_and_b32_e32 v2, 0xff00000, v2
	s_mov_b32 s8, 0x7f00000
	v_mov_b32_e32 v4, 0x7e
	v_cmp_ne_u32_e32 vcc, s8, v2
	v_cndmask_b32_e32 v3, v4, v3, vcc
                                        ; implicit-def: $vgpr2
; %bb.3236:
	s_andn2_saveexec_b64 s[6:7], s[6:7]
; %bb.3237:
	v_add_f32_e32 v3, 0x46800000, v2
; %bb.3238:
	s_or_b64 exec, exec, s[6:7]
                                        ; implicit-def: $vgpr2
.LBB119_3239:
	s_andn2_saveexec_b64 s[2:3], s[2:3]
; %bb.3240:
	s_mov_b32 s6, 0x7f800000
	v_mov_b32_e32 v3, 0x7e
	v_mov_b32_e32 v4, 0x7f
	v_cmp_lt_u32_e32 vcc, s6, v2
	v_cndmask_b32_e32 v3, v3, v4, vcc
; %bb.3241:
	s_or_b64 exec, exec, s[2:3]
	global_store_byte v[0:1], v3, off
.LBB119_3242:
	s_mov_b64 s[2:3], 0
.LBB119_3243:
	s_andn2_b64 vcc, exec, s[2:3]
	s_cbranch_vccnz .LBB119_3253
; %bb.3244:
	v_cndmask_b32_e64 v2, 0, 1.0, s[10:11]
	s_mov_b32 s2, 0x47800000
	v_cmp_gt_u32_e32 vcc, s2, v2
                                        ; implicit-def: $vgpr3
	s_and_saveexec_b64 s[2:3], vcc
	s_xor_b64 s[2:3], exec, s[2:3]
	s_cbranch_execz .LBB119_3250
; %bb.3245:
	s_mov_b32 s6, 0x387fffff
	v_cmp_lt_u32_e32 vcc, s6, v2
                                        ; implicit-def: $vgpr3
	s_and_saveexec_b64 s[6:7], vcc
	s_xor_b64 s[6:7], exec, s[6:7]
; %bb.3246:
	v_bfe_u32 v3, v2, 21, 1
	s_mov_b32 s8, 0x80fffff
	v_add3_u32 v2, v2, v3, s8
	v_lshrrev_b32_e32 v3, 21, v2
                                        ; implicit-def: $vgpr2
; %bb.3247:
	s_andn2_saveexec_b64 s[6:7], s[6:7]
; %bb.3248:
	v_add_f32_e32 v3, 0x43000000, v2
; %bb.3249:
	s_or_b64 exec, exec, s[6:7]
                                        ; implicit-def: $vgpr2
.LBB119_3250:
	s_andn2_saveexec_b64 s[2:3], s[2:3]
; %bb.3251:
	s_mov_b32 s6, 0x7f800000
	v_mov_b32_e32 v3, 0x7c
	v_mov_b32_e32 v4, 0x7f
	v_cmp_lt_u32_e32 vcc, s6, v2
	v_cndmask_b32_e32 v3, v3, v4, vcc
; %bb.3252:
	s_or_b64 exec, exec, s[2:3]
	global_store_byte v[0:1], v3, off
.LBB119_3253:
	s_mov_b64 s[2:3], 0
.LBB119_3254:
	s_andn2_b64 vcc, exec, s[2:3]
	s_mov_b64 s[2:3], 0
	s_cbranch_vccnz .LBB119_3261
; %bb.3255:
	s_cmp_gt_i32 s24, 14
	s_mov_b64 s[6:7], -1
	s_cbranch_scc0 .LBB119_3259
; %bb.3256:
	s_cmp_eq_u32 s24, 15
	s_mov_b64 s[0:1], -1
	s_cbranch_scc0 .LBB119_3258
; %bb.3257:
	v_cndmask_b32_e64 v2, 0, 1.0, s[10:11]
	v_bfe_u32 v3, v2, 16, 1
	s_movk_i32 s0, 0x7fff
	v_add3_u32 v2, v2, v3, s0
	global_store_short_d16_hi v[0:1], v2, off
	s_mov_b64 s[0:1], 0
.LBB119_3258:
	s_mov_b64 s[6:7], 0
.LBB119_3259:
	s_and_b64 vcc, exec, s[6:7]
	s_cbranch_vccz .LBB119_3261
; %bb.3260:
	s_cmp_lg_u32 s24, 11
	s_mov_b64 s[2:3], -1
	s_cselect_b64 s[0:1], -1, 0
.LBB119_3261:
	s_and_b64 vcc, exec, s[0:1]
	s_cbranch_vccnz .LBB119_3282
.LBB119_3262:
	s_mov_b64 s[0:1], 0
	s_branch .LBB119_2783
.LBB119_3263:
	s_mov_b64 s[0:1], 0
	s_branch .LBB119_2782
.LBB119_3264:
	s_mov_b64 s[2:3], 0
	s_mov_b64 s[0:1], -1
	s_branch .LBB119_2783
.LBB119_3265:
	s_andn2_saveexec_b64 s[24:25], s[24:25]
	s_cbranch_execz .LBB119_2858
.LBB119_3266:
	v_add_f32_e32 v2, 0x46000000, v3
	v_and_b32_e32 v2, 0xff, v2
	v_cmp_ne_u32_e32 vcc, 0, v2
	s_andn2_b64 s[18:19], s[18:19], exec
	s_and_b64 s[28:29], vcc, exec
	s_or_b64 s[18:19], s[18:19], s[28:29]
	s_or_b64 exec, exec, s[24:25]
	v_mov_b32_e32 v4, 0
	s_and_saveexec_b64 s[24:25], s[18:19]
	s_cbranch_execnz .LBB119_2859
	s_branch .LBB119_2860
.LBB119_3267:
	s_trap 2
	s_or_b64 s[4:5], s[4:5], exec
	s_cbranch_execz .LBB119_2906
	s_branch .LBB119_2907
.LBB119_3268:
	s_andn2_saveexec_b64 s[18:19], s[18:19]
	s_cbranch_execz .LBB119_2871
.LBB119_3269:
	v_add_f32_e32 v2, 0x42800000, v3
	v_and_b32_e32 v2, 0xff, v2
	v_cmp_ne_u32_e32 vcc, 0, v2
	s_andn2_b64 s[16:17], s[16:17], exec
	s_and_b64 s[24:25], vcc, exec
	s_or_b64 s[16:17], s[16:17], s[24:25]
	s_or_b64 exec, exec, s[18:19]
	v_mov_b32_e32 v4, 0
	s_and_saveexec_b64 s[18:19], s[16:17]
	s_cbranch_execnz .LBB119_2872
	s_branch .LBB119_2873
.LBB119_3270:
	s_andn2_saveexec_b64 s[18:19], s[18:19]
	s_cbranch_execz .LBB119_2977
.LBB119_3271:
	v_add_f32_e32 v2, 0x46000000, v3
	v_and_b32_e32 v2, 0xff, v2
	v_cmp_ne_u32_e32 vcc, 0, v2
	s_andn2_b64 s[16:17], s[16:17], exec
	s_and_b64 s[28:29], vcc, exec
	s_or_b64 s[16:17], s[16:17], s[28:29]
	s_or_b64 exec, exec, s[18:19]
	v_mov_b32_e32 v4, 0
	s_and_saveexec_b64 s[18:19], s[16:17]
	s_cbranch_execnz .LBB119_2978
	s_branch .LBB119_2979
.LBB119_3272:
	s_trap 2
	s_or_b64 s[4:5], s[4:5], exec
	s_cbranch_execz .LBB119_3025
	s_branch .LBB119_3026
.LBB119_3273:
	s_andn2_saveexec_b64 s[16:17], s[16:17]
	s_cbranch_execz .LBB119_2990
.LBB119_3274:
	v_add_f32_e32 v2, 0x42800000, v3
	v_and_b32_e32 v2, 0xff, v2
	v_cmp_ne_u32_e32 vcc, 0, v2
	s_andn2_b64 s[6:7], s[6:7], exec
	s_and_b64 s[18:19], vcc, exec
	s_or_b64 s[6:7], s[6:7], s[18:19]
	s_or_b64 exec, exec, s[16:17]
	v_mov_b32_e32 v4, 0
	s_and_saveexec_b64 s[16:17], s[6:7]
	s_cbranch_execnz .LBB119_2991
	s_branch .LBB119_2992
.LBB119_3275:
	s_andn2_saveexec_b64 s[18:19], s[18:19]
	s_cbranch_execz .LBB119_3096
.LBB119_3276:
	v_add_f32_e32 v2, 0x46000000, v3
	v_and_b32_e32 v2, 0xff, v2
	v_cmp_ne_u32_e32 vcc, 0, v2
	s_andn2_b64 s[16:17], s[16:17], exec
	s_and_b64 s[20:21], vcc, exec
	s_or_b64 s[16:17], s[16:17], s[20:21]
	s_or_b64 exec, exec, s[18:19]
	v_mov_b32_e32 v4, 0
	s_and_saveexec_b64 s[18:19], s[16:17]
	s_cbranch_execnz .LBB119_3097
	s_branch .LBB119_3098
.LBB119_3277:
	s_trap 2
	s_or_b64 s[4:5], s[4:5], exec
	s_cbranch_execz .LBB119_3144
	s_branch .LBB119_3145
.LBB119_3278:
	s_andn2_saveexec_b64 s[16:17], s[16:17]
	s_cbranch_execz .LBB119_3109
.LBB119_3279:
	v_add_f32_e32 v2, 0x42800000, v3
	v_and_b32_e32 v2, 0xff, v2
	v_cmp_ne_u32_e32 vcc, 0, v2
	s_andn2_b64 s[6:7], s[6:7], exec
	s_and_b64 s[18:19], vcc, exec
	s_or_b64 s[6:7], s[6:7], s[18:19]
	s_or_b64 exec, exec, s[16:17]
	v_mov_b32_e32 v4, 0
	s_and_saveexec_b64 s[16:17], s[6:7]
	s_cbranch_execnz .LBB119_3110
	s_branch .LBB119_3111
.LBB119_3280:
	s_andn2_saveexec_b64 s[16:17], s[16:17]
	s_cbranch_execz .LBB119_3216
.LBB119_3281:
	v_add_f32_e32 v2, 0x46000000, v3
	v_and_b32_e32 v2, 0xff, v2
	v_cmp_ne_u32_e32 vcc, 0, v2
	s_andn2_b64 s[8:9], s[8:9], exec
	s_and_b64 s[18:19], vcc, exec
	s_or_b64 s[8:9], s[8:9], s[18:19]
	s_or_b64 exec, exec, s[16:17]
	v_mov_b32_e32 v4, 0
	s_and_saveexec_b64 s[16:17], s[8:9]
	s_cbranch_execnz .LBB119_3217
	s_branch .LBB119_3218
.LBB119_3282:
	s_mov_b64 s[2:3], 0
	s_or_b64 s[4:5], s[4:5], exec
	s_trap 2
	s_branch .LBB119_3262
.LBB119_3283:
	s_andn2_saveexec_b64 s[8:9], s[8:9]
	s_cbranch_execz .LBB119_3228
.LBB119_3284:
	v_add_f32_e32 v2, 0x42800000, v3
	v_and_b32_e32 v2, 0xff, v2
	v_cmp_ne_u32_e32 vcc, 0, v2
	s_andn2_b64 s[6:7], s[6:7], exec
	s_and_b64 s[16:17], vcc, exec
	s_or_b64 s[6:7], s[6:7], s[16:17]
	s_or_b64 exec, exec, s[8:9]
	v_mov_b32_e32 v4, 0
	s_and_saveexec_b64 s[8:9], s[6:7]
	s_cbranch_execnz .LBB119_3229
	s_branch .LBB119_3230
	.section	.rodata,"a",@progbits
	.p2align	6, 0x0
	.amdhsa_kernel _ZN2at6native32elementwise_kernel_manual_unrollILi128ELi4EZNS0_15gpu_kernel_implINS0_13BinaryFunctorIN3c107complexIdEES6_bNS0_12_GLOBAL__N_116CompareEqFunctorIS6_EEEEEEvRNS_18TensorIteratorBaseERKT_EUlibE0_EEviT1_
		.amdhsa_group_segment_fixed_size 0
		.amdhsa_private_segment_fixed_size 0
		.amdhsa_kernarg_size 432
		.amdhsa_user_sgpr_count 6
		.amdhsa_user_sgpr_private_segment_buffer 1
		.amdhsa_user_sgpr_dispatch_ptr 0
		.amdhsa_user_sgpr_queue_ptr 0
		.amdhsa_user_sgpr_kernarg_segment_ptr 1
		.amdhsa_user_sgpr_dispatch_id 0
		.amdhsa_user_sgpr_flat_scratch_init 0
		.amdhsa_user_sgpr_private_segment_size 0
		.amdhsa_uses_dynamic_stack 0
		.amdhsa_system_sgpr_private_segment_wavefront_offset 0
		.amdhsa_system_sgpr_workgroup_id_x 1
		.amdhsa_system_sgpr_workgroup_id_y 0
		.amdhsa_system_sgpr_workgroup_id_z 0
		.amdhsa_system_sgpr_workgroup_info 0
		.amdhsa_system_vgpr_workitem_id 0
		.amdhsa_next_free_vgpr 30
		.amdhsa_next_free_sgpr 80
		.amdhsa_reserve_vcc 1
		.amdhsa_reserve_flat_scratch 0
		.amdhsa_float_round_mode_32 0
		.amdhsa_float_round_mode_16_64 0
		.amdhsa_float_denorm_mode_32 3
		.amdhsa_float_denorm_mode_16_64 3
		.amdhsa_dx10_clamp 1
		.amdhsa_ieee_mode 1
		.amdhsa_fp16_overflow 0
		.amdhsa_exception_fp_ieee_invalid_op 0
		.amdhsa_exception_fp_denorm_src 0
		.amdhsa_exception_fp_ieee_div_zero 0
		.amdhsa_exception_fp_ieee_overflow 0
		.amdhsa_exception_fp_ieee_underflow 0
		.amdhsa_exception_fp_ieee_inexact 0
		.amdhsa_exception_int_div_zero 0
	.end_amdhsa_kernel
	.section	.text._ZN2at6native32elementwise_kernel_manual_unrollILi128ELi4EZNS0_15gpu_kernel_implINS0_13BinaryFunctorIN3c107complexIdEES6_bNS0_12_GLOBAL__N_116CompareEqFunctorIS6_EEEEEEvRNS_18TensorIteratorBaseERKT_EUlibE0_EEviT1_,"axG",@progbits,_ZN2at6native32elementwise_kernel_manual_unrollILi128ELi4EZNS0_15gpu_kernel_implINS0_13BinaryFunctorIN3c107complexIdEES6_bNS0_12_GLOBAL__N_116CompareEqFunctorIS6_EEEEEEvRNS_18TensorIteratorBaseERKT_EUlibE0_EEviT1_,comdat
.Lfunc_end119:
	.size	_ZN2at6native32elementwise_kernel_manual_unrollILi128ELi4EZNS0_15gpu_kernel_implINS0_13BinaryFunctorIN3c107complexIdEES6_bNS0_12_GLOBAL__N_116CompareEqFunctorIS6_EEEEEEvRNS_18TensorIteratorBaseERKT_EUlibE0_EEviT1_, .Lfunc_end119-_ZN2at6native32elementwise_kernel_manual_unrollILi128ELi4EZNS0_15gpu_kernel_implINS0_13BinaryFunctorIN3c107complexIdEES6_bNS0_12_GLOBAL__N_116CompareEqFunctorIS6_EEEEEEvRNS_18TensorIteratorBaseERKT_EUlibE0_EEviT1_
                                        ; -- End function
	.set _ZN2at6native32elementwise_kernel_manual_unrollILi128ELi4EZNS0_15gpu_kernel_implINS0_13BinaryFunctorIN3c107complexIdEES6_bNS0_12_GLOBAL__N_116CompareEqFunctorIS6_EEEEEEvRNS_18TensorIteratorBaseERKT_EUlibE0_EEviT1_.num_vgpr, 30
	.set _ZN2at6native32elementwise_kernel_manual_unrollILi128ELi4EZNS0_15gpu_kernel_implINS0_13BinaryFunctorIN3c107complexIdEES6_bNS0_12_GLOBAL__N_116CompareEqFunctorIS6_EEEEEEvRNS_18TensorIteratorBaseERKT_EUlibE0_EEviT1_.num_agpr, 0
	.set _ZN2at6native32elementwise_kernel_manual_unrollILi128ELi4EZNS0_15gpu_kernel_implINS0_13BinaryFunctorIN3c107complexIdEES6_bNS0_12_GLOBAL__N_116CompareEqFunctorIS6_EEEEEEvRNS_18TensorIteratorBaseERKT_EUlibE0_EEviT1_.numbered_sgpr, 80
	.set _ZN2at6native32elementwise_kernel_manual_unrollILi128ELi4EZNS0_15gpu_kernel_implINS0_13BinaryFunctorIN3c107complexIdEES6_bNS0_12_GLOBAL__N_116CompareEqFunctorIS6_EEEEEEvRNS_18TensorIteratorBaseERKT_EUlibE0_EEviT1_.num_named_barrier, 0
	.set _ZN2at6native32elementwise_kernel_manual_unrollILi128ELi4EZNS0_15gpu_kernel_implINS0_13BinaryFunctorIN3c107complexIdEES6_bNS0_12_GLOBAL__N_116CompareEqFunctorIS6_EEEEEEvRNS_18TensorIteratorBaseERKT_EUlibE0_EEviT1_.private_seg_size, 0
	.set _ZN2at6native32elementwise_kernel_manual_unrollILi128ELi4EZNS0_15gpu_kernel_implINS0_13BinaryFunctorIN3c107complexIdEES6_bNS0_12_GLOBAL__N_116CompareEqFunctorIS6_EEEEEEvRNS_18TensorIteratorBaseERKT_EUlibE0_EEviT1_.uses_vcc, 1
	.set _ZN2at6native32elementwise_kernel_manual_unrollILi128ELi4EZNS0_15gpu_kernel_implINS0_13BinaryFunctorIN3c107complexIdEES6_bNS0_12_GLOBAL__N_116CompareEqFunctorIS6_EEEEEEvRNS_18TensorIteratorBaseERKT_EUlibE0_EEviT1_.uses_flat_scratch, 0
	.set _ZN2at6native32elementwise_kernel_manual_unrollILi128ELi4EZNS0_15gpu_kernel_implINS0_13BinaryFunctorIN3c107complexIdEES6_bNS0_12_GLOBAL__N_116CompareEqFunctorIS6_EEEEEEvRNS_18TensorIteratorBaseERKT_EUlibE0_EEviT1_.has_dyn_sized_stack, 0
	.set _ZN2at6native32elementwise_kernel_manual_unrollILi128ELi4EZNS0_15gpu_kernel_implINS0_13BinaryFunctorIN3c107complexIdEES6_bNS0_12_GLOBAL__N_116CompareEqFunctorIS6_EEEEEEvRNS_18TensorIteratorBaseERKT_EUlibE0_EEviT1_.has_recursion, 0
	.set _ZN2at6native32elementwise_kernel_manual_unrollILi128ELi4EZNS0_15gpu_kernel_implINS0_13BinaryFunctorIN3c107complexIdEES6_bNS0_12_GLOBAL__N_116CompareEqFunctorIS6_EEEEEEvRNS_18TensorIteratorBaseERKT_EUlibE0_EEviT1_.has_indirect_call, 0
	.section	.AMDGPU.csdata,"",@progbits
; Kernel info:
; codeLenInByte = 51896
; TotalNumSgprs: 84
; NumVgprs: 30
; ScratchSize: 0
; MemoryBound: 1
; FloatMode: 240
; IeeeMode: 1
; LDSByteSize: 0 bytes/workgroup (compile time only)
; SGPRBlocks: 10
; VGPRBlocks: 7
; NumSGPRsForWavesPerEU: 84
; NumVGPRsForWavesPerEU: 30
; Occupancy: 8
; WaveLimiterHint : 1
; COMPUTE_PGM_RSRC2:SCRATCH_EN: 0
; COMPUTE_PGM_RSRC2:USER_SGPR: 6
; COMPUTE_PGM_RSRC2:TRAP_HANDLER: 0
; COMPUTE_PGM_RSRC2:TGID_X_EN: 1
; COMPUTE_PGM_RSRC2:TGID_Y_EN: 0
; COMPUTE_PGM_RSRC2:TGID_Z_EN: 0
; COMPUTE_PGM_RSRC2:TIDIG_COMP_CNT: 0
	.section	.text._ZN2at6native29vectorized_elementwise_kernelILi16ENS0_13AUnaryFunctorIN3c107complexIdEES5_bNS0_12_GLOBAL__N_116CompareEqFunctorIS5_EEEESt5arrayIPcLm2EEEEviT0_T1_,"axG",@progbits,_ZN2at6native29vectorized_elementwise_kernelILi16ENS0_13AUnaryFunctorIN3c107complexIdEES5_bNS0_12_GLOBAL__N_116CompareEqFunctorIS5_EEEESt5arrayIPcLm2EEEEviT0_T1_,comdat
	.globl	_ZN2at6native29vectorized_elementwise_kernelILi16ENS0_13AUnaryFunctorIN3c107complexIdEES5_bNS0_12_GLOBAL__N_116CompareEqFunctorIS5_EEEESt5arrayIPcLm2EEEEviT0_T1_ ; -- Begin function _ZN2at6native29vectorized_elementwise_kernelILi16ENS0_13AUnaryFunctorIN3c107complexIdEES5_bNS0_12_GLOBAL__N_116CompareEqFunctorIS5_EEEESt5arrayIPcLm2EEEEviT0_T1_
	.p2align	8
	.type	_ZN2at6native29vectorized_elementwise_kernelILi16ENS0_13AUnaryFunctorIN3c107complexIdEES5_bNS0_12_GLOBAL__N_116CompareEqFunctorIS5_EEEESt5arrayIPcLm2EEEEviT0_T1_,@function
_ZN2at6native29vectorized_elementwise_kernelILi16ENS0_13AUnaryFunctorIN3c107complexIdEES5_bNS0_12_GLOBAL__N_116CompareEqFunctorIS5_EEEESt5arrayIPcLm2EEEEviT0_T1_: ; @_ZN2at6native29vectorized_elementwise_kernelILi16ENS0_13AUnaryFunctorIN3c107complexIdEES5_bNS0_12_GLOBAL__N_116CompareEqFunctorIS5_EEEESt5arrayIPcLm2EEEEviT0_T1_
; %bb.0:
	s_load_dword s0, s[4:5], 0x0
	s_load_dword s46, s[4:5], 0x10
	s_load_dwordx8 s[8:15], s[4:5], 0x20
	s_lshl_b32 s6, s6, 12
	s_waitcnt lgkmcnt(0)
	s_sub_i32 s33, s0, s6
	s_cmpk_gt_i32 s33, 0xfff
	s_mov_b64 s[0:1], -1
	s_cbranch_scc0 .LBB120_50
; %bb.1:
	s_ashr_i32 s7, s6, 31
	s_lshl_b64 s[0:1], s[6:7], 4
	s_add_u32 s0, s14, s0
	s_addc_u32 s1, s15, s1
	v_lshlrev_b32_e32 v13, 8, v0
	global_load_dwordx4 v[49:52], v13, s[0:1] offset:48
	global_load_dwordx4 v[53:56], v13, s[0:1] offset:32
	;; [unrolled: 1-line block ×3, first 2 shown]
	global_load_dwordx4 v[61:64], v13, s[0:1]
	global_load_dwordx4 v[33:36], v13, s[0:1] offset:112
	global_load_dwordx4 v[37:40], v13, s[0:1] offset:96
	;; [unrolled: 1-line block ×11, first 2 shown]
	s_nop 0
	global_load_dwordx4 v[13:16], v13, s[0:1] offset:192
	s_cmp_lg_u32 s46, 0
	s_cselect_b64 s[2:3], -1, 0
	s_and_b64 vcc, exec, s[2:3]
	s_cbranch_vccz .LBB120_196
; %bb.2:
	s_waitcnt vmcnt(12)
	v_cmp_neq_f64_e32 vcc, s[8:9], v[61:62]
	v_cmp_neq_f64_e64 s[0:1], s[10:11], v[63:64]
	s_or_b64 s[4:5], vcc, s[0:1]
	s_cbranch_execnz .LBB120_4
.LBB120_3:
	s_waitcnt vmcnt(12)
	v_cmp_eq_f64_e32 vcc, s[8:9], v[61:62]
	v_cmp_eq_f64_e64 s[0:1], s[10:11], v[63:64]
	s_andn2_b64 s[4:5], s[4:5], exec
	s_and_b64 s[0:1], vcc, s[0:1]
	s_and_b64 s[0:1], s[0:1], exec
	s_or_b64 s[4:5], s[4:5], s[0:1]
.LBB120_4:
	s_waitcnt vmcnt(12)
	v_cndmask_b32_e64 v61, 0, 1, s[2:3]
	v_cmp_ne_u32_e64 s[0:1], 1, v61
	s_andn2_b64 vcc, exec, s[2:3]
	s_cbranch_vccnz .LBB120_197
; %bb.5:
	v_cmp_neq_f64_e32 vcc, s[8:9], v[57:58]
	v_cmp_neq_f64_e64 s[2:3], s[10:11], v[59:60]
	s_or_b64 s[16:17], vcc, s[2:3]
	s_cbranch_execnz .LBB120_7
.LBB120_6:
	v_cmp_eq_f64_e32 vcc, s[8:9], v[57:58]
	v_cmp_eq_f64_e64 s[2:3], s[10:11], v[59:60]
	s_andn2_b64 s[16:17], s[16:17], exec
	s_and_b64 s[2:3], vcc, s[2:3]
	s_and_b64 s[2:3], s[2:3], exec
	s_or_b64 s[16:17], s[16:17], s[2:3]
.LBB120_7:
	s_and_b64 vcc, exec, s[0:1]
	s_cbranch_vccnz .LBB120_198
; %bb.8:
	v_cmp_neq_f64_e32 vcc, s[8:9], v[53:54]
	v_cmp_neq_f64_e64 s[2:3], s[10:11], v[55:56]
	s_or_b64 s[18:19], vcc, s[2:3]
	s_cbranch_execnz .LBB120_10
.LBB120_9:
	v_cmp_eq_f64_e32 vcc, s[8:9], v[53:54]
	v_cmp_eq_f64_e64 s[2:3], s[10:11], v[55:56]
	s_andn2_b64 s[18:19], s[18:19], exec
	s_and_b64 s[2:3], vcc, s[2:3]
	s_and_b64 s[2:3], s[2:3], exec
	s_or_b64 s[18:19], s[18:19], s[2:3]
.LBB120_10:
	s_and_b64 vcc, exec, s[0:1]
	s_cbranch_vccnz .LBB120_199
; %bb.11:
	v_cmp_neq_f64_e32 vcc, s[8:9], v[49:50]
	v_cmp_neq_f64_e64 s[2:3], s[10:11], v[51:52]
	s_or_b64 s[20:21], vcc, s[2:3]
	s_cbranch_execnz .LBB120_13
.LBB120_12:
	v_cmp_eq_f64_e32 vcc, s[8:9], v[49:50]
	v_cmp_eq_f64_e64 s[2:3], s[10:11], v[51:52]
	s_andn2_b64 s[20:21], s[20:21], exec
	s_and_b64 s[2:3], vcc, s[2:3]
	s_and_b64 s[2:3], s[2:3], exec
	s_or_b64 s[20:21], s[20:21], s[2:3]
.LBB120_13:
	s_and_b64 vcc, exec, s[0:1]
	s_cbranch_vccnz .LBB120_200
; %bb.14:
	s_waitcnt vmcnt(8)
	v_cmp_neq_f64_e32 vcc, s[8:9], v[45:46]
	v_cmp_neq_f64_e64 s[2:3], s[10:11], v[47:48]
	s_or_b64 s[22:23], vcc, s[2:3]
	s_cbranch_execnz .LBB120_16
.LBB120_15:
	s_waitcnt vmcnt(8)
	v_cmp_eq_f64_e32 vcc, s[8:9], v[45:46]
	v_cmp_eq_f64_e64 s[2:3], s[10:11], v[47:48]
	s_andn2_b64 s[22:23], s[22:23], exec
	s_and_b64 s[2:3], vcc, s[2:3]
	s_and_b64 s[2:3], s[2:3], exec
	s_or_b64 s[22:23], s[22:23], s[2:3]
.LBB120_16:
	s_and_b64 vcc, exec, s[0:1]
	s_cbranch_vccnz .LBB120_201
; %bb.17:
	s_waitcnt vmcnt(9)
	v_cmp_neq_f64_e32 vcc, s[8:9], v[41:42]
	v_cmp_neq_f64_e64 s[2:3], s[10:11], v[43:44]
	s_or_b64 s[24:25], vcc, s[2:3]
	s_cbranch_execnz .LBB120_19
.LBB120_18:
	s_waitcnt vmcnt(9)
	v_cmp_eq_f64_e32 vcc, s[8:9], v[41:42]
	v_cmp_eq_f64_e64 s[2:3], s[10:11], v[43:44]
	s_andn2_b64 s[24:25], s[24:25], exec
	s_and_b64 s[2:3], vcc, s[2:3]
	s_and_b64 s[2:3], s[2:3], exec
	s_or_b64 s[24:25], s[24:25], s[2:3]
.LBB120_19:
	s_and_b64 vcc, exec, s[0:1]
	s_cbranch_vccnz .LBB120_202
; %bb.20:
	s_waitcnt vmcnt(10)
	v_cmp_neq_f64_e32 vcc, s[8:9], v[37:38]
	v_cmp_neq_f64_e64 s[2:3], s[10:11], v[39:40]
	s_or_b64 s[26:27], vcc, s[2:3]
	s_cbranch_execnz .LBB120_22
.LBB120_21:
	s_waitcnt vmcnt(10)
	v_cmp_eq_f64_e32 vcc, s[8:9], v[37:38]
	v_cmp_eq_f64_e64 s[2:3], s[10:11], v[39:40]
	s_andn2_b64 s[26:27], s[26:27], exec
	s_and_b64 s[2:3], vcc, s[2:3]
	s_and_b64 s[2:3], s[2:3], exec
	s_or_b64 s[26:27], s[26:27], s[2:3]
.LBB120_22:
	s_and_b64 vcc, exec, s[0:1]
	s_cbranch_vccnz .LBB120_203
; %bb.23:
	s_waitcnt vmcnt(11)
	v_cmp_neq_f64_e32 vcc, s[8:9], v[33:34]
	v_cmp_neq_f64_e64 s[2:3], s[10:11], v[35:36]
	s_or_b64 s[28:29], vcc, s[2:3]
	s_cbranch_execnz .LBB120_25
.LBB120_24:
	s_waitcnt vmcnt(11)
	v_cmp_eq_f64_e32 vcc, s[8:9], v[33:34]
	v_cmp_eq_f64_e64 s[2:3], s[10:11], v[35:36]
	s_andn2_b64 s[28:29], s[28:29], exec
	s_and_b64 s[2:3], vcc, s[2:3]
	s_and_b64 s[2:3], s[2:3], exec
	s_or_b64 s[28:29], s[28:29], s[2:3]
.LBB120_25:
	s_and_b64 vcc, exec, s[0:1]
	s_cbranch_vccnz .LBB120_204
; %bb.26:
	s_waitcnt vmcnt(4)
	v_cmp_neq_f64_e32 vcc, s[8:9], v[29:30]
	v_cmp_neq_f64_e64 s[2:3], s[10:11], v[31:32]
	s_or_b64 s[30:31], vcc, s[2:3]
	s_cbranch_execnz .LBB120_28
.LBB120_27:
	s_waitcnt vmcnt(4)
	v_cmp_eq_f64_e32 vcc, s[8:9], v[29:30]
	v_cmp_eq_f64_e64 s[2:3], s[10:11], v[31:32]
	s_andn2_b64 s[30:31], s[30:31], exec
	s_and_b64 s[2:3], vcc, s[2:3]
	s_and_b64 s[2:3], s[2:3], exec
	s_or_b64 s[30:31], s[30:31], s[2:3]
.LBB120_28:
	s_and_b64 vcc, exec, s[0:1]
	s_cbranch_vccnz .LBB120_205
; %bb.29:
	s_waitcnt vmcnt(5)
	v_cmp_neq_f64_e32 vcc, s[8:9], v[25:26]
	v_cmp_neq_f64_e64 s[2:3], s[10:11], v[27:28]
	s_or_b64 s[34:35], vcc, s[2:3]
	s_cbranch_execnz .LBB120_31
.LBB120_30:
	s_waitcnt vmcnt(5)
	v_cmp_eq_f64_e32 vcc, s[8:9], v[25:26]
	v_cmp_eq_f64_e64 s[2:3], s[10:11], v[27:28]
	s_andn2_b64 s[34:35], s[34:35], exec
	s_and_b64 s[2:3], vcc, s[2:3]
	s_and_b64 s[2:3], s[2:3], exec
	s_or_b64 s[34:35], s[34:35], s[2:3]
.LBB120_31:
	s_and_b64 vcc, exec, s[0:1]
	s_cbranch_vccnz .LBB120_206
; %bb.32:
	s_waitcnt vmcnt(6)
	v_cmp_neq_f64_e32 vcc, s[8:9], v[21:22]
	v_cmp_neq_f64_e64 s[2:3], s[10:11], v[23:24]
	s_or_b64 s[36:37], vcc, s[2:3]
	s_cbranch_execnz .LBB120_34
.LBB120_33:
	s_waitcnt vmcnt(6)
	v_cmp_eq_f64_e32 vcc, s[8:9], v[21:22]
	v_cmp_eq_f64_e64 s[2:3], s[10:11], v[23:24]
	s_andn2_b64 s[36:37], s[36:37], exec
	s_and_b64 s[2:3], vcc, s[2:3]
	s_and_b64 s[2:3], s[2:3], exec
	s_or_b64 s[36:37], s[36:37], s[2:3]
.LBB120_34:
	s_and_b64 vcc, exec, s[0:1]
	s_cbranch_vccnz .LBB120_207
; %bb.35:
	s_waitcnt vmcnt(7)
	v_cmp_neq_f64_e32 vcc, s[8:9], v[17:18]
	v_cmp_neq_f64_e64 s[2:3], s[10:11], v[19:20]
	s_or_b64 s[38:39], vcc, s[2:3]
	s_cbranch_execnz .LBB120_37
.LBB120_36:
	s_waitcnt vmcnt(7)
	v_cmp_eq_f64_e32 vcc, s[8:9], v[17:18]
	v_cmp_eq_f64_e64 s[2:3], s[10:11], v[19:20]
	s_andn2_b64 s[38:39], s[38:39], exec
	s_and_b64 s[2:3], vcc, s[2:3]
	s_and_b64 s[2:3], s[2:3], exec
	s_or_b64 s[38:39], s[38:39], s[2:3]
.LBB120_37:
	s_and_b64 vcc, exec, s[0:1]
	s_cbranch_vccnz .LBB120_208
; %bb.38:
	s_waitcnt vmcnt(0)
	v_cmp_neq_f64_e32 vcc, s[8:9], v[13:14]
	v_cmp_neq_f64_e64 s[2:3], s[10:11], v[15:16]
	s_or_b64 s[40:41], vcc, s[2:3]
	s_cbranch_execnz .LBB120_40
.LBB120_39:
	s_waitcnt vmcnt(0)
	v_cmp_eq_f64_e32 vcc, s[8:9], v[13:14]
	v_cmp_eq_f64_e64 s[2:3], s[10:11], v[15:16]
	s_andn2_b64 s[40:41], s[40:41], exec
	s_and_b64 s[2:3], vcc, s[2:3]
	s_and_b64 s[2:3], s[2:3], exec
	s_or_b64 s[40:41], s[40:41], s[2:3]
.LBB120_40:
	s_and_b64 vcc, exec, s[0:1]
	s_cbranch_vccnz .LBB120_209
; %bb.41:
	s_waitcnt vmcnt(1)
	v_cmp_neq_f64_e32 vcc, s[8:9], v[9:10]
	v_cmp_neq_f64_e64 s[2:3], s[10:11], v[11:12]
	s_or_b64 s[42:43], vcc, s[2:3]
	s_cbranch_execnz .LBB120_43
.LBB120_42:
	s_waitcnt vmcnt(1)
	v_cmp_eq_f64_e32 vcc, s[8:9], v[9:10]
	v_cmp_eq_f64_e64 s[2:3], s[10:11], v[11:12]
	s_andn2_b64 s[42:43], s[42:43], exec
	s_and_b64 s[2:3], vcc, s[2:3]
	s_and_b64 s[2:3], s[2:3], exec
	s_or_b64 s[42:43], s[42:43], s[2:3]
.LBB120_43:
	s_and_b64 vcc, exec, s[0:1]
	s_cbranch_vccnz .LBB120_210
; %bb.44:
	s_waitcnt vmcnt(2)
	v_cmp_neq_f64_e32 vcc, s[8:9], v[5:6]
	v_cmp_neq_f64_e64 s[2:3], s[10:11], v[7:8]
	s_or_b64 s[44:45], vcc, s[2:3]
	s_cbranch_execnz .LBB120_46
.LBB120_45:
	s_waitcnt vmcnt(2)
	v_cmp_eq_f64_e32 vcc, s[8:9], v[5:6]
	v_cmp_eq_f64_e64 s[2:3], s[10:11], v[7:8]
	s_andn2_b64 s[44:45], s[44:45], exec
	s_and_b64 s[2:3], vcc, s[2:3]
	s_and_b64 s[2:3], s[2:3], exec
	s_or_b64 s[44:45], s[44:45], s[2:3]
.LBB120_46:
	s_and_b64 vcc, exec, s[0:1]
	s_cbranch_vccnz .LBB120_211
; %bb.47:
	s_waitcnt vmcnt(3)
	v_cmp_neq_f64_e32 vcc, s[8:9], v[1:2]
	v_cmp_neq_f64_e64 s[0:1], s[10:11], v[3:4]
	s_or_b64 s[2:3], vcc, s[0:1]
	s_cbranch_execnz .LBB120_49
.LBB120_48:
	s_waitcnt vmcnt(3)
	v_cmp_eq_f64_e32 vcc, s[8:9], v[1:2]
	v_cmp_eq_f64_e64 s[0:1], s[10:11], v[3:4]
	s_andn2_b64 s[2:3], s[2:3], exec
	s_and_b64 s[0:1], vcc, s[0:1]
	s_and_b64 s[0:1], s[0:1], exec
	s_or_b64 s[2:3], s[2:3], s[0:1]
.LBB120_49:
	s_waitcnt vmcnt(3)
	v_cndmask_b32_e64 v1, 0, 1, s[16:17]
	v_lshlrev_b16_e32 v1, 8, v1
	v_cndmask_b32_e64 v2, 0, 1, s[4:5]
	v_or_b32_e32 v1, v2, v1
	v_cndmask_b32_e64 v2, 0, 1, s[20:21]
	v_lshlrev_b16_e32 v2, 8, v2
	v_cndmask_b32_e64 v3, 0, 1, s[18:19]
	v_or_b32_sdwa v2, v3, v2 dst_sel:WORD_1 dst_unused:UNUSED_PAD src0_sel:DWORD src1_sel:DWORD
	v_or_b32_sdwa v1, v1, v2 dst_sel:DWORD dst_unused:UNUSED_PAD src0_sel:WORD_0 src1_sel:DWORD
	v_cndmask_b32_e64 v2, 0, 1, s[24:25]
	v_lshlrev_b16_e32 v2, 8, v2
	v_cndmask_b32_e64 v3, 0, 1, s[22:23]
	v_or_b32_e32 v2, v3, v2
	v_cndmask_b32_e64 v3, 0, 1, s[28:29]
	v_lshlrev_b16_e32 v3, 8, v3
	v_cndmask_b32_e64 v4, 0, 1, s[26:27]
	v_or_b32_sdwa v3, v4, v3 dst_sel:WORD_1 dst_unused:UNUSED_PAD src0_sel:DWORD src1_sel:DWORD
	v_or_b32_sdwa v2, v2, v3 dst_sel:DWORD dst_unused:UNUSED_PAD src0_sel:WORD_0 src1_sel:DWORD
	v_cndmask_b32_e64 v3, 0, 1, s[34:35]
	v_lshlrev_b16_e32 v3, 8, v3
	v_cndmask_b32_e64 v4, 0, 1, s[30:31]
	v_or_b32_e32 v3, v4, v3
	v_cndmask_b32_e64 v4, 0, 1, s[38:39]
	v_lshlrev_b16_e32 v4, 8, v4
	s_waitcnt vmcnt(2)
	v_cndmask_b32_e64 v6, 0, 1, s[36:37]
	v_or_b32_sdwa v4, v6, v4 dst_sel:WORD_1 dst_unused:UNUSED_PAD src0_sel:DWORD src1_sel:DWORD
	v_or_b32_sdwa v3, v3, v4 dst_sel:DWORD dst_unused:UNUSED_PAD src0_sel:WORD_0 src1_sel:DWORD
	v_cndmask_b32_e64 v4, 0, 1, s[42:43]
	v_lshlrev_b16_e32 v4, 8, v4
	v_cndmask_b32_e64 v6, 0, 1, s[40:41]
	v_or_b32_e32 v4, v6, v4
	v_cndmask_b32_e64 v6, 0, 1, s[2:3]
	v_lshlrev_b16_e32 v6, 8, v6
	v_cndmask_b32_e64 v7, 0, 1, s[44:45]
	s_add_u32 s0, s12, s6
	v_or_b32_sdwa v6, v7, v6 dst_sel:WORD_1 dst_unused:UNUSED_PAD src0_sel:DWORD src1_sel:DWORD
	s_addc_u32 s1, s13, s7
	v_lshlrev_b32_e32 v5, 4, v0
	v_or_b32_sdwa v4, v4, v6 dst_sel:DWORD dst_unused:UNUSED_PAD src0_sel:WORD_0 src1_sel:DWORD
	global_store_dwordx4 v5, v[1:4], s[0:1]
	s_mov_b64 s[0:1], 0
.LBB120_50:
	s_and_b64 vcc, exec, s[0:1]
	s_cbranch_vccz .LBB120_195
; %bb.51:
	v_mov_b32_e32 v49, 0
	v_mov_b32_e32 v61, 0
	;; [unrolled: 1-line block ×3, first 2 shown]
	v_cmp_gt_i32_e64 s[0:1], s33, v0
	v_mov_b32_e32 v50, 0
	v_or_b32_e32 v65, s6, v0
	v_mov_b32_e32 v62, 0
	v_mov_b32_e32 v64, 0
	;; [unrolled: 1-line block ×3, first 2 shown]
	s_and_saveexec_b64 s[2:3], s[0:1]
	s_cbranch_execz .LBB120_53
; %bb.52:
	v_mov_b32_e32 v66, 0
	v_lshlrev_b64 v[1:2], 4, v[65:66]
	v_mov_b32_e32 v3, s15
	v_add_co_u32_e32 v1, vcc, s14, v1
	v_addc_co_u32_e32 v2, vcc, v3, v2, vcc
	global_load_dwordx4 v[61:64], v[1:2], off
	v_or_b32_e32 v66, 0x100, v0
.LBB120_53:
	s_or_b64 exec, exec, s[2:3]
	v_mov_b32_e32 v51, 0
	v_mov_b32_e32 v52, 0
	v_cmp_gt_i32_e32 vcc, s33, v66
	s_and_saveexec_b64 s[2:3], vcc
	s_cbranch_execz .LBB120_55
; %bb.54:
	v_add_u32_e32 v1, s6, v66
	v_mov_b32_e32 v2, 0
	v_lshlrev_b64 v[1:2], 4, v[1:2]
	v_mov_b32_e32 v3, s15
	v_add_co_u32_e32 v1, vcc, s14, v1
	v_addc_co_u32_e32 v2, vcc, v3, v2, vcc
	global_load_dwordx4 v[49:52], v[1:2], off
	v_add_u32_e32 v66, 0x100, v66
.LBB120_55:
	s_or_b64 exec, exec, s[2:3]
	v_mov_b32_e32 v41, 0
	v_mov_b32_e32 v57, 0
	v_mov_b32_e32 v59, 0
	v_mov_b32_e32 v42, 0
	v_mov_b32_e32 v58, 0
	v_mov_b32_e32 v60, 0
	v_cmp_gt_i32_e32 vcc, s33, v66
	s_and_saveexec_b64 s[2:3], vcc
	s_cbranch_execz .LBB120_57
; %bb.56:
	v_add_u32_e32 v1, s6, v66
	v_mov_b32_e32 v2, 0
	v_lshlrev_b64 v[1:2], 4, v[1:2]
	v_mov_b32_e32 v3, s15
	v_add_co_u32_e32 v1, vcc, s14, v1
	v_addc_co_u32_e32 v2, vcc, v3, v2, vcc
	global_load_dwordx4 v[57:60], v[1:2], off
	v_add_u32_e32 v66, 0x100, v66
.LBB120_57:
	s_or_b64 exec, exec, s[2:3]
	v_mov_b32_e32 v43, 0
	v_mov_b32_e32 v44, 0
	v_cmp_gt_i32_e32 vcc, s33, v66
	s_and_saveexec_b64 s[2:3], vcc
	s_cbranch_execz .LBB120_59
; %bb.58:
	v_add_u32_e32 v1, s6, v66
	v_mov_b32_e32 v2, 0
	v_lshlrev_b64 v[1:2], 4, v[1:2]
	v_mov_b32_e32 v3, s15
	v_add_co_u32_e32 v1, vcc, s14, v1
	v_addc_co_u32_e32 v2, vcc, v3, v2, vcc
	global_load_dwordx4 v[41:44], v[1:2], off
	v_add_u32_e32 v66, 0x100, v66
.LBB120_59:
	s_or_b64 exec, exec, s[2:3]
	v_mov_b32_e32 v33, 0
	v_mov_b32_e32 v53, 0
	v_mov_b32_e32 v55, 0
	v_mov_b32_e32 v34, 0
	v_mov_b32_e32 v54, 0
	v_mov_b32_e32 v56, 0
	v_cmp_gt_i32_e32 vcc, s33, v66
	s_and_saveexec_b64 s[2:3], vcc
	s_cbranch_execz .LBB120_61
; %bb.60:
	v_add_u32_e32 v1, s6, v66
	v_mov_b32_e32 v2, 0
	v_lshlrev_b64 v[1:2], 4, v[1:2]
	v_mov_b32_e32 v3, s15
	v_add_co_u32_e32 v1, vcc, s14, v1
	v_addc_co_u32_e32 v2, vcc, v3, v2, vcc
	global_load_dwordx4 v[53:56], v[1:2], off
	v_add_u32_e32 v66, 0x100, v66
.LBB120_61:
	;; [unrolled: 36-line block ×4, first 2 shown]
	s_or_b64 exec, exec, s[2:3]
	v_mov_b32_e32 v19, 0
	v_mov_b32_e32 v20, 0
	v_cmp_gt_i32_e32 vcc, s33, v66
	s_and_saveexec_b64 s[2:3], vcc
	s_cbranch_execz .LBB120_71
; %bb.70:
	v_add_u32_e32 v1, s6, v66
	v_mov_b32_e32 v2, 0
	v_lshlrev_b64 v[1:2], 4, v[1:2]
	v_mov_b32_e32 v3, s15
	v_add_co_u32_e32 v1, vcc, s14, v1
	v_addc_co_u32_e32 v2, vcc, v3, v2, vcc
	global_load_dwordx4 v[17:20], v[1:2], off
	v_add_u32_e32 v66, 0x100, v66
.LBB120_71:
	s_or_b64 exec, exec, s[2:3]
	s_waitcnt vmcnt(2)
	v_mov_b32_e32 v9, 0
	v_mov_b32_e32 v29, 0
	;; [unrolled: 1-line block ×6, first 2 shown]
	v_cmp_gt_i32_e32 vcc, s33, v66
	s_and_saveexec_b64 s[2:3], vcc
	s_cbranch_execz .LBB120_73
; %bb.72:
	v_add_u32_e32 v1, s6, v66
	v_mov_b32_e32 v2, 0
	v_lshlrev_b64 v[1:2], 4, v[1:2]
	v_mov_b32_e32 v3, s15
	v_add_co_u32_e32 v1, vcc, s14, v1
	v_addc_co_u32_e32 v2, vcc, v3, v2, vcc
	global_load_dwordx4 v[29:32], v[1:2], off
	v_add_u32_e32 v66, 0x100, v66
.LBB120_73:
	s_or_b64 exec, exec, s[2:3]
	v_mov_b32_e32 v11, 0
	v_mov_b32_e32 v12, 0
	v_cmp_gt_i32_e32 vcc, s33, v66
	s_and_saveexec_b64 s[2:3], vcc
	s_cbranch_execz .LBB120_75
; %bb.74:
	v_add_u32_e32 v1, s6, v66
	v_mov_b32_e32 v2, 0
	v_lshlrev_b64 v[1:2], 4, v[1:2]
	v_mov_b32_e32 v3, s15
	v_add_co_u32_e32 v1, vcc, s14, v1
	v_addc_co_u32_e32 v2, vcc, v3, v2, vcc
	global_load_dwordx4 v[9:12], v[1:2], off
	v_add_u32_e32 v66, 0x100, v66
.LBB120_75:
	s_or_b64 exec, exec, s[2:3]
	v_mov_b32_e32 v5, 0
	v_mov_b32_e32 v21, 0
	;; [unrolled: 1-line block ×6, first 2 shown]
	v_cmp_gt_i32_e32 vcc, s33, v66
	s_and_saveexec_b64 s[2:3], vcc
	s_cbranch_execz .LBB120_77
; %bb.76:
	v_add_u32_e32 v1, s6, v66
	v_mov_b32_e32 v2, 0
	v_lshlrev_b64 v[1:2], 4, v[1:2]
	v_mov_b32_e32 v3, s15
	v_add_co_u32_e32 v1, vcc, s14, v1
	v_addc_co_u32_e32 v2, vcc, v3, v2, vcc
	global_load_dwordx4 v[21:24], v[1:2], off
	v_add_u32_e32 v66, 0x100, v66
.LBB120_77:
	s_or_b64 exec, exec, s[2:3]
	v_mov_b32_e32 v7, 0
	v_mov_b32_e32 v8, 0
	v_cmp_gt_i32_e32 vcc, s33, v66
	s_and_saveexec_b64 s[2:3], vcc
	s_cbranch_execz .LBB120_79
; %bb.78:
	v_add_u32_e32 v1, s6, v66
	v_mov_b32_e32 v2, 0
	v_lshlrev_b64 v[1:2], 4, v[1:2]
	v_mov_b32_e32 v3, s15
	v_add_co_u32_e32 v1, vcc, s14, v1
	v_addc_co_u32_e32 v2, vcc, v3, v2, vcc
	global_load_dwordx4 v[5:8], v[1:2], off
	v_add_u32_e32 v66, 0x100, v66
.LBB120_79:
	s_or_b64 exec, exec, s[2:3]
	v_mov_b32_e32 v1, 0
	s_waitcnt vmcnt(1)
	v_mov_b32_e32 v13, 0
	v_mov_b32_e32 v15, 0
	;; [unrolled: 1-line block ×5, first 2 shown]
	v_cmp_gt_i32_e32 vcc, s33, v66
	s_and_saveexec_b64 s[2:3], vcc
	s_cbranch_execz .LBB120_81
; %bb.80:
	v_add_u32_e32 v3, s6, v66
	v_mov_b32_e32 v4, 0
	v_lshlrev_b64 v[3:4], 4, v[3:4]
	v_mov_b32_e32 v13, s15
	v_add_co_u32_e32 v3, vcc, s14, v3
	v_addc_co_u32_e32 v4, vcc, v13, v4, vcc
	global_load_dwordx4 v[13:16], v[3:4], off
	v_add_u32_e32 v66, 0x100, v66
.LBB120_81:
	s_or_b64 exec, exec, s[2:3]
	v_mov_b32_e32 v3, 0
	v_mov_b32_e32 v4, 0
	v_cmp_gt_i32_e32 vcc, s33, v66
	s_and_saveexec_b64 s[2:3], vcc
	s_cbranch_execz .LBB120_83
; %bb.82:
	v_add_u32_e32 v1, s6, v66
	v_mov_b32_e32 v2, 0
	v_lshlrev_b64 v[1:2], 4, v[1:2]
	v_mov_b32_e32 v3, s15
	v_add_co_u32_e32 v1, vcc, s14, v1
	v_addc_co_u32_e32 v2, vcc, v3, v2, vcc
	global_load_dwordx4 v[1:4], v[1:2], off
.LBB120_83:
	s_or_b64 exec, exec, s[2:3]
	s_cmp_lg_u32 s46, 0
	s_cselect_b64 s[4:5], -1, 0
                                        ; implicit-def: $vgpr66
	s_and_saveexec_b64 s[14:15], s[0:1]
	s_cbranch_execz .LBB120_88
; %bb.84:
	s_and_b64 vcc, exec, s[4:5]
	s_cbranch_vccz .LBB120_212
; %bb.85:
	s_waitcnt vmcnt(0)
	v_cmp_neq_f64_e32 vcc, s[8:9], v[61:62]
	v_cmp_neq_f64_e64 s[2:3], s[10:11], v[63:64]
	s_or_b64 s[16:17], vcc, s[2:3]
	s_cbranch_execnz .LBB120_87
.LBB120_86:
	s_waitcnt vmcnt(0)
	v_cmp_eq_f64_e32 vcc, s[8:9], v[61:62]
	v_cmp_eq_f64_e64 s[2:3], s[10:11], v[63:64]
	s_andn2_b64 s[16:17], s[16:17], exec
	s_and_b64 s[2:3], vcc, s[2:3]
	s_and_b64 s[2:3], s[2:3], exec
	s_or_b64 s[16:17], s[16:17], s[2:3]
.LBB120_87:
	v_cndmask_b32_e64 v66, 0, 1, s[16:17]
.LBB120_88:
	s_or_b64 exec, exec, s[14:15]
	s_waitcnt vmcnt(0)
	v_or_b32_e32 v61, 0x100, v0
	v_cndmask_b32_e64 v62, 0, 1, s[4:5]
	v_cmp_gt_i32_e32 vcc, s33, v61
	v_cmp_ne_u32_e64 s[2:3], 1, v62
                                        ; implicit-def: $vgpr62
	s_and_saveexec_b64 s[14:15], vcc
	s_cbranch_execz .LBB120_93
; %bb.89:
	s_and_b64 vcc, exec, s[2:3]
	s_cbranch_vccnz .LBB120_213
; %bb.90:
	v_cmp_neq_f64_e32 vcc, s[8:9], v[49:50]
	v_cmp_neq_f64_e64 s[4:5], s[10:11], v[51:52]
	s_or_b64 s[16:17], vcc, s[4:5]
	s_cbranch_execnz .LBB120_92
.LBB120_91:
	v_cmp_eq_f64_e32 vcc, s[8:9], v[49:50]
	v_cmp_eq_f64_e64 s[4:5], s[10:11], v[51:52]
	s_andn2_b64 s[16:17], s[16:17], exec
	s_and_b64 s[4:5], vcc, s[4:5]
	s_and_b64 s[4:5], s[4:5], exec
	s_or_b64 s[16:17], s[16:17], s[4:5]
.LBB120_92:
	v_cndmask_b32_e64 v62, 0, 1, s[16:17]
.LBB120_93:
	s_or_b64 exec, exec, s[14:15]
	v_or_b32_e32 v49, 0x200, v0
	v_cmp_gt_i32_e32 vcc, s33, v49
                                        ; implicit-def: $vgpr49
	s_and_saveexec_b64 s[14:15], vcc
	s_cbranch_execz .LBB120_98
; %bb.94:
	s_and_b64 vcc, exec, s[2:3]
	s_cbranch_vccnz .LBB120_214
; %bb.95:
	v_cmp_neq_f64_e32 vcc, s[8:9], v[57:58]
	v_cmp_neq_f64_e64 s[4:5], s[10:11], v[59:60]
	s_or_b64 s[16:17], vcc, s[4:5]
	s_cbranch_execnz .LBB120_97
.LBB120_96:
	v_cmp_eq_f64_e32 vcc, s[8:9], v[57:58]
	v_cmp_eq_f64_e64 s[4:5], s[10:11], v[59:60]
	s_andn2_b64 s[16:17], s[16:17], exec
	s_and_b64 s[4:5], vcc, s[4:5]
	s_and_b64 s[4:5], s[4:5], exec
	s_or_b64 s[16:17], s[16:17], s[4:5]
.LBB120_97:
	v_cndmask_b32_e64 v49, 0, 1, s[16:17]
.LBB120_98:
	s_or_b64 exec, exec, s[14:15]
	v_or_b32_e32 v50, 0x300, v0
	v_cmp_gt_i32_e32 vcc, s33, v50
                                        ; implicit-def: $vgpr50
	s_and_saveexec_b64 s[14:15], vcc
	s_cbranch_execz .LBB120_103
; %bb.99:
	s_and_b64 vcc, exec, s[2:3]
	s_cbranch_vccnz .LBB120_215
; %bb.100:
	v_cmp_neq_f64_e32 vcc, s[8:9], v[41:42]
	v_cmp_neq_f64_e64 s[4:5], s[10:11], v[43:44]
	s_or_b64 s[16:17], vcc, s[4:5]
	s_cbranch_execnz .LBB120_102
.LBB120_101:
	v_cmp_eq_f64_e32 vcc, s[8:9], v[41:42]
	v_cmp_eq_f64_e64 s[4:5], s[10:11], v[43:44]
	s_andn2_b64 s[16:17], s[16:17], exec
	s_and_b64 s[4:5], vcc, s[4:5]
	s_and_b64 s[4:5], s[4:5], exec
	s_or_b64 s[16:17], s[16:17], s[4:5]
.LBB120_102:
	v_cndmask_b32_e64 v50, 0, 1, s[16:17]
.LBB120_103:
	s_or_b64 exec, exec, s[14:15]
	v_or_b32_e32 v41, 0x400, v0
	v_cmp_gt_i32_e32 vcc, s33, v41
                                        ; implicit-def: $vgpr41
	s_and_saveexec_b64 s[14:15], vcc
	s_cbranch_execz .LBB120_108
; %bb.104:
	s_and_b64 vcc, exec, s[2:3]
	s_cbranch_vccnz .LBB120_216
; %bb.105:
	v_cmp_neq_f64_e32 vcc, s[8:9], v[53:54]
	v_cmp_neq_f64_e64 s[4:5], s[10:11], v[55:56]
	s_or_b64 s[16:17], vcc, s[4:5]
	s_cbranch_execnz .LBB120_107
.LBB120_106:
	v_cmp_eq_f64_e32 vcc, s[8:9], v[53:54]
	v_cmp_eq_f64_e64 s[4:5], s[10:11], v[55:56]
	s_andn2_b64 s[16:17], s[16:17], exec
	s_and_b64 s[4:5], vcc, s[4:5]
	s_and_b64 s[4:5], s[4:5], exec
	s_or_b64 s[16:17], s[16:17], s[4:5]
.LBB120_107:
	v_cndmask_b32_e64 v41, 0, 1, s[16:17]
.LBB120_108:
	s_or_b64 exec, exec, s[14:15]
	v_or_b32_e32 v42, 0x500, v0
	v_cmp_gt_i32_e32 vcc, s33, v42
                                        ; implicit-def: $vgpr42
	s_and_saveexec_b64 s[14:15], vcc
	s_cbranch_execz .LBB120_113
; %bb.109:
	s_and_b64 vcc, exec, s[2:3]
	s_cbranch_vccnz .LBB120_217
; %bb.110:
	v_cmp_neq_f64_e32 vcc, s[8:9], v[33:34]
	v_cmp_neq_f64_e64 s[4:5], s[10:11], v[35:36]
	s_or_b64 s[16:17], vcc, s[4:5]
	s_cbranch_execnz .LBB120_112
.LBB120_111:
	v_cmp_eq_f64_e32 vcc, s[8:9], v[33:34]
	v_cmp_eq_f64_e64 s[4:5], s[10:11], v[35:36]
	s_andn2_b64 s[16:17], s[16:17], exec
	s_and_b64 s[4:5], vcc, s[4:5]
	s_and_b64 s[4:5], s[4:5], exec
	s_or_b64 s[16:17], s[16:17], s[4:5]
.LBB120_112:
	v_cndmask_b32_e64 v42, 0, 1, s[16:17]
.LBB120_113:
	s_or_b64 exec, exec, s[14:15]
	v_or_b32_e32 v33, 0x600, v0
	v_cmp_gt_i32_e32 vcc, s33, v33
                                        ; implicit-def: $vgpr33
	s_and_saveexec_b64 s[14:15], vcc
	s_cbranch_execz .LBB120_118
; %bb.114:
	s_and_b64 vcc, exec, s[2:3]
	s_cbranch_vccnz .LBB120_218
; %bb.115:
	v_cmp_neq_f64_e32 vcc, s[8:9], v[45:46]
	v_cmp_neq_f64_e64 s[4:5], s[10:11], v[47:48]
	s_or_b64 s[16:17], vcc, s[4:5]
	s_cbranch_execnz .LBB120_117
.LBB120_116:
	v_cmp_eq_f64_e32 vcc, s[8:9], v[45:46]
	v_cmp_eq_f64_e64 s[4:5], s[10:11], v[47:48]
	s_andn2_b64 s[16:17], s[16:17], exec
	s_and_b64 s[4:5], vcc, s[4:5]
	s_and_b64 s[4:5], s[4:5], exec
	s_or_b64 s[16:17], s[16:17], s[4:5]
.LBB120_117:
	v_cndmask_b32_e64 v33, 0, 1, s[16:17]
.LBB120_118:
	s_or_b64 exec, exec, s[14:15]
	v_or_b32_e32 v34, 0x700, v0
	v_cmp_gt_i32_e32 vcc, s33, v34
                                        ; implicit-def: $vgpr34
	s_and_saveexec_b64 s[14:15], vcc
	s_cbranch_execz .LBB120_123
; %bb.119:
	s_and_b64 vcc, exec, s[2:3]
	s_cbranch_vccnz .LBB120_219
; %bb.120:
	v_cmp_neq_f64_e32 vcc, s[8:9], v[25:26]
	v_cmp_neq_f64_e64 s[4:5], s[10:11], v[27:28]
	s_or_b64 s[16:17], vcc, s[4:5]
	s_cbranch_execnz .LBB120_122
.LBB120_121:
	v_cmp_eq_f64_e32 vcc, s[8:9], v[25:26]
	v_cmp_eq_f64_e64 s[4:5], s[10:11], v[27:28]
	s_andn2_b64 s[16:17], s[16:17], exec
	s_and_b64 s[4:5], vcc, s[4:5]
	s_and_b64 s[4:5], s[4:5], exec
	s_or_b64 s[16:17], s[16:17], s[4:5]
.LBB120_122:
	v_cndmask_b32_e64 v34, 0, 1, s[16:17]
.LBB120_123:
	s_or_b64 exec, exec, s[14:15]
	v_or_b32_e32 v25, 0x800, v0
	v_cmp_gt_i32_e32 vcc, s33, v25
                                        ; implicit-def: $vgpr25
	s_and_saveexec_b64 s[14:15], vcc
	s_cbranch_execz .LBB120_128
; %bb.124:
	s_and_b64 vcc, exec, s[2:3]
	s_cbranch_vccnz .LBB120_220
; %bb.125:
	v_cmp_neq_f64_e32 vcc, s[8:9], v[37:38]
	v_cmp_neq_f64_e64 s[4:5], s[10:11], v[39:40]
	s_or_b64 s[16:17], vcc, s[4:5]
	s_cbranch_execnz .LBB120_127
.LBB120_126:
	v_cmp_eq_f64_e32 vcc, s[8:9], v[37:38]
	v_cmp_eq_f64_e64 s[4:5], s[10:11], v[39:40]
	s_andn2_b64 s[16:17], s[16:17], exec
	s_and_b64 s[4:5], vcc, s[4:5]
	s_and_b64 s[4:5], s[4:5], exec
	s_or_b64 s[16:17], s[16:17], s[4:5]
.LBB120_127:
	v_cndmask_b32_e64 v25, 0, 1, s[16:17]
.LBB120_128:
	s_or_b64 exec, exec, s[14:15]
	v_or_b32_e32 v26, 0x900, v0
	v_cmp_gt_i32_e32 vcc, s33, v26
                                        ; implicit-def: $vgpr26
	s_and_saveexec_b64 s[14:15], vcc
	s_cbranch_execz .LBB120_133
; %bb.129:
	s_and_b64 vcc, exec, s[2:3]
	s_cbranch_vccnz .LBB120_221
; %bb.130:
	v_cmp_neq_f64_e32 vcc, s[8:9], v[17:18]
	v_cmp_neq_f64_e64 s[4:5], s[10:11], v[19:20]
	s_or_b64 s[16:17], vcc, s[4:5]
	s_cbranch_execnz .LBB120_132
.LBB120_131:
	v_cmp_eq_f64_e32 vcc, s[8:9], v[17:18]
	v_cmp_eq_f64_e64 s[4:5], s[10:11], v[19:20]
	s_andn2_b64 s[16:17], s[16:17], exec
	s_and_b64 s[4:5], vcc, s[4:5]
	s_and_b64 s[4:5], s[4:5], exec
	s_or_b64 s[16:17], s[16:17], s[4:5]
.LBB120_132:
	v_cndmask_b32_e64 v26, 0, 1, s[16:17]
.LBB120_133:
	s_or_b64 exec, exec, s[14:15]
	v_or_b32_e32 v17, 0xa00, v0
	v_cmp_gt_i32_e32 vcc, s33, v17
                                        ; implicit-def: $vgpr17
	s_and_saveexec_b64 s[14:15], vcc
	s_cbranch_execz .LBB120_138
; %bb.134:
	s_and_b64 vcc, exec, s[2:3]
	s_cbranch_vccnz .LBB120_222
; %bb.135:
	v_cmp_neq_f64_e32 vcc, s[8:9], v[29:30]
	v_cmp_neq_f64_e64 s[4:5], s[10:11], v[31:32]
	s_or_b64 s[16:17], vcc, s[4:5]
	s_cbranch_execnz .LBB120_137
.LBB120_136:
	v_cmp_eq_f64_e32 vcc, s[8:9], v[29:30]
	v_cmp_eq_f64_e64 s[4:5], s[10:11], v[31:32]
	s_andn2_b64 s[16:17], s[16:17], exec
	s_and_b64 s[4:5], vcc, s[4:5]
	s_and_b64 s[4:5], s[4:5], exec
	s_or_b64 s[16:17], s[16:17], s[4:5]
.LBB120_137:
	v_cndmask_b32_e64 v17, 0, 1, s[16:17]
.LBB120_138:
	s_or_b64 exec, exec, s[14:15]
	v_or_b32_e32 v18, 0xb00, v0
	v_cmp_gt_i32_e32 vcc, s33, v18
                                        ; implicit-def: $vgpr18
	s_and_saveexec_b64 s[14:15], vcc
	s_cbranch_execz .LBB120_143
; %bb.139:
	s_and_b64 vcc, exec, s[2:3]
	s_cbranch_vccnz .LBB120_223
; %bb.140:
	v_cmp_neq_f64_e32 vcc, s[8:9], v[9:10]
	v_cmp_neq_f64_e64 s[4:5], s[10:11], v[11:12]
	s_or_b64 s[16:17], vcc, s[4:5]
	s_cbranch_execnz .LBB120_142
.LBB120_141:
	v_cmp_eq_f64_e32 vcc, s[8:9], v[9:10]
	v_cmp_eq_f64_e64 s[4:5], s[10:11], v[11:12]
	s_andn2_b64 s[16:17], s[16:17], exec
	s_and_b64 s[4:5], vcc, s[4:5]
	s_and_b64 s[4:5], s[4:5], exec
	s_or_b64 s[16:17], s[16:17], s[4:5]
.LBB120_142:
	v_cndmask_b32_e64 v18, 0, 1, s[16:17]
.LBB120_143:
	s_or_b64 exec, exec, s[14:15]
	v_or_b32_e32 v9, 0xc00, v0
	v_cmp_gt_i32_e32 vcc, s33, v9
                                        ; implicit-def: $vgpr9
	s_and_saveexec_b64 s[14:15], vcc
	s_cbranch_execz .LBB120_148
; %bb.144:
	s_and_b64 vcc, exec, s[2:3]
	s_cbranch_vccnz .LBB120_224
; %bb.145:
	v_cmp_neq_f64_e32 vcc, s[8:9], v[21:22]
	v_cmp_neq_f64_e64 s[4:5], s[10:11], v[23:24]
	s_or_b64 s[16:17], vcc, s[4:5]
	s_cbranch_execnz .LBB120_147
.LBB120_146:
	v_cmp_eq_f64_e32 vcc, s[8:9], v[21:22]
	v_cmp_eq_f64_e64 s[4:5], s[10:11], v[23:24]
	s_andn2_b64 s[16:17], s[16:17], exec
	s_and_b64 s[4:5], vcc, s[4:5]
	s_and_b64 s[4:5], s[4:5], exec
	s_or_b64 s[16:17], s[16:17], s[4:5]
.LBB120_147:
	v_cndmask_b32_e64 v9, 0, 1, s[16:17]
.LBB120_148:
	s_or_b64 exec, exec, s[14:15]
	v_or_b32_e32 v10, 0xd00, v0
	v_cmp_gt_i32_e32 vcc, s33, v10
                                        ; implicit-def: $vgpr10
	s_and_saveexec_b64 s[14:15], vcc
	s_cbranch_execz .LBB120_153
; %bb.149:
	s_and_b64 vcc, exec, s[2:3]
	s_cbranch_vccnz .LBB120_225
; %bb.150:
	v_cmp_neq_f64_e32 vcc, s[8:9], v[5:6]
	v_cmp_neq_f64_e64 s[4:5], s[10:11], v[7:8]
	s_or_b64 s[16:17], vcc, s[4:5]
	s_cbranch_execnz .LBB120_152
.LBB120_151:
	v_cmp_eq_f64_e32 vcc, s[8:9], v[5:6]
	v_cmp_eq_f64_e64 s[4:5], s[10:11], v[7:8]
	s_andn2_b64 s[16:17], s[16:17], exec
	s_and_b64 s[4:5], vcc, s[4:5]
	s_and_b64 s[4:5], s[4:5], exec
	s_or_b64 s[16:17], s[16:17], s[4:5]
.LBB120_152:
	v_cndmask_b32_e64 v10, 0, 1, s[16:17]
.LBB120_153:
	s_or_b64 exec, exec, s[14:15]
	v_or_b32_e32 v5, 0xe00, v0
	v_cmp_gt_i32_e32 vcc, s33, v5
                                        ; implicit-def: $vgpr5
	s_and_saveexec_b64 s[14:15], vcc
	s_cbranch_execz .LBB120_158
; %bb.154:
	s_and_b64 vcc, exec, s[2:3]
	s_cbranch_vccnz .LBB120_226
; %bb.155:
	v_cmp_neq_f64_e32 vcc, s[8:9], v[13:14]
	v_cmp_neq_f64_e64 s[4:5], s[10:11], v[15:16]
	s_or_b64 s[16:17], vcc, s[4:5]
	s_cbranch_execnz .LBB120_157
.LBB120_156:
	v_cmp_eq_f64_e32 vcc, s[8:9], v[13:14]
	v_cmp_eq_f64_e64 s[4:5], s[10:11], v[15:16]
	s_andn2_b64 s[16:17], s[16:17], exec
	s_and_b64 s[4:5], vcc, s[4:5]
	s_and_b64 s[4:5], s[4:5], exec
	s_or_b64 s[16:17], s[16:17], s[4:5]
.LBB120_157:
	v_cndmask_b32_e64 v5, 0, 1, s[16:17]
.LBB120_158:
	s_or_b64 exec, exec, s[14:15]
	v_or_b32_e32 v6, 0xf00, v0
	v_cmp_gt_i32_e32 vcc, s33, v6
                                        ; implicit-def: $vgpr6
	s_and_saveexec_b64 s[4:5], vcc
	s_cbranch_execz .LBB120_163
; %bb.159:
	s_and_b64 vcc, exec, s[2:3]
	s_cbranch_vccnz .LBB120_227
; %bb.160:
	v_cmp_neq_f64_e32 vcc, s[8:9], v[1:2]
	v_cmp_neq_f64_e64 s[2:3], s[10:11], v[3:4]
	s_or_b64 s[14:15], vcc, s[2:3]
	s_cbranch_execnz .LBB120_162
.LBB120_161:
	v_cmp_eq_f64_e32 vcc, s[8:9], v[1:2]
	v_cmp_eq_f64_e64 s[2:3], s[10:11], v[3:4]
	s_andn2_b64 s[8:9], s[14:15], exec
	s_and_b64 s[2:3], vcc, s[2:3]
	s_and_b64 s[2:3], s[2:3], exec
	s_or_b64 s[14:15], s[8:9], s[2:3]
.LBB120_162:
	v_cndmask_b32_e64 v6, 0, 1, s[14:15]
.LBB120_163:
	s_or_b64 exec, exec, s[4:5]
	s_and_saveexec_b64 s[2:3], s[0:1]
	s_xor_b64 s[0:1], exec, s[2:3]
	s_cbranch_execz .LBB120_165
; %bb.164:
	v_mov_b32_e32 v0, v61
	global_store_byte v65, v66, s[12:13]
.LBB120_165:
	s_or_b64 exec, exec, s[0:1]
	v_cmp_gt_i32_e32 vcc, s33, v0
	s_and_saveexec_b64 s[0:1], vcc
	s_cbranch_execnz .LBB120_181
; %bb.166:
	s_or_b64 exec, exec, s[0:1]
	v_cmp_gt_i32_e32 vcc, s33, v0
	s_and_saveexec_b64 s[0:1], vcc
	s_cbranch_execnz .LBB120_182
.LBB120_167:
	s_or_b64 exec, exec, s[0:1]
	v_cmp_gt_i32_e32 vcc, s33, v0
	s_and_saveexec_b64 s[0:1], vcc
	s_cbranch_execnz .LBB120_183
.LBB120_168:
	s_or_b64 exec, exec, s[0:1]
	v_cmp_gt_i32_e32 vcc, s33, v0
	s_and_saveexec_b64 s[0:1], vcc
	s_cbranch_execnz .LBB120_184
.LBB120_169:
	s_or_b64 exec, exec, s[0:1]
	v_cmp_gt_i32_e32 vcc, s33, v0
	s_and_saveexec_b64 s[0:1], vcc
	s_cbranch_execnz .LBB120_185
.LBB120_170:
	s_or_b64 exec, exec, s[0:1]
	v_cmp_gt_i32_e32 vcc, s33, v0
	s_and_saveexec_b64 s[0:1], vcc
	s_cbranch_execnz .LBB120_186
.LBB120_171:
	s_or_b64 exec, exec, s[0:1]
	v_cmp_gt_i32_e32 vcc, s33, v0
	s_and_saveexec_b64 s[0:1], vcc
	s_cbranch_execnz .LBB120_187
.LBB120_172:
	s_or_b64 exec, exec, s[0:1]
	v_cmp_gt_i32_e32 vcc, s33, v0
	s_and_saveexec_b64 s[0:1], vcc
	s_cbranch_execnz .LBB120_188
.LBB120_173:
	s_or_b64 exec, exec, s[0:1]
	v_cmp_gt_i32_e32 vcc, s33, v0
	s_and_saveexec_b64 s[0:1], vcc
	s_cbranch_execnz .LBB120_189
.LBB120_174:
	s_or_b64 exec, exec, s[0:1]
	v_cmp_gt_i32_e32 vcc, s33, v0
	s_and_saveexec_b64 s[0:1], vcc
	s_cbranch_execnz .LBB120_190
.LBB120_175:
	s_or_b64 exec, exec, s[0:1]
	v_cmp_gt_i32_e32 vcc, s33, v0
	s_and_saveexec_b64 s[0:1], vcc
	s_cbranch_execnz .LBB120_191
.LBB120_176:
	s_or_b64 exec, exec, s[0:1]
	v_cmp_gt_i32_e32 vcc, s33, v0
	s_and_saveexec_b64 s[0:1], vcc
	s_cbranch_execnz .LBB120_192
.LBB120_177:
	s_or_b64 exec, exec, s[0:1]
	v_cmp_gt_i32_e32 vcc, s33, v0
	s_and_saveexec_b64 s[0:1], vcc
	s_cbranch_execnz .LBB120_193
.LBB120_178:
	s_or_b64 exec, exec, s[0:1]
	v_cmp_gt_i32_e32 vcc, s33, v0
	s_and_saveexec_b64 s[0:1], vcc
	s_cbranch_execnz .LBB120_194
.LBB120_179:
	s_or_b64 exec, exec, s[0:1]
	v_cmp_gt_i32_e32 vcc, s33, v0
	s_and_saveexec_b64 s[0:1], vcc
	s_cbranch_execz .LBB120_195
.LBB120_180:
	v_add_u32_e32 v0, s6, v0
	global_store_byte v0, v6, s[12:13]
	s_endpgm
.LBB120_181:
	v_add_u32_e32 v1, s6, v0
	v_add_u32_e32 v0, 0x100, v0
	global_store_byte v1, v62, s[12:13]
	s_or_b64 exec, exec, s[0:1]
	v_cmp_gt_i32_e32 vcc, s33, v0
	s_and_saveexec_b64 s[0:1], vcc
	s_cbranch_execz .LBB120_167
.LBB120_182:
	v_add_u32_e32 v1, s6, v0
	v_add_u32_e32 v0, 0x100, v0
	global_store_byte v1, v49, s[12:13]
	s_or_b64 exec, exec, s[0:1]
	v_cmp_gt_i32_e32 vcc, s33, v0
	s_and_saveexec_b64 s[0:1], vcc
	s_cbranch_execz .LBB120_168
.LBB120_183:
	v_add_u32_e32 v1, s6, v0
	v_add_u32_e32 v0, 0x100, v0
	global_store_byte v1, v50, s[12:13]
	s_or_b64 exec, exec, s[0:1]
	v_cmp_gt_i32_e32 vcc, s33, v0
	s_and_saveexec_b64 s[0:1], vcc
	s_cbranch_execz .LBB120_169
.LBB120_184:
	v_add_u32_e32 v1, s6, v0
	v_add_u32_e32 v0, 0x100, v0
	global_store_byte v1, v41, s[12:13]
	s_or_b64 exec, exec, s[0:1]
	v_cmp_gt_i32_e32 vcc, s33, v0
	s_and_saveexec_b64 s[0:1], vcc
	s_cbranch_execz .LBB120_170
.LBB120_185:
	v_add_u32_e32 v1, s6, v0
	v_add_u32_e32 v0, 0x100, v0
	global_store_byte v1, v42, s[12:13]
	s_or_b64 exec, exec, s[0:1]
	v_cmp_gt_i32_e32 vcc, s33, v0
	s_and_saveexec_b64 s[0:1], vcc
	s_cbranch_execz .LBB120_171
.LBB120_186:
	v_add_u32_e32 v1, s6, v0
	v_add_u32_e32 v0, 0x100, v0
	global_store_byte v1, v33, s[12:13]
	s_or_b64 exec, exec, s[0:1]
	v_cmp_gt_i32_e32 vcc, s33, v0
	s_and_saveexec_b64 s[0:1], vcc
	s_cbranch_execz .LBB120_172
.LBB120_187:
	v_add_u32_e32 v1, s6, v0
	v_add_u32_e32 v0, 0x100, v0
	global_store_byte v1, v34, s[12:13]
	s_or_b64 exec, exec, s[0:1]
	v_cmp_gt_i32_e32 vcc, s33, v0
	s_and_saveexec_b64 s[0:1], vcc
	s_cbranch_execz .LBB120_173
.LBB120_188:
	v_add_u32_e32 v1, s6, v0
	v_add_u32_e32 v0, 0x100, v0
	global_store_byte v1, v25, s[12:13]
	s_or_b64 exec, exec, s[0:1]
	v_cmp_gt_i32_e32 vcc, s33, v0
	s_and_saveexec_b64 s[0:1], vcc
	s_cbranch_execz .LBB120_174
.LBB120_189:
	v_add_u32_e32 v1, s6, v0
	v_add_u32_e32 v0, 0x100, v0
	global_store_byte v1, v26, s[12:13]
	s_or_b64 exec, exec, s[0:1]
	v_cmp_gt_i32_e32 vcc, s33, v0
	s_and_saveexec_b64 s[0:1], vcc
	s_cbranch_execz .LBB120_175
.LBB120_190:
	v_add_u32_e32 v1, s6, v0
	v_add_u32_e32 v0, 0x100, v0
	global_store_byte v1, v17, s[12:13]
	s_or_b64 exec, exec, s[0:1]
	v_cmp_gt_i32_e32 vcc, s33, v0
	s_and_saveexec_b64 s[0:1], vcc
	s_cbranch_execz .LBB120_176
.LBB120_191:
	v_add_u32_e32 v1, s6, v0
	v_add_u32_e32 v0, 0x100, v0
	global_store_byte v1, v18, s[12:13]
	s_or_b64 exec, exec, s[0:1]
	v_cmp_gt_i32_e32 vcc, s33, v0
	s_and_saveexec_b64 s[0:1], vcc
	s_cbranch_execz .LBB120_177
.LBB120_192:
	v_add_u32_e32 v1, s6, v0
	v_add_u32_e32 v0, 0x100, v0
	global_store_byte v1, v9, s[12:13]
	s_or_b64 exec, exec, s[0:1]
	v_cmp_gt_i32_e32 vcc, s33, v0
	s_and_saveexec_b64 s[0:1], vcc
	s_cbranch_execz .LBB120_178
.LBB120_193:
	v_add_u32_e32 v1, s6, v0
	v_add_u32_e32 v0, 0x100, v0
	global_store_byte v1, v10, s[12:13]
	s_or_b64 exec, exec, s[0:1]
	v_cmp_gt_i32_e32 vcc, s33, v0
	s_and_saveexec_b64 s[0:1], vcc
	s_cbranch_execz .LBB120_179
.LBB120_194:
	v_add_u32_e32 v1, s6, v0
	v_add_u32_e32 v0, 0x100, v0
	global_store_byte v1, v5, s[12:13]
	s_or_b64 exec, exec, s[0:1]
	v_cmp_gt_i32_e32 vcc, s33, v0
	s_and_saveexec_b64 s[0:1], vcc
	s_cbranch_execnz .LBB120_180
.LBB120_195:
	s_endpgm
.LBB120_196:
                                        ; implicit-def: $sgpr4_sgpr5
	s_branch .LBB120_3
.LBB120_197:
                                        ; implicit-def: $sgpr16_sgpr17
	s_branch .LBB120_6
.LBB120_198:
                                        ; implicit-def: $sgpr18_sgpr19
	s_branch .LBB120_9
.LBB120_199:
                                        ; implicit-def: $sgpr20_sgpr21
	s_branch .LBB120_12
.LBB120_200:
                                        ; implicit-def: $sgpr22_sgpr23
	s_branch .LBB120_15
.LBB120_201:
                                        ; implicit-def: $sgpr24_sgpr25
	s_branch .LBB120_18
.LBB120_202:
                                        ; implicit-def: $sgpr26_sgpr27
	s_branch .LBB120_21
.LBB120_203:
                                        ; implicit-def: $sgpr28_sgpr29
	s_branch .LBB120_24
.LBB120_204:
                                        ; implicit-def: $sgpr30_sgpr31
	s_branch .LBB120_27
.LBB120_205:
                                        ; implicit-def: $sgpr34_sgpr35
	s_branch .LBB120_30
.LBB120_206:
                                        ; implicit-def: $sgpr36_sgpr37
	s_branch .LBB120_33
.LBB120_207:
                                        ; implicit-def: $sgpr38_sgpr39
	s_branch .LBB120_36
.LBB120_208:
                                        ; implicit-def: $sgpr40_sgpr41
	s_branch .LBB120_39
.LBB120_209:
                                        ; implicit-def: $sgpr42_sgpr43
	s_branch .LBB120_42
.LBB120_210:
                                        ; implicit-def: $sgpr44_sgpr45
	s_branch .LBB120_45
.LBB120_211:
                                        ; implicit-def: $sgpr2_sgpr3
	s_branch .LBB120_48
.LBB120_212:
                                        ; implicit-def: $sgpr16_sgpr17
	s_branch .LBB120_86
.LBB120_213:
                                        ; implicit-def: $sgpr16_sgpr17
	s_branch .LBB120_91
.LBB120_214:
                                        ; implicit-def: $sgpr16_sgpr17
	s_branch .LBB120_96
.LBB120_215:
                                        ; implicit-def: $sgpr16_sgpr17
	s_branch .LBB120_101
.LBB120_216:
                                        ; implicit-def: $sgpr16_sgpr17
	s_branch .LBB120_106
.LBB120_217:
                                        ; implicit-def: $sgpr16_sgpr17
	s_branch .LBB120_111
.LBB120_218:
                                        ; implicit-def: $sgpr16_sgpr17
	s_branch .LBB120_116
.LBB120_219:
                                        ; implicit-def: $sgpr16_sgpr17
	s_branch .LBB120_121
.LBB120_220:
                                        ; implicit-def: $sgpr16_sgpr17
	s_branch .LBB120_126
.LBB120_221:
                                        ; implicit-def: $sgpr16_sgpr17
	s_branch .LBB120_131
.LBB120_222:
                                        ; implicit-def: $sgpr16_sgpr17
	s_branch .LBB120_136
.LBB120_223:
                                        ; implicit-def: $sgpr16_sgpr17
	s_branch .LBB120_141
.LBB120_224:
                                        ; implicit-def: $sgpr16_sgpr17
	s_branch .LBB120_146
.LBB120_225:
                                        ; implicit-def: $sgpr16_sgpr17
	s_branch .LBB120_151
.LBB120_226:
                                        ; implicit-def: $sgpr16_sgpr17
	s_branch .LBB120_156
.LBB120_227:
                                        ; implicit-def: $sgpr14_sgpr15
	s_branch .LBB120_161
	.section	.rodata,"a",@progbits
	.p2align	6, 0x0
	.amdhsa_kernel _ZN2at6native29vectorized_elementwise_kernelILi16ENS0_13AUnaryFunctorIN3c107complexIdEES5_bNS0_12_GLOBAL__N_116CompareEqFunctorIS5_EEEESt5arrayIPcLm2EEEEviT0_T1_
		.amdhsa_group_segment_fixed_size 0
		.amdhsa_private_segment_fixed_size 0
		.amdhsa_kernarg_size 64
		.amdhsa_user_sgpr_count 6
		.amdhsa_user_sgpr_private_segment_buffer 1
		.amdhsa_user_sgpr_dispatch_ptr 0
		.amdhsa_user_sgpr_queue_ptr 0
		.amdhsa_user_sgpr_kernarg_segment_ptr 1
		.amdhsa_user_sgpr_dispatch_id 0
		.amdhsa_user_sgpr_flat_scratch_init 0
		.amdhsa_user_sgpr_private_segment_size 0
		.amdhsa_uses_dynamic_stack 0
		.amdhsa_system_sgpr_private_segment_wavefront_offset 0
		.amdhsa_system_sgpr_workgroup_id_x 1
		.amdhsa_system_sgpr_workgroup_id_y 0
		.amdhsa_system_sgpr_workgroup_id_z 0
		.amdhsa_system_sgpr_workgroup_info 0
		.amdhsa_system_vgpr_workitem_id 0
		.amdhsa_next_free_vgpr 67
		.amdhsa_next_free_sgpr 47
		.amdhsa_reserve_vcc 1
		.amdhsa_reserve_flat_scratch 0
		.amdhsa_float_round_mode_32 0
		.amdhsa_float_round_mode_16_64 0
		.amdhsa_float_denorm_mode_32 3
		.amdhsa_float_denorm_mode_16_64 3
		.amdhsa_dx10_clamp 1
		.amdhsa_ieee_mode 1
		.amdhsa_fp16_overflow 0
		.amdhsa_exception_fp_ieee_invalid_op 0
		.amdhsa_exception_fp_denorm_src 0
		.amdhsa_exception_fp_ieee_div_zero 0
		.amdhsa_exception_fp_ieee_overflow 0
		.amdhsa_exception_fp_ieee_underflow 0
		.amdhsa_exception_fp_ieee_inexact 0
		.amdhsa_exception_int_div_zero 0
	.end_amdhsa_kernel
	.section	.text._ZN2at6native29vectorized_elementwise_kernelILi16ENS0_13AUnaryFunctorIN3c107complexIdEES5_bNS0_12_GLOBAL__N_116CompareEqFunctorIS5_EEEESt5arrayIPcLm2EEEEviT0_T1_,"axG",@progbits,_ZN2at6native29vectorized_elementwise_kernelILi16ENS0_13AUnaryFunctorIN3c107complexIdEES5_bNS0_12_GLOBAL__N_116CompareEqFunctorIS5_EEEESt5arrayIPcLm2EEEEviT0_T1_,comdat
.Lfunc_end120:
	.size	_ZN2at6native29vectorized_elementwise_kernelILi16ENS0_13AUnaryFunctorIN3c107complexIdEES5_bNS0_12_GLOBAL__N_116CompareEqFunctorIS5_EEEESt5arrayIPcLm2EEEEviT0_T1_, .Lfunc_end120-_ZN2at6native29vectorized_elementwise_kernelILi16ENS0_13AUnaryFunctorIN3c107complexIdEES5_bNS0_12_GLOBAL__N_116CompareEqFunctorIS5_EEEESt5arrayIPcLm2EEEEviT0_T1_
                                        ; -- End function
	.set _ZN2at6native29vectorized_elementwise_kernelILi16ENS0_13AUnaryFunctorIN3c107complexIdEES5_bNS0_12_GLOBAL__N_116CompareEqFunctorIS5_EEEESt5arrayIPcLm2EEEEviT0_T1_.num_vgpr, 67
	.set _ZN2at6native29vectorized_elementwise_kernelILi16ENS0_13AUnaryFunctorIN3c107complexIdEES5_bNS0_12_GLOBAL__N_116CompareEqFunctorIS5_EEEESt5arrayIPcLm2EEEEviT0_T1_.num_agpr, 0
	.set _ZN2at6native29vectorized_elementwise_kernelILi16ENS0_13AUnaryFunctorIN3c107complexIdEES5_bNS0_12_GLOBAL__N_116CompareEqFunctorIS5_EEEESt5arrayIPcLm2EEEEviT0_T1_.numbered_sgpr, 47
	.set _ZN2at6native29vectorized_elementwise_kernelILi16ENS0_13AUnaryFunctorIN3c107complexIdEES5_bNS0_12_GLOBAL__N_116CompareEqFunctorIS5_EEEESt5arrayIPcLm2EEEEviT0_T1_.num_named_barrier, 0
	.set _ZN2at6native29vectorized_elementwise_kernelILi16ENS0_13AUnaryFunctorIN3c107complexIdEES5_bNS0_12_GLOBAL__N_116CompareEqFunctorIS5_EEEESt5arrayIPcLm2EEEEviT0_T1_.private_seg_size, 0
	.set _ZN2at6native29vectorized_elementwise_kernelILi16ENS0_13AUnaryFunctorIN3c107complexIdEES5_bNS0_12_GLOBAL__N_116CompareEqFunctorIS5_EEEESt5arrayIPcLm2EEEEviT0_T1_.uses_vcc, 1
	.set _ZN2at6native29vectorized_elementwise_kernelILi16ENS0_13AUnaryFunctorIN3c107complexIdEES5_bNS0_12_GLOBAL__N_116CompareEqFunctorIS5_EEEESt5arrayIPcLm2EEEEviT0_T1_.uses_flat_scratch, 0
	.set _ZN2at6native29vectorized_elementwise_kernelILi16ENS0_13AUnaryFunctorIN3c107complexIdEES5_bNS0_12_GLOBAL__N_116CompareEqFunctorIS5_EEEESt5arrayIPcLm2EEEEviT0_T1_.has_dyn_sized_stack, 0
	.set _ZN2at6native29vectorized_elementwise_kernelILi16ENS0_13AUnaryFunctorIN3c107complexIdEES5_bNS0_12_GLOBAL__N_116CompareEqFunctorIS5_EEEESt5arrayIPcLm2EEEEviT0_T1_.has_recursion, 0
	.set _ZN2at6native29vectorized_elementwise_kernelILi16ENS0_13AUnaryFunctorIN3c107complexIdEES5_bNS0_12_GLOBAL__N_116CompareEqFunctorIS5_EEEESt5arrayIPcLm2EEEEviT0_T1_.has_indirect_call, 0
	.section	.AMDGPU.csdata,"",@progbits
; Kernel info:
; codeLenInByte = 5080
; TotalNumSgprs: 51
; NumVgprs: 67
; ScratchSize: 0
; MemoryBound: 1
; FloatMode: 240
; IeeeMode: 1
; LDSByteSize: 0 bytes/workgroup (compile time only)
; SGPRBlocks: 6
; VGPRBlocks: 16
; NumSGPRsForWavesPerEU: 51
; NumVGPRsForWavesPerEU: 67
; Occupancy: 3
; WaveLimiterHint : 0
; COMPUTE_PGM_RSRC2:SCRATCH_EN: 0
; COMPUTE_PGM_RSRC2:USER_SGPR: 6
; COMPUTE_PGM_RSRC2:TRAP_HANDLER: 0
; COMPUTE_PGM_RSRC2:TGID_X_EN: 1
; COMPUTE_PGM_RSRC2:TGID_Y_EN: 0
; COMPUTE_PGM_RSRC2:TGID_Z_EN: 0
; COMPUTE_PGM_RSRC2:TIDIG_COMP_CNT: 0
	.section	.text._ZN2at6native29vectorized_elementwise_kernelILi8ENS0_13AUnaryFunctorIN3c107complexIdEES5_bNS0_12_GLOBAL__N_116CompareEqFunctorIS5_EEEESt5arrayIPcLm2EEEEviT0_T1_,"axG",@progbits,_ZN2at6native29vectorized_elementwise_kernelILi8ENS0_13AUnaryFunctorIN3c107complexIdEES5_bNS0_12_GLOBAL__N_116CompareEqFunctorIS5_EEEESt5arrayIPcLm2EEEEviT0_T1_,comdat
	.globl	_ZN2at6native29vectorized_elementwise_kernelILi8ENS0_13AUnaryFunctorIN3c107complexIdEES5_bNS0_12_GLOBAL__N_116CompareEqFunctorIS5_EEEESt5arrayIPcLm2EEEEviT0_T1_ ; -- Begin function _ZN2at6native29vectorized_elementwise_kernelILi8ENS0_13AUnaryFunctorIN3c107complexIdEES5_bNS0_12_GLOBAL__N_116CompareEqFunctorIS5_EEEESt5arrayIPcLm2EEEEviT0_T1_
	.p2align	8
	.type	_ZN2at6native29vectorized_elementwise_kernelILi8ENS0_13AUnaryFunctorIN3c107complexIdEES5_bNS0_12_GLOBAL__N_116CompareEqFunctorIS5_EEEESt5arrayIPcLm2EEEEviT0_T1_,@function
_ZN2at6native29vectorized_elementwise_kernelILi8ENS0_13AUnaryFunctorIN3c107complexIdEES5_bNS0_12_GLOBAL__N_116CompareEqFunctorIS5_EEEESt5arrayIPcLm2EEEEviT0_T1_: ; @_ZN2at6native29vectorized_elementwise_kernelILi8ENS0_13AUnaryFunctorIN3c107complexIdEES5_bNS0_12_GLOBAL__N_116CompareEqFunctorIS5_EEEESt5arrayIPcLm2EEEEviT0_T1_
; %bb.0:
	s_load_dword s0, s[4:5], 0x0
	s_load_dword s46, s[4:5], 0x10
	s_load_dwordx8 s[8:15], s[4:5], 0x20
	s_lshl_b32 s6, s6, 12
	s_waitcnt lgkmcnt(0)
	s_sub_i32 s33, s0, s6
	s_cmpk_gt_i32 s33, 0xfff
	s_mov_b64 s[0:1], -1
	s_cbranch_scc0 .LBB121_50
; %bb.1:
	s_ashr_i32 s7, s6, 31
	s_lshl_b64 s[0:1], s[6:7], 4
	s_add_u32 s0, s14, s0
	s_addc_u32 s1, s15, s1
	v_lshlrev_b32_e32 v1, 7, v0
	v_mov_b32_e32 v2, s1
	v_add_co_u32_e32 v3, vcc, s0, v1
	v_addc_co_u32_e32 v2, vcc, 0, v2, vcc
	global_load_dwordx4 v[49:52], v1, s[0:1] offset:48
	global_load_dwordx4 v[53:56], v1, s[0:1] offset:32
	;; [unrolled: 1-line block ×3, first 2 shown]
	global_load_dwordx4 v[61:64], v1, s[0:1]
	global_load_dwordx4 v[33:36], v1, s[0:1] offset:112
	global_load_dwordx4 v[37:40], v1, s[0:1] offset:96
	;; [unrolled: 1-line block ×4, first 2 shown]
	s_mov_b32 s0, 0x8000
	v_add_co_u32_e32 v65, vcc, s0, v3
	v_addc_co_u32_e32 v66, vcc, 0, v2, vcc
	v_add_co_u32_e32 v67, vcc, 0x8040, v3
	v_addc_co_u32_e32 v68, vcc, 0, v2, vcc
	global_load_dwordx4 v[17:20], v[65:66], off offset:48
	global_load_dwordx4 v[21:24], v[65:66], off offset:32
	global_load_dwordx4 v[29:32], v[65:66], off
	global_load_dwordx4 v[25:28], v[65:66], off offset:16
	global_load_dwordx4 v[1:4], v[67:68], off offset:48
	;; [unrolled: 1-line block ×5, first 2 shown]
	s_cmp_lg_u32 s46, 0
	s_cselect_b64 s[2:3], -1, 0
	s_and_b64 vcc, exec, s[2:3]
	s_cbranch_vccz .LBB121_196
; %bb.2:
	s_waitcnt vmcnt(12)
	v_cmp_neq_f64_e32 vcc, s[8:9], v[61:62]
	v_cmp_neq_f64_e64 s[0:1], s[10:11], v[63:64]
	s_or_b64 s[4:5], vcc, s[0:1]
	s_cbranch_execnz .LBB121_4
.LBB121_3:
	s_waitcnt vmcnt(12)
	v_cmp_eq_f64_e32 vcc, s[8:9], v[61:62]
	v_cmp_eq_f64_e64 s[0:1], s[10:11], v[63:64]
	s_andn2_b64 s[4:5], s[4:5], exec
	s_and_b64 s[0:1], vcc, s[0:1]
	s_and_b64 s[0:1], s[0:1], exec
	s_or_b64 s[4:5], s[4:5], s[0:1]
.LBB121_4:
	s_waitcnt vmcnt(12)
	v_cndmask_b32_e64 v61, 0, 1, s[2:3]
	v_cmp_ne_u32_e64 s[0:1], 1, v61
	s_andn2_b64 vcc, exec, s[2:3]
	s_cbranch_vccnz .LBB121_197
; %bb.5:
	v_cmp_neq_f64_e32 vcc, s[8:9], v[57:58]
	v_cmp_neq_f64_e64 s[2:3], s[10:11], v[59:60]
	s_or_b64 s[16:17], vcc, s[2:3]
	s_cbranch_execnz .LBB121_7
.LBB121_6:
	v_cmp_eq_f64_e32 vcc, s[8:9], v[57:58]
	v_cmp_eq_f64_e64 s[2:3], s[10:11], v[59:60]
	s_andn2_b64 s[16:17], s[16:17], exec
	s_and_b64 s[2:3], vcc, s[2:3]
	s_and_b64 s[2:3], s[2:3], exec
	s_or_b64 s[16:17], s[16:17], s[2:3]
.LBB121_7:
	s_and_b64 vcc, exec, s[0:1]
	s_cbranch_vccnz .LBB121_198
; %bb.8:
	v_cmp_neq_f64_e32 vcc, s[8:9], v[53:54]
	v_cmp_neq_f64_e64 s[2:3], s[10:11], v[55:56]
	s_or_b64 s[18:19], vcc, s[2:3]
	s_cbranch_execnz .LBB121_10
.LBB121_9:
	v_cmp_eq_f64_e32 vcc, s[8:9], v[53:54]
	v_cmp_eq_f64_e64 s[2:3], s[10:11], v[55:56]
	s_andn2_b64 s[18:19], s[18:19], exec
	s_and_b64 s[2:3], vcc, s[2:3]
	s_and_b64 s[2:3], s[2:3], exec
	s_or_b64 s[18:19], s[18:19], s[2:3]
.LBB121_10:
	s_and_b64 vcc, exec, s[0:1]
	s_cbranch_vccnz .LBB121_199
; %bb.11:
	v_cmp_neq_f64_e32 vcc, s[8:9], v[49:50]
	v_cmp_neq_f64_e64 s[2:3], s[10:11], v[51:52]
	s_or_b64 s[20:21], vcc, s[2:3]
	s_cbranch_execnz .LBB121_13
.LBB121_12:
	v_cmp_eq_f64_e32 vcc, s[8:9], v[49:50]
	v_cmp_eq_f64_e64 s[2:3], s[10:11], v[51:52]
	s_andn2_b64 s[20:21], s[20:21], exec
	s_and_b64 s[2:3], vcc, s[2:3]
	s_and_b64 s[2:3], s[2:3], exec
	s_or_b64 s[20:21], s[20:21], s[2:3]
.LBB121_13:
	s_and_b64 vcc, exec, s[0:1]
	s_cbranch_vccnz .LBB121_200
; %bb.14:
	s_waitcnt vmcnt(8)
	v_cmp_neq_f64_e32 vcc, s[8:9], v[45:46]
	v_cmp_neq_f64_e64 s[2:3], s[10:11], v[47:48]
	s_or_b64 s[22:23], vcc, s[2:3]
	s_cbranch_execnz .LBB121_16
.LBB121_15:
	s_waitcnt vmcnt(8)
	v_cmp_eq_f64_e32 vcc, s[8:9], v[45:46]
	v_cmp_eq_f64_e64 s[2:3], s[10:11], v[47:48]
	s_andn2_b64 s[22:23], s[22:23], exec
	s_and_b64 s[2:3], vcc, s[2:3]
	s_and_b64 s[2:3], s[2:3], exec
	s_or_b64 s[22:23], s[22:23], s[2:3]
.LBB121_16:
	s_and_b64 vcc, exec, s[0:1]
	s_cbranch_vccnz .LBB121_201
; %bb.17:
	s_waitcnt vmcnt(9)
	v_cmp_neq_f64_e32 vcc, s[8:9], v[41:42]
	v_cmp_neq_f64_e64 s[2:3], s[10:11], v[43:44]
	s_or_b64 s[24:25], vcc, s[2:3]
	s_cbranch_execnz .LBB121_19
.LBB121_18:
	s_waitcnt vmcnt(9)
	v_cmp_eq_f64_e32 vcc, s[8:9], v[41:42]
	v_cmp_eq_f64_e64 s[2:3], s[10:11], v[43:44]
	s_andn2_b64 s[24:25], s[24:25], exec
	s_and_b64 s[2:3], vcc, s[2:3]
	s_and_b64 s[2:3], s[2:3], exec
	s_or_b64 s[24:25], s[24:25], s[2:3]
.LBB121_19:
	s_and_b64 vcc, exec, s[0:1]
	s_cbranch_vccnz .LBB121_202
; %bb.20:
	s_waitcnt vmcnt(10)
	v_cmp_neq_f64_e32 vcc, s[8:9], v[37:38]
	v_cmp_neq_f64_e64 s[2:3], s[10:11], v[39:40]
	s_or_b64 s[26:27], vcc, s[2:3]
	s_cbranch_execnz .LBB121_22
.LBB121_21:
	s_waitcnt vmcnt(10)
	v_cmp_eq_f64_e32 vcc, s[8:9], v[37:38]
	v_cmp_eq_f64_e64 s[2:3], s[10:11], v[39:40]
	s_andn2_b64 s[26:27], s[26:27], exec
	s_and_b64 s[2:3], vcc, s[2:3]
	s_and_b64 s[2:3], s[2:3], exec
	s_or_b64 s[26:27], s[26:27], s[2:3]
.LBB121_22:
	s_and_b64 vcc, exec, s[0:1]
	s_cbranch_vccnz .LBB121_203
; %bb.23:
	s_waitcnt vmcnt(11)
	v_cmp_neq_f64_e32 vcc, s[8:9], v[33:34]
	v_cmp_neq_f64_e64 s[2:3], s[10:11], v[35:36]
	s_or_b64 s[28:29], vcc, s[2:3]
	s_cbranch_execnz .LBB121_25
.LBB121_24:
	s_waitcnt vmcnt(11)
	v_cmp_eq_f64_e32 vcc, s[8:9], v[33:34]
	v_cmp_eq_f64_e64 s[2:3], s[10:11], v[35:36]
	s_andn2_b64 s[28:29], s[28:29], exec
	s_and_b64 s[2:3], vcc, s[2:3]
	s_and_b64 s[2:3], s[2:3], exec
	s_or_b64 s[28:29], s[28:29], s[2:3]
.LBB121_25:
	s_and_b64 vcc, exec, s[0:1]
	s_cbranch_vccnz .LBB121_204
; %bb.26:
	s_waitcnt vmcnt(5)
	v_cmp_neq_f64_e32 vcc, s[8:9], v[29:30]
	v_cmp_neq_f64_e64 s[2:3], s[10:11], v[31:32]
	s_or_b64 s[30:31], vcc, s[2:3]
	s_cbranch_execnz .LBB121_28
.LBB121_27:
	s_waitcnt vmcnt(5)
	v_cmp_eq_f64_e32 vcc, s[8:9], v[29:30]
	v_cmp_eq_f64_e64 s[2:3], s[10:11], v[31:32]
	s_andn2_b64 s[30:31], s[30:31], exec
	s_and_b64 s[2:3], vcc, s[2:3]
	s_and_b64 s[2:3], s[2:3], exec
	s_or_b64 s[30:31], s[30:31], s[2:3]
.LBB121_28:
	s_and_b64 vcc, exec, s[0:1]
	s_cbranch_vccnz .LBB121_205
; %bb.29:
	s_waitcnt vmcnt(4)
	v_cmp_neq_f64_e32 vcc, s[8:9], v[25:26]
	v_cmp_neq_f64_e64 s[2:3], s[10:11], v[27:28]
	s_or_b64 s[34:35], vcc, s[2:3]
	s_cbranch_execnz .LBB121_31
.LBB121_30:
	s_waitcnt vmcnt(4)
	v_cmp_eq_f64_e32 vcc, s[8:9], v[25:26]
	v_cmp_eq_f64_e64 s[2:3], s[10:11], v[27:28]
	s_andn2_b64 s[34:35], s[34:35], exec
	s_and_b64 s[2:3], vcc, s[2:3]
	s_and_b64 s[2:3], s[2:3], exec
	s_or_b64 s[34:35], s[34:35], s[2:3]
.LBB121_31:
	s_and_b64 vcc, exec, s[0:1]
	s_cbranch_vccnz .LBB121_206
; %bb.32:
	s_waitcnt vmcnt(6)
	v_cmp_neq_f64_e32 vcc, s[8:9], v[21:22]
	v_cmp_neq_f64_e64 s[2:3], s[10:11], v[23:24]
	s_or_b64 s[36:37], vcc, s[2:3]
	s_cbranch_execnz .LBB121_34
.LBB121_33:
	s_waitcnt vmcnt(6)
	v_cmp_eq_f64_e32 vcc, s[8:9], v[21:22]
	v_cmp_eq_f64_e64 s[2:3], s[10:11], v[23:24]
	s_andn2_b64 s[36:37], s[36:37], exec
	s_and_b64 s[2:3], vcc, s[2:3]
	s_and_b64 s[2:3], s[2:3], exec
	s_or_b64 s[36:37], s[36:37], s[2:3]
.LBB121_34:
	s_and_b64 vcc, exec, s[0:1]
	s_cbranch_vccnz .LBB121_207
; %bb.35:
	s_waitcnt vmcnt(7)
	v_cmp_neq_f64_e32 vcc, s[8:9], v[17:18]
	v_cmp_neq_f64_e64 s[2:3], s[10:11], v[19:20]
	s_or_b64 s[38:39], vcc, s[2:3]
	s_cbranch_execnz .LBB121_37
.LBB121_36:
	s_waitcnt vmcnt(7)
	v_cmp_eq_f64_e32 vcc, s[8:9], v[17:18]
	v_cmp_eq_f64_e64 s[2:3], s[10:11], v[19:20]
	s_andn2_b64 s[38:39], s[38:39], exec
	s_and_b64 s[2:3], vcc, s[2:3]
	s_and_b64 s[2:3], s[2:3], exec
	s_or_b64 s[38:39], s[38:39], s[2:3]
.LBB121_37:
	s_and_b64 vcc, exec, s[0:1]
	s_cbranch_vccnz .LBB121_208
; %bb.38:
	s_waitcnt vmcnt(1)
	v_cmp_neq_f64_e32 vcc, s[8:9], v[13:14]
	v_cmp_neq_f64_e64 s[2:3], s[10:11], v[15:16]
	s_or_b64 s[40:41], vcc, s[2:3]
	s_cbranch_execnz .LBB121_40
.LBB121_39:
	s_waitcnt vmcnt(1)
	v_cmp_eq_f64_e32 vcc, s[8:9], v[13:14]
	v_cmp_eq_f64_e64 s[2:3], s[10:11], v[15:16]
	s_andn2_b64 s[40:41], s[40:41], exec
	s_and_b64 s[2:3], vcc, s[2:3]
	s_and_b64 s[2:3], s[2:3], exec
	s_or_b64 s[40:41], s[40:41], s[2:3]
.LBB121_40:
	s_and_b64 vcc, exec, s[0:1]
	s_cbranch_vccnz .LBB121_209
; %bb.41:
	s_waitcnt vmcnt(0)
	v_cmp_neq_f64_e32 vcc, s[8:9], v[9:10]
	v_cmp_neq_f64_e64 s[2:3], s[10:11], v[11:12]
	s_or_b64 s[42:43], vcc, s[2:3]
	s_cbranch_execnz .LBB121_43
.LBB121_42:
	s_waitcnt vmcnt(0)
	v_cmp_eq_f64_e32 vcc, s[8:9], v[9:10]
	v_cmp_eq_f64_e64 s[2:3], s[10:11], v[11:12]
	s_andn2_b64 s[42:43], s[42:43], exec
	s_and_b64 s[2:3], vcc, s[2:3]
	s_and_b64 s[2:3], s[2:3], exec
	s_or_b64 s[42:43], s[42:43], s[2:3]
.LBB121_43:
	s_and_b64 vcc, exec, s[0:1]
	s_cbranch_vccnz .LBB121_210
; %bb.44:
	s_waitcnt vmcnt(2)
	v_cmp_neq_f64_e32 vcc, s[8:9], v[5:6]
	v_cmp_neq_f64_e64 s[2:3], s[10:11], v[7:8]
	s_or_b64 s[44:45], vcc, s[2:3]
	s_cbranch_execnz .LBB121_46
.LBB121_45:
	s_waitcnt vmcnt(2)
	v_cmp_eq_f64_e32 vcc, s[8:9], v[5:6]
	v_cmp_eq_f64_e64 s[2:3], s[10:11], v[7:8]
	s_andn2_b64 s[44:45], s[44:45], exec
	s_and_b64 s[2:3], vcc, s[2:3]
	s_and_b64 s[2:3], s[2:3], exec
	s_or_b64 s[44:45], s[44:45], s[2:3]
.LBB121_46:
	s_and_b64 vcc, exec, s[0:1]
	s_cbranch_vccnz .LBB121_211
; %bb.47:
	s_waitcnt vmcnt(3)
	v_cmp_neq_f64_e32 vcc, s[8:9], v[1:2]
	v_cmp_neq_f64_e64 s[0:1], s[10:11], v[3:4]
	s_or_b64 s[2:3], vcc, s[0:1]
	s_cbranch_execnz .LBB121_49
.LBB121_48:
	s_waitcnt vmcnt(3)
	v_cmp_eq_f64_e32 vcc, s[8:9], v[1:2]
	v_cmp_eq_f64_e64 s[0:1], s[10:11], v[3:4]
	s_andn2_b64 s[2:3], s[2:3], exec
	s_and_b64 s[0:1], vcc, s[0:1]
	s_and_b64 s[0:1], s[0:1], exec
	s_or_b64 s[2:3], s[2:3], s[0:1]
.LBB121_49:
	s_waitcnt vmcnt(3)
	v_mov_b32_e32 v1, 0x100
	v_cndmask_b32_e64 v2, 0, v1, s[34:35]
	v_cndmask_b32_e64 v3, 0, 1, s[30:31]
	v_or_b32_e32 v2, v2, v3
	v_mov_b32_e32 v3, 0x10000
	s_waitcnt vmcnt(2)
	v_mov_b32_e32 v5, 0x1000000
	v_cndmask_b32_e64 v4, 0, v3, s[36:37]
	v_cndmask_b32_e64 v6, 0, v5, s[38:39]
	v_or3_b32 v7, 0, 0, 0
	v_or3_b32 v2, v2, v4, v6
	v_cndmask_b32_e64 v4, 0, 1, s[40:41]
	v_cndmask_b32_e64 v6, 0, v1, s[42:43]
	v_or3_b32 v4, v7, v4, v6
	v_or3_b32 v6, v2, 0, 0
	v_cndmask_b32_e64 v2, 0, v1, s[16:17]
	s_waitcnt vmcnt(0)
	v_cndmask_b32_e64 v9, 0, 1, s[4:5]
	v_or_b32_e32 v2, v2, v9
	v_cndmask_b32_e64 v9, 0, v3, s[18:19]
	v_cndmask_b32_e64 v10, 0, v5, s[20:21]
	v_or3_b32 v2, v2, v9, v10
	v_cndmask_b32_e64 v9, 0, 1, s[22:23]
	v_cndmask_b32_e64 v1, 0, v1, s[24:25]
	;; [unrolled: 1-line block ×3, first 2 shown]
	v_or3_b32 v1, v7, v9, v1
	v_or3_b32 v7, v2, 0, 0
	v_cndmask_b32_e64 v2, 0, v3, s[26:27]
	v_cndmask_b32_e64 v3, 0, v5, s[28:29]
	s_add_u32 s0, s12, s6
	v_or3_b32 v2, v1, v2, v3
	v_or3_b32 v1, v7, 0, 0
	v_cndmask_b32_e64 v3, 0, v5, s[2:3]
	s_addc_u32 s1, s13, s7
	v_lshlrev_b32_e32 v5, 3, v0
	v_or3_b32 v4, v4, v8, v3
	v_or3_b32 v3, v6, 0, 0
	global_store_dwordx2 v5, v[1:2], s[0:1]
	global_store_dwordx2 v5, v[3:4], s[0:1] offset:2048
	s_mov_b64 s[0:1], 0
.LBB121_50:
	s_and_b64 vcc, exec, s[0:1]
	s_cbranch_vccz .LBB121_195
; %bb.51:
	v_mov_b32_e32 v49, 0
	v_mov_b32_e32 v61, 0
	;; [unrolled: 1-line block ×3, first 2 shown]
	v_cmp_gt_i32_e64 s[0:1], s33, v0
	v_mov_b32_e32 v50, 0
	v_or_b32_e32 v65, s6, v0
	v_mov_b32_e32 v62, 0
	v_mov_b32_e32 v64, 0
	;; [unrolled: 1-line block ×3, first 2 shown]
	s_and_saveexec_b64 s[2:3], s[0:1]
	s_cbranch_execz .LBB121_53
; %bb.52:
	v_mov_b32_e32 v66, 0
	v_lshlrev_b64 v[1:2], 4, v[65:66]
	v_mov_b32_e32 v3, s15
	v_add_co_u32_e32 v1, vcc, s14, v1
	v_addc_co_u32_e32 v2, vcc, v3, v2, vcc
	global_load_dwordx4 v[61:64], v[1:2], off
	v_or_b32_e32 v66, 0x100, v0
.LBB121_53:
	s_or_b64 exec, exec, s[2:3]
	v_mov_b32_e32 v51, 0
	v_mov_b32_e32 v52, 0
	v_cmp_gt_i32_e32 vcc, s33, v66
	s_and_saveexec_b64 s[2:3], vcc
	s_cbranch_execz .LBB121_55
; %bb.54:
	v_add_u32_e32 v1, s6, v66
	v_mov_b32_e32 v2, 0
	v_lshlrev_b64 v[1:2], 4, v[1:2]
	v_mov_b32_e32 v3, s15
	v_add_co_u32_e32 v1, vcc, s14, v1
	v_addc_co_u32_e32 v2, vcc, v3, v2, vcc
	global_load_dwordx4 v[49:52], v[1:2], off
	v_add_u32_e32 v66, 0x100, v66
.LBB121_55:
	s_or_b64 exec, exec, s[2:3]
	v_mov_b32_e32 v41, 0
	v_mov_b32_e32 v57, 0
	v_mov_b32_e32 v59, 0
	v_mov_b32_e32 v42, 0
	v_mov_b32_e32 v58, 0
	v_mov_b32_e32 v60, 0
	v_cmp_gt_i32_e32 vcc, s33, v66
	s_and_saveexec_b64 s[2:3], vcc
	s_cbranch_execz .LBB121_57
; %bb.56:
	v_add_u32_e32 v1, s6, v66
	v_mov_b32_e32 v2, 0
	v_lshlrev_b64 v[1:2], 4, v[1:2]
	v_mov_b32_e32 v3, s15
	v_add_co_u32_e32 v1, vcc, s14, v1
	v_addc_co_u32_e32 v2, vcc, v3, v2, vcc
	global_load_dwordx4 v[57:60], v[1:2], off
	v_add_u32_e32 v66, 0x100, v66
.LBB121_57:
	s_or_b64 exec, exec, s[2:3]
	v_mov_b32_e32 v43, 0
	v_mov_b32_e32 v44, 0
	v_cmp_gt_i32_e32 vcc, s33, v66
	s_and_saveexec_b64 s[2:3], vcc
	s_cbranch_execz .LBB121_59
; %bb.58:
	v_add_u32_e32 v1, s6, v66
	v_mov_b32_e32 v2, 0
	v_lshlrev_b64 v[1:2], 4, v[1:2]
	v_mov_b32_e32 v3, s15
	v_add_co_u32_e32 v1, vcc, s14, v1
	v_addc_co_u32_e32 v2, vcc, v3, v2, vcc
	global_load_dwordx4 v[41:44], v[1:2], off
	v_add_u32_e32 v66, 0x100, v66
.LBB121_59:
	s_or_b64 exec, exec, s[2:3]
	v_mov_b32_e32 v33, 0
	v_mov_b32_e32 v53, 0
	v_mov_b32_e32 v55, 0
	v_mov_b32_e32 v34, 0
	v_mov_b32_e32 v54, 0
	v_mov_b32_e32 v56, 0
	v_cmp_gt_i32_e32 vcc, s33, v66
	s_and_saveexec_b64 s[2:3], vcc
	s_cbranch_execz .LBB121_61
; %bb.60:
	v_add_u32_e32 v1, s6, v66
	v_mov_b32_e32 v2, 0
	v_lshlrev_b64 v[1:2], 4, v[1:2]
	v_mov_b32_e32 v3, s15
	v_add_co_u32_e32 v1, vcc, s14, v1
	v_addc_co_u32_e32 v2, vcc, v3, v2, vcc
	global_load_dwordx4 v[53:56], v[1:2], off
	v_add_u32_e32 v66, 0x100, v66
.LBB121_61:
	;; [unrolled: 36-line block ×7, first 2 shown]
	s_or_b64 exec, exec, s[2:3]
	v_mov_b32_e32 v3, 0
	v_mov_b32_e32 v4, 0
	v_cmp_gt_i32_e32 vcc, s33, v66
	s_and_saveexec_b64 s[2:3], vcc
	s_cbranch_execz .LBB121_83
; %bb.82:
	v_add_u32_e32 v1, s6, v66
	v_mov_b32_e32 v2, 0
	v_lshlrev_b64 v[1:2], 4, v[1:2]
	v_mov_b32_e32 v3, s15
	v_add_co_u32_e32 v1, vcc, s14, v1
	v_addc_co_u32_e32 v2, vcc, v3, v2, vcc
	global_load_dwordx4 v[1:4], v[1:2], off
.LBB121_83:
	s_or_b64 exec, exec, s[2:3]
	s_cmp_lg_u32 s46, 0
	s_cselect_b64 s[4:5], -1, 0
                                        ; implicit-def: $vgpr66
	s_and_saveexec_b64 s[14:15], s[0:1]
	s_cbranch_execz .LBB121_88
; %bb.84:
	s_and_b64 vcc, exec, s[4:5]
	s_cbranch_vccz .LBB121_212
; %bb.85:
	s_waitcnt vmcnt(0)
	v_cmp_neq_f64_e32 vcc, s[8:9], v[61:62]
	v_cmp_neq_f64_e64 s[2:3], s[10:11], v[63:64]
	s_or_b64 s[16:17], vcc, s[2:3]
	s_cbranch_execnz .LBB121_87
.LBB121_86:
	s_waitcnt vmcnt(0)
	v_cmp_eq_f64_e32 vcc, s[8:9], v[61:62]
	v_cmp_eq_f64_e64 s[2:3], s[10:11], v[63:64]
	s_andn2_b64 s[16:17], s[16:17], exec
	s_and_b64 s[2:3], vcc, s[2:3]
	s_and_b64 s[2:3], s[2:3], exec
	s_or_b64 s[16:17], s[16:17], s[2:3]
.LBB121_87:
	v_cndmask_b32_e64 v66, 0, 1, s[16:17]
.LBB121_88:
	s_or_b64 exec, exec, s[14:15]
	s_waitcnt vmcnt(0)
	v_or_b32_e32 v61, 0x100, v0
	v_cndmask_b32_e64 v62, 0, 1, s[4:5]
	v_cmp_gt_i32_e32 vcc, s33, v61
	v_cmp_ne_u32_e64 s[2:3], 1, v62
                                        ; implicit-def: $vgpr62
	s_and_saveexec_b64 s[14:15], vcc
	s_cbranch_execz .LBB121_93
; %bb.89:
	s_and_b64 vcc, exec, s[2:3]
	s_cbranch_vccnz .LBB121_213
; %bb.90:
	v_cmp_neq_f64_e32 vcc, s[8:9], v[49:50]
	v_cmp_neq_f64_e64 s[4:5], s[10:11], v[51:52]
	s_or_b64 s[16:17], vcc, s[4:5]
	s_cbranch_execnz .LBB121_92
.LBB121_91:
	v_cmp_eq_f64_e32 vcc, s[8:9], v[49:50]
	v_cmp_eq_f64_e64 s[4:5], s[10:11], v[51:52]
	s_andn2_b64 s[16:17], s[16:17], exec
	s_and_b64 s[4:5], vcc, s[4:5]
	s_and_b64 s[4:5], s[4:5], exec
	s_or_b64 s[16:17], s[16:17], s[4:5]
.LBB121_92:
	v_cndmask_b32_e64 v62, 0, 1, s[16:17]
.LBB121_93:
	s_or_b64 exec, exec, s[14:15]
	v_or_b32_e32 v49, 0x200, v0
	v_cmp_gt_i32_e32 vcc, s33, v49
                                        ; implicit-def: $vgpr49
	s_and_saveexec_b64 s[14:15], vcc
	s_cbranch_execz .LBB121_98
; %bb.94:
	s_and_b64 vcc, exec, s[2:3]
	s_cbranch_vccnz .LBB121_214
; %bb.95:
	v_cmp_neq_f64_e32 vcc, s[8:9], v[57:58]
	v_cmp_neq_f64_e64 s[4:5], s[10:11], v[59:60]
	s_or_b64 s[16:17], vcc, s[4:5]
	s_cbranch_execnz .LBB121_97
.LBB121_96:
	v_cmp_eq_f64_e32 vcc, s[8:9], v[57:58]
	v_cmp_eq_f64_e64 s[4:5], s[10:11], v[59:60]
	s_andn2_b64 s[16:17], s[16:17], exec
	s_and_b64 s[4:5], vcc, s[4:5]
	s_and_b64 s[4:5], s[4:5], exec
	s_or_b64 s[16:17], s[16:17], s[4:5]
.LBB121_97:
	v_cndmask_b32_e64 v49, 0, 1, s[16:17]
.LBB121_98:
	s_or_b64 exec, exec, s[14:15]
	v_or_b32_e32 v50, 0x300, v0
	v_cmp_gt_i32_e32 vcc, s33, v50
                                        ; implicit-def: $vgpr50
	s_and_saveexec_b64 s[14:15], vcc
	s_cbranch_execz .LBB121_103
; %bb.99:
	s_and_b64 vcc, exec, s[2:3]
	s_cbranch_vccnz .LBB121_215
; %bb.100:
	v_cmp_neq_f64_e32 vcc, s[8:9], v[41:42]
	v_cmp_neq_f64_e64 s[4:5], s[10:11], v[43:44]
	s_or_b64 s[16:17], vcc, s[4:5]
	s_cbranch_execnz .LBB121_102
.LBB121_101:
	v_cmp_eq_f64_e32 vcc, s[8:9], v[41:42]
	v_cmp_eq_f64_e64 s[4:5], s[10:11], v[43:44]
	s_andn2_b64 s[16:17], s[16:17], exec
	s_and_b64 s[4:5], vcc, s[4:5]
	s_and_b64 s[4:5], s[4:5], exec
	s_or_b64 s[16:17], s[16:17], s[4:5]
.LBB121_102:
	v_cndmask_b32_e64 v50, 0, 1, s[16:17]
.LBB121_103:
	s_or_b64 exec, exec, s[14:15]
	v_or_b32_e32 v41, 0x400, v0
	v_cmp_gt_i32_e32 vcc, s33, v41
                                        ; implicit-def: $vgpr41
	s_and_saveexec_b64 s[14:15], vcc
	s_cbranch_execz .LBB121_108
; %bb.104:
	s_and_b64 vcc, exec, s[2:3]
	s_cbranch_vccnz .LBB121_216
; %bb.105:
	v_cmp_neq_f64_e32 vcc, s[8:9], v[53:54]
	v_cmp_neq_f64_e64 s[4:5], s[10:11], v[55:56]
	s_or_b64 s[16:17], vcc, s[4:5]
	s_cbranch_execnz .LBB121_107
.LBB121_106:
	v_cmp_eq_f64_e32 vcc, s[8:9], v[53:54]
	v_cmp_eq_f64_e64 s[4:5], s[10:11], v[55:56]
	s_andn2_b64 s[16:17], s[16:17], exec
	s_and_b64 s[4:5], vcc, s[4:5]
	s_and_b64 s[4:5], s[4:5], exec
	s_or_b64 s[16:17], s[16:17], s[4:5]
.LBB121_107:
	v_cndmask_b32_e64 v41, 0, 1, s[16:17]
.LBB121_108:
	s_or_b64 exec, exec, s[14:15]
	v_or_b32_e32 v42, 0x500, v0
	v_cmp_gt_i32_e32 vcc, s33, v42
                                        ; implicit-def: $vgpr42
	s_and_saveexec_b64 s[14:15], vcc
	s_cbranch_execz .LBB121_113
; %bb.109:
	s_and_b64 vcc, exec, s[2:3]
	s_cbranch_vccnz .LBB121_217
; %bb.110:
	v_cmp_neq_f64_e32 vcc, s[8:9], v[33:34]
	v_cmp_neq_f64_e64 s[4:5], s[10:11], v[35:36]
	s_or_b64 s[16:17], vcc, s[4:5]
	s_cbranch_execnz .LBB121_112
.LBB121_111:
	v_cmp_eq_f64_e32 vcc, s[8:9], v[33:34]
	v_cmp_eq_f64_e64 s[4:5], s[10:11], v[35:36]
	s_andn2_b64 s[16:17], s[16:17], exec
	s_and_b64 s[4:5], vcc, s[4:5]
	s_and_b64 s[4:5], s[4:5], exec
	s_or_b64 s[16:17], s[16:17], s[4:5]
.LBB121_112:
	v_cndmask_b32_e64 v42, 0, 1, s[16:17]
.LBB121_113:
	s_or_b64 exec, exec, s[14:15]
	v_or_b32_e32 v33, 0x600, v0
	v_cmp_gt_i32_e32 vcc, s33, v33
                                        ; implicit-def: $vgpr33
	s_and_saveexec_b64 s[14:15], vcc
	s_cbranch_execz .LBB121_118
; %bb.114:
	s_and_b64 vcc, exec, s[2:3]
	s_cbranch_vccnz .LBB121_218
; %bb.115:
	v_cmp_neq_f64_e32 vcc, s[8:9], v[45:46]
	v_cmp_neq_f64_e64 s[4:5], s[10:11], v[47:48]
	s_or_b64 s[16:17], vcc, s[4:5]
	s_cbranch_execnz .LBB121_117
.LBB121_116:
	v_cmp_eq_f64_e32 vcc, s[8:9], v[45:46]
	v_cmp_eq_f64_e64 s[4:5], s[10:11], v[47:48]
	s_andn2_b64 s[16:17], s[16:17], exec
	s_and_b64 s[4:5], vcc, s[4:5]
	s_and_b64 s[4:5], s[4:5], exec
	s_or_b64 s[16:17], s[16:17], s[4:5]
.LBB121_117:
	v_cndmask_b32_e64 v33, 0, 1, s[16:17]
.LBB121_118:
	s_or_b64 exec, exec, s[14:15]
	v_or_b32_e32 v34, 0x700, v0
	v_cmp_gt_i32_e32 vcc, s33, v34
                                        ; implicit-def: $vgpr34
	s_and_saveexec_b64 s[14:15], vcc
	s_cbranch_execz .LBB121_123
; %bb.119:
	s_and_b64 vcc, exec, s[2:3]
	s_cbranch_vccnz .LBB121_219
; %bb.120:
	v_cmp_neq_f64_e32 vcc, s[8:9], v[25:26]
	v_cmp_neq_f64_e64 s[4:5], s[10:11], v[27:28]
	s_or_b64 s[16:17], vcc, s[4:5]
	s_cbranch_execnz .LBB121_122
.LBB121_121:
	v_cmp_eq_f64_e32 vcc, s[8:9], v[25:26]
	v_cmp_eq_f64_e64 s[4:5], s[10:11], v[27:28]
	s_andn2_b64 s[16:17], s[16:17], exec
	s_and_b64 s[4:5], vcc, s[4:5]
	s_and_b64 s[4:5], s[4:5], exec
	s_or_b64 s[16:17], s[16:17], s[4:5]
.LBB121_122:
	v_cndmask_b32_e64 v34, 0, 1, s[16:17]
.LBB121_123:
	s_or_b64 exec, exec, s[14:15]
	v_or_b32_e32 v25, 0x800, v0
	v_cmp_gt_i32_e32 vcc, s33, v25
                                        ; implicit-def: $vgpr25
	s_and_saveexec_b64 s[14:15], vcc
	s_cbranch_execz .LBB121_128
; %bb.124:
	s_and_b64 vcc, exec, s[2:3]
	s_cbranch_vccnz .LBB121_220
; %bb.125:
	v_cmp_neq_f64_e32 vcc, s[8:9], v[37:38]
	v_cmp_neq_f64_e64 s[4:5], s[10:11], v[39:40]
	s_or_b64 s[16:17], vcc, s[4:5]
	s_cbranch_execnz .LBB121_127
.LBB121_126:
	v_cmp_eq_f64_e32 vcc, s[8:9], v[37:38]
	v_cmp_eq_f64_e64 s[4:5], s[10:11], v[39:40]
	s_andn2_b64 s[16:17], s[16:17], exec
	s_and_b64 s[4:5], vcc, s[4:5]
	s_and_b64 s[4:5], s[4:5], exec
	s_or_b64 s[16:17], s[16:17], s[4:5]
.LBB121_127:
	v_cndmask_b32_e64 v25, 0, 1, s[16:17]
.LBB121_128:
	s_or_b64 exec, exec, s[14:15]
	v_or_b32_e32 v26, 0x900, v0
	v_cmp_gt_i32_e32 vcc, s33, v26
                                        ; implicit-def: $vgpr26
	s_and_saveexec_b64 s[14:15], vcc
	s_cbranch_execz .LBB121_133
; %bb.129:
	s_and_b64 vcc, exec, s[2:3]
	s_cbranch_vccnz .LBB121_221
; %bb.130:
	v_cmp_neq_f64_e32 vcc, s[8:9], v[17:18]
	v_cmp_neq_f64_e64 s[4:5], s[10:11], v[19:20]
	s_or_b64 s[16:17], vcc, s[4:5]
	s_cbranch_execnz .LBB121_132
.LBB121_131:
	v_cmp_eq_f64_e32 vcc, s[8:9], v[17:18]
	v_cmp_eq_f64_e64 s[4:5], s[10:11], v[19:20]
	s_andn2_b64 s[16:17], s[16:17], exec
	s_and_b64 s[4:5], vcc, s[4:5]
	s_and_b64 s[4:5], s[4:5], exec
	s_or_b64 s[16:17], s[16:17], s[4:5]
.LBB121_132:
	v_cndmask_b32_e64 v26, 0, 1, s[16:17]
.LBB121_133:
	s_or_b64 exec, exec, s[14:15]
	v_or_b32_e32 v17, 0xa00, v0
	v_cmp_gt_i32_e32 vcc, s33, v17
                                        ; implicit-def: $vgpr17
	s_and_saveexec_b64 s[14:15], vcc
	s_cbranch_execz .LBB121_138
; %bb.134:
	s_and_b64 vcc, exec, s[2:3]
	s_cbranch_vccnz .LBB121_222
; %bb.135:
	v_cmp_neq_f64_e32 vcc, s[8:9], v[29:30]
	v_cmp_neq_f64_e64 s[4:5], s[10:11], v[31:32]
	s_or_b64 s[16:17], vcc, s[4:5]
	s_cbranch_execnz .LBB121_137
.LBB121_136:
	v_cmp_eq_f64_e32 vcc, s[8:9], v[29:30]
	v_cmp_eq_f64_e64 s[4:5], s[10:11], v[31:32]
	s_andn2_b64 s[16:17], s[16:17], exec
	s_and_b64 s[4:5], vcc, s[4:5]
	s_and_b64 s[4:5], s[4:5], exec
	s_or_b64 s[16:17], s[16:17], s[4:5]
.LBB121_137:
	v_cndmask_b32_e64 v17, 0, 1, s[16:17]
.LBB121_138:
	s_or_b64 exec, exec, s[14:15]
	v_or_b32_e32 v18, 0xb00, v0
	v_cmp_gt_i32_e32 vcc, s33, v18
                                        ; implicit-def: $vgpr18
	s_and_saveexec_b64 s[14:15], vcc
	s_cbranch_execz .LBB121_143
; %bb.139:
	s_and_b64 vcc, exec, s[2:3]
	s_cbranch_vccnz .LBB121_223
; %bb.140:
	v_cmp_neq_f64_e32 vcc, s[8:9], v[9:10]
	v_cmp_neq_f64_e64 s[4:5], s[10:11], v[11:12]
	s_or_b64 s[16:17], vcc, s[4:5]
	s_cbranch_execnz .LBB121_142
.LBB121_141:
	v_cmp_eq_f64_e32 vcc, s[8:9], v[9:10]
	v_cmp_eq_f64_e64 s[4:5], s[10:11], v[11:12]
	s_andn2_b64 s[16:17], s[16:17], exec
	s_and_b64 s[4:5], vcc, s[4:5]
	s_and_b64 s[4:5], s[4:5], exec
	s_or_b64 s[16:17], s[16:17], s[4:5]
.LBB121_142:
	v_cndmask_b32_e64 v18, 0, 1, s[16:17]
.LBB121_143:
	s_or_b64 exec, exec, s[14:15]
	v_or_b32_e32 v9, 0xc00, v0
	v_cmp_gt_i32_e32 vcc, s33, v9
                                        ; implicit-def: $vgpr9
	s_and_saveexec_b64 s[14:15], vcc
	s_cbranch_execz .LBB121_148
; %bb.144:
	s_and_b64 vcc, exec, s[2:3]
	s_cbranch_vccnz .LBB121_224
; %bb.145:
	v_cmp_neq_f64_e32 vcc, s[8:9], v[21:22]
	v_cmp_neq_f64_e64 s[4:5], s[10:11], v[23:24]
	s_or_b64 s[16:17], vcc, s[4:5]
	s_cbranch_execnz .LBB121_147
.LBB121_146:
	v_cmp_eq_f64_e32 vcc, s[8:9], v[21:22]
	v_cmp_eq_f64_e64 s[4:5], s[10:11], v[23:24]
	s_andn2_b64 s[16:17], s[16:17], exec
	s_and_b64 s[4:5], vcc, s[4:5]
	s_and_b64 s[4:5], s[4:5], exec
	s_or_b64 s[16:17], s[16:17], s[4:5]
.LBB121_147:
	v_cndmask_b32_e64 v9, 0, 1, s[16:17]
.LBB121_148:
	s_or_b64 exec, exec, s[14:15]
	v_or_b32_e32 v10, 0xd00, v0
	v_cmp_gt_i32_e32 vcc, s33, v10
                                        ; implicit-def: $vgpr10
	s_and_saveexec_b64 s[14:15], vcc
	s_cbranch_execz .LBB121_153
; %bb.149:
	s_and_b64 vcc, exec, s[2:3]
	s_cbranch_vccnz .LBB121_225
; %bb.150:
	v_cmp_neq_f64_e32 vcc, s[8:9], v[5:6]
	v_cmp_neq_f64_e64 s[4:5], s[10:11], v[7:8]
	s_or_b64 s[16:17], vcc, s[4:5]
	s_cbranch_execnz .LBB121_152
.LBB121_151:
	v_cmp_eq_f64_e32 vcc, s[8:9], v[5:6]
	v_cmp_eq_f64_e64 s[4:5], s[10:11], v[7:8]
	s_andn2_b64 s[16:17], s[16:17], exec
	s_and_b64 s[4:5], vcc, s[4:5]
	s_and_b64 s[4:5], s[4:5], exec
	s_or_b64 s[16:17], s[16:17], s[4:5]
.LBB121_152:
	v_cndmask_b32_e64 v10, 0, 1, s[16:17]
.LBB121_153:
	s_or_b64 exec, exec, s[14:15]
	v_or_b32_e32 v5, 0xe00, v0
	v_cmp_gt_i32_e32 vcc, s33, v5
                                        ; implicit-def: $vgpr5
	s_and_saveexec_b64 s[14:15], vcc
	s_cbranch_execz .LBB121_158
; %bb.154:
	s_and_b64 vcc, exec, s[2:3]
	s_cbranch_vccnz .LBB121_226
; %bb.155:
	v_cmp_neq_f64_e32 vcc, s[8:9], v[13:14]
	v_cmp_neq_f64_e64 s[4:5], s[10:11], v[15:16]
	s_or_b64 s[16:17], vcc, s[4:5]
	s_cbranch_execnz .LBB121_157
.LBB121_156:
	v_cmp_eq_f64_e32 vcc, s[8:9], v[13:14]
	v_cmp_eq_f64_e64 s[4:5], s[10:11], v[15:16]
	s_andn2_b64 s[16:17], s[16:17], exec
	s_and_b64 s[4:5], vcc, s[4:5]
	s_and_b64 s[4:5], s[4:5], exec
	s_or_b64 s[16:17], s[16:17], s[4:5]
.LBB121_157:
	v_cndmask_b32_e64 v5, 0, 1, s[16:17]
.LBB121_158:
	s_or_b64 exec, exec, s[14:15]
	v_or_b32_e32 v6, 0xf00, v0
	v_cmp_gt_i32_e32 vcc, s33, v6
                                        ; implicit-def: $vgpr6
	s_and_saveexec_b64 s[4:5], vcc
	s_cbranch_execz .LBB121_163
; %bb.159:
	s_and_b64 vcc, exec, s[2:3]
	s_cbranch_vccnz .LBB121_227
; %bb.160:
	v_cmp_neq_f64_e32 vcc, s[8:9], v[1:2]
	v_cmp_neq_f64_e64 s[2:3], s[10:11], v[3:4]
	s_or_b64 s[14:15], vcc, s[2:3]
	s_cbranch_execnz .LBB121_162
.LBB121_161:
	v_cmp_eq_f64_e32 vcc, s[8:9], v[1:2]
	v_cmp_eq_f64_e64 s[2:3], s[10:11], v[3:4]
	s_andn2_b64 s[8:9], s[14:15], exec
	s_and_b64 s[2:3], vcc, s[2:3]
	s_and_b64 s[2:3], s[2:3], exec
	s_or_b64 s[14:15], s[8:9], s[2:3]
.LBB121_162:
	v_cndmask_b32_e64 v6, 0, 1, s[14:15]
.LBB121_163:
	s_or_b64 exec, exec, s[4:5]
	s_and_saveexec_b64 s[2:3], s[0:1]
	s_xor_b64 s[0:1], exec, s[2:3]
	s_cbranch_execz .LBB121_165
; %bb.164:
	v_mov_b32_e32 v0, v61
	global_store_byte v65, v66, s[12:13]
.LBB121_165:
	s_or_b64 exec, exec, s[0:1]
	v_cmp_gt_i32_e32 vcc, s33, v0
	s_and_saveexec_b64 s[0:1], vcc
	s_cbranch_execnz .LBB121_181
; %bb.166:
	s_or_b64 exec, exec, s[0:1]
	v_cmp_gt_i32_e32 vcc, s33, v0
	s_and_saveexec_b64 s[0:1], vcc
	s_cbranch_execnz .LBB121_182
.LBB121_167:
	s_or_b64 exec, exec, s[0:1]
	v_cmp_gt_i32_e32 vcc, s33, v0
	s_and_saveexec_b64 s[0:1], vcc
	s_cbranch_execnz .LBB121_183
.LBB121_168:
	s_or_b64 exec, exec, s[0:1]
	v_cmp_gt_i32_e32 vcc, s33, v0
	s_and_saveexec_b64 s[0:1], vcc
	s_cbranch_execnz .LBB121_184
.LBB121_169:
	s_or_b64 exec, exec, s[0:1]
	v_cmp_gt_i32_e32 vcc, s33, v0
	s_and_saveexec_b64 s[0:1], vcc
	s_cbranch_execnz .LBB121_185
.LBB121_170:
	s_or_b64 exec, exec, s[0:1]
	v_cmp_gt_i32_e32 vcc, s33, v0
	s_and_saveexec_b64 s[0:1], vcc
	s_cbranch_execnz .LBB121_186
.LBB121_171:
	s_or_b64 exec, exec, s[0:1]
	v_cmp_gt_i32_e32 vcc, s33, v0
	s_and_saveexec_b64 s[0:1], vcc
	s_cbranch_execnz .LBB121_187
.LBB121_172:
	s_or_b64 exec, exec, s[0:1]
	v_cmp_gt_i32_e32 vcc, s33, v0
	s_and_saveexec_b64 s[0:1], vcc
	s_cbranch_execnz .LBB121_188
.LBB121_173:
	s_or_b64 exec, exec, s[0:1]
	v_cmp_gt_i32_e32 vcc, s33, v0
	s_and_saveexec_b64 s[0:1], vcc
	s_cbranch_execnz .LBB121_189
.LBB121_174:
	s_or_b64 exec, exec, s[0:1]
	v_cmp_gt_i32_e32 vcc, s33, v0
	s_and_saveexec_b64 s[0:1], vcc
	s_cbranch_execnz .LBB121_190
.LBB121_175:
	s_or_b64 exec, exec, s[0:1]
	v_cmp_gt_i32_e32 vcc, s33, v0
	s_and_saveexec_b64 s[0:1], vcc
	s_cbranch_execnz .LBB121_191
.LBB121_176:
	s_or_b64 exec, exec, s[0:1]
	v_cmp_gt_i32_e32 vcc, s33, v0
	s_and_saveexec_b64 s[0:1], vcc
	s_cbranch_execnz .LBB121_192
.LBB121_177:
	s_or_b64 exec, exec, s[0:1]
	v_cmp_gt_i32_e32 vcc, s33, v0
	s_and_saveexec_b64 s[0:1], vcc
	s_cbranch_execnz .LBB121_193
.LBB121_178:
	s_or_b64 exec, exec, s[0:1]
	v_cmp_gt_i32_e32 vcc, s33, v0
	s_and_saveexec_b64 s[0:1], vcc
	s_cbranch_execnz .LBB121_194
.LBB121_179:
	s_or_b64 exec, exec, s[0:1]
	v_cmp_gt_i32_e32 vcc, s33, v0
	s_and_saveexec_b64 s[0:1], vcc
	s_cbranch_execz .LBB121_195
.LBB121_180:
	v_add_u32_e32 v0, s6, v0
	global_store_byte v0, v6, s[12:13]
	s_endpgm
.LBB121_181:
	v_add_u32_e32 v1, s6, v0
	v_add_u32_e32 v0, 0x100, v0
	global_store_byte v1, v62, s[12:13]
	s_or_b64 exec, exec, s[0:1]
	v_cmp_gt_i32_e32 vcc, s33, v0
	s_and_saveexec_b64 s[0:1], vcc
	s_cbranch_execz .LBB121_167
.LBB121_182:
	v_add_u32_e32 v1, s6, v0
	v_add_u32_e32 v0, 0x100, v0
	global_store_byte v1, v49, s[12:13]
	s_or_b64 exec, exec, s[0:1]
	v_cmp_gt_i32_e32 vcc, s33, v0
	s_and_saveexec_b64 s[0:1], vcc
	s_cbranch_execz .LBB121_168
.LBB121_183:
	v_add_u32_e32 v1, s6, v0
	v_add_u32_e32 v0, 0x100, v0
	global_store_byte v1, v50, s[12:13]
	s_or_b64 exec, exec, s[0:1]
	v_cmp_gt_i32_e32 vcc, s33, v0
	s_and_saveexec_b64 s[0:1], vcc
	s_cbranch_execz .LBB121_169
.LBB121_184:
	v_add_u32_e32 v1, s6, v0
	v_add_u32_e32 v0, 0x100, v0
	global_store_byte v1, v41, s[12:13]
	s_or_b64 exec, exec, s[0:1]
	v_cmp_gt_i32_e32 vcc, s33, v0
	s_and_saveexec_b64 s[0:1], vcc
	s_cbranch_execz .LBB121_170
.LBB121_185:
	v_add_u32_e32 v1, s6, v0
	v_add_u32_e32 v0, 0x100, v0
	global_store_byte v1, v42, s[12:13]
	s_or_b64 exec, exec, s[0:1]
	v_cmp_gt_i32_e32 vcc, s33, v0
	s_and_saveexec_b64 s[0:1], vcc
	s_cbranch_execz .LBB121_171
.LBB121_186:
	v_add_u32_e32 v1, s6, v0
	v_add_u32_e32 v0, 0x100, v0
	global_store_byte v1, v33, s[12:13]
	s_or_b64 exec, exec, s[0:1]
	v_cmp_gt_i32_e32 vcc, s33, v0
	s_and_saveexec_b64 s[0:1], vcc
	s_cbranch_execz .LBB121_172
.LBB121_187:
	v_add_u32_e32 v1, s6, v0
	v_add_u32_e32 v0, 0x100, v0
	global_store_byte v1, v34, s[12:13]
	s_or_b64 exec, exec, s[0:1]
	v_cmp_gt_i32_e32 vcc, s33, v0
	s_and_saveexec_b64 s[0:1], vcc
	s_cbranch_execz .LBB121_173
.LBB121_188:
	v_add_u32_e32 v1, s6, v0
	v_add_u32_e32 v0, 0x100, v0
	global_store_byte v1, v25, s[12:13]
	s_or_b64 exec, exec, s[0:1]
	v_cmp_gt_i32_e32 vcc, s33, v0
	s_and_saveexec_b64 s[0:1], vcc
	s_cbranch_execz .LBB121_174
.LBB121_189:
	v_add_u32_e32 v1, s6, v0
	v_add_u32_e32 v0, 0x100, v0
	global_store_byte v1, v26, s[12:13]
	s_or_b64 exec, exec, s[0:1]
	v_cmp_gt_i32_e32 vcc, s33, v0
	s_and_saveexec_b64 s[0:1], vcc
	s_cbranch_execz .LBB121_175
.LBB121_190:
	v_add_u32_e32 v1, s6, v0
	v_add_u32_e32 v0, 0x100, v0
	global_store_byte v1, v17, s[12:13]
	s_or_b64 exec, exec, s[0:1]
	v_cmp_gt_i32_e32 vcc, s33, v0
	s_and_saveexec_b64 s[0:1], vcc
	s_cbranch_execz .LBB121_176
.LBB121_191:
	v_add_u32_e32 v1, s6, v0
	v_add_u32_e32 v0, 0x100, v0
	global_store_byte v1, v18, s[12:13]
	s_or_b64 exec, exec, s[0:1]
	v_cmp_gt_i32_e32 vcc, s33, v0
	s_and_saveexec_b64 s[0:1], vcc
	s_cbranch_execz .LBB121_177
.LBB121_192:
	v_add_u32_e32 v1, s6, v0
	v_add_u32_e32 v0, 0x100, v0
	global_store_byte v1, v9, s[12:13]
	s_or_b64 exec, exec, s[0:1]
	v_cmp_gt_i32_e32 vcc, s33, v0
	s_and_saveexec_b64 s[0:1], vcc
	s_cbranch_execz .LBB121_178
.LBB121_193:
	v_add_u32_e32 v1, s6, v0
	v_add_u32_e32 v0, 0x100, v0
	global_store_byte v1, v10, s[12:13]
	s_or_b64 exec, exec, s[0:1]
	v_cmp_gt_i32_e32 vcc, s33, v0
	s_and_saveexec_b64 s[0:1], vcc
	s_cbranch_execz .LBB121_179
.LBB121_194:
	v_add_u32_e32 v1, s6, v0
	v_add_u32_e32 v0, 0x100, v0
	global_store_byte v1, v5, s[12:13]
	s_or_b64 exec, exec, s[0:1]
	v_cmp_gt_i32_e32 vcc, s33, v0
	s_and_saveexec_b64 s[0:1], vcc
	s_cbranch_execnz .LBB121_180
.LBB121_195:
	s_endpgm
.LBB121_196:
                                        ; implicit-def: $sgpr4_sgpr5
	s_branch .LBB121_3
.LBB121_197:
                                        ; implicit-def: $sgpr16_sgpr17
	s_branch .LBB121_6
.LBB121_198:
                                        ; implicit-def: $sgpr18_sgpr19
	s_branch .LBB121_9
.LBB121_199:
                                        ; implicit-def: $sgpr20_sgpr21
	s_branch .LBB121_12
.LBB121_200:
                                        ; implicit-def: $sgpr22_sgpr23
	s_branch .LBB121_15
.LBB121_201:
                                        ; implicit-def: $sgpr24_sgpr25
	s_branch .LBB121_18
.LBB121_202:
                                        ; implicit-def: $sgpr26_sgpr27
	s_branch .LBB121_21
.LBB121_203:
                                        ; implicit-def: $sgpr28_sgpr29
	s_branch .LBB121_24
.LBB121_204:
                                        ; implicit-def: $sgpr30_sgpr31
	s_branch .LBB121_27
.LBB121_205:
                                        ; implicit-def: $sgpr34_sgpr35
	s_branch .LBB121_30
.LBB121_206:
                                        ; implicit-def: $sgpr36_sgpr37
	s_branch .LBB121_33
.LBB121_207:
                                        ; implicit-def: $sgpr38_sgpr39
	s_branch .LBB121_36
.LBB121_208:
                                        ; implicit-def: $sgpr40_sgpr41
	s_branch .LBB121_39
.LBB121_209:
                                        ; implicit-def: $sgpr42_sgpr43
	s_branch .LBB121_42
.LBB121_210:
                                        ; implicit-def: $sgpr44_sgpr45
	s_branch .LBB121_45
.LBB121_211:
                                        ; implicit-def: $sgpr2_sgpr3
	s_branch .LBB121_48
.LBB121_212:
                                        ; implicit-def: $sgpr16_sgpr17
	s_branch .LBB121_86
.LBB121_213:
                                        ; implicit-def: $sgpr16_sgpr17
	s_branch .LBB121_91
.LBB121_214:
                                        ; implicit-def: $sgpr16_sgpr17
	s_branch .LBB121_96
.LBB121_215:
                                        ; implicit-def: $sgpr16_sgpr17
	s_branch .LBB121_101
.LBB121_216:
                                        ; implicit-def: $sgpr16_sgpr17
	s_branch .LBB121_106
.LBB121_217:
                                        ; implicit-def: $sgpr16_sgpr17
	s_branch .LBB121_111
.LBB121_218:
                                        ; implicit-def: $sgpr16_sgpr17
	s_branch .LBB121_116
.LBB121_219:
                                        ; implicit-def: $sgpr16_sgpr17
	s_branch .LBB121_121
.LBB121_220:
                                        ; implicit-def: $sgpr16_sgpr17
	s_branch .LBB121_126
.LBB121_221:
                                        ; implicit-def: $sgpr16_sgpr17
	s_branch .LBB121_131
.LBB121_222:
                                        ; implicit-def: $sgpr16_sgpr17
	s_branch .LBB121_136
.LBB121_223:
                                        ; implicit-def: $sgpr16_sgpr17
	s_branch .LBB121_141
.LBB121_224:
                                        ; implicit-def: $sgpr16_sgpr17
	s_branch .LBB121_146
.LBB121_225:
                                        ; implicit-def: $sgpr16_sgpr17
	s_branch .LBB121_151
.LBB121_226:
                                        ; implicit-def: $sgpr16_sgpr17
	s_branch .LBB121_156
.LBB121_227:
                                        ; implicit-def: $sgpr14_sgpr15
	s_branch .LBB121_161
	.section	.rodata,"a",@progbits
	.p2align	6, 0x0
	.amdhsa_kernel _ZN2at6native29vectorized_elementwise_kernelILi8ENS0_13AUnaryFunctorIN3c107complexIdEES5_bNS0_12_GLOBAL__N_116CompareEqFunctorIS5_EEEESt5arrayIPcLm2EEEEviT0_T1_
		.amdhsa_group_segment_fixed_size 0
		.amdhsa_private_segment_fixed_size 0
		.amdhsa_kernarg_size 64
		.amdhsa_user_sgpr_count 6
		.amdhsa_user_sgpr_private_segment_buffer 1
		.amdhsa_user_sgpr_dispatch_ptr 0
		.amdhsa_user_sgpr_queue_ptr 0
		.amdhsa_user_sgpr_kernarg_segment_ptr 1
		.amdhsa_user_sgpr_dispatch_id 0
		.amdhsa_user_sgpr_flat_scratch_init 0
		.amdhsa_user_sgpr_private_segment_size 0
		.amdhsa_uses_dynamic_stack 0
		.amdhsa_system_sgpr_private_segment_wavefront_offset 0
		.amdhsa_system_sgpr_workgroup_id_x 1
		.amdhsa_system_sgpr_workgroup_id_y 0
		.amdhsa_system_sgpr_workgroup_id_z 0
		.amdhsa_system_sgpr_workgroup_info 0
		.amdhsa_system_vgpr_workitem_id 0
		.amdhsa_next_free_vgpr 69
		.amdhsa_next_free_sgpr 47
		.amdhsa_reserve_vcc 1
		.amdhsa_reserve_flat_scratch 0
		.amdhsa_float_round_mode_32 0
		.amdhsa_float_round_mode_16_64 0
		.amdhsa_float_denorm_mode_32 3
		.amdhsa_float_denorm_mode_16_64 3
		.amdhsa_dx10_clamp 1
		.amdhsa_ieee_mode 1
		.amdhsa_fp16_overflow 0
		.amdhsa_exception_fp_ieee_invalid_op 0
		.amdhsa_exception_fp_denorm_src 0
		.amdhsa_exception_fp_ieee_div_zero 0
		.amdhsa_exception_fp_ieee_overflow 0
		.amdhsa_exception_fp_ieee_underflow 0
		.amdhsa_exception_fp_ieee_inexact 0
		.amdhsa_exception_int_div_zero 0
	.end_amdhsa_kernel
	.section	.text._ZN2at6native29vectorized_elementwise_kernelILi8ENS0_13AUnaryFunctorIN3c107complexIdEES5_bNS0_12_GLOBAL__N_116CompareEqFunctorIS5_EEEESt5arrayIPcLm2EEEEviT0_T1_,"axG",@progbits,_ZN2at6native29vectorized_elementwise_kernelILi8ENS0_13AUnaryFunctorIN3c107complexIdEES5_bNS0_12_GLOBAL__N_116CompareEqFunctorIS5_EEEESt5arrayIPcLm2EEEEviT0_T1_,comdat
.Lfunc_end121:
	.size	_ZN2at6native29vectorized_elementwise_kernelILi8ENS0_13AUnaryFunctorIN3c107complexIdEES5_bNS0_12_GLOBAL__N_116CompareEqFunctorIS5_EEEESt5arrayIPcLm2EEEEviT0_T1_, .Lfunc_end121-_ZN2at6native29vectorized_elementwise_kernelILi8ENS0_13AUnaryFunctorIN3c107complexIdEES5_bNS0_12_GLOBAL__N_116CompareEqFunctorIS5_EEEESt5arrayIPcLm2EEEEviT0_T1_
                                        ; -- End function
	.set _ZN2at6native29vectorized_elementwise_kernelILi8ENS0_13AUnaryFunctorIN3c107complexIdEES5_bNS0_12_GLOBAL__N_116CompareEqFunctorIS5_EEEESt5arrayIPcLm2EEEEviT0_T1_.num_vgpr, 69
	.set _ZN2at6native29vectorized_elementwise_kernelILi8ENS0_13AUnaryFunctorIN3c107complexIdEES5_bNS0_12_GLOBAL__N_116CompareEqFunctorIS5_EEEESt5arrayIPcLm2EEEEviT0_T1_.num_agpr, 0
	.set _ZN2at6native29vectorized_elementwise_kernelILi8ENS0_13AUnaryFunctorIN3c107complexIdEES5_bNS0_12_GLOBAL__N_116CompareEqFunctorIS5_EEEESt5arrayIPcLm2EEEEviT0_T1_.numbered_sgpr, 47
	.set _ZN2at6native29vectorized_elementwise_kernelILi8ENS0_13AUnaryFunctorIN3c107complexIdEES5_bNS0_12_GLOBAL__N_116CompareEqFunctorIS5_EEEESt5arrayIPcLm2EEEEviT0_T1_.num_named_barrier, 0
	.set _ZN2at6native29vectorized_elementwise_kernelILi8ENS0_13AUnaryFunctorIN3c107complexIdEES5_bNS0_12_GLOBAL__N_116CompareEqFunctorIS5_EEEESt5arrayIPcLm2EEEEviT0_T1_.private_seg_size, 0
	.set _ZN2at6native29vectorized_elementwise_kernelILi8ENS0_13AUnaryFunctorIN3c107complexIdEES5_bNS0_12_GLOBAL__N_116CompareEqFunctorIS5_EEEESt5arrayIPcLm2EEEEviT0_T1_.uses_vcc, 1
	.set _ZN2at6native29vectorized_elementwise_kernelILi8ENS0_13AUnaryFunctorIN3c107complexIdEES5_bNS0_12_GLOBAL__N_116CompareEqFunctorIS5_EEEESt5arrayIPcLm2EEEEviT0_T1_.uses_flat_scratch, 0
	.set _ZN2at6native29vectorized_elementwise_kernelILi8ENS0_13AUnaryFunctorIN3c107complexIdEES5_bNS0_12_GLOBAL__N_116CompareEqFunctorIS5_EEEESt5arrayIPcLm2EEEEviT0_T1_.has_dyn_sized_stack, 0
	.set _ZN2at6native29vectorized_elementwise_kernelILi8ENS0_13AUnaryFunctorIN3c107complexIdEES5_bNS0_12_GLOBAL__N_116CompareEqFunctorIS5_EEEESt5arrayIPcLm2EEEEviT0_T1_.has_recursion, 0
	.set _ZN2at6native29vectorized_elementwise_kernelILi8ENS0_13AUnaryFunctorIN3c107complexIdEES5_bNS0_12_GLOBAL__N_116CompareEqFunctorIS5_EEEESt5arrayIPcLm2EEEEviT0_T1_.has_indirect_call, 0
	.section	.AMDGPU.csdata,"",@progbits
; Kernel info:
; codeLenInByte = 5128
; TotalNumSgprs: 51
; NumVgprs: 69
; ScratchSize: 0
; MemoryBound: 1
; FloatMode: 240
; IeeeMode: 1
; LDSByteSize: 0 bytes/workgroup (compile time only)
; SGPRBlocks: 6
; VGPRBlocks: 17
; NumSGPRsForWavesPerEU: 51
; NumVGPRsForWavesPerEU: 69
; Occupancy: 3
; WaveLimiterHint : 1
; COMPUTE_PGM_RSRC2:SCRATCH_EN: 0
; COMPUTE_PGM_RSRC2:USER_SGPR: 6
; COMPUTE_PGM_RSRC2:TRAP_HANDLER: 0
; COMPUTE_PGM_RSRC2:TGID_X_EN: 1
; COMPUTE_PGM_RSRC2:TGID_Y_EN: 0
; COMPUTE_PGM_RSRC2:TGID_Z_EN: 0
; COMPUTE_PGM_RSRC2:TIDIG_COMP_CNT: 0
	.section	.text._ZN2at6native29vectorized_elementwise_kernelILi4ENS0_13AUnaryFunctorIN3c107complexIdEES5_bNS0_12_GLOBAL__N_116CompareEqFunctorIS5_EEEESt5arrayIPcLm2EEEEviT0_T1_,"axG",@progbits,_ZN2at6native29vectorized_elementwise_kernelILi4ENS0_13AUnaryFunctorIN3c107complexIdEES5_bNS0_12_GLOBAL__N_116CompareEqFunctorIS5_EEEESt5arrayIPcLm2EEEEviT0_T1_,comdat
	.globl	_ZN2at6native29vectorized_elementwise_kernelILi4ENS0_13AUnaryFunctorIN3c107complexIdEES5_bNS0_12_GLOBAL__N_116CompareEqFunctorIS5_EEEESt5arrayIPcLm2EEEEviT0_T1_ ; -- Begin function _ZN2at6native29vectorized_elementwise_kernelILi4ENS0_13AUnaryFunctorIN3c107complexIdEES5_bNS0_12_GLOBAL__N_116CompareEqFunctorIS5_EEEESt5arrayIPcLm2EEEEviT0_T1_
	.p2align	8
	.type	_ZN2at6native29vectorized_elementwise_kernelILi4ENS0_13AUnaryFunctorIN3c107complexIdEES5_bNS0_12_GLOBAL__N_116CompareEqFunctorIS5_EEEESt5arrayIPcLm2EEEEviT0_T1_,@function
_ZN2at6native29vectorized_elementwise_kernelILi4ENS0_13AUnaryFunctorIN3c107complexIdEES5_bNS0_12_GLOBAL__N_116CompareEqFunctorIS5_EEEESt5arrayIPcLm2EEEEviT0_T1_: ; @_ZN2at6native29vectorized_elementwise_kernelILi4ENS0_13AUnaryFunctorIN3c107complexIdEES5_bNS0_12_GLOBAL__N_116CompareEqFunctorIS5_EEEESt5arrayIPcLm2EEEEviT0_T1_
; %bb.0:
	s_load_dword s0, s[4:5], 0x0
	s_load_dword s46, s[4:5], 0x10
	s_load_dwordx8 s[8:15], s[4:5], 0x20
	s_lshl_b32 s6, s6, 12
	s_waitcnt lgkmcnt(0)
	s_sub_i32 s33, s0, s6
	s_cmpk_gt_i32 s33, 0xfff
	s_mov_b64 s[0:1], -1
	s_cbranch_scc0 .LBB122_50
; %bb.1:
	s_ashr_i32 s7, s6, 31
	s_lshl_b64 s[0:1], s[6:7], 4
	s_add_u32 s0, s14, s0
	s_addc_u32 s1, s15, s1
	v_lshlrev_b32_e32 v1, 6, v0
	v_mov_b32_e32 v2, s1
	v_add_co_u32_e32 v3, vcc, s0, v1
	v_addc_co_u32_e32 v4, vcc, 0, v2, vcc
	global_load_dwordx4 v[49:52], v1, s[0:1] offset:48
	global_load_dwordx4 v[53:56], v1, s[0:1] offset:32
	;; [unrolled: 1-line block ×3, first 2 shown]
	global_load_dwordx4 v[61:64], v1, s[0:1]
	s_movk_i32 s0, 0x4000
	v_add_co_u32_e32 v1, vcc, s0, v3
	v_addc_co_u32_e32 v2, vcc, 0, v4, vcc
	s_mov_b32 s0, 0x8000
	global_load_dwordx4 v[33:36], v[1:2], off offset:48
	global_load_dwordx4 v[37:40], v[1:2], off offset:32
	global_load_dwordx4 v[45:48], v[1:2], off
	global_load_dwordx4 v[41:44], v[1:2], off offset:16
	v_add_co_u32_e32 v1, vcc, s0, v3
	v_addc_co_u32_e32 v2, vcc, 0, v4, vcc
	s_mov_b32 s0, 0xc000
	v_add_co_u32_e32 v65, vcc, s0, v3
	v_addc_co_u32_e32 v66, vcc, 0, v4, vcc
	v_add_co_u32_e32 v67, vcc, 0xc000, v3
	v_addc_co_u32_e32 v68, vcc, 0, v4, vcc
	global_load_dwordx4 v[17:20], v[1:2], off offset:48
	global_load_dwordx4 v[21:24], v[1:2], off offset:32
	global_load_dwordx4 v[29:32], v[1:2], off
	global_load_dwordx4 v[25:28], v[1:2], off offset:16
	global_load_dwordx4 v[13:16], v[67:68], off
	s_nop 0
	global_load_dwordx4 v[1:4], v[65:66], off offset:48
	global_load_dwordx4 v[5:8], v[65:66], off offset:32
	;; [unrolled: 1-line block ×3, first 2 shown]
	s_cmp_lg_u32 s46, 0
	s_cselect_b64 s[2:3], -1, 0
	s_and_b64 vcc, exec, s[2:3]
	s_cbranch_vccz .LBB122_196
; %bb.2:
	s_waitcnt vmcnt(12)
	v_cmp_neq_f64_e32 vcc, s[8:9], v[61:62]
	v_cmp_neq_f64_e64 s[0:1], s[10:11], v[63:64]
	s_or_b64 s[4:5], vcc, s[0:1]
	s_cbranch_execnz .LBB122_4
.LBB122_3:
	s_waitcnt vmcnt(12)
	v_cmp_eq_f64_e32 vcc, s[8:9], v[61:62]
	v_cmp_eq_f64_e64 s[0:1], s[10:11], v[63:64]
	s_andn2_b64 s[4:5], s[4:5], exec
	s_and_b64 s[0:1], vcc, s[0:1]
	s_and_b64 s[0:1], s[0:1], exec
	s_or_b64 s[4:5], s[4:5], s[0:1]
.LBB122_4:
	s_waitcnt vmcnt(12)
	v_cndmask_b32_e64 v61, 0, 1, s[2:3]
	v_cmp_ne_u32_e64 s[0:1], 1, v61
	s_andn2_b64 vcc, exec, s[2:3]
	s_cbranch_vccnz .LBB122_197
; %bb.5:
	v_cmp_neq_f64_e32 vcc, s[8:9], v[57:58]
	v_cmp_neq_f64_e64 s[2:3], s[10:11], v[59:60]
	s_or_b64 s[16:17], vcc, s[2:3]
	s_cbranch_execnz .LBB122_7
.LBB122_6:
	v_cmp_eq_f64_e32 vcc, s[8:9], v[57:58]
	v_cmp_eq_f64_e64 s[2:3], s[10:11], v[59:60]
	s_andn2_b64 s[16:17], s[16:17], exec
	s_and_b64 s[2:3], vcc, s[2:3]
	s_and_b64 s[2:3], s[2:3], exec
	s_or_b64 s[16:17], s[16:17], s[2:3]
.LBB122_7:
	s_and_b64 vcc, exec, s[0:1]
	s_cbranch_vccnz .LBB122_198
; %bb.8:
	v_cmp_neq_f64_e32 vcc, s[8:9], v[53:54]
	v_cmp_neq_f64_e64 s[2:3], s[10:11], v[55:56]
	s_or_b64 s[18:19], vcc, s[2:3]
	s_cbranch_execnz .LBB122_10
.LBB122_9:
	v_cmp_eq_f64_e32 vcc, s[8:9], v[53:54]
	v_cmp_eq_f64_e64 s[2:3], s[10:11], v[55:56]
	s_andn2_b64 s[18:19], s[18:19], exec
	s_and_b64 s[2:3], vcc, s[2:3]
	s_and_b64 s[2:3], s[2:3], exec
	s_or_b64 s[18:19], s[18:19], s[2:3]
.LBB122_10:
	s_and_b64 vcc, exec, s[0:1]
	s_cbranch_vccnz .LBB122_199
; %bb.11:
	v_cmp_neq_f64_e32 vcc, s[8:9], v[49:50]
	v_cmp_neq_f64_e64 s[2:3], s[10:11], v[51:52]
	s_or_b64 s[20:21], vcc, s[2:3]
	s_cbranch_execnz .LBB122_13
.LBB122_12:
	v_cmp_eq_f64_e32 vcc, s[8:9], v[49:50]
	v_cmp_eq_f64_e64 s[2:3], s[10:11], v[51:52]
	s_andn2_b64 s[20:21], s[20:21], exec
	s_and_b64 s[2:3], vcc, s[2:3]
	s_and_b64 s[2:3], s[2:3], exec
	s_or_b64 s[20:21], s[20:21], s[2:3]
.LBB122_13:
	s_and_b64 vcc, exec, s[0:1]
	s_cbranch_vccnz .LBB122_200
; %bb.14:
	s_waitcnt vmcnt(9)
	v_cmp_neq_f64_e32 vcc, s[8:9], v[45:46]
	v_cmp_neq_f64_e64 s[2:3], s[10:11], v[47:48]
	s_or_b64 s[22:23], vcc, s[2:3]
	s_cbranch_execnz .LBB122_16
.LBB122_15:
	s_waitcnt vmcnt(9)
	v_cmp_eq_f64_e32 vcc, s[8:9], v[45:46]
	v_cmp_eq_f64_e64 s[2:3], s[10:11], v[47:48]
	s_andn2_b64 s[22:23], s[22:23], exec
	s_and_b64 s[2:3], vcc, s[2:3]
	s_and_b64 s[2:3], s[2:3], exec
	s_or_b64 s[22:23], s[22:23], s[2:3]
.LBB122_16:
	s_and_b64 vcc, exec, s[0:1]
	s_cbranch_vccnz .LBB122_201
; %bb.17:
	s_waitcnt vmcnt(8)
	v_cmp_neq_f64_e32 vcc, s[8:9], v[41:42]
	v_cmp_neq_f64_e64 s[2:3], s[10:11], v[43:44]
	s_or_b64 s[24:25], vcc, s[2:3]
	s_cbranch_execnz .LBB122_19
.LBB122_18:
	s_waitcnt vmcnt(8)
	v_cmp_eq_f64_e32 vcc, s[8:9], v[41:42]
	v_cmp_eq_f64_e64 s[2:3], s[10:11], v[43:44]
	s_andn2_b64 s[24:25], s[24:25], exec
	s_and_b64 s[2:3], vcc, s[2:3]
	s_and_b64 s[2:3], s[2:3], exec
	s_or_b64 s[24:25], s[24:25], s[2:3]
.LBB122_19:
	s_and_b64 vcc, exec, s[0:1]
	s_cbranch_vccnz .LBB122_202
; %bb.20:
	s_waitcnt vmcnt(10)
	v_cmp_neq_f64_e32 vcc, s[8:9], v[37:38]
	v_cmp_neq_f64_e64 s[2:3], s[10:11], v[39:40]
	s_or_b64 s[26:27], vcc, s[2:3]
	s_cbranch_execnz .LBB122_22
.LBB122_21:
	s_waitcnt vmcnt(10)
	v_cmp_eq_f64_e32 vcc, s[8:9], v[37:38]
	v_cmp_eq_f64_e64 s[2:3], s[10:11], v[39:40]
	s_andn2_b64 s[26:27], s[26:27], exec
	s_and_b64 s[2:3], vcc, s[2:3]
	s_and_b64 s[2:3], s[2:3], exec
	s_or_b64 s[26:27], s[26:27], s[2:3]
.LBB122_22:
	s_and_b64 vcc, exec, s[0:1]
	s_cbranch_vccnz .LBB122_203
; %bb.23:
	s_waitcnt vmcnt(11)
	v_cmp_neq_f64_e32 vcc, s[8:9], v[33:34]
	v_cmp_neq_f64_e64 s[2:3], s[10:11], v[35:36]
	s_or_b64 s[28:29], vcc, s[2:3]
	s_cbranch_execnz .LBB122_25
.LBB122_24:
	s_waitcnt vmcnt(11)
	v_cmp_eq_f64_e32 vcc, s[8:9], v[33:34]
	v_cmp_eq_f64_e64 s[2:3], s[10:11], v[35:36]
	s_andn2_b64 s[28:29], s[28:29], exec
	s_and_b64 s[2:3], vcc, s[2:3]
	s_and_b64 s[2:3], s[2:3], exec
	s_or_b64 s[28:29], s[28:29], s[2:3]
.LBB122_25:
	s_and_b64 vcc, exec, s[0:1]
	s_cbranch_vccnz .LBB122_204
; %bb.26:
	s_waitcnt vmcnt(5)
	v_cmp_neq_f64_e32 vcc, s[8:9], v[29:30]
	v_cmp_neq_f64_e64 s[2:3], s[10:11], v[31:32]
	s_or_b64 s[30:31], vcc, s[2:3]
	s_cbranch_execnz .LBB122_28
.LBB122_27:
	s_waitcnt vmcnt(5)
	v_cmp_eq_f64_e32 vcc, s[8:9], v[29:30]
	v_cmp_eq_f64_e64 s[2:3], s[10:11], v[31:32]
	s_andn2_b64 s[30:31], s[30:31], exec
	s_and_b64 s[2:3], vcc, s[2:3]
	s_and_b64 s[2:3], s[2:3], exec
	s_or_b64 s[30:31], s[30:31], s[2:3]
.LBB122_28:
	s_and_b64 vcc, exec, s[0:1]
	s_cbranch_vccnz .LBB122_205
; %bb.29:
	s_waitcnt vmcnt(4)
	v_cmp_neq_f64_e32 vcc, s[8:9], v[25:26]
	v_cmp_neq_f64_e64 s[2:3], s[10:11], v[27:28]
	s_or_b64 s[34:35], vcc, s[2:3]
	s_cbranch_execnz .LBB122_31
.LBB122_30:
	s_waitcnt vmcnt(4)
	v_cmp_eq_f64_e32 vcc, s[8:9], v[25:26]
	v_cmp_eq_f64_e64 s[2:3], s[10:11], v[27:28]
	s_andn2_b64 s[34:35], s[34:35], exec
	s_and_b64 s[2:3], vcc, s[2:3]
	s_and_b64 s[2:3], s[2:3], exec
	s_or_b64 s[34:35], s[34:35], s[2:3]
.LBB122_31:
	s_and_b64 vcc, exec, s[0:1]
	s_cbranch_vccnz .LBB122_206
; %bb.32:
	s_waitcnt vmcnt(6)
	v_cmp_neq_f64_e32 vcc, s[8:9], v[21:22]
	v_cmp_neq_f64_e64 s[2:3], s[10:11], v[23:24]
	s_or_b64 s[36:37], vcc, s[2:3]
	s_cbranch_execnz .LBB122_34
.LBB122_33:
	s_waitcnt vmcnt(6)
	v_cmp_eq_f64_e32 vcc, s[8:9], v[21:22]
	v_cmp_eq_f64_e64 s[2:3], s[10:11], v[23:24]
	s_andn2_b64 s[36:37], s[36:37], exec
	s_and_b64 s[2:3], vcc, s[2:3]
	s_and_b64 s[2:3], s[2:3], exec
	s_or_b64 s[36:37], s[36:37], s[2:3]
.LBB122_34:
	s_and_b64 vcc, exec, s[0:1]
	s_cbranch_vccnz .LBB122_207
; %bb.35:
	s_waitcnt vmcnt(7)
	v_cmp_neq_f64_e32 vcc, s[8:9], v[17:18]
	v_cmp_neq_f64_e64 s[2:3], s[10:11], v[19:20]
	s_or_b64 s[38:39], vcc, s[2:3]
	s_cbranch_execnz .LBB122_37
.LBB122_36:
	s_waitcnt vmcnt(7)
	v_cmp_eq_f64_e32 vcc, s[8:9], v[17:18]
	v_cmp_eq_f64_e64 s[2:3], s[10:11], v[19:20]
	s_andn2_b64 s[38:39], s[38:39], exec
	s_and_b64 s[2:3], vcc, s[2:3]
	s_and_b64 s[2:3], s[2:3], exec
	s_or_b64 s[38:39], s[38:39], s[2:3]
.LBB122_37:
	s_and_b64 vcc, exec, s[0:1]
	s_cbranch_vccnz .LBB122_208
; %bb.38:
	s_waitcnt vmcnt(3)
	v_cmp_neq_f64_e32 vcc, s[8:9], v[13:14]
	v_cmp_neq_f64_e64 s[2:3], s[10:11], v[15:16]
	s_or_b64 s[40:41], vcc, s[2:3]
	s_cbranch_execnz .LBB122_40
.LBB122_39:
	s_waitcnt vmcnt(3)
	v_cmp_eq_f64_e32 vcc, s[8:9], v[13:14]
	v_cmp_eq_f64_e64 s[2:3], s[10:11], v[15:16]
	s_andn2_b64 s[40:41], s[40:41], exec
	s_and_b64 s[2:3], vcc, s[2:3]
	s_and_b64 s[2:3], s[2:3], exec
	s_or_b64 s[40:41], s[40:41], s[2:3]
.LBB122_40:
	s_and_b64 vcc, exec, s[0:1]
	s_cbranch_vccnz .LBB122_209
; %bb.41:
	s_waitcnt vmcnt(0)
	v_cmp_neq_f64_e32 vcc, s[8:9], v[9:10]
	v_cmp_neq_f64_e64 s[2:3], s[10:11], v[11:12]
	s_or_b64 s[42:43], vcc, s[2:3]
	s_cbranch_execnz .LBB122_43
.LBB122_42:
	s_waitcnt vmcnt(0)
	v_cmp_eq_f64_e32 vcc, s[8:9], v[9:10]
	v_cmp_eq_f64_e64 s[2:3], s[10:11], v[11:12]
	s_andn2_b64 s[42:43], s[42:43], exec
	s_and_b64 s[2:3], vcc, s[2:3]
	s_and_b64 s[2:3], s[2:3], exec
	s_or_b64 s[42:43], s[42:43], s[2:3]
.LBB122_43:
	s_and_b64 vcc, exec, s[0:1]
	s_cbranch_vccnz .LBB122_210
; %bb.44:
	s_waitcnt vmcnt(1)
	v_cmp_neq_f64_e32 vcc, s[8:9], v[5:6]
	v_cmp_neq_f64_e64 s[2:3], s[10:11], v[7:8]
	s_or_b64 s[44:45], vcc, s[2:3]
	s_cbranch_execnz .LBB122_46
.LBB122_45:
	s_waitcnt vmcnt(1)
	v_cmp_eq_f64_e32 vcc, s[8:9], v[5:6]
	v_cmp_eq_f64_e64 s[2:3], s[10:11], v[7:8]
	s_andn2_b64 s[44:45], s[44:45], exec
	s_and_b64 s[2:3], vcc, s[2:3]
	s_and_b64 s[2:3], s[2:3], exec
	s_or_b64 s[44:45], s[44:45], s[2:3]
.LBB122_46:
	s_and_b64 vcc, exec, s[0:1]
	s_cbranch_vccnz .LBB122_211
; %bb.47:
	s_waitcnt vmcnt(2)
	v_cmp_neq_f64_e32 vcc, s[8:9], v[1:2]
	v_cmp_neq_f64_e64 s[0:1], s[10:11], v[3:4]
	s_or_b64 s[2:3], vcc, s[0:1]
	s_cbranch_execnz .LBB122_49
.LBB122_48:
	s_waitcnt vmcnt(2)
	v_cmp_eq_f64_e32 vcc, s[8:9], v[1:2]
	v_cmp_eq_f64_e64 s[0:1], s[10:11], v[3:4]
	s_andn2_b64 s[2:3], s[2:3], exec
	s_and_b64 s[0:1], vcc, s[0:1]
	s_and_b64 s[0:1], s[0:1], exec
	s_or_b64 s[2:3], s[2:3], s[0:1]
.LBB122_49:
	s_waitcnt vmcnt(2)
	v_mov_b32_e32 v1, 0x100
	v_cndmask_b32_e64 v2, 0, v1, s[42:43]
	v_cndmask_b32_e64 v3, 0, 1, s[40:41]
	v_or_b32_e32 v2, v2, v3
	v_mov_b32_e32 v3, 0x10000
	s_waitcnt vmcnt(1)
	v_cndmask_b32_e64 v5, 0, v1, s[34:35]
	v_cndmask_b32_e64 v6, 0, 1, s[30:31]
	v_mov_b32_e32 v7, 0x1000000
	v_or_b32_e32 v5, v5, v6
	v_cndmask_b32_e64 v6, 0, v3, s[36:37]
	v_cndmask_b32_e64 v8, 0, v7, s[38:39]
	v_or3_b32 v5, v5, v6, v8
	v_cndmask_b32_e64 v6, 0, v1, s[24:25]
	v_cndmask_b32_e64 v8, 0, 1, s[22:23]
	v_or_b32_e32 v6, v6, v8
	v_cndmask_b32_e64 v8, 0, v3, s[26:27]
	s_waitcnt vmcnt(0)
	v_cndmask_b32_e64 v9, 0, v7, s[28:29]
	v_or3_b32 v6, v6, v8, v9
	v_cndmask_b32_e64 v1, 0, v1, s[16:17]
	v_cndmask_b32_e64 v8, 0, 1, s[4:5]
	;; [unrolled: 1-line block ×3, first 2 shown]
	v_or_b32_e32 v1, v1, v8
	v_cndmask_b32_e64 v3, 0, v3, s[18:19]
	v_cndmask_b32_e64 v8, 0, v7, s[20:21]
	v_or3_b32 v1, v1, v3, v8
	v_cndmask_b32_e64 v3, 0, v7, s[2:3]
	s_add_u32 s0, s12, s6
	v_or3_b32 v2, v2, v4, v3
	s_addc_u32 s1, s13, s7
	v_lshlrev_b32_e32 v3, 2, v0
	global_store_dword v3, v1, s[0:1]
	global_store_dword v3, v6, s[0:1] offset:1024
	global_store_dword v3, v5, s[0:1] offset:2048
	;; [unrolled: 1-line block ×3, first 2 shown]
	s_mov_b64 s[0:1], 0
.LBB122_50:
	s_and_b64 vcc, exec, s[0:1]
	s_cbranch_vccz .LBB122_195
; %bb.51:
	v_mov_b32_e32 v49, 0
	v_mov_b32_e32 v61, 0
	;; [unrolled: 1-line block ×3, first 2 shown]
	v_cmp_gt_i32_e64 s[0:1], s33, v0
	v_mov_b32_e32 v50, 0
	v_or_b32_e32 v65, s6, v0
	v_mov_b32_e32 v62, 0
	v_mov_b32_e32 v64, 0
	;; [unrolled: 1-line block ×3, first 2 shown]
	s_and_saveexec_b64 s[2:3], s[0:1]
	s_cbranch_execz .LBB122_53
; %bb.52:
	v_mov_b32_e32 v66, 0
	v_lshlrev_b64 v[1:2], 4, v[65:66]
	v_mov_b32_e32 v3, s15
	v_add_co_u32_e32 v1, vcc, s14, v1
	v_addc_co_u32_e32 v2, vcc, v3, v2, vcc
	global_load_dwordx4 v[61:64], v[1:2], off
	v_or_b32_e32 v66, 0x100, v0
.LBB122_53:
	s_or_b64 exec, exec, s[2:3]
	v_mov_b32_e32 v51, 0
	v_mov_b32_e32 v52, 0
	v_cmp_gt_i32_e32 vcc, s33, v66
	s_and_saveexec_b64 s[2:3], vcc
	s_cbranch_execz .LBB122_55
; %bb.54:
	v_add_u32_e32 v1, s6, v66
	v_mov_b32_e32 v2, 0
	v_lshlrev_b64 v[1:2], 4, v[1:2]
	v_mov_b32_e32 v3, s15
	v_add_co_u32_e32 v1, vcc, s14, v1
	v_addc_co_u32_e32 v2, vcc, v3, v2, vcc
	global_load_dwordx4 v[49:52], v[1:2], off
	v_add_u32_e32 v66, 0x100, v66
.LBB122_55:
	s_or_b64 exec, exec, s[2:3]
	v_mov_b32_e32 v41, 0
	v_mov_b32_e32 v57, 0
	v_mov_b32_e32 v59, 0
	v_mov_b32_e32 v42, 0
	v_mov_b32_e32 v58, 0
	v_mov_b32_e32 v60, 0
	v_cmp_gt_i32_e32 vcc, s33, v66
	s_and_saveexec_b64 s[2:3], vcc
	s_cbranch_execz .LBB122_57
; %bb.56:
	v_add_u32_e32 v1, s6, v66
	v_mov_b32_e32 v2, 0
	v_lshlrev_b64 v[1:2], 4, v[1:2]
	v_mov_b32_e32 v3, s15
	v_add_co_u32_e32 v1, vcc, s14, v1
	v_addc_co_u32_e32 v2, vcc, v3, v2, vcc
	global_load_dwordx4 v[57:60], v[1:2], off
	v_add_u32_e32 v66, 0x100, v66
.LBB122_57:
	s_or_b64 exec, exec, s[2:3]
	v_mov_b32_e32 v43, 0
	v_mov_b32_e32 v44, 0
	v_cmp_gt_i32_e32 vcc, s33, v66
	s_and_saveexec_b64 s[2:3], vcc
	s_cbranch_execz .LBB122_59
; %bb.58:
	v_add_u32_e32 v1, s6, v66
	v_mov_b32_e32 v2, 0
	v_lshlrev_b64 v[1:2], 4, v[1:2]
	v_mov_b32_e32 v3, s15
	v_add_co_u32_e32 v1, vcc, s14, v1
	v_addc_co_u32_e32 v2, vcc, v3, v2, vcc
	global_load_dwordx4 v[41:44], v[1:2], off
	v_add_u32_e32 v66, 0x100, v66
.LBB122_59:
	s_or_b64 exec, exec, s[2:3]
	v_mov_b32_e32 v33, 0
	v_mov_b32_e32 v53, 0
	v_mov_b32_e32 v55, 0
	v_mov_b32_e32 v34, 0
	v_mov_b32_e32 v54, 0
	v_mov_b32_e32 v56, 0
	v_cmp_gt_i32_e32 vcc, s33, v66
	s_and_saveexec_b64 s[2:3], vcc
	s_cbranch_execz .LBB122_61
; %bb.60:
	v_add_u32_e32 v1, s6, v66
	v_mov_b32_e32 v2, 0
	v_lshlrev_b64 v[1:2], 4, v[1:2]
	v_mov_b32_e32 v3, s15
	v_add_co_u32_e32 v1, vcc, s14, v1
	v_addc_co_u32_e32 v2, vcc, v3, v2, vcc
	global_load_dwordx4 v[53:56], v[1:2], off
	v_add_u32_e32 v66, 0x100, v66
.LBB122_61:
	;; [unrolled: 36-line block ×7, first 2 shown]
	s_or_b64 exec, exec, s[2:3]
	v_mov_b32_e32 v3, 0
	v_mov_b32_e32 v4, 0
	v_cmp_gt_i32_e32 vcc, s33, v66
	s_and_saveexec_b64 s[2:3], vcc
	s_cbranch_execz .LBB122_83
; %bb.82:
	v_add_u32_e32 v1, s6, v66
	v_mov_b32_e32 v2, 0
	v_lshlrev_b64 v[1:2], 4, v[1:2]
	v_mov_b32_e32 v3, s15
	v_add_co_u32_e32 v1, vcc, s14, v1
	v_addc_co_u32_e32 v2, vcc, v3, v2, vcc
	global_load_dwordx4 v[1:4], v[1:2], off
.LBB122_83:
	s_or_b64 exec, exec, s[2:3]
	s_cmp_lg_u32 s46, 0
	s_cselect_b64 s[4:5], -1, 0
                                        ; implicit-def: $vgpr66
	s_and_saveexec_b64 s[14:15], s[0:1]
	s_cbranch_execz .LBB122_88
; %bb.84:
	s_and_b64 vcc, exec, s[4:5]
	s_cbranch_vccz .LBB122_212
; %bb.85:
	s_waitcnt vmcnt(0)
	v_cmp_neq_f64_e32 vcc, s[8:9], v[61:62]
	v_cmp_neq_f64_e64 s[2:3], s[10:11], v[63:64]
	s_or_b64 s[16:17], vcc, s[2:3]
	s_cbranch_execnz .LBB122_87
.LBB122_86:
	s_waitcnt vmcnt(0)
	v_cmp_eq_f64_e32 vcc, s[8:9], v[61:62]
	v_cmp_eq_f64_e64 s[2:3], s[10:11], v[63:64]
	s_andn2_b64 s[16:17], s[16:17], exec
	s_and_b64 s[2:3], vcc, s[2:3]
	s_and_b64 s[2:3], s[2:3], exec
	s_or_b64 s[16:17], s[16:17], s[2:3]
.LBB122_87:
	v_cndmask_b32_e64 v66, 0, 1, s[16:17]
.LBB122_88:
	s_or_b64 exec, exec, s[14:15]
	s_waitcnt vmcnt(0)
	v_or_b32_e32 v61, 0x100, v0
	v_cndmask_b32_e64 v62, 0, 1, s[4:5]
	v_cmp_gt_i32_e32 vcc, s33, v61
	v_cmp_ne_u32_e64 s[2:3], 1, v62
                                        ; implicit-def: $vgpr62
	s_and_saveexec_b64 s[14:15], vcc
	s_cbranch_execz .LBB122_93
; %bb.89:
	s_and_b64 vcc, exec, s[2:3]
	s_cbranch_vccnz .LBB122_213
; %bb.90:
	v_cmp_neq_f64_e32 vcc, s[8:9], v[49:50]
	v_cmp_neq_f64_e64 s[4:5], s[10:11], v[51:52]
	s_or_b64 s[16:17], vcc, s[4:5]
	s_cbranch_execnz .LBB122_92
.LBB122_91:
	v_cmp_eq_f64_e32 vcc, s[8:9], v[49:50]
	v_cmp_eq_f64_e64 s[4:5], s[10:11], v[51:52]
	s_andn2_b64 s[16:17], s[16:17], exec
	s_and_b64 s[4:5], vcc, s[4:5]
	s_and_b64 s[4:5], s[4:5], exec
	s_or_b64 s[16:17], s[16:17], s[4:5]
.LBB122_92:
	v_cndmask_b32_e64 v62, 0, 1, s[16:17]
.LBB122_93:
	s_or_b64 exec, exec, s[14:15]
	v_or_b32_e32 v49, 0x200, v0
	v_cmp_gt_i32_e32 vcc, s33, v49
                                        ; implicit-def: $vgpr49
	s_and_saveexec_b64 s[14:15], vcc
	s_cbranch_execz .LBB122_98
; %bb.94:
	s_and_b64 vcc, exec, s[2:3]
	s_cbranch_vccnz .LBB122_214
; %bb.95:
	v_cmp_neq_f64_e32 vcc, s[8:9], v[57:58]
	v_cmp_neq_f64_e64 s[4:5], s[10:11], v[59:60]
	s_or_b64 s[16:17], vcc, s[4:5]
	s_cbranch_execnz .LBB122_97
.LBB122_96:
	v_cmp_eq_f64_e32 vcc, s[8:9], v[57:58]
	v_cmp_eq_f64_e64 s[4:5], s[10:11], v[59:60]
	s_andn2_b64 s[16:17], s[16:17], exec
	s_and_b64 s[4:5], vcc, s[4:5]
	s_and_b64 s[4:5], s[4:5], exec
	s_or_b64 s[16:17], s[16:17], s[4:5]
.LBB122_97:
	v_cndmask_b32_e64 v49, 0, 1, s[16:17]
.LBB122_98:
	s_or_b64 exec, exec, s[14:15]
	v_or_b32_e32 v50, 0x300, v0
	v_cmp_gt_i32_e32 vcc, s33, v50
                                        ; implicit-def: $vgpr50
	s_and_saveexec_b64 s[14:15], vcc
	s_cbranch_execz .LBB122_103
; %bb.99:
	s_and_b64 vcc, exec, s[2:3]
	s_cbranch_vccnz .LBB122_215
; %bb.100:
	v_cmp_neq_f64_e32 vcc, s[8:9], v[41:42]
	v_cmp_neq_f64_e64 s[4:5], s[10:11], v[43:44]
	s_or_b64 s[16:17], vcc, s[4:5]
	s_cbranch_execnz .LBB122_102
.LBB122_101:
	v_cmp_eq_f64_e32 vcc, s[8:9], v[41:42]
	v_cmp_eq_f64_e64 s[4:5], s[10:11], v[43:44]
	s_andn2_b64 s[16:17], s[16:17], exec
	s_and_b64 s[4:5], vcc, s[4:5]
	s_and_b64 s[4:5], s[4:5], exec
	s_or_b64 s[16:17], s[16:17], s[4:5]
.LBB122_102:
	v_cndmask_b32_e64 v50, 0, 1, s[16:17]
.LBB122_103:
	s_or_b64 exec, exec, s[14:15]
	v_or_b32_e32 v41, 0x400, v0
	v_cmp_gt_i32_e32 vcc, s33, v41
                                        ; implicit-def: $vgpr41
	s_and_saveexec_b64 s[14:15], vcc
	s_cbranch_execz .LBB122_108
; %bb.104:
	s_and_b64 vcc, exec, s[2:3]
	s_cbranch_vccnz .LBB122_216
; %bb.105:
	v_cmp_neq_f64_e32 vcc, s[8:9], v[53:54]
	v_cmp_neq_f64_e64 s[4:5], s[10:11], v[55:56]
	s_or_b64 s[16:17], vcc, s[4:5]
	s_cbranch_execnz .LBB122_107
.LBB122_106:
	v_cmp_eq_f64_e32 vcc, s[8:9], v[53:54]
	v_cmp_eq_f64_e64 s[4:5], s[10:11], v[55:56]
	s_andn2_b64 s[16:17], s[16:17], exec
	s_and_b64 s[4:5], vcc, s[4:5]
	s_and_b64 s[4:5], s[4:5], exec
	s_or_b64 s[16:17], s[16:17], s[4:5]
.LBB122_107:
	v_cndmask_b32_e64 v41, 0, 1, s[16:17]
.LBB122_108:
	s_or_b64 exec, exec, s[14:15]
	v_or_b32_e32 v42, 0x500, v0
	v_cmp_gt_i32_e32 vcc, s33, v42
                                        ; implicit-def: $vgpr42
	s_and_saveexec_b64 s[14:15], vcc
	s_cbranch_execz .LBB122_113
; %bb.109:
	s_and_b64 vcc, exec, s[2:3]
	s_cbranch_vccnz .LBB122_217
; %bb.110:
	v_cmp_neq_f64_e32 vcc, s[8:9], v[33:34]
	v_cmp_neq_f64_e64 s[4:5], s[10:11], v[35:36]
	s_or_b64 s[16:17], vcc, s[4:5]
	s_cbranch_execnz .LBB122_112
.LBB122_111:
	v_cmp_eq_f64_e32 vcc, s[8:9], v[33:34]
	v_cmp_eq_f64_e64 s[4:5], s[10:11], v[35:36]
	s_andn2_b64 s[16:17], s[16:17], exec
	s_and_b64 s[4:5], vcc, s[4:5]
	s_and_b64 s[4:5], s[4:5], exec
	s_or_b64 s[16:17], s[16:17], s[4:5]
.LBB122_112:
	v_cndmask_b32_e64 v42, 0, 1, s[16:17]
.LBB122_113:
	s_or_b64 exec, exec, s[14:15]
	v_or_b32_e32 v33, 0x600, v0
	v_cmp_gt_i32_e32 vcc, s33, v33
                                        ; implicit-def: $vgpr33
	s_and_saveexec_b64 s[14:15], vcc
	s_cbranch_execz .LBB122_118
; %bb.114:
	s_and_b64 vcc, exec, s[2:3]
	s_cbranch_vccnz .LBB122_218
; %bb.115:
	v_cmp_neq_f64_e32 vcc, s[8:9], v[45:46]
	v_cmp_neq_f64_e64 s[4:5], s[10:11], v[47:48]
	s_or_b64 s[16:17], vcc, s[4:5]
	s_cbranch_execnz .LBB122_117
.LBB122_116:
	v_cmp_eq_f64_e32 vcc, s[8:9], v[45:46]
	v_cmp_eq_f64_e64 s[4:5], s[10:11], v[47:48]
	s_andn2_b64 s[16:17], s[16:17], exec
	s_and_b64 s[4:5], vcc, s[4:5]
	s_and_b64 s[4:5], s[4:5], exec
	s_or_b64 s[16:17], s[16:17], s[4:5]
.LBB122_117:
	v_cndmask_b32_e64 v33, 0, 1, s[16:17]
.LBB122_118:
	s_or_b64 exec, exec, s[14:15]
	v_or_b32_e32 v34, 0x700, v0
	v_cmp_gt_i32_e32 vcc, s33, v34
                                        ; implicit-def: $vgpr34
	s_and_saveexec_b64 s[14:15], vcc
	s_cbranch_execz .LBB122_123
; %bb.119:
	s_and_b64 vcc, exec, s[2:3]
	s_cbranch_vccnz .LBB122_219
; %bb.120:
	v_cmp_neq_f64_e32 vcc, s[8:9], v[25:26]
	v_cmp_neq_f64_e64 s[4:5], s[10:11], v[27:28]
	s_or_b64 s[16:17], vcc, s[4:5]
	s_cbranch_execnz .LBB122_122
.LBB122_121:
	v_cmp_eq_f64_e32 vcc, s[8:9], v[25:26]
	v_cmp_eq_f64_e64 s[4:5], s[10:11], v[27:28]
	s_andn2_b64 s[16:17], s[16:17], exec
	s_and_b64 s[4:5], vcc, s[4:5]
	s_and_b64 s[4:5], s[4:5], exec
	s_or_b64 s[16:17], s[16:17], s[4:5]
.LBB122_122:
	v_cndmask_b32_e64 v34, 0, 1, s[16:17]
.LBB122_123:
	s_or_b64 exec, exec, s[14:15]
	v_or_b32_e32 v25, 0x800, v0
	v_cmp_gt_i32_e32 vcc, s33, v25
                                        ; implicit-def: $vgpr25
	s_and_saveexec_b64 s[14:15], vcc
	s_cbranch_execz .LBB122_128
; %bb.124:
	s_and_b64 vcc, exec, s[2:3]
	s_cbranch_vccnz .LBB122_220
; %bb.125:
	v_cmp_neq_f64_e32 vcc, s[8:9], v[37:38]
	v_cmp_neq_f64_e64 s[4:5], s[10:11], v[39:40]
	s_or_b64 s[16:17], vcc, s[4:5]
	s_cbranch_execnz .LBB122_127
.LBB122_126:
	v_cmp_eq_f64_e32 vcc, s[8:9], v[37:38]
	v_cmp_eq_f64_e64 s[4:5], s[10:11], v[39:40]
	s_andn2_b64 s[16:17], s[16:17], exec
	s_and_b64 s[4:5], vcc, s[4:5]
	s_and_b64 s[4:5], s[4:5], exec
	s_or_b64 s[16:17], s[16:17], s[4:5]
.LBB122_127:
	v_cndmask_b32_e64 v25, 0, 1, s[16:17]
.LBB122_128:
	s_or_b64 exec, exec, s[14:15]
	v_or_b32_e32 v26, 0x900, v0
	v_cmp_gt_i32_e32 vcc, s33, v26
                                        ; implicit-def: $vgpr26
	s_and_saveexec_b64 s[14:15], vcc
	s_cbranch_execz .LBB122_133
; %bb.129:
	s_and_b64 vcc, exec, s[2:3]
	s_cbranch_vccnz .LBB122_221
; %bb.130:
	v_cmp_neq_f64_e32 vcc, s[8:9], v[17:18]
	v_cmp_neq_f64_e64 s[4:5], s[10:11], v[19:20]
	s_or_b64 s[16:17], vcc, s[4:5]
	s_cbranch_execnz .LBB122_132
.LBB122_131:
	v_cmp_eq_f64_e32 vcc, s[8:9], v[17:18]
	v_cmp_eq_f64_e64 s[4:5], s[10:11], v[19:20]
	s_andn2_b64 s[16:17], s[16:17], exec
	s_and_b64 s[4:5], vcc, s[4:5]
	s_and_b64 s[4:5], s[4:5], exec
	s_or_b64 s[16:17], s[16:17], s[4:5]
.LBB122_132:
	v_cndmask_b32_e64 v26, 0, 1, s[16:17]
.LBB122_133:
	s_or_b64 exec, exec, s[14:15]
	v_or_b32_e32 v17, 0xa00, v0
	v_cmp_gt_i32_e32 vcc, s33, v17
                                        ; implicit-def: $vgpr17
	s_and_saveexec_b64 s[14:15], vcc
	s_cbranch_execz .LBB122_138
; %bb.134:
	s_and_b64 vcc, exec, s[2:3]
	s_cbranch_vccnz .LBB122_222
; %bb.135:
	v_cmp_neq_f64_e32 vcc, s[8:9], v[29:30]
	v_cmp_neq_f64_e64 s[4:5], s[10:11], v[31:32]
	s_or_b64 s[16:17], vcc, s[4:5]
	s_cbranch_execnz .LBB122_137
.LBB122_136:
	v_cmp_eq_f64_e32 vcc, s[8:9], v[29:30]
	v_cmp_eq_f64_e64 s[4:5], s[10:11], v[31:32]
	s_andn2_b64 s[16:17], s[16:17], exec
	s_and_b64 s[4:5], vcc, s[4:5]
	s_and_b64 s[4:5], s[4:5], exec
	s_or_b64 s[16:17], s[16:17], s[4:5]
.LBB122_137:
	v_cndmask_b32_e64 v17, 0, 1, s[16:17]
.LBB122_138:
	s_or_b64 exec, exec, s[14:15]
	v_or_b32_e32 v18, 0xb00, v0
	v_cmp_gt_i32_e32 vcc, s33, v18
                                        ; implicit-def: $vgpr18
	s_and_saveexec_b64 s[14:15], vcc
	s_cbranch_execz .LBB122_143
; %bb.139:
	s_and_b64 vcc, exec, s[2:3]
	s_cbranch_vccnz .LBB122_223
; %bb.140:
	v_cmp_neq_f64_e32 vcc, s[8:9], v[9:10]
	v_cmp_neq_f64_e64 s[4:5], s[10:11], v[11:12]
	s_or_b64 s[16:17], vcc, s[4:5]
	s_cbranch_execnz .LBB122_142
.LBB122_141:
	v_cmp_eq_f64_e32 vcc, s[8:9], v[9:10]
	v_cmp_eq_f64_e64 s[4:5], s[10:11], v[11:12]
	s_andn2_b64 s[16:17], s[16:17], exec
	s_and_b64 s[4:5], vcc, s[4:5]
	s_and_b64 s[4:5], s[4:5], exec
	s_or_b64 s[16:17], s[16:17], s[4:5]
.LBB122_142:
	v_cndmask_b32_e64 v18, 0, 1, s[16:17]
.LBB122_143:
	s_or_b64 exec, exec, s[14:15]
	v_or_b32_e32 v9, 0xc00, v0
	v_cmp_gt_i32_e32 vcc, s33, v9
                                        ; implicit-def: $vgpr9
	s_and_saveexec_b64 s[14:15], vcc
	s_cbranch_execz .LBB122_148
; %bb.144:
	s_and_b64 vcc, exec, s[2:3]
	s_cbranch_vccnz .LBB122_224
; %bb.145:
	v_cmp_neq_f64_e32 vcc, s[8:9], v[21:22]
	v_cmp_neq_f64_e64 s[4:5], s[10:11], v[23:24]
	s_or_b64 s[16:17], vcc, s[4:5]
	s_cbranch_execnz .LBB122_147
.LBB122_146:
	v_cmp_eq_f64_e32 vcc, s[8:9], v[21:22]
	v_cmp_eq_f64_e64 s[4:5], s[10:11], v[23:24]
	s_andn2_b64 s[16:17], s[16:17], exec
	s_and_b64 s[4:5], vcc, s[4:5]
	s_and_b64 s[4:5], s[4:5], exec
	s_or_b64 s[16:17], s[16:17], s[4:5]
.LBB122_147:
	v_cndmask_b32_e64 v9, 0, 1, s[16:17]
.LBB122_148:
	s_or_b64 exec, exec, s[14:15]
	v_or_b32_e32 v10, 0xd00, v0
	v_cmp_gt_i32_e32 vcc, s33, v10
                                        ; implicit-def: $vgpr10
	s_and_saveexec_b64 s[14:15], vcc
	s_cbranch_execz .LBB122_153
; %bb.149:
	s_and_b64 vcc, exec, s[2:3]
	s_cbranch_vccnz .LBB122_225
; %bb.150:
	v_cmp_neq_f64_e32 vcc, s[8:9], v[5:6]
	v_cmp_neq_f64_e64 s[4:5], s[10:11], v[7:8]
	s_or_b64 s[16:17], vcc, s[4:5]
	s_cbranch_execnz .LBB122_152
.LBB122_151:
	v_cmp_eq_f64_e32 vcc, s[8:9], v[5:6]
	v_cmp_eq_f64_e64 s[4:5], s[10:11], v[7:8]
	s_andn2_b64 s[16:17], s[16:17], exec
	s_and_b64 s[4:5], vcc, s[4:5]
	s_and_b64 s[4:5], s[4:5], exec
	s_or_b64 s[16:17], s[16:17], s[4:5]
.LBB122_152:
	v_cndmask_b32_e64 v10, 0, 1, s[16:17]
.LBB122_153:
	s_or_b64 exec, exec, s[14:15]
	v_or_b32_e32 v5, 0xe00, v0
	v_cmp_gt_i32_e32 vcc, s33, v5
                                        ; implicit-def: $vgpr5
	s_and_saveexec_b64 s[14:15], vcc
	s_cbranch_execz .LBB122_158
; %bb.154:
	s_and_b64 vcc, exec, s[2:3]
	s_cbranch_vccnz .LBB122_226
; %bb.155:
	v_cmp_neq_f64_e32 vcc, s[8:9], v[13:14]
	v_cmp_neq_f64_e64 s[4:5], s[10:11], v[15:16]
	s_or_b64 s[16:17], vcc, s[4:5]
	s_cbranch_execnz .LBB122_157
.LBB122_156:
	v_cmp_eq_f64_e32 vcc, s[8:9], v[13:14]
	v_cmp_eq_f64_e64 s[4:5], s[10:11], v[15:16]
	s_andn2_b64 s[16:17], s[16:17], exec
	s_and_b64 s[4:5], vcc, s[4:5]
	s_and_b64 s[4:5], s[4:5], exec
	s_or_b64 s[16:17], s[16:17], s[4:5]
.LBB122_157:
	v_cndmask_b32_e64 v5, 0, 1, s[16:17]
.LBB122_158:
	s_or_b64 exec, exec, s[14:15]
	v_or_b32_e32 v6, 0xf00, v0
	v_cmp_gt_i32_e32 vcc, s33, v6
                                        ; implicit-def: $vgpr6
	s_and_saveexec_b64 s[4:5], vcc
	s_cbranch_execz .LBB122_163
; %bb.159:
	s_and_b64 vcc, exec, s[2:3]
	s_cbranch_vccnz .LBB122_227
; %bb.160:
	v_cmp_neq_f64_e32 vcc, s[8:9], v[1:2]
	v_cmp_neq_f64_e64 s[2:3], s[10:11], v[3:4]
	s_or_b64 s[14:15], vcc, s[2:3]
	s_cbranch_execnz .LBB122_162
.LBB122_161:
	v_cmp_eq_f64_e32 vcc, s[8:9], v[1:2]
	v_cmp_eq_f64_e64 s[2:3], s[10:11], v[3:4]
	s_andn2_b64 s[8:9], s[14:15], exec
	s_and_b64 s[2:3], vcc, s[2:3]
	s_and_b64 s[2:3], s[2:3], exec
	s_or_b64 s[14:15], s[8:9], s[2:3]
.LBB122_162:
	v_cndmask_b32_e64 v6, 0, 1, s[14:15]
.LBB122_163:
	s_or_b64 exec, exec, s[4:5]
	s_and_saveexec_b64 s[2:3], s[0:1]
	s_xor_b64 s[0:1], exec, s[2:3]
	s_cbranch_execz .LBB122_165
; %bb.164:
	v_mov_b32_e32 v0, v61
	global_store_byte v65, v66, s[12:13]
.LBB122_165:
	s_or_b64 exec, exec, s[0:1]
	v_cmp_gt_i32_e32 vcc, s33, v0
	s_and_saveexec_b64 s[0:1], vcc
	s_cbranch_execnz .LBB122_181
; %bb.166:
	s_or_b64 exec, exec, s[0:1]
	v_cmp_gt_i32_e32 vcc, s33, v0
	s_and_saveexec_b64 s[0:1], vcc
	s_cbranch_execnz .LBB122_182
.LBB122_167:
	s_or_b64 exec, exec, s[0:1]
	v_cmp_gt_i32_e32 vcc, s33, v0
	s_and_saveexec_b64 s[0:1], vcc
	s_cbranch_execnz .LBB122_183
.LBB122_168:
	s_or_b64 exec, exec, s[0:1]
	v_cmp_gt_i32_e32 vcc, s33, v0
	s_and_saveexec_b64 s[0:1], vcc
	s_cbranch_execnz .LBB122_184
.LBB122_169:
	s_or_b64 exec, exec, s[0:1]
	v_cmp_gt_i32_e32 vcc, s33, v0
	s_and_saveexec_b64 s[0:1], vcc
	s_cbranch_execnz .LBB122_185
.LBB122_170:
	s_or_b64 exec, exec, s[0:1]
	v_cmp_gt_i32_e32 vcc, s33, v0
	s_and_saveexec_b64 s[0:1], vcc
	s_cbranch_execnz .LBB122_186
.LBB122_171:
	s_or_b64 exec, exec, s[0:1]
	v_cmp_gt_i32_e32 vcc, s33, v0
	s_and_saveexec_b64 s[0:1], vcc
	s_cbranch_execnz .LBB122_187
.LBB122_172:
	s_or_b64 exec, exec, s[0:1]
	v_cmp_gt_i32_e32 vcc, s33, v0
	s_and_saveexec_b64 s[0:1], vcc
	s_cbranch_execnz .LBB122_188
.LBB122_173:
	s_or_b64 exec, exec, s[0:1]
	v_cmp_gt_i32_e32 vcc, s33, v0
	s_and_saveexec_b64 s[0:1], vcc
	s_cbranch_execnz .LBB122_189
.LBB122_174:
	s_or_b64 exec, exec, s[0:1]
	v_cmp_gt_i32_e32 vcc, s33, v0
	s_and_saveexec_b64 s[0:1], vcc
	s_cbranch_execnz .LBB122_190
.LBB122_175:
	s_or_b64 exec, exec, s[0:1]
	v_cmp_gt_i32_e32 vcc, s33, v0
	s_and_saveexec_b64 s[0:1], vcc
	s_cbranch_execnz .LBB122_191
.LBB122_176:
	s_or_b64 exec, exec, s[0:1]
	v_cmp_gt_i32_e32 vcc, s33, v0
	s_and_saveexec_b64 s[0:1], vcc
	s_cbranch_execnz .LBB122_192
.LBB122_177:
	s_or_b64 exec, exec, s[0:1]
	v_cmp_gt_i32_e32 vcc, s33, v0
	s_and_saveexec_b64 s[0:1], vcc
	s_cbranch_execnz .LBB122_193
.LBB122_178:
	s_or_b64 exec, exec, s[0:1]
	v_cmp_gt_i32_e32 vcc, s33, v0
	s_and_saveexec_b64 s[0:1], vcc
	s_cbranch_execnz .LBB122_194
.LBB122_179:
	s_or_b64 exec, exec, s[0:1]
	v_cmp_gt_i32_e32 vcc, s33, v0
	s_and_saveexec_b64 s[0:1], vcc
	s_cbranch_execz .LBB122_195
.LBB122_180:
	v_add_u32_e32 v0, s6, v0
	global_store_byte v0, v6, s[12:13]
	s_endpgm
.LBB122_181:
	v_add_u32_e32 v1, s6, v0
	v_add_u32_e32 v0, 0x100, v0
	global_store_byte v1, v62, s[12:13]
	s_or_b64 exec, exec, s[0:1]
	v_cmp_gt_i32_e32 vcc, s33, v0
	s_and_saveexec_b64 s[0:1], vcc
	s_cbranch_execz .LBB122_167
.LBB122_182:
	v_add_u32_e32 v1, s6, v0
	v_add_u32_e32 v0, 0x100, v0
	global_store_byte v1, v49, s[12:13]
	s_or_b64 exec, exec, s[0:1]
	v_cmp_gt_i32_e32 vcc, s33, v0
	s_and_saveexec_b64 s[0:1], vcc
	s_cbranch_execz .LBB122_168
.LBB122_183:
	v_add_u32_e32 v1, s6, v0
	v_add_u32_e32 v0, 0x100, v0
	global_store_byte v1, v50, s[12:13]
	s_or_b64 exec, exec, s[0:1]
	v_cmp_gt_i32_e32 vcc, s33, v0
	s_and_saveexec_b64 s[0:1], vcc
	s_cbranch_execz .LBB122_169
.LBB122_184:
	v_add_u32_e32 v1, s6, v0
	v_add_u32_e32 v0, 0x100, v0
	global_store_byte v1, v41, s[12:13]
	s_or_b64 exec, exec, s[0:1]
	v_cmp_gt_i32_e32 vcc, s33, v0
	s_and_saveexec_b64 s[0:1], vcc
	s_cbranch_execz .LBB122_170
.LBB122_185:
	v_add_u32_e32 v1, s6, v0
	v_add_u32_e32 v0, 0x100, v0
	global_store_byte v1, v42, s[12:13]
	s_or_b64 exec, exec, s[0:1]
	v_cmp_gt_i32_e32 vcc, s33, v0
	s_and_saveexec_b64 s[0:1], vcc
	s_cbranch_execz .LBB122_171
.LBB122_186:
	v_add_u32_e32 v1, s6, v0
	v_add_u32_e32 v0, 0x100, v0
	global_store_byte v1, v33, s[12:13]
	s_or_b64 exec, exec, s[0:1]
	v_cmp_gt_i32_e32 vcc, s33, v0
	s_and_saveexec_b64 s[0:1], vcc
	s_cbranch_execz .LBB122_172
.LBB122_187:
	v_add_u32_e32 v1, s6, v0
	v_add_u32_e32 v0, 0x100, v0
	global_store_byte v1, v34, s[12:13]
	s_or_b64 exec, exec, s[0:1]
	v_cmp_gt_i32_e32 vcc, s33, v0
	s_and_saveexec_b64 s[0:1], vcc
	s_cbranch_execz .LBB122_173
.LBB122_188:
	v_add_u32_e32 v1, s6, v0
	v_add_u32_e32 v0, 0x100, v0
	global_store_byte v1, v25, s[12:13]
	s_or_b64 exec, exec, s[0:1]
	v_cmp_gt_i32_e32 vcc, s33, v0
	s_and_saveexec_b64 s[0:1], vcc
	s_cbranch_execz .LBB122_174
.LBB122_189:
	v_add_u32_e32 v1, s6, v0
	v_add_u32_e32 v0, 0x100, v0
	global_store_byte v1, v26, s[12:13]
	s_or_b64 exec, exec, s[0:1]
	v_cmp_gt_i32_e32 vcc, s33, v0
	s_and_saveexec_b64 s[0:1], vcc
	s_cbranch_execz .LBB122_175
.LBB122_190:
	v_add_u32_e32 v1, s6, v0
	v_add_u32_e32 v0, 0x100, v0
	global_store_byte v1, v17, s[12:13]
	s_or_b64 exec, exec, s[0:1]
	v_cmp_gt_i32_e32 vcc, s33, v0
	s_and_saveexec_b64 s[0:1], vcc
	s_cbranch_execz .LBB122_176
.LBB122_191:
	v_add_u32_e32 v1, s6, v0
	v_add_u32_e32 v0, 0x100, v0
	global_store_byte v1, v18, s[12:13]
	s_or_b64 exec, exec, s[0:1]
	v_cmp_gt_i32_e32 vcc, s33, v0
	s_and_saveexec_b64 s[0:1], vcc
	s_cbranch_execz .LBB122_177
.LBB122_192:
	v_add_u32_e32 v1, s6, v0
	v_add_u32_e32 v0, 0x100, v0
	global_store_byte v1, v9, s[12:13]
	s_or_b64 exec, exec, s[0:1]
	v_cmp_gt_i32_e32 vcc, s33, v0
	s_and_saveexec_b64 s[0:1], vcc
	s_cbranch_execz .LBB122_178
.LBB122_193:
	v_add_u32_e32 v1, s6, v0
	v_add_u32_e32 v0, 0x100, v0
	global_store_byte v1, v10, s[12:13]
	s_or_b64 exec, exec, s[0:1]
	v_cmp_gt_i32_e32 vcc, s33, v0
	s_and_saveexec_b64 s[0:1], vcc
	s_cbranch_execz .LBB122_179
.LBB122_194:
	v_add_u32_e32 v1, s6, v0
	v_add_u32_e32 v0, 0x100, v0
	global_store_byte v1, v5, s[12:13]
	s_or_b64 exec, exec, s[0:1]
	v_cmp_gt_i32_e32 vcc, s33, v0
	s_and_saveexec_b64 s[0:1], vcc
	s_cbranch_execnz .LBB122_180
.LBB122_195:
	s_endpgm
.LBB122_196:
                                        ; implicit-def: $sgpr4_sgpr5
	s_branch .LBB122_3
.LBB122_197:
                                        ; implicit-def: $sgpr16_sgpr17
	s_branch .LBB122_6
.LBB122_198:
                                        ; implicit-def: $sgpr18_sgpr19
	s_branch .LBB122_9
.LBB122_199:
                                        ; implicit-def: $sgpr20_sgpr21
	s_branch .LBB122_12
.LBB122_200:
                                        ; implicit-def: $sgpr22_sgpr23
	s_branch .LBB122_15
.LBB122_201:
                                        ; implicit-def: $sgpr24_sgpr25
	s_branch .LBB122_18
.LBB122_202:
                                        ; implicit-def: $sgpr26_sgpr27
	s_branch .LBB122_21
.LBB122_203:
                                        ; implicit-def: $sgpr28_sgpr29
	s_branch .LBB122_24
.LBB122_204:
                                        ; implicit-def: $sgpr30_sgpr31
	s_branch .LBB122_27
.LBB122_205:
                                        ; implicit-def: $sgpr34_sgpr35
	s_branch .LBB122_30
.LBB122_206:
                                        ; implicit-def: $sgpr36_sgpr37
	s_branch .LBB122_33
.LBB122_207:
                                        ; implicit-def: $sgpr38_sgpr39
	s_branch .LBB122_36
.LBB122_208:
                                        ; implicit-def: $sgpr40_sgpr41
	s_branch .LBB122_39
.LBB122_209:
                                        ; implicit-def: $sgpr42_sgpr43
	s_branch .LBB122_42
.LBB122_210:
                                        ; implicit-def: $sgpr44_sgpr45
	s_branch .LBB122_45
.LBB122_211:
                                        ; implicit-def: $sgpr2_sgpr3
	s_branch .LBB122_48
.LBB122_212:
                                        ; implicit-def: $sgpr16_sgpr17
	s_branch .LBB122_86
.LBB122_213:
                                        ; implicit-def: $sgpr16_sgpr17
	s_branch .LBB122_91
.LBB122_214:
                                        ; implicit-def: $sgpr16_sgpr17
	s_branch .LBB122_96
.LBB122_215:
                                        ; implicit-def: $sgpr16_sgpr17
	s_branch .LBB122_101
.LBB122_216:
                                        ; implicit-def: $sgpr16_sgpr17
	s_branch .LBB122_106
.LBB122_217:
                                        ; implicit-def: $sgpr16_sgpr17
	s_branch .LBB122_111
.LBB122_218:
                                        ; implicit-def: $sgpr16_sgpr17
	s_branch .LBB122_116
.LBB122_219:
                                        ; implicit-def: $sgpr16_sgpr17
	s_branch .LBB122_121
.LBB122_220:
                                        ; implicit-def: $sgpr16_sgpr17
	s_branch .LBB122_126
.LBB122_221:
                                        ; implicit-def: $sgpr16_sgpr17
	s_branch .LBB122_131
.LBB122_222:
                                        ; implicit-def: $sgpr16_sgpr17
	s_branch .LBB122_136
.LBB122_223:
                                        ; implicit-def: $sgpr16_sgpr17
	s_branch .LBB122_141
.LBB122_224:
                                        ; implicit-def: $sgpr16_sgpr17
	s_branch .LBB122_146
.LBB122_225:
                                        ; implicit-def: $sgpr16_sgpr17
	s_branch .LBB122_151
.LBB122_226:
                                        ; implicit-def: $sgpr16_sgpr17
	s_branch .LBB122_156
.LBB122_227:
                                        ; implicit-def: $sgpr14_sgpr15
	s_branch .LBB122_161
	.section	.rodata,"a",@progbits
	.p2align	6, 0x0
	.amdhsa_kernel _ZN2at6native29vectorized_elementwise_kernelILi4ENS0_13AUnaryFunctorIN3c107complexIdEES5_bNS0_12_GLOBAL__N_116CompareEqFunctorIS5_EEEESt5arrayIPcLm2EEEEviT0_T1_
		.amdhsa_group_segment_fixed_size 0
		.amdhsa_private_segment_fixed_size 0
		.amdhsa_kernarg_size 64
		.amdhsa_user_sgpr_count 6
		.amdhsa_user_sgpr_private_segment_buffer 1
		.amdhsa_user_sgpr_dispatch_ptr 0
		.amdhsa_user_sgpr_queue_ptr 0
		.amdhsa_user_sgpr_kernarg_segment_ptr 1
		.amdhsa_user_sgpr_dispatch_id 0
		.amdhsa_user_sgpr_flat_scratch_init 0
		.amdhsa_user_sgpr_private_segment_size 0
		.amdhsa_uses_dynamic_stack 0
		.amdhsa_system_sgpr_private_segment_wavefront_offset 0
		.amdhsa_system_sgpr_workgroup_id_x 1
		.amdhsa_system_sgpr_workgroup_id_y 0
		.amdhsa_system_sgpr_workgroup_id_z 0
		.amdhsa_system_sgpr_workgroup_info 0
		.amdhsa_system_vgpr_workitem_id 0
		.amdhsa_next_free_vgpr 69
		.amdhsa_next_free_sgpr 47
		.amdhsa_reserve_vcc 1
		.amdhsa_reserve_flat_scratch 0
		.amdhsa_float_round_mode_32 0
		.amdhsa_float_round_mode_16_64 0
		.amdhsa_float_denorm_mode_32 3
		.amdhsa_float_denorm_mode_16_64 3
		.amdhsa_dx10_clamp 1
		.amdhsa_ieee_mode 1
		.amdhsa_fp16_overflow 0
		.amdhsa_exception_fp_ieee_invalid_op 0
		.amdhsa_exception_fp_denorm_src 0
		.amdhsa_exception_fp_ieee_div_zero 0
		.amdhsa_exception_fp_ieee_overflow 0
		.amdhsa_exception_fp_ieee_underflow 0
		.amdhsa_exception_fp_ieee_inexact 0
		.amdhsa_exception_int_div_zero 0
	.end_amdhsa_kernel
	.section	.text._ZN2at6native29vectorized_elementwise_kernelILi4ENS0_13AUnaryFunctorIN3c107complexIdEES5_bNS0_12_GLOBAL__N_116CompareEqFunctorIS5_EEEESt5arrayIPcLm2EEEEviT0_T1_,"axG",@progbits,_ZN2at6native29vectorized_elementwise_kernelILi4ENS0_13AUnaryFunctorIN3c107complexIdEES5_bNS0_12_GLOBAL__N_116CompareEqFunctorIS5_EEEESt5arrayIPcLm2EEEEviT0_T1_,comdat
.Lfunc_end122:
	.size	_ZN2at6native29vectorized_elementwise_kernelILi4ENS0_13AUnaryFunctorIN3c107complexIdEES5_bNS0_12_GLOBAL__N_116CompareEqFunctorIS5_EEEESt5arrayIPcLm2EEEEviT0_T1_, .Lfunc_end122-_ZN2at6native29vectorized_elementwise_kernelILi4ENS0_13AUnaryFunctorIN3c107complexIdEES5_bNS0_12_GLOBAL__N_116CompareEqFunctorIS5_EEEESt5arrayIPcLm2EEEEviT0_T1_
                                        ; -- End function
	.set _ZN2at6native29vectorized_elementwise_kernelILi4ENS0_13AUnaryFunctorIN3c107complexIdEES5_bNS0_12_GLOBAL__N_116CompareEqFunctorIS5_EEEESt5arrayIPcLm2EEEEviT0_T1_.num_vgpr, 69
	.set _ZN2at6native29vectorized_elementwise_kernelILi4ENS0_13AUnaryFunctorIN3c107complexIdEES5_bNS0_12_GLOBAL__N_116CompareEqFunctorIS5_EEEESt5arrayIPcLm2EEEEviT0_T1_.num_agpr, 0
	.set _ZN2at6native29vectorized_elementwise_kernelILi4ENS0_13AUnaryFunctorIN3c107complexIdEES5_bNS0_12_GLOBAL__N_116CompareEqFunctorIS5_EEEESt5arrayIPcLm2EEEEviT0_T1_.numbered_sgpr, 47
	.set _ZN2at6native29vectorized_elementwise_kernelILi4ENS0_13AUnaryFunctorIN3c107complexIdEES5_bNS0_12_GLOBAL__N_116CompareEqFunctorIS5_EEEESt5arrayIPcLm2EEEEviT0_T1_.num_named_barrier, 0
	.set _ZN2at6native29vectorized_elementwise_kernelILi4ENS0_13AUnaryFunctorIN3c107complexIdEES5_bNS0_12_GLOBAL__N_116CompareEqFunctorIS5_EEEESt5arrayIPcLm2EEEEviT0_T1_.private_seg_size, 0
	.set _ZN2at6native29vectorized_elementwise_kernelILi4ENS0_13AUnaryFunctorIN3c107complexIdEES5_bNS0_12_GLOBAL__N_116CompareEqFunctorIS5_EEEESt5arrayIPcLm2EEEEviT0_T1_.uses_vcc, 1
	.set _ZN2at6native29vectorized_elementwise_kernelILi4ENS0_13AUnaryFunctorIN3c107complexIdEES5_bNS0_12_GLOBAL__N_116CompareEqFunctorIS5_EEEESt5arrayIPcLm2EEEEviT0_T1_.uses_flat_scratch, 0
	.set _ZN2at6native29vectorized_elementwise_kernelILi4ENS0_13AUnaryFunctorIN3c107complexIdEES5_bNS0_12_GLOBAL__N_116CompareEqFunctorIS5_EEEESt5arrayIPcLm2EEEEviT0_T1_.has_dyn_sized_stack, 0
	.set _ZN2at6native29vectorized_elementwise_kernelILi4ENS0_13AUnaryFunctorIN3c107complexIdEES5_bNS0_12_GLOBAL__N_116CompareEqFunctorIS5_EEEESt5arrayIPcLm2EEEEviT0_T1_.has_recursion, 0
	.set _ZN2at6native29vectorized_elementwise_kernelILi4ENS0_13AUnaryFunctorIN3c107complexIdEES5_bNS0_12_GLOBAL__N_116CompareEqFunctorIS5_EEEESt5arrayIPcLm2EEEEviT0_T1_.has_indirect_call, 0
	.section	.AMDGPU.csdata,"",@progbits
; Kernel info:
; codeLenInByte = 5128
; TotalNumSgprs: 51
; NumVgprs: 69
; ScratchSize: 0
; MemoryBound: 1
; FloatMode: 240
; IeeeMode: 1
; LDSByteSize: 0 bytes/workgroup (compile time only)
; SGPRBlocks: 6
; VGPRBlocks: 17
; NumSGPRsForWavesPerEU: 51
; NumVGPRsForWavesPerEU: 69
; Occupancy: 3
; WaveLimiterHint : 1
; COMPUTE_PGM_RSRC2:SCRATCH_EN: 0
; COMPUTE_PGM_RSRC2:USER_SGPR: 6
; COMPUTE_PGM_RSRC2:TRAP_HANDLER: 0
; COMPUTE_PGM_RSRC2:TGID_X_EN: 1
; COMPUTE_PGM_RSRC2:TGID_Y_EN: 0
; COMPUTE_PGM_RSRC2:TGID_Z_EN: 0
; COMPUTE_PGM_RSRC2:TIDIG_COMP_CNT: 0
	.section	.text._ZN2at6native29vectorized_elementwise_kernelILi2ENS0_13AUnaryFunctorIN3c107complexIdEES5_bNS0_12_GLOBAL__N_116CompareEqFunctorIS5_EEEESt5arrayIPcLm2EEEEviT0_T1_,"axG",@progbits,_ZN2at6native29vectorized_elementwise_kernelILi2ENS0_13AUnaryFunctorIN3c107complexIdEES5_bNS0_12_GLOBAL__N_116CompareEqFunctorIS5_EEEESt5arrayIPcLm2EEEEviT0_T1_,comdat
	.globl	_ZN2at6native29vectorized_elementwise_kernelILi2ENS0_13AUnaryFunctorIN3c107complexIdEES5_bNS0_12_GLOBAL__N_116CompareEqFunctorIS5_EEEESt5arrayIPcLm2EEEEviT0_T1_ ; -- Begin function _ZN2at6native29vectorized_elementwise_kernelILi2ENS0_13AUnaryFunctorIN3c107complexIdEES5_bNS0_12_GLOBAL__N_116CompareEqFunctorIS5_EEEESt5arrayIPcLm2EEEEviT0_T1_
	.p2align	8
	.type	_ZN2at6native29vectorized_elementwise_kernelILi2ENS0_13AUnaryFunctorIN3c107complexIdEES5_bNS0_12_GLOBAL__N_116CompareEqFunctorIS5_EEEESt5arrayIPcLm2EEEEviT0_T1_,@function
_ZN2at6native29vectorized_elementwise_kernelILi2ENS0_13AUnaryFunctorIN3c107complexIdEES5_bNS0_12_GLOBAL__N_116CompareEqFunctorIS5_EEEESt5arrayIPcLm2EEEEviT0_T1_: ; @_ZN2at6native29vectorized_elementwise_kernelILi2ENS0_13AUnaryFunctorIN3c107complexIdEES5_bNS0_12_GLOBAL__N_116CompareEqFunctorIS5_EEEESt5arrayIPcLm2EEEEviT0_T1_
; %bb.0:
	s_load_dword s0, s[4:5], 0x0
	s_load_dword s46, s[4:5], 0x10
	s_load_dwordx8 s[8:15], s[4:5], 0x20
	s_lshl_b32 s6, s6, 12
	s_waitcnt lgkmcnt(0)
	s_sub_i32 s33, s0, s6
	s_cmpk_gt_i32 s33, 0xfff
	s_mov_b64 s[0:1], -1
	s_cbranch_scc0 .LBB123_50
; %bb.1:
	s_ashr_i32 s7, s6, 31
	s_lshl_b64 s[0:1], s[6:7], 4
	s_add_u32 s0, s14, s0
	s_addc_u32 s1, s15, s1
	v_lshlrev_b32_e32 v1, 5, v0
	v_mov_b32_e32 v2, s1
	v_add_co_u32_e32 v3, vcc, s0, v1
	v_addc_co_u32_e32 v4, vcc, 0, v2, vcc
	global_load_dwordx4 v[57:60], v1, s[0:1] offset:16
	global_load_dwordx4 v[61:64], v1, s[0:1]
	s_movk_i32 s0, 0x2000
	v_add_co_u32_e32 v1, vcc, s0, v3
	v_addc_co_u32_e32 v2, vcc, 0, v4, vcc
	s_movk_i32 s0, 0x4000
	global_load_dwordx4 v[53:56], v[1:2], off
	global_load_dwordx4 v[49:52], v[1:2], off offset:16
	v_add_co_u32_e32 v1, vcc, s0, v3
	v_addc_co_u32_e32 v2, vcc, 0, v4, vcc
	s_movk_i32 s0, 0x6000
	global_load_dwordx4 v[45:48], v[1:2], off
	global_load_dwordx4 v[41:44], v[1:2], off offset:16
	v_add_co_u32_e32 v1, vcc, s0, v3
	v_addc_co_u32_e32 v2, vcc, 0, v4, vcc
	s_mov_b32 s0, 0x8000
	global_load_dwordx4 v[37:40], v[1:2], off
	global_load_dwordx4 v[33:36], v[1:2], off offset:16
	v_add_co_u32_e32 v1, vcc, s0, v3
	v_addc_co_u32_e32 v2, vcc, 0, v4, vcc
	s_mov_b32 s0, 0xa000
	;; [unrolled: 5-line block ×3, first 2 shown]
	global_load_dwordx4 v[21:24], v[1:2], off
	global_load_dwordx4 v[17:20], v[1:2], off offset:16
	v_add_co_u32_e32 v1, vcc, s0, v3
	v_addc_co_u32_e32 v2, vcc, 0, v4, vcc
	v_add_co_u32_e32 v65, vcc, 0xe000, v3
	v_addc_co_u32_e64 v66, s[0:1], 0, v4, vcc
	v_addc_co_u32_e32 v68, vcc, 0, v4, vcc
	v_mov_b32_e32 v67, v65
	global_load_dwordx4 v[13:16], v[1:2], off
	global_load_dwordx4 v[9:12], v[1:2], off offset:16
	global_load_dwordx4 v[5:8], v[67:68], off
	s_nop 0
	global_load_dwordx4 v[1:4], v[65:66], off offset:16
	s_cmp_lg_u32 s46, 0
	s_cselect_b64 s[2:3], -1, 0
	s_and_b64 vcc, exec, s[2:3]
	s_cbranch_vccz .LBB123_196
; %bb.2:
	s_waitcnt vmcnt(14)
	v_cmp_neq_f64_e32 vcc, s[8:9], v[61:62]
	v_cmp_neq_f64_e64 s[0:1], s[10:11], v[63:64]
	s_or_b64 s[4:5], vcc, s[0:1]
	s_cbranch_execnz .LBB123_4
.LBB123_3:
	s_waitcnt vmcnt(14)
	v_cmp_eq_f64_e32 vcc, s[8:9], v[61:62]
	v_cmp_eq_f64_e64 s[0:1], s[10:11], v[63:64]
	s_andn2_b64 s[4:5], s[4:5], exec
	s_and_b64 s[0:1], vcc, s[0:1]
	s_and_b64 s[0:1], s[0:1], exec
	s_or_b64 s[4:5], s[4:5], s[0:1]
.LBB123_4:
	s_waitcnt vmcnt(14)
	v_cndmask_b32_e64 v61, 0, 1, s[2:3]
	v_cmp_ne_u32_e64 s[0:1], 1, v61
	s_andn2_b64 vcc, exec, s[2:3]
	s_cbranch_vccnz .LBB123_197
; %bb.5:
	v_cmp_neq_f64_e32 vcc, s[8:9], v[57:58]
	v_cmp_neq_f64_e64 s[2:3], s[10:11], v[59:60]
	s_or_b64 s[16:17], vcc, s[2:3]
	s_cbranch_execnz .LBB123_7
.LBB123_6:
	v_cmp_eq_f64_e32 vcc, s[8:9], v[57:58]
	v_cmp_eq_f64_e64 s[2:3], s[10:11], v[59:60]
	s_andn2_b64 s[16:17], s[16:17], exec
	s_and_b64 s[2:3], vcc, s[2:3]
	s_and_b64 s[2:3], s[2:3], exec
	s_or_b64 s[16:17], s[16:17], s[2:3]
.LBB123_7:
	s_and_b64 vcc, exec, s[0:1]
	s_cbranch_vccnz .LBB123_198
; %bb.8:
	s_waitcnt vmcnt(13)
	v_cmp_neq_f64_e32 vcc, s[8:9], v[53:54]
	v_cmp_neq_f64_e64 s[2:3], s[10:11], v[55:56]
	s_or_b64 s[18:19], vcc, s[2:3]
	s_cbranch_execnz .LBB123_10
.LBB123_9:
	s_waitcnt vmcnt(13)
	v_cmp_eq_f64_e32 vcc, s[8:9], v[53:54]
	v_cmp_eq_f64_e64 s[2:3], s[10:11], v[55:56]
	s_andn2_b64 s[18:19], s[18:19], exec
	s_and_b64 s[2:3], vcc, s[2:3]
	s_and_b64 s[2:3], s[2:3], exec
	s_or_b64 s[18:19], s[18:19], s[2:3]
.LBB123_10:
	s_and_b64 vcc, exec, s[0:1]
	s_cbranch_vccnz .LBB123_199
; %bb.11:
	s_waitcnt vmcnt(12)
	v_cmp_neq_f64_e32 vcc, s[8:9], v[49:50]
	v_cmp_neq_f64_e64 s[2:3], s[10:11], v[51:52]
	s_or_b64 s[20:21], vcc, s[2:3]
	s_cbranch_execnz .LBB123_13
.LBB123_12:
	s_waitcnt vmcnt(12)
	v_cmp_eq_f64_e32 vcc, s[8:9], v[49:50]
	v_cmp_eq_f64_e64 s[2:3], s[10:11], v[51:52]
	s_andn2_b64 s[20:21], s[20:21], exec
	s_and_b64 s[2:3], vcc, s[2:3]
	s_and_b64 s[2:3], s[2:3], exec
	s_or_b64 s[20:21], s[20:21], s[2:3]
.LBB123_13:
	s_and_b64 vcc, exec, s[0:1]
	s_cbranch_vccnz .LBB123_200
; %bb.14:
	s_waitcnt vmcnt(11)
	v_cmp_neq_f64_e32 vcc, s[8:9], v[45:46]
	v_cmp_neq_f64_e64 s[2:3], s[10:11], v[47:48]
	s_or_b64 s[22:23], vcc, s[2:3]
	s_cbranch_execnz .LBB123_16
.LBB123_15:
	s_waitcnt vmcnt(11)
	v_cmp_eq_f64_e32 vcc, s[8:9], v[45:46]
	v_cmp_eq_f64_e64 s[2:3], s[10:11], v[47:48]
	s_andn2_b64 s[22:23], s[22:23], exec
	s_and_b64 s[2:3], vcc, s[2:3]
	s_and_b64 s[2:3], s[2:3], exec
	s_or_b64 s[22:23], s[22:23], s[2:3]
.LBB123_16:
	s_and_b64 vcc, exec, s[0:1]
	s_cbranch_vccnz .LBB123_201
; %bb.17:
	s_waitcnt vmcnt(10)
	v_cmp_neq_f64_e32 vcc, s[8:9], v[41:42]
	v_cmp_neq_f64_e64 s[2:3], s[10:11], v[43:44]
	s_or_b64 s[24:25], vcc, s[2:3]
	s_cbranch_execnz .LBB123_19
.LBB123_18:
	s_waitcnt vmcnt(10)
	v_cmp_eq_f64_e32 vcc, s[8:9], v[41:42]
	v_cmp_eq_f64_e64 s[2:3], s[10:11], v[43:44]
	s_andn2_b64 s[24:25], s[24:25], exec
	s_and_b64 s[2:3], vcc, s[2:3]
	s_and_b64 s[2:3], s[2:3], exec
	s_or_b64 s[24:25], s[24:25], s[2:3]
.LBB123_19:
	s_and_b64 vcc, exec, s[0:1]
	s_cbranch_vccnz .LBB123_202
; %bb.20:
	s_waitcnt vmcnt(9)
	v_cmp_neq_f64_e32 vcc, s[8:9], v[37:38]
	v_cmp_neq_f64_e64 s[2:3], s[10:11], v[39:40]
	s_or_b64 s[26:27], vcc, s[2:3]
	s_cbranch_execnz .LBB123_22
.LBB123_21:
	s_waitcnt vmcnt(9)
	v_cmp_eq_f64_e32 vcc, s[8:9], v[37:38]
	v_cmp_eq_f64_e64 s[2:3], s[10:11], v[39:40]
	s_andn2_b64 s[26:27], s[26:27], exec
	s_and_b64 s[2:3], vcc, s[2:3]
	s_and_b64 s[2:3], s[2:3], exec
	s_or_b64 s[26:27], s[26:27], s[2:3]
.LBB123_22:
	s_and_b64 vcc, exec, s[0:1]
	s_cbranch_vccnz .LBB123_203
; %bb.23:
	s_waitcnt vmcnt(8)
	v_cmp_neq_f64_e32 vcc, s[8:9], v[33:34]
	v_cmp_neq_f64_e64 s[2:3], s[10:11], v[35:36]
	s_or_b64 s[28:29], vcc, s[2:3]
	s_cbranch_execnz .LBB123_25
.LBB123_24:
	s_waitcnt vmcnt(8)
	v_cmp_eq_f64_e32 vcc, s[8:9], v[33:34]
	v_cmp_eq_f64_e64 s[2:3], s[10:11], v[35:36]
	s_andn2_b64 s[28:29], s[28:29], exec
	s_and_b64 s[2:3], vcc, s[2:3]
	s_and_b64 s[2:3], s[2:3], exec
	s_or_b64 s[28:29], s[28:29], s[2:3]
.LBB123_25:
	s_and_b64 vcc, exec, s[0:1]
	s_cbranch_vccnz .LBB123_204
; %bb.26:
	s_waitcnt vmcnt(7)
	v_cmp_neq_f64_e32 vcc, s[8:9], v[29:30]
	v_cmp_neq_f64_e64 s[2:3], s[10:11], v[31:32]
	s_or_b64 s[30:31], vcc, s[2:3]
	s_cbranch_execnz .LBB123_28
.LBB123_27:
	s_waitcnt vmcnt(7)
	v_cmp_eq_f64_e32 vcc, s[8:9], v[29:30]
	v_cmp_eq_f64_e64 s[2:3], s[10:11], v[31:32]
	s_andn2_b64 s[30:31], s[30:31], exec
	s_and_b64 s[2:3], vcc, s[2:3]
	s_and_b64 s[2:3], s[2:3], exec
	s_or_b64 s[30:31], s[30:31], s[2:3]
.LBB123_28:
	s_and_b64 vcc, exec, s[0:1]
	s_cbranch_vccnz .LBB123_205
; %bb.29:
	s_waitcnt vmcnt(6)
	v_cmp_neq_f64_e32 vcc, s[8:9], v[25:26]
	v_cmp_neq_f64_e64 s[2:3], s[10:11], v[27:28]
	s_or_b64 s[34:35], vcc, s[2:3]
	s_cbranch_execnz .LBB123_31
.LBB123_30:
	s_waitcnt vmcnt(6)
	v_cmp_eq_f64_e32 vcc, s[8:9], v[25:26]
	v_cmp_eq_f64_e64 s[2:3], s[10:11], v[27:28]
	s_andn2_b64 s[34:35], s[34:35], exec
	s_and_b64 s[2:3], vcc, s[2:3]
	s_and_b64 s[2:3], s[2:3], exec
	s_or_b64 s[34:35], s[34:35], s[2:3]
.LBB123_31:
	s_and_b64 vcc, exec, s[0:1]
	s_cbranch_vccnz .LBB123_206
; %bb.32:
	s_waitcnt vmcnt(5)
	v_cmp_neq_f64_e32 vcc, s[8:9], v[21:22]
	v_cmp_neq_f64_e64 s[2:3], s[10:11], v[23:24]
	s_or_b64 s[36:37], vcc, s[2:3]
	s_cbranch_execnz .LBB123_34
.LBB123_33:
	s_waitcnt vmcnt(5)
	v_cmp_eq_f64_e32 vcc, s[8:9], v[21:22]
	v_cmp_eq_f64_e64 s[2:3], s[10:11], v[23:24]
	s_andn2_b64 s[36:37], s[36:37], exec
	s_and_b64 s[2:3], vcc, s[2:3]
	s_and_b64 s[2:3], s[2:3], exec
	s_or_b64 s[36:37], s[36:37], s[2:3]
.LBB123_34:
	s_and_b64 vcc, exec, s[0:1]
	s_cbranch_vccnz .LBB123_207
; %bb.35:
	s_waitcnt vmcnt(4)
	v_cmp_neq_f64_e32 vcc, s[8:9], v[17:18]
	v_cmp_neq_f64_e64 s[2:3], s[10:11], v[19:20]
	s_or_b64 s[38:39], vcc, s[2:3]
	s_cbranch_execnz .LBB123_37
.LBB123_36:
	s_waitcnt vmcnt(4)
	v_cmp_eq_f64_e32 vcc, s[8:9], v[17:18]
	v_cmp_eq_f64_e64 s[2:3], s[10:11], v[19:20]
	s_andn2_b64 s[38:39], s[38:39], exec
	s_and_b64 s[2:3], vcc, s[2:3]
	s_and_b64 s[2:3], s[2:3], exec
	s_or_b64 s[38:39], s[38:39], s[2:3]
.LBB123_37:
	s_and_b64 vcc, exec, s[0:1]
	s_cbranch_vccnz .LBB123_208
; %bb.38:
	s_waitcnt vmcnt(3)
	v_cmp_neq_f64_e32 vcc, s[8:9], v[13:14]
	v_cmp_neq_f64_e64 s[2:3], s[10:11], v[15:16]
	s_or_b64 s[40:41], vcc, s[2:3]
	s_cbranch_execnz .LBB123_40
.LBB123_39:
	s_waitcnt vmcnt(3)
	v_cmp_eq_f64_e32 vcc, s[8:9], v[13:14]
	v_cmp_eq_f64_e64 s[2:3], s[10:11], v[15:16]
	s_andn2_b64 s[40:41], s[40:41], exec
	s_and_b64 s[2:3], vcc, s[2:3]
	s_and_b64 s[2:3], s[2:3], exec
	s_or_b64 s[40:41], s[40:41], s[2:3]
.LBB123_40:
	s_and_b64 vcc, exec, s[0:1]
	s_cbranch_vccnz .LBB123_209
; %bb.41:
	s_waitcnt vmcnt(2)
	v_cmp_neq_f64_e32 vcc, s[8:9], v[9:10]
	v_cmp_neq_f64_e64 s[2:3], s[10:11], v[11:12]
	s_or_b64 s[42:43], vcc, s[2:3]
	s_cbranch_execnz .LBB123_43
.LBB123_42:
	s_waitcnt vmcnt(2)
	v_cmp_eq_f64_e32 vcc, s[8:9], v[9:10]
	v_cmp_eq_f64_e64 s[2:3], s[10:11], v[11:12]
	s_andn2_b64 s[42:43], s[42:43], exec
	s_and_b64 s[2:3], vcc, s[2:3]
	s_and_b64 s[2:3], s[2:3], exec
	s_or_b64 s[42:43], s[42:43], s[2:3]
.LBB123_43:
	s_and_b64 vcc, exec, s[0:1]
	s_cbranch_vccnz .LBB123_210
; %bb.44:
	s_waitcnt vmcnt(1)
	v_cmp_neq_f64_e32 vcc, s[8:9], v[5:6]
	v_cmp_neq_f64_e64 s[2:3], s[10:11], v[7:8]
	s_or_b64 s[44:45], vcc, s[2:3]
	s_cbranch_execnz .LBB123_46
.LBB123_45:
	s_waitcnt vmcnt(1)
	v_cmp_eq_f64_e32 vcc, s[8:9], v[5:6]
	v_cmp_eq_f64_e64 s[2:3], s[10:11], v[7:8]
	s_andn2_b64 s[44:45], s[44:45], exec
	s_and_b64 s[2:3], vcc, s[2:3]
	s_and_b64 s[2:3], s[2:3], exec
	s_or_b64 s[44:45], s[44:45], s[2:3]
.LBB123_46:
	s_and_b64 vcc, exec, s[0:1]
	s_cbranch_vccnz .LBB123_211
; %bb.47:
	s_waitcnt vmcnt(0)
	v_cmp_neq_f64_e32 vcc, s[8:9], v[1:2]
	v_cmp_neq_f64_e64 s[0:1], s[10:11], v[3:4]
	s_or_b64 s[2:3], vcc, s[0:1]
	s_cbranch_execnz .LBB123_49
.LBB123_48:
	s_waitcnt vmcnt(0)
	v_cmp_eq_f64_e32 vcc, s[8:9], v[1:2]
	v_cmp_eq_f64_e64 s[0:1], s[10:11], v[3:4]
	s_andn2_b64 s[2:3], s[2:3], exec
	s_and_b64 s[0:1], vcc, s[0:1]
	s_and_b64 s[0:1], s[0:1], exec
	s_or_b64 s[2:3], s[2:3], s[0:1]
.LBB123_49:
	s_waitcnt vmcnt(0)
	v_mov_b32_e32 v3, 0x100
	v_cndmask_b32_e64 v2, 0, 1, s[40:41]
	v_cndmask_b32_e64 v4, 0, v3, s[42:43]
	v_or_b32_e32 v2, v4, v2
	v_cndmask_b32_e64 v4, 0, 1, s[36:37]
	v_cndmask_b32_e64 v5, 0, v3, s[38:39]
	v_or_b32_e32 v4, v5, v4
	;; [unrolled: 3-line block ×5, first 2 shown]
	v_cndmask_b32_e64 v8, 0, 1, s[18:19]
	v_cndmask_b32_e64 v9, 0, v3, s[20:21]
	;; [unrolled: 1-line block ×3, first 2 shown]
	v_or_b32_e32 v8, v9, v8
	v_cndmask_b32_e64 v9, 0, 1, s[4:5]
	v_cndmask_b32_e64 v10, 0, v3, s[16:17]
	;; [unrolled: 1-line block ×3, first 2 shown]
	s_add_u32 s0, s12, s6
	v_or_b32_e32 v9, v10, v9
	v_or_b32_e32 v1, v3, v1
	s_addc_u32 s1, s13, s7
	v_lshlrev_b32_e32 v3, 1, v0
	global_store_short v3, v9, s[0:1]
	global_store_short v3, v8, s[0:1] offset:512
	global_store_short v3, v7, s[0:1] offset:1024
	;; [unrolled: 1-line block ×7, first 2 shown]
	s_mov_b64 s[0:1], 0
.LBB123_50:
	s_and_b64 vcc, exec, s[0:1]
	s_cbranch_vccz .LBB123_195
; %bb.51:
	v_mov_b32_e32 v49, 0
	v_mov_b32_e32 v61, 0
	;; [unrolled: 1-line block ×3, first 2 shown]
	v_cmp_gt_i32_e64 s[0:1], s33, v0
	v_mov_b32_e32 v50, 0
	v_or_b32_e32 v65, s6, v0
	v_mov_b32_e32 v62, 0
	v_mov_b32_e32 v64, 0
	;; [unrolled: 1-line block ×3, first 2 shown]
	s_and_saveexec_b64 s[2:3], s[0:1]
	s_cbranch_execz .LBB123_53
; %bb.52:
	v_mov_b32_e32 v66, 0
	v_lshlrev_b64 v[1:2], 4, v[65:66]
	v_mov_b32_e32 v3, s15
	v_add_co_u32_e32 v1, vcc, s14, v1
	v_addc_co_u32_e32 v2, vcc, v3, v2, vcc
	global_load_dwordx4 v[61:64], v[1:2], off
	v_or_b32_e32 v66, 0x100, v0
.LBB123_53:
	s_or_b64 exec, exec, s[2:3]
	v_mov_b32_e32 v51, 0
	v_mov_b32_e32 v52, 0
	v_cmp_gt_i32_e32 vcc, s33, v66
	s_and_saveexec_b64 s[2:3], vcc
	s_cbranch_execz .LBB123_55
; %bb.54:
	v_add_u32_e32 v1, s6, v66
	v_mov_b32_e32 v2, 0
	v_lshlrev_b64 v[1:2], 4, v[1:2]
	v_mov_b32_e32 v3, s15
	v_add_co_u32_e32 v1, vcc, s14, v1
	v_addc_co_u32_e32 v2, vcc, v3, v2, vcc
	global_load_dwordx4 v[49:52], v[1:2], off
	v_add_u32_e32 v66, 0x100, v66
.LBB123_55:
	s_or_b64 exec, exec, s[2:3]
	v_mov_b32_e32 v41, 0
	v_mov_b32_e32 v57, 0
	v_mov_b32_e32 v59, 0
	v_mov_b32_e32 v42, 0
	v_mov_b32_e32 v58, 0
	v_mov_b32_e32 v60, 0
	v_cmp_gt_i32_e32 vcc, s33, v66
	s_and_saveexec_b64 s[2:3], vcc
	s_cbranch_execz .LBB123_57
; %bb.56:
	v_add_u32_e32 v1, s6, v66
	v_mov_b32_e32 v2, 0
	v_lshlrev_b64 v[1:2], 4, v[1:2]
	v_mov_b32_e32 v3, s15
	v_add_co_u32_e32 v1, vcc, s14, v1
	v_addc_co_u32_e32 v2, vcc, v3, v2, vcc
	global_load_dwordx4 v[57:60], v[1:2], off
	v_add_u32_e32 v66, 0x100, v66
.LBB123_57:
	s_or_b64 exec, exec, s[2:3]
	v_mov_b32_e32 v43, 0
	v_mov_b32_e32 v44, 0
	v_cmp_gt_i32_e32 vcc, s33, v66
	s_and_saveexec_b64 s[2:3], vcc
	s_cbranch_execz .LBB123_59
; %bb.58:
	v_add_u32_e32 v1, s6, v66
	v_mov_b32_e32 v2, 0
	v_lshlrev_b64 v[1:2], 4, v[1:2]
	v_mov_b32_e32 v3, s15
	v_add_co_u32_e32 v1, vcc, s14, v1
	v_addc_co_u32_e32 v2, vcc, v3, v2, vcc
	global_load_dwordx4 v[41:44], v[1:2], off
	v_add_u32_e32 v66, 0x100, v66
.LBB123_59:
	s_or_b64 exec, exec, s[2:3]
	v_mov_b32_e32 v33, 0
	v_mov_b32_e32 v53, 0
	v_mov_b32_e32 v55, 0
	v_mov_b32_e32 v34, 0
	v_mov_b32_e32 v54, 0
	v_mov_b32_e32 v56, 0
	v_cmp_gt_i32_e32 vcc, s33, v66
	s_and_saveexec_b64 s[2:3], vcc
	s_cbranch_execz .LBB123_61
; %bb.60:
	v_add_u32_e32 v1, s6, v66
	v_mov_b32_e32 v2, 0
	v_lshlrev_b64 v[1:2], 4, v[1:2]
	v_mov_b32_e32 v3, s15
	v_add_co_u32_e32 v1, vcc, s14, v1
	v_addc_co_u32_e32 v2, vcc, v3, v2, vcc
	global_load_dwordx4 v[53:56], v[1:2], off
	v_add_u32_e32 v66, 0x100, v66
.LBB123_61:
	;; [unrolled: 36-line block ×7, first 2 shown]
	s_or_b64 exec, exec, s[2:3]
	v_mov_b32_e32 v3, 0
	v_mov_b32_e32 v4, 0
	v_cmp_gt_i32_e32 vcc, s33, v66
	s_and_saveexec_b64 s[2:3], vcc
	s_cbranch_execz .LBB123_83
; %bb.82:
	v_add_u32_e32 v1, s6, v66
	v_mov_b32_e32 v2, 0
	v_lshlrev_b64 v[1:2], 4, v[1:2]
	v_mov_b32_e32 v3, s15
	v_add_co_u32_e32 v1, vcc, s14, v1
	v_addc_co_u32_e32 v2, vcc, v3, v2, vcc
	global_load_dwordx4 v[1:4], v[1:2], off
.LBB123_83:
	s_or_b64 exec, exec, s[2:3]
	s_cmp_lg_u32 s46, 0
	s_cselect_b64 s[4:5], -1, 0
                                        ; implicit-def: $vgpr66
	s_and_saveexec_b64 s[14:15], s[0:1]
	s_cbranch_execz .LBB123_88
; %bb.84:
	s_and_b64 vcc, exec, s[4:5]
	s_cbranch_vccz .LBB123_212
; %bb.85:
	s_waitcnt vmcnt(0)
	v_cmp_neq_f64_e32 vcc, s[8:9], v[61:62]
	v_cmp_neq_f64_e64 s[2:3], s[10:11], v[63:64]
	s_or_b64 s[16:17], vcc, s[2:3]
	s_cbranch_execnz .LBB123_87
.LBB123_86:
	s_waitcnt vmcnt(0)
	v_cmp_eq_f64_e32 vcc, s[8:9], v[61:62]
	v_cmp_eq_f64_e64 s[2:3], s[10:11], v[63:64]
	s_andn2_b64 s[16:17], s[16:17], exec
	s_and_b64 s[2:3], vcc, s[2:3]
	s_and_b64 s[2:3], s[2:3], exec
	s_or_b64 s[16:17], s[16:17], s[2:3]
.LBB123_87:
	v_cndmask_b32_e64 v66, 0, 1, s[16:17]
.LBB123_88:
	s_or_b64 exec, exec, s[14:15]
	s_waitcnt vmcnt(0)
	v_or_b32_e32 v61, 0x100, v0
	v_cndmask_b32_e64 v62, 0, 1, s[4:5]
	v_cmp_gt_i32_e32 vcc, s33, v61
	v_cmp_ne_u32_e64 s[2:3], 1, v62
                                        ; implicit-def: $vgpr62
	s_and_saveexec_b64 s[14:15], vcc
	s_cbranch_execz .LBB123_93
; %bb.89:
	s_and_b64 vcc, exec, s[2:3]
	s_cbranch_vccnz .LBB123_213
; %bb.90:
	v_cmp_neq_f64_e32 vcc, s[8:9], v[49:50]
	v_cmp_neq_f64_e64 s[4:5], s[10:11], v[51:52]
	s_or_b64 s[16:17], vcc, s[4:5]
	s_cbranch_execnz .LBB123_92
.LBB123_91:
	v_cmp_eq_f64_e32 vcc, s[8:9], v[49:50]
	v_cmp_eq_f64_e64 s[4:5], s[10:11], v[51:52]
	s_andn2_b64 s[16:17], s[16:17], exec
	s_and_b64 s[4:5], vcc, s[4:5]
	s_and_b64 s[4:5], s[4:5], exec
	s_or_b64 s[16:17], s[16:17], s[4:5]
.LBB123_92:
	v_cndmask_b32_e64 v62, 0, 1, s[16:17]
.LBB123_93:
	s_or_b64 exec, exec, s[14:15]
	v_or_b32_e32 v49, 0x200, v0
	v_cmp_gt_i32_e32 vcc, s33, v49
                                        ; implicit-def: $vgpr49
	s_and_saveexec_b64 s[14:15], vcc
	s_cbranch_execz .LBB123_98
; %bb.94:
	s_and_b64 vcc, exec, s[2:3]
	s_cbranch_vccnz .LBB123_214
; %bb.95:
	v_cmp_neq_f64_e32 vcc, s[8:9], v[57:58]
	v_cmp_neq_f64_e64 s[4:5], s[10:11], v[59:60]
	s_or_b64 s[16:17], vcc, s[4:5]
	s_cbranch_execnz .LBB123_97
.LBB123_96:
	v_cmp_eq_f64_e32 vcc, s[8:9], v[57:58]
	v_cmp_eq_f64_e64 s[4:5], s[10:11], v[59:60]
	s_andn2_b64 s[16:17], s[16:17], exec
	s_and_b64 s[4:5], vcc, s[4:5]
	s_and_b64 s[4:5], s[4:5], exec
	s_or_b64 s[16:17], s[16:17], s[4:5]
.LBB123_97:
	v_cndmask_b32_e64 v49, 0, 1, s[16:17]
.LBB123_98:
	s_or_b64 exec, exec, s[14:15]
	v_or_b32_e32 v50, 0x300, v0
	v_cmp_gt_i32_e32 vcc, s33, v50
                                        ; implicit-def: $vgpr50
	s_and_saveexec_b64 s[14:15], vcc
	s_cbranch_execz .LBB123_103
; %bb.99:
	s_and_b64 vcc, exec, s[2:3]
	s_cbranch_vccnz .LBB123_215
; %bb.100:
	v_cmp_neq_f64_e32 vcc, s[8:9], v[41:42]
	v_cmp_neq_f64_e64 s[4:5], s[10:11], v[43:44]
	s_or_b64 s[16:17], vcc, s[4:5]
	s_cbranch_execnz .LBB123_102
.LBB123_101:
	v_cmp_eq_f64_e32 vcc, s[8:9], v[41:42]
	v_cmp_eq_f64_e64 s[4:5], s[10:11], v[43:44]
	s_andn2_b64 s[16:17], s[16:17], exec
	s_and_b64 s[4:5], vcc, s[4:5]
	s_and_b64 s[4:5], s[4:5], exec
	s_or_b64 s[16:17], s[16:17], s[4:5]
.LBB123_102:
	v_cndmask_b32_e64 v50, 0, 1, s[16:17]
.LBB123_103:
	s_or_b64 exec, exec, s[14:15]
	v_or_b32_e32 v41, 0x400, v0
	v_cmp_gt_i32_e32 vcc, s33, v41
                                        ; implicit-def: $vgpr41
	s_and_saveexec_b64 s[14:15], vcc
	s_cbranch_execz .LBB123_108
; %bb.104:
	s_and_b64 vcc, exec, s[2:3]
	s_cbranch_vccnz .LBB123_216
; %bb.105:
	v_cmp_neq_f64_e32 vcc, s[8:9], v[53:54]
	v_cmp_neq_f64_e64 s[4:5], s[10:11], v[55:56]
	s_or_b64 s[16:17], vcc, s[4:5]
	s_cbranch_execnz .LBB123_107
.LBB123_106:
	v_cmp_eq_f64_e32 vcc, s[8:9], v[53:54]
	v_cmp_eq_f64_e64 s[4:5], s[10:11], v[55:56]
	s_andn2_b64 s[16:17], s[16:17], exec
	s_and_b64 s[4:5], vcc, s[4:5]
	s_and_b64 s[4:5], s[4:5], exec
	s_or_b64 s[16:17], s[16:17], s[4:5]
.LBB123_107:
	v_cndmask_b32_e64 v41, 0, 1, s[16:17]
.LBB123_108:
	s_or_b64 exec, exec, s[14:15]
	v_or_b32_e32 v42, 0x500, v0
	v_cmp_gt_i32_e32 vcc, s33, v42
                                        ; implicit-def: $vgpr42
	s_and_saveexec_b64 s[14:15], vcc
	s_cbranch_execz .LBB123_113
; %bb.109:
	s_and_b64 vcc, exec, s[2:3]
	s_cbranch_vccnz .LBB123_217
; %bb.110:
	v_cmp_neq_f64_e32 vcc, s[8:9], v[33:34]
	v_cmp_neq_f64_e64 s[4:5], s[10:11], v[35:36]
	s_or_b64 s[16:17], vcc, s[4:5]
	s_cbranch_execnz .LBB123_112
.LBB123_111:
	v_cmp_eq_f64_e32 vcc, s[8:9], v[33:34]
	v_cmp_eq_f64_e64 s[4:5], s[10:11], v[35:36]
	s_andn2_b64 s[16:17], s[16:17], exec
	s_and_b64 s[4:5], vcc, s[4:5]
	s_and_b64 s[4:5], s[4:5], exec
	s_or_b64 s[16:17], s[16:17], s[4:5]
.LBB123_112:
	v_cndmask_b32_e64 v42, 0, 1, s[16:17]
.LBB123_113:
	s_or_b64 exec, exec, s[14:15]
	v_or_b32_e32 v33, 0x600, v0
	v_cmp_gt_i32_e32 vcc, s33, v33
                                        ; implicit-def: $vgpr33
	s_and_saveexec_b64 s[14:15], vcc
	s_cbranch_execz .LBB123_118
; %bb.114:
	s_and_b64 vcc, exec, s[2:3]
	s_cbranch_vccnz .LBB123_218
; %bb.115:
	v_cmp_neq_f64_e32 vcc, s[8:9], v[45:46]
	v_cmp_neq_f64_e64 s[4:5], s[10:11], v[47:48]
	s_or_b64 s[16:17], vcc, s[4:5]
	s_cbranch_execnz .LBB123_117
.LBB123_116:
	v_cmp_eq_f64_e32 vcc, s[8:9], v[45:46]
	v_cmp_eq_f64_e64 s[4:5], s[10:11], v[47:48]
	s_andn2_b64 s[16:17], s[16:17], exec
	s_and_b64 s[4:5], vcc, s[4:5]
	s_and_b64 s[4:5], s[4:5], exec
	s_or_b64 s[16:17], s[16:17], s[4:5]
.LBB123_117:
	v_cndmask_b32_e64 v33, 0, 1, s[16:17]
.LBB123_118:
	s_or_b64 exec, exec, s[14:15]
	v_or_b32_e32 v34, 0x700, v0
	v_cmp_gt_i32_e32 vcc, s33, v34
                                        ; implicit-def: $vgpr34
	s_and_saveexec_b64 s[14:15], vcc
	s_cbranch_execz .LBB123_123
; %bb.119:
	s_and_b64 vcc, exec, s[2:3]
	s_cbranch_vccnz .LBB123_219
; %bb.120:
	v_cmp_neq_f64_e32 vcc, s[8:9], v[25:26]
	v_cmp_neq_f64_e64 s[4:5], s[10:11], v[27:28]
	s_or_b64 s[16:17], vcc, s[4:5]
	s_cbranch_execnz .LBB123_122
.LBB123_121:
	v_cmp_eq_f64_e32 vcc, s[8:9], v[25:26]
	v_cmp_eq_f64_e64 s[4:5], s[10:11], v[27:28]
	s_andn2_b64 s[16:17], s[16:17], exec
	s_and_b64 s[4:5], vcc, s[4:5]
	s_and_b64 s[4:5], s[4:5], exec
	s_or_b64 s[16:17], s[16:17], s[4:5]
.LBB123_122:
	v_cndmask_b32_e64 v34, 0, 1, s[16:17]
.LBB123_123:
	s_or_b64 exec, exec, s[14:15]
	v_or_b32_e32 v25, 0x800, v0
	v_cmp_gt_i32_e32 vcc, s33, v25
                                        ; implicit-def: $vgpr25
	s_and_saveexec_b64 s[14:15], vcc
	s_cbranch_execz .LBB123_128
; %bb.124:
	s_and_b64 vcc, exec, s[2:3]
	s_cbranch_vccnz .LBB123_220
; %bb.125:
	v_cmp_neq_f64_e32 vcc, s[8:9], v[37:38]
	v_cmp_neq_f64_e64 s[4:5], s[10:11], v[39:40]
	s_or_b64 s[16:17], vcc, s[4:5]
	s_cbranch_execnz .LBB123_127
.LBB123_126:
	v_cmp_eq_f64_e32 vcc, s[8:9], v[37:38]
	v_cmp_eq_f64_e64 s[4:5], s[10:11], v[39:40]
	s_andn2_b64 s[16:17], s[16:17], exec
	s_and_b64 s[4:5], vcc, s[4:5]
	s_and_b64 s[4:5], s[4:5], exec
	s_or_b64 s[16:17], s[16:17], s[4:5]
.LBB123_127:
	v_cndmask_b32_e64 v25, 0, 1, s[16:17]
.LBB123_128:
	s_or_b64 exec, exec, s[14:15]
	v_or_b32_e32 v26, 0x900, v0
	v_cmp_gt_i32_e32 vcc, s33, v26
                                        ; implicit-def: $vgpr26
	s_and_saveexec_b64 s[14:15], vcc
	s_cbranch_execz .LBB123_133
; %bb.129:
	s_and_b64 vcc, exec, s[2:3]
	s_cbranch_vccnz .LBB123_221
; %bb.130:
	v_cmp_neq_f64_e32 vcc, s[8:9], v[17:18]
	v_cmp_neq_f64_e64 s[4:5], s[10:11], v[19:20]
	s_or_b64 s[16:17], vcc, s[4:5]
	s_cbranch_execnz .LBB123_132
.LBB123_131:
	v_cmp_eq_f64_e32 vcc, s[8:9], v[17:18]
	v_cmp_eq_f64_e64 s[4:5], s[10:11], v[19:20]
	s_andn2_b64 s[16:17], s[16:17], exec
	s_and_b64 s[4:5], vcc, s[4:5]
	s_and_b64 s[4:5], s[4:5], exec
	s_or_b64 s[16:17], s[16:17], s[4:5]
.LBB123_132:
	v_cndmask_b32_e64 v26, 0, 1, s[16:17]
.LBB123_133:
	s_or_b64 exec, exec, s[14:15]
	v_or_b32_e32 v17, 0xa00, v0
	v_cmp_gt_i32_e32 vcc, s33, v17
                                        ; implicit-def: $vgpr17
	s_and_saveexec_b64 s[14:15], vcc
	s_cbranch_execz .LBB123_138
; %bb.134:
	s_and_b64 vcc, exec, s[2:3]
	s_cbranch_vccnz .LBB123_222
; %bb.135:
	v_cmp_neq_f64_e32 vcc, s[8:9], v[29:30]
	v_cmp_neq_f64_e64 s[4:5], s[10:11], v[31:32]
	s_or_b64 s[16:17], vcc, s[4:5]
	s_cbranch_execnz .LBB123_137
.LBB123_136:
	v_cmp_eq_f64_e32 vcc, s[8:9], v[29:30]
	v_cmp_eq_f64_e64 s[4:5], s[10:11], v[31:32]
	s_andn2_b64 s[16:17], s[16:17], exec
	s_and_b64 s[4:5], vcc, s[4:5]
	s_and_b64 s[4:5], s[4:5], exec
	s_or_b64 s[16:17], s[16:17], s[4:5]
.LBB123_137:
	v_cndmask_b32_e64 v17, 0, 1, s[16:17]
.LBB123_138:
	s_or_b64 exec, exec, s[14:15]
	v_or_b32_e32 v18, 0xb00, v0
	v_cmp_gt_i32_e32 vcc, s33, v18
                                        ; implicit-def: $vgpr18
	s_and_saveexec_b64 s[14:15], vcc
	s_cbranch_execz .LBB123_143
; %bb.139:
	s_and_b64 vcc, exec, s[2:3]
	s_cbranch_vccnz .LBB123_223
; %bb.140:
	v_cmp_neq_f64_e32 vcc, s[8:9], v[9:10]
	v_cmp_neq_f64_e64 s[4:5], s[10:11], v[11:12]
	s_or_b64 s[16:17], vcc, s[4:5]
	s_cbranch_execnz .LBB123_142
.LBB123_141:
	v_cmp_eq_f64_e32 vcc, s[8:9], v[9:10]
	v_cmp_eq_f64_e64 s[4:5], s[10:11], v[11:12]
	s_andn2_b64 s[16:17], s[16:17], exec
	s_and_b64 s[4:5], vcc, s[4:5]
	s_and_b64 s[4:5], s[4:5], exec
	s_or_b64 s[16:17], s[16:17], s[4:5]
.LBB123_142:
	v_cndmask_b32_e64 v18, 0, 1, s[16:17]
.LBB123_143:
	s_or_b64 exec, exec, s[14:15]
	v_or_b32_e32 v9, 0xc00, v0
	v_cmp_gt_i32_e32 vcc, s33, v9
                                        ; implicit-def: $vgpr9
	s_and_saveexec_b64 s[14:15], vcc
	s_cbranch_execz .LBB123_148
; %bb.144:
	s_and_b64 vcc, exec, s[2:3]
	s_cbranch_vccnz .LBB123_224
; %bb.145:
	v_cmp_neq_f64_e32 vcc, s[8:9], v[21:22]
	v_cmp_neq_f64_e64 s[4:5], s[10:11], v[23:24]
	s_or_b64 s[16:17], vcc, s[4:5]
	s_cbranch_execnz .LBB123_147
.LBB123_146:
	v_cmp_eq_f64_e32 vcc, s[8:9], v[21:22]
	v_cmp_eq_f64_e64 s[4:5], s[10:11], v[23:24]
	s_andn2_b64 s[16:17], s[16:17], exec
	s_and_b64 s[4:5], vcc, s[4:5]
	s_and_b64 s[4:5], s[4:5], exec
	s_or_b64 s[16:17], s[16:17], s[4:5]
.LBB123_147:
	v_cndmask_b32_e64 v9, 0, 1, s[16:17]
.LBB123_148:
	s_or_b64 exec, exec, s[14:15]
	v_or_b32_e32 v10, 0xd00, v0
	v_cmp_gt_i32_e32 vcc, s33, v10
                                        ; implicit-def: $vgpr10
	s_and_saveexec_b64 s[14:15], vcc
	s_cbranch_execz .LBB123_153
; %bb.149:
	s_and_b64 vcc, exec, s[2:3]
	s_cbranch_vccnz .LBB123_225
; %bb.150:
	v_cmp_neq_f64_e32 vcc, s[8:9], v[5:6]
	v_cmp_neq_f64_e64 s[4:5], s[10:11], v[7:8]
	s_or_b64 s[16:17], vcc, s[4:5]
	s_cbranch_execnz .LBB123_152
.LBB123_151:
	v_cmp_eq_f64_e32 vcc, s[8:9], v[5:6]
	v_cmp_eq_f64_e64 s[4:5], s[10:11], v[7:8]
	s_andn2_b64 s[16:17], s[16:17], exec
	s_and_b64 s[4:5], vcc, s[4:5]
	s_and_b64 s[4:5], s[4:5], exec
	s_or_b64 s[16:17], s[16:17], s[4:5]
.LBB123_152:
	v_cndmask_b32_e64 v10, 0, 1, s[16:17]
.LBB123_153:
	s_or_b64 exec, exec, s[14:15]
	v_or_b32_e32 v5, 0xe00, v0
	v_cmp_gt_i32_e32 vcc, s33, v5
                                        ; implicit-def: $vgpr5
	s_and_saveexec_b64 s[14:15], vcc
	s_cbranch_execz .LBB123_158
; %bb.154:
	s_and_b64 vcc, exec, s[2:3]
	s_cbranch_vccnz .LBB123_226
; %bb.155:
	v_cmp_neq_f64_e32 vcc, s[8:9], v[13:14]
	v_cmp_neq_f64_e64 s[4:5], s[10:11], v[15:16]
	s_or_b64 s[16:17], vcc, s[4:5]
	s_cbranch_execnz .LBB123_157
.LBB123_156:
	v_cmp_eq_f64_e32 vcc, s[8:9], v[13:14]
	v_cmp_eq_f64_e64 s[4:5], s[10:11], v[15:16]
	s_andn2_b64 s[16:17], s[16:17], exec
	s_and_b64 s[4:5], vcc, s[4:5]
	s_and_b64 s[4:5], s[4:5], exec
	s_or_b64 s[16:17], s[16:17], s[4:5]
.LBB123_157:
	v_cndmask_b32_e64 v5, 0, 1, s[16:17]
.LBB123_158:
	s_or_b64 exec, exec, s[14:15]
	v_or_b32_e32 v6, 0xf00, v0
	v_cmp_gt_i32_e32 vcc, s33, v6
                                        ; implicit-def: $vgpr6
	s_and_saveexec_b64 s[4:5], vcc
	s_cbranch_execz .LBB123_163
; %bb.159:
	s_and_b64 vcc, exec, s[2:3]
	s_cbranch_vccnz .LBB123_227
; %bb.160:
	v_cmp_neq_f64_e32 vcc, s[8:9], v[1:2]
	v_cmp_neq_f64_e64 s[2:3], s[10:11], v[3:4]
	s_or_b64 s[14:15], vcc, s[2:3]
	s_cbranch_execnz .LBB123_162
.LBB123_161:
	v_cmp_eq_f64_e32 vcc, s[8:9], v[1:2]
	v_cmp_eq_f64_e64 s[2:3], s[10:11], v[3:4]
	s_andn2_b64 s[8:9], s[14:15], exec
	s_and_b64 s[2:3], vcc, s[2:3]
	s_and_b64 s[2:3], s[2:3], exec
	s_or_b64 s[14:15], s[8:9], s[2:3]
.LBB123_162:
	v_cndmask_b32_e64 v6, 0, 1, s[14:15]
.LBB123_163:
	s_or_b64 exec, exec, s[4:5]
	s_and_saveexec_b64 s[2:3], s[0:1]
	s_xor_b64 s[0:1], exec, s[2:3]
	s_cbranch_execz .LBB123_165
; %bb.164:
	v_mov_b32_e32 v0, v61
	global_store_byte v65, v66, s[12:13]
.LBB123_165:
	s_or_b64 exec, exec, s[0:1]
	v_cmp_gt_i32_e32 vcc, s33, v0
	s_and_saveexec_b64 s[0:1], vcc
	s_cbranch_execnz .LBB123_181
; %bb.166:
	s_or_b64 exec, exec, s[0:1]
	v_cmp_gt_i32_e32 vcc, s33, v0
	s_and_saveexec_b64 s[0:1], vcc
	s_cbranch_execnz .LBB123_182
.LBB123_167:
	s_or_b64 exec, exec, s[0:1]
	v_cmp_gt_i32_e32 vcc, s33, v0
	s_and_saveexec_b64 s[0:1], vcc
	s_cbranch_execnz .LBB123_183
.LBB123_168:
	s_or_b64 exec, exec, s[0:1]
	v_cmp_gt_i32_e32 vcc, s33, v0
	s_and_saveexec_b64 s[0:1], vcc
	s_cbranch_execnz .LBB123_184
.LBB123_169:
	s_or_b64 exec, exec, s[0:1]
	v_cmp_gt_i32_e32 vcc, s33, v0
	s_and_saveexec_b64 s[0:1], vcc
	s_cbranch_execnz .LBB123_185
.LBB123_170:
	s_or_b64 exec, exec, s[0:1]
	v_cmp_gt_i32_e32 vcc, s33, v0
	s_and_saveexec_b64 s[0:1], vcc
	s_cbranch_execnz .LBB123_186
.LBB123_171:
	s_or_b64 exec, exec, s[0:1]
	v_cmp_gt_i32_e32 vcc, s33, v0
	s_and_saveexec_b64 s[0:1], vcc
	s_cbranch_execnz .LBB123_187
.LBB123_172:
	s_or_b64 exec, exec, s[0:1]
	v_cmp_gt_i32_e32 vcc, s33, v0
	s_and_saveexec_b64 s[0:1], vcc
	s_cbranch_execnz .LBB123_188
.LBB123_173:
	s_or_b64 exec, exec, s[0:1]
	v_cmp_gt_i32_e32 vcc, s33, v0
	s_and_saveexec_b64 s[0:1], vcc
	s_cbranch_execnz .LBB123_189
.LBB123_174:
	s_or_b64 exec, exec, s[0:1]
	v_cmp_gt_i32_e32 vcc, s33, v0
	s_and_saveexec_b64 s[0:1], vcc
	s_cbranch_execnz .LBB123_190
.LBB123_175:
	s_or_b64 exec, exec, s[0:1]
	v_cmp_gt_i32_e32 vcc, s33, v0
	s_and_saveexec_b64 s[0:1], vcc
	s_cbranch_execnz .LBB123_191
.LBB123_176:
	s_or_b64 exec, exec, s[0:1]
	v_cmp_gt_i32_e32 vcc, s33, v0
	s_and_saveexec_b64 s[0:1], vcc
	s_cbranch_execnz .LBB123_192
.LBB123_177:
	s_or_b64 exec, exec, s[0:1]
	v_cmp_gt_i32_e32 vcc, s33, v0
	s_and_saveexec_b64 s[0:1], vcc
	s_cbranch_execnz .LBB123_193
.LBB123_178:
	s_or_b64 exec, exec, s[0:1]
	v_cmp_gt_i32_e32 vcc, s33, v0
	s_and_saveexec_b64 s[0:1], vcc
	s_cbranch_execnz .LBB123_194
.LBB123_179:
	s_or_b64 exec, exec, s[0:1]
	v_cmp_gt_i32_e32 vcc, s33, v0
	s_and_saveexec_b64 s[0:1], vcc
	s_cbranch_execz .LBB123_195
.LBB123_180:
	v_add_u32_e32 v0, s6, v0
	global_store_byte v0, v6, s[12:13]
	s_endpgm
.LBB123_181:
	v_add_u32_e32 v1, s6, v0
	v_add_u32_e32 v0, 0x100, v0
	global_store_byte v1, v62, s[12:13]
	s_or_b64 exec, exec, s[0:1]
	v_cmp_gt_i32_e32 vcc, s33, v0
	s_and_saveexec_b64 s[0:1], vcc
	s_cbranch_execz .LBB123_167
.LBB123_182:
	v_add_u32_e32 v1, s6, v0
	v_add_u32_e32 v0, 0x100, v0
	global_store_byte v1, v49, s[12:13]
	s_or_b64 exec, exec, s[0:1]
	v_cmp_gt_i32_e32 vcc, s33, v0
	s_and_saveexec_b64 s[0:1], vcc
	s_cbranch_execz .LBB123_168
.LBB123_183:
	v_add_u32_e32 v1, s6, v0
	v_add_u32_e32 v0, 0x100, v0
	global_store_byte v1, v50, s[12:13]
	s_or_b64 exec, exec, s[0:1]
	v_cmp_gt_i32_e32 vcc, s33, v0
	s_and_saveexec_b64 s[0:1], vcc
	s_cbranch_execz .LBB123_169
.LBB123_184:
	v_add_u32_e32 v1, s6, v0
	v_add_u32_e32 v0, 0x100, v0
	global_store_byte v1, v41, s[12:13]
	s_or_b64 exec, exec, s[0:1]
	v_cmp_gt_i32_e32 vcc, s33, v0
	s_and_saveexec_b64 s[0:1], vcc
	s_cbranch_execz .LBB123_170
.LBB123_185:
	v_add_u32_e32 v1, s6, v0
	v_add_u32_e32 v0, 0x100, v0
	global_store_byte v1, v42, s[12:13]
	s_or_b64 exec, exec, s[0:1]
	v_cmp_gt_i32_e32 vcc, s33, v0
	s_and_saveexec_b64 s[0:1], vcc
	s_cbranch_execz .LBB123_171
.LBB123_186:
	v_add_u32_e32 v1, s6, v0
	v_add_u32_e32 v0, 0x100, v0
	global_store_byte v1, v33, s[12:13]
	s_or_b64 exec, exec, s[0:1]
	v_cmp_gt_i32_e32 vcc, s33, v0
	s_and_saveexec_b64 s[0:1], vcc
	s_cbranch_execz .LBB123_172
.LBB123_187:
	v_add_u32_e32 v1, s6, v0
	v_add_u32_e32 v0, 0x100, v0
	global_store_byte v1, v34, s[12:13]
	s_or_b64 exec, exec, s[0:1]
	v_cmp_gt_i32_e32 vcc, s33, v0
	s_and_saveexec_b64 s[0:1], vcc
	s_cbranch_execz .LBB123_173
.LBB123_188:
	v_add_u32_e32 v1, s6, v0
	v_add_u32_e32 v0, 0x100, v0
	global_store_byte v1, v25, s[12:13]
	s_or_b64 exec, exec, s[0:1]
	v_cmp_gt_i32_e32 vcc, s33, v0
	s_and_saveexec_b64 s[0:1], vcc
	s_cbranch_execz .LBB123_174
.LBB123_189:
	v_add_u32_e32 v1, s6, v0
	v_add_u32_e32 v0, 0x100, v0
	global_store_byte v1, v26, s[12:13]
	s_or_b64 exec, exec, s[0:1]
	v_cmp_gt_i32_e32 vcc, s33, v0
	s_and_saveexec_b64 s[0:1], vcc
	s_cbranch_execz .LBB123_175
.LBB123_190:
	v_add_u32_e32 v1, s6, v0
	v_add_u32_e32 v0, 0x100, v0
	global_store_byte v1, v17, s[12:13]
	s_or_b64 exec, exec, s[0:1]
	v_cmp_gt_i32_e32 vcc, s33, v0
	s_and_saveexec_b64 s[0:1], vcc
	s_cbranch_execz .LBB123_176
.LBB123_191:
	v_add_u32_e32 v1, s6, v0
	v_add_u32_e32 v0, 0x100, v0
	global_store_byte v1, v18, s[12:13]
	s_or_b64 exec, exec, s[0:1]
	v_cmp_gt_i32_e32 vcc, s33, v0
	s_and_saveexec_b64 s[0:1], vcc
	s_cbranch_execz .LBB123_177
.LBB123_192:
	v_add_u32_e32 v1, s6, v0
	v_add_u32_e32 v0, 0x100, v0
	global_store_byte v1, v9, s[12:13]
	s_or_b64 exec, exec, s[0:1]
	v_cmp_gt_i32_e32 vcc, s33, v0
	s_and_saveexec_b64 s[0:1], vcc
	s_cbranch_execz .LBB123_178
.LBB123_193:
	v_add_u32_e32 v1, s6, v0
	v_add_u32_e32 v0, 0x100, v0
	global_store_byte v1, v10, s[12:13]
	s_or_b64 exec, exec, s[0:1]
	v_cmp_gt_i32_e32 vcc, s33, v0
	s_and_saveexec_b64 s[0:1], vcc
	s_cbranch_execz .LBB123_179
.LBB123_194:
	v_add_u32_e32 v1, s6, v0
	v_add_u32_e32 v0, 0x100, v0
	global_store_byte v1, v5, s[12:13]
	s_or_b64 exec, exec, s[0:1]
	v_cmp_gt_i32_e32 vcc, s33, v0
	s_and_saveexec_b64 s[0:1], vcc
	s_cbranch_execnz .LBB123_180
.LBB123_195:
	s_endpgm
.LBB123_196:
                                        ; implicit-def: $sgpr4_sgpr5
	s_branch .LBB123_3
.LBB123_197:
                                        ; implicit-def: $sgpr16_sgpr17
	s_branch .LBB123_6
.LBB123_198:
                                        ; implicit-def: $sgpr18_sgpr19
	s_branch .LBB123_9
.LBB123_199:
                                        ; implicit-def: $sgpr20_sgpr21
	s_branch .LBB123_12
.LBB123_200:
                                        ; implicit-def: $sgpr22_sgpr23
	s_branch .LBB123_15
.LBB123_201:
                                        ; implicit-def: $sgpr24_sgpr25
	s_branch .LBB123_18
.LBB123_202:
                                        ; implicit-def: $sgpr26_sgpr27
	s_branch .LBB123_21
.LBB123_203:
                                        ; implicit-def: $sgpr28_sgpr29
	s_branch .LBB123_24
.LBB123_204:
                                        ; implicit-def: $sgpr30_sgpr31
	s_branch .LBB123_27
.LBB123_205:
                                        ; implicit-def: $sgpr34_sgpr35
	s_branch .LBB123_30
.LBB123_206:
                                        ; implicit-def: $sgpr36_sgpr37
	s_branch .LBB123_33
.LBB123_207:
                                        ; implicit-def: $sgpr38_sgpr39
	s_branch .LBB123_36
.LBB123_208:
                                        ; implicit-def: $sgpr40_sgpr41
	s_branch .LBB123_39
.LBB123_209:
                                        ; implicit-def: $sgpr42_sgpr43
	s_branch .LBB123_42
.LBB123_210:
                                        ; implicit-def: $sgpr44_sgpr45
	s_branch .LBB123_45
.LBB123_211:
                                        ; implicit-def: $sgpr2_sgpr3
	s_branch .LBB123_48
.LBB123_212:
                                        ; implicit-def: $sgpr16_sgpr17
	s_branch .LBB123_86
.LBB123_213:
                                        ; implicit-def: $sgpr16_sgpr17
	s_branch .LBB123_91
.LBB123_214:
                                        ; implicit-def: $sgpr16_sgpr17
	s_branch .LBB123_96
.LBB123_215:
                                        ; implicit-def: $sgpr16_sgpr17
	s_branch .LBB123_101
.LBB123_216:
                                        ; implicit-def: $sgpr16_sgpr17
	s_branch .LBB123_106
.LBB123_217:
                                        ; implicit-def: $sgpr16_sgpr17
	s_branch .LBB123_111
.LBB123_218:
                                        ; implicit-def: $sgpr16_sgpr17
	s_branch .LBB123_116
.LBB123_219:
                                        ; implicit-def: $sgpr16_sgpr17
	s_branch .LBB123_121
.LBB123_220:
                                        ; implicit-def: $sgpr16_sgpr17
	s_branch .LBB123_126
.LBB123_221:
                                        ; implicit-def: $sgpr16_sgpr17
	s_branch .LBB123_131
.LBB123_222:
                                        ; implicit-def: $sgpr16_sgpr17
	s_branch .LBB123_136
.LBB123_223:
                                        ; implicit-def: $sgpr16_sgpr17
	s_branch .LBB123_141
.LBB123_224:
                                        ; implicit-def: $sgpr16_sgpr17
	s_branch .LBB123_146
.LBB123_225:
                                        ; implicit-def: $sgpr16_sgpr17
	s_branch .LBB123_151
.LBB123_226:
                                        ; implicit-def: $sgpr16_sgpr17
	s_branch .LBB123_156
.LBB123_227:
                                        ; implicit-def: $sgpr14_sgpr15
	s_branch .LBB123_161
	.section	.rodata,"a",@progbits
	.p2align	6, 0x0
	.amdhsa_kernel _ZN2at6native29vectorized_elementwise_kernelILi2ENS0_13AUnaryFunctorIN3c107complexIdEES5_bNS0_12_GLOBAL__N_116CompareEqFunctorIS5_EEEESt5arrayIPcLm2EEEEviT0_T1_
		.amdhsa_group_segment_fixed_size 0
		.amdhsa_private_segment_fixed_size 0
		.amdhsa_kernarg_size 64
		.amdhsa_user_sgpr_count 6
		.amdhsa_user_sgpr_private_segment_buffer 1
		.amdhsa_user_sgpr_dispatch_ptr 0
		.amdhsa_user_sgpr_queue_ptr 0
		.amdhsa_user_sgpr_kernarg_segment_ptr 1
		.amdhsa_user_sgpr_dispatch_id 0
		.amdhsa_user_sgpr_flat_scratch_init 0
		.amdhsa_user_sgpr_private_segment_size 0
		.amdhsa_uses_dynamic_stack 0
		.amdhsa_system_sgpr_private_segment_wavefront_offset 0
		.amdhsa_system_sgpr_workgroup_id_x 1
		.amdhsa_system_sgpr_workgroup_id_y 0
		.amdhsa_system_sgpr_workgroup_id_z 0
		.amdhsa_system_sgpr_workgroup_info 0
		.amdhsa_system_vgpr_workitem_id 0
		.amdhsa_next_free_vgpr 69
		.amdhsa_next_free_sgpr 47
		.amdhsa_reserve_vcc 1
		.amdhsa_reserve_flat_scratch 0
		.amdhsa_float_round_mode_32 0
		.amdhsa_float_round_mode_16_64 0
		.amdhsa_float_denorm_mode_32 3
		.amdhsa_float_denorm_mode_16_64 3
		.amdhsa_dx10_clamp 1
		.amdhsa_ieee_mode 1
		.amdhsa_fp16_overflow 0
		.amdhsa_exception_fp_ieee_invalid_op 0
		.amdhsa_exception_fp_denorm_src 0
		.amdhsa_exception_fp_ieee_div_zero 0
		.amdhsa_exception_fp_ieee_overflow 0
		.amdhsa_exception_fp_ieee_underflow 0
		.amdhsa_exception_fp_ieee_inexact 0
		.amdhsa_exception_int_div_zero 0
	.end_amdhsa_kernel
	.section	.text._ZN2at6native29vectorized_elementwise_kernelILi2ENS0_13AUnaryFunctorIN3c107complexIdEES5_bNS0_12_GLOBAL__N_116CompareEqFunctorIS5_EEEESt5arrayIPcLm2EEEEviT0_T1_,"axG",@progbits,_ZN2at6native29vectorized_elementwise_kernelILi2ENS0_13AUnaryFunctorIN3c107complexIdEES5_bNS0_12_GLOBAL__N_116CompareEqFunctorIS5_EEEESt5arrayIPcLm2EEEEviT0_T1_,comdat
.Lfunc_end123:
	.size	_ZN2at6native29vectorized_elementwise_kernelILi2ENS0_13AUnaryFunctorIN3c107complexIdEES5_bNS0_12_GLOBAL__N_116CompareEqFunctorIS5_EEEESt5arrayIPcLm2EEEEviT0_T1_, .Lfunc_end123-_ZN2at6native29vectorized_elementwise_kernelILi2ENS0_13AUnaryFunctorIN3c107complexIdEES5_bNS0_12_GLOBAL__N_116CompareEqFunctorIS5_EEEESt5arrayIPcLm2EEEEviT0_T1_
                                        ; -- End function
	.set _ZN2at6native29vectorized_elementwise_kernelILi2ENS0_13AUnaryFunctorIN3c107complexIdEES5_bNS0_12_GLOBAL__N_116CompareEqFunctorIS5_EEEESt5arrayIPcLm2EEEEviT0_T1_.num_vgpr, 69
	.set _ZN2at6native29vectorized_elementwise_kernelILi2ENS0_13AUnaryFunctorIN3c107complexIdEES5_bNS0_12_GLOBAL__N_116CompareEqFunctorIS5_EEEESt5arrayIPcLm2EEEEviT0_T1_.num_agpr, 0
	.set _ZN2at6native29vectorized_elementwise_kernelILi2ENS0_13AUnaryFunctorIN3c107complexIdEES5_bNS0_12_GLOBAL__N_116CompareEqFunctorIS5_EEEESt5arrayIPcLm2EEEEviT0_T1_.numbered_sgpr, 47
	.set _ZN2at6native29vectorized_elementwise_kernelILi2ENS0_13AUnaryFunctorIN3c107complexIdEES5_bNS0_12_GLOBAL__N_116CompareEqFunctorIS5_EEEESt5arrayIPcLm2EEEEviT0_T1_.num_named_barrier, 0
	.set _ZN2at6native29vectorized_elementwise_kernelILi2ENS0_13AUnaryFunctorIN3c107complexIdEES5_bNS0_12_GLOBAL__N_116CompareEqFunctorIS5_EEEESt5arrayIPcLm2EEEEviT0_T1_.private_seg_size, 0
	.set _ZN2at6native29vectorized_elementwise_kernelILi2ENS0_13AUnaryFunctorIN3c107complexIdEES5_bNS0_12_GLOBAL__N_116CompareEqFunctorIS5_EEEESt5arrayIPcLm2EEEEviT0_T1_.uses_vcc, 1
	.set _ZN2at6native29vectorized_elementwise_kernelILi2ENS0_13AUnaryFunctorIN3c107complexIdEES5_bNS0_12_GLOBAL__N_116CompareEqFunctorIS5_EEEESt5arrayIPcLm2EEEEviT0_T1_.uses_flat_scratch, 0
	.set _ZN2at6native29vectorized_elementwise_kernelILi2ENS0_13AUnaryFunctorIN3c107complexIdEES5_bNS0_12_GLOBAL__N_116CompareEqFunctorIS5_EEEESt5arrayIPcLm2EEEEviT0_T1_.has_dyn_sized_stack, 0
	.set _ZN2at6native29vectorized_elementwise_kernelILi2ENS0_13AUnaryFunctorIN3c107complexIdEES5_bNS0_12_GLOBAL__N_116CompareEqFunctorIS5_EEEESt5arrayIPcLm2EEEEviT0_T1_.has_recursion, 0
	.set _ZN2at6native29vectorized_elementwise_kernelILi2ENS0_13AUnaryFunctorIN3c107complexIdEES5_bNS0_12_GLOBAL__N_116CompareEqFunctorIS5_EEEESt5arrayIPcLm2EEEEviT0_T1_.has_indirect_call, 0
	.section	.AMDGPU.csdata,"",@progbits
; Kernel info:
; codeLenInByte = 5188
; TotalNumSgprs: 51
; NumVgprs: 69
; ScratchSize: 0
; MemoryBound: 0
; FloatMode: 240
; IeeeMode: 1
; LDSByteSize: 0 bytes/workgroup (compile time only)
; SGPRBlocks: 6
; VGPRBlocks: 17
; NumSGPRsForWavesPerEU: 51
; NumVGPRsForWavesPerEU: 69
; Occupancy: 3
; WaveLimiterHint : 1
; COMPUTE_PGM_RSRC2:SCRATCH_EN: 0
; COMPUTE_PGM_RSRC2:USER_SGPR: 6
; COMPUTE_PGM_RSRC2:TRAP_HANDLER: 0
; COMPUTE_PGM_RSRC2:TGID_X_EN: 1
; COMPUTE_PGM_RSRC2:TGID_Y_EN: 0
; COMPUTE_PGM_RSRC2:TGID_Z_EN: 0
; COMPUTE_PGM_RSRC2:TIDIG_COMP_CNT: 0
	.section	.text._ZN2at6native27unrolled_elementwise_kernelINS0_13AUnaryFunctorIN3c107complexIdEES5_bNS0_12_GLOBAL__N_116CompareEqFunctorIS5_EEEESt5arrayIPcLm2EELi4E23TrivialOffsetCalculatorILi1EjESE_NS0_6memory15LoadWithoutCastENSF_16StoreWithoutCastEEEviT_T0_T2_T3_T4_T5_,"axG",@progbits,_ZN2at6native27unrolled_elementwise_kernelINS0_13AUnaryFunctorIN3c107complexIdEES5_bNS0_12_GLOBAL__N_116CompareEqFunctorIS5_EEEESt5arrayIPcLm2EELi4E23TrivialOffsetCalculatorILi1EjESE_NS0_6memory15LoadWithoutCastENSF_16StoreWithoutCastEEEviT_T0_T2_T3_T4_T5_,comdat
	.globl	_ZN2at6native27unrolled_elementwise_kernelINS0_13AUnaryFunctorIN3c107complexIdEES5_bNS0_12_GLOBAL__N_116CompareEqFunctorIS5_EEEESt5arrayIPcLm2EELi4E23TrivialOffsetCalculatorILi1EjESE_NS0_6memory15LoadWithoutCastENSF_16StoreWithoutCastEEEviT_T0_T2_T3_T4_T5_ ; -- Begin function _ZN2at6native27unrolled_elementwise_kernelINS0_13AUnaryFunctorIN3c107complexIdEES5_bNS0_12_GLOBAL__N_116CompareEqFunctorIS5_EEEESt5arrayIPcLm2EELi4E23TrivialOffsetCalculatorILi1EjESE_NS0_6memory15LoadWithoutCastENSF_16StoreWithoutCastEEEviT_T0_T2_T3_T4_T5_
	.p2align	8
	.type	_ZN2at6native27unrolled_elementwise_kernelINS0_13AUnaryFunctorIN3c107complexIdEES5_bNS0_12_GLOBAL__N_116CompareEqFunctorIS5_EEEESt5arrayIPcLm2EELi4E23TrivialOffsetCalculatorILi1EjESE_NS0_6memory15LoadWithoutCastENSF_16StoreWithoutCastEEEviT_T0_T2_T3_T4_T5_,@function
_ZN2at6native27unrolled_elementwise_kernelINS0_13AUnaryFunctorIN3c107complexIdEES5_bNS0_12_GLOBAL__N_116CompareEqFunctorIS5_EEEESt5arrayIPcLm2EELi4E23TrivialOffsetCalculatorILi1EjESE_NS0_6memory15LoadWithoutCastENSF_16StoreWithoutCastEEEviT_T0_T2_T3_T4_T5_: ; @_ZN2at6native27unrolled_elementwise_kernelINS0_13AUnaryFunctorIN3c107complexIdEES5_bNS0_12_GLOBAL__N_116CompareEqFunctorIS5_EEEESt5arrayIPcLm2EELi4E23TrivialOffsetCalculatorILi1EjESE_NS0_6memory15LoadWithoutCastENSF_16StoreWithoutCastEEEviT_T0_T2_T3_T4_T5_
; %bb.0:
	s_load_dword s0, s[4:5], 0x0
	s_load_dwordx8 s[8:15], s[4:5], 0x20
	s_lshl_b32 s16, s6, 10
	v_mov_b32_e32 v5, 0
	v_mov_b32_e32 v13, 0
	s_waitcnt lgkmcnt(0)
	s_sub_i32 s17, s0, s16
	v_mov_b32_e32 v15, 0
	v_cmp_gt_i32_e64 s[0:1], s17, v0
	v_mov_b32_e32 v6, 0
	v_or_b32_e32 v17, s16, v0
	v_mov_b32_e32 v14, 0
	v_mov_b32_e32 v16, 0
	;; [unrolled: 1-line block ×3, first 2 shown]
	s_and_saveexec_b64 s[2:3], s[0:1]
	s_cbranch_execz .LBB124_2
; %bb.1:
	v_mov_b32_e32 v18, 0
	v_lshlrev_b64 v[1:2], 4, v[17:18]
	v_mov_b32_e32 v3, s15
	v_add_co_u32_e32 v1, vcc, s14, v1
	v_addc_co_u32_e32 v2, vcc, v3, v2, vcc
	global_load_dwordx4 v[13:16], v[1:2], off
	v_or_b32_e32 v18, 0x100, v0
.LBB124_2:
	s_or_b64 exec, exec, s[2:3]
	v_mov_b32_e32 v7, 0
	v_mov_b32_e32 v8, 0
	v_cmp_gt_i32_e32 vcc, s17, v18
	s_and_saveexec_b64 s[2:3], vcc
	s_cbranch_execz .LBB124_4
; %bb.3:
	v_add_u32_e32 v1, s16, v18
	v_mov_b32_e32 v2, 0
	v_lshlrev_b64 v[1:2], 4, v[1:2]
	v_mov_b32_e32 v3, s15
	v_add_co_u32_e32 v1, vcc, s14, v1
	v_addc_co_u32_e32 v2, vcc, v3, v2, vcc
	global_load_dwordx4 v[5:8], v[1:2], off
	v_add_u32_e32 v18, 0x100, v18
.LBB124_4:
	s_or_b64 exec, exec, s[2:3]
	v_mov_b32_e32 v1, 0
	v_mov_b32_e32 v9, 0
	;; [unrolled: 1-line block ×6, first 2 shown]
	v_cmp_gt_i32_e32 vcc, s17, v18
	s_and_saveexec_b64 s[2:3], vcc
	s_cbranch_execz .LBB124_6
; %bb.5:
	v_add_u32_e32 v3, s16, v18
	v_mov_b32_e32 v4, 0
	v_lshlrev_b64 v[3:4], 4, v[3:4]
	v_mov_b32_e32 v9, s15
	v_add_co_u32_e32 v3, vcc, s14, v3
	v_addc_co_u32_e32 v4, vcc, v9, v4, vcc
	global_load_dwordx4 v[9:12], v[3:4], off
	v_add_u32_e32 v18, 0x100, v18
.LBB124_6:
	s_or_b64 exec, exec, s[2:3]
	s_load_dword s4, s[4:5], 0x10
	v_mov_b32_e32 v3, 0
	v_mov_b32_e32 v4, 0
	v_cmp_gt_i32_e32 vcc, s17, v18
	s_and_saveexec_b64 s[2:3], vcc
	s_cbranch_execz .LBB124_8
; %bb.7:
	v_add_u32_e32 v1, s16, v18
	v_mov_b32_e32 v2, 0
	v_lshlrev_b64 v[1:2], 4, v[1:2]
	v_mov_b32_e32 v3, s15
	v_add_co_u32_e32 v1, vcc, s14, v1
	v_addc_co_u32_e32 v2, vcc, v3, v2, vcc
	global_load_dwordx4 v[1:4], v[1:2], off
.LBB124_8:
	s_or_b64 exec, exec, s[2:3]
	s_waitcnt lgkmcnt(0)
	s_cmp_lg_u32 s4, 0
	s_cselect_b64 s[4:5], -1, 0
                                        ; implicit-def: $vgpr18
	s_and_saveexec_b64 s[6:7], s[0:1]
	s_cbranch_execz .LBB124_13
; %bb.9:
	s_and_b64 vcc, exec, s[4:5]
	s_cbranch_vccz .LBB124_37
; %bb.10:
	s_waitcnt vmcnt(0)
	v_cmp_neq_f64_e32 vcc, s[8:9], v[13:14]
	v_cmp_neq_f64_e64 s[2:3], s[10:11], v[15:16]
	s_or_b64 s[14:15], vcc, s[2:3]
	s_cbranch_execnz .LBB124_12
.LBB124_11:
	s_waitcnt vmcnt(0)
	v_cmp_eq_f64_e32 vcc, s[8:9], v[13:14]
	v_cmp_eq_f64_e64 s[2:3], s[10:11], v[15:16]
	s_andn2_b64 s[14:15], s[14:15], exec
	s_and_b64 s[2:3], vcc, s[2:3]
	s_and_b64 s[2:3], s[2:3], exec
	s_or_b64 s[14:15], s[14:15], s[2:3]
.LBB124_12:
	v_cndmask_b32_e64 v18, 0, 1, s[14:15]
.LBB124_13:
	s_or_b64 exec, exec, s[6:7]
	s_waitcnt vmcnt(0)
	v_or_b32_e32 v13, 0x100, v0
	v_cndmask_b32_e64 v14, 0, 1, s[4:5]
	v_cmp_gt_i32_e32 vcc, s17, v13
	v_cmp_ne_u32_e64 s[2:3], 1, v14
                                        ; implicit-def: $vgpr14
	s_and_saveexec_b64 s[6:7], vcc
	s_cbranch_execz .LBB124_18
; %bb.14:
	s_and_b64 vcc, exec, s[2:3]
	s_cbranch_vccnz .LBB124_38
; %bb.15:
	v_cmp_neq_f64_e32 vcc, s[8:9], v[5:6]
	v_cmp_neq_f64_e64 s[4:5], s[10:11], v[7:8]
	s_or_b64 s[14:15], vcc, s[4:5]
	s_cbranch_execnz .LBB124_17
.LBB124_16:
	v_cmp_eq_f64_e32 vcc, s[8:9], v[5:6]
	v_cmp_eq_f64_e64 s[4:5], s[10:11], v[7:8]
	s_andn2_b64 s[14:15], s[14:15], exec
	s_and_b64 s[4:5], vcc, s[4:5]
	s_and_b64 s[4:5], s[4:5], exec
	s_or_b64 s[14:15], s[14:15], s[4:5]
.LBB124_17:
	v_cndmask_b32_e64 v14, 0, 1, s[14:15]
.LBB124_18:
	s_or_b64 exec, exec, s[6:7]
	v_or_b32_e32 v5, 0x200, v0
	v_cmp_gt_i32_e32 vcc, s17, v5
                                        ; implicit-def: $vgpr5
	s_and_saveexec_b64 s[6:7], vcc
	s_cbranch_execz .LBB124_23
; %bb.19:
	s_and_b64 vcc, exec, s[2:3]
	s_cbranch_vccnz .LBB124_39
; %bb.20:
	v_cmp_neq_f64_e32 vcc, s[8:9], v[9:10]
	v_cmp_neq_f64_e64 s[4:5], s[10:11], v[11:12]
	s_or_b64 s[14:15], vcc, s[4:5]
	s_cbranch_execnz .LBB124_22
.LBB124_21:
	v_cmp_eq_f64_e32 vcc, s[8:9], v[9:10]
	v_cmp_eq_f64_e64 s[4:5], s[10:11], v[11:12]
	s_andn2_b64 s[14:15], s[14:15], exec
	s_and_b64 s[4:5], vcc, s[4:5]
	s_and_b64 s[4:5], s[4:5], exec
	s_or_b64 s[14:15], s[14:15], s[4:5]
.LBB124_22:
	v_cndmask_b32_e64 v5, 0, 1, s[14:15]
.LBB124_23:
	s_or_b64 exec, exec, s[6:7]
	v_or_b32_e32 v6, 0x300, v0
	v_cmp_gt_i32_e32 vcc, s17, v6
                                        ; implicit-def: $vgpr6
	s_and_saveexec_b64 s[4:5], vcc
	s_cbranch_execz .LBB124_28
; %bb.24:
	s_and_b64 vcc, exec, s[2:3]
	s_cbranch_vccnz .LBB124_40
; %bb.25:
	v_cmp_neq_f64_e32 vcc, s[8:9], v[1:2]
	v_cmp_neq_f64_e64 s[2:3], s[10:11], v[3:4]
	s_or_b64 s[6:7], vcc, s[2:3]
	s_cbranch_execnz .LBB124_27
.LBB124_26:
	v_cmp_eq_f64_e32 vcc, s[8:9], v[1:2]
	v_cmp_eq_f64_e64 s[2:3], s[10:11], v[3:4]
	s_andn2_b64 s[6:7], s[6:7], exec
	s_and_b64 s[2:3], vcc, s[2:3]
	s_and_b64 s[2:3], s[2:3], exec
	s_or_b64 s[6:7], s[6:7], s[2:3]
.LBB124_27:
	v_cndmask_b32_e64 v6, 0, 1, s[6:7]
.LBB124_28:
	s_or_b64 exec, exec, s[4:5]
	s_and_saveexec_b64 s[2:3], s[0:1]
	s_xor_b64 s[0:1], exec, s[2:3]
	s_cbranch_execz .LBB124_30
; %bb.29:
	v_mov_b32_e32 v0, v13
	global_store_byte v17, v18, s[12:13]
.LBB124_30:
	s_or_b64 exec, exec, s[0:1]
	v_cmp_gt_i32_e32 vcc, s17, v0
	s_and_saveexec_b64 s[0:1], vcc
	s_cbranch_execnz .LBB124_34
; %bb.31:
	s_or_b64 exec, exec, s[0:1]
	v_cmp_gt_i32_e32 vcc, s17, v0
	s_and_saveexec_b64 s[0:1], vcc
	s_cbranch_execnz .LBB124_35
.LBB124_32:
	s_or_b64 exec, exec, s[0:1]
	v_cmp_gt_i32_e32 vcc, s17, v0
	s_and_saveexec_b64 s[0:1], vcc
	s_cbranch_execnz .LBB124_36
.LBB124_33:
	s_endpgm
.LBB124_34:
	v_add_u32_e32 v1, 0x100, v0
	v_add_u32_e32 v0, s16, v0
	global_store_byte v0, v14, s[12:13]
	v_mov_b32_e32 v0, v1
	s_or_b64 exec, exec, s[0:1]
	v_cmp_gt_i32_e32 vcc, s17, v0
	s_and_saveexec_b64 s[0:1], vcc
	s_cbranch_execz .LBB124_32
.LBB124_35:
	v_add_u32_e32 v1, 0x100, v0
	v_add_u32_e32 v0, s16, v0
	global_store_byte v0, v5, s[12:13]
	v_mov_b32_e32 v0, v1
	s_or_b64 exec, exec, s[0:1]
	v_cmp_gt_i32_e32 vcc, s17, v0
	s_and_saveexec_b64 s[0:1], vcc
	s_cbranch_execz .LBB124_33
.LBB124_36:
	v_add_u32_e32 v0, s16, v0
	global_store_byte v0, v6, s[12:13]
	s_endpgm
.LBB124_37:
                                        ; implicit-def: $sgpr14_sgpr15
	s_branch .LBB124_11
.LBB124_38:
                                        ; implicit-def: $sgpr14_sgpr15
	s_branch .LBB124_16
.LBB124_39:
                                        ; implicit-def: $sgpr14_sgpr15
	s_branch .LBB124_21
.LBB124_40:
                                        ; implicit-def: $sgpr6_sgpr7
	s_branch .LBB124_26
	.section	.rodata,"a",@progbits
	.p2align	6, 0x0
	.amdhsa_kernel _ZN2at6native27unrolled_elementwise_kernelINS0_13AUnaryFunctorIN3c107complexIdEES5_bNS0_12_GLOBAL__N_116CompareEqFunctorIS5_EEEESt5arrayIPcLm2EELi4E23TrivialOffsetCalculatorILi1EjESE_NS0_6memory15LoadWithoutCastENSF_16StoreWithoutCastEEEviT_T0_T2_T3_T4_T5_
		.amdhsa_group_segment_fixed_size 0
		.amdhsa_private_segment_fixed_size 0
		.amdhsa_kernarg_size 68
		.amdhsa_user_sgpr_count 6
		.amdhsa_user_sgpr_private_segment_buffer 1
		.amdhsa_user_sgpr_dispatch_ptr 0
		.amdhsa_user_sgpr_queue_ptr 0
		.amdhsa_user_sgpr_kernarg_segment_ptr 1
		.amdhsa_user_sgpr_dispatch_id 0
		.amdhsa_user_sgpr_flat_scratch_init 0
		.amdhsa_user_sgpr_private_segment_size 0
		.amdhsa_uses_dynamic_stack 0
		.amdhsa_system_sgpr_private_segment_wavefront_offset 0
		.amdhsa_system_sgpr_workgroup_id_x 1
		.amdhsa_system_sgpr_workgroup_id_y 0
		.amdhsa_system_sgpr_workgroup_id_z 0
		.amdhsa_system_sgpr_workgroup_info 0
		.amdhsa_system_vgpr_workitem_id 0
		.amdhsa_next_free_vgpr 19
		.amdhsa_next_free_sgpr 18
		.amdhsa_reserve_vcc 1
		.amdhsa_reserve_flat_scratch 0
		.amdhsa_float_round_mode_32 0
		.amdhsa_float_round_mode_16_64 0
		.amdhsa_float_denorm_mode_32 3
		.amdhsa_float_denorm_mode_16_64 3
		.amdhsa_dx10_clamp 1
		.amdhsa_ieee_mode 1
		.amdhsa_fp16_overflow 0
		.amdhsa_exception_fp_ieee_invalid_op 0
		.amdhsa_exception_fp_denorm_src 0
		.amdhsa_exception_fp_ieee_div_zero 0
		.amdhsa_exception_fp_ieee_overflow 0
		.amdhsa_exception_fp_ieee_underflow 0
		.amdhsa_exception_fp_ieee_inexact 0
		.amdhsa_exception_int_div_zero 0
	.end_amdhsa_kernel
	.section	.text._ZN2at6native27unrolled_elementwise_kernelINS0_13AUnaryFunctorIN3c107complexIdEES5_bNS0_12_GLOBAL__N_116CompareEqFunctorIS5_EEEESt5arrayIPcLm2EELi4E23TrivialOffsetCalculatorILi1EjESE_NS0_6memory15LoadWithoutCastENSF_16StoreWithoutCastEEEviT_T0_T2_T3_T4_T5_,"axG",@progbits,_ZN2at6native27unrolled_elementwise_kernelINS0_13AUnaryFunctorIN3c107complexIdEES5_bNS0_12_GLOBAL__N_116CompareEqFunctorIS5_EEEESt5arrayIPcLm2EELi4E23TrivialOffsetCalculatorILi1EjESE_NS0_6memory15LoadWithoutCastENSF_16StoreWithoutCastEEEviT_T0_T2_T3_T4_T5_,comdat
.Lfunc_end124:
	.size	_ZN2at6native27unrolled_elementwise_kernelINS0_13AUnaryFunctorIN3c107complexIdEES5_bNS0_12_GLOBAL__N_116CompareEqFunctorIS5_EEEESt5arrayIPcLm2EELi4E23TrivialOffsetCalculatorILi1EjESE_NS0_6memory15LoadWithoutCastENSF_16StoreWithoutCastEEEviT_T0_T2_T3_T4_T5_, .Lfunc_end124-_ZN2at6native27unrolled_elementwise_kernelINS0_13AUnaryFunctorIN3c107complexIdEES5_bNS0_12_GLOBAL__N_116CompareEqFunctorIS5_EEEESt5arrayIPcLm2EELi4E23TrivialOffsetCalculatorILi1EjESE_NS0_6memory15LoadWithoutCastENSF_16StoreWithoutCastEEEviT_T0_T2_T3_T4_T5_
                                        ; -- End function
	.set _ZN2at6native27unrolled_elementwise_kernelINS0_13AUnaryFunctorIN3c107complexIdEES5_bNS0_12_GLOBAL__N_116CompareEqFunctorIS5_EEEESt5arrayIPcLm2EELi4E23TrivialOffsetCalculatorILi1EjESE_NS0_6memory15LoadWithoutCastENSF_16StoreWithoutCastEEEviT_T0_T2_T3_T4_T5_.num_vgpr, 19
	.set _ZN2at6native27unrolled_elementwise_kernelINS0_13AUnaryFunctorIN3c107complexIdEES5_bNS0_12_GLOBAL__N_116CompareEqFunctorIS5_EEEESt5arrayIPcLm2EELi4E23TrivialOffsetCalculatorILi1EjESE_NS0_6memory15LoadWithoutCastENSF_16StoreWithoutCastEEEviT_T0_T2_T3_T4_T5_.num_agpr, 0
	.set _ZN2at6native27unrolled_elementwise_kernelINS0_13AUnaryFunctorIN3c107complexIdEES5_bNS0_12_GLOBAL__N_116CompareEqFunctorIS5_EEEESt5arrayIPcLm2EELi4E23TrivialOffsetCalculatorILi1EjESE_NS0_6memory15LoadWithoutCastENSF_16StoreWithoutCastEEEviT_T0_T2_T3_T4_T5_.numbered_sgpr, 18
	.set _ZN2at6native27unrolled_elementwise_kernelINS0_13AUnaryFunctorIN3c107complexIdEES5_bNS0_12_GLOBAL__N_116CompareEqFunctorIS5_EEEESt5arrayIPcLm2EELi4E23TrivialOffsetCalculatorILi1EjESE_NS0_6memory15LoadWithoutCastENSF_16StoreWithoutCastEEEviT_T0_T2_T3_T4_T5_.num_named_barrier, 0
	.set _ZN2at6native27unrolled_elementwise_kernelINS0_13AUnaryFunctorIN3c107complexIdEES5_bNS0_12_GLOBAL__N_116CompareEqFunctorIS5_EEEESt5arrayIPcLm2EELi4E23TrivialOffsetCalculatorILi1EjESE_NS0_6memory15LoadWithoutCastENSF_16StoreWithoutCastEEEviT_T0_T2_T3_T4_T5_.private_seg_size, 0
	.set _ZN2at6native27unrolled_elementwise_kernelINS0_13AUnaryFunctorIN3c107complexIdEES5_bNS0_12_GLOBAL__N_116CompareEqFunctorIS5_EEEESt5arrayIPcLm2EELi4E23TrivialOffsetCalculatorILi1EjESE_NS0_6memory15LoadWithoutCastENSF_16StoreWithoutCastEEEviT_T0_T2_T3_T4_T5_.uses_vcc, 1
	.set _ZN2at6native27unrolled_elementwise_kernelINS0_13AUnaryFunctorIN3c107complexIdEES5_bNS0_12_GLOBAL__N_116CompareEqFunctorIS5_EEEESt5arrayIPcLm2EELi4E23TrivialOffsetCalculatorILi1EjESE_NS0_6memory15LoadWithoutCastENSF_16StoreWithoutCastEEEviT_T0_T2_T3_T4_T5_.uses_flat_scratch, 0
	.set _ZN2at6native27unrolled_elementwise_kernelINS0_13AUnaryFunctorIN3c107complexIdEES5_bNS0_12_GLOBAL__N_116CompareEqFunctorIS5_EEEESt5arrayIPcLm2EELi4E23TrivialOffsetCalculatorILi1EjESE_NS0_6memory15LoadWithoutCastENSF_16StoreWithoutCastEEEviT_T0_T2_T3_T4_T5_.has_dyn_sized_stack, 0
	.set _ZN2at6native27unrolled_elementwise_kernelINS0_13AUnaryFunctorIN3c107complexIdEES5_bNS0_12_GLOBAL__N_116CompareEqFunctorIS5_EEEESt5arrayIPcLm2EELi4E23TrivialOffsetCalculatorILi1EjESE_NS0_6memory15LoadWithoutCastENSF_16StoreWithoutCastEEEviT_T0_T2_T3_T4_T5_.has_recursion, 0
	.set _ZN2at6native27unrolled_elementwise_kernelINS0_13AUnaryFunctorIN3c107complexIdEES5_bNS0_12_GLOBAL__N_116CompareEqFunctorIS5_EEEESt5arrayIPcLm2EELi4E23TrivialOffsetCalculatorILi1EjESE_NS0_6memory15LoadWithoutCastENSF_16StoreWithoutCastEEEviT_T0_T2_T3_T4_T5_.has_indirect_call, 0
	.section	.AMDGPU.csdata,"",@progbits
; Kernel info:
; codeLenInByte = 908
; TotalNumSgprs: 22
; NumVgprs: 19
; ScratchSize: 0
; MemoryBound: 0
; FloatMode: 240
; IeeeMode: 1
; LDSByteSize: 0 bytes/workgroup (compile time only)
; SGPRBlocks: 2
; VGPRBlocks: 4
; NumSGPRsForWavesPerEU: 22
; NumVGPRsForWavesPerEU: 19
; Occupancy: 10
; WaveLimiterHint : 0
; COMPUTE_PGM_RSRC2:SCRATCH_EN: 0
; COMPUTE_PGM_RSRC2:USER_SGPR: 6
; COMPUTE_PGM_RSRC2:TRAP_HANDLER: 0
; COMPUTE_PGM_RSRC2:TGID_X_EN: 1
; COMPUTE_PGM_RSRC2:TGID_Y_EN: 0
; COMPUTE_PGM_RSRC2:TGID_Z_EN: 0
; COMPUTE_PGM_RSRC2:TIDIG_COMP_CNT: 0
	.section	.text._ZN2at6native32elementwise_kernel_manual_unrollILi128ELi8EZNS0_22gpu_kernel_impl_nocastINS0_13AUnaryFunctorIN3c107complexIdEES6_bNS0_12_GLOBAL__N_116CompareEqFunctorIS6_EEEEEEvRNS_18TensorIteratorBaseERKT_EUlibE_EEviT1_,"axG",@progbits,_ZN2at6native32elementwise_kernel_manual_unrollILi128ELi8EZNS0_22gpu_kernel_impl_nocastINS0_13AUnaryFunctorIN3c107complexIdEES6_bNS0_12_GLOBAL__N_116CompareEqFunctorIS6_EEEEEEvRNS_18TensorIteratorBaseERKT_EUlibE_EEviT1_,comdat
	.globl	_ZN2at6native32elementwise_kernel_manual_unrollILi128ELi8EZNS0_22gpu_kernel_impl_nocastINS0_13AUnaryFunctorIN3c107complexIdEES6_bNS0_12_GLOBAL__N_116CompareEqFunctorIS6_EEEEEEvRNS_18TensorIteratorBaseERKT_EUlibE_EEviT1_ ; -- Begin function _ZN2at6native32elementwise_kernel_manual_unrollILi128ELi8EZNS0_22gpu_kernel_impl_nocastINS0_13AUnaryFunctorIN3c107complexIdEES6_bNS0_12_GLOBAL__N_116CompareEqFunctorIS6_EEEEEEvRNS_18TensorIteratorBaseERKT_EUlibE_EEviT1_
	.p2align	8
	.type	_ZN2at6native32elementwise_kernel_manual_unrollILi128ELi8EZNS0_22gpu_kernel_impl_nocastINS0_13AUnaryFunctorIN3c107complexIdEES6_bNS0_12_GLOBAL__N_116CompareEqFunctorIS6_EEEEEEvRNS_18TensorIteratorBaseERKT_EUlibE_EEviT1_,@function
_ZN2at6native32elementwise_kernel_manual_unrollILi128ELi8EZNS0_22gpu_kernel_impl_nocastINS0_13AUnaryFunctorIN3c107complexIdEES6_bNS0_12_GLOBAL__N_116CompareEqFunctorIS6_EEEEEEvRNS_18TensorIteratorBaseERKT_EUlibE_EEviT1_: ; @_ZN2at6native32elementwise_kernel_manual_unrollILi128ELi8EZNS0_22gpu_kernel_impl_nocastINS0_13AUnaryFunctorIN3c107complexIdEES6_bNS0_12_GLOBAL__N_116CompareEqFunctorIS6_EEEEEEvRNS_18TensorIteratorBaseERKT_EUlibE_EEviT1_
; %bb.0:
	s_load_dword s61, s[4:5], 0x0
	s_load_dword s33, s[4:5], 0x10
	s_add_u32 s34, s4, 16
	s_addc_u32 s35, s5, 0
	v_lshl_or_b32 v21, s6, 10, v0
	v_or_b32_e32 v2, 0x380, v21
	s_waitcnt lgkmcnt(0)
	s_add_i32 s60, s33, -1
	s_cmp_gt_u32 s60, 1
	v_cmp_le_i32_e32 vcc, s61, v2
	s_cselect_b64 s[40:41], -1, 0
	s_and_saveexec_b64 s[0:1], vcc
	s_xor_b64 s[42:43], exec, s[0:1]
	s_cbranch_execz .LBB125_161
; %bb.1:
	s_load_dwordx4 s[24:27], s[34:35], 0x4
	s_load_dwordx2 s[46:47], s[34:35], 0x14
	s_load_dwordx4 s[20:23], s[34:35], 0x170
	s_load_dword s0, s[34:35], 0x160
	s_cmp_lg_u32 s33, 0
	s_cselect_b64 s[52:53], -1, 0
	s_add_u32 s50, s34, 0xc4
	s_load_dwordx4 s[28:31], s[34:35], 0xc4
	s_load_dwordx4 s[16:19], s[34:35], 0x148
	s_addc_u32 s51, s35, 0
	s_min_u32 s62, s60, 15
	s_cmp_gt_u32 s33, 1
	s_cselect_b64 s[48:49], -1, 0
	s_waitcnt lgkmcnt(0)
	s_cmp_lg_u32 s0, 0
	s_cselect_b64 s[44:45], -1, 0
	v_cmp_gt_i32_e32 vcc, s61, v21
	s_and_saveexec_b64 s[54:55], vcc
	s_cbranch_execnz .LBB125_9
; %bb.2:
	s_or_b64 exec, exec, s[54:55]
	v_cmp_gt_i32_e32 vcc, s61, v21
	s_and_saveexec_b64 s[54:55], vcc
	s_cbranch_execnz .LBB125_27
.LBB125_3:
	s_or_b64 exec, exec, s[54:55]
	v_cmp_gt_i32_e32 vcc, s61, v21
	s_and_saveexec_b64 s[54:55], vcc
	s_cbranch_execnz .LBB125_46
.LBB125_4:
	s_or_b64 exec, exec, s[54:55]
	v_cmp_gt_i32_e32 vcc, s61, v21
	s_and_saveexec_b64 s[54:55], vcc
	s_cbranch_execnz .LBB125_65
.LBB125_5:
	s_or_b64 exec, exec, s[54:55]
	v_cmp_gt_i32_e32 vcc, s61, v21
	s_and_saveexec_b64 s[54:55], vcc
	s_cbranch_execnz .LBB125_84
.LBB125_6:
	s_or_b64 exec, exec, s[54:55]
	v_cmp_gt_i32_e32 vcc, s61, v21
	s_and_saveexec_b64 s[54:55], vcc
	s_cbranch_execnz .LBB125_103
.LBB125_7:
	s_or_b64 exec, exec, s[54:55]
	v_cmp_gt_i32_e32 vcc, s61, v21
	s_and_saveexec_b64 s[54:55], vcc
	s_cbranch_execnz .LBB125_122
.LBB125_8:
	s_or_b64 exec, exec, s[54:55]
	v_cmp_gt_i32_e32 vcc, s61, v21
	s_and_saveexec_b64 s[54:55], vcc
	s_cbranch_execnz .LBB125_141
	s_branch .LBB125_160
.LBB125_9:
	s_andn2_b64 vcc, exec, s[40:41]
	s_cbranch_vccnz .LBB125_14
; %bb.10:
	s_andn2_b64 vcc, exec, s[52:53]
	s_cbranch_vccnz .LBB125_15
; %bb.11:
	s_add_i32 s64, s62, 1
	s_cmp_eq_u32 s60, 2
	s_cbranch_scc1 .LBB125_16
; %bb.12:
	s_and_b32 s63, s64, 28
	v_mov_b32_e32 v0, 0
	s_mov_b32 s65, 0
	s_mov_b64 s[56:57], s[34:35]
	s_mov_b64 s[58:59], s[50:51]
	v_mov_b32_e32 v4, 0
	v_mov_b32_e32 v1, v21
.LBB125_13:                             ; =>This Inner Loop Header: Depth=1
	s_load_dwordx8 s[8:15], s[56:57], 0x4
	s_load_dwordx4 s[36:39], s[56:57], 0x24
	s_load_dwordx8 s[0:7], s[58:59], 0x0
	s_add_u32 s56, s56, 48
	s_addc_u32 s57, s57, 0
	s_waitcnt lgkmcnt(0)
	v_mul_hi_u32 v2, s9, v1
	s_add_i32 s65, s65, 4
	s_add_u32 s58, s58, 32
	s_addc_u32 s59, s59, 0
	v_add_u32_e32 v2, v1, v2
	v_lshrrev_b32_e32 v2, s10, v2
	v_mul_lo_u32 v3, v2, s8
	v_mul_hi_u32 v5, s12, v2
	s_cmp_lg_u32 s63, s65
	v_sub_u32_e32 v1, v1, v3
	v_add_u32_e32 v3, v2, v5
	v_mul_lo_u32 v5, v1, s0
	v_mul_lo_u32 v6, v1, s1
	v_lshrrev_b32_e32 v1, s13, v3
	v_mul_lo_u32 v3, v1, s11
	v_mul_hi_u32 v7, s15, v1
	v_sub_u32_e32 v2, v2, v3
	v_add_u32_e32 v3, v1, v7
	v_lshrrev_b32_e32 v3, s36, v3
	v_mul_hi_u32 v8, s38, v3
	v_mul_lo_u32 v9, v3, s14
	v_mul_lo_u32 v7, v2, s2
	;; [unrolled: 1-line block ×3, first 2 shown]
	v_sub_u32_e32 v9, v1, v9
	v_add_u32_e32 v1, v3, v8
	v_lshrrev_b32_e32 v1, s39, v1
	v_mul_lo_u32 v8, v1, s37
	v_mul_lo_u32 v10, v9, s4
	;; [unrolled: 1-line block ×3, first 2 shown]
	v_add3_u32 v4, v5, v4, v7
	v_sub_u32_e32 v3, v3, v8
	v_mul_lo_u32 v8, v3, s6
	v_mul_lo_u32 v3, v3, s7
	v_add3_u32 v0, v6, v0, v2
	v_add3_u32 v4, v10, v4, v8
	;; [unrolled: 1-line block ×3, first 2 shown]
	s_cbranch_scc1 .LBB125_13
	s_branch .LBB125_17
.LBB125_14:
                                        ; implicit-def: $vgpr4
                                        ; implicit-def: $vgpr0
	s_branch .LBB125_21
.LBB125_15:
	v_mov_b32_e32 v4, 0
	v_mov_b32_e32 v0, 0
	s_branch .LBB125_20
.LBB125_16:
	s_mov_b32 s63, 0
	v_mov_b32_e32 v4, 0
	v_mov_b32_e32 v0, 0
	;; [unrolled: 1-line block ×3, first 2 shown]
.LBB125_17:
	s_and_b32 s4, s64, 3
	s_cmp_eq_u32 s4, 0
	s_cbranch_scc1 .LBB125_20
; %bb.18:
	s_lshl_b32 s0, s63, 3
	s_add_u32 s0, s34, s0
	s_addc_u32 s1, s35, 0
	s_add_u32 s0, s0, 0xc4
	s_addc_u32 s1, s1, 0
	s_mul_i32 s2, s63, 12
	s_add_u32 s2, s34, s2
	s_addc_u32 s3, s35, 0
.LBB125_19:                             ; =>This Inner Loop Header: Depth=1
	s_load_dwordx2 s[6:7], s[2:3], 0x4
	s_load_dword s5, s[2:3], 0xc
	s_load_dwordx2 s[8:9], s[0:1], 0x0
	s_add_u32 s2, s2, 12
	s_addc_u32 s3, s3, 0
	s_waitcnt lgkmcnt(0)
	v_mul_hi_u32 v2, s7, v1
	s_add_u32 s0, s0, 8
	s_addc_u32 s1, s1, 0
	s_add_i32 s4, s4, -1
	v_add_u32_e32 v2, v1, v2
	v_lshrrev_b32_e32 v2, s5, v2
	v_mul_lo_u32 v3, v2, s6
	s_cmp_lg_u32 s4, 0
	v_sub_u32_e32 v1, v1, v3
	v_mad_u64_u32 v[4:5], s[6:7], v1, s8, v[4:5]
	v_mad_u64_u32 v[0:1], s[6:7], v1, s9, v[0:1]
	v_mov_b32_e32 v1, v2
	s_cbranch_scc1 .LBB125_19
.LBB125_20:
	s_cbranch_execnz .LBB125_23
.LBB125_21:
	v_mul_hi_u32 v0, s25, v21
	s_andn2_b64 vcc, exec, s[48:49]
	v_add_u32_e32 v0, v21, v0
	v_lshrrev_b32_e32 v1, s26, v0
	v_mul_lo_u32 v0, v1, s24
	v_sub_u32_e32 v0, v21, v0
	v_mul_lo_u32 v4, v0, s28
	v_mul_lo_u32 v0, v0, s29
	s_cbranch_vccnz .LBB125_23
; %bb.22:
	v_mul_hi_u32 v2, s46, v1
	v_add_u32_e32 v2, v1, v2
	v_lshrrev_b32_e32 v2, s47, v2
	v_mul_lo_u32 v2, v2, s27
	v_sub_u32_e32 v1, v1, v2
	v_mad_u64_u32 v[4:5], s[0:1], v1, s30, v[4:5]
	v_mad_u64_u32 v[0:1], s[0:1], v1, s31, v[0:1]
.LBB125_23:
	global_load_dwordx4 v[0:3], v0, s[18:19]
	s_and_b64 vcc, exec, s[44:45]
	s_cbranch_vccz .LBB125_33
; %bb.24:
	s_waitcnt vmcnt(0)
	v_cmp_neq_f64_e32 vcc, s[20:21], v[0:1]
	v_cmp_neq_f64_e64 s[0:1], s[22:23], v[2:3]
	s_or_b64 s[2:3], vcc, s[0:1]
	s_cbranch_execnz .LBB125_26
.LBB125_25:
	s_waitcnt vmcnt(0)
	v_cmp_eq_f64_e32 vcc, s[20:21], v[0:1]
	v_cmp_eq_f64_e64 s[0:1], s[22:23], v[2:3]
	s_andn2_b64 s[2:3], s[2:3], exec
	s_and_b64 s[0:1], vcc, s[0:1]
	s_and_b64 s[0:1], s[0:1], exec
	s_or_b64 s[2:3], s[2:3], s[0:1]
.LBB125_26:
	s_waitcnt vmcnt(0)
	v_cndmask_b32_e64 v0, 0, 1, s[2:3]
	v_add_u32_e32 v21, 0x80, v21
	global_store_byte v4, v0, s[16:17]
	s_or_b64 exec, exec, s[54:55]
	v_cmp_gt_i32_e32 vcc, s61, v21
	s_and_saveexec_b64 s[54:55], vcc
	s_cbranch_execz .LBB125_3
.LBB125_27:
	s_andn2_b64 vcc, exec, s[40:41]
	s_cbranch_vccnz .LBB125_32
; %bb.28:
	s_andn2_b64 vcc, exec, s[52:53]
	s_cbranch_vccnz .LBB125_34
; %bb.29:
	s_add_i32 s64, s62, 1
	s_cmp_eq_u32 s60, 2
	s_cbranch_scc1 .LBB125_35
; %bb.30:
	s_and_b32 s63, s64, 28
	v_mov_b32_e32 v0, 0
	s_mov_b32 s65, 0
	s_mov_b64 s[56:57], s[34:35]
	s_mov_b64 s[58:59], s[50:51]
	v_mov_b32_e32 v4, 0
	v_mov_b32_e32 v1, v21
.LBB125_31:                             ; =>This Inner Loop Header: Depth=1
	s_load_dwordx8 s[8:15], s[56:57], 0x4
	s_load_dwordx4 s[36:39], s[56:57], 0x24
	s_load_dwordx8 s[0:7], s[58:59], 0x0
	s_add_u32 s56, s56, 48
	s_addc_u32 s57, s57, 0
	s_waitcnt lgkmcnt(0)
	v_mul_hi_u32 v2, s9, v1
	s_add_i32 s65, s65, 4
	s_add_u32 s58, s58, 32
	s_addc_u32 s59, s59, 0
	v_add_u32_e32 v2, v1, v2
	v_lshrrev_b32_e32 v2, s10, v2
	v_mul_lo_u32 v3, v2, s8
	v_mul_hi_u32 v5, s12, v2
	s_cmp_eq_u32 s63, s65
	v_sub_u32_e32 v1, v1, v3
	v_add_u32_e32 v3, v2, v5
	v_mul_lo_u32 v5, v1, s0
	v_mul_lo_u32 v6, v1, s1
	v_lshrrev_b32_e32 v1, s13, v3
	v_mul_lo_u32 v3, v1, s11
	v_mul_hi_u32 v7, s15, v1
	v_sub_u32_e32 v2, v2, v3
	v_add_u32_e32 v3, v1, v7
	v_lshrrev_b32_e32 v3, s36, v3
	v_mul_hi_u32 v8, s38, v3
	v_mul_lo_u32 v9, v3, s14
	v_mul_lo_u32 v7, v2, s2
	;; [unrolled: 1-line block ×3, first 2 shown]
	v_sub_u32_e32 v9, v1, v9
	v_add_u32_e32 v1, v3, v8
	v_lshrrev_b32_e32 v1, s39, v1
	v_mul_lo_u32 v8, v1, s37
	v_mul_lo_u32 v10, v9, s4
	;; [unrolled: 1-line block ×3, first 2 shown]
	v_add3_u32 v4, v5, v4, v7
	v_sub_u32_e32 v3, v3, v8
	v_mul_lo_u32 v8, v3, s6
	v_mul_lo_u32 v3, v3, s7
	v_add3_u32 v0, v6, v0, v2
	v_add3_u32 v4, v10, v4, v8
	;; [unrolled: 1-line block ×3, first 2 shown]
	s_cbranch_scc0 .LBB125_31
	s_branch .LBB125_36
.LBB125_32:
                                        ; implicit-def: $vgpr4
                                        ; implicit-def: $vgpr0
	s_branch .LBB125_40
.LBB125_33:
                                        ; implicit-def: $sgpr2_sgpr3
	s_branch .LBB125_25
.LBB125_34:
	v_mov_b32_e32 v4, 0
	v_mov_b32_e32 v0, 0
	s_branch .LBB125_39
.LBB125_35:
	s_mov_b32 s63, 0
	v_mov_b32_e32 v4, 0
	v_mov_b32_e32 v0, 0
	;; [unrolled: 1-line block ×3, first 2 shown]
.LBB125_36:
	s_and_b32 s4, s64, 3
	s_cmp_eq_u32 s4, 0
	s_cbranch_scc1 .LBB125_39
; %bb.37:
	s_lshl_b32 s0, s63, 3
	s_add_u32 s0, s34, s0
	s_addc_u32 s1, s35, 0
	s_add_u32 s0, s0, 0xc4
	s_addc_u32 s1, s1, 0
	s_mul_i32 s2, s63, 12
	s_add_u32 s2, s34, s2
	s_addc_u32 s3, s35, 0
.LBB125_38:                             ; =>This Inner Loop Header: Depth=1
	s_load_dwordx2 s[6:7], s[2:3], 0x4
	s_load_dword s5, s[2:3], 0xc
	s_load_dwordx2 s[8:9], s[0:1], 0x0
	s_add_u32 s2, s2, 12
	s_addc_u32 s3, s3, 0
	s_waitcnt lgkmcnt(0)
	v_mul_hi_u32 v2, s7, v1
	s_add_u32 s0, s0, 8
	s_addc_u32 s1, s1, 0
	s_add_i32 s4, s4, -1
	v_add_u32_e32 v2, v1, v2
	v_lshrrev_b32_e32 v2, s5, v2
	v_mul_lo_u32 v3, v2, s6
	s_cmp_lg_u32 s4, 0
	v_sub_u32_e32 v1, v1, v3
	v_mad_u64_u32 v[4:5], s[6:7], v1, s8, v[4:5]
	v_mad_u64_u32 v[0:1], s[6:7], v1, s9, v[0:1]
	v_mov_b32_e32 v1, v2
	s_cbranch_scc1 .LBB125_38
.LBB125_39:
	s_cbranch_execnz .LBB125_42
.LBB125_40:
	v_mul_hi_u32 v0, s25, v21
	s_andn2_b64 vcc, exec, s[48:49]
	v_add_u32_e32 v0, v21, v0
	v_lshrrev_b32_e32 v1, s26, v0
	v_mul_lo_u32 v0, v1, s24
	v_sub_u32_e32 v0, v21, v0
	v_mul_lo_u32 v4, v0, s28
	v_mul_lo_u32 v0, v0, s29
	s_cbranch_vccnz .LBB125_42
; %bb.41:
	v_mul_hi_u32 v2, s46, v1
	v_add_u32_e32 v2, v1, v2
	v_lshrrev_b32_e32 v2, s47, v2
	v_mul_lo_u32 v2, v2, s27
	v_sub_u32_e32 v1, v1, v2
	v_mad_u64_u32 v[4:5], s[0:1], v1, s30, v[4:5]
	v_mad_u64_u32 v[0:1], s[0:1], v1, s31, v[0:1]
.LBB125_42:
	global_load_dwordx4 v[0:3], v0, s[18:19]
	s_andn2_b64 vcc, exec, s[44:45]
	s_cbranch_vccnz .LBB125_52
; %bb.43:
	s_waitcnt vmcnt(0)
	v_cmp_neq_f64_e32 vcc, s[20:21], v[0:1]
	v_cmp_neq_f64_e64 s[0:1], s[22:23], v[2:3]
	s_or_b64 s[2:3], vcc, s[0:1]
	s_cbranch_execnz .LBB125_45
.LBB125_44:
	s_waitcnt vmcnt(0)
	v_cmp_eq_f64_e32 vcc, s[20:21], v[0:1]
	v_cmp_eq_f64_e64 s[0:1], s[22:23], v[2:3]
	s_andn2_b64 s[2:3], s[2:3], exec
	s_and_b64 s[0:1], vcc, s[0:1]
	s_and_b64 s[0:1], s[0:1], exec
	s_or_b64 s[2:3], s[2:3], s[0:1]
.LBB125_45:
	s_waitcnt vmcnt(0)
	v_cndmask_b32_e64 v0, 0, 1, s[2:3]
	v_add_u32_e32 v21, 0x80, v21
	global_store_byte v4, v0, s[16:17]
	s_or_b64 exec, exec, s[54:55]
	v_cmp_gt_i32_e32 vcc, s61, v21
	s_and_saveexec_b64 s[54:55], vcc
	s_cbranch_execz .LBB125_4
.LBB125_46:
	s_andn2_b64 vcc, exec, s[40:41]
	s_cbranch_vccnz .LBB125_51
; %bb.47:
	s_andn2_b64 vcc, exec, s[52:53]
	s_cbranch_vccnz .LBB125_53
; %bb.48:
	s_add_i32 s64, s62, 1
	s_cmp_eq_u32 s60, 2
	s_cbranch_scc1 .LBB125_54
; %bb.49:
	s_and_b32 s63, s64, 28
	v_mov_b32_e32 v0, 0
	s_mov_b32 s65, 0
	s_mov_b64 s[56:57], s[34:35]
	s_mov_b64 s[58:59], s[50:51]
	v_mov_b32_e32 v4, 0
	v_mov_b32_e32 v1, v21
.LBB125_50:                             ; =>This Inner Loop Header: Depth=1
	s_load_dwordx8 s[8:15], s[56:57], 0x4
	s_load_dwordx4 s[36:39], s[56:57], 0x24
	s_load_dwordx8 s[0:7], s[58:59], 0x0
	s_add_u32 s56, s56, 48
	s_addc_u32 s57, s57, 0
	s_waitcnt lgkmcnt(0)
	v_mul_hi_u32 v2, s9, v1
	s_add_i32 s65, s65, 4
	s_add_u32 s58, s58, 32
	s_addc_u32 s59, s59, 0
	v_add_u32_e32 v2, v1, v2
	v_lshrrev_b32_e32 v2, s10, v2
	v_mul_lo_u32 v3, v2, s8
	v_mul_hi_u32 v5, s12, v2
	s_cmp_eq_u32 s63, s65
	v_sub_u32_e32 v1, v1, v3
	v_add_u32_e32 v3, v2, v5
	v_mul_lo_u32 v5, v1, s0
	v_mul_lo_u32 v6, v1, s1
	v_lshrrev_b32_e32 v1, s13, v3
	v_mul_lo_u32 v3, v1, s11
	v_mul_hi_u32 v7, s15, v1
	v_sub_u32_e32 v2, v2, v3
	v_add_u32_e32 v3, v1, v7
	v_lshrrev_b32_e32 v3, s36, v3
	v_mul_hi_u32 v8, s38, v3
	v_mul_lo_u32 v9, v3, s14
	v_mul_lo_u32 v7, v2, s2
	;; [unrolled: 1-line block ×3, first 2 shown]
	v_sub_u32_e32 v9, v1, v9
	v_add_u32_e32 v1, v3, v8
	v_lshrrev_b32_e32 v1, s39, v1
	v_mul_lo_u32 v8, v1, s37
	v_mul_lo_u32 v10, v9, s4
	;; [unrolled: 1-line block ×3, first 2 shown]
	v_add3_u32 v4, v5, v4, v7
	v_sub_u32_e32 v3, v3, v8
	v_mul_lo_u32 v8, v3, s6
	v_mul_lo_u32 v3, v3, s7
	v_add3_u32 v0, v6, v0, v2
	v_add3_u32 v4, v10, v4, v8
	;; [unrolled: 1-line block ×3, first 2 shown]
	s_cbranch_scc0 .LBB125_50
	s_branch .LBB125_55
.LBB125_51:
                                        ; implicit-def: $vgpr4
                                        ; implicit-def: $vgpr0
	s_branch .LBB125_59
.LBB125_52:
                                        ; implicit-def: $sgpr2_sgpr3
	s_branch .LBB125_44
.LBB125_53:
	v_mov_b32_e32 v4, 0
	v_mov_b32_e32 v0, 0
	s_branch .LBB125_58
.LBB125_54:
	s_mov_b32 s63, 0
	v_mov_b32_e32 v4, 0
	v_mov_b32_e32 v0, 0
	;; [unrolled: 1-line block ×3, first 2 shown]
.LBB125_55:
	s_and_b32 s4, s64, 3
	s_cmp_eq_u32 s4, 0
	s_cbranch_scc1 .LBB125_58
; %bb.56:
	s_lshl_b32 s0, s63, 3
	s_add_u32 s0, s34, s0
	s_addc_u32 s1, s35, 0
	s_add_u32 s0, s0, 0xc4
	s_addc_u32 s1, s1, 0
	s_mul_i32 s2, s63, 12
	s_add_u32 s2, s34, s2
	s_addc_u32 s3, s35, 0
.LBB125_57:                             ; =>This Inner Loop Header: Depth=1
	s_load_dwordx2 s[6:7], s[2:3], 0x4
	s_load_dword s5, s[2:3], 0xc
	s_load_dwordx2 s[8:9], s[0:1], 0x0
	s_add_u32 s2, s2, 12
	s_addc_u32 s3, s3, 0
	s_waitcnt lgkmcnt(0)
	v_mul_hi_u32 v2, s7, v1
	s_add_u32 s0, s0, 8
	s_addc_u32 s1, s1, 0
	s_add_i32 s4, s4, -1
	v_add_u32_e32 v2, v1, v2
	v_lshrrev_b32_e32 v2, s5, v2
	v_mul_lo_u32 v3, v2, s6
	s_cmp_lg_u32 s4, 0
	v_sub_u32_e32 v1, v1, v3
	v_mad_u64_u32 v[4:5], s[6:7], v1, s8, v[4:5]
	v_mad_u64_u32 v[0:1], s[6:7], v1, s9, v[0:1]
	v_mov_b32_e32 v1, v2
	s_cbranch_scc1 .LBB125_57
.LBB125_58:
	s_cbranch_execnz .LBB125_61
.LBB125_59:
	v_mul_hi_u32 v0, s25, v21
	s_andn2_b64 vcc, exec, s[48:49]
	v_add_u32_e32 v0, v21, v0
	v_lshrrev_b32_e32 v1, s26, v0
	v_mul_lo_u32 v0, v1, s24
	v_sub_u32_e32 v0, v21, v0
	v_mul_lo_u32 v4, v0, s28
	v_mul_lo_u32 v0, v0, s29
	s_cbranch_vccnz .LBB125_61
; %bb.60:
	v_mul_hi_u32 v2, s46, v1
	v_add_u32_e32 v2, v1, v2
	v_lshrrev_b32_e32 v2, s47, v2
	v_mul_lo_u32 v2, v2, s27
	v_sub_u32_e32 v1, v1, v2
	v_mad_u64_u32 v[4:5], s[0:1], v1, s30, v[4:5]
	v_mad_u64_u32 v[0:1], s[0:1], v1, s31, v[0:1]
.LBB125_61:
	global_load_dwordx4 v[0:3], v0, s[18:19]
	s_andn2_b64 vcc, exec, s[44:45]
	s_cbranch_vccnz .LBB125_71
; %bb.62:
	s_waitcnt vmcnt(0)
	v_cmp_neq_f64_e32 vcc, s[20:21], v[0:1]
	v_cmp_neq_f64_e64 s[0:1], s[22:23], v[2:3]
	s_or_b64 s[2:3], vcc, s[0:1]
	s_cbranch_execnz .LBB125_64
.LBB125_63:
	s_waitcnt vmcnt(0)
	v_cmp_eq_f64_e32 vcc, s[20:21], v[0:1]
	v_cmp_eq_f64_e64 s[0:1], s[22:23], v[2:3]
	s_andn2_b64 s[2:3], s[2:3], exec
	s_and_b64 s[0:1], vcc, s[0:1]
	s_and_b64 s[0:1], s[0:1], exec
	s_or_b64 s[2:3], s[2:3], s[0:1]
.LBB125_64:
	s_waitcnt vmcnt(0)
	v_cndmask_b32_e64 v0, 0, 1, s[2:3]
	v_add_u32_e32 v21, 0x80, v21
	global_store_byte v4, v0, s[16:17]
	s_or_b64 exec, exec, s[54:55]
	v_cmp_gt_i32_e32 vcc, s61, v21
	s_and_saveexec_b64 s[54:55], vcc
	s_cbranch_execz .LBB125_5
.LBB125_65:
	s_andn2_b64 vcc, exec, s[40:41]
	s_cbranch_vccnz .LBB125_70
; %bb.66:
	s_andn2_b64 vcc, exec, s[52:53]
	s_cbranch_vccnz .LBB125_72
; %bb.67:
	s_add_i32 s64, s62, 1
	s_cmp_eq_u32 s60, 2
	s_cbranch_scc1 .LBB125_73
; %bb.68:
	s_and_b32 s63, s64, 28
	v_mov_b32_e32 v0, 0
	s_mov_b32 s65, 0
	s_mov_b64 s[56:57], s[34:35]
	s_mov_b64 s[58:59], s[50:51]
	v_mov_b32_e32 v4, 0
	v_mov_b32_e32 v1, v21
.LBB125_69:                             ; =>This Inner Loop Header: Depth=1
	s_load_dwordx8 s[8:15], s[56:57], 0x4
	s_load_dwordx4 s[36:39], s[56:57], 0x24
	s_load_dwordx8 s[0:7], s[58:59], 0x0
	s_add_u32 s56, s56, 48
	s_addc_u32 s57, s57, 0
	s_waitcnt lgkmcnt(0)
	v_mul_hi_u32 v2, s9, v1
	s_add_i32 s65, s65, 4
	s_add_u32 s58, s58, 32
	s_addc_u32 s59, s59, 0
	v_add_u32_e32 v2, v1, v2
	v_lshrrev_b32_e32 v2, s10, v2
	v_mul_lo_u32 v3, v2, s8
	v_mul_hi_u32 v5, s12, v2
	s_cmp_eq_u32 s63, s65
	v_sub_u32_e32 v1, v1, v3
	v_add_u32_e32 v3, v2, v5
	v_mul_lo_u32 v5, v1, s0
	v_mul_lo_u32 v6, v1, s1
	v_lshrrev_b32_e32 v1, s13, v3
	v_mul_lo_u32 v3, v1, s11
	v_mul_hi_u32 v7, s15, v1
	v_sub_u32_e32 v2, v2, v3
	v_add_u32_e32 v3, v1, v7
	v_lshrrev_b32_e32 v3, s36, v3
	v_mul_hi_u32 v8, s38, v3
	v_mul_lo_u32 v9, v3, s14
	v_mul_lo_u32 v7, v2, s2
	;; [unrolled: 1-line block ×3, first 2 shown]
	v_sub_u32_e32 v9, v1, v9
	v_add_u32_e32 v1, v3, v8
	v_lshrrev_b32_e32 v1, s39, v1
	v_mul_lo_u32 v8, v1, s37
	v_mul_lo_u32 v10, v9, s4
	;; [unrolled: 1-line block ×3, first 2 shown]
	v_add3_u32 v4, v5, v4, v7
	v_sub_u32_e32 v3, v3, v8
	v_mul_lo_u32 v8, v3, s6
	v_mul_lo_u32 v3, v3, s7
	v_add3_u32 v0, v6, v0, v2
	v_add3_u32 v4, v10, v4, v8
	;; [unrolled: 1-line block ×3, first 2 shown]
	s_cbranch_scc0 .LBB125_69
	s_branch .LBB125_74
.LBB125_70:
                                        ; implicit-def: $vgpr4
                                        ; implicit-def: $vgpr0
	s_branch .LBB125_78
.LBB125_71:
                                        ; implicit-def: $sgpr2_sgpr3
	s_branch .LBB125_63
.LBB125_72:
	v_mov_b32_e32 v4, 0
	v_mov_b32_e32 v0, 0
	s_branch .LBB125_77
.LBB125_73:
	s_mov_b32 s63, 0
	v_mov_b32_e32 v4, 0
	v_mov_b32_e32 v0, 0
	;; [unrolled: 1-line block ×3, first 2 shown]
.LBB125_74:
	s_and_b32 s4, s64, 3
	s_cmp_eq_u32 s4, 0
	s_cbranch_scc1 .LBB125_77
; %bb.75:
	s_lshl_b32 s0, s63, 3
	s_add_u32 s0, s34, s0
	s_addc_u32 s1, s35, 0
	s_add_u32 s0, s0, 0xc4
	s_addc_u32 s1, s1, 0
	s_mul_i32 s2, s63, 12
	s_add_u32 s2, s34, s2
	s_addc_u32 s3, s35, 0
.LBB125_76:                             ; =>This Inner Loop Header: Depth=1
	s_load_dwordx2 s[6:7], s[2:3], 0x4
	s_load_dword s5, s[2:3], 0xc
	s_load_dwordx2 s[8:9], s[0:1], 0x0
	s_add_u32 s2, s2, 12
	s_addc_u32 s3, s3, 0
	s_waitcnt lgkmcnt(0)
	v_mul_hi_u32 v2, s7, v1
	s_add_u32 s0, s0, 8
	s_addc_u32 s1, s1, 0
	s_add_i32 s4, s4, -1
	v_add_u32_e32 v2, v1, v2
	v_lshrrev_b32_e32 v2, s5, v2
	v_mul_lo_u32 v3, v2, s6
	s_cmp_lg_u32 s4, 0
	v_sub_u32_e32 v1, v1, v3
	v_mad_u64_u32 v[4:5], s[6:7], v1, s8, v[4:5]
	v_mad_u64_u32 v[0:1], s[6:7], v1, s9, v[0:1]
	v_mov_b32_e32 v1, v2
	s_cbranch_scc1 .LBB125_76
.LBB125_77:
	s_cbranch_execnz .LBB125_80
.LBB125_78:
	v_mul_hi_u32 v0, s25, v21
	s_andn2_b64 vcc, exec, s[48:49]
	v_add_u32_e32 v0, v21, v0
	v_lshrrev_b32_e32 v1, s26, v0
	v_mul_lo_u32 v0, v1, s24
	v_sub_u32_e32 v0, v21, v0
	v_mul_lo_u32 v4, v0, s28
	v_mul_lo_u32 v0, v0, s29
	s_cbranch_vccnz .LBB125_80
; %bb.79:
	v_mul_hi_u32 v2, s46, v1
	v_add_u32_e32 v2, v1, v2
	v_lshrrev_b32_e32 v2, s47, v2
	v_mul_lo_u32 v2, v2, s27
	v_sub_u32_e32 v1, v1, v2
	v_mad_u64_u32 v[4:5], s[0:1], v1, s30, v[4:5]
	v_mad_u64_u32 v[0:1], s[0:1], v1, s31, v[0:1]
.LBB125_80:
	global_load_dwordx4 v[0:3], v0, s[18:19]
	s_andn2_b64 vcc, exec, s[44:45]
	s_cbranch_vccnz .LBB125_90
; %bb.81:
	s_waitcnt vmcnt(0)
	v_cmp_neq_f64_e32 vcc, s[20:21], v[0:1]
	v_cmp_neq_f64_e64 s[0:1], s[22:23], v[2:3]
	s_or_b64 s[2:3], vcc, s[0:1]
	s_cbranch_execnz .LBB125_83
.LBB125_82:
	s_waitcnt vmcnt(0)
	v_cmp_eq_f64_e32 vcc, s[20:21], v[0:1]
	v_cmp_eq_f64_e64 s[0:1], s[22:23], v[2:3]
	s_andn2_b64 s[2:3], s[2:3], exec
	s_and_b64 s[0:1], vcc, s[0:1]
	s_and_b64 s[0:1], s[0:1], exec
	s_or_b64 s[2:3], s[2:3], s[0:1]
.LBB125_83:
	s_waitcnt vmcnt(0)
	v_cndmask_b32_e64 v0, 0, 1, s[2:3]
	v_add_u32_e32 v21, 0x80, v21
	global_store_byte v4, v0, s[16:17]
	s_or_b64 exec, exec, s[54:55]
	v_cmp_gt_i32_e32 vcc, s61, v21
	s_and_saveexec_b64 s[54:55], vcc
	s_cbranch_execz .LBB125_6
.LBB125_84:
	s_andn2_b64 vcc, exec, s[40:41]
	s_cbranch_vccnz .LBB125_89
; %bb.85:
	s_andn2_b64 vcc, exec, s[52:53]
	s_cbranch_vccnz .LBB125_91
; %bb.86:
	s_add_i32 s64, s62, 1
	s_cmp_eq_u32 s60, 2
	s_cbranch_scc1 .LBB125_92
; %bb.87:
	s_and_b32 s63, s64, 28
	v_mov_b32_e32 v0, 0
	s_mov_b32 s65, 0
	s_mov_b64 s[56:57], s[34:35]
	s_mov_b64 s[58:59], s[50:51]
	v_mov_b32_e32 v4, 0
	v_mov_b32_e32 v1, v21
.LBB125_88:                             ; =>This Inner Loop Header: Depth=1
	s_load_dwordx8 s[8:15], s[56:57], 0x4
	s_load_dwordx4 s[36:39], s[56:57], 0x24
	s_load_dwordx8 s[0:7], s[58:59], 0x0
	s_add_u32 s56, s56, 48
	s_addc_u32 s57, s57, 0
	s_waitcnt lgkmcnt(0)
	v_mul_hi_u32 v2, s9, v1
	s_add_i32 s65, s65, 4
	s_add_u32 s58, s58, 32
	s_addc_u32 s59, s59, 0
	v_add_u32_e32 v2, v1, v2
	v_lshrrev_b32_e32 v2, s10, v2
	v_mul_lo_u32 v3, v2, s8
	v_mul_hi_u32 v5, s12, v2
	s_cmp_eq_u32 s63, s65
	v_sub_u32_e32 v1, v1, v3
	v_add_u32_e32 v3, v2, v5
	v_mul_lo_u32 v5, v1, s0
	v_mul_lo_u32 v6, v1, s1
	v_lshrrev_b32_e32 v1, s13, v3
	v_mul_lo_u32 v3, v1, s11
	v_mul_hi_u32 v7, s15, v1
	v_sub_u32_e32 v2, v2, v3
	v_add_u32_e32 v3, v1, v7
	v_lshrrev_b32_e32 v3, s36, v3
	v_mul_hi_u32 v8, s38, v3
	v_mul_lo_u32 v9, v3, s14
	v_mul_lo_u32 v7, v2, s2
	;; [unrolled: 1-line block ×3, first 2 shown]
	v_sub_u32_e32 v9, v1, v9
	v_add_u32_e32 v1, v3, v8
	v_lshrrev_b32_e32 v1, s39, v1
	v_mul_lo_u32 v8, v1, s37
	v_mul_lo_u32 v10, v9, s4
	;; [unrolled: 1-line block ×3, first 2 shown]
	v_add3_u32 v4, v5, v4, v7
	v_sub_u32_e32 v3, v3, v8
	v_mul_lo_u32 v8, v3, s6
	v_mul_lo_u32 v3, v3, s7
	v_add3_u32 v0, v6, v0, v2
	v_add3_u32 v4, v10, v4, v8
	;; [unrolled: 1-line block ×3, first 2 shown]
	s_cbranch_scc0 .LBB125_88
	s_branch .LBB125_93
.LBB125_89:
                                        ; implicit-def: $vgpr4
                                        ; implicit-def: $vgpr0
	s_branch .LBB125_97
.LBB125_90:
                                        ; implicit-def: $sgpr2_sgpr3
	s_branch .LBB125_82
.LBB125_91:
	v_mov_b32_e32 v4, 0
	v_mov_b32_e32 v0, 0
	s_branch .LBB125_96
.LBB125_92:
	s_mov_b32 s63, 0
	v_mov_b32_e32 v4, 0
	v_mov_b32_e32 v0, 0
	;; [unrolled: 1-line block ×3, first 2 shown]
.LBB125_93:
	s_and_b32 s4, s64, 3
	s_cmp_eq_u32 s4, 0
	s_cbranch_scc1 .LBB125_96
; %bb.94:
	s_lshl_b32 s0, s63, 3
	s_add_u32 s0, s34, s0
	s_addc_u32 s1, s35, 0
	s_add_u32 s0, s0, 0xc4
	s_addc_u32 s1, s1, 0
	s_mul_i32 s2, s63, 12
	s_add_u32 s2, s34, s2
	s_addc_u32 s3, s35, 0
.LBB125_95:                             ; =>This Inner Loop Header: Depth=1
	s_load_dwordx2 s[6:7], s[2:3], 0x4
	s_load_dword s5, s[2:3], 0xc
	s_load_dwordx2 s[8:9], s[0:1], 0x0
	s_add_u32 s2, s2, 12
	s_addc_u32 s3, s3, 0
	s_waitcnt lgkmcnt(0)
	v_mul_hi_u32 v2, s7, v1
	s_add_u32 s0, s0, 8
	s_addc_u32 s1, s1, 0
	s_add_i32 s4, s4, -1
	v_add_u32_e32 v2, v1, v2
	v_lshrrev_b32_e32 v2, s5, v2
	v_mul_lo_u32 v3, v2, s6
	s_cmp_lg_u32 s4, 0
	v_sub_u32_e32 v1, v1, v3
	v_mad_u64_u32 v[4:5], s[6:7], v1, s8, v[4:5]
	v_mad_u64_u32 v[0:1], s[6:7], v1, s9, v[0:1]
	v_mov_b32_e32 v1, v2
	s_cbranch_scc1 .LBB125_95
.LBB125_96:
	s_cbranch_execnz .LBB125_99
.LBB125_97:
	v_mul_hi_u32 v0, s25, v21
	s_andn2_b64 vcc, exec, s[48:49]
	v_add_u32_e32 v0, v21, v0
	v_lshrrev_b32_e32 v1, s26, v0
	v_mul_lo_u32 v0, v1, s24
	v_sub_u32_e32 v0, v21, v0
	v_mul_lo_u32 v4, v0, s28
	v_mul_lo_u32 v0, v0, s29
	s_cbranch_vccnz .LBB125_99
; %bb.98:
	v_mul_hi_u32 v2, s46, v1
	v_add_u32_e32 v2, v1, v2
	v_lshrrev_b32_e32 v2, s47, v2
	v_mul_lo_u32 v2, v2, s27
	v_sub_u32_e32 v1, v1, v2
	v_mad_u64_u32 v[4:5], s[0:1], v1, s30, v[4:5]
	v_mad_u64_u32 v[0:1], s[0:1], v1, s31, v[0:1]
.LBB125_99:
	global_load_dwordx4 v[0:3], v0, s[18:19]
	s_andn2_b64 vcc, exec, s[44:45]
	s_cbranch_vccnz .LBB125_109
; %bb.100:
	s_waitcnt vmcnt(0)
	v_cmp_neq_f64_e32 vcc, s[20:21], v[0:1]
	v_cmp_neq_f64_e64 s[0:1], s[22:23], v[2:3]
	s_or_b64 s[2:3], vcc, s[0:1]
	s_cbranch_execnz .LBB125_102
.LBB125_101:
	s_waitcnt vmcnt(0)
	v_cmp_eq_f64_e32 vcc, s[20:21], v[0:1]
	v_cmp_eq_f64_e64 s[0:1], s[22:23], v[2:3]
	s_andn2_b64 s[2:3], s[2:3], exec
	s_and_b64 s[0:1], vcc, s[0:1]
	s_and_b64 s[0:1], s[0:1], exec
	s_or_b64 s[2:3], s[2:3], s[0:1]
.LBB125_102:
	s_waitcnt vmcnt(0)
	v_cndmask_b32_e64 v0, 0, 1, s[2:3]
	v_add_u32_e32 v21, 0x80, v21
	global_store_byte v4, v0, s[16:17]
	s_or_b64 exec, exec, s[54:55]
	v_cmp_gt_i32_e32 vcc, s61, v21
	s_and_saveexec_b64 s[54:55], vcc
	s_cbranch_execz .LBB125_7
.LBB125_103:
	s_andn2_b64 vcc, exec, s[40:41]
	s_cbranch_vccnz .LBB125_108
; %bb.104:
	s_andn2_b64 vcc, exec, s[52:53]
	s_cbranch_vccnz .LBB125_110
; %bb.105:
	s_add_i32 s64, s62, 1
	s_cmp_eq_u32 s60, 2
	s_cbranch_scc1 .LBB125_111
; %bb.106:
	s_and_b32 s63, s64, 28
	v_mov_b32_e32 v0, 0
	s_mov_b32 s65, 0
	s_mov_b64 s[56:57], s[34:35]
	s_mov_b64 s[58:59], s[50:51]
	v_mov_b32_e32 v4, 0
	v_mov_b32_e32 v1, v21
.LBB125_107:                            ; =>This Inner Loop Header: Depth=1
	s_load_dwordx8 s[8:15], s[56:57], 0x4
	s_load_dwordx4 s[36:39], s[56:57], 0x24
	s_load_dwordx8 s[0:7], s[58:59], 0x0
	s_add_u32 s56, s56, 48
	s_addc_u32 s57, s57, 0
	s_waitcnt lgkmcnt(0)
	v_mul_hi_u32 v2, s9, v1
	s_add_i32 s65, s65, 4
	s_add_u32 s58, s58, 32
	s_addc_u32 s59, s59, 0
	v_add_u32_e32 v2, v1, v2
	v_lshrrev_b32_e32 v2, s10, v2
	v_mul_lo_u32 v3, v2, s8
	v_mul_hi_u32 v5, s12, v2
	s_cmp_eq_u32 s63, s65
	v_sub_u32_e32 v1, v1, v3
	v_add_u32_e32 v3, v2, v5
	v_mul_lo_u32 v5, v1, s0
	v_mul_lo_u32 v6, v1, s1
	v_lshrrev_b32_e32 v1, s13, v3
	v_mul_lo_u32 v3, v1, s11
	v_mul_hi_u32 v7, s15, v1
	v_sub_u32_e32 v2, v2, v3
	v_add_u32_e32 v3, v1, v7
	v_lshrrev_b32_e32 v3, s36, v3
	v_mul_hi_u32 v8, s38, v3
	v_mul_lo_u32 v9, v3, s14
	v_mul_lo_u32 v7, v2, s2
	;; [unrolled: 1-line block ×3, first 2 shown]
	v_sub_u32_e32 v9, v1, v9
	v_add_u32_e32 v1, v3, v8
	v_lshrrev_b32_e32 v1, s39, v1
	v_mul_lo_u32 v8, v1, s37
	v_mul_lo_u32 v10, v9, s4
	;; [unrolled: 1-line block ×3, first 2 shown]
	v_add3_u32 v4, v5, v4, v7
	v_sub_u32_e32 v3, v3, v8
	v_mul_lo_u32 v8, v3, s6
	v_mul_lo_u32 v3, v3, s7
	v_add3_u32 v0, v6, v0, v2
	v_add3_u32 v4, v10, v4, v8
	v_add3_u32 v0, v9, v0, v3
	s_cbranch_scc0 .LBB125_107
	s_branch .LBB125_112
.LBB125_108:
                                        ; implicit-def: $vgpr4
                                        ; implicit-def: $vgpr0
	s_branch .LBB125_116
.LBB125_109:
                                        ; implicit-def: $sgpr2_sgpr3
	s_branch .LBB125_101
.LBB125_110:
	v_mov_b32_e32 v4, 0
	v_mov_b32_e32 v0, 0
	s_branch .LBB125_115
.LBB125_111:
	s_mov_b32 s63, 0
	v_mov_b32_e32 v4, 0
	v_mov_b32_e32 v0, 0
	;; [unrolled: 1-line block ×3, first 2 shown]
.LBB125_112:
	s_and_b32 s4, s64, 3
	s_cmp_eq_u32 s4, 0
	s_cbranch_scc1 .LBB125_115
; %bb.113:
	s_lshl_b32 s0, s63, 3
	s_add_u32 s0, s34, s0
	s_addc_u32 s1, s35, 0
	s_add_u32 s0, s0, 0xc4
	s_addc_u32 s1, s1, 0
	s_mul_i32 s2, s63, 12
	s_add_u32 s2, s34, s2
	s_addc_u32 s3, s35, 0
.LBB125_114:                            ; =>This Inner Loop Header: Depth=1
	s_load_dwordx2 s[6:7], s[2:3], 0x4
	s_load_dword s5, s[2:3], 0xc
	s_load_dwordx2 s[8:9], s[0:1], 0x0
	s_add_u32 s2, s2, 12
	s_addc_u32 s3, s3, 0
	s_waitcnt lgkmcnt(0)
	v_mul_hi_u32 v2, s7, v1
	s_add_u32 s0, s0, 8
	s_addc_u32 s1, s1, 0
	s_add_i32 s4, s4, -1
	v_add_u32_e32 v2, v1, v2
	v_lshrrev_b32_e32 v2, s5, v2
	v_mul_lo_u32 v3, v2, s6
	s_cmp_lg_u32 s4, 0
	v_sub_u32_e32 v1, v1, v3
	v_mad_u64_u32 v[4:5], s[6:7], v1, s8, v[4:5]
	v_mad_u64_u32 v[0:1], s[6:7], v1, s9, v[0:1]
	v_mov_b32_e32 v1, v2
	s_cbranch_scc1 .LBB125_114
.LBB125_115:
	s_cbranch_execnz .LBB125_118
.LBB125_116:
	v_mul_hi_u32 v0, s25, v21
	s_andn2_b64 vcc, exec, s[48:49]
	v_add_u32_e32 v0, v21, v0
	v_lshrrev_b32_e32 v1, s26, v0
	v_mul_lo_u32 v0, v1, s24
	v_sub_u32_e32 v0, v21, v0
	v_mul_lo_u32 v4, v0, s28
	v_mul_lo_u32 v0, v0, s29
	s_cbranch_vccnz .LBB125_118
; %bb.117:
	v_mul_hi_u32 v2, s46, v1
	v_add_u32_e32 v2, v1, v2
	v_lshrrev_b32_e32 v2, s47, v2
	v_mul_lo_u32 v2, v2, s27
	v_sub_u32_e32 v1, v1, v2
	v_mad_u64_u32 v[4:5], s[0:1], v1, s30, v[4:5]
	v_mad_u64_u32 v[0:1], s[0:1], v1, s31, v[0:1]
.LBB125_118:
	global_load_dwordx4 v[0:3], v0, s[18:19]
	s_andn2_b64 vcc, exec, s[44:45]
	s_cbranch_vccnz .LBB125_128
; %bb.119:
	s_waitcnt vmcnt(0)
	v_cmp_neq_f64_e32 vcc, s[20:21], v[0:1]
	v_cmp_neq_f64_e64 s[0:1], s[22:23], v[2:3]
	s_or_b64 s[2:3], vcc, s[0:1]
	s_cbranch_execnz .LBB125_121
.LBB125_120:
	s_waitcnt vmcnt(0)
	v_cmp_eq_f64_e32 vcc, s[20:21], v[0:1]
	v_cmp_eq_f64_e64 s[0:1], s[22:23], v[2:3]
	s_andn2_b64 s[2:3], s[2:3], exec
	s_and_b64 s[0:1], vcc, s[0:1]
	s_and_b64 s[0:1], s[0:1], exec
	s_or_b64 s[2:3], s[2:3], s[0:1]
.LBB125_121:
	s_waitcnt vmcnt(0)
	v_cndmask_b32_e64 v0, 0, 1, s[2:3]
	v_add_u32_e32 v21, 0x80, v21
	global_store_byte v4, v0, s[16:17]
	s_or_b64 exec, exec, s[54:55]
	v_cmp_gt_i32_e32 vcc, s61, v21
	s_and_saveexec_b64 s[54:55], vcc
	s_cbranch_execz .LBB125_8
.LBB125_122:
	s_andn2_b64 vcc, exec, s[40:41]
	s_cbranch_vccnz .LBB125_127
; %bb.123:
	s_andn2_b64 vcc, exec, s[52:53]
	s_cbranch_vccnz .LBB125_129
; %bb.124:
	s_add_i32 s64, s62, 1
	s_cmp_eq_u32 s60, 2
	s_cbranch_scc1 .LBB125_130
; %bb.125:
	s_and_b32 s63, s64, 28
	v_mov_b32_e32 v0, 0
	s_mov_b32 s65, 0
	s_mov_b64 s[56:57], s[34:35]
	s_mov_b64 s[58:59], s[50:51]
	v_mov_b32_e32 v4, 0
	v_mov_b32_e32 v1, v21
.LBB125_126:                            ; =>This Inner Loop Header: Depth=1
	s_load_dwordx8 s[8:15], s[56:57], 0x4
	s_load_dwordx4 s[36:39], s[56:57], 0x24
	s_load_dwordx8 s[0:7], s[58:59], 0x0
	s_add_u32 s56, s56, 48
	s_addc_u32 s57, s57, 0
	s_waitcnt lgkmcnt(0)
	v_mul_hi_u32 v2, s9, v1
	s_add_i32 s65, s65, 4
	s_add_u32 s58, s58, 32
	s_addc_u32 s59, s59, 0
	v_add_u32_e32 v2, v1, v2
	v_lshrrev_b32_e32 v2, s10, v2
	v_mul_lo_u32 v3, v2, s8
	v_mul_hi_u32 v5, s12, v2
	s_cmp_eq_u32 s63, s65
	v_sub_u32_e32 v1, v1, v3
	v_add_u32_e32 v3, v2, v5
	v_mul_lo_u32 v5, v1, s0
	v_mul_lo_u32 v6, v1, s1
	v_lshrrev_b32_e32 v1, s13, v3
	v_mul_lo_u32 v3, v1, s11
	v_mul_hi_u32 v7, s15, v1
	v_sub_u32_e32 v2, v2, v3
	v_add_u32_e32 v3, v1, v7
	v_lshrrev_b32_e32 v3, s36, v3
	v_mul_hi_u32 v8, s38, v3
	v_mul_lo_u32 v9, v3, s14
	v_mul_lo_u32 v7, v2, s2
	;; [unrolled: 1-line block ×3, first 2 shown]
	v_sub_u32_e32 v9, v1, v9
	v_add_u32_e32 v1, v3, v8
	v_lshrrev_b32_e32 v1, s39, v1
	v_mul_lo_u32 v8, v1, s37
	v_mul_lo_u32 v10, v9, s4
	;; [unrolled: 1-line block ×3, first 2 shown]
	v_add3_u32 v4, v5, v4, v7
	v_sub_u32_e32 v3, v3, v8
	v_mul_lo_u32 v8, v3, s6
	v_mul_lo_u32 v3, v3, s7
	v_add3_u32 v0, v6, v0, v2
	v_add3_u32 v4, v10, v4, v8
	;; [unrolled: 1-line block ×3, first 2 shown]
	s_cbranch_scc0 .LBB125_126
	s_branch .LBB125_131
.LBB125_127:
                                        ; implicit-def: $vgpr4
                                        ; implicit-def: $vgpr0
	s_branch .LBB125_135
.LBB125_128:
                                        ; implicit-def: $sgpr2_sgpr3
	s_branch .LBB125_120
.LBB125_129:
	v_mov_b32_e32 v4, 0
	v_mov_b32_e32 v0, 0
	s_branch .LBB125_134
.LBB125_130:
	s_mov_b32 s63, 0
	v_mov_b32_e32 v4, 0
	v_mov_b32_e32 v0, 0
	;; [unrolled: 1-line block ×3, first 2 shown]
.LBB125_131:
	s_and_b32 s4, s64, 3
	s_cmp_eq_u32 s4, 0
	s_cbranch_scc1 .LBB125_134
; %bb.132:
	s_lshl_b32 s0, s63, 3
	s_add_u32 s0, s34, s0
	s_addc_u32 s1, s35, 0
	s_add_u32 s0, s0, 0xc4
	s_addc_u32 s1, s1, 0
	s_mul_i32 s2, s63, 12
	s_add_u32 s2, s34, s2
	s_addc_u32 s3, s35, 0
.LBB125_133:                            ; =>This Inner Loop Header: Depth=1
	s_load_dwordx2 s[6:7], s[2:3], 0x4
	s_load_dword s5, s[2:3], 0xc
	s_load_dwordx2 s[8:9], s[0:1], 0x0
	s_add_u32 s2, s2, 12
	s_addc_u32 s3, s3, 0
	s_waitcnt lgkmcnt(0)
	v_mul_hi_u32 v2, s7, v1
	s_add_u32 s0, s0, 8
	s_addc_u32 s1, s1, 0
	s_add_i32 s4, s4, -1
	v_add_u32_e32 v2, v1, v2
	v_lshrrev_b32_e32 v2, s5, v2
	v_mul_lo_u32 v3, v2, s6
	s_cmp_lg_u32 s4, 0
	v_sub_u32_e32 v1, v1, v3
	v_mad_u64_u32 v[4:5], s[6:7], v1, s8, v[4:5]
	v_mad_u64_u32 v[0:1], s[6:7], v1, s9, v[0:1]
	v_mov_b32_e32 v1, v2
	s_cbranch_scc1 .LBB125_133
.LBB125_134:
	s_cbranch_execnz .LBB125_137
.LBB125_135:
	v_mul_hi_u32 v0, s25, v21
	s_andn2_b64 vcc, exec, s[48:49]
	v_add_u32_e32 v0, v21, v0
	v_lshrrev_b32_e32 v1, s26, v0
	v_mul_lo_u32 v0, v1, s24
	v_sub_u32_e32 v0, v21, v0
	v_mul_lo_u32 v4, v0, s28
	v_mul_lo_u32 v0, v0, s29
	s_cbranch_vccnz .LBB125_137
; %bb.136:
	v_mul_hi_u32 v2, s46, v1
	v_add_u32_e32 v2, v1, v2
	v_lshrrev_b32_e32 v2, s47, v2
	v_mul_lo_u32 v2, v2, s27
	v_sub_u32_e32 v1, v1, v2
	v_mad_u64_u32 v[4:5], s[0:1], v1, s30, v[4:5]
	v_mad_u64_u32 v[0:1], s[0:1], v1, s31, v[0:1]
.LBB125_137:
	global_load_dwordx4 v[0:3], v0, s[18:19]
	s_andn2_b64 vcc, exec, s[44:45]
	s_cbranch_vccnz .LBB125_147
; %bb.138:
	s_waitcnt vmcnt(0)
	v_cmp_neq_f64_e32 vcc, s[20:21], v[0:1]
	v_cmp_neq_f64_e64 s[0:1], s[22:23], v[2:3]
	s_or_b64 s[2:3], vcc, s[0:1]
	s_cbranch_execnz .LBB125_140
.LBB125_139:
	s_waitcnt vmcnt(0)
	v_cmp_eq_f64_e32 vcc, s[20:21], v[0:1]
	v_cmp_eq_f64_e64 s[0:1], s[22:23], v[2:3]
	s_andn2_b64 s[2:3], s[2:3], exec
	s_and_b64 s[0:1], vcc, s[0:1]
	s_and_b64 s[0:1], s[0:1], exec
	s_or_b64 s[2:3], s[2:3], s[0:1]
.LBB125_140:
	s_waitcnt vmcnt(0)
	v_cndmask_b32_e64 v0, 0, 1, s[2:3]
	v_add_u32_e32 v21, 0x80, v21
	global_store_byte v4, v0, s[16:17]
	s_or_b64 exec, exec, s[54:55]
	v_cmp_gt_i32_e32 vcc, s61, v21
	s_and_saveexec_b64 s[54:55], vcc
	s_cbranch_execz .LBB125_160
.LBB125_141:
	s_andn2_b64 vcc, exec, s[40:41]
	s_cbranch_vccnz .LBB125_146
; %bb.142:
	s_andn2_b64 vcc, exec, s[52:53]
	s_cbranch_vccnz .LBB125_148
; %bb.143:
	s_add_i32 s62, s62, 1
	s_cmp_eq_u32 s60, 2
	s_cbranch_scc1 .LBB125_149
; %bb.144:
	s_and_b32 s56, s62, 28
	v_mov_b32_e32 v0, 0
	s_mov_b32 s57, 0
	s_mov_b64 s[52:53], s[34:35]
	v_mov_b32_e32 v4, 0
	v_mov_b32_e32 v1, v21
.LBB125_145:                            ; =>This Inner Loop Header: Depth=1
	s_load_dwordx8 s[8:15], s[52:53], 0x4
	s_load_dwordx4 s[36:39], s[52:53], 0x24
	s_load_dwordx8 s[0:7], s[50:51], 0x0
	s_add_u32 s52, s52, 48
	s_addc_u32 s53, s53, 0
	s_waitcnt lgkmcnt(0)
	v_mul_hi_u32 v2, s9, v1
	s_add_i32 s57, s57, 4
	s_add_u32 s50, s50, 32
	s_addc_u32 s51, s51, 0
	v_add_u32_e32 v2, v1, v2
	v_lshrrev_b32_e32 v2, s10, v2
	v_mul_lo_u32 v3, v2, s8
	v_mul_hi_u32 v5, s12, v2
	s_cmp_eq_u32 s56, s57
	v_sub_u32_e32 v1, v1, v3
	v_add_u32_e32 v3, v2, v5
	v_mul_lo_u32 v5, v1, s0
	v_mul_lo_u32 v6, v1, s1
	v_lshrrev_b32_e32 v1, s13, v3
	v_mul_lo_u32 v3, v1, s11
	v_mul_hi_u32 v7, s15, v1
	v_sub_u32_e32 v2, v2, v3
	v_add_u32_e32 v3, v1, v7
	v_lshrrev_b32_e32 v3, s36, v3
	v_mul_hi_u32 v8, s38, v3
	v_mul_lo_u32 v9, v3, s14
	v_mul_lo_u32 v7, v2, s2
	;; [unrolled: 1-line block ×3, first 2 shown]
	v_sub_u32_e32 v9, v1, v9
	v_add_u32_e32 v1, v3, v8
	v_lshrrev_b32_e32 v1, s39, v1
	v_mul_lo_u32 v8, v1, s37
	v_mul_lo_u32 v10, v9, s4
	;; [unrolled: 1-line block ×3, first 2 shown]
	v_add3_u32 v4, v5, v4, v7
	v_sub_u32_e32 v3, v3, v8
	v_mul_lo_u32 v8, v3, s6
	v_mul_lo_u32 v3, v3, s7
	v_add3_u32 v0, v6, v0, v2
	v_add3_u32 v4, v10, v4, v8
	;; [unrolled: 1-line block ×3, first 2 shown]
	s_cbranch_scc0 .LBB125_145
	s_branch .LBB125_150
.LBB125_146:
                                        ; implicit-def: $vgpr4
                                        ; implicit-def: $vgpr0
	s_branch .LBB125_154
.LBB125_147:
                                        ; implicit-def: $sgpr2_sgpr3
	s_branch .LBB125_139
.LBB125_148:
	v_mov_b32_e32 v4, 0
	v_mov_b32_e32 v0, 0
	s_branch .LBB125_153
.LBB125_149:
	s_mov_b32 s56, 0
	v_mov_b32_e32 v4, 0
	v_mov_b32_e32 v0, 0
	v_mov_b32_e32 v1, v21
.LBB125_150:
	s_and_b32 s4, s62, 3
	s_cmp_eq_u32 s4, 0
	s_cbranch_scc1 .LBB125_153
; %bb.151:
	s_lshl_b32 s0, s56, 3
	s_add_u32 s0, s34, s0
	s_addc_u32 s1, s35, 0
	s_add_u32 s0, s0, 0xc4
	s_addc_u32 s1, s1, 0
	s_mul_i32 s2, s56, 12
	s_add_u32 s2, s34, s2
	s_addc_u32 s3, s35, 0
.LBB125_152:                            ; =>This Inner Loop Header: Depth=1
	s_load_dwordx2 s[6:7], s[2:3], 0x4
	s_load_dword s5, s[2:3], 0xc
	s_load_dwordx2 s[8:9], s[0:1], 0x0
	s_add_u32 s2, s2, 12
	s_addc_u32 s3, s3, 0
	s_waitcnt lgkmcnt(0)
	v_mul_hi_u32 v2, s7, v1
	s_add_u32 s0, s0, 8
	s_addc_u32 s1, s1, 0
	s_add_i32 s4, s4, -1
	v_add_u32_e32 v2, v1, v2
	v_lshrrev_b32_e32 v2, s5, v2
	v_mul_lo_u32 v3, v2, s6
	s_cmp_lg_u32 s4, 0
	v_sub_u32_e32 v1, v1, v3
	v_mad_u64_u32 v[4:5], s[6:7], v1, s8, v[4:5]
	v_mad_u64_u32 v[0:1], s[6:7], v1, s9, v[0:1]
	v_mov_b32_e32 v1, v2
	s_cbranch_scc1 .LBB125_152
.LBB125_153:
	s_cbranch_execnz .LBB125_156
.LBB125_154:
	v_mul_hi_u32 v0, s25, v21
	s_andn2_b64 vcc, exec, s[48:49]
	v_add_u32_e32 v0, v21, v0
	v_lshrrev_b32_e32 v1, s26, v0
	v_mul_lo_u32 v0, v1, s24
	v_sub_u32_e32 v0, v21, v0
	v_mul_lo_u32 v4, v0, s28
	v_mul_lo_u32 v0, v0, s29
	s_cbranch_vccnz .LBB125_156
; %bb.155:
	v_mul_hi_u32 v2, s46, v1
	v_add_u32_e32 v2, v1, v2
	v_lshrrev_b32_e32 v2, s47, v2
	v_mul_lo_u32 v2, v2, s27
	v_sub_u32_e32 v1, v1, v2
	v_mad_u64_u32 v[4:5], s[0:1], v1, s30, v[4:5]
	v_mad_u64_u32 v[0:1], s[0:1], v1, s31, v[0:1]
.LBB125_156:
	global_load_dwordx4 v[0:3], v0, s[18:19]
	s_andn2_b64 vcc, exec, s[44:45]
	s_cbranch_vccnz .LBB125_170
; %bb.157:
	s_waitcnt vmcnt(0)
	v_cmp_neq_f64_e32 vcc, s[20:21], v[0:1]
	v_cmp_neq_f64_e64 s[0:1], s[22:23], v[2:3]
	s_or_b64 s[2:3], vcc, s[0:1]
	s_cbranch_execnz .LBB125_159
.LBB125_158:
	s_waitcnt vmcnt(0)
	v_cmp_eq_f64_e32 vcc, s[20:21], v[0:1]
	v_cmp_eq_f64_e64 s[0:1], s[22:23], v[2:3]
	s_andn2_b64 s[2:3], s[2:3], exec
	s_and_b64 s[0:1], vcc, s[0:1]
	s_and_b64 s[0:1], s[0:1], exec
	s_or_b64 s[2:3], s[2:3], s[0:1]
.LBB125_159:
	s_waitcnt vmcnt(0)
	v_cndmask_b32_e64 v0, 0, 1, s[2:3]
	global_store_byte v4, v0, s[16:17]
.LBB125_160:
	s_or_b64 exec, exec, s[54:55]
                                        ; implicit-def: $vgpr2
                                        ; implicit-def: $vgpr21
.LBB125_161:
	s_andn2_saveexec_b64 s[0:1], s[42:43]
	s_cbranch_execz .LBB125_168
; %bb.162:
	v_cndmask_b32_e64 v0, 0, 1, s[40:41]
	v_cmp_ne_u32_e64 s[0:1], 1, v0
	s_andn2_b64 vcc, exec, s[40:41]
	s_cbranch_vccnz .LBB125_169
; %bb.163:
	s_cmp_lg_u32 s33, 0
	s_mov_b32 s26, 0
	s_cbranch_scc0 .LBB125_171
; %bb.164:
	s_min_u32 s27, s60, 15
	s_add_i32 s27, s27, 1
	s_cmp_eq_u32 s60, 2
	s_cbranch_scc1 .LBB125_172
; %bb.165:
	s_and_b32 s26, s27, 28
	s_add_u32 s2, s34, 0xc4
	s_addc_u32 s3, s35, 0
	v_mov_b32_e32 v0, 0
	s_mov_b32 s28, 0
	s_mov_b64 s[24:25], s[34:35]
	v_mov_b32_e32 v4, 0
	v_mov_b32_e32 v1, v21
.LBB125_166:                            ; =>This Inner Loop Header: Depth=1
	s_load_dwordx8 s[12:19], s[24:25], 0x4
	s_load_dwordx4 s[20:23], s[24:25], 0x24
	s_load_dwordx8 s[4:11], s[2:3], 0x0
	s_add_u32 s24, s24, 48
	s_addc_u32 s25, s25, 0
	s_waitcnt lgkmcnt(0)
	v_mul_hi_u32 v3, s13, v1
	s_add_i32 s28, s28, 4
	s_add_u32 s2, s2, 32
	s_addc_u32 s3, s3, 0
	v_add_u32_e32 v3, v1, v3
	v_lshrrev_b32_e32 v3, s14, v3
	v_mul_lo_u32 v5, v3, s12
	v_mul_hi_u32 v6, s16, v3
	s_cmp_lg_u32 s26, s28
	v_sub_u32_e32 v1, v1, v5
	v_add_u32_e32 v5, v3, v6
	v_mul_lo_u32 v6, v1, s4
	v_mul_lo_u32 v7, v1, s5
	v_lshrrev_b32_e32 v1, s17, v5
	v_mul_lo_u32 v5, v1, s15
	v_mul_hi_u32 v8, s19, v1
	v_sub_u32_e32 v3, v3, v5
	v_add_u32_e32 v5, v1, v8
	v_lshrrev_b32_e32 v5, s20, v5
	v_mul_hi_u32 v9, s22, v5
	v_mul_lo_u32 v10, v5, s18
	v_mul_lo_u32 v8, v3, s6
	;; [unrolled: 1-line block ×3, first 2 shown]
	v_sub_u32_e32 v10, v1, v10
	v_add_u32_e32 v1, v5, v9
	v_lshrrev_b32_e32 v1, s23, v1
	v_mul_lo_u32 v9, v1, s21
	v_mul_lo_u32 v11, v10, s8
	;; [unrolled: 1-line block ×3, first 2 shown]
	v_add3_u32 v4, v6, v4, v8
	v_sub_u32_e32 v5, v5, v9
	v_mul_lo_u32 v9, v5, s10
	v_mul_lo_u32 v5, v5, s11
	v_add3_u32 v0, v7, v0, v3
	v_add3_u32 v4, v11, v4, v9
	;; [unrolled: 1-line block ×3, first 2 shown]
	s_cbranch_scc1 .LBB125_166
; %bb.167:
	s_and_b32 s6, s27, 3
	s_cmp_eq_u32 s6, 0
	s_cbranch_scc0 .LBB125_173
	s_branch .LBB125_175
.LBB125_168:
	s_endpgm
.LBB125_169:
                                        ; implicit-def: $vgpr4
                                        ; implicit-def: $vgpr0
	s_branch .LBB125_176
.LBB125_170:
                                        ; implicit-def: $sgpr2_sgpr3
	s_branch .LBB125_158
.LBB125_171:
	v_mov_b32_e32 v4, 0
	v_mov_b32_e32 v0, 0
	s_branch .LBB125_175
.LBB125_172:
	v_mov_b32_e32 v4, 0
	v_mov_b32_e32 v0, 0
	;; [unrolled: 1-line block ×3, first 2 shown]
	s_and_b32 s6, s27, 3
	s_cmp_eq_u32 s6, 0
	s_cbranch_scc1 .LBB125_175
.LBB125_173:
	s_lshl_b32 s2, s26, 3
	s_add_u32 s2, s34, s2
	s_addc_u32 s3, s35, 0
	s_add_u32 s2, s2, 0xc4
	s_addc_u32 s3, s3, 0
	s_mul_i32 s4, s26, 12
	s_add_u32 s4, s34, s4
	s_addc_u32 s5, s35, 0
.LBB125_174:                            ; =>This Inner Loop Header: Depth=1
	s_load_dwordx2 s[8:9], s[4:5], 0x4
	s_load_dword s7, s[4:5], 0xc
	s_load_dwordx2 s[10:11], s[2:3], 0x0
	s_add_u32 s4, s4, 12
	s_addc_u32 s5, s5, 0
	s_waitcnt lgkmcnt(0)
	v_mul_hi_u32 v3, s9, v1
	s_add_u32 s2, s2, 8
	s_addc_u32 s3, s3, 0
	s_add_i32 s6, s6, -1
	v_add_u32_e32 v3, v1, v3
	v_lshrrev_b32_e32 v3, s7, v3
	v_mul_lo_u32 v5, v3, s8
	s_cmp_lg_u32 s6, 0
	v_sub_u32_e32 v1, v1, v5
	v_mad_u64_u32 v[4:5], s[8:9], v1, s10, v[4:5]
	v_mad_u64_u32 v[0:1], s[8:9], v1, s11, v[0:1]
	v_mov_b32_e32 v1, v3
	s_cbranch_scc1 .LBB125_174
.LBB125_175:
	s_cbranch_execnz .LBB125_178
.LBB125_176:
	s_load_dwordx4 s[4:7], s[34:35], 0x4
	s_load_dwordx2 s[2:3], s[34:35], 0xc4
	s_cmp_lt_u32 s33, 2
	s_waitcnt lgkmcnt(0)
	v_mul_hi_u32 v0, s5, v21
	v_add_u32_e32 v0, v21, v0
	v_lshrrev_b32_e32 v1, s6, v0
	v_mul_lo_u32 v0, v1, s4
	v_sub_u32_e32 v0, v21, v0
	v_mul_lo_u32 v4, v0, s2
	v_mul_lo_u32 v0, v0, s3
	s_cbranch_scc1 .LBB125_178
; %bb.177:
	s_load_dwordx4 s[4:7], s[34:35], 0x10
	s_load_dwordx2 s[2:3], s[34:35], 0xcc
	s_waitcnt lgkmcnt(0)
	v_mul_hi_u32 v3, s5, v1
	v_add_u32_e32 v3, v1, v3
	v_lshrrev_b32_e32 v3, s6, v3
	v_mul_lo_u32 v3, v3, s4
	v_sub_u32_e32 v1, v1, v3
	v_mad_u64_u32 v[4:5], s[4:5], v1, s2, v[4:5]
	v_mad_u64_u32 v[0:1], s[2:3], v1, s3, v[0:1]
.LBB125_178:
	s_and_b64 vcc, exec, s[0:1]
	v_add_u32_e32 v1, 0x80, v21
	s_cbranch_vccnz .LBB125_184
; %bb.179:
	s_cmp_lg_u32 s33, 0
	s_mov_b32 s26, 0
	s_cbranch_scc0 .LBB125_185
; %bb.180:
	s_min_u32 s27, s60, 15
	s_add_i32 s27, s27, 1
	s_cmp_eq_u32 s60, 2
	s_cbranch_scc1 .LBB125_186
; %bb.181:
	s_and_b32 s26, s27, 28
	s_add_u32 s2, s34, 0xc4
	s_addc_u32 s3, s35, 0
	v_mov_b32_e32 v7, 0
	s_mov_b32 s28, 0
	s_mov_b64 s[24:25], s[34:35]
	v_mov_b32_e32 v5, 0
	v_mov_b32_e32 v3, v1
.LBB125_182:                            ; =>This Inner Loop Header: Depth=1
	s_load_dwordx8 s[12:19], s[24:25], 0x4
	s_load_dwordx4 s[20:23], s[24:25], 0x24
	s_load_dwordx8 s[4:11], s[2:3], 0x0
	s_add_u32 s24, s24, 48
	s_addc_u32 s25, s25, 0
	s_waitcnt lgkmcnt(0)
	v_mul_hi_u32 v6, s13, v3
	s_add_i32 s28, s28, 4
	s_add_u32 s2, s2, 32
	s_addc_u32 s3, s3, 0
	v_add_u32_e32 v6, v3, v6
	v_lshrrev_b32_e32 v6, s14, v6
	v_mul_lo_u32 v8, v6, s12
	v_mul_hi_u32 v9, s16, v6
	s_cmp_lg_u32 s26, s28
	v_sub_u32_e32 v3, v3, v8
	v_add_u32_e32 v8, v6, v9
	v_mul_lo_u32 v9, v3, s4
	v_mul_lo_u32 v10, v3, s5
	v_lshrrev_b32_e32 v3, s17, v8
	v_mul_lo_u32 v8, v3, s15
	v_mul_hi_u32 v11, s19, v3
	v_sub_u32_e32 v6, v6, v8
	v_add_u32_e32 v8, v3, v11
	v_lshrrev_b32_e32 v8, s20, v8
	v_mul_hi_u32 v12, s22, v8
	v_mul_lo_u32 v13, v8, s18
	v_mul_lo_u32 v11, v6, s6
	;; [unrolled: 1-line block ×3, first 2 shown]
	v_sub_u32_e32 v13, v3, v13
	v_add_u32_e32 v3, v8, v12
	v_lshrrev_b32_e32 v3, s23, v3
	v_mul_lo_u32 v12, v3, s21
	v_mul_lo_u32 v14, v13, s8
	;; [unrolled: 1-line block ×3, first 2 shown]
	v_add3_u32 v5, v9, v5, v11
	v_sub_u32_e32 v8, v8, v12
	v_mul_lo_u32 v12, v8, s10
	v_mul_lo_u32 v8, v8, s11
	v_add3_u32 v6, v10, v7, v6
	v_add3_u32 v5, v14, v5, v12
	;; [unrolled: 1-line block ×3, first 2 shown]
	s_cbranch_scc1 .LBB125_182
; %bb.183:
	s_and_b32 s6, s27, 3
	s_cmp_eq_u32 s6, 0
	s_cbranch_scc0 .LBB125_187
	s_branch .LBB125_189
.LBB125_184:
                                        ; implicit-def: $vgpr5
                                        ; implicit-def: $vgpr7
	s_branch .LBB125_190
.LBB125_185:
	v_mov_b32_e32 v5, 0
	v_mov_b32_e32 v7, 0
	s_branch .LBB125_189
.LBB125_186:
	v_mov_b32_e32 v5, 0
	v_mov_b32_e32 v7, 0
	;; [unrolled: 1-line block ×3, first 2 shown]
	s_and_b32 s6, s27, 3
	s_cmp_eq_u32 s6, 0
	s_cbranch_scc1 .LBB125_189
.LBB125_187:
	s_lshl_b32 s2, s26, 3
	s_add_u32 s2, s34, s2
	s_addc_u32 s3, s35, 0
	s_add_u32 s2, s2, 0xc4
	s_addc_u32 s3, s3, 0
	s_mul_i32 s4, s26, 12
	s_add_u32 s4, s34, s4
	s_addc_u32 s5, s35, 0
.LBB125_188:                            ; =>This Inner Loop Header: Depth=1
	s_load_dwordx2 s[8:9], s[4:5], 0x4
	s_load_dword s7, s[4:5], 0xc
	s_load_dwordx2 s[10:11], s[2:3], 0x0
	s_add_u32 s4, s4, 12
	s_addc_u32 s5, s5, 0
	s_waitcnt lgkmcnt(0)
	v_mul_hi_u32 v6, s9, v3
	s_add_u32 s2, s2, 8
	s_addc_u32 s3, s3, 0
	s_add_i32 s6, s6, -1
	v_add_u32_e32 v6, v3, v6
	v_lshrrev_b32_e32 v9, s7, v6
	v_mul_lo_u32 v6, v9, s8
	s_cmp_lg_u32 s6, 0
	v_sub_u32_e32 v3, v3, v6
	v_mad_u64_u32 v[5:6], s[8:9], v3, s10, v[5:6]
	v_mad_u64_u32 v[7:8], s[8:9], v3, s11, v[7:8]
	v_mov_b32_e32 v3, v9
	s_cbranch_scc1 .LBB125_188
.LBB125_189:
	s_cbranch_execnz .LBB125_192
.LBB125_190:
	s_load_dwordx4 s[4:7], s[34:35], 0x4
	s_load_dwordx2 s[2:3], s[34:35], 0xc4
	s_cmp_lt_u32 s33, 2
	s_waitcnt lgkmcnt(0)
	v_mul_hi_u32 v3, s5, v1
	v_add_u32_e32 v3, v1, v3
	v_lshrrev_b32_e32 v3, s6, v3
	v_mul_lo_u32 v5, v3, s4
	v_sub_u32_e32 v1, v1, v5
	v_mul_lo_u32 v5, v1, s2
	v_mul_lo_u32 v7, v1, s3
	s_cbranch_scc1 .LBB125_192
; %bb.191:
	s_load_dwordx4 s[4:7], s[34:35], 0x10
	s_load_dwordx2 s[2:3], s[34:35], 0xcc
	s_waitcnt lgkmcnt(0)
	v_mul_hi_u32 v1, s5, v3
	v_add_u32_e32 v1, v3, v1
	v_lshrrev_b32_e32 v1, s6, v1
	v_mul_lo_u32 v1, v1, s4
	v_sub_u32_e32 v1, v3, v1
	v_mad_u64_u32 v[5:6], s[4:5], v1, s2, v[5:6]
	v_mad_u64_u32 v[7:8], s[2:3], v1, s3, v[7:8]
.LBB125_192:
	s_and_b64 vcc, exec, s[0:1]
	v_add_u32_e32 v1, 0x100, v21
	s_cbranch_vccnz .LBB125_198
; %bb.193:
	s_cmp_lg_u32 s33, 0
	s_mov_b32 s26, 0
	s_cbranch_scc0 .LBB125_199
; %bb.194:
	s_min_u32 s27, s60, 15
	s_add_i32 s27, s27, 1
	s_cmp_eq_u32 s60, 2
	s_cbranch_scc1 .LBB125_200
; %bb.195:
	s_and_b32 s26, s27, 28
	s_add_u32 s2, s34, 0xc4
	s_addc_u32 s3, s35, 0
	v_mov_b32_e32 v10, 0
	s_mov_b32 s28, 0
	s_mov_b64 s[24:25], s[34:35]
	v_mov_b32_e32 v8, 0
	v_mov_b32_e32 v3, v1
.LBB125_196:                            ; =>This Inner Loop Header: Depth=1
	s_load_dwordx8 s[12:19], s[24:25], 0x4
	s_load_dwordx4 s[20:23], s[24:25], 0x24
	s_load_dwordx8 s[4:11], s[2:3], 0x0
	s_add_u32 s24, s24, 48
	s_addc_u32 s25, s25, 0
	s_waitcnt lgkmcnt(0)
	v_mul_hi_u32 v6, s13, v3
	s_add_i32 s28, s28, 4
	s_add_u32 s2, s2, 32
	s_addc_u32 s3, s3, 0
	v_add_u32_e32 v6, v3, v6
	v_lshrrev_b32_e32 v6, s14, v6
	v_mul_lo_u32 v9, v6, s12
	v_mul_hi_u32 v11, s16, v6
	s_cmp_lg_u32 s26, s28
	v_sub_u32_e32 v3, v3, v9
	v_add_u32_e32 v9, v6, v11
	v_mul_lo_u32 v11, v3, s4
	v_mul_lo_u32 v12, v3, s5
	v_lshrrev_b32_e32 v3, s17, v9
	v_mul_lo_u32 v9, v3, s15
	v_mul_hi_u32 v13, s19, v3
	v_sub_u32_e32 v6, v6, v9
	v_add_u32_e32 v9, v3, v13
	v_lshrrev_b32_e32 v9, s20, v9
	v_mul_hi_u32 v14, s22, v9
	v_mul_lo_u32 v15, v9, s18
	v_mul_lo_u32 v13, v6, s6
	;; [unrolled: 1-line block ×3, first 2 shown]
	v_sub_u32_e32 v15, v3, v15
	v_add_u32_e32 v3, v9, v14
	v_lshrrev_b32_e32 v3, s23, v3
	v_mul_lo_u32 v14, v3, s21
	v_mul_lo_u32 v16, v15, s8
	;; [unrolled: 1-line block ×3, first 2 shown]
	v_add3_u32 v8, v11, v8, v13
	v_sub_u32_e32 v9, v9, v14
	v_mul_lo_u32 v14, v9, s10
	v_mul_lo_u32 v9, v9, s11
	v_add3_u32 v6, v12, v10, v6
	v_add3_u32 v8, v16, v8, v14
	v_add3_u32 v10, v15, v6, v9
	s_cbranch_scc1 .LBB125_196
; %bb.197:
	s_and_b32 s6, s27, 3
	s_cmp_eq_u32 s6, 0
	s_cbranch_scc0 .LBB125_201
	s_branch .LBB125_203
.LBB125_198:
                                        ; implicit-def: $vgpr8
                                        ; implicit-def: $vgpr10
	s_branch .LBB125_204
.LBB125_199:
	v_mov_b32_e32 v8, 0
	v_mov_b32_e32 v10, 0
	s_branch .LBB125_203
.LBB125_200:
	v_mov_b32_e32 v8, 0
	v_mov_b32_e32 v10, 0
	;; [unrolled: 1-line block ×3, first 2 shown]
	s_and_b32 s6, s27, 3
	s_cmp_eq_u32 s6, 0
	s_cbranch_scc1 .LBB125_203
.LBB125_201:
	s_lshl_b32 s2, s26, 3
	s_add_u32 s2, s34, s2
	s_addc_u32 s3, s35, 0
	s_add_u32 s2, s2, 0xc4
	s_addc_u32 s3, s3, 0
	s_mul_i32 s4, s26, 12
	s_add_u32 s4, s34, s4
	s_addc_u32 s5, s35, 0
.LBB125_202:                            ; =>This Inner Loop Header: Depth=1
	s_load_dwordx2 s[8:9], s[4:5], 0x4
	s_load_dword s7, s[4:5], 0xc
	s_load_dwordx2 s[10:11], s[2:3], 0x0
	s_add_u32 s4, s4, 12
	s_addc_u32 s5, s5, 0
	s_waitcnt lgkmcnt(0)
	v_mul_hi_u32 v6, s9, v3
	s_add_u32 s2, s2, 8
	s_addc_u32 s3, s3, 0
	s_add_i32 s6, s6, -1
	v_add_u32_e32 v6, v3, v6
	v_lshrrev_b32_e32 v6, s7, v6
	v_mul_lo_u32 v9, v6, s8
	s_cmp_lg_u32 s6, 0
	v_sub_u32_e32 v3, v3, v9
	v_mad_u64_u32 v[8:9], s[8:9], v3, s10, v[8:9]
	v_mad_u64_u32 v[10:11], s[8:9], v3, s11, v[10:11]
	v_mov_b32_e32 v3, v6
	s_cbranch_scc1 .LBB125_202
.LBB125_203:
	s_cbranch_execnz .LBB125_206
.LBB125_204:
	s_load_dwordx4 s[4:7], s[34:35], 0x4
	s_load_dwordx2 s[2:3], s[34:35], 0xc4
	s_cmp_lt_u32 s33, 2
	s_waitcnt lgkmcnt(0)
	v_mul_hi_u32 v3, s5, v1
	v_add_u32_e32 v3, v1, v3
	v_lshrrev_b32_e32 v3, s6, v3
	v_mul_lo_u32 v6, v3, s4
	v_sub_u32_e32 v1, v1, v6
	v_mul_lo_u32 v8, v1, s2
	v_mul_lo_u32 v10, v1, s3
	s_cbranch_scc1 .LBB125_206
; %bb.205:
	s_load_dwordx4 s[4:7], s[34:35], 0x10
	s_load_dwordx2 s[2:3], s[34:35], 0xcc
	s_waitcnt lgkmcnt(0)
	v_mul_hi_u32 v1, s5, v3
	v_add_u32_e32 v1, v3, v1
	v_lshrrev_b32_e32 v1, s6, v1
	v_mul_lo_u32 v1, v1, s4
	v_sub_u32_e32 v1, v3, v1
	v_mad_u64_u32 v[8:9], s[4:5], v1, s2, v[8:9]
	v_mad_u64_u32 v[10:11], s[2:3], v1, s3, v[10:11]
.LBB125_206:
	s_and_b64 vcc, exec, s[0:1]
	v_add_u32_e32 v1, 0x180, v21
	s_cbranch_vccnz .LBB125_212
; %bb.207:
	s_cmp_lg_u32 s33, 0
	s_mov_b32 s26, 0
	s_cbranch_scc0 .LBB125_213
; %bb.208:
	s_min_u32 s27, s60, 15
	s_add_i32 s27, s27, 1
	s_cmp_eq_u32 s60, 2
	s_cbranch_scc1 .LBB125_214
; %bb.209:
	s_and_b32 s26, s27, 28
	s_add_u32 s2, s34, 0xc4
	s_addc_u32 s3, s35, 0
	v_mov_b32_e32 v13, 0
	s_mov_b32 s28, 0
	s_mov_b64 s[24:25], s[34:35]
	v_mov_b32_e32 v11, 0
	v_mov_b32_e32 v3, v1
.LBB125_210:                            ; =>This Inner Loop Header: Depth=1
	s_load_dwordx8 s[12:19], s[24:25], 0x4
	s_load_dwordx4 s[20:23], s[24:25], 0x24
	s_load_dwordx8 s[4:11], s[2:3], 0x0
	s_add_u32 s24, s24, 48
	s_addc_u32 s25, s25, 0
	s_waitcnt lgkmcnt(0)
	v_mul_hi_u32 v6, s13, v3
	s_add_i32 s28, s28, 4
	s_add_u32 s2, s2, 32
	s_addc_u32 s3, s3, 0
	v_add_u32_e32 v6, v3, v6
	v_lshrrev_b32_e32 v6, s14, v6
	v_mul_lo_u32 v9, v6, s12
	v_mul_hi_u32 v12, s16, v6
	s_cmp_lg_u32 s26, s28
	v_sub_u32_e32 v3, v3, v9
	v_add_u32_e32 v9, v6, v12
	v_mul_lo_u32 v12, v3, s4
	v_mul_lo_u32 v14, v3, s5
	v_lshrrev_b32_e32 v3, s17, v9
	v_mul_lo_u32 v9, v3, s15
	v_mul_hi_u32 v15, s19, v3
	v_sub_u32_e32 v6, v6, v9
	v_add_u32_e32 v9, v3, v15
	v_lshrrev_b32_e32 v9, s20, v9
	v_mul_hi_u32 v16, s22, v9
	v_mul_lo_u32 v17, v9, s18
	v_mul_lo_u32 v15, v6, s6
	;; [unrolled: 1-line block ×3, first 2 shown]
	v_sub_u32_e32 v17, v3, v17
	v_add_u32_e32 v3, v9, v16
	v_lshrrev_b32_e32 v3, s23, v3
	v_mul_lo_u32 v16, v3, s21
	v_mul_lo_u32 v18, v17, s8
	;; [unrolled: 1-line block ×3, first 2 shown]
	v_add3_u32 v11, v12, v11, v15
	v_sub_u32_e32 v9, v9, v16
	v_mul_lo_u32 v16, v9, s10
	v_mul_lo_u32 v9, v9, s11
	v_add3_u32 v6, v14, v13, v6
	v_add3_u32 v11, v18, v11, v16
	;; [unrolled: 1-line block ×3, first 2 shown]
	s_cbranch_scc1 .LBB125_210
; %bb.211:
	s_and_b32 s6, s27, 3
	s_cmp_eq_u32 s6, 0
	s_cbranch_scc0 .LBB125_215
	s_branch .LBB125_217
.LBB125_212:
                                        ; implicit-def: $vgpr11
                                        ; implicit-def: $vgpr13
	s_branch .LBB125_218
.LBB125_213:
	v_mov_b32_e32 v11, 0
	v_mov_b32_e32 v13, 0
	s_branch .LBB125_217
.LBB125_214:
	v_mov_b32_e32 v11, 0
	v_mov_b32_e32 v13, 0
	;; [unrolled: 1-line block ×3, first 2 shown]
	s_and_b32 s6, s27, 3
	s_cmp_eq_u32 s6, 0
	s_cbranch_scc1 .LBB125_217
.LBB125_215:
	s_lshl_b32 s2, s26, 3
	s_add_u32 s2, s34, s2
	s_addc_u32 s3, s35, 0
	s_add_u32 s2, s2, 0xc4
	s_addc_u32 s3, s3, 0
	s_mul_i32 s4, s26, 12
	s_add_u32 s4, s34, s4
	s_addc_u32 s5, s35, 0
.LBB125_216:                            ; =>This Inner Loop Header: Depth=1
	s_load_dwordx2 s[8:9], s[4:5], 0x4
	s_load_dword s7, s[4:5], 0xc
	s_load_dwordx2 s[10:11], s[2:3], 0x0
	s_add_u32 s4, s4, 12
	s_addc_u32 s5, s5, 0
	s_waitcnt lgkmcnt(0)
	v_mul_hi_u32 v6, s9, v3
	s_add_u32 s2, s2, 8
	s_addc_u32 s3, s3, 0
	s_add_i32 s6, s6, -1
	v_add_u32_e32 v6, v3, v6
	v_lshrrev_b32_e32 v6, s7, v6
	v_mul_lo_u32 v9, v6, s8
	s_cmp_lg_u32 s6, 0
	v_sub_u32_e32 v3, v3, v9
	v_mad_u64_u32 v[11:12], s[8:9], v3, s10, v[11:12]
	v_mad_u64_u32 v[13:14], s[8:9], v3, s11, v[13:14]
	v_mov_b32_e32 v3, v6
	s_cbranch_scc1 .LBB125_216
.LBB125_217:
	s_cbranch_execnz .LBB125_220
.LBB125_218:
	s_load_dwordx4 s[4:7], s[34:35], 0x4
	s_load_dwordx2 s[2:3], s[34:35], 0xc4
	s_cmp_lt_u32 s33, 2
	s_waitcnt lgkmcnt(0)
	v_mul_hi_u32 v3, s5, v1
	v_add_u32_e32 v3, v1, v3
	v_lshrrev_b32_e32 v3, s6, v3
	v_mul_lo_u32 v6, v3, s4
	v_sub_u32_e32 v1, v1, v6
	v_mul_lo_u32 v11, v1, s2
	v_mul_lo_u32 v13, v1, s3
	s_cbranch_scc1 .LBB125_220
; %bb.219:
	s_load_dwordx4 s[4:7], s[34:35], 0x10
	s_load_dwordx2 s[2:3], s[34:35], 0xcc
	s_waitcnt lgkmcnt(0)
	v_mul_hi_u32 v1, s5, v3
	v_add_u32_e32 v1, v3, v1
	v_lshrrev_b32_e32 v1, s6, v1
	v_mul_lo_u32 v1, v1, s4
	v_sub_u32_e32 v1, v3, v1
	v_mad_u64_u32 v[11:12], s[4:5], v1, s2, v[11:12]
	v_mad_u64_u32 v[13:14], s[2:3], v1, s3, v[13:14]
.LBB125_220:
	s_and_b64 vcc, exec, s[0:1]
	v_add_u32_e32 v1, 0x200, v21
	s_cbranch_vccnz .LBB125_226
; %bb.221:
	s_cmp_lg_u32 s33, 0
	s_mov_b32 s26, 0
	s_cbranch_scc0 .LBB125_227
; %bb.222:
	s_min_u32 s27, s60, 15
	s_add_i32 s27, s27, 1
	s_cmp_eq_u32 s60, 2
	s_cbranch_scc1 .LBB125_228
; %bb.223:
	s_and_b32 s26, s27, 28
	s_add_u32 s2, s34, 0xc4
	s_addc_u32 s3, s35, 0
	v_mov_b32_e32 v16, 0
	s_mov_b32 s28, 0
	s_mov_b64 s[24:25], s[34:35]
	v_mov_b32_e32 v14, 0
	v_mov_b32_e32 v3, v1
.LBB125_224:                            ; =>This Inner Loop Header: Depth=1
	s_load_dwordx8 s[12:19], s[24:25], 0x4
	s_load_dwordx4 s[20:23], s[24:25], 0x24
	s_load_dwordx8 s[4:11], s[2:3], 0x0
	s_add_u32 s24, s24, 48
	s_addc_u32 s25, s25, 0
	s_waitcnt lgkmcnt(0)
	v_mul_hi_u32 v6, s13, v3
	s_add_i32 s28, s28, 4
	s_add_u32 s2, s2, 32
	s_addc_u32 s3, s3, 0
	v_add_u32_e32 v6, v3, v6
	v_lshrrev_b32_e32 v6, s14, v6
	v_mul_lo_u32 v9, v6, s12
	v_mul_hi_u32 v12, s16, v6
	s_cmp_lg_u32 s26, s28
	v_sub_u32_e32 v3, v3, v9
	v_add_u32_e32 v9, v6, v12
	v_mul_lo_u32 v12, v3, s4
	v_mul_lo_u32 v15, v3, s5
	v_lshrrev_b32_e32 v3, s17, v9
	v_mul_lo_u32 v9, v3, s15
	v_mul_hi_u32 v17, s19, v3
	v_sub_u32_e32 v6, v6, v9
	v_add_u32_e32 v9, v3, v17
	v_lshrrev_b32_e32 v9, s20, v9
	v_mul_hi_u32 v18, s22, v9
	v_mul_lo_u32 v19, v9, s18
	v_mul_lo_u32 v17, v6, s6
	;; [unrolled: 1-line block ×3, first 2 shown]
	v_sub_u32_e32 v19, v3, v19
	v_add_u32_e32 v3, v9, v18
	v_lshrrev_b32_e32 v3, s23, v3
	v_mul_lo_u32 v18, v3, s21
	v_mul_lo_u32 v20, v19, s8
	;; [unrolled: 1-line block ×3, first 2 shown]
	v_add3_u32 v12, v12, v14, v17
	v_sub_u32_e32 v9, v9, v18
	v_mul_lo_u32 v18, v9, s10
	v_mul_lo_u32 v9, v9, s11
	v_add3_u32 v6, v15, v16, v6
	v_add3_u32 v14, v20, v12, v18
	;; [unrolled: 1-line block ×3, first 2 shown]
	s_cbranch_scc1 .LBB125_224
; %bb.225:
	s_and_b32 s6, s27, 3
	s_cmp_eq_u32 s6, 0
	s_cbranch_scc0 .LBB125_229
	s_branch .LBB125_231
.LBB125_226:
                                        ; implicit-def: $vgpr14
                                        ; implicit-def: $vgpr16
	s_branch .LBB125_232
.LBB125_227:
	v_mov_b32_e32 v14, 0
	v_mov_b32_e32 v16, 0
	s_branch .LBB125_231
.LBB125_228:
	v_mov_b32_e32 v14, 0
	v_mov_b32_e32 v16, 0
	;; [unrolled: 1-line block ×3, first 2 shown]
	s_and_b32 s6, s27, 3
	s_cmp_eq_u32 s6, 0
	s_cbranch_scc1 .LBB125_231
.LBB125_229:
	s_lshl_b32 s2, s26, 3
	s_add_u32 s2, s34, s2
	s_addc_u32 s3, s35, 0
	s_add_u32 s2, s2, 0xc4
	s_addc_u32 s3, s3, 0
	s_mul_i32 s4, s26, 12
	s_add_u32 s4, s34, s4
	s_addc_u32 s5, s35, 0
.LBB125_230:                            ; =>This Inner Loop Header: Depth=1
	s_load_dwordx2 s[8:9], s[4:5], 0x4
	s_load_dword s7, s[4:5], 0xc
	s_load_dwordx2 s[10:11], s[2:3], 0x0
	s_add_u32 s4, s4, 12
	s_addc_u32 s5, s5, 0
	s_waitcnt lgkmcnt(0)
	v_mul_hi_u32 v6, s9, v3
	s_add_u32 s2, s2, 8
	s_addc_u32 s3, s3, 0
	s_add_i32 s6, s6, -1
	v_add_u32_e32 v6, v3, v6
	v_lshrrev_b32_e32 v6, s7, v6
	v_mul_lo_u32 v9, v6, s8
	s_cmp_lg_u32 s6, 0
	v_sub_u32_e32 v3, v3, v9
	v_mad_u64_u32 v[14:15], s[8:9], v3, s10, v[14:15]
	v_mad_u64_u32 v[16:17], s[8:9], v3, s11, v[16:17]
	v_mov_b32_e32 v3, v6
	s_cbranch_scc1 .LBB125_230
.LBB125_231:
	s_cbranch_execnz .LBB125_234
.LBB125_232:
	s_load_dwordx4 s[4:7], s[34:35], 0x4
	s_load_dwordx2 s[2:3], s[34:35], 0xc4
	s_cmp_lt_u32 s33, 2
	s_waitcnt lgkmcnt(0)
	v_mul_hi_u32 v3, s5, v1
	v_add_u32_e32 v3, v1, v3
	v_lshrrev_b32_e32 v3, s6, v3
	v_mul_lo_u32 v6, v3, s4
	v_sub_u32_e32 v1, v1, v6
	v_mul_lo_u32 v14, v1, s2
	v_mul_lo_u32 v16, v1, s3
	s_cbranch_scc1 .LBB125_234
; %bb.233:
	s_load_dwordx4 s[4:7], s[34:35], 0x10
	s_load_dwordx2 s[2:3], s[34:35], 0xcc
	s_waitcnt lgkmcnt(0)
	v_mul_hi_u32 v1, s5, v3
	v_add_u32_e32 v1, v3, v1
	v_lshrrev_b32_e32 v1, s6, v1
	v_mul_lo_u32 v1, v1, s4
	v_sub_u32_e32 v1, v3, v1
	v_mad_u64_u32 v[14:15], s[4:5], v1, s2, v[14:15]
	v_mad_u64_u32 v[16:17], s[2:3], v1, s3, v[16:17]
.LBB125_234:
	s_and_b64 vcc, exec, s[0:1]
	v_add_u32_e32 v1, 0x280, v21
	s_cbranch_vccnz .LBB125_240
; %bb.235:
	s_cmp_lg_u32 s33, 0
	s_mov_b32 s26, 0
	s_cbranch_scc0 .LBB125_241
; %bb.236:
	s_min_u32 s27, s60, 15
	s_add_i32 s27, s27, 1
	s_cmp_eq_u32 s60, 2
	s_cbranch_scc1 .LBB125_242
; %bb.237:
	s_and_b32 s26, s27, 28
	s_add_u32 s2, s34, 0xc4
	s_addc_u32 s3, s35, 0
	v_mov_b32_e32 v19, 0
	s_mov_b32 s28, 0
	s_mov_b64 s[24:25], s[34:35]
	v_mov_b32_e32 v17, 0
	v_mov_b32_e32 v3, v1
.LBB125_238:                            ; =>This Inner Loop Header: Depth=1
	s_load_dwordx8 s[12:19], s[24:25], 0x4
	s_load_dwordx4 s[20:23], s[24:25], 0x24
	s_load_dwordx8 s[4:11], s[2:3], 0x0
	s_add_u32 s24, s24, 48
	s_addc_u32 s25, s25, 0
	s_waitcnt lgkmcnt(0)
	v_mul_hi_u32 v6, s13, v3
	s_add_i32 s28, s28, 4
	s_add_u32 s2, s2, 32
	s_addc_u32 s3, s3, 0
	v_add_u32_e32 v6, v3, v6
	v_lshrrev_b32_e32 v6, s14, v6
	v_mul_lo_u32 v9, v6, s12
	v_mul_hi_u32 v12, s16, v6
	s_cmp_lg_u32 s26, s28
	v_sub_u32_e32 v3, v3, v9
	v_add_u32_e32 v9, v6, v12
	v_mul_lo_u32 v12, v3, s4
	v_mul_lo_u32 v15, v3, s5
	v_lshrrev_b32_e32 v3, s17, v9
	v_mul_lo_u32 v9, v3, s15
	v_mul_hi_u32 v18, s19, v3
	v_sub_u32_e32 v6, v6, v9
	v_add_u32_e32 v9, v3, v18
	v_lshrrev_b32_e32 v9, s20, v9
	v_mul_hi_u32 v20, s22, v9
	v_mul_lo_u32 v22, v9, s18
	v_mul_lo_u32 v18, v6, s6
	;; [unrolled: 1-line block ×3, first 2 shown]
	v_sub_u32_e32 v22, v3, v22
	v_add_u32_e32 v3, v9, v20
	v_lshrrev_b32_e32 v3, s23, v3
	v_mul_lo_u32 v20, v3, s21
	v_mul_lo_u32 v23, v22, s8
	v_mul_lo_u32 v22, v22, s9
	v_add3_u32 v12, v12, v17, v18
	v_sub_u32_e32 v9, v9, v20
	v_mul_lo_u32 v20, v9, s10
	v_mul_lo_u32 v9, v9, s11
	v_add3_u32 v6, v15, v19, v6
	v_add3_u32 v17, v23, v12, v20
	;; [unrolled: 1-line block ×3, first 2 shown]
	s_cbranch_scc1 .LBB125_238
; %bb.239:
	s_and_b32 s6, s27, 3
	s_cmp_eq_u32 s6, 0
	s_cbranch_scc0 .LBB125_243
	s_branch .LBB125_245
.LBB125_240:
                                        ; implicit-def: $vgpr17
                                        ; implicit-def: $vgpr19
	s_branch .LBB125_246
.LBB125_241:
	v_mov_b32_e32 v17, 0
	v_mov_b32_e32 v19, 0
	s_branch .LBB125_245
.LBB125_242:
	v_mov_b32_e32 v17, 0
	v_mov_b32_e32 v19, 0
	v_mov_b32_e32 v3, v1
	s_and_b32 s6, s27, 3
	s_cmp_eq_u32 s6, 0
	s_cbranch_scc1 .LBB125_245
.LBB125_243:
	s_lshl_b32 s2, s26, 3
	s_add_u32 s2, s34, s2
	s_addc_u32 s3, s35, 0
	s_add_u32 s2, s2, 0xc4
	s_addc_u32 s3, s3, 0
	s_mul_i32 s4, s26, 12
	s_add_u32 s4, s34, s4
	s_addc_u32 s5, s35, 0
.LBB125_244:                            ; =>This Inner Loop Header: Depth=1
	s_load_dwordx2 s[8:9], s[4:5], 0x4
	s_load_dword s7, s[4:5], 0xc
	s_load_dwordx2 s[10:11], s[2:3], 0x0
	s_add_u32 s4, s4, 12
	s_addc_u32 s5, s5, 0
	s_waitcnt lgkmcnt(0)
	v_mul_hi_u32 v6, s9, v3
	s_add_u32 s2, s2, 8
	s_addc_u32 s3, s3, 0
	s_add_i32 s6, s6, -1
	v_add_u32_e32 v6, v3, v6
	v_lshrrev_b32_e32 v6, s7, v6
	v_mul_lo_u32 v9, v6, s8
	s_cmp_lg_u32 s6, 0
	v_sub_u32_e32 v3, v3, v9
	v_mad_u64_u32 v[17:18], s[8:9], v3, s10, v[17:18]
	v_mad_u64_u32 v[19:20], s[8:9], v3, s11, v[19:20]
	v_mov_b32_e32 v3, v6
	s_cbranch_scc1 .LBB125_244
.LBB125_245:
	s_cbranch_execnz .LBB125_248
.LBB125_246:
	s_load_dwordx4 s[4:7], s[34:35], 0x4
	s_load_dwordx2 s[2:3], s[34:35], 0xc4
	s_cmp_lt_u32 s33, 2
	s_waitcnt lgkmcnt(0)
	v_mul_hi_u32 v3, s5, v1
	v_add_u32_e32 v3, v1, v3
	v_lshrrev_b32_e32 v3, s6, v3
	v_mul_lo_u32 v6, v3, s4
	v_sub_u32_e32 v1, v1, v6
	v_mul_lo_u32 v17, v1, s2
	v_mul_lo_u32 v19, v1, s3
	s_cbranch_scc1 .LBB125_248
; %bb.247:
	s_load_dwordx4 s[4:7], s[34:35], 0x10
	s_load_dwordx2 s[2:3], s[34:35], 0xcc
	s_waitcnt lgkmcnt(0)
	v_mul_hi_u32 v1, s5, v3
	v_add_u32_e32 v1, v3, v1
	v_lshrrev_b32_e32 v1, s6, v1
	v_mul_lo_u32 v1, v1, s4
	v_sub_u32_e32 v1, v3, v1
	v_mad_u64_u32 v[17:18], s[4:5], v1, s2, v[17:18]
	v_mad_u64_u32 v[19:20], s[2:3], v1, s3, v[19:20]
.LBB125_248:
	s_and_b64 vcc, exec, s[0:1]
	v_add_u32_e32 v1, 0x300, v21
	s_cbranch_vccnz .LBB125_254
; %bb.249:
	s_cmp_lg_u32 s33, 0
	s_mov_b32 s26, 0
	s_cbranch_scc0 .LBB125_255
; %bb.250:
	s_min_u32 s27, s60, 15
	s_add_i32 s27, s27, 1
	s_cmp_eq_u32 s60, 2
	s_cbranch_scc1 .LBB125_256
; %bb.251:
	s_and_b32 s26, s27, 28
	s_add_u32 s2, s34, 0xc4
	s_addc_u32 s3, s35, 0
	v_mov_b32_e32 v22, 0
	s_mov_b32 s28, 0
	s_mov_b64 s[24:25], s[34:35]
	v_mov_b32_e32 v20, 0
	v_mov_b32_e32 v3, v1
.LBB125_252:                            ; =>This Inner Loop Header: Depth=1
	s_load_dwordx8 s[12:19], s[24:25], 0x4
	s_load_dwordx4 s[20:23], s[24:25], 0x24
	s_load_dwordx8 s[4:11], s[2:3], 0x0
	s_add_u32 s24, s24, 48
	s_addc_u32 s25, s25, 0
	s_waitcnt lgkmcnt(0)
	v_mul_hi_u32 v6, s13, v3
	s_add_i32 s28, s28, 4
	s_add_u32 s2, s2, 32
	s_addc_u32 s3, s3, 0
	v_add_u32_e32 v6, v3, v6
	v_lshrrev_b32_e32 v6, s14, v6
	v_mul_lo_u32 v9, v6, s12
	v_mul_hi_u32 v12, s16, v6
	s_cmp_lg_u32 s26, s28
	v_sub_u32_e32 v3, v3, v9
	v_add_u32_e32 v9, v6, v12
	v_mul_lo_u32 v12, v3, s4
	v_mul_lo_u32 v15, v3, s5
	v_lshrrev_b32_e32 v3, s17, v9
	v_mul_lo_u32 v9, v3, s15
	v_mul_hi_u32 v18, s19, v3
	v_sub_u32_e32 v6, v6, v9
	v_add_u32_e32 v9, v3, v18
	v_lshrrev_b32_e32 v9, s20, v9
	v_mul_hi_u32 v21, s22, v9
	v_mul_lo_u32 v23, v9, s18
	v_mul_lo_u32 v18, v6, s6
	;; [unrolled: 1-line block ×3, first 2 shown]
	v_sub_u32_e32 v23, v3, v23
	v_add_u32_e32 v3, v9, v21
	v_lshrrev_b32_e32 v3, s23, v3
	v_mul_lo_u32 v21, v3, s21
	v_mul_lo_u32 v24, v23, s8
	;; [unrolled: 1-line block ×3, first 2 shown]
	v_add3_u32 v12, v12, v20, v18
	v_sub_u32_e32 v9, v9, v21
	v_mul_lo_u32 v21, v9, s10
	v_mul_lo_u32 v9, v9, s11
	v_add3_u32 v6, v15, v22, v6
	v_add3_u32 v20, v24, v12, v21
	;; [unrolled: 1-line block ×3, first 2 shown]
	s_cbranch_scc1 .LBB125_252
; %bb.253:
	s_and_b32 s6, s27, 3
	s_cmp_eq_u32 s6, 0
	s_cbranch_scc0 .LBB125_257
	s_branch .LBB125_259
.LBB125_254:
                                        ; implicit-def: $vgpr20
                                        ; implicit-def: $vgpr22
	s_branch .LBB125_260
.LBB125_255:
	v_mov_b32_e32 v20, 0
	v_mov_b32_e32 v22, 0
	s_branch .LBB125_259
.LBB125_256:
	v_mov_b32_e32 v20, 0
	v_mov_b32_e32 v22, 0
	;; [unrolled: 1-line block ×3, first 2 shown]
	s_and_b32 s6, s27, 3
	s_cmp_eq_u32 s6, 0
	s_cbranch_scc1 .LBB125_259
.LBB125_257:
	s_lshl_b32 s2, s26, 3
	s_add_u32 s2, s34, s2
	s_addc_u32 s3, s35, 0
	s_add_u32 s2, s2, 0xc4
	s_addc_u32 s3, s3, 0
	s_mul_i32 s4, s26, 12
	s_add_u32 s4, s34, s4
	s_addc_u32 s5, s35, 0
.LBB125_258:                            ; =>This Inner Loop Header: Depth=1
	s_load_dwordx2 s[8:9], s[4:5], 0x4
	s_load_dword s7, s[4:5], 0xc
	s_load_dwordx2 s[10:11], s[2:3], 0x0
	s_add_u32 s4, s4, 12
	s_addc_u32 s5, s5, 0
	s_waitcnt lgkmcnt(0)
	v_mul_hi_u32 v6, s9, v3
	s_add_u32 s2, s2, 8
	s_addc_u32 s3, s3, 0
	s_add_i32 s6, s6, -1
	v_add_u32_e32 v6, v3, v6
	v_lshrrev_b32_e32 v6, s7, v6
	v_mul_lo_u32 v9, v6, s8
	s_cmp_lg_u32 s6, 0
	v_sub_u32_e32 v3, v3, v9
	v_mad_u64_u32 v[20:21], s[8:9], v3, s10, v[20:21]
	v_mad_u64_u32 v[22:23], s[8:9], v3, s11, v[22:23]
	v_mov_b32_e32 v3, v6
	s_cbranch_scc1 .LBB125_258
.LBB125_259:
	s_cbranch_execnz .LBB125_262
.LBB125_260:
	s_load_dwordx4 s[4:7], s[34:35], 0x4
	s_load_dwordx2 s[2:3], s[34:35], 0xc4
	s_cmp_lt_u32 s33, 2
	s_waitcnt lgkmcnt(0)
	v_mul_hi_u32 v3, s5, v1
	v_add_u32_e32 v3, v1, v3
	v_lshrrev_b32_e32 v3, s6, v3
	v_mul_lo_u32 v6, v3, s4
	v_sub_u32_e32 v1, v1, v6
	v_mul_lo_u32 v20, v1, s2
	v_mul_lo_u32 v22, v1, s3
	s_cbranch_scc1 .LBB125_262
; %bb.261:
	s_load_dwordx4 s[4:7], s[34:35], 0x10
	s_load_dwordx2 s[2:3], s[34:35], 0xcc
	s_waitcnt lgkmcnt(0)
	v_mul_hi_u32 v1, s5, v3
	v_add_u32_e32 v1, v3, v1
	v_lshrrev_b32_e32 v1, s6, v1
	v_mul_lo_u32 v1, v1, s4
	v_sub_u32_e32 v1, v3, v1
	v_mad_u64_u32 v[20:21], s[4:5], v1, s2, v[20:21]
	v_mad_u64_u32 v[22:23], s[2:3], v1, s3, v[22:23]
.LBB125_262:
	s_and_b64 vcc, exec, s[0:1]
	s_cbranch_vccnz .LBB125_268
; %bb.263:
	s_cmp_lg_u32 s33, 0
	s_mov_b32 s24, 0
	s_cbranch_scc0 .LBB125_269
; %bb.264:
	s_min_u32 s25, s60, 15
	s_add_i32 s25, s25, 1
	s_cmp_eq_u32 s60, 2
	s_cbranch_scc1 .LBB125_270
; %bb.265:
	s_and_b32 s24, s25, 28
	s_add_u32 s20, s34, 0xc4
	s_addc_u32 s21, s35, 0
	v_mov_b32_e32 v25, 0
	s_mov_b32 s26, 0
	s_mov_b64 s[22:23], s[34:35]
	v_mov_b32_e32 v23, 0
	v_mov_b32_e32 v1, v2
.LBB125_266:                            ; =>This Inner Loop Header: Depth=1
	s_load_dwordx8 s[8:15], s[22:23], 0x4
	s_load_dwordx4 s[16:19], s[22:23], 0x24
	s_load_dwordx8 s[0:7], s[20:21], 0x0
	s_add_u32 s22, s22, 48
	s_addc_u32 s23, s23, 0
	s_waitcnt lgkmcnt(0)
	v_mul_hi_u32 v3, s9, v1
	s_add_i32 s26, s26, 4
	s_add_u32 s20, s20, 32
	s_addc_u32 s21, s21, 0
	v_add_u32_e32 v3, v1, v3
	v_lshrrev_b32_e32 v3, s10, v3
	v_mul_lo_u32 v6, v3, s8
	v_mul_hi_u32 v9, s12, v3
	s_cmp_lg_u32 s24, s26
	v_sub_u32_e32 v1, v1, v6
	v_add_u32_e32 v6, v3, v9
	v_mul_lo_u32 v9, v1, s0
	v_mul_lo_u32 v12, v1, s1
	v_lshrrev_b32_e32 v1, s13, v6
	v_mul_lo_u32 v6, v1, s11
	v_mul_hi_u32 v15, s15, v1
	v_sub_u32_e32 v3, v3, v6
	v_add_u32_e32 v6, v1, v15
	v_lshrrev_b32_e32 v6, s16, v6
	v_mul_hi_u32 v18, s18, v6
	v_mul_lo_u32 v21, v6, s14
	v_mul_lo_u32 v15, v3, s2
	;; [unrolled: 1-line block ×3, first 2 shown]
	v_sub_u32_e32 v21, v1, v21
	v_add_u32_e32 v1, v6, v18
	v_lshrrev_b32_e32 v1, s19, v1
	v_mul_lo_u32 v18, v1, s17
	v_mul_lo_u32 v24, v21, s4
	;; [unrolled: 1-line block ×3, first 2 shown]
	v_add3_u32 v9, v9, v23, v15
	v_sub_u32_e32 v6, v6, v18
	v_mul_lo_u32 v18, v6, s6
	v_mul_lo_u32 v6, v6, s7
	v_add3_u32 v3, v12, v25, v3
	v_add3_u32 v23, v24, v9, v18
	;; [unrolled: 1-line block ×3, first 2 shown]
	s_cbranch_scc1 .LBB125_266
; %bb.267:
	s_and_b32 s4, s25, 3
	s_cmp_eq_u32 s4, 0
	s_cbranch_scc0 .LBB125_271
	s_branch .LBB125_273
.LBB125_268:
                                        ; implicit-def: $vgpr23
                                        ; implicit-def: $vgpr25
	s_branch .LBB125_274
.LBB125_269:
	v_mov_b32_e32 v23, 0
	v_mov_b32_e32 v25, 0
	s_branch .LBB125_273
.LBB125_270:
	v_mov_b32_e32 v23, 0
	v_mov_b32_e32 v25, 0
	;; [unrolled: 1-line block ×3, first 2 shown]
	s_and_b32 s4, s25, 3
	s_cmp_eq_u32 s4, 0
	s_cbranch_scc1 .LBB125_273
.LBB125_271:
	s_lshl_b32 s0, s24, 3
	s_add_u32 s0, s34, s0
	s_addc_u32 s1, s35, 0
	s_add_u32 s0, s0, 0xc4
	s_addc_u32 s1, s1, 0
	s_mul_i32 s2, s24, 12
	s_add_u32 s2, s34, s2
	s_addc_u32 s3, s35, 0
.LBB125_272:                            ; =>This Inner Loop Header: Depth=1
	s_load_dwordx2 s[6:7], s[2:3], 0x4
	s_load_dword s5, s[2:3], 0xc
	s_load_dwordx2 s[8:9], s[0:1], 0x0
	s_add_u32 s2, s2, 12
	s_addc_u32 s3, s3, 0
	s_waitcnt lgkmcnt(0)
	v_mul_hi_u32 v3, s7, v1
	s_add_u32 s0, s0, 8
	s_addc_u32 s1, s1, 0
	s_add_i32 s4, s4, -1
	v_add_u32_e32 v3, v1, v3
	v_lshrrev_b32_e32 v3, s5, v3
	v_mul_lo_u32 v6, v3, s6
	s_cmp_lg_u32 s4, 0
	v_sub_u32_e32 v1, v1, v6
	v_mad_u64_u32 v[23:24], s[6:7], v1, s8, v[23:24]
	v_mad_u64_u32 v[25:26], s[6:7], v1, s9, v[25:26]
	v_mov_b32_e32 v1, v3
	s_cbranch_scc1 .LBB125_272
.LBB125_273:
	s_cbranch_execnz .LBB125_276
.LBB125_274:
	s_load_dwordx4 s[0:3], s[34:35], 0x4
	s_load_dwordx2 s[4:5], s[34:35], 0xc4
	s_cmp_lt_u32 s33, 2
	s_waitcnt lgkmcnt(0)
	v_mul_hi_u32 v1, s1, v2
	v_add_u32_e32 v1, v2, v1
	v_lshrrev_b32_e32 v1, s2, v1
	v_mul_lo_u32 v3, v1, s0
	v_sub_u32_e32 v2, v2, v3
	v_mul_lo_u32 v23, v2, s4
	v_mul_lo_u32 v25, v2, s5
	s_cbranch_scc1 .LBB125_276
; %bb.275:
	s_load_dwordx4 s[0:3], s[34:35], 0x10
	s_load_dwordx2 s[4:5], s[34:35], 0xcc
	s_waitcnt lgkmcnt(0)
	v_mul_hi_u32 v2, s1, v1
	v_add_u32_e32 v2, v1, v2
	v_lshrrev_b32_e32 v2, s2, v2
	v_mul_lo_u32 v2, v2, s0
	v_sub_u32_e32 v1, v1, v2
	v_mad_u64_u32 v[23:24], s[0:1], v1, s4, v[23:24]
	v_mad_u64_u32 v[25:26], s[0:1], v1, s5, v[25:26]
.LBB125_276:
	s_load_dwordx4 s[4:7], s[34:35], 0x148
	s_load_dword s0, s[34:35], 0x160
	s_load_dwordx4 s[8:11], s[34:35], 0x170
	s_waitcnt lgkmcnt(0)
	global_load_dwordx4 v[0:3], v0, s[6:7]
	s_cmp_lg_u32 s0, 0
	s_cselect_b64 s[12:13], -1, 0
	s_and_b64 vcc, exec, s[12:13]
	s_cbranch_vccz .LBB125_301
; %bb.277:
	s_waitcnt vmcnt(0)
	v_cmp_neq_f64_e32 vcc, s[8:9], v[0:1]
	v_cmp_neq_f64_e64 s[0:1], s[10:11], v[2:3]
	s_or_b64 s[2:3], vcc, s[0:1]
	s_cbranch_execnz .LBB125_279
.LBB125_278:
	s_waitcnt vmcnt(0)
	v_cmp_eq_f64_e32 vcc, s[8:9], v[0:1]
	v_cmp_eq_f64_e64 s[0:1], s[10:11], v[2:3]
	s_andn2_b64 s[2:3], s[2:3], exec
	s_and_b64 s[0:1], vcc, s[0:1]
	s_and_b64 s[0:1], s[0:1], exec
	s_or_b64 s[2:3], s[2:3], s[0:1]
.LBB125_279:
	global_load_dwordx4 v[0:3], v7, s[6:7]
	s_and_b64 vcc, exec, s[12:13]
	s_cbranch_vccz .LBB125_302
; %bb.280:
	s_waitcnt vmcnt(0)
	v_cmp_neq_f64_e32 vcc, s[8:9], v[0:1]
	v_cmp_neq_f64_e64 s[0:1], s[10:11], v[2:3]
	s_or_b64 s[14:15], vcc, s[0:1]
	s_cbranch_execnz .LBB125_282
.LBB125_281:
	s_waitcnt vmcnt(0)
	v_cmp_eq_f64_e32 vcc, s[8:9], v[0:1]
	v_cmp_eq_f64_e64 s[0:1], s[10:11], v[2:3]
	s_andn2_b64 s[14:15], s[14:15], exec
	s_and_b64 s[0:1], vcc, s[0:1]
	s_and_b64 s[0:1], s[0:1], exec
	s_or_b64 s[14:15], s[14:15], s[0:1]
.LBB125_282:
	global_load_dwordx4 v[0:3], v10, s[6:7]
	s_and_b64 vcc, exec, s[12:13]
	s_cbranch_vccz .LBB125_303
; %bb.283:
	s_waitcnt vmcnt(0)
	v_cmp_neq_f64_e32 vcc, s[8:9], v[0:1]
	v_cmp_neq_f64_e64 s[0:1], s[10:11], v[2:3]
	s_or_b64 s[16:17], vcc, s[0:1]
	s_cbranch_execnz .LBB125_285
.LBB125_284:
	s_waitcnt vmcnt(0)
	v_cmp_eq_f64_e32 vcc, s[8:9], v[0:1]
	v_cmp_eq_f64_e64 s[0:1], s[10:11], v[2:3]
	s_andn2_b64 s[16:17], s[16:17], exec
	s_and_b64 s[0:1], vcc, s[0:1]
	s_and_b64 s[0:1], s[0:1], exec
	s_or_b64 s[16:17], s[16:17], s[0:1]
.LBB125_285:
	global_load_dwordx4 v[0:3], v13, s[6:7]
	s_and_b64 vcc, exec, s[12:13]
	s_cbranch_vccz .LBB125_304
; %bb.286:
	s_waitcnt vmcnt(0)
	v_cmp_neq_f64_e32 vcc, s[8:9], v[0:1]
	v_cmp_neq_f64_e64 s[0:1], s[10:11], v[2:3]
	s_or_b64 s[18:19], vcc, s[0:1]
	s_cbranch_execnz .LBB125_288
.LBB125_287:
	s_waitcnt vmcnt(0)
	v_cmp_eq_f64_e32 vcc, s[8:9], v[0:1]
	v_cmp_eq_f64_e64 s[0:1], s[10:11], v[2:3]
	s_andn2_b64 s[18:19], s[18:19], exec
	s_and_b64 s[0:1], vcc, s[0:1]
	s_and_b64 s[0:1], s[0:1], exec
	s_or_b64 s[18:19], s[18:19], s[0:1]
.LBB125_288:
	global_load_dwordx4 v[0:3], v16, s[6:7]
	s_and_b64 vcc, exec, s[12:13]
	s_cbranch_vccz .LBB125_305
; %bb.289:
	s_waitcnt vmcnt(0)
	v_cmp_neq_f64_e32 vcc, s[8:9], v[0:1]
	v_cmp_neq_f64_e64 s[0:1], s[10:11], v[2:3]
	s_or_b64 s[20:21], vcc, s[0:1]
	s_cbranch_execnz .LBB125_291
.LBB125_290:
	s_waitcnt vmcnt(0)
	v_cmp_eq_f64_e32 vcc, s[8:9], v[0:1]
	v_cmp_eq_f64_e64 s[0:1], s[10:11], v[2:3]
	s_andn2_b64 s[20:21], s[20:21], exec
	s_and_b64 s[0:1], vcc, s[0:1]
	s_and_b64 s[0:1], s[0:1], exec
	s_or_b64 s[20:21], s[20:21], s[0:1]
.LBB125_291:
	global_load_dwordx4 v[0:3], v19, s[6:7]
	s_and_b64 vcc, exec, s[12:13]
	s_cbranch_vccz .LBB125_306
; %bb.292:
	s_waitcnt vmcnt(0)
	v_cmp_neq_f64_e32 vcc, s[8:9], v[0:1]
	v_cmp_neq_f64_e64 s[0:1], s[10:11], v[2:3]
	s_or_b64 s[22:23], vcc, s[0:1]
	s_cbranch_execnz .LBB125_294
.LBB125_293:
	s_waitcnt vmcnt(0)
	v_cmp_eq_f64_e32 vcc, s[8:9], v[0:1]
	v_cmp_eq_f64_e64 s[0:1], s[10:11], v[2:3]
	s_andn2_b64 s[22:23], s[22:23], exec
	s_and_b64 s[0:1], vcc, s[0:1]
	s_and_b64 s[0:1], s[0:1], exec
	s_or_b64 s[22:23], s[22:23], s[0:1]
.LBB125_294:
	global_load_dwordx4 v[0:3], v22, s[6:7]
	s_and_b64 vcc, exec, s[12:13]
	s_cbranch_vccz .LBB125_307
; %bb.295:
	s_waitcnt vmcnt(0)
	v_cmp_neq_f64_e32 vcc, s[8:9], v[0:1]
	v_cmp_neq_f64_e64 s[0:1], s[10:11], v[2:3]
	s_or_b64 s[24:25], vcc, s[0:1]
	s_cbranch_execnz .LBB125_297
.LBB125_296:
	s_waitcnt vmcnt(0)
	v_cmp_eq_f64_e32 vcc, s[8:9], v[0:1]
	v_cmp_eq_f64_e64 s[0:1], s[10:11], v[2:3]
	s_andn2_b64 s[24:25], s[24:25], exec
	s_and_b64 s[0:1], vcc, s[0:1]
	s_and_b64 s[0:1], s[0:1], exec
	s_or_b64 s[24:25], s[24:25], s[0:1]
.LBB125_297:
	global_load_dwordx4 v[0:3], v25, s[6:7]
	s_and_b64 vcc, exec, s[12:13]
	s_cbranch_vccz .LBB125_308
; %bb.298:
	s_waitcnt vmcnt(0)
	v_cmp_neq_f64_e32 vcc, s[8:9], v[0:1]
	v_cmp_neq_f64_e64 s[0:1], s[10:11], v[2:3]
	s_or_b64 s[6:7], vcc, s[0:1]
	s_cbranch_execnz .LBB125_300
.LBB125_299:
	s_waitcnt vmcnt(0)
	v_cmp_eq_f64_e32 vcc, s[8:9], v[0:1]
	v_cmp_eq_f64_e64 s[0:1], s[10:11], v[2:3]
	s_andn2_b64 s[6:7], s[6:7], exec
	s_and_b64 s[0:1], vcc, s[0:1]
	s_and_b64 s[0:1], s[0:1], exec
	s_or_b64 s[6:7], s[6:7], s[0:1]
.LBB125_300:
	v_cndmask_b32_e64 v9, 0, 1, s[2:3]
	s_waitcnt vmcnt(0)
	v_cndmask_b32_e64 v0, 0, 1, s[24:25]
	v_cndmask_b32_e64 v1, 0, 1, s[22:23]
	;; [unrolled: 1-line block ×7, first 2 shown]
	global_store_byte v4, v9, s[4:5]
	global_store_byte v5, v7, s[4:5]
	;; [unrolled: 1-line block ×8, first 2 shown]
	s_endpgm
.LBB125_301:
                                        ; implicit-def: $sgpr2_sgpr3
	s_branch .LBB125_278
.LBB125_302:
                                        ; implicit-def: $sgpr14_sgpr15
	s_branch .LBB125_281
.LBB125_303:
                                        ; implicit-def: $sgpr16_sgpr17
	s_branch .LBB125_284
.LBB125_304:
                                        ; implicit-def: $sgpr18_sgpr19
	s_branch .LBB125_287
.LBB125_305:
                                        ; implicit-def: $sgpr20_sgpr21
	s_branch .LBB125_290
.LBB125_306:
                                        ; implicit-def: $sgpr22_sgpr23
	s_branch .LBB125_293
.LBB125_307:
                                        ; implicit-def: $sgpr24_sgpr25
	s_branch .LBB125_296
.LBB125_308:
                                        ; implicit-def: $sgpr6_sgpr7
	s_branch .LBB125_299
	.section	.rodata,"a",@progbits
	.p2align	6, 0x0
	.amdhsa_kernel _ZN2at6native32elementwise_kernel_manual_unrollILi128ELi8EZNS0_22gpu_kernel_impl_nocastINS0_13AUnaryFunctorIN3c107complexIdEES6_bNS0_12_GLOBAL__N_116CompareEqFunctorIS6_EEEEEEvRNS_18TensorIteratorBaseERKT_EUlibE_EEviT1_
		.amdhsa_group_segment_fixed_size 0
		.amdhsa_private_segment_fixed_size 0
		.amdhsa_kernarg_size 400
		.amdhsa_user_sgpr_count 6
		.amdhsa_user_sgpr_private_segment_buffer 1
		.amdhsa_user_sgpr_dispatch_ptr 0
		.amdhsa_user_sgpr_queue_ptr 0
		.amdhsa_user_sgpr_kernarg_segment_ptr 1
		.amdhsa_user_sgpr_dispatch_id 0
		.amdhsa_user_sgpr_flat_scratch_init 0
		.amdhsa_user_sgpr_private_segment_size 0
		.amdhsa_uses_dynamic_stack 0
		.amdhsa_system_sgpr_private_segment_wavefront_offset 0
		.amdhsa_system_sgpr_workgroup_id_x 1
		.amdhsa_system_sgpr_workgroup_id_y 0
		.amdhsa_system_sgpr_workgroup_id_z 0
		.amdhsa_system_sgpr_workgroup_info 0
		.amdhsa_system_vgpr_workitem_id 0
		.amdhsa_next_free_vgpr 27
		.amdhsa_next_free_sgpr 66
		.amdhsa_reserve_vcc 1
		.amdhsa_reserve_flat_scratch 0
		.amdhsa_float_round_mode_32 0
		.amdhsa_float_round_mode_16_64 0
		.amdhsa_float_denorm_mode_32 3
		.amdhsa_float_denorm_mode_16_64 3
		.amdhsa_dx10_clamp 1
		.amdhsa_ieee_mode 1
		.amdhsa_fp16_overflow 0
		.amdhsa_exception_fp_ieee_invalid_op 0
		.amdhsa_exception_fp_denorm_src 0
		.amdhsa_exception_fp_ieee_div_zero 0
		.amdhsa_exception_fp_ieee_overflow 0
		.amdhsa_exception_fp_ieee_underflow 0
		.amdhsa_exception_fp_ieee_inexact 0
		.amdhsa_exception_int_div_zero 0
	.end_amdhsa_kernel
	.section	.text._ZN2at6native32elementwise_kernel_manual_unrollILi128ELi8EZNS0_22gpu_kernel_impl_nocastINS0_13AUnaryFunctorIN3c107complexIdEES6_bNS0_12_GLOBAL__N_116CompareEqFunctorIS6_EEEEEEvRNS_18TensorIteratorBaseERKT_EUlibE_EEviT1_,"axG",@progbits,_ZN2at6native32elementwise_kernel_manual_unrollILi128ELi8EZNS0_22gpu_kernel_impl_nocastINS0_13AUnaryFunctorIN3c107complexIdEES6_bNS0_12_GLOBAL__N_116CompareEqFunctorIS6_EEEEEEvRNS_18TensorIteratorBaseERKT_EUlibE_EEviT1_,comdat
.Lfunc_end125:
	.size	_ZN2at6native32elementwise_kernel_manual_unrollILi128ELi8EZNS0_22gpu_kernel_impl_nocastINS0_13AUnaryFunctorIN3c107complexIdEES6_bNS0_12_GLOBAL__N_116CompareEqFunctorIS6_EEEEEEvRNS_18TensorIteratorBaseERKT_EUlibE_EEviT1_, .Lfunc_end125-_ZN2at6native32elementwise_kernel_manual_unrollILi128ELi8EZNS0_22gpu_kernel_impl_nocastINS0_13AUnaryFunctorIN3c107complexIdEES6_bNS0_12_GLOBAL__N_116CompareEqFunctorIS6_EEEEEEvRNS_18TensorIteratorBaseERKT_EUlibE_EEviT1_
                                        ; -- End function
	.set _ZN2at6native32elementwise_kernel_manual_unrollILi128ELi8EZNS0_22gpu_kernel_impl_nocastINS0_13AUnaryFunctorIN3c107complexIdEES6_bNS0_12_GLOBAL__N_116CompareEqFunctorIS6_EEEEEEvRNS_18TensorIteratorBaseERKT_EUlibE_EEviT1_.num_vgpr, 27
	.set _ZN2at6native32elementwise_kernel_manual_unrollILi128ELi8EZNS0_22gpu_kernel_impl_nocastINS0_13AUnaryFunctorIN3c107complexIdEES6_bNS0_12_GLOBAL__N_116CompareEqFunctorIS6_EEEEEEvRNS_18TensorIteratorBaseERKT_EUlibE_EEviT1_.num_agpr, 0
	.set _ZN2at6native32elementwise_kernel_manual_unrollILi128ELi8EZNS0_22gpu_kernel_impl_nocastINS0_13AUnaryFunctorIN3c107complexIdEES6_bNS0_12_GLOBAL__N_116CompareEqFunctorIS6_EEEEEEvRNS_18TensorIteratorBaseERKT_EUlibE_EEviT1_.numbered_sgpr, 66
	.set _ZN2at6native32elementwise_kernel_manual_unrollILi128ELi8EZNS0_22gpu_kernel_impl_nocastINS0_13AUnaryFunctorIN3c107complexIdEES6_bNS0_12_GLOBAL__N_116CompareEqFunctorIS6_EEEEEEvRNS_18TensorIteratorBaseERKT_EUlibE_EEviT1_.num_named_barrier, 0
	.set _ZN2at6native32elementwise_kernel_manual_unrollILi128ELi8EZNS0_22gpu_kernel_impl_nocastINS0_13AUnaryFunctorIN3c107complexIdEES6_bNS0_12_GLOBAL__N_116CompareEqFunctorIS6_EEEEEEvRNS_18TensorIteratorBaseERKT_EUlibE_EEviT1_.private_seg_size, 0
	.set _ZN2at6native32elementwise_kernel_manual_unrollILi128ELi8EZNS0_22gpu_kernel_impl_nocastINS0_13AUnaryFunctorIN3c107complexIdEES6_bNS0_12_GLOBAL__N_116CompareEqFunctorIS6_EEEEEEvRNS_18TensorIteratorBaseERKT_EUlibE_EEviT1_.uses_vcc, 1
	.set _ZN2at6native32elementwise_kernel_manual_unrollILi128ELi8EZNS0_22gpu_kernel_impl_nocastINS0_13AUnaryFunctorIN3c107complexIdEES6_bNS0_12_GLOBAL__N_116CompareEqFunctorIS6_EEEEEEvRNS_18TensorIteratorBaseERKT_EUlibE_EEviT1_.uses_flat_scratch, 0
	.set _ZN2at6native32elementwise_kernel_manual_unrollILi128ELi8EZNS0_22gpu_kernel_impl_nocastINS0_13AUnaryFunctorIN3c107complexIdEES6_bNS0_12_GLOBAL__N_116CompareEqFunctorIS6_EEEEEEvRNS_18TensorIteratorBaseERKT_EUlibE_EEviT1_.has_dyn_sized_stack, 0
	.set _ZN2at6native32elementwise_kernel_manual_unrollILi128ELi8EZNS0_22gpu_kernel_impl_nocastINS0_13AUnaryFunctorIN3c107complexIdEES6_bNS0_12_GLOBAL__N_116CompareEqFunctorIS6_EEEEEEvRNS_18TensorIteratorBaseERKT_EUlibE_EEviT1_.has_recursion, 0
	.set _ZN2at6native32elementwise_kernel_manual_unrollILi128ELi8EZNS0_22gpu_kernel_impl_nocastINS0_13AUnaryFunctorIN3c107complexIdEES6_bNS0_12_GLOBAL__N_116CompareEqFunctorIS6_EEEEEEvRNS_18TensorIteratorBaseERKT_EUlibE_EEviT1_.has_indirect_call, 0
	.section	.AMDGPU.csdata,"",@progbits
; Kernel info:
; codeLenInByte = 12324
; TotalNumSgprs: 70
; NumVgprs: 27
; ScratchSize: 0
; MemoryBound: 0
; FloatMode: 240
; IeeeMode: 1
; LDSByteSize: 0 bytes/workgroup (compile time only)
; SGPRBlocks: 8
; VGPRBlocks: 6
; NumSGPRsForWavesPerEU: 70
; NumVGPRsForWavesPerEU: 27
; Occupancy: 9
; WaveLimiterHint : 1
; COMPUTE_PGM_RSRC2:SCRATCH_EN: 0
; COMPUTE_PGM_RSRC2:USER_SGPR: 6
; COMPUTE_PGM_RSRC2:TRAP_HANDLER: 0
; COMPUTE_PGM_RSRC2:TGID_X_EN: 1
; COMPUTE_PGM_RSRC2:TGID_Y_EN: 0
; COMPUTE_PGM_RSRC2:TGID_Z_EN: 0
; COMPUTE_PGM_RSRC2:TIDIG_COMP_CNT: 0
	.section	.text._ZN2at6native32elementwise_kernel_manual_unrollILi128ELi4EZNS0_15gpu_kernel_implINS0_13AUnaryFunctorIN3c107complexIdEES6_bNS0_12_GLOBAL__N_116CompareEqFunctorIS6_EEEEEEvRNS_18TensorIteratorBaseERKT_EUlibE_EEviT1_,"axG",@progbits,_ZN2at6native32elementwise_kernel_manual_unrollILi128ELi4EZNS0_15gpu_kernel_implINS0_13AUnaryFunctorIN3c107complexIdEES6_bNS0_12_GLOBAL__N_116CompareEqFunctorIS6_EEEEEEvRNS_18TensorIteratorBaseERKT_EUlibE_EEviT1_,comdat
	.globl	_ZN2at6native32elementwise_kernel_manual_unrollILi128ELi4EZNS0_15gpu_kernel_implINS0_13AUnaryFunctorIN3c107complexIdEES6_bNS0_12_GLOBAL__N_116CompareEqFunctorIS6_EEEEEEvRNS_18TensorIteratorBaseERKT_EUlibE_EEviT1_ ; -- Begin function _ZN2at6native32elementwise_kernel_manual_unrollILi128ELi4EZNS0_15gpu_kernel_implINS0_13AUnaryFunctorIN3c107complexIdEES6_bNS0_12_GLOBAL__N_116CompareEqFunctorIS6_EEEEEEvRNS_18TensorIteratorBaseERKT_EUlibE_EEviT1_
	.p2align	8
	.type	_ZN2at6native32elementwise_kernel_manual_unrollILi128ELi4EZNS0_15gpu_kernel_implINS0_13AUnaryFunctorIN3c107complexIdEES6_bNS0_12_GLOBAL__N_116CompareEqFunctorIS6_EEEEEEvRNS_18TensorIteratorBaseERKT_EUlibE_EEviT1_,@function
_ZN2at6native32elementwise_kernel_manual_unrollILi128ELi4EZNS0_15gpu_kernel_implINS0_13AUnaryFunctorIN3c107complexIdEES6_bNS0_12_GLOBAL__N_116CompareEqFunctorIS6_EEEEEEvRNS_18TensorIteratorBaseERKT_EUlibE_EEviT1_: ; @_ZN2at6native32elementwise_kernel_manual_unrollILi128ELi4EZNS0_15gpu_kernel_implINS0_13AUnaryFunctorIN3c107complexIdEES6_bNS0_12_GLOBAL__N_116CompareEqFunctorIS6_EEEEEEvRNS_18TensorIteratorBaseERKT_EUlibE_EEviT1_
; %bb.0:
	s_load_dwordx4 s[12:15], s[4:5], 0x40
	s_load_dword s33, s[4:5], 0x50
	s_load_dword s44, s[4:5], 0x0
	s_load_dwordx4 s[8:11], s[4:5], 0x10
	s_load_dwordx2 s[2:3], s[4:5], 0x20
	s_load_dword s48, s[4:5], 0x30
	v_lshl_or_b32 v6, s6, 9, v0
	v_or_b32_e32 v0, 0x180, v6
	s_waitcnt lgkmcnt(0)
	s_bfe_u32 s49, s33, 0x80008
	v_cmp_le_i32_e32 vcc, s44, v0
	s_mov_b64 s[4:5], 0
	s_mov_b64 s[16:17], 0
	s_and_saveexec_b64 s[0:1], vcc
	s_xor_b64 s[6:7], exec, s[0:1]
	s_cbranch_execz .LBB126_1063
; %bb.1:
	s_cmp_lg_u32 s48, 0
	s_cselect_b64 s[16:17], -1, 0
	v_cmp_gt_i32_e32 vcc, s44, v6
	s_mov_b64 s[24:25], -1
	s_mov_b64 s[26:27], 0
	s_mov_b64 s[20:21], 0
	;; [unrolled: 1-line block ×3, first 2 shown]
	s_and_saveexec_b64 s[22:23], vcc
	s_cbranch_execz .LBB126_260
; %bb.2:
	v_mul_lo_u32 v0, v6, s3
	v_mov_b32_e32 v1, s11
	s_and_b32 s28, 0xffff, s49
	s_cmp_lt_i32 s28, 11
	v_ashrrev_i32_e32 v2, 31, v0
	v_add_co_u32_e32 v4, vcc, s10, v0
	v_addc_co_u32_e32 v5, vcc, v1, v2, vcc
	s_cbranch_scc1 .LBB126_9
; %bb.3:
	s_cmp_gt_i32 s28, 25
	s_cbranch_scc0 .LBB126_21
; %bb.4:
	s_cmp_gt_i32 s28, 28
	s_cbranch_scc0 .LBB126_26
	;; [unrolled: 3-line block ×4, first 2 shown]
; %bb.7:
	s_cmp_eq_u32 s28, 46
	s_cbranch_scc0 .LBB126_32
; %bb.8:
	global_load_dword v0, v[4:5], off
	s_mov_b64 s[0:1], -1
	s_waitcnt vmcnt(0)
	v_and_b32_e32 v2, 0xffff0000, v0
	v_lshlrev_b32_e32 v0, 16, v0
	v_cvt_f64_f32_e32 v[0:1], v0
	v_cvt_f64_f32_e32 v[2:3], v2
	s_branch .LBB126_34
.LBB126_9:
                                        ; implicit-def: $vgpr2_vgpr3
	s_mov_b64 s[0:1], 0
	s_cbranch_execnz .LBB126_209
.LBB126_10:
	s_andn2_b64 vcc, exec, s[0:1]
	s_cbranch_vccnz .LBB126_258
.LBB126_11:
	s_and_b64 vcc, exec, s[16:17]
	s_cbranch_vccz .LBB126_25
; %bb.12:
	s_waitcnt vmcnt(0)
	v_cmp_neq_f64_e32 vcc, s[12:13], v[0:1]
	v_cmp_neq_f64_e64 s[0:1], s[14:15], v[2:3]
	s_or_b64 s[18:19], vcc, s[0:1]
	s_cbranch_execnz .LBB126_14
.LBB126_13:
	s_waitcnt vmcnt(0)
	v_cmp_eq_f64_e32 vcc, s[12:13], v[0:1]
	v_cmp_eq_f64_e64 s[0:1], s[14:15], v[2:3]
	s_andn2_b64 s[18:19], s[18:19], exec
	s_and_b64 s[0:1], vcc, s[0:1]
	s_and_b64 s[0:1], s[0:1], exec
	s_or_b64 s[18:19], s[18:19], s[0:1]
.LBB126_14:
	s_waitcnt vmcnt(0)
	v_mul_lo_u32 v0, v6, s2
	v_mov_b32_e32 v1, s9
	s_and_b32 s34, s33, 0xff
	s_cmp_lt_i32 s34, 11
	v_ashrrev_i32_e32 v2, 31, v0
	v_add_co_u32_e32 v0, vcc, s8, v0
	v_addc_co_u32_e32 v1, vcc, v1, v2, vcc
	s_cbranch_scc1 .LBB126_22
; %bb.15:
	s_and_b32 s35, 0xffff, s34
	s_cmp_gt_i32 s35, 25
	s_cbranch_scc0 .LBB126_27
; %bb.16:
	s_cmp_gt_i32 s35, 28
	s_cbranch_scc0 .LBB126_29
; %bb.17:
	;; [unrolled: 3-line block ×4, first 2 shown]
	s_mov_b64 s[28:29], 0
	s_mov_b64 s[0:1], -1
	s_cmp_eq_u32 s35, 46
	s_mov_b64 s[24:25], 0
	s_cbranch_scc0 .LBB126_38
; %bb.20:
	v_cndmask_b32_e64 v2, 0, 1.0, s[18:19]
	v_bfe_u32 v3, v2, 16, 1
	s_movk_i32 s0, 0x7fff
	v_add3_u32 v2, v2, v3, s0
	v_lshrrev_b32_e32 v2, 16, v2
	global_store_dword v[0:1], v2, off
	s_mov_b64 s[24:25], -1
	s_mov_b64 s[0:1], 0
	s_branch .LBB126_38
.LBB126_21:
	s_mov_b64 s[0:1], 0
                                        ; implicit-def: $vgpr2_vgpr3
	s_cbranch_execnz .LBB126_176
	s_branch .LBB126_208
.LBB126_22:
	s_mov_b64 s[0:1], 0
	s_mov_b64 s[24:25], 0
	s_cbranch_execnz .LBB126_107
.LBB126_23:
	s_andn2_b64 vcc, exec, s[24:25]
	s_cbranch_vccnz .LBB126_145
.LBB126_24:
	v_add_u32_e32 v6, 0x80, v6
	s_mov_b64 s[24:25], -1
	s_branch .LBB126_259
.LBB126_25:
                                        ; implicit-def: $sgpr18_sgpr19
	s_branch .LBB126_13
.LBB126_26:
	s_mov_b64 s[18:19], -1
	s_mov_b64 s[0:1], 0
                                        ; implicit-def: $vgpr2_vgpr3
	s_branch .LBB126_155
.LBB126_27:
	s_mov_b64 s[28:29], -1
	s_mov_b64 s[0:1], 0
	s_mov_b64 s[24:25], 0
	s_branch .LBB126_65
.LBB126_28:
	s_mov_b64 s[18:19], -1
	s_mov_b64 s[0:1], 0
                                        ; implicit-def: $vgpr2_vgpr3
	s_branch .LBB126_149
.LBB126_29:
	s_mov_b64 s[28:29], -1
	s_mov_b64 s[0:1], 0
	s_mov_b64 s[24:25], 0
	s_branch .LBB126_48
.LBB126_30:
	s_mov_b64 s[18:19], -1
	s_branch .LBB126_33
.LBB126_31:
	s_mov_b64 s[28:29], -1
	s_mov_b64 s[0:1], 0
	s_mov_b64 s[24:25], 0
	s_branch .LBB126_44
.LBB126_32:
	s_mov_b64 s[20:21], -1
.LBB126_33:
	s_mov_b64 s[0:1], 0
                                        ; implicit-def: $vgpr2_vgpr3
.LBB126_34:
	s_and_b64 vcc, exec, s[18:19]
	s_cbranch_vccz .LBB126_148
; %bb.35:
	s_cmp_eq_u32 s28, 44
	s_cbranch_scc0 .LBB126_146
; %bb.36:
	global_load_ubyte v2, v[4:5], off
	s_movk_i32 s18, 0xff
	v_bfrev_b32_e32 v3, 4
	v_mov_b32_e32 v7, 0x7ff80000
	v_bfrev_b32_e32 v8, 28
	s_mov_b64 s[0:1], -1
	s_mov_b64 s[20:21], 0
	s_waitcnt vmcnt(0)
	v_lshlrev_b32_e32 v0, 23, v2
	v_cvt_f64_f32_e32 v[0:1], v0
	v_cmp_ne_u32_e32 vcc, s18, v2
	v_cndmask_b32_e32 v0, v3, v0, vcc
	v_cndmask_b32_e32 v1, v7, v1, vcc
	v_cmp_ne_u32_e32 vcc, 0, v2
	v_cndmask_b32_e32 v1, v8, v1, vcc
	v_cndmask_b32_e32 v0, 0, v0, vcc
	s_branch .LBB126_147
.LBB126_37:
	s_mov_b64 s[28:29], -1
	s_mov_b64 s[0:1], 0
	s_mov_b64 s[24:25], 0
.LBB126_38:
	s_and_b64 vcc, exec, s[28:29]
	s_cbranch_vccz .LBB126_43
; %bb.39:
	s_cmp_eq_u32 s35, 44
	s_mov_b64 s[0:1], -1
	s_cbranch_scc0 .LBB126_43
; %bb.40:
	v_cndmask_b32_e64 v3, 0, 1.0, s[18:19]
	v_lshrrev_b32_e32 v2, 23, v3
	s_movk_i32 s0, 0xff
	v_cmp_ne_u32_e32 vcc, s0, v2
	v_mov_b32_e32 v4, 0xff
	s_and_saveexec_b64 s[24:25], vcc
; %bb.41:
	s_mov_b32 s0, 0x3fffff
	v_and_b32_e32 v4, 0x400000, v3
	v_and_or_b32 v3, v3, s0, v2
	v_cmp_ne_u32_e32 vcc, 0, v4
	v_cmp_ne_u32_e64 s[0:1], 0, v3
	s_and_b64 s[0:1], vcc, s[0:1]
	v_cndmask_b32_e64 v3, 0, 1, s[0:1]
	v_add_u32_e32 v4, v2, v3
; %bb.42:
	s_or_b64 exec, exec, s[24:25]
	s_mov_b64 s[24:25], -1
	s_mov_b64 s[0:1], 0
	global_store_byte v[0:1], v4, off
.LBB126_43:
	s_mov_b64 s[28:29], 0
.LBB126_44:
	s_and_b64 vcc, exec, s[28:29]
	s_cbranch_vccz .LBB126_47
; %bb.45:
	s_cmp_eq_u32 s35, 29
	s_mov_b64 s[0:1], -1
	s_cbranch_scc0 .LBB126_47
; %bb.46:
	s_mov_b32 s0, 0
	v_cndmask_b32_e64 v2, 0, 1, s[18:19]
	v_mov_b32_e32 v3, s0
	global_store_dwordx2 v[0:1], v[2:3], off
	s_mov_b64 s[24:25], -1
	s_mov_b64 s[0:1], 0
.LBB126_47:
	s_mov_b64 s[28:29], 0
.LBB126_48:
	s_and_b64 vcc, exec, s[28:29]
	s_cbranch_vccz .LBB126_64
; %bb.49:
	s_cmp_lt_i32 s35, 27
	s_mov_b64 s[24:25], -1
	s_cbranch_scc1 .LBB126_55
; %bb.50:
	s_cmp_gt_i32 s35, 27
	s_cbranch_scc0 .LBB126_52
; %bb.51:
	v_cndmask_b32_e64 v2, 0, 1, s[18:19]
	s_mov_b64 s[24:25], 0
	global_store_dword v[0:1], v2, off
.LBB126_52:
	s_andn2_b64 vcc, exec, s[24:25]
	s_cbranch_vccnz .LBB126_54
; %bb.53:
	v_cndmask_b32_e64 v2, 0, 1, s[18:19]
	global_store_short v[0:1], v2, off
.LBB126_54:
	s_mov_b64 s[24:25], 0
.LBB126_55:
	s_andn2_b64 vcc, exec, s[24:25]
	s_cbranch_vccnz .LBB126_63
; %bb.56:
	v_cndmask_b32_e64 v3, 0, 1.0, s[18:19]
	s_mov_b32 s24, 0x43800000
	v_cmp_gt_u32_e32 vcc, s24, v3
	v_mov_b32_e32 v4, 0x80
	s_and_saveexec_b64 s[24:25], vcc
	s_cbranch_execz .LBB126_62
; %bb.57:
	s_mov_b32 s28, 0x3bffffff
	v_cmp_lt_u32_e32 vcc, s28, v3
	s_mov_b64 s[28:29], 0
                                        ; implicit-def: $vgpr2
	s_and_saveexec_b64 s[30:31], vcc
	s_xor_b64 s[30:31], exec, s[30:31]
	s_cbranch_execz .LBB126_291
; %bb.58:
	v_bfe_u32 v2, v3, 20, 1
	s_mov_b32 s36, 0x487ffff
	v_add3_u32 v2, v3, v2, s36
	s_mov_b64 s[28:29], exec
	v_lshrrev_b32_e32 v2, 20, v2
                                        ; implicit-def: $vgpr3
	s_andn2_saveexec_b64 s[30:31], s[30:31]
	s_cbranch_execnz .LBB126_292
.LBB126_59:
	s_or_b64 exec, exec, s[30:31]
	v_mov_b32_e32 v4, 0
	s_and_saveexec_b64 s[30:31], s[28:29]
.LBB126_60:
	v_mov_b32_e32 v4, v2
.LBB126_61:
	s_or_b64 exec, exec, s[30:31]
.LBB126_62:
	s_or_b64 exec, exec, s[24:25]
	global_store_byte v[0:1], v4, off
.LBB126_63:
	s_mov_b64 s[24:25], -1
.LBB126_64:
	s_mov_b64 s[28:29], 0
.LBB126_65:
	s_and_b64 vcc, exec, s[28:29]
	s_cbranch_vccz .LBB126_106
; %bb.66:
	s_cmp_gt_i32 s35, 22
	s_mov_b64 s[28:29], -1
	s_cbranch_scc0 .LBB126_98
; %bb.67:
	s_cmp_lt_i32 s35, 24
	s_mov_b64 s[24:25], -1
	s_cbranch_scc1 .LBB126_87
; %bb.68:
	s_cmp_gt_i32 s35, 24
	s_cbranch_scc0 .LBB126_76
; %bb.69:
	v_cndmask_b32_e64 v3, 0, 1.0, s[18:19]
	s_mov_b32 s24, 0x47800000
	v_cmp_gt_u32_e32 vcc, s24, v3
	v_mov_b32_e32 v4, 0x80
	s_and_saveexec_b64 s[24:25], vcc
	s_cbranch_execz .LBB126_75
; %bb.70:
	s_mov_b32 s28, 0x37ffffff
	v_cmp_lt_u32_e32 vcc, s28, v3
	s_mov_b64 s[28:29], 0
                                        ; implicit-def: $vgpr2
	s_and_saveexec_b64 s[30:31], vcc
	s_xor_b64 s[30:31], exec, s[30:31]
	s_cbranch_execz .LBB126_295
; %bb.71:
	v_bfe_u32 v2, v3, 21, 1
	s_mov_b32 s36, 0x88fffff
	v_add3_u32 v2, v3, v2, s36
	s_mov_b64 s[28:29], exec
	v_lshrrev_b32_e32 v2, 21, v2
                                        ; implicit-def: $vgpr3
	s_andn2_saveexec_b64 s[30:31], s[30:31]
	s_cbranch_execnz .LBB126_296
.LBB126_72:
	s_or_b64 exec, exec, s[30:31]
	v_mov_b32_e32 v4, 0
	s_and_saveexec_b64 s[30:31], s[28:29]
.LBB126_73:
	v_mov_b32_e32 v4, v2
.LBB126_74:
	s_or_b64 exec, exec, s[30:31]
.LBB126_75:
	s_or_b64 exec, exec, s[24:25]
	s_mov_b64 s[24:25], 0
	global_store_byte v[0:1], v4, off
.LBB126_76:
	s_and_b64 vcc, exec, s[24:25]
	s_cbranch_vccz .LBB126_86
; %bb.77:
	v_cndmask_b32_e64 v2, 0, 1.0, s[18:19]
	s_mov_b32 s24, 0x43f00000
	v_cmp_gt_u32_e32 vcc, s24, v2
                                        ; implicit-def: $vgpr3
	s_and_saveexec_b64 s[24:25], vcc
	s_xor_b64 s[24:25], exec, s[24:25]
	s_cbranch_execz .LBB126_83
; %bb.78:
	s_mov_b32 s28, 0x3c7fffff
	v_cmp_lt_u32_e32 vcc, s28, v2
                                        ; implicit-def: $vgpr3
	s_and_saveexec_b64 s[28:29], vcc
	s_xor_b64 s[28:29], exec, s[28:29]
; %bb.79:
	v_bfe_u32 v3, v2, 20, 1
	s_mov_b32 s30, 0x407ffff
	v_add3_u32 v2, v2, v3, s30
	v_lshrrev_b32_e32 v3, 20, v2
	v_and_b32_e32 v2, 0xff00000, v2
	s_mov_b32 s30, 0x7f00000
	v_mov_b32_e32 v4, 0x7e
	v_cmp_ne_u32_e32 vcc, s30, v2
	v_cndmask_b32_e32 v3, v4, v3, vcc
                                        ; implicit-def: $vgpr2
; %bb.80:
	s_andn2_saveexec_b64 s[28:29], s[28:29]
; %bb.81:
	v_add_f32_e32 v3, 0x46800000, v2
; %bb.82:
	s_or_b64 exec, exec, s[28:29]
                                        ; implicit-def: $vgpr2
.LBB126_83:
	s_andn2_saveexec_b64 s[24:25], s[24:25]
; %bb.84:
	s_mov_b32 s28, 0x7f800000
	v_mov_b32_e32 v3, 0x7e
	v_mov_b32_e32 v4, 0x7f
	v_cmp_lt_u32_e32 vcc, s28, v2
	v_cndmask_b32_e32 v3, v3, v4, vcc
; %bb.85:
	s_or_b64 exec, exec, s[24:25]
	global_store_byte v[0:1], v3, off
.LBB126_86:
	s_mov_b64 s[24:25], 0
.LBB126_87:
	s_andn2_b64 vcc, exec, s[24:25]
	s_cbranch_vccnz .LBB126_97
; %bb.88:
	v_cndmask_b32_e64 v2, 0, 1.0, s[18:19]
	s_mov_b32 s24, 0x47800000
	v_cmp_gt_u32_e32 vcc, s24, v2
                                        ; implicit-def: $vgpr3
	s_and_saveexec_b64 s[24:25], vcc
	s_xor_b64 s[24:25], exec, s[24:25]
	s_cbranch_execz .LBB126_94
; %bb.89:
	s_mov_b32 s28, 0x387fffff
	v_cmp_lt_u32_e32 vcc, s28, v2
                                        ; implicit-def: $vgpr3
	s_and_saveexec_b64 s[28:29], vcc
	s_xor_b64 s[28:29], exec, s[28:29]
; %bb.90:
	v_bfe_u32 v3, v2, 21, 1
	s_mov_b32 s30, 0x80fffff
	v_add3_u32 v2, v2, v3, s30
	v_lshrrev_b32_e32 v3, 21, v2
                                        ; implicit-def: $vgpr2
; %bb.91:
	s_andn2_saveexec_b64 s[28:29], s[28:29]
; %bb.92:
	v_add_f32_e32 v3, 0x43000000, v2
; %bb.93:
	s_or_b64 exec, exec, s[28:29]
                                        ; implicit-def: $vgpr2
.LBB126_94:
	s_andn2_saveexec_b64 s[24:25], s[24:25]
; %bb.95:
	s_mov_b32 s28, 0x7f800000
	v_mov_b32_e32 v3, 0x7c
	v_mov_b32_e32 v4, 0x7f
	v_cmp_lt_u32_e32 vcc, s28, v2
	v_cndmask_b32_e32 v3, v3, v4, vcc
; %bb.96:
	s_or_b64 exec, exec, s[24:25]
	global_store_byte v[0:1], v3, off
.LBB126_97:
	s_mov_b64 s[28:29], 0
	s_mov_b64 s[24:25], -1
.LBB126_98:
	s_andn2_b64 vcc, exec, s[28:29]
	s_cbranch_vccnz .LBB126_106
; %bb.99:
	s_cmp_gt_i32 s35, 14
	s_mov_b64 s[28:29], -1
	s_cbranch_scc0 .LBB126_103
; %bb.100:
	s_cmp_eq_u32 s35, 15
	s_mov_b64 s[0:1], -1
	s_cbranch_scc0 .LBB126_102
; %bb.101:
	v_cndmask_b32_e64 v2, 0, 1.0, s[18:19]
	v_bfe_u32 v3, v2, 16, 1
	s_movk_i32 s0, 0x7fff
	v_add3_u32 v2, v2, v3, s0
	global_store_short_d16_hi v[0:1], v2, off
	s_mov_b64 s[24:25], -1
	s_mov_b64 s[0:1], 0
.LBB126_102:
	s_mov_b64 s[28:29], 0
.LBB126_103:
	s_and_b64 vcc, exec, s[28:29]
	s_cbranch_vccz .LBB126_106
; %bb.104:
	s_cmp_eq_u32 s35, 11
	s_mov_b64 s[0:1], -1
	s_cbranch_scc0 .LBB126_106
; %bb.105:
	v_cndmask_b32_e64 v2, 0, 1, s[18:19]
	s_mov_b64 s[24:25], -1
	s_mov_b64 s[0:1], 0
	global_store_byte v[0:1], v2, off
.LBB126_106:
	s_branch .LBB126_23
.LBB126_107:
	s_and_b32 s28, 0xffff, s34
	s_cmp_lt_i32 s28, 5
	s_mov_b64 s[24:25], -1
	s_cbranch_scc1 .LBB126_128
; %bb.108:
	s_cmp_lt_i32 s28, 8
	s_cbranch_scc1 .LBB126_118
; %bb.109:
	s_cmp_lt_i32 s28, 9
	s_cbranch_scc1 .LBB126_115
; %bb.110:
	s_cmp_gt_i32 s28, 9
	s_cbranch_scc0 .LBB126_112
; %bb.111:
	v_cndmask_b32_e64 v2, 0, 1, s[18:19]
	v_cvt_f64_u32_e32 v[2:3], v2
	v_mov_b32_e32 v4, 0
	v_mov_b32_e32 v5, v4
	s_mov_b64 s[24:25], 0
	global_store_dwordx4 v[0:1], v[2:5], off
.LBB126_112:
	s_andn2_b64 vcc, exec, s[24:25]
	s_cbranch_vccnz .LBB126_114
; %bb.113:
	v_cndmask_b32_e64 v2, 0, 1.0, s[18:19]
	v_mov_b32_e32 v3, 0
	global_store_dwordx2 v[0:1], v[2:3], off
.LBB126_114:
	s_mov_b64 s[24:25], 0
.LBB126_115:
	s_andn2_b64 vcc, exec, s[24:25]
	s_cbranch_vccnz .LBB126_117
; %bb.116:
	v_cndmask_b32_e64 v2, 0, 1.0, s[18:19]
	v_cvt_f16_f32_e32 v2, v2
	global_store_dword v[0:1], v2, off
.LBB126_117:
	s_mov_b64 s[24:25], 0
.LBB126_118:
	s_andn2_b64 vcc, exec, s[24:25]
	s_cbranch_vccnz .LBB126_127
; %bb.119:
	s_cmp_lt_i32 s28, 6
	s_mov_b64 s[24:25], -1
	s_cbranch_scc1 .LBB126_125
; %bb.120:
	s_cmp_gt_i32 s28, 6
	s_cbranch_scc0 .LBB126_122
; %bb.121:
	v_cndmask_b32_e64 v2, 0, 1, s[18:19]
	v_cvt_f64_u32_e32 v[2:3], v2
	s_mov_b64 s[24:25], 0
	global_store_dwordx2 v[0:1], v[2:3], off
.LBB126_122:
	s_andn2_b64 vcc, exec, s[24:25]
	s_cbranch_vccnz .LBB126_124
; %bb.123:
	v_cndmask_b32_e64 v2, 0, 1.0, s[18:19]
	global_store_dword v[0:1], v2, off
.LBB126_124:
	s_mov_b64 s[24:25], 0
.LBB126_125:
	s_andn2_b64 vcc, exec, s[24:25]
	s_cbranch_vccnz .LBB126_127
; %bb.126:
	v_cndmask_b32_e64 v2, 0, 1.0, s[18:19]
	v_cvt_f16_f32_e32 v2, v2
	global_store_short v[0:1], v2, off
.LBB126_127:
	s_mov_b64 s[24:25], 0
.LBB126_128:
	s_andn2_b64 vcc, exec, s[24:25]
	s_cbranch_vccnz .LBB126_144
; %bb.129:
	s_cmp_lt_i32 s28, 2
	s_mov_b64 s[24:25], -1
	s_cbranch_scc1 .LBB126_139
; %bb.130:
	s_cmp_lt_i32 s28, 3
	s_cbranch_scc1 .LBB126_136
; %bb.131:
	s_cmp_gt_i32 s28, 3
	s_cbranch_scc0 .LBB126_133
; %bb.132:
	s_mov_b32 s24, 0
	v_cndmask_b32_e64 v2, 0, 1, s[18:19]
	v_mov_b32_e32 v3, s24
	global_store_dwordx2 v[0:1], v[2:3], off
	s_mov_b64 s[24:25], 0
.LBB126_133:
	s_andn2_b64 vcc, exec, s[24:25]
	s_cbranch_vccnz .LBB126_135
; %bb.134:
	v_cndmask_b32_e64 v2, 0, 1, s[18:19]
	global_store_dword v[0:1], v2, off
.LBB126_135:
	s_mov_b64 s[24:25], 0
.LBB126_136:
	s_andn2_b64 vcc, exec, s[24:25]
	s_cbranch_vccnz .LBB126_138
; %bb.137:
	v_cndmask_b32_e64 v2, 0, 1, s[18:19]
	global_store_short v[0:1], v2, off
.LBB126_138:
	s_mov_b64 s[24:25], 0
.LBB126_139:
	s_andn2_b64 vcc, exec, s[24:25]
	s_cbranch_vccnz .LBB126_144
; %bb.140:
	s_mov_b64 s[24:25], -1
	s_cmp_gt_i32 s28, 0
	v_cndmask_b32_e64 v2, 0, 1, s[18:19]
	s_cbranch_scc0 .LBB126_142
; %bb.141:
	global_store_byte v[0:1], v2, off
	s_mov_b64 s[24:25], 0
.LBB126_142:
	s_andn2_b64 vcc, exec, s[24:25]
	s_cbranch_vccnz .LBB126_144
; %bb.143:
	global_store_byte v[0:1], v2, off
.LBB126_144:
	s_branch .LBB126_24
.LBB126_145:
	s_mov_b64 s[24:25], 0
                                        ; implicit-def: $vgpr6
	s_branch .LBB126_259
.LBB126_146:
	s_mov_b64 s[20:21], -1
                                        ; implicit-def: $vgpr0_vgpr1
.LBB126_147:
	v_mov_b32_e32 v2, 0
	v_mov_b32_e32 v3, 0
.LBB126_148:
	s_mov_b64 s[18:19], 0
.LBB126_149:
	s_and_b64 vcc, exec, s[18:19]
	s_cbranch_vccz .LBB126_154
; %bb.150:
	s_cmp_eq_u32 s28, 29
	s_cbranch_scc0 .LBB126_152
; %bb.151:
	global_load_dwordx2 v[0:1], v[4:5], off
	s_mov_b64 s[0:1], -1
	s_mov_b64 s[20:21], 0
	s_waitcnt vmcnt(0)
	v_cvt_f64_u32_e32 v[1:2], v1
	v_cvt_f64_u32_e32 v[7:8], v0
	v_ldexp_f64 v[1:2], v[1:2], 32
	v_add_f64 v[0:1], v[1:2], v[7:8]
	s_branch .LBB126_153
.LBB126_152:
	s_mov_b64 s[20:21], -1
                                        ; implicit-def: $vgpr0_vgpr1
.LBB126_153:
	v_mov_b32_e32 v2, 0
	v_mov_b32_e32 v3, 0
.LBB126_154:
	s_mov_b64 s[18:19], 0
.LBB126_155:
	s_and_b64 vcc, exec, s[18:19]
	s_cbranch_vccz .LBB126_175
; %bb.156:
	s_cmp_lt_i32 s28, 27
	s_cbranch_scc1 .LBB126_159
; %bb.157:
	s_cmp_gt_i32 s28, 27
	s_cbranch_scc0 .LBB126_160
; %bb.158:
	global_load_dword v0, v[4:5], off
	s_mov_b64 s[0:1], 0
	s_waitcnt vmcnt(0)
	v_cvt_f64_u32_e32 v[0:1], v0
	s_branch .LBB126_161
.LBB126_159:
	s_mov_b64 s[0:1], -1
                                        ; implicit-def: $vgpr0_vgpr1
	s_branch .LBB126_164
.LBB126_160:
	s_mov_b64 s[0:1], -1
                                        ; implicit-def: $vgpr0_vgpr1
.LBB126_161:
	s_andn2_b64 vcc, exec, s[0:1]
	s_cbranch_vccnz .LBB126_163
; %bb.162:
	global_load_ushort v0, v[4:5], off
	s_waitcnt vmcnt(0)
	v_cvt_f64_u32_e32 v[0:1], v0
.LBB126_163:
	s_mov_b64 s[0:1], 0
.LBB126_164:
	s_andn2_b64 vcc, exec, s[0:1]
	s_cbranch_vccnz .LBB126_174
; %bb.165:
	global_load_ubyte v2, v[4:5], off
	s_movk_i32 s0, 0x7f
	s_waitcnt vmcnt(0)
	v_cmp_lt_i16_e32 vcc, s0, v2
	s_mov_b64 s[0:1], 0
	s_and_saveexec_b64 s[18:19], vcc
	s_xor_b64 s[18:19], exec, s[18:19]
	s_cbranch_execz .LBB126_169
; %bb.166:
	s_movk_i32 s0, 0x80
	v_cmp_eq_u16_e32 vcc, s0, v2
	s_mov_b64 s[0:1], -1
	s_and_saveexec_b64 s[24:25], vcc
; %bb.167:
	s_xor_b64 s[0:1], exec, -1
; %bb.168:
	s_or_b64 exec, exec, s[24:25]
	s_and_b64 s[0:1], s[0:1], exec
.LBB126_169:
	s_or_saveexec_b64 s[18:19], s[18:19]
	v_bfrev_b32_e32 v0, 4
	v_mov_b32_e32 v1, 0x7ff80000
	s_xor_b64 exec, exec, s[18:19]
; %bb.170:
	v_cmp_ne_u16_e32 vcc, 0, v2
	v_mov_b32_e32 v0, 0
	s_andn2_b64 s[0:1], s[0:1], exec
	s_and_b64 s[24:25], vcc, exec
	v_mov_b32_e32 v1, 0
	s_or_b64 s[0:1], s[0:1], s[24:25]
; %bb.171:
	s_or_b64 exec, exec, s[18:19]
	s_and_saveexec_b64 s[18:19], s[0:1]
	s_cbranch_execz .LBB126_173
; %bb.172:
	v_and_b32_e32 v1, 0xffff, v2
	v_lshlrev_b32_e32 v0, 24, v2
	v_and_b32_e32 v2, 7, v1
	v_ffbh_u32_e32 v7, v2
	v_min_u32_e32 v7, 32, v7
	v_subrev_u32_e32 v8, 28, v7
	v_bfe_u32 v3, v1, 3, 4
	v_lshlrev_b32_e32 v1, v8, v1
	v_sub_u32_e32 v7, 29, v7
	v_and_b32_e32 v1, 7, v1
	v_cmp_eq_u32_e32 vcc, 0, v3
	v_cndmask_b32_e32 v3, v3, v7, vcc
	v_cndmask_b32_e32 v1, v2, v1, vcc
	v_mov_b32_e32 v2, 0x3b800000
	v_lshlrev_b32_e32 v1, 20, v1
	v_and_b32_e32 v0, 0x80000000, v0
	v_lshl_add_u32 v2, v3, 23, v2
	v_or3_b32 v0, v0, v2, v1
	v_cvt_f64_f32_e32 v[0:1], v0
.LBB126_173:
	s_or_b64 exec, exec, s[18:19]
.LBB126_174:
	v_mov_b32_e32 v2, 0
	v_mov_b32_e32 v3, 0
	s_mov_b64 s[0:1], -1
.LBB126_175:
	s_branch .LBB126_208
.LBB126_176:
	s_cmp_gt_i32 s28, 22
	s_cbranch_scc0 .LBB126_188
; %bb.177:
	s_cmp_lt_i32 s28, 24
	s_cbranch_scc1 .LBB126_189
; %bb.178:
	s_cmp_gt_i32 s28, 24
	s_cbranch_scc0 .LBB126_190
; %bb.179:
	global_load_ubyte v2, v[4:5], off
	s_movk_i32 s0, 0x7f
	s_waitcnt vmcnt(0)
	v_cmp_lt_i16_e32 vcc, s0, v2
	s_mov_b64 s[0:1], 0
	s_and_saveexec_b64 s[18:19], vcc
	s_xor_b64 s[18:19], exec, s[18:19]
	s_cbranch_execz .LBB126_183
; %bb.180:
	s_movk_i32 s0, 0x80
	v_cmp_eq_u16_e32 vcc, s0, v2
	s_mov_b64 s[0:1], -1
	s_and_saveexec_b64 s[24:25], vcc
; %bb.181:
	s_xor_b64 s[0:1], exec, -1
; %bb.182:
	s_or_b64 exec, exec, s[24:25]
	s_and_b64 s[0:1], s[0:1], exec
.LBB126_183:
	s_or_saveexec_b64 s[18:19], s[18:19]
	v_bfrev_b32_e32 v0, 4
	v_mov_b32_e32 v1, 0x7ff80000
	s_xor_b64 exec, exec, s[18:19]
; %bb.184:
	v_cmp_ne_u16_e32 vcc, 0, v2
	v_mov_b32_e32 v0, 0
	s_andn2_b64 s[0:1], s[0:1], exec
	s_and_b64 s[24:25], vcc, exec
	v_mov_b32_e32 v1, 0
	s_or_b64 s[0:1], s[0:1], s[24:25]
; %bb.185:
	s_or_b64 exec, exec, s[18:19]
	s_and_saveexec_b64 s[18:19], s[0:1]
	s_cbranch_execz .LBB126_187
; %bb.186:
	v_and_b32_e32 v1, 0xffff, v2
	v_lshlrev_b32_e32 v0, 24, v2
	v_and_b32_e32 v2, 3, v1
	v_ffbh_u32_e32 v7, v2
	v_min_u32_e32 v7, 32, v7
	v_subrev_u32_e32 v8, 29, v7
	v_bfe_u32 v3, v1, 2, 5
	v_lshlrev_b32_e32 v1, v8, v1
	v_sub_u32_e32 v7, 30, v7
	v_and_b32_e32 v1, 3, v1
	v_cmp_eq_u32_e32 vcc, 0, v3
	v_cndmask_b32_e32 v3, v3, v7, vcc
	v_cndmask_b32_e32 v1, v2, v1, vcc
	v_mov_b32_e32 v2, 0x37800000
	v_lshlrev_b32_e32 v1, 21, v1
	v_and_b32_e32 v0, 0x80000000, v0
	v_lshl_add_u32 v2, v3, 23, v2
	v_or3_b32 v0, v0, v2, v1
	v_cvt_f64_f32_e32 v[0:1], v0
.LBB126_187:
	s_or_b64 exec, exec, s[18:19]
	s_mov_b64 s[0:1], 0
	s_branch .LBB126_191
.LBB126_188:
                                        ; implicit-def: $vgpr0_vgpr1
	s_branch .LBB126_197
.LBB126_189:
	s_mov_b64 s[0:1], -1
                                        ; implicit-def: $vgpr0_vgpr1
	s_branch .LBB126_194
.LBB126_190:
	s_mov_b64 s[0:1], -1
                                        ; implicit-def: $vgpr0_vgpr1
.LBB126_191:
	s_and_b64 vcc, exec, s[0:1]
	s_cbranch_vccz .LBB126_193
; %bb.192:
	global_load_ubyte v0, v[4:5], off
	s_mov_b32 s0, 0x7f800000
	s_waitcnt vmcnt(0)
	v_lshlrev_b32_e32 v0, 24, v0
	v_and_b32_e32 v1, 0x7f000000, v0
	v_ffbh_u32_e32 v2, v1
	v_min_u32_e32 v2, 32, v2
	v_sub_u32_e64 v2, v2, 4 clamp
	v_lshlrev_b32_e32 v7, v2, v1
	v_lshlrev_b32_e32 v2, 23, v2
	v_lshrrev_b32_e32 v7, 4, v7
	v_add_u32_e32 v3, 0x1000000, v1
	v_sub_u32_e32 v2, v7, v2
	v_ashrrev_i32_e32 v3, 8, v3
	v_add_u32_e32 v2, 0x3c000000, v2
	v_and_or_b32 v2, v3, s0, v2
	v_cmp_ne_u32_e32 vcc, 0, v1
	v_cndmask_b32_e32 v1, 0, v2, vcc
	s_brev_b32 s0, 1
	v_and_or_b32 v0, v0, s0, v1
	v_cvt_f64_f32_e32 v[0:1], v0
.LBB126_193:
	s_mov_b64 s[0:1], 0
.LBB126_194:
	s_andn2_b64 vcc, exec, s[0:1]
	s_cbranch_vccnz .LBB126_196
; %bb.195:
	global_load_ubyte v0, v[4:5], off
	s_movk_i32 s0, 0x7f00
	s_brev_b32 s1, 16
	s_waitcnt vmcnt(0)
	v_lshlrev_b16_e32 v1, 8, v0
	v_lshlrev_b32_e32 v0, 25, v0
	v_lshrrev_b32_e32 v2, 4, v0
	v_and_or_b32 v3, v1, s0, 0.5
	v_or_b32_e32 v2, 0x70000000, v2
	v_add_f32_e32 v3, -0.5, v3
	v_mul_f32_e32 v2, 0x7800000, v2
	v_cmp_gt_u32_e32 vcc, s1, v0
	v_bfe_i32 v1, v1, 0, 16
	v_cndmask_b32_e32 v0, v2, v3, vcc
	s_brev_b32 s0, 1
	v_and_or_b32 v0, v1, s0, v0
	v_cvt_f64_f32_e32 v[0:1], v0
.LBB126_196:
	s_mov_b64 s[0:1], -1
	s_cbranch_execnz .LBB126_207
.LBB126_197:
	s_cmp_gt_i32 s28, 14
	s_cbranch_scc0 .LBB126_200
; %bb.198:
	s_cmp_eq_u32 s28, 15
	s_cbranch_scc0 .LBB126_201
; %bb.199:
	global_load_ushort v0, v[4:5], off
	s_mov_b64 s[0:1], -1
	s_mov_b64 s[20:21], 0
	s_waitcnt vmcnt(0)
	v_lshlrev_b32_e32 v0, 16, v0
	v_cvt_f64_f32_e32 v[0:1], v0
	s_branch .LBB126_202
.LBB126_200:
	s_mov_b64 s[18:19], -1
                                        ; implicit-def: $vgpr0_vgpr1
	s_branch .LBB126_203
.LBB126_201:
	s_mov_b64 s[20:21], -1
                                        ; implicit-def: $vgpr0_vgpr1
.LBB126_202:
	s_mov_b64 s[18:19], 0
.LBB126_203:
	s_and_b64 vcc, exec, s[18:19]
	s_cbranch_vccz .LBB126_207
; %bb.204:
	s_cmp_eq_u32 s28, 11
	s_cbranch_scc0 .LBB126_206
; %bb.205:
	global_load_ubyte v1, v[4:5], off
	v_mov_b32_e32 v2, 0x3ff00000
	v_mov_b32_e32 v0, 0
	s_mov_b64 s[0:1], -1
	s_mov_b64 s[20:21], 0
	s_waitcnt vmcnt(0)
	v_cmp_ne_u16_e32 vcc, 0, v1
	v_cndmask_b32_e32 v1, 0, v2, vcc
	s_branch .LBB126_207
.LBB126_206:
	s_mov_b64 s[20:21], -1
                                        ; implicit-def: $vgpr0_vgpr1
.LBB126_207:
	v_mov_b32_e32 v2, 0
	v_mov_b32_e32 v3, 0
.LBB126_208:
	s_branch .LBB126_10
.LBB126_209:
	s_cmp_lt_i32 s28, 5
	s_cbranch_scc1 .LBB126_214
; %bb.210:
	s_cmp_lt_i32 s28, 8
	s_cbranch_scc1 .LBB126_215
; %bb.211:
	s_cmp_lt_i32 s28, 9
	s_cbranch_scc1 .LBB126_216
; %bb.212:
	s_cmp_gt_i32 s28, 9
	s_cbranch_scc0 .LBB126_217
; %bb.213:
	global_load_dwordx4 v[0:3], v[4:5], off
	s_mov_b64 s[0:1], 0
	s_branch .LBB126_218
.LBB126_214:
                                        ; implicit-def: $vgpr2_vgpr3
	s_branch .LBB126_237
.LBB126_215:
	s_mov_b64 s[0:1], -1
                                        ; implicit-def: $vgpr2_vgpr3
	s_branch .LBB126_224
.LBB126_216:
	s_mov_b64 s[0:1], -1
                                        ; implicit-def: $vgpr2_vgpr3
	s_branch .LBB126_221
.LBB126_217:
	s_mov_b64 s[0:1], -1
                                        ; implicit-def: $vgpr2_vgpr3
.LBB126_218:
	s_andn2_b64 vcc, exec, s[0:1]
	s_cbranch_vccnz .LBB126_220
; %bb.219:
	global_load_dwordx2 v[1:2], v[4:5], off
	s_waitcnt vmcnt(0)
	v_cvt_f64_f32_e32 v[0:1], v1
	v_cvt_f64_f32_e32 v[2:3], v2
.LBB126_220:
	s_mov_b64 s[0:1], 0
.LBB126_221:
	s_andn2_b64 vcc, exec, s[0:1]
	s_cbranch_vccnz .LBB126_223
; %bb.222:
	global_load_dword v0, v[4:5], off
	s_waitcnt vmcnt(0)
	v_cvt_f32_f16_e32 v1, v0
	v_cvt_f32_f16_sdwa v2, v0 dst_sel:DWORD dst_unused:UNUSED_PAD src0_sel:WORD_1
	v_cvt_f64_f32_e32 v[0:1], v1
	v_cvt_f64_f32_e32 v[2:3], v2
.LBB126_223:
	s_mov_b64 s[0:1], 0
.LBB126_224:
	s_andn2_b64 vcc, exec, s[0:1]
	s_cbranch_vccnz .LBB126_236
; %bb.225:
	s_cmp_lt_i32 s28, 6
	s_cbranch_scc1 .LBB126_228
; %bb.226:
	s_cmp_gt_i32 s28, 6
	s_cbranch_scc0 .LBB126_229
; %bb.227:
	global_load_dwordx2 v[0:1], v[4:5], off
	s_mov_b64 s[0:1], 0
	s_branch .LBB126_230
.LBB126_228:
	s_mov_b64 s[0:1], -1
                                        ; implicit-def: $vgpr0_vgpr1
	s_branch .LBB126_233
.LBB126_229:
	s_mov_b64 s[0:1], -1
                                        ; implicit-def: $vgpr0_vgpr1
.LBB126_230:
	s_andn2_b64 vcc, exec, s[0:1]
	s_cbranch_vccnz .LBB126_232
; %bb.231:
	global_load_dword v0, v[4:5], off
	s_waitcnt vmcnt(0)
	v_cvt_f64_f32_e32 v[0:1], v0
.LBB126_232:
	s_mov_b64 s[0:1], 0
.LBB126_233:
	s_andn2_b64 vcc, exec, s[0:1]
	s_cbranch_vccnz .LBB126_235
; %bb.234:
	global_load_ushort v0, v[4:5], off
	s_waitcnt vmcnt(0)
	v_cvt_f32_f16_e32 v0, v0
	v_cvt_f64_f32_e32 v[0:1], v0
.LBB126_235:
	s_waitcnt vmcnt(0)
	v_mov_b32_e32 v2, 0
	v_mov_b32_e32 v3, 0
.LBB126_236:
	s_cbranch_execnz .LBB126_257
.LBB126_237:
	s_cmp_lt_i32 s28, 2
	s_cbranch_scc1 .LBB126_241
; %bb.238:
	s_cmp_lt_i32 s28, 3
	s_cbranch_scc1 .LBB126_242
; %bb.239:
	s_cmp_gt_i32 s28, 3
	s_cbranch_scc0 .LBB126_243
; %bb.240:
	global_load_dwordx2 v[0:1], v[4:5], off
	s_mov_b64 s[0:1], 0
	s_waitcnt vmcnt(0)
	v_cvt_f64_i32_e32 v[1:2], v1
	v_cvt_f64_u32_e32 v[7:8], v0
	v_ldexp_f64 v[1:2], v[1:2], 32
	v_add_f64 v[0:1], v[1:2], v[7:8]
	s_branch .LBB126_244
.LBB126_241:
	s_mov_b64 s[0:1], -1
                                        ; implicit-def: $vgpr0_vgpr1
	s_branch .LBB126_250
.LBB126_242:
	s_mov_b64 s[0:1], -1
                                        ; implicit-def: $vgpr0_vgpr1
	s_branch .LBB126_247
.LBB126_243:
	s_mov_b64 s[0:1], -1
                                        ; implicit-def: $vgpr0_vgpr1
.LBB126_244:
	s_andn2_b64 vcc, exec, s[0:1]
	s_cbranch_vccnz .LBB126_246
; %bb.245:
	global_load_dword v0, v[4:5], off
	s_waitcnt vmcnt(0)
	v_cvt_f64_i32_e32 v[0:1], v0
.LBB126_246:
	s_mov_b64 s[0:1], 0
.LBB126_247:
	s_andn2_b64 vcc, exec, s[0:1]
	s_cbranch_vccnz .LBB126_249
; %bb.248:
	global_load_sshort v0, v[4:5], off
	s_waitcnt vmcnt(0)
	v_cvt_f64_i32_e32 v[0:1], v0
.LBB126_249:
	s_mov_b64 s[0:1], 0
.LBB126_250:
	s_andn2_b64 vcc, exec, s[0:1]
	s_cbranch_vccnz .LBB126_256
; %bb.251:
	s_cmp_gt_i32 s28, 0
	s_cbranch_scc0 .LBB126_253
; %bb.252:
	global_load_sbyte v0, v[4:5], off
	s_mov_b64 s[0:1], 0
	s_waitcnt vmcnt(0)
	v_cvt_f64_i32_e32 v[0:1], v0
	s_branch .LBB126_254
.LBB126_253:
	s_mov_b64 s[0:1], -1
                                        ; implicit-def: $vgpr0_vgpr1
.LBB126_254:
	s_andn2_b64 vcc, exec, s[0:1]
	s_cbranch_vccnz .LBB126_256
; %bb.255:
	global_load_ubyte v0, v[4:5], off
	s_waitcnt vmcnt(0)
	v_cvt_f64_u32_e32 v[0:1], v0
.LBB126_256:
	s_waitcnt vmcnt(0)
	v_mov_b32_e32 v2, 0
	v_mov_b32_e32 v3, 0
.LBB126_257:
	s_branch .LBB126_11
.LBB126_258:
	s_mov_b64 s[0:1], 0
                                        ; implicit-def: $vgpr6
	s_mov_b64 s[24:25], 0
.LBB126_259:
	s_and_b64 s[18:19], s[0:1], exec
	s_and_b64 s[20:21], s[20:21], exec
	s_orn2_b64 s[24:25], s[24:25], exec
.LBB126_260:
	s_or_b64 exec, exec, s[22:23]
	s_mov_b64 s[28:29], 0
	s_mov_b64 s[0:1], 0
                                        ; implicit-def: $vgpr4_vgpr5
                                        ; implicit-def: $vgpr2_vgpr3
	s_and_saveexec_b64 s[22:23], s[24:25]
	s_cbranch_execz .LBB126_269
; %bb.261:
	v_cmp_gt_i32_e32 vcc, s44, v6
	s_mov_b64 s[0:1], -1
	s_mov_b64 s[24:25], s[20:21]
	s_mov_b64 s[26:27], s[18:19]
	s_and_saveexec_b64 s[28:29], vcc
	s_cbranch_execz .LBB126_530
; %bb.262:
	s_waitcnt vmcnt(0)
	v_mul_lo_u32 v0, v6, s3
	v_mov_b32_e32 v1, s11
	s_and_b32 s34, 0xffff, s49
	s_cmp_lt_i32 s34, 11
	v_ashrrev_i32_e32 v2, 31, v0
	v_add_co_u32_e32 v4, vcc, s10, v0
	v_addc_co_u32_e32 v5, vcc, v1, v2, vcc
	s_cbranch_scc1 .LBB126_272
; %bb.263:
	s_cmp_gt_i32 s34, 25
	s_cbranch_scc0 .LBB126_284
; %bb.264:
	s_cmp_gt_i32 s34, 28
	s_cbranch_scc0 .LBB126_287
	;; [unrolled: 3-line block ×4, first 2 shown]
; %bb.267:
	s_cmp_eq_u32 s34, 46
	s_mov_b64 s[26:27], 0
	s_cbranch_scc0 .LBB126_297
; %bb.268:
	global_load_dword v0, v[4:5], off
	s_mov_b64 s[24:25], 0
	s_waitcnt vmcnt(0)
	v_and_b32_e32 v2, 0xffff0000, v0
	v_lshlrev_b32_e32 v0, 16, v0
	v_cvt_f64_f32_e32 v[0:1], v0
	v_cvt_f64_f32_e32 v[2:3], v2
	s_branch .LBB126_298
.LBB126_269:
	s_or_b64 exec, exec, s[22:23]
	s_mov_b64 s[22:23], 0
	s_and_saveexec_b64 s[24:25], s[20:21]
	s_cbranch_execnz .LBB126_889
.LBB126_270:
	s_or_b64 exec, exec, s[24:25]
	s_and_saveexec_b64 s[20:21], s[26:27]
	s_xor_b64 s[20:21], exec, s[20:21]
	s_cbranch_execz .LBB126_890
.LBB126_271:
	global_load_ubyte v1, v[4:5], off
	v_mov_b32_e32 v7, 0x3ff00000
	s_waitcnt vmcnt(1)
	v_mov_b32_e32 v2, 0
	v_mov_b32_e32 v0, 0
	;; [unrolled: 1-line block ×3, first 2 shown]
	s_or_b64 s[0:1], s[0:1], exec
	s_waitcnt vmcnt(0)
	v_cmp_ne_u16_e32 vcc, 0, v1
	v_cndmask_b32_e32 v1, 0, v7, vcc
	s_or_b64 exec, exec, s[20:21]
	s_and_saveexec_b64 s[20:21], s[28:29]
	s_cbranch_execz .LBB126_938
	s_branch .LBB126_891
.LBB126_272:
	s_mov_b64 s[0:1], 0
                                        ; implicit-def: $vgpr2_vgpr3
	s_mov_b64 s[24:25], s[20:21]
	s_cbranch_execnz .LBB126_478
.LBB126_273:
	s_andn2_b64 vcc, exec, s[0:1]
	s_cbranch_vccnz .LBB126_528
.LBB126_274:
	s_andn2_b64 vcc, exec, s[16:17]
	s_cbranch_vccnz .LBB126_286
; %bb.275:
	s_waitcnt vmcnt(0)
	v_cmp_neq_f64_e32 vcc, s[12:13], v[0:1]
	v_cmp_neq_f64_e64 s[0:1], s[14:15], v[2:3]
	s_or_b64 s[26:27], vcc, s[0:1]
	s_cbranch_execnz .LBB126_277
.LBB126_276:
	s_waitcnt vmcnt(0)
	v_cmp_eq_f64_e32 vcc, s[12:13], v[0:1]
	v_cmp_eq_f64_e64 s[0:1], s[14:15], v[2:3]
	s_andn2_b64 s[26:27], s[26:27], exec
	s_and_b64 s[0:1], vcc, s[0:1]
	s_and_b64 s[0:1], s[0:1], exec
	s_or_b64 s[26:27], s[26:27], s[0:1]
.LBB126_277:
	s_waitcnt vmcnt(0)
	v_mul_lo_u32 v0, v6, s2
	v_mov_b32_e32 v1, s9
	s_and_b32 s38, s33, 0xff
	s_cmp_lt_i32 s38, 11
	v_ashrrev_i32_e32 v2, 31, v0
	v_add_co_u32_e32 v0, vcc, s8, v0
	v_addc_co_u32_e32 v1, vcc, v1, v2, vcc
	s_cbranch_scc1 .LBB126_285
; %bb.278:
	s_and_b32 s39, 0xffff, s38
	s_cmp_gt_i32 s39, 25
	s_cbranch_scc0 .LBB126_288
; %bb.279:
	s_cmp_gt_i32 s39, 28
	s_cbranch_scc0 .LBB126_290
; %bb.280:
	;; [unrolled: 3-line block ×4, first 2 shown]
	s_mov_b64 s[34:35], 0
	s_mov_b64 s[0:1], -1
	s_cmp_eq_u32 s39, 46
	s_mov_b64 s[30:31], 0
	s_cbranch_scc0 .LBB126_302
; %bb.283:
	v_cndmask_b32_e64 v2, 0, 1.0, s[26:27]
	v_bfe_u32 v3, v2, 16, 1
	s_movk_i32 s0, 0x7fff
	v_add3_u32 v2, v2, v3, s0
	v_lshrrev_b32_e32 v2, 16, v2
	global_store_dword v[0:1], v2, off
	s_mov_b64 s[30:31], -1
	s_mov_b64 s[0:1], 0
	s_branch .LBB126_302
.LBB126_284:
	s_mov_b64 s[26:27], -1
	s_mov_b64 s[0:1], 0
	s_mov_b64 s[24:25], s[20:21]
                                        ; implicit-def: $vgpr2_vgpr3
	s_branch .LBB126_443
.LBB126_285:
	s_mov_b64 s[34:35], -1
	s_mov_b64 s[30:31], 0
	s_mov_b64 s[0:1], s[18:19]
	s_branch .LBB126_371
.LBB126_286:
                                        ; implicit-def: $sgpr26_sgpr27
	s_branch .LBB126_276
.LBB126_287:
	s_mov_b64 s[26:27], -1
	s_mov_b64 s[0:1], 0
	s_mov_b64 s[24:25], s[20:21]
                                        ; implicit-def: $vgpr2_vgpr3
	s_branch .LBB126_422
.LBB126_288:
	s_mov_b64 s[34:35], -1
	s_mov_b64 s[30:31], 0
	s_mov_b64 s[0:1], s[18:19]
	s_branch .LBB126_329
.LBB126_289:
	s_mov_b64 s[26:27], -1
	s_mov_b64 s[0:1], 0
	s_mov_b64 s[24:25], s[20:21]
                                        ; implicit-def: $vgpr2_vgpr3
	s_branch .LBB126_416
.LBB126_290:
	s_mov_b64 s[34:35], -1
	s_mov_b64 s[30:31], 0
	s_mov_b64 s[0:1], s[18:19]
	s_branch .LBB126_312
.LBB126_291:
	s_andn2_saveexec_b64 s[30:31], s[30:31]
	s_cbranch_execz .LBB126_59
.LBB126_292:
	v_add_f32_e32 v2, 0x46000000, v3
	v_and_b32_e32 v2, 0xff, v2
	v_cmp_ne_u32_e32 vcc, 0, v2
	s_andn2_b64 s[28:29], s[28:29], exec
	s_and_b64 s[36:37], vcc, exec
	s_or_b64 s[28:29], s[28:29], s[36:37]
	s_or_b64 exec, exec, s[30:31]
	v_mov_b32_e32 v4, 0
	s_and_saveexec_b64 s[30:31], s[28:29]
	s_cbranch_execnz .LBB126_60
	s_branch .LBB126_61
.LBB126_293:
	s_mov_b64 s[26:27], -1
	s_mov_b64 s[0:1], 0
	s_mov_b64 s[24:25], s[20:21]
                                        ; implicit-def: $vgpr2_vgpr3
	s_branch .LBB126_298
.LBB126_294:
	s_mov_b64 s[34:35], -1
	s_mov_b64 s[30:31], 0
	s_mov_b64 s[0:1], s[18:19]
	s_branch .LBB126_308
.LBB126_295:
	s_andn2_saveexec_b64 s[30:31], s[30:31]
	s_cbranch_execz .LBB126_72
.LBB126_296:
	v_add_f32_e32 v2, 0x42800000, v3
	v_and_b32_e32 v2, 0xff, v2
	v_cmp_ne_u32_e32 vcc, 0, v2
	s_andn2_b64 s[28:29], s[28:29], exec
	s_and_b64 s[36:37], vcc, exec
	s_or_b64 s[28:29], s[28:29], s[36:37]
	s_or_b64 exec, exec, s[30:31]
	v_mov_b32_e32 v4, 0
	s_and_saveexec_b64 s[30:31], s[28:29]
	s_cbranch_execnz .LBB126_73
	s_branch .LBB126_74
.LBB126_297:
	s_mov_b64 s[24:25], -1
                                        ; implicit-def: $vgpr2_vgpr3
	s_mov_b64 s[0:1], 0
.LBB126_298:
	s_and_b64 vcc, exec, s[26:27]
	s_cbranch_vccz .LBB126_415
; %bb.299:
	s_cmp_eq_u32 s34, 44
	s_cbranch_scc0 .LBB126_413
; %bb.300:
	global_load_ubyte v2, v[4:5], off
	s_movk_i32 s24, 0xff
	v_bfrev_b32_e32 v3, 4
	v_mov_b32_e32 v7, 0x7ff80000
	v_bfrev_b32_e32 v8, 28
	s_mov_b64 s[0:1], -1
	s_waitcnt vmcnt(0)
	v_lshlrev_b32_e32 v0, 23, v2
	v_cvt_f64_f32_e32 v[0:1], v0
	v_cmp_ne_u32_e32 vcc, s24, v2
	s_mov_b64 s[24:25], 0
	v_cndmask_b32_e32 v0, v3, v0, vcc
	v_cndmask_b32_e32 v1, v7, v1, vcc
	v_cmp_ne_u32_e32 vcc, 0, v2
	v_cndmask_b32_e32 v1, v8, v1, vcc
	v_cndmask_b32_e32 v0, 0, v0, vcc
	s_branch .LBB126_414
.LBB126_301:
	s_mov_b64 s[34:35], -1
	s_mov_b64 s[30:31], 0
	s_mov_b64 s[0:1], s[18:19]
.LBB126_302:
	s_and_b64 vcc, exec, s[34:35]
	s_cbranch_vccz .LBB126_307
; %bb.303:
	s_cmp_eq_u32 s39, 44
	s_mov_b64 s[0:1], -1
	s_cbranch_scc0 .LBB126_307
; %bb.304:
	v_cndmask_b32_e64 v3, 0, 1.0, s[26:27]
	v_lshrrev_b32_e32 v2, 23, v3
	s_movk_i32 s0, 0xff
	v_cmp_ne_u32_e32 vcc, s0, v2
	v_mov_b32_e32 v4, 0xff
	s_and_saveexec_b64 s[30:31], vcc
; %bb.305:
	s_mov_b32 s0, 0x3fffff
	v_and_b32_e32 v4, 0x400000, v3
	v_and_or_b32 v3, v3, s0, v2
	v_cmp_ne_u32_e32 vcc, 0, v4
	v_cmp_ne_u32_e64 s[0:1], 0, v3
	s_and_b64 s[0:1], vcc, s[0:1]
	v_cndmask_b32_e64 v3, 0, 1, s[0:1]
	v_add_u32_e32 v4, v2, v3
; %bb.306:
	s_or_b64 exec, exec, s[30:31]
	s_mov_b64 s[30:31], -1
	s_mov_b64 s[0:1], 0
	global_store_byte v[0:1], v4, off
.LBB126_307:
	s_mov_b64 s[34:35], 0
.LBB126_308:
	s_and_b64 vcc, exec, s[34:35]
	s_cbranch_vccz .LBB126_311
; %bb.309:
	s_cmp_eq_u32 s39, 29
	s_mov_b64 s[0:1], -1
	s_cbranch_scc0 .LBB126_311
; %bb.310:
	s_mov_b32 s0, 0
	v_cndmask_b32_e64 v2, 0, 1, s[26:27]
	v_mov_b32_e32 v3, s0
	global_store_dwordx2 v[0:1], v[2:3], off
	s_mov_b64 s[30:31], -1
	s_mov_b64 s[0:1], 0
.LBB126_311:
	s_mov_b64 s[34:35], 0
.LBB126_312:
	s_and_b64 vcc, exec, s[34:35]
	s_cbranch_vccz .LBB126_328
; %bb.313:
	s_cmp_lt_i32 s39, 27
	s_mov_b64 s[30:31], -1
	s_cbranch_scc1 .LBB126_319
; %bb.314:
	s_cmp_gt_i32 s39, 27
	s_cbranch_scc0 .LBB126_316
; %bb.315:
	v_cndmask_b32_e64 v2, 0, 1, s[26:27]
	s_mov_b64 s[30:31], 0
	global_store_dword v[0:1], v2, off
.LBB126_316:
	s_andn2_b64 vcc, exec, s[30:31]
	s_cbranch_vccnz .LBB126_318
; %bb.317:
	v_cndmask_b32_e64 v2, 0, 1, s[26:27]
	global_store_short v[0:1], v2, off
.LBB126_318:
	s_mov_b64 s[30:31], 0
.LBB126_319:
	s_andn2_b64 vcc, exec, s[30:31]
	s_cbranch_vccnz .LBB126_327
; %bb.320:
	v_cndmask_b32_e64 v3, 0, 1.0, s[26:27]
	s_mov_b32 s30, 0x43800000
	v_cmp_gt_u32_e32 vcc, s30, v3
	v_mov_b32_e32 v4, 0x80
	s_and_saveexec_b64 s[30:31], vcc
	s_cbranch_execz .LBB126_326
; %bb.321:
	s_mov_b32 s34, 0x3bffffff
	v_cmp_lt_u32_e32 vcc, s34, v3
	s_mov_b64 s[34:35], 0
                                        ; implicit-def: $vgpr2
	s_and_saveexec_b64 s[36:37], vcc
	s_xor_b64 s[36:37], exec, s[36:37]
	s_cbranch_execz .LBB126_543
; %bb.322:
	v_bfe_u32 v2, v3, 20, 1
	s_mov_b32 s40, 0x487ffff
	v_add3_u32 v2, v3, v2, s40
	s_mov_b64 s[34:35], exec
	v_lshrrev_b32_e32 v2, 20, v2
                                        ; implicit-def: $vgpr3
	s_andn2_saveexec_b64 s[36:37], s[36:37]
	s_cbranch_execnz .LBB126_544
.LBB126_323:
	s_or_b64 exec, exec, s[36:37]
	v_mov_b32_e32 v4, 0
	s_and_saveexec_b64 s[36:37], s[34:35]
.LBB126_324:
	v_mov_b32_e32 v4, v2
.LBB126_325:
	s_or_b64 exec, exec, s[36:37]
.LBB126_326:
	s_or_b64 exec, exec, s[30:31]
	global_store_byte v[0:1], v4, off
.LBB126_327:
	s_mov_b64 s[30:31], -1
.LBB126_328:
	s_mov_b64 s[34:35], 0
.LBB126_329:
	s_and_b64 vcc, exec, s[34:35]
	s_cbranch_vccz .LBB126_370
; %bb.330:
	s_cmp_gt_i32 s39, 22
	s_mov_b64 s[34:35], -1
	s_cbranch_scc0 .LBB126_362
; %bb.331:
	s_cmp_lt_i32 s39, 24
	s_mov_b64 s[30:31], -1
	s_cbranch_scc1 .LBB126_351
; %bb.332:
	s_cmp_gt_i32 s39, 24
	s_cbranch_scc0 .LBB126_340
; %bb.333:
	v_cndmask_b32_e64 v3, 0, 1.0, s[26:27]
	s_mov_b32 s30, 0x47800000
	v_cmp_gt_u32_e32 vcc, s30, v3
	v_mov_b32_e32 v4, 0x80
	s_and_saveexec_b64 s[30:31], vcc
	s_cbranch_execz .LBB126_339
; %bb.334:
	s_mov_b32 s34, 0x37ffffff
	v_cmp_lt_u32_e32 vcc, s34, v3
	s_mov_b64 s[34:35], 0
                                        ; implicit-def: $vgpr2
	s_and_saveexec_b64 s[36:37], vcc
	s_xor_b64 s[36:37], exec, s[36:37]
	s_cbranch_execz .LBB126_546
; %bb.335:
	v_bfe_u32 v2, v3, 21, 1
	s_mov_b32 s40, 0x88fffff
	v_add3_u32 v2, v3, v2, s40
	s_mov_b64 s[34:35], exec
	v_lshrrev_b32_e32 v2, 21, v2
                                        ; implicit-def: $vgpr3
	s_andn2_saveexec_b64 s[36:37], s[36:37]
	s_cbranch_execnz .LBB126_547
.LBB126_336:
	s_or_b64 exec, exec, s[36:37]
	v_mov_b32_e32 v4, 0
	s_and_saveexec_b64 s[36:37], s[34:35]
.LBB126_337:
	v_mov_b32_e32 v4, v2
.LBB126_338:
	s_or_b64 exec, exec, s[36:37]
.LBB126_339:
	s_or_b64 exec, exec, s[30:31]
	s_mov_b64 s[30:31], 0
	global_store_byte v[0:1], v4, off
.LBB126_340:
	s_and_b64 vcc, exec, s[30:31]
	s_cbranch_vccz .LBB126_350
; %bb.341:
	v_cndmask_b32_e64 v2, 0, 1.0, s[26:27]
	s_mov_b32 s30, 0x43f00000
	v_cmp_gt_u32_e32 vcc, s30, v2
                                        ; implicit-def: $vgpr3
	s_and_saveexec_b64 s[30:31], vcc
	s_xor_b64 s[30:31], exec, s[30:31]
	s_cbranch_execz .LBB126_347
; %bb.342:
	s_mov_b32 s34, 0x3c7fffff
	v_cmp_lt_u32_e32 vcc, s34, v2
                                        ; implicit-def: $vgpr3
	s_and_saveexec_b64 s[34:35], vcc
	s_xor_b64 s[34:35], exec, s[34:35]
; %bb.343:
	v_bfe_u32 v3, v2, 20, 1
	s_mov_b32 s36, 0x407ffff
	v_add3_u32 v2, v2, v3, s36
	v_lshrrev_b32_e32 v3, 20, v2
	v_and_b32_e32 v2, 0xff00000, v2
	s_mov_b32 s36, 0x7f00000
	v_mov_b32_e32 v4, 0x7e
	v_cmp_ne_u32_e32 vcc, s36, v2
	v_cndmask_b32_e32 v3, v4, v3, vcc
                                        ; implicit-def: $vgpr2
; %bb.344:
	s_andn2_saveexec_b64 s[34:35], s[34:35]
; %bb.345:
	v_add_f32_e32 v3, 0x46800000, v2
; %bb.346:
	s_or_b64 exec, exec, s[34:35]
                                        ; implicit-def: $vgpr2
.LBB126_347:
	s_andn2_saveexec_b64 s[30:31], s[30:31]
; %bb.348:
	s_mov_b32 s34, 0x7f800000
	v_mov_b32_e32 v3, 0x7e
	v_mov_b32_e32 v4, 0x7f
	v_cmp_lt_u32_e32 vcc, s34, v2
	v_cndmask_b32_e32 v3, v3, v4, vcc
; %bb.349:
	s_or_b64 exec, exec, s[30:31]
	global_store_byte v[0:1], v3, off
.LBB126_350:
	s_mov_b64 s[30:31], 0
.LBB126_351:
	s_andn2_b64 vcc, exec, s[30:31]
	s_cbranch_vccnz .LBB126_361
; %bb.352:
	v_cndmask_b32_e64 v2, 0, 1.0, s[26:27]
	s_mov_b32 s30, 0x47800000
	v_cmp_gt_u32_e32 vcc, s30, v2
                                        ; implicit-def: $vgpr3
	s_and_saveexec_b64 s[30:31], vcc
	s_xor_b64 s[30:31], exec, s[30:31]
	s_cbranch_execz .LBB126_358
; %bb.353:
	s_mov_b32 s34, 0x387fffff
	v_cmp_lt_u32_e32 vcc, s34, v2
                                        ; implicit-def: $vgpr3
	s_and_saveexec_b64 s[34:35], vcc
	s_xor_b64 s[34:35], exec, s[34:35]
; %bb.354:
	v_bfe_u32 v3, v2, 21, 1
	s_mov_b32 s36, 0x80fffff
	v_add3_u32 v2, v2, v3, s36
	v_lshrrev_b32_e32 v3, 21, v2
                                        ; implicit-def: $vgpr2
; %bb.355:
	s_andn2_saveexec_b64 s[34:35], s[34:35]
; %bb.356:
	v_add_f32_e32 v3, 0x43000000, v2
; %bb.357:
	s_or_b64 exec, exec, s[34:35]
                                        ; implicit-def: $vgpr2
.LBB126_358:
	s_andn2_saveexec_b64 s[30:31], s[30:31]
; %bb.359:
	s_mov_b32 s34, 0x7f800000
	v_mov_b32_e32 v3, 0x7c
	v_mov_b32_e32 v4, 0x7f
	v_cmp_lt_u32_e32 vcc, s34, v2
	v_cndmask_b32_e32 v3, v3, v4, vcc
; %bb.360:
	s_or_b64 exec, exec, s[30:31]
	global_store_byte v[0:1], v3, off
.LBB126_361:
	s_mov_b64 s[34:35], 0
	s_mov_b64 s[30:31], -1
.LBB126_362:
	s_andn2_b64 vcc, exec, s[34:35]
	s_cbranch_vccnz .LBB126_370
; %bb.363:
	s_cmp_gt_i32 s39, 14
	s_mov_b64 s[34:35], -1
	s_cbranch_scc0 .LBB126_367
; %bb.364:
	s_cmp_eq_u32 s39, 15
	s_mov_b64 s[0:1], -1
	s_cbranch_scc0 .LBB126_366
; %bb.365:
	v_cndmask_b32_e64 v2, 0, 1.0, s[26:27]
	v_bfe_u32 v3, v2, 16, 1
	s_movk_i32 s0, 0x7fff
	v_add3_u32 v2, v2, v3, s0
	global_store_short_d16_hi v[0:1], v2, off
	s_mov_b64 s[30:31], -1
	s_mov_b64 s[0:1], 0
.LBB126_366:
	s_mov_b64 s[34:35], 0
.LBB126_367:
	s_and_b64 vcc, exec, s[34:35]
	s_cbranch_vccz .LBB126_370
; %bb.368:
	s_cmp_eq_u32 s39, 11
	s_mov_b64 s[0:1], -1
	s_cbranch_scc0 .LBB126_370
; %bb.369:
	v_cndmask_b32_e64 v2, 0, 1, s[26:27]
	s_mov_b64 s[30:31], -1
	s_mov_b64 s[0:1], 0
	global_store_byte v[0:1], v2, off
.LBB126_370:
	s_mov_b64 s[34:35], 0
.LBB126_371:
	s_and_b64 vcc, exec, s[34:35]
	s_cbranch_vccz .LBB126_410
; %bb.372:
	s_and_b32 s34, 0xffff, s38
	s_cmp_lt_i32 s34, 5
	s_mov_b64 s[30:31], -1
	s_cbranch_scc1 .LBB126_393
; %bb.373:
	s_cmp_lt_i32 s34, 8
	s_cbranch_scc1 .LBB126_383
; %bb.374:
	s_cmp_lt_i32 s34, 9
	s_cbranch_scc1 .LBB126_380
; %bb.375:
	s_cmp_gt_i32 s34, 9
	s_cbranch_scc0 .LBB126_377
; %bb.376:
	v_cndmask_b32_e64 v2, 0, 1, s[26:27]
	v_cvt_f64_u32_e32 v[2:3], v2
	v_mov_b32_e32 v4, 0
	v_mov_b32_e32 v5, v4
	s_mov_b64 s[30:31], 0
	global_store_dwordx4 v[0:1], v[2:5], off
.LBB126_377:
	s_andn2_b64 vcc, exec, s[30:31]
	s_cbranch_vccnz .LBB126_379
; %bb.378:
	v_cndmask_b32_e64 v2, 0, 1.0, s[26:27]
	v_mov_b32_e32 v3, 0
	global_store_dwordx2 v[0:1], v[2:3], off
.LBB126_379:
	s_mov_b64 s[30:31], 0
.LBB126_380:
	s_andn2_b64 vcc, exec, s[30:31]
	s_cbranch_vccnz .LBB126_382
; %bb.381:
	v_cndmask_b32_e64 v2, 0, 1.0, s[26:27]
	v_cvt_f16_f32_e32 v2, v2
	global_store_dword v[0:1], v2, off
.LBB126_382:
	s_mov_b64 s[30:31], 0
.LBB126_383:
	s_andn2_b64 vcc, exec, s[30:31]
	s_cbranch_vccnz .LBB126_392
; %bb.384:
	s_cmp_lt_i32 s34, 6
	s_mov_b64 s[30:31], -1
	s_cbranch_scc1 .LBB126_390
; %bb.385:
	s_cmp_gt_i32 s34, 6
	s_cbranch_scc0 .LBB126_387
; %bb.386:
	v_cndmask_b32_e64 v2, 0, 1, s[26:27]
	v_cvt_f64_u32_e32 v[2:3], v2
	s_mov_b64 s[30:31], 0
	global_store_dwordx2 v[0:1], v[2:3], off
.LBB126_387:
	s_andn2_b64 vcc, exec, s[30:31]
	s_cbranch_vccnz .LBB126_389
; %bb.388:
	v_cndmask_b32_e64 v2, 0, 1.0, s[26:27]
	global_store_dword v[0:1], v2, off
.LBB126_389:
	s_mov_b64 s[30:31], 0
.LBB126_390:
	s_andn2_b64 vcc, exec, s[30:31]
	s_cbranch_vccnz .LBB126_392
; %bb.391:
	v_cndmask_b32_e64 v2, 0, 1.0, s[26:27]
	v_cvt_f16_f32_e32 v2, v2
	global_store_short v[0:1], v2, off
.LBB126_392:
	s_mov_b64 s[30:31], 0
.LBB126_393:
	s_andn2_b64 vcc, exec, s[30:31]
	s_cbranch_vccnz .LBB126_409
; %bb.394:
	s_cmp_lt_i32 s34, 2
	s_mov_b64 s[30:31], -1
	s_cbranch_scc1 .LBB126_404
; %bb.395:
	s_cmp_lt_i32 s34, 3
	s_cbranch_scc1 .LBB126_401
; %bb.396:
	s_cmp_gt_i32 s34, 3
	s_cbranch_scc0 .LBB126_398
; %bb.397:
	s_mov_b32 s30, 0
	v_cndmask_b32_e64 v2, 0, 1, s[26:27]
	v_mov_b32_e32 v3, s30
	s_mov_b64 s[30:31], 0
	global_store_dwordx2 v[0:1], v[2:3], off
.LBB126_398:
	s_andn2_b64 vcc, exec, s[30:31]
	s_cbranch_vccnz .LBB126_400
; %bb.399:
	v_cndmask_b32_e64 v2, 0, 1, s[26:27]
	global_store_dword v[0:1], v2, off
.LBB126_400:
	s_mov_b64 s[30:31], 0
.LBB126_401:
	s_andn2_b64 vcc, exec, s[30:31]
	s_cbranch_vccnz .LBB126_403
; %bb.402:
	v_cndmask_b32_e64 v2, 0, 1, s[26:27]
	global_store_short v[0:1], v2, off
.LBB126_403:
	s_mov_b64 s[30:31], 0
.LBB126_404:
	s_andn2_b64 vcc, exec, s[30:31]
	s_cbranch_vccnz .LBB126_409
; %bb.405:
	s_mov_b64 s[30:31], -1
	s_cmp_gt_i32 s34, 0
	v_cndmask_b32_e64 v2, 0, 1, s[26:27]
	s_cbranch_scc0 .LBB126_407
; %bb.406:
	s_mov_b64 s[30:31], 0
	global_store_byte v[0:1], v2, off
.LBB126_407:
	s_andn2_b64 vcc, exec, s[30:31]
	s_cbranch_vccnz .LBB126_409
; %bb.408:
	global_store_byte v[0:1], v2, off
.LBB126_409:
	s_mov_b64 s[30:31], -1
.LBB126_410:
	s_andn2_b64 vcc, exec, s[30:31]
	s_cbranch_vccnz .LBB126_412
; %bb.411:
	v_add_u32_e32 v6, 0x80, v6
	s_mov_b64 s[30:31], -1
	s_branch .LBB126_529
.LBB126_412:
	s_mov_b64 s[30:31], 0
                                        ; implicit-def: $vgpr6
	s_branch .LBB126_529
.LBB126_413:
	s_mov_b64 s[24:25], -1
                                        ; implicit-def: $vgpr0_vgpr1
.LBB126_414:
	v_mov_b32_e32 v2, 0
	v_mov_b32_e32 v3, 0
.LBB126_415:
	s_mov_b64 s[26:27], 0
.LBB126_416:
	s_and_b64 vcc, exec, s[26:27]
	s_cbranch_vccz .LBB126_421
; %bb.417:
	s_cmp_eq_u32 s34, 29
	s_cbranch_scc0 .LBB126_419
; %bb.418:
	global_load_dwordx2 v[0:1], v[4:5], off
	s_mov_b64 s[0:1], -1
	s_mov_b64 s[24:25], 0
	s_waitcnt vmcnt(0)
	v_cvt_f64_u32_e32 v[1:2], v1
	v_cvt_f64_u32_e32 v[7:8], v0
	v_ldexp_f64 v[1:2], v[1:2], 32
	v_add_f64 v[0:1], v[1:2], v[7:8]
	s_branch .LBB126_420
.LBB126_419:
	s_mov_b64 s[24:25], -1
                                        ; implicit-def: $vgpr0_vgpr1
.LBB126_420:
	v_mov_b32_e32 v2, 0
	v_mov_b32_e32 v3, 0
.LBB126_421:
	s_mov_b64 s[26:27], 0
.LBB126_422:
	s_and_b64 vcc, exec, s[26:27]
	s_cbranch_vccz .LBB126_442
; %bb.423:
	s_cmp_lt_i32 s34, 27
	s_cbranch_scc1 .LBB126_426
; %bb.424:
	s_cmp_gt_i32 s34, 27
	s_cbranch_scc0 .LBB126_427
; %bb.425:
	global_load_dword v0, v[4:5], off
	s_mov_b64 s[0:1], 0
	s_waitcnt vmcnt(0)
	v_cvt_f64_u32_e32 v[0:1], v0
	s_branch .LBB126_428
.LBB126_426:
	s_mov_b64 s[0:1], -1
                                        ; implicit-def: $vgpr0_vgpr1
	s_branch .LBB126_431
.LBB126_427:
	s_mov_b64 s[0:1], -1
                                        ; implicit-def: $vgpr0_vgpr1
.LBB126_428:
	s_andn2_b64 vcc, exec, s[0:1]
	s_cbranch_vccnz .LBB126_430
; %bb.429:
	global_load_ushort v0, v[4:5], off
	s_waitcnt vmcnt(0)
	v_cvt_f64_u32_e32 v[0:1], v0
.LBB126_430:
	s_mov_b64 s[0:1], 0
.LBB126_431:
	s_andn2_b64 vcc, exec, s[0:1]
	s_cbranch_vccnz .LBB126_441
; %bb.432:
	global_load_ubyte v2, v[4:5], off
	s_movk_i32 s0, 0x7f
	s_waitcnt vmcnt(0)
	v_cmp_lt_i16_e32 vcc, s0, v2
	s_mov_b64 s[0:1], 0
	s_and_saveexec_b64 s[26:27], vcc
	s_xor_b64 s[26:27], exec, s[26:27]
	s_cbranch_execz .LBB126_436
; %bb.433:
	s_movk_i32 s0, 0x80
	v_cmp_eq_u16_e32 vcc, s0, v2
	s_mov_b64 s[0:1], -1
	s_and_saveexec_b64 s[30:31], vcc
; %bb.434:
	s_xor_b64 s[0:1], exec, -1
; %bb.435:
	s_or_b64 exec, exec, s[30:31]
	s_and_b64 s[0:1], s[0:1], exec
.LBB126_436:
	s_or_saveexec_b64 s[26:27], s[26:27]
	v_bfrev_b32_e32 v0, 4
	v_mov_b32_e32 v1, 0x7ff80000
	s_xor_b64 exec, exec, s[26:27]
; %bb.437:
	v_cmp_ne_u16_e32 vcc, 0, v2
	v_mov_b32_e32 v0, 0
	s_andn2_b64 s[0:1], s[0:1], exec
	s_and_b64 s[30:31], vcc, exec
	v_mov_b32_e32 v1, 0
	s_or_b64 s[0:1], s[0:1], s[30:31]
; %bb.438:
	s_or_b64 exec, exec, s[26:27]
	s_and_saveexec_b64 s[26:27], s[0:1]
	s_cbranch_execz .LBB126_440
; %bb.439:
	v_and_b32_e32 v1, 0xffff, v2
	v_lshlrev_b32_e32 v0, 24, v2
	v_and_b32_e32 v2, 7, v1
	v_ffbh_u32_e32 v7, v2
	v_min_u32_e32 v7, 32, v7
	v_subrev_u32_e32 v8, 28, v7
	v_bfe_u32 v3, v1, 3, 4
	v_lshlrev_b32_e32 v1, v8, v1
	v_sub_u32_e32 v7, 29, v7
	v_and_b32_e32 v1, 7, v1
	v_cmp_eq_u32_e32 vcc, 0, v3
	v_cndmask_b32_e32 v3, v3, v7, vcc
	v_cndmask_b32_e32 v1, v2, v1, vcc
	v_mov_b32_e32 v2, 0x3b800000
	v_lshlrev_b32_e32 v1, 20, v1
	v_and_b32_e32 v0, 0x80000000, v0
	v_lshl_add_u32 v2, v3, 23, v2
	v_or3_b32 v0, v0, v2, v1
	v_cvt_f64_f32_e32 v[0:1], v0
.LBB126_440:
	s_or_b64 exec, exec, s[26:27]
.LBB126_441:
	v_mov_b32_e32 v2, 0
	v_mov_b32_e32 v3, 0
	s_mov_b64 s[0:1], -1
.LBB126_442:
	s_mov_b64 s[26:27], 0
.LBB126_443:
	s_and_b64 vcc, exec, s[26:27]
	s_cbranch_vccz .LBB126_477
; %bb.444:
	s_cmp_gt_i32 s34, 22
	s_cbranch_scc0 .LBB126_456
; %bb.445:
	s_cmp_lt_i32 s34, 24
	s_cbranch_scc1 .LBB126_457
; %bb.446:
	s_cmp_gt_i32 s34, 24
	s_cbranch_scc0 .LBB126_458
; %bb.447:
	global_load_ubyte v2, v[4:5], off
	s_movk_i32 s0, 0x7f
	s_waitcnt vmcnt(0)
	v_cmp_lt_i16_e32 vcc, s0, v2
	s_mov_b64 s[0:1], 0
	s_and_saveexec_b64 s[26:27], vcc
	s_xor_b64 s[26:27], exec, s[26:27]
	s_cbranch_execz .LBB126_451
; %bb.448:
	s_movk_i32 s0, 0x80
	v_cmp_eq_u16_e32 vcc, s0, v2
	s_mov_b64 s[0:1], -1
	s_and_saveexec_b64 s[30:31], vcc
; %bb.449:
	s_xor_b64 s[0:1], exec, -1
; %bb.450:
	s_or_b64 exec, exec, s[30:31]
	s_and_b64 s[0:1], s[0:1], exec
.LBB126_451:
	s_or_saveexec_b64 s[26:27], s[26:27]
	v_bfrev_b32_e32 v0, 4
	v_mov_b32_e32 v1, 0x7ff80000
	s_xor_b64 exec, exec, s[26:27]
; %bb.452:
	v_cmp_ne_u16_e32 vcc, 0, v2
	v_mov_b32_e32 v0, 0
	s_andn2_b64 s[0:1], s[0:1], exec
	s_and_b64 s[30:31], vcc, exec
	v_mov_b32_e32 v1, 0
	s_or_b64 s[0:1], s[0:1], s[30:31]
; %bb.453:
	s_or_b64 exec, exec, s[26:27]
	s_and_saveexec_b64 s[26:27], s[0:1]
	s_cbranch_execz .LBB126_455
; %bb.454:
	v_and_b32_e32 v1, 0xffff, v2
	v_lshlrev_b32_e32 v0, 24, v2
	v_and_b32_e32 v2, 3, v1
	v_ffbh_u32_e32 v7, v2
	v_min_u32_e32 v7, 32, v7
	v_subrev_u32_e32 v8, 29, v7
	v_bfe_u32 v3, v1, 2, 5
	v_lshlrev_b32_e32 v1, v8, v1
	v_sub_u32_e32 v7, 30, v7
	v_and_b32_e32 v1, 3, v1
	v_cmp_eq_u32_e32 vcc, 0, v3
	v_cndmask_b32_e32 v3, v3, v7, vcc
	v_cndmask_b32_e32 v1, v2, v1, vcc
	v_mov_b32_e32 v2, 0x37800000
	v_lshlrev_b32_e32 v1, 21, v1
	v_and_b32_e32 v0, 0x80000000, v0
	v_lshl_add_u32 v2, v3, 23, v2
	v_or3_b32 v0, v0, v2, v1
	v_cvt_f64_f32_e32 v[0:1], v0
.LBB126_455:
	s_or_b64 exec, exec, s[26:27]
	s_mov_b64 s[0:1], 0
	s_branch .LBB126_459
.LBB126_456:
	s_mov_b64 s[26:27], -1
                                        ; implicit-def: $vgpr0_vgpr1
	s_branch .LBB126_465
.LBB126_457:
	s_mov_b64 s[0:1], -1
                                        ; implicit-def: $vgpr0_vgpr1
	s_branch .LBB126_462
.LBB126_458:
	s_mov_b64 s[0:1], -1
                                        ; implicit-def: $vgpr0_vgpr1
.LBB126_459:
	s_and_b64 vcc, exec, s[0:1]
	s_cbranch_vccz .LBB126_461
; %bb.460:
	global_load_ubyte v0, v[4:5], off
	s_mov_b32 s0, 0x7f800000
	s_waitcnt vmcnt(0)
	v_lshlrev_b32_e32 v0, 24, v0
	v_and_b32_e32 v1, 0x7f000000, v0
	v_ffbh_u32_e32 v2, v1
	v_min_u32_e32 v2, 32, v2
	v_sub_u32_e64 v2, v2, 4 clamp
	v_lshlrev_b32_e32 v7, v2, v1
	v_lshlrev_b32_e32 v2, 23, v2
	v_lshrrev_b32_e32 v7, 4, v7
	v_add_u32_e32 v3, 0x1000000, v1
	v_sub_u32_e32 v2, v7, v2
	v_ashrrev_i32_e32 v3, 8, v3
	v_add_u32_e32 v2, 0x3c000000, v2
	v_and_or_b32 v2, v3, s0, v2
	v_cmp_ne_u32_e32 vcc, 0, v1
	v_cndmask_b32_e32 v1, 0, v2, vcc
	s_brev_b32 s0, 1
	v_and_or_b32 v0, v0, s0, v1
	v_cvt_f64_f32_e32 v[0:1], v0
.LBB126_461:
	s_mov_b64 s[0:1], 0
.LBB126_462:
	s_andn2_b64 vcc, exec, s[0:1]
	s_cbranch_vccnz .LBB126_464
; %bb.463:
	global_load_ubyte v0, v[4:5], off
	s_movk_i32 s0, 0x7f00
	s_brev_b32 s1, 16
	s_waitcnt vmcnt(0)
	v_lshlrev_b16_e32 v1, 8, v0
	v_lshlrev_b32_e32 v0, 25, v0
	v_lshrrev_b32_e32 v2, 4, v0
	v_and_or_b32 v3, v1, s0, 0.5
	v_or_b32_e32 v2, 0x70000000, v2
	v_add_f32_e32 v3, -0.5, v3
	v_mul_f32_e32 v2, 0x7800000, v2
	v_cmp_gt_u32_e32 vcc, s1, v0
	v_bfe_i32 v1, v1, 0, 16
	v_cndmask_b32_e32 v0, v2, v3, vcc
	s_brev_b32 s0, 1
	v_and_or_b32 v0, v1, s0, v0
	v_cvt_f64_f32_e32 v[0:1], v0
.LBB126_464:
	s_mov_b64 s[26:27], 0
	s_mov_b64 s[0:1], -1
.LBB126_465:
	s_andn2_b64 vcc, exec, s[26:27]
	s_cbranch_vccnz .LBB126_476
; %bb.466:
	s_cmp_gt_i32 s34, 14
	s_cbranch_scc0 .LBB126_469
; %bb.467:
	s_cmp_eq_u32 s34, 15
	s_cbranch_scc0 .LBB126_470
; %bb.468:
	global_load_ushort v0, v[4:5], off
	s_mov_b64 s[0:1], -1
	s_mov_b64 s[24:25], 0
	s_waitcnt vmcnt(0)
	v_lshlrev_b32_e32 v0, 16, v0
	v_cvt_f64_f32_e32 v[0:1], v0
	s_branch .LBB126_471
.LBB126_469:
	s_mov_b64 s[26:27], -1
                                        ; implicit-def: $vgpr0_vgpr1
	s_branch .LBB126_472
.LBB126_470:
	s_mov_b64 s[24:25], -1
                                        ; implicit-def: $vgpr0_vgpr1
.LBB126_471:
	s_mov_b64 s[26:27], 0
.LBB126_472:
	s_and_b64 vcc, exec, s[26:27]
	s_cbranch_vccz .LBB126_476
; %bb.473:
	s_cmp_eq_u32 s34, 11
	s_cbranch_scc0 .LBB126_475
; %bb.474:
	global_load_ubyte v1, v[4:5], off
	v_mov_b32_e32 v2, 0x3ff00000
	v_mov_b32_e32 v0, 0
	s_mov_b64 s[0:1], -1
	s_mov_b64 s[24:25], 0
	s_waitcnt vmcnt(0)
	v_cmp_ne_u16_e32 vcc, 0, v1
	v_cndmask_b32_e32 v1, 0, v2, vcc
	s_branch .LBB126_476
.LBB126_475:
	s_mov_b64 s[24:25], -1
                                        ; implicit-def: $vgpr0_vgpr1
.LBB126_476:
	v_mov_b32_e32 v2, 0
	v_mov_b32_e32 v3, 0
.LBB126_477:
	s_branch .LBB126_273
.LBB126_478:
	s_cmp_lt_i32 s34, 5
	s_cbranch_scc1 .LBB126_483
; %bb.479:
	s_cmp_lt_i32 s34, 8
	s_cbranch_scc1 .LBB126_484
; %bb.480:
	;; [unrolled: 3-line block ×3, first 2 shown]
	s_cmp_gt_i32 s34, 9
	s_cbranch_scc0 .LBB126_486
; %bb.482:
	global_load_dwordx4 v[0:3], v[4:5], off
	s_mov_b64 s[0:1], 0
	s_branch .LBB126_487
.LBB126_483:
	s_mov_b64 s[0:1], -1
                                        ; implicit-def: $vgpr2_vgpr3
	s_branch .LBB126_506
.LBB126_484:
	s_mov_b64 s[0:1], -1
                                        ; implicit-def: $vgpr2_vgpr3
	s_branch .LBB126_493
.LBB126_485:
	s_mov_b64 s[0:1], -1
                                        ; implicit-def: $vgpr2_vgpr3
	s_branch .LBB126_490
.LBB126_486:
	s_mov_b64 s[0:1], -1
                                        ; implicit-def: $vgpr2_vgpr3
.LBB126_487:
	s_andn2_b64 vcc, exec, s[0:1]
	s_cbranch_vccnz .LBB126_489
; %bb.488:
	global_load_dwordx2 v[1:2], v[4:5], off
	s_waitcnt vmcnt(0)
	v_cvt_f64_f32_e32 v[0:1], v1
	v_cvt_f64_f32_e32 v[2:3], v2
.LBB126_489:
	s_mov_b64 s[0:1], 0
.LBB126_490:
	s_andn2_b64 vcc, exec, s[0:1]
	s_cbranch_vccnz .LBB126_492
; %bb.491:
	global_load_dword v0, v[4:5], off
	s_waitcnt vmcnt(0)
	v_cvt_f32_f16_e32 v1, v0
	v_cvt_f32_f16_sdwa v2, v0 dst_sel:DWORD dst_unused:UNUSED_PAD src0_sel:WORD_1
	v_cvt_f64_f32_e32 v[0:1], v1
	v_cvt_f64_f32_e32 v[2:3], v2
.LBB126_492:
	s_mov_b64 s[0:1], 0
.LBB126_493:
	s_andn2_b64 vcc, exec, s[0:1]
	s_cbranch_vccnz .LBB126_505
; %bb.494:
	s_cmp_lt_i32 s34, 6
	s_cbranch_scc1 .LBB126_497
; %bb.495:
	s_cmp_gt_i32 s34, 6
	s_cbranch_scc0 .LBB126_498
; %bb.496:
	global_load_dwordx2 v[0:1], v[4:5], off
	s_mov_b64 s[0:1], 0
	s_branch .LBB126_499
.LBB126_497:
	s_mov_b64 s[0:1], -1
                                        ; implicit-def: $vgpr0_vgpr1
	s_branch .LBB126_502
.LBB126_498:
	s_mov_b64 s[0:1], -1
                                        ; implicit-def: $vgpr0_vgpr1
.LBB126_499:
	s_andn2_b64 vcc, exec, s[0:1]
	s_cbranch_vccnz .LBB126_501
; %bb.500:
	global_load_dword v0, v[4:5], off
	s_waitcnt vmcnt(0)
	v_cvt_f64_f32_e32 v[0:1], v0
.LBB126_501:
	s_mov_b64 s[0:1], 0
.LBB126_502:
	s_andn2_b64 vcc, exec, s[0:1]
	s_cbranch_vccnz .LBB126_504
; %bb.503:
	global_load_ushort v0, v[4:5], off
	s_waitcnt vmcnt(0)
	v_cvt_f32_f16_e32 v0, v0
	v_cvt_f64_f32_e32 v[0:1], v0
.LBB126_504:
	s_waitcnt vmcnt(0)
	v_mov_b32_e32 v2, 0
	v_mov_b32_e32 v3, 0
.LBB126_505:
	s_mov_b64 s[0:1], 0
.LBB126_506:
	s_andn2_b64 vcc, exec, s[0:1]
	s_cbranch_vccnz .LBB126_527
; %bb.507:
	s_cmp_lt_i32 s34, 2
	s_cbranch_scc1 .LBB126_511
; %bb.508:
	s_cmp_lt_i32 s34, 3
	s_cbranch_scc1 .LBB126_512
; %bb.509:
	s_cmp_gt_i32 s34, 3
	s_cbranch_scc0 .LBB126_513
; %bb.510:
	global_load_dwordx2 v[0:1], v[4:5], off
	s_mov_b64 s[0:1], 0
	s_waitcnt vmcnt(0)
	v_cvt_f64_i32_e32 v[1:2], v1
	v_cvt_f64_u32_e32 v[7:8], v0
	v_ldexp_f64 v[1:2], v[1:2], 32
	v_add_f64 v[0:1], v[1:2], v[7:8]
	s_branch .LBB126_514
.LBB126_511:
	s_mov_b64 s[0:1], -1
                                        ; implicit-def: $vgpr0_vgpr1
	s_branch .LBB126_520
.LBB126_512:
	s_mov_b64 s[0:1], -1
                                        ; implicit-def: $vgpr0_vgpr1
	s_branch .LBB126_517
.LBB126_513:
	s_mov_b64 s[0:1], -1
                                        ; implicit-def: $vgpr0_vgpr1
.LBB126_514:
	s_andn2_b64 vcc, exec, s[0:1]
	s_cbranch_vccnz .LBB126_516
; %bb.515:
	global_load_dword v0, v[4:5], off
	s_waitcnt vmcnt(0)
	v_cvt_f64_i32_e32 v[0:1], v0
.LBB126_516:
	s_mov_b64 s[0:1], 0
.LBB126_517:
	s_andn2_b64 vcc, exec, s[0:1]
	s_cbranch_vccnz .LBB126_519
; %bb.518:
	global_load_sshort v0, v[4:5], off
	s_waitcnt vmcnt(0)
	v_cvt_f64_i32_e32 v[0:1], v0
.LBB126_519:
	s_mov_b64 s[0:1], 0
.LBB126_520:
	s_andn2_b64 vcc, exec, s[0:1]
	s_cbranch_vccnz .LBB126_526
; %bb.521:
	s_cmp_gt_i32 s34, 0
	s_cbranch_scc0 .LBB126_523
; %bb.522:
	global_load_sbyte v0, v[4:5], off
	s_mov_b64 s[0:1], 0
	s_waitcnt vmcnt(0)
	v_cvt_f64_i32_e32 v[0:1], v0
	s_branch .LBB126_524
.LBB126_523:
	s_mov_b64 s[0:1], -1
                                        ; implicit-def: $vgpr0_vgpr1
.LBB126_524:
	s_andn2_b64 vcc, exec, s[0:1]
	s_cbranch_vccnz .LBB126_526
; %bb.525:
	global_load_ubyte v0, v[4:5], off
	s_waitcnt vmcnt(0)
	v_cvt_f64_u32_e32 v[0:1], v0
.LBB126_526:
	s_waitcnt vmcnt(0)
	v_mov_b32_e32 v2, 0
	v_mov_b32_e32 v3, 0
.LBB126_527:
	s_branch .LBB126_274
.LBB126_528:
	s_mov_b64 s[30:31], 0
                                        ; implicit-def: $vgpr6
	s_mov_b64 s[0:1], s[18:19]
.LBB126_529:
	s_andn2_b64 s[26:27], s[18:19], exec
	s_and_b64 s[0:1], s[0:1], exec
	s_or_b64 s[26:27], s[26:27], s[0:1]
	s_andn2_b64 s[0:1], s[20:21], exec
	s_and_b64 s[24:25], s[24:25], exec
	s_or_b64 s[24:25], s[0:1], s[24:25]
	s_orn2_b64 s[0:1], s[30:31], exec
.LBB126_530:
	s_or_b64 exec, exec, s[28:29]
	s_mov_b64 s[30:31], 0
	s_mov_b64 s[34:35], 0
	;; [unrolled: 1-line block ×3, first 2 shown]
                                        ; implicit-def: $vgpr4_vgpr5
                                        ; implicit-def: $vgpr2_vgpr3
	s_and_saveexec_b64 s[28:29], s[0:1]
	s_cbranch_execz .LBB126_888
; %bb.531:
	v_cmp_gt_i32_e32 vcc, s44, v6
	s_mov_b64 s[40:41], -1
	s_mov_b64 s[0:1], s[24:25]
	s_mov_b64 s[36:37], s[26:27]
	s_and_saveexec_b64 s[30:31], vcc
	s_cbranch_execz .LBB126_799
; %bb.532:
	s_waitcnt vmcnt(0)
	v_mul_lo_u32 v0, v6, s3
	v_mov_b32_e32 v1, s11
	s_and_b32 s40, 0xffff, s49
	s_cmp_lt_i32 s40, 11
	v_ashrrev_i32_e32 v2, 31, v0
	v_add_co_u32_e32 v4, vcc, s10, v0
	v_addc_co_u32_e32 v5, vcc, v1, v2, vcc
	s_cbranch_scc1 .LBB126_539
; %bb.533:
	s_cmp_gt_i32 s40, 25
	s_cbranch_scc0 .LBB126_540
; %bb.534:
	s_cmp_gt_i32 s40, 28
	s_cbranch_scc0 .LBB126_541
	;; [unrolled: 3-line block ×4, first 2 shown]
; %bb.537:
	s_cmp_eq_u32 s40, 46
	s_mov_b64 s[36:37], 0
	s_cbranch_scc0 .LBB126_548
; %bb.538:
	global_load_dword v0, v[4:5], off
	s_mov_b64 s[0:1], -1
	s_waitcnt vmcnt(0)
	v_and_b32_e32 v2, 0xffff0000, v0
	v_lshlrev_b32_e32 v0, 16, v0
	v_cvt_f64_f32_e32 v[0:1], v0
	v_cvt_f64_f32_e32 v[2:3], v2
	s_branch .LBB126_549
.LBB126_539:
	s_mov_b64 s[36:37], -1
	s_mov_b64 s[0:1], 0
                                        ; implicit-def: $vgpr2_vgpr3
	s_mov_b64 s[34:35], s[24:25]
	s_branch .LBB126_617
.LBB126_540:
	s_mov_b64 s[36:37], -1
	s_mov_b64 s[0:1], 0
	s_mov_b64 s[34:35], s[24:25]
                                        ; implicit-def: $vgpr2_vgpr3
	s_branch .LBB126_582
.LBB126_541:
	s_mov_b64 s[36:37], -1
	s_mov_b64 s[0:1], 0
	s_mov_b64 s[34:35], s[24:25]
                                        ; implicit-def: $vgpr2_vgpr3
	s_branch .LBB126_561
.LBB126_542:
	s_mov_b64 s[36:37], -1
	s_mov_b64 s[0:1], 0
	s_mov_b64 s[34:35], s[24:25]
                                        ; implicit-def: $vgpr2_vgpr3
	s_branch .LBB126_555
.LBB126_543:
	s_andn2_saveexec_b64 s[36:37], s[36:37]
	s_cbranch_execz .LBB126_323
.LBB126_544:
	v_add_f32_e32 v2, 0x46000000, v3
	v_and_b32_e32 v2, 0xff, v2
	v_cmp_ne_u32_e32 vcc, 0, v2
	s_andn2_b64 s[34:35], s[34:35], exec
	s_and_b64 s[40:41], vcc, exec
	s_or_b64 s[34:35], s[34:35], s[40:41]
	s_or_b64 exec, exec, s[36:37]
	v_mov_b32_e32 v4, 0
	s_and_saveexec_b64 s[36:37], s[34:35]
	s_cbranch_execnz .LBB126_324
	s_branch .LBB126_325
.LBB126_545:
	s_mov_b64 s[36:37], -1
	s_mov_b64 s[0:1], 0
	s_mov_b64 s[34:35], s[24:25]
                                        ; implicit-def: $vgpr2_vgpr3
	s_branch .LBB126_549
.LBB126_546:
	s_andn2_saveexec_b64 s[36:37], s[36:37]
	s_cbranch_execz .LBB126_336
.LBB126_547:
	v_add_f32_e32 v2, 0x42800000, v3
	v_and_b32_e32 v2, 0xff, v2
	v_cmp_ne_u32_e32 vcc, 0, v2
	s_andn2_b64 s[34:35], s[34:35], exec
	s_and_b64 s[40:41], vcc, exec
	s_or_b64 s[34:35], s[34:35], s[40:41]
	s_or_b64 exec, exec, s[36:37]
	v_mov_b32_e32 v4, 0
	s_and_saveexec_b64 s[36:37], s[34:35]
	s_cbranch_execnz .LBB126_337
	s_branch .LBB126_338
.LBB126_548:
	s_mov_b64 s[34:35], -1
                                        ; implicit-def: $vgpr2_vgpr3
	s_mov_b64 s[0:1], 0
.LBB126_549:
	s_and_b64 vcc, exec, s[36:37]
	s_cbranch_vccz .LBB126_554
; %bb.550:
	s_cmp_eq_u32 s40, 44
	s_cbranch_scc0 .LBB126_552
; %bb.551:
	global_load_ubyte v2, v[4:5], off
	s_movk_i32 s34, 0xff
	v_bfrev_b32_e32 v3, 4
	v_mov_b32_e32 v7, 0x7ff80000
	v_bfrev_b32_e32 v8, 28
	s_mov_b64 s[0:1], -1
	s_waitcnt vmcnt(0)
	v_lshlrev_b32_e32 v0, 23, v2
	v_cvt_f64_f32_e32 v[0:1], v0
	v_cmp_ne_u32_e32 vcc, s34, v2
	s_mov_b64 s[34:35], 0
	v_cndmask_b32_e32 v0, v3, v0, vcc
	v_cndmask_b32_e32 v1, v7, v1, vcc
	v_cmp_ne_u32_e32 vcc, 0, v2
	v_cndmask_b32_e32 v1, v8, v1, vcc
	v_cndmask_b32_e32 v0, 0, v0, vcc
	s_branch .LBB126_553
.LBB126_552:
	s_mov_b64 s[34:35], -1
                                        ; implicit-def: $vgpr0_vgpr1
.LBB126_553:
	v_mov_b32_e32 v2, 0
	v_mov_b32_e32 v3, 0
.LBB126_554:
	s_mov_b64 s[36:37], 0
.LBB126_555:
	s_and_b64 vcc, exec, s[36:37]
	s_cbranch_vccz .LBB126_560
; %bb.556:
	s_cmp_eq_u32 s40, 29
	s_cbranch_scc0 .LBB126_558
; %bb.557:
	global_load_dwordx2 v[0:1], v[4:5], off
	s_mov_b64 s[0:1], -1
	s_mov_b64 s[34:35], 0
	s_waitcnt vmcnt(0)
	v_cvt_f64_u32_e32 v[1:2], v1
	v_cvt_f64_u32_e32 v[7:8], v0
	v_ldexp_f64 v[1:2], v[1:2], 32
	v_add_f64 v[0:1], v[1:2], v[7:8]
	s_branch .LBB126_559
.LBB126_558:
	s_mov_b64 s[34:35], -1
                                        ; implicit-def: $vgpr0_vgpr1
.LBB126_559:
	v_mov_b32_e32 v2, 0
	v_mov_b32_e32 v3, 0
.LBB126_560:
	s_mov_b64 s[36:37], 0
.LBB126_561:
	s_and_b64 vcc, exec, s[36:37]
	s_cbranch_vccz .LBB126_581
; %bb.562:
	s_cmp_lt_i32 s40, 27
	s_cbranch_scc1 .LBB126_565
; %bb.563:
	s_cmp_gt_i32 s40, 27
	s_cbranch_scc0 .LBB126_566
; %bb.564:
	global_load_dword v0, v[4:5], off
	s_mov_b64 s[0:1], 0
	s_waitcnt vmcnt(0)
	v_cvt_f64_u32_e32 v[0:1], v0
	s_branch .LBB126_567
.LBB126_565:
	s_mov_b64 s[0:1], -1
                                        ; implicit-def: $vgpr0_vgpr1
	s_branch .LBB126_570
.LBB126_566:
	s_mov_b64 s[0:1], -1
                                        ; implicit-def: $vgpr0_vgpr1
.LBB126_567:
	s_andn2_b64 vcc, exec, s[0:1]
	s_cbranch_vccnz .LBB126_569
; %bb.568:
	global_load_ushort v0, v[4:5], off
	s_waitcnt vmcnt(0)
	v_cvt_f64_u32_e32 v[0:1], v0
.LBB126_569:
	s_mov_b64 s[0:1], 0
.LBB126_570:
	s_andn2_b64 vcc, exec, s[0:1]
	s_cbranch_vccnz .LBB126_580
; %bb.571:
	global_load_ubyte v2, v[4:5], off
	s_movk_i32 s0, 0x7f
	s_waitcnt vmcnt(0)
	v_cmp_lt_i16_e32 vcc, s0, v2
	s_mov_b64 s[0:1], 0
	s_and_saveexec_b64 s[36:37], vcc
	s_xor_b64 s[36:37], exec, s[36:37]
	s_cbranch_execz .LBB126_575
; %bb.572:
	s_movk_i32 s0, 0x80
	v_cmp_eq_u16_e32 vcc, s0, v2
	s_mov_b64 s[0:1], -1
	s_and_saveexec_b64 s[38:39], vcc
; %bb.573:
	s_xor_b64 s[0:1], exec, -1
; %bb.574:
	s_or_b64 exec, exec, s[38:39]
	s_and_b64 s[0:1], s[0:1], exec
.LBB126_575:
	s_or_saveexec_b64 s[36:37], s[36:37]
	v_bfrev_b32_e32 v0, 4
	v_mov_b32_e32 v1, 0x7ff80000
	s_xor_b64 exec, exec, s[36:37]
; %bb.576:
	v_cmp_ne_u16_e32 vcc, 0, v2
	v_mov_b32_e32 v0, 0
	s_andn2_b64 s[0:1], s[0:1], exec
	s_and_b64 s[38:39], vcc, exec
	v_mov_b32_e32 v1, 0
	s_or_b64 s[0:1], s[0:1], s[38:39]
; %bb.577:
	s_or_b64 exec, exec, s[36:37]
	s_and_saveexec_b64 s[36:37], s[0:1]
	s_cbranch_execz .LBB126_579
; %bb.578:
	v_and_b32_e32 v1, 0xffff, v2
	v_lshlrev_b32_e32 v0, 24, v2
	v_and_b32_e32 v2, 7, v1
	v_ffbh_u32_e32 v7, v2
	v_min_u32_e32 v7, 32, v7
	v_subrev_u32_e32 v8, 28, v7
	v_bfe_u32 v3, v1, 3, 4
	v_lshlrev_b32_e32 v1, v8, v1
	v_sub_u32_e32 v7, 29, v7
	v_and_b32_e32 v1, 7, v1
	v_cmp_eq_u32_e32 vcc, 0, v3
	v_cndmask_b32_e32 v3, v3, v7, vcc
	v_cndmask_b32_e32 v1, v2, v1, vcc
	v_mov_b32_e32 v2, 0x3b800000
	v_lshlrev_b32_e32 v1, 20, v1
	v_and_b32_e32 v0, 0x80000000, v0
	v_lshl_add_u32 v2, v3, 23, v2
	v_or3_b32 v0, v0, v2, v1
	v_cvt_f64_f32_e32 v[0:1], v0
.LBB126_579:
	s_or_b64 exec, exec, s[36:37]
.LBB126_580:
	v_mov_b32_e32 v2, 0
	v_mov_b32_e32 v3, 0
	s_mov_b64 s[0:1], -1
.LBB126_581:
	s_mov_b64 s[36:37], 0
.LBB126_582:
	s_and_b64 vcc, exec, s[36:37]
	s_cbranch_vccz .LBB126_616
; %bb.583:
	s_cmp_gt_i32 s40, 22
	s_cbranch_scc0 .LBB126_595
; %bb.584:
	s_cmp_lt_i32 s40, 24
	s_cbranch_scc1 .LBB126_596
; %bb.585:
	s_cmp_gt_i32 s40, 24
	s_cbranch_scc0 .LBB126_597
; %bb.586:
	global_load_ubyte v2, v[4:5], off
	s_movk_i32 s0, 0x7f
	s_waitcnt vmcnt(0)
	v_cmp_lt_i16_e32 vcc, s0, v2
	s_mov_b64 s[0:1], 0
	s_and_saveexec_b64 s[36:37], vcc
	s_xor_b64 s[36:37], exec, s[36:37]
	s_cbranch_execz .LBB126_590
; %bb.587:
	s_movk_i32 s0, 0x80
	v_cmp_eq_u16_e32 vcc, s0, v2
	s_mov_b64 s[0:1], -1
	s_and_saveexec_b64 s[38:39], vcc
; %bb.588:
	s_xor_b64 s[0:1], exec, -1
; %bb.589:
	s_or_b64 exec, exec, s[38:39]
	s_and_b64 s[0:1], s[0:1], exec
.LBB126_590:
	s_or_saveexec_b64 s[36:37], s[36:37]
	v_bfrev_b32_e32 v0, 4
	v_mov_b32_e32 v1, 0x7ff80000
	s_xor_b64 exec, exec, s[36:37]
; %bb.591:
	v_cmp_ne_u16_e32 vcc, 0, v2
	v_mov_b32_e32 v0, 0
	s_andn2_b64 s[0:1], s[0:1], exec
	s_and_b64 s[38:39], vcc, exec
	v_mov_b32_e32 v1, 0
	s_or_b64 s[0:1], s[0:1], s[38:39]
; %bb.592:
	s_or_b64 exec, exec, s[36:37]
	s_and_saveexec_b64 s[36:37], s[0:1]
	s_cbranch_execz .LBB126_594
; %bb.593:
	v_and_b32_e32 v1, 0xffff, v2
	v_lshlrev_b32_e32 v0, 24, v2
	v_and_b32_e32 v2, 3, v1
	v_ffbh_u32_e32 v7, v2
	v_min_u32_e32 v7, 32, v7
	v_subrev_u32_e32 v8, 29, v7
	v_bfe_u32 v3, v1, 2, 5
	v_lshlrev_b32_e32 v1, v8, v1
	v_sub_u32_e32 v7, 30, v7
	v_and_b32_e32 v1, 3, v1
	v_cmp_eq_u32_e32 vcc, 0, v3
	v_cndmask_b32_e32 v3, v3, v7, vcc
	v_cndmask_b32_e32 v1, v2, v1, vcc
	v_mov_b32_e32 v2, 0x37800000
	v_lshlrev_b32_e32 v1, 21, v1
	v_and_b32_e32 v0, 0x80000000, v0
	v_lshl_add_u32 v2, v3, 23, v2
	v_or3_b32 v0, v0, v2, v1
	v_cvt_f64_f32_e32 v[0:1], v0
.LBB126_594:
	s_or_b64 exec, exec, s[36:37]
	s_mov_b64 s[0:1], 0
	s_branch .LBB126_598
.LBB126_595:
	s_mov_b64 s[36:37], -1
                                        ; implicit-def: $vgpr0_vgpr1
	s_branch .LBB126_604
.LBB126_596:
	s_mov_b64 s[0:1], -1
                                        ; implicit-def: $vgpr0_vgpr1
	s_branch .LBB126_601
.LBB126_597:
	s_mov_b64 s[0:1], -1
                                        ; implicit-def: $vgpr0_vgpr1
.LBB126_598:
	s_and_b64 vcc, exec, s[0:1]
	s_cbranch_vccz .LBB126_600
; %bb.599:
	global_load_ubyte v0, v[4:5], off
	s_mov_b32 s0, 0x7f800000
	s_waitcnt vmcnt(0)
	v_lshlrev_b32_e32 v0, 24, v0
	v_and_b32_e32 v1, 0x7f000000, v0
	v_ffbh_u32_e32 v2, v1
	v_min_u32_e32 v2, 32, v2
	v_sub_u32_e64 v2, v2, 4 clamp
	v_lshlrev_b32_e32 v7, v2, v1
	v_lshlrev_b32_e32 v2, 23, v2
	v_lshrrev_b32_e32 v7, 4, v7
	v_add_u32_e32 v3, 0x1000000, v1
	v_sub_u32_e32 v2, v7, v2
	v_ashrrev_i32_e32 v3, 8, v3
	v_add_u32_e32 v2, 0x3c000000, v2
	v_and_or_b32 v2, v3, s0, v2
	v_cmp_ne_u32_e32 vcc, 0, v1
	v_cndmask_b32_e32 v1, 0, v2, vcc
	s_brev_b32 s0, 1
	v_and_or_b32 v0, v0, s0, v1
	v_cvt_f64_f32_e32 v[0:1], v0
.LBB126_600:
	s_mov_b64 s[0:1], 0
.LBB126_601:
	s_andn2_b64 vcc, exec, s[0:1]
	s_cbranch_vccnz .LBB126_603
; %bb.602:
	global_load_ubyte v0, v[4:5], off
	s_movk_i32 s0, 0x7f00
	s_brev_b32 s1, 16
	s_waitcnt vmcnt(0)
	v_lshlrev_b16_e32 v1, 8, v0
	v_lshlrev_b32_e32 v0, 25, v0
	v_lshrrev_b32_e32 v2, 4, v0
	v_and_or_b32 v3, v1, s0, 0.5
	v_or_b32_e32 v2, 0x70000000, v2
	v_add_f32_e32 v3, -0.5, v3
	v_mul_f32_e32 v2, 0x7800000, v2
	v_cmp_gt_u32_e32 vcc, s1, v0
	v_bfe_i32 v1, v1, 0, 16
	v_cndmask_b32_e32 v0, v2, v3, vcc
	s_brev_b32 s0, 1
	v_and_or_b32 v0, v1, s0, v0
	v_cvt_f64_f32_e32 v[0:1], v0
.LBB126_603:
	s_mov_b64 s[36:37], 0
	s_mov_b64 s[0:1], -1
.LBB126_604:
	s_andn2_b64 vcc, exec, s[36:37]
	s_cbranch_vccnz .LBB126_615
; %bb.605:
	s_cmp_gt_i32 s40, 14
	s_cbranch_scc0 .LBB126_608
; %bb.606:
	s_cmp_eq_u32 s40, 15
	s_cbranch_scc0 .LBB126_609
; %bb.607:
	global_load_ushort v0, v[4:5], off
	s_mov_b64 s[0:1], -1
	s_mov_b64 s[34:35], 0
	s_waitcnt vmcnt(0)
	v_lshlrev_b32_e32 v0, 16, v0
	v_cvt_f64_f32_e32 v[0:1], v0
	s_branch .LBB126_610
.LBB126_608:
	s_mov_b64 s[36:37], -1
                                        ; implicit-def: $vgpr0_vgpr1
	s_branch .LBB126_611
.LBB126_609:
	s_mov_b64 s[34:35], -1
                                        ; implicit-def: $vgpr0_vgpr1
.LBB126_610:
	s_mov_b64 s[36:37], 0
.LBB126_611:
	s_and_b64 vcc, exec, s[36:37]
	s_cbranch_vccz .LBB126_615
; %bb.612:
	s_cmp_eq_u32 s40, 11
	s_cbranch_scc0 .LBB126_614
; %bb.613:
	global_load_ubyte v1, v[4:5], off
	v_mov_b32_e32 v2, 0x3ff00000
	v_mov_b32_e32 v0, 0
	s_mov_b64 s[0:1], -1
	s_mov_b64 s[34:35], 0
	s_waitcnt vmcnt(0)
	v_cmp_ne_u16_e32 vcc, 0, v1
	v_cndmask_b32_e32 v1, 0, v2, vcc
	s_branch .LBB126_615
.LBB126_614:
	s_mov_b64 s[34:35], -1
                                        ; implicit-def: $vgpr0_vgpr1
.LBB126_615:
	v_mov_b32_e32 v2, 0
	v_mov_b32_e32 v3, 0
.LBB126_616:
	s_mov_b64 s[36:37], 0
.LBB126_617:
	s_and_b64 vcc, exec, s[36:37]
	s_cbranch_vccz .LBB126_668
; %bb.618:
	s_cmp_lt_i32 s40, 5
	s_cbranch_scc1 .LBB126_623
; %bb.619:
	s_cmp_lt_i32 s40, 8
	s_cbranch_scc1 .LBB126_624
	;; [unrolled: 3-line block ×3, first 2 shown]
; %bb.621:
	s_cmp_gt_i32 s40, 9
	s_cbranch_scc0 .LBB126_626
; %bb.622:
	global_load_dwordx4 v[0:3], v[4:5], off
	s_mov_b64 s[0:1], 0
	s_branch .LBB126_627
.LBB126_623:
	s_mov_b64 s[0:1], -1
                                        ; implicit-def: $vgpr2_vgpr3
	s_branch .LBB126_646
.LBB126_624:
	s_mov_b64 s[0:1], -1
                                        ; implicit-def: $vgpr2_vgpr3
	s_branch .LBB126_633
.LBB126_625:
	s_mov_b64 s[0:1], -1
                                        ; implicit-def: $vgpr2_vgpr3
	s_branch .LBB126_630
.LBB126_626:
	s_mov_b64 s[0:1], -1
                                        ; implicit-def: $vgpr2_vgpr3
.LBB126_627:
	s_andn2_b64 vcc, exec, s[0:1]
	s_cbranch_vccnz .LBB126_629
; %bb.628:
	global_load_dwordx2 v[1:2], v[4:5], off
	s_waitcnt vmcnt(0)
	v_cvt_f64_f32_e32 v[0:1], v1
	v_cvt_f64_f32_e32 v[2:3], v2
.LBB126_629:
	s_mov_b64 s[0:1], 0
.LBB126_630:
	s_andn2_b64 vcc, exec, s[0:1]
	s_cbranch_vccnz .LBB126_632
; %bb.631:
	global_load_dword v0, v[4:5], off
	s_waitcnt vmcnt(0)
	v_cvt_f32_f16_e32 v1, v0
	v_cvt_f32_f16_sdwa v2, v0 dst_sel:DWORD dst_unused:UNUSED_PAD src0_sel:WORD_1
	v_cvt_f64_f32_e32 v[0:1], v1
	v_cvt_f64_f32_e32 v[2:3], v2
.LBB126_632:
	s_mov_b64 s[0:1], 0
.LBB126_633:
	s_andn2_b64 vcc, exec, s[0:1]
	s_cbranch_vccnz .LBB126_645
; %bb.634:
	s_cmp_lt_i32 s40, 6
	s_cbranch_scc1 .LBB126_637
; %bb.635:
	s_cmp_gt_i32 s40, 6
	s_cbranch_scc0 .LBB126_638
; %bb.636:
	global_load_dwordx2 v[0:1], v[4:5], off
	s_mov_b64 s[0:1], 0
	s_branch .LBB126_639
.LBB126_637:
	s_mov_b64 s[0:1], -1
                                        ; implicit-def: $vgpr0_vgpr1
	s_branch .LBB126_642
.LBB126_638:
	s_mov_b64 s[0:1], -1
                                        ; implicit-def: $vgpr0_vgpr1
.LBB126_639:
	s_andn2_b64 vcc, exec, s[0:1]
	s_cbranch_vccnz .LBB126_641
; %bb.640:
	global_load_dword v0, v[4:5], off
	s_waitcnt vmcnt(0)
	v_cvt_f64_f32_e32 v[0:1], v0
.LBB126_641:
	s_mov_b64 s[0:1], 0
.LBB126_642:
	s_andn2_b64 vcc, exec, s[0:1]
	s_cbranch_vccnz .LBB126_644
; %bb.643:
	global_load_ushort v0, v[4:5], off
	s_waitcnt vmcnt(0)
	v_cvt_f32_f16_e32 v0, v0
	v_cvt_f64_f32_e32 v[0:1], v0
.LBB126_644:
	s_waitcnt vmcnt(0)
	v_mov_b32_e32 v2, 0
	v_mov_b32_e32 v3, 0
.LBB126_645:
	s_mov_b64 s[0:1], 0
.LBB126_646:
	s_andn2_b64 vcc, exec, s[0:1]
	s_cbranch_vccnz .LBB126_667
; %bb.647:
	s_cmp_lt_i32 s40, 2
	s_cbranch_scc1 .LBB126_651
; %bb.648:
	s_cmp_lt_i32 s40, 3
	s_cbranch_scc1 .LBB126_652
; %bb.649:
	s_cmp_gt_i32 s40, 3
	s_cbranch_scc0 .LBB126_653
; %bb.650:
	global_load_dwordx2 v[0:1], v[4:5], off
	s_mov_b64 s[0:1], 0
	s_waitcnt vmcnt(0)
	v_cvt_f64_i32_e32 v[1:2], v1
	v_cvt_f64_u32_e32 v[7:8], v0
	v_ldexp_f64 v[1:2], v[1:2], 32
	v_add_f64 v[0:1], v[1:2], v[7:8]
	s_branch .LBB126_654
.LBB126_651:
	s_mov_b64 s[0:1], -1
                                        ; implicit-def: $vgpr0_vgpr1
	s_branch .LBB126_660
.LBB126_652:
	s_mov_b64 s[0:1], -1
                                        ; implicit-def: $vgpr0_vgpr1
	s_branch .LBB126_657
.LBB126_653:
	s_mov_b64 s[0:1], -1
                                        ; implicit-def: $vgpr0_vgpr1
.LBB126_654:
	s_andn2_b64 vcc, exec, s[0:1]
	s_cbranch_vccnz .LBB126_656
; %bb.655:
	global_load_dword v0, v[4:5], off
	s_waitcnt vmcnt(0)
	v_cvt_f64_i32_e32 v[0:1], v0
.LBB126_656:
	s_mov_b64 s[0:1], 0
.LBB126_657:
	s_andn2_b64 vcc, exec, s[0:1]
	s_cbranch_vccnz .LBB126_659
; %bb.658:
	global_load_sshort v0, v[4:5], off
	s_waitcnt vmcnt(0)
	v_cvt_f64_i32_e32 v[0:1], v0
.LBB126_659:
	s_mov_b64 s[0:1], 0
.LBB126_660:
	s_andn2_b64 vcc, exec, s[0:1]
	s_cbranch_vccnz .LBB126_666
; %bb.661:
	s_cmp_gt_i32 s40, 0
	s_cbranch_scc0 .LBB126_663
; %bb.662:
	global_load_sbyte v0, v[4:5], off
	s_mov_b64 s[0:1], 0
	s_waitcnt vmcnt(0)
	v_cvt_f64_i32_e32 v[0:1], v0
	s_branch .LBB126_664
.LBB126_663:
	s_mov_b64 s[0:1], -1
                                        ; implicit-def: $vgpr0_vgpr1
.LBB126_664:
	s_andn2_b64 vcc, exec, s[0:1]
	s_cbranch_vccnz .LBB126_666
; %bb.665:
	global_load_ubyte v0, v[4:5], off
	s_waitcnt vmcnt(0)
	v_cvt_f64_u32_e32 v[0:1], v0
.LBB126_666:
	s_waitcnt vmcnt(0)
	v_mov_b32_e32 v2, 0
	v_mov_b32_e32 v3, 0
.LBB126_667:
	s_mov_b64 s[0:1], -1
.LBB126_668:
	s_andn2_b64 vcc, exec, s[0:1]
	s_cbranch_vccnz .LBB126_671
; %bb.669:
	s_andn2_b64 vcc, exec, s[16:17]
	s_cbranch_vccnz .LBB126_672
; %bb.670:
	s_waitcnt vmcnt(0)
	v_cmp_neq_f64_e32 vcc, s[12:13], v[0:1]
	v_cmp_neq_f64_e64 s[0:1], s[14:15], v[2:3]
	s_or_b64 s[36:37], vcc, s[0:1]
	s_mov_b64 s[0:1], 0
	s_branch .LBB126_673
.LBB126_671:
	s_mov_b64 s[38:39], 0
                                        ; implicit-def: $vgpr6
	s_mov_b64 s[0:1], s[26:27]
	s_branch .LBB126_798
.LBB126_672:
	s_mov_b64 s[0:1], -1
                                        ; implicit-def: $sgpr36_sgpr37
.LBB126_673:
	s_andn2_b64 vcc, exec, s[0:1]
	s_cbranch_vccnz .LBB126_675
; %bb.674:
	s_waitcnt vmcnt(0)
	v_cmp_eq_f64_e32 vcc, s[12:13], v[0:1]
	v_cmp_eq_f64_e64 s[0:1], s[14:15], v[2:3]
	s_andn2_b64 s[36:37], s[36:37], exec
	s_and_b64 s[0:1], vcc, s[0:1]
	s_and_b64 s[0:1], s[0:1], exec
	s_or_b64 s[36:37], s[36:37], s[0:1]
.LBB126_675:
	s_waitcnt vmcnt(0)
	v_mul_lo_u32 v0, v6, s2
	v_mov_b32_e32 v1, s9
	s_and_b32 s45, s33, 0xff
	s_cmp_lt_i32 s45, 11
	v_ashrrev_i32_e32 v2, 31, v0
	v_add_co_u32_e32 v0, vcc, s8, v0
	v_addc_co_u32_e32 v1, vcc, v1, v2, vcc
	s_cbranch_scc1 .LBB126_682
; %bb.676:
	s_and_b32 s46, 0xffff, s45
	s_cmp_gt_i32 s46, 25
	s_cbranch_scc0 .LBB126_683
; %bb.677:
	s_cmp_gt_i32 s46, 28
	s_cbranch_scc0 .LBB126_684
; %bb.678:
	;; [unrolled: 3-line block ×4, first 2 shown]
	s_mov_b64 s[40:41], 0
	s_mov_b64 s[0:1], -1
	s_cmp_eq_u32 s46, 46
	s_mov_b64 s[38:39], 0
	s_cbranch_scc0 .LBB126_687
; %bb.681:
	v_cndmask_b32_e64 v2, 0, 1.0, s[36:37]
	v_bfe_u32 v3, v2, 16, 1
	s_movk_i32 s0, 0x7fff
	v_add3_u32 v2, v2, v3, s0
	v_lshrrev_b32_e32 v2, 16, v2
	global_store_dword v[0:1], v2, off
	s_mov_b64 s[38:39], -1
	s_mov_b64 s[0:1], 0
	s_branch .LBB126_687
.LBB126_682:
	s_mov_b64 s[40:41], -1
	s_mov_b64 s[38:39], 0
	s_mov_b64 s[0:1], s[26:27]
	s_branch .LBB126_756
.LBB126_683:
	s_mov_b64 s[40:41], -1
	s_mov_b64 s[38:39], 0
	s_mov_b64 s[0:1], s[26:27]
	s_branch .LBB126_714
.LBB126_684:
	s_mov_b64 s[40:41], -1
	s_mov_b64 s[38:39], 0
	s_mov_b64 s[0:1], s[26:27]
	s_branch .LBB126_697
.LBB126_685:
	s_mov_b64 s[40:41], -1
	s_mov_b64 s[38:39], 0
	s_mov_b64 s[0:1], s[26:27]
	s_branch .LBB126_693
.LBB126_686:
	s_mov_b64 s[40:41], -1
	s_mov_b64 s[38:39], 0
	s_mov_b64 s[0:1], s[26:27]
.LBB126_687:
	s_and_b64 vcc, exec, s[40:41]
	s_cbranch_vccz .LBB126_692
; %bb.688:
	s_cmp_eq_u32 s46, 44
	s_mov_b64 s[0:1], -1
	s_cbranch_scc0 .LBB126_692
; %bb.689:
	v_cndmask_b32_e64 v3, 0, 1.0, s[36:37]
	v_lshrrev_b32_e32 v2, 23, v3
	s_movk_i32 s0, 0xff
	v_cmp_ne_u32_e32 vcc, s0, v2
	v_mov_b32_e32 v4, 0xff
	s_and_saveexec_b64 s[38:39], vcc
; %bb.690:
	s_mov_b32 s0, 0x3fffff
	v_and_b32_e32 v4, 0x400000, v3
	v_and_or_b32 v3, v3, s0, v2
	v_cmp_ne_u32_e32 vcc, 0, v4
	v_cmp_ne_u32_e64 s[0:1], 0, v3
	s_and_b64 s[0:1], vcc, s[0:1]
	v_cndmask_b32_e64 v3, 0, 1, s[0:1]
	v_add_u32_e32 v4, v2, v3
; %bb.691:
	s_or_b64 exec, exec, s[38:39]
	s_mov_b64 s[38:39], -1
	s_mov_b64 s[0:1], 0
	global_store_byte v[0:1], v4, off
.LBB126_692:
	s_mov_b64 s[40:41], 0
.LBB126_693:
	s_and_b64 vcc, exec, s[40:41]
	s_cbranch_vccz .LBB126_696
; %bb.694:
	s_cmp_eq_u32 s46, 29
	s_mov_b64 s[0:1], -1
	s_cbranch_scc0 .LBB126_696
; %bb.695:
	s_mov_b32 s0, 0
	v_cndmask_b32_e64 v2, 0, 1, s[36:37]
	v_mov_b32_e32 v3, s0
	global_store_dwordx2 v[0:1], v[2:3], off
	s_mov_b64 s[38:39], -1
	s_mov_b64 s[0:1], 0
.LBB126_696:
	s_mov_b64 s[40:41], 0
.LBB126_697:
	s_and_b64 vcc, exec, s[40:41]
	s_cbranch_vccz .LBB126_713
; %bb.698:
	s_cmp_lt_i32 s46, 27
	s_mov_b64 s[38:39], -1
	s_cbranch_scc1 .LBB126_704
; %bb.699:
	s_cmp_gt_i32 s46, 27
	s_cbranch_scc0 .LBB126_701
; %bb.700:
	v_cndmask_b32_e64 v2, 0, 1, s[36:37]
	s_mov_b64 s[38:39], 0
	global_store_dword v[0:1], v2, off
.LBB126_701:
	s_andn2_b64 vcc, exec, s[38:39]
	s_cbranch_vccnz .LBB126_703
; %bb.702:
	v_cndmask_b32_e64 v2, 0, 1, s[36:37]
	global_store_short v[0:1], v2, off
.LBB126_703:
	s_mov_b64 s[38:39], 0
.LBB126_704:
	s_andn2_b64 vcc, exec, s[38:39]
	s_cbranch_vccnz .LBB126_712
; %bb.705:
	v_cndmask_b32_e64 v3, 0, 1.0, s[36:37]
	s_mov_b32 s38, 0x43800000
	v_cmp_gt_u32_e32 vcc, s38, v3
	v_mov_b32_e32 v4, 0x80
	s_and_saveexec_b64 s[38:39], vcc
	s_cbranch_execz .LBB126_711
; %bb.706:
	s_mov_b32 s40, 0x3bffffff
	v_cmp_lt_u32_e32 vcc, s40, v3
	s_mov_b64 s[40:41], 0
                                        ; implicit-def: $vgpr2
	s_and_saveexec_b64 s[42:43], vcc
	s_xor_b64 s[42:43], exec, s[42:43]
	s_cbranch_execz .LBB126_812
; %bb.707:
	v_bfe_u32 v2, v3, 20, 1
	s_mov_b32 s47, 0x487ffff
	v_add3_u32 v2, v3, v2, s47
	s_mov_b64 s[40:41], exec
	v_lshrrev_b32_e32 v2, 20, v2
                                        ; implicit-def: $vgpr3
	s_andn2_saveexec_b64 s[42:43], s[42:43]
	s_cbranch_execnz .LBB126_813
.LBB126_708:
	s_or_b64 exec, exec, s[42:43]
	v_mov_b32_e32 v4, 0
	s_and_saveexec_b64 s[42:43], s[40:41]
.LBB126_709:
	v_mov_b32_e32 v4, v2
.LBB126_710:
	s_or_b64 exec, exec, s[42:43]
.LBB126_711:
	s_or_b64 exec, exec, s[38:39]
	global_store_byte v[0:1], v4, off
.LBB126_712:
	s_mov_b64 s[38:39], -1
.LBB126_713:
	s_mov_b64 s[40:41], 0
.LBB126_714:
	s_and_b64 vcc, exec, s[40:41]
	s_cbranch_vccz .LBB126_755
; %bb.715:
	s_cmp_gt_i32 s46, 22
	s_mov_b64 s[40:41], -1
	s_cbranch_scc0 .LBB126_747
; %bb.716:
	s_cmp_lt_i32 s46, 24
	s_mov_b64 s[38:39], -1
	s_cbranch_scc1 .LBB126_736
; %bb.717:
	s_cmp_gt_i32 s46, 24
	s_cbranch_scc0 .LBB126_725
; %bb.718:
	v_cndmask_b32_e64 v3, 0, 1.0, s[36:37]
	s_mov_b32 s38, 0x47800000
	v_cmp_gt_u32_e32 vcc, s38, v3
	v_mov_b32_e32 v4, 0x80
	s_and_saveexec_b64 s[38:39], vcc
	s_cbranch_execz .LBB126_724
; %bb.719:
	s_mov_b32 s40, 0x37ffffff
	v_cmp_lt_u32_e32 vcc, s40, v3
	s_mov_b64 s[40:41], 0
                                        ; implicit-def: $vgpr2
	s_and_saveexec_b64 s[42:43], vcc
	s_xor_b64 s[42:43], exec, s[42:43]
	s_cbranch_execz .LBB126_815
; %bb.720:
	v_bfe_u32 v2, v3, 21, 1
	s_mov_b32 s47, 0x88fffff
	v_add3_u32 v2, v3, v2, s47
	s_mov_b64 s[40:41], exec
	v_lshrrev_b32_e32 v2, 21, v2
                                        ; implicit-def: $vgpr3
	s_andn2_saveexec_b64 s[42:43], s[42:43]
	s_cbranch_execnz .LBB126_816
.LBB126_721:
	s_or_b64 exec, exec, s[42:43]
	v_mov_b32_e32 v4, 0
	s_and_saveexec_b64 s[42:43], s[40:41]
.LBB126_722:
	v_mov_b32_e32 v4, v2
.LBB126_723:
	s_or_b64 exec, exec, s[42:43]
.LBB126_724:
	s_or_b64 exec, exec, s[38:39]
	s_mov_b64 s[38:39], 0
	global_store_byte v[0:1], v4, off
.LBB126_725:
	s_and_b64 vcc, exec, s[38:39]
	s_cbranch_vccz .LBB126_735
; %bb.726:
	v_cndmask_b32_e64 v2, 0, 1.0, s[36:37]
	s_mov_b32 s38, 0x43f00000
	v_cmp_gt_u32_e32 vcc, s38, v2
                                        ; implicit-def: $vgpr3
	s_and_saveexec_b64 s[38:39], vcc
	s_xor_b64 s[38:39], exec, s[38:39]
	s_cbranch_execz .LBB126_732
; %bb.727:
	s_mov_b32 s40, 0x3c7fffff
	v_cmp_lt_u32_e32 vcc, s40, v2
                                        ; implicit-def: $vgpr3
	s_and_saveexec_b64 s[40:41], vcc
	s_xor_b64 s[40:41], exec, s[40:41]
; %bb.728:
	v_bfe_u32 v3, v2, 20, 1
	s_mov_b32 s42, 0x407ffff
	v_add3_u32 v2, v2, v3, s42
	v_lshrrev_b32_e32 v3, 20, v2
	v_and_b32_e32 v2, 0xff00000, v2
	s_mov_b32 s42, 0x7f00000
	v_mov_b32_e32 v4, 0x7e
	v_cmp_ne_u32_e32 vcc, s42, v2
	v_cndmask_b32_e32 v3, v4, v3, vcc
                                        ; implicit-def: $vgpr2
; %bb.729:
	s_andn2_saveexec_b64 s[40:41], s[40:41]
; %bb.730:
	v_add_f32_e32 v3, 0x46800000, v2
; %bb.731:
	s_or_b64 exec, exec, s[40:41]
                                        ; implicit-def: $vgpr2
.LBB126_732:
	s_andn2_saveexec_b64 s[38:39], s[38:39]
; %bb.733:
	s_mov_b32 s40, 0x7f800000
	v_mov_b32_e32 v3, 0x7e
	v_mov_b32_e32 v4, 0x7f
	v_cmp_lt_u32_e32 vcc, s40, v2
	v_cndmask_b32_e32 v3, v3, v4, vcc
; %bb.734:
	s_or_b64 exec, exec, s[38:39]
	global_store_byte v[0:1], v3, off
.LBB126_735:
	s_mov_b64 s[38:39], 0
.LBB126_736:
	s_andn2_b64 vcc, exec, s[38:39]
	s_cbranch_vccnz .LBB126_746
; %bb.737:
	v_cndmask_b32_e64 v2, 0, 1.0, s[36:37]
	s_mov_b32 s38, 0x47800000
	v_cmp_gt_u32_e32 vcc, s38, v2
                                        ; implicit-def: $vgpr3
	s_and_saveexec_b64 s[38:39], vcc
	s_xor_b64 s[38:39], exec, s[38:39]
	s_cbranch_execz .LBB126_743
; %bb.738:
	s_mov_b32 s40, 0x387fffff
	v_cmp_lt_u32_e32 vcc, s40, v2
                                        ; implicit-def: $vgpr3
	s_and_saveexec_b64 s[40:41], vcc
	s_xor_b64 s[40:41], exec, s[40:41]
; %bb.739:
	v_bfe_u32 v3, v2, 21, 1
	s_mov_b32 s42, 0x80fffff
	v_add3_u32 v2, v2, v3, s42
	v_lshrrev_b32_e32 v3, 21, v2
                                        ; implicit-def: $vgpr2
; %bb.740:
	s_andn2_saveexec_b64 s[40:41], s[40:41]
; %bb.741:
	v_add_f32_e32 v3, 0x43000000, v2
; %bb.742:
	s_or_b64 exec, exec, s[40:41]
                                        ; implicit-def: $vgpr2
.LBB126_743:
	s_andn2_saveexec_b64 s[38:39], s[38:39]
; %bb.744:
	s_mov_b32 s40, 0x7f800000
	v_mov_b32_e32 v3, 0x7c
	v_mov_b32_e32 v4, 0x7f
	v_cmp_lt_u32_e32 vcc, s40, v2
	v_cndmask_b32_e32 v3, v3, v4, vcc
; %bb.745:
	s_or_b64 exec, exec, s[38:39]
	global_store_byte v[0:1], v3, off
.LBB126_746:
	s_mov_b64 s[40:41], 0
	s_mov_b64 s[38:39], -1
.LBB126_747:
	s_andn2_b64 vcc, exec, s[40:41]
	s_cbranch_vccnz .LBB126_755
; %bb.748:
	s_cmp_gt_i32 s46, 14
	s_mov_b64 s[40:41], -1
	s_cbranch_scc0 .LBB126_752
; %bb.749:
	s_cmp_eq_u32 s46, 15
	s_mov_b64 s[0:1], -1
	s_cbranch_scc0 .LBB126_751
; %bb.750:
	v_cndmask_b32_e64 v2, 0, 1.0, s[36:37]
	v_bfe_u32 v3, v2, 16, 1
	s_movk_i32 s0, 0x7fff
	v_add3_u32 v2, v2, v3, s0
	global_store_short_d16_hi v[0:1], v2, off
	s_mov_b64 s[38:39], -1
	s_mov_b64 s[0:1], 0
.LBB126_751:
	s_mov_b64 s[40:41], 0
.LBB126_752:
	s_and_b64 vcc, exec, s[40:41]
	s_cbranch_vccz .LBB126_755
; %bb.753:
	s_cmp_eq_u32 s46, 11
	s_mov_b64 s[0:1], -1
	s_cbranch_scc0 .LBB126_755
; %bb.754:
	v_cndmask_b32_e64 v2, 0, 1, s[36:37]
	s_mov_b64 s[38:39], -1
	s_mov_b64 s[0:1], 0
	global_store_byte v[0:1], v2, off
.LBB126_755:
	s_mov_b64 s[40:41], 0
.LBB126_756:
	s_and_b64 vcc, exec, s[40:41]
	s_cbranch_vccz .LBB126_795
; %bb.757:
	s_and_b32 s40, 0xffff, s45
	s_cmp_lt_i32 s40, 5
	s_mov_b64 s[38:39], -1
	s_cbranch_scc1 .LBB126_778
; %bb.758:
	s_cmp_lt_i32 s40, 8
	s_cbranch_scc1 .LBB126_768
; %bb.759:
	s_cmp_lt_i32 s40, 9
	s_cbranch_scc1 .LBB126_765
; %bb.760:
	s_cmp_gt_i32 s40, 9
	s_cbranch_scc0 .LBB126_762
; %bb.761:
	v_cndmask_b32_e64 v2, 0, 1, s[36:37]
	v_cvt_f64_u32_e32 v[2:3], v2
	v_mov_b32_e32 v4, 0
	v_mov_b32_e32 v5, v4
	s_mov_b64 s[38:39], 0
	global_store_dwordx4 v[0:1], v[2:5], off
.LBB126_762:
	s_andn2_b64 vcc, exec, s[38:39]
	s_cbranch_vccnz .LBB126_764
; %bb.763:
	v_cndmask_b32_e64 v2, 0, 1.0, s[36:37]
	v_mov_b32_e32 v3, 0
	global_store_dwordx2 v[0:1], v[2:3], off
.LBB126_764:
	s_mov_b64 s[38:39], 0
.LBB126_765:
	s_andn2_b64 vcc, exec, s[38:39]
	s_cbranch_vccnz .LBB126_767
; %bb.766:
	v_cndmask_b32_e64 v2, 0, 1.0, s[36:37]
	v_cvt_f16_f32_e32 v2, v2
	global_store_dword v[0:1], v2, off
.LBB126_767:
	s_mov_b64 s[38:39], 0
.LBB126_768:
	s_andn2_b64 vcc, exec, s[38:39]
	s_cbranch_vccnz .LBB126_777
; %bb.769:
	s_cmp_lt_i32 s40, 6
	s_mov_b64 s[38:39], -1
	s_cbranch_scc1 .LBB126_775
; %bb.770:
	s_cmp_gt_i32 s40, 6
	s_cbranch_scc0 .LBB126_772
; %bb.771:
	v_cndmask_b32_e64 v2, 0, 1, s[36:37]
	v_cvt_f64_u32_e32 v[2:3], v2
	s_mov_b64 s[38:39], 0
	global_store_dwordx2 v[0:1], v[2:3], off
.LBB126_772:
	s_andn2_b64 vcc, exec, s[38:39]
	s_cbranch_vccnz .LBB126_774
; %bb.773:
	v_cndmask_b32_e64 v2, 0, 1.0, s[36:37]
	global_store_dword v[0:1], v2, off
.LBB126_774:
	s_mov_b64 s[38:39], 0
.LBB126_775:
	s_andn2_b64 vcc, exec, s[38:39]
	s_cbranch_vccnz .LBB126_777
; %bb.776:
	v_cndmask_b32_e64 v2, 0, 1.0, s[36:37]
	v_cvt_f16_f32_e32 v2, v2
	global_store_short v[0:1], v2, off
.LBB126_777:
	s_mov_b64 s[38:39], 0
.LBB126_778:
	s_andn2_b64 vcc, exec, s[38:39]
	s_cbranch_vccnz .LBB126_794
; %bb.779:
	s_cmp_lt_i32 s40, 2
	s_mov_b64 s[38:39], -1
	s_cbranch_scc1 .LBB126_789
; %bb.780:
	s_cmp_lt_i32 s40, 3
	s_cbranch_scc1 .LBB126_786
; %bb.781:
	s_cmp_gt_i32 s40, 3
	s_cbranch_scc0 .LBB126_783
; %bb.782:
	s_mov_b32 s38, 0
	v_cndmask_b32_e64 v2, 0, 1, s[36:37]
	v_mov_b32_e32 v3, s38
	s_mov_b64 s[38:39], 0
	global_store_dwordx2 v[0:1], v[2:3], off
.LBB126_783:
	s_andn2_b64 vcc, exec, s[38:39]
	s_cbranch_vccnz .LBB126_785
; %bb.784:
	v_cndmask_b32_e64 v2, 0, 1, s[36:37]
	global_store_dword v[0:1], v2, off
.LBB126_785:
	s_mov_b64 s[38:39], 0
.LBB126_786:
	s_andn2_b64 vcc, exec, s[38:39]
	s_cbranch_vccnz .LBB126_788
; %bb.787:
	v_cndmask_b32_e64 v2, 0, 1, s[36:37]
	global_store_short v[0:1], v2, off
.LBB126_788:
	s_mov_b64 s[38:39], 0
.LBB126_789:
	s_andn2_b64 vcc, exec, s[38:39]
	s_cbranch_vccnz .LBB126_794
; %bb.790:
	s_mov_b64 s[38:39], -1
	s_cmp_gt_i32 s40, 0
	v_cndmask_b32_e64 v2, 0, 1, s[36:37]
	s_cbranch_scc0 .LBB126_792
; %bb.791:
	s_mov_b64 s[38:39], 0
	global_store_byte v[0:1], v2, off
.LBB126_792:
	s_andn2_b64 vcc, exec, s[38:39]
	s_cbranch_vccnz .LBB126_794
; %bb.793:
	global_store_byte v[0:1], v2, off
.LBB126_794:
	s_mov_b64 s[38:39], -1
.LBB126_795:
	s_andn2_b64 vcc, exec, s[38:39]
	s_cbranch_vccnz .LBB126_797
; %bb.796:
	v_add_u32_e32 v6, 0x80, v6
	s_mov_b64 s[38:39], -1
	s_branch .LBB126_798
.LBB126_797:
	s_mov_b64 s[38:39], 0
                                        ; implicit-def: $vgpr6
.LBB126_798:
	s_andn2_b64 s[36:37], s[26:27], exec
	s_and_b64 s[0:1], s[0:1], exec
	s_or_b64 s[36:37], s[36:37], s[0:1]
	s_andn2_b64 s[0:1], s[24:25], exec
	s_and_b64 s[34:35], s[34:35], exec
	s_or_b64 s[0:1], s[0:1], s[34:35]
	s_orn2_b64 s[40:41], s[38:39], exec
.LBB126_799:
	s_or_b64 exec, exec, s[30:31]
	s_mov_b64 s[38:39], 0
	s_mov_b64 s[34:35], 0
	;; [unrolled: 1-line block ×3, first 2 shown]
                                        ; implicit-def: $vgpr4_vgpr5
                                        ; implicit-def: $vgpr2_vgpr3
	s_and_saveexec_b64 s[30:31], s[40:41]
	s_cbranch_execz .LBB126_887
; %bb.800:
	v_cmp_gt_i32_e32 vcc, s44, v6
	s_mov_b64 s[40:41], 0
	s_mov_b64 s[44:45], s[0:1]
	;; [unrolled: 1-line block ×3, first 2 shown]
                                        ; implicit-def: $vgpr4_vgpr5
                                        ; implicit-def: $vgpr2_vgpr3
	s_and_saveexec_b64 s[34:35], vcc
	s_cbranch_execz .LBB126_886
; %bb.801:
	s_waitcnt vmcnt(0)
	v_mul_lo_u32 v0, v6, s3
	v_mov_b32_e32 v1, s11
	s_and_b32 s50, 0xffff, s49
	s_cmp_lt_i32 s50, 11
	v_ashrrev_i32_e32 v2, 31, v0
	v_add_co_u32_e32 v4, vcc, s10, v0
	v_addc_co_u32_e32 v5, vcc, v1, v2, vcc
	s_cbranch_scc1 .LBB126_808
; %bb.802:
	s_cmp_gt_i32 s50, 25
	s_cbranch_scc0 .LBB126_809
; %bb.803:
	s_cmp_gt_i32 s50, 28
	s_cbranch_scc0 .LBB126_810
	;; [unrolled: 3-line block ×4, first 2 shown]
; %bb.806:
	s_cmp_eq_u32 s50, 46
	s_mov_b64 s[44:45], 0
	s_cbranch_scc0 .LBB126_817
; %bb.807:
	global_load_dword v0, v[4:5], off
	s_mov_b64 s[42:43], -1
	s_waitcnt vmcnt(0)
	v_and_b32_e32 v2, 0xffff0000, v0
	v_lshlrev_b32_e32 v0, 16, v0
	v_cvt_f64_f32_e32 v[0:1], v0
	v_cvt_f64_f32_e32 v[2:3], v2
	s_branch .LBB126_819
.LBB126_808:
	s_mov_b64 s[44:45], -1
                                        ; implicit-def: $vgpr2_vgpr3
	s_mov_b64 s[38:39], s[0:1]
	s_branch .LBB126_885
.LBB126_809:
	s_mov_b64 s[44:45], -1
	s_mov_b64 s[38:39], s[0:1]
                                        ; implicit-def: $vgpr2_vgpr3
	s_branch .LBB126_852
.LBB126_810:
	s_mov_b64 s[44:45], -1
	s_mov_b64 s[38:39], s[0:1]
                                        ; implicit-def: $vgpr2_vgpr3
	s_branch .LBB126_831
.LBB126_811:
	s_mov_b64 s[44:45], -1
	s_mov_b64 s[38:39], s[0:1]
                                        ; implicit-def: $vgpr2_vgpr3
	s_branch .LBB126_825
.LBB126_812:
	s_andn2_saveexec_b64 s[42:43], s[42:43]
	s_cbranch_execz .LBB126_708
.LBB126_813:
	v_add_f32_e32 v2, 0x46000000, v3
	v_and_b32_e32 v2, 0xff, v2
	v_cmp_ne_u32_e32 vcc, 0, v2
	s_andn2_b64 s[40:41], s[40:41], exec
	s_and_b64 s[50:51], vcc, exec
	s_or_b64 s[40:41], s[40:41], s[50:51]
	s_or_b64 exec, exec, s[42:43]
	v_mov_b32_e32 v4, 0
	s_and_saveexec_b64 s[42:43], s[40:41]
	s_cbranch_execnz .LBB126_709
	s_branch .LBB126_710
.LBB126_814:
	s_mov_b64 s[44:45], -1
	s_mov_b64 s[38:39], s[0:1]
	s_branch .LBB126_818
.LBB126_815:
	s_andn2_saveexec_b64 s[42:43], s[42:43]
	s_cbranch_execz .LBB126_721
.LBB126_816:
	v_add_f32_e32 v2, 0x42800000, v3
	v_and_b32_e32 v2, 0xff, v2
	v_cmp_ne_u32_e32 vcc, 0, v2
	s_andn2_b64 s[40:41], s[40:41], exec
	s_and_b64 s[50:51], vcc, exec
	s_or_b64 s[40:41], s[40:41], s[50:51]
	s_or_b64 exec, exec, s[42:43]
	v_mov_b32_e32 v4, 0
	s_and_saveexec_b64 s[42:43], s[40:41]
	s_cbranch_execnz .LBB126_722
	s_branch .LBB126_723
.LBB126_817:
	s_mov_b64 s[38:39], -1
.LBB126_818:
                                        ; implicit-def: $vgpr2_vgpr3
.LBB126_819:
	s_and_b64 vcc, exec, s[44:45]
	s_cbranch_vccz .LBB126_824
; %bb.820:
	s_cmp_eq_u32 s50, 44
	s_cbranch_scc0 .LBB126_822
; %bb.821:
	global_load_ubyte v2, v[4:5], off
	s_movk_i32 s42, 0xff
	v_bfrev_b32_e32 v3, 4
	v_mov_b32_e32 v7, 0x7ff80000
	v_bfrev_b32_e32 v8, 28
	s_mov_b64 s[38:39], 0
	s_waitcnt vmcnt(0)
	v_lshlrev_b32_e32 v0, 23, v2
	v_cvt_f64_f32_e32 v[0:1], v0
	v_cmp_ne_u32_e32 vcc, s42, v2
	s_mov_b64 s[42:43], -1
	v_cndmask_b32_e32 v0, v3, v0, vcc
	v_cndmask_b32_e32 v1, v7, v1, vcc
	v_cmp_ne_u32_e32 vcc, 0, v2
	v_cndmask_b32_e32 v1, v8, v1, vcc
	v_cndmask_b32_e32 v0, 0, v0, vcc
	s_branch .LBB126_823
.LBB126_822:
	s_mov_b64 s[38:39], -1
                                        ; implicit-def: $vgpr0_vgpr1
.LBB126_823:
	v_mov_b32_e32 v2, 0
	v_mov_b32_e32 v3, 0
.LBB126_824:
	s_mov_b64 s[44:45], 0
.LBB126_825:
	s_and_b64 vcc, exec, s[44:45]
	s_cbranch_vccz .LBB126_830
; %bb.826:
	s_cmp_eq_u32 s50, 29
	s_cbranch_scc0 .LBB126_828
; %bb.827:
	global_load_dwordx2 v[0:1], v[4:5], off
	s_mov_b64 s[38:39], 0
	s_mov_b64 s[42:43], -1
	s_waitcnt vmcnt(0)
	v_cvt_f64_u32_e32 v[1:2], v1
	v_cvt_f64_u32_e32 v[7:8], v0
	v_ldexp_f64 v[1:2], v[1:2], 32
	v_add_f64 v[0:1], v[1:2], v[7:8]
	s_branch .LBB126_829
.LBB126_828:
	s_mov_b64 s[38:39], -1
                                        ; implicit-def: $vgpr0_vgpr1
.LBB126_829:
	v_mov_b32_e32 v2, 0
	v_mov_b32_e32 v3, 0
.LBB126_830:
	s_mov_b64 s[44:45], 0
.LBB126_831:
	s_and_b64 vcc, exec, s[44:45]
	s_cbranch_vccz .LBB126_851
; %bb.832:
	s_cmp_lt_i32 s50, 27
	s_cbranch_scc1 .LBB126_835
; %bb.833:
	s_cmp_gt_i32 s50, 27
	s_cbranch_scc0 .LBB126_836
; %bb.834:
	global_load_dword v0, v[4:5], off
	s_mov_b64 s[42:43], 0
	s_waitcnt vmcnt(0)
	v_cvt_f64_u32_e32 v[0:1], v0
	s_branch .LBB126_837
.LBB126_835:
	s_mov_b64 s[42:43], -1
                                        ; implicit-def: $vgpr0_vgpr1
	s_branch .LBB126_840
.LBB126_836:
	s_mov_b64 s[42:43], -1
                                        ; implicit-def: $vgpr0_vgpr1
.LBB126_837:
	s_andn2_b64 vcc, exec, s[42:43]
	s_cbranch_vccnz .LBB126_839
; %bb.838:
	global_load_ushort v0, v[4:5], off
	s_waitcnt vmcnt(0)
	v_cvt_f64_u32_e32 v[0:1], v0
.LBB126_839:
	s_mov_b64 s[42:43], 0
.LBB126_840:
	s_andn2_b64 vcc, exec, s[42:43]
	s_cbranch_vccnz .LBB126_850
; %bb.841:
	global_load_ubyte v2, v[4:5], off
	s_movk_i32 s42, 0x7f
	s_waitcnt vmcnt(0)
	v_cmp_lt_i16_e32 vcc, s42, v2
	s_mov_b64 s[42:43], 0
	s_and_saveexec_b64 s[44:45], vcc
	s_xor_b64 s[44:45], exec, s[44:45]
	s_cbranch_execz .LBB126_845
; %bb.842:
	s_movk_i32 s42, 0x80
	v_cmp_eq_u16_e32 vcc, s42, v2
	s_mov_b64 s[42:43], -1
	s_and_saveexec_b64 s[46:47], vcc
; %bb.843:
	s_xor_b64 s[42:43], exec, -1
; %bb.844:
	s_or_b64 exec, exec, s[46:47]
	s_and_b64 s[42:43], s[42:43], exec
.LBB126_845:
	s_or_saveexec_b64 s[44:45], s[44:45]
	v_bfrev_b32_e32 v0, 4
	v_mov_b32_e32 v1, 0x7ff80000
	s_xor_b64 exec, exec, s[44:45]
; %bb.846:
	v_cmp_ne_u16_e32 vcc, 0, v2
	v_mov_b32_e32 v0, 0
	s_andn2_b64 s[42:43], s[42:43], exec
	s_and_b64 s[46:47], vcc, exec
	v_mov_b32_e32 v1, 0
	s_or_b64 s[42:43], s[42:43], s[46:47]
; %bb.847:
	s_or_b64 exec, exec, s[44:45]
	s_and_saveexec_b64 s[44:45], s[42:43]
	s_cbranch_execz .LBB126_849
; %bb.848:
	v_and_b32_e32 v1, 0xffff, v2
	v_lshlrev_b32_e32 v0, 24, v2
	v_and_b32_e32 v2, 7, v1
	v_ffbh_u32_e32 v7, v2
	v_min_u32_e32 v7, 32, v7
	v_subrev_u32_e32 v8, 28, v7
	v_bfe_u32 v3, v1, 3, 4
	v_lshlrev_b32_e32 v1, v8, v1
	v_sub_u32_e32 v7, 29, v7
	v_and_b32_e32 v1, 7, v1
	v_cmp_eq_u32_e32 vcc, 0, v3
	v_cndmask_b32_e32 v3, v3, v7, vcc
	v_cndmask_b32_e32 v1, v2, v1, vcc
	v_mov_b32_e32 v2, 0x3b800000
	v_lshlrev_b32_e32 v1, 20, v1
	v_and_b32_e32 v0, 0x80000000, v0
	v_lshl_add_u32 v2, v3, 23, v2
	v_or3_b32 v0, v0, v2, v1
	v_cvt_f64_f32_e32 v[0:1], v0
.LBB126_849:
	s_or_b64 exec, exec, s[44:45]
.LBB126_850:
	v_mov_b32_e32 v2, 0
	v_mov_b32_e32 v3, 0
	s_mov_b64 s[42:43], -1
.LBB126_851:
	s_mov_b64 s[44:45], 0
.LBB126_852:
	s_and_b64 vcc, exec, s[44:45]
	s_cbranch_vccz .LBB126_884
; %bb.853:
	s_cmp_gt_i32 s50, 22
	s_cbranch_scc0 .LBB126_865
; %bb.854:
	s_cmp_lt_i32 s50, 24
	s_cbranch_scc1 .LBB126_866
; %bb.855:
	s_cmp_gt_i32 s50, 24
	s_cbranch_scc0 .LBB126_867
; %bb.856:
	global_load_ubyte v2, v[4:5], off
	s_movk_i32 s40, 0x7f
	s_waitcnt vmcnt(0)
	v_cmp_lt_i16_e32 vcc, s40, v2
	s_mov_b64 s[40:41], 0
	s_and_saveexec_b64 s[42:43], vcc
	s_xor_b64 s[42:43], exec, s[42:43]
	s_cbranch_execz .LBB126_860
; %bb.857:
	s_movk_i32 s40, 0x80
	v_cmp_eq_u16_e32 vcc, s40, v2
	s_mov_b64 s[40:41], -1
	s_and_saveexec_b64 s[44:45], vcc
; %bb.858:
	s_xor_b64 s[40:41], exec, -1
; %bb.859:
	s_or_b64 exec, exec, s[44:45]
	s_and_b64 s[40:41], s[40:41], exec
.LBB126_860:
	s_or_saveexec_b64 s[42:43], s[42:43]
	v_bfrev_b32_e32 v0, 4
	v_mov_b32_e32 v1, 0x7ff80000
	s_xor_b64 exec, exec, s[42:43]
; %bb.861:
	v_cmp_ne_u16_e32 vcc, 0, v2
	v_mov_b32_e32 v0, 0
	s_andn2_b64 s[40:41], s[40:41], exec
	s_and_b64 s[44:45], vcc, exec
	v_mov_b32_e32 v1, 0
	s_or_b64 s[40:41], s[40:41], s[44:45]
; %bb.862:
	s_or_b64 exec, exec, s[42:43]
	s_and_saveexec_b64 s[42:43], s[40:41]
	s_cbranch_execz .LBB126_864
; %bb.863:
	v_and_b32_e32 v1, 0xffff, v2
	v_lshlrev_b32_e32 v0, 24, v2
	v_and_b32_e32 v2, 3, v1
	v_ffbh_u32_e32 v7, v2
	v_min_u32_e32 v7, 32, v7
	v_subrev_u32_e32 v8, 29, v7
	v_bfe_u32 v3, v1, 2, 5
	v_lshlrev_b32_e32 v1, v8, v1
	v_sub_u32_e32 v7, 30, v7
	v_and_b32_e32 v1, 3, v1
	v_cmp_eq_u32_e32 vcc, 0, v3
	v_cndmask_b32_e32 v3, v3, v7, vcc
	v_cndmask_b32_e32 v1, v2, v1, vcc
	v_mov_b32_e32 v2, 0x37800000
	v_lshlrev_b32_e32 v1, 21, v1
	v_and_b32_e32 v0, 0x80000000, v0
	v_lshl_add_u32 v2, v3, 23, v2
	v_or3_b32 v0, v0, v2, v1
	v_cvt_f64_f32_e32 v[0:1], v0
.LBB126_864:
	s_or_b64 exec, exec, s[42:43]
	s_mov_b64 s[40:41], 0
	s_branch .LBB126_868
.LBB126_865:
	s_mov_b64 s[40:41], -1
                                        ; implicit-def: $vgpr0_vgpr1
	s_branch .LBB126_874
.LBB126_866:
	s_mov_b64 s[40:41], -1
                                        ; implicit-def: $vgpr0_vgpr1
	s_branch .LBB126_871
.LBB126_867:
	s_mov_b64 s[40:41], -1
                                        ; implicit-def: $vgpr0_vgpr1
.LBB126_868:
	s_and_b64 vcc, exec, s[40:41]
	s_cbranch_vccz .LBB126_870
; %bb.869:
	global_load_ubyte v0, v[4:5], off
	s_mov_b32 s40, 0x7f800000
	s_waitcnt vmcnt(0)
	v_lshlrev_b32_e32 v0, 24, v0
	v_and_b32_e32 v1, 0x7f000000, v0
	v_ffbh_u32_e32 v2, v1
	v_min_u32_e32 v2, 32, v2
	v_sub_u32_e64 v2, v2, 4 clamp
	v_lshlrev_b32_e32 v7, v2, v1
	v_lshlrev_b32_e32 v2, 23, v2
	v_lshrrev_b32_e32 v7, 4, v7
	v_add_u32_e32 v3, 0x1000000, v1
	v_sub_u32_e32 v2, v7, v2
	v_ashrrev_i32_e32 v3, 8, v3
	v_add_u32_e32 v2, 0x3c000000, v2
	v_and_or_b32 v2, v3, s40, v2
	v_cmp_ne_u32_e32 vcc, 0, v1
	v_cndmask_b32_e32 v1, 0, v2, vcc
	s_brev_b32 s40, 1
	v_and_or_b32 v0, v0, s40, v1
	v_cvt_f64_f32_e32 v[0:1], v0
.LBB126_870:
	s_mov_b64 s[40:41], 0
.LBB126_871:
	s_andn2_b64 vcc, exec, s[40:41]
	s_cbranch_vccnz .LBB126_873
; %bb.872:
	global_load_ubyte v0, v[4:5], off
	s_movk_i32 s40, 0x7f00
	s_brev_b32 s41, 16
	s_waitcnt vmcnt(0)
	v_lshlrev_b16_e32 v1, 8, v0
	v_lshlrev_b32_e32 v0, 25, v0
	v_lshrrev_b32_e32 v2, 4, v0
	v_and_or_b32 v3, v1, s40, 0.5
	v_or_b32_e32 v2, 0x70000000, v2
	v_add_f32_e32 v3, -0.5, v3
	v_mul_f32_e32 v2, 0x7800000, v2
	v_cmp_gt_u32_e32 vcc, s41, v0
	v_bfe_i32 v1, v1, 0, 16
	v_cndmask_b32_e32 v0, v2, v3, vcc
	s_brev_b32 s40, 1
	v_and_or_b32 v0, v1, s40, v0
	v_cvt_f64_f32_e32 v[0:1], v0
.LBB126_873:
	s_mov_b64 s[40:41], 0
	s_mov_b64 s[42:43], -1
.LBB126_874:
	s_andn2_b64 vcc, exec, s[40:41]
	s_mov_b64 s[40:41], 0
	s_cbranch_vccnz .LBB126_883
; %bb.875:
	s_cmp_gt_i32 s50, 14
	s_cbranch_scc0 .LBB126_878
; %bb.876:
	s_cmp_eq_u32 s50, 15
	s_cbranch_scc0 .LBB126_879
; %bb.877:
	global_load_ushort v0, v[4:5], off
	s_mov_b64 s[38:39], 0
	s_mov_b64 s[42:43], -1
	s_waitcnt vmcnt(0)
	v_lshlrev_b32_e32 v0, 16, v0
	v_cvt_f64_f32_e32 v[0:1], v0
	s_branch .LBB126_880
.LBB126_878:
	s_mov_b64 s[44:45], -1
                                        ; implicit-def: $vgpr0_vgpr1
	s_branch .LBB126_881
.LBB126_879:
	s_mov_b64 s[38:39], -1
                                        ; implicit-def: $vgpr0_vgpr1
.LBB126_880:
	s_mov_b64 s[44:45], 0
.LBB126_881:
	s_and_b64 vcc, exec, s[44:45]
	s_cbranch_vccz .LBB126_883
; %bb.882:
	s_cmp_lg_u32 s50, 11
	s_cselect_b64 s[44:45], -1, 0
	s_andn2_b64 s[38:39], s[38:39], exec
	s_and_b64 s[44:45], s[44:45], exec
	s_mov_b64 s[40:41], -1
	s_or_b64 s[38:39], s[38:39], s[44:45]
.LBB126_883:
	v_mov_b32_e32 v2, 0
	v_mov_b32_e32 v3, 0
.LBB126_884:
	s_mov_b64 s[44:45], 0
.LBB126_885:
	s_and_b64 s[46:47], s[44:45], exec
	s_andn2_b64 s[44:45], s[0:1], exec
	s_and_b64 s[38:39], s[38:39], exec
	s_and_b64 s[42:43], s[42:43], exec
	;; [unrolled: 1-line block ×3, first 2 shown]
	s_or_b64 s[44:45], s[44:45], s[38:39]
.LBB126_886:
	s_or_b64 exec, exec, s[34:35]
	s_and_b64 s[38:39], s[40:41], exec
	s_andn2_b64 s[0:1], s[0:1], exec
	s_and_b64 s[40:41], s[44:45], exec
	s_and_b64 s[42:43], s[42:43], exec
	s_and_b64 s[34:35], s[46:47], exec
	s_or_b64 s[0:1], s[0:1], s[40:41]
.LBB126_887:
	s_or_b64 exec, exec, s[30:31]
	s_andn2_b64 s[26:27], s[26:27], exec
	s_and_b64 s[30:31], s[36:37], exec
	s_andn2_b64 s[24:25], s[24:25], exec
	s_and_b64 s[0:1], s[0:1], exec
	s_or_b64 s[26:27], s[26:27], s[30:31]
	s_and_b64 s[36:37], s[42:43], exec
	s_and_b64 s[34:35], s[34:35], exec
	;; [unrolled: 1-line block ×3, first 2 shown]
	s_or_b64 s[24:25], s[24:25], s[0:1]
.LBB126_888:
	s_or_b64 exec, exec, s[28:29]
	s_andn2_b64 s[0:1], s[18:19], exec
	s_and_b64 s[18:19], s[26:27], exec
	s_andn2_b64 s[20:21], s[20:21], exec
	s_and_b64 s[24:25], s[24:25], exec
	s_or_b64 s[18:19], s[0:1], s[18:19]
	s_and_b64 s[0:1], s[36:37], exec
	s_and_b64 s[28:29], s[34:35], exec
	;; [unrolled: 1-line block ×3, first 2 shown]
	s_or_b64 s[20:21], s[20:21], s[24:25]
	s_or_b64 exec, exec, s[22:23]
	s_mov_b64 s[22:23], 0
	s_and_saveexec_b64 s[24:25], s[20:21]
	s_cbranch_execz .LBB126_270
.LBB126_889:
	s_mov_b64 s[22:23], exec
	s_andn2_b64 s[26:27], s[26:27], exec
	s_trap 2
	s_or_b64 exec, exec, s[24:25]
	s_and_saveexec_b64 s[20:21], s[26:27]
	s_xor_b64 s[20:21], exec, s[20:21]
	s_cbranch_execnz .LBB126_271
.LBB126_890:
	s_or_b64 exec, exec, s[20:21]
	s_and_saveexec_b64 s[20:21], s[28:29]
	s_cbranch_execz .LBB126_938
.LBB126_891:
	s_sext_i32_i16 s24, s49
	s_cmp_lt_i32 s24, 5
	s_cbranch_scc1 .LBB126_896
; %bb.892:
	s_cmp_lt_i32 s24, 8
	s_cbranch_scc1 .LBB126_897
; %bb.893:
	;; [unrolled: 3-line block ×3, first 2 shown]
	s_cmp_gt_i32 s24, 9
	s_cbranch_scc0 .LBB126_899
; %bb.895:
	global_load_dwordx4 v[0:3], v[4:5], off
	s_mov_b64 s[24:25], 0
	s_branch .LBB126_900
.LBB126_896:
                                        ; implicit-def: $vgpr2_vgpr3
	s_branch .LBB126_918
.LBB126_897:
                                        ; implicit-def: $vgpr2_vgpr3
	s_branch .LBB126_906
.LBB126_898:
	s_mov_b64 s[24:25], -1
                                        ; implicit-def: $vgpr2_vgpr3
	s_branch .LBB126_903
.LBB126_899:
	s_mov_b64 s[24:25], -1
                                        ; implicit-def: $vgpr2_vgpr3
.LBB126_900:
	s_andn2_b64 vcc, exec, s[24:25]
	s_cbranch_vccnz .LBB126_902
; %bb.901:
	global_load_dwordx2 v[1:2], v[4:5], off
	s_waitcnt vmcnt(0)
	v_cvt_f64_f32_e32 v[0:1], v1
	v_cvt_f64_f32_e32 v[2:3], v2
.LBB126_902:
	s_mov_b64 s[24:25], 0
.LBB126_903:
	s_andn2_b64 vcc, exec, s[24:25]
	s_cbranch_vccnz .LBB126_905
; %bb.904:
	global_load_dword v0, v[4:5], off
	s_waitcnt vmcnt(0)
	v_cvt_f32_f16_e32 v1, v0
	v_cvt_f32_f16_sdwa v2, v0 dst_sel:DWORD dst_unused:UNUSED_PAD src0_sel:WORD_1
	v_cvt_f64_f32_e32 v[0:1], v1
	v_cvt_f64_f32_e32 v[2:3], v2
.LBB126_905:
	s_cbranch_execnz .LBB126_917
.LBB126_906:
	s_sext_i32_i16 s24, s49
	s_cmp_lt_i32 s24, 6
	s_cbranch_scc1 .LBB126_909
; %bb.907:
	s_cmp_gt_i32 s24, 6
	s_cbranch_scc0 .LBB126_910
; %bb.908:
	global_load_dwordx2 v[0:1], v[4:5], off
	s_mov_b64 s[24:25], 0
	s_branch .LBB126_911
.LBB126_909:
	s_mov_b64 s[24:25], -1
                                        ; implicit-def: $vgpr0_vgpr1
	s_branch .LBB126_914
.LBB126_910:
	s_mov_b64 s[24:25], -1
                                        ; implicit-def: $vgpr0_vgpr1
.LBB126_911:
	s_andn2_b64 vcc, exec, s[24:25]
	s_cbranch_vccnz .LBB126_913
; %bb.912:
	global_load_dword v0, v[4:5], off
	s_waitcnt vmcnt(0)
	v_cvt_f64_f32_e32 v[0:1], v0
.LBB126_913:
	s_mov_b64 s[24:25], 0
.LBB126_914:
	s_andn2_b64 vcc, exec, s[24:25]
	s_cbranch_vccnz .LBB126_916
; %bb.915:
	global_load_ushort v0, v[4:5], off
	s_waitcnt vmcnt(0)
	v_cvt_f32_f16_e32 v0, v0
	v_cvt_f64_f32_e32 v[0:1], v0
.LBB126_916:
	s_waitcnt vmcnt(0)
	v_mov_b32_e32 v2, 0
	v_mov_b32_e32 v3, 0
.LBB126_917:
	s_cbranch_execnz .LBB126_937
.LBB126_918:
	s_sext_i32_i16 s24, s49
	s_cmp_lt_i32 s24, 2
	s_cbranch_scc1 .LBB126_922
; %bb.919:
	s_cmp_lt_i32 s24, 3
	s_cbranch_scc1 .LBB126_923
; %bb.920:
	s_cmp_gt_i32 s24, 3
	s_cbranch_scc0 .LBB126_924
; %bb.921:
	global_load_dwordx2 v[0:1], v[4:5], off
	s_mov_b64 s[24:25], 0
	s_waitcnt vmcnt(0)
	v_cvt_f64_i32_e32 v[1:2], v1
	v_cvt_f64_u32_e32 v[7:8], v0
	v_ldexp_f64 v[1:2], v[1:2], 32
	v_add_f64 v[0:1], v[1:2], v[7:8]
	s_branch .LBB126_925
.LBB126_922:
                                        ; implicit-def: $vgpr0_vgpr1
	s_branch .LBB126_931
.LBB126_923:
	s_mov_b64 s[24:25], -1
                                        ; implicit-def: $vgpr0_vgpr1
	s_branch .LBB126_928
.LBB126_924:
	s_mov_b64 s[24:25], -1
                                        ; implicit-def: $vgpr0_vgpr1
.LBB126_925:
	s_andn2_b64 vcc, exec, s[24:25]
	s_cbranch_vccnz .LBB126_927
; %bb.926:
	global_load_dword v0, v[4:5], off
	s_waitcnt vmcnt(0)
	v_cvt_f64_i32_e32 v[0:1], v0
.LBB126_927:
	s_mov_b64 s[24:25], 0
.LBB126_928:
	s_andn2_b64 vcc, exec, s[24:25]
	s_cbranch_vccnz .LBB126_930
; %bb.929:
	global_load_sshort v0, v[4:5], off
	s_waitcnt vmcnt(0)
	v_cvt_f64_i32_e32 v[0:1], v0
.LBB126_930:
	s_cbranch_execnz .LBB126_936
.LBB126_931:
	s_sext_i32_i16 s24, s49
	s_cmp_gt_i32 s24, 0
	s_cbranch_scc0 .LBB126_933
; %bb.932:
	global_load_sbyte v0, v[4:5], off
	s_mov_b64 s[24:25], 0
	s_waitcnt vmcnt(0)
	v_cvt_f64_i32_e32 v[0:1], v0
	s_branch .LBB126_934
.LBB126_933:
	s_mov_b64 s[24:25], -1
                                        ; implicit-def: $vgpr0_vgpr1
.LBB126_934:
	s_andn2_b64 vcc, exec, s[24:25]
	s_cbranch_vccnz .LBB126_936
; %bb.935:
	global_load_ubyte v0, v[4:5], off
	s_waitcnt vmcnt(0)
	v_cvt_f64_u32_e32 v[0:1], v0
.LBB126_936:
	s_waitcnt vmcnt(0)
	v_mov_b32_e32 v2, 0
	v_mov_b32_e32 v3, 0
.LBB126_937:
	s_or_b64 s[0:1], s[0:1], exec
.LBB126_938:
	s_or_b64 exec, exec, s[20:21]
	s_mov_b64 s[28:29], 0
	s_mov_b64 s[26:27], 0
                                        ; implicit-def: $sgpr20_sgpr21
                                        ; implicit-def: $sgpr34
                                        ; implicit-def: $vgpr4_vgpr5
	s_and_saveexec_b64 s[24:25], s[0:1]
	s_cbranch_execz .LBB126_1016
; %bb.939:
	s_andn2_b64 vcc, exec, s[16:17]
	s_cbranch_vccnz .LBB126_1020
; %bb.940:
	s_waitcnt vmcnt(0)
	v_cmp_neq_f64_e32 vcc, s[12:13], v[0:1]
	v_cmp_neq_f64_e64 s[0:1], s[14:15], v[2:3]
	s_or_b64 s[20:21], vcc, s[0:1]
	s_cbranch_execnz .LBB126_942
.LBB126_941:
	s_waitcnt vmcnt(0)
	v_cmp_eq_f64_e32 vcc, s[12:13], v[0:1]
	v_cmp_eq_f64_e64 s[0:1], s[14:15], v[2:3]
	s_andn2_b64 s[16:17], s[20:21], exec
	s_and_b64 s[0:1], vcc, s[0:1]
	s_and_b64 s[0:1], s[0:1], exec
	s_or_b64 s[20:21], s[16:17], s[0:1]
.LBB126_942:
	s_waitcnt vmcnt(0)
	v_mul_lo_u32 v0, v6, s2
	v_mov_b32_e32 v1, s9
	s_and_b32 s34, s33, 0xff
	s_cmp_lt_i32 s34, 11
	v_ashrrev_i32_e32 v2, 31, v0
	v_add_co_u32_e32 v4, vcc, s8, v0
	v_addc_co_u32_e32 v5, vcc, v1, v2, vcc
	s_cbranch_scc1 .LBB126_1019
; %bb.943:
	s_and_b32 s35, 0xffff, s34
	s_mov_b64 s[26:27], -1
	s_cmp_gt_i32 s35, 25
	s_mov_b64 s[0:1], s[18:19]
	s_cbranch_scc0 .LBB126_976
; %bb.944:
	s_mov_b64 s[16:17], -1
	s_cmp_gt_i32 s35, 28
	s_mov_b64 s[0:1], s[18:19]
	s_cbranch_scc0 .LBB126_960
; %bb.945:
	s_cmp_gt_i32 s35, 43
	s_mov_b64 s[0:1], s[18:19]
	s_cbranch_scc0 .LBB126_956
; %bb.946:
	;; [unrolled: 4-line block ×3, first 2 shown]
	s_cmp_eq_u32 s35, 46
	s_mov_b64 s[0:1], -1
	s_cbranch_scc0 .LBB126_949
; %bb.948:
	v_cndmask_b32_e64 v0, 0, 1.0, s[20:21]
	v_bfe_u32 v1, v0, 16, 1
	s_movk_i32 s0, 0x7fff
	v_add3_u32 v0, v0, v1, s0
	v_lshrrev_b32_e32 v0, 16, v0
	global_store_dword v[4:5], v0, off
	s_mov_b64 s[0:1], 0
.LBB126_949:
	s_mov_b64 s[16:17], 0
.LBB126_950:
	s_and_b64 vcc, exec, s[16:17]
	s_cbranch_vccz .LBB126_955
; %bb.951:
	s_cmp_eq_u32 s35, 44
	s_mov_b64 s[0:1], -1
	s_cbranch_scc0 .LBB126_955
; %bb.952:
	v_cndmask_b32_e64 v1, 0, 1.0, s[20:21]
	v_lshrrev_b32_e32 v0, 23, v1
	s_movk_i32 s0, 0xff
	v_cmp_ne_u32_e32 vcc, s0, v0
	v_mov_b32_e32 v2, 0xff
	s_and_saveexec_b64 s[16:17], vcc
; %bb.953:
	s_mov_b32 s0, 0x3fffff
	v_and_b32_e32 v2, 0x400000, v1
	v_and_or_b32 v1, v1, s0, v0
	v_cmp_ne_u32_e32 vcc, 0, v2
	v_cmp_ne_u32_e64 s[0:1], 0, v1
	s_and_b64 s[0:1], vcc, s[0:1]
	v_cndmask_b32_e64 v1, 0, 1, s[0:1]
	v_add_u32_e32 v2, v0, v1
; %bb.954:
	s_or_b64 exec, exec, s[16:17]
	s_mov_b64 s[0:1], 0
	global_store_byte v[4:5], v2, off
.LBB126_955:
	s_mov_b64 s[16:17], 0
.LBB126_956:
	s_and_b64 vcc, exec, s[16:17]
	s_cbranch_vccz .LBB126_959
; %bb.957:
	s_cmp_eq_u32 s35, 29
	s_mov_b64 s[0:1], -1
	s_cbranch_scc0 .LBB126_959
; %bb.958:
	s_mov_b32 s0, 0
	v_cndmask_b32_e64 v0, 0, 1, s[20:21]
	v_mov_b32_e32 v1, s0
	global_store_dwordx2 v[4:5], v[0:1], off
	s_mov_b64 s[0:1], 0
.LBB126_959:
	s_mov_b64 s[16:17], 0
.LBB126_960:
	s_and_b64 vcc, exec, s[16:17]
	s_cbranch_vccz .LBB126_975
; %bb.961:
	s_cmp_lt_i32 s35, 27
	s_mov_b64 s[16:17], -1
	s_cbranch_scc1 .LBB126_967
; %bb.962:
	s_cmp_gt_i32 s35, 27
	v_cndmask_b32_e64 v0, 0, 1, s[20:21]
	s_cbranch_scc0 .LBB126_964
; %bb.963:
	s_mov_b64 s[16:17], 0
	global_store_dword v[4:5], v0, off
.LBB126_964:
	s_andn2_b64 vcc, exec, s[16:17]
	s_cbranch_vccnz .LBB126_966
; %bb.965:
	global_store_short v[4:5], v0, off
.LBB126_966:
	s_mov_b64 s[16:17], 0
.LBB126_967:
	s_andn2_b64 vcc, exec, s[16:17]
	s_cbranch_vccnz .LBB126_975
; %bb.968:
	v_cndmask_b32_e64 v1, 0, 1.0, s[20:21]
	s_mov_b32 s16, 0x43800000
	v_cmp_gt_u32_e32 vcc, s16, v1
	v_mov_b32_e32 v2, 0x80
	s_and_saveexec_b64 s[16:17], vcc
	s_cbranch_execz .LBB126_974
; %bb.969:
	s_mov_b32 s26, 0x3bffffff
	v_cmp_lt_u32_e32 vcc, s26, v1
	s_mov_b64 s[26:27], 0
                                        ; implicit-def: $vgpr0
	s_and_saveexec_b64 s[28:29], vcc
	s_xor_b64 s[28:29], exec, s[28:29]
	s_cbranch_execz .LBB126_1077
; %bb.970:
	v_bfe_u32 v0, v1, 20, 1
	s_mov_b32 s30, 0x487ffff
	v_add3_u32 v0, v1, v0, s30
	s_mov_b64 s[26:27], exec
	v_lshrrev_b32_e32 v0, 20, v0
                                        ; implicit-def: $vgpr1
	s_andn2_saveexec_b64 s[28:29], s[28:29]
	s_cbranch_execnz .LBB126_1078
.LBB126_971:
	s_or_b64 exec, exec, s[28:29]
	v_mov_b32_e32 v2, 0
	s_and_saveexec_b64 s[28:29], s[26:27]
.LBB126_972:
	v_mov_b32_e32 v2, v0
.LBB126_973:
	s_or_b64 exec, exec, s[28:29]
.LBB126_974:
	s_or_b64 exec, exec, s[16:17]
	global_store_byte v[4:5], v2, off
.LBB126_975:
	s_mov_b64 s[26:27], 0
.LBB126_976:
	s_mov_b64 s[16:17], 0
	s_and_b64 vcc, exec, s[26:27]
	s_cbranch_vccz .LBB126_1021
; %bb.977:
	s_cmp_gt_i32 s35, 22
	s_mov_b64 s[26:27], -1
	s_cbranch_scc0 .LBB126_1009
; %bb.978:
	s_cmp_lt_i32 s35, 24
	s_cbranch_scc1 .LBB126_998
; %bb.979:
	s_cmp_gt_i32 s35, 24
	s_cbranch_scc0 .LBB126_987
; %bb.980:
	v_cndmask_b32_e64 v1, 0, 1.0, s[20:21]
	s_mov_b32 s26, 0x47800000
	v_cmp_gt_u32_e32 vcc, s26, v1
	v_mov_b32_e32 v2, 0x80
	s_and_saveexec_b64 s[26:27], vcc
	s_cbranch_execz .LBB126_986
; %bb.981:
	s_mov_b32 s28, 0x37ffffff
	v_cmp_lt_u32_e32 vcc, s28, v1
	s_mov_b64 s[28:29], 0
                                        ; implicit-def: $vgpr0
	s_and_saveexec_b64 s[30:31], vcc
	s_xor_b64 s[30:31], exec, s[30:31]
	s_cbranch_execz .LBB126_1211
; %bb.982:
	v_bfe_u32 v0, v1, 21, 1
	s_mov_b32 s36, 0x88fffff
	v_add3_u32 v0, v1, v0, s36
	s_mov_b64 s[28:29], exec
	v_lshrrev_b32_e32 v0, 21, v0
                                        ; implicit-def: $vgpr1
	s_andn2_saveexec_b64 s[30:31], s[30:31]
	s_cbranch_execnz .LBB126_1212
.LBB126_983:
	s_or_b64 exec, exec, s[30:31]
	v_mov_b32_e32 v2, 0
	s_and_saveexec_b64 s[30:31], s[28:29]
.LBB126_984:
	v_mov_b32_e32 v2, v0
.LBB126_985:
	s_or_b64 exec, exec, s[30:31]
.LBB126_986:
	s_or_b64 exec, exec, s[26:27]
	s_mov_b64 s[26:27], 0
	global_store_byte v[4:5], v2, off
.LBB126_987:
	s_and_b64 vcc, exec, s[26:27]
	s_cbranch_vccz .LBB126_997
; %bb.988:
	v_cndmask_b32_e64 v0, 0, 1.0, s[20:21]
	s_mov_b32 s26, 0x43f00000
	v_cmp_gt_u32_e32 vcc, s26, v0
                                        ; implicit-def: $vgpr1
	s_and_saveexec_b64 s[26:27], vcc
	s_xor_b64 s[26:27], exec, s[26:27]
	s_cbranch_execz .LBB126_994
; %bb.989:
	s_mov_b32 s28, 0x3c7fffff
	v_cmp_lt_u32_e32 vcc, s28, v0
                                        ; implicit-def: $vgpr1
	s_and_saveexec_b64 s[28:29], vcc
	s_xor_b64 s[28:29], exec, s[28:29]
; %bb.990:
	v_bfe_u32 v1, v0, 20, 1
	s_mov_b32 s30, 0x407ffff
	v_add3_u32 v0, v0, v1, s30
	v_lshrrev_b32_e32 v1, 20, v0
	v_and_b32_e32 v0, 0xff00000, v0
	s_mov_b32 s30, 0x7f00000
	v_mov_b32_e32 v2, 0x7e
	v_cmp_ne_u32_e32 vcc, s30, v0
	v_cndmask_b32_e32 v1, v2, v1, vcc
                                        ; implicit-def: $vgpr0
; %bb.991:
	s_andn2_saveexec_b64 s[28:29], s[28:29]
; %bb.992:
	v_add_f32_e32 v1, 0x46800000, v0
; %bb.993:
	s_or_b64 exec, exec, s[28:29]
                                        ; implicit-def: $vgpr0
.LBB126_994:
	s_andn2_saveexec_b64 s[26:27], s[26:27]
; %bb.995:
	s_mov_b32 s28, 0x7f800000
	v_mov_b32_e32 v1, 0x7e
	v_mov_b32_e32 v2, 0x7f
	v_cmp_lt_u32_e32 vcc, s28, v0
	v_cndmask_b32_e32 v1, v1, v2, vcc
; %bb.996:
	s_or_b64 exec, exec, s[26:27]
	global_store_byte v[4:5], v1, off
.LBB126_997:
	s_mov_b64 s[26:27], 0
.LBB126_998:
	s_andn2_b64 vcc, exec, s[26:27]
	s_cbranch_vccnz .LBB126_1008
; %bb.999:
	v_cndmask_b32_e64 v0, 0, 1.0, s[20:21]
	s_mov_b32 s26, 0x47800000
	v_cmp_gt_u32_e32 vcc, s26, v0
                                        ; implicit-def: $vgpr1
	s_and_saveexec_b64 s[26:27], vcc
	s_xor_b64 s[26:27], exec, s[26:27]
	s_cbranch_execz .LBB126_1005
; %bb.1000:
	s_mov_b32 s28, 0x387fffff
	v_cmp_lt_u32_e32 vcc, s28, v0
                                        ; implicit-def: $vgpr1
	s_and_saveexec_b64 s[28:29], vcc
	s_xor_b64 s[28:29], exec, s[28:29]
; %bb.1001:
	v_bfe_u32 v1, v0, 21, 1
	s_mov_b32 s30, 0x80fffff
	v_add3_u32 v0, v0, v1, s30
	v_lshrrev_b32_e32 v1, 21, v0
                                        ; implicit-def: $vgpr0
; %bb.1002:
	s_andn2_saveexec_b64 s[28:29], s[28:29]
; %bb.1003:
	v_add_f32_e32 v1, 0x43000000, v0
; %bb.1004:
	s_or_b64 exec, exec, s[28:29]
                                        ; implicit-def: $vgpr0
.LBB126_1005:
	s_andn2_saveexec_b64 s[26:27], s[26:27]
; %bb.1006:
	s_mov_b32 s28, 0x7f800000
	v_mov_b32_e32 v1, 0x7c
	v_mov_b32_e32 v2, 0x7f
	v_cmp_lt_u32_e32 vcc, s28, v0
	v_cndmask_b32_e32 v1, v1, v2, vcc
; %bb.1007:
	s_or_b64 exec, exec, s[26:27]
	global_store_byte v[4:5], v1, off
.LBB126_1008:
	s_mov_b64 s[26:27], 0
.LBB126_1009:
	s_andn2_b64 vcc, exec, s[26:27]
	s_mov_b64 s[28:29], 0
	s_cbranch_vccnz .LBB126_1022
; %bb.1010:
	s_cmp_gt_i32 s35, 14
	s_mov_b64 s[26:27], -1
	s_cbranch_scc0 .LBB126_1014
; %bb.1011:
	s_cmp_eq_u32 s35, 15
	s_mov_b64 s[0:1], -1
	s_cbranch_scc0 .LBB126_1013
; %bb.1012:
	v_cndmask_b32_e64 v0, 0, 1.0, s[20:21]
	v_bfe_u32 v1, v0, 16, 1
	s_movk_i32 s0, 0x7fff
	v_add3_u32 v0, v0, v1, s0
	global_store_short_d16_hi v[4:5], v0, off
	s_mov_b64 s[0:1], 0
.LBB126_1013:
	s_mov_b64 s[26:27], 0
.LBB126_1014:
	s_and_b64 vcc, exec, s[26:27]
	s_cbranch_vccz .LBB126_1022
; %bb.1015:
	s_cmp_lg_u32 s35, 11
	s_cselect_b64 s[26:27], -1, 0
	s_andn2_b64 s[0:1], s[0:1], exec
	s_and_b64 s[26:27], s[26:27], exec
	s_mov_b64 s[28:29], -1
	s_or_b64 s[0:1], s[0:1], s[26:27]
	s_branch .LBB126_1022
.LBB126_1016:
	s_or_b64 exec, exec, s[24:25]
	s_and_saveexec_b64 s[0:1], s[18:19]
	s_cbranch_execnz .LBB126_1023
.LBB126_1017:
	s_or_b64 exec, exec, s[0:1]
	s_and_saveexec_b64 s[0:1], s[28:29]
	s_xor_b64 s[0:1], exec, s[0:1]
	s_cbranch_execz .LBB126_1024
.LBB126_1018:
	s_waitcnt vmcnt(0)
	v_cndmask_b32_e64 v0, 0, 1, s[20:21]
	global_store_byte v[4:5], v0, off
	s_or_b64 exec, exec, s[0:1]
	s_and_saveexec_b64 s[0:1], s[26:27]
	s_xor_b64 s[0:1], exec, s[0:1]
	s_cbranch_execz .LBB126_1062
	s_branch .LBB126_1025
.LBB126_1019:
	s_mov_b64 s[16:17], -1
	s_mov_b64 s[0:1], s[18:19]
	s_branch .LBB126_1022
.LBB126_1020:
                                        ; implicit-def: $sgpr20_sgpr21
	s_branch .LBB126_941
.LBB126_1021:
	s_mov_b64 s[28:29], 0
.LBB126_1022:
	s_and_b64 s[26:27], s[16:17], exec
	s_andn2_b64 s[16:17], s[18:19], exec
	s_and_b64 s[0:1], s[0:1], exec
	s_and_b64 s[28:29], s[28:29], exec
	s_or_b64 s[18:19], s[16:17], s[0:1]
	s_or_b64 exec, exec, s[24:25]
	s_and_saveexec_b64 s[0:1], s[18:19]
	s_cbranch_execz .LBB126_1017
.LBB126_1023:
	s_or_b64 s[22:23], s[22:23], exec
	s_andn2_b64 s[28:29], s[28:29], exec
	s_trap 2
	s_or_b64 exec, exec, s[0:1]
	s_and_saveexec_b64 s[0:1], s[28:29]
	s_xor_b64 s[0:1], exec, s[0:1]
	s_cbranch_execnz .LBB126_1018
.LBB126_1024:
	s_or_b64 exec, exec, s[0:1]
	s_and_saveexec_b64 s[0:1], s[26:27]
	s_xor_b64 s[0:1], exec, s[0:1]
	s_cbranch_execz .LBB126_1062
.LBB126_1025:
	s_sext_i32_i16 s18, s34
	s_cmp_lt_i32 s18, 5
	s_mov_b64 s[16:17], -1
	s_cbranch_scc1 .LBB126_1046
; %bb.1026:
	s_cmp_lt_i32 s18, 8
	s_cbranch_scc1 .LBB126_1036
; %bb.1027:
	s_cmp_lt_i32 s18, 9
	s_cbranch_scc1 .LBB126_1033
; %bb.1028:
	s_cmp_gt_i32 s18, 9
	s_cbranch_scc0 .LBB126_1030
; %bb.1029:
	s_waitcnt vmcnt(0)
	v_cndmask_b32_e64 v0, 0, 1, s[20:21]
	v_cvt_f64_u32_e32 v[0:1], v0
	v_mov_b32_e32 v2, 0
	v_mov_b32_e32 v3, v2
	s_mov_b64 s[16:17], 0
	global_store_dwordx4 v[4:5], v[0:3], off
.LBB126_1030:
	s_andn2_b64 vcc, exec, s[16:17]
	s_cbranch_vccnz .LBB126_1032
; %bb.1031:
	s_waitcnt vmcnt(0)
	v_cndmask_b32_e64 v0, 0, 1.0, s[20:21]
	v_mov_b32_e32 v1, 0
	global_store_dwordx2 v[4:5], v[0:1], off
.LBB126_1032:
	s_mov_b64 s[16:17], 0
.LBB126_1033:
	s_andn2_b64 vcc, exec, s[16:17]
	s_cbranch_vccnz .LBB126_1035
; %bb.1034:
	s_waitcnt vmcnt(0)
	v_cndmask_b32_e64 v0, 0, 1.0, s[20:21]
	v_cvt_f16_f32_e32 v0, v0
	global_store_dword v[4:5], v0, off
.LBB126_1035:
	s_mov_b64 s[16:17], 0
.LBB126_1036:
	s_andn2_b64 vcc, exec, s[16:17]
	s_cbranch_vccnz .LBB126_1045
; %bb.1037:
	s_sext_i32_i16 s18, s34
	s_cmp_lt_i32 s18, 6
	s_mov_b64 s[16:17], -1
	s_cbranch_scc1 .LBB126_1043
; %bb.1038:
	s_cmp_gt_i32 s18, 6
	s_cbranch_scc0 .LBB126_1040
; %bb.1039:
	s_waitcnt vmcnt(0)
	v_cndmask_b32_e64 v0, 0, 1, s[20:21]
	v_cvt_f64_u32_e32 v[0:1], v0
	s_mov_b64 s[16:17], 0
	global_store_dwordx2 v[4:5], v[0:1], off
.LBB126_1040:
	s_andn2_b64 vcc, exec, s[16:17]
	s_cbranch_vccnz .LBB126_1042
; %bb.1041:
	s_waitcnt vmcnt(0)
	v_cndmask_b32_e64 v0, 0, 1.0, s[20:21]
	global_store_dword v[4:5], v0, off
.LBB126_1042:
	s_mov_b64 s[16:17], 0
.LBB126_1043:
	s_andn2_b64 vcc, exec, s[16:17]
	s_cbranch_vccnz .LBB126_1045
; %bb.1044:
	s_waitcnt vmcnt(0)
	v_cndmask_b32_e64 v0, 0, 1.0, s[20:21]
	v_cvt_f16_f32_e32 v0, v0
	global_store_short v[4:5], v0, off
.LBB126_1045:
	s_mov_b64 s[16:17], 0
.LBB126_1046:
	s_andn2_b64 vcc, exec, s[16:17]
	s_cbranch_vccnz .LBB126_1062
; %bb.1047:
	s_sext_i32_i16 s18, s34
	s_cmp_lt_i32 s18, 2
	s_mov_b64 s[16:17], -1
	s_cbranch_scc1 .LBB126_1057
; %bb.1048:
	s_cmp_lt_i32 s18, 3
	s_cbranch_scc1 .LBB126_1054
; %bb.1049:
	s_cmp_gt_i32 s18, 3
	s_cbranch_scc0 .LBB126_1051
; %bb.1050:
	s_mov_b32 s16, 0
	s_waitcnt vmcnt(0)
	v_cndmask_b32_e64 v0, 0, 1, s[20:21]
	v_mov_b32_e32 v1, s16
	s_mov_b64 s[16:17], 0
	global_store_dwordx2 v[4:5], v[0:1], off
.LBB126_1051:
	s_andn2_b64 vcc, exec, s[16:17]
	s_cbranch_vccnz .LBB126_1053
; %bb.1052:
	s_waitcnt vmcnt(0)
	v_cndmask_b32_e64 v0, 0, 1, s[20:21]
	global_store_dword v[4:5], v0, off
.LBB126_1053:
	s_mov_b64 s[16:17], 0
.LBB126_1054:
	s_andn2_b64 vcc, exec, s[16:17]
	s_cbranch_vccnz .LBB126_1056
; %bb.1055:
	s_waitcnt vmcnt(0)
	v_cndmask_b32_e64 v0, 0, 1, s[20:21]
	global_store_short v[4:5], v0, off
.LBB126_1056:
	s_mov_b64 s[16:17], 0
.LBB126_1057:
	s_andn2_b64 vcc, exec, s[16:17]
	s_cbranch_vccnz .LBB126_1062
; %bb.1058:
	s_sext_i32_i16 s18, s34
	s_mov_b64 s[16:17], -1
	s_cmp_gt_i32 s18, 0
	s_waitcnt vmcnt(0)
	v_cndmask_b32_e64 v0, 0, 1, s[20:21]
	s_cbranch_scc0 .LBB126_1060
; %bb.1059:
	s_mov_b64 s[16:17], 0
	global_store_byte v[4:5], v0, off
.LBB126_1060:
	s_andn2_b64 vcc, exec, s[16:17]
	s_cbranch_vccnz .LBB126_1062
; %bb.1061:
	global_store_byte v[4:5], v0, off
.LBB126_1062:
	s_or_b64 exec, exec, s[0:1]
	s_and_b64 s[16:17], s[22:23], exec
                                        ; implicit-def: $vgpr6
.LBB126_1063:
	s_or_saveexec_b64 s[6:7], s[6:7]
	s_mov_b64 s[0:1], 0
                                        ; implicit-def: $sgpr24_sgpr25
                                        ; implicit-def: $sgpr28
                                        ; implicit-def: $vgpr0_vgpr1
	s_xor_b64 exec, exec, s[6:7]
	s_cbranch_execz .LBB126_1613
; %bb.1064:
	v_mul_lo_u32 v7, s3, v6
	s_waitcnt vmcnt(0)
	v_mov_b32_e32 v0, s11
	s_and_b32 s34, 0xffff, s49
	s_cmp_lt_i32 s34, 11
	v_ashrrev_i32_e32 v1, 31, v7
	v_add_co_u32_e32 v4, vcc, s10, v7
	v_addc_co_u32_e32 v5, vcc, v0, v1, vcc
	s_cbranch_scc1 .LBB126_1071
; %bb.1065:
	s_cmp_gt_i32 s34, 25
	s_cbranch_scc0 .LBB126_1073
; %bb.1066:
	s_cmp_gt_i32 s34, 28
	s_cbranch_scc0 .LBB126_1074
	;; [unrolled: 3-line block ×4, first 2 shown]
; %bb.1069:
	s_cmp_eq_u32 s34, 46
	s_mov_b64 s[18:19], 0
	s_cbranch_scc0 .LBB126_1079
; %bb.1070:
	global_load_dword v0, v[4:5], off
	s_mov_b64 s[20:21], -1
	s_waitcnt vmcnt(0)
	v_and_b32_e32 v2, 0xffff0000, v0
	v_lshlrev_b32_e32 v0, 16, v0
	v_cvt_f64_f32_e32 v[0:1], v0
	v_cvt_f64_f32_e32 v[2:3], v2
	s_branch .LBB126_1080
.LBB126_1071:
	s_mov_b64 s[20:21], 0
                                        ; implicit-def: $vgpr2_vgpr3
	s_mov_b64 s[18:19], s[16:17]
	s_cbranch_execnz .LBB126_1146
.LBB126_1072:
	s_andn2_b64 vcc, exec, s[20:21]
	s_cbranch_vccz .LBB126_1193
	s_branch .LBB126_1610
.LBB126_1073:
	s_mov_b64 s[20:21], 0
                                        ; implicit-def: $vgpr2_vgpr3
	s_cbranch_execnz .LBB126_1112
	s_branch .LBB126_1142
.LBB126_1074:
	s_mov_b64 s[20:21], 0
                                        ; implicit-def: $vgpr2_vgpr3
	s_cbranch_execnz .LBB126_1092
	s_branch .LBB126_1111
.LBB126_1075:
	s_mov_b64 s[18:19], -1
	s_mov_b64 s[20:21], 0
                                        ; implicit-def: $vgpr2_vgpr3
	s_branch .LBB126_1086
.LBB126_1076:
	s_mov_b64 s[18:19], -1
	s_mov_b64 s[20:21], 0
                                        ; implicit-def: $vgpr2_vgpr3
	s_branch .LBB126_1080
.LBB126_1077:
	s_andn2_saveexec_b64 s[28:29], s[28:29]
	s_cbranch_execz .LBB126_971
.LBB126_1078:
	v_add_f32_e32 v0, 0x46000000, v1
	v_and_b32_e32 v0, 0xff, v0
	v_cmp_ne_u32_e32 vcc, 0, v0
	s_andn2_b64 s[26:27], s[26:27], exec
	s_and_b64 s[30:31], vcc, exec
	s_or_b64 s[26:27], s[26:27], s[30:31]
	s_or_b64 exec, exec, s[28:29]
	v_mov_b32_e32 v2, 0
	s_and_saveexec_b64 s[28:29], s[26:27]
	s_cbranch_execnz .LBB126_972
	s_branch .LBB126_973
.LBB126_1079:
	s_mov_b64 s[0:1], -1
                                        ; implicit-def: $vgpr2_vgpr3
	s_mov_b64 s[20:21], 0
.LBB126_1080:
	s_and_b64 vcc, exec, s[18:19]
	s_cbranch_vccz .LBB126_1085
; %bb.1081:
	s_cmp_eq_u32 s34, 44
	s_cbranch_scc0 .LBB126_1083
; %bb.1082:
	global_load_ubyte v2, v[4:5], off
	s_movk_i32 s18, 0xff
	v_bfrev_b32_e32 v3, 4
	v_mov_b32_e32 v8, 0x7ff80000
	v_bfrev_b32_e32 v9, 28
	s_mov_b64 s[0:1], 0
	s_mov_b64 s[20:21], -1
	s_waitcnt vmcnt(0)
	v_lshlrev_b32_e32 v0, 23, v2
	v_cvt_f64_f32_e32 v[0:1], v0
	v_cmp_ne_u32_e32 vcc, s18, v2
	v_cndmask_b32_e32 v0, v3, v0, vcc
	v_cndmask_b32_e32 v1, v8, v1, vcc
	v_cmp_ne_u32_e32 vcc, 0, v2
	v_cndmask_b32_e32 v1, v9, v1, vcc
	v_cndmask_b32_e32 v0, 0, v0, vcc
	s_branch .LBB126_1084
.LBB126_1083:
	s_mov_b64 s[0:1], -1
                                        ; implicit-def: $vgpr0_vgpr1
.LBB126_1084:
	v_mov_b32_e32 v2, 0
	v_mov_b32_e32 v3, 0
.LBB126_1085:
	s_mov_b64 s[18:19], 0
.LBB126_1086:
	s_and_b64 vcc, exec, s[18:19]
	s_cbranch_vccz .LBB126_1091
; %bb.1087:
	s_cmp_eq_u32 s34, 29
	s_cbranch_scc0 .LBB126_1089
; %bb.1088:
	global_load_dwordx2 v[0:1], v[4:5], off
	s_mov_b64 s[0:1], 0
	s_mov_b64 s[20:21], -1
	s_waitcnt vmcnt(0)
	v_cvt_f64_u32_e32 v[1:2], v1
	v_cvt_f64_u32_e32 v[8:9], v0
	v_ldexp_f64 v[1:2], v[1:2], 32
	v_add_f64 v[0:1], v[1:2], v[8:9]
	s_branch .LBB126_1090
.LBB126_1089:
	s_mov_b64 s[0:1], -1
                                        ; implicit-def: $vgpr0_vgpr1
.LBB126_1090:
	v_mov_b32_e32 v2, 0
	v_mov_b32_e32 v3, 0
.LBB126_1091:
	s_branch .LBB126_1111
.LBB126_1092:
	s_cmp_lt_i32 s34, 27
	s_cbranch_scc1 .LBB126_1095
; %bb.1093:
	s_cmp_gt_i32 s34, 27
	s_cbranch_scc0 .LBB126_1096
; %bb.1094:
	global_load_dword v0, v[4:5], off
	s_mov_b64 s[18:19], 0
	s_waitcnt vmcnt(0)
	v_cvt_f64_u32_e32 v[0:1], v0
	s_branch .LBB126_1097
.LBB126_1095:
	s_mov_b64 s[18:19], -1
                                        ; implicit-def: $vgpr0_vgpr1
	s_branch .LBB126_1100
.LBB126_1096:
	s_mov_b64 s[18:19], -1
                                        ; implicit-def: $vgpr0_vgpr1
.LBB126_1097:
	s_andn2_b64 vcc, exec, s[18:19]
	s_cbranch_vccnz .LBB126_1099
; %bb.1098:
	global_load_ushort v0, v[4:5], off
	s_waitcnt vmcnt(0)
	v_cvt_f64_u32_e32 v[0:1], v0
.LBB126_1099:
	s_mov_b64 s[18:19], 0
.LBB126_1100:
	s_andn2_b64 vcc, exec, s[18:19]
	s_cbranch_vccnz .LBB126_1110
; %bb.1101:
	global_load_ubyte v2, v[4:5], off
	s_movk_i32 s18, 0x7f
	s_waitcnt vmcnt(0)
	v_cmp_lt_i16_e32 vcc, s18, v2
	s_mov_b64 s[18:19], 0
	s_and_saveexec_b64 s[20:21], vcc
	s_xor_b64 s[20:21], exec, s[20:21]
	s_cbranch_execz .LBB126_1105
; %bb.1102:
	s_movk_i32 s18, 0x80
	v_cmp_eq_u16_e32 vcc, s18, v2
	s_mov_b64 s[18:19], -1
	s_and_saveexec_b64 s[22:23], vcc
; %bb.1103:
	s_xor_b64 s[18:19], exec, -1
; %bb.1104:
	s_or_b64 exec, exec, s[22:23]
	s_and_b64 s[18:19], s[18:19], exec
.LBB126_1105:
	s_or_saveexec_b64 s[20:21], s[20:21]
	v_bfrev_b32_e32 v0, 4
	v_mov_b32_e32 v1, 0x7ff80000
	s_xor_b64 exec, exec, s[20:21]
; %bb.1106:
	v_cmp_ne_u16_e32 vcc, 0, v2
	v_mov_b32_e32 v0, 0
	s_andn2_b64 s[18:19], s[18:19], exec
	s_and_b64 s[22:23], vcc, exec
	v_mov_b32_e32 v1, 0
	s_or_b64 s[18:19], s[18:19], s[22:23]
; %bb.1107:
	s_or_b64 exec, exec, s[20:21]
	s_and_saveexec_b64 s[20:21], s[18:19]
	s_cbranch_execz .LBB126_1109
; %bb.1108:
	v_and_b32_e32 v1, 0xffff, v2
	v_lshlrev_b32_e32 v0, 24, v2
	v_and_b32_e32 v2, 7, v1
	v_ffbh_u32_e32 v8, v2
	v_min_u32_e32 v8, 32, v8
	v_subrev_u32_e32 v9, 28, v8
	v_bfe_u32 v3, v1, 3, 4
	v_lshlrev_b32_e32 v1, v9, v1
	v_sub_u32_e32 v8, 29, v8
	v_and_b32_e32 v1, 7, v1
	v_cmp_eq_u32_e32 vcc, 0, v3
	v_cndmask_b32_e32 v3, v3, v8, vcc
	v_cndmask_b32_e32 v1, v2, v1, vcc
	v_mov_b32_e32 v2, 0x3b800000
	v_lshlrev_b32_e32 v1, 20, v1
	v_and_b32_e32 v0, 0x80000000, v0
	v_lshl_add_u32 v2, v3, 23, v2
	v_or3_b32 v0, v0, v2, v1
	v_cvt_f64_f32_e32 v[0:1], v0
.LBB126_1109:
	s_or_b64 exec, exec, s[20:21]
.LBB126_1110:
	v_mov_b32_e32 v2, 0
	v_mov_b32_e32 v3, 0
	s_mov_b64 s[20:21], -1
.LBB126_1111:
	s_branch .LBB126_1142
.LBB126_1112:
	s_cmp_gt_i32 s34, 22
	s_cbranch_scc0 .LBB126_1124
; %bb.1113:
	s_cmp_lt_i32 s34, 24
	s_cbranch_scc1 .LBB126_1125
; %bb.1114:
	s_cmp_gt_i32 s34, 24
	s_cbranch_scc0 .LBB126_1126
; %bb.1115:
	global_load_ubyte v2, v[4:5], off
	s_movk_i32 s4, 0x7f
	s_waitcnt vmcnt(0)
	v_cmp_lt_i16_e32 vcc, s4, v2
	s_mov_b64 s[4:5], 0
	s_and_saveexec_b64 s[18:19], vcc
	s_xor_b64 s[18:19], exec, s[18:19]
	s_cbranch_execz .LBB126_1119
; %bb.1116:
	s_movk_i32 s4, 0x80
	v_cmp_eq_u16_e32 vcc, s4, v2
	s_mov_b64 s[4:5], -1
	s_and_saveexec_b64 s[20:21], vcc
; %bb.1117:
	s_xor_b64 s[4:5], exec, -1
; %bb.1118:
	s_or_b64 exec, exec, s[20:21]
	s_and_b64 s[4:5], s[4:5], exec
.LBB126_1119:
	s_or_saveexec_b64 s[18:19], s[18:19]
	v_bfrev_b32_e32 v0, 4
	v_mov_b32_e32 v1, 0x7ff80000
	s_xor_b64 exec, exec, s[18:19]
; %bb.1120:
	v_cmp_ne_u16_e32 vcc, 0, v2
	v_mov_b32_e32 v0, 0
	s_andn2_b64 s[4:5], s[4:5], exec
	s_and_b64 s[20:21], vcc, exec
	v_mov_b32_e32 v1, 0
	s_or_b64 s[4:5], s[4:5], s[20:21]
; %bb.1121:
	s_or_b64 exec, exec, s[18:19]
	s_and_saveexec_b64 s[18:19], s[4:5]
	s_cbranch_execz .LBB126_1123
; %bb.1122:
	v_and_b32_e32 v1, 0xffff, v2
	v_lshlrev_b32_e32 v0, 24, v2
	v_and_b32_e32 v2, 3, v1
	v_ffbh_u32_e32 v8, v2
	v_min_u32_e32 v8, 32, v8
	v_subrev_u32_e32 v9, 29, v8
	v_bfe_u32 v3, v1, 2, 5
	v_lshlrev_b32_e32 v1, v9, v1
	v_sub_u32_e32 v8, 30, v8
	v_and_b32_e32 v1, 3, v1
	v_cmp_eq_u32_e32 vcc, 0, v3
	v_cndmask_b32_e32 v3, v3, v8, vcc
	v_cndmask_b32_e32 v1, v2, v1, vcc
	v_mov_b32_e32 v2, 0x37800000
	v_lshlrev_b32_e32 v1, 21, v1
	v_and_b32_e32 v0, 0x80000000, v0
	v_lshl_add_u32 v2, v3, 23, v2
	v_or3_b32 v0, v0, v2, v1
	v_cvt_f64_f32_e32 v[0:1], v0
.LBB126_1123:
	s_or_b64 exec, exec, s[18:19]
	s_mov_b64 s[4:5], 0
	s_branch .LBB126_1127
.LBB126_1124:
                                        ; implicit-def: $vgpr0_vgpr1
	s_mov_b64 s[4:5], 0
	s_branch .LBB126_1133
.LBB126_1125:
	s_mov_b64 s[4:5], -1
                                        ; implicit-def: $vgpr0_vgpr1
	s_branch .LBB126_1130
.LBB126_1126:
	s_mov_b64 s[4:5], -1
                                        ; implicit-def: $vgpr0_vgpr1
.LBB126_1127:
	s_and_b64 vcc, exec, s[4:5]
	s_cbranch_vccz .LBB126_1129
; %bb.1128:
	global_load_ubyte v0, v[4:5], off
	s_mov_b32 s4, 0x7f800000
	s_waitcnt vmcnt(0)
	v_lshlrev_b32_e32 v0, 24, v0
	v_and_b32_e32 v1, 0x7f000000, v0
	v_ffbh_u32_e32 v2, v1
	v_min_u32_e32 v2, 32, v2
	v_sub_u32_e64 v2, v2, 4 clamp
	v_lshlrev_b32_e32 v8, v2, v1
	v_lshlrev_b32_e32 v2, 23, v2
	v_lshrrev_b32_e32 v8, 4, v8
	v_add_u32_e32 v3, 0x1000000, v1
	v_sub_u32_e32 v2, v8, v2
	v_ashrrev_i32_e32 v3, 8, v3
	v_add_u32_e32 v2, 0x3c000000, v2
	v_and_or_b32 v2, v3, s4, v2
	v_cmp_ne_u32_e32 vcc, 0, v1
	v_cndmask_b32_e32 v1, 0, v2, vcc
	s_brev_b32 s4, 1
	v_and_or_b32 v0, v0, s4, v1
	v_cvt_f64_f32_e32 v[0:1], v0
.LBB126_1129:
	s_mov_b64 s[4:5], 0
.LBB126_1130:
	s_andn2_b64 vcc, exec, s[4:5]
	s_cbranch_vccnz .LBB126_1132
; %bb.1131:
	global_load_ubyte v0, v[4:5], off
	s_movk_i32 s4, 0x7f00
	s_brev_b32 s5, 16
	s_waitcnt vmcnt(0)
	v_lshlrev_b16_e32 v1, 8, v0
	v_lshlrev_b32_e32 v0, 25, v0
	v_lshrrev_b32_e32 v2, 4, v0
	v_and_or_b32 v3, v1, s4, 0.5
	v_or_b32_e32 v2, 0x70000000, v2
	v_add_f32_e32 v3, -0.5, v3
	v_mul_f32_e32 v2, 0x7800000, v2
	v_cmp_gt_u32_e32 vcc, s5, v0
	v_bfe_i32 v1, v1, 0, 16
	v_cndmask_b32_e32 v0, v2, v3, vcc
	s_brev_b32 s4, 1
	v_and_or_b32 v0, v1, s4, v0
	v_cvt_f64_f32_e32 v[0:1], v0
.LBB126_1132:
	s_mov_b64 s[20:21], -1
	s_mov_b64 s[4:5], 0
	s_cbranch_execnz .LBB126_1141
.LBB126_1133:
	s_cmp_gt_i32 s34, 14
	s_cbranch_scc0 .LBB126_1136
; %bb.1134:
	s_cmp_eq_u32 s34, 15
	s_cbranch_scc0 .LBB126_1137
; %bb.1135:
	global_load_ushort v0, v[4:5], off
	s_mov_b64 s[0:1], 0
	s_mov_b64 s[20:21], -1
	s_waitcnt vmcnt(0)
	v_lshlrev_b32_e32 v0, 16, v0
	v_cvt_f64_f32_e32 v[0:1], v0
	s_branch .LBB126_1138
.LBB126_1136:
	s_mov_b64 s[18:19], -1
                                        ; implicit-def: $vgpr0_vgpr1
	s_branch .LBB126_1139
.LBB126_1137:
	s_mov_b64 s[0:1], -1
                                        ; implicit-def: $vgpr0_vgpr1
.LBB126_1138:
	s_mov_b64 s[18:19], 0
.LBB126_1139:
	s_and_b64 vcc, exec, s[18:19]
	s_cbranch_vccz .LBB126_1141
; %bb.1140:
	s_cmp_lg_u32 s34, 11
	s_mov_b64 s[4:5], -1
	s_cselect_b64 s[0:1], -1, 0
.LBB126_1141:
	v_mov_b32_e32 v2, 0
	v_mov_b32_e32 v3, 0
.LBB126_1142:
	s_and_b64 vcc, exec, s[0:1]
	s_mov_b64 s[18:19], s[16:17]
	s_cbranch_vccnz .LBB126_1209
; %bb.1143:
	s_andn2_b64 vcc, exec, s[4:5]
	s_cbranch_vccnz .LBB126_1145
.LBB126_1144:
	global_load_ubyte v1, v[4:5], off
	v_mov_b32_e32 v8, 0x3ff00000
	v_mov_b32_e32 v2, 0
	;; [unrolled: 1-line block ×4, first 2 shown]
	s_mov_b64 s[20:21], -1
	s_waitcnt vmcnt(0)
	v_cmp_ne_u16_e32 vcc, 0, v1
	v_cndmask_b32_e32 v1, 0, v8, vcc
.LBB126_1145:
	s_branch .LBB126_1072
.LBB126_1146:
	s_cmp_lt_i32 s34, 5
	s_cbranch_scc1 .LBB126_1151
; %bb.1147:
	s_cmp_lt_i32 s34, 8
	s_cbranch_scc1 .LBB126_1153
; %bb.1148:
	;; [unrolled: 3-line block ×3, first 2 shown]
	s_cmp_gt_i32 s34, 9
	s_cbranch_scc0 .LBB126_1155
; %bb.1150:
	global_load_dwordx4 v[0:3], v[4:5], off
	s_mov_b64 s[0:1], 0
	s_branch .LBB126_1156
.LBB126_1151:
                                        ; implicit-def: $vgpr2_vgpr3
	s_branch .LBB126_1174
.LBB126_1152:
	s_branch .LBB126_1193
.LBB126_1153:
                                        ; implicit-def: $vgpr2_vgpr3
	s_branch .LBB126_1162
.LBB126_1154:
	s_mov_b64 s[0:1], -1
                                        ; implicit-def: $vgpr2_vgpr3
	s_branch .LBB126_1159
.LBB126_1155:
	s_mov_b64 s[0:1], -1
                                        ; implicit-def: $vgpr2_vgpr3
.LBB126_1156:
	s_andn2_b64 vcc, exec, s[0:1]
	s_cbranch_vccnz .LBB126_1158
; %bb.1157:
	global_load_dwordx2 v[1:2], v[4:5], off
	s_waitcnt vmcnt(0)
	v_cvt_f64_f32_e32 v[0:1], v1
	v_cvt_f64_f32_e32 v[2:3], v2
.LBB126_1158:
	s_mov_b64 s[0:1], 0
.LBB126_1159:
	s_andn2_b64 vcc, exec, s[0:1]
	s_cbranch_vccnz .LBB126_1161
; %bb.1160:
	global_load_dword v0, v[4:5], off
	s_waitcnt vmcnt(0)
	v_cvt_f32_f16_e32 v1, v0
	v_cvt_f32_f16_sdwa v2, v0 dst_sel:DWORD dst_unused:UNUSED_PAD src0_sel:WORD_1
	v_cvt_f64_f32_e32 v[0:1], v1
	v_cvt_f64_f32_e32 v[2:3], v2
.LBB126_1161:
	s_cbranch_execnz .LBB126_1173
.LBB126_1162:
	s_cmp_lt_i32 s34, 6
	s_cbranch_scc1 .LBB126_1165
; %bb.1163:
	s_cmp_gt_i32 s34, 6
	s_cbranch_scc0 .LBB126_1166
; %bb.1164:
	global_load_dwordx2 v[0:1], v[4:5], off
	s_mov_b64 s[0:1], 0
	s_branch .LBB126_1167
.LBB126_1165:
	s_mov_b64 s[0:1], -1
                                        ; implicit-def: $vgpr0_vgpr1
	s_branch .LBB126_1170
.LBB126_1166:
	s_mov_b64 s[0:1], -1
                                        ; implicit-def: $vgpr0_vgpr1
.LBB126_1167:
	s_andn2_b64 vcc, exec, s[0:1]
	s_cbranch_vccnz .LBB126_1169
; %bb.1168:
	global_load_dword v0, v[4:5], off
	s_waitcnt vmcnt(0)
	v_cvt_f64_f32_e32 v[0:1], v0
.LBB126_1169:
	s_mov_b64 s[0:1], 0
.LBB126_1170:
	s_andn2_b64 vcc, exec, s[0:1]
	s_cbranch_vccnz .LBB126_1172
; %bb.1171:
	global_load_ushort v0, v[4:5], off
	s_waitcnt vmcnt(0)
	v_cvt_f32_f16_e32 v0, v0
	v_cvt_f64_f32_e32 v[0:1], v0
.LBB126_1172:
	s_waitcnt vmcnt(0)
	v_mov_b32_e32 v2, 0
	v_mov_b32_e32 v3, 0
.LBB126_1173:
	s_cbranch_execnz .LBB126_1152
.LBB126_1174:
	s_cmp_lt_i32 s34, 2
	s_cbranch_scc1 .LBB126_1178
; %bb.1175:
	s_cmp_lt_i32 s34, 3
	s_cbranch_scc1 .LBB126_1179
; %bb.1176:
	s_cmp_gt_i32 s34, 3
	s_cbranch_scc0 .LBB126_1180
; %bb.1177:
	global_load_dwordx2 v[0:1], v[4:5], off
	s_mov_b64 s[0:1], 0
	s_waitcnt vmcnt(0)
	v_cvt_f64_i32_e32 v[1:2], v1
	v_cvt_f64_u32_e32 v[8:9], v0
	v_ldexp_f64 v[1:2], v[1:2], 32
	v_add_f64 v[0:1], v[1:2], v[8:9]
	s_branch .LBB126_1181
.LBB126_1178:
                                        ; implicit-def: $vgpr0_vgpr1
	s_branch .LBB126_1187
.LBB126_1179:
	s_mov_b64 s[0:1], -1
                                        ; implicit-def: $vgpr0_vgpr1
	s_branch .LBB126_1184
.LBB126_1180:
	s_mov_b64 s[0:1], -1
                                        ; implicit-def: $vgpr0_vgpr1
.LBB126_1181:
	s_andn2_b64 vcc, exec, s[0:1]
	s_cbranch_vccnz .LBB126_1183
; %bb.1182:
	global_load_dword v0, v[4:5], off
	s_waitcnt vmcnt(0)
	v_cvt_f64_i32_e32 v[0:1], v0
.LBB126_1183:
	s_mov_b64 s[0:1], 0
.LBB126_1184:
	s_andn2_b64 vcc, exec, s[0:1]
	s_cbranch_vccnz .LBB126_1186
; %bb.1185:
	global_load_sshort v0, v[4:5], off
	s_waitcnt vmcnt(0)
	v_cvt_f64_i32_e32 v[0:1], v0
.LBB126_1186:
	s_cbranch_execnz .LBB126_1192
.LBB126_1187:
	s_cmp_gt_i32 s34, 0
	s_cbranch_scc0 .LBB126_1189
; %bb.1188:
	global_load_sbyte v0, v[4:5], off
	s_mov_b64 s[0:1], 0
	s_waitcnt vmcnt(0)
	v_cvt_f64_i32_e32 v[0:1], v0
	s_branch .LBB126_1190
.LBB126_1189:
	s_mov_b64 s[0:1], -1
                                        ; implicit-def: $vgpr0_vgpr1
.LBB126_1190:
	s_andn2_b64 vcc, exec, s[0:1]
	s_cbranch_vccnz .LBB126_1192
; %bb.1191:
	global_load_ubyte v0, v[4:5], off
	s_waitcnt vmcnt(0)
	v_cvt_f64_u32_e32 v[0:1], v0
.LBB126_1192:
	s_waitcnt vmcnt(0)
	v_mov_b32_e32 v2, 0
	v_mov_b32_e32 v3, 0
.LBB126_1193:
	s_cmp_lg_u32 s48, 0
	s_cselect_b64 s[24:25], -1, 0
	s_and_b64 vcc, exec, s[24:25]
	s_cbranch_vccz .LBB126_1205
; %bb.1194:
	s_waitcnt vmcnt(0)
	v_cmp_neq_f64_e32 vcc, s[12:13], v[0:1]
	v_cmp_neq_f64_e64 s[0:1], s[14:15], v[2:3]
	s_or_b64 s[4:5], vcc, s[0:1]
	s_cbranch_execnz .LBB126_1196
.LBB126_1195:
	s_waitcnt vmcnt(0)
	v_cmp_eq_f64_e32 vcc, s[12:13], v[0:1]
	v_cmp_eq_f64_e64 s[0:1], s[14:15], v[2:3]
	s_andn2_b64 s[4:5], s[4:5], exec
	s_and_b64 s[0:1], vcc, s[0:1]
	s_and_b64 s[0:1], s[0:1], exec
	s_or_b64 s[4:5], s[4:5], s[0:1]
.LBB126_1196:
	s_lshl_b32 s3, s3, 7
	v_add_u32_e32 v7, s3, v7
	s_waitcnt vmcnt(0)
	v_ashrrev_i32_e32 v0, 31, v7
	v_mov_b32_e32 v1, s11
	v_add_co_u32_e32 v4, vcc, s10, v7
	s_cmp_lt_i32 s34, 11
	v_addc_co_u32_e32 v5, vcc, v1, v0, vcc
	s_cbranch_scc1 .LBB126_1203
; %bb.1197:
	s_cmp_gt_i32 s34, 25
	s_mov_b64 s[20:21], 0
	s_cbranch_scc0 .LBB126_1206
; %bb.1198:
	s_cmp_gt_i32 s34, 28
	s_cbranch_scc0 .LBB126_1207
; %bb.1199:
	s_cmp_gt_i32 s34, 43
	;; [unrolled: 3-line block ×3, first 2 shown]
	s_cbranch_scc0 .LBB126_1210
; %bb.1201:
	s_cmp_eq_u32 s34, 46
	s_mov_b64 s[26:27], 0
	s_cbranch_scc0 .LBB126_1213
; %bb.1202:
	global_load_dword v0, v[4:5], off
	s_mov_b64 s[0:1], 0
	s_mov_b64 s[22:23], -1
	s_waitcnt vmcnt(0)
	v_and_b32_e32 v2, 0xffff0000, v0
	v_lshlrev_b32_e32 v0, 16, v0
	v_cvt_f64_f32_e32 v[0:1], v0
	v_cvt_f64_f32_e32 v[2:3], v2
	s_branch .LBB126_1214
.LBB126_1203:
	s_mov_b64 s[22:23], 0
                                        ; implicit-def: $vgpr2_vgpr3
	s_cbranch_execnz .LBB126_1282
.LBB126_1204:
	s_andn2_b64 vcc, exec, s[22:23]
	s_cbranch_vccnz .LBB126_1610
	s_branch .LBB126_1331
.LBB126_1205:
                                        ; implicit-def: $sgpr4_sgpr5
	s_branch .LBB126_1195
.LBB126_1206:
	s_mov_b64 s[22:23], 0
	s_mov_b64 s[0:1], 0
                                        ; implicit-def: $vgpr2_vgpr3
	s_cbranch_execnz .LBB126_1247
	s_branch .LBB126_1278
.LBB126_1207:
	s_mov_b64 s[26:27], -1
	s_mov_b64 s[22:23], 0
	s_mov_b64 s[0:1], 0
                                        ; implicit-def: $vgpr2_vgpr3
	s_branch .LBB126_1226
.LBB126_1208:
	s_mov_b64 s[26:27], -1
	s_mov_b64 s[22:23], 0
	s_mov_b64 s[0:1], 0
                                        ; implicit-def: $vgpr2_vgpr3
	s_branch .LBB126_1220
.LBB126_1209:
	s_trap 2
	s_or_b64 s[18:19], s[16:17], exec
	s_cbranch_execz .LBB126_1144
	s_branch .LBB126_1145
.LBB126_1210:
	s_mov_b64 s[26:27], -1
	s_mov_b64 s[22:23], 0
	s_mov_b64 s[0:1], 0
                                        ; implicit-def: $vgpr2_vgpr3
	s_branch .LBB126_1214
.LBB126_1211:
	s_andn2_saveexec_b64 s[30:31], s[30:31]
	s_cbranch_execz .LBB126_983
.LBB126_1212:
	v_add_f32_e32 v0, 0x42800000, v1
	v_and_b32_e32 v0, 0xff, v0
	v_cmp_ne_u32_e32 vcc, 0, v0
	s_andn2_b64 s[28:29], s[28:29], exec
	s_and_b64 s[36:37], vcc, exec
	s_or_b64 s[28:29], s[28:29], s[36:37]
	s_or_b64 exec, exec, s[30:31]
	v_mov_b32_e32 v2, 0
	s_and_saveexec_b64 s[30:31], s[28:29]
	s_cbranch_execnz .LBB126_984
	s_branch .LBB126_985
.LBB126_1213:
	s_mov_b64 s[0:1], -1
                                        ; implicit-def: $vgpr2_vgpr3
	s_mov_b64 s[22:23], 0
.LBB126_1214:
	s_and_b64 vcc, exec, s[26:27]
	s_cbranch_vccz .LBB126_1219
; %bb.1215:
	s_cmp_eq_u32 s34, 44
	s_cbranch_scc0 .LBB126_1217
; %bb.1216:
	global_load_ubyte v2, v[4:5], off
	s_movk_i32 s22, 0xff
	v_bfrev_b32_e32 v3, 4
	v_mov_b32_e32 v8, 0x7ff80000
	v_bfrev_b32_e32 v9, 28
	s_mov_b64 s[0:1], 0
	s_waitcnt vmcnt(0)
	v_lshlrev_b32_e32 v0, 23, v2
	v_cvt_f64_f32_e32 v[0:1], v0
	v_cmp_ne_u32_e32 vcc, s22, v2
	s_mov_b64 s[22:23], -1
	v_cndmask_b32_e32 v0, v3, v0, vcc
	v_cndmask_b32_e32 v1, v8, v1, vcc
	v_cmp_ne_u32_e32 vcc, 0, v2
	v_cndmask_b32_e32 v1, v9, v1, vcc
	v_cndmask_b32_e32 v0, 0, v0, vcc
	s_branch .LBB126_1218
.LBB126_1217:
	s_mov_b64 s[0:1], -1
                                        ; implicit-def: $vgpr0_vgpr1
.LBB126_1218:
	v_mov_b32_e32 v2, 0
	v_mov_b32_e32 v3, 0
.LBB126_1219:
	s_mov_b64 s[26:27], 0
.LBB126_1220:
	s_and_b64 vcc, exec, s[26:27]
	s_cbranch_vccz .LBB126_1225
; %bb.1221:
	s_cmp_eq_u32 s34, 29
	s_cbranch_scc0 .LBB126_1223
; %bb.1222:
	global_load_dwordx2 v[0:1], v[4:5], off
	s_mov_b64 s[0:1], 0
	s_mov_b64 s[22:23], -1
	s_waitcnt vmcnt(0)
	v_cvt_f64_u32_e32 v[1:2], v1
	v_cvt_f64_u32_e32 v[8:9], v0
	v_ldexp_f64 v[1:2], v[1:2], 32
	v_add_f64 v[0:1], v[1:2], v[8:9]
	s_branch .LBB126_1224
.LBB126_1223:
	s_mov_b64 s[0:1], -1
                                        ; implicit-def: $vgpr0_vgpr1
.LBB126_1224:
	v_mov_b32_e32 v2, 0
	v_mov_b32_e32 v3, 0
.LBB126_1225:
	s_mov_b64 s[26:27], 0
.LBB126_1226:
	s_and_b64 vcc, exec, s[26:27]
	s_cbranch_vccz .LBB126_1246
; %bb.1227:
	s_cmp_lt_i32 s34, 27
	s_cbranch_scc1 .LBB126_1230
; %bb.1228:
	s_cmp_gt_i32 s34, 27
	s_cbranch_scc0 .LBB126_1231
; %bb.1229:
	global_load_dword v0, v[4:5], off
	s_mov_b64 s[22:23], 0
	s_waitcnt vmcnt(0)
	v_cvt_f64_u32_e32 v[0:1], v0
	s_branch .LBB126_1232
.LBB126_1230:
	s_mov_b64 s[22:23], -1
                                        ; implicit-def: $vgpr0_vgpr1
	s_branch .LBB126_1235
.LBB126_1231:
	s_mov_b64 s[22:23], -1
                                        ; implicit-def: $vgpr0_vgpr1
.LBB126_1232:
	s_andn2_b64 vcc, exec, s[22:23]
	s_cbranch_vccnz .LBB126_1234
; %bb.1233:
	global_load_ushort v0, v[4:5], off
	s_waitcnt vmcnt(0)
	v_cvt_f64_u32_e32 v[0:1], v0
.LBB126_1234:
	s_mov_b64 s[22:23], 0
.LBB126_1235:
	s_andn2_b64 vcc, exec, s[22:23]
	s_cbranch_vccnz .LBB126_1245
; %bb.1236:
	global_load_ubyte v2, v[4:5], off
	s_movk_i32 s22, 0x7f
	s_waitcnt vmcnt(0)
	v_cmp_lt_i16_e32 vcc, s22, v2
	s_mov_b64 s[22:23], 0
	s_and_saveexec_b64 s[26:27], vcc
	s_xor_b64 s[26:27], exec, s[26:27]
	s_cbranch_execz .LBB126_1240
; %bb.1237:
	s_movk_i32 s22, 0x80
	v_cmp_eq_u16_e32 vcc, s22, v2
	s_mov_b64 s[22:23], -1
	s_and_saveexec_b64 s[28:29], vcc
; %bb.1238:
	s_xor_b64 s[22:23], exec, -1
; %bb.1239:
	s_or_b64 exec, exec, s[28:29]
	s_and_b64 s[22:23], s[22:23], exec
.LBB126_1240:
	s_or_saveexec_b64 s[26:27], s[26:27]
	v_bfrev_b32_e32 v0, 4
	v_mov_b32_e32 v1, 0x7ff80000
	s_xor_b64 exec, exec, s[26:27]
; %bb.1241:
	v_cmp_ne_u16_e32 vcc, 0, v2
	v_mov_b32_e32 v0, 0
	s_andn2_b64 s[22:23], s[22:23], exec
	s_and_b64 s[28:29], vcc, exec
	v_mov_b32_e32 v1, 0
	s_or_b64 s[22:23], s[22:23], s[28:29]
; %bb.1242:
	s_or_b64 exec, exec, s[26:27]
	s_and_saveexec_b64 s[26:27], s[22:23]
	s_cbranch_execz .LBB126_1244
; %bb.1243:
	v_and_b32_e32 v1, 0xffff, v2
	v_lshlrev_b32_e32 v0, 24, v2
	v_and_b32_e32 v2, 7, v1
	v_ffbh_u32_e32 v8, v2
	v_min_u32_e32 v8, 32, v8
	v_subrev_u32_e32 v9, 28, v8
	v_bfe_u32 v3, v1, 3, 4
	v_lshlrev_b32_e32 v1, v9, v1
	v_sub_u32_e32 v8, 29, v8
	v_and_b32_e32 v1, 7, v1
	v_cmp_eq_u32_e32 vcc, 0, v3
	v_cndmask_b32_e32 v3, v3, v8, vcc
	v_cndmask_b32_e32 v1, v2, v1, vcc
	v_mov_b32_e32 v2, 0x3b800000
	v_lshlrev_b32_e32 v1, 20, v1
	v_and_b32_e32 v0, 0x80000000, v0
	v_lshl_add_u32 v2, v3, 23, v2
	v_or3_b32 v0, v0, v2, v1
	v_cvt_f64_f32_e32 v[0:1], v0
.LBB126_1244:
	s_or_b64 exec, exec, s[26:27]
.LBB126_1245:
	v_mov_b32_e32 v2, 0
	v_mov_b32_e32 v3, 0
	s_mov_b64 s[22:23], -1
.LBB126_1246:
	s_branch .LBB126_1278
.LBB126_1247:
	s_cmp_gt_i32 s34, 22
	s_cbranch_scc0 .LBB126_1259
; %bb.1248:
	s_cmp_lt_i32 s34, 24
	s_cbranch_scc1 .LBB126_1260
; %bb.1249:
	s_cmp_gt_i32 s34, 24
	s_cbranch_scc0 .LBB126_1261
; %bb.1250:
	global_load_ubyte v2, v[4:5], off
	s_movk_i32 s20, 0x7f
	s_waitcnt vmcnt(0)
	v_cmp_lt_i16_e32 vcc, s20, v2
	s_mov_b64 s[20:21], 0
	s_and_saveexec_b64 s[22:23], vcc
	s_xor_b64 s[22:23], exec, s[22:23]
	s_cbranch_execz .LBB126_1254
; %bb.1251:
	s_movk_i32 s20, 0x80
	v_cmp_eq_u16_e32 vcc, s20, v2
	s_mov_b64 s[20:21], -1
	s_and_saveexec_b64 s[26:27], vcc
; %bb.1252:
	s_xor_b64 s[20:21], exec, -1
; %bb.1253:
	s_or_b64 exec, exec, s[26:27]
	s_and_b64 s[20:21], s[20:21], exec
.LBB126_1254:
	s_or_saveexec_b64 s[22:23], s[22:23]
	v_bfrev_b32_e32 v0, 4
	v_mov_b32_e32 v1, 0x7ff80000
	s_xor_b64 exec, exec, s[22:23]
; %bb.1255:
	v_cmp_ne_u16_e32 vcc, 0, v2
	v_mov_b32_e32 v0, 0
	s_andn2_b64 s[20:21], s[20:21], exec
	s_and_b64 s[26:27], vcc, exec
	v_mov_b32_e32 v1, 0
	s_or_b64 s[20:21], s[20:21], s[26:27]
; %bb.1256:
	s_or_b64 exec, exec, s[22:23]
	s_and_saveexec_b64 s[22:23], s[20:21]
	s_cbranch_execz .LBB126_1258
; %bb.1257:
	v_and_b32_e32 v1, 0xffff, v2
	v_lshlrev_b32_e32 v0, 24, v2
	v_and_b32_e32 v2, 3, v1
	v_ffbh_u32_e32 v8, v2
	v_min_u32_e32 v8, 32, v8
	v_subrev_u32_e32 v9, 29, v8
	v_bfe_u32 v3, v1, 2, 5
	v_lshlrev_b32_e32 v1, v9, v1
	v_sub_u32_e32 v8, 30, v8
	v_and_b32_e32 v1, 3, v1
	v_cmp_eq_u32_e32 vcc, 0, v3
	v_cndmask_b32_e32 v3, v3, v8, vcc
	v_cndmask_b32_e32 v1, v2, v1, vcc
	v_mov_b32_e32 v2, 0x37800000
	v_lshlrev_b32_e32 v1, 21, v1
	v_and_b32_e32 v0, 0x80000000, v0
	v_lshl_add_u32 v2, v3, 23, v2
	v_or3_b32 v0, v0, v2, v1
	v_cvt_f64_f32_e32 v[0:1], v0
.LBB126_1258:
	s_or_b64 exec, exec, s[22:23]
	s_mov_b64 s[20:21], 0
	s_branch .LBB126_1262
.LBB126_1259:
	s_mov_b64 s[20:21], -1
                                        ; implicit-def: $vgpr0_vgpr1
	s_branch .LBB126_1268
.LBB126_1260:
	s_mov_b64 s[20:21], -1
                                        ; implicit-def: $vgpr0_vgpr1
	s_branch .LBB126_1265
.LBB126_1261:
	s_mov_b64 s[20:21], -1
                                        ; implicit-def: $vgpr0_vgpr1
.LBB126_1262:
	s_and_b64 vcc, exec, s[20:21]
	s_cbranch_vccz .LBB126_1264
; %bb.1263:
	global_load_ubyte v0, v[4:5], off
	s_mov_b32 s20, 0x7f800000
	s_waitcnt vmcnt(0)
	v_lshlrev_b32_e32 v0, 24, v0
	v_and_b32_e32 v1, 0x7f000000, v0
	v_ffbh_u32_e32 v2, v1
	v_min_u32_e32 v2, 32, v2
	v_sub_u32_e64 v2, v2, 4 clamp
	v_lshlrev_b32_e32 v8, v2, v1
	v_lshlrev_b32_e32 v2, 23, v2
	v_lshrrev_b32_e32 v8, 4, v8
	v_add_u32_e32 v3, 0x1000000, v1
	v_sub_u32_e32 v2, v8, v2
	v_ashrrev_i32_e32 v3, 8, v3
	v_add_u32_e32 v2, 0x3c000000, v2
	v_and_or_b32 v2, v3, s20, v2
	v_cmp_ne_u32_e32 vcc, 0, v1
	v_cndmask_b32_e32 v1, 0, v2, vcc
	s_brev_b32 s20, 1
	v_and_or_b32 v0, v0, s20, v1
	v_cvt_f64_f32_e32 v[0:1], v0
.LBB126_1264:
	s_mov_b64 s[20:21], 0
.LBB126_1265:
	s_andn2_b64 vcc, exec, s[20:21]
	s_cbranch_vccnz .LBB126_1267
; %bb.1266:
	global_load_ubyte v0, v[4:5], off
	s_movk_i32 s20, 0x7f00
	s_brev_b32 s21, 16
	s_waitcnt vmcnt(0)
	v_lshlrev_b16_e32 v1, 8, v0
	v_lshlrev_b32_e32 v0, 25, v0
	v_lshrrev_b32_e32 v2, 4, v0
	v_and_or_b32 v3, v1, s20, 0.5
	v_or_b32_e32 v2, 0x70000000, v2
	v_add_f32_e32 v3, -0.5, v3
	v_mul_f32_e32 v2, 0x7800000, v2
	v_cmp_gt_u32_e32 vcc, s21, v0
	v_bfe_i32 v1, v1, 0, 16
	v_cndmask_b32_e32 v0, v2, v3, vcc
	s_brev_b32 s20, 1
	v_and_or_b32 v0, v1, s20, v0
	v_cvt_f64_f32_e32 v[0:1], v0
.LBB126_1267:
	s_mov_b64 s[20:21], 0
	s_mov_b64 s[22:23], -1
.LBB126_1268:
	s_andn2_b64 vcc, exec, s[20:21]
	s_mov_b64 s[20:21], 0
	s_cbranch_vccnz .LBB126_1277
; %bb.1269:
	s_cmp_gt_i32 s34, 14
	s_cbranch_scc0 .LBB126_1272
; %bb.1270:
	s_cmp_eq_u32 s34, 15
	s_cbranch_scc0 .LBB126_1273
; %bb.1271:
	global_load_ushort v0, v[4:5], off
	s_mov_b64 s[0:1], 0
	s_mov_b64 s[22:23], -1
	s_waitcnt vmcnt(0)
	v_lshlrev_b32_e32 v0, 16, v0
	v_cvt_f64_f32_e32 v[0:1], v0
	s_branch .LBB126_1274
.LBB126_1272:
	s_mov_b64 s[26:27], -1
                                        ; implicit-def: $vgpr0_vgpr1
	s_branch .LBB126_1275
.LBB126_1273:
	s_mov_b64 s[0:1], -1
                                        ; implicit-def: $vgpr0_vgpr1
.LBB126_1274:
	s_mov_b64 s[26:27], 0
.LBB126_1275:
	s_and_b64 vcc, exec, s[26:27]
	s_cbranch_vccz .LBB126_1277
; %bb.1276:
	s_cmp_lg_u32 s34, 11
	s_mov_b64 s[20:21], -1
	s_cselect_b64 s[0:1], -1, 0
.LBB126_1277:
	v_mov_b32_e32 v2, 0
	v_mov_b32_e32 v3, 0
.LBB126_1278:
	s_and_b64 vcc, exec, s[0:1]
	s_cbranch_vccnz .LBB126_1359
; %bb.1279:
	s_andn2_b64 vcc, exec, s[20:21]
	s_cbranch_vccnz .LBB126_1281
.LBB126_1280:
	global_load_ubyte v1, v[4:5], off
	v_mov_b32_e32 v8, 0x3ff00000
	v_mov_b32_e32 v2, 0
	;; [unrolled: 1-line block ×4, first 2 shown]
	s_mov_b64 s[22:23], -1
	s_waitcnt vmcnt(0)
	v_cmp_ne_u16_e32 vcc, 0, v1
	v_cndmask_b32_e32 v1, 0, v8, vcc
.LBB126_1281:
	s_branch .LBB126_1204
.LBB126_1282:
	s_cmp_lt_i32 s34, 5
	s_cbranch_scc1 .LBB126_1287
; %bb.1283:
	s_cmp_lt_i32 s34, 8
	s_cbranch_scc1 .LBB126_1289
; %bb.1284:
	s_cmp_lt_i32 s34, 9
	s_cbranch_scc1 .LBB126_1290
; %bb.1285:
	s_cmp_gt_i32 s34, 9
	s_cbranch_scc0 .LBB126_1291
; %bb.1286:
	global_load_dwordx4 v[0:3], v[4:5], off
	s_mov_b64 s[0:1], 0
	s_branch .LBB126_1292
.LBB126_1287:
                                        ; implicit-def: $vgpr2_vgpr3
	s_branch .LBB126_1311
.LBB126_1288:
	s_branch .LBB126_1331
.LBB126_1289:
	s_mov_b64 s[0:1], -1
                                        ; implicit-def: $vgpr2_vgpr3
	s_branch .LBB126_1298
.LBB126_1290:
	s_mov_b64 s[0:1], -1
                                        ; implicit-def: $vgpr2_vgpr3
	s_branch .LBB126_1295
.LBB126_1291:
	s_mov_b64 s[0:1], -1
                                        ; implicit-def: $vgpr2_vgpr3
.LBB126_1292:
	s_andn2_b64 vcc, exec, s[0:1]
	s_cbranch_vccnz .LBB126_1294
; %bb.1293:
	global_load_dwordx2 v[1:2], v[4:5], off
	s_waitcnt vmcnt(0)
	v_cvt_f64_f32_e32 v[0:1], v1
	v_cvt_f64_f32_e32 v[2:3], v2
.LBB126_1294:
	s_mov_b64 s[0:1], 0
.LBB126_1295:
	s_andn2_b64 vcc, exec, s[0:1]
	s_cbranch_vccnz .LBB126_1297
; %bb.1296:
	global_load_dword v0, v[4:5], off
	s_waitcnt vmcnt(0)
	v_cvt_f32_f16_e32 v1, v0
	v_cvt_f32_f16_sdwa v2, v0 dst_sel:DWORD dst_unused:UNUSED_PAD src0_sel:WORD_1
	v_cvt_f64_f32_e32 v[0:1], v1
	v_cvt_f64_f32_e32 v[2:3], v2
.LBB126_1297:
	s_mov_b64 s[0:1], 0
.LBB126_1298:
	s_andn2_b64 vcc, exec, s[0:1]
	s_cbranch_vccnz .LBB126_1310
; %bb.1299:
	s_cmp_lt_i32 s34, 6
	s_cbranch_scc1 .LBB126_1302
; %bb.1300:
	s_cmp_gt_i32 s34, 6
	s_cbranch_scc0 .LBB126_1303
; %bb.1301:
	global_load_dwordx2 v[0:1], v[4:5], off
	s_mov_b64 s[0:1], 0
	s_branch .LBB126_1304
.LBB126_1302:
	s_mov_b64 s[0:1], -1
                                        ; implicit-def: $vgpr0_vgpr1
	s_branch .LBB126_1307
.LBB126_1303:
	s_mov_b64 s[0:1], -1
                                        ; implicit-def: $vgpr0_vgpr1
.LBB126_1304:
	s_andn2_b64 vcc, exec, s[0:1]
	s_cbranch_vccnz .LBB126_1306
; %bb.1305:
	global_load_dword v0, v[4:5], off
	s_waitcnt vmcnt(0)
	v_cvt_f64_f32_e32 v[0:1], v0
.LBB126_1306:
	s_mov_b64 s[0:1], 0
.LBB126_1307:
	s_andn2_b64 vcc, exec, s[0:1]
	s_cbranch_vccnz .LBB126_1309
; %bb.1308:
	global_load_ushort v0, v[4:5], off
	s_waitcnt vmcnt(0)
	v_cvt_f32_f16_e32 v0, v0
	v_cvt_f64_f32_e32 v[0:1], v0
.LBB126_1309:
	s_waitcnt vmcnt(0)
	v_mov_b32_e32 v2, 0
	v_mov_b32_e32 v3, 0
.LBB126_1310:
	s_cbranch_execnz .LBB126_1288
.LBB126_1311:
	s_cmp_lt_i32 s34, 2
	s_cbranch_scc1 .LBB126_1315
; %bb.1312:
	s_cmp_lt_i32 s34, 3
	s_cbranch_scc1 .LBB126_1316
; %bb.1313:
	s_cmp_gt_i32 s34, 3
	s_cbranch_scc0 .LBB126_1317
; %bb.1314:
	global_load_dwordx2 v[0:1], v[4:5], off
	s_mov_b64 s[0:1], 0
	s_waitcnt vmcnt(0)
	v_cvt_f64_i32_e32 v[1:2], v1
	v_cvt_f64_u32_e32 v[8:9], v0
	v_ldexp_f64 v[1:2], v[1:2], 32
	v_add_f64 v[0:1], v[1:2], v[8:9]
	s_branch .LBB126_1318
.LBB126_1315:
	s_mov_b64 s[0:1], -1
                                        ; implicit-def: $vgpr0_vgpr1
	s_branch .LBB126_1324
.LBB126_1316:
	s_mov_b64 s[0:1], -1
                                        ; implicit-def: $vgpr0_vgpr1
	s_branch .LBB126_1321
.LBB126_1317:
	s_mov_b64 s[0:1], -1
                                        ; implicit-def: $vgpr0_vgpr1
.LBB126_1318:
	s_andn2_b64 vcc, exec, s[0:1]
	s_cbranch_vccnz .LBB126_1320
; %bb.1319:
	global_load_dword v0, v[4:5], off
	s_waitcnt vmcnt(0)
	v_cvt_f64_i32_e32 v[0:1], v0
.LBB126_1320:
	s_mov_b64 s[0:1], 0
.LBB126_1321:
	s_andn2_b64 vcc, exec, s[0:1]
	s_cbranch_vccnz .LBB126_1323
; %bb.1322:
	global_load_sshort v0, v[4:5], off
	s_waitcnt vmcnt(0)
	v_cvt_f64_i32_e32 v[0:1], v0
.LBB126_1323:
	s_mov_b64 s[0:1], 0
.LBB126_1324:
	s_andn2_b64 vcc, exec, s[0:1]
	s_cbranch_vccnz .LBB126_1330
; %bb.1325:
	s_cmp_gt_i32 s34, 0
	s_cbranch_scc0 .LBB126_1327
; %bb.1326:
	global_load_sbyte v0, v[4:5], off
	s_mov_b64 s[0:1], 0
	s_waitcnt vmcnt(0)
	v_cvt_f64_i32_e32 v[0:1], v0
	s_branch .LBB126_1328
.LBB126_1327:
	s_mov_b64 s[0:1], -1
                                        ; implicit-def: $vgpr0_vgpr1
.LBB126_1328:
	s_andn2_b64 vcc, exec, s[0:1]
	s_cbranch_vccnz .LBB126_1330
; %bb.1329:
	global_load_ubyte v0, v[4:5], off
	s_waitcnt vmcnt(0)
	v_cvt_f64_u32_e32 v[0:1], v0
.LBB126_1330:
	s_waitcnt vmcnt(0)
	v_mov_b32_e32 v2, 0
	v_mov_b32_e32 v3, 0
.LBB126_1331:
	s_and_b64 vcc, exec, s[24:25]
	s_cbranch_vccz .LBB126_1343
; %bb.1332:
	s_waitcnt vmcnt(0)
	v_cmp_neq_f64_e32 vcc, s[12:13], v[0:1]
	v_cmp_neq_f64_e64 s[0:1], s[14:15], v[2:3]
	s_or_b64 s[20:21], vcc, s[0:1]
	s_cbranch_execnz .LBB126_1334
.LBB126_1333:
	s_waitcnt vmcnt(0)
	v_cmp_eq_f64_e32 vcc, s[12:13], v[0:1]
	v_cmp_eq_f64_e64 s[0:1], s[14:15], v[2:3]
	s_andn2_b64 s[20:21], s[20:21], exec
	s_and_b64 s[0:1], vcc, s[0:1]
	s_and_b64 s[0:1], s[0:1], exec
	s_or_b64 s[20:21], s[20:21], s[0:1]
.LBB126_1334:
	v_add_u32_e32 v7, s3, v7
	s_waitcnt vmcnt(0)
	v_ashrrev_i32_e32 v0, 31, v7
	v_mov_b32_e32 v1, s11
	v_add_co_u32_e32 v4, vcc, s10, v7
	s_cmp_lt_i32 s34, 11
	v_addc_co_u32_e32 v5, vcc, v1, v0, vcc
	s_cbranch_scc1 .LBB126_1341
; %bb.1335:
	s_cmp_gt_i32 s34, 25
	s_mov_b64 s[22:23], 0
	s_cbranch_scc0 .LBB126_1344
; %bb.1336:
	s_cmp_gt_i32 s34, 28
	s_cbranch_scc0 .LBB126_1355
; %bb.1337:
	s_cmp_gt_i32 s34, 43
	;; [unrolled: 3-line block ×3, first 2 shown]
	s_cbranch_scc0 .LBB126_1360
; %bb.1339:
	s_cmp_eq_u32 s34, 46
	s_mov_b64 s[28:29], 0
	s_cbranch_scc0 .LBB126_1418
; %bb.1340:
	global_load_dword v0, v[4:5], off
	s_mov_b64 s[0:1], 0
	s_mov_b64 s[26:27], -1
	s_waitcnt vmcnt(0)
	v_and_b32_e32 v2, 0xffff0000, v0
	v_lshlrev_b32_e32 v0, 16, v0
	v_cvt_f64_f32_e32 v[0:1], v0
	v_cvt_f64_f32_e32 v[2:3], v2
	s_branch .LBB126_1419
.LBB126_1341:
	s_mov_b64 s[26:27], 0
                                        ; implicit-def: $vgpr2_vgpr3
	s_cbranch_execnz .LBB126_1349
.LBB126_1342:
	s_andn2_b64 vcc, exec, s[26:27]
	s_cbranch_vccnz .LBB126_1610
	s_branch .LBB126_1403
.LBB126_1343:
                                        ; implicit-def: $sgpr20_sgpr21
	s_branch .LBB126_1333
.LBB126_1344:
	s_mov_b64 s[26:27], 0
	s_mov_b64 s[0:1], 0
                                        ; implicit-def: $vgpr2_vgpr3
	s_cbranch_execnz .LBB126_1453
.LBB126_1345:
	s_and_b64 vcc, exec, s[0:1]
	s_cbranch_vccnz .LBB126_1484
.LBB126_1346:
	s_andn2_b64 vcc, exec, s[22:23]
	s_cbranch_vccnz .LBB126_1348
.LBB126_1347:
	global_load_ubyte v1, v[4:5], off
	v_mov_b32_e32 v8, 0x3ff00000
	v_mov_b32_e32 v2, 0
	v_mov_b32_e32 v0, 0
	v_mov_b32_e32 v3, 0
	s_mov_b64 s[26:27], -1
	s_waitcnt vmcnt(0)
	v_cmp_ne_u16_e32 vcc, 0, v1
	v_cndmask_b32_e32 v1, 0, v8, vcc
.LBB126_1348:
	s_branch .LBB126_1342
.LBB126_1349:
	s_cmp_lt_i32 s34, 5
	s_cbranch_scc1 .LBB126_1354
; %bb.1350:
	s_cmp_lt_i32 s34, 8
	s_cbranch_scc1 .LBB126_1356
; %bb.1351:
	;; [unrolled: 3-line block ×3, first 2 shown]
	s_cmp_gt_i32 s34, 9
	s_cbranch_scc0 .LBB126_1361
; %bb.1353:
	global_load_dwordx4 v[0:3], v[4:5], off
	s_mov_b64 s[0:1], 0
	s_branch .LBB126_1362
.LBB126_1354:
	s_mov_b64 s[0:1], -1
                                        ; implicit-def: $vgpr2_vgpr3
	s_branch .LBB126_1381
.LBB126_1355:
	s_mov_b64 s[28:29], -1
	s_mov_b64 s[26:27], 0
	s_mov_b64 s[0:1], 0
                                        ; implicit-def: $vgpr2_vgpr3
	s_branch .LBB126_1432
.LBB126_1356:
	s_mov_b64 s[0:1], -1
                                        ; implicit-def: $vgpr2_vgpr3
	s_branch .LBB126_1368
.LBB126_1357:
	s_mov_b64 s[28:29], -1
	s_mov_b64 s[26:27], 0
	s_mov_b64 s[0:1], 0
                                        ; implicit-def: $vgpr2_vgpr3
	s_branch .LBB126_1426
.LBB126_1358:
	s_mov_b64 s[0:1], -1
                                        ; implicit-def: $vgpr2_vgpr3
	s_branch .LBB126_1365
.LBB126_1359:
	s_trap 2
	s_or_b64 s[18:19], s[18:19], exec
	s_cbranch_execz .LBB126_1280
	s_branch .LBB126_1281
.LBB126_1360:
	s_mov_b64 s[28:29], -1
	s_mov_b64 s[26:27], 0
	s_mov_b64 s[0:1], 0
                                        ; implicit-def: $vgpr2_vgpr3
	s_branch .LBB126_1419
.LBB126_1361:
	s_mov_b64 s[0:1], -1
                                        ; implicit-def: $vgpr2_vgpr3
.LBB126_1362:
	s_andn2_b64 vcc, exec, s[0:1]
	s_cbranch_vccnz .LBB126_1364
; %bb.1363:
	global_load_dwordx2 v[1:2], v[4:5], off
	s_waitcnt vmcnt(0)
	v_cvt_f64_f32_e32 v[0:1], v1
	v_cvt_f64_f32_e32 v[2:3], v2
.LBB126_1364:
	s_mov_b64 s[0:1], 0
.LBB126_1365:
	s_andn2_b64 vcc, exec, s[0:1]
	s_cbranch_vccnz .LBB126_1367
; %bb.1366:
	global_load_dword v0, v[4:5], off
	s_waitcnt vmcnt(0)
	v_cvt_f32_f16_e32 v1, v0
	v_cvt_f32_f16_sdwa v2, v0 dst_sel:DWORD dst_unused:UNUSED_PAD src0_sel:WORD_1
	v_cvt_f64_f32_e32 v[0:1], v1
	v_cvt_f64_f32_e32 v[2:3], v2
.LBB126_1367:
	s_mov_b64 s[0:1], 0
.LBB126_1368:
	s_andn2_b64 vcc, exec, s[0:1]
	s_cbranch_vccnz .LBB126_1380
; %bb.1369:
	s_cmp_lt_i32 s34, 6
	s_cbranch_scc1 .LBB126_1372
; %bb.1370:
	s_cmp_gt_i32 s34, 6
	s_cbranch_scc0 .LBB126_1373
; %bb.1371:
	global_load_dwordx2 v[0:1], v[4:5], off
	s_mov_b64 s[0:1], 0
	s_branch .LBB126_1374
.LBB126_1372:
	s_mov_b64 s[0:1], -1
                                        ; implicit-def: $vgpr0_vgpr1
	s_branch .LBB126_1377
.LBB126_1373:
	s_mov_b64 s[0:1], -1
                                        ; implicit-def: $vgpr0_vgpr1
.LBB126_1374:
	s_andn2_b64 vcc, exec, s[0:1]
	s_cbranch_vccnz .LBB126_1376
; %bb.1375:
	global_load_dword v0, v[4:5], off
	s_waitcnt vmcnt(0)
	v_cvt_f64_f32_e32 v[0:1], v0
.LBB126_1376:
	s_mov_b64 s[0:1], 0
.LBB126_1377:
	s_andn2_b64 vcc, exec, s[0:1]
	s_cbranch_vccnz .LBB126_1379
; %bb.1378:
	global_load_ushort v0, v[4:5], off
	s_waitcnt vmcnt(0)
	v_cvt_f32_f16_e32 v0, v0
	v_cvt_f64_f32_e32 v[0:1], v0
.LBB126_1379:
	s_waitcnt vmcnt(0)
	v_mov_b32_e32 v2, 0
	v_mov_b32_e32 v3, 0
.LBB126_1380:
	s_mov_b64 s[0:1], 0
.LBB126_1381:
	s_andn2_b64 vcc, exec, s[0:1]
	s_cbranch_vccnz .LBB126_1402
; %bb.1382:
	s_cmp_lt_i32 s34, 2
	s_cbranch_scc1 .LBB126_1386
; %bb.1383:
	s_cmp_lt_i32 s34, 3
	s_cbranch_scc1 .LBB126_1387
; %bb.1384:
	s_cmp_gt_i32 s34, 3
	s_cbranch_scc0 .LBB126_1388
; %bb.1385:
	global_load_dwordx2 v[0:1], v[4:5], off
	s_mov_b64 s[0:1], 0
	s_waitcnt vmcnt(0)
	v_cvt_f64_i32_e32 v[1:2], v1
	v_cvt_f64_u32_e32 v[8:9], v0
	v_ldexp_f64 v[1:2], v[1:2], 32
	v_add_f64 v[0:1], v[1:2], v[8:9]
	s_branch .LBB126_1389
.LBB126_1386:
	s_mov_b64 s[0:1], -1
                                        ; implicit-def: $vgpr0_vgpr1
	s_branch .LBB126_1395
.LBB126_1387:
	s_mov_b64 s[0:1], -1
                                        ; implicit-def: $vgpr0_vgpr1
	s_branch .LBB126_1392
.LBB126_1388:
	s_mov_b64 s[0:1], -1
                                        ; implicit-def: $vgpr0_vgpr1
.LBB126_1389:
	s_andn2_b64 vcc, exec, s[0:1]
	s_cbranch_vccnz .LBB126_1391
; %bb.1390:
	global_load_dword v0, v[4:5], off
	s_waitcnt vmcnt(0)
	v_cvt_f64_i32_e32 v[0:1], v0
.LBB126_1391:
	s_mov_b64 s[0:1], 0
.LBB126_1392:
	s_andn2_b64 vcc, exec, s[0:1]
	s_cbranch_vccnz .LBB126_1394
; %bb.1393:
	global_load_sshort v0, v[4:5], off
	s_waitcnt vmcnt(0)
	v_cvt_f64_i32_e32 v[0:1], v0
.LBB126_1394:
	s_mov_b64 s[0:1], 0
.LBB126_1395:
	s_andn2_b64 vcc, exec, s[0:1]
	s_cbranch_vccnz .LBB126_1401
; %bb.1396:
	s_cmp_gt_i32 s34, 0
	s_cbranch_scc0 .LBB126_1398
; %bb.1397:
	global_load_sbyte v0, v[4:5], off
	s_mov_b64 s[0:1], 0
	s_waitcnt vmcnt(0)
	v_cvt_f64_i32_e32 v[0:1], v0
	s_branch .LBB126_1399
.LBB126_1398:
	s_mov_b64 s[0:1], -1
                                        ; implicit-def: $vgpr0_vgpr1
.LBB126_1399:
	s_andn2_b64 vcc, exec, s[0:1]
	s_cbranch_vccnz .LBB126_1401
; %bb.1400:
	global_load_ubyte v0, v[4:5], off
	s_waitcnt vmcnt(0)
	v_cvt_f64_u32_e32 v[0:1], v0
.LBB126_1401:
	s_waitcnt vmcnt(0)
	v_mov_b32_e32 v2, 0
	v_mov_b32_e32 v3, 0
.LBB126_1402:
.LBB126_1403:
	s_and_b64 vcc, exec, s[24:25]
	s_cbranch_vccz .LBB126_1414
; %bb.1404:
	s_waitcnt vmcnt(0)
	v_cmp_neq_f64_e32 vcc, s[12:13], v[0:1]
	v_cmp_neq_f64_e64 s[0:1], s[14:15], v[2:3]
	s_or_b64 s[22:23], vcc, s[0:1]
	s_cbranch_execnz .LBB126_1406
.LBB126_1405:
	s_waitcnt vmcnt(0)
	v_cmp_eq_f64_e32 vcc, s[12:13], v[0:1]
	v_cmp_eq_f64_e64 s[0:1], s[14:15], v[2:3]
	s_andn2_b64 s[22:23], s[22:23], exec
	s_and_b64 s[0:1], vcc, s[0:1]
	s_and_b64 s[0:1], s[0:1], exec
	s_or_b64 s[22:23], s[22:23], s[0:1]
.LBB126_1406:
	s_waitcnt vmcnt(0)
	v_add_u32_e32 v0, s3, v7
	v_ashrrev_i32_e32 v1, 31, v0
	v_mov_b32_e32 v2, s11
	v_add_co_u32_e32 v4, vcc, s10, v0
	s_cmp_lt_i32 s34, 11
	v_addc_co_u32_e32 v5, vcc, v2, v1, vcc
	s_cbranch_scc1 .LBB126_1413
; %bb.1407:
	s_cmp_gt_i32 s34, 25
	s_mov_b64 s[10:11], 0
	s_cbranch_scc0 .LBB126_1415
; %bb.1408:
	s_cmp_gt_i32 s34, 28
	s_cbranch_scc0 .LBB126_1416
; %bb.1409:
	s_cmp_gt_i32 s34, 43
	s_cbranch_scc0 .LBB126_1417
; %bb.1410:
	s_cmp_gt_i32 s34, 45
	s_cbranch_scc0 .LBB126_1422
; %bb.1411:
	s_cmp_eq_u32 s34, 46
	s_mov_b64 s[28:29], 0
	s_cbranch_scc0 .LBB126_1485
; %bb.1412:
	global_load_dword v0, v[4:5], off
	s_mov_b64 s[0:1], 0
	s_mov_b64 s[26:27], -1
	s_waitcnt vmcnt(0)
	v_and_b32_e32 v2, 0xffff0000, v0
	v_lshlrev_b32_e32 v0, 16, v0
	v_cvt_f64_f32_e32 v[0:1], v0
	v_cvt_f64_f32_e32 v[2:3], v2
	s_branch .LBB126_1486
.LBB126_1413:
	s_mov_b64 s[0:1], -1
	s_mov_b64 s[26:27], 0
                                        ; implicit-def: $vgpr2_vgpr3
	s_branch .LBB126_1536
.LBB126_1414:
                                        ; implicit-def: $sgpr22_sgpr23
	s_branch .LBB126_1405
.LBB126_1415:
	s_mov_b64 s[28:29], -1
	s_mov_b64 s[26:27], 0
	s_mov_b64 s[0:1], 0
                                        ; implicit-def: $vgpr2_vgpr3
	s_branch .LBB126_1519
.LBB126_1416:
	s_mov_b64 s[28:29], -1
	s_mov_b64 s[26:27], 0
	s_mov_b64 s[0:1], 0
                                        ; implicit-def: $vgpr2_vgpr3
	s_branch .LBB126_1498
.LBB126_1417:
	s_mov_b64 s[28:29], -1
	s_mov_b64 s[26:27], 0
	s_mov_b64 s[0:1], 0
                                        ; implicit-def: $vgpr2_vgpr3
	s_branch .LBB126_1492
.LBB126_1418:
	s_mov_b64 s[0:1], -1
                                        ; implicit-def: $vgpr2_vgpr3
	s_mov_b64 s[26:27], 0
.LBB126_1419:
	s_and_b64 vcc, exec, s[28:29]
	s_cbranch_vccz .LBB126_1425
; %bb.1420:
	s_cmp_eq_u32 s34, 44
	s_cbranch_scc0 .LBB126_1423
; %bb.1421:
	global_load_ubyte v2, v[4:5], off
	s_movk_i32 s26, 0xff
	v_bfrev_b32_e32 v3, 4
	v_mov_b32_e32 v8, 0x7ff80000
	v_bfrev_b32_e32 v9, 28
	s_mov_b64 s[0:1], 0
	s_waitcnt vmcnt(0)
	v_lshlrev_b32_e32 v0, 23, v2
	v_cvt_f64_f32_e32 v[0:1], v0
	v_cmp_ne_u32_e32 vcc, s26, v2
	s_mov_b64 s[26:27], -1
	v_cndmask_b32_e32 v0, v3, v0, vcc
	v_cndmask_b32_e32 v1, v8, v1, vcc
	v_cmp_ne_u32_e32 vcc, 0, v2
	v_cndmask_b32_e32 v1, v9, v1, vcc
	v_cndmask_b32_e32 v0, 0, v0, vcc
	s_branch .LBB126_1424
.LBB126_1422:
	s_mov_b64 s[28:29], -1
	s_mov_b64 s[26:27], 0
	s_mov_b64 s[0:1], 0
                                        ; implicit-def: $vgpr2_vgpr3
	s_branch .LBB126_1486
.LBB126_1423:
	s_mov_b64 s[0:1], -1
                                        ; implicit-def: $vgpr0_vgpr1
.LBB126_1424:
	v_mov_b32_e32 v2, 0
	v_mov_b32_e32 v3, 0
.LBB126_1425:
	s_mov_b64 s[28:29], 0
.LBB126_1426:
	s_and_b64 vcc, exec, s[28:29]
	s_cbranch_vccz .LBB126_1431
; %bb.1427:
	s_cmp_eq_u32 s34, 29
	s_cbranch_scc0 .LBB126_1429
; %bb.1428:
	global_load_dwordx2 v[0:1], v[4:5], off
	s_mov_b64 s[0:1], 0
	s_mov_b64 s[26:27], -1
	s_waitcnt vmcnt(0)
	v_cvt_f64_u32_e32 v[1:2], v1
	v_cvt_f64_u32_e32 v[8:9], v0
	v_ldexp_f64 v[1:2], v[1:2], 32
	v_add_f64 v[0:1], v[1:2], v[8:9]
	s_branch .LBB126_1430
.LBB126_1429:
	s_mov_b64 s[0:1], -1
                                        ; implicit-def: $vgpr0_vgpr1
.LBB126_1430:
	v_mov_b32_e32 v2, 0
	v_mov_b32_e32 v3, 0
.LBB126_1431:
	s_mov_b64 s[28:29], 0
.LBB126_1432:
	s_and_b64 vcc, exec, s[28:29]
	s_cbranch_vccz .LBB126_1452
; %bb.1433:
	s_cmp_lt_i32 s34, 27
	s_cbranch_scc1 .LBB126_1436
; %bb.1434:
	s_cmp_gt_i32 s34, 27
	s_cbranch_scc0 .LBB126_1437
; %bb.1435:
	global_load_dword v0, v[4:5], off
	s_mov_b64 s[26:27], 0
	s_waitcnt vmcnt(0)
	v_cvt_f64_u32_e32 v[0:1], v0
	s_branch .LBB126_1438
.LBB126_1436:
	s_mov_b64 s[26:27], -1
                                        ; implicit-def: $vgpr0_vgpr1
	s_branch .LBB126_1441
.LBB126_1437:
	s_mov_b64 s[26:27], -1
                                        ; implicit-def: $vgpr0_vgpr1
.LBB126_1438:
	s_andn2_b64 vcc, exec, s[26:27]
	s_cbranch_vccnz .LBB126_1440
; %bb.1439:
	global_load_ushort v0, v[4:5], off
	s_waitcnt vmcnt(0)
	v_cvt_f64_u32_e32 v[0:1], v0
.LBB126_1440:
	s_mov_b64 s[26:27], 0
.LBB126_1441:
	s_andn2_b64 vcc, exec, s[26:27]
	s_cbranch_vccnz .LBB126_1451
; %bb.1442:
	global_load_ubyte v2, v[4:5], off
	s_movk_i32 s26, 0x7f
	s_waitcnt vmcnt(0)
	v_cmp_lt_i16_e32 vcc, s26, v2
	s_mov_b64 s[26:27], 0
	s_and_saveexec_b64 s[28:29], vcc
	s_xor_b64 s[28:29], exec, s[28:29]
	s_cbranch_execz .LBB126_1446
; %bb.1443:
	s_movk_i32 s26, 0x80
	v_cmp_eq_u16_e32 vcc, s26, v2
	s_mov_b64 s[26:27], -1
	s_and_saveexec_b64 s[30:31], vcc
; %bb.1444:
	s_xor_b64 s[26:27], exec, -1
; %bb.1445:
	s_or_b64 exec, exec, s[30:31]
	s_and_b64 s[26:27], s[26:27], exec
.LBB126_1446:
	s_or_saveexec_b64 s[28:29], s[28:29]
	v_bfrev_b32_e32 v0, 4
	v_mov_b32_e32 v1, 0x7ff80000
	s_xor_b64 exec, exec, s[28:29]
; %bb.1447:
	v_cmp_ne_u16_e32 vcc, 0, v2
	v_mov_b32_e32 v0, 0
	s_andn2_b64 s[26:27], s[26:27], exec
	s_and_b64 s[30:31], vcc, exec
	v_mov_b32_e32 v1, 0
	s_or_b64 s[26:27], s[26:27], s[30:31]
; %bb.1448:
	s_or_b64 exec, exec, s[28:29]
	s_and_saveexec_b64 s[28:29], s[26:27]
	s_cbranch_execz .LBB126_1450
; %bb.1449:
	v_and_b32_e32 v1, 0xffff, v2
	v_lshlrev_b32_e32 v0, 24, v2
	v_and_b32_e32 v2, 7, v1
	v_ffbh_u32_e32 v8, v2
	v_min_u32_e32 v8, 32, v8
	v_subrev_u32_e32 v9, 28, v8
	v_bfe_u32 v3, v1, 3, 4
	v_lshlrev_b32_e32 v1, v9, v1
	v_sub_u32_e32 v8, 29, v8
	v_and_b32_e32 v1, 7, v1
	v_cmp_eq_u32_e32 vcc, 0, v3
	v_cndmask_b32_e32 v3, v3, v8, vcc
	v_cndmask_b32_e32 v1, v2, v1, vcc
	v_mov_b32_e32 v2, 0x3b800000
	v_lshlrev_b32_e32 v1, 20, v1
	v_and_b32_e32 v0, 0x80000000, v0
	v_lshl_add_u32 v2, v3, 23, v2
	v_or3_b32 v0, v0, v2, v1
	v_cvt_f64_f32_e32 v[0:1], v0
.LBB126_1450:
	s_or_b64 exec, exec, s[28:29]
.LBB126_1451:
	v_mov_b32_e32 v2, 0
	v_mov_b32_e32 v3, 0
	s_mov_b64 s[26:27], -1
.LBB126_1452:
	s_branch .LBB126_1345
.LBB126_1453:
	s_cmp_gt_i32 s34, 22
	s_cbranch_scc0 .LBB126_1465
; %bb.1454:
	s_cmp_lt_i32 s34, 24
	s_cbranch_scc1 .LBB126_1466
; %bb.1455:
	s_cmp_gt_i32 s34, 24
	s_cbranch_scc0 .LBB126_1467
; %bb.1456:
	global_load_ubyte v2, v[4:5], off
	s_movk_i32 s22, 0x7f
	s_waitcnt vmcnt(0)
	v_cmp_lt_i16_e32 vcc, s22, v2
	s_mov_b64 s[22:23], 0
	s_and_saveexec_b64 s[26:27], vcc
	s_xor_b64 s[26:27], exec, s[26:27]
	s_cbranch_execz .LBB126_1460
; %bb.1457:
	s_movk_i32 s22, 0x80
	v_cmp_eq_u16_e32 vcc, s22, v2
	s_mov_b64 s[22:23], -1
	s_and_saveexec_b64 s[28:29], vcc
; %bb.1458:
	s_xor_b64 s[22:23], exec, -1
; %bb.1459:
	s_or_b64 exec, exec, s[28:29]
	s_and_b64 s[22:23], s[22:23], exec
.LBB126_1460:
	s_or_saveexec_b64 s[26:27], s[26:27]
	v_bfrev_b32_e32 v0, 4
	v_mov_b32_e32 v1, 0x7ff80000
	s_xor_b64 exec, exec, s[26:27]
; %bb.1461:
	v_cmp_ne_u16_e32 vcc, 0, v2
	v_mov_b32_e32 v0, 0
	s_andn2_b64 s[22:23], s[22:23], exec
	s_and_b64 s[28:29], vcc, exec
	v_mov_b32_e32 v1, 0
	s_or_b64 s[22:23], s[22:23], s[28:29]
; %bb.1462:
	s_or_b64 exec, exec, s[26:27]
	s_and_saveexec_b64 s[26:27], s[22:23]
	s_cbranch_execz .LBB126_1464
; %bb.1463:
	v_and_b32_e32 v1, 0xffff, v2
	v_lshlrev_b32_e32 v0, 24, v2
	v_and_b32_e32 v2, 3, v1
	v_ffbh_u32_e32 v8, v2
	v_min_u32_e32 v8, 32, v8
	v_subrev_u32_e32 v9, 29, v8
	v_bfe_u32 v3, v1, 2, 5
	v_lshlrev_b32_e32 v1, v9, v1
	v_sub_u32_e32 v8, 30, v8
	v_and_b32_e32 v1, 3, v1
	v_cmp_eq_u32_e32 vcc, 0, v3
	v_cndmask_b32_e32 v3, v3, v8, vcc
	v_cndmask_b32_e32 v1, v2, v1, vcc
	v_mov_b32_e32 v2, 0x37800000
	v_lshlrev_b32_e32 v1, 21, v1
	v_and_b32_e32 v0, 0x80000000, v0
	v_lshl_add_u32 v2, v3, 23, v2
	v_or3_b32 v0, v0, v2, v1
	v_cvt_f64_f32_e32 v[0:1], v0
.LBB126_1464:
	s_or_b64 exec, exec, s[26:27]
	s_mov_b64 s[22:23], 0
	s_branch .LBB126_1468
.LBB126_1465:
	s_mov_b64 s[22:23], -1
                                        ; implicit-def: $vgpr0_vgpr1
	s_branch .LBB126_1474
.LBB126_1466:
	s_mov_b64 s[22:23], -1
                                        ; implicit-def: $vgpr0_vgpr1
	s_branch .LBB126_1471
.LBB126_1467:
	s_mov_b64 s[22:23], -1
                                        ; implicit-def: $vgpr0_vgpr1
.LBB126_1468:
	s_and_b64 vcc, exec, s[22:23]
	s_cbranch_vccz .LBB126_1470
; %bb.1469:
	global_load_ubyte v0, v[4:5], off
	s_mov_b32 s22, 0x7f800000
	s_waitcnt vmcnt(0)
	v_lshlrev_b32_e32 v0, 24, v0
	v_and_b32_e32 v1, 0x7f000000, v0
	v_ffbh_u32_e32 v2, v1
	v_min_u32_e32 v2, 32, v2
	v_sub_u32_e64 v2, v2, 4 clamp
	v_lshlrev_b32_e32 v8, v2, v1
	v_lshlrev_b32_e32 v2, 23, v2
	v_lshrrev_b32_e32 v8, 4, v8
	v_add_u32_e32 v3, 0x1000000, v1
	v_sub_u32_e32 v2, v8, v2
	v_ashrrev_i32_e32 v3, 8, v3
	v_add_u32_e32 v2, 0x3c000000, v2
	v_and_or_b32 v2, v3, s22, v2
	v_cmp_ne_u32_e32 vcc, 0, v1
	v_cndmask_b32_e32 v1, 0, v2, vcc
	s_brev_b32 s22, 1
	v_and_or_b32 v0, v0, s22, v1
	v_cvt_f64_f32_e32 v[0:1], v0
.LBB126_1470:
	s_mov_b64 s[22:23], 0
.LBB126_1471:
	s_andn2_b64 vcc, exec, s[22:23]
	s_cbranch_vccnz .LBB126_1473
; %bb.1472:
	global_load_ubyte v0, v[4:5], off
	s_movk_i32 s22, 0x7f00
	s_brev_b32 s23, 16
	s_waitcnt vmcnt(0)
	v_lshlrev_b16_e32 v1, 8, v0
	v_lshlrev_b32_e32 v0, 25, v0
	v_lshrrev_b32_e32 v2, 4, v0
	v_and_or_b32 v3, v1, s22, 0.5
	v_or_b32_e32 v2, 0x70000000, v2
	v_add_f32_e32 v3, -0.5, v3
	v_mul_f32_e32 v2, 0x7800000, v2
	v_cmp_gt_u32_e32 vcc, s23, v0
	v_bfe_i32 v1, v1, 0, 16
	v_cndmask_b32_e32 v0, v2, v3, vcc
	s_brev_b32 s22, 1
	v_and_or_b32 v0, v1, s22, v0
	v_cvt_f64_f32_e32 v[0:1], v0
.LBB126_1473:
	s_mov_b64 s[22:23], 0
	s_mov_b64 s[26:27], -1
.LBB126_1474:
	s_andn2_b64 vcc, exec, s[22:23]
	s_mov_b64 s[22:23], 0
	s_cbranch_vccnz .LBB126_1483
; %bb.1475:
	s_cmp_gt_i32 s34, 14
	s_cbranch_scc0 .LBB126_1478
; %bb.1476:
	s_cmp_eq_u32 s34, 15
	s_cbranch_scc0 .LBB126_1479
; %bb.1477:
	global_load_ushort v0, v[4:5], off
	s_mov_b64 s[0:1], 0
	s_mov_b64 s[26:27], -1
	s_waitcnt vmcnt(0)
	v_lshlrev_b32_e32 v0, 16, v0
	v_cvt_f64_f32_e32 v[0:1], v0
	s_branch .LBB126_1480
.LBB126_1478:
	s_mov_b64 s[28:29], -1
                                        ; implicit-def: $vgpr0_vgpr1
	s_branch .LBB126_1481
.LBB126_1479:
	s_mov_b64 s[0:1], -1
                                        ; implicit-def: $vgpr0_vgpr1
.LBB126_1480:
	s_mov_b64 s[28:29], 0
.LBB126_1481:
	s_and_b64 vcc, exec, s[28:29]
	s_cbranch_vccz .LBB126_1483
; %bb.1482:
	s_cmp_lg_u32 s34, 11
	s_mov_b64 s[22:23], -1
	s_cselect_b64 s[0:1], -1, 0
.LBB126_1483:
	v_mov_b32_e32 v2, 0
	v_mov_b32_e32 v3, 0
	s_and_b64 vcc, exec, s[0:1]
	s_cbranch_vccz .LBB126_1346
.LBB126_1484:
	s_trap 2
	s_or_b64 s[18:19], s[18:19], exec
	s_cbranch_execz .LBB126_1347
	s_branch .LBB126_1348
.LBB126_1485:
	s_mov_b64 s[0:1], -1
                                        ; implicit-def: $vgpr2_vgpr3
	s_mov_b64 s[26:27], 0
.LBB126_1486:
	s_and_b64 vcc, exec, s[28:29]
	s_cbranch_vccz .LBB126_1491
; %bb.1487:
	s_cmp_eq_u32 s34, 44
	s_cbranch_scc0 .LBB126_1489
; %bb.1488:
	global_load_ubyte v2, v[4:5], off
	s_movk_i32 s3, 0xff
	v_bfrev_b32_e32 v3, 4
	v_mov_b32_e32 v7, 0x7ff80000
	v_bfrev_b32_e32 v8, 28
	s_mov_b64 s[0:1], 0
	s_mov_b64 s[26:27], -1
	s_waitcnt vmcnt(0)
	v_lshlrev_b32_e32 v0, 23, v2
	v_cvt_f64_f32_e32 v[0:1], v0
	v_cmp_ne_u32_e32 vcc, s3, v2
	v_cndmask_b32_e32 v0, v3, v0, vcc
	v_cndmask_b32_e32 v1, v7, v1, vcc
	v_cmp_ne_u32_e32 vcc, 0, v2
	v_cndmask_b32_e32 v1, v8, v1, vcc
	v_cndmask_b32_e32 v0, 0, v0, vcc
	s_branch .LBB126_1490
.LBB126_1489:
	s_mov_b64 s[0:1], -1
                                        ; implicit-def: $vgpr0_vgpr1
.LBB126_1490:
	v_mov_b32_e32 v2, 0
	v_mov_b32_e32 v3, 0
.LBB126_1491:
	s_mov_b64 s[28:29], 0
.LBB126_1492:
	s_and_b64 vcc, exec, s[28:29]
	s_cbranch_vccz .LBB126_1497
; %bb.1493:
	s_cmp_eq_u32 s34, 29
	s_cbranch_scc0 .LBB126_1495
; %bb.1494:
	global_load_dwordx2 v[0:1], v[4:5], off
	s_mov_b64 s[0:1], 0
	s_mov_b64 s[26:27], -1
	s_waitcnt vmcnt(0)
	v_cvt_f64_u32_e32 v[1:2], v1
	v_cvt_f64_u32_e32 v[7:8], v0
	v_ldexp_f64 v[1:2], v[1:2], 32
	v_add_f64 v[0:1], v[1:2], v[7:8]
	s_branch .LBB126_1496
.LBB126_1495:
	s_mov_b64 s[0:1], -1
                                        ; implicit-def: $vgpr0_vgpr1
.LBB126_1496:
	v_mov_b32_e32 v2, 0
	v_mov_b32_e32 v3, 0
.LBB126_1497:
	s_mov_b64 s[28:29], 0
.LBB126_1498:
	s_and_b64 vcc, exec, s[28:29]
	s_cbranch_vccz .LBB126_1518
; %bb.1499:
	s_cmp_lt_i32 s34, 27
	s_cbranch_scc1 .LBB126_1502
; %bb.1500:
	s_cmp_gt_i32 s34, 27
	s_cbranch_scc0 .LBB126_1503
; %bb.1501:
	global_load_dword v0, v[4:5], off
	s_mov_b64 s[26:27], 0
	s_waitcnt vmcnt(0)
	v_cvt_f64_u32_e32 v[0:1], v0
	s_branch .LBB126_1504
.LBB126_1502:
	s_mov_b64 s[26:27], -1
                                        ; implicit-def: $vgpr0_vgpr1
	s_branch .LBB126_1507
.LBB126_1503:
	s_mov_b64 s[26:27], -1
                                        ; implicit-def: $vgpr0_vgpr1
.LBB126_1504:
	s_andn2_b64 vcc, exec, s[26:27]
	s_cbranch_vccnz .LBB126_1506
; %bb.1505:
	global_load_ushort v0, v[4:5], off
	s_waitcnt vmcnt(0)
	v_cvt_f64_u32_e32 v[0:1], v0
.LBB126_1506:
	s_mov_b64 s[26:27], 0
.LBB126_1507:
	s_andn2_b64 vcc, exec, s[26:27]
	s_cbranch_vccnz .LBB126_1517
; %bb.1508:
	global_load_ubyte v2, v[4:5], off
	s_movk_i32 s3, 0x7f
	s_mov_b64 s[26:27], 0
	s_waitcnt vmcnt(0)
	v_cmp_lt_i16_e32 vcc, s3, v2
	s_and_saveexec_b64 s[28:29], vcc
	s_xor_b64 s[28:29], exec, s[28:29]
	s_cbranch_execz .LBB126_1512
; %bb.1509:
	s_movk_i32 s3, 0x80
	v_cmp_eq_u16_e32 vcc, s3, v2
	s_mov_b64 s[26:27], -1
	s_and_saveexec_b64 s[30:31], vcc
; %bb.1510:
	s_xor_b64 s[26:27], exec, -1
; %bb.1511:
	s_or_b64 exec, exec, s[30:31]
	s_and_b64 s[26:27], s[26:27], exec
.LBB126_1512:
	s_or_saveexec_b64 s[28:29], s[28:29]
	v_bfrev_b32_e32 v0, 4
	v_mov_b32_e32 v1, 0x7ff80000
	s_xor_b64 exec, exec, s[28:29]
; %bb.1513:
	v_cmp_ne_u16_e32 vcc, 0, v2
	v_mov_b32_e32 v0, 0
	s_andn2_b64 s[26:27], s[26:27], exec
	s_and_b64 s[30:31], vcc, exec
	v_mov_b32_e32 v1, 0
	s_or_b64 s[26:27], s[26:27], s[30:31]
; %bb.1514:
	s_or_b64 exec, exec, s[28:29]
	s_and_saveexec_b64 s[28:29], s[26:27]
	s_cbranch_execz .LBB126_1516
; %bb.1515:
	v_and_b32_e32 v1, 0xffff, v2
	v_lshlrev_b32_e32 v0, 24, v2
	v_and_b32_e32 v2, 7, v1
	v_ffbh_u32_e32 v7, v2
	v_min_u32_e32 v7, 32, v7
	v_subrev_u32_e32 v8, 28, v7
	v_bfe_u32 v3, v1, 3, 4
	v_lshlrev_b32_e32 v1, v8, v1
	v_sub_u32_e32 v7, 29, v7
	v_and_b32_e32 v1, 7, v1
	v_cmp_eq_u32_e32 vcc, 0, v3
	v_cndmask_b32_e32 v3, v3, v7, vcc
	v_cndmask_b32_e32 v1, v2, v1, vcc
	v_mov_b32_e32 v2, 0x3b800000
	v_lshlrev_b32_e32 v1, 20, v1
	v_and_b32_e32 v0, 0x80000000, v0
	v_lshl_add_u32 v2, v3, 23, v2
	v_or3_b32 v0, v0, v2, v1
	v_cvt_f64_f32_e32 v[0:1], v0
.LBB126_1516:
	s_or_b64 exec, exec, s[28:29]
.LBB126_1517:
	v_mov_b32_e32 v2, 0
	v_mov_b32_e32 v3, 0
	s_mov_b64 s[26:27], -1
.LBB126_1518:
	s_mov_b64 s[28:29], 0
.LBB126_1519:
	s_and_b64 vcc, exec, s[28:29]
	s_cbranch_vccz .LBB126_1532
; %bb.1520:
	s_cmp_gt_i32 s34, 22
	s_cbranch_scc0 .LBB126_1543
; %bb.1521:
	s_cmp_lt_i32 s34, 24
	s_cbranch_scc1 .LBB126_1545
; %bb.1522:
	s_cmp_gt_i32 s34, 24
	s_cbranch_scc0 .LBB126_1547
; %bb.1523:
	global_load_ubyte v2, v[4:5], off
	s_movk_i32 s3, 0x7f
	s_waitcnt vmcnt(0)
	v_cmp_lt_i16_e32 vcc, s3, v2
	s_and_saveexec_b64 s[26:27], vcc
	s_xor_b64 s[26:27], exec, s[26:27]
	s_cbranch_execz .LBB126_1527
; %bb.1524:
	s_movk_i32 s3, 0x80
	v_cmp_eq_u16_e32 vcc, s3, v2
	s_mov_b64 s[10:11], -1
	s_and_saveexec_b64 s[28:29], vcc
; %bb.1525:
	s_xor_b64 s[10:11], exec, -1
; %bb.1526:
	s_or_b64 exec, exec, s[28:29]
	s_and_b64 s[10:11], s[10:11], exec
.LBB126_1527:
	s_or_saveexec_b64 s[26:27], s[26:27]
	v_bfrev_b32_e32 v0, 4
	v_mov_b32_e32 v1, 0x7ff80000
	s_xor_b64 exec, exec, s[26:27]
; %bb.1528:
	v_cmp_ne_u16_e32 vcc, 0, v2
	v_mov_b32_e32 v0, 0
	s_andn2_b64 s[10:11], s[10:11], exec
	s_and_b64 s[28:29], vcc, exec
	v_mov_b32_e32 v1, 0
	s_or_b64 s[10:11], s[10:11], s[28:29]
; %bb.1529:
	s_or_b64 exec, exec, s[26:27]
	s_and_saveexec_b64 s[26:27], s[10:11]
	s_cbranch_execz .LBB126_1531
; %bb.1530:
	v_and_b32_e32 v1, 0xffff, v2
	v_lshlrev_b32_e32 v0, 24, v2
	v_and_b32_e32 v2, 3, v1
	v_ffbh_u32_e32 v7, v2
	v_min_u32_e32 v7, 32, v7
	v_subrev_u32_e32 v8, 29, v7
	v_bfe_u32 v3, v1, 2, 5
	v_lshlrev_b32_e32 v1, v8, v1
	v_sub_u32_e32 v7, 30, v7
	v_and_b32_e32 v1, 3, v1
	v_cmp_eq_u32_e32 vcc, 0, v3
	v_cndmask_b32_e32 v3, v3, v7, vcc
	v_cndmask_b32_e32 v1, v2, v1, vcc
	v_mov_b32_e32 v2, 0x37800000
	v_lshlrev_b32_e32 v1, 21, v1
	v_and_b32_e32 v0, 0x80000000, v0
	v_lshl_add_u32 v2, v3, 23, v2
	v_or3_b32 v0, v0, v2, v1
	v_cvt_f64_f32_e32 v[0:1], v0
.LBB126_1531:
	s_or_b64 exec, exec, s[26:27]
	s_mov_b64 s[10:11], 0
	s_branch .LBB126_1548
.LBB126_1532:
	s_and_b64 vcc, exec, s[0:1]
	s_cbranch_vccnz .LBB126_1576
.LBB126_1533:
	s_andn2_b64 vcc, exec, s[10:11]
	s_cbranch_vccnz .LBB126_1535
.LBB126_1534:
	global_load_ubyte v1, v[4:5], off
	v_mov_b32_e32 v7, 0x3ff00000
	v_mov_b32_e32 v2, 0
	;; [unrolled: 1-line block ×4, first 2 shown]
	s_mov_b64 s[26:27], -1
	s_waitcnt vmcnt(0)
	v_cmp_ne_u16_e32 vcc, 0, v1
	v_cndmask_b32_e32 v1, 0, v7, vcc
.LBB126_1535:
	s_mov_b64 s[0:1], 0
.LBB126_1536:
	s_and_b64 vcc, exec, s[0:1]
	s_cbranch_vccz .LBB126_1607
; %bb.1537:
	s_cmp_lt_i32 s34, 5
	s_cbranch_scc1 .LBB126_1542
; %bb.1538:
	s_cmp_lt_i32 s34, 8
	s_cbranch_scc1 .LBB126_1544
	;; [unrolled: 3-line block ×3, first 2 shown]
; %bb.1540:
	s_cmp_gt_i32 s34, 9
	s_cbranch_scc0 .LBB126_1559
; %bb.1541:
	global_load_dwordx4 v[0:3], v[4:5], off
	s_mov_b64 s[0:1], 0
	s_branch .LBB126_1560
.LBB126_1542:
	s_mov_b64 s[0:1], -1
                                        ; implicit-def: $vgpr2_vgpr3
	s_branch .LBB126_1585
.LBB126_1543:
	s_mov_b64 s[10:11], -1
                                        ; implicit-def: $vgpr0_vgpr1
	s_branch .LBB126_1554
.LBB126_1544:
	s_mov_b64 s[0:1], -1
                                        ; implicit-def: $vgpr2_vgpr3
	s_branch .LBB126_1566
.LBB126_1545:
	s_mov_b64 s[10:11], -1
                                        ; implicit-def: $vgpr0_vgpr1
	s_branch .LBB126_1551
.LBB126_1546:
	s_mov_b64 s[0:1], -1
                                        ; implicit-def: $vgpr2_vgpr3
	s_branch .LBB126_1563
.LBB126_1547:
	s_mov_b64 s[10:11], -1
                                        ; implicit-def: $vgpr0_vgpr1
.LBB126_1548:
	s_and_b64 vcc, exec, s[10:11]
	s_cbranch_vccz .LBB126_1550
; %bb.1549:
	global_load_ubyte v0, v[4:5], off
	s_mov_b32 s3, 0x7f800000
	s_waitcnt vmcnt(0)
	v_lshlrev_b32_e32 v0, 24, v0
	v_and_b32_e32 v1, 0x7f000000, v0
	v_ffbh_u32_e32 v2, v1
	v_min_u32_e32 v2, 32, v2
	v_sub_u32_e64 v2, v2, 4 clamp
	v_lshlrev_b32_e32 v7, v2, v1
	v_lshlrev_b32_e32 v2, 23, v2
	v_lshrrev_b32_e32 v7, 4, v7
	v_add_u32_e32 v3, 0x1000000, v1
	v_sub_u32_e32 v2, v7, v2
	v_ashrrev_i32_e32 v3, 8, v3
	v_add_u32_e32 v2, 0x3c000000, v2
	v_and_or_b32 v2, v3, s3, v2
	v_cmp_ne_u32_e32 vcc, 0, v1
	v_cndmask_b32_e32 v1, 0, v2, vcc
	s_brev_b32 s3, 1
	v_and_or_b32 v0, v0, s3, v1
	v_cvt_f64_f32_e32 v[0:1], v0
.LBB126_1550:
	s_mov_b64 s[10:11], 0
.LBB126_1551:
	s_andn2_b64 vcc, exec, s[10:11]
	s_cbranch_vccnz .LBB126_1553
; %bb.1552:
	global_load_ubyte v0, v[4:5], off
	s_movk_i32 s3, 0x7f00
	s_brev_b32 s10, 16
	s_waitcnt vmcnt(0)
	v_lshlrev_b16_e32 v1, 8, v0
	v_lshlrev_b32_e32 v0, 25, v0
	v_lshrrev_b32_e32 v2, 4, v0
	v_and_or_b32 v3, v1, s3, 0.5
	v_or_b32_e32 v2, 0x70000000, v2
	v_add_f32_e32 v3, -0.5, v3
	v_mul_f32_e32 v2, 0x7800000, v2
	v_cmp_gt_u32_e32 vcc, s10, v0
	v_bfe_i32 v1, v1, 0, 16
	v_cndmask_b32_e32 v0, v2, v3, vcc
	s_brev_b32 s3, 1
	v_and_or_b32 v0, v1, s3, v0
	v_cvt_f64_f32_e32 v[0:1], v0
.LBB126_1553:
	s_mov_b64 s[10:11], 0
	s_mov_b64 s[26:27], -1
.LBB126_1554:
	s_andn2_b64 vcc, exec, s[10:11]
	s_mov_b64 s[10:11], 0
	s_cbranch_vccnz .LBB126_1575
; %bb.1555:
	s_cmp_gt_i32 s34, 14
	s_cbranch_scc0 .LBB126_1558
; %bb.1556:
	s_cmp_eq_u32 s34, 15
	s_cbranch_scc0 .LBB126_1571
; %bb.1557:
	global_load_ushort v0, v[4:5], off
	s_mov_b64 s[0:1], 0
	s_mov_b64 s[26:27], -1
	s_waitcnt vmcnt(0)
	v_lshlrev_b32_e32 v0, 16, v0
	v_cvt_f64_f32_e32 v[0:1], v0
	s_branch .LBB126_1572
.LBB126_1558:
	s_mov_b64 s[28:29], -1
                                        ; implicit-def: $vgpr0_vgpr1
	s_branch .LBB126_1573
.LBB126_1559:
	s_mov_b64 s[0:1], -1
                                        ; implicit-def: $vgpr2_vgpr3
.LBB126_1560:
	s_andn2_b64 vcc, exec, s[0:1]
	s_cbranch_vccnz .LBB126_1562
; %bb.1561:
	global_load_dwordx2 v[1:2], v[4:5], off
	s_waitcnt vmcnt(0)
	v_cvt_f64_f32_e32 v[0:1], v1
	v_cvt_f64_f32_e32 v[2:3], v2
.LBB126_1562:
	s_mov_b64 s[0:1], 0
.LBB126_1563:
	s_andn2_b64 vcc, exec, s[0:1]
	s_cbranch_vccnz .LBB126_1565
; %bb.1564:
	global_load_dword v0, v[4:5], off
	s_waitcnt vmcnt(0)
	v_cvt_f32_f16_e32 v1, v0
	v_cvt_f32_f16_sdwa v2, v0 dst_sel:DWORD dst_unused:UNUSED_PAD src0_sel:WORD_1
	v_cvt_f64_f32_e32 v[0:1], v1
	v_cvt_f64_f32_e32 v[2:3], v2
.LBB126_1565:
	s_mov_b64 s[0:1], 0
.LBB126_1566:
	s_andn2_b64 vcc, exec, s[0:1]
	s_cbranch_vccnz .LBB126_1584
; %bb.1567:
	s_cmp_lt_i32 s34, 6
	s_cbranch_scc1 .LBB126_1570
; %bb.1568:
	s_cmp_gt_i32 s34, 6
	s_cbranch_scc0 .LBB126_1577
; %bb.1569:
	global_load_dwordx2 v[0:1], v[4:5], off
	s_mov_b64 s[0:1], 0
	s_branch .LBB126_1578
.LBB126_1570:
	s_mov_b64 s[0:1], -1
                                        ; implicit-def: $vgpr0_vgpr1
	s_branch .LBB126_1581
.LBB126_1571:
	s_mov_b64 s[0:1], -1
                                        ; implicit-def: $vgpr0_vgpr1
.LBB126_1572:
	s_mov_b64 s[28:29], 0
.LBB126_1573:
	s_and_b64 vcc, exec, s[28:29]
	s_cbranch_vccz .LBB126_1575
; %bb.1574:
	s_cmp_lg_u32 s34, 11
	s_mov_b64 s[10:11], -1
	s_cselect_b64 s[0:1], -1, 0
.LBB126_1575:
	v_mov_b32_e32 v2, 0
	v_mov_b32_e32 v3, 0
	s_and_b64 vcc, exec, s[0:1]
	s_cbranch_vccz .LBB126_1533
.LBB126_1576:
	s_trap 2
	s_or_b64 s[18:19], s[18:19], exec
	s_cbranch_execz .LBB126_1534
	s_branch .LBB126_1535
.LBB126_1577:
	s_mov_b64 s[0:1], -1
                                        ; implicit-def: $vgpr0_vgpr1
.LBB126_1578:
	s_andn2_b64 vcc, exec, s[0:1]
	s_cbranch_vccnz .LBB126_1580
; %bb.1579:
	global_load_dword v0, v[4:5], off
	s_waitcnt vmcnt(0)
	v_cvt_f64_f32_e32 v[0:1], v0
.LBB126_1580:
	s_mov_b64 s[0:1], 0
.LBB126_1581:
	s_andn2_b64 vcc, exec, s[0:1]
	s_cbranch_vccnz .LBB126_1583
; %bb.1582:
	global_load_ushort v0, v[4:5], off
	s_waitcnt vmcnt(0)
	v_cvt_f32_f16_e32 v0, v0
	v_cvt_f64_f32_e32 v[0:1], v0
.LBB126_1583:
	s_waitcnt vmcnt(0)
	v_mov_b32_e32 v2, 0
	v_mov_b32_e32 v3, 0
.LBB126_1584:
	s_mov_b64 s[0:1], 0
.LBB126_1585:
	s_andn2_b64 vcc, exec, s[0:1]
	s_cbranch_vccnz .LBB126_1606
; %bb.1586:
	s_cmp_lt_i32 s34, 2
	s_cbranch_scc1 .LBB126_1590
; %bb.1587:
	s_cmp_lt_i32 s34, 3
	s_cbranch_scc1 .LBB126_1591
; %bb.1588:
	s_cmp_gt_i32 s34, 3
	s_cbranch_scc0 .LBB126_1592
; %bb.1589:
	global_load_dwordx2 v[0:1], v[4:5], off
	s_mov_b64 s[0:1], 0
	s_waitcnt vmcnt(0)
	v_cvt_f64_i32_e32 v[1:2], v1
	v_cvt_f64_u32_e32 v[7:8], v0
	v_ldexp_f64 v[1:2], v[1:2], 32
	v_add_f64 v[0:1], v[1:2], v[7:8]
	s_branch .LBB126_1593
.LBB126_1590:
	s_mov_b64 s[0:1], -1
                                        ; implicit-def: $vgpr0_vgpr1
	s_branch .LBB126_1599
.LBB126_1591:
	s_mov_b64 s[0:1], -1
                                        ; implicit-def: $vgpr0_vgpr1
	s_branch .LBB126_1596
.LBB126_1592:
	s_mov_b64 s[0:1], -1
                                        ; implicit-def: $vgpr0_vgpr1
.LBB126_1593:
	s_andn2_b64 vcc, exec, s[0:1]
	s_cbranch_vccnz .LBB126_1595
; %bb.1594:
	global_load_dword v0, v[4:5], off
	s_waitcnt vmcnt(0)
	v_cvt_f64_i32_e32 v[0:1], v0
.LBB126_1595:
	s_mov_b64 s[0:1], 0
.LBB126_1596:
	s_andn2_b64 vcc, exec, s[0:1]
	s_cbranch_vccnz .LBB126_1598
; %bb.1597:
	global_load_sshort v0, v[4:5], off
	s_waitcnt vmcnt(0)
	v_cvt_f64_i32_e32 v[0:1], v0
.LBB126_1598:
	s_mov_b64 s[0:1], 0
.LBB126_1599:
	s_andn2_b64 vcc, exec, s[0:1]
	s_cbranch_vccnz .LBB126_1605
; %bb.1600:
	s_cmp_gt_i32 s34, 0
	s_cbranch_scc0 .LBB126_1602
; %bb.1601:
	global_load_sbyte v0, v[4:5], off
	s_mov_b64 s[0:1], 0
	s_waitcnt vmcnt(0)
	v_cvt_f64_i32_e32 v[0:1], v0
	s_branch .LBB126_1603
.LBB126_1602:
	s_mov_b64 s[0:1], -1
                                        ; implicit-def: $vgpr0_vgpr1
.LBB126_1603:
	s_andn2_b64 vcc, exec, s[0:1]
	s_cbranch_vccnz .LBB126_1605
; %bb.1604:
	global_load_ubyte v0, v[4:5], off
	s_waitcnt vmcnt(0)
	v_cvt_f64_u32_e32 v[0:1], v0
.LBB126_1605:
	s_waitcnt vmcnt(0)
	v_mov_b32_e32 v2, 0
	v_mov_b32_e32 v3, 0
.LBB126_1606:
	s_mov_b64 s[26:27], -1
.LBB126_1607:
	s_andn2_b64 vcc, exec, s[26:27]
	s_cbranch_vccnz .LBB126_1610
; %bb.1608:
	s_and_b64 vcc, exec, s[24:25]
	s_cbranch_vccz .LBB126_1656
; %bb.1609:
	s_waitcnt vmcnt(0)
	v_cmp_neq_f64_e32 vcc, s[12:13], v[0:1]
	v_cmp_neq_f64_e64 s[0:1], s[14:15], v[2:3]
	s_or_b64 s[24:25], vcc, s[0:1]
	s_mov_b64 s[0:1], 0
	s_branch .LBB126_1657
.LBB126_1610:
	s_mov_b64 s[0:1], 0
                                        ; implicit-def: $sgpr24_sgpr25
.LBB126_1611:
                                        ; implicit-def: $sgpr28
                                        ; implicit-def: $vgpr0_vgpr1
	s_mov_b64 s[2:3], 0
.LBB126_1612:
	s_and_b64 s[4:5], s[2:3], exec
	s_andn2_b64 s[2:3], s[16:17], exec
	s_and_b64 s[8:9], s[18:19], exec
	s_and_b64 s[0:1], s[0:1], exec
	s_or_b64 s[16:17], s[2:3], s[8:9]
.LBB126_1613:
	s_or_b64 exec, exec, s[6:7]
	s_and_saveexec_b64 s[2:3], s[16:17]
	s_cbranch_execz .LBB126_1616
; %bb.1614:
	; divergent unreachable
	s_or_b64 exec, exec, s[2:3]
	s_and_saveexec_b64 s[2:3], s[4:5]
	s_xor_b64 s[2:3], exec, s[2:3]
	s_cbranch_execnz .LBB126_1617
.LBB126_1615:
	s_or_b64 exec, exec, s[2:3]
	s_and_saveexec_b64 s[2:3], s[0:1]
	s_cbranch_execnz .LBB126_1618
	s_branch .LBB126_1655
.LBB126_1616:
	s_or_b64 exec, exec, s[2:3]
	s_and_saveexec_b64 s[2:3], s[4:5]
	s_xor_b64 s[2:3], exec, s[2:3]
	s_cbranch_execz .LBB126_1615
.LBB126_1617:
	s_waitcnt vmcnt(0)
	v_cndmask_b32_e64 v2, 0, 1, s[24:25]
	global_store_byte v[0:1], v2, off
	s_or_b64 exec, exec, s[2:3]
	s_and_saveexec_b64 s[2:3], s[0:1]
	s_cbranch_execz .LBB126_1655
.LBB126_1618:
	s_sext_i32_i16 s2, s28
	s_cmp_lt_i32 s2, 5
	s_mov_b64 s[0:1], -1
	s_cbranch_scc1 .LBB126_1639
; %bb.1619:
	s_cmp_lt_i32 s2, 8
	s_cbranch_scc1 .LBB126_1629
; %bb.1620:
	s_cmp_lt_i32 s2, 9
	s_cbranch_scc1 .LBB126_1626
; %bb.1621:
	s_cmp_gt_i32 s2, 9
	s_cbranch_scc0 .LBB126_1623
; %bb.1622:
	s_waitcnt vmcnt(0)
	v_cndmask_b32_e64 v2, 0, 1, s[24:25]
	v_cvt_f64_u32_e32 v[2:3], v2
	v_mov_b32_e32 v4, 0
	v_mov_b32_e32 v5, v4
	s_mov_b64 s[0:1], 0
	global_store_dwordx4 v[0:1], v[2:5], off
.LBB126_1623:
	s_andn2_b64 vcc, exec, s[0:1]
	s_cbranch_vccnz .LBB126_1625
; %bb.1624:
	s_waitcnt vmcnt(0)
	v_cndmask_b32_e64 v2, 0, 1.0, s[24:25]
	v_mov_b32_e32 v3, 0
	global_store_dwordx2 v[0:1], v[2:3], off
.LBB126_1625:
	s_mov_b64 s[0:1], 0
.LBB126_1626:
	s_andn2_b64 vcc, exec, s[0:1]
	s_cbranch_vccnz .LBB126_1628
; %bb.1627:
	s_waitcnt vmcnt(0)
	v_cndmask_b32_e64 v2, 0, 1.0, s[24:25]
	v_cvt_f16_f32_e32 v2, v2
	global_store_dword v[0:1], v2, off
.LBB126_1628:
	s_mov_b64 s[0:1], 0
.LBB126_1629:
	s_andn2_b64 vcc, exec, s[0:1]
	s_cbranch_vccnz .LBB126_1638
; %bb.1630:
	s_sext_i32_i16 s2, s28
	s_cmp_lt_i32 s2, 6
	s_mov_b64 s[0:1], -1
	s_cbranch_scc1 .LBB126_1636
; %bb.1631:
	s_cmp_gt_i32 s2, 6
	s_cbranch_scc0 .LBB126_1633
; %bb.1632:
	s_waitcnt vmcnt(0)
	v_cndmask_b32_e64 v2, 0, 1, s[24:25]
	v_cvt_f64_u32_e32 v[2:3], v2
	s_mov_b64 s[0:1], 0
	global_store_dwordx2 v[0:1], v[2:3], off
.LBB126_1633:
	s_andn2_b64 vcc, exec, s[0:1]
	s_cbranch_vccnz .LBB126_1635
; %bb.1634:
	s_waitcnt vmcnt(0)
	v_cndmask_b32_e64 v2, 0, 1.0, s[24:25]
	global_store_dword v[0:1], v2, off
.LBB126_1635:
	s_mov_b64 s[0:1], 0
.LBB126_1636:
	s_andn2_b64 vcc, exec, s[0:1]
	s_cbranch_vccnz .LBB126_1638
; %bb.1637:
	s_waitcnt vmcnt(0)
	v_cndmask_b32_e64 v2, 0, 1.0, s[24:25]
	v_cvt_f16_f32_e32 v2, v2
	global_store_short v[0:1], v2, off
.LBB126_1638:
	s_mov_b64 s[0:1], 0
.LBB126_1639:
	s_andn2_b64 vcc, exec, s[0:1]
	s_cbranch_vccnz .LBB126_1655
; %bb.1640:
	s_sext_i32_i16 s2, s28
	s_cmp_lt_i32 s2, 2
	s_mov_b64 s[0:1], -1
	s_cbranch_scc1 .LBB126_1650
; %bb.1641:
	s_cmp_lt_i32 s2, 3
	s_cbranch_scc1 .LBB126_1647
; %bb.1642:
	s_cmp_gt_i32 s2, 3
	s_cbranch_scc0 .LBB126_1644
; %bb.1643:
	s_mov_b32 s0, 0
	s_waitcnt vmcnt(0)
	v_cndmask_b32_e64 v2, 0, 1, s[24:25]
	v_mov_b32_e32 v3, s0
	global_store_dwordx2 v[0:1], v[2:3], off
	s_mov_b64 s[0:1], 0
.LBB126_1644:
	s_andn2_b64 vcc, exec, s[0:1]
	s_cbranch_vccnz .LBB126_1646
; %bb.1645:
	s_waitcnt vmcnt(0)
	v_cndmask_b32_e64 v2, 0, 1, s[24:25]
	global_store_dword v[0:1], v2, off
.LBB126_1646:
	s_mov_b64 s[0:1], 0
.LBB126_1647:
	s_andn2_b64 vcc, exec, s[0:1]
	s_cbranch_vccnz .LBB126_1649
; %bb.1648:
	s_waitcnt vmcnt(0)
	v_cndmask_b32_e64 v2, 0, 1, s[24:25]
	global_store_short v[0:1], v2, off
.LBB126_1649:
	s_mov_b64 s[0:1], 0
.LBB126_1650:
	s_andn2_b64 vcc, exec, s[0:1]
	s_cbranch_vccnz .LBB126_1655
; %bb.1651:
	s_sext_i32_i16 s2, s28
	s_mov_b64 s[0:1], -1
	s_cmp_gt_i32 s2, 0
	s_waitcnt vmcnt(0)
	v_cndmask_b32_e64 v2, 0, 1, s[24:25]
	s_cbranch_scc0 .LBB126_1653
; %bb.1652:
	global_store_byte v[0:1], v2, off
	s_mov_b64 s[0:1], 0
.LBB126_1653:
	s_andn2_b64 vcc, exec, s[0:1]
	s_cbranch_vccnz .LBB126_1655
; %bb.1654:
	global_store_byte v[0:1], v2, off
	s_endpgm
.LBB126_1655:
	s_endpgm
.LBB126_1656:
	s_mov_b64 s[0:1], -1
                                        ; implicit-def: $sgpr24_sgpr25
.LBB126_1657:
	s_andn2_b64 vcc, exec, s[0:1]
	s_cbranch_vccnz .LBB126_1659
; %bb.1658:
	s_waitcnt vmcnt(0)
	v_cmp_eq_f64_e32 vcc, s[12:13], v[0:1]
	v_cmp_eq_f64_e64 s[0:1], s[14:15], v[2:3]
	s_andn2_b64 s[10:11], s[24:25], exec
	s_and_b64 s[0:1], vcc, s[0:1]
	s_and_b64 s[0:1], s[0:1], exec
	s_or_b64 s[24:25], s[10:11], s[0:1]
.LBB126_1659:
	s_waitcnt vmcnt(0)
	v_mul_lo_u32 v2, s2, v6
	v_mov_b32_e32 v1, s9
	s_and_b32 s28, s33, 0xff
	s_cmp_lt_i32 s28, 11
	v_ashrrev_i32_e32 v3, 31, v2
	v_add_co_u32_e32 v0, vcc, s8, v2
	v_addc_co_u32_e32 v1, vcc, v1, v3, vcc
	s_cbranch_scc1 .LBB126_1737
; %bb.1660:
	s_and_b32 s3, 0xffff, s28
	s_mov_b64 s[14:15], -1
	s_mov_b64 s[10:11], 0
	s_cmp_gt_i32 s3, 25
	s_mov_b64 s[12:13], 0
	s_mov_b64 s[0:1], 0
	s_cbranch_scc0 .LBB126_1693
; %bb.1661:
	s_cmp_gt_i32 s3, 28
	s_cbranch_scc0 .LBB126_1676
; %bb.1662:
	s_cmp_gt_i32 s3, 43
	;; [unrolled: 3-line block ×3, first 2 shown]
	s_cbranch_scc0 .LBB126_1666
; %bb.1664:
	s_mov_b64 s[0:1], -1
	s_mov_b64 s[14:15], 0
	s_cmp_eq_u32 s3, 46
	s_cbranch_scc0 .LBB126_1666
; %bb.1665:
	v_cndmask_b32_e64 v3, 0, 1.0, s[4:5]
	v_bfe_u32 v4, v3, 16, 1
	s_movk_i32 s0, 0x7fff
	v_add3_u32 v3, v3, v4, s0
	v_lshrrev_b32_e32 v3, 16, v3
	global_store_dword v[0:1], v3, off
	s_mov_b64 s[0:1], 0
	s_mov_b64 s[12:13], -1
.LBB126_1666:
	s_and_b64 vcc, exec, s[14:15]
	s_cbranch_vccz .LBB126_1671
; %bb.1667:
	s_cmp_eq_u32 s3, 44
	s_mov_b64 s[0:1], -1
	s_cbranch_scc0 .LBB126_1671
; %bb.1668:
	v_cndmask_b32_e64 v4, 0, 1.0, s[4:5]
	v_lshrrev_b32_e32 v3, 23, v4
	s_movk_i32 s0, 0xff
	v_cmp_ne_u32_e32 vcc, s0, v3
	v_mov_b32_e32 v5, 0xff
	s_and_saveexec_b64 s[12:13], vcc
; %bb.1669:
	s_mov_b32 s0, 0x3fffff
	v_and_b32_e32 v5, 0x400000, v4
	v_and_or_b32 v4, v4, s0, v3
	v_cmp_ne_u32_e32 vcc, 0, v5
	v_cmp_ne_u32_e64 s[0:1], 0, v4
	s_and_b64 s[0:1], vcc, s[0:1]
	v_cndmask_b32_e64 v4, 0, 1, s[0:1]
	v_add_u32_e32 v5, v3, v4
; %bb.1670:
	s_or_b64 exec, exec, s[12:13]
	s_mov_b64 s[0:1], 0
	s_mov_b64 s[12:13], -1
	global_store_byte v[0:1], v5, off
.LBB126_1671:
	s_mov_b64 s[14:15], 0
.LBB126_1672:
	s_and_b64 vcc, exec, s[14:15]
	s_cbranch_vccz .LBB126_1675
; %bb.1673:
	s_cmp_eq_u32 s3, 29
	s_mov_b64 s[0:1], -1
	s_cbranch_scc0 .LBB126_1675
; %bb.1674:
	s_mov_b32 s0, 0
	v_cndmask_b32_e64 v3, 0, 1, s[4:5]
	v_mov_b32_e32 v4, s0
	global_store_dwordx2 v[0:1], v[3:4], off
	s_mov_b64 s[0:1], 0
	s_mov_b64 s[12:13], -1
.LBB126_1675:
	s_mov_b64 s[14:15], 0
.LBB126_1676:
	s_and_b64 vcc, exec, s[14:15]
	s_cbranch_vccz .LBB126_1692
; %bb.1677:
	s_cmp_lt_i32 s3, 27
	s_mov_b64 s[12:13], -1
	s_cbranch_scc1 .LBB126_1683
; %bb.1678:
	s_cmp_gt_i32 s3, 27
	s_cbranch_scc0 .LBB126_1680
; %bb.1679:
	v_cndmask_b32_e64 v3, 0, 1, s[4:5]
	s_mov_b64 s[12:13], 0
	global_store_dword v[0:1], v3, off
.LBB126_1680:
	s_andn2_b64 vcc, exec, s[12:13]
	s_cbranch_vccnz .LBB126_1682
; %bb.1681:
	v_cndmask_b32_e64 v3, 0, 1, s[4:5]
	global_store_short v[0:1], v3, off
.LBB126_1682:
	s_mov_b64 s[12:13], 0
.LBB126_1683:
	s_andn2_b64 vcc, exec, s[12:13]
	s_cbranch_vccnz .LBB126_1691
; %bb.1684:
	v_cndmask_b32_e64 v4, 0, 1.0, s[4:5]
	s_mov_b32 s12, 0x43800000
	v_cmp_gt_u32_e32 vcc, s12, v4
	v_mov_b32_e32 v5, 0x80
	s_and_saveexec_b64 s[12:13], vcc
	s_cbranch_execz .LBB126_1690
; %bb.1685:
	s_mov_b32 s14, 0x3bffffff
	v_cmp_lt_u32_e32 vcc, s14, v4
	s_mov_b64 s[14:15], 0
                                        ; implicit-def: $vgpr3
	s_and_saveexec_b64 s[26:27], vcc
	s_xor_b64 s[26:27], exec, s[26:27]
	s_cbranch_execz .LBB126_2094
; %bb.1686:
	v_bfe_u32 v3, v4, 20, 1
	s_mov_b32 s29, 0x487ffff
	v_add3_u32 v3, v4, v3, s29
	s_mov_b64 s[14:15], exec
	v_lshrrev_b32_e32 v3, 20, v3
                                        ; implicit-def: $vgpr4
	s_andn2_saveexec_b64 s[26:27], s[26:27]
	s_cbranch_execnz .LBB126_2095
.LBB126_1687:
	s_or_b64 exec, exec, s[26:27]
	v_mov_b32_e32 v5, 0
	s_and_saveexec_b64 s[26:27], s[14:15]
.LBB126_1688:
	v_mov_b32_e32 v5, v3
.LBB126_1689:
	s_or_b64 exec, exec, s[26:27]
.LBB126_1690:
	s_or_b64 exec, exec, s[12:13]
	global_store_byte v[0:1], v5, off
.LBB126_1691:
	s_mov_b64 s[12:13], -1
.LBB126_1692:
	s_mov_b64 s[14:15], 0
.LBB126_1693:
	s_and_b64 vcc, exec, s[14:15]
	s_cbranch_vccz .LBB126_1733
; %bb.1694:
	s_cmp_gt_i32 s3, 22
	s_mov_b64 s[10:11], -1
	s_cbranch_scc0 .LBB126_1726
; %bb.1695:
	s_cmp_lt_i32 s3, 24
	s_cbranch_scc1 .LBB126_1715
; %bb.1696:
	s_cmp_gt_i32 s3, 24
	s_cbranch_scc0 .LBB126_1704
; %bb.1697:
	v_cndmask_b32_e64 v4, 0, 1.0, s[4:5]
	s_mov_b32 s10, 0x47800000
	v_cmp_gt_u32_e32 vcc, s10, v4
	v_mov_b32_e32 v5, 0x80
	s_and_saveexec_b64 s[10:11], vcc
	s_cbranch_execz .LBB126_1703
; %bb.1698:
	s_mov_b32 s12, 0x37ffffff
	v_cmp_lt_u32_e32 vcc, s12, v4
	s_mov_b64 s[12:13], 0
                                        ; implicit-def: $vgpr3
	s_and_saveexec_b64 s[14:15], vcc
	s_xor_b64 s[14:15], exec, s[14:15]
	s_cbranch_execz .LBB126_2097
; %bb.1699:
	v_bfe_u32 v3, v4, 21, 1
	s_mov_b32 s26, 0x88fffff
	v_add3_u32 v3, v4, v3, s26
	s_mov_b64 s[12:13], exec
	v_lshrrev_b32_e32 v3, 21, v3
                                        ; implicit-def: $vgpr4
	s_andn2_saveexec_b64 s[14:15], s[14:15]
	s_cbranch_execnz .LBB126_2098
.LBB126_1700:
	s_or_b64 exec, exec, s[14:15]
	v_mov_b32_e32 v5, 0
	s_and_saveexec_b64 s[14:15], s[12:13]
.LBB126_1701:
	v_mov_b32_e32 v5, v3
.LBB126_1702:
	s_or_b64 exec, exec, s[14:15]
.LBB126_1703:
	s_or_b64 exec, exec, s[10:11]
	s_mov_b64 s[10:11], 0
	global_store_byte v[0:1], v5, off
.LBB126_1704:
	s_and_b64 vcc, exec, s[10:11]
	s_cbranch_vccz .LBB126_1714
; %bb.1705:
	v_cndmask_b32_e64 v3, 0, 1.0, s[4:5]
	s_mov_b32 s10, 0x43f00000
	v_cmp_gt_u32_e32 vcc, s10, v3
                                        ; implicit-def: $vgpr4
	s_and_saveexec_b64 s[10:11], vcc
	s_xor_b64 s[10:11], exec, s[10:11]
	s_cbranch_execz .LBB126_1711
; %bb.1706:
	s_mov_b32 s12, 0x3c7fffff
	v_cmp_lt_u32_e32 vcc, s12, v3
                                        ; implicit-def: $vgpr4
	s_and_saveexec_b64 s[12:13], vcc
	s_xor_b64 s[12:13], exec, s[12:13]
; %bb.1707:
	v_bfe_u32 v4, v3, 20, 1
	s_mov_b32 s14, 0x407ffff
	v_add3_u32 v3, v3, v4, s14
	v_lshrrev_b32_e32 v4, 20, v3
	v_and_b32_e32 v3, 0xff00000, v3
	s_mov_b32 s14, 0x7f00000
	v_mov_b32_e32 v5, 0x7e
	v_cmp_ne_u32_e32 vcc, s14, v3
	v_cndmask_b32_e32 v4, v5, v4, vcc
                                        ; implicit-def: $vgpr3
; %bb.1708:
	s_andn2_saveexec_b64 s[12:13], s[12:13]
; %bb.1709:
	v_add_f32_e32 v4, 0x46800000, v3
; %bb.1710:
	s_or_b64 exec, exec, s[12:13]
                                        ; implicit-def: $vgpr3
.LBB126_1711:
	s_andn2_saveexec_b64 s[10:11], s[10:11]
; %bb.1712:
	s_mov_b32 s12, 0x7f800000
	v_mov_b32_e32 v4, 0x7e
	v_mov_b32_e32 v5, 0x7f
	v_cmp_lt_u32_e32 vcc, s12, v3
	v_cndmask_b32_e32 v4, v4, v5, vcc
; %bb.1713:
	s_or_b64 exec, exec, s[10:11]
	global_store_byte v[0:1], v4, off
.LBB126_1714:
	s_mov_b64 s[10:11], 0
.LBB126_1715:
	s_andn2_b64 vcc, exec, s[10:11]
	s_cbranch_vccnz .LBB126_1725
; %bb.1716:
	v_cndmask_b32_e64 v3, 0, 1.0, s[4:5]
	s_mov_b32 s10, 0x47800000
	v_cmp_gt_u32_e32 vcc, s10, v3
                                        ; implicit-def: $vgpr4
	s_and_saveexec_b64 s[10:11], vcc
	s_xor_b64 s[10:11], exec, s[10:11]
	s_cbranch_execz .LBB126_1722
; %bb.1717:
	s_mov_b32 s12, 0x387fffff
	v_cmp_lt_u32_e32 vcc, s12, v3
                                        ; implicit-def: $vgpr4
	s_and_saveexec_b64 s[12:13], vcc
	s_xor_b64 s[12:13], exec, s[12:13]
; %bb.1718:
	v_bfe_u32 v4, v3, 21, 1
	s_mov_b32 s14, 0x80fffff
	v_add3_u32 v3, v3, v4, s14
	v_lshrrev_b32_e32 v4, 21, v3
                                        ; implicit-def: $vgpr3
; %bb.1719:
	s_andn2_saveexec_b64 s[12:13], s[12:13]
; %bb.1720:
	v_add_f32_e32 v4, 0x43000000, v3
; %bb.1721:
	s_or_b64 exec, exec, s[12:13]
                                        ; implicit-def: $vgpr3
.LBB126_1722:
	s_andn2_saveexec_b64 s[10:11], s[10:11]
; %bb.1723:
	s_mov_b32 s12, 0x7f800000
	v_mov_b32_e32 v4, 0x7c
	v_mov_b32_e32 v5, 0x7f
	v_cmp_lt_u32_e32 vcc, s12, v3
	v_cndmask_b32_e32 v4, v4, v5, vcc
; %bb.1724:
	s_or_b64 exec, exec, s[10:11]
	global_store_byte v[0:1], v4, off
.LBB126_1725:
	s_mov_b64 s[10:11], 0
	s_mov_b64 s[12:13], -1
.LBB126_1726:
	s_andn2_b64 vcc, exec, s[10:11]
	s_mov_b64 s[10:11], 0
	s_cbranch_vccnz .LBB126_1733
; %bb.1727:
	s_cmp_gt_i32 s3, 14
	s_mov_b64 s[14:15], -1
	s_cbranch_scc0 .LBB126_1731
; %bb.1728:
	s_cmp_eq_u32 s3, 15
	s_mov_b64 s[0:1], -1
	s_cbranch_scc0 .LBB126_1730
; %bb.1729:
	v_cndmask_b32_e64 v3, 0, 1.0, s[4:5]
	v_bfe_u32 v4, v3, 16, 1
	s_movk_i32 s0, 0x7fff
	v_add3_u32 v3, v3, v4, s0
	global_store_short_d16_hi v[0:1], v3, off
	s_mov_b64 s[0:1], 0
	s_mov_b64 s[12:13], -1
.LBB126_1730:
	s_mov_b64 s[14:15], 0
.LBB126_1731:
	s_and_b64 vcc, exec, s[14:15]
	s_cbranch_vccz .LBB126_1733
; %bb.1732:
	s_cmp_lg_u32 s3, 11
	s_mov_b64 s[10:11], -1
	s_cselect_b64 s[0:1], -1, 0
.LBB126_1733:
	s_and_b64 vcc, exec, s[0:1]
	s_cbranch_vccnz .LBB126_2096
; %bb.1734:
	s_andn2_b64 vcc, exec, s[10:11]
	s_cbranch_vccnz .LBB126_1736
.LBB126_1735:
	v_cndmask_b32_e64 v3, 0, 1, s[4:5]
	s_mov_b64 s[12:13], -1
	global_store_byte v[0:1], v3, off
.LBB126_1736:
	s_mov_b64 s[0:1], 0
	s_branch .LBB126_1738
.LBB126_1737:
	s_mov_b64 s[0:1], -1
	s_mov_b64 s[12:13], 0
.LBB126_1738:
	s_and_b64 vcc, exec, s[0:1]
	s_cbranch_vccz .LBB126_1777
; %bb.1739:
	s_and_b32 s3, 0xffff, s28
	s_cmp_lt_i32 s3, 5
	s_mov_b64 s[0:1], -1
	s_cbranch_scc1 .LBB126_1760
; %bb.1740:
	s_cmp_lt_i32 s3, 8
	s_cbranch_scc1 .LBB126_1750
; %bb.1741:
	s_cmp_lt_i32 s3, 9
	s_cbranch_scc1 .LBB126_1747
; %bb.1742:
	s_cmp_gt_i32 s3, 9
	s_cbranch_scc0 .LBB126_1744
; %bb.1743:
	v_cndmask_b32_e64 v3, 0, 1, s[4:5]
	v_cvt_f64_u32_e32 v[3:4], v3
	v_mov_b32_e32 v5, 0
	v_mov_b32_e32 v6, v5
	s_mov_b64 s[0:1], 0
	global_store_dwordx4 v[0:1], v[3:6], off
.LBB126_1744:
	s_andn2_b64 vcc, exec, s[0:1]
	s_cbranch_vccnz .LBB126_1746
; %bb.1745:
	v_cndmask_b32_e64 v3, 0, 1.0, s[4:5]
	v_mov_b32_e32 v4, 0
	global_store_dwordx2 v[0:1], v[3:4], off
.LBB126_1746:
	s_mov_b64 s[0:1], 0
.LBB126_1747:
	s_andn2_b64 vcc, exec, s[0:1]
	s_cbranch_vccnz .LBB126_1749
; %bb.1748:
	v_cndmask_b32_e64 v3, 0, 1.0, s[4:5]
	v_cvt_f16_f32_e32 v3, v3
	global_store_dword v[0:1], v3, off
.LBB126_1749:
	s_mov_b64 s[0:1], 0
.LBB126_1750:
	s_andn2_b64 vcc, exec, s[0:1]
	s_cbranch_vccnz .LBB126_1759
; %bb.1751:
	s_cmp_lt_i32 s3, 6
	s_mov_b64 s[0:1], -1
	s_cbranch_scc1 .LBB126_1757
; %bb.1752:
	s_cmp_gt_i32 s3, 6
	s_cbranch_scc0 .LBB126_1754
; %bb.1753:
	v_cndmask_b32_e64 v3, 0, 1, s[4:5]
	v_cvt_f64_u32_e32 v[3:4], v3
	s_mov_b64 s[0:1], 0
	global_store_dwordx2 v[0:1], v[3:4], off
.LBB126_1754:
	s_andn2_b64 vcc, exec, s[0:1]
	s_cbranch_vccnz .LBB126_1756
; %bb.1755:
	v_cndmask_b32_e64 v3, 0, 1.0, s[4:5]
	global_store_dword v[0:1], v3, off
.LBB126_1756:
	s_mov_b64 s[0:1], 0
.LBB126_1757:
	s_andn2_b64 vcc, exec, s[0:1]
	s_cbranch_vccnz .LBB126_1759
; %bb.1758:
	v_cndmask_b32_e64 v3, 0, 1.0, s[4:5]
	v_cvt_f16_f32_e32 v3, v3
	global_store_short v[0:1], v3, off
.LBB126_1759:
	s_mov_b64 s[0:1], 0
.LBB126_1760:
	s_andn2_b64 vcc, exec, s[0:1]
	s_cbranch_vccnz .LBB126_1776
; %bb.1761:
	s_cmp_lt_i32 s3, 2
	s_mov_b64 s[0:1], -1
	s_cbranch_scc1 .LBB126_1771
; %bb.1762:
	s_cmp_lt_i32 s3, 3
	s_cbranch_scc1 .LBB126_1768
; %bb.1763:
	s_cmp_gt_i32 s3, 3
	s_cbranch_scc0 .LBB126_1765
; %bb.1764:
	s_mov_b32 s0, 0
	v_cndmask_b32_e64 v3, 0, 1, s[4:5]
	v_mov_b32_e32 v4, s0
	global_store_dwordx2 v[0:1], v[3:4], off
	s_mov_b64 s[0:1], 0
.LBB126_1765:
	s_andn2_b64 vcc, exec, s[0:1]
	s_cbranch_vccnz .LBB126_1767
; %bb.1766:
	v_cndmask_b32_e64 v3, 0, 1, s[4:5]
	global_store_dword v[0:1], v3, off
.LBB126_1767:
	s_mov_b64 s[0:1], 0
.LBB126_1768:
	s_andn2_b64 vcc, exec, s[0:1]
	s_cbranch_vccnz .LBB126_1770
; %bb.1769:
	v_cndmask_b32_e64 v3, 0, 1, s[4:5]
	global_store_short v[0:1], v3, off
.LBB126_1770:
	s_mov_b64 s[0:1], 0
.LBB126_1771:
	s_andn2_b64 vcc, exec, s[0:1]
	s_cbranch_vccnz .LBB126_1776
; %bb.1772:
	s_mov_b64 s[0:1], -1
	s_cmp_gt_i32 s3, 0
	v_cndmask_b32_e64 v3, 0, 1, s[4:5]
	s_cbranch_scc0 .LBB126_1774
; %bb.1773:
	global_store_byte v[0:1], v3, off
	s_mov_b64 s[0:1], 0
.LBB126_1774:
	s_andn2_b64 vcc, exec, s[0:1]
	s_cbranch_vccnz .LBB126_1776
; %bb.1775:
	global_store_byte v[0:1], v3, off
.LBB126_1776:
	s_mov_b64 s[12:13], -1
.LBB126_1777:
	s_andn2_b64 vcc, exec, s[12:13]
	s_cbranch_vccnz .LBB126_2092
; %bb.1778:
	s_lshl_b32 s14, s2, 7
	v_add_u32_e32 v2, s14, v2
	v_ashrrev_i32_e32 v1, 31, v2
	v_mov_b32_e32 v3, s9
	v_add_co_u32_e32 v0, vcc, s8, v2
	s_cmp_lt_i32 s28, 11
	v_addc_co_u32_e32 v1, vcc, v3, v1, vcc
	s_cbranch_scc1 .LBB126_1856
; %bb.1779:
	s_and_b32 s15, 0xffff, s28
	s_mov_b64 s[10:11], -1
	s_mov_b64 s[2:3], 0
	s_cmp_gt_i32 s15, 25
	s_mov_b64 s[4:5], 0
	s_mov_b64 s[0:1], 0
	s_cbranch_scc0 .LBB126_1812
; %bb.1780:
	s_cmp_gt_i32 s15, 28
	s_cbranch_scc0 .LBB126_1795
; %bb.1781:
	s_cmp_gt_i32 s15, 43
	;; [unrolled: 3-line block ×3, first 2 shown]
	s_cbranch_scc0 .LBB126_1785
; %bb.1783:
	s_mov_b64 s[0:1], -1
	s_mov_b64 s[10:11], 0
	s_cmp_eq_u32 s15, 46
	s_cbranch_scc0 .LBB126_1785
; %bb.1784:
	v_cndmask_b32_e64 v3, 0, 1.0, s[20:21]
	v_bfe_u32 v4, v3, 16, 1
	s_movk_i32 s0, 0x7fff
	v_add3_u32 v3, v3, v4, s0
	v_lshrrev_b32_e32 v3, 16, v3
	global_store_dword v[0:1], v3, off
	s_mov_b64 s[0:1], 0
	s_mov_b64 s[4:5], -1
.LBB126_1785:
	s_and_b64 vcc, exec, s[10:11]
	s_cbranch_vccz .LBB126_1790
; %bb.1786:
	s_cmp_eq_u32 s15, 44
	s_mov_b64 s[0:1], -1
	s_cbranch_scc0 .LBB126_1790
; %bb.1787:
	v_cndmask_b32_e64 v4, 0, 1.0, s[20:21]
	v_lshrrev_b32_e32 v3, 23, v4
	s_movk_i32 s0, 0xff
	v_cmp_ne_u32_e32 vcc, s0, v3
	v_mov_b32_e32 v5, 0xff
	s_and_saveexec_b64 s[4:5], vcc
; %bb.1788:
	s_mov_b32 s0, 0x3fffff
	v_and_b32_e32 v5, 0x400000, v4
	v_and_or_b32 v4, v4, s0, v3
	v_cmp_ne_u32_e32 vcc, 0, v5
	v_cmp_ne_u32_e64 s[0:1], 0, v4
	s_and_b64 s[0:1], vcc, s[0:1]
	v_cndmask_b32_e64 v4, 0, 1, s[0:1]
	v_add_u32_e32 v5, v3, v4
; %bb.1789:
	s_or_b64 exec, exec, s[4:5]
	s_mov_b64 s[0:1], 0
	s_mov_b64 s[4:5], -1
	global_store_byte v[0:1], v5, off
.LBB126_1790:
	s_mov_b64 s[10:11], 0
.LBB126_1791:
	s_and_b64 vcc, exec, s[10:11]
	s_cbranch_vccz .LBB126_1794
; %bb.1792:
	s_cmp_eq_u32 s15, 29
	s_mov_b64 s[0:1], -1
	s_cbranch_scc0 .LBB126_1794
; %bb.1793:
	s_mov_b32 s0, 0
	v_cndmask_b32_e64 v3, 0, 1, s[20:21]
	v_mov_b32_e32 v4, s0
	global_store_dwordx2 v[0:1], v[3:4], off
	s_mov_b64 s[0:1], 0
	s_mov_b64 s[4:5], -1
.LBB126_1794:
	s_mov_b64 s[10:11], 0
.LBB126_1795:
	s_and_b64 vcc, exec, s[10:11]
	s_cbranch_vccz .LBB126_1811
; %bb.1796:
	s_cmp_lt_i32 s15, 27
	s_mov_b64 s[4:5], -1
	s_cbranch_scc1 .LBB126_1802
; %bb.1797:
	s_cmp_gt_i32 s15, 27
	s_cbranch_scc0 .LBB126_1799
; %bb.1798:
	v_cndmask_b32_e64 v3, 0, 1, s[20:21]
	s_mov_b64 s[4:5], 0
	global_store_dword v[0:1], v3, off
.LBB126_1799:
	s_andn2_b64 vcc, exec, s[4:5]
	s_cbranch_vccnz .LBB126_1801
; %bb.1800:
	v_cndmask_b32_e64 v3, 0, 1, s[20:21]
	global_store_short v[0:1], v3, off
.LBB126_1801:
	s_mov_b64 s[4:5], 0
.LBB126_1802:
	s_andn2_b64 vcc, exec, s[4:5]
	s_cbranch_vccnz .LBB126_1810
; %bb.1803:
	v_cndmask_b32_e64 v4, 0, 1.0, s[20:21]
	s_mov_b32 s4, 0x43800000
	v_cmp_gt_u32_e32 vcc, s4, v4
	v_mov_b32_e32 v5, 0x80
	s_and_saveexec_b64 s[4:5], vcc
	s_cbranch_execz .LBB126_1809
; %bb.1804:
	s_mov_b32 s10, 0x3bffffff
	v_cmp_lt_u32_e32 vcc, s10, v4
	s_mov_b64 s[10:11], 0
                                        ; implicit-def: $vgpr3
	s_and_saveexec_b64 s[12:13], vcc
	s_xor_b64 s[12:13], exec, s[12:13]
	s_cbranch_execz .LBB126_2099
; %bb.1805:
	v_bfe_u32 v3, v4, 20, 1
	s_mov_b32 s26, 0x487ffff
	v_add3_u32 v3, v4, v3, s26
	s_mov_b64 s[10:11], exec
	v_lshrrev_b32_e32 v3, 20, v3
                                        ; implicit-def: $vgpr4
	s_andn2_saveexec_b64 s[12:13], s[12:13]
	s_cbranch_execnz .LBB126_2100
.LBB126_1806:
	s_or_b64 exec, exec, s[12:13]
	v_mov_b32_e32 v5, 0
	s_and_saveexec_b64 s[12:13], s[10:11]
.LBB126_1807:
	v_mov_b32_e32 v5, v3
.LBB126_1808:
	s_or_b64 exec, exec, s[12:13]
.LBB126_1809:
	s_or_b64 exec, exec, s[4:5]
	global_store_byte v[0:1], v5, off
.LBB126_1810:
	s_mov_b64 s[4:5], -1
.LBB126_1811:
	s_mov_b64 s[10:11], 0
.LBB126_1812:
	s_and_b64 vcc, exec, s[10:11]
	s_cbranch_vccz .LBB126_1852
; %bb.1813:
	s_cmp_gt_i32 s15, 22
	s_mov_b64 s[2:3], -1
	s_cbranch_scc0 .LBB126_1845
; %bb.1814:
	s_cmp_lt_i32 s15, 24
	s_cbranch_scc1 .LBB126_1834
; %bb.1815:
	s_cmp_gt_i32 s15, 24
	s_cbranch_scc0 .LBB126_1823
; %bb.1816:
	v_cndmask_b32_e64 v4, 0, 1.0, s[20:21]
	s_mov_b32 s2, 0x47800000
	v_cmp_gt_u32_e32 vcc, s2, v4
	v_mov_b32_e32 v5, 0x80
	s_and_saveexec_b64 s[2:3], vcc
	s_cbranch_execz .LBB126_1822
; %bb.1817:
	s_mov_b32 s4, 0x37ffffff
	v_cmp_lt_u32_e32 vcc, s4, v4
	s_mov_b64 s[4:5], 0
                                        ; implicit-def: $vgpr3
	s_and_saveexec_b64 s[10:11], vcc
	s_xor_b64 s[10:11], exec, s[10:11]
	s_cbranch_execz .LBB126_2102
; %bb.1818:
	v_bfe_u32 v3, v4, 21, 1
	s_mov_b32 s12, 0x88fffff
	v_add3_u32 v3, v4, v3, s12
	s_mov_b64 s[4:5], exec
	v_lshrrev_b32_e32 v3, 21, v3
                                        ; implicit-def: $vgpr4
	s_andn2_saveexec_b64 s[10:11], s[10:11]
	s_cbranch_execnz .LBB126_2103
.LBB126_1819:
	s_or_b64 exec, exec, s[10:11]
	v_mov_b32_e32 v5, 0
	s_and_saveexec_b64 s[10:11], s[4:5]
.LBB126_1820:
	v_mov_b32_e32 v5, v3
.LBB126_1821:
	s_or_b64 exec, exec, s[10:11]
.LBB126_1822:
	s_or_b64 exec, exec, s[2:3]
	s_mov_b64 s[2:3], 0
	global_store_byte v[0:1], v5, off
.LBB126_1823:
	s_and_b64 vcc, exec, s[2:3]
	s_cbranch_vccz .LBB126_1833
; %bb.1824:
	v_cndmask_b32_e64 v3, 0, 1.0, s[20:21]
	s_mov_b32 s2, 0x43f00000
	v_cmp_gt_u32_e32 vcc, s2, v3
                                        ; implicit-def: $vgpr4
	s_and_saveexec_b64 s[2:3], vcc
	s_xor_b64 s[2:3], exec, s[2:3]
	s_cbranch_execz .LBB126_1830
; %bb.1825:
	s_mov_b32 s4, 0x3c7fffff
	v_cmp_lt_u32_e32 vcc, s4, v3
                                        ; implicit-def: $vgpr4
	s_and_saveexec_b64 s[4:5], vcc
	s_xor_b64 s[4:5], exec, s[4:5]
; %bb.1826:
	v_bfe_u32 v4, v3, 20, 1
	s_mov_b32 s10, 0x407ffff
	v_add3_u32 v3, v3, v4, s10
	v_lshrrev_b32_e32 v4, 20, v3
	v_and_b32_e32 v3, 0xff00000, v3
	s_mov_b32 s10, 0x7f00000
	v_mov_b32_e32 v5, 0x7e
	v_cmp_ne_u32_e32 vcc, s10, v3
	v_cndmask_b32_e32 v4, v5, v4, vcc
                                        ; implicit-def: $vgpr3
; %bb.1827:
	s_andn2_saveexec_b64 s[4:5], s[4:5]
; %bb.1828:
	v_add_f32_e32 v4, 0x46800000, v3
; %bb.1829:
	s_or_b64 exec, exec, s[4:5]
                                        ; implicit-def: $vgpr3
.LBB126_1830:
	s_andn2_saveexec_b64 s[2:3], s[2:3]
; %bb.1831:
	s_mov_b32 s4, 0x7f800000
	v_mov_b32_e32 v4, 0x7e
	v_mov_b32_e32 v5, 0x7f
	v_cmp_lt_u32_e32 vcc, s4, v3
	v_cndmask_b32_e32 v4, v4, v5, vcc
; %bb.1832:
	s_or_b64 exec, exec, s[2:3]
	global_store_byte v[0:1], v4, off
.LBB126_1833:
	s_mov_b64 s[2:3], 0
.LBB126_1834:
	s_andn2_b64 vcc, exec, s[2:3]
	s_cbranch_vccnz .LBB126_1844
; %bb.1835:
	v_cndmask_b32_e64 v3, 0, 1.0, s[20:21]
	s_mov_b32 s2, 0x47800000
	v_cmp_gt_u32_e32 vcc, s2, v3
                                        ; implicit-def: $vgpr4
	s_and_saveexec_b64 s[2:3], vcc
	s_xor_b64 s[2:3], exec, s[2:3]
	s_cbranch_execz .LBB126_1841
; %bb.1836:
	s_mov_b32 s4, 0x387fffff
	v_cmp_lt_u32_e32 vcc, s4, v3
                                        ; implicit-def: $vgpr4
	s_and_saveexec_b64 s[4:5], vcc
	s_xor_b64 s[4:5], exec, s[4:5]
; %bb.1837:
	v_bfe_u32 v4, v3, 21, 1
	s_mov_b32 s10, 0x80fffff
	v_add3_u32 v3, v3, v4, s10
	v_lshrrev_b32_e32 v4, 21, v3
                                        ; implicit-def: $vgpr3
; %bb.1838:
	s_andn2_saveexec_b64 s[4:5], s[4:5]
; %bb.1839:
	v_add_f32_e32 v4, 0x43000000, v3
; %bb.1840:
	s_or_b64 exec, exec, s[4:5]
                                        ; implicit-def: $vgpr3
.LBB126_1841:
	s_andn2_saveexec_b64 s[2:3], s[2:3]
; %bb.1842:
	s_mov_b32 s4, 0x7f800000
	v_mov_b32_e32 v4, 0x7c
	v_mov_b32_e32 v5, 0x7f
	v_cmp_lt_u32_e32 vcc, s4, v3
	v_cndmask_b32_e32 v4, v4, v5, vcc
; %bb.1843:
	s_or_b64 exec, exec, s[2:3]
	global_store_byte v[0:1], v4, off
.LBB126_1844:
	s_mov_b64 s[2:3], 0
	s_mov_b64 s[4:5], -1
.LBB126_1845:
	s_andn2_b64 vcc, exec, s[2:3]
	s_mov_b64 s[2:3], 0
	s_cbranch_vccnz .LBB126_1852
; %bb.1846:
	s_cmp_gt_i32 s15, 14
	s_mov_b64 s[10:11], -1
	s_cbranch_scc0 .LBB126_1850
; %bb.1847:
	s_cmp_eq_u32 s15, 15
	s_mov_b64 s[0:1], -1
	s_cbranch_scc0 .LBB126_1849
; %bb.1848:
	v_cndmask_b32_e64 v3, 0, 1.0, s[20:21]
	v_bfe_u32 v4, v3, 16, 1
	s_movk_i32 s0, 0x7fff
	v_add3_u32 v3, v3, v4, s0
	global_store_short_d16_hi v[0:1], v3, off
	s_mov_b64 s[0:1], 0
	s_mov_b64 s[4:5], -1
.LBB126_1849:
	s_mov_b64 s[10:11], 0
.LBB126_1850:
	s_and_b64 vcc, exec, s[10:11]
	s_cbranch_vccz .LBB126_1852
; %bb.1851:
	s_cmp_lg_u32 s15, 11
	s_mov_b64 s[2:3], -1
	s_cselect_b64 s[0:1], -1, 0
.LBB126_1852:
	s_and_b64 vcc, exec, s[0:1]
	s_cbranch_vccnz .LBB126_2101
; %bb.1853:
	s_andn2_b64 vcc, exec, s[2:3]
	s_cbranch_vccnz .LBB126_1855
.LBB126_1854:
	v_cndmask_b32_e64 v3, 0, 1, s[20:21]
	s_mov_b64 s[4:5], -1
	global_store_byte v[0:1], v3, off
.LBB126_1855:
	s_mov_b64 s[0:1], 0
	s_branch .LBB126_1857
.LBB126_1856:
	s_mov_b64 s[0:1], -1
	s_mov_b64 s[4:5], 0
.LBB126_1857:
	s_and_b64 vcc, exec, s[0:1]
	s_cbranch_vccz .LBB126_1896
; %bb.1858:
	s_and_b32 s2, 0xffff, s28
	s_cmp_lt_i32 s2, 5
	s_mov_b64 s[0:1], -1
	s_cbranch_scc1 .LBB126_1879
; %bb.1859:
	s_cmp_lt_i32 s2, 8
	s_cbranch_scc1 .LBB126_1869
; %bb.1860:
	s_cmp_lt_i32 s2, 9
	s_cbranch_scc1 .LBB126_1866
; %bb.1861:
	s_cmp_gt_i32 s2, 9
	s_cbranch_scc0 .LBB126_1863
; %bb.1862:
	v_cndmask_b32_e64 v3, 0, 1, s[20:21]
	v_cvt_f64_u32_e32 v[3:4], v3
	v_mov_b32_e32 v5, 0
	v_mov_b32_e32 v6, v5
	s_mov_b64 s[0:1], 0
	global_store_dwordx4 v[0:1], v[3:6], off
.LBB126_1863:
	s_andn2_b64 vcc, exec, s[0:1]
	s_cbranch_vccnz .LBB126_1865
; %bb.1864:
	v_cndmask_b32_e64 v3, 0, 1.0, s[20:21]
	v_mov_b32_e32 v4, 0
	global_store_dwordx2 v[0:1], v[3:4], off
.LBB126_1865:
	s_mov_b64 s[0:1], 0
.LBB126_1866:
	s_andn2_b64 vcc, exec, s[0:1]
	s_cbranch_vccnz .LBB126_1868
; %bb.1867:
	v_cndmask_b32_e64 v3, 0, 1.0, s[20:21]
	v_cvt_f16_f32_e32 v3, v3
	global_store_dword v[0:1], v3, off
.LBB126_1868:
	s_mov_b64 s[0:1], 0
.LBB126_1869:
	s_andn2_b64 vcc, exec, s[0:1]
	s_cbranch_vccnz .LBB126_1878
; %bb.1870:
	s_cmp_lt_i32 s2, 6
	s_mov_b64 s[0:1], -1
	s_cbranch_scc1 .LBB126_1876
; %bb.1871:
	s_cmp_gt_i32 s2, 6
	s_cbranch_scc0 .LBB126_1873
; %bb.1872:
	v_cndmask_b32_e64 v3, 0, 1, s[20:21]
	v_cvt_f64_u32_e32 v[3:4], v3
	s_mov_b64 s[0:1], 0
	global_store_dwordx2 v[0:1], v[3:4], off
.LBB126_1873:
	s_andn2_b64 vcc, exec, s[0:1]
	s_cbranch_vccnz .LBB126_1875
; %bb.1874:
	v_cndmask_b32_e64 v3, 0, 1.0, s[20:21]
	global_store_dword v[0:1], v3, off
.LBB126_1875:
	s_mov_b64 s[0:1], 0
.LBB126_1876:
	s_andn2_b64 vcc, exec, s[0:1]
	s_cbranch_vccnz .LBB126_1878
; %bb.1877:
	v_cndmask_b32_e64 v3, 0, 1.0, s[20:21]
	v_cvt_f16_f32_e32 v3, v3
	global_store_short v[0:1], v3, off
.LBB126_1878:
	s_mov_b64 s[0:1], 0
.LBB126_1879:
	s_andn2_b64 vcc, exec, s[0:1]
	s_cbranch_vccnz .LBB126_1895
; %bb.1880:
	s_cmp_lt_i32 s2, 2
	s_mov_b64 s[0:1], -1
	s_cbranch_scc1 .LBB126_1890
; %bb.1881:
	s_cmp_lt_i32 s2, 3
	s_cbranch_scc1 .LBB126_1887
; %bb.1882:
	s_cmp_gt_i32 s2, 3
	s_cbranch_scc0 .LBB126_1884
; %bb.1883:
	s_mov_b32 s0, 0
	v_cndmask_b32_e64 v3, 0, 1, s[20:21]
	v_mov_b32_e32 v4, s0
	global_store_dwordx2 v[0:1], v[3:4], off
	s_mov_b64 s[0:1], 0
.LBB126_1884:
	s_andn2_b64 vcc, exec, s[0:1]
	s_cbranch_vccnz .LBB126_1886
; %bb.1885:
	v_cndmask_b32_e64 v3, 0, 1, s[20:21]
	global_store_dword v[0:1], v3, off
.LBB126_1886:
	s_mov_b64 s[0:1], 0
.LBB126_1887:
	s_andn2_b64 vcc, exec, s[0:1]
	s_cbranch_vccnz .LBB126_1889
; %bb.1888:
	v_cndmask_b32_e64 v3, 0, 1, s[20:21]
	global_store_short v[0:1], v3, off
.LBB126_1889:
	s_mov_b64 s[0:1], 0
.LBB126_1890:
	s_andn2_b64 vcc, exec, s[0:1]
	s_cbranch_vccnz .LBB126_1895
; %bb.1891:
	s_mov_b64 s[0:1], -1
	s_cmp_gt_i32 s2, 0
	v_cndmask_b32_e64 v3, 0, 1, s[20:21]
	s_cbranch_scc0 .LBB126_1893
; %bb.1892:
	global_store_byte v[0:1], v3, off
	s_mov_b64 s[0:1], 0
.LBB126_1893:
	s_andn2_b64 vcc, exec, s[0:1]
	s_cbranch_vccnz .LBB126_1895
; %bb.1894:
	global_store_byte v[0:1], v3, off
.LBB126_1895:
	s_mov_b64 s[4:5], -1
.LBB126_1896:
	s_andn2_b64 vcc, exec, s[4:5]
	s_cbranch_vccnz .LBB126_2092
; %bb.1897:
	v_add_u32_e32 v2, s14, v2
	v_ashrrev_i32_e32 v1, 31, v2
	v_mov_b32_e32 v3, s9
	v_add_co_u32_e32 v0, vcc, s8, v2
	s_cmp_lt_i32 s28, 11
	v_addc_co_u32_e32 v1, vcc, v3, v1, vcc
	s_cbranch_scc1 .LBB126_1975
; %bb.1898:
	s_and_b32 s15, 0xffff, s28
	s_mov_b64 s[10:11], -1
	s_mov_b64 s[2:3], 0
	s_cmp_gt_i32 s15, 25
	s_mov_b64 s[4:5], 0
	s_mov_b64 s[0:1], 0
	s_cbranch_scc0 .LBB126_1931
; %bb.1899:
	s_cmp_gt_i32 s15, 28
	s_cbranch_scc0 .LBB126_1914
; %bb.1900:
	s_cmp_gt_i32 s15, 43
	;; [unrolled: 3-line block ×3, first 2 shown]
	s_cbranch_scc0 .LBB126_1904
; %bb.1902:
	s_mov_b64 s[0:1], -1
	s_mov_b64 s[10:11], 0
	s_cmp_eq_u32 s15, 46
	s_cbranch_scc0 .LBB126_1904
; %bb.1903:
	v_cndmask_b32_e64 v3, 0, 1.0, s[22:23]
	v_bfe_u32 v4, v3, 16, 1
	s_movk_i32 s0, 0x7fff
	v_add3_u32 v3, v3, v4, s0
	v_lshrrev_b32_e32 v3, 16, v3
	global_store_dword v[0:1], v3, off
	s_mov_b64 s[0:1], 0
	s_mov_b64 s[4:5], -1
.LBB126_1904:
	s_and_b64 vcc, exec, s[10:11]
	s_cbranch_vccz .LBB126_1909
; %bb.1905:
	s_cmp_eq_u32 s15, 44
	s_mov_b64 s[0:1], -1
	s_cbranch_scc0 .LBB126_1909
; %bb.1906:
	v_cndmask_b32_e64 v4, 0, 1.0, s[22:23]
	v_lshrrev_b32_e32 v3, 23, v4
	s_movk_i32 s0, 0xff
	v_cmp_ne_u32_e32 vcc, s0, v3
	v_mov_b32_e32 v5, 0xff
	s_and_saveexec_b64 s[4:5], vcc
; %bb.1907:
	s_mov_b32 s0, 0x3fffff
	v_and_b32_e32 v5, 0x400000, v4
	v_and_or_b32 v4, v4, s0, v3
	v_cmp_ne_u32_e32 vcc, 0, v5
	v_cmp_ne_u32_e64 s[0:1], 0, v4
	s_and_b64 s[0:1], vcc, s[0:1]
	v_cndmask_b32_e64 v4, 0, 1, s[0:1]
	v_add_u32_e32 v5, v3, v4
; %bb.1908:
	s_or_b64 exec, exec, s[4:5]
	s_mov_b64 s[0:1], 0
	s_mov_b64 s[4:5], -1
	global_store_byte v[0:1], v5, off
.LBB126_1909:
	s_mov_b64 s[10:11], 0
.LBB126_1910:
	s_and_b64 vcc, exec, s[10:11]
	s_cbranch_vccz .LBB126_1913
; %bb.1911:
	s_cmp_eq_u32 s15, 29
	s_mov_b64 s[0:1], -1
	s_cbranch_scc0 .LBB126_1913
; %bb.1912:
	s_mov_b32 s0, 0
	v_cndmask_b32_e64 v3, 0, 1, s[22:23]
	v_mov_b32_e32 v4, s0
	global_store_dwordx2 v[0:1], v[3:4], off
	s_mov_b64 s[0:1], 0
	s_mov_b64 s[4:5], -1
.LBB126_1913:
	s_mov_b64 s[10:11], 0
.LBB126_1914:
	s_and_b64 vcc, exec, s[10:11]
	s_cbranch_vccz .LBB126_1930
; %bb.1915:
	s_cmp_lt_i32 s15, 27
	s_mov_b64 s[4:5], -1
	s_cbranch_scc1 .LBB126_1921
; %bb.1916:
	s_cmp_gt_i32 s15, 27
	s_cbranch_scc0 .LBB126_1918
; %bb.1917:
	v_cndmask_b32_e64 v3, 0, 1, s[22:23]
	s_mov_b64 s[4:5], 0
	global_store_dword v[0:1], v3, off
.LBB126_1918:
	s_andn2_b64 vcc, exec, s[4:5]
	s_cbranch_vccnz .LBB126_1920
; %bb.1919:
	v_cndmask_b32_e64 v3, 0, 1, s[22:23]
	global_store_short v[0:1], v3, off
.LBB126_1920:
	s_mov_b64 s[4:5], 0
.LBB126_1921:
	s_andn2_b64 vcc, exec, s[4:5]
	s_cbranch_vccnz .LBB126_1929
; %bb.1922:
	v_cndmask_b32_e64 v4, 0, 1.0, s[22:23]
	s_mov_b32 s4, 0x43800000
	v_cmp_gt_u32_e32 vcc, s4, v4
	v_mov_b32_e32 v5, 0x80
	s_and_saveexec_b64 s[4:5], vcc
	s_cbranch_execz .LBB126_1928
; %bb.1923:
	s_mov_b32 s10, 0x3bffffff
	v_cmp_lt_u32_e32 vcc, s10, v4
	s_mov_b64 s[10:11], 0
                                        ; implicit-def: $vgpr3
	s_and_saveexec_b64 s[12:13], vcc
	s_xor_b64 s[12:13], exec, s[12:13]
	s_cbranch_execz .LBB126_2104
; %bb.1924:
	v_bfe_u32 v3, v4, 20, 1
	s_mov_b32 s20, 0x487ffff
	v_add3_u32 v3, v4, v3, s20
	s_mov_b64 s[10:11], exec
	v_lshrrev_b32_e32 v3, 20, v3
                                        ; implicit-def: $vgpr4
	s_andn2_saveexec_b64 s[12:13], s[12:13]
	s_cbranch_execnz .LBB126_2105
.LBB126_1925:
	s_or_b64 exec, exec, s[12:13]
	v_mov_b32_e32 v5, 0
	s_and_saveexec_b64 s[12:13], s[10:11]
.LBB126_1926:
	v_mov_b32_e32 v5, v3
.LBB126_1927:
	s_or_b64 exec, exec, s[12:13]
.LBB126_1928:
	s_or_b64 exec, exec, s[4:5]
	global_store_byte v[0:1], v5, off
.LBB126_1929:
	s_mov_b64 s[4:5], -1
.LBB126_1930:
	s_mov_b64 s[10:11], 0
.LBB126_1931:
	s_and_b64 vcc, exec, s[10:11]
	s_cbranch_vccz .LBB126_1971
; %bb.1932:
	s_cmp_gt_i32 s15, 22
	s_mov_b64 s[2:3], -1
	s_cbranch_scc0 .LBB126_1964
; %bb.1933:
	s_cmp_lt_i32 s15, 24
	s_cbranch_scc1 .LBB126_1953
; %bb.1934:
	s_cmp_gt_i32 s15, 24
	s_cbranch_scc0 .LBB126_1942
; %bb.1935:
	v_cndmask_b32_e64 v4, 0, 1.0, s[22:23]
	s_mov_b32 s2, 0x47800000
	v_cmp_gt_u32_e32 vcc, s2, v4
	v_mov_b32_e32 v5, 0x80
	s_and_saveexec_b64 s[2:3], vcc
	s_cbranch_execz .LBB126_1941
; %bb.1936:
	s_mov_b32 s4, 0x37ffffff
	v_cmp_lt_u32_e32 vcc, s4, v4
	s_mov_b64 s[4:5], 0
                                        ; implicit-def: $vgpr3
	s_and_saveexec_b64 s[10:11], vcc
	s_xor_b64 s[10:11], exec, s[10:11]
	s_cbranch_execz .LBB126_2107
; %bb.1937:
	v_bfe_u32 v3, v4, 21, 1
	s_mov_b32 s12, 0x88fffff
	v_add3_u32 v3, v4, v3, s12
	s_mov_b64 s[4:5], exec
	v_lshrrev_b32_e32 v3, 21, v3
                                        ; implicit-def: $vgpr4
	s_andn2_saveexec_b64 s[10:11], s[10:11]
	s_cbranch_execnz .LBB126_2108
.LBB126_1938:
	s_or_b64 exec, exec, s[10:11]
	v_mov_b32_e32 v5, 0
	s_and_saveexec_b64 s[10:11], s[4:5]
.LBB126_1939:
	v_mov_b32_e32 v5, v3
.LBB126_1940:
	s_or_b64 exec, exec, s[10:11]
.LBB126_1941:
	s_or_b64 exec, exec, s[2:3]
	s_mov_b64 s[2:3], 0
	global_store_byte v[0:1], v5, off
.LBB126_1942:
	s_and_b64 vcc, exec, s[2:3]
	s_cbranch_vccz .LBB126_1952
; %bb.1943:
	v_cndmask_b32_e64 v3, 0, 1.0, s[22:23]
	s_mov_b32 s2, 0x43f00000
	v_cmp_gt_u32_e32 vcc, s2, v3
                                        ; implicit-def: $vgpr4
	s_and_saveexec_b64 s[2:3], vcc
	s_xor_b64 s[2:3], exec, s[2:3]
	s_cbranch_execz .LBB126_1949
; %bb.1944:
	s_mov_b32 s4, 0x3c7fffff
	v_cmp_lt_u32_e32 vcc, s4, v3
                                        ; implicit-def: $vgpr4
	s_and_saveexec_b64 s[4:5], vcc
	s_xor_b64 s[4:5], exec, s[4:5]
; %bb.1945:
	v_bfe_u32 v4, v3, 20, 1
	s_mov_b32 s10, 0x407ffff
	v_add3_u32 v3, v3, v4, s10
	v_lshrrev_b32_e32 v4, 20, v3
	v_and_b32_e32 v3, 0xff00000, v3
	s_mov_b32 s10, 0x7f00000
	v_mov_b32_e32 v5, 0x7e
	v_cmp_ne_u32_e32 vcc, s10, v3
	v_cndmask_b32_e32 v4, v5, v4, vcc
                                        ; implicit-def: $vgpr3
; %bb.1946:
	s_andn2_saveexec_b64 s[4:5], s[4:5]
; %bb.1947:
	v_add_f32_e32 v4, 0x46800000, v3
; %bb.1948:
	s_or_b64 exec, exec, s[4:5]
                                        ; implicit-def: $vgpr3
.LBB126_1949:
	s_andn2_saveexec_b64 s[2:3], s[2:3]
; %bb.1950:
	s_mov_b32 s4, 0x7f800000
	v_mov_b32_e32 v4, 0x7e
	v_mov_b32_e32 v5, 0x7f
	v_cmp_lt_u32_e32 vcc, s4, v3
	v_cndmask_b32_e32 v4, v4, v5, vcc
; %bb.1951:
	s_or_b64 exec, exec, s[2:3]
	global_store_byte v[0:1], v4, off
.LBB126_1952:
	s_mov_b64 s[2:3], 0
.LBB126_1953:
	s_andn2_b64 vcc, exec, s[2:3]
	s_cbranch_vccnz .LBB126_1963
; %bb.1954:
	v_cndmask_b32_e64 v3, 0, 1.0, s[22:23]
	s_mov_b32 s2, 0x47800000
	v_cmp_gt_u32_e32 vcc, s2, v3
                                        ; implicit-def: $vgpr4
	s_and_saveexec_b64 s[2:3], vcc
	s_xor_b64 s[2:3], exec, s[2:3]
	s_cbranch_execz .LBB126_1960
; %bb.1955:
	s_mov_b32 s4, 0x387fffff
	v_cmp_lt_u32_e32 vcc, s4, v3
                                        ; implicit-def: $vgpr4
	s_and_saveexec_b64 s[4:5], vcc
	s_xor_b64 s[4:5], exec, s[4:5]
; %bb.1956:
	v_bfe_u32 v4, v3, 21, 1
	s_mov_b32 s10, 0x80fffff
	v_add3_u32 v3, v3, v4, s10
	v_lshrrev_b32_e32 v4, 21, v3
                                        ; implicit-def: $vgpr3
; %bb.1957:
	s_andn2_saveexec_b64 s[4:5], s[4:5]
; %bb.1958:
	v_add_f32_e32 v4, 0x43000000, v3
; %bb.1959:
	s_or_b64 exec, exec, s[4:5]
                                        ; implicit-def: $vgpr3
.LBB126_1960:
	s_andn2_saveexec_b64 s[2:3], s[2:3]
; %bb.1961:
	s_mov_b32 s4, 0x7f800000
	v_mov_b32_e32 v4, 0x7c
	v_mov_b32_e32 v5, 0x7f
	v_cmp_lt_u32_e32 vcc, s4, v3
	v_cndmask_b32_e32 v4, v4, v5, vcc
; %bb.1962:
	s_or_b64 exec, exec, s[2:3]
	global_store_byte v[0:1], v4, off
.LBB126_1963:
	s_mov_b64 s[2:3], 0
	s_mov_b64 s[4:5], -1
.LBB126_1964:
	s_andn2_b64 vcc, exec, s[2:3]
	s_mov_b64 s[2:3], 0
	s_cbranch_vccnz .LBB126_1971
; %bb.1965:
	s_cmp_gt_i32 s15, 14
	s_mov_b64 s[10:11], -1
	s_cbranch_scc0 .LBB126_1969
; %bb.1966:
	s_cmp_eq_u32 s15, 15
	s_mov_b64 s[0:1], -1
	s_cbranch_scc0 .LBB126_1968
; %bb.1967:
	v_cndmask_b32_e64 v3, 0, 1.0, s[22:23]
	v_bfe_u32 v4, v3, 16, 1
	s_movk_i32 s0, 0x7fff
	v_add3_u32 v3, v3, v4, s0
	global_store_short_d16_hi v[0:1], v3, off
	s_mov_b64 s[0:1], 0
	s_mov_b64 s[4:5], -1
.LBB126_1968:
	s_mov_b64 s[10:11], 0
.LBB126_1969:
	s_and_b64 vcc, exec, s[10:11]
	s_cbranch_vccz .LBB126_1971
; %bb.1970:
	s_cmp_lg_u32 s15, 11
	s_mov_b64 s[2:3], -1
	s_cselect_b64 s[0:1], -1, 0
.LBB126_1971:
	s_and_b64 vcc, exec, s[0:1]
	s_cbranch_vccnz .LBB126_2106
; %bb.1972:
	s_andn2_b64 vcc, exec, s[2:3]
	s_cbranch_vccnz .LBB126_1974
.LBB126_1973:
	v_cndmask_b32_e64 v3, 0, 1, s[22:23]
	s_mov_b64 s[4:5], -1
	global_store_byte v[0:1], v3, off
.LBB126_1974:
	s_mov_b64 s[0:1], 0
	s_branch .LBB126_1976
.LBB126_1975:
	s_mov_b64 s[0:1], -1
	s_mov_b64 s[4:5], 0
.LBB126_1976:
	s_and_b64 vcc, exec, s[0:1]
	s_cbranch_vccz .LBB126_2015
; %bb.1977:
	s_and_b32 s2, 0xffff, s28
	s_cmp_lt_i32 s2, 5
	s_mov_b64 s[0:1], -1
	s_cbranch_scc1 .LBB126_1998
; %bb.1978:
	s_cmp_lt_i32 s2, 8
	s_cbranch_scc1 .LBB126_1988
; %bb.1979:
	s_cmp_lt_i32 s2, 9
	s_cbranch_scc1 .LBB126_1985
; %bb.1980:
	s_cmp_gt_i32 s2, 9
	s_cbranch_scc0 .LBB126_1982
; %bb.1981:
	v_cndmask_b32_e64 v3, 0, 1, s[22:23]
	v_cvt_f64_u32_e32 v[3:4], v3
	v_mov_b32_e32 v5, 0
	v_mov_b32_e32 v6, v5
	s_mov_b64 s[0:1], 0
	global_store_dwordx4 v[0:1], v[3:6], off
.LBB126_1982:
	s_andn2_b64 vcc, exec, s[0:1]
	s_cbranch_vccnz .LBB126_1984
; %bb.1983:
	v_cndmask_b32_e64 v3, 0, 1.0, s[22:23]
	v_mov_b32_e32 v4, 0
	global_store_dwordx2 v[0:1], v[3:4], off
.LBB126_1984:
	s_mov_b64 s[0:1], 0
.LBB126_1985:
	s_andn2_b64 vcc, exec, s[0:1]
	s_cbranch_vccnz .LBB126_1987
; %bb.1986:
	v_cndmask_b32_e64 v3, 0, 1.0, s[22:23]
	v_cvt_f16_f32_e32 v3, v3
	global_store_dword v[0:1], v3, off
.LBB126_1987:
	s_mov_b64 s[0:1], 0
.LBB126_1988:
	s_andn2_b64 vcc, exec, s[0:1]
	s_cbranch_vccnz .LBB126_1997
; %bb.1989:
	s_cmp_lt_i32 s2, 6
	s_mov_b64 s[0:1], -1
	s_cbranch_scc1 .LBB126_1995
; %bb.1990:
	s_cmp_gt_i32 s2, 6
	s_cbranch_scc0 .LBB126_1992
; %bb.1991:
	v_cndmask_b32_e64 v3, 0, 1, s[22:23]
	v_cvt_f64_u32_e32 v[3:4], v3
	s_mov_b64 s[0:1], 0
	global_store_dwordx2 v[0:1], v[3:4], off
.LBB126_1992:
	s_andn2_b64 vcc, exec, s[0:1]
	s_cbranch_vccnz .LBB126_1994
; %bb.1993:
	v_cndmask_b32_e64 v3, 0, 1.0, s[22:23]
	global_store_dword v[0:1], v3, off
.LBB126_1994:
	s_mov_b64 s[0:1], 0
.LBB126_1995:
	s_andn2_b64 vcc, exec, s[0:1]
	s_cbranch_vccnz .LBB126_1997
; %bb.1996:
	v_cndmask_b32_e64 v3, 0, 1.0, s[22:23]
	v_cvt_f16_f32_e32 v3, v3
	global_store_short v[0:1], v3, off
.LBB126_1997:
	s_mov_b64 s[0:1], 0
.LBB126_1998:
	s_andn2_b64 vcc, exec, s[0:1]
	s_cbranch_vccnz .LBB126_2014
; %bb.1999:
	s_cmp_lt_i32 s2, 2
	s_mov_b64 s[0:1], -1
	s_cbranch_scc1 .LBB126_2009
; %bb.2000:
	s_cmp_lt_i32 s2, 3
	s_cbranch_scc1 .LBB126_2006
; %bb.2001:
	s_cmp_gt_i32 s2, 3
	s_cbranch_scc0 .LBB126_2003
; %bb.2002:
	s_mov_b32 s0, 0
	v_cndmask_b32_e64 v3, 0, 1, s[22:23]
	v_mov_b32_e32 v4, s0
	global_store_dwordx2 v[0:1], v[3:4], off
	s_mov_b64 s[0:1], 0
.LBB126_2003:
	s_andn2_b64 vcc, exec, s[0:1]
	s_cbranch_vccnz .LBB126_2005
; %bb.2004:
	v_cndmask_b32_e64 v3, 0, 1, s[22:23]
	global_store_dword v[0:1], v3, off
.LBB126_2005:
	s_mov_b64 s[0:1], 0
.LBB126_2006:
	s_andn2_b64 vcc, exec, s[0:1]
	s_cbranch_vccnz .LBB126_2008
; %bb.2007:
	v_cndmask_b32_e64 v3, 0, 1, s[22:23]
	global_store_short v[0:1], v3, off
.LBB126_2008:
	s_mov_b64 s[0:1], 0
.LBB126_2009:
	s_andn2_b64 vcc, exec, s[0:1]
	s_cbranch_vccnz .LBB126_2014
; %bb.2010:
	s_mov_b64 s[0:1], -1
	s_cmp_gt_i32 s2, 0
	v_cndmask_b32_e64 v3, 0, 1, s[22:23]
	s_cbranch_scc0 .LBB126_2012
; %bb.2011:
	global_store_byte v[0:1], v3, off
	s_mov_b64 s[0:1], 0
.LBB126_2012:
	s_andn2_b64 vcc, exec, s[0:1]
	s_cbranch_vccnz .LBB126_2014
; %bb.2013:
	global_store_byte v[0:1], v3, off
.LBB126_2014:
	s_mov_b64 s[4:5], -1
.LBB126_2015:
	s_andn2_b64 vcc, exec, s[4:5]
	s_cbranch_vccnz .LBB126_2092
; %bb.2016:
	v_add_u32_e32 v0, s14, v2
	v_ashrrev_i32_e32 v1, 31, v0
	v_mov_b32_e32 v2, s9
	v_add_co_u32_e32 v0, vcc, s8, v0
	s_cmp_lt_i32 s28, 11
	v_addc_co_u32_e32 v1, vcc, v2, v1, vcc
	s_cbranch_scc1 .LBB126_2093
; %bb.2017:
	s_and_b32 s12, 0xffff, s28
	s_mov_b64 s[4:5], -1
	s_mov_b64 s[2:3], 0
	s_cmp_gt_i32 s12, 25
	s_mov_b64 s[0:1], 0
	s_cbranch_scc0 .LBB126_2050
; %bb.2018:
	s_cmp_gt_i32 s12, 28
	s_cbranch_scc0 .LBB126_2034
; %bb.2019:
	s_cmp_gt_i32 s12, 43
	;; [unrolled: 3-line block ×3, first 2 shown]
	s_cbranch_scc0 .LBB126_2024
; %bb.2021:
	s_cmp_eq_u32 s12, 46
	s_mov_b64 s[0:1], -1
	s_cbranch_scc0 .LBB126_2023
; %bb.2022:
	v_cndmask_b32_e64 v2, 0, 1.0, s[24:25]
	v_bfe_u32 v3, v2, 16, 1
	s_movk_i32 s0, 0x7fff
	v_add3_u32 v2, v2, v3, s0
	v_lshrrev_b32_e32 v2, 16, v2
	global_store_dword v[0:1], v2, off
	s_mov_b64 s[0:1], 0
.LBB126_2023:
	s_mov_b64 s[4:5], 0
.LBB126_2024:
	s_and_b64 vcc, exec, s[4:5]
	s_cbranch_vccz .LBB126_2029
; %bb.2025:
	s_cmp_eq_u32 s12, 44
	s_mov_b64 s[0:1], -1
	s_cbranch_scc0 .LBB126_2029
; %bb.2026:
	v_cndmask_b32_e64 v3, 0, 1.0, s[24:25]
	v_lshrrev_b32_e32 v2, 23, v3
	s_movk_i32 s0, 0xff
	v_cmp_ne_u32_e32 vcc, s0, v2
	v_mov_b32_e32 v4, 0xff
	s_and_saveexec_b64 s[4:5], vcc
; %bb.2027:
	s_mov_b32 s0, 0x3fffff
	v_and_b32_e32 v4, 0x400000, v3
	v_and_or_b32 v3, v3, s0, v2
	v_cmp_ne_u32_e32 vcc, 0, v4
	v_cmp_ne_u32_e64 s[0:1], 0, v3
	s_and_b64 s[0:1], vcc, s[0:1]
	v_cndmask_b32_e64 v3, 0, 1, s[0:1]
	v_add_u32_e32 v4, v2, v3
; %bb.2028:
	s_or_b64 exec, exec, s[4:5]
	s_mov_b64 s[0:1], 0
	global_store_byte v[0:1], v4, off
.LBB126_2029:
	s_mov_b64 s[4:5], 0
.LBB126_2030:
	s_and_b64 vcc, exec, s[4:5]
	s_cbranch_vccz .LBB126_2033
; %bb.2031:
	s_cmp_eq_u32 s12, 29
	s_mov_b64 s[0:1], -1
	s_cbranch_scc0 .LBB126_2033
; %bb.2032:
	s_mov_b32 s0, 0
	v_cndmask_b32_e64 v2, 0, 1, s[24:25]
	v_mov_b32_e32 v3, s0
	global_store_dwordx2 v[0:1], v[2:3], off
	s_mov_b64 s[0:1], 0
.LBB126_2033:
	s_mov_b64 s[4:5], 0
.LBB126_2034:
	s_and_b64 vcc, exec, s[4:5]
	s_cbranch_vccz .LBB126_2049
; %bb.2035:
	s_cmp_lt_i32 s12, 27
	s_mov_b64 s[4:5], -1
	s_cbranch_scc1 .LBB126_2041
; %bb.2036:
	s_cmp_gt_i32 s12, 27
	v_cndmask_b32_e64 v2, 0, 1, s[24:25]
	s_cbranch_scc0 .LBB126_2038
; %bb.2037:
	global_store_dword v[0:1], v2, off
	s_mov_b64 s[4:5], 0
.LBB126_2038:
	s_andn2_b64 vcc, exec, s[4:5]
	s_cbranch_vccnz .LBB126_2040
; %bb.2039:
	global_store_short v[0:1], v2, off
.LBB126_2040:
	s_mov_b64 s[4:5], 0
.LBB126_2041:
	s_andn2_b64 vcc, exec, s[4:5]
	s_cbranch_vccnz .LBB126_2049
; %bb.2042:
	v_cndmask_b32_e64 v3, 0, 1.0, s[24:25]
	s_mov_b32 s4, 0x43800000
	v_cmp_gt_u32_e32 vcc, s4, v3
	v_mov_b32_e32 v4, 0x80
	s_and_saveexec_b64 s[4:5], vcc
	s_cbranch_execz .LBB126_2048
; %bb.2043:
	s_mov_b32 s8, 0x3bffffff
	v_cmp_lt_u32_e32 vcc, s8, v3
	s_mov_b64 s[8:9], 0
                                        ; implicit-def: $vgpr2
	s_and_saveexec_b64 s[10:11], vcc
	s_xor_b64 s[10:11], exec, s[10:11]
	s_cbranch_execz .LBB126_2109
; %bb.2044:
	v_bfe_u32 v2, v3, 20, 1
	s_mov_b32 s13, 0x487ffff
	v_add3_u32 v2, v3, v2, s13
	s_mov_b64 s[8:9], exec
	v_lshrrev_b32_e32 v2, 20, v2
                                        ; implicit-def: $vgpr3
	s_andn2_saveexec_b64 s[10:11], s[10:11]
	s_cbranch_execnz .LBB126_2110
.LBB126_2045:
	s_or_b64 exec, exec, s[10:11]
	v_mov_b32_e32 v4, 0
	s_and_saveexec_b64 s[10:11], s[8:9]
.LBB126_2046:
	v_mov_b32_e32 v4, v2
.LBB126_2047:
	s_or_b64 exec, exec, s[10:11]
.LBB126_2048:
	s_or_b64 exec, exec, s[4:5]
	global_store_byte v[0:1], v4, off
.LBB126_2049:
	s_mov_b64 s[4:5], 0
.LBB126_2050:
	s_and_b64 vcc, exec, s[4:5]
	s_cbranch_vccz .LBB126_2090
; %bb.2051:
	s_cmp_gt_i32 s12, 22
	s_mov_b64 s[2:3], -1
	s_cbranch_scc0 .LBB126_2083
; %bb.2052:
	s_cmp_lt_i32 s12, 24
	s_cbranch_scc1 .LBB126_2072
; %bb.2053:
	s_cmp_gt_i32 s12, 24
	s_cbranch_scc0 .LBB126_2061
; %bb.2054:
	v_cndmask_b32_e64 v3, 0, 1.0, s[24:25]
	s_mov_b32 s2, 0x47800000
	v_cmp_gt_u32_e32 vcc, s2, v3
	v_mov_b32_e32 v4, 0x80
	s_and_saveexec_b64 s[2:3], vcc
	s_cbranch_execz .LBB126_2060
; %bb.2055:
	s_mov_b32 s4, 0x37ffffff
	v_cmp_lt_u32_e32 vcc, s4, v3
	s_mov_b64 s[4:5], 0
                                        ; implicit-def: $vgpr2
	s_and_saveexec_b64 s[8:9], vcc
	s_xor_b64 s[8:9], exec, s[8:9]
	s_cbranch_execz .LBB126_2112
; %bb.2056:
	v_bfe_u32 v2, v3, 21, 1
	s_mov_b32 s10, 0x88fffff
	v_add3_u32 v2, v3, v2, s10
	s_mov_b64 s[4:5], exec
	v_lshrrev_b32_e32 v2, 21, v2
                                        ; implicit-def: $vgpr3
	s_andn2_saveexec_b64 s[8:9], s[8:9]
	s_cbranch_execnz .LBB126_2113
.LBB126_2057:
	s_or_b64 exec, exec, s[8:9]
	v_mov_b32_e32 v4, 0
	s_and_saveexec_b64 s[8:9], s[4:5]
.LBB126_2058:
	v_mov_b32_e32 v4, v2
.LBB126_2059:
	s_or_b64 exec, exec, s[8:9]
.LBB126_2060:
	s_or_b64 exec, exec, s[2:3]
	s_mov_b64 s[2:3], 0
	global_store_byte v[0:1], v4, off
.LBB126_2061:
	s_and_b64 vcc, exec, s[2:3]
	s_cbranch_vccz .LBB126_2071
; %bb.2062:
	v_cndmask_b32_e64 v2, 0, 1.0, s[24:25]
	s_mov_b32 s2, 0x43f00000
	v_cmp_gt_u32_e32 vcc, s2, v2
                                        ; implicit-def: $vgpr3
	s_and_saveexec_b64 s[2:3], vcc
	s_xor_b64 s[2:3], exec, s[2:3]
	s_cbranch_execz .LBB126_2068
; %bb.2063:
	s_mov_b32 s4, 0x3c7fffff
	v_cmp_lt_u32_e32 vcc, s4, v2
                                        ; implicit-def: $vgpr3
	s_and_saveexec_b64 s[4:5], vcc
	s_xor_b64 s[4:5], exec, s[4:5]
; %bb.2064:
	v_bfe_u32 v3, v2, 20, 1
	s_mov_b32 s8, 0x407ffff
	v_add3_u32 v2, v2, v3, s8
	v_lshrrev_b32_e32 v3, 20, v2
	v_and_b32_e32 v2, 0xff00000, v2
	s_mov_b32 s8, 0x7f00000
	v_mov_b32_e32 v4, 0x7e
	v_cmp_ne_u32_e32 vcc, s8, v2
	v_cndmask_b32_e32 v3, v4, v3, vcc
                                        ; implicit-def: $vgpr2
; %bb.2065:
	s_andn2_saveexec_b64 s[4:5], s[4:5]
; %bb.2066:
	v_add_f32_e32 v3, 0x46800000, v2
; %bb.2067:
	s_or_b64 exec, exec, s[4:5]
                                        ; implicit-def: $vgpr2
.LBB126_2068:
	s_andn2_saveexec_b64 s[2:3], s[2:3]
; %bb.2069:
	s_mov_b32 s4, 0x7f800000
	v_mov_b32_e32 v3, 0x7e
	v_mov_b32_e32 v4, 0x7f
	v_cmp_lt_u32_e32 vcc, s4, v2
	v_cndmask_b32_e32 v3, v3, v4, vcc
; %bb.2070:
	s_or_b64 exec, exec, s[2:3]
	global_store_byte v[0:1], v3, off
.LBB126_2071:
	s_mov_b64 s[2:3], 0
.LBB126_2072:
	s_andn2_b64 vcc, exec, s[2:3]
	s_cbranch_vccnz .LBB126_2082
; %bb.2073:
	v_cndmask_b32_e64 v2, 0, 1.0, s[24:25]
	s_mov_b32 s2, 0x47800000
	v_cmp_gt_u32_e32 vcc, s2, v2
                                        ; implicit-def: $vgpr3
	s_and_saveexec_b64 s[2:3], vcc
	s_xor_b64 s[2:3], exec, s[2:3]
	s_cbranch_execz .LBB126_2079
; %bb.2074:
	s_mov_b32 s4, 0x387fffff
	v_cmp_lt_u32_e32 vcc, s4, v2
                                        ; implicit-def: $vgpr3
	s_and_saveexec_b64 s[4:5], vcc
	s_xor_b64 s[4:5], exec, s[4:5]
; %bb.2075:
	v_bfe_u32 v3, v2, 21, 1
	s_mov_b32 s8, 0x80fffff
	v_add3_u32 v2, v2, v3, s8
	v_lshrrev_b32_e32 v3, 21, v2
                                        ; implicit-def: $vgpr2
; %bb.2076:
	s_andn2_saveexec_b64 s[4:5], s[4:5]
; %bb.2077:
	v_add_f32_e32 v3, 0x43000000, v2
; %bb.2078:
	s_or_b64 exec, exec, s[4:5]
                                        ; implicit-def: $vgpr2
.LBB126_2079:
	s_andn2_saveexec_b64 s[2:3], s[2:3]
; %bb.2080:
	s_mov_b32 s4, 0x7f800000
	v_mov_b32_e32 v3, 0x7c
	v_mov_b32_e32 v4, 0x7f
	v_cmp_lt_u32_e32 vcc, s4, v2
	v_cndmask_b32_e32 v3, v3, v4, vcc
; %bb.2081:
	s_or_b64 exec, exec, s[2:3]
	global_store_byte v[0:1], v3, off
.LBB126_2082:
	s_mov_b64 s[2:3], 0
.LBB126_2083:
	s_andn2_b64 vcc, exec, s[2:3]
	s_mov_b64 s[2:3], 0
	s_cbranch_vccnz .LBB126_2090
; %bb.2084:
	s_cmp_gt_i32 s12, 14
	s_mov_b64 s[4:5], -1
	s_cbranch_scc0 .LBB126_2088
; %bb.2085:
	s_cmp_eq_u32 s12, 15
	s_mov_b64 s[0:1], -1
	s_cbranch_scc0 .LBB126_2087
; %bb.2086:
	v_cndmask_b32_e64 v2, 0, 1.0, s[24:25]
	v_bfe_u32 v3, v2, 16, 1
	s_movk_i32 s0, 0x7fff
	v_add3_u32 v2, v2, v3, s0
	global_store_short_d16_hi v[0:1], v2, off
	s_mov_b64 s[0:1], 0
.LBB126_2087:
	s_mov_b64 s[4:5], 0
.LBB126_2088:
	s_and_b64 vcc, exec, s[4:5]
	s_cbranch_vccz .LBB126_2090
; %bb.2089:
	s_cmp_lg_u32 s12, 11
	s_mov_b64 s[2:3], -1
	s_cselect_b64 s[0:1], -1, 0
.LBB126_2090:
	s_and_b64 vcc, exec, s[0:1]
	s_cbranch_vccnz .LBB126_2111
.LBB126_2091:
	s_mov_b64 s[0:1], 0
	s_branch .LBB126_1612
.LBB126_2092:
	s_mov_b64 s[0:1], 0
	s_branch .LBB126_1611
.LBB126_2093:
	s_mov_b64 s[2:3], 0
	s_mov_b64 s[0:1], -1
	s_branch .LBB126_1612
.LBB126_2094:
	s_andn2_saveexec_b64 s[26:27], s[26:27]
	s_cbranch_execz .LBB126_1687
.LBB126_2095:
	v_add_f32_e32 v3, 0x46000000, v4
	v_and_b32_e32 v3, 0xff, v3
	v_cmp_ne_u32_e32 vcc, 0, v3
	s_andn2_b64 s[14:15], s[14:15], exec
	s_and_b64 s[30:31], vcc, exec
	s_or_b64 s[14:15], s[14:15], s[30:31]
	s_or_b64 exec, exec, s[26:27]
	v_mov_b32_e32 v5, 0
	s_and_saveexec_b64 s[26:27], s[14:15]
	s_cbranch_execnz .LBB126_1688
	s_branch .LBB126_1689
.LBB126_2096:
	s_trap 2
	s_or_b64 s[18:19], s[18:19], exec
	s_cbranch_execz .LBB126_1735
	s_branch .LBB126_1736
.LBB126_2097:
	s_andn2_saveexec_b64 s[14:15], s[14:15]
	s_cbranch_execz .LBB126_1700
.LBB126_2098:
	v_add_f32_e32 v3, 0x42800000, v4
	v_and_b32_e32 v3, 0xff, v3
	v_cmp_ne_u32_e32 vcc, 0, v3
	s_andn2_b64 s[12:13], s[12:13], exec
	s_and_b64 s[26:27], vcc, exec
	s_or_b64 s[12:13], s[12:13], s[26:27]
	s_or_b64 exec, exec, s[14:15]
	v_mov_b32_e32 v5, 0
	s_and_saveexec_b64 s[14:15], s[12:13]
	s_cbranch_execnz .LBB126_1701
	s_branch .LBB126_1702
.LBB126_2099:
	s_andn2_saveexec_b64 s[12:13], s[12:13]
	s_cbranch_execz .LBB126_1806
.LBB126_2100:
	v_add_f32_e32 v3, 0x46000000, v4
	v_and_b32_e32 v3, 0xff, v3
	v_cmp_ne_u32_e32 vcc, 0, v3
	s_andn2_b64 s[10:11], s[10:11], exec
	s_and_b64 s[26:27], vcc, exec
	s_or_b64 s[10:11], s[10:11], s[26:27]
	s_or_b64 exec, exec, s[12:13]
	v_mov_b32_e32 v5, 0
	s_and_saveexec_b64 s[12:13], s[10:11]
	s_cbranch_execnz .LBB126_1807
	s_branch .LBB126_1808
.LBB126_2101:
	s_trap 2
	s_or_b64 s[18:19], s[18:19], exec
	s_cbranch_execz .LBB126_1854
	s_branch .LBB126_1855
.LBB126_2102:
	s_andn2_saveexec_b64 s[10:11], s[10:11]
	s_cbranch_execz .LBB126_1819
.LBB126_2103:
	v_add_f32_e32 v3, 0x42800000, v4
	v_and_b32_e32 v3, 0xff, v3
	v_cmp_ne_u32_e32 vcc, 0, v3
	s_andn2_b64 s[4:5], s[4:5], exec
	s_and_b64 s[12:13], vcc, exec
	s_or_b64 s[4:5], s[4:5], s[12:13]
	s_or_b64 exec, exec, s[10:11]
	v_mov_b32_e32 v5, 0
	s_and_saveexec_b64 s[10:11], s[4:5]
	s_cbranch_execnz .LBB126_1820
	s_branch .LBB126_1821
.LBB126_2104:
	s_andn2_saveexec_b64 s[12:13], s[12:13]
	s_cbranch_execz .LBB126_1925
.LBB126_2105:
	v_add_f32_e32 v3, 0x46000000, v4
	v_and_b32_e32 v3, 0xff, v3
	v_cmp_ne_u32_e32 vcc, 0, v3
	s_andn2_b64 s[10:11], s[10:11], exec
	s_and_b64 s[20:21], vcc, exec
	s_or_b64 s[10:11], s[10:11], s[20:21]
	s_or_b64 exec, exec, s[12:13]
	v_mov_b32_e32 v5, 0
	s_and_saveexec_b64 s[12:13], s[10:11]
	s_cbranch_execnz .LBB126_1926
	s_branch .LBB126_1927
.LBB126_2106:
	s_trap 2
	s_or_b64 s[18:19], s[18:19], exec
	s_cbranch_execz .LBB126_1973
	s_branch .LBB126_1974
.LBB126_2107:
	s_andn2_saveexec_b64 s[10:11], s[10:11]
	s_cbranch_execz .LBB126_1938
.LBB126_2108:
	v_add_f32_e32 v3, 0x42800000, v4
	v_and_b32_e32 v3, 0xff, v3
	v_cmp_ne_u32_e32 vcc, 0, v3
	s_andn2_b64 s[4:5], s[4:5], exec
	s_and_b64 s[12:13], vcc, exec
	s_or_b64 s[4:5], s[4:5], s[12:13]
	s_or_b64 exec, exec, s[10:11]
	v_mov_b32_e32 v5, 0
	s_and_saveexec_b64 s[10:11], s[4:5]
	s_cbranch_execnz .LBB126_1939
	s_branch .LBB126_1940
.LBB126_2109:
	s_andn2_saveexec_b64 s[10:11], s[10:11]
	s_cbranch_execz .LBB126_2045
.LBB126_2110:
	v_add_f32_e32 v2, 0x46000000, v3
	v_and_b32_e32 v2, 0xff, v2
	v_cmp_ne_u32_e32 vcc, 0, v2
	s_andn2_b64 s[8:9], s[8:9], exec
	s_and_b64 s[14:15], vcc, exec
	s_or_b64 s[8:9], s[8:9], s[14:15]
	s_or_b64 exec, exec, s[10:11]
	v_mov_b32_e32 v4, 0
	s_and_saveexec_b64 s[10:11], s[8:9]
	s_cbranch_execnz .LBB126_2046
	s_branch .LBB126_2047
.LBB126_2111:
	s_mov_b64 s[2:3], 0
	s_or_b64 s[18:19], s[18:19], exec
	s_trap 2
	s_branch .LBB126_2091
.LBB126_2112:
	s_andn2_saveexec_b64 s[8:9], s[8:9]
	s_cbranch_execz .LBB126_2057
.LBB126_2113:
	v_add_f32_e32 v2, 0x42800000, v3
	v_and_b32_e32 v2, 0xff, v2
	v_cmp_ne_u32_e32 vcc, 0, v2
	s_andn2_b64 s[4:5], s[4:5], exec
	s_and_b64 s[10:11], vcc, exec
	s_or_b64 s[4:5], s[4:5], s[10:11]
	s_or_b64 exec, exec, s[8:9]
	v_mov_b32_e32 v4, 0
	s_and_saveexec_b64 s[8:9], s[4:5]
	s_cbranch_execnz .LBB126_2058
	s_branch .LBB126_2059
	.section	.rodata,"a",@progbits
	.p2align	6, 0x0
	.amdhsa_kernel _ZN2at6native32elementwise_kernel_manual_unrollILi128ELi4EZNS0_15gpu_kernel_implINS0_13AUnaryFunctorIN3c107complexIdEES6_bNS0_12_GLOBAL__N_116CompareEqFunctorIS6_EEEEEEvRNS_18TensorIteratorBaseERKT_EUlibE_EEviT1_
		.amdhsa_group_segment_fixed_size 0
		.amdhsa_private_segment_fixed_size 0
		.amdhsa_kernarg_size 96
		.amdhsa_user_sgpr_count 6
		.amdhsa_user_sgpr_private_segment_buffer 1
		.amdhsa_user_sgpr_dispatch_ptr 0
		.amdhsa_user_sgpr_queue_ptr 0
		.amdhsa_user_sgpr_kernarg_segment_ptr 1
		.amdhsa_user_sgpr_dispatch_id 0
		.amdhsa_user_sgpr_flat_scratch_init 0
		.amdhsa_user_sgpr_private_segment_size 0
		.amdhsa_uses_dynamic_stack 0
		.amdhsa_system_sgpr_private_segment_wavefront_offset 0
		.amdhsa_system_sgpr_workgroup_id_x 1
		.amdhsa_system_sgpr_workgroup_id_y 0
		.amdhsa_system_sgpr_workgroup_id_z 0
		.amdhsa_system_sgpr_workgroup_info 0
		.amdhsa_system_vgpr_workitem_id 0
		.amdhsa_next_free_vgpr 10
		.amdhsa_next_free_sgpr 52
		.amdhsa_reserve_vcc 1
		.amdhsa_reserve_flat_scratch 0
		.amdhsa_float_round_mode_32 0
		.amdhsa_float_round_mode_16_64 0
		.amdhsa_float_denorm_mode_32 3
		.amdhsa_float_denorm_mode_16_64 3
		.amdhsa_dx10_clamp 1
		.amdhsa_ieee_mode 1
		.amdhsa_fp16_overflow 0
		.amdhsa_exception_fp_ieee_invalid_op 0
		.amdhsa_exception_fp_denorm_src 0
		.amdhsa_exception_fp_ieee_div_zero 0
		.amdhsa_exception_fp_ieee_overflow 0
		.amdhsa_exception_fp_ieee_underflow 0
		.amdhsa_exception_fp_ieee_inexact 0
		.amdhsa_exception_int_div_zero 0
	.end_amdhsa_kernel
	.section	.text._ZN2at6native32elementwise_kernel_manual_unrollILi128ELi4EZNS0_15gpu_kernel_implINS0_13AUnaryFunctorIN3c107complexIdEES6_bNS0_12_GLOBAL__N_116CompareEqFunctorIS6_EEEEEEvRNS_18TensorIteratorBaseERKT_EUlibE_EEviT1_,"axG",@progbits,_ZN2at6native32elementwise_kernel_manual_unrollILi128ELi4EZNS0_15gpu_kernel_implINS0_13AUnaryFunctorIN3c107complexIdEES6_bNS0_12_GLOBAL__N_116CompareEqFunctorIS6_EEEEEEvRNS_18TensorIteratorBaseERKT_EUlibE_EEviT1_,comdat
.Lfunc_end126:
	.size	_ZN2at6native32elementwise_kernel_manual_unrollILi128ELi4EZNS0_15gpu_kernel_implINS0_13AUnaryFunctorIN3c107complexIdEES6_bNS0_12_GLOBAL__N_116CompareEqFunctorIS6_EEEEEEvRNS_18TensorIteratorBaseERKT_EUlibE_EEviT1_, .Lfunc_end126-_ZN2at6native32elementwise_kernel_manual_unrollILi128ELi4EZNS0_15gpu_kernel_implINS0_13AUnaryFunctorIN3c107complexIdEES6_bNS0_12_GLOBAL__N_116CompareEqFunctorIS6_EEEEEEvRNS_18TensorIteratorBaseERKT_EUlibE_EEviT1_
                                        ; -- End function
	.set _ZN2at6native32elementwise_kernel_manual_unrollILi128ELi4EZNS0_15gpu_kernel_implINS0_13AUnaryFunctorIN3c107complexIdEES6_bNS0_12_GLOBAL__N_116CompareEqFunctorIS6_EEEEEEvRNS_18TensorIteratorBaseERKT_EUlibE_EEviT1_.num_vgpr, 10
	.set _ZN2at6native32elementwise_kernel_manual_unrollILi128ELi4EZNS0_15gpu_kernel_implINS0_13AUnaryFunctorIN3c107complexIdEES6_bNS0_12_GLOBAL__N_116CompareEqFunctorIS6_EEEEEEvRNS_18TensorIteratorBaseERKT_EUlibE_EEviT1_.num_agpr, 0
	.set _ZN2at6native32elementwise_kernel_manual_unrollILi128ELi4EZNS0_15gpu_kernel_implINS0_13AUnaryFunctorIN3c107complexIdEES6_bNS0_12_GLOBAL__N_116CompareEqFunctorIS6_EEEEEEvRNS_18TensorIteratorBaseERKT_EUlibE_EEviT1_.numbered_sgpr, 52
	.set _ZN2at6native32elementwise_kernel_manual_unrollILi128ELi4EZNS0_15gpu_kernel_implINS0_13AUnaryFunctorIN3c107complexIdEES6_bNS0_12_GLOBAL__N_116CompareEqFunctorIS6_EEEEEEvRNS_18TensorIteratorBaseERKT_EUlibE_EEviT1_.num_named_barrier, 0
	.set _ZN2at6native32elementwise_kernel_manual_unrollILi128ELi4EZNS0_15gpu_kernel_implINS0_13AUnaryFunctorIN3c107complexIdEES6_bNS0_12_GLOBAL__N_116CompareEqFunctorIS6_EEEEEEvRNS_18TensorIteratorBaseERKT_EUlibE_EEviT1_.private_seg_size, 0
	.set _ZN2at6native32elementwise_kernel_manual_unrollILi128ELi4EZNS0_15gpu_kernel_implINS0_13AUnaryFunctorIN3c107complexIdEES6_bNS0_12_GLOBAL__N_116CompareEqFunctorIS6_EEEEEEvRNS_18TensorIteratorBaseERKT_EUlibE_EEviT1_.uses_vcc, 1
	.set _ZN2at6native32elementwise_kernel_manual_unrollILi128ELi4EZNS0_15gpu_kernel_implINS0_13AUnaryFunctorIN3c107complexIdEES6_bNS0_12_GLOBAL__N_116CompareEqFunctorIS6_EEEEEEvRNS_18TensorIteratorBaseERKT_EUlibE_EEviT1_.uses_flat_scratch, 0
	.set _ZN2at6native32elementwise_kernel_manual_unrollILi128ELi4EZNS0_15gpu_kernel_implINS0_13AUnaryFunctorIN3c107complexIdEES6_bNS0_12_GLOBAL__N_116CompareEqFunctorIS6_EEEEEEvRNS_18TensorIteratorBaseERKT_EUlibE_EEviT1_.has_dyn_sized_stack, 0
	.set _ZN2at6native32elementwise_kernel_manual_unrollILi128ELi4EZNS0_15gpu_kernel_implINS0_13AUnaryFunctorIN3c107complexIdEES6_bNS0_12_GLOBAL__N_116CompareEqFunctorIS6_EEEEEEvRNS_18TensorIteratorBaseERKT_EUlibE_EEviT1_.has_recursion, 0
	.set _ZN2at6native32elementwise_kernel_manual_unrollILi128ELi4EZNS0_15gpu_kernel_implINS0_13AUnaryFunctorIN3c107complexIdEES6_bNS0_12_GLOBAL__N_116CompareEqFunctorIS6_EEEEEEvRNS_18TensorIteratorBaseERKT_EUlibE_EEviT1_.has_indirect_call, 0
	.section	.AMDGPU.csdata,"",@progbits
; Kernel info:
; codeLenInByte = 31628
; TotalNumSgprs: 56
; NumVgprs: 10
; ScratchSize: 0
; MemoryBound: 1
; FloatMode: 240
; IeeeMode: 1
; LDSByteSize: 0 bytes/workgroup (compile time only)
; SGPRBlocks: 6
; VGPRBlocks: 2
; NumSGPRsForWavesPerEU: 56
; NumVGPRsForWavesPerEU: 10
; Occupancy: 10
; WaveLimiterHint : 0
; COMPUTE_PGM_RSRC2:SCRATCH_EN: 0
; COMPUTE_PGM_RSRC2:USER_SGPR: 6
; COMPUTE_PGM_RSRC2:TRAP_HANDLER: 0
; COMPUTE_PGM_RSRC2:TGID_X_EN: 1
; COMPUTE_PGM_RSRC2:TGID_Y_EN: 0
; COMPUTE_PGM_RSRC2:TGID_Z_EN: 0
; COMPUTE_PGM_RSRC2:TIDIG_COMP_CNT: 0
	.section	.text._ZN2at6native32elementwise_kernel_manual_unrollILi128ELi4EZNS0_15gpu_kernel_implINS0_13AUnaryFunctorIN3c107complexIdEES6_bNS0_12_GLOBAL__N_116CompareEqFunctorIS6_EEEEEEvRNS_18TensorIteratorBaseERKT_EUlibE0_EEviT1_,"axG",@progbits,_ZN2at6native32elementwise_kernel_manual_unrollILi128ELi4EZNS0_15gpu_kernel_implINS0_13AUnaryFunctorIN3c107complexIdEES6_bNS0_12_GLOBAL__N_116CompareEqFunctorIS6_EEEEEEvRNS_18TensorIteratorBaseERKT_EUlibE0_EEviT1_,comdat
	.globl	_ZN2at6native32elementwise_kernel_manual_unrollILi128ELi4EZNS0_15gpu_kernel_implINS0_13AUnaryFunctorIN3c107complexIdEES6_bNS0_12_GLOBAL__N_116CompareEqFunctorIS6_EEEEEEvRNS_18TensorIteratorBaseERKT_EUlibE0_EEviT1_ ; -- Begin function _ZN2at6native32elementwise_kernel_manual_unrollILi128ELi4EZNS0_15gpu_kernel_implINS0_13AUnaryFunctorIN3c107complexIdEES6_bNS0_12_GLOBAL__N_116CompareEqFunctorIS6_EEEEEEvRNS_18TensorIteratorBaseERKT_EUlibE0_EEviT1_
	.p2align	8
	.type	_ZN2at6native32elementwise_kernel_manual_unrollILi128ELi4EZNS0_15gpu_kernel_implINS0_13AUnaryFunctorIN3c107complexIdEES6_bNS0_12_GLOBAL__N_116CompareEqFunctorIS6_EEEEEEvRNS_18TensorIteratorBaseERKT_EUlibE0_EEviT1_,@function
_ZN2at6native32elementwise_kernel_manual_unrollILi128ELi4EZNS0_15gpu_kernel_implINS0_13AUnaryFunctorIN3c107complexIdEES6_bNS0_12_GLOBAL__N_116CompareEqFunctorIS6_EEEEEEvRNS_18TensorIteratorBaseERKT_EUlibE0_EEviT1_: ; @_ZN2at6native32elementwise_kernel_manual_unrollILi128ELi4EZNS0_15gpu_kernel_implINS0_13AUnaryFunctorIN3c107complexIdEES6_bNS0_12_GLOBAL__N_116CompareEqFunctorIS6_EEEEEEvRNS_18TensorIteratorBaseERKT_EUlibE0_EEviT1_
; %bb.0:
	s_load_dword s76, s[4:5], 0x0
	s_load_dword s33, s[4:5], 0x10
	s_add_u32 s34, s4, 16
	s_addc_u32 s35, s5, 0
	v_lshl_or_b32 v7, s6, 9, v0
	v_or_b32_e32 v2, 0x180, v7
	s_waitcnt lgkmcnt(0)
	s_add_i32 s78, s33, -1
	s_cmp_gt_u32 s78, 1
	v_cmp_le_i32_e32 vcc, s76, v2
	s_cselect_b64 s[44:45], -1, 0
	s_mov_b64 s[6:7], 0
	s_mov_b64 s[28:29], 0
	s_and_saveexec_b64 s[0:1], vcc
	s_xor_b64 s[46:47], exec, s[0:1]
	s_cbranch_execz .LBB127_1122
; %bb.1:
	s_cmp_lg_u32 s33, 0
	s_load_dwordx4 s[36:39], s[34:35], 0x4
	s_load_dwordx2 s[50:51], s[34:35], 0x14
	s_load_dword s79, s[34:35], 0x180
	s_load_dwordx4 s[28:31], s[34:35], 0x170
	s_load_dword s0, s[34:35], 0x160
	s_cselect_b64 s[56:57], -1, 0
	s_add_u32 s54, s34, 0xc4
	s_addc_u32 s55, s35, 0
	s_min_u32 s81, s78, 15
	s_load_dwordx4 s[40:43], s[34:35], 0xc4
	s_load_dwordx4 s[24:27], s[34:35], 0x148
	s_cmp_gt_u32 s33, 1
	s_cselect_b64 s[52:53], -1, 0
	s_waitcnt lgkmcnt(0)
	s_bfe_u32 s80, s79, 0x80008
	s_cmp_lg_u32 s0, 0
	s_cselect_b64 s[48:49], -1, 0
	v_cmp_gt_i32_e32 vcc, s76, v7
	s_mov_b64 s[2:3], -1
	s_mov_b64 s[66:67], 0
	s_mov_b64 s[60:61], 0
	;; [unrolled: 1-line block ×3, first 2 shown]
	s_and_saveexec_b64 s[62:63], vcc
	s_cbranch_execz .LBB127_274
; %bb.2:
	s_andn2_b64 vcc, exec, s[44:45]
	s_cbranch_vccnz .LBB127_7
; %bb.3:
	s_andn2_b64 vcc, exec, s[56:57]
	s_cbranch_vccnz .LBB127_8
; %bb.4:
	s_add_i32 s65, s81, 1
	s_cmp_eq_u32 s78, 2
	s_cbranch_scc1 .LBB127_9
; %bb.5:
	s_and_b32 s64, s65, 28
	v_mov_b32_e32 v0, 0
	s_mov_b32 s68, 0
	s_mov_b64 s[58:59], s[34:35]
	s_mov_b64 s[60:61], s[54:55]
	v_mov_b32_e32 v4, 0
	v_mov_b32_e32 v1, v7
.LBB127_6:                              ; =>This Inner Loop Header: Depth=1
	s_load_dwordx8 s[16:23], s[58:59], 0x4
	s_load_dwordx4 s[0:3], s[58:59], 0x24
	s_load_dwordx8 s[8:15], s[60:61], 0x0
	s_add_u32 s58, s58, 48
	s_addc_u32 s59, s59, 0
	s_waitcnt lgkmcnt(0)
	v_mul_hi_u32 v2, s17, v1
	s_add_i32 s68, s68, 4
	s_add_u32 s60, s60, 32
	s_addc_u32 s61, s61, 0
	v_add_u32_e32 v2, v1, v2
	v_lshrrev_b32_e32 v2, s18, v2
	v_mul_lo_u32 v3, v2, s16
	v_mul_hi_u32 v5, s20, v2
	s_cmp_lg_u32 s64, s68
	v_sub_u32_e32 v1, v1, v3
	v_add_u32_e32 v3, v2, v5
	v_mul_lo_u32 v5, v1, s8
	v_mul_lo_u32 v6, v1, s9
	v_lshrrev_b32_e32 v1, s21, v3
	v_mul_lo_u32 v3, v1, s19
	v_mul_hi_u32 v8, s23, v1
	v_sub_u32_e32 v2, v2, v3
	v_add_u32_e32 v3, v1, v8
	v_lshrrev_b32_e32 v3, s0, v3
	v_mul_hi_u32 v9, s2, v3
	v_mul_lo_u32 v10, v3, s22
	v_mul_lo_u32 v8, v2, s10
	;; [unrolled: 1-line block ×3, first 2 shown]
	v_sub_u32_e32 v10, v1, v10
	v_add_u32_e32 v1, v3, v9
	v_lshrrev_b32_e32 v1, s3, v1
	v_mul_lo_u32 v9, v1, s1
	v_mul_lo_u32 v11, v10, s12
	;; [unrolled: 1-line block ×3, first 2 shown]
	v_add3_u32 v4, v5, v4, v8
	v_sub_u32_e32 v3, v3, v9
	v_mul_lo_u32 v9, v3, s14
	v_mul_lo_u32 v3, v3, s15
	v_add3_u32 v0, v6, v0, v2
	v_add3_u32 v4, v11, v4, v9
	;; [unrolled: 1-line block ×3, first 2 shown]
	s_cbranch_scc1 .LBB127_6
	s_branch .LBB127_10
.LBB127_7:
                                        ; implicit-def: $vgpr4
                                        ; implicit-def: $vgpr0
	s_branch .LBB127_14
.LBB127_8:
	v_mov_b32_e32 v4, 0
	v_mov_b32_e32 v0, 0
	s_branch .LBB127_13
.LBB127_9:
	s_mov_b32 s64, 0
	v_mov_b32_e32 v4, 0
	v_mov_b32_e32 v0, 0
	;; [unrolled: 1-line block ×3, first 2 shown]
.LBB127_10:
	s_and_b32 s8, s65, 3
	s_cmp_eq_u32 s8, 0
	s_cbranch_scc1 .LBB127_13
; %bb.11:
	s_lshl_b32 s0, s64, 3
	s_add_u32 s0, s34, s0
	s_addc_u32 s1, s35, 0
	s_add_u32 s0, s0, 0xc4
	s_addc_u32 s1, s1, 0
	s_mul_i32 s2, s64, 12
	s_add_u32 s2, s34, s2
	s_addc_u32 s3, s35, 0
.LBB127_12:                             ; =>This Inner Loop Header: Depth=1
	s_load_dwordx2 s[10:11], s[2:3], 0x4
	s_load_dword s9, s[2:3], 0xc
	s_load_dwordx2 s[12:13], s[0:1], 0x0
	s_add_u32 s2, s2, 12
	s_addc_u32 s3, s3, 0
	s_waitcnt lgkmcnt(0)
	v_mul_hi_u32 v2, s11, v1
	s_add_u32 s0, s0, 8
	s_addc_u32 s1, s1, 0
	s_add_i32 s8, s8, -1
	v_add_u32_e32 v2, v1, v2
	v_lshrrev_b32_e32 v2, s9, v2
	v_mul_lo_u32 v3, v2, s10
	s_cmp_lg_u32 s8, 0
	v_sub_u32_e32 v1, v1, v3
	v_mad_u64_u32 v[4:5], s[10:11], v1, s12, v[4:5]
	v_mad_u64_u32 v[0:1], s[10:11], v1, s13, v[0:1]
	v_mov_b32_e32 v1, v2
	s_cbranch_scc1 .LBB127_12
.LBB127_13:
	s_cbranch_execnz .LBB127_16
.LBB127_14:
	v_mul_hi_u32 v0, s37, v7
	s_andn2_b64 vcc, exec, s[52:53]
	v_add_u32_e32 v0, v7, v0
	v_lshrrev_b32_e32 v1, s38, v0
	v_mul_lo_u32 v0, v1, s36
	v_sub_u32_e32 v0, v7, v0
	v_mul_lo_u32 v4, v0, s40
	v_mul_lo_u32 v0, v0, s41
	s_cbranch_vccnz .LBB127_16
; %bb.15:
	v_mul_hi_u32 v2, s50, v1
	v_add_u32_e32 v2, v1, v2
	v_lshrrev_b32_e32 v2, s51, v2
	v_mul_lo_u32 v2, v2, s39
	v_sub_u32_e32 v1, v1, v2
	v_mad_u64_u32 v[4:5], s[0:1], v1, s42, v[4:5]
	v_mad_u64_u32 v[0:1], s[0:1], v1, s43, v[0:1]
.LBB127_16:
	v_mov_b32_e32 v1, s27
	s_and_b32 s12, 0xffff, s80
	v_add_co_u32_e32 v5, vcc, s26, v0
	s_cmp_lt_i32 s12, 11
	v_addc_co_u32_e32 v6, vcc, 0, v1, vcc
	s_cbranch_scc1 .LBB127_23
; %bb.17:
	s_cmp_gt_i32 s12, 25
	s_cbranch_scc0 .LBB127_35
; %bb.18:
	s_cmp_gt_i32 s12, 28
	s_cbranch_scc0 .LBB127_39
	;; [unrolled: 3-line block ×4, first 2 shown]
; %bb.21:
	s_cmp_eq_u32 s12, 46
	s_mov_b64 s[8:9], 0
	s_cbranch_scc0 .LBB127_45
; %bb.22:
	global_load_dword v0, v[5:6], off
	s_mov_b64 s[0:1], -1
	s_mov_b64 s[2:3], 0
	s_waitcnt vmcnt(0)
	v_and_b32_e32 v2, 0xffff0000, v0
	v_lshlrev_b32_e32 v0, 16, v0
	v_cvt_f64_f32_e32 v[0:1], v0
	v_cvt_f64_f32_e32 v[2:3], v2
	s_branch .LBB127_47
.LBB127_23:
	s_mov_b64 s[2:3], 0
                                        ; implicit-def: $vgpr2_vgpr3
	s_mov_b64 s[0:1], 0
	s_cbranch_execnz .LBB127_222
.LBB127_24:
	s_andn2_b64 vcc, exec, s[0:1]
	s_cbranch_vccnz .LBB127_271
.LBB127_25:
	s_and_b64 vcc, exec, s[48:49]
	s_cbranch_vccz .LBB127_38
; %bb.26:
	s_waitcnt vmcnt(0)
	v_cmp_neq_f64_e32 vcc, s[28:29], v[0:1]
	v_cmp_neq_f64_e64 s[0:1], s[30:31], v[2:3]
	s_or_b64 s[8:9], vcc, s[0:1]
	s_cbranch_execnz .LBB127_28
.LBB127_27:
	s_waitcnt vmcnt(0)
	v_cmp_eq_f64_e32 vcc, s[28:29], v[0:1]
	v_cmp_eq_f64_e64 s[0:1], s[30:31], v[2:3]
	s_andn2_b64 s[8:9], s[8:9], exec
	s_and_b64 s[0:1], vcc, s[0:1]
	s_and_b64 s[0:1], s[0:1], exec
	s_or_b64 s[8:9], s[8:9], s[0:1]
.LBB127_28:
	s_waitcnt vmcnt(0)
	v_mov_b32_e32 v1, s25
	s_and_b32 s16, s79, 0xff
	v_add_co_u32_e32 v0, vcc, s24, v4
	s_cmp_lt_i32 s16, 11
	v_addc_co_u32_e32 v1, vcc, 0, v1, vcc
	s_cbranch_scc1 .LBB127_36
; %bb.29:
	s_and_b32 s17, 0xffff, s16
	s_cmp_gt_i32 s17, 25
	s_cbranch_scc0 .LBB127_40
; %bb.30:
	s_cmp_gt_i32 s17, 28
	s_cbranch_scc0 .LBB127_42
; %bb.31:
	;; [unrolled: 3-line block ×4, first 2 shown]
	s_mov_b64 s[12:13], 0
	s_mov_b64 s[0:1], -1
	s_cmp_eq_u32 s17, 46
	s_mov_b64 s[10:11], 0
	s_cbranch_scc0 .LBB127_51
; %bb.34:
	v_cndmask_b32_e64 v2, 0, 1.0, s[8:9]
	v_bfe_u32 v3, v2, 16, 1
	s_movk_i32 s0, 0x7fff
	v_add3_u32 v2, v2, v3, s0
	v_lshrrev_b32_e32 v2, 16, v2
	global_store_dword v[0:1], v2, off
	s_mov_b64 s[10:11], -1
	s_mov_b64 s[0:1], 0
	s_branch .LBB127_51
.LBB127_35:
	s_mov_b64 s[2:3], 0
	s_mov_b64 s[0:1], 0
                                        ; implicit-def: $vgpr2_vgpr3
	s_cbranch_execnz .LBB127_189
	s_branch .LBB127_221
.LBB127_36:
	s_mov_b64 s[0:1], 0
	s_mov_b64 s[10:11], 0
	s_cbranch_execnz .LBB127_120
.LBB127_37:
	s_andn2_b64 vcc, exec, s[10:11]
	s_cbranch_vccnz .LBB127_272
	s_branch .LBB127_158
.LBB127_38:
                                        ; implicit-def: $sgpr8_sgpr9
	s_branch .LBB127_27
.LBB127_39:
	s_mov_b64 s[8:9], -1
	s_mov_b64 s[2:3], 0
	s_mov_b64 s[0:1], 0
                                        ; implicit-def: $vgpr2_vgpr3
	s_branch .LBB127_168
.LBB127_40:
	s_mov_b64 s[12:13], -1
	s_mov_b64 s[0:1], 0
	s_mov_b64 s[10:11], 0
	s_branch .LBB127_78
.LBB127_41:
	s_mov_b64 s[8:9], -1
	s_mov_b64 s[2:3], 0
	s_mov_b64 s[0:1], 0
                                        ; implicit-def: $vgpr2_vgpr3
	s_branch .LBB127_162
.LBB127_42:
	s_mov_b64 s[12:13], -1
	s_mov_b64 s[0:1], 0
	s_mov_b64 s[10:11], 0
	s_branch .LBB127_61
.LBB127_43:
	s_mov_b64 s[8:9], -1
	s_mov_b64 s[2:3], 0
	s_branch .LBB127_46
.LBB127_44:
	s_mov_b64 s[12:13], -1
	s_mov_b64 s[0:1], 0
	s_mov_b64 s[10:11], 0
	s_branch .LBB127_57
.LBB127_45:
	s_mov_b64 s[2:3], -1
.LBB127_46:
	s_mov_b64 s[0:1], 0
                                        ; implicit-def: $vgpr2_vgpr3
.LBB127_47:
	s_and_b64 vcc, exec, s[8:9]
	s_cbranch_vccz .LBB127_161
; %bb.48:
	s_cmp_eq_u32 s12, 44
	s_cbranch_scc0 .LBB127_159
; %bb.49:
	global_load_ubyte v2, v[5:6], off
	s_movk_i32 s2, 0xff
	v_bfrev_b32_e32 v3, 4
	v_mov_b32_e32 v8, 0x7ff80000
	v_bfrev_b32_e32 v9, 28
	s_mov_b64 s[0:1], -1
	s_waitcnt vmcnt(0)
	v_lshlrev_b32_e32 v0, 23, v2
	v_cvt_f64_f32_e32 v[0:1], v0
	v_cmp_ne_u32_e32 vcc, s2, v2
	s_mov_b64 s[2:3], 0
	v_cndmask_b32_e32 v0, v3, v0, vcc
	v_cndmask_b32_e32 v1, v8, v1, vcc
	v_cmp_ne_u32_e32 vcc, 0, v2
	v_cndmask_b32_e32 v1, v9, v1, vcc
	v_cndmask_b32_e32 v0, 0, v0, vcc
	s_branch .LBB127_160
.LBB127_50:
	s_mov_b64 s[12:13], -1
	s_mov_b64 s[0:1], 0
	s_mov_b64 s[10:11], 0
.LBB127_51:
	s_and_b64 vcc, exec, s[12:13]
	s_cbranch_vccz .LBB127_56
; %bb.52:
	s_cmp_eq_u32 s17, 44
	s_mov_b64 s[0:1], -1
	s_cbranch_scc0 .LBB127_56
; %bb.53:
	v_cndmask_b32_e64 v3, 0, 1.0, s[8:9]
	v_lshrrev_b32_e32 v2, 23, v3
	s_movk_i32 s0, 0xff
	v_cmp_ne_u32_e32 vcc, s0, v2
	v_mov_b32_e32 v4, 0xff
	s_and_saveexec_b64 s[10:11], vcc
; %bb.54:
	s_mov_b32 s0, 0x3fffff
	v_and_b32_e32 v4, 0x400000, v3
	v_and_or_b32 v3, v3, s0, v2
	v_cmp_ne_u32_e32 vcc, 0, v4
	v_cmp_ne_u32_e64 s[0:1], 0, v3
	s_and_b64 s[0:1], vcc, s[0:1]
	v_cndmask_b32_e64 v3, 0, 1, s[0:1]
	v_add_u32_e32 v4, v2, v3
; %bb.55:
	s_or_b64 exec, exec, s[10:11]
	s_mov_b64 s[10:11], -1
	s_mov_b64 s[0:1], 0
	global_store_byte v[0:1], v4, off
.LBB127_56:
	s_mov_b64 s[12:13], 0
.LBB127_57:
	s_and_b64 vcc, exec, s[12:13]
	s_cbranch_vccz .LBB127_60
; %bb.58:
	s_cmp_eq_u32 s17, 29
	s_mov_b64 s[0:1], -1
	s_cbranch_scc0 .LBB127_60
; %bb.59:
	s_mov_b32 s0, 0
	v_cndmask_b32_e64 v2, 0, 1, s[8:9]
	v_mov_b32_e32 v3, s0
	global_store_dwordx2 v[0:1], v[2:3], off
	s_mov_b64 s[10:11], -1
	s_mov_b64 s[0:1], 0
.LBB127_60:
	s_mov_b64 s[12:13], 0
.LBB127_61:
	s_and_b64 vcc, exec, s[12:13]
	s_cbranch_vccz .LBB127_77
; %bb.62:
	s_cmp_lt_i32 s17, 27
	s_mov_b64 s[10:11], -1
	s_cbranch_scc1 .LBB127_68
; %bb.63:
	s_cmp_gt_i32 s17, 27
	s_cbranch_scc0 .LBB127_65
; %bb.64:
	v_cndmask_b32_e64 v2, 0, 1, s[8:9]
	s_mov_b64 s[10:11], 0
	global_store_dword v[0:1], v2, off
.LBB127_65:
	s_andn2_b64 vcc, exec, s[10:11]
	s_cbranch_vccnz .LBB127_67
; %bb.66:
	v_cndmask_b32_e64 v2, 0, 1, s[8:9]
	global_store_short v[0:1], v2, off
.LBB127_67:
	s_mov_b64 s[10:11], 0
.LBB127_68:
	s_andn2_b64 vcc, exec, s[10:11]
	s_cbranch_vccnz .LBB127_76
; %bb.69:
	v_cndmask_b32_e64 v3, 0, 1.0, s[8:9]
	s_mov_b32 s10, 0x43800000
	v_cmp_gt_u32_e32 vcc, s10, v3
	v_mov_b32_e32 v4, 0x80
	s_and_saveexec_b64 s[10:11], vcc
	s_cbranch_execz .LBB127_75
; %bb.70:
	s_mov_b32 s12, 0x3bffffff
	v_cmp_lt_u32_e32 vcc, s12, v3
	s_mov_b64 s[12:13], 0
                                        ; implicit-def: $vgpr2
	s_and_saveexec_b64 s[14:15], vcc
	s_xor_b64 s[14:15], exec, s[14:15]
	s_cbranch_execz .LBB127_319
; %bb.71:
	v_bfe_u32 v2, v3, 20, 1
	s_mov_b32 s18, 0x487ffff
	v_add3_u32 v2, v3, v2, s18
	s_mov_b64 s[12:13], exec
	v_lshrrev_b32_e32 v2, 20, v2
                                        ; implicit-def: $vgpr3
	s_andn2_saveexec_b64 s[14:15], s[14:15]
	s_cbranch_execnz .LBB127_320
.LBB127_72:
	s_or_b64 exec, exec, s[14:15]
	v_mov_b32_e32 v4, 0
	s_and_saveexec_b64 s[14:15], s[12:13]
.LBB127_73:
	v_mov_b32_e32 v4, v2
.LBB127_74:
	s_or_b64 exec, exec, s[14:15]
.LBB127_75:
	s_or_b64 exec, exec, s[10:11]
	global_store_byte v[0:1], v4, off
.LBB127_76:
	s_mov_b64 s[10:11], -1
.LBB127_77:
	s_mov_b64 s[12:13], 0
.LBB127_78:
	s_and_b64 vcc, exec, s[12:13]
	s_cbranch_vccz .LBB127_119
; %bb.79:
	s_cmp_gt_i32 s17, 22
	s_mov_b64 s[12:13], -1
	s_cbranch_scc0 .LBB127_111
; %bb.80:
	s_cmp_lt_i32 s17, 24
	s_mov_b64 s[10:11], -1
	s_cbranch_scc1 .LBB127_100
; %bb.81:
	s_cmp_gt_i32 s17, 24
	s_cbranch_scc0 .LBB127_89
; %bb.82:
	v_cndmask_b32_e64 v3, 0, 1.0, s[8:9]
	s_mov_b32 s10, 0x47800000
	v_cmp_gt_u32_e32 vcc, s10, v3
	v_mov_b32_e32 v4, 0x80
	s_and_saveexec_b64 s[10:11], vcc
	s_cbranch_execz .LBB127_88
; %bb.83:
	s_mov_b32 s12, 0x37ffffff
	v_cmp_lt_u32_e32 vcc, s12, v3
	s_mov_b64 s[12:13], 0
                                        ; implicit-def: $vgpr2
	s_and_saveexec_b64 s[14:15], vcc
	s_xor_b64 s[14:15], exec, s[14:15]
	s_cbranch_execz .LBB127_323
; %bb.84:
	v_bfe_u32 v2, v3, 21, 1
	s_mov_b32 s18, 0x88fffff
	v_add3_u32 v2, v3, v2, s18
	s_mov_b64 s[12:13], exec
	v_lshrrev_b32_e32 v2, 21, v2
                                        ; implicit-def: $vgpr3
	s_andn2_saveexec_b64 s[14:15], s[14:15]
	s_cbranch_execnz .LBB127_324
.LBB127_85:
	s_or_b64 exec, exec, s[14:15]
	v_mov_b32_e32 v4, 0
	s_and_saveexec_b64 s[14:15], s[12:13]
.LBB127_86:
	v_mov_b32_e32 v4, v2
.LBB127_87:
	s_or_b64 exec, exec, s[14:15]
.LBB127_88:
	s_or_b64 exec, exec, s[10:11]
	s_mov_b64 s[10:11], 0
	global_store_byte v[0:1], v4, off
.LBB127_89:
	s_and_b64 vcc, exec, s[10:11]
	s_cbranch_vccz .LBB127_99
; %bb.90:
	v_cndmask_b32_e64 v2, 0, 1.0, s[8:9]
	s_mov_b32 s10, 0x43f00000
	v_cmp_gt_u32_e32 vcc, s10, v2
                                        ; implicit-def: $vgpr3
	s_and_saveexec_b64 s[10:11], vcc
	s_xor_b64 s[10:11], exec, s[10:11]
	s_cbranch_execz .LBB127_96
; %bb.91:
	s_mov_b32 s12, 0x3c7fffff
	v_cmp_lt_u32_e32 vcc, s12, v2
                                        ; implicit-def: $vgpr3
	s_and_saveexec_b64 s[12:13], vcc
	s_xor_b64 s[12:13], exec, s[12:13]
; %bb.92:
	v_bfe_u32 v3, v2, 20, 1
	s_mov_b32 s14, 0x407ffff
	v_add3_u32 v2, v2, v3, s14
	v_lshrrev_b32_e32 v3, 20, v2
	v_and_b32_e32 v2, 0xff00000, v2
	s_mov_b32 s14, 0x7f00000
	v_mov_b32_e32 v4, 0x7e
	v_cmp_ne_u32_e32 vcc, s14, v2
	v_cndmask_b32_e32 v3, v4, v3, vcc
                                        ; implicit-def: $vgpr2
; %bb.93:
	s_andn2_saveexec_b64 s[12:13], s[12:13]
; %bb.94:
	v_add_f32_e32 v3, 0x46800000, v2
; %bb.95:
	s_or_b64 exec, exec, s[12:13]
                                        ; implicit-def: $vgpr2
.LBB127_96:
	s_andn2_saveexec_b64 s[10:11], s[10:11]
; %bb.97:
	s_mov_b32 s12, 0x7f800000
	v_mov_b32_e32 v3, 0x7e
	v_mov_b32_e32 v4, 0x7f
	v_cmp_lt_u32_e32 vcc, s12, v2
	v_cndmask_b32_e32 v3, v3, v4, vcc
; %bb.98:
	s_or_b64 exec, exec, s[10:11]
	global_store_byte v[0:1], v3, off
.LBB127_99:
	s_mov_b64 s[10:11], 0
.LBB127_100:
	s_andn2_b64 vcc, exec, s[10:11]
	s_cbranch_vccnz .LBB127_110
; %bb.101:
	v_cndmask_b32_e64 v2, 0, 1.0, s[8:9]
	s_mov_b32 s10, 0x47800000
	v_cmp_gt_u32_e32 vcc, s10, v2
                                        ; implicit-def: $vgpr3
	s_and_saveexec_b64 s[10:11], vcc
	s_xor_b64 s[10:11], exec, s[10:11]
	s_cbranch_execz .LBB127_107
; %bb.102:
	s_mov_b32 s12, 0x387fffff
	v_cmp_lt_u32_e32 vcc, s12, v2
                                        ; implicit-def: $vgpr3
	s_and_saveexec_b64 s[12:13], vcc
	s_xor_b64 s[12:13], exec, s[12:13]
; %bb.103:
	v_bfe_u32 v3, v2, 21, 1
	s_mov_b32 s14, 0x80fffff
	v_add3_u32 v2, v2, v3, s14
	v_lshrrev_b32_e32 v3, 21, v2
                                        ; implicit-def: $vgpr2
; %bb.104:
	s_andn2_saveexec_b64 s[12:13], s[12:13]
; %bb.105:
	v_add_f32_e32 v3, 0x43000000, v2
; %bb.106:
	s_or_b64 exec, exec, s[12:13]
                                        ; implicit-def: $vgpr2
.LBB127_107:
	s_andn2_saveexec_b64 s[10:11], s[10:11]
; %bb.108:
	s_mov_b32 s12, 0x7f800000
	v_mov_b32_e32 v3, 0x7c
	v_mov_b32_e32 v4, 0x7f
	v_cmp_lt_u32_e32 vcc, s12, v2
	v_cndmask_b32_e32 v3, v3, v4, vcc
; %bb.109:
	s_or_b64 exec, exec, s[10:11]
	global_store_byte v[0:1], v3, off
.LBB127_110:
	s_mov_b64 s[12:13], 0
	s_mov_b64 s[10:11], -1
.LBB127_111:
	s_andn2_b64 vcc, exec, s[12:13]
	s_cbranch_vccnz .LBB127_119
; %bb.112:
	s_cmp_gt_i32 s17, 14
	s_mov_b64 s[12:13], -1
	s_cbranch_scc0 .LBB127_116
; %bb.113:
	s_cmp_eq_u32 s17, 15
	s_mov_b64 s[0:1], -1
	s_cbranch_scc0 .LBB127_115
; %bb.114:
	v_cndmask_b32_e64 v2, 0, 1.0, s[8:9]
	v_bfe_u32 v3, v2, 16, 1
	s_movk_i32 s0, 0x7fff
	v_add3_u32 v2, v2, v3, s0
	global_store_short_d16_hi v[0:1], v2, off
	s_mov_b64 s[10:11], -1
	s_mov_b64 s[0:1], 0
.LBB127_115:
	s_mov_b64 s[12:13], 0
.LBB127_116:
	s_and_b64 vcc, exec, s[12:13]
	s_cbranch_vccz .LBB127_119
; %bb.117:
	s_cmp_eq_u32 s17, 11
	s_mov_b64 s[0:1], -1
	s_cbranch_scc0 .LBB127_119
; %bb.118:
	v_cndmask_b32_e64 v2, 0, 1, s[8:9]
	s_mov_b64 s[10:11], -1
	s_mov_b64 s[0:1], 0
	global_store_byte v[0:1], v2, off
.LBB127_119:
	s_branch .LBB127_37
.LBB127_120:
	s_and_b32 s12, 0xffff, s16
	s_cmp_lt_i32 s12, 5
	s_mov_b64 s[10:11], -1
	s_cbranch_scc1 .LBB127_141
; %bb.121:
	s_cmp_lt_i32 s12, 8
	s_cbranch_scc1 .LBB127_131
; %bb.122:
	s_cmp_lt_i32 s12, 9
	s_cbranch_scc1 .LBB127_128
; %bb.123:
	s_cmp_gt_i32 s12, 9
	s_cbranch_scc0 .LBB127_125
; %bb.124:
	v_cndmask_b32_e64 v2, 0, 1, s[8:9]
	v_cvt_f64_u32_e32 v[2:3], v2
	v_mov_b32_e32 v4, 0
	v_mov_b32_e32 v5, v4
	s_mov_b64 s[10:11], 0
	global_store_dwordx4 v[0:1], v[2:5], off
.LBB127_125:
	s_andn2_b64 vcc, exec, s[10:11]
	s_cbranch_vccnz .LBB127_127
; %bb.126:
	v_cndmask_b32_e64 v2, 0, 1.0, s[8:9]
	v_mov_b32_e32 v3, 0
	global_store_dwordx2 v[0:1], v[2:3], off
.LBB127_127:
	s_mov_b64 s[10:11], 0
.LBB127_128:
	s_andn2_b64 vcc, exec, s[10:11]
	s_cbranch_vccnz .LBB127_130
; %bb.129:
	v_cndmask_b32_e64 v2, 0, 1.0, s[8:9]
	v_cvt_f16_f32_e32 v2, v2
	global_store_dword v[0:1], v2, off
.LBB127_130:
	s_mov_b64 s[10:11], 0
.LBB127_131:
	s_andn2_b64 vcc, exec, s[10:11]
	s_cbranch_vccnz .LBB127_140
; %bb.132:
	s_cmp_lt_i32 s12, 6
	s_mov_b64 s[10:11], -1
	s_cbranch_scc1 .LBB127_138
; %bb.133:
	s_cmp_gt_i32 s12, 6
	s_cbranch_scc0 .LBB127_135
; %bb.134:
	v_cndmask_b32_e64 v2, 0, 1, s[8:9]
	v_cvt_f64_u32_e32 v[2:3], v2
	s_mov_b64 s[10:11], 0
	global_store_dwordx2 v[0:1], v[2:3], off
.LBB127_135:
	s_andn2_b64 vcc, exec, s[10:11]
	s_cbranch_vccnz .LBB127_137
; %bb.136:
	v_cndmask_b32_e64 v2, 0, 1.0, s[8:9]
	global_store_dword v[0:1], v2, off
.LBB127_137:
	s_mov_b64 s[10:11], 0
.LBB127_138:
	s_andn2_b64 vcc, exec, s[10:11]
	s_cbranch_vccnz .LBB127_140
; %bb.139:
	v_cndmask_b32_e64 v2, 0, 1.0, s[8:9]
	v_cvt_f16_f32_e32 v2, v2
	global_store_short v[0:1], v2, off
.LBB127_140:
	s_mov_b64 s[10:11], 0
.LBB127_141:
	s_andn2_b64 vcc, exec, s[10:11]
	s_cbranch_vccnz .LBB127_157
; %bb.142:
	s_cmp_lt_i32 s12, 2
	s_mov_b64 s[10:11], -1
	s_cbranch_scc1 .LBB127_152
; %bb.143:
	s_cmp_lt_i32 s12, 3
	s_cbranch_scc1 .LBB127_149
; %bb.144:
	s_cmp_gt_i32 s12, 3
	s_cbranch_scc0 .LBB127_146
; %bb.145:
	s_mov_b32 s10, 0
	v_cndmask_b32_e64 v2, 0, 1, s[8:9]
	v_mov_b32_e32 v3, s10
	global_store_dwordx2 v[0:1], v[2:3], off
	s_mov_b64 s[10:11], 0
.LBB127_146:
	s_andn2_b64 vcc, exec, s[10:11]
	s_cbranch_vccnz .LBB127_148
; %bb.147:
	v_cndmask_b32_e64 v2, 0, 1, s[8:9]
	global_store_dword v[0:1], v2, off
.LBB127_148:
	s_mov_b64 s[10:11], 0
.LBB127_149:
	s_andn2_b64 vcc, exec, s[10:11]
	s_cbranch_vccnz .LBB127_151
; %bb.150:
	v_cndmask_b32_e64 v2, 0, 1, s[8:9]
	global_store_short v[0:1], v2, off
.LBB127_151:
	s_mov_b64 s[10:11], 0
.LBB127_152:
	s_andn2_b64 vcc, exec, s[10:11]
	s_cbranch_vccnz .LBB127_157
; %bb.153:
	s_cmp_gt_i32 s12, 0
	s_mov_b64 s[10:11], -1
	s_cbranch_scc0 .LBB127_155
; %bb.154:
	v_cndmask_b32_e64 v2, 0, 1, s[8:9]
	global_store_byte v[0:1], v2, off
	s_mov_b64 s[10:11], 0
.LBB127_155:
	s_andn2_b64 vcc, exec, s[10:11]
	s_cbranch_vccnz .LBB127_157
; %bb.156:
	v_cndmask_b32_e64 v2, 0, 1, s[8:9]
	global_store_byte v[0:1], v2, off
.LBB127_157:
.LBB127_158:
	v_add_u32_e32 v7, 0x80, v7
	s_mov_b64 s[8:9], -1
	s_branch .LBB127_273
.LBB127_159:
	s_mov_b64 s[2:3], -1
                                        ; implicit-def: $vgpr0_vgpr1
.LBB127_160:
	v_mov_b32_e32 v2, 0
	v_mov_b32_e32 v3, 0
.LBB127_161:
	s_mov_b64 s[8:9], 0
.LBB127_162:
	s_and_b64 vcc, exec, s[8:9]
	s_cbranch_vccz .LBB127_167
; %bb.163:
	s_cmp_eq_u32 s12, 29
	s_cbranch_scc0 .LBB127_165
; %bb.164:
	global_load_dwordx2 v[0:1], v[5:6], off
	s_mov_b64 s[0:1], -1
	s_mov_b64 s[2:3], 0
	s_waitcnt vmcnt(0)
	v_cvt_f64_u32_e32 v[1:2], v1
	v_cvt_f64_u32_e32 v[8:9], v0
	v_ldexp_f64 v[1:2], v[1:2], 32
	v_add_f64 v[0:1], v[1:2], v[8:9]
	s_branch .LBB127_166
.LBB127_165:
	s_mov_b64 s[2:3], -1
                                        ; implicit-def: $vgpr0_vgpr1
.LBB127_166:
	v_mov_b32_e32 v2, 0
	v_mov_b32_e32 v3, 0
.LBB127_167:
	s_mov_b64 s[8:9], 0
.LBB127_168:
	s_and_b64 vcc, exec, s[8:9]
	s_cbranch_vccz .LBB127_188
; %bb.169:
	s_cmp_lt_i32 s12, 27
	s_cbranch_scc1 .LBB127_172
; %bb.170:
	s_cmp_gt_i32 s12, 27
	s_cbranch_scc0 .LBB127_173
; %bb.171:
	global_load_dword v0, v[5:6], off
	s_mov_b64 s[0:1], 0
	s_waitcnt vmcnt(0)
	v_cvt_f64_u32_e32 v[0:1], v0
	s_branch .LBB127_174
.LBB127_172:
	s_mov_b64 s[0:1], -1
                                        ; implicit-def: $vgpr0_vgpr1
	s_branch .LBB127_177
.LBB127_173:
	s_mov_b64 s[0:1], -1
                                        ; implicit-def: $vgpr0_vgpr1
.LBB127_174:
	s_andn2_b64 vcc, exec, s[0:1]
	s_cbranch_vccnz .LBB127_176
; %bb.175:
	global_load_ushort v0, v[5:6], off
	s_waitcnt vmcnt(0)
	v_cvt_f64_u32_e32 v[0:1], v0
.LBB127_176:
	s_mov_b64 s[0:1], 0
.LBB127_177:
	s_andn2_b64 vcc, exec, s[0:1]
	s_cbranch_vccnz .LBB127_187
; %bb.178:
	global_load_ubyte v2, v[5:6], off
	s_movk_i32 s0, 0x7f
	s_waitcnt vmcnt(0)
	v_cmp_lt_i16_e32 vcc, s0, v2
	s_mov_b64 s[0:1], 0
	s_and_saveexec_b64 s[8:9], vcc
	s_xor_b64 s[8:9], exec, s[8:9]
	s_cbranch_execz .LBB127_182
; %bb.179:
	s_movk_i32 s0, 0x80
	v_cmp_eq_u16_e32 vcc, s0, v2
	s_mov_b64 s[0:1], -1
	s_and_saveexec_b64 s[10:11], vcc
; %bb.180:
	s_xor_b64 s[0:1], exec, -1
; %bb.181:
	s_or_b64 exec, exec, s[10:11]
	s_and_b64 s[0:1], s[0:1], exec
.LBB127_182:
	s_or_saveexec_b64 s[8:9], s[8:9]
	v_bfrev_b32_e32 v0, 4
	v_mov_b32_e32 v1, 0x7ff80000
	s_xor_b64 exec, exec, s[8:9]
; %bb.183:
	v_cmp_ne_u16_e32 vcc, 0, v2
	v_mov_b32_e32 v0, 0
	s_andn2_b64 s[0:1], s[0:1], exec
	s_and_b64 s[10:11], vcc, exec
	v_mov_b32_e32 v1, 0
	s_or_b64 s[0:1], s[0:1], s[10:11]
; %bb.184:
	s_or_b64 exec, exec, s[8:9]
	s_and_saveexec_b64 s[8:9], s[0:1]
	s_cbranch_execz .LBB127_186
; %bb.185:
	v_and_b32_e32 v1, 0xffff, v2
	v_lshlrev_b32_e32 v0, 24, v2
	v_and_b32_e32 v2, 7, v1
	v_ffbh_u32_e32 v8, v2
	v_min_u32_e32 v8, 32, v8
	v_subrev_u32_e32 v9, 28, v8
	v_bfe_u32 v3, v1, 3, 4
	v_lshlrev_b32_e32 v1, v9, v1
	v_sub_u32_e32 v8, 29, v8
	v_and_b32_e32 v1, 7, v1
	v_cmp_eq_u32_e32 vcc, 0, v3
	v_cndmask_b32_e32 v3, v3, v8, vcc
	v_cndmask_b32_e32 v1, v2, v1, vcc
	v_mov_b32_e32 v2, 0x3b800000
	v_lshlrev_b32_e32 v1, 20, v1
	v_and_b32_e32 v0, 0x80000000, v0
	v_lshl_add_u32 v2, v3, 23, v2
	v_or3_b32 v0, v0, v2, v1
	v_cvt_f64_f32_e32 v[0:1], v0
.LBB127_186:
	s_or_b64 exec, exec, s[8:9]
.LBB127_187:
	v_mov_b32_e32 v2, 0
	v_mov_b32_e32 v3, 0
	s_mov_b64 s[0:1], -1
.LBB127_188:
	s_branch .LBB127_221
.LBB127_189:
	s_cmp_gt_i32 s12, 22
	s_cbranch_scc0 .LBB127_201
; %bb.190:
	s_cmp_lt_i32 s12, 24
	s_cbranch_scc1 .LBB127_202
; %bb.191:
	s_cmp_gt_i32 s12, 24
	s_cbranch_scc0 .LBB127_203
; %bb.192:
	global_load_ubyte v2, v[5:6], off
	s_movk_i32 s0, 0x7f
	s_waitcnt vmcnt(0)
	v_cmp_lt_i16_e32 vcc, s0, v2
	s_mov_b64 s[0:1], 0
	s_and_saveexec_b64 s[8:9], vcc
	s_xor_b64 s[8:9], exec, s[8:9]
	s_cbranch_execz .LBB127_196
; %bb.193:
	s_movk_i32 s0, 0x80
	v_cmp_eq_u16_e32 vcc, s0, v2
	s_mov_b64 s[0:1], -1
	s_and_saveexec_b64 s[10:11], vcc
; %bb.194:
	s_xor_b64 s[0:1], exec, -1
; %bb.195:
	s_or_b64 exec, exec, s[10:11]
	s_and_b64 s[0:1], s[0:1], exec
.LBB127_196:
	s_or_saveexec_b64 s[8:9], s[8:9]
	v_bfrev_b32_e32 v0, 4
	v_mov_b32_e32 v1, 0x7ff80000
	s_xor_b64 exec, exec, s[8:9]
; %bb.197:
	v_cmp_ne_u16_e32 vcc, 0, v2
	v_mov_b32_e32 v0, 0
	s_andn2_b64 s[0:1], s[0:1], exec
	s_and_b64 s[10:11], vcc, exec
	v_mov_b32_e32 v1, 0
	s_or_b64 s[0:1], s[0:1], s[10:11]
; %bb.198:
	s_or_b64 exec, exec, s[8:9]
	s_and_saveexec_b64 s[8:9], s[0:1]
	s_cbranch_execz .LBB127_200
; %bb.199:
	v_and_b32_e32 v1, 0xffff, v2
	v_lshlrev_b32_e32 v0, 24, v2
	v_and_b32_e32 v2, 3, v1
	v_ffbh_u32_e32 v8, v2
	v_min_u32_e32 v8, 32, v8
	v_subrev_u32_e32 v9, 29, v8
	v_bfe_u32 v3, v1, 2, 5
	v_lshlrev_b32_e32 v1, v9, v1
	v_sub_u32_e32 v8, 30, v8
	v_and_b32_e32 v1, 3, v1
	v_cmp_eq_u32_e32 vcc, 0, v3
	v_cndmask_b32_e32 v3, v3, v8, vcc
	v_cndmask_b32_e32 v1, v2, v1, vcc
	v_mov_b32_e32 v2, 0x37800000
	v_lshlrev_b32_e32 v1, 21, v1
	v_and_b32_e32 v0, 0x80000000, v0
	v_lshl_add_u32 v2, v3, 23, v2
	v_or3_b32 v0, v0, v2, v1
	v_cvt_f64_f32_e32 v[0:1], v0
.LBB127_200:
	s_or_b64 exec, exec, s[8:9]
	s_mov_b64 s[0:1], 0
	s_branch .LBB127_204
.LBB127_201:
                                        ; implicit-def: $vgpr0_vgpr1
	s_branch .LBB127_210
.LBB127_202:
	s_mov_b64 s[0:1], -1
                                        ; implicit-def: $vgpr0_vgpr1
	s_branch .LBB127_207
.LBB127_203:
	s_mov_b64 s[0:1], -1
                                        ; implicit-def: $vgpr0_vgpr1
.LBB127_204:
	s_and_b64 vcc, exec, s[0:1]
	s_cbranch_vccz .LBB127_206
; %bb.205:
	global_load_ubyte v0, v[5:6], off
	s_mov_b32 s0, 0x7f800000
	s_waitcnt vmcnt(0)
	v_lshlrev_b32_e32 v0, 24, v0
	v_and_b32_e32 v1, 0x7f000000, v0
	v_ffbh_u32_e32 v2, v1
	v_min_u32_e32 v2, 32, v2
	v_sub_u32_e64 v2, v2, 4 clamp
	v_lshlrev_b32_e32 v8, v2, v1
	v_lshlrev_b32_e32 v2, 23, v2
	v_lshrrev_b32_e32 v8, 4, v8
	v_add_u32_e32 v3, 0x1000000, v1
	v_sub_u32_e32 v2, v8, v2
	v_ashrrev_i32_e32 v3, 8, v3
	v_add_u32_e32 v2, 0x3c000000, v2
	v_and_or_b32 v2, v3, s0, v2
	v_cmp_ne_u32_e32 vcc, 0, v1
	v_cndmask_b32_e32 v1, 0, v2, vcc
	s_brev_b32 s0, 1
	v_and_or_b32 v0, v0, s0, v1
	v_cvt_f64_f32_e32 v[0:1], v0
.LBB127_206:
	s_mov_b64 s[0:1], 0
.LBB127_207:
	s_andn2_b64 vcc, exec, s[0:1]
	s_cbranch_vccnz .LBB127_209
; %bb.208:
	global_load_ubyte v0, v[5:6], off
	s_movk_i32 s0, 0x7f00
	s_brev_b32 s1, 16
	s_waitcnt vmcnt(0)
	v_lshlrev_b16_e32 v1, 8, v0
	v_lshlrev_b32_e32 v0, 25, v0
	v_lshrrev_b32_e32 v2, 4, v0
	v_and_or_b32 v3, v1, s0, 0.5
	v_or_b32_e32 v2, 0x70000000, v2
	v_add_f32_e32 v3, -0.5, v3
	v_mul_f32_e32 v2, 0x7800000, v2
	v_cmp_gt_u32_e32 vcc, s1, v0
	v_bfe_i32 v1, v1, 0, 16
	v_cndmask_b32_e32 v0, v2, v3, vcc
	s_brev_b32 s0, 1
	v_and_or_b32 v0, v1, s0, v0
	v_cvt_f64_f32_e32 v[0:1], v0
.LBB127_209:
	s_mov_b64 s[0:1], -1
	s_cbranch_execnz .LBB127_220
.LBB127_210:
	s_cmp_gt_i32 s12, 14
	s_cbranch_scc0 .LBB127_213
; %bb.211:
	s_cmp_eq_u32 s12, 15
	s_cbranch_scc0 .LBB127_214
; %bb.212:
	global_load_ushort v0, v[5:6], off
	s_mov_b64 s[0:1], -1
	s_mov_b64 s[2:3], 0
	s_waitcnt vmcnt(0)
	v_lshlrev_b32_e32 v0, 16, v0
	v_cvt_f64_f32_e32 v[0:1], v0
	s_branch .LBB127_215
.LBB127_213:
	s_mov_b64 s[8:9], -1
                                        ; implicit-def: $vgpr0_vgpr1
	s_branch .LBB127_216
.LBB127_214:
	s_mov_b64 s[2:3], -1
                                        ; implicit-def: $vgpr0_vgpr1
.LBB127_215:
	s_mov_b64 s[8:9], 0
.LBB127_216:
	s_and_b64 vcc, exec, s[8:9]
	s_cbranch_vccz .LBB127_220
; %bb.217:
	s_cmp_eq_u32 s12, 11
	s_cbranch_scc0 .LBB127_219
; %bb.218:
	global_load_ubyte v1, v[5:6], off
	v_mov_b32_e32 v2, 0x3ff00000
	v_mov_b32_e32 v0, 0
	s_mov_b64 s[0:1], -1
	s_mov_b64 s[2:3], 0
	s_waitcnt vmcnt(0)
	v_cmp_ne_u16_e32 vcc, 0, v1
	v_cndmask_b32_e32 v1, 0, v2, vcc
	s_branch .LBB127_220
.LBB127_219:
	s_mov_b64 s[2:3], -1
                                        ; implicit-def: $vgpr0_vgpr1
.LBB127_220:
	v_mov_b32_e32 v2, 0
	v_mov_b32_e32 v3, 0
.LBB127_221:
	s_branch .LBB127_24
.LBB127_222:
	s_cmp_lt_i32 s12, 5
	s_cbranch_scc1 .LBB127_227
; %bb.223:
	s_cmp_lt_i32 s12, 8
	s_cbranch_scc1 .LBB127_228
; %bb.224:
	;; [unrolled: 3-line block ×3, first 2 shown]
	s_cmp_gt_i32 s12, 9
	s_cbranch_scc0 .LBB127_230
; %bb.226:
	global_load_dwordx4 v[0:3], v[5:6], off
	s_mov_b64 s[0:1], 0
	s_branch .LBB127_231
.LBB127_227:
                                        ; implicit-def: $vgpr2_vgpr3
	s_branch .LBB127_250
.LBB127_228:
	s_mov_b64 s[0:1], -1
                                        ; implicit-def: $vgpr2_vgpr3
	s_branch .LBB127_237
.LBB127_229:
	s_mov_b64 s[0:1], -1
                                        ; implicit-def: $vgpr2_vgpr3
	s_branch .LBB127_234
.LBB127_230:
	s_mov_b64 s[0:1], -1
                                        ; implicit-def: $vgpr2_vgpr3
.LBB127_231:
	s_andn2_b64 vcc, exec, s[0:1]
	s_cbranch_vccnz .LBB127_233
; %bb.232:
	global_load_dwordx2 v[1:2], v[5:6], off
	s_waitcnt vmcnt(0)
	v_cvt_f64_f32_e32 v[0:1], v1
	v_cvt_f64_f32_e32 v[2:3], v2
.LBB127_233:
	s_mov_b64 s[0:1], 0
.LBB127_234:
	s_andn2_b64 vcc, exec, s[0:1]
	s_cbranch_vccnz .LBB127_236
; %bb.235:
	global_load_dword v0, v[5:6], off
	s_waitcnt vmcnt(0)
	v_cvt_f32_f16_e32 v1, v0
	v_cvt_f32_f16_sdwa v2, v0 dst_sel:DWORD dst_unused:UNUSED_PAD src0_sel:WORD_1
	v_cvt_f64_f32_e32 v[0:1], v1
	v_cvt_f64_f32_e32 v[2:3], v2
.LBB127_236:
	s_mov_b64 s[0:1], 0
.LBB127_237:
	s_andn2_b64 vcc, exec, s[0:1]
	s_cbranch_vccnz .LBB127_249
; %bb.238:
	s_cmp_lt_i32 s12, 6
	s_cbranch_scc1 .LBB127_241
; %bb.239:
	s_cmp_gt_i32 s12, 6
	s_cbranch_scc0 .LBB127_242
; %bb.240:
	global_load_dwordx2 v[0:1], v[5:6], off
	s_mov_b64 s[0:1], 0
	s_branch .LBB127_243
.LBB127_241:
	s_mov_b64 s[0:1], -1
                                        ; implicit-def: $vgpr0_vgpr1
	s_branch .LBB127_246
.LBB127_242:
	s_mov_b64 s[0:1], -1
                                        ; implicit-def: $vgpr0_vgpr1
.LBB127_243:
	s_andn2_b64 vcc, exec, s[0:1]
	s_cbranch_vccnz .LBB127_245
; %bb.244:
	global_load_dword v0, v[5:6], off
	s_waitcnt vmcnt(0)
	v_cvt_f64_f32_e32 v[0:1], v0
.LBB127_245:
	s_mov_b64 s[0:1], 0
.LBB127_246:
	s_andn2_b64 vcc, exec, s[0:1]
	s_cbranch_vccnz .LBB127_248
; %bb.247:
	global_load_ushort v0, v[5:6], off
	s_waitcnt vmcnt(0)
	v_cvt_f32_f16_e32 v0, v0
	v_cvt_f64_f32_e32 v[0:1], v0
.LBB127_248:
	s_waitcnt vmcnt(0)
	v_mov_b32_e32 v2, 0
	v_mov_b32_e32 v3, 0
.LBB127_249:
	s_cbranch_execnz .LBB127_270
.LBB127_250:
	s_cmp_lt_i32 s12, 2
	s_cbranch_scc1 .LBB127_254
; %bb.251:
	s_cmp_lt_i32 s12, 3
	s_cbranch_scc1 .LBB127_255
; %bb.252:
	s_cmp_gt_i32 s12, 3
	s_cbranch_scc0 .LBB127_256
; %bb.253:
	global_load_dwordx2 v[0:1], v[5:6], off
	s_mov_b64 s[0:1], 0
	s_waitcnt vmcnt(0)
	v_cvt_f64_i32_e32 v[1:2], v1
	v_cvt_f64_u32_e32 v[8:9], v0
	v_ldexp_f64 v[1:2], v[1:2], 32
	v_add_f64 v[0:1], v[1:2], v[8:9]
	s_branch .LBB127_257
.LBB127_254:
	s_mov_b64 s[0:1], -1
                                        ; implicit-def: $vgpr0_vgpr1
	s_branch .LBB127_263
.LBB127_255:
	s_mov_b64 s[0:1], -1
                                        ; implicit-def: $vgpr0_vgpr1
	s_branch .LBB127_260
.LBB127_256:
	s_mov_b64 s[0:1], -1
                                        ; implicit-def: $vgpr0_vgpr1
.LBB127_257:
	s_andn2_b64 vcc, exec, s[0:1]
	s_cbranch_vccnz .LBB127_259
; %bb.258:
	global_load_dword v0, v[5:6], off
	s_waitcnt vmcnt(0)
	v_cvt_f64_i32_e32 v[0:1], v0
.LBB127_259:
	s_mov_b64 s[0:1], 0
.LBB127_260:
	s_andn2_b64 vcc, exec, s[0:1]
	s_cbranch_vccnz .LBB127_262
; %bb.261:
	global_load_sshort v0, v[5:6], off
	s_waitcnt vmcnt(0)
	v_cvt_f64_i32_e32 v[0:1], v0
.LBB127_262:
	s_mov_b64 s[0:1], 0
.LBB127_263:
	s_andn2_b64 vcc, exec, s[0:1]
	s_cbranch_vccnz .LBB127_269
; %bb.264:
	s_cmp_gt_i32 s12, 0
	s_cbranch_scc0 .LBB127_266
; %bb.265:
	global_load_sbyte v0, v[5:6], off
	s_mov_b64 s[0:1], 0
	s_waitcnt vmcnt(0)
	v_cvt_f64_i32_e32 v[0:1], v0
	s_branch .LBB127_267
.LBB127_266:
	s_mov_b64 s[0:1], -1
                                        ; implicit-def: $vgpr0_vgpr1
.LBB127_267:
	s_andn2_b64 vcc, exec, s[0:1]
	s_cbranch_vccnz .LBB127_269
; %bb.268:
	global_load_ubyte v0, v[5:6], off
	s_waitcnt vmcnt(0)
	v_cvt_f64_u32_e32 v[0:1], v0
.LBB127_269:
	s_waitcnt vmcnt(0)
	v_mov_b32_e32 v2, 0
	v_mov_b32_e32 v3, 0
.LBB127_270:
	s_branch .LBB127_25
.LBB127_271:
	s_mov_b64 s[0:1], 0
.LBB127_272:
	s_mov_b64 s[8:9], 0
                                        ; implicit-def: $vgpr7
.LBB127_273:
	s_and_b64 s[58:59], s[0:1], exec
	s_and_b64 s[60:61], s[2:3], exec
	s_orn2_b64 s[2:3], s[8:9], exec
.LBB127_274:
	s_or_b64 exec, exec, s[62:63]
	s_mov_b64 s[10:11], 0
	s_mov_b64 s[0:1], 0
                                        ; implicit-def: $vgpr5_vgpr6
                                        ; implicit-def: $vgpr4
                                        ; implicit-def: $vgpr2_vgpr3
	s_and_saveexec_b64 s[62:63], s[2:3]
	s_cbranch_execz .LBB127_281
; %bb.275:
	v_cmp_gt_i32_e32 vcc, s76, v7
	s_mov_b64 s[0:1], -1
	s_mov_b64 s[64:65], s[60:61]
	s_mov_b64 s[66:67], s[58:59]
	s_and_saveexec_b64 s[68:69], vcc
	s_cbranch_execz .LBB127_559
; %bb.276:
	s_andn2_b64 vcc, exec, s[44:45]
	s_cbranch_vccnz .LBB127_284
; %bb.277:
	s_andn2_b64 vcc, exec, s[56:57]
	s_cbranch_vccnz .LBB127_285
; %bb.278:
	s_add_i32 s71, s81, 1
	s_cmp_eq_u32 s78, 2
	s_cbranch_scc1 .LBB127_286
; %bb.279:
	s_and_b32 s70, s71, 28
	s_waitcnt vmcnt(0)
	v_mov_b32_e32 v0, 0
	s_mov_b32 s72, 0
	s_mov_b64 s[64:65], s[34:35]
	s_mov_b64 s[66:67], s[54:55]
	v_mov_b32_e32 v4, 0
	v_mov_b32_e32 v1, v7
.LBB127_280:                            ; =>This Inner Loop Header: Depth=1
	s_load_dwordx8 s[16:23], s[64:65], 0x4
	s_load_dwordx4 s[0:3], s[64:65], 0x24
	s_load_dwordx8 s[8:15], s[66:67], 0x0
	s_add_u32 s64, s64, 48
	s_addc_u32 s65, s65, 0
	s_waitcnt lgkmcnt(0)
	v_mul_hi_u32 v2, s17, v1
	s_add_i32 s72, s72, 4
	s_add_u32 s66, s66, 32
	s_addc_u32 s67, s67, 0
	v_add_u32_e32 v2, v1, v2
	v_lshrrev_b32_e32 v2, s18, v2
	v_mul_lo_u32 v3, v2, s16
	v_mul_hi_u32 v5, s20, v2
	s_cmp_eq_u32 s70, s72
	v_sub_u32_e32 v1, v1, v3
	v_add_u32_e32 v3, v2, v5
	v_mul_lo_u32 v5, v1, s8
	v_mul_lo_u32 v6, v1, s9
	v_lshrrev_b32_e32 v1, s21, v3
	v_mul_lo_u32 v3, v1, s19
	v_mul_hi_u32 v8, s23, v1
	v_sub_u32_e32 v2, v2, v3
	v_add_u32_e32 v3, v1, v8
	v_lshrrev_b32_e32 v3, s0, v3
	v_mul_hi_u32 v9, s2, v3
	v_mul_lo_u32 v10, v3, s22
	v_mul_lo_u32 v8, v2, s10
	;; [unrolled: 1-line block ×3, first 2 shown]
	v_sub_u32_e32 v10, v1, v10
	v_add_u32_e32 v1, v3, v9
	v_lshrrev_b32_e32 v1, s3, v1
	v_mul_lo_u32 v9, v1, s1
	v_mul_lo_u32 v11, v10, s12
	;; [unrolled: 1-line block ×3, first 2 shown]
	v_add3_u32 v4, v5, v4, v8
	v_sub_u32_e32 v3, v3, v9
	v_mul_lo_u32 v9, v3, s14
	v_mul_lo_u32 v3, v3, s15
	v_add3_u32 v0, v6, v0, v2
	v_add3_u32 v4, v11, v4, v9
	v_add3_u32 v0, v10, v0, v3
	s_cbranch_scc0 .LBB127_280
	s_branch .LBB127_287
.LBB127_281:
	s_or_b64 exec, exec, s[62:63]
	s_mov_b64 s[2:3], 0
	s_and_saveexec_b64 s[8:9], s[60:61]
	s_cbranch_execnz .LBB127_948
.LBB127_282:
	s_or_b64 exec, exec, s[8:9]
	s_and_saveexec_b64 s[8:9], s[66:67]
	s_xor_b64 s[8:9], exec, s[8:9]
	s_cbranch_execz .LBB127_949
.LBB127_283:
	global_load_ubyte v1, v[5:6], off
	v_mov_b32_e32 v7, 0x3ff00000
	s_waitcnt vmcnt(1)
	v_mov_b32_e32 v2, 0
	v_mov_b32_e32 v0, 0
	;; [unrolled: 1-line block ×3, first 2 shown]
	s_or_b64 s[0:1], s[0:1], exec
	s_waitcnt vmcnt(0)
	v_cmp_ne_u16_e32 vcc, 0, v1
	v_cndmask_b32_e32 v1, 0, v7, vcc
	s_or_b64 exec, exec, s[8:9]
	s_and_saveexec_b64 s[8:9], s[10:11]
	s_cbranch_execz .LBB127_997
	s_branch .LBB127_950
.LBB127_284:
                                        ; implicit-def: $vgpr4
                                        ; implicit-def: $vgpr0
	s_andn2_b64 vcc, exec, s[0:1]
	s_cbranch_vccz .LBB127_291
	s_branch .LBB127_293
.LBB127_285:
	v_mov_b32_e32 v4, 0
	s_waitcnt vmcnt(0)
	v_mov_b32_e32 v0, 0
	s_branch .LBB127_290
.LBB127_286:
	s_mov_b32 s70, 0
	v_mov_b32_e32 v4, 0
	s_waitcnt vmcnt(0)
	v_mov_b32_e32 v0, 0
	v_mov_b32_e32 v1, v7
.LBB127_287:
	s_and_b32 s8, s71, 3
	s_cmp_eq_u32 s8, 0
	s_cbranch_scc1 .LBB127_290
; %bb.288:
	s_lshl_b32 s0, s70, 3
	s_add_u32 s0, s34, s0
	s_addc_u32 s1, s35, 0
	s_add_u32 s0, s0, 0xc4
	s_addc_u32 s1, s1, 0
	s_mul_i32 s2, s70, 12
	s_add_u32 s2, s34, s2
	s_addc_u32 s3, s35, 0
.LBB127_289:                            ; =>This Inner Loop Header: Depth=1
	s_load_dwordx2 s[10:11], s[2:3], 0x4
	s_load_dword s9, s[2:3], 0xc
	s_load_dwordx2 s[12:13], s[0:1], 0x0
	s_add_u32 s2, s2, 12
	s_addc_u32 s3, s3, 0
	s_waitcnt lgkmcnt(0)
	v_mul_hi_u32 v2, s11, v1
	s_add_u32 s0, s0, 8
	s_addc_u32 s1, s1, 0
	s_add_i32 s8, s8, -1
	v_add_u32_e32 v2, v1, v2
	v_lshrrev_b32_e32 v2, s9, v2
	v_mul_lo_u32 v3, v2, s10
	s_cmp_lg_u32 s8, 0
	v_sub_u32_e32 v1, v1, v3
	v_mad_u64_u32 v[4:5], s[10:11], v1, s12, v[4:5]
	v_mad_u64_u32 v[0:1], s[10:11], v1, s13, v[0:1]
	v_mov_b32_e32 v1, v2
	s_cbranch_scc1 .LBB127_289
.LBB127_290:
	s_cbranch_execnz .LBB127_293
.LBB127_291:
	s_waitcnt vmcnt(0)
	v_mul_hi_u32 v0, s37, v7
	s_andn2_b64 vcc, exec, s[52:53]
	v_add_u32_e32 v0, v7, v0
	v_lshrrev_b32_e32 v1, s38, v0
	v_mul_lo_u32 v0, v1, s36
	v_sub_u32_e32 v0, v7, v0
	v_mul_lo_u32 v4, v0, s40
	v_mul_lo_u32 v0, v0, s41
	s_cbranch_vccnz .LBB127_293
; %bb.292:
	v_mul_hi_u32 v2, s50, v1
	v_add_u32_e32 v2, v1, v2
	v_lshrrev_b32_e32 v2, s51, v2
	v_mul_lo_u32 v2, v2, s39
	v_sub_u32_e32 v1, v1, v2
	v_mad_u64_u32 v[4:5], s[0:1], v1, s42, v[4:5]
	v_mad_u64_u32 v[0:1], s[0:1], v1, s43, v[0:1]
.LBB127_293:
	s_waitcnt vmcnt(0)
	v_mov_b32_e32 v1, s27
	s_and_b32 s12, 0xffff, s80
	v_add_co_u32_e32 v5, vcc, s26, v0
	s_cmp_lt_i32 s12, 11
	v_addc_co_u32_e32 v6, vcc, 0, v1, vcc
	s_cbranch_scc1 .LBB127_300
; %bb.294:
	s_cmp_gt_i32 s12, 25
	s_cbranch_scc0 .LBB127_312
; %bb.295:
	s_cmp_gt_i32 s12, 28
	s_cbranch_scc0 .LBB127_315
	;; [unrolled: 3-line block ×4, first 2 shown]
; %bb.298:
	s_cmp_eq_u32 s12, 46
	s_mov_b64 s[8:9], 0
	s_cbranch_scc0 .LBB127_325
; %bb.299:
	global_load_dword v0, v[5:6], off
	s_mov_b64 s[0:1], -1
	s_mov_b64 s[2:3], 0
	s_waitcnt vmcnt(0)
	v_and_b32_e32 v2, 0xffff0000, v0
	v_lshlrev_b32_e32 v0, 16, v0
	v_cvt_f64_f32_e32 v[0:1], v0
	v_cvt_f64_f32_e32 v[2:3], v2
	s_branch .LBB127_326
.LBB127_300:
	s_mov_b64 s[0:1], 0
                                        ; implicit-def: $vgpr2_vgpr3
	s_mov_b64 s[2:3], s[60:61]
	s_cbranch_execnz .LBB127_506
.LBB127_301:
	s_andn2_b64 vcc, exec, s[0:1]
	s_cbranch_vccnz .LBB127_556
.LBB127_302:
	s_andn2_b64 vcc, exec, s[48:49]
	s_cbranch_vccnz .LBB127_314
; %bb.303:
	s_waitcnt vmcnt(0)
	v_cmp_neq_f64_e32 vcc, s[28:29], v[0:1]
	v_cmp_neq_f64_e64 s[0:1], s[30:31], v[2:3]
	s_or_b64 s[8:9], vcc, s[0:1]
	s_cbranch_execnz .LBB127_305
.LBB127_304:
	s_waitcnt vmcnt(0)
	v_cmp_eq_f64_e32 vcc, s[28:29], v[0:1]
	v_cmp_eq_f64_e64 s[0:1], s[30:31], v[2:3]
	s_andn2_b64 s[8:9], s[8:9], exec
	s_and_b64 s[0:1], vcc, s[0:1]
	s_and_b64 s[0:1], s[0:1], exec
	s_or_b64 s[8:9], s[8:9], s[0:1]
.LBB127_305:
	s_waitcnt vmcnt(0)
	v_mov_b32_e32 v1, s25
	s_and_b32 s16, s79, 0xff
	v_add_co_u32_e32 v0, vcc, s24, v4
	s_cmp_lt_i32 s16, 11
	v_addc_co_u32_e32 v1, vcc, 0, v1, vcc
	s_cbranch_scc1 .LBB127_313
; %bb.306:
	s_and_b32 s17, 0xffff, s16
	s_cmp_gt_i32 s17, 25
	s_cbranch_scc0 .LBB127_316
; %bb.307:
	s_cmp_gt_i32 s17, 28
	s_cbranch_scc0 .LBB127_318
; %bb.308:
	;; [unrolled: 3-line block ×4, first 2 shown]
	s_mov_b64 s[12:13], 0
	s_mov_b64 s[0:1], -1
	s_cmp_eq_u32 s17, 46
	s_mov_b64 s[10:11], 0
	s_cbranch_scc0 .LBB127_330
; %bb.311:
	v_cndmask_b32_e64 v2, 0, 1.0, s[8:9]
	v_bfe_u32 v3, v2, 16, 1
	s_movk_i32 s0, 0x7fff
	v_add3_u32 v2, v2, v3, s0
	v_lshrrev_b32_e32 v2, 16, v2
	global_store_dword v[0:1], v2, off
	s_mov_b64 s[10:11], -1
	s_mov_b64 s[0:1], 0
	s_branch .LBB127_330
.LBB127_312:
	s_mov_b64 s[8:9], -1
	s_mov_b64 s[0:1], 0
	s_mov_b64 s[2:3], s[60:61]
                                        ; implicit-def: $vgpr2_vgpr3
	s_branch .LBB127_471
.LBB127_313:
	s_mov_b64 s[12:13], -1
	s_mov_b64 s[10:11], 0
	s_mov_b64 s[0:1], s[58:59]
	s_branch .LBB127_399
.LBB127_314:
                                        ; implicit-def: $sgpr8_sgpr9
	s_branch .LBB127_304
.LBB127_315:
	s_mov_b64 s[8:9], -1
	s_mov_b64 s[0:1], 0
	s_mov_b64 s[2:3], s[60:61]
                                        ; implicit-def: $vgpr2_vgpr3
	s_branch .LBB127_450
.LBB127_316:
	s_mov_b64 s[12:13], -1
	s_mov_b64 s[10:11], 0
	s_mov_b64 s[0:1], s[58:59]
	s_branch .LBB127_357
.LBB127_317:
	s_mov_b64 s[8:9], -1
	s_mov_b64 s[0:1], 0
	s_mov_b64 s[2:3], s[60:61]
                                        ; implicit-def: $vgpr2_vgpr3
	s_branch .LBB127_444
.LBB127_318:
	s_mov_b64 s[12:13], -1
	s_mov_b64 s[10:11], 0
	s_mov_b64 s[0:1], s[58:59]
	s_branch .LBB127_340
.LBB127_319:
	s_andn2_saveexec_b64 s[14:15], s[14:15]
	s_cbranch_execz .LBB127_72
.LBB127_320:
	v_add_f32_e32 v2, 0x46000000, v3
	v_and_b32_e32 v2, 0xff, v2
	v_cmp_ne_u32_e32 vcc, 0, v2
	s_andn2_b64 s[12:13], s[12:13], exec
	s_and_b64 s[18:19], vcc, exec
	s_or_b64 s[12:13], s[12:13], s[18:19]
	s_or_b64 exec, exec, s[14:15]
	v_mov_b32_e32 v4, 0
	s_and_saveexec_b64 s[14:15], s[12:13]
	s_cbranch_execnz .LBB127_73
	s_branch .LBB127_74
.LBB127_321:
	s_mov_b64 s[8:9], -1
	s_mov_b64 s[0:1], 0
	s_mov_b64 s[2:3], s[60:61]
                                        ; implicit-def: $vgpr2_vgpr3
	s_branch .LBB127_326
.LBB127_322:
	s_mov_b64 s[12:13], -1
	s_mov_b64 s[10:11], 0
	s_mov_b64 s[0:1], s[58:59]
	s_branch .LBB127_336
.LBB127_323:
	s_andn2_saveexec_b64 s[14:15], s[14:15]
	s_cbranch_execz .LBB127_85
.LBB127_324:
	v_add_f32_e32 v2, 0x42800000, v3
	v_and_b32_e32 v2, 0xff, v2
	v_cmp_ne_u32_e32 vcc, 0, v2
	s_andn2_b64 s[12:13], s[12:13], exec
	s_and_b64 s[18:19], vcc, exec
	s_or_b64 s[12:13], s[12:13], s[18:19]
	s_or_b64 exec, exec, s[14:15]
	v_mov_b32_e32 v4, 0
	s_and_saveexec_b64 s[14:15], s[12:13]
	s_cbranch_execnz .LBB127_86
	s_branch .LBB127_87
.LBB127_325:
	s_mov_b64 s[2:3], -1
                                        ; implicit-def: $vgpr2_vgpr3
	s_mov_b64 s[0:1], 0
.LBB127_326:
	s_and_b64 vcc, exec, s[8:9]
	s_cbranch_vccz .LBB127_443
; %bb.327:
	s_cmp_eq_u32 s12, 44
	s_cbranch_scc0 .LBB127_441
; %bb.328:
	global_load_ubyte v2, v[5:6], off
	s_movk_i32 s2, 0xff
	v_bfrev_b32_e32 v3, 4
	v_mov_b32_e32 v8, 0x7ff80000
	v_bfrev_b32_e32 v9, 28
	s_mov_b64 s[0:1], -1
	s_waitcnt vmcnt(0)
	v_lshlrev_b32_e32 v0, 23, v2
	v_cvt_f64_f32_e32 v[0:1], v0
	v_cmp_ne_u32_e32 vcc, s2, v2
	s_mov_b64 s[2:3], 0
	v_cndmask_b32_e32 v0, v3, v0, vcc
	v_cndmask_b32_e32 v1, v8, v1, vcc
	v_cmp_ne_u32_e32 vcc, 0, v2
	v_cndmask_b32_e32 v1, v9, v1, vcc
	v_cndmask_b32_e32 v0, 0, v0, vcc
	s_branch .LBB127_442
.LBB127_329:
	s_mov_b64 s[12:13], -1
	s_mov_b64 s[10:11], 0
	s_mov_b64 s[0:1], s[58:59]
.LBB127_330:
	s_and_b64 vcc, exec, s[12:13]
	s_cbranch_vccz .LBB127_335
; %bb.331:
	s_cmp_eq_u32 s17, 44
	s_mov_b64 s[0:1], -1
	s_cbranch_scc0 .LBB127_335
; %bb.332:
	v_cndmask_b32_e64 v3, 0, 1.0, s[8:9]
	v_lshrrev_b32_e32 v2, 23, v3
	s_movk_i32 s0, 0xff
	v_cmp_ne_u32_e32 vcc, s0, v2
	v_mov_b32_e32 v4, 0xff
	s_and_saveexec_b64 s[10:11], vcc
; %bb.333:
	s_mov_b32 s0, 0x3fffff
	v_and_b32_e32 v4, 0x400000, v3
	v_and_or_b32 v3, v3, s0, v2
	v_cmp_ne_u32_e32 vcc, 0, v4
	v_cmp_ne_u32_e64 s[0:1], 0, v3
	s_and_b64 s[0:1], vcc, s[0:1]
	v_cndmask_b32_e64 v3, 0, 1, s[0:1]
	v_add_u32_e32 v4, v2, v3
; %bb.334:
	s_or_b64 exec, exec, s[10:11]
	s_mov_b64 s[10:11], -1
	s_mov_b64 s[0:1], 0
	global_store_byte v[0:1], v4, off
.LBB127_335:
	s_mov_b64 s[12:13], 0
.LBB127_336:
	s_and_b64 vcc, exec, s[12:13]
	s_cbranch_vccz .LBB127_339
; %bb.337:
	s_cmp_eq_u32 s17, 29
	s_mov_b64 s[0:1], -1
	s_cbranch_scc0 .LBB127_339
; %bb.338:
	s_mov_b32 s0, 0
	v_cndmask_b32_e64 v2, 0, 1, s[8:9]
	v_mov_b32_e32 v3, s0
	global_store_dwordx2 v[0:1], v[2:3], off
	s_mov_b64 s[10:11], -1
	s_mov_b64 s[0:1], 0
.LBB127_339:
	s_mov_b64 s[12:13], 0
.LBB127_340:
	s_and_b64 vcc, exec, s[12:13]
	s_cbranch_vccz .LBB127_356
; %bb.341:
	s_cmp_lt_i32 s17, 27
	s_mov_b64 s[10:11], -1
	s_cbranch_scc1 .LBB127_347
; %bb.342:
	s_cmp_gt_i32 s17, 27
	s_cbranch_scc0 .LBB127_344
; %bb.343:
	v_cndmask_b32_e64 v2, 0, 1, s[8:9]
	s_mov_b64 s[10:11], 0
	global_store_dword v[0:1], v2, off
.LBB127_344:
	s_andn2_b64 vcc, exec, s[10:11]
	s_cbranch_vccnz .LBB127_346
; %bb.345:
	v_cndmask_b32_e64 v2, 0, 1, s[8:9]
	global_store_short v[0:1], v2, off
.LBB127_346:
	s_mov_b64 s[10:11], 0
.LBB127_347:
	s_andn2_b64 vcc, exec, s[10:11]
	s_cbranch_vccnz .LBB127_355
; %bb.348:
	v_cndmask_b32_e64 v3, 0, 1.0, s[8:9]
	s_mov_b32 s10, 0x43800000
	v_cmp_gt_u32_e32 vcc, s10, v3
	v_mov_b32_e32 v4, 0x80
	s_and_saveexec_b64 s[10:11], vcc
	s_cbranch_execz .LBB127_354
; %bb.349:
	s_mov_b32 s12, 0x3bffffff
	v_cmp_lt_u32_e32 vcc, s12, v3
	s_mov_b64 s[12:13], 0
                                        ; implicit-def: $vgpr2
	s_and_saveexec_b64 s[14:15], vcc
	s_xor_b64 s[14:15], exec, s[14:15]
	s_cbranch_execz .LBB127_587
; %bb.350:
	v_bfe_u32 v2, v3, 20, 1
	s_mov_b32 s18, 0x487ffff
	v_add3_u32 v2, v3, v2, s18
	s_mov_b64 s[12:13], exec
	v_lshrrev_b32_e32 v2, 20, v2
                                        ; implicit-def: $vgpr3
	s_andn2_saveexec_b64 s[14:15], s[14:15]
	s_cbranch_execnz .LBB127_588
.LBB127_351:
	s_or_b64 exec, exec, s[14:15]
	v_mov_b32_e32 v4, 0
	s_and_saveexec_b64 s[14:15], s[12:13]
.LBB127_352:
	v_mov_b32_e32 v4, v2
.LBB127_353:
	s_or_b64 exec, exec, s[14:15]
.LBB127_354:
	s_or_b64 exec, exec, s[10:11]
	global_store_byte v[0:1], v4, off
.LBB127_355:
	s_mov_b64 s[10:11], -1
.LBB127_356:
	s_mov_b64 s[12:13], 0
.LBB127_357:
	s_and_b64 vcc, exec, s[12:13]
	s_cbranch_vccz .LBB127_398
; %bb.358:
	s_cmp_gt_i32 s17, 22
	s_mov_b64 s[12:13], -1
	s_cbranch_scc0 .LBB127_390
; %bb.359:
	s_cmp_lt_i32 s17, 24
	s_mov_b64 s[10:11], -1
	s_cbranch_scc1 .LBB127_379
; %bb.360:
	s_cmp_gt_i32 s17, 24
	s_cbranch_scc0 .LBB127_368
; %bb.361:
	v_cndmask_b32_e64 v3, 0, 1.0, s[8:9]
	s_mov_b32 s10, 0x47800000
	v_cmp_gt_u32_e32 vcc, s10, v3
	v_mov_b32_e32 v4, 0x80
	s_and_saveexec_b64 s[10:11], vcc
	s_cbranch_execz .LBB127_367
; %bb.362:
	s_mov_b32 s12, 0x37ffffff
	v_cmp_lt_u32_e32 vcc, s12, v3
	s_mov_b64 s[12:13], 0
                                        ; implicit-def: $vgpr2
	s_and_saveexec_b64 s[14:15], vcc
	s_xor_b64 s[14:15], exec, s[14:15]
	s_cbranch_execz .LBB127_590
; %bb.363:
	v_bfe_u32 v2, v3, 21, 1
	s_mov_b32 s18, 0x88fffff
	v_add3_u32 v2, v3, v2, s18
	s_mov_b64 s[12:13], exec
	v_lshrrev_b32_e32 v2, 21, v2
                                        ; implicit-def: $vgpr3
	s_andn2_saveexec_b64 s[14:15], s[14:15]
	s_cbranch_execnz .LBB127_591
.LBB127_364:
	s_or_b64 exec, exec, s[14:15]
	v_mov_b32_e32 v4, 0
	s_and_saveexec_b64 s[14:15], s[12:13]
.LBB127_365:
	v_mov_b32_e32 v4, v2
.LBB127_366:
	s_or_b64 exec, exec, s[14:15]
.LBB127_367:
	s_or_b64 exec, exec, s[10:11]
	s_mov_b64 s[10:11], 0
	global_store_byte v[0:1], v4, off
.LBB127_368:
	s_and_b64 vcc, exec, s[10:11]
	s_cbranch_vccz .LBB127_378
; %bb.369:
	v_cndmask_b32_e64 v2, 0, 1.0, s[8:9]
	s_mov_b32 s10, 0x43f00000
	v_cmp_gt_u32_e32 vcc, s10, v2
                                        ; implicit-def: $vgpr3
	s_and_saveexec_b64 s[10:11], vcc
	s_xor_b64 s[10:11], exec, s[10:11]
	s_cbranch_execz .LBB127_375
; %bb.370:
	s_mov_b32 s12, 0x3c7fffff
	v_cmp_lt_u32_e32 vcc, s12, v2
                                        ; implicit-def: $vgpr3
	s_and_saveexec_b64 s[12:13], vcc
	s_xor_b64 s[12:13], exec, s[12:13]
; %bb.371:
	v_bfe_u32 v3, v2, 20, 1
	s_mov_b32 s14, 0x407ffff
	v_add3_u32 v2, v2, v3, s14
	v_lshrrev_b32_e32 v3, 20, v2
	v_and_b32_e32 v2, 0xff00000, v2
	s_mov_b32 s14, 0x7f00000
	v_mov_b32_e32 v4, 0x7e
	v_cmp_ne_u32_e32 vcc, s14, v2
	v_cndmask_b32_e32 v3, v4, v3, vcc
                                        ; implicit-def: $vgpr2
; %bb.372:
	s_andn2_saveexec_b64 s[12:13], s[12:13]
; %bb.373:
	v_add_f32_e32 v3, 0x46800000, v2
; %bb.374:
	s_or_b64 exec, exec, s[12:13]
                                        ; implicit-def: $vgpr2
.LBB127_375:
	s_andn2_saveexec_b64 s[10:11], s[10:11]
; %bb.376:
	s_mov_b32 s12, 0x7f800000
	v_mov_b32_e32 v3, 0x7e
	v_mov_b32_e32 v4, 0x7f
	v_cmp_lt_u32_e32 vcc, s12, v2
	v_cndmask_b32_e32 v3, v3, v4, vcc
; %bb.377:
	s_or_b64 exec, exec, s[10:11]
	global_store_byte v[0:1], v3, off
.LBB127_378:
	s_mov_b64 s[10:11], 0
.LBB127_379:
	s_andn2_b64 vcc, exec, s[10:11]
	s_cbranch_vccnz .LBB127_389
; %bb.380:
	v_cndmask_b32_e64 v2, 0, 1.0, s[8:9]
	s_mov_b32 s10, 0x47800000
	v_cmp_gt_u32_e32 vcc, s10, v2
                                        ; implicit-def: $vgpr3
	s_and_saveexec_b64 s[10:11], vcc
	s_xor_b64 s[10:11], exec, s[10:11]
	s_cbranch_execz .LBB127_386
; %bb.381:
	s_mov_b32 s12, 0x387fffff
	v_cmp_lt_u32_e32 vcc, s12, v2
                                        ; implicit-def: $vgpr3
	s_and_saveexec_b64 s[12:13], vcc
	s_xor_b64 s[12:13], exec, s[12:13]
; %bb.382:
	v_bfe_u32 v3, v2, 21, 1
	s_mov_b32 s14, 0x80fffff
	v_add3_u32 v2, v2, v3, s14
	v_lshrrev_b32_e32 v3, 21, v2
                                        ; implicit-def: $vgpr2
; %bb.383:
	s_andn2_saveexec_b64 s[12:13], s[12:13]
; %bb.384:
	v_add_f32_e32 v3, 0x43000000, v2
; %bb.385:
	s_or_b64 exec, exec, s[12:13]
                                        ; implicit-def: $vgpr2
.LBB127_386:
	s_andn2_saveexec_b64 s[10:11], s[10:11]
; %bb.387:
	s_mov_b32 s12, 0x7f800000
	v_mov_b32_e32 v3, 0x7c
	v_mov_b32_e32 v4, 0x7f
	v_cmp_lt_u32_e32 vcc, s12, v2
	v_cndmask_b32_e32 v3, v3, v4, vcc
; %bb.388:
	s_or_b64 exec, exec, s[10:11]
	global_store_byte v[0:1], v3, off
.LBB127_389:
	s_mov_b64 s[12:13], 0
	s_mov_b64 s[10:11], -1
.LBB127_390:
	s_andn2_b64 vcc, exec, s[12:13]
	s_cbranch_vccnz .LBB127_398
; %bb.391:
	s_cmp_gt_i32 s17, 14
	s_mov_b64 s[12:13], -1
	s_cbranch_scc0 .LBB127_395
; %bb.392:
	s_cmp_eq_u32 s17, 15
	s_mov_b64 s[0:1], -1
	s_cbranch_scc0 .LBB127_394
; %bb.393:
	v_cndmask_b32_e64 v2, 0, 1.0, s[8:9]
	v_bfe_u32 v3, v2, 16, 1
	s_movk_i32 s0, 0x7fff
	v_add3_u32 v2, v2, v3, s0
	global_store_short_d16_hi v[0:1], v2, off
	s_mov_b64 s[10:11], -1
	s_mov_b64 s[0:1], 0
.LBB127_394:
	s_mov_b64 s[12:13], 0
.LBB127_395:
	s_and_b64 vcc, exec, s[12:13]
	s_cbranch_vccz .LBB127_398
; %bb.396:
	s_cmp_eq_u32 s17, 11
	s_mov_b64 s[0:1], -1
	s_cbranch_scc0 .LBB127_398
; %bb.397:
	v_cndmask_b32_e64 v2, 0, 1, s[8:9]
	s_mov_b64 s[10:11], -1
	s_mov_b64 s[0:1], 0
	global_store_byte v[0:1], v2, off
.LBB127_398:
	s_mov_b64 s[12:13], 0
.LBB127_399:
	s_and_b64 vcc, exec, s[12:13]
	s_cbranch_vccz .LBB127_438
; %bb.400:
	s_and_b32 s12, 0xffff, s16
	s_cmp_lt_i32 s12, 5
	s_mov_b64 s[10:11], -1
	s_cbranch_scc1 .LBB127_421
; %bb.401:
	s_cmp_lt_i32 s12, 8
	s_cbranch_scc1 .LBB127_411
; %bb.402:
	s_cmp_lt_i32 s12, 9
	s_cbranch_scc1 .LBB127_408
; %bb.403:
	s_cmp_gt_i32 s12, 9
	s_cbranch_scc0 .LBB127_405
; %bb.404:
	v_cndmask_b32_e64 v2, 0, 1, s[8:9]
	v_cvt_f64_u32_e32 v[2:3], v2
	v_mov_b32_e32 v4, 0
	v_mov_b32_e32 v5, v4
	s_mov_b64 s[10:11], 0
	global_store_dwordx4 v[0:1], v[2:5], off
.LBB127_405:
	s_andn2_b64 vcc, exec, s[10:11]
	s_cbranch_vccnz .LBB127_407
; %bb.406:
	v_cndmask_b32_e64 v2, 0, 1.0, s[8:9]
	v_mov_b32_e32 v3, 0
	global_store_dwordx2 v[0:1], v[2:3], off
.LBB127_407:
	s_mov_b64 s[10:11], 0
.LBB127_408:
	s_andn2_b64 vcc, exec, s[10:11]
	s_cbranch_vccnz .LBB127_410
; %bb.409:
	v_cndmask_b32_e64 v2, 0, 1.0, s[8:9]
	v_cvt_f16_f32_e32 v2, v2
	global_store_dword v[0:1], v2, off
.LBB127_410:
	s_mov_b64 s[10:11], 0
.LBB127_411:
	s_andn2_b64 vcc, exec, s[10:11]
	s_cbranch_vccnz .LBB127_420
; %bb.412:
	s_cmp_lt_i32 s12, 6
	s_mov_b64 s[10:11], -1
	s_cbranch_scc1 .LBB127_418
; %bb.413:
	s_cmp_gt_i32 s12, 6
	s_cbranch_scc0 .LBB127_415
; %bb.414:
	v_cndmask_b32_e64 v2, 0, 1, s[8:9]
	v_cvt_f64_u32_e32 v[2:3], v2
	s_mov_b64 s[10:11], 0
	global_store_dwordx2 v[0:1], v[2:3], off
.LBB127_415:
	s_andn2_b64 vcc, exec, s[10:11]
	s_cbranch_vccnz .LBB127_417
; %bb.416:
	v_cndmask_b32_e64 v2, 0, 1.0, s[8:9]
	global_store_dword v[0:1], v2, off
.LBB127_417:
	s_mov_b64 s[10:11], 0
.LBB127_418:
	s_andn2_b64 vcc, exec, s[10:11]
	s_cbranch_vccnz .LBB127_420
; %bb.419:
	v_cndmask_b32_e64 v2, 0, 1.0, s[8:9]
	v_cvt_f16_f32_e32 v2, v2
	global_store_short v[0:1], v2, off
.LBB127_420:
	s_mov_b64 s[10:11], 0
.LBB127_421:
	s_andn2_b64 vcc, exec, s[10:11]
	s_cbranch_vccnz .LBB127_437
; %bb.422:
	s_cmp_lt_i32 s12, 2
	s_mov_b64 s[10:11], -1
	s_cbranch_scc1 .LBB127_432
; %bb.423:
	s_cmp_lt_i32 s12, 3
	s_cbranch_scc1 .LBB127_429
; %bb.424:
	s_cmp_gt_i32 s12, 3
	s_cbranch_scc0 .LBB127_426
; %bb.425:
	s_mov_b32 s10, 0
	v_cndmask_b32_e64 v2, 0, 1, s[8:9]
	v_mov_b32_e32 v3, s10
	s_mov_b64 s[10:11], 0
	global_store_dwordx2 v[0:1], v[2:3], off
.LBB127_426:
	s_andn2_b64 vcc, exec, s[10:11]
	s_cbranch_vccnz .LBB127_428
; %bb.427:
	v_cndmask_b32_e64 v2, 0, 1, s[8:9]
	global_store_dword v[0:1], v2, off
.LBB127_428:
	s_mov_b64 s[10:11], 0
.LBB127_429:
	s_andn2_b64 vcc, exec, s[10:11]
	s_cbranch_vccnz .LBB127_431
; %bb.430:
	v_cndmask_b32_e64 v2, 0, 1, s[8:9]
	global_store_short v[0:1], v2, off
.LBB127_431:
	s_mov_b64 s[10:11], 0
.LBB127_432:
	s_andn2_b64 vcc, exec, s[10:11]
	s_cbranch_vccnz .LBB127_437
; %bb.433:
	s_mov_b64 s[10:11], -1
	s_cmp_gt_i32 s12, 0
	v_cndmask_b32_e64 v2, 0, 1, s[8:9]
	s_cbranch_scc0 .LBB127_435
; %bb.434:
	s_mov_b64 s[10:11], 0
	global_store_byte v[0:1], v2, off
.LBB127_435:
	s_andn2_b64 vcc, exec, s[10:11]
	s_cbranch_vccnz .LBB127_437
; %bb.436:
	global_store_byte v[0:1], v2, off
.LBB127_437:
	s_mov_b64 s[10:11], -1
.LBB127_438:
	s_andn2_b64 vcc, exec, s[10:11]
	s_cbranch_vccnz .LBB127_440
; %bb.439:
	v_add_u32_e32 v7, 0x80, v7
	s_mov_b64 s[8:9], -1
	s_branch .LBB127_558
.LBB127_440:
	s_mov_b64 s[8:9], 0
	s_branch .LBB127_557
.LBB127_441:
	s_mov_b64 s[2:3], -1
                                        ; implicit-def: $vgpr0_vgpr1
.LBB127_442:
	v_mov_b32_e32 v2, 0
	v_mov_b32_e32 v3, 0
.LBB127_443:
	s_mov_b64 s[8:9], 0
.LBB127_444:
	s_and_b64 vcc, exec, s[8:9]
	s_cbranch_vccz .LBB127_449
; %bb.445:
	s_cmp_eq_u32 s12, 29
	s_cbranch_scc0 .LBB127_447
; %bb.446:
	global_load_dwordx2 v[0:1], v[5:6], off
	s_mov_b64 s[0:1], -1
	s_mov_b64 s[2:3], 0
	s_waitcnt vmcnt(0)
	v_cvt_f64_u32_e32 v[1:2], v1
	v_cvt_f64_u32_e32 v[8:9], v0
	v_ldexp_f64 v[1:2], v[1:2], 32
	v_add_f64 v[0:1], v[1:2], v[8:9]
	s_branch .LBB127_448
.LBB127_447:
	s_mov_b64 s[2:3], -1
                                        ; implicit-def: $vgpr0_vgpr1
.LBB127_448:
	v_mov_b32_e32 v2, 0
	v_mov_b32_e32 v3, 0
.LBB127_449:
	s_mov_b64 s[8:9], 0
.LBB127_450:
	s_and_b64 vcc, exec, s[8:9]
	s_cbranch_vccz .LBB127_470
; %bb.451:
	s_cmp_lt_i32 s12, 27
	s_cbranch_scc1 .LBB127_454
; %bb.452:
	s_cmp_gt_i32 s12, 27
	s_cbranch_scc0 .LBB127_455
; %bb.453:
	global_load_dword v0, v[5:6], off
	s_mov_b64 s[0:1], 0
	s_waitcnt vmcnt(0)
	v_cvt_f64_u32_e32 v[0:1], v0
	s_branch .LBB127_456
.LBB127_454:
	s_mov_b64 s[0:1], -1
                                        ; implicit-def: $vgpr0_vgpr1
	s_branch .LBB127_459
.LBB127_455:
	s_mov_b64 s[0:1], -1
                                        ; implicit-def: $vgpr0_vgpr1
.LBB127_456:
	s_andn2_b64 vcc, exec, s[0:1]
	s_cbranch_vccnz .LBB127_458
; %bb.457:
	global_load_ushort v0, v[5:6], off
	s_waitcnt vmcnt(0)
	v_cvt_f64_u32_e32 v[0:1], v0
.LBB127_458:
	s_mov_b64 s[0:1], 0
.LBB127_459:
	s_andn2_b64 vcc, exec, s[0:1]
	s_cbranch_vccnz .LBB127_469
; %bb.460:
	global_load_ubyte v2, v[5:6], off
	s_movk_i32 s0, 0x7f
	s_waitcnt vmcnt(0)
	v_cmp_lt_i16_e32 vcc, s0, v2
	s_mov_b64 s[0:1], 0
	s_and_saveexec_b64 s[8:9], vcc
	s_xor_b64 s[8:9], exec, s[8:9]
	s_cbranch_execz .LBB127_464
; %bb.461:
	s_movk_i32 s0, 0x80
	v_cmp_eq_u16_e32 vcc, s0, v2
	s_mov_b64 s[0:1], -1
	s_and_saveexec_b64 s[10:11], vcc
; %bb.462:
	s_xor_b64 s[0:1], exec, -1
; %bb.463:
	s_or_b64 exec, exec, s[10:11]
	s_and_b64 s[0:1], s[0:1], exec
.LBB127_464:
	s_or_saveexec_b64 s[8:9], s[8:9]
	v_bfrev_b32_e32 v0, 4
	v_mov_b32_e32 v1, 0x7ff80000
	s_xor_b64 exec, exec, s[8:9]
; %bb.465:
	v_cmp_ne_u16_e32 vcc, 0, v2
	v_mov_b32_e32 v0, 0
	s_andn2_b64 s[0:1], s[0:1], exec
	s_and_b64 s[10:11], vcc, exec
	v_mov_b32_e32 v1, 0
	s_or_b64 s[0:1], s[0:1], s[10:11]
; %bb.466:
	s_or_b64 exec, exec, s[8:9]
	s_and_saveexec_b64 s[8:9], s[0:1]
	s_cbranch_execz .LBB127_468
; %bb.467:
	v_and_b32_e32 v1, 0xffff, v2
	v_lshlrev_b32_e32 v0, 24, v2
	v_and_b32_e32 v2, 7, v1
	v_ffbh_u32_e32 v8, v2
	v_min_u32_e32 v8, 32, v8
	v_subrev_u32_e32 v9, 28, v8
	v_bfe_u32 v3, v1, 3, 4
	v_lshlrev_b32_e32 v1, v9, v1
	v_sub_u32_e32 v8, 29, v8
	v_and_b32_e32 v1, 7, v1
	v_cmp_eq_u32_e32 vcc, 0, v3
	v_cndmask_b32_e32 v3, v3, v8, vcc
	v_cndmask_b32_e32 v1, v2, v1, vcc
	v_mov_b32_e32 v2, 0x3b800000
	v_lshlrev_b32_e32 v1, 20, v1
	v_and_b32_e32 v0, 0x80000000, v0
	v_lshl_add_u32 v2, v3, 23, v2
	v_or3_b32 v0, v0, v2, v1
	v_cvt_f64_f32_e32 v[0:1], v0
.LBB127_468:
	s_or_b64 exec, exec, s[8:9]
.LBB127_469:
	v_mov_b32_e32 v2, 0
	v_mov_b32_e32 v3, 0
	s_mov_b64 s[0:1], -1
.LBB127_470:
	s_mov_b64 s[8:9], 0
.LBB127_471:
	s_and_b64 vcc, exec, s[8:9]
	s_cbranch_vccz .LBB127_505
; %bb.472:
	s_cmp_gt_i32 s12, 22
	s_cbranch_scc0 .LBB127_484
; %bb.473:
	s_cmp_lt_i32 s12, 24
	s_cbranch_scc1 .LBB127_485
; %bb.474:
	s_cmp_gt_i32 s12, 24
	s_cbranch_scc0 .LBB127_486
; %bb.475:
	global_load_ubyte v2, v[5:6], off
	s_movk_i32 s0, 0x7f
	s_waitcnt vmcnt(0)
	v_cmp_lt_i16_e32 vcc, s0, v2
	s_mov_b64 s[0:1], 0
	s_and_saveexec_b64 s[8:9], vcc
	s_xor_b64 s[8:9], exec, s[8:9]
	s_cbranch_execz .LBB127_479
; %bb.476:
	s_movk_i32 s0, 0x80
	v_cmp_eq_u16_e32 vcc, s0, v2
	s_mov_b64 s[0:1], -1
	s_and_saveexec_b64 s[10:11], vcc
; %bb.477:
	s_xor_b64 s[0:1], exec, -1
; %bb.478:
	s_or_b64 exec, exec, s[10:11]
	s_and_b64 s[0:1], s[0:1], exec
.LBB127_479:
	s_or_saveexec_b64 s[8:9], s[8:9]
	v_bfrev_b32_e32 v0, 4
	v_mov_b32_e32 v1, 0x7ff80000
	s_xor_b64 exec, exec, s[8:9]
; %bb.480:
	v_cmp_ne_u16_e32 vcc, 0, v2
	v_mov_b32_e32 v0, 0
	s_andn2_b64 s[0:1], s[0:1], exec
	s_and_b64 s[10:11], vcc, exec
	v_mov_b32_e32 v1, 0
	s_or_b64 s[0:1], s[0:1], s[10:11]
; %bb.481:
	s_or_b64 exec, exec, s[8:9]
	s_and_saveexec_b64 s[8:9], s[0:1]
	s_cbranch_execz .LBB127_483
; %bb.482:
	v_and_b32_e32 v1, 0xffff, v2
	v_lshlrev_b32_e32 v0, 24, v2
	v_and_b32_e32 v2, 3, v1
	v_ffbh_u32_e32 v8, v2
	v_min_u32_e32 v8, 32, v8
	v_subrev_u32_e32 v9, 29, v8
	v_bfe_u32 v3, v1, 2, 5
	v_lshlrev_b32_e32 v1, v9, v1
	v_sub_u32_e32 v8, 30, v8
	v_and_b32_e32 v1, 3, v1
	v_cmp_eq_u32_e32 vcc, 0, v3
	v_cndmask_b32_e32 v3, v3, v8, vcc
	v_cndmask_b32_e32 v1, v2, v1, vcc
	v_mov_b32_e32 v2, 0x37800000
	v_lshlrev_b32_e32 v1, 21, v1
	v_and_b32_e32 v0, 0x80000000, v0
	v_lshl_add_u32 v2, v3, 23, v2
	v_or3_b32 v0, v0, v2, v1
	v_cvt_f64_f32_e32 v[0:1], v0
.LBB127_483:
	s_or_b64 exec, exec, s[8:9]
	s_mov_b64 s[0:1], 0
	s_branch .LBB127_487
.LBB127_484:
	s_mov_b64 s[8:9], -1
                                        ; implicit-def: $vgpr0_vgpr1
	s_branch .LBB127_493
.LBB127_485:
	s_mov_b64 s[0:1], -1
                                        ; implicit-def: $vgpr0_vgpr1
	s_branch .LBB127_490
.LBB127_486:
	s_mov_b64 s[0:1], -1
                                        ; implicit-def: $vgpr0_vgpr1
.LBB127_487:
	s_and_b64 vcc, exec, s[0:1]
	s_cbranch_vccz .LBB127_489
; %bb.488:
	global_load_ubyte v0, v[5:6], off
	s_mov_b32 s0, 0x7f800000
	s_waitcnt vmcnt(0)
	v_lshlrev_b32_e32 v0, 24, v0
	v_and_b32_e32 v1, 0x7f000000, v0
	v_ffbh_u32_e32 v2, v1
	v_min_u32_e32 v2, 32, v2
	v_sub_u32_e64 v2, v2, 4 clamp
	v_lshlrev_b32_e32 v8, v2, v1
	v_lshlrev_b32_e32 v2, 23, v2
	v_lshrrev_b32_e32 v8, 4, v8
	v_add_u32_e32 v3, 0x1000000, v1
	v_sub_u32_e32 v2, v8, v2
	v_ashrrev_i32_e32 v3, 8, v3
	v_add_u32_e32 v2, 0x3c000000, v2
	v_and_or_b32 v2, v3, s0, v2
	v_cmp_ne_u32_e32 vcc, 0, v1
	v_cndmask_b32_e32 v1, 0, v2, vcc
	s_brev_b32 s0, 1
	v_and_or_b32 v0, v0, s0, v1
	v_cvt_f64_f32_e32 v[0:1], v0
.LBB127_489:
	s_mov_b64 s[0:1], 0
.LBB127_490:
	s_andn2_b64 vcc, exec, s[0:1]
	s_cbranch_vccnz .LBB127_492
; %bb.491:
	global_load_ubyte v0, v[5:6], off
	s_movk_i32 s0, 0x7f00
	s_brev_b32 s1, 16
	s_waitcnt vmcnt(0)
	v_lshlrev_b16_e32 v1, 8, v0
	v_lshlrev_b32_e32 v0, 25, v0
	v_lshrrev_b32_e32 v2, 4, v0
	v_and_or_b32 v3, v1, s0, 0.5
	v_or_b32_e32 v2, 0x70000000, v2
	v_add_f32_e32 v3, -0.5, v3
	v_mul_f32_e32 v2, 0x7800000, v2
	v_cmp_gt_u32_e32 vcc, s1, v0
	v_bfe_i32 v1, v1, 0, 16
	v_cndmask_b32_e32 v0, v2, v3, vcc
	s_brev_b32 s0, 1
	v_and_or_b32 v0, v1, s0, v0
	v_cvt_f64_f32_e32 v[0:1], v0
.LBB127_492:
	s_mov_b64 s[8:9], 0
	s_mov_b64 s[0:1], -1
.LBB127_493:
	s_andn2_b64 vcc, exec, s[8:9]
	s_cbranch_vccnz .LBB127_504
; %bb.494:
	s_cmp_gt_i32 s12, 14
	s_cbranch_scc0 .LBB127_497
; %bb.495:
	s_cmp_eq_u32 s12, 15
	s_cbranch_scc0 .LBB127_498
; %bb.496:
	global_load_ushort v0, v[5:6], off
	s_mov_b64 s[0:1], -1
	s_mov_b64 s[2:3], 0
	s_waitcnt vmcnt(0)
	v_lshlrev_b32_e32 v0, 16, v0
	v_cvt_f64_f32_e32 v[0:1], v0
	s_branch .LBB127_499
.LBB127_497:
	s_mov_b64 s[8:9], -1
                                        ; implicit-def: $vgpr0_vgpr1
	s_branch .LBB127_500
.LBB127_498:
	s_mov_b64 s[2:3], -1
                                        ; implicit-def: $vgpr0_vgpr1
.LBB127_499:
	s_mov_b64 s[8:9], 0
.LBB127_500:
	s_and_b64 vcc, exec, s[8:9]
	s_cbranch_vccz .LBB127_504
; %bb.501:
	s_cmp_eq_u32 s12, 11
	s_cbranch_scc0 .LBB127_503
; %bb.502:
	global_load_ubyte v1, v[5:6], off
	v_mov_b32_e32 v2, 0x3ff00000
	v_mov_b32_e32 v0, 0
	s_mov_b64 s[0:1], -1
	s_mov_b64 s[2:3], 0
	s_waitcnt vmcnt(0)
	v_cmp_ne_u16_e32 vcc, 0, v1
	v_cndmask_b32_e32 v1, 0, v2, vcc
	s_branch .LBB127_504
.LBB127_503:
	s_mov_b64 s[2:3], -1
                                        ; implicit-def: $vgpr0_vgpr1
.LBB127_504:
	v_mov_b32_e32 v2, 0
	v_mov_b32_e32 v3, 0
.LBB127_505:
	s_branch .LBB127_301
.LBB127_506:
	s_cmp_lt_i32 s12, 5
	s_cbranch_scc1 .LBB127_511
; %bb.507:
	s_cmp_lt_i32 s12, 8
	s_cbranch_scc1 .LBB127_512
; %bb.508:
	;; [unrolled: 3-line block ×3, first 2 shown]
	s_cmp_gt_i32 s12, 9
	s_cbranch_scc0 .LBB127_514
; %bb.510:
	global_load_dwordx4 v[0:3], v[5:6], off
	s_mov_b64 s[0:1], 0
	s_branch .LBB127_515
.LBB127_511:
	s_mov_b64 s[0:1], -1
                                        ; implicit-def: $vgpr2_vgpr3
	s_branch .LBB127_534
.LBB127_512:
	s_mov_b64 s[0:1], -1
                                        ; implicit-def: $vgpr2_vgpr3
	s_branch .LBB127_521
.LBB127_513:
	s_mov_b64 s[0:1], -1
                                        ; implicit-def: $vgpr2_vgpr3
	s_branch .LBB127_518
.LBB127_514:
	s_mov_b64 s[0:1], -1
                                        ; implicit-def: $vgpr2_vgpr3
.LBB127_515:
	s_andn2_b64 vcc, exec, s[0:1]
	s_cbranch_vccnz .LBB127_517
; %bb.516:
	global_load_dwordx2 v[1:2], v[5:6], off
	s_waitcnt vmcnt(0)
	v_cvt_f64_f32_e32 v[0:1], v1
	v_cvt_f64_f32_e32 v[2:3], v2
.LBB127_517:
	s_mov_b64 s[0:1], 0
.LBB127_518:
	s_andn2_b64 vcc, exec, s[0:1]
	s_cbranch_vccnz .LBB127_520
; %bb.519:
	global_load_dword v0, v[5:6], off
	s_waitcnt vmcnt(0)
	v_cvt_f32_f16_e32 v1, v0
	v_cvt_f32_f16_sdwa v2, v0 dst_sel:DWORD dst_unused:UNUSED_PAD src0_sel:WORD_1
	v_cvt_f64_f32_e32 v[0:1], v1
	v_cvt_f64_f32_e32 v[2:3], v2
.LBB127_520:
	s_mov_b64 s[0:1], 0
.LBB127_521:
	s_andn2_b64 vcc, exec, s[0:1]
	s_cbranch_vccnz .LBB127_533
; %bb.522:
	s_cmp_lt_i32 s12, 6
	s_cbranch_scc1 .LBB127_525
; %bb.523:
	s_cmp_gt_i32 s12, 6
	s_cbranch_scc0 .LBB127_526
; %bb.524:
	global_load_dwordx2 v[0:1], v[5:6], off
	s_mov_b64 s[0:1], 0
	s_branch .LBB127_527
.LBB127_525:
	s_mov_b64 s[0:1], -1
                                        ; implicit-def: $vgpr0_vgpr1
	s_branch .LBB127_530
.LBB127_526:
	s_mov_b64 s[0:1], -1
                                        ; implicit-def: $vgpr0_vgpr1
.LBB127_527:
	s_andn2_b64 vcc, exec, s[0:1]
	s_cbranch_vccnz .LBB127_529
; %bb.528:
	global_load_dword v0, v[5:6], off
	s_waitcnt vmcnt(0)
	v_cvt_f64_f32_e32 v[0:1], v0
.LBB127_529:
	s_mov_b64 s[0:1], 0
.LBB127_530:
	s_andn2_b64 vcc, exec, s[0:1]
	s_cbranch_vccnz .LBB127_532
; %bb.531:
	global_load_ushort v0, v[5:6], off
	s_waitcnt vmcnt(0)
	v_cvt_f32_f16_e32 v0, v0
	v_cvt_f64_f32_e32 v[0:1], v0
.LBB127_532:
	s_waitcnt vmcnt(0)
	v_mov_b32_e32 v2, 0
	v_mov_b32_e32 v3, 0
.LBB127_533:
	s_mov_b64 s[0:1], 0
.LBB127_534:
	s_andn2_b64 vcc, exec, s[0:1]
	s_cbranch_vccnz .LBB127_555
; %bb.535:
	s_cmp_lt_i32 s12, 2
	s_cbranch_scc1 .LBB127_539
; %bb.536:
	s_cmp_lt_i32 s12, 3
	s_cbranch_scc1 .LBB127_540
; %bb.537:
	s_cmp_gt_i32 s12, 3
	s_cbranch_scc0 .LBB127_541
; %bb.538:
	global_load_dwordx2 v[0:1], v[5:6], off
	s_mov_b64 s[0:1], 0
	s_waitcnt vmcnt(0)
	v_cvt_f64_i32_e32 v[1:2], v1
	v_cvt_f64_u32_e32 v[8:9], v0
	v_ldexp_f64 v[1:2], v[1:2], 32
	v_add_f64 v[0:1], v[1:2], v[8:9]
	s_branch .LBB127_542
.LBB127_539:
	s_mov_b64 s[0:1], -1
                                        ; implicit-def: $vgpr0_vgpr1
	s_branch .LBB127_548
.LBB127_540:
	s_mov_b64 s[0:1], -1
                                        ; implicit-def: $vgpr0_vgpr1
	s_branch .LBB127_545
.LBB127_541:
	s_mov_b64 s[0:1], -1
                                        ; implicit-def: $vgpr0_vgpr1
.LBB127_542:
	s_andn2_b64 vcc, exec, s[0:1]
	s_cbranch_vccnz .LBB127_544
; %bb.543:
	global_load_dword v0, v[5:6], off
	s_waitcnt vmcnt(0)
	v_cvt_f64_i32_e32 v[0:1], v0
.LBB127_544:
	s_mov_b64 s[0:1], 0
.LBB127_545:
	s_andn2_b64 vcc, exec, s[0:1]
	s_cbranch_vccnz .LBB127_547
; %bb.546:
	global_load_sshort v0, v[5:6], off
	s_waitcnt vmcnt(0)
	v_cvt_f64_i32_e32 v[0:1], v0
.LBB127_547:
	s_mov_b64 s[0:1], 0
.LBB127_548:
	s_andn2_b64 vcc, exec, s[0:1]
	s_cbranch_vccnz .LBB127_554
; %bb.549:
	s_cmp_gt_i32 s12, 0
	s_cbranch_scc0 .LBB127_551
; %bb.550:
	global_load_sbyte v0, v[5:6], off
	s_mov_b64 s[0:1], 0
	s_waitcnt vmcnt(0)
	v_cvt_f64_i32_e32 v[0:1], v0
	s_branch .LBB127_552
.LBB127_551:
	s_mov_b64 s[0:1], -1
                                        ; implicit-def: $vgpr0_vgpr1
.LBB127_552:
	s_andn2_b64 vcc, exec, s[0:1]
	s_cbranch_vccnz .LBB127_554
; %bb.553:
	global_load_ubyte v0, v[5:6], off
	s_waitcnt vmcnt(0)
	v_cvt_f64_u32_e32 v[0:1], v0
.LBB127_554:
	s_waitcnt vmcnt(0)
	v_mov_b32_e32 v2, 0
	v_mov_b32_e32 v3, 0
.LBB127_555:
	s_branch .LBB127_302
.LBB127_556:
	s_mov_b64 s[8:9], 0
	s_mov_b64 s[0:1], s[58:59]
.LBB127_557:
                                        ; implicit-def: $vgpr7
.LBB127_558:
	s_andn2_b64 s[10:11], s[58:59], exec
	s_and_b64 s[0:1], s[0:1], exec
	s_or_b64 s[66:67], s[10:11], s[0:1]
	s_andn2_b64 s[0:1], s[60:61], exec
	s_and_b64 s[2:3], s[2:3], exec
	s_or_b64 s[64:65], s[0:1], s[2:3]
	s_orn2_b64 s[0:1], s[8:9], exec
.LBB127_559:
	s_or_b64 exec, exec, s[68:69]
	s_mov_b64 s[2:3], 0
	s_mov_b64 s[8:9], 0
	;; [unrolled: 1-line block ×3, first 2 shown]
                                        ; implicit-def: $vgpr5_vgpr6
                                        ; implicit-def: $vgpr4
                                        ; implicit-def: $vgpr2_vgpr3
	s_and_saveexec_b64 s[68:69], s[0:1]
	s_cbranch_execz .LBB127_947
; %bb.560:
	v_cmp_gt_i32_e32 vcc, s76, v7
	s_mov_b64 s[2:3], -1
	s_mov_b64 s[72:73], s[64:65]
	s_mov_b64 s[74:75], s[66:67]
	s_and_saveexec_b64 s[70:71], vcc
	s_cbranch_execz .LBB127_844
; %bb.561:
	s_andn2_b64 vcc, exec, s[44:45]
	s_cbranch_vccnz .LBB127_566
; %bb.562:
	s_andn2_b64 vcc, exec, s[56:57]
	s_cbranch_vccnz .LBB127_567
; %bb.563:
	s_add_i32 s82, s81, 1
	s_cmp_eq_u32 s78, 2
	s_cbranch_scc1 .LBB127_568
; %bb.564:
	s_and_b32 s77, s82, 28
	s_waitcnt vmcnt(0)
	v_mov_b32_e32 v0, 0
	s_mov_b32 s83, 0
	s_mov_b64 s[72:73], s[34:35]
	s_mov_b64 s[74:75], s[54:55]
	v_mov_b32_e32 v4, 0
	v_mov_b32_e32 v1, v7
.LBB127_565:                            ; =>This Inner Loop Header: Depth=1
	s_load_dwordx8 s[16:23], s[72:73], 0x4
	s_load_dwordx4 s[0:3], s[72:73], 0x24
	s_load_dwordx8 s[8:15], s[74:75], 0x0
	s_add_u32 s72, s72, 48
	s_addc_u32 s73, s73, 0
	s_waitcnt lgkmcnt(0)
	v_mul_hi_u32 v2, s17, v1
	s_add_i32 s83, s83, 4
	s_add_u32 s74, s74, 32
	s_addc_u32 s75, s75, 0
	v_add_u32_e32 v2, v1, v2
	v_lshrrev_b32_e32 v2, s18, v2
	v_mul_lo_u32 v3, v2, s16
	v_mul_hi_u32 v5, s20, v2
	s_cmp_eq_u32 s77, s83
	v_sub_u32_e32 v1, v1, v3
	v_add_u32_e32 v3, v2, v5
	v_mul_lo_u32 v5, v1, s8
	v_mul_lo_u32 v6, v1, s9
	v_lshrrev_b32_e32 v1, s21, v3
	v_mul_lo_u32 v3, v1, s19
	v_mul_hi_u32 v8, s23, v1
	v_sub_u32_e32 v2, v2, v3
	v_add_u32_e32 v3, v1, v8
	v_lshrrev_b32_e32 v3, s0, v3
	v_mul_hi_u32 v9, s2, v3
	v_mul_lo_u32 v10, v3, s22
	v_mul_lo_u32 v8, v2, s10
	;; [unrolled: 1-line block ×3, first 2 shown]
	v_sub_u32_e32 v10, v1, v10
	v_add_u32_e32 v1, v3, v9
	v_lshrrev_b32_e32 v1, s3, v1
	v_mul_lo_u32 v9, v1, s1
	v_mul_lo_u32 v11, v10, s12
	;; [unrolled: 1-line block ×3, first 2 shown]
	v_add3_u32 v4, v5, v4, v8
	v_sub_u32_e32 v3, v3, v9
	v_mul_lo_u32 v9, v3, s14
	v_mul_lo_u32 v3, v3, s15
	v_add3_u32 v0, v6, v0, v2
	v_add3_u32 v4, v11, v4, v9
	;; [unrolled: 1-line block ×3, first 2 shown]
	s_cbranch_scc0 .LBB127_565
	s_branch .LBB127_569
.LBB127_566:
	s_mov_b64 s[0:1], -1
                                        ; implicit-def: $vgpr4
                                        ; implicit-def: $vgpr0
	s_branch .LBB127_573
.LBB127_567:
	v_mov_b32_e32 v4, 0
	s_waitcnt vmcnt(0)
	v_mov_b32_e32 v0, 0
	s_branch .LBB127_572
.LBB127_568:
	s_mov_b32 s77, 0
	v_mov_b32_e32 v4, 0
	s_waitcnt vmcnt(0)
	v_mov_b32_e32 v0, 0
	v_mov_b32_e32 v1, v7
.LBB127_569:
	s_and_b32 s8, s82, 3
	s_cmp_eq_u32 s8, 0
	s_cbranch_scc1 .LBB127_572
; %bb.570:
	s_lshl_b32 s0, s77, 3
	s_add_u32 s0, s34, s0
	s_addc_u32 s1, s35, 0
	s_add_u32 s0, s0, 0xc4
	s_addc_u32 s1, s1, 0
	s_mul_i32 s2, s77, 12
	s_add_u32 s2, s34, s2
	s_addc_u32 s3, s35, 0
.LBB127_571:                            ; =>This Inner Loop Header: Depth=1
	s_load_dwordx2 s[10:11], s[2:3], 0x4
	s_load_dword s9, s[2:3], 0xc
	s_load_dwordx2 s[12:13], s[0:1], 0x0
	s_add_u32 s2, s2, 12
	s_addc_u32 s3, s3, 0
	s_waitcnt lgkmcnt(0)
	v_mul_hi_u32 v2, s11, v1
	s_add_u32 s0, s0, 8
	s_addc_u32 s1, s1, 0
	s_add_i32 s8, s8, -1
	v_add_u32_e32 v2, v1, v2
	v_lshrrev_b32_e32 v2, s9, v2
	v_mul_lo_u32 v3, v2, s10
	s_cmp_lg_u32 s8, 0
	v_sub_u32_e32 v1, v1, v3
	v_mad_u64_u32 v[4:5], s[10:11], v1, s12, v[4:5]
	v_mad_u64_u32 v[0:1], s[10:11], v1, s13, v[0:1]
	v_mov_b32_e32 v1, v2
	s_cbranch_scc1 .LBB127_571
.LBB127_572:
	s_mov_b64 s[0:1], 0
.LBB127_573:
	s_andn2_b64 vcc, exec, s[0:1]
	s_cbranch_vccnz .LBB127_576
; %bb.574:
	s_waitcnt vmcnt(0)
	v_mul_hi_u32 v0, s37, v7
	s_andn2_b64 vcc, exec, s[52:53]
	v_add_u32_e32 v0, v7, v0
	v_lshrrev_b32_e32 v1, s38, v0
	v_mul_lo_u32 v0, v1, s36
	v_sub_u32_e32 v0, v7, v0
	v_mul_lo_u32 v4, v0, s40
	v_mul_lo_u32 v0, v0, s41
	s_cbranch_vccnz .LBB127_576
; %bb.575:
	v_mul_hi_u32 v2, s50, v1
	v_add_u32_e32 v2, v1, v2
	v_lshrrev_b32_e32 v2, s51, v2
	v_mul_lo_u32 v2, v2, s39
	v_sub_u32_e32 v1, v1, v2
	v_mad_u64_u32 v[4:5], s[0:1], v1, s42, v[4:5]
	v_mad_u64_u32 v[0:1], s[0:1], v1, s43, v[0:1]
.LBB127_576:
	s_waitcnt vmcnt(0)
	v_mov_b32_e32 v1, s27
	s_and_b32 s12, 0xffff, s80
	v_add_co_u32_e32 v5, vcc, s26, v0
	s_cmp_lt_i32 s12, 11
	v_addc_co_u32_e32 v6, vcc, 0, v1, vcc
	s_cbranch_scc1 .LBB127_583
; %bb.577:
	s_cmp_gt_i32 s12, 25
	s_cbranch_scc0 .LBB127_584
; %bb.578:
	s_cmp_gt_i32 s12, 28
	s_cbranch_scc0 .LBB127_585
	;; [unrolled: 3-line block ×4, first 2 shown]
; %bb.581:
	s_cmp_eq_u32 s12, 46
	s_mov_b64 s[8:9], 0
	s_cbranch_scc0 .LBB127_592
; %bb.582:
	global_load_dword v0, v[5:6], off
	s_mov_b64 s[0:1], -1
	s_mov_b64 s[2:3], 0
	s_waitcnt vmcnt(0)
	v_and_b32_e32 v2, 0xffff0000, v0
	v_lshlrev_b32_e32 v0, 16, v0
	v_cvt_f64_f32_e32 v[0:1], v0
	v_cvt_f64_f32_e32 v[2:3], v2
	s_branch .LBB127_593
.LBB127_583:
	s_mov_b64 s[8:9], -1
	s_mov_b64 s[0:1], 0
                                        ; implicit-def: $vgpr2_vgpr3
	s_mov_b64 s[2:3], s[64:65]
	s_branch .LBB127_661
.LBB127_584:
	s_mov_b64 s[8:9], -1
	s_mov_b64 s[0:1], 0
	s_mov_b64 s[2:3], s[64:65]
                                        ; implicit-def: $vgpr2_vgpr3
	s_branch .LBB127_626
.LBB127_585:
	s_mov_b64 s[8:9], -1
	s_mov_b64 s[0:1], 0
	s_mov_b64 s[2:3], s[64:65]
                                        ; implicit-def: $vgpr2_vgpr3
	s_branch .LBB127_605
.LBB127_586:
	s_mov_b64 s[8:9], -1
	s_mov_b64 s[0:1], 0
	s_mov_b64 s[2:3], s[64:65]
                                        ; implicit-def: $vgpr2_vgpr3
	s_branch .LBB127_599
.LBB127_587:
	s_andn2_saveexec_b64 s[14:15], s[14:15]
	s_cbranch_execz .LBB127_351
.LBB127_588:
	v_add_f32_e32 v2, 0x46000000, v3
	v_and_b32_e32 v2, 0xff, v2
	v_cmp_ne_u32_e32 vcc, 0, v2
	s_andn2_b64 s[12:13], s[12:13], exec
	s_and_b64 s[18:19], vcc, exec
	s_or_b64 s[12:13], s[12:13], s[18:19]
	s_or_b64 exec, exec, s[14:15]
	v_mov_b32_e32 v4, 0
	s_and_saveexec_b64 s[14:15], s[12:13]
	s_cbranch_execnz .LBB127_352
	s_branch .LBB127_353
.LBB127_589:
	s_mov_b64 s[8:9], -1
	s_mov_b64 s[0:1], 0
	s_mov_b64 s[2:3], s[64:65]
                                        ; implicit-def: $vgpr2_vgpr3
	s_branch .LBB127_593
.LBB127_590:
	s_andn2_saveexec_b64 s[14:15], s[14:15]
	s_cbranch_execz .LBB127_364
.LBB127_591:
	v_add_f32_e32 v2, 0x42800000, v3
	v_and_b32_e32 v2, 0xff, v2
	v_cmp_ne_u32_e32 vcc, 0, v2
	s_andn2_b64 s[12:13], s[12:13], exec
	s_and_b64 s[18:19], vcc, exec
	s_or_b64 s[12:13], s[12:13], s[18:19]
	s_or_b64 exec, exec, s[14:15]
	v_mov_b32_e32 v4, 0
	s_and_saveexec_b64 s[14:15], s[12:13]
	s_cbranch_execnz .LBB127_365
	s_branch .LBB127_366
.LBB127_592:
	s_mov_b64 s[2:3], -1
                                        ; implicit-def: $vgpr2_vgpr3
	s_mov_b64 s[0:1], 0
.LBB127_593:
	s_and_b64 vcc, exec, s[8:9]
	s_cbranch_vccz .LBB127_598
; %bb.594:
	s_cmp_eq_u32 s12, 44
	s_cbranch_scc0 .LBB127_596
; %bb.595:
	global_load_ubyte v2, v[5:6], off
	s_movk_i32 s2, 0xff
	v_bfrev_b32_e32 v3, 4
	v_mov_b32_e32 v8, 0x7ff80000
	v_bfrev_b32_e32 v9, 28
	s_mov_b64 s[0:1], -1
	s_waitcnt vmcnt(0)
	v_lshlrev_b32_e32 v0, 23, v2
	v_cvt_f64_f32_e32 v[0:1], v0
	v_cmp_ne_u32_e32 vcc, s2, v2
	s_mov_b64 s[2:3], 0
	v_cndmask_b32_e32 v0, v3, v0, vcc
	v_cndmask_b32_e32 v1, v8, v1, vcc
	v_cmp_ne_u32_e32 vcc, 0, v2
	v_cndmask_b32_e32 v1, v9, v1, vcc
	v_cndmask_b32_e32 v0, 0, v0, vcc
	s_branch .LBB127_597
.LBB127_596:
	s_mov_b64 s[2:3], -1
                                        ; implicit-def: $vgpr0_vgpr1
.LBB127_597:
	v_mov_b32_e32 v2, 0
	v_mov_b32_e32 v3, 0
.LBB127_598:
	s_mov_b64 s[8:9], 0
.LBB127_599:
	s_and_b64 vcc, exec, s[8:9]
	s_cbranch_vccz .LBB127_604
; %bb.600:
	s_cmp_eq_u32 s12, 29
	s_cbranch_scc0 .LBB127_602
; %bb.601:
	global_load_dwordx2 v[0:1], v[5:6], off
	s_mov_b64 s[0:1], -1
	s_mov_b64 s[2:3], 0
	s_waitcnt vmcnt(0)
	v_cvt_f64_u32_e32 v[1:2], v1
	v_cvt_f64_u32_e32 v[8:9], v0
	v_ldexp_f64 v[1:2], v[1:2], 32
	v_add_f64 v[0:1], v[1:2], v[8:9]
	s_branch .LBB127_603
.LBB127_602:
	s_mov_b64 s[2:3], -1
                                        ; implicit-def: $vgpr0_vgpr1
.LBB127_603:
	v_mov_b32_e32 v2, 0
	v_mov_b32_e32 v3, 0
.LBB127_604:
	s_mov_b64 s[8:9], 0
.LBB127_605:
	s_and_b64 vcc, exec, s[8:9]
	s_cbranch_vccz .LBB127_625
; %bb.606:
	s_cmp_lt_i32 s12, 27
	s_cbranch_scc1 .LBB127_609
; %bb.607:
	s_cmp_gt_i32 s12, 27
	s_cbranch_scc0 .LBB127_610
; %bb.608:
	global_load_dword v0, v[5:6], off
	s_mov_b64 s[0:1], 0
	s_waitcnt vmcnt(0)
	v_cvt_f64_u32_e32 v[0:1], v0
	s_branch .LBB127_611
.LBB127_609:
	s_mov_b64 s[0:1], -1
                                        ; implicit-def: $vgpr0_vgpr1
	s_branch .LBB127_614
.LBB127_610:
	s_mov_b64 s[0:1], -1
                                        ; implicit-def: $vgpr0_vgpr1
.LBB127_611:
	s_andn2_b64 vcc, exec, s[0:1]
	s_cbranch_vccnz .LBB127_613
; %bb.612:
	global_load_ushort v0, v[5:6], off
	s_waitcnt vmcnt(0)
	v_cvt_f64_u32_e32 v[0:1], v0
.LBB127_613:
	s_mov_b64 s[0:1], 0
.LBB127_614:
	s_andn2_b64 vcc, exec, s[0:1]
	s_cbranch_vccnz .LBB127_624
; %bb.615:
	global_load_ubyte v2, v[5:6], off
	s_movk_i32 s0, 0x7f
	s_waitcnt vmcnt(0)
	v_cmp_lt_i16_e32 vcc, s0, v2
	s_mov_b64 s[0:1], 0
	s_and_saveexec_b64 s[8:9], vcc
	s_xor_b64 s[8:9], exec, s[8:9]
	s_cbranch_execz .LBB127_619
; %bb.616:
	s_movk_i32 s0, 0x80
	v_cmp_eq_u16_e32 vcc, s0, v2
	s_mov_b64 s[0:1], -1
	s_and_saveexec_b64 s[10:11], vcc
; %bb.617:
	s_xor_b64 s[0:1], exec, -1
; %bb.618:
	s_or_b64 exec, exec, s[10:11]
	s_and_b64 s[0:1], s[0:1], exec
.LBB127_619:
	s_or_saveexec_b64 s[8:9], s[8:9]
	v_bfrev_b32_e32 v0, 4
	v_mov_b32_e32 v1, 0x7ff80000
	s_xor_b64 exec, exec, s[8:9]
; %bb.620:
	v_cmp_ne_u16_e32 vcc, 0, v2
	v_mov_b32_e32 v0, 0
	s_andn2_b64 s[0:1], s[0:1], exec
	s_and_b64 s[10:11], vcc, exec
	v_mov_b32_e32 v1, 0
	s_or_b64 s[0:1], s[0:1], s[10:11]
; %bb.621:
	s_or_b64 exec, exec, s[8:9]
	s_and_saveexec_b64 s[8:9], s[0:1]
	s_cbranch_execz .LBB127_623
; %bb.622:
	v_and_b32_e32 v1, 0xffff, v2
	v_lshlrev_b32_e32 v0, 24, v2
	v_and_b32_e32 v2, 7, v1
	v_ffbh_u32_e32 v8, v2
	v_min_u32_e32 v8, 32, v8
	v_subrev_u32_e32 v9, 28, v8
	v_bfe_u32 v3, v1, 3, 4
	v_lshlrev_b32_e32 v1, v9, v1
	v_sub_u32_e32 v8, 29, v8
	v_and_b32_e32 v1, 7, v1
	v_cmp_eq_u32_e32 vcc, 0, v3
	v_cndmask_b32_e32 v3, v3, v8, vcc
	v_cndmask_b32_e32 v1, v2, v1, vcc
	v_mov_b32_e32 v2, 0x3b800000
	v_lshlrev_b32_e32 v1, 20, v1
	v_and_b32_e32 v0, 0x80000000, v0
	v_lshl_add_u32 v2, v3, 23, v2
	v_or3_b32 v0, v0, v2, v1
	v_cvt_f64_f32_e32 v[0:1], v0
.LBB127_623:
	s_or_b64 exec, exec, s[8:9]
.LBB127_624:
	v_mov_b32_e32 v2, 0
	v_mov_b32_e32 v3, 0
	s_mov_b64 s[0:1], -1
.LBB127_625:
	s_mov_b64 s[8:9], 0
.LBB127_626:
	s_and_b64 vcc, exec, s[8:9]
	s_cbranch_vccz .LBB127_660
; %bb.627:
	s_cmp_gt_i32 s12, 22
	s_cbranch_scc0 .LBB127_639
; %bb.628:
	s_cmp_lt_i32 s12, 24
	s_cbranch_scc1 .LBB127_640
; %bb.629:
	s_cmp_gt_i32 s12, 24
	s_cbranch_scc0 .LBB127_641
; %bb.630:
	global_load_ubyte v2, v[5:6], off
	s_movk_i32 s0, 0x7f
	s_waitcnt vmcnt(0)
	v_cmp_lt_i16_e32 vcc, s0, v2
	s_mov_b64 s[0:1], 0
	s_and_saveexec_b64 s[8:9], vcc
	s_xor_b64 s[8:9], exec, s[8:9]
	s_cbranch_execz .LBB127_634
; %bb.631:
	s_movk_i32 s0, 0x80
	v_cmp_eq_u16_e32 vcc, s0, v2
	s_mov_b64 s[0:1], -1
	s_and_saveexec_b64 s[10:11], vcc
; %bb.632:
	s_xor_b64 s[0:1], exec, -1
; %bb.633:
	s_or_b64 exec, exec, s[10:11]
	s_and_b64 s[0:1], s[0:1], exec
.LBB127_634:
	s_or_saveexec_b64 s[8:9], s[8:9]
	v_bfrev_b32_e32 v0, 4
	v_mov_b32_e32 v1, 0x7ff80000
	s_xor_b64 exec, exec, s[8:9]
; %bb.635:
	v_cmp_ne_u16_e32 vcc, 0, v2
	v_mov_b32_e32 v0, 0
	s_andn2_b64 s[0:1], s[0:1], exec
	s_and_b64 s[10:11], vcc, exec
	v_mov_b32_e32 v1, 0
	s_or_b64 s[0:1], s[0:1], s[10:11]
; %bb.636:
	s_or_b64 exec, exec, s[8:9]
	s_and_saveexec_b64 s[8:9], s[0:1]
	s_cbranch_execz .LBB127_638
; %bb.637:
	v_and_b32_e32 v1, 0xffff, v2
	v_lshlrev_b32_e32 v0, 24, v2
	v_and_b32_e32 v2, 3, v1
	v_ffbh_u32_e32 v8, v2
	v_min_u32_e32 v8, 32, v8
	v_subrev_u32_e32 v9, 29, v8
	v_bfe_u32 v3, v1, 2, 5
	v_lshlrev_b32_e32 v1, v9, v1
	v_sub_u32_e32 v8, 30, v8
	v_and_b32_e32 v1, 3, v1
	v_cmp_eq_u32_e32 vcc, 0, v3
	v_cndmask_b32_e32 v3, v3, v8, vcc
	v_cndmask_b32_e32 v1, v2, v1, vcc
	v_mov_b32_e32 v2, 0x37800000
	v_lshlrev_b32_e32 v1, 21, v1
	v_and_b32_e32 v0, 0x80000000, v0
	v_lshl_add_u32 v2, v3, 23, v2
	v_or3_b32 v0, v0, v2, v1
	v_cvt_f64_f32_e32 v[0:1], v0
.LBB127_638:
	s_or_b64 exec, exec, s[8:9]
	s_mov_b64 s[0:1], 0
	s_branch .LBB127_642
.LBB127_639:
	s_mov_b64 s[8:9], -1
                                        ; implicit-def: $vgpr0_vgpr1
	s_branch .LBB127_648
.LBB127_640:
	s_mov_b64 s[0:1], -1
                                        ; implicit-def: $vgpr0_vgpr1
	s_branch .LBB127_645
.LBB127_641:
	s_mov_b64 s[0:1], -1
                                        ; implicit-def: $vgpr0_vgpr1
.LBB127_642:
	s_and_b64 vcc, exec, s[0:1]
	s_cbranch_vccz .LBB127_644
; %bb.643:
	global_load_ubyte v0, v[5:6], off
	s_mov_b32 s0, 0x7f800000
	s_waitcnt vmcnt(0)
	v_lshlrev_b32_e32 v0, 24, v0
	v_and_b32_e32 v1, 0x7f000000, v0
	v_ffbh_u32_e32 v2, v1
	v_min_u32_e32 v2, 32, v2
	v_sub_u32_e64 v2, v2, 4 clamp
	v_lshlrev_b32_e32 v8, v2, v1
	v_lshlrev_b32_e32 v2, 23, v2
	v_lshrrev_b32_e32 v8, 4, v8
	v_add_u32_e32 v3, 0x1000000, v1
	v_sub_u32_e32 v2, v8, v2
	v_ashrrev_i32_e32 v3, 8, v3
	v_add_u32_e32 v2, 0x3c000000, v2
	v_and_or_b32 v2, v3, s0, v2
	v_cmp_ne_u32_e32 vcc, 0, v1
	v_cndmask_b32_e32 v1, 0, v2, vcc
	s_brev_b32 s0, 1
	v_and_or_b32 v0, v0, s0, v1
	v_cvt_f64_f32_e32 v[0:1], v0
.LBB127_644:
	s_mov_b64 s[0:1], 0
.LBB127_645:
	s_andn2_b64 vcc, exec, s[0:1]
	s_cbranch_vccnz .LBB127_647
; %bb.646:
	global_load_ubyte v0, v[5:6], off
	s_movk_i32 s0, 0x7f00
	s_brev_b32 s1, 16
	s_waitcnt vmcnt(0)
	v_lshlrev_b16_e32 v1, 8, v0
	v_lshlrev_b32_e32 v0, 25, v0
	v_lshrrev_b32_e32 v2, 4, v0
	v_and_or_b32 v3, v1, s0, 0.5
	v_or_b32_e32 v2, 0x70000000, v2
	v_add_f32_e32 v3, -0.5, v3
	v_mul_f32_e32 v2, 0x7800000, v2
	v_cmp_gt_u32_e32 vcc, s1, v0
	v_bfe_i32 v1, v1, 0, 16
	v_cndmask_b32_e32 v0, v2, v3, vcc
	s_brev_b32 s0, 1
	v_and_or_b32 v0, v1, s0, v0
	v_cvt_f64_f32_e32 v[0:1], v0
.LBB127_647:
	s_mov_b64 s[8:9], 0
	s_mov_b64 s[0:1], -1
.LBB127_648:
	s_andn2_b64 vcc, exec, s[8:9]
	s_cbranch_vccnz .LBB127_659
; %bb.649:
	s_cmp_gt_i32 s12, 14
	s_cbranch_scc0 .LBB127_652
; %bb.650:
	s_cmp_eq_u32 s12, 15
	s_cbranch_scc0 .LBB127_653
; %bb.651:
	global_load_ushort v0, v[5:6], off
	s_mov_b64 s[0:1], -1
	s_mov_b64 s[2:3], 0
	s_waitcnt vmcnt(0)
	v_lshlrev_b32_e32 v0, 16, v0
	v_cvt_f64_f32_e32 v[0:1], v0
	s_branch .LBB127_654
.LBB127_652:
	s_mov_b64 s[8:9], -1
                                        ; implicit-def: $vgpr0_vgpr1
	s_branch .LBB127_655
.LBB127_653:
	s_mov_b64 s[2:3], -1
                                        ; implicit-def: $vgpr0_vgpr1
.LBB127_654:
	s_mov_b64 s[8:9], 0
.LBB127_655:
	s_and_b64 vcc, exec, s[8:9]
	s_cbranch_vccz .LBB127_659
; %bb.656:
	s_cmp_eq_u32 s12, 11
	s_cbranch_scc0 .LBB127_658
; %bb.657:
	global_load_ubyte v1, v[5:6], off
	v_mov_b32_e32 v2, 0x3ff00000
	v_mov_b32_e32 v0, 0
	s_mov_b64 s[0:1], -1
	s_mov_b64 s[2:3], 0
	s_waitcnt vmcnt(0)
	v_cmp_ne_u16_e32 vcc, 0, v1
	v_cndmask_b32_e32 v1, 0, v2, vcc
	s_branch .LBB127_659
.LBB127_658:
	s_mov_b64 s[2:3], -1
                                        ; implicit-def: $vgpr0_vgpr1
.LBB127_659:
	v_mov_b32_e32 v2, 0
	v_mov_b32_e32 v3, 0
.LBB127_660:
	s_mov_b64 s[8:9], 0
.LBB127_661:
	s_and_b64 vcc, exec, s[8:9]
	s_cbranch_vccz .LBB127_712
; %bb.662:
	s_cmp_lt_i32 s12, 5
	s_cbranch_scc1 .LBB127_667
; %bb.663:
	s_cmp_lt_i32 s12, 8
	s_cbranch_scc1 .LBB127_668
	;; [unrolled: 3-line block ×3, first 2 shown]
; %bb.665:
	s_cmp_gt_i32 s12, 9
	s_cbranch_scc0 .LBB127_670
; %bb.666:
	global_load_dwordx4 v[0:3], v[5:6], off
	s_mov_b64 s[0:1], 0
	s_branch .LBB127_671
.LBB127_667:
	s_mov_b64 s[0:1], -1
                                        ; implicit-def: $vgpr2_vgpr3
	s_branch .LBB127_690
.LBB127_668:
	s_mov_b64 s[0:1], -1
                                        ; implicit-def: $vgpr2_vgpr3
	s_branch .LBB127_677
.LBB127_669:
	s_mov_b64 s[0:1], -1
                                        ; implicit-def: $vgpr2_vgpr3
	s_branch .LBB127_674
.LBB127_670:
	s_mov_b64 s[0:1], -1
                                        ; implicit-def: $vgpr2_vgpr3
.LBB127_671:
	s_andn2_b64 vcc, exec, s[0:1]
	s_cbranch_vccnz .LBB127_673
; %bb.672:
	global_load_dwordx2 v[1:2], v[5:6], off
	s_waitcnt vmcnt(0)
	v_cvt_f64_f32_e32 v[0:1], v1
	v_cvt_f64_f32_e32 v[2:3], v2
.LBB127_673:
	s_mov_b64 s[0:1], 0
.LBB127_674:
	s_andn2_b64 vcc, exec, s[0:1]
	s_cbranch_vccnz .LBB127_676
; %bb.675:
	global_load_dword v0, v[5:6], off
	s_waitcnt vmcnt(0)
	v_cvt_f32_f16_e32 v1, v0
	v_cvt_f32_f16_sdwa v2, v0 dst_sel:DWORD dst_unused:UNUSED_PAD src0_sel:WORD_1
	v_cvt_f64_f32_e32 v[0:1], v1
	v_cvt_f64_f32_e32 v[2:3], v2
.LBB127_676:
	s_mov_b64 s[0:1], 0
.LBB127_677:
	s_andn2_b64 vcc, exec, s[0:1]
	s_cbranch_vccnz .LBB127_689
; %bb.678:
	s_cmp_lt_i32 s12, 6
	s_cbranch_scc1 .LBB127_681
; %bb.679:
	s_cmp_gt_i32 s12, 6
	s_cbranch_scc0 .LBB127_682
; %bb.680:
	global_load_dwordx2 v[0:1], v[5:6], off
	s_mov_b64 s[0:1], 0
	s_branch .LBB127_683
.LBB127_681:
	s_mov_b64 s[0:1], -1
                                        ; implicit-def: $vgpr0_vgpr1
	s_branch .LBB127_686
.LBB127_682:
	s_mov_b64 s[0:1], -1
                                        ; implicit-def: $vgpr0_vgpr1
.LBB127_683:
	s_andn2_b64 vcc, exec, s[0:1]
	s_cbranch_vccnz .LBB127_685
; %bb.684:
	global_load_dword v0, v[5:6], off
	s_waitcnt vmcnt(0)
	v_cvt_f64_f32_e32 v[0:1], v0
.LBB127_685:
	s_mov_b64 s[0:1], 0
.LBB127_686:
	s_andn2_b64 vcc, exec, s[0:1]
	s_cbranch_vccnz .LBB127_688
; %bb.687:
	global_load_ushort v0, v[5:6], off
	s_waitcnt vmcnt(0)
	v_cvt_f32_f16_e32 v0, v0
	v_cvt_f64_f32_e32 v[0:1], v0
.LBB127_688:
	s_waitcnt vmcnt(0)
	v_mov_b32_e32 v2, 0
	v_mov_b32_e32 v3, 0
.LBB127_689:
	s_mov_b64 s[0:1], 0
.LBB127_690:
	s_andn2_b64 vcc, exec, s[0:1]
	s_cbranch_vccnz .LBB127_711
; %bb.691:
	s_cmp_lt_i32 s12, 2
	s_cbranch_scc1 .LBB127_695
; %bb.692:
	s_cmp_lt_i32 s12, 3
	s_cbranch_scc1 .LBB127_696
; %bb.693:
	s_cmp_gt_i32 s12, 3
	s_cbranch_scc0 .LBB127_697
; %bb.694:
	global_load_dwordx2 v[0:1], v[5:6], off
	s_mov_b64 s[0:1], 0
	s_waitcnt vmcnt(0)
	v_cvt_f64_i32_e32 v[1:2], v1
	v_cvt_f64_u32_e32 v[8:9], v0
	v_ldexp_f64 v[1:2], v[1:2], 32
	v_add_f64 v[0:1], v[1:2], v[8:9]
	s_branch .LBB127_698
.LBB127_695:
	s_mov_b64 s[0:1], -1
                                        ; implicit-def: $vgpr0_vgpr1
	s_branch .LBB127_704
.LBB127_696:
	s_mov_b64 s[0:1], -1
                                        ; implicit-def: $vgpr0_vgpr1
	s_branch .LBB127_701
.LBB127_697:
	s_mov_b64 s[0:1], -1
                                        ; implicit-def: $vgpr0_vgpr1
.LBB127_698:
	s_andn2_b64 vcc, exec, s[0:1]
	s_cbranch_vccnz .LBB127_700
; %bb.699:
	global_load_dword v0, v[5:6], off
	s_waitcnt vmcnt(0)
	v_cvt_f64_i32_e32 v[0:1], v0
.LBB127_700:
	s_mov_b64 s[0:1], 0
.LBB127_701:
	s_andn2_b64 vcc, exec, s[0:1]
	s_cbranch_vccnz .LBB127_703
; %bb.702:
	global_load_sshort v0, v[5:6], off
	s_waitcnt vmcnt(0)
	v_cvt_f64_i32_e32 v[0:1], v0
.LBB127_703:
	s_mov_b64 s[0:1], 0
.LBB127_704:
	s_andn2_b64 vcc, exec, s[0:1]
	s_cbranch_vccnz .LBB127_710
; %bb.705:
	s_cmp_gt_i32 s12, 0
	s_cbranch_scc0 .LBB127_707
; %bb.706:
	global_load_sbyte v0, v[5:6], off
	s_mov_b64 s[0:1], 0
	s_waitcnt vmcnt(0)
	v_cvt_f64_i32_e32 v[0:1], v0
	s_branch .LBB127_708
.LBB127_707:
	s_mov_b64 s[0:1], -1
                                        ; implicit-def: $vgpr0_vgpr1
.LBB127_708:
	s_andn2_b64 vcc, exec, s[0:1]
	s_cbranch_vccnz .LBB127_710
; %bb.709:
	global_load_ubyte v0, v[5:6], off
	s_waitcnt vmcnt(0)
	v_cvt_f64_u32_e32 v[0:1], v0
.LBB127_710:
	s_waitcnt vmcnt(0)
	v_mov_b32_e32 v2, 0
	v_mov_b32_e32 v3, 0
.LBB127_711:
	s_mov_b64 s[0:1], -1
.LBB127_712:
	s_andn2_b64 vcc, exec, s[0:1]
	s_cbranch_vccnz .LBB127_715
; %bb.713:
	s_andn2_b64 vcc, exec, s[48:49]
	s_cbranch_vccnz .LBB127_716
; %bb.714:
	s_waitcnt vmcnt(0)
	v_cmp_neq_f64_e32 vcc, s[28:29], v[0:1]
	v_cmp_neq_f64_e64 s[0:1], s[30:31], v[2:3]
	s_or_b64 s[8:9], vcc, s[0:1]
	s_mov_b64 s[0:1], 0
	s_branch .LBB127_717
.LBB127_715:
	s_mov_b64 s[8:9], 0
	s_mov_b64 s[0:1], s[66:67]
	s_branch .LBB127_842
.LBB127_716:
	s_mov_b64 s[0:1], -1
                                        ; implicit-def: $sgpr8_sgpr9
.LBB127_717:
	s_andn2_b64 vcc, exec, s[0:1]
	s_cbranch_vccnz .LBB127_719
; %bb.718:
	s_waitcnt vmcnt(0)
	v_cmp_eq_f64_e32 vcc, s[28:29], v[0:1]
	v_cmp_eq_f64_e64 s[0:1], s[30:31], v[2:3]
	s_andn2_b64 s[8:9], s[8:9], exec
	s_and_b64 s[0:1], vcc, s[0:1]
	s_and_b64 s[0:1], s[0:1], exec
	s_or_b64 s[8:9], s[8:9], s[0:1]
.LBB127_719:
	s_waitcnt vmcnt(0)
	v_mov_b32_e32 v1, s25
	s_and_b32 s16, s79, 0xff
	v_add_co_u32_e32 v0, vcc, s24, v4
	s_cmp_lt_i32 s16, 11
	v_addc_co_u32_e32 v1, vcc, 0, v1, vcc
	s_cbranch_scc1 .LBB127_726
; %bb.720:
	s_and_b32 s17, 0xffff, s16
	s_cmp_gt_i32 s17, 25
	s_cbranch_scc0 .LBB127_727
; %bb.721:
	s_cmp_gt_i32 s17, 28
	s_cbranch_scc0 .LBB127_728
; %bb.722:
	;; [unrolled: 3-line block ×4, first 2 shown]
	s_mov_b64 s[12:13], 0
	s_mov_b64 s[0:1], -1
	s_cmp_eq_u32 s17, 46
	s_mov_b64 s[10:11], 0
	s_cbranch_scc0 .LBB127_731
; %bb.725:
	v_cndmask_b32_e64 v2, 0, 1.0, s[8:9]
	v_bfe_u32 v3, v2, 16, 1
	s_movk_i32 s0, 0x7fff
	v_add3_u32 v2, v2, v3, s0
	v_lshrrev_b32_e32 v2, 16, v2
	global_store_dword v[0:1], v2, off
	s_mov_b64 s[10:11], -1
	s_mov_b64 s[0:1], 0
	s_branch .LBB127_731
.LBB127_726:
	s_mov_b64 s[12:13], -1
	s_mov_b64 s[10:11], 0
	s_mov_b64 s[0:1], s[66:67]
	s_branch .LBB127_800
.LBB127_727:
	s_mov_b64 s[12:13], -1
	s_mov_b64 s[10:11], 0
	s_mov_b64 s[0:1], s[66:67]
	s_branch .LBB127_758
.LBB127_728:
	s_mov_b64 s[12:13], -1
	s_mov_b64 s[10:11], 0
	s_mov_b64 s[0:1], s[66:67]
	s_branch .LBB127_741
.LBB127_729:
	s_mov_b64 s[12:13], -1
	s_mov_b64 s[10:11], 0
	s_mov_b64 s[0:1], s[66:67]
	s_branch .LBB127_737
.LBB127_730:
	s_mov_b64 s[12:13], -1
	s_mov_b64 s[10:11], 0
	s_mov_b64 s[0:1], s[66:67]
.LBB127_731:
	s_and_b64 vcc, exec, s[12:13]
	s_cbranch_vccz .LBB127_736
; %bb.732:
	s_cmp_eq_u32 s17, 44
	s_mov_b64 s[0:1], -1
	s_cbranch_scc0 .LBB127_736
; %bb.733:
	v_cndmask_b32_e64 v3, 0, 1.0, s[8:9]
	v_lshrrev_b32_e32 v2, 23, v3
	s_movk_i32 s0, 0xff
	v_cmp_ne_u32_e32 vcc, s0, v2
	v_mov_b32_e32 v4, 0xff
	s_and_saveexec_b64 s[10:11], vcc
; %bb.734:
	s_mov_b32 s0, 0x3fffff
	v_and_b32_e32 v4, 0x400000, v3
	v_and_or_b32 v3, v3, s0, v2
	v_cmp_ne_u32_e32 vcc, 0, v4
	v_cmp_ne_u32_e64 s[0:1], 0, v3
	s_and_b64 s[0:1], vcc, s[0:1]
	v_cndmask_b32_e64 v3, 0, 1, s[0:1]
	v_add_u32_e32 v4, v2, v3
; %bb.735:
	s_or_b64 exec, exec, s[10:11]
	s_mov_b64 s[10:11], -1
	s_mov_b64 s[0:1], 0
	global_store_byte v[0:1], v4, off
.LBB127_736:
	s_mov_b64 s[12:13], 0
.LBB127_737:
	s_and_b64 vcc, exec, s[12:13]
	s_cbranch_vccz .LBB127_740
; %bb.738:
	s_cmp_eq_u32 s17, 29
	s_mov_b64 s[0:1], -1
	s_cbranch_scc0 .LBB127_740
; %bb.739:
	s_mov_b32 s0, 0
	v_cndmask_b32_e64 v2, 0, 1, s[8:9]
	v_mov_b32_e32 v3, s0
	global_store_dwordx2 v[0:1], v[2:3], off
	s_mov_b64 s[10:11], -1
	s_mov_b64 s[0:1], 0
.LBB127_740:
	s_mov_b64 s[12:13], 0
.LBB127_741:
	s_and_b64 vcc, exec, s[12:13]
	s_cbranch_vccz .LBB127_757
; %bb.742:
	s_cmp_lt_i32 s17, 27
	s_mov_b64 s[10:11], -1
	s_cbranch_scc1 .LBB127_748
; %bb.743:
	s_cmp_gt_i32 s17, 27
	s_cbranch_scc0 .LBB127_745
; %bb.744:
	v_cndmask_b32_e64 v2, 0, 1, s[8:9]
	s_mov_b64 s[10:11], 0
	global_store_dword v[0:1], v2, off
.LBB127_745:
	s_andn2_b64 vcc, exec, s[10:11]
	s_cbranch_vccnz .LBB127_747
; %bb.746:
	v_cndmask_b32_e64 v2, 0, 1, s[8:9]
	global_store_short v[0:1], v2, off
.LBB127_747:
	s_mov_b64 s[10:11], 0
.LBB127_748:
	s_andn2_b64 vcc, exec, s[10:11]
	s_cbranch_vccnz .LBB127_756
; %bb.749:
	v_cndmask_b32_e64 v3, 0, 1.0, s[8:9]
	s_mov_b32 s10, 0x43800000
	v_cmp_gt_u32_e32 vcc, s10, v3
	v_mov_b32_e32 v4, 0x80
	s_and_saveexec_b64 s[10:11], vcc
	s_cbranch_execz .LBB127_755
; %bb.750:
	s_mov_b32 s12, 0x3bffffff
	v_cmp_lt_u32_e32 vcc, s12, v3
	s_mov_b64 s[12:13], 0
                                        ; implicit-def: $vgpr2
	s_and_saveexec_b64 s[14:15], vcc
	s_xor_b64 s[14:15], exec, s[14:15]
	s_cbranch_execz .LBB127_872
; %bb.751:
	v_bfe_u32 v2, v3, 20, 1
	s_mov_b32 s18, 0x487ffff
	v_add3_u32 v2, v3, v2, s18
	s_mov_b64 s[12:13], exec
	v_lshrrev_b32_e32 v2, 20, v2
                                        ; implicit-def: $vgpr3
	s_andn2_saveexec_b64 s[14:15], s[14:15]
	s_cbranch_execnz .LBB127_873
.LBB127_752:
	s_or_b64 exec, exec, s[14:15]
	v_mov_b32_e32 v4, 0
	s_and_saveexec_b64 s[14:15], s[12:13]
.LBB127_753:
	v_mov_b32_e32 v4, v2
.LBB127_754:
	s_or_b64 exec, exec, s[14:15]
.LBB127_755:
	s_or_b64 exec, exec, s[10:11]
	global_store_byte v[0:1], v4, off
.LBB127_756:
	s_mov_b64 s[10:11], -1
.LBB127_757:
	s_mov_b64 s[12:13], 0
.LBB127_758:
	s_and_b64 vcc, exec, s[12:13]
	s_cbranch_vccz .LBB127_799
; %bb.759:
	s_cmp_gt_i32 s17, 22
	s_mov_b64 s[12:13], -1
	s_cbranch_scc0 .LBB127_791
; %bb.760:
	s_cmp_lt_i32 s17, 24
	s_mov_b64 s[10:11], -1
	s_cbranch_scc1 .LBB127_780
; %bb.761:
	s_cmp_gt_i32 s17, 24
	s_cbranch_scc0 .LBB127_769
; %bb.762:
	v_cndmask_b32_e64 v3, 0, 1.0, s[8:9]
	s_mov_b32 s10, 0x47800000
	v_cmp_gt_u32_e32 vcc, s10, v3
	v_mov_b32_e32 v4, 0x80
	s_and_saveexec_b64 s[10:11], vcc
	s_cbranch_execz .LBB127_768
; %bb.763:
	s_mov_b32 s12, 0x37ffffff
	v_cmp_lt_u32_e32 vcc, s12, v3
	s_mov_b64 s[12:13], 0
                                        ; implicit-def: $vgpr2
	s_and_saveexec_b64 s[14:15], vcc
	s_xor_b64 s[14:15], exec, s[14:15]
	s_cbranch_execz .LBB127_875
; %bb.764:
	v_bfe_u32 v2, v3, 21, 1
	s_mov_b32 s18, 0x88fffff
	v_add3_u32 v2, v3, v2, s18
	s_mov_b64 s[12:13], exec
	v_lshrrev_b32_e32 v2, 21, v2
                                        ; implicit-def: $vgpr3
	s_andn2_saveexec_b64 s[14:15], s[14:15]
	s_cbranch_execnz .LBB127_876
.LBB127_765:
	s_or_b64 exec, exec, s[14:15]
	v_mov_b32_e32 v4, 0
	s_and_saveexec_b64 s[14:15], s[12:13]
.LBB127_766:
	v_mov_b32_e32 v4, v2
.LBB127_767:
	s_or_b64 exec, exec, s[14:15]
.LBB127_768:
	s_or_b64 exec, exec, s[10:11]
	s_mov_b64 s[10:11], 0
	global_store_byte v[0:1], v4, off
.LBB127_769:
	s_and_b64 vcc, exec, s[10:11]
	s_cbranch_vccz .LBB127_779
; %bb.770:
	v_cndmask_b32_e64 v2, 0, 1.0, s[8:9]
	s_mov_b32 s10, 0x43f00000
	v_cmp_gt_u32_e32 vcc, s10, v2
                                        ; implicit-def: $vgpr3
	s_and_saveexec_b64 s[10:11], vcc
	s_xor_b64 s[10:11], exec, s[10:11]
	s_cbranch_execz .LBB127_776
; %bb.771:
	s_mov_b32 s12, 0x3c7fffff
	v_cmp_lt_u32_e32 vcc, s12, v2
                                        ; implicit-def: $vgpr3
	s_and_saveexec_b64 s[12:13], vcc
	s_xor_b64 s[12:13], exec, s[12:13]
; %bb.772:
	v_bfe_u32 v3, v2, 20, 1
	s_mov_b32 s14, 0x407ffff
	v_add3_u32 v2, v2, v3, s14
	v_lshrrev_b32_e32 v3, 20, v2
	v_and_b32_e32 v2, 0xff00000, v2
	s_mov_b32 s14, 0x7f00000
	v_mov_b32_e32 v4, 0x7e
	v_cmp_ne_u32_e32 vcc, s14, v2
	v_cndmask_b32_e32 v3, v4, v3, vcc
                                        ; implicit-def: $vgpr2
; %bb.773:
	s_andn2_saveexec_b64 s[12:13], s[12:13]
; %bb.774:
	v_add_f32_e32 v3, 0x46800000, v2
; %bb.775:
	s_or_b64 exec, exec, s[12:13]
                                        ; implicit-def: $vgpr2
.LBB127_776:
	s_andn2_saveexec_b64 s[10:11], s[10:11]
; %bb.777:
	s_mov_b32 s12, 0x7f800000
	v_mov_b32_e32 v3, 0x7e
	v_mov_b32_e32 v4, 0x7f
	v_cmp_lt_u32_e32 vcc, s12, v2
	v_cndmask_b32_e32 v3, v3, v4, vcc
; %bb.778:
	s_or_b64 exec, exec, s[10:11]
	global_store_byte v[0:1], v3, off
.LBB127_779:
	s_mov_b64 s[10:11], 0
.LBB127_780:
	s_andn2_b64 vcc, exec, s[10:11]
	s_cbranch_vccnz .LBB127_790
; %bb.781:
	v_cndmask_b32_e64 v2, 0, 1.0, s[8:9]
	s_mov_b32 s10, 0x47800000
	v_cmp_gt_u32_e32 vcc, s10, v2
                                        ; implicit-def: $vgpr3
	s_and_saveexec_b64 s[10:11], vcc
	s_xor_b64 s[10:11], exec, s[10:11]
	s_cbranch_execz .LBB127_787
; %bb.782:
	s_mov_b32 s12, 0x387fffff
	v_cmp_lt_u32_e32 vcc, s12, v2
                                        ; implicit-def: $vgpr3
	s_and_saveexec_b64 s[12:13], vcc
	s_xor_b64 s[12:13], exec, s[12:13]
; %bb.783:
	v_bfe_u32 v3, v2, 21, 1
	s_mov_b32 s14, 0x80fffff
	v_add3_u32 v2, v2, v3, s14
	v_lshrrev_b32_e32 v3, 21, v2
                                        ; implicit-def: $vgpr2
; %bb.784:
	s_andn2_saveexec_b64 s[12:13], s[12:13]
; %bb.785:
	v_add_f32_e32 v3, 0x43000000, v2
; %bb.786:
	s_or_b64 exec, exec, s[12:13]
                                        ; implicit-def: $vgpr2
.LBB127_787:
	s_andn2_saveexec_b64 s[10:11], s[10:11]
; %bb.788:
	s_mov_b32 s12, 0x7f800000
	v_mov_b32_e32 v3, 0x7c
	v_mov_b32_e32 v4, 0x7f
	v_cmp_lt_u32_e32 vcc, s12, v2
	v_cndmask_b32_e32 v3, v3, v4, vcc
; %bb.789:
	s_or_b64 exec, exec, s[10:11]
	global_store_byte v[0:1], v3, off
.LBB127_790:
	s_mov_b64 s[12:13], 0
	s_mov_b64 s[10:11], -1
.LBB127_791:
	s_andn2_b64 vcc, exec, s[12:13]
	s_cbranch_vccnz .LBB127_799
; %bb.792:
	s_cmp_gt_i32 s17, 14
	s_mov_b64 s[12:13], -1
	s_cbranch_scc0 .LBB127_796
; %bb.793:
	s_cmp_eq_u32 s17, 15
	s_mov_b64 s[0:1], -1
	s_cbranch_scc0 .LBB127_795
; %bb.794:
	v_cndmask_b32_e64 v2, 0, 1.0, s[8:9]
	v_bfe_u32 v3, v2, 16, 1
	s_movk_i32 s0, 0x7fff
	v_add3_u32 v2, v2, v3, s0
	global_store_short_d16_hi v[0:1], v2, off
	s_mov_b64 s[10:11], -1
	s_mov_b64 s[0:1], 0
.LBB127_795:
	s_mov_b64 s[12:13], 0
.LBB127_796:
	s_and_b64 vcc, exec, s[12:13]
	s_cbranch_vccz .LBB127_799
; %bb.797:
	s_cmp_eq_u32 s17, 11
	s_mov_b64 s[0:1], -1
	s_cbranch_scc0 .LBB127_799
; %bb.798:
	v_cndmask_b32_e64 v2, 0, 1, s[8:9]
	s_mov_b64 s[10:11], -1
	s_mov_b64 s[0:1], 0
	global_store_byte v[0:1], v2, off
.LBB127_799:
	s_mov_b64 s[12:13], 0
.LBB127_800:
	s_and_b64 vcc, exec, s[12:13]
	s_cbranch_vccz .LBB127_839
; %bb.801:
	s_and_b32 s12, 0xffff, s16
	s_cmp_lt_i32 s12, 5
	s_mov_b64 s[10:11], -1
	s_cbranch_scc1 .LBB127_822
; %bb.802:
	s_cmp_lt_i32 s12, 8
	s_cbranch_scc1 .LBB127_812
; %bb.803:
	s_cmp_lt_i32 s12, 9
	s_cbranch_scc1 .LBB127_809
; %bb.804:
	s_cmp_gt_i32 s12, 9
	s_cbranch_scc0 .LBB127_806
; %bb.805:
	v_cndmask_b32_e64 v2, 0, 1, s[8:9]
	v_cvt_f64_u32_e32 v[2:3], v2
	v_mov_b32_e32 v4, 0
	v_mov_b32_e32 v5, v4
	s_mov_b64 s[10:11], 0
	global_store_dwordx4 v[0:1], v[2:5], off
.LBB127_806:
	s_andn2_b64 vcc, exec, s[10:11]
	s_cbranch_vccnz .LBB127_808
; %bb.807:
	v_cndmask_b32_e64 v2, 0, 1.0, s[8:9]
	v_mov_b32_e32 v3, 0
	global_store_dwordx2 v[0:1], v[2:3], off
.LBB127_808:
	s_mov_b64 s[10:11], 0
.LBB127_809:
	s_andn2_b64 vcc, exec, s[10:11]
	s_cbranch_vccnz .LBB127_811
; %bb.810:
	v_cndmask_b32_e64 v2, 0, 1.0, s[8:9]
	v_cvt_f16_f32_e32 v2, v2
	global_store_dword v[0:1], v2, off
.LBB127_811:
	s_mov_b64 s[10:11], 0
.LBB127_812:
	s_andn2_b64 vcc, exec, s[10:11]
	s_cbranch_vccnz .LBB127_821
; %bb.813:
	s_cmp_lt_i32 s12, 6
	s_mov_b64 s[10:11], -1
	s_cbranch_scc1 .LBB127_819
; %bb.814:
	s_cmp_gt_i32 s12, 6
	s_cbranch_scc0 .LBB127_816
; %bb.815:
	v_cndmask_b32_e64 v2, 0, 1, s[8:9]
	v_cvt_f64_u32_e32 v[2:3], v2
	s_mov_b64 s[10:11], 0
	global_store_dwordx2 v[0:1], v[2:3], off
.LBB127_816:
	s_andn2_b64 vcc, exec, s[10:11]
	s_cbranch_vccnz .LBB127_818
; %bb.817:
	v_cndmask_b32_e64 v2, 0, 1.0, s[8:9]
	global_store_dword v[0:1], v2, off
.LBB127_818:
	s_mov_b64 s[10:11], 0
.LBB127_819:
	s_andn2_b64 vcc, exec, s[10:11]
	s_cbranch_vccnz .LBB127_821
; %bb.820:
	v_cndmask_b32_e64 v2, 0, 1.0, s[8:9]
	v_cvt_f16_f32_e32 v2, v2
	global_store_short v[0:1], v2, off
.LBB127_821:
	s_mov_b64 s[10:11], 0
.LBB127_822:
	s_andn2_b64 vcc, exec, s[10:11]
	s_cbranch_vccnz .LBB127_838
; %bb.823:
	s_cmp_lt_i32 s12, 2
	s_mov_b64 s[10:11], -1
	s_cbranch_scc1 .LBB127_833
; %bb.824:
	s_cmp_lt_i32 s12, 3
	s_cbranch_scc1 .LBB127_830
; %bb.825:
	s_cmp_gt_i32 s12, 3
	s_cbranch_scc0 .LBB127_827
; %bb.826:
	s_mov_b32 s10, 0
	v_cndmask_b32_e64 v2, 0, 1, s[8:9]
	v_mov_b32_e32 v3, s10
	s_mov_b64 s[10:11], 0
	global_store_dwordx2 v[0:1], v[2:3], off
.LBB127_827:
	s_andn2_b64 vcc, exec, s[10:11]
	s_cbranch_vccnz .LBB127_829
; %bb.828:
	v_cndmask_b32_e64 v2, 0, 1, s[8:9]
	global_store_dword v[0:1], v2, off
.LBB127_829:
	s_mov_b64 s[10:11], 0
.LBB127_830:
	s_andn2_b64 vcc, exec, s[10:11]
	s_cbranch_vccnz .LBB127_832
; %bb.831:
	v_cndmask_b32_e64 v2, 0, 1, s[8:9]
	global_store_short v[0:1], v2, off
.LBB127_832:
	s_mov_b64 s[10:11], 0
.LBB127_833:
	s_andn2_b64 vcc, exec, s[10:11]
	s_cbranch_vccnz .LBB127_838
; %bb.834:
	s_mov_b64 s[10:11], -1
	s_cmp_gt_i32 s12, 0
	v_cndmask_b32_e64 v2, 0, 1, s[8:9]
	s_cbranch_scc0 .LBB127_836
; %bb.835:
	s_mov_b64 s[10:11], 0
	global_store_byte v[0:1], v2, off
.LBB127_836:
	s_andn2_b64 vcc, exec, s[10:11]
	s_cbranch_vccnz .LBB127_838
; %bb.837:
	global_store_byte v[0:1], v2, off
.LBB127_838:
	s_mov_b64 s[10:11], -1
.LBB127_839:
	s_andn2_b64 vcc, exec, s[10:11]
	s_cbranch_vccnz .LBB127_841
; %bb.840:
	v_add_u32_e32 v7, 0x80, v7
	s_mov_b64 s[8:9], -1
	s_branch .LBB127_843
.LBB127_841:
	s_mov_b64 s[8:9], 0
.LBB127_842:
                                        ; implicit-def: $vgpr7
.LBB127_843:
	s_andn2_b64 s[10:11], s[66:67], exec
	s_and_b64 s[0:1], s[0:1], exec
	s_or_b64 s[74:75], s[10:11], s[0:1]
	s_andn2_b64 s[0:1], s[64:65], exec
	s_and_b64 s[2:3], s[2:3], exec
	s_or_b64 s[72:73], s[0:1], s[2:3]
	s_orn2_b64 s[2:3], s[8:9], exec
.LBB127_844:
	s_or_b64 exec, exec, s[70:71]
	s_mov_b64 s[0:1], 0
	s_mov_b64 s[8:9], 0
	;; [unrolled: 1-line block ×3, first 2 shown]
                                        ; implicit-def: $vgpr5_vgpr6
                                        ; implicit-def: $vgpr4
                                        ; implicit-def: $vgpr2_vgpr3
	s_and_saveexec_b64 s[70:71], s[2:3]
	s_cbranch_execz .LBB127_946
; %bb.845:
	v_cmp_gt_i32_e32 vcc, s76, v7
	s_mov_b64 s[2:3], 0
	s_mov_b64 s[12:13], s[72:73]
                                        ; implicit-def: $vgpr5_vgpr6
                                        ; implicit-def: $vgpr4
                                        ; implicit-def: $vgpr2_vgpr3
	s_and_saveexec_b64 s[76:77], vcc
	s_cbranch_execz .LBB127_945
; %bb.846:
	s_andn2_b64 vcc, exec, s[44:45]
	s_cbranch_vccnz .LBB127_851
; %bb.847:
	s_andn2_b64 vcc, exec, s[56:57]
	s_cbranch_vccnz .LBB127_852
; %bb.848:
	s_add_i32 s82, s81, 1
	s_cmp_eq_u32 s78, 2
	s_cbranch_scc1 .LBB127_853
; %bb.849:
	s_and_b32 s81, s82, 28
	s_waitcnt vmcnt(0)
	v_mov_b32_e32 v0, 0
	s_mov_b32 s83, 0
	s_mov_b64 s[56:57], s[34:35]
	v_mov_b32_e32 v4, 0
	v_mov_b32_e32 v1, v7
.LBB127_850:                            ; =>This Inner Loop Header: Depth=1
	s_load_dwordx8 s[16:23], s[56:57], 0x4
	s_load_dwordx4 s[0:3], s[56:57], 0x24
	s_load_dwordx8 s[8:15], s[54:55], 0x0
	s_add_u32 s56, s56, 48
	s_addc_u32 s57, s57, 0
	s_waitcnt lgkmcnt(0)
	v_mul_hi_u32 v2, s17, v1
	s_add_i32 s83, s83, 4
	s_add_u32 s54, s54, 32
	s_addc_u32 s55, s55, 0
	v_add_u32_e32 v2, v1, v2
	v_lshrrev_b32_e32 v2, s18, v2
	v_mul_lo_u32 v3, v2, s16
	v_mul_hi_u32 v5, s20, v2
	s_cmp_eq_u32 s81, s83
	v_sub_u32_e32 v1, v1, v3
	v_add_u32_e32 v3, v2, v5
	v_mul_lo_u32 v5, v1, s8
	v_mul_lo_u32 v6, v1, s9
	v_lshrrev_b32_e32 v1, s21, v3
	v_mul_lo_u32 v3, v1, s19
	v_mul_hi_u32 v8, s23, v1
	v_sub_u32_e32 v2, v2, v3
	v_add_u32_e32 v3, v1, v8
	v_lshrrev_b32_e32 v3, s0, v3
	v_mul_hi_u32 v9, s2, v3
	v_mul_lo_u32 v10, v3, s22
	v_mul_lo_u32 v8, v2, s10
	;; [unrolled: 1-line block ×3, first 2 shown]
	v_sub_u32_e32 v10, v1, v10
	v_add_u32_e32 v1, v3, v9
	v_lshrrev_b32_e32 v1, s3, v1
	v_mul_lo_u32 v9, v1, s1
	v_mul_lo_u32 v11, v10, s12
	;; [unrolled: 1-line block ×3, first 2 shown]
	v_add3_u32 v4, v5, v4, v8
	v_sub_u32_e32 v3, v3, v9
	v_mul_lo_u32 v9, v3, s14
	v_mul_lo_u32 v3, v3, s15
	v_add3_u32 v0, v6, v0, v2
	v_add3_u32 v4, v11, v4, v9
	;; [unrolled: 1-line block ×3, first 2 shown]
	s_cbranch_scc0 .LBB127_850
	s_branch .LBB127_854
.LBB127_851:
	s_mov_b64 s[0:1], -1
                                        ; implicit-def: $vgpr4
                                        ; implicit-def: $vgpr0
	s_branch .LBB127_858
.LBB127_852:
	v_mov_b32_e32 v4, 0
	s_waitcnt vmcnt(0)
	v_mov_b32_e32 v0, 0
	s_branch .LBB127_857
.LBB127_853:
	s_mov_b32 s81, 0
	v_mov_b32_e32 v4, 0
	s_waitcnt vmcnt(0)
	v_mov_b32_e32 v0, 0
	v_mov_b32_e32 v1, v7
.LBB127_854:
	s_and_b32 s8, s82, 3
	s_cmp_eq_u32 s8, 0
	s_cbranch_scc1 .LBB127_857
; %bb.855:
	s_lshl_b32 s0, s81, 3
	s_add_u32 s0, s34, s0
	s_addc_u32 s1, s35, 0
	s_add_u32 s0, s0, 0xc4
	s_addc_u32 s1, s1, 0
	s_mul_i32 s2, s81, 12
	s_add_u32 s2, s34, s2
	s_addc_u32 s3, s35, 0
.LBB127_856:                            ; =>This Inner Loop Header: Depth=1
	s_load_dwordx2 s[10:11], s[2:3], 0x4
	s_load_dword s9, s[2:3], 0xc
	s_load_dwordx2 s[12:13], s[0:1], 0x0
	s_add_u32 s2, s2, 12
	s_addc_u32 s3, s3, 0
	s_waitcnt lgkmcnt(0)
	v_mul_hi_u32 v2, s11, v1
	s_add_u32 s0, s0, 8
	s_addc_u32 s1, s1, 0
	s_add_i32 s8, s8, -1
	v_add_u32_e32 v2, v1, v2
	v_lshrrev_b32_e32 v2, s9, v2
	v_mul_lo_u32 v3, v2, s10
	s_cmp_lg_u32 s8, 0
	v_sub_u32_e32 v1, v1, v3
	v_mad_u64_u32 v[4:5], s[10:11], v1, s12, v[4:5]
	v_mad_u64_u32 v[0:1], s[10:11], v1, s13, v[0:1]
	v_mov_b32_e32 v1, v2
	s_cbranch_scc1 .LBB127_856
.LBB127_857:
	s_mov_b64 s[0:1], 0
.LBB127_858:
	s_andn2_b64 vcc, exec, s[0:1]
	s_cbranch_vccnz .LBB127_861
; %bb.859:
	s_waitcnt vmcnt(0)
	v_mul_hi_u32 v0, s37, v7
	s_andn2_b64 vcc, exec, s[52:53]
	v_add_u32_e32 v0, v7, v0
	v_lshrrev_b32_e32 v1, s38, v0
	v_mul_lo_u32 v0, v1, s36
	v_sub_u32_e32 v0, v7, v0
	v_mul_lo_u32 v4, v0, s40
	v_mul_lo_u32 v0, v0, s41
	s_cbranch_vccnz .LBB127_861
; %bb.860:
	v_mul_hi_u32 v2, s50, v1
	v_add_u32_e32 v2, v1, v2
	v_lshrrev_b32_e32 v2, s51, v2
	v_mul_lo_u32 v2, v2, s39
	v_sub_u32_e32 v1, v1, v2
	v_mad_u64_u32 v[4:5], s[0:1], v1, s42, v[4:5]
	v_mad_u64_u32 v[0:1], s[0:1], v1, s43, v[0:1]
.LBB127_861:
	s_waitcnt vmcnt(0)
	v_mov_b32_e32 v1, s27
	s_and_b32 s14, 0xffff, s80
	v_add_co_u32_e32 v5, vcc, s26, v0
	s_cmp_lt_i32 s14, 11
	v_addc_co_u32_e32 v6, vcc, 0, v1, vcc
	s_cbranch_scc1 .LBB127_868
; %bb.862:
	s_cmp_gt_i32 s14, 25
	s_mov_b64 s[2:3], 0
	s_cbranch_scc0 .LBB127_869
; %bb.863:
	s_cmp_gt_i32 s14, 28
	s_cbranch_scc0 .LBB127_870
; %bb.864:
	s_cmp_gt_i32 s14, 43
	;; [unrolled: 3-line block ×3, first 2 shown]
	s_cbranch_scc0 .LBB127_874
; %bb.866:
	s_cmp_eq_u32 s14, 46
	s_mov_b64 s[10:11], 0
	s_cbranch_scc0 .LBB127_877
; %bb.867:
	global_load_dword v0, v[5:6], off
	s_mov_b64 s[0:1], 0
	s_mov_b64 s[8:9], -1
	s_waitcnt vmcnt(0)
	v_and_b32_e32 v2, 0xffff0000, v0
	v_lshlrev_b32_e32 v0, 16, v0
	v_cvt_f64_f32_e32 v[0:1], v0
	v_cvt_f64_f32_e32 v[2:3], v2
	s_branch .LBB127_878
.LBB127_868:
	s_mov_b64 s[12:13], -1
	s_mov_b64 s[8:9], 0
	s_mov_b64 s[2:3], 0
	s_mov_b64 s[0:1], s[72:73]
                                        ; implicit-def: $vgpr2_vgpr3
	s_branch .LBB127_944
.LBB127_869:
	s_mov_b64 s[10:11], -1
	s_mov_b64 s[8:9], 0
	s_mov_b64 s[0:1], s[72:73]
                                        ; implicit-def: $vgpr2_vgpr3
	s_branch .LBB127_911
.LBB127_870:
	s_mov_b64 s[10:11], -1
	s_mov_b64 s[8:9], 0
	s_mov_b64 s[0:1], s[72:73]
                                        ; implicit-def: $vgpr2_vgpr3
	s_branch .LBB127_890
.LBB127_871:
	s_mov_b64 s[10:11], -1
	s_mov_b64 s[8:9], 0
	s_mov_b64 s[0:1], s[72:73]
                                        ; implicit-def: $vgpr2_vgpr3
	s_branch .LBB127_884
.LBB127_872:
	s_andn2_saveexec_b64 s[14:15], s[14:15]
	s_cbranch_execz .LBB127_752
.LBB127_873:
	v_add_f32_e32 v2, 0x46000000, v3
	v_and_b32_e32 v2, 0xff, v2
	v_cmp_ne_u32_e32 vcc, 0, v2
	s_andn2_b64 s[12:13], s[12:13], exec
	s_and_b64 s[18:19], vcc, exec
	s_or_b64 s[12:13], s[12:13], s[18:19]
	s_or_b64 exec, exec, s[14:15]
	v_mov_b32_e32 v4, 0
	s_and_saveexec_b64 s[14:15], s[12:13]
	s_cbranch_execnz .LBB127_753
	s_branch .LBB127_754
.LBB127_874:
	s_mov_b64 s[10:11], -1
	s_mov_b64 s[8:9], 0
	s_mov_b64 s[0:1], s[72:73]
                                        ; implicit-def: $vgpr2_vgpr3
	s_branch .LBB127_878
.LBB127_875:
	s_andn2_saveexec_b64 s[14:15], s[14:15]
	s_cbranch_execz .LBB127_765
.LBB127_876:
	v_add_f32_e32 v2, 0x42800000, v3
	v_and_b32_e32 v2, 0xff, v2
	v_cmp_ne_u32_e32 vcc, 0, v2
	s_andn2_b64 s[12:13], s[12:13], exec
	s_and_b64 s[18:19], vcc, exec
	s_or_b64 s[12:13], s[12:13], s[18:19]
	s_or_b64 exec, exec, s[14:15]
	v_mov_b32_e32 v4, 0
	s_and_saveexec_b64 s[14:15], s[12:13]
	s_cbranch_execnz .LBB127_766
	s_branch .LBB127_767
.LBB127_877:
	s_mov_b64 s[0:1], -1
                                        ; implicit-def: $vgpr2_vgpr3
	s_mov_b64 s[8:9], 0
.LBB127_878:
	s_and_b64 vcc, exec, s[10:11]
	s_cbranch_vccz .LBB127_883
; %bb.879:
	s_cmp_eq_u32 s14, 44
	s_cbranch_scc0 .LBB127_881
; %bb.880:
	global_load_ubyte v2, v[5:6], off
	s_movk_i32 s8, 0xff
	v_bfrev_b32_e32 v3, 4
	v_mov_b32_e32 v7, 0x7ff80000
	v_bfrev_b32_e32 v8, 28
	s_mov_b64 s[0:1], 0
	s_waitcnt vmcnt(0)
	v_lshlrev_b32_e32 v0, 23, v2
	v_cvt_f64_f32_e32 v[0:1], v0
	v_cmp_ne_u32_e32 vcc, s8, v2
	s_mov_b64 s[8:9], -1
	v_cndmask_b32_e32 v0, v3, v0, vcc
	v_cndmask_b32_e32 v1, v7, v1, vcc
	v_cmp_ne_u32_e32 vcc, 0, v2
	v_cndmask_b32_e32 v1, v8, v1, vcc
	v_cndmask_b32_e32 v0, 0, v0, vcc
	s_branch .LBB127_882
.LBB127_881:
	s_mov_b64 s[0:1], -1
                                        ; implicit-def: $vgpr0_vgpr1
.LBB127_882:
	v_mov_b32_e32 v2, 0
	v_mov_b32_e32 v3, 0
.LBB127_883:
	s_mov_b64 s[10:11], 0
.LBB127_884:
	s_and_b64 vcc, exec, s[10:11]
	s_cbranch_vccz .LBB127_889
; %bb.885:
	s_cmp_eq_u32 s14, 29
	s_cbranch_scc0 .LBB127_887
; %bb.886:
	global_load_dwordx2 v[0:1], v[5:6], off
	s_mov_b64 s[0:1], 0
	s_mov_b64 s[8:9], -1
	s_waitcnt vmcnt(0)
	v_cvt_f64_u32_e32 v[1:2], v1
	v_cvt_f64_u32_e32 v[7:8], v0
	v_ldexp_f64 v[1:2], v[1:2], 32
	v_add_f64 v[0:1], v[1:2], v[7:8]
	s_branch .LBB127_888
.LBB127_887:
	s_mov_b64 s[0:1], -1
                                        ; implicit-def: $vgpr0_vgpr1
.LBB127_888:
	v_mov_b32_e32 v2, 0
	v_mov_b32_e32 v3, 0
.LBB127_889:
	s_mov_b64 s[10:11], 0
.LBB127_890:
	s_and_b64 vcc, exec, s[10:11]
	s_cbranch_vccz .LBB127_910
; %bb.891:
	s_cmp_lt_i32 s14, 27
	s_cbranch_scc1 .LBB127_894
; %bb.892:
	s_cmp_gt_i32 s14, 27
	s_cbranch_scc0 .LBB127_895
; %bb.893:
	global_load_dword v0, v[5:6], off
	s_mov_b64 s[8:9], 0
	s_waitcnt vmcnt(0)
	v_cvt_f64_u32_e32 v[0:1], v0
	s_branch .LBB127_896
.LBB127_894:
	s_mov_b64 s[8:9], -1
                                        ; implicit-def: $vgpr0_vgpr1
	s_branch .LBB127_899
.LBB127_895:
	s_mov_b64 s[8:9], -1
                                        ; implicit-def: $vgpr0_vgpr1
.LBB127_896:
	s_andn2_b64 vcc, exec, s[8:9]
	s_cbranch_vccnz .LBB127_898
; %bb.897:
	global_load_ushort v0, v[5:6], off
	s_waitcnt vmcnt(0)
	v_cvt_f64_u32_e32 v[0:1], v0
.LBB127_898:
	s_mov_b64 s[8:9], 0
.LBB127_899:
	s_andn2_b64 vcc, exec, s[8:9]
	s_cbranch_vccnz .LBB127_909
; %bb.900:
	global_load_ubyte v2, v[5:6], off
	s_movk_i32 s8, 0x7f
	s_waitcnt vmcnt(0)
	v_cmp_lt_i16_e32 vcc, s8, v2
	s_mov_b64 s[8:9], 0
	s_and_saveexec_b64 s[10:11], vcc
	s_xor_b64 s[10:11], exec, s[10:11]
	s_cbranch_execz .LBB127_904
; %bb.901:
	s_movk_i32 s8, 0x80
	v_cmp_eq_u16_e32 vcc, s8, v2
	s_mov_b64 s[8:9], -1
	s_and_saveexec_b64 s[12:13], vcc
; %bb.902:
	s_xor_b64 s[8:9], exec, -1
; %bb.903:
	s_or_b64 exec, exec, s[12:13]
	s_and_b64 s[8:9], s[8:9], exec
.LBB127_904:
	s_or_saveexec_b64 s[10:11], s[10:11]
	v_bfrev_b32_e32 v0, 4
	v_mov_b32_e32 v1, 0x7ff80000
	s_xor_b64 exec, exec, s[10:11]
; %bb.905:
	v_cmp_ne_u16_e32 vcc, 0, v2
	v_mov_b32_e32 v0, 0
	s_andn2_b64 s[8:9], s[8:9], exec
	s_and_b64 s[12:13], vcc, exec
	v_mov_b32_e32 v1, 0
	s_or_b64 s[8:9], s[8:9], s[12:13]
; %bb.906:
	s_or_b64 exec, exec, s[10:11]
	s_and_saveexec_b64 s[10:11], s[8:9]
	s_cbranch_execz .LBB127_908
; %bb.907:
	v_and_b32_e32 v1, 0xffff, v2
	v_lshlrev_b32_e32 v0, 24, v2
	v_and_b32_e32 v2, 7, v1
	v_ffbh_u32_e32 v7, v2
	v_min_u32_e32 v7, 32, v7
	v_subrev_u32_e32 v8, 28, v7
	v_bfe_u32 v3, v1, 3, 4
	v_lshlrev_b32_e32 v1, v8, v1
	v_sub_u32_e32 v7, 29, v7
	v_and_b32_e32 v1, 7, v1
	v_cmp_eq_u32_e32 vcc, 0, v3
	v_cndmask_b32_e32 v3, v3, v7, vcc
	v_cndmask_b32_e32 v1, v2, v1, vcc
	v_mov_b32_e32 v2, 0x3b800000
	v_lshlrev_b32_e32 v1, 20, v1
	v_and_b32_e32 v0, 0x80000000, v0
	v_lshl_add_u32 v2, v3, 23, v2
	v_or3_b32 v0, v0, v2, v1
	v_cvt_f64_f32_e32 v[0:1], v0
.LBB127_908:
	s_or_b64 exec, exec, s[10:11]
.LBB127_909:
	v_mov_b32_e32 v2, 0
	v_mov_b32_e32 v3, 0
	s_mov_b64 s[8:9], -1
.LBB127_910:
	s_mov_b64 s[10:11], 0
.LBB127_911:
	s_and_b64 vcc, exec, s[10:11]
	s_cbranch_vccz .LBB127_943
; %bb.912:
	s_cmp_gt_i32 s14, 22
	s_cbranch_scc0 .LBB127_924
; %bb.913:
	s_cmp_lt_i32 s14, 24
	s_cbranch_scc1 .LBB127_925
; %bb.914:
	s_cmp_gt_i32 s14, 24
	s_cbranch_scc0 .LBB127_926
; %bb.915:
	global_load_ubyte v2, v[5:6], off
	s_movk_i32 s2, 0x7f
	s_waitcnt vmcnt(0)
	v_cmp_lt_i16_e32 vcc, s2, v2
	s_mov_b64 s[2:3], 0
	s_and_saveexec_b64 s[8:9], vcc
	s_xor_b64 s[8:9], exec, s[8:9]
	s_cbranch_execz .LBB127_919
; %bb.916:
	s_movk_i32 s2, 0x80
	v_cmp_eq_u16_e32 vcc, s2, v2
	s_mov_b64 s[2:3], -1
	s_and_saveexec_b64 s[10:11], vcc
; %bb.917:
	s_xor_b64 s[2:3], exec, -1
; %bb.918:
	s_or_b64 exec, exec, s[10:11]
	s_and_b64 s[2:3], s[2:3], exec
.LBB127_919:
	s_or_saveexec_b64 s[8:9], s[8:9]
	v_bfrev_b32_e32 v0, 4
	v_mov_b32_e32 v1, 0x7ff80000
	s_xor_b64 exec, exec, s[8:9]
; %bb.920:
	v_cmp_ne_u16_e32 vcc, 0, v2
	v_mov_b32_e32 v0, 0
	s_andn2_b64 s[2:3], s[2:3], exec
	s_and_b64 s[10:11], vcc, exec
	v_mov_b32_e32 v1, 0
	s_or_b64 s[2:3], s[2:3], s[10:11]
; %bb.921:
	s_or_b64 exec, exec, s[8:9]
	s_and_saveexec_b64 s[8:9], s[2:3]
	s_cbranch_execz .LBB127_923
; %bb.922:
	v_and_b32_e32 v1, 0xffff, v2
	v_lshlrev_b32_e32 v0, 24, v2
	v_and_b32_e32 v2, 3, v1
	v_ffbh_u32_e32 v7, v2
	v_min_u32_e32 v7, 32, v7
	v_subrev_u32_e32 v8, 29, v7
	v_bfe_u32 v3, v1, 2, 5
	v_lshlrev_b32_e32 v1, v8, v1
	v_sub_u32_e32 v7, 30, v7
	v_and_b32_e32 v1, 3, v1
	v_cmp_eq_u32_e32 vcc, 0, v3
	v_cndmask_b32_e32 v3, v3, v7, vcc
	v_cndmask_b32_e32 v1, v2, v1, vcc
	v_mov_b32_e32 v2, 0x37800000
	v_lshlrev_b32_e32 v1, 21, v1
	v_and_b32_e32 v0, 0x80000000, v0
	v_lshl_add_u32 v2, v3, 23, v2
	v_or3_b32 v0, v0, v2, v1
	v_cvt_f64_f32_e32 v[0:1], v0
.LBB127_923:
	s_or_b64 exec, exec, s[8:9]
	s_mov_b64 s[2:3], 0
	s_branch .LBB127_927
.LBB127_924:
	s_mov_b64 s[2:3], -1
                                        ; implicit-def: $vgpr0_vgpr1
	s_branch .LBB127_933
.LBB127_925:
	s_mov_b64 s[2:3], -1
                                        ; implicit-def: $vgpr0_vgpr1
	s_branch .LBB127_930
.LBB127_926:
	s_mov_b64 s[2:3], -1
                                        ; implicit-def: $vgpr0_vgpr1
.LBB127_927:
	s_and_b64 vcc, exec, s[2:3]
	s_cbranch_vccz .LBB127_929
; %bb.928:
	global_load_ubyte v0, v[5:6], off
	s_mov_b32 s2, 0x7f800000
	s_waitcnt vmcnt(0)
	v_lshlrev_b32_e32 v0, 24, v0
	v_and_b32_e32 v1, 0x7f000000, v0
	v_ffbh_u32_e32 v2, v1
	v_min_u32_e32 v2, 32, v2
	v_sub_u32_e64 v2, v2, 4 clamp
	v_lshlrev_b32_e32 v7, v2, v1
	v_lshlrev_b32_e32 v2, 23, v2
	v_lshrrev_b32_e32 v7, 4, v7
	v_add_u32_e32 v3, 0x1000000, v1
	v_sub_u32_e32 v2, v7, v2
	v_ashrrev_i32_e32 v3, 8, v3
	v_add_u32_e32 v2, 0x3c000000, v2
	v_and_or_b32 v2, v3, s2, v2
	v_cmp_ne_u32_e32 vcc, 0, v1
	v_cndmask_b32_e32 v1, 0, v2, vcc
	s_brev_b32 s2, 1
	v_and_or_b32 v0, v0, s2, v1
	v_cvt_f64_f32_e32 v[0:1], v0
.LBB127_929:
	s_mov_b64 s[2:3], 0
.LBB127_930:
	s_andn2_b64 vcc, exec, s[2:3]
	s_cbranch_vccnz .LBB127_932
; %bb.931:
	global_load_ubyte v0, v[5:6], off
	s_movk_i32 s2, 0x7f00
	s_brev_b32 s3, 16
	s_waitcnt vmcnt(0)
	v_lshlrev_b16_e32 v1, 8, v0
	v_lshlrev_b32_e32 v0, 25, v0
	v_lshrrev_b32_e32 v2, 4, v0
	v_and_or_b32 v3, v1, s2, 0.5
	v_or_b32_e32 v2, 0x70000000, v2
	v_add_f32_e32 v3, -0.5, v3
	v_mul_f32_e32 v2, 0x7800000, v2
	v_cmp_gt_u32_e32 vcc, s3, v0
	v_bfe_i32 v1, v1, 0, 16
	v_cndmask_b32_e32 v0, v2, v3, vcc
	s_brev_b32 s2, 1
	v_and_or_b32 v0, v1, s2, v0
	v_cvt_f64_f32_e32 v[0:1], v0
.LBB127_932:
	s_mov_b64 s[2:3], 0
	s_mov_b64 s[8:9], -1
.LBB127_933:
	s_andn2_b64 vcc, exec, s[2:3]
	s_mov_b64 s[2:3], 0
	s_cbranch_vccnz .LBB127_942
; %bb.934:
	s_cmp_gt_i32 s14, 14
	s_cbranch_scc0 .LBB127_937
; %bb.935:
	s_cmp_eq_u32 s14, 15
	s_cbranch_scc0 .LBB127_938
; %bb.936:
	global_load_ushort v0, v[5:6], off
	s_mov_b64 s[0:1], 0
	s_mov_b64 s[8:9], -1
	s_waitcnt vmcnt(0)
	v_lshlrev_b32_e32 v0, 16, v0
	v_cvt_f64_f32_e32 v[0:1], v0
	s_branch .LBB127_939
.LBB127_937:
	s_mov_b64 s[10:11], -1
                                        ; implicit-def: $vgpr0_vgpr1
	s_branch .LBB127_940
.LBB127_938:
	s_mov_b64 s[0:1], -1
                                        ; implicit-def: $vgpr0_vgpr1
.LBB127_939:
	s_mov_b64 s[10:11], 0
.LBB127_940:
	s_and_b64 vcc, exec, s[10:11]
	s_cbranch_vccz .LBB127_942
; %bb.941:
	s_cmp_lg_u32 s14, 11
	s_cselect_b64 s[10:11], -1, 0
	s_andn2_b64 s[0:1], s[0:1], exec
	s_and_b64 s[10:11], s[10:11], exec
	s_mov_b64 s[2:3], -1
	s_or_b64 s[0:1], s[0:1], s[10:11]
.LBB127_942:
	v_mov_b32_e32 v2, 0
	v_mov_b32_e32 v3, 0
.LBB127_943:
	s_mov_b64 s[12:13], 0
.LBB127_944:
	s_and_b64 s[10:11], s[8:9], exec
	s_and_b64 s[8:9], s[12:13], exec
	s_andn2_b64 s[12:13], s[72:73], exec
	s_and_b64 s[0:1], s[0:1], exec
	s_and_b64 s[2:3], s[2:3], exec
	s_or_b64 s[12:13], s[12:13], s[0:1]
.LBB127_945:
	s_or_b64 exec, exec, s[76:77]
	s_and_b64 s[0:1], s[2:3], exec
	s_andn2_b64 s[2:3], s[72:73], exec
	s_and_b64 s[12:13], s[12:13], exec
	s_and_b64 s[10:11], s[10:11], exec
	;; [unrolled: 1-line block ×3, first 2 shown]
	s_or_b64 s[72:73], s[2:3], s[12:13]
.LBB127_946:
	s_or_b64 exec, exec, s[70:71]
	s_andn2_b64 s[2:3], s[66:67], exec
	s_and_b64 s[12:13], s[74:75], exec
	s_or_b64 s[66:67], s[2:3], s[12:13]
	s_and_b64 s[2:3], s[0:1], exec
	s_andn2_b64 s[0:1], s[64:65], exec
	s_and_b64 s[12:13], s[72:73], exec
	s_and_b64 s[10:11], s[10:11], exec
	s_and_b64 s[8:9], s[8:9], exec
	s_or_b64 s[64:65], s[0:1], s[12:13]
.LBB127_947:
	s_or_b64 exec, exec, s[68:69]
	s_andn2_b64 s[0:1], s[58:59], exec
	s_and_b64 s[12:13], s[66:67], exec
	s_or_b64 s[58:59], s[0:1], s[12:13]
	s_and_b64 s[0:1], s[10:11], exec
	s_and_b64 s[10:11], s[8:9], exec
	;; [unrolled: 1-line block ×3, first 2 shown]
	s_andn2_b64 s[2:3], s[60:61], exec
	s_and_b64 s[8:9], s[64:65], exec
	s_or_b64 s[60:61], s[2:3], s[8:9]
	s_or_b64 exec, exec, s[62:63]
	s_mov_b64 s[2:3], 0
	s_and_saveexec_b64 s[8:9], s[60:61]
	s_cbranch_execz .LBB127_282
.LBB127_948:
	s_mov_b64 s[2:3], exec
	s_andn2_b64 s[66:67], s[66:67], exec
	s_trap 2
	s_or_b64 exec, exec, s[8:9]
	s_and_saveexec_b64 s[8:9], s[66:67]
	s_xor_b64 s[8:9], exec, s[8:9]
	s_cbranch_execnz .LBB127_283
.LBB127_949:
	s_or_b64 exec, exec, s[8:9]
	s_and_saveexec_b64 s[8:9], s[10:11]
	s_cbranch_execz .LBB127_997
.LBB127_950:
	s_sext_i32_i16 s10, s80
	s_cmp_lt_i32 s10, 5
	s_cbranch_scc1 .LBB127_955
; %bb.951:
	s_cmp_lt_i32 s10, 8
	s_cbranch_scc1 .LBB127_956
; %bb.952:
	;; [unrolled: 3-line block ×3, first 2 shown]
	s_cmp_gt_i32 s10, 9
	s_cbranch_scc0 .LBB127_958
; %bb.954:
	global_load_dwordx4 v[0:3], v[5:6], off
	s_mov_b64 s[10:11], 0
	s_branch .LBB127_959
.LBB127_955:
                                        ; implicit-def: $vgpr2_vgpr3
	s_branch .LBB127_977
.LBB127_956:
                                        ; implicit-def: $vgpr2_vgpr3
	s_branch .LBB127_965
.LBB127_957:
	s_mov_b64 s[10:11], -1
                                        ; implicit-def: $vgpr2_vgpr3
	s_branch .LBB127_962
.LBB127_958:
	s_mov_b64 s[10:11], -1
                                        ; implicit-def: $vgpr2_vgpr3
.LBB127_959:
	s_andn2_b64 vcc, exec, s[10:11]
	s_cbranch_vccnz .LBB127_961
; %bb.960:
	global_load_dwordx2 v[1:2], v[5:6], off
	s_waitcnt vmcnt(0)
	v_cvt_f64_f32_e32 v[0:1], v1
	v_cvt_f64_f32_e32 v[2:3], v2
.LBB127_961:
	s_mov_b64 s[10:11], 0
.LBB127_962:
	s_andn2_b64 vcc, exec, s[10:11]
	s_cbranch_vccnz .LBB127_964
; %bb.963:
	global_load_dword v0, v[5:6], off
	s_waitcnt vmcnt(0)
	v_cvt_f32_f16_e32 v1, v0
	v_cvt_f32_f16_sdwa v2, v0 dst_sel:DWORD dst_unused:UNUSED_PAD src0_sel:WORD_1
	v_cvt_f64_f32_e32 v[0:1], v1
	v_cvt_f64_f32_e32 v[2:3], v2
.LBB127_964:
	s_cbranch_execnz .LBB127_976
.LBB127_965:
	s_sext_i32_i16 s10, s80
	s_cmp_lt_i32 s10, 6
	s_cbranch_scc1 .LBB127_968
; %bb.966:
	s_cmp_gt_i32 s10, 6
	s_cbranch_scc0 .LBB127_969
; %bb.967:
	global_load_dwordx2 v[0:1], v[5:6], off
	s_mov_b64 s[10:11], 0
	s_branch .LBB127_970
.LBB127_968:
	s_mov_b64 s[10:11], -1
                                        ; implicit-def: $vgpr0_vgpr1
	s_branch .LBB127_973
.LBB127_969:
	s_mov_b64 s[10:11], -1
                                        ; implicit-def: $vgpr0_vgpr1
.LBB127_970:
	s_andn2_b64 vcc, exec, s[10:11]
	s_cbranch_vccnz .LBB127_972
; %bb.971:
	global_load_dword v0, v[5:6], off
	s_waitcnt vmcnt(0)
	v_cvt_f64_f32_e32 v[0:1], v0
.LBB127_972:
	s_mov_b64 s[10:11], 0
.LBB127_973:
	s_andn2_b64 vcc, exec, s[10:11]
	s_cbranch_vccnz .LBB127_975
; %bb.974:
	global_load_ushort v0, v[5:6], off
	s_waitcnt vmcnt(0)
	v_cvt_f32_f16_e32 v0, v0
	v_cvt_f64_f32_e32 v[0:1], v0
.LBB127_975:
	s_waitcnt vmcnt(0)
	v_mov_b32_e32 v2, 0
	v_mov_b32_e32 v3, 0
.LBB127_976:
	s_cbranch_execnz .LBB127_996
.LBB127_977:
	s_sext_i32_i16 s10, s80
	s_cmp_lt_i32 s10, 2
	s_cbranch_scc1 .LBB127_981
; %bb.978:
	s_cmp_lt_i32 s10, 3
	s_cbranch_scc1 .LBB127_982
; %bb.979:
	s_cmp_gt_i32 s10, 3
	s_cbranch_scc0 .LBB127_983
; %bb.980:
	global_load_dwordx2 v[0:1], v[5:6], off
	s_mov_b64 s[10:11], 0
	s_waitcnt vmcnt(0)
	v_cvt_f64_i32_e32 v[1:2], v1
	v_cvt_f64_u32_e32 v[7:8], v0
	v_ldexp_f64 v[1:2], v[1:2], 32
	v_add_f64 v[0:1], v[1:2], v[7:8]
	s_branch .LBB127_984
.LBB127_981:
                                        ; implicit-def: $vgpr0_vgpr1
	s_branch .LBB127_990
.LBB127_982:
	s_mov_b64 s[10:11], -1
                                        ; implicit-def: $vgpr0_vgpr1
	s_branch .LBB127_987
.LBB127_983:
	s_mov_b64 s[10:11], -1
                                        ; implicit-def: $vgpr0_vgpr1
.LBB127_984:
	s_andn2_b64 vcc, exec, s[10:11]
	s_cbranch_vccnz .LBB127_986
; %bb.985:
	global_load_dword v0, v[5:6], off
	s_waitcnt vmcnt(0)
	v_cvt_f64_i32_e32 v[0:1], v0
.LBB127_986:
	s_mov_b64 s[10:11], 0
.LBB127_987:
	s_andn2_b64 vcc, exec, s[10:11]
	s_cbranch_vccnz .LBB127_989
; %bb.988:
	global_load_sshort v0, v[5:6], off
	s_waitcnt vmcnt(0)
	v_cvt_f64_i32_e32 v[0:1], v0
.LBB127_989:
	s_cbranch_execnz .LBB127_995
.LBB127_990:
	s_sext_i32_i16 s10, s80
	s_cmp_gt_i32 s10, 0
	s_cbranch_scc0 .LBB127_992
; %bb.991:
	global_load_sbyte v0, v[5:6], off
	s_mov_b64 s[10:11], 0
	s_waitcnt vmcnt(0)
	v_cvt_f64_i32_e32 v[0:1], v0
	s_branch .LBB127_993
.LBB127_992:
	s_mov_b64 s[10:11], -1
                                        ; implicit-def: $vgpr0_vgpr1
.LBB127_993:
	s_andn2_b64 vcc, exec, s[10:11]
	s_cbranch_vccnz .LBB127_995
; %bb.994:
	global_load_ubyte v0, v[5:6], off
	s_waitcnt vmcnt(0)
	v_cvt_f64_u32_e32 v[0:1], v0
.LBB127_995:
	s_waitcnt vmcnt(0)
	v_mov_b32_e32 v2, 0
	v_mov_b32_e32 v3, 0
.LBB127_996:
	s_or_b64 s[0:1], s[0:1], exec
.LBB127_997:
	s_or_b64 exec, exec, s[8:9]
	s_mov_b64 s[14:15], 0
	s_mov_b64 s[12:13], 0
                                        ; implicit-def: $sgpr8_sgpr9
                                        ; implicit-def: $sgpr20
                                        ; implicit-def: $vgpr5_vgpr6
	s_and_saveexec_b64 s[10:11], s[0:1]
	s_cbranch_execz .LBB127_1075
; %bb.998:
	s_andn2_b64 vcc, exec, s[48:49]
	s_cbranch_vccnz .LBB127_1079
; %bb.999:
	s_waitcnt vmcnt(0)
	v_cmp_neq_f64_e32 vcc, s[28:29], v[0:1]
	v_cmp_neq_f64_e64 s[0:1], s[30:31], v[2:3]
	s_or_b64 s[8:9], vcc, s[0:1]
	s_cbranch_execnz .LBB127_1001
.LBB127_1000:
	s_waitcnt vmcnt(0)
	v_cmp_eq_f64_e32 vcc, s[28:29], v[0:1]
	v_cmp_eq_f64_e64 s[0:1], s[30:31], v[2:3]
	s_andn2_b64 s[8:9], s[8:9], exec
	s_and_b64 s[0:1], vcc, s[0:1]
	s_and_b64 s[0:1], s[0:1], exec
	s_or_b64 s[8:9], s[8:9], s[0:1]
.LBB127_1001:
	s_waitcnt vmcnt(0)
	v_mov_b32_e32 v0, s25
	s_and_b32 s20, s79, 0xff
	v_add_co_u32_e32 v5, vcc, s24, v4
	s_cmp_lt_i32 s20, 11
	v_addc_co_u32_e32 v6, vcc, 0, v0, vcc
	s_cbranch_scc1 .LBB127_1078
; %bb.1002:
	s_and_b32 s21, 0xffff, s20
	s_mov_b64 s[14:15], -1
	s_cmp_gt_i32 s21, 25
	s_mov_b64 s[0:1], s[58:59]
	s_cbranch_scc0 .LBB127_1035
; %bb.1003:
	s_mov_b64 s[12:13], -1
	s_cmp_gt_i32 s21, 28
	s_mov_b64 s[0:1], s[58:59]
	s_cbranch_scc0 .LBB127_1019
; %bb.1004:
	s_cmp_gt_i32 s21, 43
	s_mov_b64 s[0:1], s[58:59]
	s_cbranch_scc0 .LBB127_1015
; %bb.1005:
	;; [unrolled: 4-line block ×3, first 2 shown]
	s_cmp_eq_u32 s21, 46
	s_mov_b64 s[0:1], -1
	s_cbranch_scc0 .LBB127_1008
; %bb.1007:
	v_cndmask_b32_e64 v0, 0, 1.0, s[8:9]
	v_bfe_u32 v1, v0, 16, 1
	s_movk_i32 s0, 0x7fff
	v_add3_u32 v0, v0, v1, s0
	v_lshrrev_b32_e32 v0, 16, v0
	global_store_dword v[5:6], v0, off
	s_mov_b64 s[0:1], 0
.LBB127_1008:
	s_mov_b64 s[12:13], 0
.LBB127_1009:
	s_and_b64 vcc, exec, s[12:13]
	s_cbranch_vccz .LBB127_1014
; %bb.1010:
	s_cmp_eq_u32 s21, 44
	s_mov_b64 s[0:1], -1
	s_cbranch_scc0 .LBB127_1014
; %bb.1011:
	v_cndmask_b32_e64 v1, 0, 1.0, s[8:9]
	v_lshrrev_b32_e32 v0, 23, v1
	s_movk_i32 s0, 0xff
	v_cmp_ne_u32_e32 vcc, s0, v0
	v_mov_b32_e32 v2, 0xff
	s_and_saveexec_b64 s[12:13], vcc
; %bb.1012:
	s_mov_b32 s0, 0x3fffff
	v_and_b32_e32 v2, 0x400000, v1
	v_and_or_b32 v1, v1, s0, v0
	v_cmp_ne_u32_e32 vcc, 0, v2
	v_cmp_ne_u32_e64 s[0:1], 0, v1
	s_and_b64 s[0:1], vcc, s[0:1]
	v_cndmask_b32_e64 v1, 0, 1, s[0:1]
	v_add_u32_e32 v2, v0, v1
; %bb.1013:
	s_or_b64 exec, exec, s[12:13]
	s_mov_b64 s[0:1], 0
	global_store_byte v[5:6], v2, off
.LBB127_1014:
	s_mov_b64 s[12:13], 0
.LBB127_1015:
	s_and_b64 vcc, exec, s[12:13]
	s_cbranch_vccz .LBB127_1018
; %bb.1016:
	s_cmp_eq_u32 s21, 29
	s_mov_b64 s[0:1], -1
	s_cbranch_scc0 .LBB127_1018
; %bb.1017:
	s_mov_b32 s0, 0
	v_cndmask_b32_e64 v0, 0, 1, s[8:9]
	v_mov_b32_e32 v1, s0
	global_store_dwordx2 v[5:6], v[0:1], off
	s_mov_b64 s[0:1], 0
.LBB127_1018:
	s_mov_b64 s[12:13], 0
.LBB127_1019:
	s_and_b64 vcc, exec, s[12:13]
	s_cbranch_vccz .LBB127_1034
; %bb.1020:
	s_cmp_lt_i32 s21, 27
	s_mov_b64 s[12:13], -1
	s_cbranch_scc1 .LBB127_1026
; %bb.1021:
	s_cmp_gt_i32 s21, 27
	s_cbranch_scc0 .LBB127_1023
; %bb.1022:
	v_cndmask_b32_e64 v0, 0, 1, s[8:9]
	s_mov_b64 s[12:13], 0
	global_store_dword v[5:6], v0, off
.LBB127_1023:
	s_andn2_b64 vcc, exec, s[12:13]
	s_cbranch_vccnz .LBB127_1025
; %bb.1024:
	v_cndmask_b32_e64 v0, 0, 1, s[8:9]
	global_store_short v[5:6], v0, off
.LBB127_1025:
	s_mov_b64 s[12:13], 0
.LBB127_1026:
	s_andn2_b64 vcc, exec, s[12:13]
	s_cbranch_vccnz .LBB127_1034
; %bb.1027:
	v_cndmask_b32_e64 v1, 0, 1.0, s[8:9]
	s_mov_b32 s12, 0x43800000
	v_cmp_gt_u32_e32 vcc, s12, v1
	v_mov_b32_e32 v2, 0x80
	s_and_saveexec_b64 s[12:13], vcc
	s_cbranch_execz .LBB127_1033
; %bb.1028:
	s_mov_b32 s14, 0x3bffffff
	v_cmp_lt_u32_e32 vcc, s14, v1
	s_mov_b64 s[14:15], 0
                                        ; implicit-def: $vgpr0
	s_and_saveexec_b64 s[16:17], vcc
	s_xor_b64 s[16:17], exec, s[16:17]
	s_cbranch_execz .LBB127_1192
; %bb.1029:
	v_bfe_u32 v0, v1, 20, 1
	s_mov_b32 s18, 0x487ffff
	v_add3_u32 v0, v1, v0, s18
	s_mov_b64 s[14:15], exec
	v_lshrrev_b32_e32 v0, 20, v0
                                        ; implicit-def: $vgpr1
	s_andn2_saveexec_b64 s[16:17], s[16:17]
	s_cbranch_execnz .LBB127_1193
.LBB127_1030:
	s_or_b64 exec, exec, s[16:17]
	v_mov_b32_e32 v2, 0
	s_and_saveexec_b64 s[16:17], s[14:15]
.LBB127_1031:
	v_mov_b32_e32 v2, v0
.LBB127_1032:
	s_or_b64 exec, exec, s[16:17]
.LBB127_1033:
	s_or_b64 exec, exec, s[12:13]
	global_store_byte v[5:6], v2, off
.LBB127_1034:
	s_mov_b64 s[14:15], 0
.LBB127_1035:
	s_mov_b64 s[12:13], 0
	s_and_b64 vcc, exec, s[14:15]
	s_cbranch_vccz .LBB127_1080
; %bb.1036:
	s_cmp_gt_i32 s21, 22
	s_mov_b64 s[14:15], -1
	s_cbranch_scc0 .LBB127_1068
; %bb.1037:
	s_cmp_lt_i32 s21, 24
	s_cbranch_scc1 .LBB127_1057
; %bb.1038:
	s_cmp_gt_i32 s21, 24
	s_cbranch_scc0 .LBB127_1046
; %bb.1039:
	v_cndmask_b32_e64 v1, 0, 1.0, s[8:9]
	s_mov_b32 s14, 0x47800000
	v_cmp_gt_u32_e32 vcc, s14, v1
	v_mov_b32_e32 v2, 0x80
	s_and_saveexec_b64 s[14:15], vcc
	s_cbranch_execz .LBB127_1045
; %bb.1040:
	s_mov_b32 s16, 0x37ffffff
	v_cmp_lt_u32_e32 vcc, s16, v1
	s_mov_b64 s[16:17], 0
                                        ; implicit-def: $vgpr0
	s_and_saveexec_b64 s[18:19], vcc
	s_xor_b64 s[18:19], exec, s[18:19]
	s_cbranch_execz .LBB127_1326
; %bb.1041:
	v_bfe_u32 v0, v1, 21, 1
	s_mov_b32 s22, 0x88fffff
	v_add3_u32 v0, v1, v0, s22
	s_mov_b64 s[16:17], exec
	v_lshrrev_b32_e32 v0, 21, v0
                                        ; implicit-def: $vgpr1
	s_andn2_saveexec_b64 s[18:19], s[18:19]
	s_cbranch_execnz .LBB127_1327
.LBB127_1042:
	s_or_b64 exec, exec, s[18:19]
	v_mov_b32_e32 v2, 0
	s_and_saveexec_b64 s[18:19], s[16:17]
.LBB127_1043:
	v_mov_b32_e32 v2, v0
.LBB127_1044:
	s_or_b64 exec, exec, s[18:19]
.LBB127_1045:
	s_or_b64 exec, exec, s[14:15]
	s_mov_b64 s[14:15], 0
	global_store_byte v[5:6], v2, off
.LBB127_1046:
	s_and_b64 vcc, exec, s[14:15]
	s_cbranch_vccz .LBB127_1056
; %bb.1047:
	v_cndmask_b32_e64 v0, 0, 1.0, s[8:9]
	s_mov_b32 s14, 0x43f00000
	v_cmp_gt_u32_e32 vcc, s14, v0
                                        ; implicit-def: $vgpr1
	s_and_saveexec_b64 s[14:15], vcc
	s_xor_b64 s[14:15], exec, s[14:15]
	s_cbranch_execz .LBB127_1053
; %bb.1048:
	s_mov_b32 s16, 0x3c7fffff
	v_cmp_lt_u32_e32 vcc, s16, v0
                                        ; implicit-def: $vgpr1
	s_and_saveexec_b64 s[16:17], vcc
	s_xor_b64 s[16:17], exec, s[16:17]
; %bb.1049:
	v_bfe_u32 v1, v0, 20, 1
	s_mov_b32 s18, 0x407ffff
	v_add3_u32 v0, v0, v1, s18
	v_lshrrev_b32_e32 v1, 20, v0
	v_and_b32_e32 v0, 0xff00000, v0
	s_mov_b32 s18, 0x7f00000
	v_mov_b32_e32 v2, 0x7e
	v_cmp_ne_u32_e32 vcc, s18, v0
	v_cndmask_b32_e32 v1, v2, v1, vcc
                                        ; implicit-def: $vgpr0
; %bb.1050:
	s_andn2_saveexec_b64 s[16:17], s[16:17]
; %bb.1051:
	v_add_f32_e32 v1, 0x46800000, v0
; %bb.1052:
	s_or_b64 exec, exec, s[16:17]
                                        ; implicit-def: $vgpr0
.LBB127_1053:
	s_andn2_saveexec_b64 s[14:15], s[14:15]
; %bb.1054:
	s_mov_b32 s16, 0x7f800000
	v_mov_b32_e32 v1, 0x7e
	v_mov_b32_e32 v2, 0x7f
	v_cmp_lt_u32_e32 vcc, s16, v0
	v_cndmask_b32_e32 v1, v1, v2, vcc
; %bb.1055:
	s_or_b64 exec, exec, s[14:15]
	global_store_byte v[5:6], v1, off
.LBB127_1056:
	s_mov_b64 s[14:15], 0
.LBB127_1057:
	s_andn2_b64 vcc, exec, s[14:15]
	s_cbranch_vccnz .LBB127_1067
; %bb.1058:
	v_cndmask_b32_e64 v0, 0, 1.0, s[8:9]
	s_mov_b32 s14, 0x47800000
	v_cmp_gt_u32_e32 vcc, s14, v0
                                        ; implicit-def: $vgpr1
	s_and_saveexec_b64 s[14:15], vcc
	s_xor_b64 s[14:15], exec, s[14:15]
	s_cbranch_execz .LBB127_1064
; %bb.1059:
	s_mov_b32 s16, 0x387fffff
	v_cmp_lt_u32_e32 vcc, s16, v0
                                        ; implicit-def: $vgpr1
	s_and_saveexec_b64 s[16:17], vcc
	s_xor_b64 s[16:17], exec, s[16:17]
; %bb.1060:
	v_bfe_u32 v1, v0, 21, 1
	s_mov_b32 s18, 0x80fffff
	v_add3_u32 v0, v0, v1, s18
	v_lshrrev_b32_e32 v1, 21, v0
                                        ; implicit-def: $vgpr0
; %bb.1061:
	s_andn2_saveexec_b64 s[16:17], s[16:17]
; %bb.1062:
	v_add_f32_e32 v1, 0x43000000, v0
; %bb.1063:
	s_or_b64 exec, exec, s[16:17]
                                        ; implicit-def: $vgpr0
.LBB127_1064:
	s_andn2_saveexec_b64 s[14:15], s[14:15]
; %bb.1065:
	s_mov_b32 s16, 0x7f800000
	v_mov_b32_e32 v1, 0x7c
	v_mov_b32_e32 v2, 0x7f
	v_cmp_lt_u32_e32 vcc, s16, v0
	v_cndmask_b32_e32 v1, v1, v2, vcc
; %bb.1066:
	s_or_b64 exec, exec, s[14:15]
	global_store_byte v[5:6], v1, off
.LBB127_1067:
	s_mov_b64 s[14:15], 0
.LBB127_1068:
	s_andn2_b64 vcc, exec, s[14:15]
	s_mov_b64 s[14:15], 0
	s_cbranch_vccnz .LBB127_1081
; %bb.1069:
	s_cmp_gt_i32 s21, 14
	s_mov_b64 s[16:17], -1
	s_cbranch_scc0 .LBB127_1073
; %bb.1070:
	s_cmp_eq_u32 s21, 15
	s_mov_b64 s[0:1], -1
	s_cbranch_scc0 .LBB127_1072
; %bb.1071:
	v_cndmask_b32_e64 v0, 0, 1.0, s[8:9]
	v_bfe_u32 v1, v0, 16, 1
	s_movk_i32 s0, 0x7fff
	v_add3_u32 v0, v0, v1, s0
	global_store_short_d16_hi v[5:6], v0, off
	s_mov_b64 s[0:1], 0
.LBB127_1072:
	s_mov_b64 s[16:17], 0
.LBB127_1073:
	s_and_b64 vcc, exec, s[16:17]
	s_cbranch_vccz .LBB127_1081
; %bb.1074:
	s_cmp_lg_u32 s21, 11
	s_cselect_b64 s[16:17], -1, 0
	s_andn2_b64 s[0:1], s[0:1], exec
	s_and_b64 s[16:17], s[16:17], exec
	s_mov_b64 s[14:15], -1
	s_or_b64 s[0:1], s[0:1], s[16:17]
	s_branch .LBB127_1081
.LBB127_1075:
	s_or_b64 exec, exec, s[10:11]
	s_and_saveexec_b64 s[0:1], s[58:59]
	s_cbranch_execnz .LBB127_1082
.LBB127_1076:
	s_or_b64 exec, exec, s[0:1]
	s_and_saveexec_b64 s[0:1], s[14:15]
	s_xor_b64 s[0:1], exec, s[0:1]
	s_cbranch_execz .LBB127_1083
.LBB127_1077:
	s_waitcnt vmcnt(0)
	v_cndmask_b32_e64 v0, 0, 1, s[8:9]
	global_store_byte v[5:6], v0, off
	s_or_b64 exec, exec, s[0:1]
	s_and_saveexec_b64 s[0:1], s[12:13]
	s_xor_b64 s[0:1], exec, s[0:1]
	s_cbranch_execz .LBB127_1121
	s_branch .LBB127_1084
.LBB127_1078:
	s_mov_b64 s[12:13], -1
	s_mov_b64 s[0:1], s[58:59]
	s_branch .LBB127_1081
.LBB127_1079:
                                        ; implicit-def: $sgpr8_sgpr9
	s_branch .LBB127_1000
.LBB127_1080:
	s_mov_b64 s[14:15], 0
.LBB127_1081:
	s_andn2_b64 s[16:17], s[58:59], exec
	s_and_b64 s[0:1], s[0:1], exec
	s_and_b64 s[12:13], s[12:13], exec
	;; [unrolled: 1-line block ×3, first 2 shown]
	s_or_b64 s[58:59], s[16:17], s[0:1]
	s_or_b64 exec, exec, s[10:11]
	s_and_saveexec_b64 s[0:1], s[58:59]
	s_cbranch_execz .LBB127_1076
.LBB127_1082:
	s_or_b64 s[2:3], s[2:3], exec
	s_andn2_b64 s[14:15], s[14:15], exec
	s_trap 2
	s_or_b64 exec, exec, s[0:1]
	s_and_saveexec_b64 s[0:1], s[14:15]
	s_xor_b64 s[0:1], exec, s[0:1]
	s_cbranch_execnz .LBB127_1077
.LBB127_1083:
	s_or_b64 exec, exec, s[0:1]
	s_and_saveexec_b64 s[0:1], s[12:13]
	s_xor_b64 s[0:1], exec, s[0:1]
	s_cbranch_execz .LBB127_1121
.LBB127_1084:
	s_sext_i32_i16 s12, s20
	s_cmp_lt_i32 s12, 5
	s_mov_b64 s[10:11], -1
	s_cbranch_scc1 .LBB127_1105
; %bb.1085:
	s_cmp_lt_i32 s12, 8
	s_cbranch_scc1 .LBB127_1095
; %bb.1086:
	s_cmp_lt_i32 s12, 9
	s_cbranch_scc1 .LBB127_1092
; %bb.1087:
	s_cmp_gt_i32 s12, 9
	s_cbranch_scc0 .LBB127_1089
; %bb.1088:
	s_waitcnt vmcnt(0)
	v_cndmask_b32_e64 v0, 0, 1, s[8:9]
	v_cvt_f64_u32_e32 v[0:1], v0
	v_mov_b32_e32 v2, 0
	v_mov_b32_e32 v3, v2
	s_mov_b64 s[10:11], 0
	global_store_dwordx4 v[5:6], v[0:3], off
.LBB127_1089:
	s_andn2_b64 vcc, exec, s[10:11]
	s_cbranch_vccnz .LBB127_1091
; %bb.1090:
	s_waitcnt vmcnt(0)
	v_cndmask_b32_e64 v0, 0, 1.0, s[8:9]
	v_mov_b32_e32 v1, 0
	global_store_dwordx2 v[5:6], v[0:1], off
.LBB127_1091:
	s_mov_b64 s[10:11], 0
.LBB127_1092:
	s_andn2_b64 vcc, exec, s[10:11]
	s_cbranch_vccnz .LBB127_1094
; %bb.1093:
	s_waitcnt vmcnt(0)
	v_cndmask_b32_e64 v0, 0, 1.0, s[8:9]
	v_cvt_f16_f32_e32 v0, v0
	global_store_dword v[5:6], v0, off
.LBB127_1094:
	s_mov_b64 s[10:11], 0
.LBB127_1095:
	s_andn2_b64 vcc, exec, s[10:11]
	s_cbranch_vccnz .LBB127_1104
; %bb.1096:
	s_sext_i32_i16 s12, s20
	s_cmp_lt_i32 s12, 6
	s_mov_b64 s[10:11], -1
	s_cbranch_scc1 .LBB127_1102
; %bb.1097:
	s_cmp_gt_i32 s12, 6
	s_cbranch_scc0 .LBB127_1099
; %bb.1098:
	s_waitcnt vmcnt(0)
	v_cndmask_b32_e64 v0, 0, 1, s[8:9]
	v_cvt_f64_u32_e32 v[0:1], v0
	s_mov_b64 s[10:11], 0
	global_store_dwordx2 v[5:6], v[0:1], off
.LBB127_1099:
	s_andn2_b64 vcc, exec, s[10:11]
	s_cbranch_vccnz .LBB127_1101
; %bb.1100:
	s_waitcnt vmcnt(0)
	v_cndmask_b32_e64 v0, 0, 1.0, s[8:9]
	global_store_dword v[5:6], v0, off
.LBB127_1101:
	s_mov_b64 s[10:11], 0
.LBB127_1102:
	s_andn2_b64 vcc, exec, s[10:11]
	s_cbranch_vccnz .LBB127_1104
; %bb.1103:
	s_waitcnt vmcnt(0)
	v_cndmask_b32_e64 v0, 0, 1.0, s[8:9]
	v_cvt_f16_f32_e32 v0, v0
	global_store_short v[5:6], v0, off
.LBB127_1104:
	s_mov_b64 s[10:11], 0
.LBB127_1105:
	s_andn2_b64 vcc, exec, s[10:11]
	s_cbranch_vccnz .LBB127_1121
; %bb.1106:
	s_sext_i32_i16 s12, s20
	s_cmp_lt_i32 s12, 2
	s_mov_b64 s[10:11], -1
	s_cbranch_scc1 .LBB127_1116
; %bb.1107:
	s_cmp_lt_i32 s12, 3
	s_cbranch_scc1 .LBB127_1113
; %bb.1108:
	s_cmp_gt_i32 s12, 3
	s_cbranch_scc0 .LBB127_1110
; %bb.1109:
	s_mov_b32 s10, 0
	s_waitcnt vmcnt(0)
	v_cndmask_b32_e64 v0, 0, 1, s[8:9]
	v_mov_b32_e32 v1, s10
	s_mov_b64 s[10:11], 0
	global_store_dwordx2 v[5:6], v[0:1], off
.LBB127_1110:
	s_andn2_b64 vcc, exec, s[10:11]
	s_cbranch_vccnz .LBB127_1112
; %bb.1111:
	s_waitcnt vmcnt(0)
	v_cndmask_b32_e64 v0, 0, 1, s[8:9]
	global_store_dword v[5:6], v0, off
.LBB127_1112:
	s_mov_b64 s[10:11], 0
.LBB127_1113:
	s_andn2_b64 vcc, exec, s[10:11]
	s_cbranch_vccnz .LBB127_1115
; %bb.1114:
	s_waitcnt vmcnt(0)
	v_cndmask_b32_e64 v0, 0, 1, s[8:9]
	global_store_short v[5:6], v0, off
.LBB127_1115:
	s_mov_b64 s[10:11], 0
.LBB127_1116:
	s_andn2_b64 vcc, exec, s[10:11]
	s_cbranch_vccnz .LBB127_1121
; %bb.1117:
	s_sext_i32_i16 s10, s20
	s_cmp_gt_i32 s10, 0
	s_mov_b64 s[10:11], -1
	s_cbranch_scc0 .LBB127_1119
; %bb.1118:
	s_waitcnt vmcnt(0)
	v_cndmask_b32_e64 v0, 0, 1, s[8:9]
	s_mov_b64 s[10:11], 0
	global_store_byte v[5:6], v0, off
.LBB127_1119:
	s_andn2_b64 vcc, exec, s[10:11]
	s_cbranch_vccnz .LBB127_1121
; %bb.1120:
	s_waitcnt vmcnt(0)
	v_cndmask_b32_e64 v0, 0, 1, s[8:9]
	global_store_byte v[5:6], v0, off
.LBB127_1121:
	s_or_b64 exec, exec, s[0:1]
	s_and_b64 s[28:29], s[2:3], exec
                                        ; implicit-def: $vgpr2
                                        ; implicit-def: $vgpr7
.LBB127_1122:
	s_or_saveexec_b64 s[30:31], s[46:47]
	s_mov_b64 s[0:1], 0
                                        ; implicit-def: $sgpr10_sgpr11
                                        ; implicit-def: $vgpr0_vgpr1
                                        ; implicit-def: $sgpr22
	s_xor_b64 exec, exec, s[30:31]
	s_cbranch_execz .LBB127_1728
; %bb.1123:
	s_waitcnt vmcnt(0)
	v_cndmask_b32_e64 v0, 0, 1, s[44:45]
	v_cmp_ne_u32_e64 s[0:1], 1, v0
	s_andn2_b64 vcc, exec, s[44:45]
	s_cbranch_vccnz .LBB127_1129
; %bb.1124:
	s_cmp_lg_u32 s33, 0
	s_mov_b32 s36, 0
	s_cbranch_scc0 .LBB127_1130
; %bb.1125:
	s_min_u32 s37, s78, 15
	s_add_i32 s37, s37, 1
	s_cmp_eq_u32 s78, 2
	s_cbranch_scc1 .LBB127_1131
; %bb.1126:
	s_and_b32 s36, s37, 28
	s_add_u32 s2, s34, 0xc4
	s_addc_u32 s3, s35, 0
	v_mov_b32_e32 v0, 0
	s_mov_b32 s38, 0
	s_mov_b64 s[6:7], s[34:35]
	v_mov_b32_e32 v10, 0
	v_mov_b32_e32 v1, v7
.LBB127_1127:                           ; =>This Inner Loop Header: Depth=1
	s_load_dwordx8 s[16:23], s[6:7], 0x4
	s_load_dwordx4 s[24:27], s[6:7], 0x24
	s_load_dwordx8 s[8:15], s[2:3], 0x0
	s_add_u32 s6, s6, 48
	s_addc_u32 s7, s7, 0
	s_waitcnt lgkmcnt(0)
	v_mul_hi_u32 v3, s17, v1
	s_add_i32 s38, s38, 4
	s_add_u32 s2, s2, 32
	s_addc_u32 s3, s3, 0
	v_add_u32_e32 v3, v1, v3
	v_lshrrev_b32_e32 v3, s18, v3
	v_mul_lo_u32 v4, v3, s16
	v_mul_hi_u32 v5, s20, v3
	s_cmp_lg_u32 s36, s38
	v_sub_u32_e32 v1, v1, v4
	v_add_u32_e32 v4, v3, v5
	v_mul_lo_u32 v5, v1, s8
	v_mul_lo_u32 v6, v1, s9
	v_lshrrev_b32_e32 v1, s21, v4
	v_mul_lo_u32 v4, v1, s19
	v_mul_hi_u32 v8, s23, v1
	v_sub_u32_e32 v3, v3, v4
	v_add_u32_e32 v4, v1, v8
	v_lshrrev_b32_e32 v4, s24, v4
	v_mul_hi_u32 v9, s26, v4
	v_mul_lo_u32 v11, v4, s22
	v_mul_lo_u32 v8, v3, s10
	;; [unrolled: 1-line block ×3, first 2 shown]
	v_sub_u32_e32 v11, v1, v11
	v_add_u32_e32 v1, v4, v9
	v_lshrrev_b32_e32 v1, s27, v1
	v_mul_lo_u32 v9, v1, s25
	v_mul_lo_u32 v12, v11, s12
	;; [unrolled: 1-line block ×3, first 2 shown]
	v_add3_u32 v5, v5, v10, v8
	v_sub_u32_e32 v4, v4, v9
	v_mul_lo_u32 v9, v4, s14
	v_mul_lo_u32 v4, v4, s15
	v_add3_u32 v0, v6, v0, v3
	v_add3_u32 v10, v12, v5, v9
	v_add3_u32 v0, v11, v0, v4
	s_cbranch_scc1 .LBB127_1127
; %bb.1128:
	s_and_b32 s8, s37, 3
	s_cmp_eq_u32 s8, 0
	s_cbranch_scc0 .LBB127_1132
	s_branch .LBB127_1134
.LBB127_1129:
                                        ; implicit-def: $vgpr10
                                        ; implicit-def: $vgpr0
	s_branch .LBB127_1135
.LBB127_1130:
	v_mov_b32_e32 v10, 0
	v_mov_b32_e32 v0, 0
	s_branch .LBB127_1134
.LBB127_1131:
	v_mov_b32_e32 v10, 0
	v_mov_b32_e32 v0, 0
	;; [unrolled: 1-line block ×3, first 2 shown]
	s_and_b32 s8, s37, 3
	s_cmp_eq_u32 s8, 0
	s_cbranch_scc1 .LBB127_1134
.LBB127_1132:
	s_lshl_b32 s2, s36, 3
	s_add_u32 s2, s34, s2
	s_addc_u32 s3, s35, 0
	s_add_u32 s2, s2, 0xc4
	s_addc_u32 s3, s3, 0
	s_mul_i32 s6, s36, 12
	s_add_u32 s6, s34, s6
	s_addc_u32 s7, s35, 0
.LBB127_1133:                           ; =>This Inner Loop Header: Depth=1
	s_load_dwordx2 s[10:11], s[6:7], 0x4
	s_load_dword s9, s[6:7], 0xc
	s_load_dwordx2 s[12:13], s[2:3], 0x0
	s_add_u32 s6, s6, 12
	s_addc_u32 s7, s7, 0
	s_waitcnt lgkmcnt(0)
	v_mul_hi_u32 v3, s11, v1
	s_add_u32 s2, s2, 8
	s_addc_u32 s3, s3, 0
	s_add_i32 s8, s8, -1
	v_add_u32_e32 v3, v1, v3
	v_lshrrev_b32_e32 v3, s9, v3
	v_mul_lo_u32 v4, v3, s10
	s_cmp_lg_u32 s8, 0
	v_sub_u32_e32 v1, v1, v4
	v_mad_u64_u32 v[10:11], s[10:11], v1, s12, v[10:11]
	v_mad_u64_u32 v[0:1], s[10:11], v1, s13, v[0:1]
	v_mov_b32_e32 v1, v3
	s_cbranch_scc1 .LBB127_1133
.LBB127_1134:
	s_cbranch_execnz .LBB127_1137
.LBB127_1135:
	s_load_dwordx4 s[8:11], s[34:35], 0x4
	s_load_dwordx2 s[2:3], s[34:35], 0xc4
	s_cmp_lt_u32 s33, 2
	s_waitcnt lgkmcnt(0)
	v_mul_hi_u32 v0, s9, v7
	v_add_u32_e32 v0, v7, v0
	v_lshrrev_b32_e32 v1, s10, v0
	v_mul_lo_u32 v0, v1, s8
	v_sub_u32_e32 v0, v7, v0
	v_mul_lo_u32 v10, v0, s2
	v_mul_lo_u32 v0, v0, s3
	s_cbranch_scc1 .LBB127_1137
; %bb.1136:
	s_load_dwordx4 s[8:11], s[34:35], 0x10
	s_load_dwordx2 s[2:3], s[34:35], 0xcc
	s_waitcnt lgkmcnt(0)
	v_mul_hi_u32 v3, s9, v1
	v_add_u32_e32 v3, v1, v3
	v_lshrrev_b32_e32 v3, s10, v3
	v_mul_lo_u32 v3, v3, s8
	v_sub_u32_e32 v1, v1, v3
	v_mad_u64_u32 v[10:11], s[6:7], v1, s2, v[10:11]
	v_mad_u64_u32 v[0:1], s[2:3], v1, s3, v[0:1]
.LBB127_1137:
	s_and_b64 vcc, exec, s[0:1]
	v_add_u32_e32 v1, 0x80, v7
	s_cbranch_vccnz .LBB127_1143
; %bb.1138:
	s_cmp_lg_u32 s33, 0
	s_mov_b32 s36, 0
	s_cbranch_scc0 .LBB127_1144
; %bb.1139:
	s_min_u32 s37, s78, 15
	s_add_i32 s37, s37, 1
	s_cmp_eq_u32 s78, 2
	s_cbranch_scc1 .LBB127_1145
; %bb.1140:
	s_and_b32 s36, s37, 28
	s_add_u32 s2, s34, 0xc4
	s_addc_u32 s3, s35, 0
	v_mov_b32_e32 v15, 0
	s_mov_b32 s38, 0
	s_mov_b64 s[6:7], s[34:35]
	v_mov_b32_e32 v8, 0
	v_mov_b32_e32 v3, v1
.LBB127_1141:                           ; =>This Inner Loop Header: Depth=1
	s_load_dwordx8 s[16:23], s[6:7], 0x4
	s_load_dwordx4 s[24:27], s[6:7], 0x24
	s_load_dwordx8 s[8:15], s[2:3], 0x0
	s_add_u32 s6, s6, 48
	s_addc_u32 s7, s7, 0
	s_waitcnt lgkmcnt(0)
	v_mul_hi_u32 v4, s17, v3
	s_add_i32 s38, s38, 4
	s_add_u32 s2, s2, 32
	s_addc_u32 s3, s3, 0
	v_add_u32_e32 v4, v3, v4
	v_lshrrev_b32_e32 v4, s18, v4
	v_mul_lo_u32 v5, v4, s16
	v_mul_hi_u32 v6, s20, v4
	s_cmp_lg_u32 s36, s38
	v_sub_u32_e32 v3, v3, v5
	v_add_u32_e32 v5, v4, v6
	v_mul_lo_u32 v6, v3, s8
	v_mul_lo_u32 v9, v3, s9
	v_lshrrev_b32_e32 v3, s21, v5
	v_mul_lo_u32 v5, v3, s19
	v_mul_hi_u32 v11, s23, v3
	v_sub_u32_e32 v4, v4, v5
	v_add_u32_e32 v5, v3, v11
	v_lshrrev_b32_e32 v5, s24, v5
	v_mul_hi_u32 v12, s26, v5
	v_mul_lo_u32 v13, v5, s22
	v_mul_lo_u32 v11, v4, s10
	;; [unrolled: 1-line block ×3, first 2 shown]
	v_sub_u32_e32 v13, v3, v13
	v_add_u32_e32 v3, v5, v12
	v_lshrrev_b32_e32 v3, s27, v3
	v_mul_lo_u32 v12, v3, s25
	v_mul_lo_u32 v14, v13, s12
	;; [unrolled: 1-line block ×3, first 2 shown]
	v_add3_u32 v6, v6, v8, v11
	v_sub_u32_e32 v5, v5, v12
	v_mul_lo_u32 v12, v5, s14
	v_mul_lo_u32 v5, v5, s15
	v_add3_u32 v4, v9, v15, v4
	v_add3_u32 v8, v14, v6, v12
	;; [unrolled: 1-line block ×3, first 2 shown]
	s_cbranch_scc1 .LBB127_1141
; %bb.1142:
	s_and_b32 s8, s37, 3
	s_cmp_eq_u32 s8, 0
	s_cbranch_scc0 .LBB127_1146
	s_branch .LBB127_1148
.LBB127_1143:
                                        ; implicit-def: $vgpr8
                                        ; implicit-def: $vgpr15
	s_branch .LBB127_1149
.LBB127_1144:
	v_mov_b32_e32 v8, 0
	v_mov_b32_e32 v15, 0
	s_branch .LBB127_1148
.LBB127_1145:
	v_mov_b32_e32 v8, 0
	v_mov_b32_e32 v15, 0
	;; [unrolled: 1-line block ×3, first 2 shown]
	s_and_b32 s8, s37, 3
	s_cmp_eq_u32 s8, 0
	s_cbranch_scc1 .LBB127_1148
.LBB127_1146:
	s_lshl_b32 s2, s36, 3
	s_add_u32 s2, s34, s2
	s_addc_u32 s3, s35, 0
	s_add_u32 s2, s2, 0xc4
	s_addc_u32 s3, s3, 0
	s_mul_i32 s6, s36, 12
	s_add_u32 s6, s34, s6
	s_addc_u32 s7, s35, 0
.LBB127_1147:                           ; =>This Inner Loop Header: Depth=1
	s_load_dwordx2 s[10:11], s[6:7], 0x4
	s_load_dword s9, s[6:7], 0xc
	s_load_dwordx2 s[12:13], s[2:3], 0x0
	s_add_u32 s6, s6, 12
	s_addc_u32 s7, s7, 0
	s_waitcnt lgkmcnt(0)
	v_mul_hi_u32 v4, s11, v3
	s_add_u32 s2, s2, 8
	s_addc_u32 s3, s3, 0
	s_add_i32 s8, s8, -1
	v_add_u32_e32 v4, v3, v4
	v_lshrrev_b32_e32 v4, s9, v4
	v_mul_lo_u32 v5, v4, s10
	s_cmp_lg_u32 s8, 0
	v_sub_u32_e32 v3, v3, v5
	v_mad_u64_u32 v[8:9], s[10:11], v3, s12, v[8:9]
	v_mad_u64_u32 v[15:16], s[10:11], v3, s13, v[15:16]
	v_mov_b32_e32 v3, v4
	s_cbranch_scc1 .LBB127_1147
.LBB127_1148:
	s_cbranch_execnz .LBB127_1151
.LBB127_1149:
	s_load_dwordx4 s[8:11], s[34:35], 0x4
	s_load_dwordx2 s[2:3], s[34:35], 0xc4
	s_cmp_lt_u32 s33, 2
	s_waitcnt lgkmcnt(0)
	v_mul_hi_u32 v3, s9, v1
	v_add_u32_e32 v3, v1, v3
	v_lshrrev_b32_e32 v3, s10, v3
	v_mul_lo_u32 v4, v3, s8
	v_sub_u32_e32 v1, v1, v4
	v_mul_lo_u32 v8, v1, s2
	v_mul_lo_u32 v15, v1, s3
	s_cbranch_scc1 .LBB127_1151
; %bb.1150:
	s_load_dwordx4 s[8:11], s[34:35], 0x10
	s_load_dwordx2 s[2:3], s[34:35], 0xcc
	s_waitcnt lgkmcnt(0)
	v_mul_hi_u32 v1, s9, v3
	v_add_u32_e32 v1, v3, v1
	v_lshrrev_b32_e32 v1, s10, v1
	v_mul_lo_u32 v1, v1, s8
	v_sub_u32_e32 v1, v3, v1
	v_mad_u64_u32 v[8:9], s[6:7], v1, s2, v[8:9]
	v_mad_u64_u32 v[15:16], s[2:3], v1, s3, v[15:16]
.LBB127_1151:
	s_and_b64 vcc, exec, s[0:1]
	v_add_u32_e32 v1, 0x100, v7
	s_cbranch_vccnz .LBB127_1157
; %bb.1152:
	s_cmp_lg_u32 s33, 0
	s_mov_b32 s36, 0
	s_cbranch_scc0 .LBB127_1158
; %bb.1153:
	s_min_u32 s37, s78, 15
	s_add_i32 s37, s37, 1
	s_cmp_eq_u32 s78, 2
	s_cbranch_scc1 .LBB127_1159
; %bb.1154:
	s_and_b32 s36, s37, 28
	s_add_u32 s2, s34, 0xc4
	s_addc_u32 s3, s35, 0
	v_mov_b32_e32 v13, 0
	s_mov_b32 s38, 0
	s_mov_b64 s[6:7], s[34:35]
	v_mov_b32_e32 v6, 0
	v_mov_b32_e32 v3, v1
.LBB127_1155:                           ; =>This Inner Loop Header: Depth=1
	s_load_dwordx8 s[16:23], s[6:7], 0x4
	s_load_dwordx4 s[24:27], s[6:7], 0x24
	s_load_dwordx8 s[8:15], s[2:3], 0x0
	s_add_u32 s6, s6, 48
	s_addc_u32 s7, s7, 0
	s_waitcnt lgkmcnt(0)
	v_mul_hi_u32 v4, s17, v3
	s_add_i32 s38, s38, 4
	s_add_u32 s2, s2, 32
	s_addc_u32 s3, s3, 0
	v_add_u32_e32 v4, v3, v4
	v_lshrrev_b32_e32 v4, s18, v4
	v_mul_lo_u32 v5, v4, s16
	v_mul_hi_u32 v7, s20, v4
	s_cmp_lg_u32 s36, s38
	v_sub_u32_e32 v3, v3, v5
	v_add_u32_e32 v5, v4, v7
	v_mul_lo_u32 v7, v3, s8
	v_mul_lo_u32 v9, v3, s9
	v_lshrrev_b32_e32 v3, s21, v5
	v_mul_lo_u32 v5, v3, s19
	v_mul_hi_u32 v11, s23, v3
	v_sub_u32_e32 v4, v4, v5
	v_add_u32_e32 v5, v3, v11
	v_lshrrev_b32_e32 v5, s24, v5
	v_mul_hi_u32 v12, s26, v5
	v_mul_lo_u32 v14, v5, s22
	v_mul_lo_u32 v11, v4, s10
	;; [unrolled: 1-line block ×3, first 2 shown]
	v_sub_u32_e32 v14, v3, v14
	v_add_u32_e32 v3, v5, v12
	v_lshrrev_b32_e32 v3, s27, v3
	v_mul_lo_u32 v12, v3, s25
	v_mul_lo_u32 v16, v14, s12
	;; [unrolled: 1-line block ×3, first 2 shown]
	v_add3_u32 v6, v7, v6, v11
	v_sub_u32_e32 v5, v5, v12
	v_mul_lo_u32 v12, v5, s14
	v_mul_lo_u32 v5, v5, s15
	v_add3_u32 v4, v9, v13, v4
	v_add3_u32 v6, v16, v6, v12
	;; [unrolled: 1-line block ×3, first 2 shown]
	s_cbranch_scc1 .LBB127_1155
; %bb.1156:
	s_and_b32 s8, s37, 3
	s_cmp_eq_u32 s8, 0
	s_cbranch_scc0 .LBB127_1160
	s_branch .LBB127_1162
.LBB127_1157:
                                        ; implicit-def: $vgpr6
                                        ; implicit-def: $vgpr13
	s_branch .LBB127_1163
.LBB127_1158:
	v_mov_b32_e32 v6, 0
	v_mov_b32_e32 v13, 0
	s_branch .LBB127_1162
.LBB127_1159:
	v_mov_b32_e32 v6, 0
	v_mov_b32_e32 v13, 0
	;; [unrolled: 1-line block ×3, first 2 shown]
	s_and_b32 s8, s37, 3
	s_cmp_eq_u32 s8, 0
	s_cbranch_scc1 .LBB127_1162
.LBB127_1160:
	s_lshl_b32 s2, s36, 3
	s_add_u32 s2, s34, s2
	s_addc_u32 s3, s35, 0
	s_add_u32 s2, s2, 0xc4
	s_addc_u32 s3, s3, 0
	s_mul_i32 s6, s36, 12
	s_add_u32 s6, s34, s6
	s_addc_u32 s7, s35, 0
.LBB127_1161:                           ; =>This Inner Loop Header: Depth=1
	s_load_dwordx2 s[10:11], s[6:7], 0x4
	s_load_dword s9, s[6:7], 0xc
	s_load_dwordx2 s[12:13], s[2:3], 0x0
	s_add_u32 s6, s6, 12
	s_addc_u32 s7, s7, 0
	s_waitcnt lgkmcnt(0)
	v_mul_hi_u32 v4, s11, v3
	s_add_u32 s2, s2, 8
	s_addc_u32 s3, s3, 0
	s_add_i32 s8, s8, -1
	v_add_u32_e32 v4, v3, v4
	v_lshrrev_b32_e32 v4, s9, v4
	v_mul_lo_u32 v5, v4, s10
	s_cmp_lg_u32 s8, 0
	v_sub_u32_e32 v3, v3, v5
	v_mad_u64_u32 v[6:7], s[10:11], v3, s12, v[6:7]
	v_mad_u64_u32 v[13:14], s[10:11], v3, s13, v[13:14]
	v_mov_b32_e32 v3, v4
	s_cbranch_scc1 .LBB127_1161
.LBB127_1162:
	s_cbranch_execnz .LBB127_1165
.LBB127_1163:
	s_load_dwordx4 s[8:11], s[34:35], 0x4
	s_load_dwordx2 s[2:3], s[34:35], 0xc4
	s_cmp_lt_u32 s33, 2
	s_waitcnt lgkmcnt(0)
	v_mul_hi_u32 v3, s9, v1
	v_add_u32_e32 v3, v1, v3
	v_lshrrev_b32_e32 v3, s10, v3
	v_mul_lo_u32 v4, v3, s8
	v_sub_u32_e32 v1, v1, v4
	v_mul_lo_u32 v6, v1, s2
	v_mul_lo_u32 v13, v1, s3
	s_cbranch_scc1 .LBB127_1165
; %bb.1164:
	s_load_dwordx4 s[8:11], s[34:35], 0x10
	s_load_dwordx2 s[2:3], s[34:35], 0xcc
	s_waitcnt lgkmcnt(0)
	v_mul_hi_u32 v1, s9, v3
	v_add_u32_e32 v1, v3, v1
	v_lshrrev_b32_e32 v1, s10, v1
	v_mul_lo_u32 v1, v1, s8
	v_sub_u32_e32 v1, v3, v1
	v_mad_u64_u32 v[6:7], s[6:7], v1, s2, v[6:7]
	v_mad_u64_u32 v[13:14], s[2:3], v1, s3, v[13:14]
.LBB127_1165:
	s_and_b64 vcc, exec, s[0:1]
	s_cbranch_vccnz .LBB127_1171
; %bb.1166:
	s_cmp_lg_u32 s33, 0
	s_mov_b32 s26, 0
	s_cbranch_scc0 .LBB127_1172
; %bb.1167:
	s_min_u32 s27, s78, 15
	s_add_i32 s27, s27, 1
	s_cmp_eq_u32 s78, 2
	s_cbranch_scc1 .LBB127_1173
; %bb.1168:
	s_and_b32 s26, s27, 28
	s_add_u32 s6, s34, 0xc4
	s_addc_u32 s7, s35, 0
	v_mov_b32_e32 v11, 0
	s_mov_b32 s36, 0
	s_mov_b64 s[24:25], s[34:35]
	v_mov_b32_e32 v4, 0
	v_mov_b32_e32 v1, v2
.LBB127_1169:                           ; =>This Inner Loop Header: Depth=1
	s_load_dwordx8 s[16:23], s[24:25], 0x4
	s_load_dwordx4 s[0:3], s[24:25], 0x24
	s_load_dwordx8 s[8:15], s[6:7], 0x0
	s_add_u32 s24, s24, 48
	s_addc_u32 s25, s25, 0
	s_waitcnt lgkmcnt(0)
	v_mul_hi_u32 v3, s17, v1
	s_add_i32 s36, s36, 4
	s_add_u32 s6, s6, 32
	s_addc_u32 s7, s7, 0
	v_add_u32_e32 v3, v1, v3
	v_lshrrev_b32_e32 v3, s18, v3
	v_mul_lo_u32 v5, v3, s16
	v_mul_hi_u32 v7, s20, v3
	s_cmp_lg_u32 s26, s36
	v_sub_u32_e32 v1, v1, v5
	v_add_u32_e32 v5, v3, v7
	v_mul_lo_u32 v7, v1, s8
	v_mul_lo_u32 v9, v1, s9
	v_lshrrev_b32_e32 v1, s21, v5
	v_mul_lo_u32 v5, v1, s19
	v_mul_hi_u32 v12, s23, v1
	v_sub_u32_e32 v3, v3, v5
	v_add_u32_e32 v5, v1, v12
	v_lshrrev_b32_e32 v5, s0, v5
	v_mul_hi_u32 v14, s2, v5
	v_mul_lo_u32 v16, v5, s22
	v_mul_lo_u32 v12, v3, s10
	;; [unrolled: 1-line block ×3, first 2 shown]
	v_sub_u32_e32 v16, v1, v16
	v_add_u32_e32 v1, v5, v14
	v_lshrrev_b32_e32 v1, s3, v1
	v_mul_lo_u32 v14, v1, s1
	v_mul_lo_u32 v17, v16, s12
	;; [unrolled: 1-line block ×3, first 2 shown]
	v_add3_u32 v4, v7, v4, v12
	v_sub_u32_e32 v5, v5, v14
	v_mul_lo_u32 v14, v5, s14
	v_mul_lo_u32 v5, v5, s15
	v_add3_u32 v3, v9, v11, v3
	v_add3_u32 v4, v17, v4, v14
	;; [unrolled: 1-line block ×3, first 2 shown]
	s_cbranch_scc1 .LBB127_1169
; %bb.1170:
	s_and_b32 s6, s27, 3
	s_cmp_eq_u32 s6, 0
	s_cbranch_scc0 .LBB127_1174
	s_branch .LBB127_1176
.LBB127_1171:
                                        ; implicit-def: $vgpr4
                                        ; implicit-def: $vgpr11
	s_branch .LBB127_1177
.LBB127_1172:
	v_mov_b32_e32 v4, 0
	v_mov_b32_e32 v11, 0
	s_branch .LBB127_1176
.LBB127_1173:
	v_mov_b32_e32 v4, 0
	v_mov_b32_e32 v11, 0
	;; [unrolled: 1-line block ×3, first 2 shown]
	s_and_b32 s6, s27, 3
	s_cmp_eq_u32 s6, 0
	s_cbranch_scc1 .LBB127_1176
.LBB127_1174:
	s_lshl_b32 s0, s26, 3
	s_add_u32 s0, s34, s0
	s_addc_u32 s1, s35, 0
	s_add_u32 s0, s0, 0xc4
	s_addc_u32 s1, s1, 0
	s_mul_i32 s2, s26, 12
	s_add_u32 s2, s34, s2
	s_addc_u32 s3, s35, 0
.LBB127_1175:                           ; =>This Inner Loop Header: Depth=1
	s_load_dwordx2 s[8:9], s[2:3], 0x4
	s_load_dword s7, s[2:3], 0xc
	s_load_dwordx2 s[10:11], s[0:1], 0x0
	s_add_u32 s2, s2, 12
	s_addc_u32 s3, s3, 0
	s_waitcnt lgkmcnt(0)
	v_mul_hi_u32 v3, s9, v1
	s_add_u32 s0, s0, 8
	s_addc_u32 s1, s1, 0
	s_add_i32 s6, s6, -1
	v_add_u32_e32 v3, v1, v3
	v_lshrrev_b32_e32 v3, s7, v3
	v_mul_lo_u32 v5, v3, s8
	s_cmp_lg_u32 s6, 0
	v_sub_u32_e32 v1, v1, v5
	v_mad_u64_u32 v[4:5], s[8:9], v1, s10, v[4:5]
	v_mad_u64_u32 v[11:12], s[8:9], v1, s11, v[11:12]
	v_mov_b32_e32 v1, v3
	s_cbranch_scc1 .LBB127_1175
.LBB127_1176:
	s_cbranch_execnz .LBB127_1179
.LBB127_1177:
	s_load_dwordx4 s[0:3], s[34:35], 0x4
	s_load_dwordx2 s[6:7], s[34:35], 0xc4
	s_cmp_lt_u32 s33, 2
	s_waitcnt lgkmcnt(0)
	v_mul_hi_u32 v1, s1, v2
	v_add_u32_e32 v1, v2, v1
	v_lshrrev_b32_e32 v1, s2, v1
	v_mul_lo_u32 v3, v1, s0
	v_sub_u32_e32 v2, v2, v3
	v_mul_lo_u32 v4, v2, s6
	v_mul_lo_u32 v11, v2, s7
	s_cbranch_scc1 .LBB127_1179
; %bb.1178:
	s_load_dwordx4 s[0:3], s[34:35], 0x10
	s_load_dwordx2 s[6:7], s[34:35], 0xcc
	s_waitcnt lgkmcnt(0)
	v_mul_hi_u32 v2, s1, v1
	v_add_u32_e32 v2, v1, v2
	v_lshrrev_b32_e32 v2, s2, v2
	v_mul_lo_u32 v2, v2, s0
	v_sub_u32_e32 v1, v1, v2
	v_mad_u64_u32 v[4:5], s[0:1], v1, s6, v[4:5]
	v_mad_u64_u32 v[11:12], s[0:1], v1, s7, v[11:12]
.LBB127_1179:
	s_load_dwordx4 s[8:11], s[34:35], 0x148
	s_load_dword s14, s[4:5], 0x190
	s_waitcnt lgkmcnt(0)
	v_mov_b32_e32 v1, s11
	s_bfe_u32 s15, s14, 0x80008
	v_add_co_u32_e32 v16, vcc, s10, v0
	s_cmp_lt_i32 s15, 11
	v_addc_co_u32_e32 v17, vcc, 0, v1, vcc
	s_cbranch_scc1 .LBB127_1186
; %bb.1180:
	s_and_b32 s16, 0xffff, s15
	s_cmp_gt_i32 s16, 25
	s_mov_b64 s[4:5], 0
	s_cbranch_scc0 .LBB127_1188
; %bb.1181:
	s_cmp_gt_i32 s16, 28
	s_cbranch_scc0 .LBB127_1189
; %bb.1182:
	s_cmp_gt_i32 s16, 43
	;; [unrolled: 3-line block ×3, first 2 shown]
	s_cbranch_scc0 .LBB127_1191
; %bb.1184:
	s_cmp_eq_u32 s16, 46
	s_mov_b64 s[2:3], 0
	s_cbranch_scc0 .LBB127_1194
; %bb.1185:
	global_load_dword v0, v[16:17], off
	s_mov_b64 s[0:1], 0
	s_mov_b64 s[6:7], -1
	s_waitcnt vmcnt(0)
	v_and_b32_e32 v2, 0xffff0000, v0
	v_lshlrev_b32_e32 v0, 16, v0
	v_cvt_f64_f32_e32 v[0:1], v0
	v_cvt_f64_f32_e32 v[2:3], v2
	s_branch .LBB127_1195
.LBB127_1186:
	s_mov_b64 s[6:7], 0
                                        ; implicit-def: $vgpr2_vgpr3
	s_mov_b64 s[2:3], s[28:29]
	s_cbranch_execnz .LBB127_1261
.LBB127_1187:
	s_andn2_b64 vcc, exec, s[6:7]
	s_cbranch_vccz .LBB127_1308
	s_branch .LBB127_1725
.LBB127_1188:
	s_mov_b64 s[6:7], 0
	s_mov_b64 s[0:1], 0
                                        ; implicit-def: $vgpr2_vgpr3
	s_cbranch_execnz .LBB127_1227
	s_branch .LBB127_1257
.LBB127_1189:
	s_mov_b64 s[6:7], 0
	s_mov_b64 s[0:1], 0
                                        ; implicit-def: $vgpr2_vgpr3
	s_cbranch_execnz .LBB127_1207
	s_branch .LBB127_1226
.LBB127_1190:
	s_mov_b64 s[2:3], -1
	s_mov_b64 s[6:7], 0
	s_mov_b64 s[0:1], 0
                                        ; implicit-def: $vgpr2_vgpr3
	s_branch .LBB127_1201
.LBB127_1191:
	s_mov_b64 s[2:3], -1
	s_mov_b64 s[6:7], 0
	s_mov_b64 s[0:1], 0
                                        ; implicit-def: $vgpr2_vgpr3
	s_branch .LBB127_1195
.LBB127_1192:
	s_andn2_saveexec_b64 s[16:17], s[16:17]
	s_cbranch_execz .LBB127_1030
.LBB127_1193:
	v_add_f32_e32 v0, 0x46000000, v1
	v_and_b32_e32 v0, 0xff, v0
	v_cmp_ne_u32_e32 vcc, 0, v0
	s_andn2_b64 s[14:15], s[14:15], exec
	s_and_b64 s[18:19], vcc, exec
	s_or_b64 s[14:15], s[14:15], s[18:19]
	s_or_b64 exec, exec, s[16:17]
	v_mov_b32_e32 v2, 0
	s_and_saveexec_b64 s[16:17], s[14:15]
	s_cbranch_execnz .LBB127_1031
	s_branch .LBB127_1032
.LBB127_1194:
	s_mov_b64 s[0:1], -1
                                        ; implicit-def: $vgpr2_vgpr3
	s_mov_b64 s[6:7], 0
.LBB127_1195:
	s_and_b64 vcc, exec, s[2:3]
	s_cbranch_vccz .LBB127_1200
; %bb.1196:
	s_cmp_eq_u32 s16, 44
	s_cbranch_scc0 .LBB127_1198
; %bb.1197:
	global_load_ubyte v2, v[16:17], off
	s_movk_i32 s2, 0xff
	v_bfrev_b32_e32 v3, 4
	v_mov_b32_e32 v5, 0x7ff80000
	v_bfrev_b32_e32 v7, 28
	s_mov_b64 s[0:1], 0
	s_mov_b64 s[6:7], -1
	s_waitcnt vmcnt(0)
	v_lshlrev_b32_e32 v0, 23, v2
	v_cvt_f64_f32_e32 v[0:1], v0
	v_cmp_ne_u32_e32 vcc, s2, v2
	v_cndmask_b32_e32 v0, v3, v0, vcc
	v_cndmask_b32_e32 v1, v5, v1, vcc
	v_cmp_ne_u32_e32 vcc, 0, v2
	v_cndmask_b32_e32 v1, v7, v1, vcc
	v_cndmask_b32_e32 v0, 0, v0, vcc
	s_branch .LBB127_1199
.LBB127_1198:
	s_mov_b64 s[0:1], -1
                                        ; implicit-def: $vgpr0_vgpr1
.LBB127_1199:
	v_mov_b32_e32 v2, 0
	v_mov_b32_e32 v3, 0
.LBB127_1200:
	s_mov_b64 s[2:3], 0
.LBB127_1201:
	s_and_b64 vcc, exec, s[2:3]
	s_cbranch_vccz .LBB127_1206
; %bb.1202:
	s_cmp_eq_u32 s16, 29
	s_cbranch_scc0 .LBB127_1204
; %bb.1203:
	global_load_dwordx2 v[0:1], v[16:17], off
	s_mov_b64 s[0:1], 0
	s_mov_b64 s[6:7], -1
	s_waitcnt vmcnt(0)
	v_cvt_f64_u32_e32 v[1:2], v1
	v_cvt_f64_u32_e32 v[18:19], v0
	v_ldexp_f64 v[1:2], v[1:2], 32
	v_add_f64 v[0:1], v[1:2], v[18:19]
	s_branch .LBB127_1205
.LBB127_1204:
	s_mov_b64 s[0:1], -1
                                        ; implicit-def: $vgpr0_vgpr1
.LBB127_1205:
	v_mov_b32_e32 v2, 0
	v_mov_b32_e32 v3, 0
.LBB127_1206:
	s_branch .LBB127_1226
.LBB127_1207:
	s_cmp_lt_i32 s16, 27
	s_cbranch_scc1 .LBB127_1210
; %bb.1208:
	s_cmp_gt_i32 s16, 27
	s_cbranch_scc0 .LBB127_1211
; %bb.1209:
	global_load_dword v0, v[16:17], off
	s_mov_b64 s[2:3], 0
	s_waitcnt vmcnt(0)
	v_cvt_f64_u32_e32 v[0:1], v0
	s_branch .LBB127_1212
.LBB127_1210:
	s_mov_b64 s[2:3], -1
                                        ; implicit-def: $vgpr0_vgpr1
	s_branch .LBB127_1215
.LBB127_1211:
	s_mov_b64 s[2:3], -1
                                        ; implicit-def: $vgpr0_vgpr1
.LBB127_1212:
	s_andn2_b64 vcc, exec, s[2:3]
	s_cbranch_vccnz .LBB127_1214
; %bb.1213:
	global_load_ushort v0, v[16:17], off
	s_waitcnt vmcnt(0)
	v_cvt_f64_u32_e32 v[0:1], v0
.LBB127_1214:
	s_mov_b64 s[2:3], 0
.LBB127_1215:
	s_andn2_b64 vcc, exec, s[2:3]
	s_cbranch_vccnz .LBB127_1225
; %bb.1216:
	global_load_ubyte v2, v[16:17], off
	s_movk_i32 s2, 0x7f
	s_waitcnt vmcnt(0)
	v_cmp_lt_i16_e32 vcc, s2, v2
	s_mov_b64 s[2:3], 0
	s_and_saveexec_b64 s[6:7], vcc
	s_xor_b64 s[6:7], exec, s[6:7]
	s_cbranch_execz .LBB127_1220
; %bb.1217:
	s_movk_i32 s2, 0x80
	v_cmp_eq_u16_e32 vcc, s2, v2
	s_mov_b64 s[2:3], -1
	s_and_saveexec_b64 s[12:13], vcc
; %bb.1218:
	s_xor_b64 s[2:3], exec, -1
; %bb.1219:
	s_or_b64 exec, exec, s[12:13]
	s_and_b64 s[2:3], s[2:3], exec
.LBB127_1220:
	s_or_saveexec_b64 s[6:7], s[6:7]
	v_bfrev_b32_e32 v0, 4
	v_mov_b32_e32 v1, 0x7ff80000
	s_xor_b64 exec, exec, s[6:7]
; %bb.1221:
	v_cmp_ne_u16_e32 vcc, 0, v2
	v_mov_b32_e32 v0, 0
	s_andn2_b64 s[2:3], s[2:3], exec
	s_and_b64 s[12:13], vcc, exec
	v_mov_b32_e32 v1, 0
	s_or_b64 s[2:3], s[2:3], s[12:13]
; %bb.1222:
	s_or_b64 exec, exec, s[6:7]
	s_and_saveexec_b64 s[6:7], s[2:3]
	s_cbranch_execz .LBB127_1224
; %bb.1223:
	v_and_b32_e32 v1, 0xffff, v2
	v_lshlrev_b32_e32 v0, 24, v2
	v_and_b32_e32 v2, 7, v1
	v_ffbh_u32_e32 v5, v2
	v_min_u32_e32 v5, 32, v5
	v_subrev_u32_e32 v7, 28, v5
	v_bfe_u32 v3, v1, 3, 4
	v_lshlrev_b32_e32 v1, v7, v1
	v_sub_u32_e32 v5, 29, v5
	v_and_b32_e32 v1, 7, v1
	v_cmp_eq_u32_e32 vcc, 0, v3
	v_cndmask_b32_e32 v3, v3, v5, vcc
	v_cndmask_b32_e32 v1, v2, v1, vcc
	v_mov_b32_e32 v2, 0x3b800000
	v_lshlrev_b32_e32 v1, 20, v1
	v_and_b32_e32 v0, 0x80000000, v0
	v_lshl_add_u32 v2, v3, 23, v2
	v_or3_b32 v0, v0, v2, v1
	v_cvt_f64_f32_e32 v[0:1], v0
.LBB127_1224:
	s_or_b64 exec, exec, s[6:7]
.LBB127_1225:
	v_mov_b32_e32 v2, 0
	v_mov_b32_e32 v3, 0
	s_mov_b64 s[6:7], -1
.LBB127_1226:
	s_branch .LBB127_1257
.LBB127_1227:
	s_cmp_gt_i32 s16, 22
	s_cbranch_scc0 .LBB127_1239
; %bb.1228:
	s_cmp_lt_i32 s16, 24
	s_cbranch_scc1 .LBB127_1240
; %bb.1229:
	s_cmp_gt_i32 s16, 24
	s_cbranch_scc0 .LBB127_1241
; %bb.1230:
	global_load_ubyte v2, v[16:17], off
	s_movk_i32 s2, 0x7f
	s_waitcnt vmcnt(0)
	v_cmp_lt_i16_e32 vcc, s2, v2
	s_mov_b64 s[2:3], 0
	s_and_saveexec_b64 s[4:5], vcc
	s_xor_b64 s[4:5], exec, s[4:5]
	s_cbranch_execz .LBB127_1234
; %bb.1231:
	s_movk_i32 s2, 0x80
	v_cmp_eq_u16_e32 vcc, s2, v2
	s_mov_b64 s[2:3], -1
	s_and_saveexec_b64 s[6:7], vcc
; %bb.1232:
	s_xor_b64 s[2:3], exec, -1
; %bb.1233:
	s_or_b64 exec, exec, s[6:7]
	s_and_b64 s[2:3], s[2:3], exec
.LBB127_1234:
	s_or_saveexec_b64 s[4:5], s[4:5]
	v_bfrev_b32_e32 v0, 4
	v_mov_b32_e32 v1, 0x7ff80000
	s_xor_b64 exec, exec, s[4:5]
; %bb.1235:
	v_cmp_ne_u16_e32 vcc, 0, v2
	v_mov_b32_e32 v0, 0
	s_andn2_b64 s[2:3], s[2:3], exec
	s_and_b64 s[6:7], vcc, exec
	v_mov_b32_e32 v1, 0
	s_or_b64 s[2:3], s[2:3], s[6:7]
; %bb.1236:
	s_or_b64 exec, exec, s[4:5]
	s_and_saveexec_b64 s[4:5], s[2:3]
	s_cbranch_execz .LBB127_1238
; %bb.1237:
	v_and_b32_e32 v1, 0xffff, v2
	v_lshlrev_b32_e32 v0, 24, v2
	v_and_b32_e32 v2, 3, v1
	v_ffbh_u32_e32 v5, v2
	v_min_u32_e32 v5, 32, v5
	v_subrev_u32_e32 v7, 29, v5
	v_bfe_u32 v3, v1, 2, 5
	v_lshlrev_b32_e32 v1, v7, v1
	v_sub_u32_e32 v5, 30, v5
	v_and_b32_e32 v1, 3, v1
	v_cmp_eq_u32_e32 vcc, 0, v3
	v_cndmask_b32_e32 v3, v3, v5, vcc
	v_cndmask_b32_e32 v1, v2, v1, vcc
	v_mov_b32_e32 v2, 0x37800000
	v_lshlrev_b32_e32 v1, 21, v1
	v_and_b32_e32 v0, 0x80000000, v0
	v_lshl_add_u32 v2, v3, 23, v2
	v_or3_b32 v0, v0, v2, v1
	v_cvt_f64_f32_e32 v[0:1], v0
.LBB127_1238:
	s_or_b64 exec, exec, s[4:5]
	s_mov_b64 s[2:3], 0
	s_branch .LBB127_1242
.LBB127_1239:
                                        ; implicit-def: $vgpr0_vgpr1
	s_mov_b64 s[4:5], 0
	s_branch .LBB127_1248
.LBB127_1240:
	s_mov_b64 s[2:3], -1
                                        ; implicit-def: $vgpr0_vgpr1
	s_branch .LBB127_1245
.LBB127_1241:
	s_mov_b64 s[2:3], -1
                                        ; implicit-def: $vgpr0_vgpr1
.LBB127_1242:
	s_and_b64 vcc, exec, s[2:3]
	s_cbranch_vccz .LBB127_1244
; %bb.1243:
	global_load_ubyte v0, v[16:17], off
	s_mov_b32 s2, 0x7f800000
	s_waitcnt vmcnt(0)
	v_lshlrev_b32_e32 v0, 24, v0
	v_and_b32_e32 v1, 0x7f000000, v0
	v_ffbh_u32_e32 v2, v1
	v_min_u32_e32 v2, 32, v2
	v_sub_u32_e64 v2, v2, 4 clamp
	v_lshlrev_b32_e32 v5, v2, v1
	v_lshlrev_b32_e32 v2, 23, v2
	v_lshrrev_b32_e32 v5, 4, v5
	v_add_u32_e32 v3, 0x1000000, v1
	v_sub_u32_e32 v2, v5, v2
	v_ashrrev_i32_e32 v3, 8, v3
	v_add_u32_e32 v2, 0x3c000000, v2
	v_and_or_b32 v2, v3, s2, v2
	v_cmp_ne_u32_e32 vcc, 0, v1
	v_cndmask_b32_e32 v1, 0, v2, vcc
	s_brev_b32 s2, 1
	v_and_or_b32 v0, v0, s2, v1
	v_cvt_f64_f32_e32 v[0:1], v0
.LBB127_1244:
	s_mov_b64 s[2:3], 0
.LBB127_1245:
	s_andn2_b64 vcc, exec, s[2:3]
	s_cbranch_vccnz .LBB127_1247
; %bb.1246:
	global_load_ubyte v0, v[16:17], off
	s_movk_i32 s2, 0x7f00
	s_brev_b32 s3, 16
	s_waitcnt vmcnt(0)
	v_lshlrev_b16_e32 v1, 8, v0
	v_lshlrev_b32_e32 v0, 25, v0
	v_lshrrev_b32_e32 v2, 4, v0
	v_and_or_b32 v3, v1, s2, 0.5
	v_or_b32_e32 v2, 0x70000000, v2
	v_add_f32_e32 v3, -0.5, v3
	v_mul_f32_e32 v2, 0x7800000, v2
	v_cmp_gt_u32_e32 vcc, s3, v0
	v_bfe_i32 v1, v1, 0, 16
	v_cndmask_b32_e32 v0, v2, v3, vcc
	s_brev_b32 s2, 1
	v_and_or_b32 v0, v1, s2, v0
	v_cvt_f64_f32_e32 v[0:1], v0
.LBB127_1247:
	s_mov_b64 s[6:7], -1
	s_mov_b64 s[4:5], 0
	s_cbranch_execnz .LBB127_1256
.LBB127_1248:
	s_cmp_gt_i32 s16, 14
	s_cbranch_scc0 .LBB127_1251
; %bb.1249:
	s_cmp_eq_u32 s16, 15
	s_cbranch_scc0 .LBB127_1252
; %bb.1250:
	global_load_ushort v0, v[16:17], off
	s_mov_b64 s[0:1], 0
	s_mov_b64 s[6:7], -1
	s_waitcnt vmcnt(0)
	v_lshlrev_b32_e32 v0, 16, v0
	v_cvt_f64_f32_e32 v[0:1], v0
	s_branch .LBB127_1253
.LBB127_1251:
	s_mov_b64 s[2:3], -1
                                        ; implicit-def: $vgpr0_vgpr1
	s_branch .LBB127_1254
.LBB127_1252:
	s_mov_b64 s[0:1], -1
                                        ; implicit-def: $vgpr0_vgpr1
.LBB127_1253:
	s_mov_b64 s[2:3], 0
.LBB127_1254:
	s_and_b64 vcc, exec, s[2:3]
	s_cbranch_vccz .LBB127_1256
; %bb.1255:
	s_cmp_lg_u32 s16, 11
	s_mov_b64 s[4:5], -1
	s_cselect_b64 s[0:1], -1, 0
.LBB127_1256:
	v_mov_b32_e32 v2, 0
	v_mov_b32_e32 v3, 0
.LBB127_1257:
	s_and_b64 vcc, exec, s[0:1]
	s_mov_b64 s[2:3], s[28:29]
	s_cbranch_vccnz .LBB127_1324
; %bb.1258:
	s_andn2_b64 vcc, exec, s[4:5]
	s_cbranch_vccnz .LBB127_1260
.LBB127_1259:
	global_load_ubyte v1, v[16:17], off
	v_mov_b32_e32 v5, 0x3ff00000
	v_mov_b32_e32 v2, 0
	;; [unrolled: 1-line block ×4, first 2 shown]
	s_mov_b64 s[6:7], -1
	s_waitcnt vmcnt(0)
	v_cmp_ne_u16_e32 vcc, 0, v1
	v_cndmask_b32_e32 v1, 0, v5, vcc
.LBB127_1260:
	s_branch .LBB127_1187
.LBB127_1261:
	s_and_b32 s4, 0xffff, s15
	s_cmp_lt_i32 s4, 5
	s_cbranch_scc1 .LBB127_1266
; %bb.1262:
	s_cmp_lt_i32 s4, 8
	s_cbranch_scc1 .LBB127_1268
; %bb.1263:
	;; [unrolled: 3-line block ×3, first 2 shown]
	s_cmp_gt_i32 s4, 9
	s_cbranch_scc0 .LBB127_1270
; %bb.1265:
	global_load_dwordx4 v[0:3], v[16:17], off
	s_mov_b64 s[0:1], 0
	s_branch .LBB127_1271
.LBB127_1266:
                                        ; implicit-def: $vgpr2_vgpr3
	s_branch .LBB127_1289
.LBB127_1267:
	s_branch .LBB127_1308
.LBB127_1268:
                                        ; implicit-def: $vgpr2_vgpr3
	s_branch .LBB127_1277
.LBB127_1269:
	s_mov_b64 s[0:1], -1
                                        ; implicit-def: $vgpr2_vgpr3
	s_branch .LBB127_1274
.LBB127_1270:
	s_mov_b64 s[0:1], -1
                                        ; implicit-def: $vgpr2_vgpr3
.LBB127_1271:
	s_andn2_b64 vcc, exec, s[0:1]
	s_cbranch_vccnz .LBB127_1273
; %bb.1272:
	global_load_dwordx2 v[1:2], v[16:17], off
	s_waitcnt vmcnt(0)
	v_cvt_f64_f32_e32 v[0:1], v1
	v_cvt_f64_f32_e32 v[2:3], v2
.LBB127_1273:
	s_mov_b64 s[0:1], 0
.LBB127_1274:
	s_andn2_b64 vcc, exec, s[0:1]
	s_cbranch_vccnz .LBB127_1276
; %bb.1275:
	global_load_dword v0, v[16:17], off
	s_waitcnt vmcnt(0)
	v_cvt_f32_f16_e32 v1, v0
	v_cvt_f32_f16_sdwa v2, v0 dst_sel:DWORD dst_unused:UNUSED_PAD src0_sel:WORD_1
	v_cvt_f64_f32_e32 v[0:1], v1
	v_cvt_f64_f32_e32 v[2:3], v2
.LBB127_1276:
	s_cbranch_execnz .LBB127_1288
.LBB127_1277:
	s_cmp_lt_i32 s4, 6
	s_cbranch_scc1 .LBB127_1280
; %bb.1278:
	s_cmp_gt_i32 s4, 6
	s_cbranch_scc0 .LBB127_1281
; %bb.1279:
	global_load_dwordx2 v[0:1], v[16:17], off
	s_mov_b64 s[0:1], 0
	s_branch .LBB127_1282
.LBB127_1280:
	s_mov_b64 s[0:1], -1
                                        ; implicit-def: $vgpr0_vgpr1
	s_branch .LBB127_1285
.LBB127_1281:
	s_mov_b64 s[0:1], -1
                                        ; implicit-def: $vgpr0_vgpr1
.LBB127_1282:
	s_andn2_b64 vcc, exec, s[0:1]
	s_cbranch_vccnz .LBB127_1284
; %bb.1283:
	global_load_dword v0, v[16:17], off
	s_waitcnt vmcnt(0)
	v_cvt_f64_f32_e32 v[0:1], v0
.LBB127_1284:
	s_mov_b64 s[0:1], 0
.LBB127_1285:
	s_andn2_b64 vcc, exec, s[0:1]
	s_cbranch_vccnz .LBB127_1287
; %bb.1286:
	global_load_ushort v0, v[16:17], off
	s_waitcnt vmcnt(0)
	v_cvt_f32_f16_e32 v0, v0
	v_cvt_f64_f32_e32 v[0:1], v0
.LBB127_1287:
	s_waitcnt vmcnt(0)
	v_mov_b32_e32 v2, 0
	v_mov_b32_e32 v3, 0
.LBB127_1288:
	s_cbranch_execnz .LBB127_1267
.LBB127_1289:
	s_cmp_lt_i32 s4, 2
	s_cbranch_scc1 .LBB127_1293
; %bb.1290:
	s_cmp_lt_i32 s4, 3
	s_cbranch_scc1 .LBB127_1294
; %bb.1291:
	s_cmp_gt_i32 s4, 3
	s_cbranch_scc0 .LBB127_1295
; %bb.1292:
	global_load_dwordx2 v[0:1], v[16:17], off
	s_mov_b64 s[0:1], 0
	s_waitcnt vmcnt(0)
	v_cvt_f64_i32_e32 v[1:2], v1
	v_cvt_f64_u32_e32 v[18:19], v0
	v_ldexp_f64 v[1:2], v[1:2], 32
	v_add_f64 v[0:1], v[1:2], v[18:19]
	s_branch .LBB127_1296
.LBB127_1293:
                                        ; implicit-def: $vgpr0_vgpr1
	s_branch .LBB127_1302
.LBB127_1294:
	s_mov_b64 s[0:1], -1
                                        ; implicit-def: $vgpr0_vgpr1
	s_branch .LBB127_1299
.LBB127_1295:
	s_mov_b64 s[0:1], -1
                                        ; implicit-def: $vgpr0_vgpr1
.LBB127_1296:
	s_andn2_b64 vcc, exec, s[0:1]
	s_cbranch_vccnz .LBB127_1298
; %bb.1297:
	global_load_dword v0, v[16:17], off
	s_waitcnt vmcnt(0)
	v_cvt_f64_i32_e32 v[0:1], v0
.LBB127_1298:
	s_mov_b64 s[0:1], 0
.LBB127_1299:
	s_andn2_b64 vcc, exec, s[0:1]
	s_cbranch_vccnz .LBB127_1301
; %bb.1300:
	global_load_sshort v0, v[16:17], off
	s_waitcnt vmcnt(0)
	v_cvt_f64_i32_e32 v[0:1], v0
.LBB127_1301:
	s_cbranch_execnz .LBB127_1307
.LBB127_1302:
	s_cmp_gt_i32 s4, 0
	s_cbranch_scc0 .LBB127_1304
; %bb.1303:
	global_load_sbyte v0, v[16:17], off
	s_mov_b64 s[0:1], 0
	s_waitcnt vmcnt(0)
	v_cvt_f64_i32_e32 v[0:1], v0
	s_branch .LBB127_1305
.LBB127_1304:
	s_mov_b64 s[0:1], -1
                                        ; implicit-def: $vgpr0_vgpr1
.LBB127_1305:
	s_andn2_b64 vcc, exec, s[0:1]
	s_cbranch_vccnz .LBB127_1307
; %bb.1306:
	global_load_ubyte v0, v[16:17], off
	s_waitcnt vmcnt(0)
	v_cvt_f64_u32_e32 v[0:1], v0
.LBB127_1307:
	s_waitcnt vmcnt(0)
	v_mov_b32_e32 v2, 0
	v_mov_b32_e32 v3, 0
.LBB127_1308:
	s_load_dword s0, s[34:35], 0x160
	s_load_dwordx4 s[4:7], s[34:35], 0x170
	s_waitcnt lgkmcnt(0)
	s_cmp_lg_u32 s0, 0
	s_cselect_b64 s[18:19], -1, 0
	s_and_b64 vcc, exec, s[18:19]
	s_cbranch_vccz .LBB127_1320
; %bb.1309:
	s_waitcnt vmcnt(0)
	v_cmp_neq_f64_e32 vcc, s[4:5], v[0:1]
	v_cmp_neq_f64_e64 s[0:1], s[6:7], v[2:3]
	s_or_b64 s[12:13], vcc, s[0:1]
	s_cbranch_execnz .LBB127_1311
.LBB127_1310:
	s_waitcnt vmcnt(0)
	v_cmp_eq_f64_e32 vcc, s[4:5], v[0:1]
	v_cmp_eq_f64_e64 s[0:1], s[6:7], v[2:3]
	s_andn2_b64 s[12:13], s[12:13], exec
	s_and_b64 s[0:1], vcc, s[0:1]
	s_and_b64 s[0:1], s[0:1], exec
	s_or_b64 s[12:13], s[12:13], s[0:1]
.LBB127_1311:
	s_lshr_b32 s0, s14, 8
	s_waitcnt vmcnt(0)
	v_mov_b32_e32 v0, s11
	s_and_b32 s26, s0, 0xff
	v_add_co_u32_e32 v14, vcc, s10, v15
	s_cmp_lt_i32 s26, 11
	v_addc_co_u32_e32 v15, vcc, 0, v0, vcc
	s_cbranch_scc1 .LBB127_1318
; %bb.1312:
	s_and_b32 s24, 0xffff, s26
	s_cmp_gt_i32 s24, 25
	s_mov_b64 s[14:15], 0
	s_cbranch_scc0 .LBB127_1321
; %bb.1313:
	s_cmp_gt_i32 s24, 28
	s_cbranch_scc0 .LBB127_1322
; %bb.1314:
	s_cmp_gt_i32 s24, 43
	;; [unrolled: 3-line block ×3, first 2 shown]
	s_cbranch_scc0 .LBB127_1325
; %bb.1316:
	s_cmp_eq_u32 s24, 46
	s_mov_b64 s[20:21], 0
	s_cbranch_scc0 .LBB127_1328
; %bb.1317:
	global_load_dword v0, v[14:15], off
	s_mov_b64 s[0:1], 0
	s_mov_b64 s[16:17], -1
	s_waitcnt vmcnt(0)
	v_and_b32_e32 v2, 0xffff0000, v0
	v_lshlrev_b32_e32 v0, 16, v0
	v_cvt_f64_f32_e32 v[0:1], v0
	v_cvt_f64_f32_e32 v[2:3], v2
	s_branch .LBB127_1329
.LBB127_1318:
	s_mov_b64 s[16:17], 0
                                        ; implicit-def: $vgpr2_vgpr3
	s_cbranch_execnz .LBB127_1397
.LBB127_1319:
	s_andn2_b64 vcc, exec, s[16:17]
	s_cbranch_vccnz .LBB127_1725
	s_branch .LBB127_1446
.LBB127_1320:
                                        ; implicit-def: $sgpr12_sgpr13
	s_branch .LBB127_1310
.LBB127_1321:
	s_mov_b64 s[16:17], 0
	s_mov_b64 s[0:1], 0
                                        ; implicit-def: $vgpr2_vgpr3
	s_cbranch_execnz .LBB127_1362
	s_branch .LBB127_1393
.LBB127_1322:
	s_mov_b64 s[20:21], -1
	s_mov_b64 s[16:17], 0
	s_mov_b64 s[0:1], 0
                                        ; implicit-def: $vgpr2_vgpr3
	s_branch .LBB127_1341
.LBB127_1323:
	s_mov_b64 s[20:21], -1
	s_mov_b64 s[16:17], 0
	s_mov_b64 s[0:1], 0
                                        ; implicit-def: $vgpr2_vgpr3
	s_branch .LBB127_1335
.LBB127_1324:
	s_trap 2
	s_or_b64 s[2:3], s[28:29], exec
	s_cbranch_execz .LBB127_1259
	s_branch .LBB127_1260
.LBB127_1325:
	s_mov_b64 s[20:21], -1
	s_mov_b64 s[16:17], 0
	s_mov_b64 s[0:1], 0
                                        ; implicit-def: $vgpr2_vgpr3
	s_branch .LBB127_1329
.LBB127_1326:
	s_andn2_saveexec_b64 s[18:19], s[18:19]
	s_cbranch_execz .LBB127_1042
.LBB127_1327:
	v_add_f32_e32 v0, 0x42800000, v1
	v_and_b32_e32 v0, 0xff, v0
	v_cmp_ne_u32_e32 vcc, 0, v0
	s_andn2_b64 s[16:17], s[16:17], exec
	s_and_b64 s[22:23], vcc, exec
	s_or_b64 s[16:17], s[16:17], s[22:23]
	s_or_b64 exec, exec, s[18:19]
	v_mov_b32_e32 v2, 0
	s_and_saveexec_b64 s[18:19], s[16:17]
	s_cbranch_execnz .LBB127_1043
	s_branch .LBB127_1044
.LBB127_1328:
	s_mov_b64 s[0:1], -1
                                        ; implicit-def: $vgpr2_vgpr3
	s_mov_b64 s[16:17], 0
.LBB127_1329:
	s_and_b64 vcc, exec, s[20:21]
	s_cbranch_vccz .LBB127_1334
; %bb.1330:
	s_cmp_eq_u32 s24, 44
	s_cbranch_scc0 .LBB127_1332
; %bb.1331:
	global_load_ubyte v2, v[14:15], off
	s_movk_i32 s16, 0xff
	v_bfrev_b32_e32 v3, 4
	v_mov_b32_e32 v5, 0x7ff80000
	v_bfrev_b32_e32 v7, 28
	s_mov_b64 s[0:1], 0
	s_waitcnt vmcnt(0)
	v_lshlrev_b32_e32 v0, 23, v2
	v_cvt_f64_f32_e32 v[0:1], v0
	v_cmp_ne_u32_e32 vcc, s16, v2
	s_mov_b64 s[16:17], -1
	v_cndmask_b32_e32 v0, v3, v0, vcc
	v_cndmask_b32_e32 v1, v5, v1, vcc
	v_cmp_ne_u32_e32 vcc, 0, v2
	v_cndmask_b32_e32 v1, v7, v1, vcc
	v_cndmask_b32_e32 v0, 0, v0, vcc
	s_branch .LBB127_1333
.LBB127_1332:
	s_mov_b64 s[0:1], -1
                                        ; implicit-def: $vgpr0_vgpr1
.LBB127_1333:
	v_mov_b32_e32 v2, 0
	v_mov_b32_e32 v3, 0
.LBB127_1334:
	s_mov_b64 s[20:21], 0
.LBB127_1335:
	s_and_b64 vcc, exec, s[20:21]
	s_cbranch_vccz .LBB127_1340
; %bb.1336:
	s_cmp_eq_u32 s24, 29
	s_cbranch_scc0 .LBB127_1338
; %bb.1337:
	global_load_dwordx2 v[0:1], v[14:15], off
	s_mov_b64 s[0:1], 0
	s_mov_b64 s[16:17], -1
	s_waitcnt vmcnt(0)
	v_cvt_f64_u32_e32 v[1:2], v1
	v_cvt_f64_u32_e32 v[16:17], v0
	v_ldexp_f64 v[1:2], v[1:2], 32
	v_add_f64 v[0:1], v[1:2], v[16:17]
	s_branch .LBB127_1339
.LBB127_1338:
	s_mov_b64 s[0:1], -1
                                        ; implicit-def: $vgpr0_vgpr1
.LBB127_1339:
	v_mov_b32_e32 v2, 0
	v_mov_b32_e32 v3, 0
.LBB127_1340:
	s_mov_b64 s[20:21], 0
.LBB127_1341:
	s_and_b64 vcc, exec, s[20:21]
	s_cbranch_vccz .LBB127_1361
; %bb.1342:
	s_cmp_lt_i32 s24, 27
	s_cbranch_scc1 .LBB127_1345
; %bb.1343:
	s_cmp_gt_i32 s24, 27
	s_cbranch_scc0 .LBB127_1346
; %bb.1344:
	global_load_dword v0, v[14:15], off
	s_mov_b64 s[16:17], 0
	s_waitcnt vmcnt(0)
	v_cvt_f64_u32_e32 v[0:1], v0
	s_branch .LBB127_1347
.LBB127_1345:
	s_mov_b64 s[16:17], -1
                                        ; implicit-def: $vgpr0_vgpr1
	s_branch .LBB127_1350
.LBB127_1346:
	s_mov_b64 s[16:17], -1
                                        ; implicit-def: $vgpr0_vgpr1
.LBB127_1347:
	s_andn2_b64 vcc, exec, s[16:17]
	s_cbranch_vccnz .LBB127_1349
; %bb.1348:
	global_load_ushort v0, v[14:15], off
	s_waitcnt vmcnt(0)
	v_cvt_f64_u32_e32 v[0:1], v0
.LBB127_1349:
	s_mov_b64 s[16:17], 0
.LBB127_1350:
	s_andn2_b64 vcc, exec, s[16:17]
	s_cbranch_vccnz .LBB127_1360
; %bb.1351:
	global_load_ubyte v2, v[14:15], off
	s_movk_i32 s16, 0x7f
	s_waitcnt vmcnt(0)
	v_cmp_lt_i16_e32 vcc, s16, v2
	s_mov_b64 s[16:17], 0
	s_and_saveexec_b64 s[20:21], vcc
	s_xor_b64 s[20:21], exec, s[20:21]
	s_cbranch_execz .LBB127_1355
; %bb.1352:
	s_movk_i32 s16, 0x80
	v_cmp_eq_u16_e32 vcc, s16, v2
	s_mov_b64 s[16:17], -1
	s_and_saveexec_b64 s[22:23], vcc
; %bb.1353:
	s_xor_b64 s[16:17], exec, -1
; %bb.1354:
	s_or_b64 exec, exec, s[22:23]
	s_and_b64 s[16:17], s[16:17], exec
.LBB127_1355:
	s_or_saveexec_b64 s[20:21], s[20:21]
	v_bfrev_b32_e32 v0, 4
	v_mov_b32_e32 v1, 0x7ff80000
	s_xor_b64 exec, exec, s[20:21]
; %bb.1356:
	v_cmp_ne_u16_e32 vcc, 0, v2
	v_mov_b32_e32 v0, 0
	s_andn2_b64 s[16:17], s[16:17], exec
	s_and_b64 s[22:23], vcc, exec
	v_mov_b32_e32 v1, 0
	s_or_b64 s[16:17], s[16:17], s[22:23]
; %bb.1357:
	s_or_b64 exec, exec, s[20:21]
	s_and_saveexec_b64 s[20:21], s[16:17]
	s_cbranch_execz .LBB127_1359
; %bb.1358:
	v_and_b32_e32 v1, 0xffff, v2
	v_lshlrev_b32_e32 v0, 24, v2
	v_and_b32_e32 v2, 7, v1
	v_ffbh_u32_e32 v5, v2
	v_min_u32_e32 v5, 32, v5
	v_subrev_u32_e32 v7, 28, v5
	v_bfe_u32 v3, v1, 3, 4
	v_lshlrev_b32_e32 v1, v7, v1
	v_sub_u32_e32 v5, 29, v5
	v_and_b32_e32 v1, 7, v1
	v_cmp_eq_u32_e32 vcc, 0, v3
	v_cndmask_b32_e32 v3, v3, v5, vcc
	v_cndmask_b32_e32 v1, v2, v1, vcc
	v_mov_b32_e32 v2, 0x3b800000
	v_lshlrev_b32_e32 v1, 20, v1
	v_and_b32_e32 v0, 0x80000000, v0
	v_lshl_add_u32 v2, v3, 23, v2
	v_or3_b32 v0, v0, v2, v1
	v_cvt_f64_f32_e32 v[0:1], v0
.LBB127_1359:
	s_or_b64 exec, exec, s[20:21]
.LBB127_1360:
	v_mov_b32_e32 v2, 0
	v_mov_b32_e32 v3, 0
	s_mov_b64 s[16:17], -1
.LBB127_1361:
	s_branch .LBB127_1393
.LBB127_1362:
	s_cmp_gt_i32 s24, 22
	s_cbranch_scc0 .LBB127_1374
; %bb.1363:
	s_cmp_lt_i32 s24, 24
	s_cbranch_scc1 .LBB127_1375
; %bb.1364:
	s_cmp_gt_i32 s24, 24
	s_cbranch_scc0 .LBB127_1376
; %bb.1365:
	global_load_ubyte v2, v[14:15], off
	s_movk_i32 s14, 0x7f
	s_waitcnt vmcnt(0)
	v_cmp_lt_i16_e32 vcc, s14, v2
	s_mov_b64 s[14:15], 0
	s_and_saveexec_b64 s[16:17], vcc
	s_xor_b64 s[16:17], exec, s[16:17]
	s_cbranch_execz .LBB127_1369
; %bb.1366:
	s_movk_i32 s14, 0x80
	v_cmp_eq_u16_e32 vcc, s14, v2
	s_mov_b64 s[14:15], -1
	s_and_saveexec_b64 s[20:21], vcc
; %bb.1367:
	s_xor_b64 s[14:15], exec, -1
; %bb.1368:
	s_or_b64 exec, exec, s[20:21]
	s_and_b64 s[14:15], s[14:15], exec
.LBB127_1369:
	s_or_saveexec_b64 s[16:17], s[16:17]
	v_bfrev_b32_e32 v0, 4
	v_mov_b32_e32 v1, 0x7ff80000
	s_xor_b64 exec, exec, s[16:17]
; %bb.1370:
	v_cmp_ne_u16_e32 vcc, 0, v2
	v_mov_b32_e32 v0, 0
	s_andn2_b64 s[14:15], s[14:15], exec
	s_and_b64 s[20:21], vcc, exec
	v_mov_b32_e32 v1, 0
	s_or_b64 s[14:15], s[14:15], s[20:21]
; %bb.1371:
	s_or_b64 exec, exec, s[16:17]
	s_and_saveexec_b64 s[16:17], s[14:15]
	s_cbranch_execz .LBB127_1373
; %bb.1372:
	v_and_b32_e32 v1, 0xffff, v2
	v_lshlrev_b32_e32 v0, 24, v2
	v_and_b32_e32 v2, 3, v1
	v_ffbh_u32_e32 v5, v2
	v_min_u32_e32 v5, 32, v5
	v_subrev_u32_e32 v7, 29, v5
	v_bfe_u32 v3, v1, 2, 5
	v_lshlrev_b32_e32 v1, v7, v1
	v_sub_u32_e32 v5, 30, v5
	v_and_b32_e32 v1, 3, v1
	v_cmp_eq_u32_e32 vcc, 0, v3
	v_cndmask_b32_e32 v3, v3, v5, vcc
	v_cndmask_b32_e32 v1, v2, v1, vcc
	v_mov_b32_e32 v2, 0x37800000
	v_lshlrev_b32_e32 v1, 21, v1
	v_and_b32_e32 v0, 0x80000000, v0
	v_lshl_add_u32 v2, v3, 23, v2
	v_or3_b32 v0, v0, v2, v1
	v_cvt_f64_f32_e32 v[0:1], v0
.LBB127_1373:
	s_or_b64 exec, exec, s[16:17]
	s_mov_b64 s[14:15], 0
	s_branch .LBB127_1377
.LBB127_1374:
	s_mov_b64 s[14:15], -1
                                        ; implicit-def: $vgpr0_vgpr1
	s_branch .LBB127_1383
.LBB127_1375:
	s_mov_b64 s[14:15], -1
                                        ; implicit-def: $vgpr0_vgpr1
	s_branch .LBB127_1380
.LBB127_1376:
	s_mov_b64 s[14:15], -1
                                        ; implicit-def: $vgpr0_vgpr1
.LBB127_1377:
	s_and_b64 vcc, exec, s[14:15]
	s_cbranch_vccz .LBB127_1379
; %bb.1378:
	global_load_ubyte v0, v[14:15], off
	s_mov_b32 s14, 0x7f800000
	s_waitcnt vmcnt(0)
	v_lshlrev_b32_e32 v0, 24, v0
	v_and_b32_e32 v1, 0x7f000000, v0
	v_ffbh_u32_e32 v2, v1
	v_min_u32_e32 v2, 32, v2
	v_sub_u32_e64 v2, v2, 4 clamp
	v_lshlrev_b32_e32 v5, v2, v1
	v_lshlrev_b32_e32 v2, 23, v2
	v_lshrrev_b32_e32 v5, 4, v5
	v_add_u32_e32 v3, 0x1000000, v1
	v_sub_u32_e32 v2, v5, v2
	v_ashrrev_i32_e32 v3, 8, v3
	v_add_u32_e32 v2, 0x3c000000, v2
	v_and_or_b32 v2, v3, s14, v2
	v_cmp_ne_u32_e32 vcc, 0, v1
	v_cndmask_b32_e32 v1, 0, v2, vcc
	s_brev_b32 s14, 1
	v_and_or_b32 v0, v0, s14, v1
	v_cvt_f64_f32_e32 v[0:1], v0
.LBB127_1379:
	s_mov_b64 s[14:15], 0
.LBB127_1380:
	s_andn2_b64 vcc, exec, s[14:15]
	s_cbranch_vccnz .LBB127_1382
; %bb.1381:
	global_load_ubyte v0, v[14:15], off
	s_movk_i32 s14, 0x7f00
	s_brev_b32 s15, 16
	s_waitcnt vmcnt(0)
	v_lshlrev_b16_e32 v1, 8, v0
	v_lshlrev_b32_e32 v0, 25, v0
	v_lshrrev_b32_e32 v2, 4, v0
	v_and_or_b32 v3, v1, s14, 0.5
	v_or_b32_e32 v2, 0x70000000, v2
	v_add_f32_e32 v3, -0.5, v3
	v_mul_f32_e32 v2, 0x7800000, v2
	v_cmp_gt_u32_e32 vcc, s15, v0
	v_bfe_i32 v1, v1, 0, 16
	v_cndmask_b32_e32 v0, v2, v3, vcc
	s_brev_b32 s14, 1
	v_and_or_b32 v0, v1, s14, v0
	v_cvt_f64_f32_e32 v[0:1], v0
.LBB127_1382:
	s_mov_b64 s[14:15], 0
	s_mov_b64 s[16:17], -1
.LBB127_1383:
	s_andn2_b64 vcc, exec, s[14:15]
	s_mov_b64 s[14:15], 0
	s_cbranch_vccnz .LBB127_1392
; %bb.1384:
	s_cmp_gt_i32 s24, 14
	s_cbranch_scc0 .LBB127_1387
; %bb.1385:
	s_cmp_eq_u32 s24, 15
	s_cbranch_scc0 .LBB127_1388
; %bb.1386:
	global_load_ushort v0, v[14:15], off
	s_mov_b64 s[0:1], 0
	s_mov_b64 s[16:17], -1
	s_waitcnt vmcnt(0)
	v_lshlrev_b32_e32 v0, 16, v0
	v_cvt_f64_f32_e32 v[0:1], v0
	s_branch .LBB127_1389
.LBB127_1387:
	s_mov_b64 s[20:21], -1
                                        ; implicit-def: $vgpr0_vgpr1
	s_branch .LBB127_1390
.LBB127_1388:
	s_mov_b64 s[0:1], -1
                                        ; implicit-def: $vgpr0_vgpr1
.LBB127_1389:
	s_mov_b64 s[20:21], 0
.LBB127_1390:
	s_and_b64 vcc, exec, s[20:21]
	s_cbranch_vccz .LBB127_1392
; %bb.1391:
	s_cmp_lg_u32 s24, 11
	s_mov_b64 s[14:15], -1
	s_cselect_b64 s[0:1], -1, 0
.LBB127_1392:
	v_mov_b32_e32 v2, 0
	v_mov_b32_e32 v3, 0
.LBB127_1393:
	s_and_b64 vcc, exec, s[0:1]
	s_cbranch_vccnz .LBB127_1474
; %bb.1394:
	s_andn2_b64 vcc, exec, s[14:15]
	s_cbranch_vccnz .LBB127_1396
.LBB127_1395:
	global_load_ubyte v1, v[14:15], off
	v_mov_b32_e32 v5, 0x3ff00000
	v_mov_b32_e32 v2, 0
	;; [unrolled: 1-line block ×4, first 2 shown]
	s_mov_b64 s[16:17], -1
	s_waitcnt vmcnt(0)
	v_cmp_ne_u16_e32 vcc, 0, v1
	v_cndmask_b32_e32 v1, 0, v5, vcc
.LBB127_1396:
	s_branch .LBB127_1319
.LBB127_1397:
	s_and_b32 s14, 0xffff, s26
	s_cmp_lt_i32 s14, 5
	s_cbranch_scc1 .LBB127_1402
; %bb.1398:
	s_cmp_lt_i32 s14, 8
	s_cbranch_scc1 .LBB127_1404
; %bb.1399:
	;; [unrolled: 3-line block ×3, first 2 shown]
	s_cmp_gt_i32 s14, 9
	s_cbranch_scc0 .LBB127_1406
; %bb.1401:
	global_load_dwordx4 v[0:3], v[14:15], off
	s_mov_b64 s[0:1], 0
	s_branch .LBB127_1407
.LBB127_1402:
                                        ; implicit-def: $vgpr2_vgpr3
	s_branch .LBB127_1426
.LBB127_1403:
	s_branch .LBB127_1446
.LBB127_1404:
	s_mov_b64 s[0:1], -1
                                        ; implicit-def: $vgpr2_vgpr3
	s_branch .LBB127_1413
.LBB127_1405:
	s_mov_b64 s[0:1], -1
                                        ; implicit-def: $vgpr2_vgpr3
	s_branch .LBB127_1410
.LBB127_1406:
	s_mov_b64 s[0:1], -1
                                        ; implicit-def: $vgpr2_vgpr3
.LBB127_1407:
	s_andn2_b64 vcc, exec, s[0:1]
	s_cbranch_vccnz .LBB127_1409
; %bb.1408:
	global_load_dwordx2 v[1:2], v[14:15], off
	s_waitcnt vmcnt(0)
	v_cvt_f64_f32_e32 v[0:1], v1
	v_cvt_f64_f32_e32 v[2:3], v2
.LBB127_1409:
	s_mov_b64 s[0:1], 0
.LBB127_1410:
	s_andn2_b64 vcc, exec, s[0:1]
	s_cbranch_vccnz .LBB127_1412
; %bb.1411:
	global_load_dword v0, v[14:15], off
	s_waitcnt vmcnt(0)
	v_cvt_f32_f16_e32 v1, v0
	v_cvt_f32_f16_sdwa v2, v0 dst_sel:DWORD dst_unused:UNUSED_PAD src0_sel:WORD_1
	v_cvt_f64_f32_e32 v[0:1], v1
	v_cvt_f64_f32_e32 v[2:3], v2
.LBB127_1412:
	s_mov_b64 s[0:1], 0
.LBB127_1413:
	s_andn2_b64 vcc, exec, s[0:1]
	s_cbranch_vccnz .LBB127_1425
; %bb.1414:
	s_cmp_lt_i32 s14, 6
	s_cbranch_scc1 .LBB127_1417
; %bb.1415:
	s_cmp_gt_i32 s14, 6
	s_cbranch_scc0 .LBB127_1418
; %bb.1416:
	global_load_dwordx2 v[0:1], v[14:15], off
	s_mov_b64 s[0:1], 0
	s_branch .LBB127_1419
.LBB127_1417:
	s_mov_b64 s[0:1], -1
                                        ; implicit-def: $vgpr0_vgpr1
	s_branch .LBB127_1422
.LBB127_1418:
	s_mov_b64 s[0:1], -1
                                        ; implicit-def: $vgpr0_vgpr1
.LBB127_1419:
	s_andn2_b64 vcc, exec, s[0:1]
	s_cbranch_vccnz .LBB127_1421
; %bb.1420:
	global_load_dword v0, v[14:15], off
	s_waitcnt vmcnt(0)
	v_cvt_f64_f32_e32 v[0:1], v0
.LBB127_1421:
	s_mov_b64 s[0:1], 0
.LBB127_1422:
	s_andn2_b64 vcc, exec, s[0:1]
	s_cbranch_vccnz .LBB127_1424
; %bb.1423:
	global_load_ushort v0, v[14:15], off
	s_waitcnt vmcnt(0)
	v_cvt_f32_f16_e32 v0, v0
	v_cvt_f64_f32_e32 v[0:1], v0
.LBB127_1424:
	s_waitcnt vmcnt(0)
	v_mov_b32_e32 v2, 0
	v_mov_b32_e32 v3, 0
.LBB127_1425:
	s_cbranch_execnz .LBB127_1403
.LBB127_1426:
	s_cmp_lt_i32 s14, 2
	s_cbranch_scc1 .LBB127_1430
; %bb.1427:
	s_cmp_lt_i32 s14, 3
	s_cbranch_scc1 .LBB127_1431
; %bb.1428:
	s_cmp_gt_i32 s14, 3
	s_cbranch_scc0 .LBB127_1432
; %bb.1429:
	global_load_dwordx2 v[0:1], v[14:15], off
	s_mov_b64 s[0:1], 0
	s_waitcnt vmcnt(0)
	v_cvt_f64_i32_e32 v[1:2], v1
	v_cvt_f64_u32_e32 v[16:17], v0
	v_ldexp_f64 v[1:2], v[1:2], 32
	v_add_f64 v[0:1], v[1:2], v[16:17]
	s_branch .LBB127_1433
.LBB127_1430:
	s_mov_b64 s[0:1], -1
                                        ; implicit-def: $vgpr0_vgpr1
	s_branch .LBB127_1439
.LBB127_1431:
	s_mov_b64 s[0:1], -1
                                        ; implicit-def: $vgpr0_vgpr1
	s_branch .LBB127_1436
.LBB127_1432:
	s_mov_b64 s[0:1], -1
                                        ; implicit-def: $vgpr0_vgpr1
.LBB127_1433:
	s_andn2_b64 vcc, exec, s[0:1]
	s_cbranch_vccnz .LBB127_1435
; %bb.1434:
	global_load_dword v0, v[14:15], off
	s_waitcnt vmcnt(0)
	v_cvt_f64_i32_e32 v[0:1], v0
.LBB127_1435:
	s_mov_b64 s[0:1], 0
.LBB127_1436:
	s_andn2_b64 vcc, exec, s[0:1]
	s_cbranch_vccnz .LBB127_1438
; %bb.1437:
	global_load_sshort v0, v[14:15], off
	s_waitcnt vmcnt(0)
	v_cvt_f64_i32_e32 v[0:1], v0
.LBB127_1438:
	s_mov_b64 s[0:1], 0
.LBB127_1439:
	s_andn2_b64 vcc, exec, s[0:1]
	s_cbranch_vccnz .LBB127_1445
; %bb.1440:
	s_cmp_gt_i32 s14, 0
	s_cbranch_scc0 .LBB127_1442
; %bb.1441:
	global_load_sbyte v0, v[14:15], off
	s_mov_b64 s[0:1], 0
	s_waitcnt vmcnt(0)
	v_cvt_f64_i32_e32 v[0:1], v0
	s_branch .LBB127_1443
.LBB127_1442:
	s_mov_b64 s[0:1], -1
                                        ; implicit-def: $vgpr0_vgpr1
.LBB127_1443:
	s_andn2_b64 vcc, exec, s[0:1]
	s_cbranch_vccnz .LBB127_1445
; %bb.1444:
	global_load_ubyte v0, v[14:15], off
	s_waitcnt vmcnt(0)
	v_cvt_f64_u32_e32 v[0:1], v0
.LBB127_1445:
	s_waitcnt vmcnt(0)
	v_mov_b32_e32 v2, 0
	v_mov_b32_e32 v3, 0
.LBB127_1446:
	s_and_b64 vcc, exec, s[18:19]
	s_cbranch_vccz .LBB127_1458
; %bb.1447:
	s_waitcnt vmcnt(0)
	v_cmp_neq_f64_e32 vcc, s[4:5], v[0:1]
	v_cmp_neq_f64_e64 s[0:1], s[6:7], v[2:3]
	s_or_b64 s[14:15], vcc, s[0:1]
	s_cbranch_execnz .LBB127_1449
.LBB127_1448:
	s_waitcnt vmcnt(0)
	v_cmp_eq_f64_e32 vcc, s[4:5], v[0:1]
	v_cmp_eq_f64_e64 s[0:1], s[6:7], v[2:3]
	s_andn2_b64 s[14:15], s[14:15], exec
	s_and_b64 s[0:1], vcc, s[0:1]
	s_and_b64 s[0:1], s[0:1], exec
	s_or_b64 s[14:15], s[14:15], s[0:1]
.LBB127_1449:
	s_waitcnt vmcnt(0)
	v_mov_b32_e32 v0, s11
	v_add_co_u32_e32 v12, vcc, s10, v13
	s_cmp_lt_i32 s26, 11
	v_addc_co_u32_e32 v13, vcc, 0, v0, vcc
	s_cbranch_scc1 .LBB127_1456
; %bb.1450:
	s_and_b32 s27, 0xffff, s26
	s_cmp_gt_i32 s27, 25
	s_mov_b64 s[16:17], 0
	s_cbranch_scc0 .LBB127_1459
; %bb.1451:
	s_cmp_gt_i32 s27, 28
	s_cbranch_scc0 .LBB127_1470
; %bb.1452:
	s_cmp_gt_i32 s27, 43
	;; [unrolled: 3-line block ×3, first 2 shown]
	s_cbranch_scc0 .LBB127_1475
; %bb.1454:
	s_cmp_eq_u32 s27, 46
	s_mov_b64 s[22:23], 0
	s_cbranch_scc0 .LBB127_1533
; %bb.1455:
	global_load_dword v0, v[12:13], off
	s_mov_b64 s[0:1], 0
	s_mov_b64 s[20:21], -1
	s_waitcnt vmcnt(0)
	v_and_b32_e32 v2, 0xffff0000, v0
	v_lshlrev_b32_e32 v0, 16, v0
	v_cvt_f64_f32_e32 v[0:1], v0
	v_cvt_f64_f32_e32 v[2:3], v2
	s_branch .LBB127_1534
.LBB127_1456:
	s_mov_b64 s[20:21], 0
                                        ; implicit-def: $vgpr2_vgpr3
	s_cbranch_execnz .LBB127_1464
.LBB127_1457:
	s_andn2_b64 vcc, exec, s[20:21]
	s_cbranch_vccnz .LBB127_1725
	s_branch .LBB127_1518
.LBB127_1458:
                                        ; implicit-def: $sgpr14_sgpr15
	s_branch .LBB127_1448
.LBB127_1459:
	s_mov_b64 s[20:21], 0
	s_mov_b64 s[0:1], 0
                                        ; implicit-def: $vgpr2_vgpr3
	s_cbranch_execnz .LBB127_1568
.LBB127_1460:
	s_and_b64 vcc, exec, s[0:1]
	s_cbranch_vccnz .LBB127_1599
.LBB127_1461:
	s_andn2_b64 vcc, exec, s[16:17]
	s_cbranch_vccnz .LBB127_1463
.LBB127_1462:
	global_load_ubyte v1, v[12:13], off
	v_mov_b32_e32 v5, 0x3ff00000
	v_mov_b32_e32 v2, 0
	;; [unrolled: 1-line block ×4, first 2 shown]
	s_mov_b64 s[20:21], -1
	s_waitcnt vmcnt(0)
	v_cmp_ne_u16_e32 vcc, 0, v1
	v_cndmask_b32_e32 v1, 0, v5, vcc
.LBB127_1463:
	s_branch .LBB127_1457
.LBB127_1464:
	s_and_b32 s16, 0xffff, s26
	s_cmp_lt_i32 s16, 5
	s_cbranch_scc1 .LBB127_1469
; %bb.1465:
	s_cmp_lt_i32 s16, 8
	s_cbranch_scc1 .LBB127_1471
; %bb.1466:
	;; [unrolled: 3-line block ×3, first 2 shown]
	s_cmp_gt_i32 s16, 9
	s_cbranch_scc0 .LBB127_1476
; %bb.1468:
	global_load_dwordx4 v[0:3], v[12:13], off
	s_mov_b64 s[0:1], 0
	s_branch .LBB127_1477
.LBB127_1469:
	s_mov_b64 s[0:1], -1
                                        ; implicit-def: $vgpr2_vgpr3
	s_branch .LBB127_1496
.LBB127_1470:
	s_mov_b64 s[22:23], -1
	s_mov_b64 s[20:21], 0
	s_mov_b64 s[0:1], 0
                                        ; implicit-def: $vgpr2_vgpr3
	s_branch .LBB127_1547
.LBB127_1471:
	s_mov_b64 s[0:1], -1
                                        ; implicit-def: $vgpr2_vgpr3
	s_branch .LBB127_1483
.LBB127_1472:
	s_mov_b64 s[22:23], -1
	s_mov_b64 s[20:21], 0
	s_mov_b64 s[0:1], 0
                                        ; implicit-def: $vgpr2_vgpr3
	s_branch .LBB127_1541
.LBB127_1473:
	s_mov_b64 s[0:1], -1
                                        ; implicit-def: $vgpr2_vgpr3
	s_branch .LBB127_1480
.LBB127_1474:
	s_trap 2
	s_or_b64 s[2:3], s[2:3], exec
	s_cbranch_execz .LBB127_1395
	s_branch .LBB127_1396
.LBB127_1475:
	s_mov_b64 s[22:23], -1
	s_mov_b64 s[20:21], 0
	s_mov_b64 s[0:1], 0
                                        ; implicit-def: $vgpr2_vgpr3
	s_branch .LBB127_1534
.LBB127_1476:
	s_mov_b64 s[0:1], -1
                                        ; implicit-def: $vgpr2_vgpr3
.LBB127_1477:
	s_andn2_b64 vcc, exec, s[0:1]
	s_cbranch_vccnz .LBB127_1479
; %bb.1478:
	global_load_dwordx2 v[1:2], v[12:13], off
	s_waitcnt vmcnt(0)
	v_cvt_f64_f32_e32 v[0:1], v1
	v_cvt_f64_f32_e32 v[2:3], v2
.LBB127_1479:
	s_mov_b64 s[0:1], 0
.LBB127_1480:
	s_andn2_b64 vcc, exec, s[0:1]
	s_cbranch_vccnz .LBB127_1482
; %bb.1481:
	global_load_dword v0, v[12:13], off
	s_waitcnt vmcnt(0)
	v_cvt_f32_f16_e32 v1, v0
	v_cvt_f32_f16_sdwa v2, v0 dst_sel:DWORD dst_unused:UNUSED_PAD src0_sel:WORD_1
	v_cvt_f64_f32_e32 v[0:1], v1
	v_cvt_f64_f32_e32 v[2:3], v2
.LBB127_1482:
	s_mov_b64 s[0:1], 0
.LBB127_1483:
	s_andn2_b64 vcc, exec, s[0:1]
	s_cbranch_vccnz .LBB127_1495
; %bb.1484:
	s_cmp_lt_i32 s16, 6
	s_cbranch_scc1 .LBB127_1487
; %bb.1485:
	s_cmp_gt_i32 s16, 6
	s_cbranch_scc0 .LBB127_1488
; %bb.1486:
	global_load_dwordx2 v[0:1], v[12:13], off
	s_mov_b64 s[0:1], 0
	s_branch .LBB127_1489
.LBB127_1487:
	s_mov_b64 s[0:1], -1
                                        ; implicit-def: $vgpr0_vgpr1
	s_branch .LBB127_1492
.LBB127_1488:
	s_mov_b64 s[0:1], -1
                                        ; implicit-def: $vgpr0_vgpr1
.LBB127_1489:
	s_andn2_b64 vcc, exec, s[0:1]
	s_cbranch_vccnz .LBB127_1491
; %bb.1490:
	global_load_dword v0, v[12:13], off
	s_waitcnt vmcnt(0)
	v_cvt_f64_f32_e32 v[0:1], v0
.LBB127_1491:
	s_mov_b64 s[0:1], 0
.LBB127_1492:
	s_andn2_b64 vcc, exec, s[0:1]
	s_cbranch_vccnz .LBB127_1494
; %bb.1493:
	global_load_ushort v0, v[12:13], off
	s_waitcnt vmcnt(0)
	v_cvt_f32_f16_e32 v0, v0
	v_cvt_f64_f32_e32 v[0:1], v0
.LBB127_1494:
	s_waitcnt vmcnt(0)
	v_mov_b32_e32 v2, 0
	v_mov_b32_e32 v3, 0
.LBB127_1495:
	s_mov_b64 s[0:1], 0
.LBB127_1496:
	s_andn2_b64 vcc, exec, s[0:1]
	s_cbranch_vccnz .LBB127_1517
; %bb.1497:
	s_cmp_lt_i32 s16, 2
	s_cbranch_scc1 .LBB127_1501
; %bb.1498:
	s_cmp_lt_i32 s16, 3
	s_cbranch_scc1 .LBB127_1502
; %bb.1499:
	s_cmp_gt_i32 s16, 3
	s_cbranch_scc0 .LBB127_1503
; %bb.1500:
	global_load_dwordx2 v[0:1], v[12:13], off
	s_mov_b64 s[0:1], 0
	s_waitcnt vmcnt(0)
	v_cvt_f64_i32_e32 v[1:2], v1
	v_cvt_f64_u32_e32 v[14:15], v0
	v_ldexp_f64 v[1:2], v[1:2], 32
	v_add_f64 v[0:1], v[1:2], v[14:15]
	s_branch .LBB127_1504
.LBB127_1501:
	s_mov_b64 s[0:1], -1
                                        ; implicit-def: $vgpr0_vgpr1
	s_branch .LBB127_1510
.LBB127_1502:
	s_mov_b64 s[0:1], -1
                                        ; implicit-def: $vgpr0_vgpr1
	s_branch .LBB127_1507
.LBB127_1503:
	s_mov_b64 s[0:1], -1
                                        ; implicit-def: $vgpr0_vgpr1
.LBB127_1504:
	s_andn2_b64 vcc, exec, s[0:1]
	s_cbranch_vccnz .LBB127_1506
; %bb.1505:
	global_load_dword v0, v[12:13], off
	s_waitcnt vmcnt(0)
	v_cvt_f64_i32_e32 v[0:1], v0
.LBB127_1506:
	s_mov_b64 s[0:1], 0
.LBB127_1507:
	s_andn2_b64 vcc, exec, s[0:1]
	s_cbranch_vccnz .LBB127_1509
; %bb.1508:
	global_load_sshort v0, v[12:13], off
	s_waitcnt vmcnt(0)
	v_cvt_f64_i32_e32 v[0:1], v0
.LBB127_1509:
	s_mov_b64 s[0:1], 0
.LBB127_1510:
	s_andn2_b64 vcc, exec, s[0:1]
	s_cbranch_vccnz .LBB127_1516
; %bb.1511:
	s_cmp_gt_i32 s16, 0
	s_cbranch_scc0 .LBB127_1513
; %bb.1512:
	global_load_sbyte v0, v[12:13], off
	s_mov_b64 s[0:1], 0
	s_waitcnt vmcnt(0)
	v_cvt_f64_i32_e32 v[0:1], v0
	s_branch .LBB127_1514
.LBB127_1513:
	s_mov_b64 s[0:1], -1
                                        ; implicit-def: $vgpr0_vgpr1
.LBB127_1514:
	s_andn2_b64 vcc, exec, s[0:1]
	s_cbranch_vccnz .LBB127_1516
; %bb.1515:
	global_load_ubyte v0, v[12:13], off
	s_waitcnt vmcnt(0)
	v_cvt_f64_u32_e32 v[0:1], v0
.LBB127_1516:
	s_waitcnt vmcnt(0)
	v_mov_b32_e32 v2, 0
	v_mov_b32_e32 v3, 0
.LBB127_1517:
.LBB127_1518:
	s_and_b64 vcc, exec, s[18:19]
	s_cbranch_vccz .LBB127_1529
; %bb.1519:
	s_waitcnt vmcnt(0)
	v_cmp_neq_f64_e32 vcc, s[4:5], v[0:1]
	v_cmp_neq_f64_e64 s[0:1], s[6:7], v[2:3]
	s_or_b64 s[16:17], vcc, s[0:1]
	s_cbranch_execnz .LBB127_1521
.LBB127_1520:
	s_waitcnt vmcnt(0)
	v_cmp_eq_f64_e32 vcc, s[4:5], v[0:1]
	v_cmp_eq_f64_e64 s[0:1], s[6:7], v[2:3]
	s_andn2_b64 s[16:17], s[16:17], exec
	s_and_b64 s[0:1], vcc, s[0:1]
	s_and_b64 s[0:1], s[0:1], exec
	s_or_b64 s[16:17], s[16:17], s[0:1]
.LBB127_1521:
	s_waitcnt vmcnt(0)
	v_mov_b32_e32 v0, s11
	v_add_co_u32_e32 v11, vcc, s10, v11
	s_cmp_lt_i32 s26, 11
	v_addc_co_u32_e32 v12, vcc, 0, v0, vcc
	s_cbranch_scc1 .LBB127_1528
; %bb.1522:
	s_and_b32 s27, 0xffff, s26
	s_cmp_gt_i32 s27, 25
	s_mov_b64 s[10:11], 0
	s_cbranch_scc0 .LBB127_1530
; %bb.1523:
	s_cmp_gt_i32 s27, 28
	s_cbranch_scc0 .LBB127_1531
; %bb.1524:
	s_cmp_gt_i32 s27, 43
	;; [unrolled: 3-line block ×3, first 2 shown]
	s_cbranch_scc0 .LBB127_1537
; %bb.1526:
	s_cmp_eq_u32 s27, 46
	s_mov_b64 s[22:23], 0
	s_cbranch_scc0 .LBB127_1600
; %bb.1527:
	global_load_dword v0, v[11:12], off
	s_mov_b64 s[0:1], 0
	s_mov_b64 s[20:21], -1
	s_waitcnt vmcnt(0)
	v_and_b32_e32 v2, 0xffff0000, v0
	v_lshlrev_b32_e32 v0, 16, v0
	v_cvt_f64_f32_e32 v[0:1], v0
	v_cvt_f64_f32_e32 v[2:3], v2
	s_branch .LBB127_1601
.LBB127_1528:
	s_mov_b64 s[0:1], -1
	s_mov_b64 s[20:21], 0
                                        ; implicit-def: $vgpr2_vgpr3
	s_branch .LBB127_1651
.LBB127_1529:
                                        ; implicit-def: $sgpr16_sgpr17
	s_branch .LBB127_1520
.LBB127_1530:
	s_mov_b64 s[22:23], -1
	s_mov_b64 s[20:21], 0
	s_mov_b64 s[0:1], 0
                                        ; implicit-def: $vgpr2_vgpr3
	s_branch .LBB127_1634
.LBB127_1531:
	s_mov_b64 s[22:23], -1
	s_mov_b64 s[20:21], 0
	s_mov_b64 s[0:1], 0
                                        ; implicit-def: $vgpr2_vgpr3
	s_branch .LBB127_1613
.LBB127_1532:
	s_mov_b64 s[22:23], -1
	s_mov_b64 s[20:21], 0
	s_mov_b64 s[0:1], 0
                                        ; implicit-def: $vgpr2_vgpr3
	s_branch .LBB127_1607
.LBB127_1533:
	s_mov_b64 s[0:1], -1
                                        ; implicit-def: $vgpr2_vgpr3
	s_mov_b64 s[20:21], 0
.LBB127_1534:
	s_and_b64 vcc, exec, s[22:23]
	s_cbranch_vccz .LBB127_1540
; %bb.1535:
	s_cmp_eq_u32 s27, 44
	s_cbranch_scc0 .LBB127_1538
; %bb.1536:
	global_load_ubyte v2, v[12:13], off
	s_movk_i32 s20, 0xff
	v_bfrev_b32_e32 v3, 4
	v_mov_b32_e32 v5, 0x7ff80000
	v_bfrev_b32_e32 v7, 28
	s_mov_b64 s[0:1], 0
	s_waitcnt vmcnt(0)
	v_lshlrev_b32_e32 v0, 23, v2
	v_cvt_f64_f32_e32 v[0:1], v0
	v_cmp_ne_u32_e32 vcc, s20, v2
	s_mov_b64 s[20:21], -1
	v_cndmask_b32_e32 v0, v3, v0, vcc
	v_cndmask_b32_e32 v1, v5, v1, vcc
	v_cmp_ne_u32_e32 vcc, 0, v2
	v_cndmask_b32_e32 v1, v7, v1, vcc
	v_cndmask_b32_e32 v0, 0, v0, vcc
	s_branch .LBB127_1539
.LBB127_1537:
	s_mov_b64 s[22:23], -1
	s_mov_b64 s[20:21], 0
	s_mov_b64 s[0:1], 0
                                        ; implicit-def: $vgpr2_vgpr3
	s_branch .LBB127_1601
.LBB127_1538:
	s_mov_b64 s[0:1], -1
                                        ; implicit-def: $vgpr0_vgpr1
.LBB127_1539:
	v_mov_b32_e32 v2, 0
	v_mov_b32_e32 v3, 0
.LBB127_1540:
	s_mov_b64 s[22:23], 0
.LBB127_1541:
	s_and_b64 vcc, exec, s[22:23]
	s_cbranch_vccz .LBB127_1546
; %bb.1542:
	s_cmp_eq_u32 s27, 29
	s_cbranch_scc0 .LBB127_1544
; %bb.1543:
	global_load_dwordx2 v[0:1], v[12:13], off
	s_mov_b64 s[0:1], 0
	s_mov_b64 s[20:21], -1
	s_waitcnt vmcnt(0)
	v_cvt_f64_u32_e32 v[1:2], v1
	v_cvt_f64_u32_e32 v[14:15], v0
	v_ldexp_f64 v[1:2], v[1:2], 32
	v_add_f64 v[0:1], v[1:2], v[14:15]
	s_branch .LBB127_1545
.LBB127_1544:
	s_mov_b64 s[0:1], -1
                                        ; implicit-def: $vgpr0_vgpr1
.LBB127_1545:
	v_mov_b32_e32 v2, 0
	v_mov_b32_e32 v3, 0
.LBB127_1546:
	s_mov_b64 s[22:23], 0
.LBB127_1547:
	s_and_b64 vcc, exec, s[22:23]
	s_cbranch_vccz .LBB127_1567
; %bb.1548:
	s_cmp_lt_i32 s27, 27
	s_cbranch_scc1 .LBB127_1551
; %bb.1549:
	s_cmp_gt_i32 s27, 27
	s_cbranch_scc0 .LBB127_1552
; %bb.1550:
	global_load_dword v0, v[12:13], off
	s_mov_b64 s[20:21], 0
	s_waitcnt vmcnt(0)
	v_cvt_f64_u32_e32 v[0:1], v0
	s_branch .LBB127_1553
.LBB127_1551:
	s_mov_b64 s[20:21], -1
                                        ; implicit-def: $vgpr0_vgpr1
	s_branch .LBB127_1556
.LBB127_1552:
	s_mov_b64 s[20:21], -1
                                        ; implicit-def: $vgpr0_vgpr1
.LBB127_1553:
	s_andn2_b64 vcc, exec, s[20:21]
	s_cbranch_vccnz .LBB127_1555
; %bb.1554:
	global_load_ushort v0, v[12:13], off
	s_waitcnt vmcnt(0)
	v_cvt_f64_u32_e32 v[0:1], v0
.LBB127_1555:
	s_mov_b64 s[20:21], 0
.LBB127_1556:
	s_andn2_b64 vcc, exec, s[20:21]
	s_cbranch_vccnz .LBB127_1566
; %bb.1557:
	global_load_ubyte v2, v[12:13], off
	s_movk_i32 s20, 0x7f
	s_waitcnt vmcnt(0)
	v_cmp_lt_i16_e32 vcc, s20, v2
	s_mov_b64 s[20:21], 0
	s_and_saveexec_b64 s[22:23], vcc
	s_xor_b64 s[22:23], exec, s[22:23]
	s_cbranch_execz .LBB127_1561
; %bb.1558:
	s_movk_i32 s20, 0x80
	v_cmp_eq_u16_e32 vcc, s20, v2
	s_mov_b64 s[20:21], -1
	s_and_saveexec_b64 s[24:25], vcc
; %bb.1559:
	s_xor_b64 s[20:21], exec, -1
; %bb.1560:
	s_or_b64 exec, exec, s[24:25]
	s_and_b64 s[20:21], s[20:21], exec
.LBB127_1561:
	s_or_saveexec_b64 s[22:23], s[22:23]
	v_bfrev_b32_e32 v0, 4
	v_mov_b32_e32 v1, 0x7ff80000
	s_xor_b64 exec, exec, s[22:23]
; %bb.1562:
	v_cmp_ne_u16_e32 vcc, 0, v2
	v_mov_b32_e32 v0, 0
	s_andn2_b64 s[20:21], s[20:21], exec
	s_and_b64 s[24:25], vcc, exec
	v_mov_b32_e32 v1, 0
	s_or_b64 s[20:21], s[20:21], s[24:25]
; %bb.1563:
	s_or_b64 exec, exec, s[22:23]
	s_and_saveexec_b64 s[22:23], s[20:21]
	s_cbranch_execz .LBB127_1565
; %bb.1564:
	v_and_b32_e32 v1, 0xffff, v2
	v_lshlrev_b32_e32 v0, 24, v2
	v_and_b32_e32 v2, 7, v1
	v_ffbh_u32_e32 v5, v2
	v_min_u32_e32 v5, 32, v5
	v_subrev_u32_e32 v7, 28, v5
	v_bfe_u32 v3, v1, 3, 4
	v_lshlrev_b32_e32 v1, v7, v1
	v_sub_u32_e32 v5, 29, v5
	v_and_b32_e32 v1, 7, v1
	v_cmp_eq_u32_e32 vcc, 0, v3
	v_cndmask_b32_e32 v3, v3, v5, vcc
	v_cndmask_b32_e32 v1, v2, v1, vcc
	v_mov_b32_e32 v2, 0x3b800000
	v_lshlrev_b32_e32 v1, 20, v1
	v_and_b32_e32 v0, 0x80000000, v0
	v_lshl_add_u32 v2, v3, 23, v2
	v_or3_b32 v0, v0, v2, v1
	v_cvt_f64_f32_e32 v[0:1], v0
.LBB127_1565:
	s_or_b64 exec, exec, s[22:23]
.LBB127_1566:
	v_mov_b32_e32 v2, 0
	v_mov_b32_e32 v3, 0
	s_mov_b64 s[20:21], -1
.LBB127_1567:
	s_branch .LBB127_1460
.LBB127_1568:
	s_cmp_gt_i32 s27, 22
	s_cbranch_scc0 .LBB127_1580
; %bb.1569:
	s_cmp_lt_i32 s27, 24
	s_cbranch_scc1 .LBB127_1581
; %bb.1570:
	s_cmp_gt_i32 s27, 24
	s_cbranch_scc0 .LBB127_1582
; %bb.1571:
	global_load_ubyte v2, v[12:13], off
	s_movk_i32 s16, 0x7f
	s_waitcnt vmcnt(0)
	v_cmp_lt_i16_e32 vcc, s16, v2
	s_mov_b64 s[16:17], 0
	s_and_saveexec_b64 s[20:21], vcc
	s_xor_b64 s[20:21], exec, s[20:21]
	s_cbranch_execz .LBB127_1575
; %bb.1572:
	s_movk_i32 s16, 0x80
	v_cmp_eq_u16_e32 vcc, s16, v2
	s_mov_b64 s[16:17], -1
	s_and_saveexec_b64 s[22:23], vcc
; %bb.1573:
	s_xor_b64 s[16:17], exec, -1
; %bb.1574:
	s_or_b64 exec, exec, s[22:23]
	s_and_b64 s[16:17], s[16:17], exec
.LBB127_1575:
	s_or_saveexec_b64 s[20:21], s[20:21]
	v_bfrev_b32_e32 v0, 4
	v_mov_b32_e32 v1, 0x7ff80000
	s_xor_b64 exec, exec, s[20:21]
; %bb.1576:
	v_cmp_ne_u16_e32 vcc, 0, v2
	v_mov_b32_e32 v0, 0
	s_andn2_b64 s[16:17], s[16:17], exec
	s_and_b64 s[22:23], vcc, exec
	v_mov_b32_e32 v1, 0
	s_or_b64 s[16:17], s[16:17], s[22:23]
; %bb.1577:
	s_or_b64 exec, exec, s[20:21]
	s_and_saveexec_b64 s[20:21], s[16:17]
	s_cbranch_execz .LBB127_1579
; %bb.1578:
	v_and_b32_e32 v1, 0xffff, v2
	v_lshlrev_b32_e32 v0, 24, v2
	v_and_b32_e32 v2, 3, v1
	v_ffbh_u32_e32 v5, v2
	v_min_u32_e32 v5, 32, v5
	v_subrev_u32_e32 v7, 29, v5
	v_bfe_u32 v3, v1, 2, 5
	v_lshlrev_b32_e32 v1, v7, v1
	v_sub_u32_e32 v5, 30, v5
	v_and_b32_e32 v1, 3, v1
	v_cmp_eq_u32_e32 vcc, 0, v3
	v_cndmask_b32_e32 v3, v3, v5, vcc
	v_cndmask_b32_e32 v1, v2, v1, vcc
	v_mov_b32_e32 v2, 0x37800000
	v_lshlrev_b32_e32 v1, 21, v1
	v_and_b32_e32 v0, 0x80000000, v0
	v_lshl_add_u32 v2, v3, 23, v2
	v_or3_b32 v0, v0, v2, v1
	v_cvt_f64_f32_e32 v[0:1], v0
.LBB127_1579:
	s_or_b64 exec, exec, s[20:21]
	s_mov_b64 s[16:17], 0
	s_branch .LBB127_1583
.LBB127_1580:
	s_mov_b64 s[16:17], -1
                                        ; implicit-def: $vgpr0_vgpr1
	s_branch .LBB127_1589
.LBB127_1581:
	s_mov_b64 s[16:17], -1
                                        ; implicit-def: $vgpr0_vgpr1
	s_branch .LBB127_1586
.LBB127_1582:
	s_mov_b64 s[16:17], -1
                                        ; implicit-def: $vgpr0_vgpr1
.LBB127_1583:
	s_and_b64 vcc, exec, s[16:17]
	s_cbranch_vccz .LBB127_1585
; %bb.1584:
	global_load_ubyte v0, v[12:13], off
	s_mov_b32 s16, 0x7f800000
	s_waitcnt vmcnt(0)
	v_lshlrev_b32_e32 v0, 24, v0
	v_and_b32_e32 v1, 0x7f000000, v0
	v_ffbh_u32_e32 v2, v1
	v_min_u32_e32 v2, 32, v2
	v_sub_u32_e64 v2, v2, 4 clamp
	v_lshlrev_b32_e32 v5, v2, v1
	v_lshlrev_b32_e32 v2, 23, v2
	v_lshrrev_b32_e32 v5, 4, v5
	v_add_u32_e32 v3, 0x1000000, v1
	v_sub_u32_e32 v2, v5, v2
	v_ashrrev_i32_e32 v3, 8, v3
	v_add_u32_e32 v2, 0x3c000000, v2
	v_and_or_b32 v2, v3, s16, v2
	v_cmp_ne_u32_e32 vcc, 0, v1
	v_cndmask_b32_e32 v1, 0, v2, vcc
	s_brev_b32 s16, 1
	v_and_or_b32 v0, v0, s16, v1
	v_cvt_f64_f32_e32 v[0:1], v0
.LBB127_1585:
	s_mov_b64 s[16:17], 0
.LBB127_1586:
	s_andn2_b64 vcc, exec, s[16:17]
	s_cbranch_vccnz .LBB127_1588
; %bb.1587:
	global_load_ubyte v0, v[12:13], off
	s_movk_i32 s16, 0x7f00
	s_brev_b32 s17, 16
	s_waitcnt vmcnt(0)
	v_lshlrev_b16_e32 v1, 8, v0
	v_lshlrev_b32_e32 v0, 25, v0
	v_lshrrev_b32_e32 v2, 4, v0
	v_and_or_b32 v3, v1, s16, 0.5
	v_or_b32_e32 v2, 0x70000000, v2
	v_add_f32_e32 v3, -0.5, v3
	v_mul_f32_e32 v2, 0x7800000, v2
	v_cmp_gt_u32_e32 vcc, s17, v0
	v_bfe_i32 v1, v1, 0, 16
	v_cndmask_b32_e32 v0, v2, v3, vcc
	s_brev_b32 s16, 1
	v_and_or_b32 v0, v1, s16, v0
	v_cvt_f64_f32_e32 v[0:1], v0
.LBB127_1588:
	s_mov_b64 s[16:17], 0
	s_mov_b64 s[20:21], -1
.LBB127_1589:
	s_andn2_b64 vcc, exec, s[16:17]
	s_mov_b64 s[16:17], 0
	s_cbranch_vccnz .LBB127_1598
; %bb.1590:
	s_cmp_gt_i32 s27, 14
	s_cbranch_scc0 .LBB127_1593
; %bb.1591:
	s_cmp_eq_u32 s27, 15
	s_cbranch_scc0 .LBB127_1594
; %bb.1592:
	global_load_ushort v0, v[12:13], off
	s_mov_b64 s[0:1], 0
	s_mov_b64 s[20:21], -1
	s_waitcnt vmcnt(0)
	v_lshlrev_b32_e32 v0, 16, v0
	v_cvt_f64_f32_e32 v[0:1], v0
	s_branch .LBB127_1595
.LBB127_1593:
	s_mov_b64 s[22:23], -1
                                        ; implicit-def: $vgpr0_vgpr1
	s_branch .LBB127_1596
.LBB127_1594:
	s_mov_b64 s[0:1], -1
                                        ; implicit-def: $vgpr0_vgpr1
.LBB127_1595:
	s_mov_b64 s[22:23], 0
.LBB127_1596:
	s_and_b64 vcc, exec, s[22:23]
	s_cbranch_vccz .LBB127_1598
; %bb.1597:
	s_cmp_lg_u32 s27, 11
	s_mov_b64 s[16:17], -1
	s_cselect_b64 s[0:1], -1, 0
.LBB127_1598:
	v_mov_b32_e32 v2, 0
	v_mov_b32_e32 v3, 0
	s_and_b64 vcc, exec, s[0:1]
	s_cbranch_vccz .LBB127_1461
.LBB127_1599:
	s_trap 2
	s_or_b64 s[2:3], s[2:3], exec
	s_cbranch_execz .LBB127_1462
	s_branch .LBB127_1463
.LBB127_1600:
	s_mov_b64 s[0:1], -1
                                        ; implicit-def: $vgpr2_vgpr3
	s_mov_b64 s[20:21], 0
.LBB127_1601:
	s_and_b64 vcc, exec, s[22:23]
	s_cbranch_vccz .LBB127_1606
; %bb.1602:
	s_cmp_eq_u32 s27, 44
	s_cbranch_scc0 .LBB127_1604
; %bb.1603:
	global_load_ubyte v2, v[11:12], off
	s_movk_i32 s20, 0xff
	v_bfrev_b32_e32 v3, 4
	v_mov_b32_e32 v5, 0x7ff80000
	v_bfrev_b32_e32 v7, 28
	s_mov_b64 s[0:1], 0
	s_waitcnt vmcnt(0)
	v_lshlrev_b32_e32 v0, 23, v2
	v_cvt_f64_f32_e32 v[0:1], v0
	v_cmp_ne_u32_e32 vcc, s20, v2
	s_mov_b64 s[20:21], -1
	v_cndmask_b32_e32 v0, v3, v0, vcc
	v_cndmask_b32_e32 v1, v5, v1, vcc
	v_cmp_ne_u32_e32 vcc, 0, v2
	v_cndmask_b32_e32 v1, v7, v1, vcc
	v_cndmask_b32_e32 v0, 0, v0, vcc
	s_branch .LBB127_1605
.LBB127_1604:
	s_mov_b64 s[0:1], -1
                                        ; implicit-def: $vgpr0_vgpr1
.LBB127_1605:
	v_mov_b32_e32 v2, 0
	v_mov_b32_e32 v3, 0
.LBB127_1606:
	s_mov_b64 s[22:23], 0
.LBB127_1607:
	s_and_b64 vcc, exec, s[22:23]
	s_cbranch_vccz .LBB127_1612
; %bb.1608:
	s_cmp_eq_u32 s27, 29
	s_cbranch_scc0 .LBB127_1610
; %bb.1609:
	global_load_dwordx2 v[0:1], v[11:12], off
	s_mov_b64 s[0:1], 0
	s_mov_b64 s[20:21], -1
	s_waitcnt vmcnt(0)
	v_cvt_f64_u32_e32 v[1:2], v1
	v_cvt_f64_u32_e32 v[13:14], v0
	v_ldexp_f64 v[1:2], v[1:2], 32
	v_add_f64 v[0:1], v[1:2], v[13:14]
	s_branch .LBB127_1611
.LBB127_1610:
	s_mov_b64 s[0:1], -1
                                        ; implicit-def: $vgpr0_vgpr1
.LBB127_1611:
	v_mov_b32_e32 v2, 0
	v_mov_b32_e32 v3, 0
.LBB127_1612:
	s_mov_b64 s[22:23], 0
.LBB127_1613:
	s_and_b64 vcc, exec, s[22:23]
	s_cbranch_vccz .LBB127_1633
; %bb.1614:
	s_cmp_lt_i32 s27, 27
	s_cbranch_scc1 .LBB127_1617
; %bb.1615:
	s_cmp_gt_i32 s27, 27
	s_cbranch_scc0 .LBB127_1618
; %bb.1616:
	global_load_dword v0, v[11:12], off
	s_mov_b64 s[20:21], 0
	s_waitcnt vmcnt(0)
	v_cvt_f64_u32_e32 v[0:1], v0
	s_branch .LBB127_1619
.LBB127_1617:
	s_mov_b64 s[20:21], -1
                                        ; implicit-def: $vgpr0_vgpr1
	s_branch .LBB127_1622
.LBB127_1618:
	s_mov_b64 s[20:21], -1
                                        ; implicit-def: $vgpr0_vgpr1
.LBB127_1619:
	s_andn2_b64 vcc, exec, s[20:21]
	s_cbranch_vccnz .LBB127_1621
; %bb.1620:
	global_load_ushort v0, v[11:12], off
	s_waitcnt vmcnt(0)
	v_cvt_f64_u32_e32 v[0:1], v0
.LBB127_1621:
	s_mov_b64 s[20:21], 0
.LBB127_1622:
	s_andn2_b64 vcc, exec, s[20:21]
	s_cbranch_vccnz .LBB127_1632
; %bb.1623:
	global_load_ubyte v2, v[11:12], off
	s_movk_i32 s20, 0x7f
	s_waitcnt vmcnt(0)
	v_cmp_lt_i16_e32 vcc, s20, v2
	s_mov_b64 s[20:21], 0
	s_and_saveexec_b64 s[22:23], vcc
	s_xor_b64 s[22:23], exec, s[22:23]
	s_cbranch_execz .LBB127_1627
; %bb.1624:
	s_movk_i32 s20, 0x80
	v_cmp_eq_u16_e32 vcc, s20, v2
	s_mov_b64 s[20:21], -1
	s_and_saveexec_b64 s[24:25], vcc
; %bb.1625:
	s_xor_b64 s[20:21], exec, -1
; %bb.1626:
	s_or_b64 exec, exec, s[24:25]
	s_and_b64 s[20:21], s[20:21], exec
.LBB127_1627:
	s_or_saveexec_b64 s[22:23], s[22:23]
	v_bfrev_b32_e32 v0, 4
	v_mov_b32_e32 v1, 0x7ff80000
	s_xor_b64 exec, exec, s[22:23]
; %bb.1628:
	v_cmp_ne_u16_e32 vcc, 0, v2
	v_mov_b32_e32 v0, 0
	s_andn2_b64 s[20:21], s[20:21], exec
	s_and_b64 s[24:25], vcc, exec
	v_mov_b32_e32 v1, 0
	s_or_b64 s[20:21], s[20:21], s[24:25]
; %bb.1629:
	s_or_b64 exec, exec, s[22:23]
	s_and_saveexec_b64 s[22:23], s[20:21]
	s_cbranch_execz .LBB127_1631
; %bb.1630:
	v_and_b32_e32 v1, 0xffff, v2
	v_lshlrev_b32_e32 v0, 24, v2
	v_and_b32_e32 v2, 7, v1
	v_ffbh_u32_e32 v5, v2
	v_min_u32_e32 v5, 32, v5
	v_subrev_u32_e32 v7, 28, v5
	v_bfe_u32 v3, v1, 3, 4
	v_lshlrev_b32_e32 v1, v7, v1
	v_sub_u32_e32 v5, 29, v5
	v_and_b32_e32 v1, 7, v1
	v_cmp_eq_u32_e32 vcc, 0, v3
	v_cndmask_b32_e32 v3, v3, v5, vcc
	v_cndmask_b32_e32 v1, v2, v1, vcc
	v_mov_b32_e32 v2, 0x3b800000
	v_lshlrev_b32_e32 v1, 20, v1
	v_and_b32_e32 v0, 0x80000000, v0
	v_lshl_add_u32 v2, v3, 23, v2
	v_or3_b32 v0, v0, v2, v1
	v_cvt_f64_f32_e32 v[0:1], v0
.LBB127_1631:
	s_or_b64 exec, exec, s[22:23]
.LBB127_1632:
	v_mov_b32_e32 v2, 0
	v_mov_b32_e32 v3, 0
	s_mov_b64 s[20:21], -1
.LBB127_1633:
	s_mov_b64 s[22:23], 0
.LBB127_1634:
	s_and_b64 vcc, exec, s[22:23]
	s_cbranch_vccz .LBB127_1647
; %bb.1635:
	s_cmp_gt_i32 s27, 22
	s_cbranch_scc0 .LBB127_1658
; %bb.1636:
	s_cmp_lt_i32 s27, 24
	s_cbranch_scc1 .LBB127_1660
; %bb.1637:
	s_cmp_gt_i32 s27, 24
	s_cbranch_scc0 .LBB127_1662
; %bb.1638:
	global_load_ubyte v2, v[11:12], off
	s_movk_i32 s10, 0x7f
	s_waitcnt vmcnt(0)
	v_cmp_lt_i16_e32 vcc, s10, v2
	s_mov_b64 s[10:11], 0
	s_and_saveexec_b64 s[20:21], vcc
	s_xor_b64 s[20:21], exec, s[20:21]
	s_cbranch_execz .LBB127_1642
; %bb.1639:
	s_movk_i32 s10, 0x80
	v_cmp_eq_u16_e32 vcc, s10, v2
	s_mov_b64 s[10:11], -1
	s_and_saveexec_b64 s[22:23], vcc
; %bb.1640:
	s_xor_b64 s[10:11], exec, -1
; %bb.1641:
	s_or_b64 exec, exec, s[22:23]
	s_and_b64 s[10:11], s[10:11], exec
.LBB127_1642:
	s_or_saveexec_b64 s[20:21], s[20:21]
	v_bfrev_b32_e32 v0, 4
	v_mov_b32_e32 v1, 0x7ff80000
	s_xor_b64 exec, exec, s[20:21]
; %bb.1643:
	v_cmp_ne_u16_e32 vcc, 0, v2
	v_mov_b32_e32 v0, 0
	s_andn2_b64 s[10:11], s[10:11], exec
	s_and_b64 s[22:23], vcc, exec
	v_mov_b32_e32 v1, 0
	s_or_b64 s[10:11], s[10:11], s[22:23]
; %bb.1644:
	s_or_b64 exec, exec, s[20:21]
	s_and_saveexec_b64 s[20:21], s[10:11]
	s_cbranch_execz .LBB127_1646
; %bb.1645:
	v_and_b32_e32 v1, 0xffff, v2
	v_lshlrev_b32_e32 v0, 24, v2
	v_and_b32_e32 v2, 3, v1
	v_ffbh_u32_e32 v5, v2
	v_min_u32_e32 v5, 32, v5
	v_subrev_u32_e32 v7, 29, v5
	v_bfe_u32 v3, v1, 2, 5
	v_lshlrev_b32_e32 v1, v7, v1
	v_sub_u32_e32 v5, 30, v5
	v_and_b32_e32 v1, 3, v1
	v_cmp_eq_u32_e32 vcc, 0, v3
	v_cndmask_b32_e32 v3, v3, v5, vcc
	v_cndmask_b32_e32 v1, v2, v1, vcc
	v_mov_b32_e32 v2, 0x37800000
	v_lshlrev_b32_e32 v1, 21, v1
	v_and_b32_e32 v0, 0x80000000, v0
	v_lshl_add_u32 v2, v3, 23, v2
	v_or3_b32 v0, v0, v2, v1
	v_cvt_f64_f32_e32 v[0:1], v0
.LBB127_1646:
	s_or_b64 exec, exec, s[20:21]
	s_mov_b64 s[10:11], 0
	s_branch .LBB127_1663
.LBB127_1647:
	s_and_b64 vcc, exec, s[0:1]
	s_cbranch_vccnz .LBB127_1691
.LBB127_1648:
	s_andn2_b64 vcc, exec, s[10:11]
	s_cbranch_vccnz .LBB127_1650
.LBB127_1649:
	global_load_ubyte v1, v[11:12], off
	v_mov_b32_e32 v5, 0x3ff00000
	v_mov_b32_e32 v2, 0
	;; [unrolled: 1-line block ×4, first 2 shown]
	s_mov_b64 s[20:21], -1
	s_waitcnt vmcnt(0)
	v_cmp_ne_u16_e32 vcc, 0, v1
	v_cndmask_b32_e32 v1, 0, v5, vcc
.LBB127_1650:
	s_mov_b64 s[0:1], 0
.LBB127_1651:
	s_and_b64 vcc, exec, s[0:1]
	s_cbranch_vccz .LBB127_1722
; %bb.1652:
	s_and_b32 s10, 0xffff, s26
	s_cmp_lt_i32 s10, 5
	s_cbranch_scc1 .LBB127_1657
; %bb.1653:
	s_cmp_lt_i32 s10, 8
	s_cbranch_scc1 .LBB127_1659
; %bb.1654:
	;; [unrolled: 3-line block ×3, first 2 shown]
	s_cmp_gt_i32 s10, 9
	s_cbranch_scc0 .LBB127_1674
; %bb.1656:
	global_load_dwordx4 v[0:3], v[11:12], off
	s_mov_b64 s[0:1], 0
	s_branch .LBB127_1675
.LBB127_1657:
	s_mov_b64 s[0:1], -1
                                        ; implicit-def: $vgpr2_vgpr3
	s_branch .LBB127_1700
.LBB127_1658:
	s_mov_b64 s[10:11], -1
                                        ; implicit-def: $vgpr0_vgpr1
	s_branch .LBB127_1669
.LBB127_1659:
	s_mov_b64 s[0:1], -1
                                        ; implicit-def: $vgpr2_vgpr3
	s_branch .LBB127_1681
.LBB127_1660:
	s_mov_b64 s[10:11], -1
                                        ; implicit-def: $vgpr0_vgpr1
	s_branch .LBB127_1666
.LBB127_1661:
	s_mov_b64 s[0:1], -1
                                        ; implicit-def: $vgpr2_vgpr3
	s_branch .LBB127_1678
.LBB127_1662:
	s_mov_b64 s[10:11], -1
                                        ; implicit-def: $vgpr0_vgpr1
.LBB127_1663:
	s_and_b64 vcc, exec, s[10:11]
	s_cbranch_vccz .LBB127_1665
; %bb.1664:
	global_load_ubyte v0, v[11:12], off
	s_mov_b32 s10, 0x7f800000
	s_waitcnt vmcnt(0)
	v_lshlrev_b32_e32 v0, 24, v0
	v_and_b32_e32 v1, 0x7f000000, v0
	v_ffbh_u32_e32 v2, v1
	v_min_u32_e32 v2, 32, v2
	v_sub_u32_e64 v2, v2, 4 clamp
	v_lshlrev_b32_e32 v5, v2, v1
	v_lshlrev_b32_e32 v2, 23, v2
	v_lshrrev_b32_e32 v5, 4, v5
	v_add_u32_e32 v3, 0x1000000, v1
	v_sub_u32_e32 v2, v5, v2
	v_ashrrev_i32_e32 v3, 8, v3
	v_add_u32_e32 v2, 0x3c000000, v2
	v_and_or_b32 v2, v3, s10, v2
	v_cmp_ne_u32_e32 vcc, 0, v1
	v_cndmask_b32_e32 v1, 0, v2, vcc
	s_brev_b32 s10, 1
	v_and_or_b32 v0, v0, s10, v1
	v_cvt_f64_f32_e32 v[0:1], v0
.LBB127_1665:
	s_mov_b64 s[10:11], 0
.LBB127_1666:
	s_andn2_b64 vcc, exec, s[10:11]
	s_cbranch_vccnz .LBB127_1668
; %bb.1667:
	global_load_ubyte v0, v[11:12], off
	s_movk_i32 s10, 0x7f00
	s_brev_b32 s11, 16
	s_waitcnt vmcnt(0)
	v_lshlrev_b16_e32 v1, 8, v0
	v_lshlrev_b32_e32 v0, 25, v0
	v_lshrrev_b32_e32 v2, 4, v0
	v_and_or_b32 v3, v1, s10, 0.5
	v_or_b32_e32 v2, 0x70000000, v2
	v_add_f32_e32 v3, -0.5, v3
	v_mul_f32_e32 v2, 0x7800000, v2
	v_cmp_gt_u32_e32 vcc, s11, v0
	v_bfe_i32 v1, v1, 0, 16
	v_cndmask_b32_e32 v0, v2, v3, vcc
	s_brev_b32 s10, 1
	v_and_or_b32 v0, v1, s10, v0
	v_cvt_f64_f32_e32 v[0:1], v0
.LBB127_1668:
	s_mov_b64 s[10:11], 0
	s_mov_b64 s[20:21], -1
.LBB127_1669:
	s_andn2_b64 vcc, exec, s[10:11]
	s_mov_b64 s[10:11], 0
	s_cbranch_vccnz .LBB127_1690
; %bb.1670:
	s_cmp_gt_i32 s27, 14
	s_cbranch_scc0 .LBB127_1673
; %bb.1671:
	s_cmp_eq_u32 s27, 15
	s_cbranch_scc0 .LBB127_1686
; %bb.1672:
	global_load_ushort v0, v[11:12], off
	s_mov_b64 s[0:1], 0
	s_mov_b64 s[20:21], -1
	s_waitcnt vmcnt(0)
	v_lshlrev_b32_e32 v0, 16, v0
	v_cvt_f64_f32_e32 v[0:1], v0
	s_branch .LBB127_1687
.LBB127_1673:
	s_mov_b64 s[22:23], -1
                                        ; implicit-def: $vgpr0_vgpr1
	s_branch .LBB127_1688
.LBB127_1674:
	s_mov_b64 s[0:1], -1
                                        ; implicit-def: $vgpr2_vgpr3
.LBB127_1675:
	s_andn2_b64 vcc, exec, s[0:1]
	s_cbranch_vccnz .LBB127_1677
; %bb.1676:
	global_load_dwordx2 v[1:2], v[11:12], off
	s_waitcnt vmcnt(0)
	v_cvt_f64_f32_e32 v[0:1], v1
	v_cvt_f64_f32_e32 v[2:3], v2
.LBB127_1677:
	s_mov_b64 s[0:1], 0
.LBB127_1678:
	s_andn2_b64 vcc, exec, s[0:1]
	s_cbranch_vccnz .LBB127_1680
; %bb.1679:
	global_load_dword v0, v[11:12], off
	s_waitcnt vmcnt(0)
	v_cvt_f32_f16_e32 v1, v0
	v_cvt_f32_f16_sdwa v2, v0 dst_sel:DWORD dst_unused:UNUSED_PAD src0_sel:WORD_1
	v_cvt_f64_f32_e32 v[0:1], v1
	v_cvt_f64_f32_e32 v[2:3], v2
.LBB127_1680:
	s_mov_b64 s[0:1], 0
.LBB127_1681:
	s_andn2_b64 vcc, exec, s[0:1]
	s_cbranch_vccnz .LBB127_1699
; %bb.1682:
	s_cmp_lt_i32 s10, 6
	s_cbranch_scc1 .LBB127_1685
; %bb.1683:
	s_cmp_gt_i32 s10, 6
	s_cbranch_scc0 .LBB127_1692
; %bb.1684:
	global_load_dwordx2 v[0:1], v[11:12], off
	s_mov_b64 s[0:1], 0
	s_branch .LBB127_1693
.LBB127_1685:
	s_mov_b64 s[0:1], -1
                                        ; implicit-def: $vgpr0_vgpr1
	s_branch .LBB127_1696
.LBB127_1686:
	s_mov_b64 s[0:1], -1
                                        ; implicit-def: $vgpr0_vgpr1
.LBB127_1687:
	s_mov_b64 s[22:23], 0
.LBB127_1688:
	s_and_b64 vcc, exec, s[22:23]
	s_cbranch_vccz .LBB127_1690
; %bb.1689:
	s_cmp_lg_u32 s27, 11
	s_mov_b64 s[10:11], -1
	s_cselect_b64 s[0:1], -1, 0
.LBB127_1690:
	v_mov_b32_e32 v2, 0
	v_mov_b32_e32 v3, 0
	s_and_b64 vcc, exec, s[0:1]
	s_cbranch_vccz .LBB127_1648
.LBB127_1691:
	s_trap 2
	s_or_b64 s[2:3], s[2:3], exec
	s_cbranch_execz .LBB127_1649
	s_branch .LBB127_1650
.LBB127_1692:
	s_mov_b64 s[0:1], -1
                                        ; implicit-def: $vgpr0_vgpr1
.LBB127_1693:
	s_andn2_b64 vcc, exec, s[0:1]
	s_cbranch_vccnz .LBB127_1695
; %bb.1694:
	global_load_dword v0, v[11:12], off
	s_waitcnt vmcnt(0)
	v_cvt_f64_f32_e32 v[0:1], v0
.LBB127_1695:
	s_mov_b64 s[0:1], 0
.LBB127_1696:
	s_andn2_b64 vcc, exec, s[0:1]
	s_cbranch_vccnz .LBB127_1698
; %bb.1697:
	global_load_ushort v0, v[11:12], off
	s_waitcnt vmcnt(0)
	v_cvt_f32_f16_e32 v0, v0
	v_cvt_f64_f32_e32 v[0:1], v0
.LBB127_1698:
	s_waitcnt vmcnt(0)
	v_mov_b32_e32 v2, 0
	v_mov_b32_e32 v3, 0
.LBB127_1699:
	s_mov_b64 s[0:1], 0
.LBB127_1700:
	s_andn2_b64 vcc, exec, s[0:1]
	s_cbranch_vccnz .LBB127_1721
; %bb.1701:
	s_cmp_lt_i32 s10, 2
	s_cbranch_scc1 .LBB127_1705
; %bb.1702:
	s_cmp_lt_i32 s10, 3
	s_cbranch_scc1 .LBB127_1706
; %bb.1703:
	s_cmp_gt_i32 s10, 3
	s_cbranch_scc0 .LBB127_1707
; %bb.1704:
	global_load_dwordx2 v[0:1], v[11:12], off
	s_mov_b64 s[0:1], 0
	s_waitcnt vmcnt(0)
	v_cvt_f64_i32_e32 v[1:2], v1
	v_cvt_f64_u32_e32 v[13:14], v0
	v_ldexp_f64 v[1:2], v[1:2], 32
	v_add_f64 v[0:1], v[1:2], v[13:14]
	s_branch .LBB127_1708
.LBB127_1705:
	s_mov_b64 s[0:1], -1
                                        ; implicit-def: $vgpr0_vgpr1
	s_branch .LBB127_1714
.LBB127_1706:
	s_mov_b64 s[0:1], -1
                                        ; implicit-def: $vgpr0_vgpr1
	s_branch .LBB127_1711
.LBB127_1707:
	s_mov_b64 s[0:1], -1
                                        ; implicit-def: $vgpr0_vgpr1
.LBB127_1708:
	s_andn2_b64 vcc, exec, s[0:1]
	s_cbranch_vccnz .LBB127_1710
; %bb.1709:
	global_load_dword v0, v[11:12], off
	s_waitcnt vmcnt(0)
	v_cvt_f64_i32_e32 v[0:1], v0
.LBB127_1710:
	s_mov_b64 s[0:1], 0
.LBB127_1711:
	s_andn2_b64 vcc, exec, s[0:1]
	s_cbranch_vccnz .LBB127_1713
; %bb.1712:
	global_load_sshort v0, v[11:12], off
	s_waitcnt vmcnt(0)
	v_cvt_f64_i32_e32 v[0:1], v0
.LBB127_1713:
	s_mov_b64 s[0:1], 0
.LBB127_1714:
	s_andn2_b64 vcc, exec, s[0:1]
	s_cbranch_vccnz .LBB127_1720
; %bb.1715:
	s_cmp_gt_i32 s10, 0
	s_cbranch_scc0 .LBB127_1717
; %bb.1716:
	global_load_sbyte v0, v[11:12], off
	s_mov_b64 s[0:1], 0
	s_waitcnt vmcnt(0)
	v_cvt_f64_i32_e32 v[0:1], v0
	s_branch .LBB127_1718
.LBB127_1717:
	s_mov_b64 s[0:1], -1
                                        ; implicit-def: $vgpr0_vgpr1
.LBB127_1718:
	s_andn2_b64 vcc, exec, s[0:1]
	s_cbranch_vccnz .LBB127_1720
; %bb.1719:
	global_load_ubyte v0, v[11:12], off
	s_waitcnt vmcnt(0)
	v_cvt_f64_u32_e32 v[0:1], v0
.LBB127_1720:
	s_waitcnt vmcnt(0)
	v_mov_b32_e32 v2, 0
	v_mov_b32_e32 v3, 0
.LBB127_1721:
	s_mov_b64 s[20:21], -1
.LBB127_1722:
	s_andn2_b64 vcc, exec, s[20:21]
	s_cbranch_vccnz .LBB127_1725
; %bb.1723:
	s_and_b64 vcc, exec, s[18:19]
	s_cbranch_vccz .LBB127_1771
; %bb.1724:
	s_waitcnt vmcnt(0)
	v_cmp_neq_f64_e32 vcc, s[4:5], v[0:1]
	v_cmp_neq_f64_e64 s[0:1], s[6:7], v[2:3]
	s_or_b64 s[10:11], vcc, s[0:1]
	s_mov_b64 s[0:1], 0
	s_branch .LBB127_1772
.LBB127_1725:
	s_mov_b64 s[0:1], 0
                                        ; implicit-def: $sgpr10_sgpr11
.LBB127_1726:
                                        ; implicit-def: $vgpr0_vgpr1
                                        ; implicit-def: $sgpr22
	s_mov_b64 s[4:5], 0
.LBB127_1727:
	s_and_b64 s[6:7], s[4:5], exec
	s_andn2_b64 s[4:5], s[28:29], exec
	s_and_b64 s[2:3], s[2:3], exec
	s_and_b64 s[0:1], s[0:1], exec
	s_or_b64 s[28:29], s[4:5], s[2:3]
.LBB127_1728:
	s_or_b64 exec, exec, s[30:31]
	s_and_saveexec_b64 s[2:3], s[28:29]
	s_cbranch_execz .LBB127_1731
; %bb.1729:
	; divergent unreachable
	s_or_b64 exec, exec, s[2:3]
	s_and_saveexec_b64 s[2:3], s[6:7]
	s_xor_b64 s[2:3], exec, s[2:3]
	s_cbranch_execnz .LBB127_1732
.LBB127_1730:
	s_or_b64 exec, exec, s[2:3]
	s_and_saveexec_b64 s[2:3], s[0:1]
	s_cbranch_execnz .LBB127_1733
	s_branch .LBB127_1770
.LBB127_1731:
	s_or_b64 exec, exec, s[2:3]
	s_and_saveexec_b64 s[2:3], s[6:7]
	s_xor_b64 s[2:3], exec, s[2:3]
	s_cbranch_execz .LBB127_1730
.LBB127_1732:
	s_waitcnt vmcnt(0)
	v_cndmask_b32_e64 v2, 0, 1, s[10:11]
	global_store_byte v[0:1], v2, off
	s_or_b64 exec, exec, s[2:3]
	s_and_saveexec_b64 s[2:3], s[0:1]
	s_cbranch_execz .LBB127_1770
.LBB127_1733:
	s_sext_i32_i16 s2, s22
	s_cmp_lt_i32 s2, 5
	s_mov_b64 s[0:1], -1
	s_cbranch_scc1 .LBB127_1754
; %bb.1734:
	s_cmp_lt_i32 s2, 8
	s_cbranch_scc1 .LBB127_1744
; %bb.1735:
	s_cmp_lt_i32 s2, 9
	s_cbranch_scc1 .LBB127_1741
; %bb.1736:
	s_cmp_gt_i32 s2, 9
	s_cbranch_scc0 .LBB127_1738
; %bb.1737:
	s_waitcnt vmcnt(0)
	v_cndmask_b32_e64 v2, 0, 1, s[10:11]
	v_cvt_f64_u32_e32 v[2:3], v2
	v_mov_b32_e32 v4, 0
	v_mov_b32_e32 v5, v4
	s_mov_b64 s[0:1], 0
	global_store_dwordx4 v[0:1], v[2:5], off
.LBB127_1738:
	s_andn2_b64 vcc, exec, s[0:1]
	s_cbranch_vccnz .LBB127_1740
; %bb.1739:
	s_waitcnt vmcnt(0)
	v_cndmask_b32_e64 v2, 0, 1.0, s[10:11]
	v_mov_b32_e32 v3, 0
	global_store_dwordx2 v[0:1], v[2:3], off
.LBB127_1740:
	s_mov_b64 s[0:1], 0
.LBB127_1741:
	s_andn2_b64 vcc, exec, s[0:1]
	s_cbranch_vccnz .LBB127_1743
; %bb.1742:
	s_waitcnt vmcnt(0)
	v_cndmask_b32_e64 v2, 0, 1.0, s[10:11]
	v_cvt_f16_f32_e32 v2, v2
	global_store_dword v[0:1], v2, off
.LBB127_1743:
	s_mov_b64 s[0:1], 0
.LBB127_1744:
	s_andn2_b64 vcc, exec, s[0:1]
	s_cbranch_vccnz .LBB127_1753
; %bb.1745:
	s_sext_i32_i16 s2, s22
	s_cmp_lt_i32 s2, 6
	s_mov_b64 s[0:1], -1
	s_cbranch_scc1 .LBB127_1751
; %bb.1746:
	s_cmp_gt_i32 s2, 6
	s_cbranch_scc0 .LBB127_1748
; %bb.1747:
	s_waitcnt vmcnt(0)
	v_cndmask_b32_e64 v2, 0, 1, s[10:11]
	v_cvt_f64_u32_e32 v[2:3], v2
	s_mov_b64 s[0:1], 0
	global_store_dwordx2 v[0:1], v[2:3], off
.LBB127_1748:
	s_andn2_b64 vcc, exec, s[0:1]
	s_cbranch_vccnz .LBB127_1750
; %bb.1749:
	s_waitcnt vmcnt(0)
	v_cndmask_b32_e64 v2, 0, 1.0, s[10:11]
	global_store_dword v[0:1], v2, off
.LBB127_1750:
	s_mov_b64 s[0:1], 0
.LBB127_1751:
	s_andn2_b64 vcc, exec, s[0:1]
	s_cbranch_vccnz .LBB127_1753
; %bb.1752:
	s_waitcnt vmcnt(0)
	v_cndmask_b32_e64 v2, 0, 1.0, s[10:11]
	v_cvt_f16_f32_e32 v2, v2
	global_store_short v[0:1], v2, off
.LBB127_1753:
	s_mov_b64 s[0:1], 0
.LBB127_1754:
	s_andn2_b64 vcc, exec, s[0:1]
	s_cbranch_vccnz .LBB127_1770
; %bb.1755:
	s_sext_i32_i16 s2, s22
	s_cmp_lt_i32 s2, 2
	s_mov_b64 s[0:1], -1
	s_cbranch_scc1 .LBB127_1765
; %bb.1756:
	s_cmp_lt_i32 s2, 3
	s_cbranch_scc1 .LBB127_1762
; %bb.1757:
	s_cmp_gt_i32 s2, 3
	s_cbranch_scc0 .LBB127_1759
; %bb.1758:
	s_mov_b32 s0, 0
	s_waitcnt vmcnt(0)
	v_cndmask_b32_e64 v2, 0, 1, s[10:11]
	v_mov_b32_e32 v3, s0
	global_store_dwordx2 v[0:1], v[2:3], off
	s_mov_b64 s[0:1], 0
.LBB127_1759:
	s_andn2_b64 vcc, exec, s[0:1]
	s_cbranch_vccnz .LBB127_1761
; %bb.1760:
	s_waitcnt vmcnt(0)
	v_cndmask_b32_e64 v2, 0, 1, s[10:11]
	global_store_dword v[0:1], v2, off
.LBB127_1761:
	s_mov_b64 s[0:1], 0
.LBB127_1762:
	s_andn2_b64 vcc, exec, s[0:1]
	s_cbranch_vccnz .LBB127_1764
; %bb.1763:
	s_waitcnt vmcnt(0)
	v_cndmask_b32_e64 v2, 0, 1, s[10:11]
	global_store_short v[0:1], v2, off
.LBB127_1764:
	s_mov_b64 s[0:1], 0
.LBB127_1765:
	s_andn2_b64 vcc, exec, s[0:1]
	s_cbranch_vccnz .LBB127_1770
; %bb.1766:
	s_sext_i32_i16 s0, s22
	s_cmp_gt_i32 s0, 0
	s_mov_b64 s[0:1], -1
	s_cbranch_scc0 .LBB127_1768
; %bb.1767:
	s_waitcnt vmcnt(0)
	v_cndmask_b32_e64 v2, 0, 1, s[10:11]
	global_store_byte v[0:1], v2, off
	s_mov_b64 s[0:1], 0
.LBB127_1768:
	s_andn2_b64 vcc, exec, s[0:1]
	s_cbranch_vccnz .LBB127_1770
; %bb.1769:
	s_waitcnt vmcnt(0)
	v_cndmask_b32_e64 v2, 0, 1, s[10:11]
	global_store_byte v[0:1], v2, off
	s_endpgm
.LBB127_1770:
	s_endpgm
.LBB127_1771:
	s_mov_b64 s[0:1], -1
                                        ; implicit-def: $sgpr10_sgpr11
.LBB127_1772:
	s_andn2_b64 vcc, exec, s[0:1]
	s_cbranch_vccnz .LBB127_1774
; %bb.1773:
	s_waitcnt vmcnt(0)
	v_cmp_eq_f64_e32 vcc, s[4:5], v[0:1]
	v_cmp_eq_f64_e64 s[0:1], s[6:7], v[2:3]
	s_andn2_b64 s[4:5], s[10:11], exec
	s_and_b64 s[0:1], vcc, s[0:1]
	s_and_b64 s[0:1], s[0:1], exec
	s_or_b64 s[10:11], s[4:5], s[0:1]
.LBB127_1774:
	s_load_dword s0, s[34:35], 0x180
	s_waitcnt vmcnt(0)
	v_mov_b32_e32 v1, s9
	v_add_co_u32_e32 v0, vcc, s8, v10
	v_addc_co_u32_e32 v1, vcc, 0, v1, vcc
	s_waitcnt lgkmcnt(0)
	s_and_b32 s22, s0, 0xff
	s_cmp_lt_i32 s22, 11
	s_cbranch_scc1 .LBB127_1852
; %bb.1775:
	s_and_b32 s23, 0xffff, s22
	s_mov_b64 s[18:19], -1
	s_mov_b64 s[4:5], 0
	s_cmp_gt_i32 s23, 25
	s_mov_b64 s[6:7], 0
	s_mov_b64 s[0:1], 0
	s_cbranch_scc0 .LBB127_1808
; %bb.1776:
	s_cmp_gt_i32 s23, 28
	s_cbranch_scc0 .LBB127_1791
; %bb.1777:
	s_cmp_gt_i32 s23, 43
	;; [unrolled: 3-line block ×3, first 2 shown]
	s_cbranch_scc0 .LBB127_1781
; %bb.1779:
	s_mov_b64 s[0:1], -1
	s_mov_b64 s[18:19], 0
	s_cmp_eq_u32 s23, 46
	s_cbranch_scc0 .LBB127_1781
; %bb.1780:
	v_cndmask_b32_e64 v2, 0, 1.0, s[12:13]
	v_bfe_u32 v3, v2, 16, 1
	s_movk_i32 s0, 0x7fff
	v_add3_u32 v2, v2, v3, s0
	v_lshrrev_b32_e32 v2, 16, v2
	global_store_dword v[0:1], v2, off
	s_mov_b64 s[0:1], 0
	s_mov_b64 s[6:7], -1
.LBB127_1781:
	s_and_b64 vcc, exec, s[18:19]
	s_cbranch_vccz .LBB127_1786
; %bb.1782:
	s_cmp_eq_u32 s23, 44
	s_mov_b64 s[0:1], -1
	s_cbranch_scc0 .LBB127_1786
; %bb.1783:
	v_cndmask_b32_e64 v3, 0, 1.0, s[12:13]
	v_lshrrev_b32_e32 v2, 23, v3
	s_movk_i32 s0, 0xff
	v_cmp_ne_u32_e32 vcc, s0, v2
	v_mov_b32_e32 v5, 0xff
	s_and_saveexec_b64 s[6:7], vcc
; %bb.1784:
	s_mov_b32 s0, 0x3fffff
	v_and_b32_e32 v5, 0x400000, v3
	v_and_or_b32 v3, v3, s0, v2
	v_cmp_ne_u32_e32 vcc, 0, v5
	v_cmp_ne_u32_e64 s[0:1], 0, v3
	s_and_b64 s[0:1], vcc, s[0:1]
	v_cndmask_b32_e64 v3, 0, 1, s[0:1]
	v_add_u32_e32 v5, v2, v3
; %bb.1785:
	s_or_b64 exec, exec, s[6:7]
	s_mov_b64 s[0:1], 0
	s_mov_b64 s[6:7], -1
	global_store_byte v[0:1], v5, off
.LBB127_1786:
	s_mov_b64 s[18:19], 0
.LBB127_1787:
	s_and_b64 vcc, exec, s[18:19]
	s_cbranch_vccz .LBB127_1790
; %bb.1788:
	s_cmp_eq_u32 s23, 29
	s_mov_b64 s[0:1], -1
	s_cbranch_scc0 .LBB127_1790
; %bb.1789:
	s_mov_b32 s0, 0
	v_cndmask_b32_e64 v2, 0, 1, s[12:13]
	v_mov_b32_e32 v3, s0
	global_store_dwordx2 v[0:1], v[2:3], off
	s_mov_b64 s[0:1], 0
	s_mov_b64 s[6:7], -1
.LBB127_1790:
	s_mov_b64 s[18:19], 0
.LBB127_1791:
	s_and_b64 vcc, exec, s[18:19]
	s_cbranch_vccz .LBB127_1807
; %bb.1792:
	s_cmp_lt_i32 s23, 27
	s_mov_b64 s[6:7], -1
	s_cbranch_scc1 .LBB127_1798
; %bb.1793:
	s_cmp_gt_i32 s23, 27
	s_cbranch_scc0 .LBB127_1795
; %bb.1794:
	v_cndmask_b32_e64 v2, 0, 1, s[12:13]
	s_mov_b64 s[6:7], 0
	global_store_dword v[0:1], v2, off
.LBB127_1795:
	s_andn2_b64 vcc, exec, s[6:7]
	s_cbranch_vccnz .LBB127_1797
; %bb.1796:
	v_cndmask_b32_e64 v2, 0, 1, s[12:13]
	global_store_short v[0:1], v2, off
.LBB127_1797:
	s_mov_b64 s[6:7], 0
.LBB127_1798:
	s_andn2_b64 vcc, exec, s[6:7]
	s_cbranch_vccnz .LBB127_1806
; %bb.1799:
	v_cndmask_b32_e64 v3, 0, 1.0, s[12:13]
	s_mov_b32 s6, 0x43800000
	v_cmp_gt_u32_e32 vcc, s6, v3
	v_mov_b32_e32 v5, 0x80
	s_and_saveexec_b64 s[6:7], vcc
	s_cbranch_execz .LBB127_1805
; %bb.1800:
	s_mov_b32 s18, 0x3bffffff
	v_cmp_lt_u32_e32 vcc, s18, v3
	s_mov_b64 s[18:19], 0
                                        ; implicit-def: $vgpr2
	s_and_saveexec_b64 s[20:21], vcc
	s_xor_b64 s[20:21], exec, s[20:21]
	s_cbranch_execz .LBB127_2209
; %bb.1801:
	v_bfe_u32 v2, v3, 20, 1
	s_mov_b32 s24, 0x487ffff
	v_add3_u32 v2, v3, v2, s24
	s_mov_b64 s[18:19], exec
	v_lshrrev_b32_e32 v2, 20, v2
                                        ; implicit-def: $vgpr3
	s_andn2_saveexec_b64 s[20:21], s[20:21]
	s_cbranch_execnz .LBB127_2210
.LBB127_1802:
	s_or_b64 exec, exec, s[20:21]
	v_mov_b32_e32 v5, 0
	s_and_saveexec_b64 s[20:21], s[18:19]
.LBB127_1803:
	v_mov_b32_e32 v5, v2
.LBB127_1804:
	s_or_b64 exec, exec, s[20:21]
.LBB127_1805:
	s_or_b64 exec, exec, s[6:7]
	global_store_byte v[0:1], v5, off
.LBB127_1806:
	s_mov_b64 s[6:7], -1
.LBB127_1807:
	s_mov_b64 s[18:19], 0
.LBB127_1808:
	s_and_b64 vcc, exec, s[18:19]
	s_cbranch_vccz .LBB127_1848
; %bb.1809:
	s_cmp_gt_i32 s23, 22
	s_mov_b64 s[4:5], -1
	s_cbranch_scc0 .LBB127_1841
; %bb.1810:
	s_cmp_lt_i32 s23, 24
	s_cbranch_scc1 .LBB127_1830
; %bb.1811:
	s_cmp_gt_i32 s23, 24
	s_cbranch_scc0 .LBB127_1819
; %bb.1812:
	v_cndmask_b32_e64 v3, 0, 1.0, s[12:13]
	s_mov_b32 s4, 0x47800000
	v_cmp_gt_u32_e32 vcc, s4, v3
	v_mov_b32_e32 v5, 0x80
	s_and_saveexec_b64 s[4:5], vcc
	s_cbranch_execz .LBB127_1818
; %bb.1813:
	s_mov_b32 s6, 0x37ffffff
	v_cmp_lt_u32_e32 vcc, s6, v3
	s_mov_b64 s[6:7], 0
                                        ; implicit-def: $vgpr2
	s_and_saveexec_b64 s[18:19], vcc
	s_xor_b64 s[18:19], exec, s[18:19]
	s_cbranch_execz .LBB127_2212
; %bb.1814:
	v_bfe_u32 v2, v3, 21, 1
	s_mov_b32 s20, 0x88fffff
	v_add3_u32 v2, v3, v2, s20
	s_mov_b64 s[6:7], exec
	v_lshrrev_b32_e32 v2, 21, v2
                                        ; implicit-def: $vgpr3
	s_andn2_saveexec_b64 s[18:19], s[18:19]
	s_cbranch_execnz .LBB127_2213
.LBB127_1815:
	s_or_b64 exec, exec, s[18:19]
	v_mov_b32_e32 v5, 0
	s_and_saveexec_b64 s[18:19], s[6:7]
.LBB127_1816:
	v_mov_b32_e32 v5, v2
.LBB127_1817:
	s_or_b64 exec, exec, s[18:19]
.LBB127_1818:
	s_or_b64 exec, exec, s[4:5]
	s_mov_b64 s[4:5], 0
	global_store_byte v[0:1], v5, off
.LBB127_1819:
	s_and_b64 vcc, exec, s[4:5]
	s_cbranch_vccz .LBB127_1829
; %bb.1820:
	v_cndmask_b32_e64 v2, 0, 1.0, s[12:13]
	s_mov_b32 s4, 0x43f00000
	v_cmp_gt_u32_e32 vcc, s4, v2
                                        ; implicit-def: $vgpr3
	s_and_saveexec_b64 s[4:5], vcc
	s_xor_b64 s[4:5], exec, s[4:5]
	s_cbranch_execz .LBB127_1826
; %bb.1821:
	s_mov_b32 s6, 0x3c7fffff
	v_cmp_lt_u32_e32 vcc, s6, v2
                                        ; implicit-def: $vgpr3
	s_and_saveexec_b64 s[6:7], vcc
	s_xor_b64 s[6:7], exec, s[6:7]
; %bb.1822:
	v_bfe_u32 v3, v2, 20, 1
	s_mov_b32 s18, 0x407ffff
	v_add3_u32 v2, v2, v3, s18
	v_lshrrev_b32_e32 v3, 20, v2
	v_and_b32_e32 v2, 0xff00000, v2
	s_mov_b32 s18, 0x7f00000
	v_mov_b32_e32 v5, 0x7e
	v_cmp_ne_u32_e32 vcc, s18, v2
	v_cndmask_b32_e32 v3, v5, v3, vcc
                                        ; implicit-def: $vgpr2
; %bb.1823:
	s_andn2_saveexec_b64 s[6:7], s[6:7]
; %bb.1824:
	v_add_f32_e32 v3, 0x46800000, v2
; %bb.1825:
	s_or_b64 exec, exec, s[6:7]
                                        ; implicit-def: $vgpr2
.LBB127_1826:
	s_andn2_saveexec_b64 s[4:5], s[4:5]
; %bb.1827:
	s_mov_b32 s6, 0x7f800000
	v_mov_b32_e32 v3, 0x7e
	v_mov_b32_e32 v5, 0x7f
	v_cmp_lt_u32_e32 vcc, s6, v2
	v_cndmask_b32_e32 v3, v3, v5, vcc
; %bb.1828:
	s_or_b64 exec, exec, s[4:5]
	global_store_byte v[0:1], v3, off
.LBB127_1829:
	s_mov_b64 s[4:5], 0
.LBB127_1830:
	s_andn2_b64 vcc, exec, s[4:5]
	s_cbranch_vccnz .LBB127_1840
; %bb.1831:
	v_cndmask_b32_e64 v2, 0, 1.0, s[12:13]
	s_mov_b32 s4, 0x47800000
	v_cmp_gt_u32_e32 vcc, s4, v2
                                        ; implicit-def: $vgpr3
	s_and_saveexec_b64 s[4:5], vcc
	s_xor_b64 s[4:5], exec, s[4:5]
	s_cbranch_execz .LBB127_1837
; %bb.1832:
	s_mov_b32 s6, 0x387fffff
	v_cmp_lt_u32_e32 vcc, s6, v2
                                        ; implicit-def: $vgpr3
	s_and_saveexec_b64 s[6:7], vcc
	s_xor_b64 s[6:7], exec, s[6:7]
; %bb.1833:
	v_bfe_u32 v3, v2, 21, 1
	s_mov_b32 s18, 0x80fffff
	v_add3_u32 v2, v2, v3, s18
	v_lshrrev_b32_e32 v3, 21, v2
                                        ; implicit-def: $vgpr2
; %bb.1834:
	s_andn2_saveexec_b64 s[6:7], s[6:7]
; %bb.1835:
	v_add_f32_e32 v3, 0x43000000, v2
; %bb.1836:
	s_or_b64 exec, exec, s[6:7]
                                        ; implicit-def: $vgpr2
.LBB127_1837:
	s_andn2_saveexec_b64 s[4:5], s[4:5]
; %bb.1838:
	s_mov_b32 s6, 0x7f800000
	v_mov_b32_e32 v3, 0x7c
	v_mov_b32_e32 v5, 0x7f
	v_cmp_lt_u32_e32 vcc, s6, v2
	v_cndmask_b32_e32 v3, v3, v5, vcc
; %bb.1839:
	s_or_b64 exec, exec, s[4:5]
	global_store_byte v[0:1], v3, off
.LBB127_1840:
	s_mov_b64 s[4:5], 0
	s_mov_b64 s[6:7], -1
.LBB127_1841:
	s_andn2_b64 vcc, exec, s[4:5]
	s_mov_b64 s[4:5], 0
	s_cbranch_vccnz .LBB127_1848
; %bb.1842:
	s_cmp_gt_i32 s23, 14
	s_mov_b64 s[18:19], -1
	s_cbranch_scc0 .LBB127_1846
; %bb.1843:
	s_cmp_eq_u32 s23, 15
	s_mov_b64 s[0:1], -1
	s_cbranch_scc0 .LBB127_1845
; %bb.1844:
	v_cndmask_b32_e64 v2, 0, 1.0, s[12:13]
	v_bfe_u32 v3, v2, 16, 1
	s_movk_i32 s0, 0x7fff
	v_add3_u32 v2, v2, v3, s0
	global_store_short_d16_hi v[0:1], v2, off
	s_mov_b64 s[0:1], 0
	s_mov_b64 s[6:7], -1
.LBB127_1845:
	s_mov_b64 s[18:19], 0
.LBB127_1846:
	s_and_b64 vcc, exec, s[18:19]
	s_cbranch_vccz .LBB127_1848
; %bb.1847:
	s_cmp_lg_u32 s23, 11
	s_mov_b64 s[4:5], -1
	s_cselect_b64 s[0:1], -1, 0
.LBB127_1848:
	s_and_b64 vcc, exec, s[0:1]
	s_cbranch_vccnz .LBB127_2211
; %bb.1849:
	s_andn2_b64 vcc, exec, s[4:5]
	s_cbranch_vccnz .LBB127_1851
.LBB127_1850:
	v_cndmask_b32_e64 v2, 0, 1, s[12:13]
	s_mov_b64 s[6:7], -1
	global_store_byte v[0:1], v2, off
.LBB127_1851:
	s_mov_b64 s[0:1], 0
	s_branch .LBB127_1853
.LBB127_1852:
	s_mov_b64 s[0:1], -1
	s_mov_b64 s[6:7], 0
.LBB127_1853:
	s_and_b64 vcc, exec, s[0:1]
	s_cbranch_vccz .LBB127_1892
; %bb.1854:
	s_and_b32 s4, 0xffff, s22
	s_cmp_lt_i32 s4, 5
	s_mov_b64 s[0:1], -1
	s_cbranch_scc1 .LBB127_1875
; %bb.1855:
	s_cmp_lt_i32 s4, 8
	s_cbranch_scc1 .LBB127_1865
; %bb.1856:
	s_cmp_lt_i32 s4, 9
	s_cbranch_scc1 .LBB127_1862
; %bb.1857:
	s_cmp_gt_i32 s4, 9
	s_cbranch_scc0 .LBB127_1859
; %bb.1858:
	v_cndmask_b32_e64 v2, 0, 1, s[12:13]
	v_cvt_f64_u32_e32 v[9:10], v2
	v_mov_b32_e32 v11, 0
	v_mov_b32_e32 v12, v11
	s_mov_b64 s[0:1], 0
	global_store_dwordx4 v[0:1], v[9:12], off
.LBB127_1859:
	s_andn2_b64 vcc, exec, s[0:1]
	s_cbranch_vccnz .LBB127_1861
; %bb.1860:
	v_cndmask_b32_e64 v2, 0, 1.0, s[12:13]
	v_mov_b32_e32 v3, 0
	global_store_dwordx2 v[0:1], v[2:3], off
.LBB127_1861:
	s_mov_b64 s[0:1], 0
.LBB127_1862:
	s_andn2_b64 vcc, exec, s[0:1]
	s_cbranch_vccnz .LBB127_1864
; %bb.1863:
	v_cndmask_b32_e64 v2, 0, 1.0, s[12:13]
	v_cvt_f16_f32_e32 v2, v2
	global_store_dword v[0:1], v2, off
.LBB127_1864:
	s_mov_b64 s[0:1], 0
.LBB127_1865:
	s_andn2_b64 vcc, exec, s[0:1]
	s_cbranch_vccnz .LBB127_1874
; %bb.1866:
	s_cmp_lt_i32 s4, 6
	s_mov_b64 s[0:1], -1
	s_cbranch_scc1 .LBB127_1872
; %bb.1867:
	s_cmp_gt_i32 s4, 6
	s_cbranch_scc0 .LBB127_1869
; %bb.1868:
	v_cndmask_b32_e64 v2, 0, 1, s[12:13]
	v_cvt_f64_u32_e32 v[2:3], v2
	s_mov_b64 s[0:1], 0
	global_store_dwordx2 v[0:1], v[2:3], off
.LBB127_1869:
	s_andn2_b64 vcc, exec, s[0:1]
	s_cbranch_vccnz .LBB127_1871
; %bb.1870:
	v_cndmask_b32_e64 v2, 0, 1.0, s[12:13]
	global_store_dword v[0:1], v2, off
.LBB127_1871:
	s_mov_b64 s[0:1], 0
.LBB127_1872:
	s_andn2_b64 vcc, exec, s[0:1]
	s_cbranch_vccnz .LBB127_1874
; %bb.1873:
	v_cndmask_b32_e64 v2, 0, 1.0, s[12:13]
	v_cvt_f16_f32_e32 v2, v2
	global_store_short v[0:1], v2, off
.LBB127_1874:
	s_mov_b64 s[0:1], 0
.LBB127_1875:
	s_andn2_b64 vcc, exec, s[0:1]
	s_cbranch_vccnz .LBB127_1891
; %bb.1876:
	s_cmp_lt_i32 s4, 2
	s_mov_b64 s[0:1], -1
	s_cbranch_scc1 .LBB127_1886
; %bb.1877:
	s_cmp_lt_i32 s4, 3
	s_cbranch_scc1 .LBB127_1883
; %bb.1878:
	s_cmp_gt_i32 s4, 3
	s_cbranch_scc0 .LBB127_1880
; %bb.1879:
	s_mov_b32 s0, 0
	v_cndmask_b32_e64 v2, 0, 1, s[12:13]
	v_mov_b32_e32 v3, s0
	global_store_dwordx2 v[0:1], v[2:3], off
	s_mov_b64 s[0:1], 0
.LBB127_1880:
	s_andn2_b64 vcc, exec, s[0:1]
	s_cbranch_vccnz .LBB127_1882
; %bb.1881:
	v_cndmask_b32_e64 v2, 0, 1, s[12:13]
	global_store_dword v[0:1], v2, off
.LBB127_1882:
	s_mov_b64 s[0:1], 0
.LBB127_1883:
	s_andn2_b64 vcc, exec, s[0:1]
	s_cbranch_vccnz .LBB127_1885
; %bb.1884:
	v_cndmask_b32_e64 v2, 0, 1, s[12:13]
	global_store_short v[0:1], v2, off
.LBB127_1885:
	s_mov_b64 s[0:1], 0
.LBB127_1886:
	s_andn2_b64 vcc, exec, s[0:1]
	s_cbranch_vccnz .LBB127_1891
; %bb.1887:
	s_mov_b64 s[0:1], -1
	s_cmp_gt_i32 s4, 0
	v_cndmask_b32_e64 v2, 0, 1, s[12:13]
	s_cbranch_scc0 .LBB127_1889
; %bb.1888:
	global_store_byte v[0:1], v2, off
	s_mov_b64 s[0:1], 0
.LBB127_1889:
	s_andn2_b64 vcc, exec, s[0:1]
	s_cbranch_vccnz .LBB127_1891
; %bb.1890:
	global_store_byte v[0:1], v2, off
.LBB127_1891:
	s_mov_b64 s[6:7], -1
.LBB127_1892:
	s_andn2_b64 vcc, exec, s[6:7]
	s_cbranch_vccnz .LBB127_2207
; %bb.1893:
	v_mov_b32_e32 v1, s9
	s_and_b32 s20, 0xffff, s22
	v_add_co_u32_e32 v0, vcc, s8, v8
	s_cmp_lt_i32 s20, 11
	v_addc_co_u32_e32 v1, vcc, 0, v1, vcc
	s_cbranch_scc1 .LBB127_1971
; %bb.1894:
	s_mov_b64 s[12:13], -1
	s_mov_b64 s[4:5], 0
	s_cmp_gt_i32 s20, 25
	s_mov_b64 s[6:7], 0
	s_mov_b64 s[0:1], 0
	s_cbranch_scc0 .LBB127_1927
; %bb.1895:
	s_cmp_gt_i32 s20, 28
	s_cbranch_scc0 .LBB127_1910
; %bb.1896:
	s_cmp_gt_i32 s20, 43
	;; [unrolled: 3-line block ×3, first 2 shown]
	s_cbranch_scc0 .LBB127_1900
; %bb.1898:
	s_mov_b64 s[0:1], -1
	s_mov_b64 s[12:13], 0
	s_cmp_eq_u32 s20, 46
	s_cbranch_scc0 .LBB127_1900
; %bb.1899:
	v_cndmask_b32_e64 v2, 0, 1.0, s[14:15]
	v_bfe_u32 v3, v2, 16, 1
	s_movk_i32 s0, 0x7fff
	v_add3_u32 v2, v2, v3, s0
	v_lshrrev_b32_e32 v2, 16, v2
	global_store_dword v[0:1], v2, off
	s_mov_b64 s[0:1], 0
	s_mov_b64 s[6:7], -1
.LBB127_1900:
	s_and_b64 vcc, exec, s[12:13]
	s_cbranch_vccz .LBB127_1905
; %bb.1901:
	s_cmp_eq_u32 s20, 44
	s_mov_b64 s[0:1], -1
	s_cbranch_scc0 .LBB127_1905
; %bb.1902:
	v_cndmask_b32_e64 v3, 0, 1.0, s[14:15]
	v_lshrrev_b32_e32 v2, 23, v3
	s_movk_i32 s0, 0xff
	v_cmp_ne_u32_e32 vcc, s0, v2
	v_mov_b32_e32 v5, 0xff
	s_and_saveexec_b64 s[6:7], vcc
; %bb.1903:
	s_mov_b32 s0, 0x3fffff
	v_and_b32_e32 v5, 0x400000, v3
	v_and_or_b32 v3, v3, s0, v2
	v_cmp_ne_u32_e32 vcc, 0, v5
	v_cmp_ne_u32_e64 s[0:1], 0, v3
	s_and_b64 s[0:1], vcc, s[0:1]
	v_cndmask_b32_e64 v3, 0, 1, s[0:1]
	v_add_u32_e32 v5, v2, v3
; %bb.1904:
	s_or_b64 exec, exec, s[6:7]
	s_mov_b64 s[0:1], 0
	s_mov_b64 s[6:7], -1
	global_store_byte v[0:1], v5, off
.LBB127_1905:
	s_mov_b64 s[12:13], 0
.LBB127_1906:
	s_and_b64 vcc, exec, s[12:13]
	s_cbranch_vccz .LBB127_1909
; %bb.1907:
	s_cmp_eq_u32 s20, 29
	s_mov_b64 s[0:1], -1
	s_cbranch_scc0 .LBB127_1909
; %bb.1908:
	s_mov_b32 s0, 0
	v_cndmask_b32_e64 v2, 0, 1, s[14:15]
	v_mov_b32_e32 v3, s0
	global_store_dwordx2 v[0:1], v[2:3], off
	s_mov_b64 s[0:1], 0
	s_mov_b64 s[6:7], -1
.LBB127_1909:
	s_mov_b64 s[12:13], 0
.LBB127_1910:
	s_and_b64 vcc, exec, s[12:13]
	s_cbranch_vccz .LBB127_1926
; %bb.1911:
	s_cmp_lt_i32 s20, 27
	s_mov_b64 s[6:7], -1
	s_cbranch_scc1 .LBB127_1917
; %bb.1912:
	s_cmp_gt_i32 s20, 27
	s_cbranch_scc0 .LBB127_1914
; %bb.1913:
	v_cndmask_b32_e64 v2, 0, 1, s[14:15]
	s_mov_b64 s[6:7], 0
	global_store_dword v[0:1], v2, off
.LBB127_1914:
	s_andn2_b64 vcc, exec, s[6:7]
	s_cbranch_vccnz .LBB127_1916
; %bb.1915:
	v_cndmask_b32_e64 v2, 0, 1, s[14:15]
	global_store_short v[0:1], v2, off
.LBB127_1916:
	s_mov_b64 s[6:7], 0
.LBB127_1917:
	s_andn2_b64 vcc, exec, s[6:7]
	s_cbranch_vccnz .LBB127_1925
; %bb.1918:
	v_cndmask_b32_e64 v3, 0, 1.0, s[14:15]
	s_mov_b32 s6, 0x43800000
	v_cmp_gt_u32_e32 vcc, s6, v3
	v_mov_b32_e32 v5, 0x80
	s_and_saveexec_b64 s[6:7], vcc
	s_cbranch_execz .LBB127_1924
; %bb.1919:
	s_mov_b32 s12, 0x3bffffff
	v_cmp_lt_u32_e32 vcc, s12, v3
	s_mov_b64 s[12:13], 0
                                        ; implicit-def: $vgpr2
	s_and_saveexec_b64 s[18:19], vcc
	s_xor_b64 s[18:19], exec, s[18:19]
	s_cbranch_execz .LBB127_2214
; %bb.1920:
	v_bfe_u32 v2, v3, 20, 1
	s_mov_b32 s21, 0x487ffff
	v_add3_u32 v2, v3, v2, s21
	s_mov_b64 s[12:13], exec
	v_lshrrev_b32_e32 v2, 20, v2
                                        ; implicit-def: $vgpr3
	s_andn2_saveexec_b64 s[18:19], s[18:19]
	s_cbranch_execnz .LBB127_2215
.LBB127_1921:
	s_or_b64 exec, exec, s[18:19]
	v_mov_b32_e32 v5, 0
	s_and_saveexec_b64 s[18:19], s[12:13]
.LBB127_1922:
	v_mov_b32_e32 v5, v2
.LBB127_1923:
	s_or_b64 exec, exec, s[18:19]
.LBB127_1924:
	s_or_b64 exec, exec, s[6:7]
	global_store_byte v[0:1], v5, off
.LBB127_1925:
	s_mov_b64 s[6:7], -1
.LBB127_1926:
	s_mov_b64 s[12:13], 0
.LBB127_1927:
	s_and_b64 vcc, exec, s[12:13]
	s_cbranch_vccz .LBB127_1967
; %bb.1928:
	s_cmp_gt_i32 s20, 22
	s_mov_b64 s[4:5], -1
	s_cbranch_scc0 .LBB127_1960
; %bb.1929:
	s_cmp_lt_i32 s20, 24
	s_cbranch_scc1 .LBB127_1949
; %bb.1930:
	s_cmp_gt_i32 s20, 24
	s_cbranch_scc0 .LBB127_1938
; %bb.1931:
	v_cndmask_b32_e64 v3, 0, 1.0, s[14:15]
	s_mov_b32 s4, 0x47800000
	v_cmp_gt_u32_e32 vcc, s4, v3
	v_mov_b32_e32 v5, 0x80
	s_and_saveexec_b64 s[4:5], vcc
	s_cbranch_execz .LBB127_1937
; %bb.1932:
	s_mov_b32 s6, 0x37ffffff
	v_cmp_lt_u32_e32 vcc, s6, v3
	s_mov_b64 s[6:7], 0
                                        ; implicit-def: $vgpr2
	s_and_saveexec_b64 s[12:13], vcc
	s_xor_b64 s[12:13], exec, s[12:13]
	s_cbranch_execz .LBB127_2217
; %bb.1933:
	v_bfe_u32 v2, v3, 21, 1
	s_mov_b32 s18, 0x88fffff
	v_add3_u32 v2, v3, v2, s18
	s_mov_b64 s[6:7], exec
	v_lshrrev_b32_e32 v2, 21, v2
                                        ; implicit-def: $vgpr3
	s_andn2_saveexec_b64 s[12:13], s[12:13]
	s_cbranch_execnz .LBB127_2218
.LBB127_1934:
	s_or_b64 exec, exec, s[12:13]
	v_mov_b32_e32 v5, 0
	s_and_saveexec_b64 s[12:13], s[6:7]
.LBB127_1935:
	v_mov_b32_e32 v5, v2
.LBB127_1936:
	s_or_b64 exec, exec, s[12:13]
.LBB127_1937:
	s_or_b64 exec, exec, s[4:5]
	s_mov_b64 s[4:5], 0
	global_store_byte v[0:1], v5, off
.LBB127_1938:
	s_and_b64 vcc, exec, s[4:5]
	s_cbranch_vccz .LBB127_1948
; %bb.1939:
	v_cndmask_b32_e64 v2, 0, 1.0, s[14:15]
	s_mov_b32 s4, 0x43f00000
	v_cmp_gt_u32_e32 vcc, s4, v2
                                        ; implicit-def: $vgpr3
	s_and_saveexec_b64 s[4:5], vcc
	s_xor_b64 s[4:5], exec, s[4:5]
	s_cbranch_execz .LBB127_1945
; %bb.1940:
	s_mov_b32 s6, 0x3c7fffff
	v_cmp_lt_u32_e32 vcc, s6, v2
                                        ; implicit-def: $vgpr3
	s_and_saveexec_b64 s[6:7], vcc
	s_xor_b64 s[6:7], exec, s[6:7]
; %bb.1941:
	v_bfe_u32 v3, v2, 20, 1
	s_mov_b32 s12, 0x407ffff
	v_add3_u32 v2, v2, v3, s12
	v_lshrrev_b32_e32 v3, 20, v2
	v_and_b32_e32 v2, 0xff00000, v2
	s_mov_b32 s12, 0x7f00000
	v_mov_b32_e32 v5, 0x7e
	v_cmp_ne_u32_e32 vcc, s12, v2
	v_cndmask_b32_e32 v3, v5, v3, vcc
                                        ; implicit-def: $vgpr2
; %bb.1942:
	s_andn2_saveexec_b64 s[6:7], s[6:7]
; %bb.1943:
	v_add_f32_e32 v3, 0x46800000, v2
; %bb.1944:
	s_or_b64 exec, exec, s[6:7]
                                        ; implicit-def: $vgpr2
.LBB127_1945:
	s_andn2_saveexec_b64 s[4:5], s[4:5]
; %bb.1946:
	s_mov_b32 s6, 0x7f800000
	v_mov_b32_e32 v3, 0x7e
	v_mov_b32_e32 v5, 0x7f
	v_cmp_lt_u32_e32 vcc, s6, v2
	v_cndmask_b32_e32 v3, v3, v5, vcc
; %bb.1947:
	s_or_b64 exec, exec, s[4:5]
	global_store_byte v[0:1], v3, off
.LBB127_1948:
	s_mov_b64 s[4:5], 0
.LBB127_1949:
	s_andn2_b64 vcc, exec, s[4:5]
	s_cbranch_vccnz .LBB127_1959
; %bb.1950:
	v_cndmask_b32_e64 v2, 0, 1.0, s[14:15]
	s_mov_b32 s4, 0x47800000
	v_cmp_gt_u32_e32 vcc, s4, v2
                                        ; implicit-def: $vgpr3
	s_and_saveexec_b64 s[4:5], vcc
	s_xor_b64 s[4:5], exec, s[4:5]
	s_cbranch_execz .LBB127_1956
; %bb.1951:
	s_mov_b32 s6, 0x387fffff
	v_cmp_lt_u32_e32 vcc, s6, v2
                                        ; implicit-def: $vgpr3
	s_and_saveexec_b64 s[6:7], vcc
	s_xor_b64 s[6:7], exec, s[6:7]
; %bb.1952:
	v_bfe_u32 v3, v2, 21, 1
	s_mov_b32 s12, 0x80fffff
	v_add3_u32 v2, v2, v3, s12
	v_lshrrev_b32_e32 v3, 21, v2
                                        ; implicit-def: $vgpr2
; %bb.1953:
	s_andn2_saveexec_b64 s[6:7], s[6:7]
; %bb.1954:
	v_add_f32_e32 v3, 0x43000000, v2
; %bb.1955:
	s_or_b64 exec, exec, s[6:7]
                                        ; implicit-def: $vgpr2
.LBB127_1956:
	s_andn2_saveexec_b64 s[4:5], s[4:5]
; %bb.1957:
	s_mov_b32 s6, 0x7f800000
	v_mov_b32_e32 v3, 0x7c
	v_mov_b32_e32 v5, 0x7f
	v_cmp_lt_u32_e32 vcc, s6, v2
	v_cndmask_b32_e32 v3, v3, v5, vcc
; %bb.1958:
	s_or_b64 exec, exec, s[4:5]
	global_store_byte v[0:1], v3, off
.LBB127_1959:
	s_mov_b64 s[4:5], 0
	s_mov_b64 s[6:7], -1
.LBB127_1960:
	s_andn2_b64 vcc, exec, s[4:5]
	s_mov_b64 s[4:5], 0
	s_cbranch_vccnz .LBB127_1967
; %bb.1961:
	s_cmp_gt_i32 s20, 14
	s_mov_b64 s[12:13], -1
	s_cbranch_scc0 .LBB127_1965
; %bb.1962:
	s_cmp_eq_u32 s20, 15
	s_mov_b64 s[0:1], -1
	s_cbranch_scc0 .LBB127_1964
; %bb.1963:
	v_cndmask_b32_e64 v2, 0, 1.0, s[14:15]
	v_bfe_u32 v3, v2, 16, 1
	s_movk_i32 s0, 0x7fff
	v_add3_u32 v2, v2, v3, s0
	global_store_short_d16_hi v[0:1], v2, off
	s_mov_b64 s[0:1], 0
	s_mov_b64 s[6:7], -1
.LBB127_1964:
	s_mov_b64 s[12:13], 0
.LBB127_1965:
	s_and_b64 vcc, exec, s[12:13]
	s_cbranch_vccz .LBB127_1967
; %bb.1966:
	s_cmp_lg_u32 s20, 11
	s_mov_b64 s[4:5], -1
	s_cselect_b64 s[0:1], -1, 0
.LBB127_1967:
	s_and_b64 vcc, exec, s[0:1]
	s_cbranch_vccnz .LBB127_2216
; %bb.1968:
	s_andn2_b64 vcc, exec, s[4:5]
	s_cbranch_vccnz .LBB127_1970
.LBB127_1969:
	v_cndmask_b32_e64 v2, 0, 1, s[14:15]
	s_mov_b64 s[6:7], -1
	global_store_byte v[0:1], v2, off
.LBB127_1970:
	s_mov_b64 s[0:1], 0
	s_branch .LBB127_1972
.LBB127_1971:
	s_mov_b64 s[0:1], -1
	s_mov_b64 s[6:7], 0
.LBB127_1972:
	s_and_b64 vcc, exec, s[0:1]
	s_cbranch_vccz .LBB127_2011
; %bb.1973:
	s_cmp_lt_i32 s20, 5
	s_mov_b64 s[0:1], -1
	s_cbranch_scc1 .LBB127_1994
; %bb.1974:
	s_cmp_lt_i32 s20, 8
	s_cbranch_scc1 .LBB127_1984
; %bb.1975:
	s_cmp_lt_i32 s20, 9
	s_cbranch_scc1 .LBB127_1981
; %bb.1976:
	s_cmp_gt_i32 s20, 9
	s_cbranch_scc0 .LBB127_1978
; %bb.1977:
	v_cndmask_b32_e64 v2, 0, 1, s[14:15]
	v_cvt_f64_u32_e32 v[7:8], v2
	v_mov_b32_e32 v9, 0
	v_mov_b32_e32 v10, v9
	s_mov_b64 s[0:1], 0
	global_store_dwordx4 v[0:1], v[7:10], off
.LBB127_1978:
	s_andn2_b64 vcc, exec, s[0:1]
	s_cbranch_vccnz .LBB127_1980
; %bb.1979:
	v_cndmask_b32_e64 v2, 0, 1.0, s[14:15]
	v_mov_b32_e32 v3, 0
	global_store_dwordx2 v[0:1], v[2:3], off
.LBB127_1980:
	s_mov_b64 s[0:1], 0
.LBB127_1981:
	s_andn2_b64 vcc, exec, s[0:1]
	s_cbranch_vccnz .LBB127_1983
; %bb.1982:
	v_cndmask_b32_e64 v2, 0, 1.0, s[14:15]
	v_cvt_f16_f32_e32 v2, v2
	global_store_dword v[0:1], v2, off
.LBB127_1983:
	s_mov_b64 s[0:1], 0
.LBB127_1984:
	s_andn2_b64 vcc, exec, s[0:1]
	s_cbranch_vccnz .LBB127_1993
; %bb.1985:
	s_cmp_lt_i32 s20, 6
	s_mov_b64 s[0:1], -1
	s_cbranch_scc1 .LBB127_1991
; %bb.1986:
	s_cmp_gt_i32 s20, 6
	s_cbranch_scc0 .LBB127_1988
; %bb.1987:
	v_cndmask_b32_e64 v2, 0, 1, s[14:15]
	v_cvt_f64_u32_e32 v[2:3], v2
	s_mov_b64 s[0:1], 0
	global_store_dwordx2 v[0:1], v[2:3], off
.LBB127_1988:
	s_andn2_b64 vcc, exec, s[0:1]
	s_cbranch_vccnz .LBB127_1990
; %bb.1989:
	v_cndmask_b32_e64 v2, 0, 1.0, s[14:15]
	global_store_dword v[0:1], v2, off
.LBB127_1990:
	s_mov_b64 s[0:1], 0
.LBB127_1991:
	s_andn2_b64 vcc, exec, s[0:1]
	s_cbranch_vccnz .LBB127_1993
; %bb.1992:
	v_cndmask_b32_e64 v2, 0, 1.0, s[14:15]
	v_cvt_f16_f32_e32 v2, v2
	global_store_short v[0:1], v2, off
.LBB127_1993:
	s_mov_b64 s[0:1], 0
.LBB127_1994:
	s_andn2_b64 vcc, exec, s[0:1]
	s_cbranch_vccnz .LBB127_2010
; %bb.1995:
	s_cmp_lt_i32 s20, 2
	s_mov_b64 s[0:1], -1
	s_cbranch_scc1 .LBB127_2005
; %bb.1996:
	s_cmp_lt_i32 s20, 3
	s_cbranch_scc1 .LBB127_2002
; %bb.1997:
	s_cmp_gt_i32 s20, 3
	s_cbranch_scc0 .LBB127_1999
; %bb.1998:
	s_mov_b32 s0, 0
	v_cndmask_b32_e64 v2, 0, 1, s[14:15]
	v_mov_b32_e32 v3, s0
	global_store_dwordx2 v[0:1], v[2:3], off
	s_mov_b64 s[0:1], 0
.LBB127_1999:
	s_andn2_b64 vcc, exec, s[0:1]
	s_cbranch_vccnz .LBB127_2001
; %bb.2000:
	v_cndmask_b32_e64 v2, 0, 1, s[14:15]
	global_store_dword v[0:1], v2, off
.LBB127_2001:
	s_mov_b64 s[0:1], 0
.LBB127_2002:
	s_andn2_b64 vcc, exec, s[0:1]
	s_cbranch_vccnz .LBB127_2004
; %bb.2003:
	v_cndmask_b32_e64 v2, 0, 1, s[14:15]
	global_store_short v[0:1], v2, off
.LBB127_2004:
	s_mov_b64 s[0:1], 0
.LBB127_2005:
	s_andn2_b64 vcc, exec, s[0:1]
	s_cbranch_vccnz .LBB127_2010
; %bb.2006:
	s_mov_b64 s[0:1], -1
	s_cmp_gt_i32 s20, 0
	v_cndmask_b32_e64 v2, 0, 1, s[14:15]
	s_cbranch_scc0 .LBB127_2008
; %bb.2007:
	global_store_byte v[0:1], v2, off
	s_mov_b64 s[0:1], 0
.LBB127_2008:
	s_andn2_b64 vcc, exec, s[0:1]
	s_cbranch_vccnz .LBB127_2010
; %bb.2009:
	global_store_byte v[0:1], v2, off
.LBB127_2010:
	s_mov_b64 s[6:7], -1
.LBB127_2011:
	s_andn2_b64 vcc, exec, s[6:7]
	s_cbranch_vccnz .LBB127_2207
; %bb.2012:
	v_mov_b32_e32 v1, s9
	v_add_co_u32_e32 v0, vcc, s8, v6
	s_cmp_lt_i32 s20, 11
	v_addc_co_u32_e32 v1, vcc, 0, v1, vcc
	s_cbranch_scc1 .LBB127_2090
; %bb.2013:
	s_mov_b64 s[12:13], -1
	s_mov_b64 s[4:5], 0
	s_cmp_gt_i32 s20, 25
	s_mov_b64 s[6:7], 0
	s_mov_b64 s[0:1], 0
	s_cbranch_scc0 .LBB127_2046
; %bb.2014:
	s_cmp_gt_i32 s20, 28
	s_cbranch_scc0 .LBB127_2029
; %bb.2015:
	s_cmp_gt_i32 s20, 43
	;; [unrolled: 3-line block ×3, first 2 shown]
	s_cbranch_scc0 .LBB127_2019
; %bb.2017:
	s_mov_b64 s[0:1], -1
	s_mov_b64 s[12:13], 0
	s_cmp_eq_u32 s20, 46
	s_cbranch_scc0 .LBB127_2019
; %bb.2018:
	v_cndmask_b32_e64 v2, 0, 1.0, s[16:17]
	v_bfe_u32 v3, v2, 16, 1
	s_movk_i32 s0, 0x7fff
	v_add3_u32 v2, v2, v3, s0
	v_lshrrev_b32_e32 v2, 16, v2
	global_store_dword v[0:1], v2, off
	s_mov_b64 s[0:1], 0
	s_mov_b64 s[6:7], -1
.LBB127_2019:
	s_and_b64 vcc, exec, s[12:13]
	s_cbranch_vccz .LBB127_2024
; %bb.2020:
	s_cmp_eq_u32 s20, 44
	s_mov_b64 s[0:1], -1
	s_cbranch_scc0 .LBB127_2024
; %bb.2021:
	v_cndmask_b32_e64 v3, 0, 1.0, s[16:17]
	v_lshrrev_b32_e32 v2, 23, v3
	s_movk_i32 s0, 0xff
	v_cmp_ne_u32_e32 vcc, s0, v2
	v_mov_b32_e32 v5, 0xff
	s_and_saveexec_b64 s[6:7], vcc
; %bb.2022:
	s_mov_b32 s0, 0x3fffff
	v_and_b32_e32 v5, 0x400000, v3
	v_and_or_b32 v3, v3, s0, v2
	v_cmp_ne_u32_e32 vcc, 0, v5
	v_cmp_ne_u32_e64 s[0:1], 0, v3
	s_and_b64 s[0:1], vcc, s[0:1]
	v_cndmask_b32_e64 v3, 0, 1, s[0:1]
	v_add_u32_e32 v5, v2, v3
; %bb.2023:
	s_or_b64 exec, exec, s[6:7]
	s_mov_b64 s[0:1], 0
	s_mov_b64 s[6:7], -1
	global_store_byte v[0:1], v5, off
.LBB127_2024:
	s_mov_b64 s[12:13], 0
.LBB127_2025:
	s_and_b64 vcc, exec, s[12:13]
	s_cbranch_vccz .LBB127_2028
; %bb.2026:
	s_cmp_eq_u32 s20, 29
	s_mov_b64 s[0:1], -1
	s_cbranch_scc0 .LBB127_2028
; %bb.2027:
	s_mov_b32 s0, 0
	v_cndmask_b32_e64 v2, 0, 1, s[16:17]
	v_mov_b32_e32 v3, s0
	global_store_dwordx2 v[0:1], v[2:3], off
	s_mov_b64 s[0:1], 0
	s_mov_b64 s[6:7], -1
.LBB127_2028:
	s_mov_b64 s[12:13], 0
.LBB127_2029:
	s_and_b64 vcc, exec, s[12:13]
	s_cbranch_vccz .LBB127_2045
; %bb.2030:
	s_cmp_lt_i32 s20, 27
	s_mov_b64 s[6:7], -1
	s_cbranch_scc1 .LBB127_2036
; %bb.2031:
	s_cmp_gt_i32 s20, 27
	s_cbranch_scc0 .LBB127_2033
; %bb.2032:
	v_cndmask_b32_e64 v2, 0, 1, s[16:17]
	s_mov_b64 s[6:7], 0
	global_store_dword v[0:1], v2, off
.LBB127_2033:
	s_andn2_b64 vcc, exec, s[6:7]
	s_cbranch_vccnz .LBB127_2035
; %bb.2034:
	v_cndmask_b32_e64 v2, 0, 1, s[16:17]
	global_store_short v[0:1], v2, off
.LBB127_2035:
	s_mov_b64 s[6:7], 0
.LBB127_2036:
	s_andn2_b64 vcc, exec, s[6:7]
	s_cbranch_vccnz .LBB127_2044
; %bb.2037:
	v_cndmask_b32_e64 v3, 0, 1.0, s[16:17]
	s_mov_b32 s6, 0x43800000
	v_cmp_gt_u32_e32 vcc, s6, v3
	v_mov_b32_e32 v5, 0x80
	s_and_saveexec_b64 s[6:7], vcc
	s_cbranch_execz .LBB127_2043
; %bb.2038:
	s_mov_b32 s12, 0x3bffffff
	v_cmp_lt_u32_e32 vcc, s12, v3
	s_mov_b64 s[12:13], 0
                                        ; implicit-def: $vgpr2
	s_and_saveexec_b64 s[14:15], vcc
	s_xor_b64 s[14:15], exec, s[14:15]
	s_cbranch_execz .LBB127_2219
; %bb.2039:
	v_bfe_u32 v2, v3, 20, 1
	s_mov_b32 s18, 0x487ffff
	v_add3_u32 v2, v3, v2, s18
	s_mov_b64 s[12:13], exec
	v_lshrrev_b32_e32 v2, 20, v2
                                        ; implicit-def: $vgpr3
	s_andn2_saveexec_b64 s[14:15], s[14:15]
	s_cbranch_execnz .LBB127_2220
.LBB127_2040:
	s_or_b64 exec, exec, s[14:15]
	v_mov_b32_e32 v5, 0
	s_and_saveexec_b64 s[14:15], s[12:13]
.LBB127_2041:
	v_mov_b32_e32 v5, v2
.LBB127_2042:
	s_or_b64 exec, exec, s[14:15]
.LBB127_2043:
	s_or_b64 exec, exec, s[6:7]
	global_store_byte v[0:1], v5, off
.LBB127_2044:
	s_mov_b64 s[6:7], -1
.LBB127_2045:
	s_mov_b64 s[12:13], 0
.LBB127_2046:
	s_and_b64 vcc, exec, s[12:13]
	s_cbranch_vccz .LBB127_2086
; %bb.2047:
	s_cmp_gt_i32 s20, 22
	s_mov_b64 s[4:5], -1
	s_cbranch_scc0 .LBB127_2079
; %bb.2048:
	s_cmp_lt_i32 s20, 24
	s_cbranch_scc1 .LBB127_2068
; %bb.2049:
	s_cmp_gt_i32 s20, 24
	s_cbranch_scc0 .LBB127_2057
; %bb.2050:
	v_cndmask_b32_e64 v3, 0, 1.0, s[16:17]
	s_mov_b32 s4, 0x47800000
	v_cmp_gt_u32_e32 vcc, s4, v3
	v_mov_b32_e32 v5, 0x80
	s_and_saveexec_b64 s[4:5], vcc
	s_cbranch_execz .LBB127_2056
; %bb.2051:
	s_mov_b32 s6, 0x37ffffff
	v_cmp_lt_u32_e32 vcc, s6, v3
	s_mov_b64 s[6:7], 0
                                        ; implicit-def: $vgpr2
	s_and_saveexec_b64 s[12:13], vcc
	s_xor_b64 s[12:13], exec, s[12:13]
	s_cbranch_execz .LBB127_2222
; %bb.2052:
	v_bfe_u32 v2, v3, 21, 1
	s_mov_b32 s14, 0x88fffff
	v_add3_u32 v2, v3, v2, s14
	s_mov_b64 s[6:7], exec
	v_lshrrev_b32_e32 v2, 21, v2
                                        ; implicit-def: $vgpr3
	s_andn2_saveexec_b64 s[12:13], s[12:13]
	s_cbranch_execnz .LBB127_2223
.LBB127_2053:
	s_or_b64 exec, exec, s[12:13]
	v_mov_b32_e32 v5, 0
	s_and_saveexec_b64 s[12:13], s[6:7]
.LBB127_2054:
	v_mov_b32_e32 v5, v2
.LBB127_2055:
	s_or_b64 exec, exec, s[12:13]
.LBB127_2056:
	s_or_b64 exec, exec, s[4:5]
	s_mov_b64 s[4:5], 0
	global_store_byte v[0:1], v5, off
.LBB127_2057:
	s_and_b64 vcc, exec, s[4:5]
	s_cbranch_vccz .LBB127_2067
; %bb.2058:
	v_cndmask_b32_e64 v2, 0, 1.0, s[16:17]
	s_mov_b32 s4, 0x43f00000
	v_cmp_gt_u32_e32 vcc, s4, v2
                                        ; implicit-def: $vgpr3
	s_and_saveexec_b64 s[4:5], vcc
	s_xor_b64 s[4:5], exec, s[4:5]
	s_cbranch_execz .LBB127_2064
; %bb.2059:
	s_mov_b32 s6, 0x3c7fffff
	v_cmp_lt_u32_e32 vcc, s6, v2
                                        ; implicit-def: $vgpr3
	s_and_saveexec_b64 s[6:7], vcc
	s_xor_b64 s[6:7], exec, s[6:7]
; %bb.2060:
	v_bfe_u32 v3, v2, 20, 1
	s_mov_b32 s12, 0x407ffff
	v_add3_u32 v2, v2, v3, s12
	v_lshrrev_b32_e32 v3, 20, v2
	v_and_b32_e32 v2, 0xff00000, v2
	s_mov_b32 s12, 0x7f00000
	v_mov_b32_e32 v5, 0x7e
	v_cmp_ne_u32_e32 vcc, s12, v2
	v_cndmask_b32_e32 v3, v5, v3, vcc
                                        ; implicit-def: $vgpr2
; %bb.2061:
	s_andn2_saveexec_b64 s[6:7], s[6:7]
; %bb.2062:
	v_add_f32_e32 v3, 0x46800000, v2
; %bb.2063:
	s_or_b64 exec, exec, s[6:7]
                                        ; implicit-def: $vgpr2
.LBB127_2064:
	s_andn2_saveexec_b64 s[4:5], s[4:5]
; %bb.2065:
	s_mov_b32 s6, 0x7f800000
	v_mov_b32_e32 v3, 0x7e
	v_mov_b32_e32 v5, 0x7f
	v_cmp_lt_u32_e32 vcc, s6, v2
	v_cndmask_b32_e32 v3, v3, v5, vcc
; %bb.2066:
	s_or_b64 exec, exec, s[4:5]
	global_store_byte v[0:1], v3, off
.LBB127_2067:
	s_mov_b64 s[4:5], 0
.LBB127_2068:
	s_andn2_b64 vcc, exec, s[4:5]
	s_cbranch_vccnz .LBB127_2078
; %bb.2069:
	v_cndmask_b32_e64 v2, 0, 1.0, s[16:17]
	s_mov_b32 s4, 0x47800000
	v_cmp_gt_u32_e32 vcc, s4, v2
                                        ; implicit-def: $vgpr3
	s_and_saveexec_b64 s[4:5], vcc
	s_xor_b64 s[4:5], exec, s[4:5]
	s_cbranch_execz .LBB127_2075
; %bb.2070:
	s_mov_b32 s6, 0x387fffff
	v_cmp_lt_u32_e32 vcc, s6, v2
                                        ; implicit-def: $vgpr3
	s_and_saveexec_b64 s[6:7], vcc
	s_xor_b64 s[6:7], exec, s[6:7]
; %bb.2071:
	v_bfe_u32 v3, v2, 21, 1
	s_mov_b32 s12, 0x80fffff
	v_add3_u32 v2, v2, v3, s12
	v_lshrrev_b32_e32 v3, 21, v2
                                        ; implicit-def: $vgpr2
; %bb.2072:
	s_andn2_saveexec_b64 s[6:7], s[6:7]
; %bb.2073:
	v_add_f32_e32 v3, 0x43000000, v2
; %bb.2074:
	s_or_b64 exec, exec, s[6:7]
                                        ; implicit-def: $vgpr2
.LBB127_2075:
	s_andn2_saveexec_b64 s[4:5], s[4:5]
; %bb.2076:
	s_mov_b32 s6, 0x7f800000
	v_mov_b32_e32 v3, 0x7c
	v_mov_b32_e32 v5, 0x7f
	v_cmp_lt_u32_e32 vcc, s6, v2
	v_cndmask_b32_e32 v3, v3, v5, vcc
; %bb.2077:
	s_or_b64 exec, exec, s[4:5]
	global_store_byte v[0:1], v3, off
.LBB127_2078:
	s_mov_b64 s[4:5], 0
	s_mov_b64 s[6:7], -1
.LBB127_2079:
	s_andn2_b64 vcc, exec, s[4:5]
	s_mov_b64 s[4:5], 0
	s_cbranch_vccnz .LBB127_2086
; %bb.2080:
	s_cmp_gt_i32 s20, 14
	s_mov_b64 s[12:13], -1
	s_cbranch_scc0 .LBB127_2084
; %bb.2081:
	s_cmp_eq_u32 s20, 15
	s_mov_b64 s[0:1], -1
	s_cbranch_scc0 .LBB127_2083
; %bb.2082:
	v_cndmask_b32_e64 v2, 0, 1.0, s[16:17]
	v_bfe_u32 v3, v2, 16, 1
	s_movk_i32 s0, 0x7fff
	v_add3_u32 v2, v2, v3, s0
	global_store_short_d16_hi v[0:1], v2, off
	s_mov_b64 s[0:1], 0
	s_mov_b64 s[6:7], -1
.LBB127_2083:
	s_mov_b64 s[12:13], 0
.LBB127_2084:
	s_and_b64 vcc, exec, s[12:13]
	s_cbranch_vccz .LBB127_2086
; %bb.2085:
	s_cmp_lg_u32 s20, 11
	s_mov_b64 s[4:5], -1
	s_cselect_b64 s[0:1], -1, 0
.LBB127_2086:
	s_and_b64 vcc, exec, s[0:1]
	s_cbranch_vccnz .LBB127_2221
; %bb.2087:
	s_andn2_b64 vcc, exec, s[4:5]
	s_cbranch_vccnz .LBB127_2089
.LBB127_2088:
	v_cndmask_b32_e64 v2, 0, 1, s[16:17]
	s_mov_b64 s[6:7], -1
	global_store_byte v[0:1], v2, off
.LBB127_2089:
	s_mov_b64 s[0:1], 0
	s_branch .LBB127_2091
.LBB127_2090:
	s_mov_b64 s[0:1], -1
	s_mov_b64 s[6:7], 0
.LBB127_2091:
	s_and_b64 vcc, exec, s[0:1]
	s_cbranch_vccz .LBB127_2130
; %bb.2092:
	s_cmp_lt_i32 s20, 5
	s_mov_b64 s[0:1], -1
	s_cbranch_scc1 .LBB127_2113
; %bb.2093:
	s_cmp_lt_i32 s20, 8
	s_cbranch_scc1 .LBB127_2103
; %bb.2094:
	s_cmp_lt_i32 s20, 9
	s_cbranch_scc1 .LBB127_2100
; %bb.2095:
	s_cmp_gt_i32 s20, 9
	s_cbranch_scc0 .LBB127_2097
; %bb.2096:
	v_cndmask_b32_e64 v2, 0, 1, s[16:17]
	v_cvt_f64_u32_e32 v[5:6], v2
	v_mov_b32_e32 v7, 0
	v_mov_b32_e32 v8, v7
	s_mov_b64 s[0:1], 0
	global_store_dwordx4 v[0:1], v[5:8], off
.LBB127_2097:
	s_andn2_b64 vcc, exec, s[0:1]
	s_cbranch_vccnz .LBB127_2099
; %bb.2098:
	v_cndmask_b32_e64 v2, 0, 1.0, s[16:17]
	v_mov_b32_e32 v3, 0
	global_store_dwordx2 v[0:1], v[2:3], off
.LBB127_2099:
	s_mov_b64 s[0:1], 0
.LBB127_2100:
	s_andn2_b64 vcc, exec, s[0:1]
	s_cbranch_vccnz .LBB127_2102
; %bb.2101:
	v_cndmask_b32_e64 v2, 0, 1.0, s[16:17]
	v_cvt_f16_f32_e32 v2, v2
	global_store_dword v[0:1], v2, off
.LBB127_2102:
	s_mov_b64 s[0:1], 0
.LBB127_2103:
	s_andn2_b64 vcc, exec, s[0:1]
	s_cbranch_vccnz .LBB127_2112
; %bb.2104:
	s_cmp_lt_i32 s20, 6
	s_mov_b64 s[0:1], -1
	s_cbranch_scc1 .LBB127_2110
; %bb.2105:
	s_cmp_gt_i32 s20, 6
	s_cbranch_scc0 .LBB127_2107
; %bb.2106:
	v_cndmask_b32_e64 v2, 0, 1, s[16:17]
	v_cvt_f64_u32_e32 v[2:3], v2
	s_mov_b64 s[0:1], 0
	global_store_dwordx2 v[0:1], v[2:3], off
.LBB127_2107:
	s_andn2_b64 vcc, exec, s[0:1]
	s_cbranch_vccnz .LBB127_2109
; %bb.2108:
	v_cndmask_b32_e64 v2, 0, 1.0, s[16:17]
	global_store_dword v[0:1], v2, off
.LBB127_2109:
	s_mov_b64 s[0:1], 0
.LBB127_2110:
	s_andn2_b64 vcc, exec, s[0:1]
	s_cbranch_vccnz .LBB127_2112
; %bb.2111:
	v_cndmask_b32_e64 v2, 0, 1.0, s[16:17]
	v_cvt_f16_f32_e32 v2, v2
	global_store_short v[0:1], v2, off
.LBB127_2112:
	s_mov_b64 s[0:1], 0
.LBB127_2113:
	s_andn2_b64 vcc, exec, s[0:1]
	s_cbranch_vccnz .LBB127_2129
; %bb.2114:
	s_cmp_lt_i32 s20, 2
	s_mov_b64 s[0:1], -1
	s_cbranch_scc1 .LBB127_2124
; %bb.2115:
	s_cmp_lt_i32 s20, 3
	s_cbranch_scc1 .LBB127_2121
; %bb.2116:
	s_cmp_gt_i32 s20, 3
	s_cbranch_scc0 .LBB127_2118
; %bb.2117:
	s_mov_b32 s0, 0
	v_cndmask_b32_e64 v2, 0, 1, s[16:17]
	v_mov_b32_e32 v3, s0
	global_store_dwordx2 v[0:1], v[2:3], off
	s_mov_b64 s[0:1], 0
.LBB127_2118:
	s_andn2_b64 vcc, exec, s[0:1]
	s_cbranch_vccnz .LBB127_2120
; %bb.2119:
	v_cndmask_b32_e64 v2, 0, 1, s[16:17]
	global_store_dword v[0:1], v2, off
.LBB127_2120:
	s_mov_b64 s[0:1], 0
.LBB127_2121:
	s_andn2_b64 vcc, exec, s[0:1]
	s_cbranch_vccnz .LBB127_2123
; %bb.2122:
	v_cndmask_b32_e64 v2, 0, 1, s[16:17]
	global_store_short v[0:1], v2, off
.LBB127_2123:
	s_mov_b64 s[0:1], 0
.LBB127_2124:
	s_andn2_b64 vcc, exec, s[0:1]
	s_cbranch_vccnz .LBB127_2129
; %bb.2125:
	s_cmp_gt_i32 s20, 0
	s_mov_b64 s[0:1], -1
	s_cbranch_scc0 .LBB127_2127
; %bb.2126:
	v_cndmask_b32_e64 v2, 0, 1, s[16:17]
	global_store_byte v[0:1], v2, off
	s_mov_b64 s[0:1], 0
.LBB127_2127:
	s_andn2_b64 vcc, exec, s[0:1]
	s_cbranch_vccnz .LBB127_2129
; %bb.2128:
	v_cndmask_b32_e64 v2, 0, 1, s[16:17]
	global_store_byte v[0:1], v2, off
.LBB127_2129:
	s_mov_b64 s[6:7], -1
.LBB127_2130:
	s_andn2_b64 vcc, exec, s[6:7]
	s_cbranch_vccnz .LBB127_2207
; %bb.2131:
	v_mov_b32_e32 v1, s9
	v_add_co_u32_e32 v0, vcc, s8, v4
	s_cmp_lt_i32 s20, 11
	v_addc_co_u32_e32 v1, vcc, 0, v1, vcc
	s_cbranch_scc1 .LBB127_2208
; %bb.2132:
	s_mov_b64 s[6:7], -1
	s_mov_b64 s[4:5], 0
	s_cmp_gt_i32 s20, 25
	s_mov_b64 s[0:1], 0
	s_cbranch_scc0 .LBB127_2165
; %bb.2133:
	s_cmp_gt_i32 s20, 28
	s_cbranch_scc0 .LBB127_2149
; %bb.2134:
	s_cmp_gt_i32 s20, 43
	;; [unrolled: 3-line block ×3, first 2 shown]
	s_cbranch_scc0 .LBB127_2139
; %bb.2136:
	s_cmp_eq_u32 s20, 46
	s_mov_b64 s[0:1], -1
	s_cbranch_scc0 .LBB127_2138
; %bb.2137:
	v_cndmask_b32_e64 v2, 0, 1.0, s[10:11]
	v_bfe_u32 v3, v2, 16, 1
	s_movk_i32 s0, 0x7fff
	v_add3_u32 v2, v2, v3, s0
	v_lshrrev_b32_e32 v2, 16, v2
	global_store_dword v[0:1], v2, off
	s_mov_b64 s[0:1], 0
.LBB127_2138:
	s_mov_b64 s[6:7], 0
.LBB127_2139:
	s_and_b64 vcc, exec, s[6:7]
	s_cbranch_vccz .LBB127_2144
; %bb.2140:
	s_cmp_eq_u32 s20, 44
	s_mov_b64 s[0:1], -1
	s_cbranch_scc0 .LBB127_2144
; %bb.2141:
	v_cndmask_b32_e64 v3, 0, 1.0, s[10:11]
	v_lshrrev_b32_e32 v2, 23, v3
	s_movk_i32 s0, 0xff
	v_cmp_ne_u32_e32 vcc, s0, v2
	v_mov_b32_e32 v4, 0xff
	s_and_saveexec_b64 s[6:7], vcc
; %bb.2142:
	s_mov_b32 s0, 0x3fffff
	v_and_b32_e32 v4, 0x400000, v3
	v_and_or_b32 v3, v3, s0, v2
	v_cmp_ne_u32_e32 vcc, 0, v4
	v_cmp_ne_u32_e64 s[0:1], 0, v3
	s_and_b64 s[0:1], vcc, s[0:1]
	v_cndmask_b32_e64 v3, 0, 1, s[0:1]
	v_add_u32_e32 v4, v2, v3
; %bb.2143:
	s_or_b64 exec, exec, s[6:7]
	s_mov_b64 s[0:1], 0
	global_store_byte v[0:1], v4, off
.LBB127_2144:
	s_mov_b64 s[6:7], 0
.LBB127_2145:
	s_and_b64 vcc, exec, s[6:7]
	s_cbranch_vccz .LBB127_2148
; %bb.2146:
	s_cmp_eq_u32 s20, 29
	s_mov_b64 s[0:1], -1
	s_cbranch_scc0 .LBB127_2148
; %bb.2147:
	s_mov_b32 s0, 0
	v_cndmask_b32_e64 v2, 0, 1, s[10:11]
	v_mov_b32_e32 v3, s0
	global_store_dwordx2 v[0:1], v[2:3], off
	s_mov_b64 s[0:1], 0
.LBB127_2148:
	s_mov_b64 s[6:7], 0
.LBB127_2149:
	s_and_b64 vcc, exec, s[6:7]
	s_cbranch_vccz .LBB127_2164
; %bb.2150:
	s_cmp_lt_i32 s20, 27
	s_mov_b64 s[6:7], -1
	s_cbranch_scc1 .LBB127_2156
; %bb.2151:
	s_cmp_gt_i32 s20, 27
	s_cbranch_scc0 .LBB127_2153
; %bb.2152:
	v_cndmask_b32_e64 v2, 0, 1, s[10:11]
	global_store_dword v[0:1], v2, off
	s_mov_b64 s[6:7], 0
.LBB127_2153:
	s_andn2_b64 vcc, exec, s[6:7]
	s_cbranch_vccnz .LBB127_2155
; %bb.2154:
	v_cndmask_b32_e64 v2, 0, 1, s[10:11]
	global_store_short v[0:1], v2, off
.LBB127_2155:
	s_mov_b64 s[6:7], 0
.LBB127_2156:
	s_andn2_b64 vcc, exec, s[6:7]
	s_cbranch_vccnz .LBB127_2164
; %bb.2157:
	v_cndmask_b32_e64 v3, 0, 1.0, s[10:11]
	s_mov_b32 s6, 0x43800000
	v_cmp_gt_u32_e32 vcc, s6, v3
	v_mov_b32_e32 v4, 0x80
	s_and_saveexec_b64 s[6:7], vcc
	s_cbranch_execz .LBB127_2163
; %bb.2158:
	s_mov_b32 s8, 0x3bffffff
	v_cmp_lt_u32_e32 vcc, s8, v3
	s_mov_b64 s[8:9], 0
                                        ; implicit-def: $vgpr2
	s_and_saveexec_b64 s[12:13], vcc
	s_xor_b64 s[12:13], exec, s[12:13]
	s_cbranch_execz .LBB127_2224
; %bb.2159:
	v_bfe_u32 v2, v3, 20, 1
	s_mov_b32 s14, 0x487ffff
	v_add3_u32 v2, v3, v2, s14
	s_mov_b64 s[8:9], exec
	v_lshrrev_b32_e32 v2, 20, v2
                                        ; implicit-def: $vgpr3
	s_andn2_saveexec_b64 s[12:13], s[12:13]
	s_cbranch_execnz .LBB127_2225
.LBB127_2160:
	s_or_b64 exec, exec, s[12:13]
	v_mov_b32_e32 v4, 0
	s_and_saveexec_b64 s[12:13], s[8:9]
.LBB127_2161:
	v_mov_b32_e32 v4, v2
.LBB127_2162:
	s_or_b64 exec, exec, s[12:13]
.LBB127_2163:
	s_or_b64 exec, exec, s[6:7]
	global_store_byte v[0:1], v4, off
.LBB127_2164:
	s_mov_b64 s[6:7], 0
.LBB127_2165:
	s_and_b64 vcc, exec, s[6:7]
	s_cbranch_vccz .LBB127_2205
; %bb.2166:
	s_cmp_gt_i32 s20, 22
	s_mov_b64 s[4:5], -1
	s_cbranch_scc0 .LBB127_2198
; %bb.2167:
	s_cmp_lt_i32 s20, 24
	s_cbranch_scc1 .LBB127_2187
; %bb.2168:
	s_cmp_gt_i32 s20, 24
	s_cbranch_scc0 .LBB127_2176
; %bb.2169:
	v_cndmask_b32_e64 v3, 0, 1.0, s[10:11]
	s_mov_b32 s4, 0x47800000
	v_cmp_gt_u32_e32 vcc, s4, v3
	v_mov_b32_e32 v4, 0x80
	s_and_saveexec_b64 s[4:5], vcc
	s_cbranch_execz .LBB127_2175
; %bb.2170:
	s_mov_b32 s6, 0x37ffffff
	v_cmp_lt_u32_e32 vcc, s6, v3
	s_mov_b64 s[6:7], 0
                                        ; implicit-def: $vgpr2
	s_and_saveexec_b64 s[8:9], vcc
	s_xor_b64 s[8:9], exec, s[8:9]
	s_cbranch_execz .LBB127_2227
; %bb.2171:
	v_bfe_u32 v2, v3, 21, 1
	s_mov_b32 s12, 0x88fffff
	v_add3_u32 v2, v3, v2, s12
	s_mov_b64 s[6:7], exec
	v_lshrrev_b32_e32 v2, 21, v2
                                        ; implicit-def: $vgpr3
	s_andn2_saveexec_b64 s[8:9], s[8:9]
	s_cbranch_execnz .LBB127_2228
.LBB127_2172:
	s_or_b64 exec, exec, s[8:9]
	v_mov_b32_e32 v4, 0
	s_and_saveexec_b64 s[8:9], s[6:7]
.LBB127_2173:
	v_mov_b32_e32 v4, v2
.LBB127_2174:
	s_or_b64 exec, exec, s[8:9]
.LBB127_2175:
	s_or_b64 exec, exec, s[4:5]
	s_mov_b64 s[4:5], 0
	global_store_byte v[0:1], v4, off
.LBB127_2176:
	s_and_b64 vcc, exec, s[4:5]
	s_cbranch_vccz .LBB127_2186
; %bb.2177:
	v_cndmask_b32_e64 v2, 0, 1.0, s[10:11]
	s_mov_b32 s4, 0x43f00000
	v_cmp_gt_u32_e32 vcc, s4, v2
                                        ; implicit-def: $vgpr3
	s_and_saveexec_b64 s[4:5], vcc
	s_xor_b64 s[4:5], exec, s[4:5]
	s_cbranch_execz .LBB127_2183
; %bb.2178:
	s_mov_b32 s6, 0x3c7fffff
	v_cmp_lt_u32_e32 vcc, s6, v2
                                        ; implicit-def: $vgpr3
	s_and_saveexec_b64 s[6:7], vcc
	s_xor_b64 s[6:7], exec, s[6:7]
; %bb.2179:
	v_bfe_u32 v3, v2, 20, 1
	s_mov_b32 s8, 0x407ffff
	v_add3_u32 v2, v2, v3, s8
	v_lshrrev_b32_e32 v3, 20, v2
	v_and_b32_e32 v2, 0xff00000, v2
	s_mov_b32 s8, 0x7f00000
	v_mov_b32_e32 v4, 0x7e
	v_cmp_ne_u32_e32 vcc, s8, v2
	v_cndmask_b32_e32 v3, v4, v3, vcc
                                        ; implicit-def: $vgpr2
; %bb.2180:
	s_andn2_saveexec_b64 s[6:7], s[6:7]
; %bb.2181:
	v_add_f32_e32 v3, 0x46800000, v2
; %bb.2182:
	s_or_b64 exec, exec, s[6:7]
                                        ; implicit-def: $vgpr2
.LBB127_2183:
	s_andn2_saveexec_b64 s[4:5], s[4:5]
; %bb.2184:
	s_mov_b32 s6, 0x7f800000
	v_mov_b32_e32 v3, 0x7e
	v_mov_b32_e32 v4, 0x7f
	v_cmp_lt_u32_e32 vcc, s6, v2
	v_cndmask_b32_e32 v3, v3, v4, vcc
; %bb.2185:
	s_or_b64 exec, exec, s[4:5]
	global_store_byte v[0:1], v3, off
.LBB127_2186:
	s_mov_b64 s[4:5], 0
.LBB127_2187:
	s_andn2_b64 vcc, exec, s[4:5]
	s_cbranch_vccnz .LBB127_2197
; %bb.2188:
	v_cndmask_b32_e64 v2, 0, 1.0, s[10:11]
	s_mov_b32 s4, 0x47800000
	v_cmp_gt_u32_e32 vcc, s4, v2
                                        ; implicit-def: $vgpr3
	s_and_saveexec_b64 s[4:5], vcc
	s_xor_b64 s[4:5], exec, s[4:5]
	s_cbranch_execz .LBB127_2194
; %bb.2189:
	s_mov_b32 s6, 0x387fffff
	v_cmp_lt_u32_e32 vcc, s6, v2
                                        ; implicit-def: $vgpr3
	s_and_saveexec_b64 s[6:7], vcc
	s_xor_b64 s[6:7], exec, s[6:7]
; %bb.2190:
	v_bfe_u32 v3, v2, 21, 1
	s_mov_b32 s8, 0x80fffff
	v_add3_u32 v2, v2, v3, s8
	v_lshrrev_b32_e32 v3, 21, v2
                                        ; implicit-def: $vgpr2
; %bb.2191:
	s_andn2_saveexec_b64 s[6:7], s[6:7]
; %bb.2192:
	v_add_f32_e32 v3, 0x43000000, v2
; %bb.2193:
	s_or_b64 exec, exec, s[6:7]
                                        ; implicit-def: $vgpr2
.LBB127_2194:
	s_andn2_saveexec_b64 s[4:5], s[4:5]
; %bb.2195:
	s_mov_b32 s6, 0x7f800000
	v_mov_b32_e32 v3, 0x7c
	v_mov_b32_e32 v4, 0x7f
	v_cmp_lt_u32_e32 vcc, s6, v2
	v_cndmask_b32_e32 v3, v3, v4, vcc
; %bb.2196:
	s_or_b64 exec, exec, s[4:5]
	global_store_byte v[0:1], v3, off
.LBB127_2197:
	s_mov_b64 s[4:5], 0
.LBB127_2198:
	s_andn2_b64 vcc, exec, s[4:5]
	s_mov_b64 s[4:5], 0
	s_cbranch_vccnz .LBB127_2205
; %bb.2199:
	s_cmp_gt_i32 s20, 14
	s_mov_b64 s[6:7], -1
	s_cbranch_scc0 .LBB127_2203
; %bb.2200:
	s_cmp_eq_u32 s20, 15
	s_mov_b64 s[0:1], -1
	s_cbranch_scc0 .LBB127_2202
; %bb.2201:
	v_cndmask_b32_e64 v2, 0, 1.0, s[10:11]
	v_bfe_u32 v3, v2, 16, 1
	s_movk_i32 s0, 0x7fff
	v_add3_u32 v2, v2, v3, s0
	global_store_short_d16_hi v[0:1], v2, off
	s_mov_b64 s[0:1], 0
.LBB127_2202:
	s_mov_b64 s[6:7], 0
.LBB127_2203:
	s_and_b64 vcc, exec, s[6:7]
	s_cbranch_vccz .LBB127_2205
; %bb.2204:
	s_cmp_lg_u32 s20, 11
	s_mov_b64 s[4:5], -1
	s_cselect_b64 s[0:1], -1, 0
.LBB127_2205:
	s_and_b64 vcc, exec, s[0:1]
	s_cbranch_vccnz .LBB127_2226
.LBB127_2206:
	s_mov_b64 s[0:1], 0
	s_branch .LBB127_1727
.LBB127_2207:
	s_mov_b64 s[0:1], 0
	s_branch .LBB127_1726
.LBB127_2208:
	s_mov_b64 s[4:5], 0
	s_mov_b64 s[0:1], -1
	s_branch .LBB127_1727
.LBB127_2209:
	s_andn2_saveexec_b64 s[20:21], s[20:21]
	s_cbranch_execz .LBB127_1802
.LBB127_2210:
	v_add_f32_e32 v2, 0x46000000, v3
	v_and_b32_e32 v2, 0xff, v2
	v_cmp_ne_u32_e32 vcc, 0, v2
	s_andn2_b64 s[18:19], s[18:19], exec
	s_and_b64 s[24:25], vcc, exec
	s_or_b64 s[18:19], s[18:19], s[24:25]
	s_or_b64 exec, exec, s[20:21]
	v_mov_b32_e32 v5, 0
	s_and_saveexec_b64 s[20:21], s[18:19]
	s_cbranch_execnz .LBB127_1803
	s_branch .LBB127_1804
.LBB127_2211:
	s_trap 2
	s_or_b64 s[2:3], s[2:3], exec
	s_cbranch_execz .LBB127_1850
	s_branch .LBB127_1851
.LBB127_2212:
	s_andn2_saveexec_b64 s[18:19], s[18:19]
	s_cbranch_execz .LBB127_1815
.LBB127_2213:
	v_add_f32_e32 v2, 0x42800000, v3
	v_and_b32_e32 v2, 0xff, v2
	v_cmp_ne_u32_e32 vcc, 0, v2
	s_andn2_b64 s[6:7], s[6:7], exec
	s_and_b64 s[20:21], vcc, exec
	s_or_b64 s[6:7], s[6:7], s[20:21]
	s_or_b64 exec, exec, s[18:19]
	v_mov_b32_e32 v5, 0
	s_and_saveexec_b64 s[18:19], s[6:7]
	s_cbranch_execnz .LBB127_1816
	s_branch .LBB127_1817
.LBB127_2214:
	s_andn2_saveexec_b64 s[18:19], s[18:19]
	s_cbranch_execz .LBB127_1921
.LBB127_2215:
	v_add_f32_e32 v2, 0x46000000, v3
	v_and_b32_e32 v2, 0xff, v2
	v_cmp_ne_u32_e32 vcc, 0, v2
	s_andn2_b64 s[12:13], s[12:13], exec
	s_and_b64 s[24:25], vcc, exec
	s_or_b64 s[12:13], s[12:13], s[24:25]
	s_or_b64 exec, exec, s[18:19]
	v_mov_b32_e32 v5, 0
	s_and_saveexec_b64 s[18:19], s[12:13]
	s_cbranch_execnz .LBB127_1922
	s_branch .LBB127_1923
.LBB127_2216:
	s_trap 2
	s_or_b64 s[2:3], s[2:3], exec
	s_cbranch_execz .LBB127_1969
	s_branch .LBB127_1970
.LBB127_2217:
	s_andn2_saveexec_b64 s[12:13], s[12:13]
	s_cbranch_execz .LBB127_1934
.LBB127_2218:
	v_add_f32_e32 v2, 0x42800000, v3
	v_and_b32_e32 v2, 0xff, v2
	v_cmp_ne_u32_e32 vcc, 0, v2
	s_andn2_b64 s[6:7], s[6:7], exec
	s_and_b64 s[18:19], vcc, exec
	s_or_b64 s[6:7], s[6:7], s[18:19]
	s_or_b64 exec, exec, s[12:13]
	v_mov_b32_e32 v5, 0
	s_and_saveexec_b64 s[12:13], s[6:7]
	s_cbranch_execnz .LBB127_1935
	s_branch .LBB127_1936
.LBB127_2219:
	s_andn2_saveexec_b64 s[14:15], s[14:15]
	s_cbranch_execz .LBB127_2040
.LBB127_2220:
	v_add_f32_e32 v2, 0x46000000, v3
	v_and_b32_e32 v2, 0xff, v2
	v_cmp_ne_u32_e32 vcc, 0, v2
	s_andn2_b64 s[12:13], s[12:13], exec
	s_and_b64 s[18:19], vcc, exec
	s_or_b64 s[12:13], s[12:13], s[18:19]
	s_or_b64 exec, exec, s[14:15]
	v_mov_b32_e32 v5, 0
	s_and_saveexec_b64 s[14:15], s[12:13]
	s_cbranch_execnz .LBB127_2041
	s_branch .LBB127_2042
.LBB127_2221:
	s_trap 2
	s_or_b64 s[2:3], s[2:3], exec
	s_cbranch_execz .LBB127_2088
	s_branch .LBB127_2089
.LBB127_2222:
	s_andn2_saveexec_b64 s[12:13], s[12:13]
	s_cbranch_execz .LBB127_2053
.LBB127_2223:
	v_add_f32_e32 v2, 0x42800000, v3
	v_and_b32_e32 v2, 0xff, v2
	v_cmp_ne_u32_e32 vcc, 0, v2
	s_andn2_b64 s[6:7], s[6:7], exec
	s_and_b64 s[14:15], vcc, exec
	s_or_b64 s[6:7], s[6:7], s[14:15]
	s_or_b64 exec, exec, s[12:13]
	v_mov_b32_e32 v5, 0
	s_and_saveexec_b64 s[12:13], s[6:7]
	s_cbranch_execnz .LBB127_2054
	s_branch .LBB127_2055
.LBB127_2224:
	s_andn2_saveexec_b64 s[12:13], s[12:13]
	s_cbranch_execz .LBB127_2160
.LBB127_2225:
	v_add_f32_e32 v2, 0x46000000, v3
	v_and_b32_e32 v2, 0xff, v2
	v_cmp_ne_u32_e32 vcc, 0, v2
	s_andn2_b64 s[8:9], s[8:9], exec
	s_and_b64 s[14:15], vcc, exec
	s_or_b64 s[8:9], s[8:9], s[14:15]
	s_or_b64 exec, exec, s[12:13]
	v_mov_b32_e32 v4, 0
	s_and_saveexec_b64 s[12:13], s[8:9]
	s_cbranch_execnz .LBB127_2161
	s_branch .LBB127_2162
.LBB127_2226:
	s_mov_b64 s[4:5], 0
	s_or_b64 s[2:3], s[2:3], exec
	s_trap 2
	s_branch .LBB127_2206
.LBB127_2227:
	s_andn2_saveexec_b64 s[8:9], s[8:9]
	s_cbranch_execz .LBB127_2172
.LBB127_2228:
	v_add_f32_e32 v2, 0x42800000, v3
	v_and_b32_e32 v2, 0xff, v2
	v_cmp_ne_u32_e32 vcc, 0, v2
	s_andn2_b64 s[6:7], s[6:7], exec
	s_and_b64 s[12:13], vcc, exec
	s_or_b64 s[6:7], s[6:7], s[12:13]
	s_or_b64 exec, exec, s[8:9]
	v_mov_b32_e32 v4, 0
	s_and_saveexec_b64 s[8:9], s[6:7]
	s_cbranch_execnz .LBB127_2173
	s_branch .LBB127_2174
	.section	.rodata,"a",@progbits
	.p2align	6, 0x0
	.amdhsa_kernel _ZN2at6native32elementwise_kernel_manual_unrollILi128ELi4EZNS0_15gpu_kernel_implINS0_13AUnaryFunctorIN3c107complexIdEES6_bNS0_12_GLOBAL__N_116CompareEqFunctorIS6_EEEEEEvRNS_18TensorIteratorBaseERKT_EUlibE0_EEviT1_
		.amdhsa_group_segment_fixed_size 0
		.amdhsa_private_segment_fixed_size 0
		.amdhsa_kernarg_size 416
		.amdhsa_user_sgpr_count 6
		.amdhsa_user_sgpr_private_segment_buffer 1
		.amdhsa_user_sgpr_dispatch_ptr 0
		.amdhsa_user_sgpr_queue_ptr 0
		.amdhsa_user_sgpr_kernarg_segment_ptr 1
		.amdhsa_user_sgpr_dispatch_id 0
		.amdhsa_user_sgpr_flat_scratch_init 0
		.amdhsa_user_sgpr_private_segment_size 0
		.amdhsa_uses_dynamic_stack 0
		.amdhsa_system_sgpr_private_segment_wavefront_offset 0
		.amdhsa_system_sgpr_workgroup_id_x 1
		.amdhsa_system_sgpr_workgroup_id_y 0
		.amdhsa_system_sgpr_workgroup_id_z 0
		.amdhsa_system_sgpr_workgroup_info 0
		.amdhsa_system_vgpr_workitem_id 0
		.amdhsa_next_free_vgpr 20
		.amdhsa_next_free_sgpr 84
		.amdhsa_reserve_vcc 1
		.amdhsa_reserve_flat_scratch 0
		.amdhsa_float_round_mode_32 0
		.amdhsa_float_round_mode_16_64 0
		.amdhsa_float_denorm_mode_32 3
		.amdhsa_float_denorm_mode_16_64 3
		.amdhsa_dx10_clamp 1
		.amdhsa_ieee_mode 1
		.amdhsa_fp16_overflow 0
		.amdhsa_exception_fp_ieee_invalid_op 0
		.amdhsa_exception_fp_denorm_src 0
		.amdhsa_exception_fp_ieee_div_zero 0
		.amdhsa_exception_fp_ieee_overflow 0
		.amdhsa_exception_fp_ieee_underflow 0
		.amdhsa_exception_fp_ieee_inexact 0
		.amdhsa_exception_int_div_zero 0
	.end_amdhsa_kernel
	.section	.text._ZN2at6native32elementwise_kernel_manual_unrollILi128ELi4EZNS0_15gpu_kernel_implINS0_13AUnaryFunctorIN3c107complexIdEES6_bNS0_12_GLOBAL__N_116CompareEqFunctorIS6_EEEEEEvRNS_18TensorIteratorBaseERKT_EUlibE0_EEviT1_,"axG",@progbits,_ZN2at6native32elementwise_kernel_manual_unrollILi128ELi4EZNS0_15gpu_kernel_implINS0_13AUnaryFunctorIN3c107complexIdEES6_bNS0_12_GLOBAL__N_116CompareEqFunctorIS6_EEEEEEvRNS_18TensorIteratorBaseERKT_EUlibE0_EEviT1_,comdat
.Lfunc_end127:
	.size	_ZN2at6native32elementwise_kernel_manual_unrollILi128ELi4EZNS0_15gpu_kernel_implINS0_13AUnaryFunctorIN3c107complexIdEES6_bNS0_12_GLOBAL__N_116CompareEqFunctorIS6_EEEEEEvRNS_18TensorIteratorBaseERKT_EUlibE0_EEviT1_, .Lfunc_end127-_ZN2at6native32elementwise_kernel_manual_unrollILi128ELi4EZNS0_15gpu_kernel_implINS0_13AUnaryFunctorIN3c107complexIdEES6_bNS0_12_GLOBAL__N_116CompareEqFunctorIS6_EEEEEEvRNS_18TensorIteratorBaseERKT_EUlibE0_EEviT1_
                                        ; -- End function
	.set _ZN2at6native32elementwise_kernel_manual_unrollILi128ELi4EZNS0_15gpu_kernel_implINS0_13AUnaryFunctorIN3c107complexIdEES6_bNS0_12_GLOBAL__N_116CompareEqFunctorIS6_EEEEEEvRNS_18TensorIteratorBaseERKT_EUlibE0_EEviT1_.num_vgpr, 20
	.set _ZN2at6native32elementwise_kernel_manual_unrollILi128ELi4EZNS0_15gpu_kernel_implINS0_13AUnaryFunctorIN3c107complexIdEES6_bNS0_12_GLOBAL__N_116CompareEqFunctorIS6_EEEEEEvRNS_18TensorIteratorBaseERKT_EUlibE0_EEviT1_.num_agpr, 0
	.set _ZN2at6native32elementwise_kernel_manual_unrollILi128ELi4EZNS0_15gpu_kernel_implINS0_13AUnaryFunctorIN3c107complexIdEES6_bNS0_12_GLOBAL__N_116CompareEqFunctorIS6_EEEEEEvRNS_18TensorIteratorBaseERKT_EUlibE0_EEviT1_.numbered_sgpr, 84
	.set _ZN2at6native32elementwise_kernel_manual_unrollILi128ELi4EZNS0_15gpu_kernel_implINS0_13AUnaryFunctorIN3c107complexIdEES6_bNS0_12_GLOBAL__N_116CompareEqFunctorIS6_EEEEEEvRNS_18TensorIteratorBaseERKT_EUlibE0_EEviT1_.num_named_barrier, 0
	.set _ZN2at6native32elementwise_kernel_manual_unrollILi128ELi4EZNS0_15gpu_kernel_implINS0_13AUnaryFunctorIN3c107complexIdEES6_bNS0_12_GLOBAL__N_116CompareEqFunctorIS6_EEEEEEvRNS_18TensorIteratorBaseERKT_EUlibE0_EEviT1_.private_seg_size, 0
	.set _ZN2at6native32elementwise_kernel_manual_unrollILi128ELi4EZNS0_15gpu_kernel_implINS0_13AUnaryFunctorIN3c107complexIdEES6_bNS0_12_GLOBAL__N_116CompareEqFunctorIS6_EEEEEEvRNS_18TensorIteratorBaseERKT_EUlibE0_EEviT1_.uses_vcc, 1
	.set _ZN2at6native32elementwise_kernel_manual_unrollILi128ELi4EZNS0_15gpu_kernel_implINS0_13AUnaryFunctorIN3c107complexIdEES6_bNS0_12_GLOBAL__N_116CompareEqFunctorIS6_EEEEEEvRNS_18TensorIteratorBaseERKT_EUlibE0_EEviT1_.uses_flat_scratch, 0
	.set _ZN2at6native32elementwise_kernel_manual_unrollILi128ELi4EZNS0_15gpu_kernel_implINS0_13AUnaryFunctorIN3c107complexIdEES6_bNS0_12_GLOBAL__N_116CompareEqFunctorIS6_EEEEEEvRNS_18TensorIteratorBaseERKT_EUlibE0_EEviT1_.has_dyn_sized_stack, 0
	.set _ZN2at6native32elementwise_kernel_manual_unrollILi128ELi4EZNS0_15gpu_kernel_implINS0_13AUnaryFunctorIN3c107complexIdEES6_bNS0_12_GLOBAL__N_116CompareEqFunctorIS6_EEEEEEvRNS_18TensorIteratorBaseERKT_EUlibE0_EEviT1_.has_recursion, 0
	.set _ZN2at6native32elementwise_kernel_manual_unrollILi128ELi4EZNS0_15gpu_kernel_implINS0_13AUnaryFunctorIN3c107complexIdEES6_bNS0_12_GLOBAL__N_116CompareEqFunctorIS6_EEEEEEvRNS_18TensorIteratorBaseERKT_EUlibE0_EEviT1_.has_indirect_call, 0
	.section	.AMDGPU.csdata,"",@progbits
; Kernel info:
; codeLenInByte = 37000
; TotalNumSgprs: 88
; NumVgprs: 20
; ScratchSize: 0
; MemoryBound: 1
; FloatMode: 240
; IeeeMode: 1
; LDSByteSize: 0 bytes/workgroup (compile time only)
; SGPRBlocks: 10
; VGPRBlocks: 4
; NumSGPRsForWavesPerEU: 88
; NumVGPRsForWavesPerEU: 20
; Occupancy: 9
; WaveLimiterHint : 1
; COMPUTE_PGM_RSRC2:SCRATCH_EN: 0
; COMPUTE_PGM_RSRC2:USER_SGPR: 6
; COMPUTE_PGM_RSRC2:TRAP_HANDLER: 0
; COMPUTE_PGM_RSRC2:TGID_X_EN: 1
; COMPUTE_PGM_RSRC2:TGID_Y_EN: 0
; COMPUTE_PGM_RSRC2:TGID_Z_EN: 0
; COMPUTE_PGM_RSRC2:TIDIG_COMP_CNT: 0
	.section	.text._ZN2at6native29vectorized_elementwise_kernelILi16ENS0_13BinaryFunctorIN3c107complexIfEES5_bNS0_12_GLOBAL__N_116CompareEqFunctorIS5_EEEESt5arrayIPcLm3EEEEviT0_T1_,"axG",@progbits,_ZN2at6native29vectorized_elementwise_kernelILi16ENS0_13BinaryFunctorIN3c107complexIfEES5_bNS0_12_GLOBAL__N_116CompareEqFunctorIS5_EEEESt5arrayIPcLm3EEEEviT0_T1_,comdat
	.globl	_ZN2at6native29vectorized_elementwise_kernelILi16ENS0_13BinaryFunctorIN3c107complexIfEES5_bNS0_12_GLOBAL__N_116CompareEqFunctorIS5_EEEESt5arrayIPcLm3EEEEviT0_T1_ ; -- Begin function _ZN2at6native29vectorized_elementwise_kernelILi16ENS0_13BinaryFunctorIN3c107complexIfEES5_bNS0_12_GLOBAL__N_116CompareEqFunctorIS5_EEEESt5arrayIPcLm3EEEEviT0_T1_
	.p2align	8
	.type	_ZN2at6native29vectorized_elementwise_kernelILi16ENS0_13BinaryFunctorIN3c107complexIfEES5_bNS0_12_GLOBAL__N_116CompareEqFunctorIS5_EEEESt5arrayIPcLm3EEEEviT0_T1_,@function
_ZN2at6native29vectorized_elementwise_kernelILi16ENS0_13BinaryFunctorIN3c107complexIfEES5_bNS0_12_GLOBAL__N_116CompareEqFunctorIS5_EEEESt5arrayIPcLm3EEEEviT0_T1_: ; @_ZN2at6native29vectorized_elementwise_kernelILi16ENS0_13BinaryFunctorIN3c107complexIfEES5_bNS0_12_GLOBAL__N_116CompareEqFunctorIS5_EEEESt5arrayIPcLm3EEEEviT0_T1_
; %bb.0:
	s_load_dwordx2 s[12:13], s[4:5], 0x0
	s_load_dwordx4 s[8:11], s[4:5], 0x8
	s_load_dwordx2 s[14:15], s[4:5], 0x18
	s_lshl_b32 s6, s6, 12
	s_mov_b64 s[0:1], -1
	s_waitcnt lgkmcnt(0)
	s_sub_i32 s33, s12, s6
	s_cmpk_gt_i32 s33, 0xfff
	s_cbranch_scc0 .LBB128_50
; %bb.1:
	s_ashr_i32 s7, s6, 31
	s_lshl_b64 s[0:1], s[6:7], 3
	s_add_u32 s2, s10, s0
	s_addc_u32 s3, s11, s1
	s_add_u32 s0, s14, s0
	v_lshlrev_b32_e32 v65, 7, v0
	s_addc_u32 s1, s15, s1
	global_load_dwordx4 v[33:36], v65, s[2:3] offset:48
	global_load_dwordx4 v[41:44], v65, s[2:3] offset:32
	;; [unrolled: 1-line block ×3, first 2 shown]
	global_load_dwordx4 v[57:60], v65, s[2:3]
	global_load_dwordx4 v[1:4], v65, s[2:3] offset:112
	global_load_dwordx4 v[9:12], v65, s[2:3] offset:96
	;; [unrolled: 1-line block ×7, first 2 shown]
	global_load_dwordx4 v[61:64], v65, s[0:1]
	global_load_dwordx4 v[5:8], v65, s[0:1] offset:112
	global_load_dwordx4 v[13:16], v65, s[0:1] offset:96
	;; [unrolled: 1-line block ×4, first 2 shown]
	s_cmp_lg_u32 s13, 0
	s_cselect_b64 s[2:3], -1, 0
	s_and_b64 vcc, exec, s[2:3]
	s_cbranch_vccz .LBB128_196
; %bb.2:
	s_waitcnt vmcnt(4)
	v_cmp_neq_f32_e32 vcc, v57, v61
	v_cmp_neq_f32_e64 s[0:1], v58, v62
	s_or_b64 s[4:5], vcc, s[0:1]
	s_cbranch_execnz .LBB128_4
.LBB128_3:
	s_waitcnt vmcnt(4)
	v_cmp_eq_f32_e32 vcc, v57, v61
	v_cmp_eq_f32_e64 s[0:1], v58, v62
	s_and_b64 s[0:1], vcc, s[0:1]
	s_andn2_b64 s[4:5], s[4:5], exec
	s_and_b64 s[0:1], s[0:1], exec
	s_or_b64 s[4:5], s[4:5], s[0:1]
.LBB128_4:
	s_waitcnt vmcnt(12)
	v_cndmask_b32_e64 v57, 0, 1, s[2:3]
	v_cmp_ne_u32_e64 s[0:1], 1, v57
	s_andn2_b64 vcc, exec, s[2:3]
	s_cbranch_vccnz .LBB128_197
; %bb.5:
	s_waitcnt vmcnt(4)
	v_cmp_neq_f32_e32 vcc, v59, v63
	v_cmp_neq_f32_e64 s[2:3], v60, v64
	s_or_b64 s[16:17], vcc, s[2:3]
	s_cbranch_execnz .LBB128_7
.LBB128_6:
	s_waitcnt vmcnt(4)
	v_cmp_eq_f32_e32 vcc, v59, v63
	v_cmp_eq_f32_e64 s[2:3], v60, v64
	s_and_b64 s[2:3], vcc, s[2:3]
	s_andn2_b64 s[16:17], s[16:17], exec
	s_and_b64 s[2:3], s[2:3], exec
	s_or_b64 s[16:17], s[16:17], s[2:3]
.LBB128_7:
	s_and_b64 vcc, exec, s[0:1]
	s_cbranch_vccnz .LBB128_198
; %bb.8:
	s_waitcnt vmcnt(5)
	v_cmp_neq_f32_e32 vcc, v49, v53
	v_cmp_neq_f32_e64 s[2:3], v50, v54
	s_or_b64 s[18:19], vcc, s[2:3]
	s_cbranch_execnz .LBB128_10
.LBB128_9:
	s_waitcnt vmcnt(5)
	v_cmp_eq_f32_e32 vcc, v49, v53
	v_cmp_eq_f32_e64 s[2:3], v50, v54
	s_and_b64 s[2:3], vcc, s[2:3]
	s_andn2_b64 s[18:19], s[18:19], exec
	s_and_b64 s[2:3], s[2:3], exec
	s_or_b64 s[18:19], s[18:19], s[2:3]
.LBB128_10:
	s_and_b64 vcc, exec, s[0:1]
	s_cbranch_vccnz .LBB128_199
; %bb.11:
	s_waitcnt vmcnt(5)
	v_cmp_neq_f32_e32 vcc, v51, v55
	v_cmp_neq_f32_e64 s[2:3], v52, v56
	s_or_b64 s[20:21], vcc, s[2:3]
	s_cbranch_execnz .LBB128_13
.LBB128_12:
	s_waitcnt vmcnt(5)
	v_cmp_eq_f32_e32 vcc, v51, v55
	v_cmp_eq_f32_e64 s[2:3], v52, v56
	s_and_b64 s[2:3], vcc, s[2:3]
	s_andn2_b64 s[20:21], s[20:21], exec
	s_and_b64 s[2:3], s[2:3], exec
	s_or_b64 s[20:21], s[20:21], s[2:3]
.LBB128_13:
	s_and_b64 vcc, exec, s[0:1]
	s_cbranch_vccnz .LBB128_200
; %bb.14:
	s_waitcnt vmcnt(6)
	v_cmp_neq_f32_e32 vcc, v41, v45
	v_cmp_neq_f32_e64 s[2:3], v42, v46
	s_or_b64 s[22:23], vcc, s[2:3]
	s_cbranch_execnz .LBB128_16
.LBB128_15:
	s_waitcnt vmcnt(6)
	v_cmp_eq_f32_e32 vcc, v41, v45
	v_cmp_eq_f32_e64 s[2:3], v42, v46
	s_and_b64 s[2:3], vcc, s[2:3]
	s_andn2_b64 s[22:23], s[22:23], exec
	s_and_b64 s[2:3], s[2:3], exec
	s_or_b64 s[22:23], s[22:23], s[2:3]
.LBB128_16:
	s_and_b64 vcc, exec, s[0:1]
	s_cbranch_vccnz .LBB128_201
; %bb.17:
	s_waitcnt vmcnt(6)
	v_cmp_neq_f32_e32 vcc, v43, v47
	v_cmp_neq_f32_e64 s[2:3], v44, v48
	s_or_b64 s[24:25], vcc, s[2:3]
	s_cbranch_execnz .LBB128_19
.LBB128_18:
	s_waitcnt vmcnt(6)
	v_cmp_eq_f32_e32 vcc, v43, v47
	v_cmp_eq_f32_e64 s[2:3], v44, v48
	s_and_b64 s[2:3], vcc, s[2:3]
	s_andn2_b64 s[24:25], s[24:25], exec
	s_and_b64 s[2:3], s[2:3], exec
	s_or_b64 s[24:25], s[24:25], s[2:3]
.LBB128_19:
	s_and_b64 vcc, exec, s[0:1]
	s_cbranch_vccnz .LBB128_202
; %bb.20:
	s_waitcnt vmcnt(7)
	v_cmp_neq_f32_e32 vcc, v33, v37
	v_cmp_neq_f32_e64 s[2:3], v34, v38
	s_or_b64 s[26:27], vcc, s[2:3]
	s_cbranch_execnz .LBB128_22
.LBB128_21:
	s_waitcnt vmcnt(7)
	v_cmp_eq_f32_e32 vcc, v33, v37
	v_cmp_eq_f32_e64 s[2:3], v34, v38
	s_and_b64 s[2:3], vcc, s[2:3]
	s_andn2_b64 s[26:27], s[26:27], exec
	s_and_b64 s[2:3], s[2:3], exec
	s_or_b64 s[26:27], s[26:27], s[2:3]
.LBB128_22:
	s_and_b64 vcc, exec, s[0:1]
	s_cbranch_vccnz .LBB128_203
; %bb.23:
	s_waitcnt vmcnt(7)
	v_cmp_neq_f32_e32 vcc, v35, v39
	v_cmp_neq_f32_e64 s[2:3], v36, v40
	s_or_b64 s[28:29], vcc, s[2:3]
	s_cbranch_execnz .LBB128_25
.LBB128_24:
	s_waitcnt vmcnt(7)
	v_cmp_eq_f32_e32 vcc, v35, v39
	v_cmp_eq_f32_e64 s[2:3], v36, v40
	s_and_b64 s[2:3], vcc, s[2:3]
	s_andn2_b64 s[28:29], s[28:29], exec
	s_and_b64 s[2:3], s[2:3], exec
	s_or_b64 s[28:29], s[28:29], s[2:3]
.LBB128_25:
	s_and_b64 vcc, exec, s[0:1]
	s_cbranch_vccnz .LBB128_204
; %bb.26:
	s_waitcnt vmcnt(0)
	v_cmp_neq_f32_e32 vcc, v25, v29
	v_cmp_neq_f32_e64 s[2:3], v26, v30
	s_or_b64 s[30:31], vcc, s[2:3]
	s_cbranch_execnz .LBB128_28
.LBB128_27:
	s_waitcnt vmcnt(0)
	v_cmp_eq_f32_e32 vcc, v25, v29
	v_cmp_eq_f32_e64 s[2:3], v26, v30
	s_and_b64 s[2:3], vcc, s[2:3]
	s_andn2_b64 s[30:31], s[30:31], exec
	s_and_b64 s[2:3], s[2:3], exec
	s_or_b64 s[30:31], s[30:31], s[2:3]
.LBB128_28:
	s_and_b64 vcc, exec, s[0:1]
	s_cbranch_vccnz .LBB128_205
; %bb.29:
	s_waitcnt vmcnt(0)
	v_cmp_neq_f32_e32 vcc, v27, v31
	v_cmp_neq_f32_e64 s[2:3], v28, v32
	s_or_b64 s[34:35], vcc, s[2:3]
	s_cbranch_execnz .LBB128_31
.LBB128_30:
	s_waitcnt vmcnt(0)
	v_cmp_eq_f32_e32 vcc, v27, v31
	v_cmp_eq_f32_e64 s[2:3], v28, v32
	s_and_b64 s[2:3], vcc, s[2:3]
	s_andn2_b64 s[34:35], s[34:35], exec
	s_and_b64 s[2:3], s[2:3], exec
	s_or_b64 s[34:35], s[34:35], s[2:3]
.LBB128_31:
	s_and_b64 vcc, exec, s[0:1]
	s_cbranch_vccnz .LBB128_206
; %bb.32:
	s_waitcnt vmcnt(1)
	v_cmp_neq_f32_e32 vcc, v17, v21
	v_cmp_neq_f32_e64 s[2:3], v18, v22
	s_or_b64 s[36:37], vcc, s[2:3]
	s_cbranch_execnz .LBB128_34
.LBB128_33:
	s_waitcnt vmcnt(1)
	v_cmp_eq_f32_e32 vcc, v17, v21
	v_cmp_eq_f32_e64 s[2:3], v18, v22
	s_and_b64 s[2:3], vcc, s[2:3]
	s_andn2_b64 s[36:37], s[36:37], exec
	s_and_b64 s[2:3], s[2:3], exec
	s_or_b64 s[36:37], s[36:37], s[2:3]
.LBB128_34:
	s_and_b64 vcc, exec, s[0:1]
	s_cbranch_vccnz .LBB128_207
; %bb.35:
	s_waitcnt vmcnt(1)
	v_cmp_neq_f32_e32 vcc, v19, v23
	v_cmp_neq_f32_e64 s[2:3], v20, v24
	s_or_b64 s[38:39], vcc, s[2:3]
	s_cbranch_execnz .LBB128_37
.LBB128_36:
	s_waitcnt vmcnt(1)
	v_cmp_eq_f32_e32 vcc, v19, v23
	v_cmp_eq_f32_e64 s[2:3], v20, v24
	s_and_b64 s[2:3], vcc, s[2:3]
	s_andn2_b64 s[38:39], s[38:39], exec
	s_and_b64 s[2:3], s[2:3], exec
	s_or_b64 s[38:39], s[38:39], s[2:3]
.LBB128_37:
	s_and_b64 vcc, exec, s[0:1]
	s_cbranch_vccnz .LBB128_208
; %bb.38:
	s_waitcnt vmcnt(2)
	v_cmp_neq_f32_e32 vcc, v9, v13
	v_cmp_neq_f32_e64 s[2:3], v10, v14
	s_or_b64 s[40:41], vcc, s[2:3]
	s_cbranch_execnz .LBB128_40
.LBB128_39:
	s_waitcnt vmcnt(2)
	v_cmp_eq_f32_e32 vcc, v9, v13
	v_cmp_eq_f32_e64 s[2:3], v10, v14
	s_and_b64 s[2:3], vcc, s[2:3]
	s_andn2_b64 s[40:41], s[40:41], exec
	s_and_b64 s[2:3], s[2:3], exec
	s_or_b64 s[40:41], s[40:41], s[2:3]
.LBB128_40:
	s_and_b64 vcc, exec, s[0:1]
	s_cbranch_vccnz .LBB128_209
; %bb.41:
	s_waitcnt vmcnt(2)
	v_cmp_neq_f32_e32 vcc, v11, v15
	v_cmp_neq_f32_e64 s[2:3], v12, v16
	s_or_b64 s[42:43], vcc, s[2:3]
	s_cbranch_execnz .LBB128_43
.LBB128_42:
	s_waitcnt vmcnt(2)
	v_cmp_eq_f32_e32 vcc, v11, v15
	v_cmp_eq_f32_e64 s[2:3], v12, v16
	s_and_b64 s[2:3], vcc, s[2:3]
	s_andn2_b64 s[42:43], s[42:43], exec
	s_and_b64 s[2:3], s[2:3], exec
	s_or_b64 s[42:43], s[42:43], s[2:3]
.LBB128_43:
	s_and_b64 vcc, exec, s[0:1]
	s_cbranch_vccnz .LBB128_210
; %bb.44:
	s_waitcnt vmcnt(3)
	v_cmp_neq_f32_e32 vcc, v1, v5
	v_cmp_neq_f32_e64 s[2:3], v2, v6
	s_or_b64 s[44:45], vcc, s[2:3]
	s_cbranch_execnz .LBB128_46
.LBB128_45:
	s_waitcnt vmcnt(3)
	v_cmp_eq_f32_e32 vcc, v1, v5
	v_cmp_eq_f32_e64 s[2:3], v2, v6
	s_and_b64 s[2:3], vcc, s[2:3]
	s_andn2_b64 s[44:45], s[44:45], exec
	s_and_b64 s[2:3], s[2:3], exec
	s_or_b64 s[44:45], s[44:45], s[2:3]
.LBB128_46:
	s_and_b64 vcc, exec, s[0:1]
	s_cbranch_vccnz .LBB128_211
; %bb.47:
	s_waitcnt vmcnt(3)
	v_cmp_neq_f32_e32 vcc, v3, v7
	v_cmp_neq_f32_e64 s[0:1], v4, v8
	s_or_b64 s[2:3], vcc, s[0:1]
	s_cbranch_execnz .LBB128_49
.LBB128_48:
	s_waitcnt vmcnt(3)
	v_cmp_eq_f32_e32 vcc, v3, v7
	v_cmp_eq_f32_e64 s[0:1], v4, v8
	s_and_b64 s[0:1], vcc, s[0:1]
	s_andn2_b64 s[2:3], s[2:3], exec
	s_and_b64 s[0:1], s[0:1], exec
	s_or_b64 s[2:3], s[2:3], s[0:1]
.LBB128_49:
	s_waitcnt vmcnt(11)
	v_cndmask_b32_e64 v1, 0, 1, s[16:17]
	v_lshlrev_b16_e32 v1, 8, v1
	v_cndmask_b32_e64 v2, 0, 1, s[4:5]
	v_or_b32_e32 v1, v2, v1
	v_cndmask_b32_e64 v2, 0, 1, s[20:21]
	v_lshlrev_b16_e32 v2, 8, v2
	v_cndmask_b32_e64 v3, 0, 1, s[18:19]
	v_or_b32_sdwa v2, v3, v2 dst_sel:WORD_1 dst_unused:UNUSED_PAD src0_sel:DWORD src1_sel:DWORD
	v_or_b32_sdwa v1, v1, v2 dst_sel:DWORD dst_unused:UNUSED_PAD src0_sel:WORD_0 src1_sel:DWORD
	v_cndmask_b32_e64 v2, 0, 1, s[24:25]
	v_lshlrev_b16_e32 v2, 8, v2
	v_cndmask_b32_e64 v3, 0, 1, s[22:23]
	v_or_b32_e32 v2, v3, v2
	v_cndmask_b32_e64 v3, 0, 1, s[28:29]
	v_lshlrev_b16_e32 v3, 8, v3
	v_cndmask_b32_e64 v4, 0, 1, s[26:27]
	v_or_b32_sdwa v3, v4, v3 dst_sel:WORD_1 dst_unused:UNUSED_PAD src0_sel:DWORD src1_sel:DWORD
	v_or_b32_sdwa v2, v2, v3 dst_sel:DWORD dst_unused:UNUSED_PAD src0_sel:WORD_0 src1_sel:DWORD
	v_cndmask_b32_e64 v3, 0, 1, s[34:35]
	v_lshlrev_b16_e32 v3, 8, v3
	v_cndmask_b32_e64 v4, 0, 1, s[30:31]
	v_or_b32_e32 v3, v4, v3
	v_cndmask_b32_e64 v4, 0, 1, s[38:39]
	v_lshlrev_b16_e32 v4, 8, v4
	s_waitcnt vmcnt(3)
	v_cndmask_b32_e64 v6, 0, 1, s[36:37]
	v_or_b32_sdwa v4, v6, v4 dst_sel:WORD_1 dst_unused:UNUSED_PAD src0_sel:DWORD src1_sel:DWORD
	v_or_b32_sdwa v3, v3, v4 dst_sel:DWORD dst_unused:UNUSED_PAD src0_sel:WORD_0 src1_sel:DWORD
	v_cndmask_b32_e64 v4, 0, 1, s[42:43]
	v_lshlrev_b16_e32 v4, 8, v4
	v_cndmask_b32_e64 v6, 0, 1, s[40:41]
	v_or_b32_e32 v4, v6, v4
	v_cndmask_b32_e64 v6, 0, 1, s[2:3]
	v_lshlrev_b16_e32 v6, 8, v6
	v_cndmask_b32_e64 v7, 0, 1, s[44:45]
	s_add_u32 s0, s8, s6
	v_or_b32_sdwa v6, v7, v6 dst_sel:WORD_1 dst_unused:UNUSED_PAD src0_sel:DWORD src1_sel:DWORD
	s_addc_u32 s1, s9, s7
	v_lshlrev_b32_e32 v5, 4, v0
	v_or_b32_sdwa v4, v4, v6 dst_sel:DWORD dst_unused:UNUSED_PAD src0_sel:WORD_0 src1_sel:DWORD
	global_store_dwordx4 v5, v[1:4], s[0:1]
	s_mov_b64 s[0:1], 0
.LBB128_50:
	s_and_b64 vcc, exec, s[0:1]
	s_cbranch_vccz .LBB128_195
; %bb.51:
	v_cmp_gt_i32_e64 s[0:1], s33, v0
	s_waitcnt vmcnt(3)
	v_mov_b32_e32 v15, 0
	v_or_b32_e32 v1, s6, v0
	v_mov_b32_e32 v47, 0
	v_mov_b32_e32 v46, 0
	;; [unrolled: 1-line block ×5, first 2 shown]
	s_and_saveexec_b64 s[2:3], s[0:1]
	s_cbranch_execz .LBB128_53
; %bb.52:
	v_mov_b32_e32 v2, 0
	v_lshlrev_b64 v[2:3], 3, v[1:2]
	v_mov_b32_e32 v5, s11
	v_add_co_u32_e32 v4, vcc, s10, v2
	v_addc_co_u32_e32 v5, vcc, v5, v3, vcc
	v_mov_b32_e32 v6, s15
	v_add_co_u32_e32 v2, vcc, s14, v2
	v_addc_co_u32_e32 v3, vcc, v6, v3, vcc
	global_load_dwordx2 v[46:47], v[4:5], off
	global_load_dwordx2 v[64:65], v[2:3], off
	v_or_b32_e32 v66, 0x100, v0
.LBB128_53:
	s_or_b64 exec, exec, s[2:3]
	v_cmp_gt_i32_e32 vcc, s33, v66
	v_mov_b32_e32 v14, 0
	v_mov_b32_e32 v61, 0
	;; [unrolled: 1-line block ×3, first 2 shown]
	s_and_saveexec_b64 s[2:3], vcc
	s_cbranch_execz .LBB128_55
; %bb.54:
	v_add_u32_e32 v2, s6, v66
	v_mov_b32_e32 v3, 0
	v_lshlrev_b64 v[2:3], 3, v[2:3]
	v_mov_b32_e32 v5, s11
	v_add_co_u32_e32 v4, vcc, s10, v2
	v_addc_co_u32_e32 v5, vcc, v5, v3, vcc
	v_mov_b32_e32 v6, s15
	v_add_co_u32_e32 v2, vcc, s14, v2
	v_addc_co_u32_e32 v3, vcc, v6, v3, vcc
	global_load_dwordx2 v[14:15], v[4:5], off
	global_load_dwordx2 v[60:61], v[2:3], off
	v_add_u32_e32 v66, 0x100, v66
.LBB128_55:
	s_or_b64 exec, exec, s[2:3]
	v_cmp_gt_i32_e32 vcc, s33, v66
	v_mov_b32_e32 v17, 0
	v_mov_b32_e32 v37, 0
	;; [unrolled: 1-line block ×5, first 2 shown]
	s_and_saveexec_b64 s[2:3], vcc
	s_cbranch_execz .LBB128_57
; %bb.56:
	v_add_u32_e32 v2, s6, v66
	v_mov_b32_e32 v3, 0
	v_lshlrev_b64 v[2:3], 3, v[2:3]
	v_mov_b32_e32 v5, s11
	v_add_co_u32_e32 v4, vcc, s10, v2
	v_addc_co_u32_e32 v5, vcc, v5, v3, vcc
	v_mov_b32_e32 v6, s15
	v_add_co_u32_e32 v2, vcc, s14, v2
	v_addc_co_u32_e32 v3, vcc, v6, v3, vcc
	global_load_dwordx2 v[36:37], v[4:5], off
	global_load_dwordx2 v[62:63], v[2:3], off
	v_add_u32_e32 v66, 0x100, v66
.LBB128_57:
	s_or_b64 exec, exec, s[2:3]
	v_cmp_gt_i32_e32 vcc, s33, v66
	v_mov_b32_e32 v16, 0
	v_mov_b32_e32 v57, 0
	;; [unrolled: 1-line block ×3, first 2 shown]
	s_and_saveexec_b64 s[2:3], vcc
	s_cbranch_execz .LBB128_59
; %bb.58:
	v_add_u32_e32 v2, s6, v66
	v_mov_b32_e32 v3, 0
	v_lshlrev_b64 v[2:3], 3, v[2:3]
	v_mov_b32_e32 v5, s11
	v_add_co_u32_e32 v4, vcc, s10, v2
	v_addc_co_u32_e32 v5, vcc, v5, v3, vcc
	v_mov_b32_e32 v6, s15
	v_add_co_u32_e32 v2, vcc, s14, v2
	v_addc_co_u32_e32 v3, vcc, v6, v3, vcc
	global_load_dwordx2 v[16:17], v[4:5], off
	global_load_dwordx2 v[56:57], v[2:3], off
	v_add_u32_e32 v66, 0x100, v66
.LBB128_59:
	s_or_b64 exec, exec, s[2:3]
	v_cmp_gt_i32_e32 vcc, s33, v66
	v_mov_b32_e32 v13, 0
	s_waitcnt vmcnt(1)
	v_mov_b32_e32 v31, 0
	v_mov_b32_e32 v30, 0
	v_mov_b32_e32 v59, 0
	v_mov_b32_e32 v58, 0
	s_and_saveexec_b64 s[2:3], vcc
	s_cbranch_execz .LBB128_61
; %bb.60:
	v_add_u32_e32 v2, s6, v66
	v_mov_b32_e32 v3, 0
	v_lshlrev_b64 v[2:3], 3, v[2:3]
	v_mov_b32_e32 v5, s11
	v_add_co_u32_e32 v4, vcc, s10, v2
	v_addc_co_u32_e32 v5, vcc, v5, v3, vcc
	v_mov_b32_e32 v6, s15
	v_add_co_u32_e32 v2, vcc, s14, v2
	v_addc_co_u32_e32 v3, vcc, v6, v3, vcc
	global_load_dwordx2 v[30:31], v[4:5], off
	global_load_dwordx2 v[58:59], v[2:3], off
	v_add_u32_e32 v66, 0x100, v66
.LBB128_61:
	s_or_b64 exec, exec, s[2:3]
	v_cmp_gt_i32_e32 vcc, s33, v66
	v_mov_b32_e32 v12, 0
	v_mov_b32_e32 v53, 0
	v_mov_b32_e32 v52, 0
	s_and_saveexec_b64 s[2:3], vcc
	s_cbranch_execz .LBB128_63
; %bb.62:
	v_add_u32_e32 v2, s6, v66
	v_mov_b32_e32 v3, 0
	v_lshlrev_b64 v[2:3], 3, v[2:3]
	v_mov_b32_e32 v5, s11
	v_add_co_u32_e32 v4, vcc, s10, v2
	v_addc_co_u32_e32 v5, vcc, v5, v3, vcc
	v_mov_b32_e32 v6, s15
	v_add_co_u32_e32 v2, vcc, s14, v2
	v_addc_co_u32_e32 v3, vcc, v6, v3, vcc
	global_load_dwordx2 v[12:13], v[4:5], off
	global_load_dwordx2 v[52:53], v[2:3], off
	v_add_u32_e32 v66, 0x100, v66
.LBB128_63:
	s_or_b64 exec, exec, s[2:3]
	v_cmp_gt_i32_e32 vcc, s33, v66
	v_mov_b32_e32 v11, 0
	v_mov_b32_e32 v29, 0
	v_mov_b32_e32 v28, 0
	v_mov_b32_e32 v55, 0
	v_mov_b32_e32 v54, 0
	s_and_saveexec_b64 s[2:3], vcc
	s_cbranch_execz .LBB128_65
; %bb.64:
	v_add_u32_e32 v2, s6, v66
	v_mov_b32_e32 v3, 0
	v_lshlrev_b64 v[2:3], 3, v[2:3]
	v_mov_b32_e32 v5, s11
	v_add_co_u32_e32 v4, vcc, s10, v2
	v_addc_co_u32_e32 v5, vcc, v5, v3, vcc
	v_mov_b32_e32 v6, s15
	v_add_co_u32_e32 v2, vcc, s14, v2
	v_addc_co_u32_e32 v3, vcc, v6, v3, vcc
	global_load_dwordx2 v[28:29], v[4:5], off
	global_load_dwordx2 v[54:55], v[2:3], off
	v_add_u32_e32 v66, 0x100, v66
.LBB128_65:
	s_or_b64 exec, exec, s[2:3]
	v_cmp_gt_i32_e32 vcc, s33, v66
	v_mov_b32_e32 v10, 0
	v_mov_b32_e32 v49, 0
	v_mov_b32_e32 v48, 0
	s_and_saveexec_b64 s[2:3], vcc
	s_cbranch_execz .LBB128_67
; %bb.66:
	v_add_u32_e32 v2, s6, v66
	v_mov_b32_e32 v3, 0
	v_lshlrev_b64 v[2:3], 3, v[2:3]
	v_mov_b32_e32 v5, s11
	v_add_co_u32_e32 v4, vcc, s10, v2
	v_addc_co_u32_e32 v5, vcc, v5, v3, vcc
	v_mov_b32_e32 v6, s15
	v_add_co_u32_e32 v2, vcc, s14, v2
	v_addc_co_u32_e32 v3, vcc, v6, v3, vcc
	global_load_dwordx2 v[10:11], v[4:5], off
	global_load_dwordx2 v[48:49], v[2:3], off
	v_add_u32_e32 v66, 0x100, v66
.LBB128_67:
	s_or_b64 exec, exec, s[2:3]
	v_cmp_gt_i32_e32 vcc, s33, v66
	v_mov_b32_e32 v9, 0
	;; [unrolled: 44-line block ×5, first 2 shown]
	v_mov_b32_e32 v19, 0
	v_mov_b32_e32 v18, 0
	v_mov_b32_e32 v35, 0
	v_mov_b32_e32 v34, 0
	s_and_saveexec_b64 s[2:3], vcc
	s_cbranch_execz .LBB128_81
; %bb.80:
	v_add_u32_e32 v18, s6, v66
	v_mov_b32_e32 v19, 0
	v_lshlrev_b64 v[18:19], 3, v[18:19]
	v_mov_b32_e32 v2, s11
	v_add_co_u32_e32 v26, vcc, s10, v18
	v_addc_co_u32_e32 v27, vcc, v2, v19, vcc
	v_mov_b32_e32 v2, s15
	v_add_co_u32_e32 v67, vcc, s14, v18
	v_addc_co_u32_e32 v68, vcc, v2, v19, vcc
	global_load_dwordx2 v[18:19], v[26:27], off
	global_load_dwordx2 v[34:35], v[67:68], off
	v_add_u32_e32 v66, 0x100, v66
.LBB128_81:
	s_or_b64 exec, exec, s[2:3]
	v_cmp_gt_i32_e32 vcc, s33, v66
	v_mov_b32_e32 v2, 0
	v_mov_b32_e32 v27, 0
	;; [unrolled: 1-line block ×3, first 2 shown]
	s_and_saveexec_b64 s[2:3], vcc
	s_cbranch_execz .LBB128_83
; %bb.82:
	v_add_u32_e32 v2, s6, v66
	v_mov_b32_e32 v3, 0
	v_lshlrev_b64 v[2:3], 3, v[2:3]
	v_mov_b32_e32 v26, s11
	v_add_co_u32_e32 v66, vcc, s10, v2
	v_addc_co_u32_e32 v67, vcc, v26, v3, vcc
	v_mov_b32_e32 v26, s15
	v_add_co_u32_e32 v68, vcc, s14, v2
	v_addc_co_u32_e32 v69, vcc, v26, v3, vcc
	global_load_dwordx2 v[2:3], v[66:67], off
	global_load_dwordx2 v[26:27], v[68:69], off
.LBB128_83:
	s_or_b64 exec, exec, s[2:3]
	s_cmp_lg_u32 s13, 0
	s_cselect_b64 s[4:5], -1, 0
                                        ; implicit-def: $vgpr66
	s_and_saveexec_b64 s[10:11], s[0:1]
	s_cbranch_execz .LBB128_88
; %bb.84:
	s_and_b64 vcc, exec, s[4:5]
	s_cbranch_vccz .LBB128_212
; %bb.85:
	s_waitcnt vmcnt(0)
	v_cmp_neq_f32_e32 vcc, v46, v64
	v_cmp_neq_f32_e64 s[2:3], v47, v65
	s_or_b64 s[12:13], vcc, s[2:3]
	s_cbranch_execnz .LBB128_87
.LBB128_86:
	s_waitcnt vmcnt(0)
	v_cmp_eq_f32_e32 vcc, v46, v64
	v_cmp_eq_f32_e64 s[2:3], v47, v65
	s_and_b64 s[2:3], vcc, s[2:3]
	s_andn2_b64 s[12:13], s[12:13], exec
	s_and_b64 s[2:3], s[2:3], exec
	s_or_b64 s[12:13], s[12:13], s[2:3]
.LBB128_87:
	v_cndmask_b32_e64 v66, 0, 1, s[12:13]
.LBB128_88:
	s_or_b64 exec, exec, s[10:11]
	v_or_b32_e32 v46, 0x100, v0
	v_cndmask_b32_e64 v47, 0, 1, s[4:5]
	v_cmp_gt_i32_e32 vcc, s33, v46
	v_cmp_ne_u32_e64 s[2:3], 1, v47
                                        ; implicit-def: $vgpr47
	s_and_saveexec_b64 s[10:11], vcc
	s_cbranch_execz .LBB128_93
; %bb.89:
	s_and_b64 vcc, exec, s[2:3]
	s_cbranch_vccnz .LBB128_213
; %bb.90:
	s_waitcnt vmcnt(0)
	v_cmp_neq_f32_e32 vcc, v14, v60
	v_cmp_neq_f32_e64 s[4:5], v15, v61
	s_or_b64 s[12:13], vcc, s[4:5]
	s_cbranch_execnz .LBB128_92
.LBB128_91:
	s_waitcnt vmcnt(0)
	v_cmp_eq_f32_e32 vcc, v14, v60
	v_cmp_eq_f32_e64 s[4:5], v15, v61
	s_and_b64 s[4:5], vcc, s[4:5]
	s_andn2_b64 s[12:13], s[12:13], exec
	s_and_b64 s[4:5], s[4:5], exec
	s_or_b64 s[12:13], s[12:13], s[4:5]
.LBB128_92:
	v_cndmask_b32_e64 v47, 0, 1, s[12:13]
.LBB128_93:
	s_or_b64 exec, exec, s[10:11]
	v_or_b32_e32 v14, 0x200, v0
	v_cmp_gt_i32_e32 vcc, s33, v14
                                        ; implicit-def: $vgpr14
	s_and_saveexec_b64 s[10:11], vcc
	s_cbranch_execz .LBB128_98
; %bb.94:
	s_and_b64 vcc, exec, s[2:3]
	s_cbranch_vccnz .LBB128_214
; %bb.95:
	s_waitcnt vmcnt(0)
	v_cmp_neq_f32_e32 vcc, v36, v62
	v_cmp_neq_f32_e64 s[4:5], v37, v63
	s_or_b64 s[12:13], vcc, s[4:5]
	s_cbranch_execnz .LBB128_97
.LBB128_96:
	s_waitcnt vmcnt(0)
	v_cmp_eq_f32_e32 vcc, v36, v62
	v_cmp_eq_f32_e64 s[4:5], v37, v63
	s_and_b64 s[4:5], vcc, s[4:5]
	s_andn2_b64 s[12:13], s[12:13], exec
	s_and_b64 s[4:5], s[4:5], exec
	s_or_b64 s[12:13], s[12:13], s[4:5]
.LBB128_97:
	v_cndmask_b32_e64 v14, 0, 1, s[12:13]
.LBB128_98:
	s_or_b64 exec, exec, s[10:11]
	v_or_b32_e32 v15, 0x300, v0
	v_cmp_gt_i32_e32 vcc, s33, v15
                                        ; implicit-def: $vgpr15
	s_and_saveexec_b64 s[10:11], vcc
	s_cbranch_execz .LBB128_103
; %bb.99:
	s_and_b64 vcc, exec, s[2:3]
	s_cbranch_vccnz .LBB128_215
; %bb.100:
	s_waitcnt vmcnt(0)
	v_cmp_neq_f32_e32 vcc, v16, v56
	v_cmp_neq_f32_e64 s[4:5], v17, v57
	s_or_b64 s[12:13], vcc, s[4:5]
	s_cbranch_execnz .LBB128_102
.LBB128_101:
	s_waitcnt vmcnt(0)
	v_cmp_eq_f32_e32 vcc, v16, v56
	v_cmp_eq_f32_e64 s[4:5], v17, v57
	s_and_b64 s[4:5], vcc, s[4:5]
	s_andn2_b64 s[12:13], s[12:13], exec
	s_and_b64 s[4:5], s[4:5], exec
	s_or_b64 s[12:13], s[12:13], s[4:5]
.LBB128_102:
	v_cndmask_b32_e64 v15, 0, 1, s[12:13]
.LBB128_103:
	s_or_b64 exec, exec, s[10:11]
	v_or_b32_e32 v16, 0x400, v0
	v_cmp_gt_i32_e32 vcc, s33, v16
                                        ; implicit-def: $vgpr16
	s_and_saveexec_b64 s[10:11], vcc
	s_cbranch_execz .LBB128_108
; %bb.104:
	s_and_b64 vcc, exec, s[2:3]
	s_cbranch_vccnz .LBB128_216
; %bb.105:
	s_waitcnt vmcnt(0)
	v_cmp_neq_f32_e32 vcc, v30, v58
	v_cmp_neq_f32_e64 s[4:5], v31, v59
	s_or_b64 s[12:13], vcc, s[4:5]
	s_cbranch_execnz .LBB128_107
.LBB128_106:
	s_waitcnt vmcnt(0)
	v_cmp_eq_f32_e32 vcc, v30, v58
	v_cmp_eq_f32_e64 s[4:5], v31, v59
	s_and_b64 s[4:5], vcc, s[4:5]
	s_andn2_b64 s[12:13], s[12:13], exec
	s_and_b64 s[4:5], s[4:5], exec
	s_or_b64 s[12:13], s[12:13], s[4:5]
.LBB128_107:
	v_cndmask_b32_e64 v16, 0, 1, s[12:13]
.LBB128_108:
	s_or_b64 exec, exec, s[10:11]
	v_or_b32_e32 v17, 0x500, v0
	v_cmp_gt_i32_e32 vcc, s33, v17
                                        ; implicit-def: $vgpr17
	s_and_saveexec_b64 s[10:11], vcc
	s_cbranch_execz .LBB128_113
; %bb.109:
	s_and_b64 vcc, exec, s[2:3]
	s_cbranch_vccnz .LBB128_217
; %bb.110:
	s_waitcnt vmcnt(0)
	v_cmp_neq_f32_e32 vcc, v12, v52
	v_cmp_neq_f32_e64 s[4:5], v13, v53
	s_or_b64 s[12:13], vcc, s[4:5]
	s_cbranch_execnz .LBB128_112
.LBB128_111:
	s_waitcnt vmcnt(0)
	v_cmp_eq_f32_e32 vcc, v12, v52
	v_cmp_eq_f32_e64 s[4:5], v13, v53
	s_and_b64 s[4:5], vcc, s[4:5]
	s_andn2_b64 s[12:13], s[12:13], exec
	s_and_b64 s[4:5], s[4:5], exec
	s_or_b64 s[12:13], s[12:13], s[4:5]
.LBB128_112:
	v_cndmask_b32_e64 v17, 0, 1, s[12:13]
.LBB128_113:
	s_or_b64 exec, exec, s[10:11]
	s_waitcnt vmcnt(1)
	v_or_b32_e32 v12, 0x600, v0
	v_cmp_gt_i32_e32 vcc, s33, v12
                                        ; implicit-def: $vgpr12
	s_and_saveexec_b64 s[10:11], vcc
	s_cbranch_execz .LBB128_118
; %bb.114:
	s_and_b64 vcc, exec, s[2:3]
	s_cbranch_vccnz .LBB128_218
; %bb.115:
	s_waitcnt vmcnt(0)
	v_cmp_neq_f32_e32 vcc, v28, v54
	v_cmp_neq_f32_e64 s[4:5], v29, v55
	s_or_b64 s[12:13], vcc, s[4:5]
	s_cbranch_execnz .LBB128_117
.LBB128_116:
	s_waitcnt vmcnt(0)
	v_cmp_eq_f32_e32 vcc, v28, v54
	v_cmp_eq_f32_e64 s[4:5], v29, v55
	s_and_b64 s[4:5], vcc, s[4:5]
	s_andn2_b64 s[12:13], s[12:13], exec
	s_and_b64 s[4:5], s[4:5], exec
	s_or_b64 s[12:13], s[12:13], s[4:5]
.LBB128_117:
	v_cndmask_b32_e64 v12, 0, 1, s[12:13]
.LBB128_118:
	s_or_b64 exec, exec, s[10:11]
	v_or_b32_e32 v13, 0x700, v0
	v_cmp_gt_i32_e32 vcc, s33, v13
                                        ; implicit-def: $vgpr13
	s_and_saveexec_b64 s[10:11], vcc
	s_cbranch_execz .LBB128_123
; %bb.119:
	s_and_b64 vcc, exec, s[2:3]
	s_cbranch_vccnz .LBB128_219
; %bb.120:
	s_waitcnt vmcnt(0)
	v_cmp_neq_f32_e32 vcc, v10, v48
	v_cmp_neq_f32_e64 s[4:5], v11, v49
	s_or_b64 s[12:13], vcc, s[4:5]
	s_cbranch_execnz .LBB128_122
.LBB128_121:
	s_waitcnt vmcnt(0)
	v_cmp_eq_f32_e32 vcc, v10, v48
	v_cmp_eq_f32_e64 s[4:5], v11, v49
	s_and_b64 s[4:5], vcc, s[4:5]
	s_andn2_b64 s[12:13], s[12:13], exec
	s_and_b64 s[4:5], s[4:5], exec
	s_or_b64 s[12:13], s[12:13], s[4:5]
.LBB128_122:
	v_cndmask_b32_e64 v13, 0, 1, s[12:13]
.LBB128_123:
	s_or_b64 exec, exec, s[10:11]
	v_or_b32_e32 v10, 0x800, v0
	v_cmp_gt_i32_e32 vcc, s33, v10
                                        ; implicit-def: $vgpr10
	s_and_saveexec_b64 s[10:11], vcc
	s_cbranch_execz .LBB128_128
; %bb.124:
	s_and_b64 vcc, exec, s[2:3]
	s_cbranch_vccnz .LBB128_220
; %bb.125:
	s_waitcnt vmcnt(0)
	v_cmp_neq_f32_e32 vcc, v24, v50
	v_cmp_neq_f32_e64 s[4:5], v25, v51
	s_or_b64 s[12:13], vcc, s[4:5]
	s_cbranch_execnz .LBB128_127
.LBB128_126:
	s_waitcnt vmcnt(0)
	v_cmp_eq_f32_e32 vcc, v24, v50
	v_cmp_eq_f32_e64 s[4:5], v25, v51
	s_and_b64 s[4:5], vcc, s[4:5]
	s_andn2_b64 s[12:13], s[12:13], exec
	s_and_b64 s[4:5], s[4:5], exec
	s_or_b64 s[12:13], s[12:13], s[4:5]
.LBB128_127:
	v_cndmask_b32_e64 v10, 0, 1, s[12:13]
.LBB128_128:
	s_or_b64 exec, exec, s[10:11]
	v_or_b32_e32 v11, 0x900, v0
	v_cmp_gt_i32_e32 vcc, s33, v11
                                        ; implicit-def: $vgpr11
	s_and_saveexec_b64 s[10:11], vcc
	s_cbranch_execz .LBB128_133
; %bb.129:
	s_and_b64 vcc, exec, s[2:3]
	s_cbranch_vccnz .LBB128_221
; %bb.130:
	s_waitcnt vmcnt(0)
	v_cmp_neq_f32_e32 vcc, v8, v42
	v_cmp_neq_f32_e64 s[4:5], v9, v43
	s_or_b64 s[12:13], vcc, s[4:5]
	s_cbranch_execnz .LBB128_132
.LBB128_131:
	s_waitcnt vmcnt(0)
	v_cmp_eq_f32_e32 vcc, v8, v42
	v_cmp_eq_f32_e64 s[4:5], v9, v43
	s_and_b64 s[4:5], vcc, s[4:5]
	s_andn2_b64 s[12:13], s[12:13], exec
	s_and_b64 s[4:5], s[4:5], exec
	s_or_b64 s[12:13], s[12:13], s[4:5]
.LBB128_132:
	v_cndmask_b32_e64 v11, 0, 1, s[12:13]
.LBB128_133:
	s_or_b64 exec, exec, s[10:11]
	v_or_b32_e32 v8, 0xa00, v0
	v_cmp_gt_i32_e32 vcc, s33, v8
                                        ; implicit-def: $vgpr8
	s_and_saveexec_b64 s[10:11], vcc
	s_cbranch_execz .LBB128_138
; %bb.134:
	s_and_b64 vcc, exec, s[2:3]
	s_cbranch_vccnz .LBB128_222
; %bb.135:
	s_waitcnt vmcnt(0)
	v_cmp_neq_f32_e32 vcc, v22, v44
	v_cmp_neq_f32_e64 s[4:5], v23, v45
	s_or_b64 s[12:13], vcc, s[4:5]
	s_cbranch_execnz .LBB128_137
.LBB128_136:
	s_waitcnt vmcnt(0)
	v_cmp_eq_f32_e32 vcc, v22, v44
	v_cmp_eq_f32_e64 s[4:5], v23, v45
	s_and_b64 s[4:5], vcc, s[4:5]
	s_andn2_b64 s[12:13], s[12:13], exec
	s_and_b64 s[4:5], s[4:5], exec
	s_or_b64 s[12:13], s[12:13], s[4:5]
.LBB128_137:
	v_cndmask_b32_e64 v8, 0, 1, s[12:13]
.LBB128_138:
	s_or_b64 exec, exec, s[10:11]
	v_or_b32_e32 v9, 0xb00, v0
	v_cmp_gt_i32_e32 vcc, s33, v9
                                        ; implicit-def: $vgpr9
	s_and_saveexec_b64 s[10:11], vcc
	s_cbranch_execz .LBB128_143
; %bb.139:
	s_and_b64 vcc, exec, s[2:3]
	s_cbranch_vccnz .LBB128_223
; %bb.140:
	s_waitcnt vmcnt(0)
	v_cmp_neq_f32_e32 vcc, v6, v38
	v_cmp_neq_f32_e64 s[4:5], v7, v39
	s_or_b64 s[12:13], vcc, s[4:5]
	s_cbranch_execnz .LBB128_142
.LBB128_141:
	s_waitcnt vmcnt(0)
	v_cmp_eq_f32_e32 vcc, v6, v38
	v_cmp_eq_f32_e64 s[4:5], v7, v39
	s_and_b64 s[4:5], vcc, s[4:5]
	s_andn2_b64 s[12:13], s[12:13], exec
	s_and_b64 s[4:5], s[4:5], exec
	s_or_b64 s[12:13], s[12:13], s[4:5]
.LBB128_142:
	v_cndmask_b32_e64 v9, 0, 1, s[12:13]
.LBB128_143:
	s_or_b64 exec, exec, s[10:11]
	v_or_b32_e32 v6, 0xc00, v0
	v_cmp_gt_i32_e32 vcc, s33, v6
                                        ; implicit-def: $vgpr6
	s_and_saveexec_b64 s[10:11], vcc
	s_cbranch_execz .LBB128_148
; %bb.144:
	s_and_b64 vcc, exec, s[2:3]
	s_cbranch_vccnz .LBB128_224
; %bb.145:
	s_waitcnt vmcnt(0)
	v_cmp_neq_f32_e32 vcc, v20, v40
	v_cmp_neq_f32_e64 s[4:5], v21, v41
	s_or_b64 s[12:13], vcc, s[4:5]
	s_cbranch_execnz .LBB128_147
.LBB128_146:
	s_waitcnt vmcnt(0)
	v_cmp_eq_f32_e32 vcc, v20, v40
	v_cmp_eq_f32_e64 s[4:5], v21, v41
	s_and_b64 s[4:5], vcc, s[4:5]
	s_andn2_b64 s[12:13], s[12:13], exec
	s_and_b64 s[4:5], s[4:5], exec
	s_or_b64 s[12:13], s[12:13], s[4:5]
.LBB128_147:
	v_cndmask_b32_e64 v6, 0, 1, s[12:13]
.LBB128_148:
	s_or_b64 exec, exec, s[10:11]
	v_or_b32_e32 v7, 0xd00, v0
	v_cmp_gt_i32_e32 vcc, s33, v7
                                        ; implicit-def: $vgpr7
	s_and_saveexec_b64 s[10:11], vcc
	s_cbranch_execz .LBB128_153
; %bb.149:
	s_and_b64 vcc, exec, s[2:3]
	s_cbranch_vccnz .LBB128_225
; %bb.150:
	s_waitcnt vmcnt(0)
	v_cmp_neq_f32_e32 vcc, v4, v32
	v_cmp_neq_f32_e64 s[4:5], v5, v33
	s_or_b64 s[12:13], vcc, s[4:5]
	s_cbranch_execnz .LBB128_152
.LBB128_151:
	s_waitcnt vmcnt(0)
	v_cmp_eq_f32_e32 vcc, v4, v32
	v_cmp_eq_f32_e64 s[4:5], v5, v33
	s_and_b64 s[4:5], vcc, s[4:5]
	s_andn2_b64 s[12:13], s[12:13], exec
	s_and_b64 s[4:5], s[4:5], exec
	s_or_b64 s[12:13], s[12:13], s[4:5]
.LBB128_152:
	v_cndmask_b32_e64 v7, 0, 1, s[12:13]
.LBB128_153:
	s_or_b64 exec, exec, s[10:11]
	v_or_b32_e32 v4, 0xe00, v0
	v_cmp_gt_i32_e32 vcc, s33, v4
                                        ; implicit-def: $vgpr4
	s_and_saveexec_b64 s[10:11], vcc
	s_cbranch_execz .LBB128_158
; %bb.154:
	s_and_b64 vcc, exec, s[2:3]
	s_cbranch_vccnz .LBB128_226
; %bb.155:
	s_waitcnt vmcnt(0)
	v_cmp_neq_f32_e32 vcc, v18, v34
	v_cmp_neq_f32_e64 s[4:5], v19, v35
	s_or_b64 s[12:13], vcc, s[4:5]
	s_cbranch_execnz .LBB128_157
.LBB128_156:
	s_waitcnt vmcnt(0)
	v_cmp_eq_f32_e32 vcc, v18, v34
	v_cmp_eq_f32_e64 s[4:5], v19, v35
	s_and_b64 s[4:5], vcc, s[4:5]
	s_andn2_b64 s[12:13], s[12:13], exec
	s_and_b64 s[4:5], s[4:5], exec
	s_or_b64 s[12:13], s[12:13], s[4:5]
.LBB128_157:
	v_cndmask_b32_e64 v4, 0, 1, s[12:13]
.LBB128_158:
	s_or_b64 exec, exec, s[10:11]
	v_or_b32_e32 v5, 0xf00, v0
	v_cmp_gt_i32_e32 vcc, s33, v5
                                        ; implicit-def: $vgpr5
	s_and_saveexec_b64 s[4:5], vcc
	s_cbranch_execz .LBB128_163
; %bb.159:
	s_and_b64 vcc, exec, s[2:3]
	s_cbranch_vccnz .LBB128_227
; %bb.160:
	s_waitcnt vmcnt(0)
	v_cmp_neq_f32_e32 vcc, v2, v26
	v_cmp_neq_f32_e64 s[2:3], v3, v27
	s_or_b64 s[10:11], vcc, s[2:3]
	s_cbranch_execnz .LBB128_162
.LBB128_161:
	s_waitcnt vmcnt(0)
	v_cmp_eq_f32_e32 vcc, v2, v26
	v_cmp_eq_f32_e64 s[2:3], v3, v27
	s_and_b64 s[2:3], vcc, s[2:3]
	s_andn2_b64 s[10:11], s[10:11], exec
	s_and_b64 s[2:3], s[2:3], exec
	s_or_b64 s[10:11], s[10:11], s[2:3]
.LBB128_162:
	v_cndmask_b32_e64 v5, 0, 1, s[10:11]
.LBB128_163:
	s_or_b64 exec, exec, s[4:5]
	s_and_saveexec_b64 s[2:3], s[0:1]
	s_xor_b64 s[0:1], exec, s[2:3]
	s_cbranch_execz .LBB128_165
; %bb.164:
	v_mov_b32_e32 v0, v46
	global_store_byte v1, v66, s[8:9]
.LBB128_165:
	s_or_b64 exec, exec, s[0:1]
	v_cmp_gt_i32_e32 vcc, s33, v0
	s_and_saveexec_b64 s[0:1], vcc
	s_cbranch_execnz .LBB128_181
; %bb.166:
	s_or_b64 exec, exec, s[0:1]
	v_cmp_gt_i32_e32 vcc, s33, v0
	s_and_saveexec_b64 s[0:1], vcc
	s_cbranch_execnz .LBB128_182
.LBB128_167:
	s_or_b64 exec, exec, s[0:1]
	v_cmp_gt_i32_e32 vcc, s33, v0
	s_and_saveexec_b64 s[0:1], vcc
	s_cbranch_execnz .LBB128_183
.LBB128_168:
	s_or_b64 exec, exec, s[0:1]
	v_cmp_gt_i32_e32 vcc, s33, v0
	s_and_saveexec_b64 s[0:1], vcc
	s_cbranch_execnz .LBB128_184
.LBB128_169:
	s_or_b64 exec, exec, s[0:1]
	v_cmp_gt_i32_e32 vcc, s33, v0
	s_and_saveexec_b64 s[0:1], vcc
	s_cbranch_execnz .LBB128_185
.LBB128_170:
	s_or_b64 exec, exec, s[0:1]
	v_cmp_gt_i32_e32 vcc, s33, v0
	s_and_saveexec_b64 s[0:1], vcc
	s_cbranch_execnz .LBB128_186
.LBB128_171:
	s_or_b64 exec, exec, s[0:1]
	v_cmp_gt_i32_e32 vcc, s33, v0
	s_and_saveexec_b64 s[0:1], vcc
	s_cbranch_execnz .LBB128_187
.LBB128_172:
	s_or_b64 exec, exec, s[0:1]
	v_cmp_gt_i32_e32 vcc, s33, v0
	s_and_saveexec_b64 s[0:1], vcc
	s_cbranch_execnz .LBB128_188
.LBB128_173:
	s_or_b64 exec, exec, s[0:1]
	v_cmp_gt_i32_e32 vcc, s33, v0
	s_and_saveexec_b64 s[0:1], vcc
	s_cbranch_execnz .LBB128_189
.LBB128_174:
	s_or_b64 exec, exec, s[0:1]
	v_cmp_gt_i32_e32 vcc, s33, v0
	s_and_saveexec_b64 s[0:1], vcc
	s_cbranch_execnz .LBB128_190
.LBB128_175:
	s_or_b64 exec, exec, s[0:1]
	v_cmp_gt_i32_e32 vcc, s33, v0
	s_and_saveexec_b64 s[0:1], vcc
	s_cbranch_execnz .LBB128_191
.LBB128_176:
	s_or_b64 exec, exec, s[0:1]
	v_cmp_gt_i32_e32 vcc, s33, v0
	s_and_saveexec_b64 s[0:1], vcc
	s_cbranch_execnz .LBB128_192
.LBB128_177:
	s_or_b64 exec, exec, s[0:1]
	v_cmp_gt_i32_e32 vcc, s33, v0
	s_and_saveexec_b64 s[0:1], vcc
	s_cbranch_execnz .LBB128_193
.LBB128_178:
	s_or_b64 exec, exec, s[0:1]
	v_cmp_gt_i32_e32 vcc, s33, v0
	s_and_saveexec_b64 s[0:1], vcc
	s_cbranch_execnz .LBB128_194
.LBB128_179:
	s_or_b64 exec, exec, s[0:1]
	v_cmp_gt_i32_e32 vcc, s33, v0
	s_and_saveexec_b64 s[0:1], vcc
	s_cbranch_execz .LBB128_195
.LBB128_180:
	v_add_u32_e32 v0, s6, v0
	global_store_byte v0, v5, s[8:9]
	s_endpgm
.LBB128_181:
	v_add_u32_e32 v1, s6, v0
	v_add_u32_e32 v0, 0x100, v0
	global_store_byte v1, v47, s[8:9]
	s_or_b64 exec, exec, s[0:1]
	v_cmp_gt_i32_e32 vcc, s33, v0
	s_and_saveexec_b64 s[0:1], vcc
	s_cbranch_execz .LBB128_167
.LBB128_182:
	v_add_u32_e32 v1, s6, v0
	v_add_u32_e32 v0, 0x100, v0
	global_store_byte v1, v14, s[8:9]
	s_or_b64 exec, exec, s[0:1]
	v_cmp_gt_i32_e32 vcc, s33, v0
	s_and_saveexec_b64 s[0:1], vcc
	s_cbranch_execz .LBB128_168
.LBB128_183:
	v_add_u32_e32 v1, s6, v0
	v_add_u32_e32 v0, 0x100, v0
	global_store_byte v1, v15, s[8:9]
	s_or_b64 exec, exec, s[0:1]
	v_cmp_gt_i32_e32 vcc, s33, v0
	s_and_saveexec_b64 s[0:1], vcc
	s_cbranch_execz .LBB128_169
.LBB128_184:
	v_add_u32_e32 v1, s6, v0
	v_add_u32_e32 v0, 0x100, v0
	global_store_byte v1, v16, s[8:9]
	s_or_b64 exec, exec, s[0:1]
	v_cmp_gt_i32_e32 vcc, s33, v0
	s_and_saveexec_b64 s[0:1], vcc
	s_cbranch_execz .LBB128_170
.LBB128_185:
	v_add_u32_e32 v1, s6, v0
	v_add_u32_e32 v0, 0x100, v0
	global_store_byte v1, v17, s[8:9]
	s_or_b64 exec, exec, s[0:1]
	v_cmp_gt_i32_e32 vcc, s33, v0
	s_and_saveexec_b64 s[0:1], vcc
	s_cbranch_execz .LBB128_171
.LBB128_186:
	v_add_u32_e32 v1, s6, v0
	v_add_u32_e32 v0, 0x100, v0
	global_store_byte v1, v12, s[8:9]
	s_or_b64 exec, exec, s[0:1]
	v_cmp_gt_i32_e32 vcc, s33, v0
	s_and_saveexec_b64 s[0:1], vcc
	s_cbranch_execz .LBB128_172
.LBB128_187:
	v_add_u32_e32 v1, s6, v0
	v_add_u32_e32 v0, 0x100, v0
	global_store_byte v1, v13, s[8:9]
	s_or_b64 exec, exec, s[0:1]
	v_cmp_gt_i32_e32 vcc, s33, v0
	s_and_saveexec_b64 s[0:1], vcc
	s_cbranch_execz .LBB128_173
.LBB128_188:
	v_add_u32_e32 v1, s6, v0
	v_add_u32_e32 v0, 0x100, v0
	global_store_byte v1, v10, s[8:9]
	s_or_b64 exec, exec, s[0:1]
	v_cmp_gt_i32_e32 vcc, s33, v0
	s_and_saveexec_b64 s[0:1], vcc
	s_cbranch_execz .LBB128_174
.LBB128_189:
	v_add_u32_e32 v1, s6, v0
	v_add_u32_e32 v0, 0x100, v0
	global_store_byte v1, v11, s[8:9]
	s_or_b64 exec, exec, s[0:1]
	v_cmp_gt_i32_e32 vcc, s33, v0
	s_and_saveexec_b64 s[0:1], vcc
	s_cbranch_execz .LBB128_175
.LBB128_190:
	v_add_u32_e32 v1, s6, v0
	v_add_u32_e32 v0, 0x100, v0
	global_store_byte v1, v8, s[8:9]
	s_or_b64 exec, exec, s[0:1]
	v_cmp_gt_i32_e32 vcc, s33, v0
	s_and_saveexec_b64 s[0:1], vcc
	s_cbranch_execz .LBB128_176
.LBB128_191:
	v_add_u32_e32 v1, s6, v0
	v_add_u32_e32 v0, 0x100, v0
	global_store_byte v1, v9, s[8:9]
	s_or_b64 exec, exec, s[0:1]
	v_cmp_gt_i32_e32 vcc, s33, v0
	s_and_saveexec_b64 s[0:1], vcc
	s_cbranch_execz .LBB128_177
.LBB128_192:
	v_add_u32_e32 v1, s6, v0
	v_add_u32_e32 v0, 0x100, v0
	global_store_byte v1, v6, s[8:9]
	s_or_b64 exec, exec, s[0:1]
	v_cmp_gt_i32_e32 vcc, s33, v0
	s_and_saveexec_b64 s[0:1], vcc
	s_cbranch_execz .LBB128_178
.LBB128_193:
	v_add_u32_e32 v1, s6, v0
	v_add_u32_e32 v0, 0x100, v0
	global_store_byte v1, v7, s[8:9]
	s_or_b64 exec, exec, s[0:1]
	v_cmp_gt_i32_e32 vcc, s33, v0
	s_and_saveexec_b64 s[0:1], vcc
	s_cbranch_execz .LBB128_179
.LBB128_194:
	v_add_u32_e32 v1, s6, v0
	v_add_u32_e32 v0, 0x100, v0
	global_store_byte v1, v4, s[8:9]
	s_or_b64 exec, exec, s[0:1]
	v_cmp_gt_i32_e32 vcc, s33, v0
	s_and_saveexec_b64 s[0:1], vcc
	s_cbranch_execnz .LBB128_180
.LBB128_195:
	s_endpgm
.LBB128_196:
                                        ; implicit-def: $sgpr4_sgpr5
	s_branch .LBB128_3
.LBB128_197:
                                        ; implicit-def: $sgpr16_sgpr17
	s_branch .LBB128_6
.LBB128_198:
                                        ; implicit-def: $sgpr18_sgpr19
	s_branch .LBB128_9
.LBB128_199:
                                        ; implicit-def: $sgpr20_sgpr21
	s_branch .LBB128_12
.LBB128_200:
                                        ; implicit-def: $sgpr22_sgpr23
	s_branch .LBB128_15
.LBB128_201:
                                        ; implicit-def: $sgpr24_sgpr25
	s_branch .LBB128_18
.LBB128_202:
                                        ; implicit-def: $sgpr26_sgpr27
	s_branch .LBB128_21
.LBB128_203:
                                        ; implicit-def: $sgpr28_sgpr29
	s_branch .LBB128_24
.LBB128_204:
                                        ; implicit-def: $sgpr30_sgpr31
	s_branch .LBB128_27
.LBB128_205:
                                        ; implicit-def: $sgpr34_sgpr35
	s_branch .LBB128_30
.LBB128_206:
                                        ; implicit-def: $sgpr36_sgpr37
	s_branch .LBB128_33
.LBB128_207:
                                        ; implicit-def: $sgpr38_sgpr39
	s_branch .LBB128_36
.LBB128_208:
                                        ; implicit-def: $sgpr40_sgpr41
	s_branch .LBB128_39
.LBB128_209:
                                        ; implicit-def: $sgpr42_sgpr43
	s_branch .LBB128_42
.LBB128_210:
                                        ; implicit-def: $sgpr44_sgpr45
	s_branch .LBB128_45
.LBB128_211:
                                        ; implicit-def: $sgpr2_sgpr3
	s_branch .LBB128_48
.LBB128_212:
                                        ; implicit-def: $sgpr12_sgpr13
	s_branch .LBB128_86
.LBB128_213:
                                        ; implicit-def: $sgpr12_sgpr13
	s_branch .LBB128_91
.LBB128_214:
                                        ; implicit-def: $sgpr12_sgpr13
	s_branch .LBB128_96
.LBB128_215:
                                        ; implicit-def: $sgpr12_sgpr13
	s_branch .LBB128_101
.LBB128_216:
                                        ; implicit-def: $sgpr12_sgpr13
	s_branch .LBB128_106
.LBB128_217:
                                        ; implicit-def: $sgpr12_sgpr13
	s_branch .LBB128_111
.LBB128_218:
                                        ; implicit-def: $sgpr12_sgpr13
	s_branch .LBB128_116
.LBB128_219:
                                        ; implicit-def: $sgpr12_sgpr13
	s_branch .LBB128_121
.LBB128_220:
                                        ; implicit-def: $sgpr12_sgpr13
	s_branch .LBB128_126
.LBB128_221:
                                        ; implicit-def: $sgpr12_sgpr13
	s_branch .LBB128_131
.LBB128_222:
                                        ; implicit-def: $sgpr12_sgpr13
	s_branch .LBB128_136
.LBB128_223:
                                        ; implicit-def: $sgpr12_sgpr13
	s_branch .LBB128_141
.LBB128_224:
                                        ; implicit-def: $sgpr12_sgpr13
	s_branch .LBB128_146
.LBB128_225:
                                        ; implicit-def: $sgpr12_sgpr13
	s_branch .LBB128_151
.LBB128_226:
                                        ; implicit-def: $sgpr12_sgpr13
	s_branch .LBB128_156
.LBB128_227:
                                        ; implicit-def: $sgpr10_sgpr11
	s_branch .LBB128_161
	.section	.rodata,"a",@progbits
	.p2align	6, 0x0
	.amdhsa_kernel _ZN2at6native29vectorized_elementwise_kernelILi16ENS0_13BinaryFunctorIN3c107complexIfEES5_bNS0_12_GLOBAL__N_116CompareEqFunctorIS5_EEEESt5arrayIPcLm3EEEEviT0_T1_
		.amdhsa_group_segment_fixed_size 0
		.amdhsa_private_segment_fixed_size 0
		.amdhsa_kernarg_size 32
		.amdhsa_user_sgpr_count 6
		.amdhsa_user_sgpr_private_segment_buffer 1
		.amdhsa_user_sgpr_dispatch_ptr 0
		.amdhsa_user_sgpr_queue_ptr 0
		.amdhsa_user_sgpr_kernarg_segment_ptr 1
		.amdhsa_user_sgpr_dispatch_id 0
		.amdhsa_user_sgpr_flat_scratch_init 0
		.amdhsa_user_sgpr_private_segment_size 0
		.amdhsa_uses_dynamic_stack 0
		.amdhsa_system_sgpr_private_segment_wavefront_offset 0
		.amdhsa_system_sgpr_workgroup_id_x 1
		.amdhsa_system_sgpr_workgroup_id_y 0
		.amdhsa_system_sgpr_workgroup_id_z 0
		.amdhsa_system_sgpr_workgroup_info 0
		.amdhsa_system_vgpr_workitem_id 0
		.amdhsa_next_free_vgpr 70
		.amdhsa_next_free_sgpr 46
		.amdhsa_reserve_vcc 1
		.amdhsa_reserve_flat_scratch 0
		.amdhsa_float_round_mode_32 0
		.amdhsa_float_round_mode_16_64 0
		.amdhsa_float_denorm_mode_32 3
		.amdhsa_float_denorm_mode_16_64 3
		.amdhsa_dx10_clamp 1
		.amdhsa_ieee_mode 1
		.amdhsa_fp16_overflow 0
		.amdhsa_exception_fp_ieee_invalid_op 0
		.amdhsa_exception_fp_denorm_src 0
		.amdhsa_exception_fp_ieee_div_zero 0
		.amdhsa_exception_fp_ieee_overflow 0
		.amdhsa_exception_fp_ieee_underflow 0
		.amdhsa_exception_fp_ieee_inexact 0
		.amdhsa_exception_int_div_zero 0
	.end_amdhsa_kernel
	.section	.text._ZN2at6native29vectorized_elementwise_kernelILi16ENS0_13BinaryFunctorIN3c107complexIfEES5_bNS0_12_GLOBAL__N_116CompareEqFunctorIS5_EEEESt5arrayIPcLm3EEEEviT0_T1_,"axG",@progbits,_ZN2at6native29vectorized_elementwise_kernelILi16ENS0_13BinaryFunctorIN3c107complexIfEES5_bNS0_12_GLOBAL__N_116CompareEqFunctorIS5_EEEESt5arrayIPcLm3EEEEviT0_T1_,comdat
.Lfunc_end128:
	.size	_ZN2at6native29vectorized_elementwise_kernelILi16ENS0_13BinaryFunctorIN3c107complexIfEES5_bNS0_12_GLOBAL__N_116CompareEqFunctorIS5_EEEESt5arrayIPcLm3EEEEviT0_T1_, .Lfunc_end128-_ZN2at6native29vectorized_elementwise_kernelILi16ENS0_13BinaryFunctorIN3c107complexIfEES5_bNS0_12_GLOBAL__N_116CompareEqFunctorIS5_EEEESt5arrayIPcLm3EEEEviT0_T1_
                                        ; -- End function
	.set _ZN2at6native29vectorized_elementwise_kernelILi16ENS0_13BinaryFunctorIN3c107complexIfEES5_bNS0_12_GLOBAL__N_116CompareEqFunctorIS5_EEEESt5arrayIPcLm3EEEEviT0_T1_.num_vgpr, 70
	.set _ZN2at6native29vectorized_elementwise_kernelILi16ENS0_13BinaryFunctorIN3c107complexIfEES5_bNS0_12_GLOBAL__N_116CompareEqFunctorIS5_EEEESt5arrayIPcLm3EEEEviT0_T1_.num_agpr, 0
	.set _ZN2at6native29vectorized_elementwise_kernelILi16ENS0_13BinaryFunctorIN3c107complexIfEES5_bNS0_12_GLOBAL__N_116CompareEqFunctorIS5_EEEESt5arrayIPcLm3EEEEviT0_T1_.numbered_sgpr, 46
	.set _ZN2at6native29vectorized_elementwise_kernelILi16ENS0_13BinaryFunctorIN3c107complexIfEES5_bNS0_12_GLOBAL__N_116CompareEqFunctorIS5_EEEESt5arrayIPcLm3EEEEviT0_T1_.num_named_barrier, 0
	.set _ZN2at6native29vectorized_elementwise_kernelILi16ENS0_13BinaryFunctorIN3c107complexIfEES5_bNS0_12_GLOBAL__N_116CompareEqFunctorIS5_EEEESt5arrayIPcLm3EEEEviT0_T1_.private_seg_size, 0
	.set _ZN2at6native29vectorized_elementwise_kernelILi16ENS0_13BinaryFunctorIN3c107complexIfEES5_bNS0_12_GLOBAL__N_116CompareEqFunctorIS5_EEEESt5arrayIPcLm3EEEEviT0_T1_.uses_vcc, 1
	.set _ZN2at6native29vectorized_elementwise_kernelILi16ENS0_13BinaryFunctorIN3c107complexIfEES5_bNS0_12_GLOBAL__N_116CompareEqFunctorIS5_EEEESt5arrayIPcLm3EEEEviT0_T1_.uses_flat_scratch, 0
	.set _ZN2at6native29vectorized_elementwise_kernelILi16ENS0_13BinaryFunctorIN3c107complexIfEES5_bNS0_12_GLOBAL__N_116CompareEqFunctorIS5_EEEESt5arrayIPcLm3EEEEviT0_T1_.has_dyn_sized_stack, 0
	.set _ZN2at6native29vectorized_elementwise_kernelILi16ENS0_13BinaryFunctorIN3c107complexIfEES5_bNS0_12_GLOBAL__N_116CompareEqFunctorIS5_EEEESt5arrayIPcLm3EEEEviT0_T1_.has_recursion, 0
	.set _ZN2at6native29vectorized_elementwise_kernelILi16ENS0_13BinaryFunctorIN3c107complexIfEES5_bNS0_12_GLOBAL__N_116CompareEqFunctorIS5_EEEESt5arrayIPcLm3EEEEviT0_T1_.has_indirect_call, 0
	.section	.AMDGPU.csdata,"",@progbits
; Kernel info:
; codeLenInByte = 5548
; TotalNumSgprs: 50
; NumVgprs: 70
; ScratchSize: 0
; MemoryBound: 1
; FloatMode: 240
; IeeeMode: 1
; LDSByteSize: 0 bytes/workgroup (compile time only)
; SGPRBlocks: 6
; VGPRBlocks: 17
; NumSGPRsForWavesPerEU: 50
; NumVGPRsForWavesPerEU: 70
; Occupancy: 3
; WaveLimiterHint : 0
; COMPUTE_PGM_RSRC2:SCRATCH_EN: 0
; COMPUTE_PGM_RSRC2:USER_SGPR: 6
; COMPUTE_PGM_RSRC2:TRAP_HANDLER: 0
; COMPUTE_PGM_RSRC2:TGID_X_EN: 1
; COMPUTE_PGM_RSRC2:TGID_Y_EN: 0
; COMPUTE_PGM_RSRC2:TGID_Z_EN: 0
; COMPUTE_PGM_RSRC2:TIDIG_COMP_CNT: 0
	.section	.text._ZN2at6native29vectorized_elementwise_kernelILi8ENS0_13BinaryFunctorIN3c107complexIfEES5_bNS0_12_GLOBAL__N_116CompareEqFunctorIS5_EEEESt5arrayIPcLm3EEEEviT0_T1_,"axG",@progbits,_ZN2at6native29vectorized_elementwise_kernelILi8ENS0_13BinaryFunctorIN3c107complexIfEES5_bNS0_12_GLOBAL__N_116CompareEqFunctorIS5_EEEESt5arrayIPcLm3EEEEviT0_T1_,comdat
	.globl	_ZN2at6native29vectorized_elementwise_kernelILi8ENS0_13BinaryFunctorIN3c107complexIfEES5_bNS0_12_GLOBAL__N_116CompareEqFunctorIS5_EEEESt5arrayIPcLm3EEEEviT0_T1_ ; -- Begin function _ZN2at6native29vectorized_elementwise_kernelILi8ENS0_13BinaryFunctorIN3c107complexIfEES5_bNS0_12_GLOBAL__N_116CompareEqFunctorIS5_EEEESt5arrayIPcLm3EEEEviT0_T1_
	.p2align	8
	.type	_ZN2at6native29vectorized_elementwise_kernelILi8ENS0_13BinaryFunctorIN3c107complexIfEES5_bNS0_12_GLOBAL__N_116CompareEqFunctorIS5_EEEESt5arrayIPcLm3EEEEviT0_T1_,@function
_ZN2at6native29vectorized_elementwise_kernelILi8ENS0_13BinaryFunctorIN3c107complexIfEES5_bNS0_12_GLOBAL__N_116CompareEqFunctorIS5_EEEESt5arrayIPcLm3EEEEviT0_T1_: ; @_ZN2at6native29vectorized_elementwise_kernelILi8ENS0_13BinaryFunctorIN3c107complexIfEES5_bNS0_12_GLOBAL__N_116CompareEqFunctorIS5_EEEESt5arrayIPcLm3EEEEviT0_T1_
; %bb.0:
	s_load_dwordx2 s[12:13], s[4:5], 0x0
	s_load_dwordx4 s[8:11], s[4:5], 0x8
	s_load_dwordx2 s[14:15], s[4:5], 0x18
	s_lshl_b32 s6, s6, 12
	s_mov_b64 s[0:1], -1
	s_waitcnt lgkmcnt(0)
	s_sub_i32 s33, s12, s6
	s_cmpk_gt_i32 s33, 0xfff
	s_cbranch_scc0 .LBB129_50
; %bb.1:
	s_ashr_i32 s7, s6, 31
	s_lshl_b64 s[0:1], s[6:7], 3
	s_add_u32 s2, s10, s0
	s_addc_u32 s3, s11, s1
	v_lshlrev_b32_e32 v7, 6, v0
	v_mov_b32_e32 v1, s3
	v_add_co_u32_e32 v2, vcc, s2, v7
	v_addc_co_u32_e32 v1, vcc, 0, v1, vcc
	global_load_dwordx4 v[33:36], v7, s[2:3] offset:48
	global_load_dwordx4 v[41:44], v7, s[2:3] offset:32
	;; [unrolled: 1-line block ×3, first 2 shown]
	global_load_dwordx4 v[57:60], v7, s[2:3]
	s_movk_i32 s2, 0x4000
	v_add_co_u32_e32 v5, vcc, s2, v2
	s_add_u32 s0, s14, s0
	v_addc_co_u32_e32 v6, vcc, 0, v1, vcc
	s_addc_u32 s1, s15, s1
	global_load_dwordx4 v[1:4], v[5:6], off offset:48
	global_load_dwordx4 v[9:12], v[5:6], off offset:32
	global_load_dwordx4 v[25:28], v[5:6], off
	global_load_dwordx4 v[17:20], v[5:6], off offset:16
	v_mov_b32_e32 v5, s1
	v_add_co_u32_e32 v6, vcc, s0, v7
	v_addc_co_u32_e32 v5, vcc, 0, v5, vcc
	v_add_co_u32_e32 v65, vcc, s2, v6
	v_addc_co_u32_e32 v66, vcc, 0, v5, vcc
	;; [unrolled: 2-line block ×3, first 2 shown]
	global_load_dwordx4 v[37:40], v7, s[0:1] offset:48
	global_load_dwordx4 v[45:48], v7, s[0:1] offset:32
	;; [unrolled: 1-line block ×3, first 2 shown]
	global_load_dwordx4 v[61:64], v7, s[0:1]
	global_load_dwordx4 v[29:32], v[67:68], off
	s_nop 0
	global_load_dwordx4 v[5:8], v[65:66], off offset:48
	global_load_dwordx4 v[13:16], v[65:66], off offset:32
	;; [unrolled: 1-line block ×3, first 2 shown]
	s_cmp_lg_u32 s13, 0
	s_cselect_b64 s[2:3], -1, 0
	s_and_b64 vcc, exec, s[2:3]
	s_cbranch_vccz .LBB129_196
; %bb.2:
	s_waitcnt vmcnt(4)
	v_cmp_neq_f32_e32 vcc, v57, v61
	v_cmp_neq_f32_e64 s[0:1], v58, v62
	s_or_b64 s[4:5], vcc, s[0:1]
	s_cbranch_execnz .LBB129_4
.LBB129_3:
	s_waitcnt vmcnt(4)
	v_cmp_eq_f32_e32 vcc, v57, v61
	v_cmp_eq_f32_e64 s[0:1], v58, v62
	s_and_b64 s[0:1], vcc, s[0:1]
	s_andn2_b64 s[4:5], s[4:5], exec
	s_and_b64 s[0:1], s[0:1], exec
	s_or_b64 s[4:5], s[4:5], s[0:1]
.LBB129_4:
	s_waitcnt vmcnt(12)
	v_cndmask_b32_e64 v57, 0, 1, s[2:3]
	v_cmp_ne_u32_e64 s[0:1], 1, v57
	s_andn2_b64 vcc, exec, s[2:3]
	s_cbranch_vccnz .LBB129_197
; %bb.5:
	s_waitcnt vmcnt(4)
	v_cmp_neq_f32_e32 vcc, v59, v63
	v_cmp_neq_f32_e64 s[2:3], v60, v64
	s_or_b64 s[16:17], vcc, s[2:3]
	s_cbranch_execnz .LBB129_7
.LBB129_6:
	s_waitcnt vmcnt(4)
	v_cmp_eq_f32_e32 vcc, v59, v63
	v_cmp_eq_f32_e64 s[2:3], v60, v64
	s_and_b64 s[2:3], vcc, s[2:3]
	s_andn2_b64 s[16:17], s[16:17], exec
	s_and_b64 s[2:3], s[2:3], exec
	s_or_b64 s[16:17], s[16:17], s[2:3]
.LBB129_7:
	s_and_b64 vcc, exec, s[0:1]
	s_cbranch_vccnz .LBB129_198
; %bb.8:
	s_waitcnt vmcnt(5)
	v_cmp_neq_f32_e32 vcc, v49, v53
	v_cmp_neq_f32_e64 s[2:3], v50, v54
	s_or_b64 s[18:19], vcc, s[2:3]
	s_cbranch_execnz .LBB129_10
.LBB129_9:
	s_waitcnt vmcnt(5)
	v_cmp_eq_f32_e32 vcc, v49, v53
	v_cmp_eq_f32_e64 s[2:3], v50, v54
	s_and_b64 s[2:3], vcc, s[2:3]
	s_andn2_b64 s[18:19], s[18:19], exec
	s_and_b64 s[2:3], s[2:3], exec
	s_or_b64 s[18:19], s[18:19], s[2:3]
.LBB129_10:
	s_and_b64 vcc, exec, s[0:1]
	s_cbranch_vccnz .LBB129_199
; %bb.11:
	s_waitcnt vmcnt(5)
	v_cmp_neq_f32_e32 vcc, v51, v55
	v_cmp_neq_f32_e64 s[2:3], v52, v56
	s_or_b64 s[20:21], vcc, s[2:3]
	s_cbranch_execnz .LBB129_13
.LBB129_12:
	s_waitcnt vmcnt(5)
	v_cmp_eq_f32_e32 vcc, v51, v55
	v_cmp_eq_f32_e64 s[2:3], v52, v56
	s_and_b64 s[2:3], vcc, s[2:3]
	s_andn2_b64 s[20:21], s[20:21], exec
	s_and_b64 s[2:3], s[2:3], exec
	s_or_b64 s[20:21], s[20:21], s[2:3]
.LBB129_13:
	s_and_b64 vcc, exec, s[0:1]
	s_cbranch_vccnz .LBB129_200
; %bb.14:
	s_waitcnt vmcnt(6)
	v_cmp_neq_f32_e32 vcc, v41, v45
	v_cmp_neq_f32_e64 s[2:3], v42, v46
	s_or_b64 s[22:23], vcc, s[2:3]
	s_cbranch_execnz .LBB129_16
.LBB129_15:
	s_waitcnt vmcnt(6)
	v_cmp_eq_f32_e32 vcc, v41, v45
	v_cmp_eq_f32_e64 s[2:3], v42, v46
	s_and_b64 s[2:3], vcc, s[2:3]
	s_andn2_b64 s[22:23], s[22:23], exec
	s_and_b64 s[2:3], s[2:3], exec
	s_or_b64 s[22:23], s[22:23], s[2:3]
.LBB129_16:
	s_and_b64 vcc, exec, s[0:1]
	s_cbranch_vccnz .LBB129_201
; %bb.17:
	s_waitcnt vmcnt(6)
	v_cmp_neq_f32_e32 vcc, v43, v47
	v_cmp_neq_f32_e64 s[2:3], v44, v48
	s_or_b64 s[24:25], vcc, s[2:3]
	s_cbranch_execnz .LBB129_19
.LBB129_18:
	s_waitcnt vmcnt(6)
	v_cmp_eq_f32_e32 vcc, v43, v47
	v_cmp_eq_f32_e64 s[2:3], v44, v48
	s_and_b64 s[2:3], vcc, s[2:3]
	s_andn2_b64 s[24:25], s[24:25], exec
	s_and_b64 s[2:3], s[2:3], exec
	s_or_b64 s[24:25], s[24:25], s[2:3]
.LBB129_19:
	s_and_b64 vcc, exec, s[0:1]
	s_cbranch_vccnz .LBB129_202
; %bb.20:
	s_waitcnt vmcnt(7)
	v_cmp_neq_f32_e32 vcc, v33, v37
	v_cmp_neq_f32_e64 s[2:3], v34, v38
	s_or_b64 s[26:27], vcc, s[2:3]
	s_cbranch_execnz .LBB129_22
.LBB129_21:
	s_waitcnt vmcnt(7)
	v_cmp_eq_f32_e32 vcc, v33, v37
	v_cmp_eq_f32_e64 s[2:3], v34, v38
	s_and_b64 s[2:3], vcc, s[2:3]
	s_andn2_b64 s[26:27], s[26:27], exec
	s_and_b64 s[2:3], s[2:3], exec
	s_or_b64 s[26:27], s[26:27], s[2:3]
.LBB129_22:
	s_and_b64 vcc, exec, s[0:1]
	s_cbranch_vccnz .LBB129_203
; %bb.23:
	s_waitcnt vmcnt(7)
	v_cmp_neq_f32_e32 vcc, v35, v39
	v_cmp_neq_f32_e64 s[2:3], v36, v40
	s_or_b64 s[28:29], vcc, s[2:3]
	s_cbranch_execnz .LBB129_25
.LBB129_24:
	s_waitcnt vmcnt(7)
	v_cmp_eq_f32_e32 vcc, v35, v39
	v_cmp_eq_f32_e64 s[2:3], v36, v40
	s_and_b64 s[2:3], vcc, s[2:3]
	s_andn2_b64 s[28:29], s[28:29], exec
	s_and_b64 s[2:3], s[2:3], exec
	s_or_b64 s[28:29], s[28:29], s[2:3]
.LBB129_25:
	s_and_b64 vcc, exec, s[0:1]
	s_cbranch_vccnz .LBB129_204
; %bb.26:
	s_waitcnt vmcnt(3)
	v_cmp_neq_f32_e32 vcc, v25, v29
	v_cmp_neq_f32_e64 s[2:3], v26, v30
	s_or_b64 s[30:31], vcc, s[2:3]
	s_cbranch_execnz .LBB129_28
.LBB129_27:
	s_waitcnt vmcnt(3)
	v_cmp_eq_f32_e32 vcc, v25, v29
	v_cmp_eq_f32_e64 s[2:3], v26, v30
	s_and_b64 s[2:3], vcc, s[2:3]
	s_andn2_b64 s[30:31], s[30:31], exec
	s_and_b64 s[2:3], s[2:3], exec
	s_or_b64 s[30:31], s[30:31], s[2:3]
.LBB129_28:
	s_and_b64 vcc, exec, s[0:1]
	s_cbranch_vccnz .LBB129_205
; %bb.29:
	s_waitcnt vmcnt(3)
	v_cmp_neq_f32_e32 vcc, v27, v31
	v_cmp_neq_f32_e64 s[2:3], v28, v32
	s_or_b64 s[34:35], vcc, s[2:3]
	s_cbranch_execnz .LBB129_31
.LBB129_30:
	s_waitcnt vmcnt(3)
	v_cmp_eq_f32_e32 vcc, v27, v31
	v_cmp_eq_f32_e64 s[2:3], v28, v32
	s_and_b64 s[2:3], vcc, s[2:3]
	s_andn2_b64 s[34:35], s[34:35], exec
	s_and_b64 s[2:3], s[2:3], exec
	s_or_b64 s[34:35], s[34:35], s[2:3]
.LBB129_31:
	s_and_b64 vcc, exec, s[0:1]
	s_cbranch_vccnz .LBB129_206
; %bb.32:
	s_waitcnt vmcnt(0)
	v_cmp_neq_f32_e32 vcc, v17, v21
	v_cmp_neq_f32_e64 s[2:3], v18, v22
	s_or_b64 s[36:37], vcc, s[2:3]
	s_cbranch_execnz .LBB129_34
.LBB129_33:
	s_waitcnt vmcnt(0)
	v_cmp_eq_f32_e32 vcc, v17, v21
	v_cmp_eq_f32_e64 s[2:3], v18, v22
	s_and_b64 s[2:3], vcc, s[2:3]
	s_andn2_b64 s[36:37], s[36:37], exec
	s_and_b64 s[2:3], s[2:3], exec
	s_or_b64 s[36:37], s[36:37], s[2:3]
.LBB129_34:
	s_and_b64 vcc, exec, s[0:1]
	s_cbranch_vccnz .LBB129_207
; %bb.35:
	s_waitcnt vmcnt(0)
	v_cmp_neq_f32_e32 vcc, v19, v23
	v_cmp_neq_f32_e64 s[2:3], v20, v24
	s_or_b64 s[38:39], vcc, s[2:3]
	s_cbranch_execnz .LBB129_37
.LBB129_36:
	s_waitcnt vmcnt(0)
	v_cmp_eq_f32_e32 vcc, v19, v23
	v_cmp_eq_f32_e64 s[2:3], v20, v24
	s_and_b64 s[2:3], vcc, s[2:3]
	s_andn2_b64 s[38:39], s[38:39], exec
	s_and_b64 s[2:3], s[2:3], exec
	s_or_b64 s[38:39], s[38:39], s[2:3]
.LBB129_37:
	s_and_b64 vcc, exec, s[0:1]
	s_cbranch_vccnz .LBB129_208
; %bb.38:
	s_waitcnt vmcnt(1)
	v_cmp_neq_f32_e32 vcc, v9, v13
	v_cmp_neq_f32_e64 s[2:3], v10, v14
	s_or_b64 s[40:41], vcc, s[2:3]
	s_cbranch_execnz .LBB129_40
.LBB129_39:
	s_waitcnt vmcnt(1)
	v_cmp_eq_f32_e32 vcc, v9, v13
	v_cmp_eq_f32_e64 s[2:3], v10, v14
	s_and_b64 s[2:3], vcc, s[2:3]
	s_andn2_b64 s[40:41], s[40:41], exec
	s_and_b64 s[2:3], s[2:3], exec
	s_or_b64 s[40:41], s[40:41], s[2:3]
.LBB129_40:
	s_and_b64 vcc, exec, s[0:1]
	s_cbranch_vccnz .LBB129_209
; %bb.41:
	s_waitcnt vmcnt(1)
	v_cmp_neq_f32_e32 vcc, v11, v15
	v_cmp_neq_f32_e64 s[2:3], v12, v16
	s_or_b64 s[42:43], vcc, s[2:3]
	s_cbranch_execnz .LBB129_43
.LBB129_42:
	s_waitcnt vmcnt(1)
	v_cmp_eq_f32_e32 vcc, v11, v15
	v_cmp_eq_f32_e64 s[2:3], v12, v16
	s_and_b64 s[2:3], vcc, s[2:3]
	s_andn2_b64 s[42:43], s[42:43], exec
	s_and_b64 s[2:3], s[2:3], exec
	s_or_b64 s[42:43], s[42:43], s[2:3]
.LBB129_43:
	s_and_b64 vcc, exec, s[0:1]
	s_cbranch_vccnz .LBB129_210
; %bb.44:
	s_waitcnt vmcnt(2)
	v_cmp_neq_f32_e32 vcc, v1, v5
	v_cmp_neq_f32_e64 s[2:3], v2, v6
	s_or_b64 s[44:45], vcc, s[2:3]
	s_cbranch_execnz .LBB129_46
.LBB129_45:
	s_waitcnt vmcnt(2)
	v_cmp_eq_f32_e32 vcc, v1, v5
	v_cmp_eq_f32_e64 s[2:3], v2, v6
	s_and_b64 s[2:3], vcc, s[2:3]
	s_andn2_b64 s[44:45], s[44:45], exec
	s_and_b64 s[2:3], s[2:3], exec
	s_or_b64 s[44:45], s[44:45], s[2:3]
.LBB129_46:
	s_and_b64 vcc, exec, s[0:1]
	s_cbranch_vccnz .LBB129_211
; %bb.47:
	s_waitcnt vmcnt(2)
	v_cmp_neq_f32_e32 vcc, v3, v7
	v_cmp_neq_f32_e64 s[0:1], v4, v8
	s_or_b64 s[2:3], vcc, s[0:1]
	s_cbranch_execnz .LBB129_49
.LBB129_48:
	s_waitcnt vmcnt(2)
	v_cmp_eq_f32_e32 vcc, v3, v7
	v_cmp_eq_f32_e64 s[0:1], v4, v8
	s_and_b64 s[0:1], vcc, s[0:1]
	s_andn2_b64 s[2:3], s[2:3], exec
	s_and_b64 s[0:1], s[0:1], exec
	s_or_b64 s[2:3], s[2:3], s[0:1]
.LBB129_49:
	s_waitcnt vmcnt(11)
	v_mov_b32_e32 v1, 0x100
	v_cndmask_b32_e64 v2, 0, v1, s[34:35]
	v_cndmask_b32_e64 v3, 0, 1, s[30:31]
	v_or_b32_e32 v2, v2, v3
	v_mov_b32_e32 v3, 0x10000
	s_waitcnt vmcnt(2)
	v_mov_b32_e32 v5, 0x1000000
	v_cndmask_b32_e64 v4, 0, v3, s[36:37]
	v_cndmask_b32_e64 v6, 0, v5, s[38:39]
	v_or3_b32 v7, 0, 0, 0
	v_or3_b32 v2, v2, v4, v6
	v_cndmask_b32_e64 v4, 0, 1, s[40:41]
	v_cndmask_b32_e64 v6, 0, v1, s[42:43]
	v_or3_b32 v4, v7, v4, v6
	v_or3_b32 v6, v2, 0, 0
	v_cndmask_b32_e64 v2, 0, v1, s[16:17]
	v_cndmask_b32_e64 v9, 0, 1, s[4:5]
	v_or_b32_e32 v2, v2, v9
	v_cndmask_b32_e64 v9, 0, v3, s[18:19]
	v_cndmask_b32_e64 v10, 0, v5, s[20:21]
	v_or3_b32 v2, v2, v9, v10
	v_cndmask_b32_e64 v9, 0, 1, s[22:23]
	v_cndmask_b32_e64 v1, 0, v1, s[24:25]
	;; [unrolled: 1-line block ×3, first 2 shown]
	v_or3_b32 v1, v7, v9, v1
	v_or3_b32 v7, v2, 0, 0
	v_cndmask_b32_e64 v2, 0, v3, s[26:27]
	v_cndmask_b32_e64 v3, 0, v5, s[28:29]
	s_add_u32 s0, s8, s6
	v_or3_b32 v2, v1, v2, v3
	v_or3_b32 v1, v7, 0, 0
	v_cndmask_b32_e64 v3, 0, v5, s[2:3]
	s_addc_u32 s1, s9, s7
	v_lshlrev_b32_e32 v5, 3, v0
	v_or3_b32 v4, v4, v8, v3
	v_or3_b32 v3, v6, 0, 0
	global_store_dwordx2 v5, v[1:2], s[0:1]
	global_store_dwordx2 v5, v[3:4], s[0:1] offset:2048
	s_mov_b64 s[0:1], 0
.LBB129_50:
	s_and_b64 vcc, exec, s[0:1]
	s_cbranch_vccz .LBB129_195
; %bb.51:
	v_cmp_gt_i32_e64 s[0:1], s33, v0
	s_waitcnt vmcnt(3)
	v_mov_b32_e32 v15, 0
	v_or_b32_e32 v1, s6, v0
	v_mov_b32_e32 v47, 0
	v_mov_b32_e32 v46, 0
	;; [unrolled: 1-line block ×5, first 2 shown]
	s_and_saveexec_b64 s[2:3], s[0:1]
	s_cbranch_execz .LBB129_53
; %bb.52:
	v_mov_b32_e32 v2, 0
	v_lshlrev_b64 v[2:3], 3, v[1:2]
	v_mov_b32_e32 v5, s11
	v_add_co_u32_e32 v4, vcc, s10, v2
	v_addc_co_u32_e32 v5, vcc, v5, v3, vcc
	v_mov_b32_e32 v6, s15
	v_add_co_u32_e32 v2, vcc, s14, v2
	v_addc_co_u32_e32 v3, vcc, v6, v3, vcc
	global_load_dwordx2 v[46:47], v[4:5], off
	global_load_dwordx2 v[64:65], v[2:3], off
	v_or_b32_e32 v66, 0x100, v0
.LBB129_53:
	s_or_b64 exec, exec, s[2:3]
	v_cmp_gt_i32_e32 vcc, s33, v66
	v_mov_b32_e32 v14, 0
	v_mov_b32_e32 v61, 0
	v_mov_b32_e32 v60, 0
	s_and_saveexec_b64 s[2:3], vcc
	s_cbranch_execz .LBB129_55
; %bb.54:
	v_add_u32_e32 v2, s6, v66
	v_mov_b32_e32 v3, 0
	v_lshlrev_b64 v[2:3], 3, v[2:3]
	v_mov_b32_e32 v5, s11
	v_add_co_u32_e32 v4, vcc, s10, v2
	v_addc_co_u32_e32 v5, vcc, v5, v3, vcc
	v_mov_b32_e32 v6, s15
	v_add_co_u32_e32 v2, vcc, s14, v2
	v_addc_co_u32_e32 v3, vcc, v6, v3, vcc
	global_load_dwordx2 v[14:15], v[4:5], off
	global_load_dwordx2 v[60:61], v[2:3], off
	v_add_u32_e32 v66, 0x100, v66
.LBB129_55:
	s_or_b64 exec, exec, s[2:3]
	v_cmp_gt_i32_e32 vcc, s33, v66
	v_mov_b32_e32 v17, 0
	v_mov_b32_e32 v37, 0
	v_mov_b32_e32 v36, 0
	v_mov_b32_e32 v63, 0
	v_mov_b32_e32 v62, 0
	s_and_saveexec_b64 s[2:3], vcc
	s_cbranch_execz .LBB129_57
; %bb.56:
	v_add_u32_e32 v2, s6, v66
	v_mov_b32_e32 v3, 0
	v_lshlrev_b64 v[2:3], 3, v[2:3]
	v_mov_b32_e32 v5, s11
	v_add_co_u32_e32 v4, vcc, s10, v2
	v_addc_co_u32_e32 v5, vcc, v5, v3, vcc
	v_mov_b32_e32 v6, s15
	v_add_co_u32_e32 v2, vcc, s14, v2
	v_addc_co_u32_e32 v3, vcc, v6, v3, vcc
	global_load_dwordx2 v[36:37], v[4:5], off
	global_load_dwordx2 v[62:63], v[2:3], off
	v_add_u32_e32 v66, 0x100, v66
.LBB129_57:
	s_or_b64 exec, exec, s[2:3]
	v_cmp_gt_i32_e32 vcc, s33, v66
	v_mov_b32_e32 v16, 0
	v_mov_b32_e32 v57, 0
	v_mov_b32_e32 v56, 0
	s_and_saveexec_b64 s[2:3], vcc
	s_cbranch_execz .LBB129_59
; %bb.58:
	v_add_u32_e32 v2, s6, v66
	v_mov_b32_e32 v3, 0
	v_lshlrev_b64 v[2:3], 3, v[2:3]
	v_mov_b32_e32 v5, s11
	v_add_co_u32_e32 v4, vcc, s10, v2
	v_addc_co_u32_e32 v5, vcc, v5, v3, vcc
	v_mov_b32_e32 v6, s15
	v_add_co_u32_e32 v2, vcc, s14, v2
	v_addc_co_u32_e32 v3, vcc, v6, v3, vcc
	global_load_dwordx2 v[16:17], v[4:5], off
	global_load_dwordx2 v[56:57], v[2:3], off
	v_add_u32_e32 v66, 0x100, v66
.LBB129_59:
	s_or_b64 exec, exec, s[2:3]
	v_cmp_gt_i32_e32 vcc, s33, v66
	v_mov_b32_e32 v13, 0
	v_mov_b32_e32 v31, 0
	v_mov_b32_e32 v30, 0
	v_mov_b32_e32 v59, 0
	v_mov_b32_e32 v58, 0
	s_and_saveexec_b64 s[2:3], vcc
	s_cbranch_execz .LBB129_61
; %bb.60:
	v_add_u32_e32 v2, s6, v66
	v_mov_b32_e32 v3, 0
	v_lshlrev_b64 v[2:3], 3, v[2:3]
	v_mov_b32_e32 v5, s11
	v_add_co_u32_e32 v4, vcc, s10, v2
	v_addc_co_u32_e32 v5, vcc, v5, v3, vcc
	v_mov_b32_e32 v6, s15
	v_add_co_u32_e32 v2, vcc, s14, v2
	v_addc_co_u32_e32 v3, vcc, v6, v3, vcc
	global_load_dwordx2 v[30:31], v[4:5], off
	global_load_dwordx2 v[58:59], v[2:3], off
	v_add_u32_e32 v66, 0x100, v66
.LBB129_61:
	;; [unrolled: 44-line block ×3, first 2 shown]
	s_or_b64 exec, exec, s[2:3]
	v_cmp_gt_i32_e32 vcc, s33, v66
	v_mov_b32_e32 v10, 0
	v_mov_b32_e32 v49, 0
	;; [unrolled: 1-line block ×3, first 2 shown]
	s_and_saveexec_b64 s[2:3], vcc
	s_cbranch_execz .LBB129_67
; %bb.66:
	v_add_u32_e32 v2, s6, v66
	v_mov_b32_e32 v3, 0
	v_lshlrev_b64 v[2:3], 3, v[2:3]
	v_mov_b32_e32 v5, s11
	v_add_co_u32_e32 v4, vcc, s10, v2
	v_addc_co_u32_e32 v5, vcc, v5, v3, vcc
	v_mov_b32_e32 v6, s15
	v_add_co_u32_e32 v2, vcc, s14, v2
	v_addc_co_u32_e32 v3, vcc, v6, v3, vcc
	global_load_dwordx2 v[10:11], v[4:5], off
	global_load_dwordx2 v[48:49], v[2:3], off
	v_add_u32_e32 v66, 0x100, v66
.LBB129_67:
	s_or_b64 exec, exec, s[2:3]
	v_cmp_gt_i32_e32 vcc, s33, v66
	v_mov_b32_e32 v9, 0
	v_mov_b32_e32 v25, 0
	s_waitcnt vmcnt(2)
	v_mov_b32_e32 v24, 0
	v_mov_b32_e32 v51, 0
	v_mov_b32_e32 v50, 0
	s_and_saveexec_b64 s[2:3], vcc
	s_cbranch_execz .LBB129_69
; %bb.68:
	v_add_u32_e32 v2, s6, v66
	v_mov_b32_e32 v3, 0
	v_lshlrev_b64 v[2:3], 3, v[2:3]
	v_mov_b32_e32 v5, s11
	v_add_co_u32_e32 v4, vcc, s10, v2
	v_addc_co_u32_e32 v5, vcc, v5, v3, vcc
	v_mov_b32_e32 v6, s15
	v_add_co_u32_e32 v2, vcc, s14, v2
	v_addc_co_u32_e32 v3, vcc, v6, v3, vcc
	global_load_dwordx2 v[24:25], v[4:5], off
	global_load_dwordx2 v[50:51], v[2:3], off
	v_add_u32_e32 v66, 0x100, v66
.LBB129_69:
	s_or_b64 exec, exec, s[2:3]
	v_cmp_gt_i32_e32 vcc, s33, v66
	v_mov_b32_e32 v8, 0
	v_mov_b32_e32 v43, 0
	v_mov_b32_e32 v42, 0
	s_and_saveexec_b64 s[2:3], vcc
	s_cbranch_execz .LBB129_71
; %bb.70:
	v_add_u32_e32 v2, s6, v66
	v_mov_b32_e32 v3, 0
	v_lshlrev_b64 v[2:3], 3, v[2:3]
	v_mov_b32_e32 v5, s11
	v_add_co_u32_e32 v4, vcc, s10, v2
	v_addc_co_u32_e32 v5, vcc, v5, v3, vcc
	v_mov_b32_e32 v6, s15
	v_add_co_u32_e32 v2, vcc, s14, v2
	v_addc_co_u32_e32 v3, vcc, v6, v3, vcc
	global_load_dwordx2 v[8:9], v[4:5], off
	global_load_dwordx2 v[42:43], v[2:3], off
	v_add_u32_e32 v66, 0x100, v66
.LBB129_71:
	s_or_b64 exec, exec, s[2:3]
	v_cmp_gt_i32_e32 vcc, s33, v66
	v_mov_b32_e32 v7, 0
	v_mov_b32_e32 v23, 0
	v_mov_b32_e32 v22, 0
	v_mov_b32_e32 v45, 0
	v_mov_b32_e32 v44, 0
	s_and_saveexec_b64 s[2:3], vcc
	s_cbranch_execz .LBB129_73
; %bb.72:
	v_add_u32_e32 v2, s6, v66
	v_mov_b32_e32 v3, 0
	v_lshlrev_b64 v[2:3], 3, v[2:3]
	v_mov_b32_e32 v5, s11
	v_add_co_u32_e32 v4, vcc, s10, v2
	v_addc_co_u32_e32 v5, vcc, v5, v3, vcc
	v_mov_b32_e32 v6, s15
	v_add_co_u32_e32 v2, vcc, s14, v2
	v_addc_co_u32_e32 v3, vcc, v6, v3, vcc
	global_load_dwordx2 v[22:23], v[4:5], off
	global_load_dwordx2 v[44:45], v[2:3], off
	v_add_u32_e32 v66, 0x100, v66
.LBB129_73:
	s_or_b64 exec, exec, s[2:3]
	v_cmp_gt_i32_e32 vcc, s33, v66
	v_mov_b32_e32 v6, 0
	v_mov_b32_e32 v39, 0
	v_mov_b32_e32 v38, 0
	s_and_saveexec_b64 s[2:3], vcc
	s_cbranch_execz .LBB129_75
; %bb.74:
	v_add_u32_e32 v2, s6, v66
	v_mov_b32_e32 v3, 0
	v_lshlrev_b64 v[2:3], 3, v[2:3]
	v_mov_b32_e32 v5, s11
	v_add_co_u32_e32 v4, vcc, s10, v2
	v_addc_co_u32_e32 v5, vcc, v5, v3, vcc
	v_mov_b32_e32 v6, s15
	v_add_co_u32_e32 v2, vcc, s14, v2
	v_addc_co_u32_e32 v3, vcc, v6, v3, vcc
	global_load_dwordx2 v[6:7], v[4:5], off
	global_load_dwordx2 v[38:39], v[2:3], off
	v_add_u32_e32 v66, 0x100, v66
.LBB129_75:
	s_or_b64 exec, exec, s[2:3]
	v_cmp_gt_i32_e32 vcc, s33, v66
	v_mov_b32_e32 v5, 0
	v_mov_b32_e32 v21, 0
	;; [unrolled: 44-line block ×3, first 2 shown]
	v_mov_b32_e32 v18, 0
	v_mov_b32_e32 v35, 0
	;; [unrolled: 1-line block ×3, first 2 shown]
	s_and_saveexec_b64 s[2:3], vcc
	s_cbranch_execz .LBB129_81
; %bb.80:
	v_add_u32_e32 v18, s6, v66
	v_mov_b32_e32 v19, 0
	v_lshlrev_b64 v[18:19], 3, v[18:19]
	v_mov_b32_e32 v2, s11
	v_add_co_u32_e32 v26, vcc, s10, v18
	v_addc_co_u32_e32 v27, vcc, v2, v19, vcc
	v_mov_b32_e32 v2, s15
	v_add_co_u32_e32 v67, vcc, s14, v18
	v_addc_co_u32_e32 v68, vcc, v2, v19, vcc
	global_load_dwordx2 v[18:19], v[26:27], off
	global_load_dwordx2 v[34:35], v[67:68], off
	v_add_u32_e32 v66, 0x100, v66
.LBB129_81:
	s_or_b64 exec, exec, s[2:3]
	v_cmp_gt_i32_e32 vcc, s33, v66
	v_mov_b32_e32 v2, 0
	v_mov_b32_e32 v27, 0
	;; [unrolled: 1-line block ×3, first 2 shown]
	s_and_saveexec_b64 s[2:3], vcc
	s_cbranch_execz .LBB129_83
; %bb.82:
	v_add_u32_e32 v2, s6, v66
	v_mov_b32_e32 v3, 0
	v_lshlrev_b64 v[2:3], 3, v[2:3]
	v_mov_b32_e32 v26, s11
	v_add_co_u32_e32 v66, vcc, s10, v2
	v_addc_co_u32_e32 v67, vcc, v26, v3, vcc
	v_mov_b32_e32 v26, s15
	v_add_co_u32_e32 v68, vcc, s14, v2
	v_addc_co_u32_e32 v69, vcc, v26, v3, vcc
	global_load_dwordx2 v[2:3], v[66:67], off
	global_load_dwordx2 v[26:27], v[68:69], off
.LBB129_83:
	s_or_b64 exec, exec, s[2:3]
	s_cmp_lg_u32 s13, 0
	s_cselect_b64 s[4:5], -1, 0
                                        ; implicit-def: $vgpr66
	s_and_saveexec_b64 s[10:11], s[0:1]
	s_cbranch_execz .LBB129_88
; %bb.84:
	s_and_b64 vcc, exec, s[4:5]
	s_cbranch_vccz .LBB129_212
; %bb.85:
	s_waitcnt vmcnt(0)
	v_cmp_neq_f32_e32 vcc, v46, v64
	v_cmp_neq_f32_e64 s[2:3], v47, v65
	s_or_b64 s[12:13], vcc, s[2:3]
	s_cbranch_execnz .LBB129_87
.LBB129_86:
	s_waitcnt vmcnt(0)
	v_cmp_eq_f32_e32 vcc, v46, v64
	v_cmp_eq_f32_e64 s[2:3], v47, v65
	s_and_b64 s[2:3], vcc, s[2:3]
	s_andn2_b64 s[12:13], s[12:13], exec
	s_and_b64 s[2:3], s[2:3], exec
	s_or_b64 s[12:13], s[12:13], s[2:3]
.LBB129_87:
	v_cndmask_b32_e64 v66, 0, 1, s[12:13]
.LBB129_88:
	s_or_b64 exec, exec, s[10:11]
	s_waitcnt vmcnt(1)
	v_or_b32_e32 v46, 0x100, v0
	v_cndmask_b32_e64 v47, 0, 1, s[4:5]
	v_cmp_gt_i32_e32 vcc, s33, v46
	v_cmp_ne_u32_e64 s[2:3], 1, v47
                                        ; implicit-def: $vgpr47
	s_and_saveexec_b64 s[10:11], vcc
	s_cbranch_execz .LBB129_93
; %bb.89:
	s_and_b64 vcc, exec, s[2:3]
	s_cbranch_vccnz .LBB129_213
; %bb.90:
	s_waitcnt vmcnt(0)
	v_cmp_neq_f32_e32 vcc, v14, v60
	v_cmp_neq_f32_e64 s[4:5], v15, v61
	s_or_b64 s[12:13], vcc, s[4:5]
	s_cbranch_execnz .LBB129_92
.LBB129_91:
	s_waitcnt vmcnt(0)
	v_cmp_eq_f32_e32 vcc, v14, v60
	v_cmp_eq_f32_e64 s[4:5], v15, v61
	s_and_b64 s[4:5], vcc, s[4:5]
	s_andn2_b64 s[12:13], s[12:13], exec
	s_and_b64 s[4:5], s[4:5], exec
	s_or_b64 s[12:13], s[12:13], s[4:5]
.LBB129_92:
	v_cndmask_b32_e64 v47, 0, 1, s[12:13]
.LBB129_93:
	s_or_b64 exec, exec, s[10:11]
	v_or_b32_e32 v14, 0x200, v0
	v_cmp_gt_i32_e32 vcc, s33, v14
                                        ; implicit-def: $vgpr14
	s_and_saveexec_b64 s[10:11], vcc
	s_cbranch_execz .LBB129_98
; %bb.94:
	s_and_b64 vcc, exec, s[2:3]
	s_cbranch_vccnz .LBB129_214
; %bb.95:
	s_waitcnt vmcnt(0)
	v_cmp_neq_f32_e32 vcc, v36, v62
	v_cmp_neq_f32_e64 s[4:5], v37, v63
	s_or_b64 s[12:13], vcc, s[4:5]
	s_cbranch_execnz .LBB129_97
.LBB129_96:
	s_waitcnt vmcnt(0)
	v_cmp_eq_f32_e32 vcc, v36, v62
	v_cmp_eq_f32_e64 s[4:5], v37, v63
	s_and_b64 s[4:5], vcc, s[4:5]
	s_andn2_b64 s[12:13], s[12:13], exec
	s_and_b64 s[4:5], s[4:5], exec
	s_or_b64 s[12:13], s[12:13], s[4:5]
.LBB129_97:
	v_cndmask_b32_e64 v14, 0, 1, s[12:13]
.LBB129_98:
	s_or_b64 exec, exec, s[10:11]
	v_or_b32_e32 v15, 0x300, v0
	v_cmp_gt_i32_e32 vcc, s33, v15
                                        ; implicit-def: $vgpr15
	s_and_saveexec_b64 s[10:11], vcc
	s_cbranch_execz .LBB129_103
; %bb.99:
	s_and_b64 vcc, exec, s[2:3]
	s_cbranch_vccnz .LBB129_215
; %bb.100:
	s_waitcnt vmcnt(0)
	v_cmp_neq_f32_e32 vcc, v16, v56
	v_cmp_neq_f32_e64 s[4:5], v17, v57
	s_or_b64 s[12:13], vcc, s[4:5]
	s_cbranch_execnz .LBB129_102
.LBB129_101:
	s_waitcnt vmcnt(0)
	v_cmp_eq_f32_e32 vcc, v16, v56
	v_cmp_eq_f32_e64 s[4:5], v17, v57
	s_and_b64 s[4:5], vcc, s[4:5]
	s_andn2_b64 s[12:13], s[12:13], exec
	s_and_b64 s[4:5], s[4:5], exec
	s_or_b64 s[12:13], s[12:13], s[4:5]
.LBB129_102:
	v_cndmask_b32_e64 v15, 0, 1, s[12:13]
.LBB129_103:
	s_or_b64 exec, exec, s[10:11]
	v_or_b32_e32 v16, 0x400, v0
	v_cmp_gt_i32_e32 vcc, s33, v16
                                        ; implicit-def: $vgpr16
	s_and_saveexec_b64 s[10:11], vcc
	s_cbranch_execz .LBB129_108
; %bb.104:
	s_and_b64 vcc, exec, s[2:3]
	s_cbranch_vccnz .LBB129_216
; %bb.105:
	s_waitcnt vmcnt(0)
	v_cmp_neq_f32_e32 vcc, v30, v58
	v_cmp_neq_f32_e64 s[4:5], v31, v59
	s_or_b64 s[12:13], vcc, s[4:5]
	s_cbranch_execnz .LBB129_107
.LBB129_106:
	s_waitcnt vmcnt(0)
	v_cmp_eq_f32_e32 vcc, v30, v58
	v_cmp_eq_f32_e64 s[4:5], v31, v59
	s_and_b64 s[4:5], vcc, s[4:5]
	s_andn2_b64 s[12:13], s[12:13], exec
	s_and_b64 s[4:5], s[4:5], exec
	s_or_b64 s[12:13], s[12:13], s[4:5]
.LBB129_107:
	v_cndmask_b32_e64 v16, 0, 1, s[12:13]
.LBB129_108:
	s_or_b64 exec, exec, s[10:11]
	v_or_b32_e32 v17, 0x500, v0
	v_cmp_gt_i32_e32 vcc, s33, v17
                                        ; implicit-def: $vgpr17
	s_and_saveexec_b64 s[10:11], vcc
	s_cbranch_execz .LBB129_113
; %bb.109:
	s_and_b64 vcc, exec, s[2:3]
	s_cbranch_vccnz .LBB129_217
; %bb.110:
	s_waitcnt vmcnt(0)
	v_cmp_neq_f32_e32 vcc, v12, v52
	v_cmp_neq_f32_e64 s[4:5], v13, v53
	s_or_b64 s[12:13], vcc, s[4:5]
	s_cbranch_execnz .LBB129_112
.LBB129_111:
	s_waitcnt vmcnt(0)
	v_cmp_eq_f32_e32 vcc, v12, v52
	v_cmp_eq_f32_e64 s[4:5], v13, v53
	s_and_b64 s[4:5], vcc, s[4:5]
	s_andn2_b64 s[12:13], s[12:13], exec
	s_and_b64 s[4:5], s[4:5], exec
	s_or_b64 s[12:13], s[12:13], s[4:5]
.LBB129_112:
	v_cndmask_b32_e64 v17, 0, 1, s[12:13]
.LBB129_113:
	s_or_b64 exec, exec, s[10:11]
	v_or_b32_e32 v12, 0x600, v0
	v_cmp_gt_i32_e32 vcc, s33, v12
                                        ; implicit-def: $vgpr12
	s_and_saveexec_b64 s[10:11], vcc
	s_cbranch_execz .LBB129_118
; %bb.114:
	s_and_b64 vcc, exec, s[2:3]
	s_cbranch_vccnz .LBB129_218
; %bb.115:
	s_waitcnt vmcnt(0)
	v_cmp_neq_f32_e32 vcc, v28, v54
	v_cmp_neq_f32_e64 s[4:5], v29, v55
	s_or_b64 s[12:13], vcc, s[4:5]
	s_cbranch_execnz .LBB129_117
.LBB129_116:
	s_waitcnt vmcnt(0)
	v_cmp_eq_f32_e32 vcc, v28, v54
	v_cmp_eq_f32_e64 s[4:5], v29, v55
	s_and_b64 s[4:5], vcc, s[4:5]
	s_andn2_b64 s[12:13], s[12:13], exec
	s_and_b64 s[4:5], s[4:5], exec
	s_or_b64 s[12:13], s[12:13], s[4:5]
.LBB129_117:
	v_cndmask_b32_e64 v12, 0, 1, s[12:13]
.LBB129_118:
	s_or_b64 exec, exec, s[10:11]
	v_or_b32_e32 v13, 0x700, v0
	v_cmp_gt_i32_e32 vcc, s33, v13
                                        ; implicit-def: $vgpr13
	s_and_saveexec_b64 s[10:11], vcc
	s_cbranch_execz .LBB129_123
; %bb.119:
	s_and_b64 vcc, exec, s[2:3]
	s_cbranch_vccnz .LBB129_219
; %bb.120:
	s_waitcnt vmcnt(0)
	v_cmp_neq_f32_e32 vcc, v10, v48
	v_cmp_neq_f32_e64 s[4:5], v11, v49
	s_or_b64 s[12:13], vcc, s[4:5]
	s_cbranch_execnz .LBB129_122
.LBB129_121:
	s_waitcnt vmcnt(0)
	v_cmp_eq_f32_e32 vcc, v10, v48
	v_cmp_eq_f32_e64 s[4:5], v11, v49
	s_and_b64 s[4:5], vcc, s[4:5]
	s_andn2_b64 s[12:13], s[12:13], exec
	s_and_b64 s[4:5], s[4:5], exec
	s_or_b64 s[12:13], s[12:13], s[4:5]
.LBB129_122:
	v_cndmask_b32_e64 v13, 0, 1, s[12:13]
.LBB129_123:
	s_or_b64 exec, exec, s[10:11]
	v_or_b32_e32 v10, 0x800, v0
	v_cmp_gt_i32_e32 vcc, s33, v10
                                        ; implicit-def: $vgpr10
	s_and_saveexec_b64 s[10:11], vcc
	s_cbranch_execz .LBB129_128
; %bb.124:
	s_and_b64 vcc, exec, s[2:3]
	s_cbranch_vccnz .LBB129_220
; %bb.125:
	s_waitcnt vmcnt(0)
	v_cmp_neq_f32_e32 vcc, v24, v50
	v_cmp_neq_f32_e64 s[4:5], v25, v51
	s_or_b64 s[12:13], vcc, s[4:5]
	s_cbranch_execnz .LBB129_127
.LBB129_126:
	s_waitcnt vmcnt(0)
	v_cmp_eq_f32_e32 vcc, v24, v50
	v_cmp_eq_f32_e64 s[4:5], v25, v51
	s_and_b64 s[4:5], vcc, s[4:5]
	s_andn2_b64 s[12:13], s[12:13], exec
	s_and_b64 s[4:5], s[4:5], exec
	s_or_b64 s[12:13], s[12:13], s[4:5]
.LBB129_127:
	v_cndmask_b32_e64 v10, 0, 1, s[12:13]
.LBB129_128:
	s_or_b64 exec, exec, s[10:11]
	v_or_b32_e32 v11, 0x900, v0
	v_cmp_gt_i32_e32 vcc, s33, v11
                                        ; implicit-def: $vgpr11
	s_and_saveexec_b64 s[10:11], vcc
	s_cbranch_execz .LBB129_133
; %bb.129:
	s_and_b64 vcc, exec, s[2:3]
	s_cbranch_vccnz .LBB129_221
; %bb.130:
	s_waitcnt vmcnt(0)
	v_cmp_neq_f32_e32 vcc, v8, v42
	v_cmp_neq_f32_e64 s[4:5], v9, v43
	s_or_b64 s[12:13], vcc, s[4:5]
	s_cbranch_execnz .LBB129_132
.LBB129_131:
	s_waitcnt vmcnt(0)
	v_cmp_eq_f32_e32 vcc, v8, v42
	v_cmp_eq_f32_e64 s[4:5], v9, v43
	s_and_b64 s[4:5], vcc, s[4:5]
	s_andn2_b64 s[12:13], s[12:13], exec
	s_and_b64 s[4:5], s[4:5], exec
	s_or_b64 s[12:13], s[12:13], s[4:5]
.LBB129_132:
	v_cndmask_b32_e64 v11, 0, 1, s[12:13]
.LBB129_133:
	s_or_b64 exec, exec, s[10:11]
	v_or_b32_e32 v8, 0xa00, v0
	v_cmp_gt_i32_e32 vcc, s33, v8
                                        ; implicit-def: $vgpr8
	s_and_saveexec_b64 s[10:11], vcc
	s_cbranch_execz .LBB129_138
; %bb.134:
	s_and_b64 vcc, exec, s[2:3]
	s_cbranch_vccnz .LBB129_222
; %bb.135:
	s_waitcnt vmcnt(0)
	v_cmp_neq_f32_e32 vcc, v22, v44
	v_cmp_neq_f32_e64 s[4:5], v23, v45
	s_or_b64 s[12:13], vcc, s[4:5]
	s_cbranch_execnz .LBB129_137
.LBB129_136:
	s_waitcnt vmcnt(0)
	v_cmp_eq_f32_e32 vcc, v22, v44
	v_cmp_eq_f32_e64 s[4:5], v23, v45
	s_and_b64 s[4:5], vcc, s[4:5]
	s_andn2_b64 s[12:13], s[12:13], exec
	s_and_b64 s[4:5], s[4:5], exec
	s_or_b64 s[12:13], s[12:13], s[4:5]
.LBB129_137:
	v_cndmask_b32_e64 v8, 0, 1, s[12:13]
.LBB129_138:
	s_or_b64 exec, exec, s[10:11]
	v_or_b32_e32 v9, 0xb00, v0
	v_cmp_gt_i32_e32 vcc, s33, v9
                                        ; implicit-def: $vgpr9
	s_and_saveexec_b64 s[10:11], vcc
	s_cbranch_execz .LBB129_143
; %bb.139:
	s_and_b64 vcc, exec, s[2:3]
	s_cbranch_vccnz .LBB129_223
; %bb.140:
	s_waitcnt vmcnt(0)
	v_cmp_neq_f32_e32 vcc, v6, v38
	v_cmp_neq_f32_e64 s[4:5], v7, v39
	s_or_b64 s[12:13], vcc, s[4:5]
	s_cbranch_execnz .LBB129_142
.LBB129_141:
	s_waitcnt vmcnt(0)
	v_cmp_eq_f32_e32 vcc, v6, v38
	v_cmp_eq_f32_e64 s[4:5], v7, v39
	s_and_b64 s[4:5], vcc, s[4:5]
	s_andn2_b64 s[12:13], s[12:13], exec
	s_and_b64 s[4:5], s[4:5], exec
	s_or_b64 s[12:13], s[12:13], s[4:5]
.LBB129_142:
	v_cndmask_b32_e64 v9, 0, 1, s[12:13]
.LBB129_143:
	s_or_b64 exec, exec, s[10:11]
	v_or_b32_e32 v6, 0xc00, v0
	v_cmp_gt_i32_e32 vcc, s33, v6
                                        ; implicit-def: $vgpr6
	s_and_saveexec_b64 s[10:11], vcc
	s_cbranch_execz .LBB129_148
; %bb.144:
	s_and_b64 vcc, exec, s[2:3]
	s_cbranch_vccnz .LBB129_224
; %bb.145:
	s_waitcnt vmcnt(0)
	v_cmp_neq_f32_e32 vcc, v20, v40
	v_cmp_neq_f32_e64 s[4:5], v21, v41
	s_or_b64 s[12:13], vcc, s[4:5]
	s_cbranch_execnz .LBB129_147
.LBB129_146:
	s_waitcnt vmcnt(0)
	v_cmp_eq_f32_e32 vcc, v20, v40
	v_cmp_eq_f32_e64 s[4:5], v21, v41
	s_and_b64 s[4:5], vcc, s[4:5]
	s_andn2_b64 s[12:13], s[12:13], exec
	s_and_b64 s[4:5], s[4:5], exec
	s_or_b64 s[12:13], s[12:13], s[4:5]
.LBB129_147:
	v_cndmask_b32_e64 v6, 0, 1, s[12:13]
.LBB129_148:
	s_or_b64 exec, exec, s[10:11]
	v_or_b32_e32 v7, 0xd00, v0
	v_cmp_gt_i32_e32 vcc, s33, v7
                                        ; implicit-def: $vgpr7
	s_and_saveexec_b64 s[10:11], vcc
	s_cbranch_execz .LBB129_153
; %bb.149:
	s_and_b64 vcc, exec, s[2:3]
	s_cbranch_vccnz .LBB129_225
; %bb.150:
	s_waitcnt vmcnt(0)
	v_cmp_neq_f32_e32 vcc, v4, v32
	v_cmp_neq_f32_e64 s[4:5], v5, v33
	s_or_b64 s[12:13], vcc, s[4:5]
	s_cbranch_execnz .LBB129_152
.LBB129_151:
	s_waitcnt vmcnt(0)
	v_cmp_eq_f32_e32 vcc, v4, v32
	v_cmp_eq_f32_e64 s[4:5], v5, v33
	s_and_b64 s[4:5], vcc, s[4:5]
	s_andn2_b64 s[12:13], s[12:13], exec
	s_and_b64 s[4:5], s[4:5], exec
	s_or_b64 s[12:13], s[12:13], s[4:5]
.LBB129_152:
	v_cndmask_b32_e64 v7, 0, 1, s[12:13]
.LBB129_153:
	s_or_b64 exec, exec, s[10:11]
	v_or_b32_e32 v4, 0xe00, v0
	v_cmp_gt_i32_e32 vcc, s33, v4
                                        ; implicit-def: $vgpr4
	s_and_saveexec_b64 s[10:11], vcc
	s_cbranch_execz .LBB129_158
; %bb.154:
	s_and_b64 vcc, exec, s[2:3]
	s_cbranch_vccnz .LBB129_226
; %bb.155:
	s_waitcnt vmcnt(0)
	v_cmp_neq_f32_e32 vcc, v18, v34
	v_cmp_neq_f32_e64 s[4:5], v19, v35
	s_or_b64 s[12:13], vcc, s[4:5]
	s_cbranch_execnz .LBB129_157
.LBB129_156:
	s_waitcnt vmcnt(0)
	v_cmp_eq_f32_e32 vcc, v18, v34
	v_cmp_eq_f32_e64 s[4:5], v19, v35
	s_and_b64 s[4:5], vcc, s[4:5]
	s_andn2_b64 s[12:13], s[12:13], exec
	s_and_b64 s[4:5], s[4:5], exec
	s_or_b64 s[12:13], s[12:13], s[4:5]
.LBB129_157:
	v_cndmask_b32_e64 v4, 0, 1, s[12:13]
.LBB129_158:
	s_or_b64 exec, exec, s[10:11]
	v_or_b32_e32 v5, 0xf00, v0
	v_cmp_gt_i32_e32 vcc, s33, v5
                                        ; implicit-def: $vgpr5
	s_and_saveexec_b64 s[4:5], vcc
	s_cbranch_execz .LBB129_163
; %bb.159:
	s_and_b64 vcc, exec, s[2:3]
	s_cbranch_vccnz .LBB129_227
; %bb.160:
	s_waitcnt vmcnt(0)
	v_cmp_neq_f32_e32 vcc, v2, v26
	v_cmp_neq_f32_e64 s[2:3], v3, v27
	s_or_b64 s[10:11], vcc, s[2:3]
	s_cbranch_execnz .LBB129_162
.LBB129_161:
	s_waitcnt vmcnt(0)
	v_cmp_eq_f32_e32 vcc, v2, v26
	v_cmp_eq_f32_e64 s[2:3], v3, v27
	s_and_b64 s[2:3], vcc, s[2:3]
	s_andn2_b64 s[10:11], s[10:11], exec
	s_and_b64 s[2:3], s[2:3], exec
	s_or_b64 s[10:11], s[10:11], s[2:3]
.LBB129_162:
	v_cndmask_b32_e64 v5, 0, 1, s[10:11]
.LBB129_163:
	s_or_b64 exec, exec, s[4:5]
	s_and_saveexec_b64 s[2:3], s[0:1]
	s_xor_b64 s[0:1], exec, s[2:3]
	s_cbranch_execz .LBB129_165
; %bb.164:
	v_mov_b32_e32 v0, v46
	global_store_byte v1, v66, s[8:9]
.LBB129_165:
	s_or_b64 exec, exec, s[0:1]
	v_cmp_gt_i32_e32 vcc, s33, v0
	s_and_saveexec_b64 s[0:1], vcc
	s_cbranch_execnz .LBB129_181
; %bb.166:
	s_or_b64 exec, exec, s[0:1]
	v_cmp_gt_i32_e32 vcc, s33, v0
	s_and_saveexec_b64 s[0:1], vcc
	s_cbranch_execnz .LBB129_182
.LBB129_167:
	s_or_b64 exec, exec, s[0:1]
	v_cmp_gt_i32_e32 vcc, s33, v0
	s_and_saveexec_b64 s[0:1], vcc
	s_cbranch_execnz .LBB129_183
.LBB129_168:
	s_or_b64 exec, exec, s[0:1]
	v_cmp_gt_i32_e32 vcc, s33, v0
	s_and_saveexec_b64 s[0:1], vcc
	s_cbranch_execnz .LBB129_184
.LBB129_169:
	s_or_b64 exec, exec, s[0:1]
	v_cmp_gt_i32_e32 vcc, s33, v0
	s_and_saveexec_b64 s[0:1], vcc
	s_cbranch_execnz .LBB129_185
.LBB129_170:
	s_or_b64 exec, exec, s[0:1]
	v_cmp_gt_i32_e32 vcc, s33, v0
	s_and_saveexec_b64 s[0:1], vcc
	s_cbranch_execnz .LBB129_186
.LBB129_171:
	s_or_b64 exec, exec, s[0:1]
	v_cmp_gt_i32_e32 vcc, s33, v0
	s_and_saveexec_b64 s[0:1], vcc
	s_cbranch_execnz .LBB129_187
.LBB129_172:
	s_or_b64 exec, exec, s[0:1]
	v_cmp_gt_i32_e32 vcc, s33, v0
	s_and_saveexec_b64 s[0:1], vcc
	s_cbranch_execnz .LBB129_188
.LBB129_173:
	s_or_b64 exec, exec, s[0:1]
	v_cmp_gt_i32_e32 vcc, s33, v0
	s_and_saveexec_b64 s[0:1], vcc
	s_cbranch_execnz .LBB129_189
.LBB129_174:
	s_or_b64 exec, exec, s[0:1]
	v_cmp_gt_i32_e32 vcc, s33, v0
	s_and_saveexec_b64 s[0:1], vcc
	s_cbranch_execnz .LBB129_190
.LBB129_175:
	s_or_b64 exec, exec, s[0:1]
	v_cmp_gt_i32_e32 vcc, s33, v0
	s_and_saveexec_b64 s[0:1], vcc
	s_cbranch_execnz .LBB129_191
.LBB129_176:
	s_or_b64 exec, exec, s[0:1]
	v_cmp_gt_i32_e32 vcc, s33, v0
	s_and_saveexec_b64 s[0:1], vcc
	s_cbranch_execnz .LBB129_192
.LBB129_177:
	s_or_b64 exec, exec, s[0:1]
	v_cmp_gt_i32_e32 vcc, s33, v0
	s_and_saveexec_b64 s[0:1], vcc
	s_cbranch_execnz .LBB129_193
.LBB129_178:
	s_or_b64 exec, exec, s[0:1]
	v_cmp_gt_i32_e32 vcc, s33, v0
	s_and_saveexec_b64 s[0:1], vcc
	s_cbranch_execnz .LBB129_194
.LBB129_179:
	s_or_b64 exec, exec, s[0:1]
	v_cmp_gt_i32_e32 vcc, s33, v0
	s_and_saveexec_b64 s[0:1], vcc
	s_cbranch_execz .LBB129_195
.LBB129_180:
	v_add_u32_e32 v0, s6, v0
	global_store_byte v0, v5, s[8:9]
	s_endpgm
.LBB129_181:
	v_add_u32_e32 v1, s6, v0
	v_add_u32_e32 v0, 0x100, v0
	global_store_byte v1, v47, s[8:9]
	s_or_b64 exec, exec, s[0:1]
	v_cmp_gt_i32_e32 vcc, s33, v0
	s_and_saveexec_b64 s[0:1], vcc
	s_cbranch_execz .LBB129_167
.LBB129_182:
	v_add_u32_e32 v1, s6, v0
	v_add_u32_e32 v0, 0x100, v0
	global_store_byte v1, v14, s[8:9]
	s_or_b64 exec, exec, s[0:1]
	v_cmp_gt_i32_e32 vcc, s33, v0
	s_and_saveexec_b64 s[0:1], vcc
	s_cbranch_execz .LBB129_168
.LBB129_183:
	v_add_u32_e32 v1, s6, v0
	v_add_u32_e32 v0, 0x100, v0
	global_store_byte v1, v15, s[8:9]
	s_or_b64 exec, exec, s[0:1]
	v_cmp_gt_i32_e32 vcc, s33, v0
	s_and_saveexec_b64 s[0:1], vcc
	s_cbranch_execz .LBB129_169
.LBB129_184:
	v_add_u32_e32 v1, s6, v0
	v_add_u32_e32 v0, 0x100, v0
	global_store_byte v1, v16, s[8:9]
	s_or_b64 exec, exec, s[0:1]
	v_cmp_gt_i32_e32 vcc, s33, v0
	s_and_saveexec_b64 s[0:1], vcc
	s_cbranch_execz .LBB129_170
.LBB129_185:
	v_add_u32_e32 v1, s6, v0
	v_add_u32_e32 v0, 0x100, v0
	global_store_byte v1, v17, s[8:9]
	s_or_b64 exec, exec, s[0:1]
	v_cmp_gt_i32_e32 vcc, s33, v0
	s_and_saveexec_b64 s[0:1], vcc
	s_cbranch_execz .LBB129_171
.LBB129_186:
	v_add_u32_e32 v1, s6, v0
	v_add_u32_e32 v0, 0x100, v0
	global_store_byte v1, v12, s[8:9]
	s_or_b64 exec, exec, s[0:1]
	v_cmp_gt_i32_e32 vcc, s33, v0
	s_and_saveexec_b64 s[0:1], vcc
	s_cbranch_execz .LBB129_172
.LBB129_187:
	v_add_u32_e32 v1, s6, v0
	v_add_u32_e32 v0, 0x100, v0
	global_store_byte v1, v13, s[8:9]
	s_or_b64 exec, exec, s[0:1]
	v_cmp_gt_i32_e32 vcc, s33, v0
	s_and_saveexec_b64 s[0:1], vcc
	s_cbranch_execz .LBB129_173
.LBB129_188:
	v_add_u32_e32 v1, s6, v0
	v_add_u32_e32 v0, 0x100, v0
	global_store_byte v1, v10, s[8:9]
	s_or_b64 exec, exec, s[0:1]
	v_cmp_gt_i32_e32 vcc, s33, v0
	s_and_saveexec_b64 s[0:1], vcc
	s_cbranch_execz .LBB129_174
.LBB129_189:
	v_add_u32_e32 v1, s6, v0
	v_add_u32_e32 v0, 0x100, v0
	global_store_byte v1, v11, s[8:9]
	s_or_b64 exec, exec, s[0:1]
	v_cmp_gt_i32_e32 vcc, s33, v0
	s_and_saveexec_b64 s[0:1], vcc
	s_cbranch_execz .LBB129_175
.LBB129_190:
	v_add_u32_e32 v1, s6, v0
	v_add_u32_e32 v0, 0x100, v0
	global_store_byte v1, v8, s[8:9]
	s_or_b64 exec, exec, s[0:1]
	v_cmp_gt_i32_e32 vcc, s33, v0
	s_and_saveexec_b64 s[0:1], vcc
	s_cbranch_execz .LBB129_176
.LBB129_191:
	v_add_u32_e32 v1, s6, v0
	v_add_u32_e32 v0, 0x100, v0
	global_store_byte v1, v9, s[8:9]
	s_or_b64 exec, exec, s[0:1]
	v_cmp_gt_i32_e32 vcc, s33, v0
	s_and_saveexec_b64 s[0:1], vcc
	s_cbranch_execz .LBB129_177
.LBB129_192:
	v_add_u32_e32 v1, s6, v0
	v_add_u32_e32 v0, 0x100, v0
	global_store_byte v1, v6, s[8:9]
	s_or_b64 exec, exec, s[0:1]
	v_cmp_gt_i32_e32 vcc, s33, v0
	s_and_saveexec_b64 s[0:1], vcc
	s_cbranch_execz .LBB129_178
.LBB129_193:
	v_add_u32_e32 v1, s6, v0
	v_add_u32_e32 v0, 0x100, v0
	global_store_byte v1, v7, s[8:9]
	s_or_b64 exec, exec, s[0:1]
	v_cmp_gt_i32_e32 vcc, s33, v0
	s_and_saveexec_b64 s[0:1], vcc
	s_cbranch_execz .LBB129_179
.LBB129_194:
	v_add_u32_e32 v1, s6, v0
	v_add_u32_e32 v0, 0x100, v0
	global_store_byte v1, v4, s[8:9]
	s_or_b64 exec, exec, s[0:1]
	v_cmp_gt_i32_e32 vcc, s33, v0
	s_and_saveexec_b64 s[0:1], vcc
	s_cbranch_execnz .LBB129_180
.LBB129_195:
	s_endpgm
.LBB129_196:
                                        ; implicit-def: $sgpr4_sgpr5
	s_branch .LBB129_3
.LBB129_197:
                                        ; implicit-def: $sgpr16_sgpr17
	s_branch .LBB129_6
.LBB129_198:
                                        ; implicit-def: $sgpr18_sgpr19
	s_branch .LBB129_9
.LBB129_199:
                                        ; implicit-def: $sgpr20_sgpr21
	s_branch .LBB129_12
.LBB129_200:
                                        ; implicit-def: $sgpr22_sgpr23
	s_branch .LBB129_15
.LBB129_201:
                                        ; implicit-def: $sgpr24_sgpr25
	s_branch .LBB129_18
.LBB129_202:
                                        ; implicit-def: $sgpr26_sgpr27
	s_branch .LBB129_21
.LBB129_203:
                                        ; implicit-def: $sgpr28_sgpr29
	s_branch .LBB129_24
.LBB129_204:
                                        ; implicit-def: $sgpr30_sgpr31
	s_branch .LBB129_27
.LBB129_205:
                                        ; implicit-def: $sgpr34_sgpr35
	s_branch .LBB129_30
.LBB129_206:
                                        ; implicit-def: $sgpr36_sgpr37
	s_branch .LBB129_33
.LBB129_207:
                                        ; implicit-def: $sgpr38_sgpr39
	s_branch .LBB129_36
.LBB129_208:
                                        ; implicit-def: $sgpr40_sgpr41
	s_branch .LBB129_39
.LBB129_209:
                                        ; implicit-def: $sgpr42_sgpr43
	s_branch .LBB129_42
.LBB129_210:
                                        ; implicit-def: $sgpr44_sgpr45
	s_branch .LBB129_45
.LBB129_211:
                                        ; implicit-def: $sgpr2_sgpr3
	s_branch .LBB129_48
.LBB129_212:
                                        ; implicit-def: $sgpr12_sgpr13
	s_branch .LBB129_86
.LBB129_213:
                                        ; implicit-def: $sgpr12_sgpr13
	s_branch .LBB129_91
.LBB129_214:
                                        ; implicit-def: $sgpr12_sgpr13
	s_branch .LBB129_96
.LBB129_215:
                                        ; implicit-def: $sgpr12_sgpr13
	s_branch .LBB129_101
.LBB129_216:
                                        ; implicit-def: $sgpr12_sgpr13
	s_branch .LBB129_106
.LBB129_217:
                                        ; implicit-def: $sgpr12_sgpr13
	s_branch .LBB129_111
.LBB129_218:
                                        ; implicit-def: $sgpr12_sgpr13
	s_branch .LBB129_116
.LBB129_219:
                                        ; implicit-def: $sgpr12_sgpr13
	s_branch .LBB129_121
.LBB129_220:
                                        ; implicit-def: $sgpr12_sgpr13
	s_branch .LBB129_126
.LBB129_221:
                                        ; implicit-def: $sgpr12_sgpr13
	s_branch .LBB129_131
.LBB129_222:
                                        ; implicit-def: $sgpr12_sgpr13
	s_branch .LBB129_136
.LBB129_223:
                                        ; implicit-def: $sgpr12_sgpr13
	s_branch .LBB129_141
.LBB129_224:
                                        ; implicit-def: $sgpr12_sgpr13
	s_branch .LBB129_146
.LBB129_225:
                                        ; implicit-def: $sgpr12_sgpr13
	s_branch .LBB129_151
.LBB129_226:
                                        ; implicit-def: $sgpr12_sgpr13
	s_branch .LBB129_156
.LBB129_227:
                                        ; implicit-def: $sgpr10_sgpr11
	s_branch .LBB129_161
	.section	.rodata,"a",@progbits
	.p2align	6, 0x0
	.amdhsa_kernel _ZN2at6native29vectorized_elementwise_kernelILi8ENS0_13BinaryFunctorIN3c107complexIfEES5_bNS0_12_GLOBAL__N_116CompareEqFunctorIS5_EEEESt5arrayIPcLm3EEEEviT0_T1_
		.amdhsa_group_segment_fixed_size 0
		.amdhsa_private_segment_fixed_size 0
		.amdhsa_kernarg_size 32
		.amdhsa_user_sgpr_count 6
		.amdhsa_user_sgpr_private_segment_buffer 1
		.amdhsa_user_sgpr_dispatch_ptr 0
		.amdhsa_user_sgpr_queue_ptr 0
		.amdhsa_user_sgpr_kernarg_segment_ptr 1
		.amdhsa_user_sgpr_dispatch_id 0
		.amdhsa_user_sgpr_flat_scratch_init 0
		.amdhsa_user_sgpr_private_segment_size 0
		.amdhsa_uses_dynamic_stack 0
		.amdhsa_system_sgpr_private_segment_wavefront_offset 0
		.amdhsa_system_sgpr_workgroup_id_x 1
		.amdhsa_system_sgpr_workgroup_id_y 0
		.amdhsa_system_sgpr_workgroup_id_z 0
		.amdhsa_system_sgpr_workgroup_info 0
		.amdhsa_system_vgpr_workitem_id 0
		.amdhsa_next_free_vgpr 70
		.amdhsa_next_free_sgpr 46
		.amdhsa_reserve_vcc 1
		.amdhsa_reserve_flat_scratch 0
		.amdhsa_float_round_mode_32 0
		.amdhsa_float_round_mode_16_64 0
		.amdhsa_float_denorm_mode_32 3
		.amdhsa_float_denorm_mode_16_64 3
		.amdhsa_dx10_clamp 1
		.amdhsa_ieee_mode 1
		.amdhsa_fp16_overflow 0
		.amdhsa_exception_fp_ieee_invalid_op 0
		.amdhsa_exception_fp_denorm_src 0
		.amdhsa_exception_fp_ieee_div_zero 0
		.amdhsa_exception_fp_ieee_overflow 0
		.amdhsa_exception_fp_ieee_underflow 0
		.amdhsa_exception_fp_ieee_inexact 0
		.amdhsa_exception_int_div_zero 0
	.end_amdhsa_kernel
	.section	.text._ZN2at6native29vectorized_elementwise_kernelILi8ENS0_13BinaryFunctorIN3c107complexIfEES5_bNS0_12_GLOBAL__N_116CompareEqFunctorIS5_EEEESt5arrayIPcLm3EEEEviT0_T1_,"axG",@progbits,_ZN2at6native29vectorized_elementwise_kernelILi8ENS0_13BinaryFunctorIN3c107complexIfEES5_bNS0_12_GLOBAL__N_116CompareEqFunctorIS5_EEEESt5arrayIPcLm3EEEEviT0_T1_,comdat
.Lfunc_end129:
	.size	_ZN2at6native29vectorized_elementwise_kernelILi8ENS0_13BinaryFunctorIN3c107complexIfEES5_bNS0_12_GLOBAL__N_116CompareEqFunctorIS5_EEEESt5arrayIPcLm3EEEEviT0_T1_, .Lfunc_end129-_ZN2at6native29vectorized_elementwise_kernelILi8ENS0_13BinaryFunctorIN3c107complexIfEES5_bNS0_12_GLOBAL__N_116CompareEqFunctorIS5_EEEESt5arrayIPcLm3EEEEviT0_T1_
                                        ; -- End function
	.set _ZN2at6native29vectorized_elementwise_kernelILi8ENS0_13BinaryFunctorIN3c107complexIfEES5_bNS0_12_GLOBAL__N_116CompareEqFunctorIS5_EEEESt5arrayIPcLm3EEEEviT0_T1_.num_vgpr, 70
	.set _ZN2at6native29vectorized_elementwise_kernelILi8ENS0_13BinaryFunctorIN3c107complexIfEES5_bNS0_12_GLOBAL__N_116CompareEqFunctorIS5_EEEESt5arrayIPcLm3EEEEviT0_T1_.num_agpr, 0
	.set _ZN2at6native29vectorized_elementwise_kernelILi8ENS0_13BinaryFunctorIN3c107complexIfEES5_bNS0_12_GLOBAL__N_116CompareEqFunctorIS5_EEEESt5arrayIPcLm3EEEEviT0_T1_.numbered_sgpr, 46
	.set _ZN2at6native29vectorized_elementwise_kernelILi8ENS0_13BinaryFunctorIN3c107complexIfEES5_bNS0_12_GLOBAL__N_116CompareEqFunctorIS5_EEEESt5arrayIPcLm3EEEEviT0_T1_.num_named_barrier, 0
	.set _ZN2at6native29vectorized_elementwise_kernelILi8ENS0_13BinaryFunctorIN3c107complexIfEES5_bNS0_12_GLOBAL__N_116CompareEqFunctorIS5_EEEESt5arrayIPcLm3EEEEviT0_T1_.private_seg_size, 0
	.set _ZN2at6native29vectorized_elementwise_kernelILi8ENS0_13BinaryFunctorIN3c107complexIfEES5_bNS0_12_GLOBAL__N_116CompareEqFunctorIS5_EEEESt5arrayIPcLm3EEEEviT0_T1_.uses_vcc, 1
	.set _ZN2at6native29vectorized_elementwise_kernelILi8ENS0_13BinaryFunctorIN3c107complexIfEES5_bNS0_12_GLOBAL__N_116CompareEqFunctorIS5_EEEESt5arrayIPcLm3EEEEviT0_T1_.uses_flat_scratch, 0
	.set _ZN2at6native29vectorized_elementwise_kernelILi8ENS0_13BinaryFunctorIN3c107complexIfEES5_bNS0_12_GLOBAL__N_116CompareEqFunctorIS5_EEEESt5arrayIPcLm3EEEEviT0_T1_.has_dyn_sized_stack, 0
	.set _ZN2at6native29vectorized_elementwise_kernelILi8ENS0_13BinaryFunctorIN3c107complexIfEES5_bNS0_12_GLOBAL__N_116CompareEqFunctorIS5_EEEESt5arrayIPcLm3EEEEviT0_T1_.has_recursion, 0
	.set _ZN2at6native29vectorized_elementwise_kernelILi8ENS0_13BinaryFunctorIN3c107complexIfEES5_bNS0_12_GLOBAL__N_116CompareEqFunctorIS5_EEEESt5arrayIPcLm3EEEEviT0_T1_.has_indirect_call, 0
	.section	.AMDGPU.csdata,"",@progbits
; Kernel info:
; codeLenInByte = 5624
; TotalNumSgprs: 50
; NumVgprs: 70
; ScratchSize: 0
; MemoryBound: 1
; FloatMode: 240
; IeeeMode: 1
; LDSByteSize: 0 bytes/workgroup (compile time only)
; SGPRBlocks: 6
; VGPRBlocks: 17
; NumSGPRsForWavesPerEU: 50
; NumVGPRsForWavesPerEU: 70
; Occupancy: 3
; WaveLimiterHint : 1
; COMPUTE_PGM_RSRC2:SCRATCH_EN: 0
; COMPUTE_PGM_RSRC2:USER_SGPR: 6
; COMPUTE_PGM_RSRC2:TRAP_HANDLER: 0
; COMPUTE_PGM_RSRC2:TGID_X_EN: 1
; COMPUTE_PGM_RSRC2:TGID_Y_EN: 0
; COMPUTE_PGM_RSRC2:TGID_Z_EN: 0
; COMPUTE_PGM_RSRC2:TIDIG_COMP_CNT: 0
	.section	.text._ZN2at6native29vectorized_elementwise_kernelILi4ENS0_13BinaryFunctorIN3c107complexIfEES5_bNS0_12_GLOBAL__N_116CompareEqFunctorIS5_EEEESt5arrayIPcLm3EEEEviT0_T1_,"axG",@progbits,_ZN2at6native29vectorized_elementwise_kernelILi4ENS0_13BinaryFunctorIN3c107complexIfEES5_bNS0_12_GLOBAL__N_116CompareEqFunctorIS5_EEEESt5arrayIPcLm3EEEEviT0_T1_,comdat
	.globl	_ZN2at6native29vectorized_elementwise_kernelILi4ENS0_13BinaryFunctorIN3c107complexIfEES5_bNS0_12_GLOBAL__N_116CompareEqFunctorIS5_EEEESt5arrayIPcLm3EEEEviT0_T1_ ; -- Begin function _ZN2at6native29vectorized_elementwise_kernelILi4ENS0_13BinaryFunctorIN3c107complexIfEES5_bNS0_12_GLOBAL__N_116CompareEqFunctorIS5_EEEESt5arrayIPcLm3EEEEviT0_T1_
	.p2align	8
	.type	_ZN2at6native29vectorized_elementwise_kernelILi4ENS0_13BinaryFunctorIN3c107complexIfEES5_bNS0_12_GLOBAL__N_116CompareEqFunctorIS5_EEEESt5arrayIPcLm3EEEEviT0_T1_,@function
_ZN2at6native29vectorized_elementwise_kernelILi4ENS0_13BinaryFunctorIN3c107complexIfEES5_bNS0_12_GLOBAL__N_116CompareEqFunctorIS5_EEEESt5arrayIPcLm3EEEEviT0_T1_: ; @_ZN2at6native29vectorized_elementwise_kernelILi4ENS0_13BinaryFunctorIN3c107complexIfEES5_bNS0_12_GLOBAL__N_116CompareEqFunctorIS5_EEEESt5arrayIPcLm3EEEEviT0_T1_
; %bb.0:
	s_load_dwordx2 s[12:13], s[4:5], 0x0
	s_load_dwordx4 s[8:11], s[4:5], 0x8
	s_load_dwordx2 s[14:15], s[4:5], 0x18
	s_lshl_b32 s6, s6, 12
	s_mov_b64 s[0:1], -1
	s_waitcnt lgkmcnt(0)
	s_sub_i32 s33, s12, s6
	s_cmpk_gt_i32 s33, 0xfff
	s_cbranch_scc0 .LBB130_50
; %bb.1:
	s_ashr_i32 s7, s6, 31
	s_lshl_b64 s[2:3], s[6:7], 3
	s_add_u32 s0, s10, s2
	s_addc_u32 s1, s11, s3
	v_lshlrev_b32_e32 v13, 5, v0
	v_mov_b32_e32 v1, s1
	v_add_co_u32_e32 v5, vcc, s0, v13
	v_addc_co_u32_e32 v7, vcc, 0, v1, vcc
	v_add_co_u32_e32 v1, vcc, 0x2000, v5
	global_load_dwordx4 v[49:52], v13, s[0:1] offset:16
	global_load_dwordx4 v[57:60], v13, s[0:1]
	v_addc_co_u32_e64 v2, s[0:1], 0, v7, vcc
	v_addc_co_u32_e32 v4, vcc, 0, v7, vcc
	v_mov_b32_e32 v3, v1
	global_load_dwordx4 v[41:44], v[3:4], off
	global_load_dwordx4 v[33:36], v[1:2], off offset:16
	v_add_co_u32_e32 v1, vcc, 0x4000, v5
	v_addc_co_u32_e64 v2, s[0:1], 0, v7, vcc
	v_addc_co_u32_e32 v4, vcc, 0, v7, vcc
	v_add_co_u32_e32 v5, vcc, 0x6000, v5
	v_addc_co_u32_e64 v6, s[0:1], 0, v7, vcc
	s_add_u32 s0, s14, s2
	v_mov_b32_e32 v3, v1
	v_addc_co_u32_e32 v8, vcc, 0, v7, vcc
	v_mov_b32_e32 v7, v5
	s_addc_u32 s1, s15, s3
	global_load_dwordx4 v[25:28], v[3:4], off
	global_load_dwordx4 v[17:20], v[1:2], off offset:16
	global_load_dwordx4 v[9:12], v[7:8], off
	s_nop 0
	global_load_dwordx4 v[1:4], v[5:6], off offset:16
	v_mov_b32_e32 v5, s1
	v_add_co_u32_e32 v7, vcc, s0, v13
	s_movk_i32 s4, 0x2000
	v_addc_co_u32_e32 v8, vcc, 0, v5, vcc
	v_add_co_u32_e32 v5, vcc, s4, v7
	s_movk_i32 s5, 0x4000
	v_addc_co_u32_e32 v6, vcc, 0, v8, vcc
	global_load_dwordx4 v[53:56], v13, s[0:1] offset:16
	global_load_dwordx4 v[61:64], v13, s[0:1]
	global_load_dwordx4 v[45:48], v[5:6], off
	global_load_dwordx4 v[37:40], v[5:6], off offset:16
	v_add_co_u32_e32 v5, vcc, s5, v7
	v_addc_co_u32_e32 v6, vcc, 0, v8, vcc
	v_add_co_u32_e32 v65, vcc, 0x6000, v7
	v_addc_co_u32_e64 v66, s[0:1], 0, v8, vcc
	v_addc_co_u32_e32 v68, vcc, 0, v8, vcc
	v_mov_b32_e32 v67, v65
	global_load_dwordx4 v[29:32], v[5:6], off
	global_load_dwordx4 v[21:24], v[5:6], off offset:16
	global_load_dwordx4 v[13:16], v[67:68], off
	s_nop 0
	global_load_dwordx4 v[5:8], v[65:66], off offset:16
	s_cmp_lg_u32 s13, 0
	s_cselect_b64 s[2:3], -1, 0
	s_and_b64 vcc, exec, s[2:3]
	s_cbranch_vccz .LBB130_196
; %bb.2:
	s_waitcnt vmcnt(6)
	v_cmp_neq_f32_e32 vcc, v57, v61
	v_cmp_neq_f32_e64 s[0:1], v58, v62
	s_or_b64 s[4:5], vcc, s[0:1]
	s_cbranch_execnz .LBB130_4
.LBB130_3:
	s_waitcnt vmcnt(6)
	v_cmp_eq_f32_e32 vcc, v57, v61
	v_cmp_eq_f32_e64 s[0:1], v58, v62
	s_and_b64 s[0:1], vcc, s[0:1]
	s_andn2_b64 s[4:5], s[4:5], exec
	s_and_b64 s[0:1], s[0:1], exec
	s_or_b64 s[4:5], s[4:5], s[0:1]
.LBB130_4:
	s_waitcnt vmcnt(14)
	v_cndmask_b32_e64 v57, 0, 1, s[2:3]
	v_cmp_ne_u32_e64 s[0:1], 1, v57
	s_andn2_b64 vcc, exec, s[2:3]
	s_cbranch_vccnz .LBB130_197
; %bb.5:
	s_waitcnt vmcnt(6)
	v_cmp_neq_f32_e32 vcc, v59, v63
	v_cmp_neq_f32_e64 s[2:3], v60, v64
	s_or_b64 s[16:17], vcc, s[2:3]
	s_cbranch_execnz .LBB130_7
.LBB130_6:
	s_waitcnt vmcnt(6)
	v_cmp_eq_f32_e32 vcc, v59, v63
	v_cmp_eq_f32_e64 s[2:3], v60, v64
	s_and_b64 s[2:3], vcc, s[2:3]
	s_andn2_b64 s[16:17], s[16:17], exec
	s_and_b64 s[2:3], s[2:3], exec
	s_or_b64 s[16:17], s[16:17], s[2:3]
.LBB130_7:
	s_and_b64 vcc, exec, s[0:1]
	s_cbranch_vccnz .LBB130_198
; %bb.8:
	s_waitcnt vmcnt(7)
	v_cmp_neq_f32_e32 vcc, v49, v53
	v_cmp_neq_f32_e64 s[2:3], v50, v54
	s_or_b64 s[18:19], vcc, s[2:3]
	s_cbranch_execnz .LBB130_10
.LBB130_9:
	s_waitcnt vmcnt(7)
	v_cmp_eq_f32_e32 vcc, v49, v53
	v_cmp_eq_f32_e64 s[2:3], v50, v54
	s_and_b64 s[2:3], vcc, s[2:3]
	s_andn2_b64 s[18:19], s[18:19], exec
	s_and_b64 s[2:3], s[2:3], exec
	s_or_b64 s[18:19], s[18:19], s[2:3]
.LBB130_10:
	s_and_b64 vcc, exec, s[0:1]
	s_cbranch_vccnz .LBB130_199
; %bb.11:
	s_waitcnt vmcnt(7)
	v_cmp_neq_f32_e32 vcc, v51, v55
	v_cmp_neq_f32_e64 s[2:3], v52, v56
	s_or_b64 s[20:21], vcc, s[2:3]
	s_cbranch_execnz .LBB130_13
.LBB130_12:
	s_waitcnt vmcnt(7)
	v_cmp_eq_f32_e32 vcc, v51, v55
	v_cmp_eq_f32_e64 s[2:3], v52, v56
	s_and_b64 s[2:3], vcc, s[2:3]
	s_andn2_b64 s[20:21], s[20:21], exec
	s_and_b64 s[2:3], s[2:3], exec
	s_or_b64 s[20:21], s[20:21], s[2:3]
.LBB130_13:
	s_and_b64 vcc, exec, s[0:1]
	s_cbranch_vccnz .LBB130_200
; %bb.14:
	s_waitcnt vmcnt(5)
	v_cmp_neq_f32_e32 vcc, v41, v45
	v_cmp_neq_f32_e64 s[2:3], v42, v46
	s_or_b64 s[22:23], vcc, s[2:3]
	s_cbranch_execnz .LBB130_16
.LBB130_15:
	s_waitcnt vmcnt(5)
	v_cmp_eq_f32_e32 vcc, v41, v45
	v_cmp_eq_f32_e64 s[2:3], v42, v46
	s_and_b64 s[2:3], vcc, s[2:3]
	s_andn2_b64 s[22:23], s[22:23], exec
	s_and_b64 s[2:3], s[2:3], exec
	s_or_b64 s[22:23], s[22:23], s[2:3]
.LBB130_16:
	s_and_b64 vcc, exec, s[0:1]
	s_cbranch_vccnz .LBB130_201
; %bb.17:
	s_waitcnt vmcnt(5)
	v_cmp_neq_f32_e32 vcc, v43, v47
	v_cmp_neq_f32_e64 s[2:3], v44, v48
	s_or_b64 s[24:25], vcc, s[2:3]
	s_cbranch_execnz .LBB130_19
.LBB130_18:
	s_waitcnt vmcnt(5)
	v_cmp_eq_f32_e32 vcc, v43, v47
	v_cmp_eq_f32_e64 s[2:3], v44, v48
	s_and_b64 s[2:3], vcc, s[2:3]
	s_andn2_b64 s[24:25], s[24:25], exec
	s_and_b64 s[2:3], s[2:3], exec
	s_or_b64 s[24:25], s[24:25], s[2:3]
.LBB130_19:
	s_and_b64 vcc, exec, s[0:1]
	s_cbranch_vccnz .LBB130_202
; %bb.20:
	s_waitcnt vmcnt(4)
	v_cmp_neq_f32_e32 vcc, v33, v37
	v_cmp_neq_f32_e64 s[2:3], v34, v38
	s_or_b64 s[26:27], vcc, s[2:3]
	s_cbranch_execnz .LBB130_22
.LBB130_21:
	s_waitcnt vmcnt(4)
	v_cmp_eq_f32_e32 vcc, v33, v37
	v_cmp_eq_f32_e64 s[2:3], v34, v38
	s_and_b64 s[2:3], vcc, s[2:3]
	s_andn2_b64 s[26:27], s[26:27], exec
	s_and_b64 s[2:3], s[2:3], exec
	s_or_b64 s[26:27], s[26:27], s[2:3]
.LBB130_22:
	s_and_b64 vcc, exec, s[0:1]
	s_cbranch_vccnz .LBB130_203
; %bb.23:
	s_waitcnt vmcnt(4)
	v_cmp_neq_f32_e32 vcc, v35, v39
	v_cmp_neq_f32_e64 s[2:3], v36, v40
	s_or_b64 s[28:29], vcc, s[2:3]
	s_cbranch_execnz .LBB130_25
.LBB130_24:
	s_waitcnt vmcnt(4)
	v_cmp_eq_f32_e32 vcc, v35, v39
	v_cmp_eq_f32_e64 s[2:3], v36, v40
	s_and_b64 s[2:3], vcc, s[2:3]
	s_andn2_b64 s[28:29], s[28:29], exec
	s_and_b64 s[2:3], s[2:3], exec
	s_or_b64 s[28:29], s[28:29], s[2:3]
.LBB130_25:
	s_and_b64 vcc, exec, s[0:1]
	s_cbranch_vccnz .LBB130_204
; %bb.26:
	s_waitcnt vmcnt(3)
	v_cmp_neq_f32_e32 vcc, v25, v29
	v_cmp_neq_f32_e64 s[2:3], v26, v30
	s_or_b64 s[30:31], vcc, s[2:3]
	s_cbranch_execnz .LBB130_28
.LBB130_27:
	s_waitcnt vmcnt(3)
	v_cmp_eq_f32_e32 vcc, v25, v29
	v_cmp_eq_f32_e64 s[2:3], v26, v30
	s_and_b64 s[2:3], vcc, s[2:3]
	s_andn2_b64 s[30:31], s[30:31], exec
	s_and_b64 s[2:3], s[2:3], exec
	s_or_b64 s[30:31], s[30:31], s[2:3]
.LBB130_28:
	s_and_b64 vcc, exec, s[0:1]
	s_cbranch_vccnz .LBB130_205
; %bb.29:
	s_waitcnt vmcnt(3)
	v_cmp_neq_f32_e32 vcc, v27, v31
	v_cmp_neq_f32_e64 s[2:3], v28, v32
	s_or_b64 s[34:35], vcc, s[2:3]
	s_cbranch_execnz .LBB130_31
.LBB130_30:
	s_waitcnt vmcnt(3)
	v_cmp_eq_f32_e32 vcc, v27, v31
	v_cmp_eq_f32_e64 s[2:3], v28, v32
	s_and_b64 s[2:3], vcc, s[2:3]
	s_andn2_b64 s[34:35], s[34:35], exec
	s_and_b64 s[2:3], s[2:3], exec
	s_or_b64 s[34:35], s[34:35], s[2:3]
.LBB130_31:
	s_and_b64 vcc, exec, s[0:1]
	s_cbranch_vccnz .LBB130_206
; %bb.32:
	s_waitcnt vmcnt(2)
	v_cmp_neq_f32_e32 vcc, v17, v21
	v_cmp_neq_f32_e64 s[2:3], v18, v22
	s_or_b64 s[36:37], vcc, s[2:3]
	s_cbranch_execnz .LBB130_34
.LBB130_33:
	s_waitcnt vmcnt(2)
	v_cmp_eq_f32_e32 vcc, v17, v21
	v_cmp_eq_f32_e64 s[2:3], v18, v22
	s_and_b64 s[2:3], vcc, s[2:3]
	s_andn2_b64 s[36:37], s[36:37], exec
	s_and_b64 s[2:3], s[2:3], exec
	s_or_b64 s[36:37], s[36:37], s[2:3]
.LBB130_34:
	s_and_b64 vcc, exec, s[0:1]
	s_cbranch_vccnz .LBB130_207
; %bb.35:
	s_waitcnt vmcnt(2)
	v_cmp_neq_f32_e32 vcc, v19, v23
	v_cmp_neq_f32_e64 s[2:3], v20, v24
	s_or_b64 s[38:39], vcc, s[2:3]
	s_cbranch_execnz .LBB130_37
.LBB130_36:
	s_waitcnt vmcnt(2)
	v_cmp_eq_f32_e32 vcc, v19, v23
	v_cmp_eq_f32_e64 s[2:3], v20, v24
	s_and_b64 s[2:3], vcc, s[2:3]
	s_andn2_b64 s[38:39], s[38:39], exec
	s_and_b64 s[2:3], s[2:3], exec
	s_or_b64 s[38:39], s[38:39], s[2:3]
.LBB130_37:
	s_and_b64 vcc, exec, s[0:1]
	s_cbranch_vccnz .LBB130_208
; %bb.38:
	s_waitcnt vmcnt(1)
	v_cmp_neq_f32_e32 vcc, v9, v13
	v_cmp_neq_f32_e64 s[2:3], v10, v14
	s_or_b64 s[40:41], vcc, s[2:3]
	s_cbranch_execnz .LBB130_40
.LBB130_39:
	s_waitcnt vmcnt(1)
	v_cmp_eq_f32_e32 vcc, v9, v13
	v_cmp_eq_f32_e64 s[2:3], v10, v14
	s_and_b64 s[2:3], vcc, s[2:3]
	s_andn2_b64 s[40:41], s[40:41], exec
	s_and_b64 s[2:3], s[2:3], exec
	s_or_b64 s[40:41], s[40:41], s[2:3]
.LBB130_40:
	s_and_b64 vcc, exec, s[0:1]
	s_cbranch_vccnz .LBB130_209
; %bb.41:
	s_waitcnt vmcnt(1)
	v_cmp_neq_f32_e32 vcc, v11, v15
	v_cmp_neq_f32_e64 s[2:3], v12, v16
	s_or_b64 s[42:43], vcc, s[2:3]
	s_cbranch_execnz .LBB130_43
.LBB130_42:
	s_waitcnt vmcnt(1)
	v_cmp_eq_f32_e32 vcc, v11, v15
	v_cmp_eq_f32_e64 s[2:3], v12, v16
	s_and_b64 s[2:3], vcc, s[2:3]
	s_andn2_b64 s[42:43], s[42:43], exec
	s_and_b64 s[2:3], s[2:3], exec
	s_or_b64 s[42:43], s[42:43], s[2:3]
.LBB130_43:
	s_and_b64 vcc, exec, s[0:1]
	s_cbranch_vccnz .LBB130_210
; %bb.44:
	s_waitcnt vmcnt(0)
	v_cmp_neq_f32_e32 vcc, v1, v5
	v_cmp_neq_f32_e64 s[2:3], v2, v6
	s_or_b64 s[44:45], vcc, s[2:3]
	s_cbranch_execnz .LBB130_46
.LBB130_45:
	s_waitcnt vmcnt(0)
	v_cmp_eq_f32_e32 vcc, v1, v5
	v_cmp_eq_f32_e64 s[2:3], v2, v6
	s_and_b64 s[2:3], vcc, s[2:3]
	s_andn2_b64 s[44:45], s[44:45], exec
	s_and_b64 s[2:3], s[2:3], exec
	s_or_b64 s[44:45], s[44:45], s[2:3]
.LBB130_46:
	s_and_b64 vcc, exec, s[0:1]
	s_cbranch_vccnz .LBB130_211
; %bb.47:
	s_waitcnt vmcnt(0)
	v_cmp_neq_f32_e32 vcc, v3, v7
	v_cmp_neq_f32_e64 s[0:1], v4, v8
	s_or_b64 s[2:3], vcc, s[0:1]
	s_cbranch_execnz .LBB130_49
.LBB130_48:
	s_waitcnt vmcnt(0)
	v_cmp_eq_f32_e32 vcc, v3, v7
	v_cmp_eq_f32_e64 s[0:1], v4, v8
	s_and_b64 s[0:1], vcc, s[0:1]
	s_andn2_b64 s[2:3], s[2:3], exec
	s_and_b64 s[0:1], s[0:1], exec
	s_or_b64 s[2:3], s[2:3], s[0:1]
.LBB130_49:
	s_waitcnt vmcnt(8)
	v_mov_b32_e32 v1, 0x100
	v_cndmask_b32_e64 v2, 0, v1, s[42:43]
	v_cndmask_b32_e64 v3, 0, 1, s[40:41]
	v_or_b32_e32 v2, v2, v3
	v_mov_b32_e32 v3, 0x10000
	s_waitcnt vmcnt(0)
	v_cndmask_b32_e64 v5, 0, v1, s[34:35]
	v_cndmask_b32_e64 v6, 0, 1, s[30:31]
	v_mov_b32_e32 v7, 0x1000000
	v_or_b32_e32 v5, v5, v6
	v_cndmask_b32_e64 v6, 0, v3, s[36:37]
	v_cndmask_b32_e64 v8, 0, v7, s[38:39]
	v_or3_b32 v5, v5, v6, v8
	v_cndmask_b32_e64 v6, 0, v1, s[24:25]
	v_cndmask_b32_e64 v8, 0, 1, s[22:23]
	v_or_b32_e32 v6, v6, v8
	v_cndmask_b32_e64 v8, 0, v3, s[26:27]
	v_cndmask_b32_e64 v9, 0, v7, s[28:29]
	v_or3_b32 v6, v6, v8, v9
	v_cndmask_b32_e64 v1, 0, v1, s[16:17]
	v_cndmask_b32_e64 v8, 0, 1, s[4:5]
	;; [unrolled: 1-line block ×3, first 2 shown]
	v_or_b32_e32 v1, v1, v8
	v_cndmask_b32_e64 v3, 0, v3, s[18:19]
	v_cndmask_b32_e64 v8, 0, v7, s[20:21]
	v_or3_b32 v1, v1, v3, v8
	v_cndmask_b32_e64 v3, 0, v7, s[2:3]
	s_add_u32 s0, s8, s6
	v_or3_b32 v2, v2, v4, v3
	s_addc_u32 s1, s9, s7
	v_lshlrev_b32_e32 v3, 2, v0
	global_store_dword v3, v1, s[0:1]
	global_store_dword v3, v6, s[0:1] offset:1024
	global_store_dword v3, v5, s[0:1] offset:2048
	;; [unrolled: 1-line block ×3, first 2 shown]
	s_mov_b64 s[0:1], 0
.LBB130_50:
	s_and_b64 vcc, exec, s[0:1]
	s_cbranch_vccz .LBB130_195
; %bb.51:
	v_cmp_gt_i32_e64 s[0:1], s33, v0
	v_mov_b32_e32 v15, 0
	v_or_b32_e32 v1, s6, v0
	v_mov_b32_e32 v47, 0
	v_mov_b32_e32 v46, 0
	;; [unrolled: 1-line block ×5, first 2 shown]
	s_and_saveexec_b64 s[2:3], s[0:1]
	s_cbranch_execz .LBB130_53
; %bb.52:
	v_mov_b32_e32 v2, 0
	v_lshlrev_b64 v[2:3], 3, v[1:2]
	v_mov_b32_e32 v5, s11
	v_add_co_u32_e32 v4, vcc, s10, v2
	v_addc_co_u32_e32 v5, vcc, v5, v3, vcc
	v_mov_b32_e32 v6, s15
	v_add_co_u32_e32 v2, vcc, s14, v2
	v_addc_co_u32_e32 v3, vcc, v6, v3, vcc
	global_load_dwordx2 v[46:47], v[4:5], off
	global_load_dwordx2 v[64:65], v[2:3], off
	v_or_b32_e32 v66, 0x100, v0
.LBB130_53:
	s_or_b64 exec, exec, s[2:3]
	v_cmp_gt_i32_e32 vcc, s33, v66
	v_mov_b32_e32 v14, 0
	v_mov_b32_e32 v61, 0
	v_mov_b32_e32 v60, 0
	s_and_saveexec_b64 s[2:3], vcc
	s_cbranch_execz .LBB130_55
; %bb.54:
	v_add_u32_e32 v2, s6, v66
	v_mov_b32_e32 v3, 0
	v_lshlrev_b64 v[2:3], 3, v[2:3]
	v_mov_b32_e32 v5, s11
	v_add_co_u32_e32 v4, vcc, s10, v2
	v_addc_co_u32_e32 v5, vcc, v5, v3, vcc
	v_mov_b32_e32 v6, s15
	v_add_co_u32_e32 v2, vcc, s14, v2
	v_addc_co_u32_e32 v3, vcc, v6, v3, vcc
	global_load_dwordx2 v[14:15], v[4:5], off
	global_load_dwordx2 v[60:61], v[2:3], off
	v_add_u32_e32 v66, 0x100, v66
.LBB130_55:
	s_or_b64 exec, exec, s[2:3]
	v_cmp_gt_i32_e32 vcc, s33, v66
	v_mov_b32_e32 v17, 0
	v_mov_b32_e32 v37, 0
	v_mov_b32_e32 v36, 0
	v_mov_b32_e32 v63, 0
	v_mov_b32_e32 v62, 0
	s_and_saveexec_b64 s[2:3], vcc
	s_cbranch_execz .LBB130_57
; %bb.56:
	v_add_u32_e32 v2, s6, v66
	v_mov_b32_e32 v3, 0
	v_lshlrev_b64 v[2:3], 3, v[2:3]
	v_mov_b32_e32 v5, s11
	v_add_co_u32_e32 v4, vcc, s10, v2
	v_addc_co_u32_e32 v5, vcc, v5, v3, vcc
	v_mov_b32_e32 v6, s15
	v_add_co_u32_e32 v2, vcc, s14, v2
	v_addc_co_u32_e32 v3, vcc, v6, v3, vcc
	global_load_dwordx2 v[36:37], v[4:5], off
	global_load_dwordx2 v[62:63], v[2:3], off
	v_add_u32_e32 v66, 0x100, v66
.LBB130_57:
	s_or_b64 exec, exec, s[2:3]
	v_cmp_gt_i32_e32 vcc, s33, v66
	v_mov_b32_e32 v16, 0
	v_mov_b32_e32 v57, 0
	v_mov_b32_e32 v56, 0
	s_and_saveexec_b64 s[2:3], vcc
	s_cbranch_execz .LBB130_59
; %bb.58:
	v_add_u32_e32 v2, s6, v66
	v_mov_b32_e32 v3, 0
	v_lshlrev_b64 v[2:3], 3, v[2:3]
	v_mov_b32_e32 v5, s11
	v_add_co_u32_e32 v4, vcc, s10, v2
	v_addc_co_u32_e32 v5, vcc, v5, v3, vcc
	v_mov_b32_e32 v6, s15
	v_add_co_u32_e32 v2, vcc, s14, v2
	v_addc_co_u32_e32 v3, vcc, v6, v3, vcc
	global_load_dwordx2 v[16:17], v[4:5], off
	global_load_dwordx2 v[56:57], v[2:3], off
	v_add_u32_e32 v66, 0x100, v66
.LBB130_59:
	s_or_b64 exec, exec, s[2:3]
	v_cmp_gt_i32_e32 vcc, s33, v66
	v_mov_b32_e32 v13, 0
	v_mov_b32_e32 v31, 0
	v_mov_b32_e32 v30, 0
	v_mov_b32_e32 v59, 0
	v_mov_b32_e32 v58, 0
	s_and_saveexec_b64 s[2:3], vcc
	s_cbranch_execz .LBB130_61
; %bb.60:
	v_add_u32_e32 v2, s6, v66
	v_mov_b32_e32 v3, 0
	v_lshlrev_b64 v[2:3], 3, v[2:3]
	v_mov_b32_e32 v5, s11
	v_add_co_u32_e32 v4, vcc, s10, v2
	v_addc_co_u32_e32 v5, vcc, v5, v3, vcc
	v_mov_b32_e32 v6, s15
	v_add_co_u32_e32 v2, vcc, s14, v2
	v_addc_co_u32_e32 v3, vcc, v6, v3, vcc
	global_load_dwordx2 v[30:31], v[4:5], off
	global_load_dwordx2 v[58:59], v[2:3], off
	v_add_u32_e32 v66, 0x100, v66
.LBB130_61:
	;; [unrolled: 44-line block ×7, first 2 shown]
	s_or_b64 exec, exec, s[2:3]
	v_cmp_gt_i32_e32 vcc, s33, v66
	v_mov_b32_e32 v2, 0
	v_mov_b32_e32 v27, 0
	;; [unrolled: 1-line block ×3, first 2 shown]
	s_and_saveexec_b64 s[2:3], vcc
	s_cbranch_execz .LBB130_83
; %bb.82:
	v_add_u32_e32 v2, s6, v66
	v_mov_b32_e32 v3, 0
	v_lshlrev_b64 v[2:3], 3, v[2:3]
	v_mov_b32_e32 v26, s11
	v_add_co_u32_e32 v66, vcc, s10, v2
	v_addc_co_u32_e32 v67, vcc, v26, v3, vcc
	v_mov_b32_e32 v26, s15
	v_add_co_u32_e32 v68, vcc, s14, v2
	v_addc_co_u32_e32 v69, vcc, v26, v3, vcc
	global_load_dwordx2 v[2:3], v[66:67], off
	global_load_dwordx2 v[26:27], v[68:69], off
.LBB130_83:
	s_or_b64 exec, exec, s[2:3]
	s_cmp_lg_u32 s13, 0
	s_cselect_b64 s[4:5], -1, 0
                                        ; implicit-def: $vgpr66
	s_and_saveexec_b64 s[10:11], s[0:1]
	s_cbranch_execz .LBB130_88
; %bb.84:
	s_and_b64 vcc, exec, s[4:5]
	s_cbranch_vccz .LBB130_212
; %bb.85:
	s_waitcnt vmcnt(0)
	v_cmp_neq_f32_e32 vcc, v46, v64
	v_cmp_neq_f32_e64 s[2:3], v47, v65
	s_or_b64 s[12:13], vcc, s[2:3]
	s_cbranch_execnz .LBB130_87
.LBB130_86:
	s_waitcnt vmcnt(0)
	v_cmp_eq_f32_e32 vcc, v46, v64
	v_cmp_eq_f32_e64 s[2:3], v47, v65
	s_and_b64 s[2:3], vcc, s[2:3]
	s_andn2_b64 s[12:13], s[12:13], exec
	s_and_b64 s[2:3], s[2:3], exec
	s_or_b64 s[12:13], s[12:13], s[2:3]
.LBB130_87:
	v_cndmask_b32_e64 v66, 0, 1, s[12:13]
.LBB130_88:
	s_or_b64 exec, exec, s[10:11]
	s_waitcnt vmcnt(1)
	v_or_b32_e32 v46, 0x100, v0
	v_cndmask_b32_e64 v47, 0, 1, s[4:5]
	v_cmp_gt_i32_e32 vcc, s33, v46
	v_cmp_ne_u32_e64 s[2:3], 1, v47
                                        ; implicit-def: $vgpr47
	s_and_saveexec_b64 s[10:11], vcc
	s_cbranch_execz .LBB130_93
; %bb.89:
	s_and_b64 vcc, exec, s[2:3]
	s_cbranch_vccnz .LBB130_213
; %bb.90:
	s_waitcnt vmcnt(0)
	v_cmp_neq_f32_e32 vcc, v14, v60
	v_cmp_neq_f32_e64 s[4:5], v15, v61
	s_or_b64 s[12:13], vcc, s[4:5]
	s_cbranch_execnz .LBB130_92
.LBB130_91:
	s_waitcnt vmcnt(0)
	v_cmp_eq_f32_e32 vcc, v14, v60
	v_cmp_eq_f32_e64 s[4:5], v15, v61
	s_and_b64 s[4:5], vcc, s[4:5]
	s_andn2_b64 s[12:13], s[12:13], exec
	s_and_b64 s[4:5], s[4:5], exec
	s_or_b64 s[12:13], s[12:13], s[4:5]
.LBB130_92:
	v_cndmask_b32_e64 v47, 0, 1, s[12:13]
.LBB130_93:
	s_or_b64 exec, exec, s[10:11]
	v_or_b32_e32 v14, 0x200, v0
	v_cmp_gt_i32_e32 vcc, s33, v14
                                        ; implicit-def: $vgpr14
	s_and_saveexec_b64 s[10:11], vcc
	s_cbranch_execz .LBB130_98
; %bb.94:
	s_and_b64 vcc, exec, s[2:3]
	s_cbranch_vccnz .LBB130_214
; %bb.95:
	s_waitcnt vmcnt(0)
	v_cmp_neq_f32_e32 vcc, v36, v62
	v_cmp_neq_f32_e64 s[4:5], v37, v63
	s_or_b64 s[12:13], vcc, s[4:5]
	s_cbranch_execnz .LBB130_97
.LBB130_96:
	s_waitcnt vmcnt(0)
	v_cmp_eq_f32_e32 vcc, v36, v62
	v_cmp_eq_f32_e64 s[4:5], v37, v63
	s_and_b64 s[4:5], vcc, s[4:5]
	s_andn2_b64 s[12:13], s[12:13], exec
	s_and_b64 s[4:5], s[4:5], exec
	s_or_b64 s[12:13], s[12:13], s[4:5]
.LBB130_97:
	v_cndmask_b32_e64 v14, 0, 1, s[12:13]
.LBB130_98:
	s_or_b64 exec, exec, s[10:11]
	v_or_b32_e32 v15, 0x300, v0
	v_cmp_gt_i32_e32 vcc, s33, v15
                                        ; implicit-def: $vgpr15
	s_and_saveexec_b64 s[10:11], vcc
	s_cbranch_execz .LBB130_103
; %bb.99:
	s_and_b64 vcc, exec, s[2:3]
	s_cbranch_vccnz .LBB130_215
; %bb.100:
	s_waitcnt vmcnt(0)
	v_cmp_neq_f32_e32 vcc, v16, v56
	v_cmp_neq_f32_e64 s[4:5], v17, v57
	s_or_b64 s[12:13], vcc, s[4:5]
	s_cbranch_execnz .LBB130_102
.LBB130_101:
	s_waitcnt vmcnt(0)
	v_cmp_eq_f32_e32 vcc, v16, v56
	v_cmp_eq_f32_e64 s[4:5], v17, v57
	s_and_b64 s[4:5], vcc, s[4:5]
	s_andn2_b64 s[12:13], s[12:13], exec
	s_and_b64 s[4:5], s[4:5], exec
	s_or_b64 s[12:13], s[12:13], s[4:5]
.LBB130_102:
	v_cndmask_b32_e64 v15, 0, 1, s[12:13]
.LBB130_103:
	s_or_b64 exec, exec, s[10:11]
	v_or_b32_e32 v16, 0x400, v0
	v_cmp_gt_i32_e32 vcc, s33, v16
                                        ; implicit-def: $vgpr16
	s_and_saveexec_b64 s[10:11], vcc
	s_cbranch_execz .LBB130_108
; %bb.104:
	s_and_b64 vcc, exec, s[2:3]
	s_cbranch_vccnz .LBB130_216
; %bb.105:
	s_waitcnt vmcnt(0)
	v_cmp_neq_f32_e32 vcc, v30, v58
	v_cmp_neq_f32_e64 s[4:5], v31, v59
	s_or_b64 s[12:13], vcc, s[4:5]
	s_cbranch_execnz .LBB130_107
.LBB130_106:
	s_waitcnt vmcnt(0)
	v_cmp_eq_f32_e32 vcc, v30, v58
	v_cmp_eq_f32_e64 s[4:5], v31, v59
	s_and_b64 s[4:5], vcc, s[4:5]
	s_andn2_b64 s[12:13], s[12:13], exec
	s_and_b64 s[4:5], s[4:5], exec
	s_or_b64 s[12:13], s[12:13], s[4:5]
.LBB130_107:
	v_cndmask_b32_e64 v16, 0, 1, s[12:13]
.LBB130_108:
	s_or_b64 exec, exec, s[10:11]
	v_or_b32_e32 v17, 0x500, v0
	v_cmp_gt_i32_e32 vcc, s33, v17
                                        ; implicit-def: $vgpr17
	s_and_saveexec_b64 s[10:11], vcc
	s_cbranch_execz .LBB130_113
; %bb.109:
	s_and_b64 vcc, exec, s[2:3]
	s_cbranch_vccnz .LBB130_217
; %bb.110:
	s_waitcnt vmcnt(0)
	v_cmp_neq_f32_e32 vcc, v12, v52
	v_cmp_neq_f32_e64 s[4:5], v13, v53
	s_or_b64 s[12:13], vcc, s[4:5]
	s_cbranch_execnz .LBB130_112
.LBB130_111:
	s_waitcnt vmcnt(0)
	v_cmp_eq_f32_e32 vcc, v12, v52
	v_cmp_eq_f32_e64 s[4:5], v13, v53
	s_and_b64 s[4:5], vcc, s[4:5]
	s_andn2_b64 s[12:13], s[12:13], exec
	s_and_b64 s[4:5], s[4:5], exec
	s_or_b64 s[12:13], s[12:13], s[4:5]
.LBB130_112:
	v_cndmask_b32_e64 v17, 0, 1, s[12:13]
.LBB130_113:
	s_or_b64 exec, exec, s[10:11]
	v_or_b32_e32 v12, 0x600, v0
	v_cmp_gt_i32_e32 vcc, s33, v12
                                        ; implicit-def: $vgpr12
	s_and_saveexec_b64 s[10:11], vcc
	s_cbranch_execz .LBB130_118
; %bb.114:
	s_and_b64 vcc, exec, s[2:3]
	s_cbranch_vccnz .LBB130_218
; %bb.115:
	s_waitcnt vmcnt(0)
	v_cmp_neq_f32_e32 vcc, v28, v54
	v_cmp_neq_f32_e64 s[4:5], v29, v55
	s_or_b64 s[12:13], vcc, s[4:5]
	s_cbranch_execnz .LBB130_117
.LBB130_116:
	s_waitcnt vmcnt(0)
	v_cmp_eq_f32_e32 vcc, v28, v54
	v_cmp_eq_f32_e64 s[4:5], v29, v55
	s_and_b64 s[4:5], vcc, s[4:5]
	s_andn2_b64 s[12:13], s[12:13], exec
	s_and_b64 s[4:5], s[4:5], exec
	s_or_b64 s[12:13], s[12:13], s[4:5]
.LBB130_117:
	v_cndmask_b32_e64 v12, 0, 1, s[12:13]
.LBB130_118:
	s_or_b64 exec, exec, s[10:11]
	v_or_b32_e32 v13, 0x700, v0
	v_cmp_gt_i32_e32 vcc, s33, v13
                                        ; implicit-def: $vgpr13
	s_and_saveexec_b64 s[10:11], vcc
	s_cbranch_execz .LBB130_123
; %bb.119:
	s_and_b64 vcc, exec, s[2:3]
	s_cbranch_vccnz .LBB130_219
; %bb.120:
	s_waitcnt vmcnt(0)
	v_cmp_neq_f32_e32 vcc, v10, v48
	v_cmp_neq_f32_e64 s[4:5], v11, v49
	s_or_b64 s[12:13], vcc, s[4:5]
	s_cbranch_execnz .LBB130_122
.LBB130_121:
	s_waitcnt vmcnt(0)
	v_cmp_eq_f32_e32 vcc, v10, v48
	v_cmp_eq_f32_e64 s[4:5], v11, v49
	s_and_b64 s[4:5], vcc, s[4:5]
	s_andn2_b64 s[12:13], s[12:13], exec
	s_and_b64 s[4:5], s[4:5], exec
	s_or_b64 s[12:13], s[12:13], s[4:5]
.LBB130_122:
	v_cndmask_b32_e64 v13, 0, 1, s[12:13]
.LBB130_123:
	s_or_b64 exec, exec, s[10:11]
	v_or_b32_e32 v10, 0x800, v0
	v_cmp_gt_i32_e32 vcc, s33, v10
                                        ; implicit-def: $vgpr10
	s_and_saveexec_b64 s[10:11], vcc
	s_cbranch_execz .LBB130_128
; %bb.124:
	s_and_b64 vcc, exec, s[2:3]
	s_cbranch_vccnz .LBB130_220
; %bb.125:
	s_waitcnt vmcnt(0)
	v_cmp_neq_f32_e32 vcc, v24, v50
	v_cmp_neq_f32_e64 s[4:5], v25, v51
	s_or_b64 s[12:13], vcc, s[4:5]
	s_cbranch_execnz .LBB130_127
.LBB130_126:
	s_waitcnt vmcnt(0)
	v_cmp_eq_f32_e32 vcc, v24, v50
	v_cmp_eq_f32_e64 s[4:5], v25, v51
	s_and_b64 s[4:5], vcc, s[4:5]
	s_andn2_b64 s[12:13], s[12:13], exec
	s_and_b64 s[4:5], s[4:5], exec
	s_or_b64 s[12:13], s[12:13], s[4:5]
.LBB130_127:
	v_cndmask_b32_e64 v10, 0, 1, s[12:13]
.LBB130_128:
	s_or_b64 exec, exec, s[10:11]
	v_or_b32_e32 v11, 0x900, v0
	v_cmp_gt_i32_e32 vcc, s33, v11
                                        ; implicit-def: $vgpr11
	s_and_saveexec_b64 s[10:11], vcc
	s_cbranch_execz .LBB130_133
; %bb.129:
	s_and_b64 vcc, exec, s[2:3]
	s_cbranch_vccnz .LBB130_221
; %bb.130:
	s_waitcnt vmcnt(0)
	v_cmp_neq_f32_e32 vcc, v8, v42
	v_cmp_neq_f32_e64 s[4:5], v9, v43
	s_or_b64 s[12:13], vcc, s[4:5]
	s_cbranch_execnz .LBB130_132
.LBB130_131:
	s_waitcnt vmcnt(0)
	v_cmp_eq_f32_e32 vcc, v8, v42
	v_cmp_eq_f32_e64 s[4:5], v9, v43
	s_and_b64 s[4:5], vcc, s[4:5]
	s_andn2_b64 s[12:13], s[12:13], exec
	s_and_b64 s[4:5], s[4:5], exec
	s_or_b64 s[12:13], s[12:13], s[4:5]
.LBB130_132:
	v_cndmask_b32_e64 v11, 0, 1, s[12:13]
.LBB130_133:
	s_or_b64 exec, exec, s[10:11]
	v_or_b32_e32 v8, 0xa00, v0
	v_cmp_gt_i32_e32 vcc, s33, v8
                                        ; implicit-def: $vgpr8
	s_and_saveexec_b64 s[10:11], vcc
	s_cbranch_execz .LBB130_138
; %bb.134:
	s_and_b64 vcc, exec, s[2:3]
	s_cbranch_vccnz .LBB130_222
; %bb.135:
	s_waitcnt vmcnt(0)
	v_cmp_neq_f32_e32 vcc, v22, v44
	v_cmp_neq_f32_e64 s[4:5], v23, v45
	s_or_b64 s[12:13], vcc, s[4:5]
	s_cbranch_execnz .LBB130_137
.LBB130_136:
	s_waitcnt vmcnt(0)
	v_cmp_eq_f32_e32 vcc, v22, v44
	v_cmp_eq_f32_e64 s[4:5], v23, v45
	s_and_b64 s[4:5], vcc, s[4:5]
	s_andn2_b64 s[12:13], s[12:13], exec
	s_and_b64 s[4:5], s[4:5], exec
	s_or_b64 s[12:13], s[12:13], s[4:5]
.LBB130_137:
	v_cndmask_b32_e64 v8, 0, 1, s[12:13]
.LBB130_138:
	s_or_b64 exec, exec, s[10:11]
	v_or_b32_e32 v9, 0xb00, v0
	v_cmp_gt_i32_e32 vcc, s33, v9
                                        ; implicit-def: $vgpr9
	s_and_saveexec_b64 s[10:11], vcc
	s_cbranch_execz .LBB130_143
; %bb.139:
	s_and_b64 vcc, exec, s[2:3]
	s_cbranch_vccnz .LBB130_223
; %bb.140:
	s_waitcnt vmcnt(0)
	v_cmp_neq_f32_e32 vcc, v6, v38
	v_cmp_neq_f32_e64 s[4:5], v7, v39
	s_or_b64 s[12:13], vcc, s[4:5]
	s_cbranch_execnz .LBB130_142
.LBB130_141:
	s_waitcnt vmcnt(0)
	v_cmp_eq_f32_e32 vcc, v6, v38
	v_cmp_eq_f32_e64 s[4:5], v7, v39
	s_and_b64 s[4:5], vcc, s[4:5]
	s_andn2_b64 s[12:13], s[12:13], exec
	s_and_b64 s[4:5], s[4:5], exec
	s_or_b64 s[12:13], s[12:13], s[4:5]
.LBB130_142:
	v_cndmask_b32_e64 v9, 0, 1, s[12:13]
.LBB130_143:
	s_or_b64 exec, exec, s[10:11]
	v_or_b32_e32 v6, 0xc00, v0
	v_cmp_gt_i32_e32 vcc, s33, v6
                                        ; implicit-def: $vgpr6
	s_and_saveexec_b64 s[10:11], vcc
	s_cbranch_execz .LBB130_148
; %bb.144:
	s_and_b64 vcc, exec, s[2:3]
	s_cbranch_vccnz .LBB130_224
; %bb.145:
	s_waitcnt vmcnt(0)
	v_cmp_neq_f32_e32 vcc, v20, v40
	v_cmp_neq_f32_e64 s[4:5], v21, v41
	s_or_b64 s[12:13], vcc, s[4:5]
	s_cbranch_execnz .LBB130_147
.LBB130_146:
	s_waitcnt vmcnt(0)
	v_cmp_eq_f32_e32 vcc, v20, v40
	v_cmp_eq_f32_e64 s[4:5], v21, v41
	s_and_b64 s[4:5], vcc, s[4:5]
	s_andn2_b64 s[12:13], s[12:13], exec
	s_and_b64 s[4:5], s[4:5], exec
	s_or_b64 s[12:13], s[12:13], s[4:5]
.LBB130_147:
	v_cndmask_b32_e64 v6, 0, 1, s[12:13]
.LBB130_148:
	s_or_b64 exec, exec, s[10:11]
	v_or_b32_e32 v7, 0xd00, v0
	v_cmp_gt_i32_e32 vcc, s33, v7
                                        ; implicit-def: $vgpr7
	s_and_saveexec_b64 s[10:11], vcc
	s_cbranch_execz .LBB130_153
; %bb.149:
	s_and_b64 vcc, exec, s[2:3]
	s_cbranch_vccnz .LBB130_225
; %bb.150:
	s_waitcnt vmcnt(0)
	v_cmp_neq_f32_e32 vcc, v4, v32
	v_cmp_neq_f32_e64 s[4:5], v5, v33
	s_or_b64 s[12:13], vcc, s[4:5]
	s_cbranch_execnz .LBB130_152
.LBB130_151:
	s_waitcnt vmcnt(0)
	v_cmp_eq_f32_e32 vcc, v4, v32
	v_cmp_eq_f32_e64 s[4:5], v5, v33
	s_and_b64 s[4:5], vcc, s[4:5]
	s_andn2_b64 s[12:13], s[12:13], exec
	s_and_b64 s[4:5], s[4:5], exec
	s_or_b64 s[12:13], s[12:13], s[4:5]
.LBB130_152:
	v_cndmask_b32_e64 v7, 0, 1, s[12:13]
.LBB130_153:
	s_or_b64 exec, exec, s[10:11]
	v_or_b32_e32 v4, 0xe00, v0
	v_cmp_gt_i32_e32 vcc, s33, v4
                                        ; implicit-def: $vgpr4
	s_and_saveexec_b64 s[10:11], vcc
	s_cbranch_execz .LBB130_158
; %bb.154:
	s_and_b64 vcc, exec, s[2:3]
	s_cbranch_vccnz .LBB130_226
; %bb.155:
	s_waitcnt vmcnt(0)
	v_cmp_neq_f32_e32 vcc, v18, v34
	v_cmp_neq_f32_e64 s[4:5], v19, v35
	s_or_b64 s[12:13], vcc, s[4:5]
	s_cbranch_execnz .LBB130_157
.LBB130_156:
	s_waitcnt vmcnt(0)
	v_cmp_eq_f32_e32 vcc, v18, v34
	v_cmp_eq_f32_e64 s[4:5], v19, v35
	s_and_b64 s[4:5], vcc, s[4:5]
	s_andn2_b64 s[12:13], s[12:13], exec
	s_and_b64 s[4:5], s[4:5], exec
	s_or_b64 s[12:13], s[12:13], s[4:5]
.LBB130_157:
	v_cndmask_b32_e64 v4, 0, 1, s[12:13]
.LBB130_158:
	s_or_b64 exec, exec, s[10:11]
	v_or_b32_e32 v5, 0xf00, v0
	v_cmp_gt_i32_e32 vcc, s33, v5
                                        ; implicit-def: $vgpr5
	s_and_saveexec_b64 s[4:5], vcc
	s_cbranch_execz .LBB130_163
; %bb.159:
	s_and_b64 vcc, exec, s[2:3]
	s_cbranch_vccnz .LBB130_227
; %bb.160:
	s_waitcnt vmcnt(0)
	v_cmp_neq_f32_e32 vcc, v2, v26
	v_cmp_neq_f32_e64 s[2:3], v3, v27
	s_or_b64 s[10:11], vcc, s[2:3]
	s_cbranch_execnz .LBB130_162
.LBB130_161:
	s_waitcnt vmcnt(0)
	v_cmp_eq_f32_e32 vcc, v2, v26
	v_cmp_eq_f32_e64 s[2:3], v3, v27
	s_and_b64 s[2:3], vcc, s[2:3]
	s_andn2_b64 s[10:11], s[10:11], exec
	s_and_b64 s[2:3], s[2:3], exec
	s_or_b64 s[10:11], s[10:11], s[2:3]
.LBB130_162:
	v_cndmask_b32_e64 v5, 0, 1, s[10:11]
.LBB130_163:
	s_or_b64 exec, exec, s[4:5]
	s_and_saveexec_b64 s[2:3], s[0:1]
	s_xor_b64 s[0:1], exec, s[2:3]
	s_cbranch_execz .LBB130_165
; %bb.164:
	v_mov_b32_e32 v0, v46
	global_store_byte v1, v66, s[8:9]
.LBB130_165:
	s_or_b64 exec, exec, s[0:1]
	v_cmp_gt_i32_e32 vcc, s33, v0
	s_and_saveexec_b64 s[0:1], vcc
	s_cbranch_execnz .LBB130_181
; %bb.166:
	s_or_b64 exec, exec, s[0:1]
	v_cmp_gt_i32_e32 vcc, s33, v0
	s_and_saveexec_b64 s[0:1], vcc
	s_cbranch_execnz .LBB130_182
.LBB130_167:
	s_or_b64 exec, exec, s[0:1]
	v_cmp_gt_i32_e32 vcc, s33, v0
	s_and_saveexec_b64 s[0:1], vcc
	s_cbranch_execnz .LBB130_183
.LBB130_168:
	s_or_b64 exec, exec, s[0:1]
	v_cmp_gt_i32_e32 vcc, s33, v0
	s_and_saveexec_b64 s[0:1], vcc
	s_cbranch_execnz .LBB130_184
.LBB130_169:
	s_or_b64 exec, exec, s[0:1]
	v_cmp_gt_i32_e32 vcc, s33, v0
	s_and_saveexec_b64 s[0:1], vcc
	s_cbranch_execnz .LBB130_185
.LBB130_170:
	s_or_b64 exec, exec, s[0:1]
	v_cmp_gt_i32_e32 vcc, s33, v0
	s_and_saveexec_b64 s[0:1], vcc
	s_cbranch_execnz .LBB130_186
.LBB130_171:
	s_or_b64 exec, exec, s[0:1]
	v_cmp_gt_i32_e32 vcc, s33, v0
	s_and_saveexec_b64 s[0:1], vcc
	s_cbranch_execnz .LBB130_187
.LBB130_172:
	s_or_b64 exec, exec, s[0:1]
	v_cmp_gt_i32_e32 vcc, s33, v0
	s_and_saveexec_b64 s[0:1], vcc
	s_cbranch_execnz .LBB130_188
.LBB130_173:
	s_or_b64 exec, exec, s[0:1]
	v_cmp_gt_i32_e32 vcc, s33, v0
	s_and_saveexec_b64 s[0:1], vcc
	s_cbranch_execnz .LBB130_189
.LBB130_174:
	s_or_b64 exec, exec, s[0:1]
	v_cmp_gt_i32_e32 vcc, s33, v0
	s_and_saveexec_b64 s[0:1], vcc
	s_cbranch_execnz .LBB130_190
.LBB130_175:
	s_or_b64 exec, exec, s[0:1]
	v_cmp_gt_i32_e32 vcc, s33, v0
	s_and_saveexec_b64 s[0:1], vcc
	s_cbranch_execnz .LBB130_191
.LBB130_176:
	s_or_b64 exec, exec, s[0:1]
	v_cmp_gt_i32_e32 vcc, s33, v0
	s_and_saveexec_b64 s[0:1], vcc
	s_cbranch_execnz .LBB130_192
.LBB130_177:
	s_or_b64 exec, exec, s[0:1]
	v_cmp_gt_i32_e32 vcc, s33, v0
	s_and_saveexec_b64 s[0:1], vcc
	s_cbranch_execnz .LBB130_193
.LBB130_178:
	s_or_b64 exec, exec, s[0:1]
	v_cmp_gt_i32_e32 vcc, s33, v0
	s_and_saveexec_b64 s[0:1], vcc
	s_cbranch_execnz .LBB130_194
.LBB130_179:
	s_or_b64 exec, exec, s[0:1]
	v_cmp_gt_i32_e32 vcc, s33, v0
	s_and_saveexec_b64 s[0:1], vcc
	s_cbranch_execz .LBB130_195
.LBB130_180:
	v_add_u32_e32 v0, s6, v0
	global_store_byte v0, v5, s[8:9]
	s_endpgm
.LBB130_181:
	v_add_u32_e32 v1, s6, v0
	v_add_u32_e32 v0, 0x100, v0
	global_store_byte v1, v47, s[8:9]
	s_or_b64 exec, exec, s[0:1]
	v_cmp_gt_i32_e32 vcc, s33, v0
	s_and_saveexec_b64 s[0:1], vcc
	s_cbranch_execz .LBB130_167
.LBB130_182:
	v_add_u32_e32 v1, s6, v0
	v_add_u32_e32 v0, 0x100, v0
	global_store_byte v1, v14, s[8:9]
	s_or_b64 exec, exec, s[0:1]
	v_cmp_gt_i32_e32 vcc, s33, v0
	s_and_saveexec_b64 s[0:1], vcc
	s_cbranch_execz .LBB130_168
.LBB130_183:
	v_add_u32_e32 v1, s6, v0
	v_add_u32_e32 v0, 0x100, v0
	global_store_byte v1, v15, s[8:9]
	s_or_b64 exec, exec, s[0:1]
	v_cmp_gt_i32_e32 vcc, s33, v0
	s_and_saveexec_b64 s[0:1], vcc
	s_cbranch_execz .LBB130_169
.LBB130_184:
	v_add_u32_e32 v1, s6, v0
	v_add_u32_e32 v0, 0x100, v0
	global_store_byte v1, v16, s[8:9]
	s_or_b64 exec, exec, s[0:1]
	v_cmp_gt_i32_e32 vcc, s33, v0
	s_and_saveexec_b64 s[0:1], vcc
	s_cbranch_execz .LBB130_170
.LBB130_185:
	v_add_u32_e32 v1, s6, v0
	v_add_u32_e32 v0, 0x100, v0
	global_store_byte v1, v17, s[8:9]
	s_or_b64 exec, exec, s[0:1]
	v_cmp_gt_i32_e32 vcc, s33, v0
	s_and_saveexec_b64 s[0:1], vcc
	s_cbranch_execz .LBB130_171
.LBB130_186:
	v_add_u32_e32 v1, s6, v0
	v_add_u32_e32 v0, 0x100, v0
	global_store_byte v1, v12, s[8:9]
	s_or_b64 exec, exec, s[0:1]
	v_cmp_gt_i32_e32 vcc, s33, v0
	s_and_saveexec_b64 s[0:1], vcc
	s_cbranch_execz .LBB130_172
.LBB130_187:
	v_add_u32_e32 v1, s6, v0
	v_add_u32_e32 v0, 0x100, v0
	global_store_byte v1, v13, s[8:9]
	s_or_b64 exec, exec, s[0:1]
	v_cmp_gt_i32_e32 vcc, s33, v0
	s_and_saveexec_b64 s[0:1], vcc
	s_cbranch_execz .LBB130_173
.LBB130_188:
	v_add_u32_e32 v1, s6, v0
	v_add_u32_e32 v0, 0x100, v0
	global_store_byte v1, v10, s[8:9]
	s_or_b64 exec, exec, s[0:1]
	v_cmp_gt_i32_e32 vcc, s33, v0
	s_and_saveexec_b64 s[0:1], vcc
	s_cbranch_execz .LBB130_174
.LBB130_189:
	v_add_u32_e32 v1, s6, v0
	v_add_u32_e32 v0, 0x100, v0
	global_store_byte v1, v11, s[8:9]
	s_or_b64 exec, exec, s[0:1]
	v_cmp_gt_i32_e32 vcc, s33, v0
	s_and_saveexec_b64 s[0:1], vcc
	s_cbranch_execz .LBB130_175
.LBB130_190:
	v_add_u32_e32 v1, s6, v0
	v_add_u32_e32 v0, 0x100, v0
	global_store_byte v1, v8, s[8:9]
	s_or_b64 exec, exec, s[0:1]
	v_cmp_gt_i32_e32 vcc, s33, v0
	s_and_saveexec_b64 s[0:1], vcc
	s_cbranch_execz .LBB130_176
.LBB130_191:
	v_add_u32_e32 v1, s6, v0
	v_add_u32_e32 v0, 0x100, v0
	global_store_byte v1, v9, s[8:9]
	s_or_b64 exec, exec, s[0:1]
	v_cmp_gt_i32_e32 vcc, s33, v0
	s_and_saveexec_b64 s[0:1], vcc
	s_cbranch_execz .LBB130_177
.LBB130_192:
	v_add_u32_e32 v1, s6, v0
	v_add_u32_e32 v0, 0x100, v0
	global_store_byte v1, v6, s[8:9]
	s_or_b64 exec, exec, s[0:1]
	v_cmp_gt_i32_e32 vcc, s33, v0
	s_and_saveexec_b64 s[0:1], vcc
	s_cbranch_execz .LBB130_178
.LBB130_193:
	v_add_u32_e32 v1, s6, v0
	v_add_u32_e32 v0, 0x100, v0
	global_store_byte v1, v7, s[8:9]
	s_or_b64 exec, exec, s[0:1]
	v_cmp_gt_i32_e32 vcc, s33, v0
	s_and_saveexec_b64 s[0:1], vcc
	s_cbranch_execz .LBB130_179
.LBB130_194:
	v_add_u32_e32 v1, s6, v0
	v_add_u32_e32 v0, 0x100, v0
	global_store_byte v1, v4, s[8:9]
	s_or_b64 exec, exec, s[0:1]
	v_cmp_gt_i32_e32 vcc, s33, v0
	s_and_saveexec_b64 s[0:1], vcc
	s_cbranch_execnz .LBB130_180
.LBB130_195:
	s_endpgm
.LBB130_196:
                                        ; implicit-def: $sgpr4_sgpr5
	s_branch .LBB130_3
.LBB130_197:
                                        ; implicit-def: $sgpr16_sgpr17
	s_branch .LBB130_6
.LBB130_198:
                                        ; implicit-def: $sgpr18_sgpr19
	s_branch .LBB130_9
.LBB130_199:
                                        ; implicit-def: $sgpr20_sgpr21
	s_branch .LBB130_12
.LBB130_200:
                                        ; implicit-def: $sgpr22_sgpr23
	s_branch .LBB130_15
.LBB130_201:
                                        ; implicit-def: $sgpr24_sgpr25
	s_branch .LBB130_18
.LBB130_202:
                                        ; implicit-def: $sgpr26_sgpr27
	s_branch .LBB130_21
.LBB130_203:
                                        ; implicit-def: $sgpr28_sgpr29
	s_branch .LBB130_24
.LBB130_204:
                                        ; implicit-def: $sgpr30_sgpr31
	s_branch .LBB130_27
.LBB130_205:
                                        ; implicit-def: $sgpr34_sgpr35
	s_branch .LBB130_30
.LBB130_206:
                                        ; implicit-def: $sgpr36_sgpr37
	s_branch .LBB130_33
.LBB130_207:
                                        ; implicit-def: $sgpr38_sgpr39
	s_branch .LBB130_36
.LBB130_208:
                                        ; implicit-def: $sgpr40_sgpr41
	s_branch .LBB130_39
.LBB130_209:
                                        ; implicit-def: $sgpr42_sgpr43
	s_branch .LBB130_42
.LBB130_210:
                                        ; implicit-def: $sgpr44_sgpr45
	s_branch .LBB130_45
.LBB130_211:
                                        ; implicit-def: $sgpr2_sgpr3
	s_branch .LBB130_48
.LBB130_212:
                                        ; implicit-def: $sgpr12_sgpr13
	s_branch .LBB130_86
.LBB130_213:
                                        ; implicit-def: $sgpr12_sgpr13
	s_branch .LBB130_91
.LBB130_214:
                                        ; implicit-def: $sgpr12_sgpr13
	s_branch .LBB130_96
.LBB130_215:
                                        ; implicit-def: $sgpr12_sgpr13
	s_branch .LBB130_101
.LBB130_216:
                                        ; implicit-def: $sgpr12_sgpr13
	s_branch .LBB130_106
.LBB130_217:
                                        ; implicit-def: $sgpr12_sgpr13
	s_branch .LBB130_111
.LBB130_218:
                                        ; implicit-def: $sgpr12_sgpr13
	s_branch .LBB130_116
.LBB130_219:
                                        ; implicit-def: $sgpr12_sgpr13
	s_branch .LBB130_121
.LBB130_220:
                                        ; implicit-def: $sgpr12_sgpr13
	s_branch .LBB130_126
.LBB130_221:
                                        ; implicit-def: $sgpr12_sgpr13
	s_branch .LBB130_131
.LBB130_222:
                                        ; implicit-def: $sgpr12_sgpr13
	s_branch .LBB130_136
.LBB130_223:
                                        ; implicit-def: $sgpr12_sgpr13
	s_branch .LBB130_141
.LBB130_224:
                                        ; implicit-def: $sgpr12_sgpr13
	s_branch .LBB130_146
.LBB130_225:
                                        ; implicit-def: $sgpr12_sgpr13
	s_branch .LBB130_151
.LBB130_226:
                                        ; implicit-def: $sgpr12_sgpr13
	s_branch .LBB130_156
.LBB130_227:
                                        ; implicit-def: $sgpr10_sgpr11
	s_branch .LBB130_161
	.section	.rodata,"a",@progbits
	.p2align	6, 0x0
	.amdhsa_kernel _ZN2at6native29vectorized_elementwise_kernelILi4ENS0_13BinaryFunctorIN3c107complexIfEES5_bNS0_12_GLOBAL__N_116CompareEqFunctorIS5_EEEESt5arrayIPcLm3EEEEviT0_T1_
		.amdhsa_group_segment_fixed_size 0
		.amdhsa_private_segment_fixed_size 0
		.amdhsa_kernarg_size 32
		.amdhsa_user_sgpr_count 6
		.amdhsa_user_sgpr_private_segment_buffer 1
		.amdhsa_user_sgpr_dispatch_ptr 0
		.amdhsa_user_sgpr_queue_ptr 0
		.amdhsa_user_sgpr_kernarg_segment_ptr 1
		.amdhsa_user_sgpr_dispatch_id 0
		.amdhsa_user_sgpr_flat_scratch_init 0
		.amdhsa_user_sgpr_private_segment_size 0
		.amdhsa_uses_dynamic_stack 0
		.amdhsa_system_sgpr_private_segment_wavefront_offset 0
		.amdhsa_system_sgpr_workgroup_id_x 1
		.amdhsa_system_sgpr_workgroup_id_y 0
		.amdhsa_system_sgpr_workgroup_id_z 0
		.amdhsa_system_sgpr_workgroup_info 0
		.amdhsa_system_vgpr_workitem_id 0
		.amdhsa_next_free_vgpr 70
		.amdhsa_next_free_sgpr 46
		.amdhsa_reserve_vcc 1
		.amdhsa_reserve_flat_scratch 0
		.amdhsa_float_round_mode_32 0
		.amdhsa_float_round_mode_16_64 0
		.amdhsa_float_denorm_mode_32 3
		.amdhsa_float_denorm_mode_16_64 3
		.amdhsa_dx10_clamp 1
		.amdhsa_ieee_mode 1
		.amdhsa_fp16_overflow 0
		.amdhsa_exception_fp_ieee_invalid_op 0
		.amdhsa_exception_fp_denorm_src 0
		.amdhsa_exception_fp_ieee_div_zero 0
		.amdhsa_exception_fp_ieee_overflow 0
		.amdhsa_exception_fp_ieee_underflow 0
		.amdhsa_exception_fp_ieee_inexact 0
		.amdhsa_exception_int_div_zero 0
	.end_amdhsa_kernel
	.section	.text._ZN2at6native29vectorized_elementwise_kernelILi4ENS0_13BinaryFunctorIN3c107complexIfEES5_bNS0_12_GLOBAL__N_116CompareEqFunctorIS5_EEEESt5arrayIPcLm3EEEEviT0_T1_,"axG",@progbits,_ZN2at6native29vectorized_elementwise_kernelILi4ENS0_13BinaryFunctorIN3c107complexIfEES5_bNS0_12_GLOBAL__N_116CompareEqFunctorIS5_EEEESt5arrayIPcLm3EEEEviT0_T1_,comdat
.Lfunc_end130:
	.size	_ZN2at6native29vectorized_elementwise_kernelILi4ENS0_13BinaryFunctorIN3c107complexIfEES5_bNS0_12_GLOBAL__N_116CompareEqFunctorIS5_EEEESt5arrayIPcLm3EEEEviT0_T1_, .Lfunc_end130-_ZN2at6native29vectorized_elementwise_kernelILi4ENS0_13BinaryFunctorIN3c107complexIfEES5_bNS0_12_GLOBAL__N_116CompareEqFunctorIS5_EEEESt5arrayIPcLm3EEEEviT0_T1_
                                        ; -- End function
	.set _ZN2at6native29vectorized_elementwise_kernelILi4ENS0_13BinaryFunctorIN3c107complexIfEES5_bNS0_12_GLOBAL__N_116CompareEqFunctorIS5_EEEESt5arrayIPcLm3EEEEviT0_T1_.num_vgpr, 70
	.set _ZN2at6native29vectorized_elementwise_kernelILi4ENS0_13BinaryFunctorIN3c107complexIfEES5_bNS0_12_GLOBAL__N_116CompareEqFunctorIS5_EEEESt5arrayIPcLm3EEEEviT0_T1_.num_agpr, 0
	.set _ZN2at6native29vectorized_elementwise_kernelILi4ENS0_13BinaryFunctorIN3c107complexIfEES5_bNS0_12_GLOBAL__N_116CompareEqFunctorIS5_EEEESt5arrayIPcLm3EEEEviT0_T1_.numbered_sgpr, 46
	.set _ZN2at6native29vectorized_elementwise_kernelILi4ENS0_13BinaryFunctorIN3c107complexIfEES5_bNS0_12_GLOBAL__N_116CompareEqFunctorIS5_EEEESt5arrayIPcLm3EEEEviT0_T1_.num_named_barrier, 0
	.set _ZN2at6native29vectorized_elementwise_kernelILi4ENS0_13BinaryFunctorIN3c107complexIfEES5_bNS0_12_GLOBAL__N_116CompareEqFunctorIS5_EEEESt5arrayIPcLm3EEEEviT0_T1_.private_seg_size, 0
	.set _ZN2at6native29vectorized_elementwise_kernelILi4ENS0_13BinaryFunctorIN3c107complexIfEES5_bNS0_12_GLOBAL__N_116CompareEqFunctorIS5_EEEESt5arrayIPcLm3EEEEviT0_T1_.uses_vcc, 1
	.set _ZN2at6native29vectorized_elementwise_kernelILi4ENS0_13BinaryFunctorIN3c107complexIfEES5_bNS0_12_GLOBAL__N_116CompareEqFunctorIS5_EEEESt5arrayIPcLm3EEEEviT0_T1_.uses_flat_scratch, 0
	.set _ZN2at6native29vectorized_elementwise_kernelILi4ENS0_13BinaryFunctorIN3c107complexIfEES5_bNS0_12_GLOBAL__N_116CompareEqFunctorIS5_EEEESt5arrayIPcLm3EEEEviT0_T1_.has_dyn_sized_stack, 0
	.set _ZN2at6native29vectorized_elementwise_kernelILi4ENS0_13BinaryFunctorIN3c107complexIfEES5_bNS0_12_GLOBAL__N_116CompareEqFunctorIS5_EEEESt5arrayIPcLm3EEEEviT0_T1_.has_recursion, 0
	.set _ZN2at6native29vectorized_elementwise_kernelILi4ENS0_13BinaryFunctorIN3c107complexIfEES5_bNS0_12_GLOBAL__N_116CompareEqFunctorIS5_EEEESt5arrayIPcLm3EEEEviT0_T1_.has_indirect_call, 0
	.section	.AMDGPU.csdata,"",@progbits
; Kernel info:
; codeLenInByte = 5676
; TotalNumSgprs: 50
; NumVgprs: 70
; ScratchSize: 0
; MemoryBound: 1
; FloatMode: 240
; IeeeMode: 1
; LDSByteSize: 0 bytes/workgroup (compile time only)
; SGPRBlocks: 6
; VGPRBlocks: 17
; NumSGPRsForWavesPerEU: 50
; NumVGPRsForWavesPerEU: 70
; Occupancy: 3
; WaveLimiterHint : 1
; COMPUTE_PGM_RSRC2:SCRATCH_EN: 0
; COMPUTE_PGM_RSRC2:USER_SGPR: 6
; COMPUTE_PGM_RSRC2:TRAP_HANDLER: 0
; COMPUTE_PGM_RSRC2:TGID_X_EN: 1
; COMPUTE_PGM_RSRC2:TGID_Y_EN: 0
; COMPUTE_PGM_RSRC2:TGID_Z_EN: 0
; COMPUTE_PGM_RSRC2:TIDIG_COMP_CNT: 0
	.section	.text._ZN2at6native29vectorized_elementwise_kernelILi2ENS0_13BinaryFunctorIN3c107complexIfEES5_bNS0_12_GLOBAL__N_116CompareEqFunctorIS5_EEEESt5arrayIPcLm3EEEEviT0_T1_,"axG",@progbits,_ZN2at6native29vectorized_elementwise_kernelILi2ENS0_13BinaryFunctorIN3c107complexIfEES5_bNS0_12_GLOBAL__N_116CompareEqFunctorIS5_EEEESt5arrayIPcLm3EEEEviT0_T1_,comdat
	.globl	_ZN2at6native29vectorized_elementwise_kernelILi2ENS0_13BinaryFunctorIN3c107complexIfEES5_bNS0_12_GLOBAL__N_116CompareEqFunctorIS5_EEEESt5arrayIPcLm3EEEEviT0_T1_ ; -- Begin function _ZN2at6native29vectorized_elementwise_kernelILi2ENS0_13BinaryFunctorIN3c107complexIfEES5_bNS0_12_GLOBAL__N_116CompareEqFunctorIS5_EEEESt5arrayIPcLm3EEEEviT0_T1_
	.p2align	8
	.type	_ZN2at6native29vectorized_elementwise_kernelILi2ENS0_13BinaryFunctorIN3c107complexIfEES5_bNS0_12_GLOBAL__N_116CompareEqFunctorIS5_EEEESt5arrayIPcLm3EEEEviT0_T1_,@function
_ZN2at6native29vectorized_elementwise_kernelILi2ENS0_13BinaryFunctorIN3c107complexIfEES5_bNS0_12_GLOBAL__N_116CompareEqFunctorIS5_EEEESt5arrayIPcLm3EEEEviT0_T1_: ; @_ZN2at6native29vectorized_elementwise_kernelILi2ENS0_13BinaryFunctorIN3c107complexIfEES5_bNS0_12_GLOBAL__N_116CompareEqFunctorIS5_EEEESt5arrayIPcLm3EEEEviT0_T1_
; %bb.0:
	s_load_dwordx2 s[12:13], s[4:5], 0x0
	s_load_dwordx4 s[8:11], s[4:5], 0x8
	s_load_dwordx2 s[14:15], s[4:5], 0x18
	s_lshl_b32 s6, s6, 12
	s_mov_b64 s[0:1], -1
	s_waitcnt lgkmcnt(0)
	s_sub_i32 s33, s12, s6
	s_cmpk_gt_i32 s33, 0xfff
	s_cbranch_scc0 .LBB131_50
; %bb.1:
	s_ashr_i32 s7, s6, 31
	s_lshl_b64 s[0:1], s[6:7], 3
	s_add_u32 s2, s10, s0
	s_addc_u32 s3, s11, s1
	v_lshlrev_b32_e32 v5, 4, v0
	v_mov_b32_e32 v1, s3
	v_add_co_u32_e32 v6, vcc, s2, v5
	v_addc_co_u32_e32 v7, vcc, 0, v1, vcc
	v_add_co_u32_e32 v1, vcc, 0x1000, v6
	v_addc_co_u32_e32 v2, vcc, 0, v7, vcc
	;; [unrolled: 2-line block ×3, first 2 shown]
	global_load_dwordx4 v[49:52], v[1:2], off
	global_load_dwordx4 v[41:44], v[3:4], off
	v_add_co_u32_e32 v1, vcc, 0x3000, v6
	v_addc_co_u32_e32 v2, vcc, 0, v7, vcc
	v_add_co_u32_e32 v3, vcc, 0x4000, v6
	v_addc_co_u32_e32 v4, vcc, 0, v7, vcc
	global_load_dwordx4 v[33:36], v[1:2], off
	global_load_dwordx4 v[25:28], v[3:4], off
	v_add_co_u32_e32 v1, vcc, 0x5000, v6
	v_addc_co_u32_e32 v2, vcc, 0, v7, vcc
	v_add_co_u32_e32 v3, vcc, 0x6000, v6
	v_addc_co_u32_e32 v4, vcc, 0, v7, vcc
	global_load_dwordx4 v[17:20], v[1:2], off
	global_load_dwordx4 v[9:12], v[3:4], off
	v_add_co_u32_e32 v1, vcc, 0x7000, v6
	s_add_u32 s0, s14, s0
	v_addc_co_u32_e32 v2, vcc, 0, v7, vcc
	s_addc_u32 s1, s15, s1
	v_mov_b32_e32 v6, s1
	v_add_co_u32_e32 v53, vcc, s0, v5
	s_movk_i32 s4, 0x2000
	v_addc_co_u32_e32 v54, vcc, 0, v6, vcc
	v_add_co_u32_e32 v65, vcc, s4, v53
	s_movk_i32 s5, 0x4000
	v_addc_co_u32_e32 v66, vcc, 0, v54, vcc
	global_load_dwordx4 v[1:4], v[1:2], off
	s_nop 0
	global_load_dwordx4 v[57:60], v5, s[2:3]
	global_load_dwordx4 v[61:64], v5, s[0:1]
	v_add_co_u32_e32 v5, vcc, s5, v53
	s_movk_i32 s12, 0x5000
	v_addc_co_u32_e32 v6, vcc, 0, v54, vcc
	global_load_dwordx4 v[45:48], v[65:66], off
	global_load_dwordx4 v[37:40], v[5:6], off offset:-4096
	global_load_dwordx4 v[29:32], v[5:6], off
	v_add_co_u32_e32 v5, vcc, s12, v53
	v_addc_co_u32_e32 v6, vcc, 0, v54, vcc
	v_add_co_u32_e32 v7, vcc, 0x6000, v53
	v_addc_co_u32_e32 v8, vcc, 0, v54, vcc
	v_add_co_u32_e32 v67, vcc, 0x7000, v53
	global_load_dwordx4 v[21:24], v[5:6], off
	global_load_dwordx4 v[13:16], v[7:8], off
	v_addc_co_u32_e32 v68, vcc, 0, v54, vcc
	global_load_dwordx4 v[53:56], v[65:66], off offset:-4096
	global_load_dwordx4 v[5:8], v[67:68], off
	s_cmp_lg_u32 s13, 0
	s_cselect_b64 s[2:3], -1, 0
	s_and_b64 vcc, exec, s[2:3]
	s_cbranch_vccz .LBB131_196
; %bb.2:
	s_waitcnt vmcnt(7)
	v_cmp_neq_f32_e32 vcc, v57, v61
	v_cmp_neq_f32_e64 s[0:1], v58, v62
	s_or_b64 s[4:5], vcc, s[0:1]
	s_cbranch_execnz .LBB131_4
.LBB131_3:
	s_waitcnt vmcnt(7)
	v_cmp_eq_f32_e32 vcc, v57, v61
	v_cmp_eq_f32_e64 s[0:1], v58, v62
	s_and_b64 s[0:1], vcc, s[0:1]
	s_andn2_b64 s[4:5], s[4:5], exec
	s_and_b64 s[0:1], s[0:1], exec
	s_or_b64 s[4:5], s[4:5], s[0:1]
.LBB131_4:
	s_waitcnt vmcnt(8)
	v_cndmask_b32_e64 v57, 0, 1, s[2:3]
	v_cmp_ne_u32_e64 s[0:1], 1, v57
	s_andn2_b64 vcc, exec, s[2:3]
	s_cbranch_vccnz .LBB131_197
; %bb.5:
	s_waitcnt vmcnt(7)
	v_cmp_neq_f32_e32 vcc, v59, v63
	v_cmp_neq_f32_e64 s[2:3], v60, v64
	s_or_b64 s[16:17], vcc, s[2:3]
	s_cbranch_execnz .LBB131_7
.LBB131_6:
	s_waitcnt vmcnt(7)
	v_cmp_eq_f32_e32 vcc, v59, v63
	v_cmp_eq_f32_e64 s[2:3], v60, v64
	s_and_b64 s[2:3], vcc, s[2:3]
	s_andn2_b64 s[16:17], s[16:17], exec
	s_and_b64 s[2:3], s[2:3], exec
	s_or_b64 s[16:17], s[16:17], s[2:3]
.LBB131_7:
	s_and_b64 vcc, exec, s[0:1]
	s_cbranch_vccnz .LBB131_198
; %bb.8:
	s_waitcnt vmcnt(1)
	v_cmp_neq_f32_e32 vcc, v49, v53
	v_cmp_neq_f32_e64 s[2:3], v50, v54
	s_or_b64 s[18:19], vcc, s[2:3]
	s_cbranch_execnz .LBB131_10
.LBB131_9:
	s_waitcnt vmcnt(1)
	v_cmp_eq_f32_e32 vcc, v49, v53
	v_cmp_eq_f32_e64 s[2:3], v50, v54
	s_and_b64 s[2:3], vcc, s[2:3]
	s_andn2_b64 s[18:19], s[18:19], exec
	s_and_b64 s[2:3], s[2:3], exec
	s_or_b64 s[18:19], s[18:19], s[2:3]
.LBB131_10:
	s_and_b64 vcc, exec, s[0:1]
	s_cbranch_vccnz .LBB131_199
; %bb.11:
	s_waitcnt vmcnt(1)
	v_cmp_neq_f32_e32 vcc, v51, v55
	v_cmp_neq_f32_e64 s[2:3], v52, v56
	s_or_b64 s[20:21], vcc, s[2:3]
	s_cbranch_execnz .LBB131_13
.LBB131_12:
	s_waitcnt vmcnt(1)
	v_cmp_eq_f32_e32 vcc, v51, v55
	v_cmp_eq_f32_e64 s[2:3], v52, v56
	s_and_b64 s[2:3], vcc, s[2:3]
	s_andn2_b64 s[20:21], s[20:21], exec
	s_and_b64 s[2:3], s[2:3], exec
	s_or_b64 s[20:21], s[20:21], s[2:3]
.LBB131_13:
	s_and_b64 vcc, exec, s[0:1]
	s_cbranch_vccnz .LBB131_200
; %bb.14:
	s_waitcnt vmcnt(6)
	v_cmp_neq_f32_e32 vcc, v41, v45
	v_cmp_neq_f32_e64 s[2:3], v42, v46
	s_or_b64 s[22:23], vcc, s[2:3]
	s_cbranch_execnz .LBB131_16
.LBB131_15:
	s_waitcnt vmcnt(6)
	v_cmp_eq_f32_e32 vcc, v41, v45
	v_cmp_eq_f32_e64 s[2:3], v42, v46
	s_and_b64 s[2:3], vcc, s[2:3]
	s_andn2_b64 s[22:23], s[22:23], exec
	s_and_b64 s[2:3], s[2:3], exec
	s_or_b64 s[22:23], s[22:23], s[2:3]
.LBB131_16:
	s_and_b64 vcc, exec, s[0:1]
	s_cbranch_vccnz .LBB131_201
; %bb.17:
	s_waitcnt vmcnt(6)
	v_cmp_neq_f32_e32 vcc, v43, v47
	v_cmp_neq_f32_e64 s[2:3], v44, v48
	s_or_b64 s[24:25], vcc, s[2:3]
	s_cbranch_execnz .LBB131_19
.LBB131_18:
	s_waitcnt vmcnt(6)
	v_cmp_eq_f32_e32 vcc, v43, v47
	v_cmp_eq_f32_e64 s[2:3], v44, v48
	s_and_b64 s[2:3], vcc, s[2:3]
	s_andn2_b64 s[24:25], s[24:25], exec
	s_and_b64 s[2:3], s[2:3], exec
	s_or_b64 s[24:25], s[24:25], s[2:3]
.LBB131_19:
	s_and_b64 vcc, exec, s[0:1]
	s_cbranch_vccnz .LBB131_202
; %bb.20:
	s_waitcnt vmcnt(5)
	v_cmp_neq_f32_e32 vcc, v33, v37
	v_cmp_neq_f32_e64 s[2:3], v34, v38
	s_or_b64 s[26:27], vcc, s[2:3]
	s_cbranch_execnz .LBB131_22
.LBB131_21:
	s_waitcnt vmcnt(5)
	v_cmp_eq_f32_e32 vcc, v33, v37
	v_cmp_eq_f32_e64 s[2:3], v34, v38
	s_and_b64 s[2:3], vcc, s[2:3]
	s_andn2_b64 s[26:27], s[26:27], exec
	s_and_b64 s[2:3], s[2:3], exec
	s_or_b64 s[26:27], s[26:27], s[2:3]
.LBB131_22:
	s_and_b64 vcc, exec, s[0:1]
	s_cbranch_vccnz .LBB131_203
; %bb.23:
	s_waitcnt vmcnt(5)
	v_cmp_neq_f32_e32 vcc, v35, v39
	v_cmp_neq_f32_e64 s[2:3], v36, v40
	s_or_b64 s[28:29], vcc, s[2:3]
	s_cbranch_execnz .LBB131_25
.LBB131_24:
	s_waitcnt vmcnt(5)
	v_cmp_eq_f32_e32 vcc, v35, v39
	v_cmp_eq_f32_e64 s[2:3], v36, v40
	s_and_b64 s[2:3], vcc, s[2:3]
	s_andn2_b64 s[28:29], s[28:29], exec
	s_and_b64 s[2:3], s[2:3], exec
	s_or_b64 s[28:29], s[28:29], s[2:3]
.LBB131_25:
	s_and_b64 vcc, exec, s[0:1]
	s_cbranch_vccnz .LBB131_204
; %bb.26:
	s_waitcnt vmcnt(4)
	v_cmp_neq_f32_e32 vcc, v25, v29
	v_cmp_neq_f32_e64 s[2:3], v26, v30
	s_or_b64 s[30:31], vcc, s[2:3]
	s_cbranch_execnz .LBB131_28
.LBB131_27:
	s_waitcnt vmcnt(4)
	v_cmp_eq_f32_e32 vcc, v25, v29
	v_cmp_eq_f32_e64 s[2:3], v26, v30
	s_and_b64 s[2:3], vcc, s[2:3]
	s_andn2_b64 s[30:31], s[30:31], exec
	s_and_b64 s[2:3], s[2:3], exec
	s_or_b64 s[30:31], s[30:31], s[2:3]
.LBB131_28:
	s_and_b64 vcc, exec, s[0:1]
	s_cbranch_vccnz .LBB131_205
; %bb.29:
	s_waitcnt vmcnt(4)
	v_cmp_neq_f32_e32 vcc, v27, v31
	v_cmp_neq_f32_e64 s[2:3], v28, v32
	s_or_b64 s[34:35], vcc, s[2:3]
	s_cbranch_execnz .LBB131_31
.LBB131_30:
	s_waitcnt vmcnt(4)
	v_cmp_eq_f32_e32 vcc, v27, v31
	v_cmp_eq_f32_e64 s[2:3], v28, v32
	s_and_b64 s[2:3], vcc, s[2:3]
	s_andn2_b64 s[34:35], s[34:35], exec
	s_and_b64 s[2:3], s[2:3], exec
	s_or_b64 s[34:35], s[34:35], s[2:3]
.LBB131_31:
	s_and_b64 vcc, exec, s[0:1]
	s_cbranch_vccnz .LBB131_206
; %bb.32:
	s_waitcnt vmcnt(3)
	v_cmp_neq_f32_e32 vcc, v17, v21
	v_cmp_neq_f32_e64 s[2:3], v18, v22
	s_or_b64 s[36:37], vcc, s[2:3]
	s_cbranch_execnz .LBB131_34
.LBB131_33:
	s_waitcnt vmcnt(3)
	v_cmp_eq_f32_e32 vcc, v17, v21
	v_cmp_eq_f32_e64 s[2:3], v18, v22
	s_and_b64 s[2:3], vcc, s[2:3]
	s_andn2_b64 s[36:37], s[36:37], exec
	s_and_b64 s[2:3], s[2:3], exec
	s_or_b64 s[36:37], s[36:37], s[2:3]
.LBB131_34:
	s_and_b64 vcc, exec, s[0:1]
	s_cbranch_vccnz .LBB131_207
; %bb.35:
	s_waitcnt vmcnt(3)
	v_cmp_neq_f32_e32 vcc, v19, v23
	v_cmp_neq_f32_e64 s[2:3], v20, v24
	s_or_b64 s[38:39], vcc, s[2:3]
	s_cbranch_execnz .LBB131_37
.LBB131_36:
	s_waitcnt vmcnt(3)
	v_cmp_eq_f32_e32 vcc, v19, v23
	v_cmp_eq_f32_e64 s[2:3], v20, v24
	s_and_b64 s[2:3], vcc, s[2:3]
	s_andn2_b64 s[38:39], s[38:39], exec
	s_and_b64 s[2:3], s[2:3], exec
	s_or_b64 s[38:39], s[38:39], s[2:3]
.LBB131_37:
	s_and_b64 vcc, exec, s[0:1]
	s_cbranch_vccnz .LBB131_208
; %bb.38:
	s_waitcnt vmcnt(2)
	v_cmp_neq_f32_e32 vcc, v9, v13
	v_cmp_neq_f32_e64 s[2:3], v10, v14
	s_or_b64 s[40:41], vcc, s[2:3]
	s_cbranch_execnz .LBB131_40
.LBB131_39:
	s_waitcnt vmcnt(2)
	v_cmp_eq_f32_e32 vcc, v9, v13
	v_cmp_eq_f32_e64 s[2:3], v10, v14
	s_and_b64 s[2:3], vcc, s[2:3]
	s_andn2_b64 s[40:41], s[40:41], exec
	s_and_b64 s[2:3], s[2:3], exec
	s_or_b64 s[40:41], s[40:41], s[2:3]
.LBB131_40:
	s_and_b64 vcc, exec, s[0:1]
	s_cbranch_vccnz .LBB131_209
; %bb.41:
	s_waitcnt vmcnt(2)
	v_cmp_neq_f32_e32 vcc, v11, v15
	v_cmp_neq_f32_e64 s[2:3], v12, v16
	s_or_b64 s[42:43], vcc, s[2:3]
	s_cbranch_execnz .LBB131_43
.LBB131_42:
	s_waitcnt vmcnt(2)
	v_cmp_eq_f32_e32 vcc, v11, v15
	v_cmp_eq_f32_e64 s[2:3], v12, v16
	s_and_b64 s[2:3], vcc, s[2:3]
	s_andn2_b64 s[42:43], s[42:43], exec
	s_and_b64 s[2:3], s[2:3], exec
	s_or_b64 s[42:43], s[42:43], s[2:3]
.LBB131_43:
	s_and_b64 vcc, exec, s[0:1]
	s_cbranch_vccnz .LBB131_210
; %bb.44:
	s_waitcnt vmcnt(0)
	v_cmp_neq_f32_e32 vcc, v1, v5
	v_cmp_neq_f32_e64 s[2:3], v2, v6
	s_or_b64 s[44:45], vcc, s[2:3]
	s_cbranch_execnz .LBB131_46
.LBB131_45:
	s_waitcnt vmcnt(0)
	v_cmp_eq_f32_e32 vcc, v1, v5
	v_cmp_eq_f32_e64 s[2:3], v2, v6
	s_and_b64 s[2:3], vcc, s[2:3]
	s_andn2_b64 s[44:45], s[44:45], exec
	s_and_b64 s[2:3], s[2:3], exec
	s_or_b64 s[44:45], s[44:45], s[2:3]
.LBB131_46:
	s_and_b64 vcc, exec, s[0:1]
	s_cbranch_vccnz .LBB131_211
; %bb.47:
	s_waitcnt vmcnt(0)
	v_cmp_neq_f32_e32 vcc, v3, v7
	v_cmp_neq_f32_e64 s[0:1], v4, v8
	s_or_b64 s[2:3], vcc, s[0:1]
	s_cbranch_execnz .LBB131_49
.LBB131_48:
	s_waitcnt vmcnt(0)
	v_cmp_eq_f32_e32 vcc, v3, v7
	v_cmp_eq_f32_e64 s[0:1], v4, v8
	s_and_b64 s[0:1], vcc, s[0:1]
	s_andn2_b64 s[2:3], s[2:3], exec
	s_and_b64 s[0:1], s[0:1], exec
	s_or_b64 s[2:3], s[2:3], s[0:1]
.LBB131_49:
	v_mov_b32_e32 v3, 0x100
	v_cndmask_b32_e64 v2, 0, 1, s[40:41]
	v_cndmask_b32_e64 v4, 0, v3, s[42:43]
	v_or_b32_e32 v2, v4, v2
	v_cndmask_b32_e64 v4, 0, 1, s[36:37]
	s_waitcnt vmcnt(0)
	v_cndmask_b32_e64 v5, 0, v3, s[38:39]
	v_or_b32_e32 v4, v5, v4
	v_cndmask_b32_e64 v5, 0, 1, s[30:31]
	v_cndmask_b32_e64 v6, 0, v3, s[34:35]
	v_or_b32_e32 v5, v6, v5
	v_cndmask_b32_e64 v6, 0, 1, s[26:27]
	;; [unrolled: 3-line block ×4, first 2 shown]
	v_cndmask_b32_e64 v9, 0, v3, s[20:21]
	v_cndmask_b32_e64 v1, 0, 1, s[44:45]
	v_or_b32_e32 v8, v9, v8
	v_cndmask_b32_e64 v9, 0, 1, s[4:5]
	v_cndmask_b32_e64 v10, 0, v3, s[16:17]
	;; [unrolled: 1-line block ×3, first 2 shown]
	s_add_u32 s0, s8, s6
	v_or_b32_e32 v9, v10, v9
	v_or_b32_e32 v1, v3, v1
	s_addc_u32 s1, s9, s7
	v_lshlrev_b32_e32 v3, 1, v0
	global_store_short v3, v9, s[0:1]
	global_store_short v3, v8, s[0:1] offset:512
	global_store_short v3, v7, s[0:1] offset:1024
	;; [unrolled: 1-line block ×7, first 2 shown]
	s_mov_b64 s[0:1], 0
.LBB131_50:
	s_and_b64 vcc, exec, s[0:1]
	s_cbranch_vccz .LBB131_195
; %bb.51:
	v_cmp_gt_i32_e64 s[0:1], s33, v0
	v_mov_b32_e32 v15, 0
	v_or_b32_e32 v1, s6, v0
	v_mov_b32_e32 v47, 0
	v_mov_b32_e32 v46, 0
	;; [unrolled: 1-line block ×5, first 2 shown]
	s_and_saveexec_b64 s[2:3], s[0:1]
	s_cbranch_execz .LBB131_53
; %bb.52:
	v_mov_b32_e32 v2, 0
	v_lshlrev_b64 v[2:3], 3, v[1:2]
	v_mov_b32_e32 v5, s11
	v_add_co_u32_e32 v4, vcc, s10, v2
	v_addc_co_u32_e32 v5, vcc, v5, v3, vcc
	v_mov_b32_e32 v6, s15
	v_add_co_u32_e32 v2, vcc, s14, v2
	v_addc_co_u32_e32 v3, vcc, v6, v3, vcc
	global_load_dwordx2 v[46:47], v[4:5], off
	global_load_dwordx2 v[64:65], v[2:3], off
	v_or_b32_e32 v66, 0x100, v0
.LBB131_53:
	s_or_b64 exec, exec, s[2:3]
	v_cmp_gt_i32_e32 vcc, s33, v66
	v_mov_b32_e32 v14, 0
	v_mov_b32_e32 v61, 0
	v_mov_b32_e32 v60, 0
	s_and_saveexec_b64 s[2:3], vcc
	s_cbranch_execz .LBB131_55
; %bb.54:
	v_add_u32_e32 v2, s6, v66
	v_mov_b32_e32 v3, 0
	v_lshlrev_b64 v[2:3], 3, v[2:3]
	v_mov_b32_e32 v5, s11
	v_add_co_u32_e32 v4, vcc, s10, v2
	v_addc_co_u32_e32 v5, vcc, v5, v3, vcc
	v_mov_b32_e32 v6, s15
	v_add_co_u32_e32 v2, vcc, s14, v2
	v_addc_co_u32_e32 v3, vcc, v6, v3, vcc
	global_load_dwordx2 v[14:15], v[4:5], off
	global_load_dwordx2 v[60:61], v[2:3], off
	v_add_u32_e32 v66, 0x100, v66
.LBB131_55:
	s_or_b64 exec, exec, s[2:3]
	v_cmp_gt_i32_e32 vcc, s33, v66
	v_mov_b32_e32 v17, 0
	v_mov_b32_e32 v37, 0
	v_mov_b32_e32 v36, 0
	v_mov_b32_e32 v63, 0
	v_mov_b32_e32 v62, 0
	s_and_saveexec_b64 s[2:3], vcc
	s_cbranch_execz .LBB131_57
; %bb.56:
	v_add_u32_e32 v2, s6, v66
	v_mov_b32_e32 v3, 0
	v_lshlrev_b64 v[2:3], 3, v[2:3]
	v_mov_b32_e32 v5, s11
	v_add_co_u32_e32 v4, vcc, s10, v2
	v_addc_co_u32_e32 v5, vcc, v5, v3, vcc
	v_mov_b32_e32 v6, s15
	v_add_co_u32_e32 v2, vcc, s14, v2
	v_addc_co_u32_e32 v3, vcc, v6, v3, vcc
	global_load_dwordx2 v[36:37], v[4:5], off
	global_load_dwordx2 v[62:63], v[2:3], off
	v_add_u32_e32 v66, 0x100, v66
.LBB131_57:
	s_or_b64 exec, exec, s[2:3]
	v_cmp_gt_i32_e32 vcc, s33, v66
	v_mov_b32_e32 v16, 0
	v_mov_b32_e32 v57, 0
	v_mov_b32_e32 v56, 0
	s_and_saveexec_b64 s[2:3], vcc
	s_cbranch_execz .LBB131_59
; %bb.58:
	v_add_u32_e32 v2, s6, v66
	v_mov_b32_e32 v3, 0
	v_lshlrev_b64 v[2:3], 3, v[2:3]
	v_mov_b32_e32 v5, s11
	v_add_co_u32_e32 v4, vcc, s10, v2
	v_addc_co_u32_e32 v5, vcc, v5, v3, vcc
	v_mov_b32_e32 v6, s15
	v_add_co_u32_e32 v2, vcc, s14, v2
	v_addc_co_u32_e32 v3, vcc, v6, v3, vcc
	global_load_dwordx2 v[16:17], v[4:5], off
	global_load_dwordx2 v[56:57], v[2:3], off
	v_add_u32_e32 v66, 0x100, v66
.LBB131_59:
	s_or_b64 exec, exec, s[2:3]
	v_cmp_gt_i32_e32 vcc, s33, v66
	v_mov_b32_e32 v13, 0
	v_mov_b32_e32 v31, 0
	v_mov_b32_e32 v30, 0
	v_mov_b32_e32 v59, 0
	v_mov_b32_e32 v58, 0
	s_and_saveexec_b64 s[2:3], vcc
	s_cbranch_execz .LBB131_61
; %bb.60:
	v_add_u32_e32 v2, s6, v66
	v_mov_b32_e32 v3, 0
	v_lshlrev_b64 v[2:3], 3, v[2:3]
	v_mov_b32_e32 v5, s11
	v_add_co_u32_e32 v4, vcc, s10, v2
	v_addc_co_u32_e32 v5, vcc, v5, v3, vcc
	v_mov_b32_e32 v6, s15
	v_add_co_u32_e32 v2, vcc, s14, v2
	v_addc_co_u32_e32 v3, vcc, v6, v3, vcc
	global_load_dwordx2 v[30:31], v[4:5], off
	global_load_dwordx2 v[58:59], v[2:3], off
	v_add_u32_e32 v66, 0x100, v66
.LBB131_61:
	;; [unrolled: 44-line block ×7, first 2 shown]
	s_or_b64 exec, exec, s[2:3]
	v_cmp_gt_i32_e32 vcc, s33, v66
	v_mov_b32_e32 v2, 0
	v_mov_b32_e32 v27, 0
	;; [unrolled: 1-line block ×3, first 2 shown]
	s_and_saveexec_b64 s[2:3], vcc
	s_cbranch_execz .LBB131_83
; %bb.82:
	v_add_u32_e32 v2, s6, v66
	v_mov_b32_e32 v3, 0
	v_lshlrev_b64 v[2:3], 3, v[2:3]
	v_mov_b32_e32 v26, s11
	v_add_co_u32_e32 v66, vcc, s10, v2
	v_addc_co_u32_e32 v67, vcc, v26, v3, vcc
	v_mov_b32_e32 v26, s15
	v_add_co_u32_e32 v68, vcc, s14, v2
	v_addc_co_u32_e32 v69, vcc, v26, v3, vcc
	global_load_dwordx2 v[2:3], v[66:67], off
	global_load_dwordx2 v[26:27], v[68:69], off
.LBB131_83:
	s_or_b64 exec, exec, s[2:3]
	s_cmp_lg_u32 s13, 0
	s_cselect_b64 s[4:5], -1, 0
                                        ; implicit-def: $vgpr66
	s_and_saveexec_b64 s[10:11], s[0:1]
	s_cbranch_execz .LBB131_88
; %bb.84:
	s_and_b64 vcc, exec, s[4:5]
	s_cbranch_vccz .LBB131_212
; %bb.85:
	s_waitcnt vmcnt(0)
	v_cmp_neq_f32_e32 vcc, v46, v64
	v_cmp_neq_f32_e64 s[2:3], v47, v65
	s_or_b64 s[12:13], vcc, s[2:3]
	s_cbranch_execnz .LBB131_87
.LBB131_86:
	s_waitcnt vmcnt(0)
	v_cmp_eq_f32_e32 vcc, v46, v64
	v_cmp_eq_f32_e64 s[2:3], v47, v65
	s_and_b64 s[2:3], vcc, s[2:3]
	s_andn2_b64 s[12:13], s[12:13], exec
	s_and_b64 s[2:3], s[2:3], exec
	s_or_b64 s[12:13], s[12:13], s[2:3]
.LBB131_87:
	v_cndmask_b32_e64 v66, 0, 1, s[12:13]
.LBB131_88:
	s_or_b64 exec, exec, s[10:11]
	s_waitcnt vmcnt(1)
	v_or_b32_e32 v46, 0x100, v0
	v_cndmask_b32_e64 v47, 0, 1, s[4:5]
	v_cmp_gt_i32_e32 vcc, s33, v46
	v_cmp_ne_u32_e64 s[2:3], 1, v47
                                        ; implicit-def: $vgpr47
	s_and_saveexec_b64 s[10:11], vcc
	s_cbranch_execz .LBB131_93
; %bb.89:
	s_and_b64 vcc, exec, s[2:3]
	s_cbranch_vccnz .LBB131_213
; %bb.90:
	s_waitcnt vmcnt(0)
	v_cmp_neq_f32_e32 vcc, v14, v60
	v_cmp_neq_f32_e64 s[4:5], v15, v61
	s_or_b64 s[12:13], vcc, s[4:5]
	s_cbranch_execnz .LBB131_92
.LBB131_91:
	s_waitcnt vmcnt(0)
	v_cmp_eq_f32_e32 vcc, v14, v60
	v_cmp_eq_f32_e64 s[4:5], v15, v61
	s_and_b64 s[4:5], vcc, s[4:5]
	s_andn2_b64 s[12:13], s[12:13], exec
	s_and_b64 s[4:5], s[4:5], exec
	s_or_b64 s[12:13], s[12:13], s[4:5]
.LBB131_92:
	v_cndmask_b32_e64 v47, 0, 1, s[12:13]
.LBB131_93:
	s_or_b64 exec, exec, s[10:11]
	v_or_b32_e32 v14, 0x200, v0
	v_cmp_gt_i32_e32 vcc, s33, v14
                                        ; implicit-def: $vgpr14
	s_and_saveexec_b64 s[10:11], vcc
	s_cbranch_execz .LBB131_98
; %bb.94:
	s_and_b64 vcc, exec, s[2:3]
	s_cbranch_vccnz .LBB131_214
; %bb.95:
	s_waitcnt vmcnt(0)
	v_cmp_neq_f32_e32 vcc, v36, v62
	v_cmp_neq_f32_e64 s[4:5], v37, v63
	s_or_b64 s[12:13], vcc, s[4:5]
	s_cbranch_execnz .LBB131_97
.LBB131_96:
	s_waitcnt vmcnt(0)
	v_cmp_eq_f32_e32 vcc, v36, v62
	v_cmp_eq_f32_e64 s[4:5], v37, v63
	s_and_b64 s[4:5], vcc, s[4:5]
	s_andn2_b64 s[12:13], s[12:13], exec
	s_and_b64 s[4:5], s[4:5], exec
	s_or_b64 s[12:13], s[12:13], s[4:5]
.LBB131_97:
	v_cndmask_b32_e64 v14, 0, 1, s[12:13]
.LBB131_98:
	s_or_b64 exec, exec, s[10:11]
	v_or_b32_e32 v15, 0x300, v0
	v_cmp_gt_i32_e32 vcc, s33, v15
                                        ; implicit-def: $vgpr15
	s_and_saveexec_b64 s[10:11], vcc
	s_cbranch_execz .LBB131_103
; %bb.99:
	s_and_b64 vcc, exec, s[2:3]
	s_cbranch_vccnz .LBB131_215
; %bb.100:
	s_waitcnt vmcnt(0)
	v_cmp_neq_f32_e32 vcc, v16, v56
	v_cmp_neq_f32_e64 s[4:5], v17, v57
	s_or_b64 s[12:13], vcc, s[4:5]
	s_cbranch_execnz .LBB131_102
.LBB131_101:
	s_waitcnt vmcnt(0)
	v_cmp_eq_f32_e32 vcc, v16, v56
	v_cmp_eq_f32_e64 s[4:5], v17, v57
	s_and_b64 s[4:5], vcc, s[4:5]
	s_andn2_b64 s[12:13], s[12:13], exec
	s_and_b64 s[4:5], s[4:5], exec
	s_or_b64 s[12:13], s[12:13], s[4:5]
.LBB131_102:
	v_cndmask_b32_e64 v15, 0, 1, s[12:13]
.LBB131_103:
	s_or_b64 exec, exec, s[10:11]
	v_or_b32_e32 v16, 0x400, v0
	v_cmp_gt_i32_e32 vcc, s33, v16
                                        ; implicit-def: $vgpr16
	s_and_saveexec_b64 s[10:11], vcc
	s_cbranch_execz .LBB131_108
; %bb.104:
	s_and_b64 vcc, exec, s[2:3]
	s_cbranch_vccnz .LBB131_216
; %bb.105:
	s_waitcnt vmcnt(0)
	v_cmp_neq_f32_e32 vcc, v30, v58
	v_cmp_neq_f32_e64 s[4:5], v31, v59
	s_or_b64 s[12:13], vcc, s[4:5]
	s_cbranch_execnz .LBB131_107
.LBB131_106:
	s_waitcnt vmcnt(0)
	v_cmp_eq_f32_e32 vcc, v30, v58
	v_cmp_eq_f32_e64 s[4:5], v31, v59
	s_and_b64 s[4:5], vcc, s[4:5]
	s_andn2_b64 s[12:13], s[12:13], exec
	s_and_b64 s[4:5], s[4:5], exec
	s_or_b64 s[12:13], s[12:13], s[4:5]
.LBB131_107:
	v_cndmask_b32_e64 v16, 0, 1, s[12:13]
.LBB131_108:
	s_or_b64 exec, exec, s[10:11]
	v_or_b32_e32 v17, 0x500, v0
	v_cmp_gt_i32_e32 vcc, s33, v17
                                        ; implicit-def: $vgpr17
	s_and_saveexec_b64 s[10:11], vcc
	s_cbranch_execz .LBB131_113
; %bb.109:
	s_and_b64 vcc, exec, s[2:3]
	s_cbranch_vccnz .LBB131_217
; %bb.110:
	s_waitcnt vmcnt(0)
	v_cmp_neq_f32_e32 vcc, v12, v52
	v_cmp_neq_f32_e64 s[4:5], v13, v53
	s_or_b64 s[12:13], vcc, s[4:5]
	s_cbranch_execnz .LBB131_112
.LBB131_111:
	s_waitcnt vmcnt(0)
	v_cmp_eq_f32_e32 vcc, v12, v52
	v_cmp_eq_f32_e64 s[4:5], v13, v53
	s_and_b64 s[4:5], vcc, s[4:5]
	s_andn2_b64 s[12:13], s[12:13], exec
	s_and_b64 s[4:5], s[4:5], exec
	s_or_b64 s[12:13], s[12:13], s[4:5]
.LBB131_112:
	v_cndmask_b32_e64 v17, 0, 1, s[12:13]
.LBB131_113:
	s_or_b64 exec, exec, s[10:11]
	v_or_b32_e32 v12, 0x600, v0
	v_cmp_gt_i32_e32 vcc, s33, v12
                                        ; implicit-def: $vgpr12
	s_and_saveexec_b64 s[10:11], vcc
	s_cbranch_execz .LBB131_118
; %bb.114:
	s_and_b64 vcc, exec, s[2:3]
	s_cbranch_vccnz .LBB131_218
; %bb.115:
	s_waitcnt vmcnt(0)
	v_cmp_neq_f32_e32 vcc, v28, v54
	v_cmp_neq_f32_e64 s[4:5], v29, v55
	s_or_b64 s[12:13], vcc, s[4:5]
	s_cbranch_execnz .LBB131_117
.LBB131_116:
	s_waitcnt vmcnt(0)
	v_cmp_eq_f32_e32 vcc, v28, v54
	v_cmp_eq_f32_e64 s[4:5], v29, v55
	s_and_b64 s[4:5], vcc, s[4:5]
	s_andn2_b64 s[12:13], s[12:13], exec
	s_and_b64 s[4:5], s[4:5], exec
	s_or_b64 s[12:13], s[12:13], s[4:5]
.LBB131_117:
	v_cndmask_b32_e64 v12, 0, 1, s[12:13]
.LBB131_118:
	s_or_b64 exec, exec, s[10:11]
	v_or_b32_e32 v13, 0x700, v0
	v_cmp_gt_i32_e32 vcc, s33, v13
                                        ; implicit-def: $vgpr13
	s_and_saveexec_b64 s[10:11], vcc
	s_cbranch_execz .LBB131_123
; %bb.119:
	s_and_b64 vcc, exec, s[2:3]
	s_cbranch_vccnz .LBB131_219
; %bb.120:
	s_waitcnt vmcnt(0)
	v_cmp_neq_f32_e32 vcc, v10, v48
	v_cmp_neq_f32_e64 s[4:5], v11, v49
	s_or_b64 s[12:13], vcc, s[4:5]
	s_cbranch_execnz .LBB131_122
.LBB131_121:
	s_waitcnt vmcnt(0)
	v_cmp_eq_f32_e32 vcc, v10, v48
	v_cmp_eq_f32_e64 s[4:5], v11, v49
	s_and_b64 s[4:5], vcc, s[4:5]
	s_andn2_b64 s[12:13], s[12:13], exec
	s_and_b64 s[4:5], s[4:5], exec
	s_or_b64 s[12:13], s[12:13], s[4:5]
.LBB131_122:
	v_cndmask_b32_e64 v13, 0, 1, s[12:13]
.LBB131_123:
	s_or_b64 exec, exec, s[10:11]
	v_or_b32_e32 v10, 0x800, v0
	v_cmp_gt_i32_e32 vcc, s33, v10
                                        ; implicit-def: $vgpr10
	s_and_saveexec_b64 s[10:11], vcc
	s_cbranch_execz .LBB131_128
; %bb.124:
	s_and_b64 vcc, exec, s[2:3]
	s_cbranch_vccnz .LBB131_220
; %bb.125:
	s_waitcnt vmcnt(0)
	v_cmp_neq_f32_e32 vcc, v24, v50
	v_cmp_neq_f32_e64 s[4:5], v25, v51
	s_or_b64 s[12:13], vcc, s[4:5]
	s_cbranch_execnz .LBB131_127
.LBB131_126:
	s_waitcnt vmcnt(0)
	v_cmp_eq_f32_e32 vcc, v24, v50
	v_cmp_eq_f32_e64 s[4:5], v25, v51
	s_and_b64 s[4:5], vcc, s[4:5]
	s_andn2_b64 s[12:13], s[12:13], exec
	s_and_b64 s[4:5], s[4:5], exec
	s_or_b64 s[12:13], s[12:13], s[4:5]
.LBB131_127:
	v_cndmask_b32_e64 v10, 0, 1, s[12:13]
.LBB131_128:
	s_or_b64 exec, exec, s[10:11]
	v_or_b32_e32 v11, 0x900, v0
	v_cmp_gt_i32_e32 vcc, s33, v11
                                        ; implicit-def: $vgpr11
	s_and_saveexec_b64 s[10:11], vcc
	s_cbranch_execz .LBB131_133
; %bb.129:
	s_and_b64 vcc, exec, s[2:3]
	s_cbranch_vccnz .LBB131_221
; %bb.130:
	s_waitcnt vmcnt(0)
	v_cmp_neq_f32_e32 vcc, v8, v42
	v_cmp_neq_f32_e64 s[4:5], v9, v43
	s_or_b64 s[12:13], vcc, s[4:5]
	s_cbranch_execnz .LBB131_132
.LBB131_131:
	s_waitcnt vmcnt(0)
	v_cmp_eq_f32_e32 vcc, v8, v42
	v_cmp_eq_f32_e64 s[4:5], v9, v43
	s_and_b64 s[4:5], vcc, s[4:5]
	s_andn2_b64 s[12:13], s[12:13], exec
	s_and_b64 s[4:5], s[4:5], exec
	s_or_b64 s[12:13], s[12:13], s[4:5]
.LBB131_132:
	v_cndmask_b32_e64 v11, 0, 1, s[12:13]
.LBB131_133:
	s_or_b64 exec, exec, s[10:11]
	v_or_b32_e32 v8, 0xa00, v0
	v_cmp_gt_i32_e32 vcc, s33, v8
                                        ; implicit-def: $vgpr8
	s_and_saveexec_b64 s[10:11], vcc
	s_cbranch_execz .LBB131_138
; %bb.134:
	s_and_b64 vcc, exec, s[2:3]
	s_cbranch_vccnz .LBB131_222
; %bb.135:
	s_waitcnt vmcnt(0)
	v_cmp_neq_f32_e32 vcc, v22, v44
	v_cmp_neq_f32_e64 s[4:5], v23, v45
	s_or_b64 s[12:13], vcc, s[4:5]
	s_cbranch_execnz .LBB131_137
.LBB131_136:
	s_waitcnt vmcnt(0)
	v_cmp_eq_f32_e32 vcc, v22, v44
	v_cmp_eq_f32_e64 s[4:5], v23, v45
	s_and_b64 s[4:5], vcc, s[4:5]
	s_andn2_b64 s[12:13], s[12:13], exec
	s_and_b64 s[4:5], s[4:5], exec
	s_or_b64 s[12:13], s[12:13], s[4:5]
.LBB131_137:
	v_cndmask_b32_e64 v8, 0, 1, s[12:13]
.LBB131_138:
	s_or_b64 exec, exec, s[10:11]
	v_or_b32_e32 v9, 0xb00, v0
	v_cmp_gt_i32_e32 vcc, s33, v9
                                        ; implicit-def: $vgpr9
	s_and_saveexec_b64 s[10:11], vcc
	s_cbranch_execz .LBB131_143
; %bb.139:
	s_and_b64 vcc, exec, s[2:3]
	s_cbranch_vccnz .LBB131_223
; %bb.140:
	s_waitcnt vmcnt(0)
	v_cmp_neq_f32_e32 vcc, v6, v38
	v_cmp_neq_f32_e64 s[4:5], v7, v39
	s_or_b64 s[12:13], vcc, s[4:5]
	s_cbranch_execnz .LBB131_142
.LBB131_141:
	s_waitcnt vmcnt(0)
	v_cmp_eq_f32_e32 vcc, v6, v38
	v_cmp_eq_f32_e64 s[4:5], v7, v39
	s_and_b64 s[4:5], vcc, s[4:5]
	s_andn2_b64 s[12:13], s[12:13], exec
	s_and_b64 s[4:5], s[4:5], exec
	s_or_b64 s[12:13], s[12:13], s[4:5]
.LBB131_142:
	v_cndmask_b32_e64 v9, 0, 1, s[12:13]
.LBB131_143:
	s_or_b64 exec, exec, s[10:11]
	v_or_b32_e32 v6, 0xc00, v0
	v_cmp_gt_i32_e32 vcc, s33, v6
                                        ; implicit-def: $vgpr6
	s_and_saveexec_b64 s[10:11], vcc
	s_cbranch_execz .LBB131_148
; %bb.144:
	s_and_b64 vcc, exec, s[2:3]
	s_cbranch_vccnz .LBB131_224
; %bb.145:
	s_waitcnt vmcnt(0)
	v_cmp_neq_f32_e32 vcc, v20, v40
	v_cmp_neq_f32_e64 s[4:5], v21, v41
	s_or_b64 s[12:13], vcc, s[4:5]
	s_cbranch_execnz .LBB131_147
.LBB131_146:
	s_waitcnt vmcnt(0)
	v_cmp_eq_f32_e32 vcc, v20, v40
	v_cmp_eq_f32_e64 s[4:5], v21, v41
	s_and_b64 s[4:5], vcc, s[4:5]
	s_andn2_b64 s[12:13], s[12:13], exec
	s_and_b64 s[4:5], s[4:5], exec
	s_or_b64 s[12:13], s[12:13], s[4:5]
.LBB131_147:
	v_cndmask_b32_e64 v6, 0, 1, s[12:13]
.LBB131_148:
	s_or_b64 exec, exec, s[10:11]
	v_or_b32_e32 v7, 0xd00, v0
	v_cmp_gt_i32_e32 vcc, s33, v7
                                        ; implicit-def: $vgpr7
	s_and_saveexec_b64 s[10:11], vcc
	s_cbranch_execz .LBB131_153
; %bb.149:
	s_and_b64 vcc, exec, s[2:3]
	s_cbranch_vccnz .LBB131_225
; %bb.150:
	s_waitcnt vmcnt(0)
	v_cmp_neq_f32_e32 vcc, v4, v32
	v_cmp_neq_f32_e64 s[4:5], v5, v33
	s_or_b64 s[12:13], vcc, s[4:5]
	s_cbranch_execnz .LBB131_152
.LBB131_151:
	s_waitcnt vmcnt(0)
	v_cmp_eq_f32_e32 vcc, v4, v32
	v_cmp_eq_f32_e64 s[4:5], v5, v33
	s_and_b64 s[4:5], vcc, s[4:5]
	s_andn2_b64 s[12:13], s[12:13], exec
	s_and_b64 s[4:5], s[4:5], exec
	s_or_b64 s[12:13], s[12:13], s[4:5]
.LBB131_152:
	v_cndmask_b32_e64 v7, 0, 1, s[12:13]
.LBB131_153:
	s_or_b64 exec, exec, s[10:11]
	v_or_b32_e32 v4, 0xe00, v0
	v_cmp_gt_i32_e32 vcc, s33, v4
                                        ; implicit-def: $vgpr4
	s_and_saveexec_b64 s[10:11], vcc
	s_cbranch_execz .LBB131_158
; %bb.154:
	s_and_b64 vcc, exec, s[2:3]
	s_cbranch_vccnz .LBB131_226
; %bb.155:
	s_waitcnt vmcnt(0)
	v_cmp_neq_f32_e32 vcc, v18, v34
	v_cmp_neq_f32_e64 s[4:5], v19, v35
	s_or_b64 s[12:13], vcc, s[4:5]
	s_cbranch_execnz .LBB131_157
.LBB131_156:
	s_waitcnt vmcnt(0)
	v_cmp_eq_f32_e32 vcc, v18, v34
	v_cmp_eq_f32_e64 s[4:5], v19, v35
	s_and_b64 s[4:5], vcc, s[4:5]
	s_andn2_b64 s[12:13], s[12:13], exec
	s_and_b64 s[4:5], s[4:5], exec
	s_or_b64 s[12:13], s[12:13], s[4:5]
.LBB131_157:
	v_cndmask_b32_e64 v4, 0, 1, s[12:13]
.LBB131_158:
	s_or_b64 exec, exec, s[10:11]
	v_or_b32_e32 v5, 0xf00, v0
	v_cmp_gt_i32_e32 vcc, s33, v5
                                        ; implicit-def: $vgpr5
	s_and_saveexec_b64 s[4:5], vcc
	s_cbranch_execz .LBB131_163
; %bb.159:
	s_and_b64 vcc, exec, s[2:3]
	s_cbranch_vccnz .LBB131_227
; %bb.160:
	s_waitcnt vmcnt(0)
	v_cmp_neq_f32_e32 vcc, v2, v26
	v_cmp_neq_f32_e64 s[2:3], v3, v27
	s_or_b64 s[10:11], vcc, s[2:3]
	s_cbranch_execnz .LBB131_162
.LBB131_161:
	s_waitcnt vmcnt(0)
	v_cmp_eq_f32_e32 vcc, v2, v26
	v_cmp_eq_f32_e64 s[2:3], v3, v27
	s_and_b64 s[2:3], vcc, s[2:3]
	s_andn2_b64 s[10:11], s[10:11], exec
	s_and_b64 s[2:3], s[2:3], exec
	s_or_b64 s[10:11], s[10:11], s[2:3]
.LBB131_162:
	v_cndmask_b32_e64 v5, 0, 1, s[10:11]
.LBB131_163:
	s_or_b64 exec, exec, s[4:5]
	s_and_saveexec_b64 s[2:3], s[0:1]
	s_xor_b64 s[0:1], exec, s[2:3]
	s_cbranch_execz .LBB131_165
; %bb.164:
	v_mov_b32_e32 v0, v46
	global_store_byte v1, v66, s[8:9]
.LBB131_165:
	s_or_b64 exec, exec, s[0:1]
	v_cmp_gt_i32_e32 vcc, s33, v0
	s_and_saveexec_b64 s[0:1], vcc
	s_cbranch_execnz .LBB131_181
; %bb.166:
	s_or_b64 exec, exec, s[0:1]
	v_cmp_gt_i32_e32 vcc, s33, v0
	s_and_saveexec_b64 s[0:1], vcc
	s_cbranch_execnz .LBB131_182
.LBB131_167:
	s_or_b64 exec, exec, s[0:1]
	v_cmp_gt_i32_e32 vcc, s33, v0
	s_and_saveexec_b64 s[0:1], vcc
	s_cbranch_execnz .LBB131_183
.LBB131_168:
	s_or_b64 exec, exec, s[0:1]
	v_cmp_gt_i32_e32 vcc, s33, v0
	s_and_saveexec_b64 s[0:1], vcc
	s_cbranch_execnz .LBB131_184
.LBB131_169:
	s_or_b64 exec, exec, s[0:1]
	v_cmp_gt_i32_e32 vcc, s33, v0
	s_and_saveexec_b64 s[0:1], vcc
	s_cbranch_execnz .LBB131_185
.LBB131_170:
	s_or_b64 exec, exec, s[0:1]
	v_cmp_gt_i32_e32 vcc, s33, v0
	s_and_saveexec_b64 s[0:1], vcc
	s_cbranch_execnz .LBB131_186
.LBB131_171:
	s_or_b64 exec, exec, s[0:1]
	v_cmp_gt_i32_e32 vcc, s33, v0
	s_and_saveexec_b64 s[0:1], vcc
	s_cbranch_execnz .LBB131_187
.LBB131_172:
	s_or_b64 exec, exec, s[0:1]
	v_cmp_gt_i32_e32 vcc, s33, v0
	s_and_saveexec_b64 s[0:1], vcc
	s_cbranch_execnz .LBB131_188
.LBB131_173:
	s_or_b64 exec, exec, s[0:1]
	v_cmp_gt_i32_e32 vcc, s33, v0
	s_and_saveexec_b64 s[0:1], vcc
	s_cbranch_execnz .LBB131_189
.LBB131_174:
	s_or_b64 exec, exec, s[0:1]
	v_cmp_gt_i32_e32 vcc, s33, v0
	s_and_saveexec_b64 s[0:1], vcc
	s_cbranch_execnz .LBB131_190
.LBB131_175:
	s_or_b64 exec, exec, s[0:1]
	v_cmp_gt_i32_e32 vcc, s33, v0
	s_and_saveexec_b64 s[0:1], vcc
	s_cbranch_execnz .LBB131_191
.LBB131_176:
	s_or_b64 exec, exec, s[0:1]
	v_cmp_gt_i32_e32 vcc, s33, v0
	s_and_saveexec_b64 s[0:1], vcc
	s_cbranch_execnz .LBB131_192
.LBB131_177:
	s_or_b64 exec, exec, s[0:1]
	v_cmp_gt_i32_e32 vcc, s33, v0
	s_and_saveexec_b64 s[0:1], vcc
	s_cbranch_execnz .LBB131_193
.LBB131_178:
	s_or_b64 exec, exec, s[0:1]
	v_cmp_gt_i32_e32 vcc, s33, v0
	s_and_saveexec_b64 s[0:1], vcc
	s_cbranch_execnz .LBB131_194
.LBB131_179:
	s_or_b64 exec, exec, s[0:1]
	v_cmp_gt_i32_e32 vcc, s33, v0
	s_and_saveexec_b64 s[0:1], vcc
	s_cbranch_execz .LBB131_195
.LBB131_180:
	v_add_u32_e32 v0, s6, v0
	global_store_byte v0, v5, s[8:9]
	s_endpgm
.LBB131_181:
	v_add_u32_e32 v1, s6, v0
	v_add_u32_e32 v0, 0x100, v0
	global_store_byte v1, v47, s[8:9]
	s_or_b64 exec, exec, s[0:1]
	v_cmp_gt_i32_e32 vcc, s33, v0
	s_and_saveexec_b64 s[0:1], vcc
	s_cbranch_execz .LBB131_167
.LBB131_182:
	v_add_u32_e32 v1, s6, v0
	v_add_u32_e32 v0, 0x100, v0
	global_store_byte v1, v14, s[8:9]
	s_or_b64 exec, exec, s[0:1]
	v_cmp_gt_i32_e32 vcc, s33, v0
	s_and_saveexec_b64 s[0:1], vcc
	s_cbranch_execz .LBB131_168
.LBB131_183:
	v_add_u32_e32 v1, s6, v0
	v_add_u32_e32 v0, 0x100, v0
	global_store_byte v1, v15, s[8:9]
	s_or_b64 exec, exec, s[0:1]
	v_cmp_gt_i32_e32 vcc, s33, v0
	s_and_saveexec_b64 s[0:1], vcc
	s_cbranch_execz .LBB131_169
.LBB131_184:
	v_add_u32_e32 v1, s6, v0
	v_add_u32_e32 v0, 0x100, v0
	global_store_byte v1, v16, s[8:9]
	s_or_b64 exec, exec, s[0:1]
	v_cmp_gt_i32_e32 vcc, s33, v0
	s_and_saveexec_b64 s[0:1], vcc
	s_cbranch_execz .LBB131_170
.LBB131_185:
	v_add_u32_e32 v1, s6, v0
	v_add_u32_e32 v0, 0x100, v0
	global_store_byte v1, v17, s[8:9]
	s_or_b64 exec, exec, s[0:1]
	v_cmp_gt_i32_e32 vcc, s33, v0
	s_and_saveexec_b64 s[0:1], vcc
	s_cbranch_execz .LBB131_171
.LBB131_186:
	v_add_u32_e32 v1, s6, v0
	v_add_u32_e32 v0, 0x100, v0
	global_store_byte v1, v12, s[8:9]
	s_or_b64 exec, exec, s[0:1]
	v_cmp_gt_i32_e32 vcc, s33, v0
	s_and_saveexec_b64 s[0:1], vcc
	s_cbranch_execz .LBB131_172
.LBB131_187:
	v_add_u32_e32 v1, s6, v0
	v_add_u32_e32 v0, 0x100, v0
	global_store_byte v1, v13, s[8:9]
	s_or_b64 exec, exec, s[0:1]
	v_cmp_gt_i32_e32 vcc, s33, v0
	s_and_saveexec_b64 s[0:1], vcc
	s_cbranch_execz .LBB131_173
.LBB131_188:
	v_add_u32_e32 v1, s6, v0
	v_add_u32_e32 v0, 0x100, v0
	global_store_byte v1, v10, s[8:9]
	s_or_b64 exec, exec, s[0:1]
	v_cmp_gt_i32_e32 vcc, s33, v0
	s_and_saveexec_b64 s[0:1], vcc
	s_cbranch_execz .LBB131_174
.LBB131_189:
	v_add_u32_e32 v1, s6, v0
	v_add_u32_e32 v0, 0x100, v0
	global_store_byte v1, v11, s[8:9]
	s_or_b64 exec, exec, s[0:1]
	v_cmp_gt_i32_e32 vcc, s33, v0
	s_and_saveexec_b64 s[0:1], vcc
	s_cbranch_execz .LBB131_175
.LBB131_190:
	v_add_u32_e32 v1, s6, v0
	v_add_u32_e32 v0, 0x100, v0
	global_store_byte v1, v8, s[8:9]
	s_or_b64 exec, exec, s[0:1]
	v_cmp_gt_i32_e32 vcc, s33, v0
	s_and_saveexec_b64 s[0:1], vcc
	s_cbranch_execz .LBB131_176
.LBB131_191:
	v_add_u32_e32 v1, s6, v0
	v_add_u32_e32 v0, 0x100, v0
	global_store_byte v1, v9, s[8:9]
	s_or_b64 exec, exec, s[0:1]
	v_cmp_gt_i32_e32 vcc, s33, v0
	s_and_saveexec_b64 s[0:1], vcc
	s_cbranch_execz .LBB131_177
.LBB131_192:
	v_add_u32_e32 v1, s6, v0
	v_add_u32_e32 v0, 0x100, v0
	global_store_byte v1, v6, s[8:9]
	s_or_b64 exec, exec, s[0:1]
	v_cmp_gt_i32_e32 vcc, s33, v0
	s_and_saveexec_b64 s[0:1], vcc
	s_cbranch_execz .LBB131_178
.LBB131_193:
	v_add_u32_e32 v1, s6, v0
	v_add_u32_e32 v0, 0x100, v0
	global_store_byte v1, v7, s[8:9]
	s_or_b64 exec, exec, s[0:1]
	v_cmp_gt_i32_e32 vcc, s33, v0
	s_and_saveexec_b64 s[0:1], vcc
	s_cbranch_execz .LBB131_179
.LBB131_194:
	v_add_u32_e32 v1, s6, v0
	v_add_u32_e32 v0, 0x100, v0
	global_store_byte v1, v4, s[8:9]
	s_or_b64 exec, exec, s[0:1]
	v_cmp_gt_i32_e32 vcc, s33, v0
	s_and_saveexec_b64 s[0:1], vcc
	s_cbranch_execnz .LBB131_180
.LBB131_195:
	s_endpgm
.LBB131_196:
                                        ; implicit-def: $sgpr4_sgpr5
	s_branch .LBB131_3
.LBB131_197:
                                        ; implicit-def: $sgpr16_sgpr17
	s_branch .LBB131_6
.LBB131_198:
                                        ; implicit-def: $sgpr18_sgpr19
	s_branch .LBB131_9
.LBB131_199:
                                        ; implicit-def: $sgpr20_sgpr21
	s_branch .LBB131_12
.LBB131_200:
                                        ; implicit-def: $sgpr22_sgpr23
	s_branch .LBB131_15
.LBB131_201:
                                        ; implicit-def: $sgpr24_sgpr25
	s_branch .LBB131_18
.LBB131_202:
                                        ; implicit-def: $sgpr26_sgpr27
	s_branch .LBB131_21
.LBB131_203:
                                        ; implicit-def: $sgpr28_sgpr29
	s_branch .LBB131_24
.LBB131_204:
                                        ; implicit-def: $sgpr30_sgpr31
	s_branch .LBB131_27
.LBB131_205:
                                        ; implicit-def: $sgpr34_sgpr35
	s_branch .LBB131_30
.LBB131_206:
                                        ; implicit-def: $sgpr36_sgpr37
	s_branch .LBB131_33
.LBB131_207:
                                        ; implicit-def: $sgpr38_sgpr39
	s_branch .LBB131_36
.LBB131_208:
                                        ; implicit-def: $sgpr40_sgpr41
	s_branch .LBB131_39
.LBB131_209:
                                        ; implicit-def: $sgpr42_sgpr43
	s_branch .LBB131_42
.LBB131_210:
                                        ; implicit-def: $sgpr44_sgpr45
	s_branch .LBB131_45
.LBB131_211:
                                        ; implicit-def: $sgpr2_sgpr3
	s_branch .LBB131_48
.LBB131_212:
                                        ; implicit-def: $sgpr12_sgpr13
	s_branch .LBB131_86
.LBB131_213:
                                        ; implicit-def: $sgpr12_sgpr13
	s_branch .LBB131_91
.LBB131_214:
                                        ; implicit-def: $sgpr12_sgpr13
	s_branch .LBB131_96
.LBB131_215:
                                        ; implicit-def: $sgpr12_sgpr13
	s_branch .LBB131_101
.LBB131_216:
                                        ; implicit-def: $sgpr12_sgpr13
	s_branch .LBB131_106
.LBB131_217:
                                        ; implicit-def: $sgpr12_sgpr13
	s_branch .LBB131_111
.LBB131_218:
                                        ; implicit-def: $sgpr12_sgpr13
	s_branch .LBB131_116
.LBB131_219:
                                        ; implicit-def: $sgpr12_sgpr13
	s_branch .LBB131_121
.LBB131_220:
                                        ; implicit-def: $sgpr12_sgpr13
	s_branch .LBB131_126
.LBB131_221:
                                        ; implicit-def: $sgpr12_sgpr13
	s_branch .LBB131_131
.LBB131_222:
                                        ; implicit-def: $sgpr12_sgpr13
	s_branch .LBB131_136
.LBB131_223:
                                        ; implicit-def: $sgpr12_sgpr13
	s_branch .LBB131_141
.LBB131_224:
                                        ; implicit-def: $sgpr12_sgpr13
	s_branch .LBB131_146
.LBB131_225:
                                        ; implicit-def: $sgpr12_sgpr13
	s_branch .LBB131_151
.LBB131_226:
                                        ; implicit-def: $sgpr12_sgpr13
	s_branch .LBB131_156
.LBB131_227:
                                        ; implicit-def: $sgpr10_sgpr11
	s_branch .LBB131_161
	.section	.rodata,"a",@progbits
	.p2align	6, 0x0
	.amdhsa_kernel _ZN2at6native29vectorized_elementwise_kernelILi2ENS0_13BinaryFunctorIN3c107complexIfEES5_bNS0_12_GLOBAL__N_116CompareEqFunctorIS5_EEEESt5arrayIPcLm3EEEEviT0_T1_
		.amdhsa_group_segment_fixed_size 0
		.amdhsa_private_segment_fixed_size 0
		.amdhsa_kernarg_size 32
		.amdhsa_user_sgpr_count 6
		.amdhsa_user_sgpr_private_segment_buffer 1
		.amdhsa_user_sgpr_dispatch_ptr 0
		.amdhsa_user_sgpr_queue_ptr 0
		.amdhsa_user_sgpr_kernarg_segment_ptr 1
		.amdhsa_user_sgpr_dispatch_id 0
		.amdhsa_user_sgpr_flat_scratch_init 0
		.amdhsa_user_sgpr_private_segment_size 0
		.amdhsa_uses_dynamic_stack 0
		.amdhsa_system_sgpr_private_segment_wavefront_offset 0
		.amdhsa_system_sgpr_workgroup_id_x 1
		.amdhsa_system_sgpr_workgroup_id_y 0
		.amdhsa_system_sgpr_workgroup_id_z 0
		.amdhsa_system_sgpr_workgroup_info 0
		.amdhsa_system_vgpr_workitem_id 0
		.amdhsa_next_free_vgpr 70
		.amdhsa_next_free_sgpr 46
		.amdhsa_reserve_vcc 1
		.amdhsa_reserve_flat_scratch 0
		.amdhsa_float_round_mode_32 0
		.amdhsa_float_round_mode_16_64 0
		.amdhsa_float_denorm_mode_32 3
		.amdhsa_float_denorm_mode_16_64 3
		.amdhsa_dx10_clamp 1
		.amdhsa_ieee_mode 1
		.amdhsa_fp16_overflow 0
		.amdhsa_exception_fp_ieee_invalid_op 0
		.amdhsa_exception_fp_denorm_src 0
		.amdhsa_exception_fp_ieee_div_zero 0
		.amdhsa_exception_fp_ieee_overflow 0
		.amdhsa_exception_fp_ieee_underflow 0
		.amdhsa_exception_fp_ieee_inexact 0
		.amdhsa_exception_int_div_zero 0
	.end_amdhsa_kernel
	.section	.text._ZN2at6native29vectorized_elementwise_kernelILi2ENS0_13BinaryFunctorIN3c107complexIfEES5_bNS0_12_GLOBAL__N_116CompareEqFunctorIS5_EEEESt5arrayIPcLm3EEEEviT0_T1_,"axG",@progbits,_ZN2at6native29vectorized_elementwise_kernelILi2ENS0_13BinaryFunctorIN3c107complexIfEES5_bNS0_12_GLOBAL__N_116CompareEqFunctorIS5_EEEESt5arrayIPcLm3EEEEviT0_T1_,comdat
.Lfunc_end131:
	.size	_ZN2at6native29vectorized_elementwise_kernelILi2ENS0_13BinaryFunctorIN3c107complexIfEES5_bNS0_12_GLOBAL__N_116CompareEqFunctorIS5_EEEESt5arrayIPcLm3EEEEviT0_T1_, .Lfunc_end131-_ZN2at6native29vectorized_elementwise_kernelILi2ENS0_13BinaryFunctorIN3c107complexIfEES5_bNS0_12_GLOBAL__N_116CompareEqFunctorIS5_EEEESt5arrayIPcLm3EEEEviT0_T1_
                                        ; -- End function
	.set _ZN2at6native29vectorized_elementwise_kernelILi2ENS0_13BinaryFunctorIN3c107complexIfEES5_bNS0_12_GLOBAL__N_116CompareEqFunctorIS5_EEEESt5arrayIPcLm3EEEEviT0_T1_.num_vgpr, 70
	.set _ZN2at6native29vectorized_elementwise_kernelILi2ENS0_13BinaryFunctorIN3c107complexIfEES5_bNS0_12_GLOBAL__N_116CompareEqFunctorIS5_EEEESt5arrayIPcLm3EEEEviT0_T1_.num_agpr, 0
	.set _ZN2at6native29vectorized_elementwise_kernelILi2ENS0_13BinaryFunctorIN3c107complexIfEES5_bNS0_12_GLOBAL__N_116CompareEqFunctorIS5_EEEESt5arrayIPcLm3EEEEviT0_T1_.numbered_sgpr, 46
	.set _ZN2at6native29vectorized_elementwise_kernelILi2ENS0_13BinaryFunctorIN3c107complexIfEES5_bNS0_12_GLOBAL__N_116CompareEqFunctorIS5_EEEESt5arrayIPcLm3EEEEviT0_T1_.num_named_barrier, 0
	.set _ZN2at6native29vectorized_elementwise_kernelILi2ENS0_13BinaryFunctorIN3c107complexIfEES5_bNS0_12_GLOBAL__N_116CompareEqFunctorIS5_EEEESt5arrayIPcLm3EEEEviT0_T1_.private_seg_size, 0
	.set _ZN2at6native29vectorized_elementwise_kernelILi2ENS0_13BinaryFunctorIN3c107complexIfEES5_bNS0_12_GLOBAL__N_116CompareEqFunctorIS5_EEEESt5arrayIPcLm3EEEEviT0_T1_.uses_vcc, 1
	.set _ZN2at6native29vectorized_elementwise_kernelILi2ENS0_13BinaryFunctorIN3c107complexIfEES5_bNS0_12_GLOBAL__N_116CompareEqFunctorIS5_EEEESt5arrayIPcLm3EEEEviT0_T1_.uses_flat_scratch, 0
	.set _ZN2at6native29vectorized_elementwise_kernelILi2ENS0_13BinaryFunctorIN3c107complexIfEES5_bNS0_12_GLOBAL__N_116CompareEqFunctorIS5_EEEESt5arrayIPcLm3EEEEviT0_T1_.has_dyn_sized_stack, 0
	.set _ZN2at6native29vectorized_elementwise_kernelILi2ENS0_13BinaryFunctorIN3c107complexIfEES5_bNS0_12_GLOBAL__N_116CompareEqFunctorIS5_EEEESt5arrayIPcLm3EEEEviT0_T1_.has_recursion, 0
	.set _ZN2at6native29vectorized_elementwise_kernelILi2ENS0_13BinaryFunctorIN3c107complexIfEES5_bNS0_12_GLOBAL__N_116CompareEqFunctorIS5_EEEESt5arrayIPcLm3EEEEviT0_T1_.has_indirect_call, 0
	.section	.AMDGPU.csdata,"",@progbits
; Kernel info:
; codeLenInByte = 5692
; TotalNumSgprs: 50
; NumVgprs: 70
; ScratchSize: 0
; MemoryBound: 0
; FloatMode: 240
; IeeeMode: 1
; LDSByteSize: 0 bytes/workgroup (compile time only)
; SGPRBlocks: 6
; VGPRBlocks: 17
; NumSGPRsForWavesPerEU: 50
; NumVGPRsForWavesPerEU: 70
; Occupancy: 3
; WaveLimiterHint : 1
; COMPUTE_PGM_RSRC2:SCRATCH_EN: 0
; COMPUTE_PGM_RSRC2:USER_SGPR: 6
; COMPUTE_PGM_RSRC2:TRAP_HANDLER: 0
; COMPUTE_PGM_RSRC2:TGID_X_EN: 1
; COMPUTE_PGM_RSRC2:TGID_Y_EN: 0
; COMPUTE_PGM_RSRC2:TGID_Z_EN: 0
; COMPUTE_PGM_RSRC2:TIDIG_COMP_CNT: 0
	.section	.text._ZN2at6native27unrolled_elementwise_kernelINS0_13BinaryFunctorIN3c107complexIfEES5_bNS0_12_GLOBAL__N_116CompareEqFunctorIS5_EEEESt5arrayIPcLm3EELi4E23TrivialOffsetCalculatorILi2EjESD_ILi1EjENS0_6memory15LoadWithoutCastENSG_16StoreWithoutCastEEEviT_T0_T2_T3_T4_T5_,"axG",@progbits,_ZN2at6native27unrolled_elementwise_kernelINS0_13BinaryFunctorIN3c107complexIfEES5_bNS0_12_GLOBAL__N_116CompareEqFunctorIS5_EEEESt5arrayIPcLm3EELi4E23TrivialOffsetCalculatorILi2EjESD_ILi1EjENS0_6memory15LoadWithoutCastENSG_16StoreWithoutCastEEEviT_T0_T2_T3_T4_T5_,comdat
	.globl	_ZN2at6native27unrolled_elementwise_kernelINS0_13BinaryFunctorIN3c107complexIfEES5_bNS0_12_GLOBAL__N_116CompareEqFunctorIS5_EEEESt5arrayIPcLm3EELi4E23TrivialOffsetCalculatorILi2EjESD_ILi1EjENS0_6memory15LoadWithoutCastENSG_16StoreWithoutCastEEEviT_T0_T2_T3_T4_T5_ ; -- Begin function _ZN2at6native27unrolled_elementwise_kernelINS0_13BinaryFunctorIN3c107complexIfEES5_bNS0_12_GLOBAL__N_116CompareEqFunctorIS5_EEEESt5arrayIPcLm3EELi4E23TrivialOffsetCalculatorILi2EjESD_ILi1EjENS0_6memory15LoadWithoutCastENSG_16StoreWithoutCastEEEviT_T0_T2_T3_T4_T5_
	.p2align	8
	.type	_ZN2at6native27unrolled_elementwise_kernelINS0_13BinaryFunctorIN3c107complexIfEES5_bNS0_12_GLOBAL__N_116CompareEqFunctorIS5_EEEESt5arrayIPcLm3EELi4E23TrivialOffsetCalculatorILi2EjESD_ILi1EjENS0_6memory15LoadWithoutCastENSG_16StoreWithoutCastEEEviT_T0_T2_T3_T4_T5_,@function
_ZN2at6native27unrolled_elementwise_kernelINS0_13BinaryFunctorIN3c107complexIfEES5_bNS0_12_GLOBAL__N_116CompareEqFunctorIS5_EEEESt5arrayIPcLm3EELi4E23TrivialOffsetCalculatorILi2EjESD_ILi1EjENS0_6memory15LoadWithoutCastENSG_16StoreWithoutCastEEEviT_T0_T2_T3_T4_T5_: ; @_ZN2at6native27unrolled_elementwise_kernelINS0_13BinaryFunctorIN3c107complexIfEES5_bNS0_12_GLOBAL__N_116CompareEqFunctorIS5_EEEESt5arrayIPcLm3EELi4E23TrivialOffsetCalculatorILi2EjESD_ILi1EjENS0_6memory15LoadWithoutCastENSG_16StoreWithoutCastEEEviT_T0_T2_T3_T4_T5_
; %bb.0:
	s_load_dwordx2 s[2:3], s[4:5], 0x0
	s_load_dwordx4 s[8:11], s[4:5], 0x8
	s_load_dwordx2 s[12:13], s[4:5], 0x18
	s_lshl_b32 s14, s6, 10
	v_mov_b32_e32 v5, 0
	s_waitcnt lgkmcnt(0)
	s_sub_i32 s15, s2, s14
	v_cmp_gt_i32_e64 s[0:1], s15, v0
	v_or_b32_e32 v1, s14, v0
	v_mov_b32_e32 v9, 0
	v_mov_b32_e32 v8, 0
	v_mov_b32_e32 v17, 0
	v_mov_b32_e32 v16, 0
	v_mov_b32_e32 v18, v0
	s_and_saveexec_b64 s[4:5], s[0:1]
	s_cbranch_execz .LBB132_2
; %bb.1:
	v_mov_b32_e32 v2, 0
	v_lshlrev_b64 v[2:3], 3, v[1:2]
	v_mov_b32_e32 v4, s13
	v_add_co_u32_e32 v6, vcc, s12, v2
	v_addc_co_u32_e32 v7, vcc, v4, v3, vcc
	v_mov_b32_e32 v4, s11
	v_add_co_u32_e32 v2, vcc, s10, v2
	v_addc_co_u32_e32 v3, vcc, v4, v3, vcc
	global_load_dwordx2 v[8:9], v[2:3], off
	global_load_dwordx2 v[16:17], v[6:7], off
	v_or_b32_e32 v18, 0x100, v0
.LBB132_2:
	s_or_b64 exec, exec, s[4:5]
	v_cmp_gt_i32_e32 vcc, s15, v18
	v_mov_b32_e32 v4, 0
	v_mov_b32_e32 v13, 0
	;; [unrolled: 1-line block ×3, first 2 shown]
	s_and_saveexec_b64 s[4:5], vcc
	s_cbranch_execz .LBB132_4
; %bb.3:
	v_add_u32_e32 v2, s14, v18
	v_mov_b32_e32 v3, 0
	v_lshlrev_b64 v[2:3], 3, v[2:3]
	v_mov_b32_e32 v4, s13
	v_add_co_u32_e32 v6, vcc, s12, v2
	v_addc_co_u32_e32 v7, vcc, v4, v3, vcc
	v_mov_b32_e32 v4, s11
	v_add_co_u32_e32 v2, vcc, s10, v2
	v_addc_co_u32_e32 v3, vcc, v4, v3, vcc
	global_load_dwordx2 v[4:5], v[2:3], off
	global_load_dwordx2 v[12:13], v[6:7], off
	v_add_u32_e32 v18, 0x100, v18
.LBB132_4:
	s_or_b64 exec, exec, s[4:5]
	v_cmp_gt_i32_e32 vcc, s15, v18
	v_mov_b32_e32 v3, 0
	v_mov_b32_e32 v7, 0
	;; [unrolled: 1-line block ×5, first 2 shown]
	s_and_saveexec_b64 s[4:5], vcc
	s_cbranch_execz .LBB132_6
; %bb.5:
	v_add_u32_e32 v6, s14, v18
	v_mov_b32_e32 v7, 0
	v_lshlrev_b64 v[6:7], 3, v[6:7]
	v_mov_b32_e32 v2, s13
	v_add_co_u32_e32 v10, vcc, s12, v6
	v_addc_co_u32_e32 v11, vcc, v2, v7, vcc
	v_mov_b32_e32 v2, s11
	v_add_co_u32_e32 v19, vcc, s10, v6
	v_addc_co_u32_e32 v20, vcc, v2, v7, vcc
	global_load_dwordx2 v[6:7], v[19:20], off
	global_load_dwordx2 v[14:15], v[10:11], off
	v_add_u32_e32 v18, 0x100, v18
.LBB132_6:
	s_or_b64 exec, exec, s[4:5]
	v_cmp_gt_i32_e32 vcc, s15, v18
	v_mov_b32_e32 v2, 0
	v_mov_b32_e32 v11, 0
	;; [unrolled: 1-line block ×3, first 2 shown]
	s_and_saveexec_b64 s[4:5], vcc
	s_cbranch_execz .LBB132_8
; %bb.7:
	v_add_u32_e32 v2, s14, v18
	v_mov_b32_e32 v3, 0
	v_lshlrev_b64 v[2:3], 3, v[2:3]
	v_mov_b32_e32 v10, s13
	v_add_co_u32_e32 v18, vcc, s12, v2
	v_addc_co_u32_e32 v19, vcc, v10, v3, vcc
	v_mov_b32_e32 v10, s11
	v_add_co_u32_e32 v20, vcc, s10, v2
	v_addc_co_u32_e32 v21, vcc, v10, v3, vcc
	global_load_dwordx2 v[2:3], v[20:21], off
	global_load_dwordx2 v[10:11], v[18:19], off
.LBB132_8:
	s_or_b64 exec, exec, s[4:5]
	s_cmp_lg_u32 s3, 0
	s_cselect_b64 s[4:5], -1, 0
                                        ; implicit-def: $vgpr18
	s_and_saveexec_b64 s[6:7], s[0:1]
	s_cbranch_execz .LBB132_13
; %bb.9:
	s_and_b64 vcc, exec, s[4:5]
	s_cbranch_vccz .LBB132_37
; %bb.10:
	s_waitcnt vmcnt(0)
	v_cmp_neq_f32_e32 vcc, v8, v16
	v_cmp_neq_f32_e64 s[2:3], v9, v17
	s_or_b64 s[10:11], vcc, s[2:3]
	s_cbranch_execnz .LBB132_12
.LBB132_11:
	s_waitcnt vmcnt(0)
	v_cmp_eq_f32_e32 vcc, v8, v16
	v_cmp_eq_f32_e64 s[2:3], v9, v17
	s_and_b64 s[2:3], vcc, s[2:3]
	s_andn2_b64 s[10:11], s[10:11], exec
	s_and_b64 s[2:3], s[2:3], exec
	s_or_b64 s[10:11], s[10:11], s[2:3]
.LBB132_12:
	v_cndmask_b32_e64 v18, 0, 1, s[10:11]
.LBB132_13:
	s_or_b64 exec, exec, s[6:7]
	s_waitcnt vmcnt(1)
	v_or_b32_e32 v8, 0x100, v0
	v_cndmask_b32_e64 v9, 0, 1, s[4:5]
	v_cmp_gt_i32_e32 vcc, s15, v8
	v_cmp_ne_u32_e64 s[2:3], 1, v9
                                        ; implicit-def: $vgpr9
	s_and_saveexec_b64 s[6:7], vcc
	s_cbranch_execz .LBB132_18
; %bb.14:
	s_and_b64 vcc, exec, s[2:3]
	s_cbranch_vccnz .LBB132_38
; %bb.15:
	s_waitcnt vmcnt(0)
	v_cmp_neq_f32_e32 vcc, v4, v12
	v_cmp_neq_f32_e64 s[4:5], v5, v13
	s_or_b64 s[10:11], vcc, s[4:5]
	s_cbranch_execnz .LBB132_17
.LBB132_16:
	s_waitcnt vmcnt(0)
	v_cmp_eq_f32_e32 vcc, v4, v12
	v_cmp_eq_f32_e64 s[4:5], v5, v13
	s_and_b64 s[4:5], vcc, s[4:5]
	s_andn2_b64 s[10:11], s[10:11], exec
	s_and_b64 s[4:5], s[4:5], exec
	s_or_b64 s[10:11], s[10:11], s[4:5]
.LBB132_17:
	v_cndmask_b32_e64 v9, 0, 1, s[10:11]
.LBB132_18:
	s_or_b64 exec, exec, s[6:7]
	v_or_b32_e32 v4, 0x200, v0
	v_cmp_gt_i32_e32 vcc, s15, v4
                                        ; implicit-def: $vgpr4
	s_and_saveexec_b64 s[6:7], vcc
	s_cbranch_execz .LBB132_23
; %bb.19:
	s_and_b64 vcc, exec, s[2:3]
	s_cbranch_vccnz .LBB132_39
; %bb.20:
	s_waitcnt vmcnt(0)
	v_cmp_neq_f32_e32 vcc, v6, v14
	v_cmp_neq_f32_e64 s[4:5], v7, v15
	s_or_b64 s[10:11], vcc, s[4:5]
	s_cbranch_execnz .LBB132_22
.LBB132_21:
	s_waitcnt vmcnt(0)
	v_cmp_eq_f32_e32 vcc, v6, v14
	v_cmp_eq_f32_e64 s[4:5], v7, v15
	s_and_b64 s[4:5], vcc, s[4:5]
	s_andn2_b64 s[10:11], s[10:11], exec
	s_and_b64 s[4:5], s[4:5], exec
	s_or_b64 s[10:11], s[10:11], s[4:5]
.LBB132_22:
	v_cndmask_b32_e64 v4, 0, 1, s[10:11]
.LBB132_23:
	s_or_b64 exec, exec, s[6:7]
	v_or_b32_e32 v5, 0x300, v0
	v_cmp_gt_i32_e32 vcc, s15, v5
                                        ; implicit-def: $vgpr5
	s_and_saveexec_b64 s[4:5], vcc
	s_cbranch_execz .LBB132_28
; %bb.24:
	s_and_b64 vcc, exec, s[2:3]
	s_cbranch_vccnz .LBB132_40
; %bb.25:
	s_waitcnt vmcnt(0)
	v_cmp_neq_f32_e32 vcc, v2, v10
	v_cmp_neq_f32_e64 s[2:3], v3, v11
	s_or_b64 s[6:7], vcc, s[2:3]
	s_cbranch_execnz .LBB132_27
.LBB132_26:
	s_waitcnt vmcnt(0)
	v_cmp_eq_f32_e32 vcc, v2, v10
	v_cmp_eq_f32_e64 s[2:3], v3, v11
	s_and_b64 s[2:3], vcc, s[2:3]
	s_andn2_b64 s[6:7], s[6:7], exec
	s_and_b64 s[2:3], s[2:3], exec
	s_or_b64 s[6:7], s[6:7], s[2:3]
.LBB132_27:
	v_cndmask_b32_e64 v5, 0, 1, s[6:7]
.LBB132_28:
	s_or_b64 exec, exec, s[4:5]
	s_and_saveexec_b64 s[2:3], s[0:1]
	s_xor_b64 s[0:1], exec, s[2:3]
	s_cbranch_execz .LBB132_30
; %bb.29:
	v_mov_b32_e32 v0, v8
	global_store_byte v1, v18, s[8:9]
.LBB132_30:
	s_or_b64 exec, exec, s[0:1]
	v_cmp_gt_i32_e32 vcc, s15, v0
	s_and_saveexec_b64 s[0:1], vcc
	s_cbranch_execnz .LBB132_34
; %bb.31:
	s_or_b64 exec, exec, s[0:1]
	v_cmp_gt_i32_e32 vcc, s15, v0
	s_and_saveexec_b64 s[0:1], vcc
	s_cbranch_execnz .LBB132_35
.LBB132_32:
	s_or_b64 exec, exec, s[0:1]
	v_cmp_gt_i32_e32 vcc, s15, v0
	s_and_saveexec_b64 s[0:1], vcc
	s_cbranch_execnz .LBB132_36
.LBB132_33:
	s_endpgm
.LBB132_34:
	v_add_u32_e32 v1, 0x100, v0
	v_add_u32_e32 v0, s14, v0
	global_store_byte v0, v9, s[8:9]
	v_mov_b32_e32 v0, v1
	s_or_b64 exec, exec, s[0:1]
	v_cmp_gt_i32_e32 vcc, s15, v0
	s_and_saveexec_b64 s[0:1], vcc
	s_cbranch_execz .LBB132_32
.LBB132_35:
	v_add_u32_e32 v1, 0x100, v0
	v_add_u32_e32 v0, s14, v0
	global_store_byte v0, v4, s[8:9]
	v_mov_b32_e32 v0, v1
	s_or_b64 exec, exec, s[0:1]
	v_cmp_gt_i32_e32 vcc, s15, v0
	s_and_saveexec_b64 s[0:1], vcc
	s_cbranch_execz .LBB132_33
.LBB132_36:
	v_add_u32_e32 v0, s14, v0
	global_store_byte v0, v5, s[8:9]
	s_endpgm
.LBB132_37:
                                        ; implicit-def: $sgpr10_sgpr11
	s_branch .LBB132_11
.LBB132_38:
                                        ; implicit-def: $sgpr10_sgpr11
	s_branch .LBB132_16
.LBB132_39:
                                        ; implicit-def: $sgpr10_sgpr11
	s_branch .LBB132_21
.LBB132_40:
                                        ; implicit-def: $sgpr6_sgpr7
	s_branch .LBB132_26
	.section	.rodata,"a",@progbits
	.p2align	6, 0x0
	.amdhsa_kernel _ZN2at6native27unrolled_elementwise_kernelINS0_13BinaryFunctorIN3c107complexIfEES5_bNS0_12_GLOBAL__N_116CompareEqFunctorIS5_EEEESt5arrayIPcLm3EELi4E23TrivialOffsetCalculatorILi2EjESD_ILi1EjENS0_6memory15LoadWithoutCastENSG_16StoreWithoutCastEEEviT_T0_T2_T3_T4_T5_
		.amdhsa_group_segment_fixed_size 0
		.amdhsa_private_segment_fixed_size 0
		.amdhsa_kernarg_size 36
		.amdhsa_user_sgpr_count 6
		.amdhsa_user_sgpr_private_segment_buffer 1
		.amdhsa_user_sgpr_dispatch_ptr 0
		.amdhsa_user_sgpr_queue_ptr 0
		.amdhsa_user_sgpr_kernarg_segment_ptr 1
		.amdhsa_user_sgpr_dispatch_id 0
		.amdhsa_user_sgpr_flat_scratch_init 0
		.amdhsa_user_sgpr_private_segment_size 0
		.amdhsa_uses_dynamic_stack 0
		.amdhsa_system_sgpr_private_segment_wavefront_offset 0
		.amdhsa_system_sgpr_workgroup_id_x 1
		.amdhsa_system_sgpr_workgroup_id_y 0
		.amdhsa_system_sgpr_workgroup_id_z 0
		.amdhsa_system_sgpr_workgroup_info 0
		.amdhsa_system_vgpr_workitem_id 0
		.amdhsa_next_free_vgpr 22
		.amdhsa_next_free_sgpr 16
		.amdhsa_reserve_vcc 1
		.amdhsa_reserve_flat_scratch 0
		.amdhsa_float_round_mode_32 0
		.amdhsa_float_round_mode_16_64 0
		.amdhsa_float_denorm_mode_32 3
		.amdhsa_float_denorm_mode_16_64 3
		.amdhsa_dx10_clamp 1
		.amdhsa_ieee_mode 1
		.amdhsa_fp16_overflow 0
		.amdhsa_exception_fp_ieee_invalid_op 0
		.amdhsa_exception_fp_denorm_src 0
		.amdhsa_exception_fp_ieee_div_zero 0
		.amdhsa_exception_fp_ieee_overflow 0
		.amdhsa_exception_fp_ieee_underflow 0
		.amdhsa_exception_fp_ieee_inexact 0
		.amdhsa_exception_int_div_zero 0
	.end_amdhsa_kernel
	.section	.text._ZN2at6native27unrolled_elementwise_kernelINS0_13BinaryFunctorIN3c107complexIfEES5_bNS0_12_GLOBAL__N_116CompareEqFunctorIS5_EEEESt5arrayIPcLm3EELi4E23TrivialOffsetCalculatorILi2EjESD_ILi1EjENS0_6memory15LoadWithoutCastENSG_16StoreWithoutCastEEEviT_T0_T2_T3_T4_T5_,"axG",@progbits,_ZN2at6native27unrolled_elementwise_kernelINS0_13BinaryFunctorIN3c107complexIfEES5_bNS0_12_GLOBAL__N_116CompareEqFunctorIS5_EEEESt5arrayIPcLm3EELi4E23TrivialOffsetCalculatorILi2EjESD_ILi1EjENS0_6memory15LoadWithoutCastENSG_16StoreWithoutCastEEEviT_T0_T2_T3_T4_T5_,comdat
.Lfunc_end132:
	.size	_ZN2at6native27unrolled_elementwise_kernelINS0_13BinaryFunctorIN3c107complexIfEES5_bNS0_12_GLOBAL__N_116CompareEqFunctorIS5_EEEESt5arrayIPcLm3EELi4E23TrivialOffsetCalculatorILi2EjESD_ILi1EjENS0_6memory15LoadWithoutCastENSG_16StoreWithoutCastEEEviT_T0_T2_T3_T4_T5_, .Lfunc_end132-_ZN2at6native27unrolled_elementwise_kernelINS0_13BinaryFunctorIN3c107complexIfEES5_bNS0_12_GLOBAL__N_116CompareEqFunctorIS5_EEEESt5arrayIPcLm3EELi4E23TrivialOffsetCalculatorILi2EjESD_ILi1EjENS0_6memory15LoadWithoutCastENSG_16StoreWithoutCastEEEviT_T0_T2_T3_T4_T5_
                                        ; -- End function
	.set _ZN2at6native27unrolled_elementwise_kernelINS0_13BinaryFunctorIN3c107complexIfEES5_bNS0_12_GLOBAL__N_116CompareEqFunctorIS5_EEEESt5arrayIPcLm3EELi4E23TrivialOffsetCalculatorILi2EjESD_ILi1EjENS0_6memory15LoadWithoutCastENSG_16StoreWithoutCastEEEviT_T0_T2_T3_T4_T5_.num_vgpr, 22
	.set _ZN2at6native27unrolled_elementwise_kernelINS0_13BinaryFunctorIN3c107complexIfEES5_bNS0_12_GLOBAL__N_116CompareEqFunctorIS5_EEEESt5arrayIPcLm3EELi4E23TrivialOffsetCalculatorILi2EjESD_ILi1EjENS0_6memory15LoadWithoutCastENSG_16StoreWithoutCastEEEviT_T0_T2_T3_T4_T5_.num_agpr, 0
	.set _ZN2at6native27unrolled_elementwise_kernelINS0_13BinaryFunctorIN3c107complexIfEES5_bNS0_12_GLOBAL__N_116CompareEqFunctorIS5_EEEESt5arrayIPcLm3EELi4E23TrivialOffsetCalculatorILi2EjESD_ILi1EjENS0_6memory15LoadWithoutCastENSG_16StoreWithoutCastEEEviT_T0_T2_T3_T4_T5_.numbered_sgpr, 16
	.set _ZN2at6native27unrolled_elementwise_kernelINS0_13BinaryFunctorIN3c107complexIfEES5_bNS0_12_GLOBAL__N_116CompareEqFunctorIS5_EEEESt5arrayIPcLm3EELi4E23TrivialOffsetCalculatorILi2EjESD_ILi1EjENS0_6memory15LoadWithoutCastENSG_16StoreWithoutCastEEEviT_T0_T2_T3_T4_T5_.num_named_barrier, 0
	.set _ZN2at6native27unrolled_elementwise_kernelINS0_13BinaryFunctorIN3c107complexIfEES5_bNS0_12_GLOBAL__N_116CompareEqFunctorIS5_EEEESt5arrayIPcLm3EELi4E23TrivialOffsetCalculatorILi2EjESD_ILi1EjENS0_6memory15LoadWithoutCastENSG_16StoreWithoutCastEEEviT_T0_T2_T3_T4_T5_.private_seg_size, 0
	.set _ZN2at6native27unrolled_elementwise_kernelINS0_13BinaryFunctorIN3c107complexIfEES5_bNS0_12_GLOBAL__N_116CompareEqFunctorIS5_EEEESt5arrayIPcLm3EELi4E23TrivialOffsetCalculatorILi2EjESD_ILi1EjENS0_6memory15LoadWithoutCastENSG_16StoreWithoutCastEEEviT_T0_T2_T3_T4_T5_.uses_vcc, 1
	.set _ZN2at6native27unrolled_elementwise_kernelINS0_13BinaryFunctorIN3c107complexIfEES5_bNS0_12_GLOBAL__N_116CompareEqFunctorIS5_EEEESt5arrayIPcLm3EELi4E23TrivialOffsetCalculatorILi2EjESD_ILi1EjENS0_6memory15LoadWithoutCastENSG_16StoreWithoutCastEEEviT_T0_T2_T3_T4_T5_.uses_flat_scratch, 0
	.set _ZN2at6native27unrolled_elementwise_kernelINS0_13BinaryFunctorIN3c107complexIfEES5_bNS0_12_GLOBAL__N_116CompareEqFunctorIS5_EEEESt5arrayIPcLm3EELi4E23TrivialOffsetCalculatorILi2EjESD_ILi1EjENS0_6memory15LoadWithoutCastENSG_16StoreWithoutCastEEEviT_T0_T2_T3_T4_T5_.has_dyn_sized_stack, 0
	.set _ZN2at6native27unrolled_elementwise_kernelINS0_13BinaryFunctorIN3c107complexIfEES5_bNS0_12_GLOBAL__N_116CompareEqFunctorIS5_EEEESt5arrayIPcLm3EELi4E23TrivialOffsetCalculatorILi2EjESD_ILi1EjENS0_6memory15LoadWithoutCastENSG_16StoreWithoutCastEEEviT_T0_T2_T3_T4_T5_.has_recursion, 0
	.set _ZN2at6native27unrolled_elementwise_kernelINS0_13BinaryFunctorIN3c107complexIfEES5_bNS0_12_GLOBAL__N_116CompareEqFunctorIS5_EEEESt5arrayIPcLm3EELi4E23TrivialOffsetCalculatorILi2EjESD_ILi1EjENS0_6memory15LoadWithoutCastENSG_16StoreWithoutCastEEEviT_T0_T2_T3_T4_T5_.has_indirect_call, 0
	.section	.AMDGPU.csdata,"",@progbits
; Kernel info:
; codeLenInByte = 1008
; TotalNumSgprs: 20
; NumVgprs: 22
; ScratchSize: 0
; MemoryBound: 0
; FloatMode: 240
; IeeeMode: 1
; LDSByteSize: 0 bytes/workgroup (compile time only)
; SGPRBlocks: 2
; VGPRBlocks: 5
; NumSGPRsForWavesPerEU: 20
; NumVGPRsForWavesPerEU: 22
; Occupancy: 10
; WaveLimiterHint : 0
; COMPUTE_PGM_RSRC2:SCRATCH_EN: 0
; COMPUTE_PGM_RSRC2:USER_SGPR: 6
; COMPUTE_PGM_RSRC2:TRAP_HANDLER: 0
; COMPUTE_PGM_RSRC2:TGID_X_EN: 1
; COMPUTE_PGM_RSRC2:TGID_Y_EN: 0
; COMPUTE_PGM_RSRC2:TGID_Z_EN: 0
; COMPUTE_PGM_RSRC2:TIDIG_COMP_CNT: 0
	.section	.text._ZN2at6native32elementwise_kernel_manual_unrollILi128ELi8EZNS0_22gpu_kernel_impl_nocastINS0_13BinaryFunctorIN3c107complexIfEES6_bNS0_12_GLOBAL__N_116CompareEqFunctorIS6_EEEEEEvRNS_18TensorIteratorBaseERKT_EUlibE_EEviT1_,"axG",@progbits,_ZN2at6native32elementwise_kernel_manual_unrollILi128ELi8EZNS0_22gpu_kernel_impl_nocastINS0_13BinaryFunctorIN3c107complexIfEES6_bNS0_12_GLOBAL__N_116CompareEqFunctorIS6_EEEEEEvRNS_18TensorIteratorBaseERKT_EUlibE_EEviT1_,comdat
	.globl	_ZN2at6native32elementwise_kernel_manual_unrollILi128ELi8EZNS0_22gpu_kernel_impl_nocastINS0_13BinaryFunctorIN3c107complexIfEES6_bNS0_12_GLOBAL__N_116CompareEqFunctorIS6_EEEEEEvRNS_18TensorIteratorBaseERKT_EUlibE_EEviT1_ ; -- Begin function _ZN2at6native32elementwise_kernel_manual_unrollILi128ELi8EZNS0_22gpu_kernel_impl_nocastINS0_13BinaryFunctorIN3c107complexIfEES6_bNS0_12_GLOBAL__N_116CompareEqFunctorIS6_EEEEEEvRNS_18TensorIteratorBaseERKT_EUlibE_EEviT1_
	.p2align	8
	.type	_ZN2at6native32elementwise_kernel_manual_unrollILi128ELi8EZNS0_22gpu_kernel_impl_nocastINS0_13BinaryFunctorIN3c107complexIfEES6_bNS0_12_GLOBAL__N_116CompareEqFunctorIS6_EEEEEEvRNS_18TensorIteratorBaseERKT_EUlibE_EEviT1_,@function
_ZN2at6native32elementwise_kernel_manual_unrollILi128ELi8EZNS0_22gpu_kernel_impl_nocastINS0_13BinaryFunctorIN3c107complexIfEES6_bNS0_12_GLOBAL__N_116CompareEqFunctorIS6_EEEEEEvRNS_18TensorIteratorBaseERKT_EUlibE_EEviT1_: ; @_ZN2at6native32elementwise_kernel_manual_unrollILi128ELi8EZNS0_22gpu_kernel_impl_nocastINS0_13BinaryFunctorIN3c107complexIfEES6_bNS0_12_GLOBAL__N_116CompareEqFunctorIS6_EEEEEEvRNS_18TensorIteratorBaseERKT_EUlibE_EEviT1_
; %bb.0:
	s_load_dword s40, s[4:5], 0x0
	s_load_dword s33, s[4:5], 0x8
	s_add_u32 s2, s4, 8
	s_addc_u32 s3, s5, 0
	v_lshl_or_b32 v30, s6, 10, v0
	v_or_b32_e32 v40, 0x380, v30
	s_waitcnt lgkmcnt(0)
	s_add_i32 s38, s33, -1
	s_cmp_gt_u32 s38, 1
	v_cmp_le_i32_e32 vcc, s40, v40
	s_cselect_b64 s[16:17], -1, 0
	s_and_saveexec_b64 s[0:1], vcc
	s_xor_b64 s[18:19], exec, s[0:1]
	s_cbranch_execz .LBB133_137
; %bb.1:
	s_load_dwordx4 s[12:15], s[2:3], 0x4
	s_load_dwordx2 s[26:27], s[2:3], 0x14
	s_load_dwordx4 s[8:11], s[2:3], 0xc4
	s_load_dwordx2 s[24:25], s[2:3], 0xd4
	s_load_dword s0, s[2:3], 0x1a0
	s_cmp_lg_u32 s33, 0
	s_load_dwordx2 s[20:21], s[2:3], 0x198
	s_load_dwordx4 s[4:7], s[2:3], 0x188
	s_cselect_b64 s[30:31], -1, 0
	s_min_u32 s39, s38, 15
	s_cmp_gt_u32 s33, 1
	s_cselect_b64 s[28:29], -1, 0
	s_waitcnt lgkmcnt(0)
	s_cmp_lg_u32 s0, 0
	s_cselect_b64 s[22:23], -1, 0
	v_cmp_gt_i32_e32 vcc, s40, v30
	s_and_saveexec_b64 s[34:35], vcc
	s_cbranch_execnz .LBB133_9
; %bb.2:
	s_or_b64 exec, exec, s[34:35]
	v_cmp_gt_i32_e32 vcc, s40, v30
	s_and_saveexec_b64 s[34:35], vcc
	s_cbranch_execnz .LBB133_24
.LBB133_3:
	s_or_b64 exec, exec, s[34:35]
	v_cmp_gt_i32_e32 vcc, s40, v30
	s_and_saveexec_b64 s[34:35], vcc
	s_cbranch_execnz .LBB133_40
.LBB133_4:
	s_or_b64 exec, exec, s[34:35]
	v_cmp_gt_i32_e32 vcc, s40, v30
	s_and_saveexec_b64 s[34:35], vcc
	s_cbranch_execnz .LBB133_56
.LBB133_5:
	s_or_b64 exec, exec, s[34:35]
	v_cmp_gt_i32_e32 vcc, s40, v30
	s_and_saveexec_b64 s[34:35], vcc
	s_cbranch_execnz .LBB133_72
.LBB133_6:
	s_or_b64 exec, exec, s[34:35]
	v_cmp_gt_i32_e32 vcc, s40, v30
	s_and_saveexec_b64 s[34:35], vcc
	s_cbranch_execnz .LBB133_88
.LBB133_7:
	s_or_b64 exec, exec, s[34:35]
	v_cmp_gt_i32_e32 vcc, s40, v30
	s_and_saveexec_b64 s[34:35], vcc
	s_cbranch_execnz .LBB133_104
.LBB133_8:
	s_or_b64 exec, exec, s[34:35]
	v_cmp_gt_i32_e32 vcc, s40, v30
	s_and_saveexec_b64 s[34:35], vcc
	s_cbranch_execnz .LBB133_120
	s_branch .LBB133_136
.LBB133_9:
	s_andn2_b64 vcc, exec, s[16:17]
	s_cbranch_vccnz .LBB133_15
; %bb.10:
	s_andn2_b64 vcc, exec, s[30:31]
	s_cbranch_vccnz .LBB133_16
; %bb.11:
	s_add_i32 s0, s39, 1
	s_and_b32 s36, s0, 30
	s_add_u32 s0, s2, 0xffffffe8
	s_addc_u32 s1, s3, -1
	v_mov_b32_e32 v2, 0
	v_mov_b32_e32 v4, 0
	;; [unrolled: 1-line block ×4, first 2 shown]
.LBB133_12:                             ; =>This Inner Loop Header: Depth=1
	s_load_dwordx4 s[44:47], s[0:1], 0x1c
	s_load_dwordx2 s[42:43], s[0:1], 0x2c
	s_load_dwordx2 s[52:53], s[0:1], 0xec
	s_load_dwordx4 s[48:51], s[0:1], 0xdc
	s_add_u32 s0, s0, 24
	s_waitcnt lgkmcnt(0)
	v_mul_hi_u32 v3, s45, v1
	s_addc_u32 s1, s1, 0
	s_add_i32 s36, s36, -2
	s_cmp_lg_u32 s36, 0
	v_add_u32_e32 v3, v1, v3
	v_lshrrev_b32_e32 v3, s46, v3
	v_mul_lo_u32 v5, v3, s44
	v_mul_hi_u32 v6, s42, v3
	v_sub_u32_e32 v5, v1, v5
	v_add_u32_e32 v1, v3, v6
	v_lshrrev_b32_e32 v1, s43, v1
	v_mul_lo_u32 v8, v1, s47
	v_mul_lo_u32 v6, v5, s48
	v_mul_lo_u32 v7, v5, s49
	v_mul_lo_u32 v5, v5, s50
	v_sub_u32_e32 v3, v3, v8
	v_mul_lo_u32 v8, v3, s51
	v_mul_lo_u32 v9, v3, s52
	;; [unrolled: 1-line block ×3, first 2 shown]
	v_add3_u32 v0, v6, v0, v8
	v_add3_u32 v4, v7, v4, v9
	;; [unrolled: 1-line block ×3, first 2 shown]
	s_cbranch_scc1 .LBB133_12
; %bb.13:
	s_bitcmp1_b32 s39, 0
	s_cselect_b64 s[36:37], -1, 0
	s_and_b64 vcc, exec, s[36:37]
	s_cbranch_vccnz .LBB133_17
; %bb.14:
	s_load_dwordx2 s[36:37], s[0:1], 0x1c
	s_load_dword s41, s[0:1], 0x24
	s_load_dwordx2 s[42:43], s[0:1], 0xdc
	s_waitcnt lgkmcnt(0)
	v_mul_hi_u32 v3, s37, v1
	v_add_u32_e32 v3, v1, v3
	v_lshrrev_b32_e32 v3, s41, v3
	v_mul_lo_u32 v3, v3, s36
	s_load_dword s36, s[0:1], 0xe4
	v_sub_u32_e32 v3, v1, v3
	v_mad_u64_u32 v[0:1], s[0:1], v3, s42, v[0:1]
	v_mad_u64_u32 v[4:5], s[0:1], v3, s43, v[4:5]
	s_waitcnt lgkmcnt(0)
	v_mad_u64_u32 v[2:3], s[0:1], v3, s36, v[2:3]
	s_cbranch_execz .LBB133_18
	s_branch .LBB133_20
.LBB133_15:
                                        ; implicit-def: $vgpr0
                                        ; implicit-def: $vgpr4
                                        ; implicit-def: $vgpr2
	s_branch .LBB133_18
.LBB133_16:
	v_mov_b32_e32 v0, 0
	v_mov_b32_e32 v4, 0
	;; [unrolled: 1-line block ×3, first 2 shown]
.LBB133_17:
	s_cbranch_execnz .LBB133_20
.LBB133_18:
	v_mul_hi_u32 v0, s13, v30
	s_andn2_b64 vcc, exec, s[28:29]
	v_add_u32_e32 v0, v30, v0
	v_lshrrev_b32_e32 v1, s14, v0
	v_mul_lo_u32 v0, v1, s12
	v_sub_u32_e32 v2, v30, v0
	v_mul_lo_u32 v0, v2, s8
	v_mul_lo_u32 v4, v2, s9
	;; [unrolled: 1-line block ×3, first 2 shown]
	s_cbranch_vccnz .LBB133_20
; %bb.19:
	v_mul_hi_u32 v3, s26, v1
	v_add_u32_e32 v3, v1, v3
	v_lshrrev_b32_e32 v3, s27, v3
	v_mul_lo_u32 v3, v3, s15
	v_sub_u32_e32 v3, v1, v3
	v_mad_u64_u32 v[0:1], s[0:1], v3, s11, v[0:1]
	v_mad_u64_u32 v[4:5], s[0:1], v3, s24, v[4:5]
	;; [unrolled: 1-line block ×3, first 2 shown]
.LBB133_20:
	global_load_dwordx2 v[5:6], v4, s[6:7]
	global_load_dwordx2 v[7:8], v2, s[20:21]
	s_and_b64 vcc, exec, s[22:23]
	s_cbranch_vccz .LBB133_31
; %bb.21:
	s_waitcnt vmcnt(0)
	v_cmp_neq_f32_e32 vcc, v5, v7
	v_cmp_neq_f32_e64 s[0:1], v6, v8
	s_or_b64 s[36:37], vcc, s[0:1]
	s_cbranch_execnz .LBB133_23
.LBB133_22:
	s_waitcnt vmcnt(0)
	v_cmp_eq_f32_e32 vcc, v5, v7
	v_cmp_eq_f32_e64 s[0:1], v6, v8
	s_and_b64 s[0:1], vcc, s[0:1]
	s_andn2_b64 s[36:37], s[36:37], exec
	s_and_b64 s[0:1], s[0:1], exec
	s_or_b64 s[36:37], s[36:37], s[0:1]
.LBB133_23:
	v_cndmask_b32_e64 v1, 0, 1, s[36:37]
	v_add_u32_e32 v30, 0x80, v30
	global_store_byte v0, v1, s[4:5]
	s_or_b64 exec, exec, s[34:35]
	v_cmp_gt_i32_e32 vcc, s40, v30
	s_and_saveexec_b64 s[34:35], vcc
	s_cbranch_execz .LBB133_3
.LBB133_24:
	s_andn2_b64 vcc, exec, s[16:17]
	s_cbranch_vccnz .LBB133_30
; %bb.25:
	s_andn2_b64 vcc, exec, s[30:31]
	s_cbranch_vccnz .LBB133_32
; %bb.26:
	s_add_i32 s0, s39, 1
	s_and_b32 s36, s0, 30
	s_add_u32 s0, s2, 0xffffffe8
	s_addc_u32 s1, s3, -1
	v_mov_b32_e32 v2, 0
	v_mov_b32_e32 v4, 0
	;; [unrolled: 1-line block ×4, first 2 shown]
.LBB133_27:                             ; =>This Inner Loop Header: Depth=1
	s_load_dwordx4 s[44:47], s[0:1], 0x1c
	s_load_dwordx2 s[42:43], s[0:1], 0x2c
	s_load_dwordx2 s[52:53], s[0:1], 0xec
	s_load_dwordx4 s[48:51], s[0:1], 0xdc
	s_add_u32 s0, s0, 24
	s_waitcnt lgkmcnt(0)
	v_mul_hi_u32 v3, s45, v1
	s_addc_u32 s1, s1, 0
	s_add_i32 s36, s36, -2
	s_cmp_eq_u32 s36, 0
	v_add_u32_e32 v3, v1, v3
	v_lshrrev_b32_e32 v3, s46, v3
	s_waitcnt vmcnt(2)
	v_mul_lo_u32 v5, v3, s44
	v_mul_hi_u32 v6, s42, v3
	v_sub_u32_e32 v5, v1, v5
	v_add_u32_e32 v1, v3, v6
	v_lshrrev_b32_e32 v1, s43, v1
	s_waitcnt vmcnt(1)
	v_mul_lo_u32 v8, v1, s47
	v_mul_lo_u32 v6, v5, s48
	;; [unrolled: 1-line block ×4, first 2 shown]
	v_sub_u32_e32 v3, v3, v8
	v_mul_lo_u32 v8, v3, s51
	v_mul_lo_u32 v9, v3, s52
	;; [unrolled: 1-line block ×3, first 2 shown]
	v_add3_u32 v0, v6, v0, v8
	v_add3_u32 v4, v7, v4, v9
	;; [unrolled: 1-line block ×3, first 2 shown]
	s_cbranch_scc0 .LBB133_27
; %bb.28:
	s_bitcmp1_b32 s39, 0
	s_cselect_b64 s[36:37], -1, 0
	s_and_b64 vcc, exec, s[36:37]
	s_cbranch_vccnz .LBB133_33
; %bb.29:
	s_load_dwordx2 s[36:37], s[0:1], 0x1c
	s_load_dword s41, s[0:1], 0x24
	s_load_dwordx2 s[42:43], s[0:1], 0xdc
	s_waitcnt lgkmcnt(0)
	v_mul_hi_u32 v3, s37, v1
	v_add_u32_e32 v3, v1, v3
	v_lshrrev_b32_e32 v3, s41, v3
	v_mul_lo_u32 v3, v3, s36
	s_load_dword s36, s[0:1], 0xe4
	v_sub_u32_e32 v3, v1, v3
	v_mad_u64_u32 v[0:1], s[0:1], v3, s42, v[0:1]
	v_mad_u64_u32 v[4:5], s[0:1], v3, s43, v[4:5]
	s_waitcnt lgkmcnt(0)
	v_mad_u64_u32 v[2:3], s[0:1], v3, s36, v[2:3]
	s_branch .LBB133_33
.LBB133_30:
                                        ; implicit-def: $vgpr0
                                        ; implicit-def: $vgpr4
                                        ; implicit-def: $vgpr2
	s_branch .LBB133_34
.LBB133_31:
                                        ; implicit-def: $sgpr36_sgpr37
	s_branch .LBB133_22
.LBB133_32:
	v_mov_b32_e32 v0, 0
	v_mov_b32_e32 v4, 0
	;; [unrolled: 1-line block ×3, first 2 shown]
.LBB133_33:
	s_cbranch_execnz .LBB133_36
.LBB133_34:
	v_mul_hi_u32 v0, s13, v30
	s_andn2_b64 vcc, exec, s[28:29]
	v_add_u32_e32 v0, v30, v0
	v_lshrrev_b32_e32 v1, s14, v0
	v_mul_lo_u32 v0, v1, s12
	v_sub_u32_e32 v2, v30, v0
	v_mul_lo_u32 v0, v2, s8
	v_mul_lo_u32 v4, v2, s9
	v_mul_lo_u32 v2, v2, s10
	s_cbranch_vccnz .LBB133_36
; %bb.35:
	v_mul_hi_u32 v3, s26, v1
	v_add_u32_e32 v3, v1, v3
	v_lshrrev_b32_e32 v3, s27, v3
	v_mul_lo_u32 v3, v3, s15
	v_sub_u32_e32 v3, v1, v3
	v_mad_u64_u32 v[0:1], s[0:1], v3, s11, v[0:1]
	s_waitcnt vmcnt(2)
	v_mad_u64_u32 v[4:5], s[0:1], v3, s24, v[4:5]
	v_mad_u64_u32 v[2:3], s[0:1], v3, s25, v[2:3]
.LBB133_36:
	global_load_dwordx2 v[5:6], v4, s[6:7]
	global_load_dwordx2 v[7:8], v2, s[20:21]
	s_andn2_b64 vcc, exec, s[22:23]
	s_cbranch_vccnz .LBB133_47
; %bb.37:
	s_waitcnt vmcnt(0)
	v_cmp_neq_f32_e32 vcc, v5, v7
	v_cmp_neq_f32_e64 s[0:1], v6, v8
	s_or_b64 s[36:37], vcc, s[0:1]
	s_cbranch_execnz .LBB133_39
.LBB133_38:
	s_waitcnt vmcnt(0)
	v_cmp_eq_f32_e32 vcc, v5, v7
	v_cmp_eq_f32_e64 s[0:1], v6, v8
	s_and_b64 s[0:1], vcc, s[0:1]
	s_andn2_b64 s[36:37], s[36:37], exec
	s_and_b64 s[0:1], s[0:1], exec
	s_or_b64 s[36:37], s[36:37], s[0:1]
.LBB133_39:
	v_cndmask_b32_e64 v1, 0, 1, s[36:37]
	v_add_u32_e32 v30, 0x80, v30
	global_store_byte v0, v1, s[4:5]
	s_or_b64 exec, exec, s[34:35]
	v_cmp_gt_i32_e32 vcc, s40, v30
	s_and_saveexec_b64 s[34:35], vcc
	s_cbranch_execz .LBB133_4
.LBB133_40:
	s_andn2_b64 vcc, exec, s[16:17]
	s_cbranch_vccnz .LBB133_46
; %bb.41:
	s_andn2_b64 vcc, exec, s[30:31]
	s_cbranch_vccnz .LBB133_48
; %bb.42:
	s_add_i32 s0, s39, 1
	s_and_b32 s36, s0, 30
	s_add_u32 s0, s2, 0xffffffe8
	s_addc_u32 s1, s3, -1
	v_mov_b32_e32 v2, 0
	v_mov_b32_e32 v4, 0
	;; [unrolled: 1-line block ×4, first 2 shown]
.LBB133_43:                             ; =>This Inner Loop Header: Depth=1
	s_load_dwordx4 s[44:47], s[0:1], 0x1c
	s_load_dwordx2 s[42:43], s[0:1], 0x2c
	s_load_dwordx2 s[52:53], s[0:1], 0xec
	s_load_dwordx4 s[48:51], s[0:1], 0xdc
	s_add_u32 s0, s0, 24
	s_waitcnt lgkmcnt(0)
	v_mul_hi_u32 v3, s45, v1
	s_addc_u32 s1, s1, 0
	s_add_i32 s36, s36, -2
	s_cmp_eq_u32 s36, 0
	v_add_u32_e32 v3, v1, v3
	v_lshrrev_b32_e32 v3, s46, v3
	s_waitcnt vmcnt(2)
	v_mul_lo_u32 v5, v3, s44
	v_mul_hi_u32 v6, s42, v3
	v_sub_u32_e32 v5, v1, v5
	v_add_u32_e32 v1, v3, v6
	v_lshrrev_b32_e32 v1, s43, v1
	s_waitcnt vmcnt(1)
	v_mul_lo_u32 v8, v1, s47
	v_mul_lo_u32 v6, v5, s48
	;; [unrolled: 1-line block ×4, first 2 shown]
	v_sub_u32_e32 v3, v3, v8
	v_mul_lo_u32 v8, v3, s51
	v_mul_lo_u32 v9, v3, s52
	;; [unrolled: 1-line block ×3, first 2 shown]
	v_add3_u32 v0, v6, v0, v8
	v_add3_u32 v4, v7, v4, v9
	;; [unrolled: 1-line block ×3, first 2 shown]
	s_cbranch_scc0 .LBB133_43
; %bb.44:
	s_bitcmp1_b32 s39, 0
	s_cselect_b64 s[36:37], -1, 0
	s_and_b64 vcc, exec, s[36:37]
	s_cbranch_vccnz .LBB133_49
; %bb.45:
	s_load_dwordx2 s[36:37], s[0:1], 0x1c
	s_load_dword s41, s[0:1], 0x24
	s_load_dwordx2 s[42:43], s[0:1], 0xdc
	s_waitcnt lgkmcnt(0)
	v_mul_hi_u32 v3, s37, v1
	v_add_u32_e32 v3, v1, v3
	v_lshrrev_b32_e32 v3, s41, v3
	v_mul_lo_u32 v3, v3, s36
	s_load_dword s36, s[0:1], 0xe4
	v_sub_u32_e32 v3, v1, v3
	v_mad_u64_u32 v[0:1], s[0:1], v3, s42, v[0:1]
	v_mad_u64_u32 v[4:5], s[0:1], v3, s43, v[4:5]
	s_waitcnt lgkmcnt(0)
	v_mad_u64_u32 v[2:3], s[0:1], v3, s36, v[2:3]
	s_branch .LBB133_49
.LBB133_46:
                                        ; implicit-def: $vgpr0
                                        ; implicit-def: $vgpr4
                                        ; implicit-def: $vgpr2
	s_branch .LBB133_50
.LBB133_47:
                                        ; implicit-def: $sgpr36_sgpr37
	s_branch .LBB133_38
.LBB133_48:
	v_mov_b32_e32 v0, 0
	v_mov_b32_e32 v4, 0
	;; [unrolled: 1-line block ×3, first 2 shown]
.LBB133_49:
	s_cbranch_execnz .LBB133_52
.LBB133_50:
	v_mul_hi_u32 v0, s13, v30
	s_andn2_b64 vcc, exec, s[28:29]
	v_add_u32_e32 v0, v30, v0
	v_lshrrev_b32_e32 v1, s14, v0
	v_mul_lo_u32 v0, v1, s12
	v_sub_u32_e32 v2, v30, v0
	v_mul_lo_u32 v0, v2, s8
	v_mul_lo_u32 v4, v2, s9
	;; [unrolled: 1-line block ×3, first 2 shown]
	s_cbranch_vccnz .LBB133_52
; %bb.51:
	v_mul_hi_u32 v3, s26, v1
	v_add_u32_e32 v3, v1, v3
	v_lshrrev_b32_e32 v3, s27, v3
	v_mul_lo_u32 v3, v3, s15
	v_sub_u32_e32 v3, v1, v3
	v_mad_u64_u32 v[0:1], s[0:1], v3, s11, v[0:1]
	s_waitcnt vmcnt(2)
	v_mad_u64_u32 v[4:5], s[0:1], v3, s24, v[4:5]
	v_mad_u64_u32 v[2:3], s[0:1], v3, s25, v[2:3]
.LBB133_52:
	global_load_dwordx2 v[5:6], v4, s[6:7]
	global_load_dwordx2 v[7:8], v2, s[20:21]
	s_andn2_b64 vcc, exec, s[22:23]
	s_cbranch_vccnz .LBB133_63
; %bb.53:
	s_waitcnt vmcnt(0)
	v_cmp_neq_f32_e32 vcc, v5, v7
	v_cmp_neq_f32_e64 s[0:1], v6, v8
	s_or_b64 s[36:37], vcc, s[0:1]
	s_cbranch_execnz .LBB133_55
.LBB133_54:
	s_waitcnt vmcnt(0)
	v_cmp_eq_f32_e32 vcc, v5, v7
	v_cmp_eq_f32_e64 s[0:1], v6, v8
	s_and_b64 s[0:1], vcc, s[0:1]
	s_andn2_b64 s[36:37], s[36:37], exec
	s_and_b64 s[0:1], s[0:1], exec
	s_or_b64 s[36:37], s[36:37], s[0:1]
.LBB133_55:
	v_cndmask_b32_e64 v1, 0, 1, s[36:37]
	v_add_u32_e32 v30, 0x80, v30
	global_store_byte v0, v1, s[4:5]
	s_or_b64 exec, exec, s[34:35]
	v_cmp_gt_i32_e32 vcc, s40, v30
	s_and_saveexec_b64 s[34:35], vcc
	s_cbranch_execz .LBB133_5
.LBB133_56:
	s_andn2_b64 vcc, exec, s[16:17]
	s_cbranch_vccnz .LBB133_62
; %bb.57:
	s_andn2_b64 vcc, exec, s[30:31]
	s_cbranch_vccnz .LBB133_64
; %bb.58:
	s_add_i32 s0, s39, 1
	s_and_b32 s36, s0, 30
	s_add_u32 s0, s2, 0xffffffe8
	s_addc_u32 s1, s3, -1
	v_mov_b32_e32 v2, 0
	v_mov_b32_e32 v4, 0
	;; [unrolled: 1-line block ×4, first 2 shown]
.LBB133_59:                             ; =>This Inner Loop Header: Depth=1
	s_load_dwordx4 s[44:47], s[0:1], 0x1c
	s_load_dwordx2 s[42:43], s[0:1], 0x2c
	s_load_dwordx2 s[52:53], s[0:1], 0xec
	s_load_dwordx4 s[48:51], s[0:1], 0xdc
	s_add_u32 s0, s0, 24
	s_waitcnt lgkmcnt(0)
	v_mul_hi_u32 v3, s45, v1
	s_addc_u32 s1, s1, 0
	s_add_i32 s36, s36, -2
	s_cmp_eq_u32 s36, 0
	v_add_u32_e32 v3, v1, v3
	v_lshrrev_b32_e32 v3, s46, v3
	s_waitcnt vmcnt(2)
	v_mul_lo_u32 v5, v3, s44
	v_mul_hi_u32 v6, s42, v3
	v_sub_u32_e32 v5, v1, v5
	v_add_u32_e32 v1, v3, v6
	v_lshrrev_b32_e32 v1, s43, v1
	s_waitcnt vmcnt(1)
	v_mul_lo_u32 v8, v1, s47
	v_mul_lo_u32 v6, v5, s48
	v_mul_lo_u32 v7, v5, s49
	v_mul_lo_u32 v5, v5, s50
	v_sub_u32_e32 v3, v3, v8
	v_mul_lo_u32 v8, v3, s51
	v_mul_lo_u32 v9, v3, s52
	;; [unrolled: 1-line block ×3, first 2 shown]
	v_add3_u32 v0, v6, v0, v8
	v_add3_u32 v4, v7, v4, v9
	;; [unrolled: 1-line block ×3, first 2 shown]
	s_cbranch_scc0 .LBB133_59
; %bb.60:
	s_bitcmp1_b32 s39, 0
	s_cselect_b64 s[36:37], -1, 0
	s_and_b64 vcc, exec, s[36:37]
	s_cbranch_vccnz .LBB133_65
; %bb.61:
	s_load_dwordx2 s[36:37], s[0:1], 0x1c
	s_load_dword s41, s[0:1], 0x24
	s_load_dwordx2 s[42:43], s[0:1], 0xdc
	s_waitcnt lgkmcnt(0)
	v_mul_hi_u32 v3, s37, v1
	v_add_u32_e32 v3, v1, v3
	v_lshrrev_b32_e32 v3, s41, v3
	v_mul_lo_u32 v3, v3, s36
	s_load_dword s36, s[0:1], 0xe4
	v_sub_u32_e32 v3, v1, v3
	v_mad_u64_u32 v[0:1], s[0:1], v3, s42, v[0:1]
	v_mad_u64_u32 v[4:5], s[0:1], v3, s43, v[4:5]
	s_waitcnt lgkmcnt(0)
	v_mad_u64_u32 v[2:3], s[0:1], v3, s36, v[2:3]
	s_branch .LBB133_65
.LBB133_62:
                                        ; implicit-def: $vgpr0
                                        ; implicit-def: $vgpr4
                                        ; implicit-def: $vgpr2
	s_branch .LBB133_66
.LBB133_63:
                                        ; implicit-def: $sgpr36_sgpr37
	s_branch .LBB133_54
.LBB133_64:
	v_mov_b32_e32 v0, 0
	v_mov_b32_e32 v4, 0
	v_mov_b32_e32 v2, 0
.LBB133_65:
	s_cbranch_execnz .LBB133_68
.LBB133_66:
	v_mul_hi_u32 v0, s13, v30
	s_andn2_b64 vcc, exec, s[28:29]
	v_add_u32_e32 v0, v30, v0
	v_lshrrev_b32_e32 v1, s14, v0
	v_mul_lo_u32 v0, v1, s12
	v_sub_u32_e32 v2, v30, v0
	v_mul_lo_u32 v0, v2, s8
	v_mul_lo_u32 v4, v2, s9
	;; [unrolled: 1-line block ×3, first 2 shown]
	s_cbranch_vccnz .LBB133_68
; %bb.67:
	v_mul_hi_u32 v3, s26, v1
	v_add_u32_e32 v3, v1, v3
	v_lshrrev_b32_e32 v3, s27, v3
	v_mul_lo_u32 v3, v3, s15
	v_sub_u32_e32 v3, v1, v3
	v_mad_u64_u32 v[0:1], s[0:1], v3, s11, v[0:1]
	s_waitcnt vmcnt(2)
	v_mad_u64_u32 v[4:5], s[0:1], v3, s24, v[4:5]
	v_mad_u64_u32 v[2:3], s[0:1], v3, s25, v[2:3]
.LBB133_68:
	global_load_dwordx2 v[5:6], v4, s[6:7]
	global_load_dwordx2 v[7:8], v2, s[20:21]
	s_andn2_b64 vcc, exec, s[22:23]
	s_cbranch_vccnz .LBB133_79
; %bb.69:
	s_waitcnt vmcnt(0)
	v_cmp_neq_f32_e32 vcc, v5, v7
	v_cmp_neq_f32_e64 s[0:1], v6, v8
	s_or_b64 s[36:37], vcc, s[0:1]
	s_cbranch_execnz .LBB133_71
.LBB133_70:
	s_waitcnt vmcnt(0)
	v_cmp_eq_f32_e32 vcc, v5, v7
	v_cmp_eq_f32_e64 s[0:1], v6, v8
	s_and_b64 s[0:1], vcc, s[0:1]
	s_andn2_b64 s[36:37], s[36:37], exec
	s_and_b64 s[0:1], s[0:1], exec
	s_or_b64 s[36:37], s[36:37], s[0:1]
.LBB133_71:
	v_cndmask_b32_e64 v1, 0, 1, s[36:37]
	v_add_u32_e32 v30, 0x80, v30
	global_store_byte v0, v1, s[4:5]
	s_or_b64 exec, exec, s[34:35]
	v_cmp_gt_i32_e32 vcc, s40, v30
	s_and_saveexec_b64 s[34:35], vcc
	s_cbranch_execz .LBB133_6
.LBB133_72:
	s_andn2_b64 vcc, exec, s[16:17]
	s_cbranch_vccnz .LBB133_78
; %bb.73:
	s_andn2_b64 vcc, exec, s[30:31]
	s_cbranch_vccnz .LBB133_80
; %bb.74:
	s_add_i32 s0, s39, 1
	s_and_b32 s36, s0, 30
	s_add_u32 s0, s2, 0xffffffe8
	s_addc_u32 s1, s3, -1
	v_mov_b32_e32 v2, 0
	v_mov_b32_e32 v4, 0
	;; [unrolled: 1-line block ×4, first 2 shown]
.LBB133_75:                             ; =>This Inner Loop Header: Depth=1
	s_load_dwordx4 s[44:47], s[0:1], 0x1c
	s_load_dwordx2 s[42:43], s[0:1], 0x2c
	s_load_dwordx2 s[52:53], s[0:1], 0xec
	s_load_dwordx4 s[48:51], s[0:1], 0xdc
	s_add_u32 s0, s0, 24
	s_waitcnt lgkmcnt(0)
	v_mul_hi_u32 v3, s45, v1
	s_addc_u32 s1, s1, 0
	s_add_i32 s36, s36, -2
	s_cmp_eq_u32 s36, 0
	v_add_u32_e32 v3, v1, v3
	v_lshrrev_b32_e32 v3, s46, v3
	s_waitcnt vmcnt(2)
	v_mul_lo_u32 v5, v3, s44
	v_mul_hi_u32 v6, s42, v3
	v_sub_u32_e32 v5, v1, v5
	v_add_u32_e32 v1, v3, v6
	v_lshrrev_b32_e32 v1, s43, v1
	s_waitcnt vmcnt(1)
	v_mul_lo_u32 v8, v1, s47
	v_mul_lo_u32 v6, v5, s48
	;; [unrolled: 1-line block ×4, first 2 shown]
	v_sub_u32_e32 v3, v3, v8
	v_mul_lo_u32 v8, v3, s51
	v_mul_lo_u32 v9, v3, s52
	;; [unrolled: 1-line block ×3, first 2 shown]
	v_add3_u32 v0, v6, v0, v8
	v_add3_u32 v4, v7, v4, v9
	;; [unrolled: 1-line block ×3, first 2 shown]
	s_cbranch_scc0 .LBB133_75
; %bb.76:
	s_bitcmp1_b32 s39, 0
	s_cselect_b64 s[36:37], -1, 0
	s_and_b64 vcc, exec, s[36:37]
	s_cbranch_vccnz .LBB133_81
; %bb.77:
	s_load_dwordx2 s[36:37], s[0:1], 0x1c
	s_load_dword s41, s[0:1], 0x24
	s_load_dwordx2 s[42:43], s[0:1], 0xdc
	s_waitcnt lgkmcnt(0)
	v_mul_hi_u32 v3, s37, v1
	v_add_u32_e32 v3, v1, v3
	v_lshrrev_b32_e32 v3, s41, v3
	v_mul_lo_u32 v3, v3, s36
	s_load_dword s36, s[0:1], 0xe4
	v_sub_u32_e32 v3, v1, v3
	v_mad_u64_u32 v[0:1], s[0:1], v3, s42, v[0:1]
	v_mad_u64_u32 v[4:5], s[0:1], v3, s43, v[4:5]
	s_waitcnt lgkmcnt(0)
	v_mad_u64_u32 v[2:3], s[0:1], v3, s36, v[2:3]
	s_branch .LBB133_81
.LBB133_78:
                                        ; implicit-def: $vgpr0
                                        ; implicit-def: $vgpr4
                                        ; implicit-def: $vgpr2
	s_branch .LBB133_82
.LBB133_79:
                                        ; implicit-def: $sgpr36_sgpr37
	s_branch .LBB133_70
.LBB133_80:
	v_mov_b32_e32 v0, 0
	v_mov_b32_e32 v4, 0
	;; [unrolled: 1-line block ×3, first 2 shown]
.LBB133_81:
	s_cbranch_execnz .LBB133_84
.LBB133_82:
	v_mul_hi_u32 v0, s13, v30
	s_andn2_b64 vcc, exec, s[28:29]
	v_add_u32_e32 v0, v30, v0
	v_lshrrev_b32_e32 v1, s14, v0
	v_mul_lo_u32 v0, v1, s12
	v_sub_u32_e32 v2, v30, v0
	v_mul_lo_u32 v0, v2, s8
	v_mul_lo_u32 v4, v2, s9
	;; [unrolled: 1-line block ×3, first 2 shown]
	s_cbranch_vccnz .LBB133_84
; %bb.83:
	v_mul_hi_u32 v3, s26, v1
	v_add_u32_e32 v3, v1, v3
	v_lshrrev_b32_e32 v3, s27, v3
	v_mul_lo_u32 v3, v3, s15
	v_sub_u32_e32 v3, v1, v3
	v_mad_u64_u32 v[0:1], s[0:1], v3, s11, v[0:1]
	s_waitcnt vmcnt(2)
	v_mad_u64_u32 v[4:5], s[0:1], v3, s24, v[4:5]
	v_mad_u64_u32 v[2:3], s[0:1], v3, s25, v[2:3]
.LBB133_84:
	global_load_dwordx2 v[5:6], v4, s[6:7]
	global_load_dwordx2 v[7:8], v2, s[20:21]
	s_andn2_b64 vcc, exec, s[22:23]
	s_cbranch_vccnz .LBB133_95
; %bb.85:
	s_waitcnt vmcnt(0)
	v_cmp_neq_f32_e32 vcc, v5, v7
	v_cmp_neq_f32_e64 s[0:1], v6, v8
	s_or_b64 s[36:37], vcc, s[0:1]
	s_cbranch_execnz .LBB133_87
.LBB133_86:
	s_waitcnt vmcnt(0)
	v_cmp_eq_f32_e32 vcc, v5, v7
	v_cmp_eq_f32_e64 s[0:1], v6, v8
	s_and_b64 s[0:1], vcc, s[0:1]
	s_andn2_b64 s[36:37], s[36:37], exec
	s_and_b64 s[0:1], s[0:1], exec
	s_or_b64 s[36:37], s[36:37], s[0:1]
.LBB133_87:
	v_cndmask_b32_e64 v1, 0, 1, s[36:37]
	v_add_u32_e32 v30, 0x80, v30
	global_store_byte v0, v1, s[4:5]
	s_or_b64 exec, exec, s[34:35]
	v_cmp_gt_i32_e32 vcc, s40, v30
	s_and_saveexec_b64 s[34:35], vcc
	s_cbranch_execz .LBB133_7
.LBB133_88:
	s_andn2_b64 vcc, exec, s[16:17]
	s_cbranch_vccnz .LBB133_94
; %bb.89:
	s_andn2_b64 vcc, exec, s[30:31]
	s_cbranch_vccnz .LBB133_96
; %bb.90:
	s_add_i32 s0, s39, 1
	s_and_b32 s36, s0, 30
	s_add_u32 s0, s2, 0xffffffe8
	s_addc_u32 s1, s3, -1
	v_mov_b32_e32 v2, 0
	v_mov_b32_e32 v4, 0
	v_mov_b32_e32 v0, 0
	v_mov_b32_e32 v1, v30
.LBB133_91:                             ; =>This Inner Loop Header: Depth=1
	s_load_dwordx4 s[44:47], s[0:1], 0x1c
	s_load_dwordx2 s[42:43], s[0:1], 0x2c
	s_load_dwordx2 s[52:53], s[0:1], 0xec
	s_load_dwordx4 s[48:51], s[0:1], 0xdc
	s_add_u32 s0, s0, 24
	s_waitcnt lgkmcnt(0)
	v_mul_hi_u32 v3, s45, v1
	s_addc_u32 s1, s1, 0
	s_add_i32 s36, s36, -2
	s_cmp_eq_u32 s36, 0
	v_add_u32_e32 v3, v1, v3
	v_lshrrev_b32_e32 v3, s46, v3
	s_waitcnt vmcnt(2)
	v_mul_lo_u32 v5, v3, s44
	v_mul_hi_u32 v6, s42, v3
	v_sub_u32_e32 v5, v1, v5
	v_add_u32_e32 v1, v3, v6
	v_lshrrev_b32_e32 v1, s43, v1
	s_waitcnt vmcnt(1)
	v_mul_lo_u32 v8, v1, s47
	v_mul_lo_u32 v6, v5, s48
	;; [unrolled: 1-line block ×4, first 2 shown]
	v_sub_u32_e32 v3, v3, v8
	v_mul_lo_u32 v8, v3, s51
	v_mul_lo_u32 v9, v3, s52
	;; [unrolled: 1-line block ×3, first 2 shown]
	v_add3_u32 v0, v6, v0, v8
	v_add3_u32 v4, v7, v4, v9
	;; [unrolled: 1-line block ×3, first 2 shown]
	s_cbranch_scc0 .LBB133_91
; %bb.92:
	s_bitcmp1_b32 s39, 0
	s_cselect_b64 s[36:37], -1, 0
	s_and_b64 vcc, exec, s[36:37]
	s_cbranch_vccnz .LBB133_97
; %bb.93:
	s_load_dwordx2 s[36:37], s[0:1], 0x1c
	s_load_dword s41, s[0:1], 0x24
	s_load_dwordx2 s[42:43], s[0:1], 0xdc
	s_waitcnt lgkmcnt(0)
	v_mul_hi_u32 v3, s37, v1
	v_add_u32_e32 v3, v1, v3
	v_lshrrev_b32_e32 v3, s41, v3
	v_mul_lo_u32 v3, v3, s36
	s_load_dword s36, s[0:1], 0xe4
	v_sub_u32_e32 v3, v1, v3
	v_mad_u64_u32 v[0:1], s[0:1], v3, s42, v[0:1]
	v_mad_u64_u32 v[4:5], s[0:1], v3, s43, v[4:5]
	s_waitcnt lgkmcnt(0)
	v_mad_u64_u32 v[2:3], s[0:1], v3, s36, v[2:3]
	s_branch .LBB133_97
.LBB133_94:
                                        ; implicit-def: $vgpr0
                                        ; implicit-def: $vgpr4
                                        ; implicit-def: $vgpr2
	s_branch .LBB133_98
.LBB133_95:
                                        ; implicit-def: $sgpr36_sgpr37
	s_branch .LBB133_86
.LBB133_96:
	v_mov_b32_e32 v0, 0
	v_mov_b32_e32 v4, 0
	;; [unrolled: 1-line block ×3, first 2 shown]
.LBB133_97:
	s_cbranch_execnz .LBB133_100
.LBB133_98:
	v_mul_hi_u32 v0, s13, v30
	s_andn2_b64 vcc, exec, s[28:29]
	v_add_u32_e32 v0, v30, v0
	v_lshrrev_b32_e32 v1, s14, v0
	v_mul_lo_u32 v0, v1, s12
	v_sub_u32_e32 v2, v30, v0
	v_mul_lo_u32 v0, v2, s8
	v_mul_lo_u32 v4, v2, s9
	;; [unrolled: 1-line block ×3, first 2 shown]
	s_cbranch_vccnz .LBB133_100
; %bb.99:
	v_mul_hi_u32 v3, s26, v1
	v_add_u32_e32 v3, v1, v3
	v_lshrrev_b32_e32 v3, s27, v3
	v_mul_lo_u32 v3, v3, s15
	v_sub_u32_e32 v3, v1, v3
	v_mad_u64_u32 v[0:1], s[0:1], v3, s11, v[0:1]
	s_waitcnt vmcnt(2)
	v_mad_u64_u32 v[4:5], s[0:1], v3, s24, v[4:5]
	v_mad_u64_u32 v[2:3], s[0:1], v3, s25, v[2:3]
.LBB133_100:
	global_load_dwordx2 v[5:6], v4, s[6:7]
	global_load_dwordx2 v[7:8], v2, s[20:21]
	s_andn2_b64 vcc, exec, s[22:23]
	s_cbranch_vccnz .LBB133_111
; %bb.101:
	s_waitcnt vmcnt(0)
	v_cmp_neq_f32_e32 vcc, v5, v7
	v_cmp_neq_f32_e64 s[0:1], v6, v8
	s_or_b64 s[36:37], vcc, s[0:1]
	s_cbranch_execnz .LBB133_103
.LBB133_102:
	s_waitcnt vmcnt(0)
	v_cmp_eq_f32_e32 vcc, v5, v7
	v_cmp_eq_f32_e64 s[0:1], v6, v8
	s_and_b64 s[0:1], vcc, s[0:1]
	s_andn2_b64 s[36:37], s[36:37], exec
	s_and_b64 s[0:1], s[0:1], exec
	s_or_b64 s[36:37], s[36:37], s[0:1]
.LBB133_103:
	v_cndmask_b32_e64 v1, 0, 1, s[36:37]
	v_add_u32_e32 v30, 0x80, v30
	global_store_byte v0, v1, s[4:5]
	s_or_b64 exec, exec, s[34:35]
	v_cmp_gt_i32_e32 vcc, s40, v30
	s_and_saveexec_b64 s[34:35], vcc
	s_cbranch_execz .LBB133_8
.LBB133_104:
	s_andn2_b64 vcc, exec, s[16:17]
	s_cbranch_vccnz .LBB133_110
; %bb.105:
	s_andn2_b64 vcc, exec, s[30:31]
	s_cbranch_vccnz .LBB133_112
; %bb.106:
	s_add_i32 s0, s39, 1
	s_and_b32 s36, s0, 30
	s_add_u32 s0, s2, 0xffffffe8
	s_addc_u32 s1, s3, -1
	v_mov_b32_e32 v2, 0
	v_mov_b32_e32 v4, 0
	;; [unrolled: 1-line block ×4, first 2 shown]
.LBB133_107:                            ; =>This Inner Loop Header: Depth=1
	s_load_dwordx4 s[44:47], s[0:1], 0x1c
	s_load_dwordx2 s[42:43], s[0:1], 0x2c
	s_load_dwordx2 s[52:53], s[0:1], 0xec
	s_load_dwordx4 s[48:51], s[0:1], 0xdc
	s_add_u32 s0, s0, 24
	s_waitcnt lgkmcnt(0)
	v_mul_hi_u32 v3, s45, v1
	s_addc_u32 s1, s1, 0
	s_add_i32 s36, s36, -2
	s_cmp_eq_u32 s36, 0
	v_add_u32_e32 v3, v1, v3
	v_lshrrev_b32_e32 v3, s46, v3
	s_waitcnt vmcnt(2)
	v_mul_lo_u32 v5, v3, s44
	v_mul_hi_u32 v6, s42, v3
	v_sub_u32_e32 v5, v1, v5
	v_add_u32_e32 v1, v3, v6
	v_lshrrev_b32_e32 v1, s43, v1
	s_waitcnt vmcnt(1)
	v_mul_lo_u32 v8, v1, s47
	v_mul_lo_u32 v6, v5, s48
	v_mul_lo_u32 v7, v5, s49
	v_mul_lo_u32 v5, v5, s50
	v_sub_u32_e32 v3, v3, v8
	v_mul_lo_u32 v8, v3, s51
	v_mul_lo_u32 v9, v3, s52
	;; [unrolled: 1-line block ×3, first 2 shown]
	v_add3_u32 v0, v6, v0, v8
	v_add3_u32 v4, v7, v4, v9
	;; [unrolled: 1-line block ×3, first 2 shown]
	s_cbranch_scc0 .LBB133_107
; %bb.108:
	s_bitcmp1_b32 s39, 0
	s_cselect_b64 s[36:37], -1, 0
	s_and_b64 vcc, exec, s[36:37]
	s_cbranch_vccnz .LBB133_113
; %bb.109:
	s_load_dwordx2 s[36:37], s[0:1], 0x1c
	s_load_dword s41, s[0:1], 0x24
	s_load_dwordx2 s[42:43], s[0:1], 0xdc
	s_waitcnt lgkmcnt(0)
	v_mul_hi_u32 v3, s37, v1
	v_add_u32_e32 v3, v1, v3
	v_lshrrev_b32_e32 v3, s41, v3
	v_mul_lo_u32 v3, v3, s36
	s_load_dword s36, s[0:1], 0xe4
	v_sub_u32_e32 v3, v1, v3
	v_mad_u64_u32 v[0:1], s[0:1], v3, s42, v[0:1]
	v_mad_u64_u32 v[4:5], s[0:1], v3, s43, v[4:5]
	s_waitcnt lgkmcnt(0)
	v_mad_u64_u32 v[2:3], s[0:1], v3, s36, v[2:3]
	s_branch .LBB133_113
.LBB133_110:
                                        ; implicit-def: $vgpr0
                                        ; implicit-def: $vgpr4
                                        ; implicit-def: $vgpr2
	s_branch .LBB133_114
.LBB133_111:
                                        ; implicit-def: $sgpr36_sgpr37
	s_branch .LBB133_102
.LBB133_112:
	v_mov_b32_e32 v0, 0
	v_mov_b32_e32 v4, 0
	;; [unrolled: 1-line block ×3, first 2 shown]
.LBB133_113:
	s_cbranch_execnz .LBB133_116
.LBB133_114:
	v_mul_hi_u32 v0, s13, v30
	s_andn2_b64 vcc, exec, s[28:29]
	v_add_u32_e32 v0, v30, v0
	v_lshrrev_b32_e32 v1, s14, v0
	v_mul_lo_u32 v0, v1, s12
	v_sub_u32_e32 v2, v30, v0
	v_mul_lo_u32 v0, v2, s8
	v_mul_lo_u32 v4, v2, s9
	;; [unrolled: 1-line block ×3, first 2 shown]
	s_cbranch_vccnz .LBB133_116
; %bb.115:
	v_mul_hi_u32 v3, s26, v1
	v_add_u32_e32 v3, v1, v3
	v_lshrrev_b32_e32 v3, s27, v3
	v_mul_lo_u32 v3, v3, s15
	v_sub_u32_e32 v3, v1, v3
	v_mad_u64_u32 v[0:1], s[0:1], v3, s11, v[0:1]
	s_waitcnt vmcnt(2)
	v_mad_u64_u32 v[4:5], s[0:1], v3, s24, v[4:5]
	v_mad_u64_u32 v[2:3], s[0:1], v3, s25, v[2:3]
.LBB133_116:
	global_load_dwordx2 v[5:6], v4, s[6:7]
	global_load_dwordx2 v[7:8], v2, s[20:21]
	s_andn2_b64 vcc, exec, s[22:23]
	s_cbranch_vccnz .LBB133_127
; %bb.117:
	s_waitcnt vmcnt(0)
	v_cmp_neq_f32_e32 vcc, v5, v7
	v_cmp_neq_f32_e64 s[0:1], v6, v8
	s_or_b64 s[36:37], vcc, s[0:1]
	s_cbranch_execnz .LBB133_119
.LBB133_118:
	s_waitcnt vmcnt(0)
	v_cmp_eq_f32_e32 vcc, v5, v7
	v_cmp_eq_f32_e64 s[0:1], v6, v8
	s_and_b64 s[0:1], vcc, s[0:1]
	s_andn2_b64 s[36:37], s[36:37], exec
	s_and_b64 s[0:1], s[0:1], exec
	s_or_b64 s[36:37], s[36:37], s[0:1]
.LBB133_119:
	v_cndmask_b32_e64 v1, 0, 1, s[36:37]
	v_add_u32_e32 v30, 0x80, v30
	global_store_byte v0, v1, s[4:5]
	s_or_b64 exec, exec, s[34:35]
	v_cmp_gt_i32_e32 vcc, s40, v30
	s_and_saveexec_b64 s[34:35], vcc
	s_cbranch_execz .LBB133_136
.LBB133_120:
	s_andn2_b64 vcc, exec, s[16:17]
	s_cbranch_vccnz .LBB133_126
; %bb.121:
	s_andn2_b64 vcc, exec, s[30:31]
	s_cbranch_vccnz .LBB133_128
; %bb.122:
	s_add_i32 s0, s39, 1
	s_and_b32 s30, s0, 30
	s_add_u32 s0, s2, 0xffffffe8
	s_addc_u32 s1, s3, -1
	v_mov_b32_e32 v2, 0
	v_mov_b32_e32 v4, 0
	;; [unrolled: 1-line block ×4, first 2 shown]
.LBB133_123:                            ; =>This Inner Loop Header: Depth=1
	s_load_dwordx4 s[40:43], s[0:1], 0x1c
	s_load_dwordx2 s[36:37], s[0:1], 0x2c
	s_load_dwordx2 s[48:49], s[0:1], 0xec
	s_load_dwordx4 s[44:47], s[0:1], 0xdc
	s_add_u32 s0, s0, 24
	s_waitcnt lgkmcnt(0)
	v_mul_hi_u32 v3, s41, v1
	s_addc_u32 s1, s1, 0
	s_add_i32 s30, s30, -2
	s_cmp_eq_u32 s30, 0
	v_add_u32_e32 v3, v1, v3
	v_lshrrev_b32_e32 v3, s42, v3
	s_waitcnt vmcnt(2)
	v_mul_lo_u32 v5, v3, s40
	v_mul_hi_u32 v6, s36, v3
	v_sub_u32_e32 v5, v1, v5
	v_add_u32_e32 v1, v3, v6
	v_lshrrev_b32_e32 v1, s37, v1
	s_waitcnt vmcnt(1)
	v_mul_lo_u32 v8, v1, s43
	v_mul_lo_u32 v6, v5, s44
	;; [unrolled: 1-line block ×4, first 2 shown]
	v_sub_u32_e32 v3, v3, v8
	v_mul_lo_u32 v8, v3, s47
	v_mul_lo_u32 v9, v3, s48
	;; [unrolled: 1-line block ×3, first 2 shown]
	v_add3_u32 v0, v6, v0, v8
	v_add3_u32 v4, v7, v4, v9
	v_add3_u32 v2, v5, v2, v3
	s_cbranch_scc0 .LBB133_123
; %bb.124:
	s_bitcmp1_b32 s39, 0
	s_cselect_b64 s[30:31], -1, 0
	s_and_b64 vcc, exec, s[30:31]
	s_cbranch_vccnz .LBB133_129
; %bb.125:
	s_load_dwordx2 s[30:31], s[0:1], 0x1c
	s_load_dword s39, s[0:1], 0x24
	s_load_dwordx2 s[36:37], s[0:1], 0xdc
	s_waitcnt lgkmcnt(0)
	v_mul_hi_u32 v3, s31, v1
	v_add_u32_e32 v3, v1, v3
	v_lshrrev_b32_e32 v3, s39, v3
	v_mul_lo_u32 v3, v3, s30
	s_load_dword s30, s[0:1], 0xe4
	v_sub_u32_e32 v3, v1, v3
	v_mad_u64_u32 v[0:1], s[0:1], v3, s36, v[0:1]
	v_mad_u64_u32 v[4:5], s[0:1], v3, s37, v[4:5]
	s_waitcnt lgkmcnt(0)
	v_mad_u64_u32 v[2:3], s[0:1], v3, s30, v[2:3]
	s_branch .LBB133_129
.LBB133_126:
                                        ; implicit-def: $vgpr0
                                        ; implicit-def: $vgpr4
                                        ; implicit-def: $vgpr2
	s_branch .LBB133_130
.LBB133_127:
                                        ; implicit-def: $sgpr36_sgpr37
	s_branch .LBB133_118
.LBB133_128:
	v_mov_b32_e32 v0, 0
	v_mov_b32_e32 v4, 0
	;; [unrolled: 1-line block ×3, first 2 shown]
.LBB133_129:
	s_cbranch_execnz .LBB133_132
.LBB133_130:
	v_mul_hi_u32 v0, s13, v30
	s_andn2_b64 vcc, exec, s[28:29]
	v_add_u32_e32 v0, v30, v0
	v_lshrrev_b32_e32 v1, s14, v0
	v_mul_lo_u32 v0, v1, s12
	v_sub_u32_e32 v2, v30, v0
	v_mul_lo_u32 v0, v2, s8
	v_mul_lo_u32 v4, v2, s9
	v_mul_lo_u32 v2, v2, s10
	s_cbranch_vccnz .LBB133_132
; %bb.131:
	v_mul_hi_u32 v3, s26, v1
	v_add_u32_e32 v3, v1, v3
	v_lshrrev_b32_e32 v3, s27, v3
	v_mul_lo_u32 v3, v3, s15
	v_sub_u32_e32 v3, v1, v3
	v_mad_u64_u32 v[0:1], s[0:1], v3, s11, v[0:1]
	s_waitcnt vmcnt(2)
	v_mad_u64_u32 v[4:5], s[0:1], v3, s24, v[4:5]
	v_mad_u64_u32 v[2:3], s[0:1], v3, s25, v[2:3]
.LBB133_132:
	global_load_dwordx2 v[5:6], v4, s[6:7]
	global_load_dwordx2 v[7:8], v2, s[20:21]
	s_andn2_b64 vcc, exec, s[22:23]
	s_cbranch_vccnz .LBB133_146
; %bb.133:
	s_waitcnt vmcnt(0)
	v_cmp_neq_f32_e32 vcc, v5, v7
	v_cmp_neq_f32_e64 s[0:1], v6, v8
	s_or_b64 s[6:7], vcc, s[0:1]
	s_cbranch_execnz .LBB133_135
.LBB133_134:
	s_waitcnt vmcnt(0)
	v_cmp_eq_f32_e32 vcc, v5, v7
	v_cmp_eq_f32_e64 s[0:1], v6, v8
	s_and_b64 s[0:1], vcc, s[0:1]
	s_andn2_b64 s[6:7], s[6:7], exec
	s_and_b64 s[0:1], s[0:1], exec
	s_or_b64 s[6:7], s[6:7], s[0:1]
.LBB133_135:
	v_cndmask_b32_e64 v1, 0, 1, s[6:7]
	global_store_byte v0, v1, s[4:5]
.LBB133_136:
	s_or_b64 exec, exec, s[34:35]
                                        ; implicit-def: $vgpr40
                                        ; implicit-def: $vgpr30
.LBB133_137:
	s_andn2_saveexec_b64 s[0:1], s[18:19]
	s_cbranch_execz .LBB133_144
; %bb.138:
	v_cndmask_b32_e64 v0, 0, 1, s[16:17]
	v_cmp_ne_u32_e64 s[0:1], 1, v0
	s_andn2_b64 vcc, exec, s[16:17]
	s_cbranch_vccnz .LBB133_145
; %bb.139:
	s_cmp_lg_u32 s33, 0
	s_cbranch_scc0 .LBB133_147
; %bb.140:
	s_min_u32 s6, s38, 15
	s_add_i32 s4, s6, 1
	s_and_b32 s7, s4, 30
	s_add_u32 s4, s2, 0xffffffe8
	s_addc_u32 s5, s3, -1
	v_mov_b32_e32 v3, 0
	s_waitcnt vmcnt(2)
	v_mov_b32_e32 v5, 0
	v_mov_b32_e32 v0, 0
	;; [unrolled: 1-line block ×3, first 2 shown]
.LBB133_141:                            ; =>This Inner Loop Header: Depth=1
	s_load_dwordx4 s[8:11], s[4:5], 0x1c
	s_load_dwordx2 s[16:17], s[4:5], 0x2c
	s_load_dwordx2 s[18:19], s[4:5], 0xec
	s_load_dwordx4 s[12:15], s[4:5], 0xdc
	s_add_u32 s4, s4, 24
	s_waitcnt lgkmcnt(0)
	v_mul_hi_u32 v2, s9, v1
	s_addc_u32 s5, s5, 0
	s_add_i32 s7, s7, -2
	s_cmp_lg_u32 s7, 0
	v_add_u32_e32 v2, v1, v2
	v_lshrrev_b32_e32 v2, s10, v2
	v_mul_lo_u32 v4, v2, s8
	v_mul_hi_u32 v6, s16, v2
	v_sub_u32_e32 v4, v1, v4
	v_add_u32_e32 v1, v2, v6
	v_lshrrev_b32_e32 v1, s17, v1
	s_waitcnt vmcnt(1)
	v_mul_lo_u32 v8, v1, s11
	v_mul_lo_u32 v6, v4, s12
	;; [unrolled: 1-line block ×4, first 2 shown]
	v_sub_u32_e32 v2, v2, v8
	v_mul_lo_u32 v8, v2, s15
	v_mul_lo_u32 v9, v2, s18
	;; [unrolled: 1-line block ×3, first 2 shown]
	v_add3_u32 v0, v6, v0, v8
	v_add3_u32 v5, v7, v5, v9
	;; [unrolled: 1-line block ×3, first 2 shown]
	s_cbranch_scc1 .LBB133_141
; %bb.142:
	s_bitcmp1_b32 s6, 0
	s_cselect_b64 s[6:7], -1, 0
	s_and_b64 vcc, exec, s[6:7]
	s_cbranch_vccnz .LBB133_148
; %bb.143:
	s_load_dwordx2 s[6:7], s[4:5], 0x1c
	s_load_dword s10, s[4:5], 0x24
	s_load_dwordx2 s[8:9], s[4:5], 0xdc
	s_waitcnt lgkmcnt(0)
	v_mul_hi_u32 v2, s7, v1
	v_add_u32_e32 v2, v1, v2
	v_lshrrev_b32_e32 v2, s10, v2
	v_mul_lo_u32 v2, v2, s6
	s_load_dword s6, s[4:5], 0xe4
	v_sub_u32_e32 v2, v1, v2
	v_mad_u64_u32 v[0:1], s[4:5], v2, s8, v[0:1]
	v_mad_u64_u32 v[5:6], s[4:5], v2, s9, v[5:6]
	s_waitcnt lgkmcnt(0)
	v_mad_u64_u32 v[3:4], s[4:5], v2, s6, v[3:4]
	s_cbranch_execz .LBB133_149
	s_branch .LBB133_151
.LBB133_144:
	s_endpgm
.LBB133_145:
                                        ; implicit-def: $vgpr0
                                        ; implicit-def: $vgpr5
                                        ; implicit-def: $vgpr3
	s_branch .LBB133_149
.LBB133_146:
                                        ; implicit-def: $sgpr6_sgpr7
	s_branch .LBB133_134
.LBB133_147:
	v_mov_b32_e32 v0, 0
	s_waitcnt vmcnt(2)
	v_mov_b32_e32 v5, 0
	v_mov_b32_e32 v3, 0
.LBB133_148:
	s_cbranch_execnz .LBB133_151
.LBB133_149:
	s_load_dwordx4 s[4:7], s[2:3], 0x4
	s_load_dwordx4 s[8:11], s[2:3], 0xc4
	s_cmp_lt_u32 s33, 2
	s_waitcnt lgkmcnt(0)
	v_mul_hi_u32 v0, s5, v30
	v_add_u32_e32 v0, v30, v0
	v_lshrrev_b32_e32 v1, s6, v0
	v_mul_lo_u32 v0, v1, s4
	v_sub_u32_e32 v2, v30, v0
	v_mul_lo_u32 v0, v2, s8
	s_waitcnt vmcnt(2)
	v_mul_lo_u32 v5, v2, s9
	v_mul_lo_u32 v3, v2, s10
	s_cbranch_scc1 .LBB133_151
; %bb.150:
	s_load_dwordx4 s[4:7], s[2:3], 0x10
	s_load_dwordx4 s[8:11], s[2:3], 0xd0
	s_waitcnt lgkmcnt(0)
	v_mul_hi_u32 v2, s5, v1
	v_add_u32_e32 v2, v1, v2
	v_lshrrev_b32_e32 v2, s6, v2
	v_mul_lo_u32 v2, v2, s4
	v_sub_u32_e32 v2, v1, v2
	v_mad_u64_u32 v[0:1], s[4:5], v2, s8, v[0:1]
	v_mad_u64_u32 v[5:6], s[4:5], v2, s9, v[5:6]
	;; [unrolled: 1-line block ×3, first 2 shown]
.LBB133_151:
	s_and_b64 vcc, exec, s[0:1]
	v_add_u32_e32 v4, 0x80, v30
	s_cbranch_vccnz .LBB133_157
; %bb.152:
	s_cmp_lg_u32 s33, 0
	s_cbranch_scc0 .LBB133_158
; %bb.153:
	s_min_u32 s6, s38, 15
	s_add_i32 s4, s6, 1
	s_and_b32 s7, s4, 30
	s_add_u32 s4, s2, 0xffffffe8
	s_addc_u32 s5, s3, -1
	s_waitcnt vmcnt(1)
	v_mov_b32_e32 v8, 0
	v_mov_b32_e32 v10, 0
	;; [unrolled: 1-line block ×4, first 2 shown]
.LBB133_154:                            ; =>This Inner Loop Header: Depth=1
	s_load_dwordx4 s[8:11], s[4:5], 0x1c
	s_load_dwordx2 s[16:17], s[4:5], 0x2c
	s_load_dwordx2 s[18:19], s[4:5], 0xec
	s_load_dwordx4 s[12:15], s[4:5], 0xdc
	s_add_u32 s4, s4, 24
	s_waitcnt lgkmcnt(0)
	v_mul_hi_u32 v6, s9, v2
	s_addc_u32 s5, s5, 0
	s_add_i32 s7, s7, -2
	s_cmp_lg_u32 s7, 0
	v_add_u32_e32 v6, v2, v6
	v_lshrrev_b32_e32 v6, s10, v6
	v_mul_lo_u32 v7, v6, s8
	v_mul_hi_u32 v9, s16, v6
	v_sub_u32_e32 v7, v2, v7
	v_add_u32_e32 v2, v6, v9
	v_lshrrev_b32_e32 v2, s17, v2
	v_mul_lo_u32 v12, v2, s11
	v_mul_lo_u32 v9, v7, s12
	;; [unrolled: 1-line block ×4, first 2 shown]
	v_sub_u32_e32 v6, v6, v12
	v_mul_lo_u32 v12, v6, s15
	v_mul_lo_u32 v13, v6, s18
	;; [unrolled: 1-line block ×3, first 2 shown]
	v_add3_u32 v1, v9, v1, v12
	v_add3_u32 v10, v11, v10, v13
	;; [unrolled: 1-line block ×3, first 2 shown]
	s_cbranch_scc1 .LBB133_154
; %bb.155:
	s_bitcmp1_b32 s6, 0
	s_cselect_b64 s[6:7], -1, 0
	s_and_b64 vcc, exec, s[6:7]
	s_cbranch_vccnz .LBB133_159
; %bb.156:
	s_load_dwordx2 s[6:7], s[4:5], 0x1c
	s_load_dword s10, s[4:5], 0x24
	s_load_dwordx2 s[8:9], s[4:5], 0xdc
	s_waitcnt lgkmcnt(0)
	v_mul_hi_u32 v6, s7, v2
	v_add_u32_e32 v6, v2, v6
	v_lshrrev_b32_e32 v6, s10, v6
	v_mul_lo_u32 v6, v6, s6
	s_load_dword s6, s[4:5], 0xe4
	v_sub_u32_e32 v6, v2, v6
	v_mad_u64_u32 v[1:2], s[4:5], v6, s8, v[1:2]
	v_mad_u64_u32 v[10:11], s[4:5], v6, s9, v[10:11]
	s_waitcnt lgkmcnt(0)
	v_mad_u64_u32 v[8:9], s[4:5], v6, s6, v[8:9]
	s_cbranch_execz .LBB133_160
	s_branch .LBB133_162
.LBB133_157:
                                        ; implicit-def: $vgpr1
                                        ; implicit-def: $vgpr10
                                        ; implicit-def: $vgpr8
	s_branch .LBB133_160
.LBB133_158:
	v_mov_b32_e32 v1, 0
	v_mov_b32_e32 v10, 0
	s_waitcnt vmcnt(1)
	v_mov_b32_e32 v8, 0
.LBB133_159:
	s_cbranch_execnz .LBB133_162
.LBB133_160:
	s_load_dwordx4 s[4:7], s[2:3], 0x4
	s_load_dwordx4 s[8:11], s[2:3], 0xc4
	s_cmp_lt_u32 s33, 2
	s_waitcnt lgkmcnt(0)
	v_mul_hi_u32 v1, s5, v4
	v_add_u32_e32 v1, v4, v1
	v_lshrrev_b32_e32 v2, s6, v1
	v_mul_lo_u32 v1, v2, s4
	v_sub_u32_e32 v4, v4, v1
	v_mul_lo_u32 v1, v4, s8
	v_mul_lo_u32 v10, v4, s9
	s_waitcnt vmcnt(1)
	v_mul_lo_u32 v8, v4, s10
	s_cbranch_scc1 .LBB133_162
; %bb.161:
	s_load_dwordx4 s[4:7], s[2:3], 0x10
	s_load_dwordx4 s[8:11], s[2:3], 0xd0
	s_waitcnt lgkmcnt(0)
	v_mul_hi_u32 v4, s5, v2
	v_add_u32_e32 v4, v2, v4
	v_lshrrev_b32_e32 v4, s6, v4
	v_mul_lo_u32 v4, v4, s4
	v_sub_u32_e32 v4, v2, v4
	v_mad_u64_u32 v[1:2], s[4:5], v4, s8, v[1:2]
	v_mad_u64_u32 v[10:11], s[4:5], v4, s9, v[10:11]
	;; [unrolled: 1-line block ×3, first 2 shown]
.LBB133_162:
	s_and_b64 vcc, exec, s[0:1]
	v_add_u32_e32 v2, 0x100, v30
	s_cbranch_vccnz .LBB133_168
; %bb.163:
	s_cmp_lg_u32 s33, 0
	s_cbranch_scc0 .LBB133_169
; %bb.164:
	s_min_u32 s6, s38, 15
	s_add_i32 s4, s6, 1
	s_and_b32 s7, s4, 30
	s_add_u32 s4, s2, 0xffffffe8
	s_addc_u32 s5, s3, -1
	v_mov_b32_e32 v13, 0
	v_mov_b32_e32 v15, 0
	s_waitcnt vmcnt(2)
	v_mov_b32_e32 v6, 0
	v_mov_b32_e32 v4, v2
.LBB133_165:                            ; =>This Inner Loop Header: Depth=1
	s_load_dwordx4 s[8:11], s[4:5], 0x1c
	s_load_dwordx2 s[16:17], s[4:5], 0x2c
	s_load_dwordx2 s[18:19], s[4:5], 0xec
	s_load_dwordx4 s[12:15], s[4:5], 0xdc
	s_add_u32 s4, s4, 24
	s_waitcnt vmcnt(1) lgkmcnt(0)
	v_mul_hi_u32 v7, s9, v4
	s_addc_u32 s5, s5, 0
	s_add_i32 s7, s7, -2
	s_cmp_lg_u32 s7, 0
	v_add_u32_e32 v7, v4, v7
	v_lshrrev_b32_e32 v7, s10, v7
	v_mul_lo_u32 v9, v7, s8
	v_mul_hi_u32 v11, s16, v7
	v_sub_u32_e32 v9, v4, v9
	v_add_u32_e32 v4, v7, v11
	v_lshrrev_b32_e32 v4, s17, v4
	v_mul_lo_u32 v14, v4, s11
	v_mul_lo_u32 v11, v9, s12
	;; [unrolled: 1-line block ×4, first 2 shown]
	v_sub_u32_e32 v7, v7, v14
	v_mul_lo_u32 v14, v7, s15
	v_mul_lo_u32 v16, v7, s18
	;; [unrolled: 1-line block ×3, first 2 shown]
	v_add3_u32 v6, v11, v6, v14
	v_add3_u32 v15, v12, v15, v16
	;; [unrolled: 1-line block ×3, first 2 shown]
	s_cbranch_scc1 .LBB133_165
; %bb.166:
	s_bitcmp1_b32 s6, 0
	s_cselect_b64 s[6:7], -1, 0
	s_and_b64 vcc, exec, s[6:7]
	s_cbranch_vccnz .LBB133_170
; %bb.167:
	s_load_dwordx2 s[6:7], s[4:5], 0x1c
	s_load_dword s10, s[4:5], 0x24
	s_load_dwordx2 s[8:9], s[4:5], 0xdc
	s_waitcnt lgkmcnt(0)
	v_mul_hi_u32 v7, s7, v4
	v_add_u32_e32 v7, v4, v7
	v_lshrrev_b32_e32 v7, s10, v7
	v_mul_lo_u32 v7, v7, s6
	s_load_dword s6, s[4:5], 0xe4
	v_sub_u32_e32 v4, v4, v7
	v_mad_u64_u32 v[6:7], s[4:5], v4, s8, v[6:7]
	v_mad_u64_u32 v[15:16], s[4:5], v4, s9, v[15:16]
	s_waitcnt lgkmcnt(0)
	v_mad_u64_u32 v[13:14], s[4:5], v4, s6, v[13:14]
	s_cbranch_execz .LBB133_171
	s_branch .LBB133_173
.LBB133_168:
                                        ; implicit-def: $vgpr6
                                        ; implicit-def: $vgpr15
                                        ; implicit-def: $vgpr13
	s_branch .LBB133_171
.LBB133_169:
	s_waitcnt vmcnt(2)
	v_mov_b32_e32 v6, 0
	v_mov_b32_e32 v15, 0
	;; [unrolled: 1-line block ×3, first 2 shown]
.LBB133_170:
	s_cbranch_execnz .LBB133_173
.LBB133_171:
	s_load_dwordx4 s[4:7], s[2:3], 0x4
	s_load_dwordx4 s[8:11], s[2:3], 0xc4
	s_cmp_lt_u32 s33, 2
	s_waitcnt lgkmcnt(0)
	v_mul_hi_u32 v4, s5, v2
	v_add_u32_e32 v4, v2, v4
	v_lshrrev_b32_e32 v4, s6, v4
	s_waitcnt vmcnt(2)
	v_mul_lo_u32 v6, v4, s4
	v_sub_u32_e32 v2, v2, v6
	v_mul_lo_u32 v6, v2, s8
	v_mul_lo_u32 v15, v2, s9
	;; [unrolled: 1-line block ×3, first 2 shown]
	s_cbranch_scc1 .LBB133_173
; %bb.172:
	s_load_dwordx4 s[4:7], s[2:3], 0x10
	s_load_dwordx4 s[8:11], s[2:3], 0xd0
	s_waitcnt lgkmcnt(0)
	v_mul_hi_u32 v2, s5, v4
	v_add_u32_e32 v2, v4, v2
	v_lshrrev_b32_e32 v2, s6, v2
	v_mul_lo_u32 v2, v2, s4
	v_sub_u32_e32 v2, v4, v2
	s_waitcnt vmcnt(1)
	v_mad_u64_u32 v[6:7], s[4:5], v2, s8, v[6:7]
	v_mad_u64_u32 v[15:16], s[4:5], v2, s9, v[15:16]
	;; [unrolled: 1-line block ×3, first 2 shown]
.LBB133_173:
	s_and_b64 vcc, exec, s[0:1]
	v_add_u32_e32 v2, 0x180, v30
	s_cbranch_vccnz .LBB133_179
; %bb.174:
	s_cmp_lg_u32 s33, 0
	s_cbranch_scc0 .LBB133_180
; %bb.175:
	s_min_u32 s6, s38, 15
	s_add_i32 s4, s6, 1
	s_and_b32 s7, s4, 30
	s_add_u32 s4, s2, 0xffffffe8
	s_addc_u32 s5, s3, -1
	v_mov_b32_e32 v16, 0
	v_mov_b32_e32 v18, 0
	;; [unrolled: 1-line block ×4, first 2 shown]
.LBB133_176:                            ; =>This Inner Loop Header: Depth=1
	s_load_dwordx4 s[8:11], s[4:5], 0x1c
	s_load_dwordx2 s[16:17], s[4:5], 0x2c
	s_load_dwordx2 s[18:19], s[4:5], 0xec
	s_load_dwordx4 s[12:15], s[4:5], 0xdc
	s_add_u32 s4, s4, 24
	s_waitcnt vmcnt(1) lgkmcnt(0)
	v_mul_hi_u32 v7, s9, v4
	s_addc_u32 s5, s5, 0
	s_add_i32 s7, s7, -2
	s_cmp_lg_u32 s7, 0
	v_add_u32_e32 v7, v4, v7
	v_lshrrev_b32_e32 v7, s10, v7
	v_mul_lo_u32 v9, v7, s8
	v_mul_hi_u32 v12, s16, v7
	v_sub_u32_e32 v9, v4, v9
	v_add_u32_e32 v4, v7, v12
	v_lshrrev_b32_e32 v4, s17, v4
	v_mul_lo_u32 v17, v4, s11
	v_mul_lo_u32 v12, v9, s12
	;; [unrolled: 1-line block ×4, first 2 shown]
	v_sub_u32_e32 v7, v7, v17
	v_mul_lo_u32 v17, v7, s15
	v_mul_lo_u32 v19, v7, s18
	;; [unrolled: 1-line block ×3, first 2 shown]
	v_add3_u32 v11, v12, v11, v17
	v_add3_u32 v18, v14, v18, v19
	;; [unrolled: 1-line block ×3, first 2 shown]
	s_cbranch_scc1 .LBB133_176
; %bb.177:
	s_bitcmp1_b32 s6, 0
	s_cselect_b64 s[6:7], -1, 0
	s_and_b64 vcc, exec, s[6:7]
	s_cbranch_vccnz .LBB133_181
; %bb.178:
	s_load_dwordx2 s[6:7], s[4:5], 0x1c
	s_load_dword s10, s[4:5], 0x24
	s_load_dwordx2 s[8:9], s[4:5], 0xdc
	s_waitcnt lgkmcnt(0)
	v_mul_hi_u32 v7, s7, v4
	v_add_u32_e32 v7, v4, v7
	v_lshrrev_b32_e32 v7, s10, v7
	v_mul_lo_u32 v7, v7, s6
	s_load_dword s6, s[4:5], 0xe4
	v_sub_u32_e32 v4, v4, v7
	v_mad_u64_u32 v[11:12], s[4:5], v4, s8, v[11:12]
	v_mad_u64_u32 v[18:19], s[4:5], v4, s9, v[18:19]
	s_waitcnt lgkmcnt(0)
	v_mad_u64_u32 v[16:17], s[4:5], v4, s6, v[16:17]
	s_cbranch_execz .LBB133_182
	s_branch .LBB133_184
.LBB133_179:
                                        ; implicit-def: $vgpr11
                                        ; implicit-def: $vgpr18
                                        ; implicit-def: $vgpr16
	s_branch .LBB133_182
.LBB133_180:
	v_mov_b32_e32 v11, 0
	v_mov_b32_e32 v18, 0
	;; [unrolled: 1-line block ×3, first 2 shown]
.LBB133_181:
	s_cbranch_execnz .LBB133_184
.LBB133_182:
	s_load_dwordx4 s[4:7], s[2:3], 0x4
	s_load_dwordx4 s[8:11], s[2:3], 0xc4
	s_cmp_lt_u32 s33, 2
	s_waitcnt lgkmcnt(0)
	v_mul_hi_u32 v4, s5, v2
	v_add_u32_e32 v4, v2, v4
	v_lshrrev_b32_e32 v4, s6, v4
	s_waitcnt vmcnt(1)
	v_mul_lo_u32 v7, v4, s4
	v_sub_u32_e32 v2, v2, v7
	v_mul_lo_u32 v11, v2, s8
	v_mul_lo_u32 v18, v2, s9
	;; [unrolled: 1-line block ×3, first 2 shown]
	s_cbranch_scc1 .LBB133_184
; %bb.183:
	s_load_dwordx4 s[4:7], s[2:3], 0x10
	s_load_dwordx4 s[8:11], s[2:3], 0xd0
	s_waitcnt lgkmcnt(0)
	v_mul_hi_u32 v2, s5, v4
	v_add_u32_e32 v2, v4, v2
	v_lshrrev_b32_e32 v2, s6, v2
	v_mul_lo_u32 v2, v2, s4
	v_sub_u32_e32 v2, v4, v2
	v_mad_u64_u32 v[11:12], s[4:5], v2, s8, v[11:12]
	v_mad_u64_u32 v[18:19], s[4:5], v2, s9, v[18:19]
	;; [unrolled: 1-line block ×3, first 2 shown]
.LBB133_184:
	s_and_b64 vcc, exec, s[0:1]
	v_add_u32_e32 v2, 0x200, v30
	s_cbranch_vccnz .LBB133_190
; %bb.185:
	s_cmp_lg_u32 s33, 0
	s_cbranch_scc0 .LBB133_191
; %bb.186:
	s_min_u32 s6, s38, 15
	s_add_i32 s4, s6, 1
	s_and_b32 s7, s4, 30
	s_add_u32 s4, s2, 0xffffffe8
	s_addc_u32 s5, s3, -1
	v_mov_b32_e32 v21, 0
	v_mov_b32_e32 v23, 0
	;; [unrolled: 1-line block ×4, first 2 shown]
.LBB133_187:                            ; =>This Inner Loop Header: Depth=1
	s_load_dwordx4 s[8:11], s[4:5], 0x1c
	s_load_dwordx2 s[16:17], s[4:5], 0x2c
	s_load_dwordx2 s[18:19], s[4:5], 0xec
	s_load_dwordx4 s[12:15], s[4:5], 0xdc
	s_add_u32 s4, s4, 24
	s_waitcnt vmcnt(1) lgkmcnt(0)
	v_mul_hi_u32 v7, s9, v4
	s_addc_u32 s5, s5, 0
	s_add_i32 s7, s7, -2
	s_cmp_lg_u32 s7, 0
	v_add_u32_e32 v7, v4, v7
	v_lshrrev_b32_e32 v7, s10, v7
	v_mul_lo_u32 v9, v7, s8
	v_mul_hi_u32 v12, s16, v7
	v_sub_u32_e32 v9, v4, v9
	v_add_u32_e32 v4, v7, v12
	v_lshrrev_b32_e32 v4, s17, v4
	v_mul_lo_u32 v17, v4, s11
	v_mul_lo_u32 v12, v9, s12
	;; [unrolled: 1-line block ×4, first 2 shown]
	v_sub_u32_e32 v7, v7, v17
	v_mul_lo_u32 v17, v7, s15
	v_mul_lo_u32 v20, v7, s18
	;; [unrolled: 1-line block ×3, first 2 shown]
	v_add3_u32 v19, v12, v19, v17
	v_add3_u32 v23, v14, v23, v20
	;; [unrolled: 1-line block ×3, first 2 shown]
	s_cbranch_scc1 .LBB133_187
; %bb.188:
	s_bitcmp1_b32 s6, 0
	s_cselect_b64 s[6:7], -1, 0
	s_and_b64 vcc, exec, s[6:7]
	s_cbranch_vccnz .LBB133_192
; %bb.189:
	s_load_dwordx2 s[6:7], s[4:5], 0x1c
	s_load_dword s10, s[4:5], 0x24
	s_load_dwordx2 s[8:9], s[4:5], 0xdc
	s_waitcnt lgkmcnt(0)
	v_mul_hi_u32 v7, s7, v4
	v_add_u32_e32 v7, v4, v7
	v_lshrrev_b32_e32 v7, s10, v7
	v_mul_lo_u32 v7, v7, s6
	s_load_dword s6, s[4:5], 0xe4
	v_sub_u32_e32 v4, v4, v7
	v_mad_u64_u32 v[19:20], s[4:5], v4, s8, v[19:20]
	v_mad_u64_u32 v[23:24], s[4:5], v4, s9, v[23:24]
	s_waitcnt lgkmcnt(0)
	v_mad_u64_u32 v[21:22], s[4:5], v4, s6, v[21:22]
	s_cbranch_execz .LBB133_193
	s_branch .LBB133_195
.LBB133_190:
                                        ; implicit-def: $vgpr19
                                        ; implicit-def: $vgpr23
                                        ; implicit-def: $vgpr21
	s_branch .LBB133_193
.LBB133_191:
	v_mov_b32_e32 v19, 0
	v_mov_b32_e32 v23, 0
	;; [unrolled: 1-line block ×3, first 2 shown]
.LBB133_192:
	s_cbranch_execnz .LBB133_195
.LBB133_193:
	s_load_dwordx4 s[4:7], s[2:3], 0x4
	s_load_dwordx4 s[8:11], s[2:3], 0xc4
	s_cmp_lt_u32 s33, 2
	s_waitcnt lgkmcnt(0)
	v_mul_hi_u32 v4, s5, v2
	v_add_u32_e32 v4, v2, v4
	v_lshrrev_b32_e32 v4, s6, v4
	s_waitcnt vmcnt(1)
	v_mul_lo_u32 v7, v4, s4
	v_sub_u32_e32 v2, v2, v7
	v_mul_lo_u32 v19, v2, s8
	v_mul_lo_u32 v23, v2, s9
	;; [unrolled: 1-line block ×3, first 2 shown]
	s_cbranch_scc1 .LBB133_195
; %bb.194:
	s_load_dwordx4 s[4:7], s[2:3], 0x10
	s_load_dwordx4 s[8:11], s[2:3], 0xd0
	s_waitcnt lgkmcnt(0)
	v_mul_hi_u32 v2, s5, v4
	v_add_u32_e32 v2, v4, v2
	v_lshrrev_b32_e32 v2, s6, v2
	v_mul_lo_u32 v2, v2, s4
	v_sub_u32_e32 v2, v4, v2
	v_mad_u64_u32 v[19:20], s[4:5], v2, s8, v[19:20]
	v_mad_u64_u32 v[23:24], s[4:5], v2, s9, v[23:24]
	;; [unrolled: 1-line block ×3, first 2 shown]
.LBB133_195:
	s_and_b64 vcc, exec, s[0:1]
	v_add_u32_e32 v2, 0x280, v30
	s_cbranch_vccnz .LBB133_201
; %bb.196:
	s_cmp_lg_u32 s33, 0
	s_cbranch_scc0 .LBB133_202
; %bb.197:
	s_min_u32 s6, s38, 15
	s_add_i32 s4, s6, 1
	s_and_b32 s7, s4, 30
	s_add_u32 s4, s2, 0xffffffe8
	s_addc_u32 s5, s3, -1
	v_mov_b32_e32 v26, 0
	v_mov_b32_e32 v28, 0
	;; [unrolled: 1-line block ×4, first 2 shown]
.LBB133_198:                            ; =>This Inner Loop Header: Depth=1
	s_load_dwordx4 s[8:11], s[4:5], 0x1c
	s_load_dwordx2 s[16:17], s[4:5], 0x2c
	s_load_dwordx2 s[18:19], s[4:5], 0xec
	s_load_dwordx4 s[12:15], s[4:5], 0xdc
	s_add_u32 s4, s4, 24
	s_waitcnt vmcnt(1) lgkmcnt(0)
	v_mul_hi_u32 v7, s9, v4
	s_addc_u32 s5, s5, 0
	s_add_i32 s7, s7, -2
	s_cmp_lg_u32 s7, 0
	v_add_u32_e32 v7, v4, v7
	v_lshrrev_b32_e32 v7, s10, v7
	v_mul_lo_u32 v9, v7, s8
	v_mul_hi_u32 v12, s16, v7
	v_sub_u32_e32 v9, v4, v9
	v_add_u32_e32 v4, v7, v12
	v_lshrrev_b32_e32 v4, s17, v4
	v_mul_lo_u32 v17, v4, s11
	v_mul_lo_u32 v12, v9, s12
	;; [unrolled: 1-line block ×4, first 2 shown]
	v_sub_u32_e32 v7, v7, v17
	v_mul_lo_u32 v17, v7, s15
	v_mul_lo_u32 v20, v7, s18
	;; [unrolled: 1-line block ×3, first 2 shown]
	v_add3_u32 v24, v12, v24, v17
	v_add3_u32 v28, v14, v28, v20
	;; [unrolled: 1-line block ×3, first 2 shown]
	s_cbranch_scc1 .LBB133_198
; %bb.199:
	s_bitcmp1_b32 s6, 0
	s_cselect_b64 s[6:7], -1, 0
	s_and_b64 vcc, exec, s[6:7]
	s_cbranch_vccnz .LBB133_203
; %bb.200:
	s_load_dwordx2 s[6:7], s[4:5], 0x1c
	s_load_dword s10, s[4:5], 0x24
	s_load_dwordx2 s[8:9], s[4:5], 0xdc
	s_waitcnt lgkmcnt(0)
	v_mul_hi_u32 v7, s7, v4
	v_add_u32_e32 v7, v4, v7
	v_lshrrev_b32_e32 v7, s10, v7
	v_mul_lo_u32 v7, v7, s6
	s_load_dword s6, s[4:5], 0xe4
	v_sub_u32_e32 v4, v4, v7
	v_mad_u64_u32 v[24:25], s[4:5], v4, s8, v[24:25]
	v_mad_u64_u32 v[28:29], s[4:5], v4, s9, v[28:29]
	s_waitcnt lgkmcnt(0)
	v_mad_u64_u32 v[26:27], s[4:5], v4, s6, v[26:27]
	s_cbranch_execz .LBB133_204
	s_branch .LBB133_206
.LBB133_201:
                                        ; implicit-def: $vgpr24
                                        ; implicit-def: $vgpr28
                                        ; implicit-def: $vgpr26
	s_branch .LBB133_204
.LBB133_202:
	v_mov_b32_e32 v24, 0
	v_mov_b32_e32 v28, 0
	;; [unrolled: 1-line block ×3, first 2 shown]
.LBB133_203:
	s_cbranch_execnz .LBB133_206
.LBB133_204:
	s_load_dwordx4 s[4:7], s[2:3], 0x4
	s_load_dwordx4 s[8:11], s[2:3], 0xc4
	s_cmp_lt_u32 s33, 2
	s_waitcnt lgkmcnt(0)
	v_mul_hi_u32 v4, s5, v2
	v_add_u32_e32 v4, v2, v4
	v_lshrrev_b32_e32 v4, s6, v4
	s_waitcnt vmcnt(1)
	v_mul_lo_u32 v7, v4, s4
	v_sub_u32_e32 v2, v2, v7
	v_mul_lo_u32 v24, v2, s8
	v_mul_lo_u32 v28, v2, s9
	;; [unrolled: 1-line block ×3, first 2 shown]
	s_cbranch_scc1 .LBB133_206
; %bb.205:
	s_load_dwordx4 s[4:7], s[2:3], 0x10
	s_load_dwordx4 s[8:11], s[2:3], 0xd0
	s_waitcnt lgkmcnt(0)
	v_mul_hi_u32 v2, s5, v4
	v_add_u32_e32 v2, v4, v2
	v_lshrrev_b32_e32 v2, s6, v2
	v_mul_lo_u32 v2, v2, s4
	v_sub_u32_e32 v2, v4, v2
	v_mad_u64_u32 v[24:25], s[4:5], v2, s8, v[24:25]
	v_mad_u64_u32 v[28:29], s[4:5], v2, s9, v[28:29]
	;; [unrolled: 1-line block ×3, first 2 shown]
.LBB133_206:
	s_and_b64 vcc, exec, s[0:1]
	v_add_u32_e32 v2, 0x300, v30
	s_cbranch_vccnz .LBB133_212
; %bb.207:
	s_cmp_lg_u32 s33, 0
	s_cbranch_scc0 .LBB133_213
; %bb.208:
	s_min_u32 s6, s38, 15
	s_add_i32 s4, s6, 1
	s_and_b32 s7, s4, 30
	s_add_u32 s4, s2, 0xffffffe8
	s_addc_u32 s5, s3, -1
	v_mov_b32_e32 v31, 0
	v_mov_b32_e32 v33, 0
	;; [unrolled: 1-line block ×4, first 2 shown]
.LBB133_209:                            ; =>This Inner Loop Header: Depth=1
	s_load_dwordx4 s[8:11], s[4:5], 0x1c
	s_load_dwordx2 s[16:17], s[4:5], 0x2c
	s_load_dwordx2 s[18:19], s[4:5], 0xec
	s_load_dwordx4 s[12:15], s[4:5], 0xdc
	s_add_u32 s4, s4, 24
	s_waitcnt vmcnt(1) lgkmcnt(0)
	v_mul_hi_u32 v7, s9, v4
	s_addc_u32 s5, s5, 0
	s_add_i32 s7, s7, -2
	s_cmp_lg_u32 s7, 0
	v_add_u32_e32 v7, v4, v7
	v_lshrrev_b32_e32 v7, s10, v7
	v_mul_lo_u32 v9, v7, s8
	v_mul_hi_u32 v12, s16, v7
	v_sub_u32_e32 v9, v4, v9
	v_add_u32_e32 v4, v7, v12
	v_lshrrev_b32_e32 v4, s17, v4
	v_mul_lo_u32 v17, v4, s11
	v_mul_lo_u32 v12, v9, s12
	;; [unrolled: 1-line block ×4, first 2 shown]
	v_sub_u32_e32 v7, v7, v17
	v_mul_lo_u32 v17, v7, s15
	v_mul_lo_u32 v20, v7, s18
	;; [unrolled: 1-line block ×3, first 2 shown]
	v_add3_u32 v29, v12, v29, v17
	v_add3_u32 v33, v14, v33, v20
	;; [unrolled: 1-line block ×3, first 2 shown]
	s_cbranch_scc1 .LBB133_209
; %bb.210:
	s_bitcmp1_b32 s6, 0
	s_cselect_b64 s[6:7], -1, 0
	s_and_b64 vcc, exec, s[6:7]
	s_cbranch_vccnz .LBB133_214
; %bb.211:
	s_load_dwordx2 s[6:7], s[4:5], 0x1c
	s_load_dword s10, s[4:5], 0x24
	s_load_dwordx2 s[8:9], s[4:5], 0xdc
	s_waitcnt lgkmcnt(0)
	v_mul_hi_u32 v7, s7, v4
	v_add_u32_e32 v7, v4, v7
	v_lshrrev_b32_e32 v7, s10, v7
	v_mul_lo_u32 v7, v7, s6
	s_load_dword s6, s[4:5], 0xe4
	v_sub_u32_e32 v4, v4, v7
	v_mad_u64_u32 v[29:30], s[4:5], v4, s8, v[29:30]
	v_mad_u64_u32 v[33:34], s[4:5], v4, s9, v[33:34]
	s_waitcnt lgkmcnt(0)
	v_mad_u64_u32 v[31:32], s[4:5], v4, s6, v[31:32]
	s_cbranch_execz .LBB133_215
	s_branch .LBB133_217
.LBB133_212:
                                        ; implicit-def: $vgpr29
                                        ; implicit-def: $vgpr33
                                        ; implicit-def: $vgpr31
	s_branch .LBB133_215
.LBB133_213:
	v_mov_b32_e32 v29, 0
	v_mov_b32_e32 v33, 0
	;; [unrolled: 1-line block ×3, first 2 shown]
.LBB133_214:
	s_cbranch_execnz .LBB133_217
.LBB133_215:
	s_load_dwordx4 s[4:7], s[2:3], 0x4
	s_load_dwordx4 s[8:11], s[2:3], 0xc4
	s_cmp_lt_u32 s33, 2
	s_waitcnt lgkmcnt(0)
	v_mul_hi_u32 v4, s5, v2
	v_add_u32_e32 v4, v2, v4
	v_lshrrev_b32_e32 v4, s6, v4
	s_waitcnt vmcnt(1)
	v_mul_lo_u32 v7, v4, s4
	v_sub_u32_e32 v2, v2, v7
	v_mul_lo_u32 v29, v2, s8
	v_mul_lo_u32 v33, v2, s9
	;; [unrolled: 1-line block ×3, first 2 shown]
	s_cbranch_scc1 .LBB133_217
; %bb.216:
	s_load_dwordx4 s[4:7], s[2:3], 0x10
	s_load_dwordx4 s[8:11], s[2:3], 0xd0
	s_waitcnt lgkmcnt(0)
	v_mul_hi_u32 v2, s5, v4
	v_add_u32_e32 v2, v4, v2
	v_lshrrev_b32_e32 v2, s6, v2
	v_mul_lo_u32 v2, v2, s4
	v_sub_u32_e32 v2, v4, v2
	v_mad_u64_u32 v[29:30], s[4:5], v2, s8, v[29:30]
	v_mad_u64_u32 v[33:34], s[4:5], v2, s9, v[33:34]
	;; [unrolled: 1-line block ×3, first 2 shown]
.LBB133_217:
	s_and_b64 vcc, exec, s[0:1]
	s_cbranch_vccnz .LBB133_223
; %bb.218:
	s_cmp_lg_u32 s33, 0
	s_cbranch_scc0 .LBB133_224
; %bb.219:
	s_min_u32 s4, s38, 15
	s_add_i32 s0, s4, 1
	s_and_b32 s5, s0, 30
	s_add_u32 s0, s2, 0xffffffe8
	s_addc_u32 s1, s3, -1
	v_mov_b32_e32 v36, 0
	v_mov_b32_e32 v38, 0
	v_mov_b32_e32 v34, 0
	v_mov_b32_e32 v2, v40
.LBB133_220:                            ; =>This Inner Loop Header: Depth=1
	s_load_dwordx4 s[8:11], s[0:1], 0x1c
	s_load_dwordx2 s[6:7], s[0:1], 0x2c
	s_load_dwordx2 s[16:17], s[0:1], 0xec
	s_load_dwordx4 s[12:15], s[0:1], 0xdc
	s_add_u32 s0, s0, 24
	s_waitcnt lgkmcnt(0)
	v_mul_hi_u32 v4, s9, v2
	s_addc_u32 s1, s1, 0
	s_add_i32 s5, s5, -2
	s_cmp_lg_u32 s5, 0
	v_add_u32_e32 v4, v2, v4
	v_lshrrev_b32_e32 v4, s10, v4
	s_waitcnt vmcnt(1)
	v_mul_lo_u32 v7, v4, s8
	v_mul_hi_u32 v9, s6, v4
	v_sub_u32_e32 v7, v2, v7
	v_add_u32_e32 v2, v4, v9
	v_lshrrev_b32_e32 v2, s7, v2
	v_mul_lo_u32 v14, v2, s11
	v_mul_lo_u32 v9, v7, s12
	;; [unrolled: 1-line block ×4, first 2 shown]
	v_sub_u32_e32 v4, v4, v14
	v_mul_lo_u32 v14, v4, s15
	v_mul_lo_u32 v17, v4, s16
	;; [unrolled: 1-line block ×3, first 2 shown]
	v_add3_u32 v34, v9, v34, v14
	v_add3_u32 v38, v12, v38, v17
	v_add3_u32 v36, v7, v36, v4
	s_cbranch_scc1 .LBB133_220
; %bb.221:
	s_bitcmp1_b32 s4, 0
	s_cselect_b64 s[4:5], -1, 0
	s_and_b64 vcc, exec, s[4:5]
	s_cbranch_vccnz .LBB133_225
; %bb.222:
	s_load_dwordx2 s[4:5], s[0:1], 0x1c
	s_load_dword s8, s[0:1], 0x24
	s_load_dwordx2 s[6:7], s[0:1], 0xdc
	s_waitcnt lgkmcnt(0)
	v_mul_hi_u32 v4, s5, v2
	v_add_u32_e32 v4, v2, v4
	v_lshrrev_b32_e32 v4, s8, v4
	v_mul_lo_u32 v4, v4, s4
	s_load_dword s4, s[0:1], 0xe4
	v_sub_u32_e32 v2, v2, v4
	v_mad_u64_u32 v[34:35], s[0:1], v2, s6, v[34:35]
	v_mad_u64_u32 v[38:39], s[0:1], v2, s7, v[38:39]
	s_waitcnt lgkmcnt(0)
	v_mad_u64_u32 v[36:37], s[0:1], v2, s4, v[36:37]
	s_cbranch_execz .LBB133_226
	s_branch .LBB133_228
.LBB133_223:
                                        ; implicit-def: $vgpr34
                                        ; implicit-def: $vgpr38
                                        ; implicit-def: $vgpr36
	s_branch .LBB133_226
.LBB133_224:
	v_mov_b32_e32 v34, 0
	v_mov_b32_e32 v38, 0
	v_mov_b32_e32 v36, 0
.LBB133_225:
	s_cbranch_execnz .LBB133_228
.LBB133_226:
	s_load_dwordx4 s[4:7], s[2:3], 0x4
	s_load_dwordx4 s[8:11], s[2:3], 0xc4
	s_cmp_lt_u32 s33, 2
	s_waitcnt lgkmcnt(0)
	v_mul_hi_u32 v2, s5, v40
	v_add_u32_e32 v2, v40, v2
	v_lshrrev_b32_e32 v2, s6, v2
	v_mul_lo_u32 v4, v2, s4
	v_sub_u32_e32 v4, v40, v4
	v_mul_lo_u32 v34, v4, s8
	v_mul_lo_u32 v38, v4, s9
	v_mul_lo_u32 v36, v4, s10
	s_cbranch_scc1 .LBB133_228
; %bb.227:
	s_load_dwordx4 s[4:7], s[2:3], 0x10
	s_load_dwordx4 s[8:11], s[2:3], 0xd0
	s_waitcnt lgkmcnt(0)
	v_mul_hi_u32 v4, s5, v2
	v_add_u32_e32 v4, v2, v4
	v_lshrrev_b32_e32 v4, s6, v4
	v_mul_lo_u32 v4, v4, s4
	v_sub_u32_e32 v2, v2, v4
	v_mad_u64_u32 v[34:35], s[0:1], v2, s8, v[34:35]
	v_mad_u64_u32 v[38:39], s[0:1], v2, s9, v[38:39]
	;; [unrolled: 1-line block ×3, first 2 shown]
.LBB133_228:
	s_load_dwordx4 s[4:7], s[2:3], 0x188
	s_load_dwordx2 s[8:9], s[2:3], 0x198
	s_load_dword s0, s[2:3], 0x1a0
	s_waitcnt vmcnt(2) lgkmcnt(0)
	global_load_dwordx2 v[39:40], v5, s[6:7]
	global_load_dwordx2 v[41:42], v3, s[8:9]
	s_cmp_lg_u32 s0, 0
	s_cselect_b64 s[10:11], -1, 0
	s_and_b64 vcc, exec, s[10:11]
	s_cbranch_vccz .LBB133_253
; %bb.229:
	s_waitcnt vmcnt(0)
	v_cmp_neq_f32_e32 vcc, v39, v41
	v_cmp_neq_f32_e64 s[0:1], v40, v42
	s_or_b64 s[2:3], vcc, s[0:1]
	s_cbranch_execnz .LBB133_231
.LBB133_230:
	s_waitcnt vmcnt(0)
	v_cmp_eq_f32_e32 vcc, v39, v41
	v_cmp_eq_f32_e64 s[0:1], v40, v42
	s_and_b64 s[0:1], vcc, s[0:1]
	s_andn2_b64 s[2:3], s[2:3], exec
	s_and_b64 s[0:1], s[0:1], exec
	s_or_b64 s[2:3], s[2:3], s[0:1]
.LBB133_231:
	global_load_dwordx2 v[2:3], v10, s[6:7]
	s_waitcnt vmcnt(4)
	global_load_dwordx2 v[4:5], v8, s[8:9]
	s_and_b64 vcc, exec, s[10:11]
	s_cbranch_vccz .LBB133_254
; %bb.232:
	s_waitcnt vmcnt(0)
	v_cmp_neq_f32_e32 vcc, v2, v4
	v_cmp_neq_f32_e64 s[0:1], v3, v5
	s_or_b64 s[12:13], vcc, s[0:1]
	s_cbranch_execnz .LBB133_234
.LBB133_233:
	s_waitcnt vmcnt(0)
	v_cmp_eq_f32_e32 vcc, v2, v4
	v_cmp_eq_f32_e64 s[0:1], v3, v5
	s_and_b64 s[0:1], vcc, s[0:1]
	s_andn2_b64 s[12:13], s[12:13], exec
	s_and_b64 s[0:1], s[0:1], exec
	s_or_b64 s[12:13], s[12:13], s[0:1]
.LBB133_234:
	global_load_dwordx2 v[2:3], v15, s[6:7]
	global_load_dwordx2 v[4:5], v13, s[8:9]
	s_and_b64 vcc, exec, s[10:11]
	s_cbranch_vccz .LBB133_255
; %bb.235:
	s_waitcnt vmcnt(0)
	v_cmp_neq_f32_e32 vcc, v2, v4
	v_cmp_neq_f32_e64 s[0:1], v3, v5
	s_or_b64 s[14:15], vcc, s[0:1]
	s_cbranch_execnz .LBB133_237
.LBB133_236:
	s_waitcnt vmcnt(0)
	v_cmp_eq_f32_e32 vcc, v2, v4
	v_cmp_eq_f32_e64 s[0:1], v3, v5
	s_and_b64 s[0:1], vcc, s[0:1]
	s_andn2_b64 s[14:15], s[14:15], exec
	s_and_b64 s[0:1], s[0:1], exec
	s_or_b64 s[14:15], s[14:15], s[0:1]
.LBB133_237:
	global_load_dwordx2 v[2:3], v18, s[6:7]
	global_load_dwordx2 v[4:5], v16, s[8:9]
	s_and_b64 vcc, exec, s[10:11]
	s_cbranch_vccz .LBB133_256
; %bb.238:
	s_waitcnt vmcnt(0)
	v_cmp_neq_f32_e32 vcc, v2, v4
	v_cmp_neq_f32_e64 s[0:1], v3, v5
	s_or_b64 s[16:17], vcc, s[0:1]
	s_cbranch_execnz .LBB133_240
.LBB133_239:
	s_waitcnt vmcnt(0)
	v_cmp_eq_f32_e32 vcc, v2, v4
	v_cmp_eq_f32_e64 s[0:1], v3, v5
	s_and_b64 s[0:1], vcc, s[0:1]
	s_andn2_b64 s[16:17], s[16:17], exec
	s_and_b64 s[0:1], s[0:1], exec
	s_or_b64 s[16:17], s[16:17], s[0:1]
.LBB133_240:
	global_load_dwordx2 v[2:3], v23, s[6:7]
	global_load_dwordx2 v[4:5], v21, s[8:9]
	s_and_b64 vcc, exec, s[10:11]
	s_cbranch_vccz .LBB133_257
; %bb.241:
	s_waitcnt vmcnt(0)
	v_cmp_neq_f32_e32 vcc, v2, v4
	v_cmp_neq_f32_e64 s[0:1], v3, v5
	s_or_b64 s[18:19], vcc, s[0:1]
	s_cbranch_execnz .LBB133_243
.LBB133_242:
	s_waitcnt vmcnt(0)
	v_cmp_eq_f32_e32 vcc, v2, v4
	v_cmp_eq_f32_e64 s[0:1], v3, v5
	s_and_b64 s[0:1], vcc, s[0:1]
	s_andn2_b64 s[18:19], s[18:19], exec
	s_and_b64 s[0:1], s[0:1], exec
	s_or_b64 s[18:19], s[18:19], s[0:1]
.LBB133_243:
	global_load_dwordx2 v[2:3], v28, s[6:7]
	global_load_dwordx2 v[4:5], v26, s[8:9]
	s_and_b64 vcc, exec, s[10:11]
	s_cbranch_vccz .LBB133_258
; %bb.244:
	s_waitcnt vmcnt(0)
	v_cmp_neq_f32_e32 vcc, v2, v4
	v_cmp_neq_f32_e64 s[0:1], v3, v5
	s_or_b64 s[20:21], vcc, s[0:1]
	s_cbranch_execnz .LBB133_246
.LBB133_245:
	s_waitcnt vmcnt(0)
	v_cmp_eq_f32_e32 vcc, v2, v4
	v_cmp_eq_f32_e64 s[0:1], v3, v5
	s_and_b64 s[0:1], vcc, s[0:1]
	s_andn2_b64 s[20:21], s[20:21], exec
	s_and_b64 s[0:1], s[0:1], exec
	s_or_b64 s[20:21], s[20:21], s[0:1]
.LBB133_246:
	global_load_dwordx2 v[2:3], v33, s[6:7]
	global_load_dwordx2 v[4:5], v31, s[8:9]
	s_and_b64 vcc, exec, s[10:11]
	s_cbranch_vccz .LBB133_259
; %bb.247:
	s_waitcnt vmcnt(0)
	v_cmp_neq_f32_e32 vcc, v2, v4
	v_cmp_neq_f32_e64 s[0:1], v3, v5
	s_or_b64 s[22:23], vcc, s[0:1]
	s_cbranch_execnz .LBB133_249
.LBB133_248:
	s_waitcnt vmcnt(0)
	v_cmp_eq_f32_e32 vcc, v2, v4
	v_cmp_eq_f32_e64 s[0:1], v3, v5
	s_and_b64 s[0:1], vcc, s[0:1]
	s_andn2_b64 s[22:23], s[22:23], exec
	s_and_b64 s[0:1], s[0:1], exec
	s_or_b64 s[22:23], s[22:23], s[0:1]
.LBB133_249:
	global_load_dwordx2 v[2:3], v38, s[6:7]
	global_load_dwordx2 v[4:5], v36, s[8:9]
	s_and_b64 vcc, exec, s[10:11]
	s_cbranch_vccz .LBB133_260
; %bb.250:
	s_waitcnt vmcnt(0)
	v_cmp_neq_f32_e32 vcc, v2, v4
	v_cmp_neq_f32_e64 s[0:1], v3, v5
	s_or_b64 s[6:7], vcc, s[0:1]
	s_cbranch_execnz .LBB133_252
.LBB133_251:
	s_waitcnt vmcnt(0)
	v_cmp_eq_f32_e32 vcc, v2, v4
	v_cmp_eq_f32_e64 s[0:1], v3, v5
	s_and_b64 s[0:1], vcc, s[0:1]
	s_andn2_b64 s[6:7], s[6:7], exec
	s_and_b64 s[0:1], s[0:1], exec
	s_or_b64 s[6:7], s[6:7], s[0:1]
.LBB133_252:
	v_cndmask_b32_e64 v9, 0, 1, s[2:3]
	s_waitcnt vmcnt(1)
	v_cndmask_b32_e64 v2, 0, 1, s[22:23]
	v_cndmask_b32_e64 v3, 0, 1, s[20:21]
	s_waitcnt vmcnt(0)
	v_cndmask_b32_e64 v4, 0, 1, s[18:19]
	v_cndmask_b32_e64 v5, 0, 1, s[16:17]
	;; [unrolled: 1-line block ×5, first 2 shown]
	global_store_byte v0, v9, s[4:5]
	global_store_byte v1, v8, s[4:5]
	global_store_byte v6, v7, s[4:5]
	global_store_byte v11, v5, s[4:5]
	global_store_byte v19, v4, s[4:5]
	global_store_byte v24, v3, s[4:5]
	global_store_byte v29, v2, s[4:5]
	global_store_byte v34, v10, s[4:5]
	s_endpgm
.LBB133_253:
                                        ; implicit-def: $sgpr2_sgpr3
	s_branch .LBB133_230
.LBB133_254:
                                        ; implicit-def: $sgpr12_sgpr13
	s_branch .LBB133_233
.LBB133_255:
                                        ; implicit-def: $sgpr14_sgpr15
	s_branch .LBB133_236
.LBB133_256:
                                        ; implicit-def: $sgpr16_sgpr17
	s_branch .LBB133_239
.LBB133_257:
                                        ; implicit-def: $sgpr18_sgpr19
	s_branch .LBB133_242
.LBB133_258:
                                        ; implicit-def: $sgpr20_sgpr21
	s_branch .LBB133_245
.LBB133_259:
                                        ; implicit-def: $sgpr22_sgpr23
	s_branch .LBB133_248
.LBB133_260:
                                        ; implicit-def: $sgpr6_sgpr7
	s_branch .LBB133_251
	.section	.rodata,"a",@progbits
	.p2align	6, 0x0
	.amdhsa_kernel _ZN2at6native32elementwise_kernel_manual_unrollILi128ELi8EZNS0_22gpu_kernel_impl_nocastINS0_13BinaryFunctorIN3c107complexIfEES6_bNS0_12_GLOBAL__N_116CompareEqFunctorIS6_EEEEEEvRNS_18TensorIteratorBaseERKT_EUlibE_EEviT1_
		.amdhsa_group_segment_fixed_size 0
		.amdhsa_private_segment_fixed_size 0
		.amdhsa_kernarg_size 432
		.amdhsa_user_sgpr_count 6
		.amdhsa_user_sgpr_private_segment_buffer 1
		.amdhsa_user_sgpr_dispatch_ptr 0
		.amdhsa_user_sgpr_queue_ptr 0
		.amdhsa_user_sgpr_kernarg_segment_ptr 1
		.amdhsa_user_sgpr_dispatch_id 0
		.amdhsa_user_sgpr_flat_scratch_init 0
		.amdhsa_user_sgpr_private_segment_size 0
		.amdhsa_uses_dynamic_stack 0
		.amdhsa_system_sgpr_private_segment_wavefront_offset 0
		.amdhsa_system_sgpr_workgroup_id_x 1
		.amdhsa_system_sgpr_workgroup_id_y 0
		.amdhsa_system_sgpr_workgroup_id_z 0
		.amdhsa_system_sgpr_workgroup_info 0
		.amdhsa_system_vgpr_workitem_id 0
		.amdhsa_next_free_vgpr 43
		.amdhsa_next_free_sgpr 54
		.amdhsa_reserve_vcc 1
		.amdhsa_reserve_flat_scratch 0
		.amdhsa_float_round_mode_32 0
		.amdhsa_float_round_mode_16_64 0
		.amdhsa_float_denorm_mode_32 3
		.amdhsa_float_denorm_mode_16_64 3
		.amdhsa_dx10_clamp 1
		.amdhsa_ieee_mode 1
		.amdhsa_fp16_overflow 0
		.amdhsa_exception_fp_ieee_invalid_op 0
		.amdhsa_exception_fp_denorm_src 0
		.amdhsa_exception_fp_ieee_div_zero 0
		.amdhsa_exception_fp_ieee_overflow 0
		.amdhsa_exception_fp_ieee_underflow 0
		.amdhsa_exception_fp_ieee_inexact 0
		.amdhsa_exception_int_div_zero 0
	.end_amdhsa_kernel
	.section	.text._ZN2at6native32elementwise_kernel_manual_unrollILi128ELi8EZNS0_22gpu_kernel_impl_nocastINS0_13BinaryFunctorIN3c107complexIfEES6_bNS0_12_GLOBAL__N_116CompareEqFunctorIS6_EEEEEEvRNS_18TensorIteratorBaseERKT_EUlibE_EEviT1_,"axG",@progbits,_ZN2at6native32elementwise_kernel_manual_unrollILi128ELi8EZNS0_22gpu_kernel_impl_nocastINS0_13BinaryFunctorIN3c107complexIfEES6_bNS0_12_GLOBAL__N_116CompareEqFunctorIS6_EEEEEEvRNS_18TensorIteratorBaseERKT_EUlibE_EEviT1_,comdat
.Lfunc_end133:
	.size	_ZN2at6native32elementwise_kernel_manual_unrollILi128ELi8EZNS0_22gpu_kernel_impl_nocastINS0_13BinaryFunctorIN3c107complexIfEES6_bNS0_12_GLOBAL__N_116CompareEqFunctorIS6_EEEEEEvRNS_18TensorIteratorBaseERKT_EUlibE_EEviT1_, .Lfunc_end133-_ZN2at6native32elementwise_kernel_manual_unrollILi128ELi8EZNS0_22gpu_kernel_impl_nocastINS0_13BinaryFunctorIN3c107complexIfEES6_bNS0_12_GLOBAL__N_116CompareEqFunctorIS6_EEEEEEvRNS_18TensorIteratorBaseERKT_EUlibE_EEviT1_
                                        ; -- End function
	.set _ZN2at6native32elementwise_kernel_manual_unrollILi128ELi8EZNS0_22gpu_kernel_impl_nocastINS0_13BinaryFunctorIN3c107complexIfEES6_bNS0_12_GLOBAL__N_116CompareEqFunctorIS6_EEEEEEvRNS_18TensorIteratorBaseERKT_EUlibE_EEviT1_.num_vgpr, 43
	.set _ZN2at6native32elementwise_kernel_manual_unrollILi128ELi8EZNS0_22gpu_kernel_impl_nocastINS0_13BinaryFunctorIN3c107complexIfEES6_bNS0_12_GLOBAL__N_116CompareEqFunctorIS6_EEEEEEvRNS_18TensorIteratorBaseERKT_EUlibE_EEviT1_.num_agpr, 0
	.set _ZN2at6native32elementwise_kernel_manual_unrollILi128ELi8EZNS0_22gpu_kernel_impl_nocastINS0_13BinaryFunctorIN3c107complexIfEES6_bNS0_12_GLOBAL__N_116CompareEqFunctorIS6_EEEEEEvRNS_18TensorIteratorBaseERKT_EUlibE_EEviT1_.numbered_sgpr, 54
	.set _ZN2at6native32elementwise_kernel_manual_unrollILi128ELi8EZNS0_22gpu_kernel_impl_nocastINS0_13BinaryFunctorIN3c107complexIfEES6_bNS0_12_GLOBAL__N_116CompareEqFunctorIS6_EEEEEEvRNS_18TensorIteratorBaseERKT_EUlibE_EEviT1_.num_named_barrier, 0
	.set _ZN2at6native32elementwise_kernel_manual_unrollILi128ELi8EZNS0_22gpu_kernel_impl_nocastINS0_13BinaryFunctorIN3c107complexIfEES6_bNS0_12_GLOBAL__N_116CompareEqFunctorIS6_EEEEEEvRNS_18TensorIteratorBaseERKT_EUlibE_EEviT1_.private_seg_size, 0
	.set _ZN2at6native32elementwise_kernel_manual_unrollILi128ELi8EZNS0_22gpu_kernel_impl_nocastINS0_13BinaryFunctorIN3c107complexIfEES6_bNS0_12_GLOBAL__N_116CompareEqFunctorIS6_EEEEEEvRNS_18TensorIteratorBaseERKT_EUlibE_EEviT1_.uses_vcc, 1
	.set _ZN2at6native32elementwise_kernel_manual_unrollILi128ELi8EZNS0_22gpu_kernel_impl_nocastINS0_13BinaryFunctorIN3c107complexIfEES6_bNS0_12_GLOBAL__N_116CompareEqFunctorIS6_EEEEEEvRNS_18TensorIteratorBaseERKT_EUlibE_EEviT1_.uses_flat_scratch, 0
	.set _ZN2at6native32elementwise_kernel_manual_unrollILi128ELi8EZNS0_22gpu_kernel_impl_nocastINS0_13BinaryFunctorIN3c107complexIfEES6_bNS0_12_GLOBAL__N_116CompareEqFunctorIS6_EEEEEEvRNS_18TensorIteratorBaseERKT_EUlibE_EEviT1_.has_dyn_sized_stack, 0
	.set _ZN2at6native32elementwise_kernel_manual_unrollILi128ELi8EZNS0_22gpu_kernel_impl_nocastINS0_13BinaryFunctorIN3c107complexIfEES6_bNS0_12_GLOBAL__N_116CompareEqFunctorIS6_EEEEEEvRNS_18TensorIteratorBaseERKT_EUlibE_EEviT1_.has_recursion, 0
	.set _ZN2at6native32elementwise_kernel_manual_unrollILi128ELi8EZNS0_22gpu_kernel_impl_nocastINS0_13BinaryFunctorIN3c107complexIfEES6_bNS0_12_GLOBAL__N_116CompareEqFunctorIS6_EEEEEEvRNS_18TensorIteratorBaseERKT_EUlibE_EEviT1_.has_indirect_call, 0
	.section	.AMDGPU.csdata,"",@progbits
; Kernel info:
; codeLenInByte = 10404
; TotalNumSgprs: 58
; NumVgprs: 43
; ScratchSize: 0
; MemoryBound: 0
; FloatMode: 240
; IeeeMode: 1
; LDSByteSize: 0 bytes/workgroup (compile time only)
; SGPRBlocks: 7
; VGPRBlocks: 10
; NumSGPRsForWavesPerEU: 58
; NumVGPRsForWavesPerEU: 43
; Occupancy: 5
; WaveLimiterHint : 1
; COMPUTE_PGM_RSRC2:SCRATCH_EN: 0
; COMPUTE_PGM_RSRC2:USER_SGPR: 6
; COMPUTE_PGM_RSRC2:TRAP_HANDLER: 0
; COMPUTE_PGM_RSRC2:TGID_X_EN: 1
; COMPUTE_PGM_RSRC2:TGID_Y_EN: 0
; COMPUTE_PGM_RSRC2:TGID_Z_EN: 0
; COMPUTE_PGM_RSRC2:TIDIG_COMP_CNT: 0
	.section	.text._ZN2at6native32elementwise_kernel_manual_unrollILi128ELi4EZNS0_15gpu_kernel_implINS0_13BinaryFunctorIN3c107complexIfEES6_bNS0_12_GLOBAL__N_116CompareEqFunctorIS6_EEEEEEvRNS_18TensorIteratorBaseERKT_EUlibE_EEviT1_,"axG",@progbits,_ZN2at6native32elementwise_kernel_manual_unrollILi128ELi4EZNS0_15gpu_kernel_implINS0_13BinaryFunctorIN3c107complexIfEES6_bNS0_12_GLOBAL__N_116CompareEqFunctorIS6_EEEEEEvRNS_18TensorIteratorBaseERKT_EUlibE_EEviT1_,comdat
	.globl	_ZN2at6native32elementwise_kernel_manual_unrollILi128ELi4EZNS0_15gpu_kernel_implINS0_13BinaryFunctorIN3c107complexIfEES6_bNS0_12_GLOBAL__N_116CompareEqFunctorIS6_EEEEEEvRNS_18TensorIteratorBaseERKT_EUlibE_EEviT1_ ; -- Begin function _ZN2at6native32elementwise_kernel_manual_unrollILi128ELi4EZNS0_15gpu_kernel_implINS0_13BinaryFunctorIN3c107complexIfEES6_bNS0_12_GLOBAL__N_116CompareEqFunctorIS6_EEEEEEvRNS_18TensorIteratorBaseERKT_EUlibE_EEviT1_
	.p2align	8
	.type	_ZN2at6native32elementwise_kernel_manual_unrollILi128ELi4EZNS0_15gpu_kernel_implINS0_13BinaryFunctorIN3c107complexIfEES6_bNS0_12_GLOBAL__N_116CompareEqFunctorIS6_EEEEEEvRNS_18TensorIteratorBaseERKT_EUlibE_EEviT1_,@function
_ZN2at6native32elementwise_kernel_manual_unrollILi128ELi4EZNS0_15gpu_kernel_implINS0_13BinaryFunctorIN3c107complexIfEES6_bNS0_12_GLOBAL__N_116CompareEqFunctorIS6_EEEEEEvRNS_18TensorIteratorBaseERKT_EUlibE_EEviT1_: ; @_ZN2at6native32elementwise_kernel_manual_unrollILi128ELi4EZNS0_15gpu_kernel_implINS0_13BinaryFunctorIN3c107complexIfEES6_bNS0_12_GLOBAL__N_116CompareEqFunctorIS6_EEEEEEvRNS_18TensorIteratorBaseERKT_EUlibE_EEviT1_
; %bb.0:
	s_load_dword s33, s[4:5], 0x30
	s_load_dword s50, s[4:5], 0x0
	s_load_dwordx4 s[8:11], s[4:5], 0x8
	s_load_dwordx2 s[2:3], s[4:5], 0x18
	s_load_dwordx4 s[12:15], s[4:5], 0x20
	v_lshl_or_b32 v6, s6, 9, v0
	v_or_b32_e32 v0, 0x180, v6
	s_waitcnt lgkmcnt(0)
	s_lshr_b32 s57, s33, 8
	s_lshr_b32 s56, s33, 16
	v_cmp_le_i32_e32 vcc, s50, v0
	s_mov_b64 s[4:5], 0
	s_mov_b64 s[16:17], 0
	s_and_saveexec_b64 s[0:1], vcc
	s_xor_b64 s[6:7], exec, s[0:1]
	s_cbranch_execz .LBB134_1601
; %bb.1:
	s_cmp_lg_u32 s15, 0
	s_cselect_b64 s[16:17], -1, 0
	v_cmp_gt_i32_e32 vcc, s50, v6
	s_mov_b64 s[0:1], -1
	s_mov_b64 s[28:29], 0
	s_mov_b64 s[22:23], 0
	;; [unrolled: 1-line block ×4, first 2 shown]
	s_and_saveexec_b64 s[24:25], vcc
	s_cbranch_execz .LBB134_396
; %bb.2:
	v_mul_lo_u32 v0, v6, s13
	v_mov_b32_e32 v1, s11
	s_and_b32 s26, s57, 0xff
	s_cmp_lt_i32 s26, 11
	v_ashrrev_i32_e32 v3, 31, v0
	v_add_co_u32_e32 v2, vcc, s10, v0
	v_addc_co_u32_e32 v3, vcc, v1, v3, vcc
	s_cbranch_scc1 .LBB134_9
; %bb.3:
	s_and_b32 s27, 0xffff, s26
	s_cmp_gt_i32 s27, 25
	s_cbranch_scc0 .LBB134_18
; %bb.4:
	s_cmp_gt_i32 s27, 28
	s_cbranch_scc0 .LBB134_31
; %bb.5:
	;; [unrolled: 3-line block ×4, first 2 shown]
	s_cmp_eq_u32 s27, 46
	s_cbranch_scc0 .LBB134_41
; %bb.8:
	global_load_dword v0, v[2:3], off
	s_waitcnt vmcnt(0)
	v_and_b32_e32 v1, 0xffff0000, v0
	v_lshlrev_b32_e32 v0, 16, v0
	s_branch .LBB134_43
.LBB134_9:
                                        ; implicit-def: $vgpr1
	s_mov_b64 s[0:1], 0
	s_cbranch_execnz .LBB134_111
.LBB134_10:
	s_andn2_b64 vcc, exec, s[0:1]
	s_cbranch_vccnz .LBB134_160
.LBB134_11:
	v_mul_lo_u32 v2, v6, s14
	v_mov_b32_e32 v3, s3
	s_and_b32 s30, s56, 0xff
	s_cmp_lt_i32 s30, 11
	v_ashrrev_i32_e32 v4, 31, v2
	v_add_co_u32_e32 v2, vcc, s2, v2
	v_addc_co_u32_e32 v3, vcc, v3, v4, vcc
	s_cbranch_scc1 .LBB134_19
; %bb.12:
	s_and_b32 s31, 0xffff, s30
	s_cmp_gt_i32 s31, 25
	s_cbranch_scc0 .LBB134_32
; %bb.13:
	s_cmp_gt_i32 s31, 28
	s_cbranch_scc0 .LBB134_36
; %bb.14:
	;; [unrolled: 3-line block ×4, first 2 shown]
	s_cmp_eq_u32 s31, 46
	s_mov_b64 s[18:19], 0
	s_cbranch_scc0 .LBB134_161
; %bb.17:
	global_load_dword v4, v[2:3], off
	s_mov_b64 s[0:1], -1
	s_mov_b64 s[20:21], 0
	s_waitcnt vmcnt(0)
	v_and_b32_e32 v5, 0xffff0000, v4
	v_lshlrev_b32_e32 v4, 16, v4
	s_branch .LBB134_163
.LBB134_18:
	s_mov_b64 s[0:1], 0
                                        ; implicit-def: $vgpr1
	s_cbranch_execnz .LBB134_76
	s_branch .LBB134_110
.LBB134_19:
	s_mov_b64 s[20:21], 0
                                        ; implicit-def: $vgpr5
	s_mov_b64 s[0:1], 0
	s_cbranch_execnz .LBB134_343
.LBB134_20:
	s_andn2_b64 vcc, exec, s[0:1]
	s_cbranch_vccnz .LBB134_393
.LBB134_21:
	s_and_b64 vcc, exec, s[16:17]
	s_cbranch_vccz .LBB134_34
; %bb.22:
	s_waitcnt vmcnt(0)
	v_cmp_neq_f32_e32 vcc, v0, v4
	v_cmp_neq_f32_e64 s[0:1], v1, v5
	s_or_b64 s[18:19], vcc, s[0:1]
	s_cbranch_execnz .LBB134_24
.LBB134_23:
	s_waitcnt vmcnt(0)
	v_cmp_eq_f32_e32 vcc, v0, v4
	v_cmp_eq_f32_e64 s[0:1], v1, v5
	s_and_b64 s[0:1], vcc, s[0:1]
	s_andn2_b64 s[18:19], s[18:19], exec
	s_and_b64 s[0:1], s[0:1], exec
	s_or_b64 s[18:19], s[18:19], s[0:1]
.LBB134_24:
	s_waitcnt vmcnt(0)
	v_mul_lo_u32 v0, v6, s12
	v_mov_b32_e32 v1, s9
	s_and_b32 s36, s33, 0xff
	s_cmp_lt_i32 s36, 11
	v_ashrrev_i32_e32 v2, 31, v0
	v_add_co_u32_e32 v0, vcc, s8, v0
	v_addc_co_u32_e32 v1, vcc, v1, v2, vcc
	s_cbranch_scc1 .LBB134_33
; %bb.25:
	s_and_b32 s37, 0xffff, s36
	s_cmp_gt_i32 s37, 25
	s_cbranch_scc0 .LBB134_37
; %bb.26:
	s_cmp_gt_i32 s37, 28
	s_cbranch_scc0 .LBB134_40
; %bb.27:
	;; [unrolled: 3-line block ×4, first 2 shown]
	s_mov_b64 s[30:31], 0
	s_mov_b64 s[0:1], -1
	s_cmp_eq_u32 s37, 46
	s_mov_b64 s[26:27], 0
	s_cbranch_scc0 .LBB134_167
; %bb.30:
	v_cndmask_b32_e64 v2, 0, 1.0, s[18:19]
	v_bfe_u32 v3, v2, 16, 1
	s_movk_i32 s0, 0x7fff
	v_add3_u32 v2, v2, v3, s0
	v_lshrrev_b32_e32 v2, 16, v2
	global_store_dword v[0:1], v2, off
	s_mov_b64 s[26:27], -1
	s_mov_b64 s[0:1], 0
	s_branch .LBB134_167
.LBB134_31:
	s_mov_b64 s[18:19], -1
	s_mov_b64 s[0:1], 0
                                        ; implicit-def: $vgpr1
	s_branch .LBB134_57
.LBB134_32:
	s_mov_b64 s[18:19], -1
	s_mov_b64 s[20:21], 0
	s_mov_b64 s[0:1], 0
                                        ; implicit-def: $vgpr5
	s_branch .LBB134_306
.LBB134_33:
	s_mov_b64 s[30:31], -1
	s_mov_b64 s[0:1], 0
	s_mov_b64 s[26:27], 0
	s_branch .LBB134_236
.LBB134_34:
                                        ; implicit-def: $sgpr18_sgpr19
	s_branch .LBB134_23
.LBB134_35:
	s_mov_b64 s[18:19], -1
	s_mov_b64 s[0:1], 0
                                        ; implicit-def: $vgpr1
	s_branch .LBB134_51
.LBB134_36:
	s_mov_b64 s[18:19], -1
	s_mov_b64 s[20:21], 0
	s_mov_b64 s[0:1], 0
                                        ; implicit-def: $vgpr5
	s_branch .LBB134_287
.LBB134_37:
	s_mov_b64 s[30:31], -1
	s_mov_b64 s[0:1], 0
	s_mov_b64 s[26:27], 0
	s_branch .LBB134_194
.LBB134_38:
	s_mov_b64 s[18:19], -1
	s_branch .LBB134_42
.LBB134_39:
	s_mov_b64 s[18:19], -1
	s_mov_b64 s[20:21], 0
	s_mov_b64 s[0:1], 0
                                        ; implicit-def: $vgpr5
	s_branch .LBB134_281
.LBB134_40:
	s_mov_b64 s[30:31], -1
	s_mov_b64 s[0:1], 0
	s_mov_b64 s[26:27], 0
	s_branch .LBB134_177
.LBB134_41:
	s_mov_b64 s[22:23], -1
.LBB134_42:
	s_mov_b64 s[0:1], 0
                                        ; implicit-def: $vgpr1
.LBB134_43:
	s_and_b64 vcc, exec, s[18:19]
	s_cbranch_vccz .LBB134_50
; %bb.44:
	s_cmp_eq_u32 s27, 44
	s_cbranch_scc0 .LBB134_48
; %bb.45:
	global_load_ubyte v0, v[2:3], off
	s_movk_i32 s18, 0xff
	v_mov_b32_e32 v1, 0x7f800001
	v_mov_b32_e32 v4, 0x400000
	s_mov_b64 s[0:1], -1
	s_mov_b64 s[22:23], 0
	s_waitcnt vmcnt(0)
	v_lshlrev_b32_e32 v5, 23, v0
	v_cmp_ne_u32_e32 vcc, s18, v0
	v_cndmask_b32_e32 v1, v1, v5, vcc
	v_cmp_ne_u32_e32 vcc, 0, v0
	v_cndmask_b32_e32 v0, v4, v1, vcc
	s_branch .LBB134_49
.LBB134_46:
	s_mov_b64 s[18:19], -1
	s_mov_b64 s[20:21], 0
	s_branch .LBB134_162
.LBB134_47:
	s_mov_b64 s[30:31], -1
	s_mov_b64 s[0:1], 0
	s_mov_b64 s[26:27], 0
	s_branch .LBB134_173
.LBB134_48:
	s_mov_b64 s[22:23], -1
                                        ; implicit-def: $vgpr0
.LBB134_49:
	v_mov_b32_e32 v1, 0
.LBB134_50:
	s_mov_b64 s[18:19], 0
.LBB134_51:
	s_and_b64 vcc, exec, s[18:19]
	s_cbranch_vccz .LBB134_56
; %bb.52:
	s_cmp_eq_u32 s27, 29
	s_cbranch_scc0 .LBB134_54
; %bb.53:
	global_load_dwordx2 v[0:1], v[2:3], off
	s_mov_b64 s[0:1], -1
	s_mov_b64 s[22:23], 0
	s_waitcnt vmcnt(0)
	v_ffbh_u32_e32 v4, v1
	v_min_u32_e32 v4, 32, v4
	v_lshlrev_b64 v[0:1], v4, v[0:1]
	v_min_u32_e32 v0, 1, v0
	v_or_b32_e32 v0, v1, v0
	v_cvt_f32_u32_e32 v0, v0
	v_sub_u32_e32 v1, 32, v4
	v_ldexp_f32 v0, v0, v1
	s_branch .LBB134_55
.LBB134_54:
	s_mov_b64 s[22:23], -1
                                        ; implicit-def: $vgpr0
.LBB134_55:
	v_mov_b32_e32 v1, 0
.LBB134_56:
	s_mov_b64 s[18:19], 0
.LBB134_57:
	s_and_b64 vcc, exec, s[18:19]
	s_cbranch_vccz .LBB134_75
; %bb.58:
	s_cmp_lt_i32 s27, 27
	s_cbranch_scc1 .LBB134_61
; %bb.59:
	s_cmp_gt_i32 s27, 27
	s_cbranch_scc0 .LBB134_62
; %bb.60:
	global_load_dword v0, v[2:3], off
	s_mov_b64 s[0:1], 0
	s_waitcnt vmcnt(0)
	v_cvt_f32_u32_e32 v0, v0
	s_branch .LBB134_63
.LBB134_61:
	s_mov_b64 s[0:1], -1
                                        ; implicit-def: $vgpr0
	s_branch .LBB134_66
.LBB134_62:
	s_mov_b64 s[0:1], -1
                                        ; implicit-def: $vgpr0
.LBB134_63:
	s_andn2_b64 vcc, exec, s[0:1]
	s_cbranch_vccnz .LBB134_65
; %bb.64:
	global_load_ushort v0, v[2:3], off
	s_waitcnt vmcnt(0)
	v_cvt_f32_u32_e32 v0, v0
.LBB134_65:
	s_mov_b64 s[0:1], 0
.LBB134_66:
	s_andn2_b64 vcc, exec, s[0:1]
	s_cbranch_vccnz .LBB134_74
; %bb.67:
	global_load_ubyte v1, v[2:3], off
	s_movk_i32 s0, 0x7f
	s_waitcnt vmcnt(0)
	v_cmp_lt_i16_e32 vcc, s0, v1
	s_mov_b64 s[0:1], 0
	s_and_saveexec_b64 s[18:19], vcc
	s_xor_b64 s[18:19], exec, s[18:19]
	s_cbranch_execz .LBB134_87
; %bb.68:
	s_movk_i32 s0, 0x80
	v_cmp_eq_u16_e32 vcc, s0, v1
	s_mov_b64 s[0:1], -1
	s_and_saveexec_b64 s[20:21], vcc
; %bb.69:
	s_xor_b64 s[0:1], exec, -1
; %bb.70:
	s_or_b64 exec, exec, s[20:21]
	s_and_b64 s[0:1], s[0:1], exec
	s_or_saveexec_b64 s[18:19], s[18:19]
	v_mov_b32_e32 v0, 0x7f800001
	s_xor_b64 exec, exec, s[18:19]
	s_cbranch_execnz .LBB134_88
.LBB134_71:
	s_or_b64 exec, exec, s[18:19]
	s_and_saveexec_b64 s[18:19], s[0:1]
	s_cbranch_execz .LBB134_73
.LBB134_72:
	v_lshlrev_b32_e32 v0, 24, v1
	v_and_b32_e32 v1, 0xffff, v1
	v_and_b32_e32 v4, 7, v1
	v_ffbh_u32_e32 v7, v4
	v_min_u32_e32 v7, 32, v7
	v_subrev_u32_e32 v8, 28, v7
	v_bfe_u32 v5, v1, 3, 4
	v_lshlrev_b32_e32 v1, v8, v1
	v_sub_u32_e32 v7, 29, v7
	v_and_b32_e32 v1, 7, v1
	v_cmp_eq_u32_e32 vcc, 0, v5
	v_cndmask_b32_e32 v5, v5, v7, vcc
	v_cndmask_b32_e32 v1, v4, v1, vcc
	v_mov_b32_e32 v4, 0x3b800000
	v_lshlrev_b32_e32 v1, 20, v1
	v_and_b32_e32 v0, 0x80000000, v0
	v_lshl_add_u32 v4, v5, 23, v4
	v_or3_b32 v0, v0, v4, v1
.LBB134_73:
	s_or_b64 exec, exec, s[18:19]
.LBB134_74:
	s_mov_b64 s[0:1], -1
	v_mov_b32_e32 v1, 0
.LBB134_75:
	s_branch .LBB134_110
.LBB134_76:
	s_cmp_gt_i32 s27, 22
	s_cbranch_scc0 .LBB134_86
; %bb.77:
	s_cmp_lt_i32 s27, 24
	s_cbranch_scc1 .LBB134_89
; %bb.78:
	s_cmp_gt_i32 s27, 24
	s_cbranch_scc0 .LBB134_90
; %bb.79:
	global_load_ubyte v1, v[2:3], off
	s_movk_i32 s0, 0x7f
	s_waitcnt vmcnt(0)
	v_cmp_lt_i16_e32 vcc, s0, v1
	s_mov_b64 s[0:1], 0
	s_and_saveexec_b64 s[18:19], vcc
	s_xor_b64 s[18:19], exec, s[18:19]
	s_cbranch_execz .LBB134_101
; %bb.80:
	s_movk_i32 s0, 0x80
	v_cmp_eq_u16_e32 vcc, s0, v1
	s_mov_b64 s[0:1], -1
	s_and_saveexec_b64 s[20:21], vcc
; %bb.81:
	s_xor_b64 s[0:1], exec, -1
; %bb.82:
	s_or_b64 exec, exec, s[20:21]
	s_and_b64 s[0:1], s[0:1], exec
	s_or_saveexec_b64 s[18:19], s[18:19]
	v_mov_b32_e32 v0, 0x7f800001
	s_xor_b64 exec, exec, s[18:19]
	s_cbranch_execnz .LBB134_102
.LBB134_83:
	s_or_b64 exec, exec, s[18:19]
	s_and_saveexec_b64 s[18:19], s[0:1]
	s_cbranch_execz .LBB134_85
.LBB134_84:
	v_lshlrev_b32_e32 v0, 24, v1
	v_and_b32_e32 v1, 0xffff, v1
	v_and_b32_e32 v4, 3, v1
	v_ffbh_u32_e32 v7, v4
	v_min_u32_e32 v7, 32, v7
	v_subrev_u32_e32 v8, 29, v7
	v_bfe_u32 v5, v1, 2, 5
	v_lshlrev_b32_e32 v1, v8, v1
	v_sub_u32_e32 v7, 30, v7
	v_and_b32_e32 v1, 3, v1
	v_cmp_eq_u32_e32 vcc, 0, v5
	v_cndmask_b32_e32 v5, v5, v7, vcc
	v_cndmask_b32_e32 v1, v4, v1, vcc
	v_mov_b32_e32 v4, 0x37800000
	v_lshlrev_b32_e32 v1, 21, v1
	v_and_b32_e32 v0, 0x80000000, v0
	v_lshl_add_u32 v4, v5, 23, v4
	v_or3_b32 v0, v0, v4, v1
.LBB134_85:
	s_or_b64 exec, exec, s[18:19]
	s_mov_b64 s[0:1], 0
	s_branch .LBB134_91
.LBB134_86:
                                        ; implicit-def: $vgpr0
	s_branch .LBB134_97
.LBB134_87:
	s_or_saveexec_b64 s[18:19], s[18:19]
	v_mov_b32_e32 v0, 0x7f800001
	s_xor_b64 exec, exec, s[18:19]
	s_cbranch_execz .LBB134_71
.LBB134_88:
	v_cmp_ne_u16_e32 vcc, 0, v1
	s_andn2_b64 s[0:1], s[0:1], exec
	s_and_b64 s[20:21], vcc, exec
	v_mov_b32_e32 v0, 0
	s_or_b64 s[0:1], s[0:1], s[20:21]
	s_or_b64 exec, exec, s[18:19]
	s_and_saveexec_b64 s[18:19], s[0:1]
	s_cbranch_execnz .LBB134_72
	s_branch .LBB134_73
.LBB134_89:
	s_mov_b64 s[0:1], -1
                                        ; implicit-def: $vgpr0
	s_branch .LBB134_94
.LBB134_90:
	s_mov_b64 s[0:1], -1
                                        ; implicit-def: $vgpr0
.LBB134_91:
	s_and_b64 vcc, exec, s[0:1]
	s_cbranch_vccz .LBB134_93
; %bb.92:
	global_load_ubyte v0, v[2:3], off
	s_mov_b32 s0, 0x7f800000
	s_waitcnt vmcnt(0)
	v_lshlrev_b32_e32 v0, 24, v0
	v_and_b32_e32 v1, 0x7f000000, v0
	v_ffbh_u32_e32 v4, v1
	v_min_u32_e32 v4, 32, v4
	v_sub_u32_e64 v4, v4, 4 clamp
	v_lshlrev_b32_e32 v7, v4, v1
	v_lshlrev_b32_e32 v4, 23, v4
	v_lshrrev_b32_e32 v7, 4, v7
	v_add_u32_e32 v5, 0x1000000, v1
	v_sub_u32_e32 v4, v7, v4
	v_ashrrev_i32_e32 v5, 8, v5
	v_add_u32_e32 v4, 0x3c000000, v4
	v_and_or_b32 v4, v5, s0, v4
	v_cmp_ne_u32_e32 vcc, 0, v1
	v_cndmask_b32_e32 v1, 0, v4, vcc
	s_brev_b32 s0, 1
	v_and_or_b32 v0, v0, s0, v1
.LBB134_93:
	s_mov_b64 s[0:1], 0
.LBB134_94:
	s_andn2_b64 vcc, exec, s[0:1]
	s_cbranch_vccnz .LBB134_96
; %bb.95:
	global_load_ubyte v0, v[2:3], off
	s_movk_i32 s0, 0x7f00
	s_brev_b32 s1, 16
	s_waitcnt vmcnt(0)
	v_lshlrev_b16_e32 v1, 8, v0
	v_lshlrev_b32_e32 v0, 25, v0
	v_lshrrev_b32_e32 v4, 4, v0
	v_and_or_b32 v5, v1, s0, 0.5
	v_or_b32_e32 v4, 0x70000000, v4
	v_add_f32_e32 v5, -0.5, v5
	v_mul_f32_e32 v4, 0x7800000, v4
	v_cmp_gt_u32_e32 vcc, s1, v0
	v_bfe_i32 v1, v1, 0, 16
	v_cndmask_b32_e32 v0, v4, v5, vcc
	s_brev_b32 s0, 1
	v_and_or_b32 v0, v1, s0, v0
.LBB134_96:
	s_mov_b64 s[0:1], -1
	s_cbranch_execnz .LBB134_109
.LBB134_97:
	s_cmp_gt_i32 s27, 14
	s_cbranch_scc0 .LBB134_100
; %bb.98:
	s_cmp_eq_u32 s27, 15
	s_cbranch_scc0 .LBB134_103
; %bb.99:
	global_load_ushort v0, v[2:3], off
	s_mov_b64 s[0:1], -1
	s_mov_b64 s[22:23], 0
	s_waitcnt vmcnt(0)
	v_lshlrev_b32_e32 v0, 16, v0
	s_branch .LBB134_104
.LBB134_100:
	s_mov_b64 s[18:19], -1
                                        ; implicit-def: $vgpr0
	s_branch .LBB134_105
.LBB134_101:
	s_or_saveexec_b64 s[18:19], s[18:19]
	v_mov_b32_e32 v0, 0x7f800001
	s_xor_b64 exec, exec, s[18:19]
	s_cbranch_execz .LBB134_83
.LBB134_102:
	v_cmp_ne_u16_e32 vcc, 0, v1
	s_andn2_b64 s[0:1], s[0:1], exec
	s_and_b64 s[20:21], vcc, exec
	v_mov_b32_e32 v0, 0
	s_or_b64 s[0:1], s[0:1], s[20:21]
	s_or_b64 exec, exec, s[18:19]
	s_and_saveexec_b64 s[18:19], s[0:1]
	s_cbranch_execnz .LBB134_84
	s_branch .LBB134_85
.LBB134_103:
	s_mov_b64 s[22:23], -1
                                        ; implicit-def: $vgpr0
.LBB134_104:
	s_mov_b64 s[18:19], 0
.LBB134_105:
	s_and_b64 vcc, exec, s[18:19]
	s_cbranch_vccz .LBB134_109
; %bb.106:
	s_cmp_eq_u32 s27, 11
	s_cbranch_scc0 .LBB134_108
; %bb.107:
	global_load_ubyte v0, v[2:3], off
	s_mov_b64 s[0:1], -1
	s_mov_b64 s[22:23], 0
	v_mov_b32_e32 v1, 0
	s_waitcnt vmcnt(0)
	v_cmp_ne_u16_e32 vcc, 0, v0
	v_cndmask_b32_e64 v0, 0, 1.0, vcc
	s_branch .LBB134_110
.LBB134_108:
	s_mov_b64 s[22:23], -1
                                        ; implicit-def: $vgpr0
.LBB134_109:
	v_mov_b32_e32 v1, 0
.LBB134_110:
	s_branch .LBB134_10
.LBB134_111:
	s_and_b32 s18, 0xffff, s26
	s_cmp_lt_i32 s18, 5
	s_cbranch_scc1 .LBB134_116
; %bb.112:
	s_cmp_lt_i32 s18, 8
	s_cbranch_scc1 .LBB134_117
; %bb.113:
	;; [unrolled: 3-line block ×3, first 2 shown]
	s_cmp_gt_i32 s18, 9
	s_cbranch_scc0 .LBB134_119
; %bb.115:
	global_load_dwordx4 v[7:10], v[2:3], off
	s_mov_b64 s[0:1], 0
	s_waitcnt vmcnt(0)
	v_cvt_f32_f64_e32 v0, v[7:8]
	v_cvt_f32_f64_e32 v1, v[9:10]
	s_branch .LBB134_120
.LBB134_116:
                                        ; implicit-def: $vgpr1
	s_branch .LBB134_139
.LBB134_117:
	s_mov_b64 s[0:1], -1
                                        ; implicit-def: $vgpr1
	s_branch .LBB134_126
.LBB134_118:
	s_mov_b64 s[0:1], -1
                                        ; implicit-def: $vgpr1
	s_branch .LBB134_123
.LBB134_119:
	s_mov_b64 s[0:1], -1
                                        ; implicit-def: $vgpr1
.LBB134_120:
	s_andn2_b64 vcc, exec, s[0:1]
	s_cbranch_vccnz .LBB134_122
; %bb.121:
	global_load_dwordx2 v[0:1], v[2:3], off
.LBB134_122:
	s_mov_b64 s[0:1], 0
.LBB134_123:
	s_andn2_b64 vcc, exec, s[0:1]
	s_cbranch_vccnz .LBB134_125
; %bb.124:
	global_load_dword v1, v[2:3], off
	s_waitcnt vmcnt(0)
	v_cvt_f32_f16_e32 v0, v1
	v_cvt_f32_f16_sdwa v1, v1 dst_sel:DWORD dst_unused:UNUSED_PAD src0_sel:WORD_1
.LBB134_125:
	s_mov_b64 s[0:1], 0
.LBB134_126:
	s_andn2_b64 vcc, exec, s[0:1]
	s_cbranch_vccnz .LBB134_138
; %bb.127:
	s_cmp_lt_i32 s18, 6
	s_cbranch_scc1 .LBB134_130
; %bb.128:
	s_cmp_gt_i32 s18, 6
	s_cbranch_scc0 .LBB134_131
; %bb.129:
	global_load_dwordx2 v[0:1], v[2:3], off
	s_mov_b64 s[0:1], 0
	s_waitcnt vmcnt(0)
	v_cvt_f32_f64_e32 v0, v[0:1]
	s_branch .LBB134_132
.LBB134_130:
	s_mov_b64 s[0:1], -1
                                        ; implicit-def: $vgpr0
	s_branch .LBB134_135
.LBB134_131:
	s_mov_b64 s[0:1], -1
                                        ; implicit-def: $vgpr0
.LBB134_132:
	s_andn2_b64 vcc, exec, s[0:1]
	s_cbranch_vccnz .LBB134_134
; %bb.133:
	global_load_dword v0, v[2:3], off
.LBB134_134:
	s_mov_b64 s[0:1], 0
.LBB134_135:
	s_andn2_b64 vcc, exec, s[0:1]
	s_cbranch_vccnz .LBB134_137
; %bb.136:
	global_load_ushort v0, v[2:3], off
	s_waitcnt vmcnt(0)
	v_cvt_f32_f16_e32 v0, v0
.LBB134_137:
	s_waitcnt vmcnt(0)
	v_mov_b32_e32 v1, 0
.LBB134_138:
	s_cbranch_execnz .LBB134_159
.LBB134_139:
	s_cmp_lt_i32 s18, 2
	s_cbranch_scc1 .LBB134_143
; %bb.140:
	s_cmp_lt_i32 s18, 3
	s_cbranch_scc1 .LBB134_144
; %bb.141:
	s_cmp_gt_i32 s18, 3
	s_cbranch_scc0 .LBB134_145
; %bb.142:
	global_load_dwordx2 v[0:1], v[2:3], off
	s_mov_b64 s[0:1], 0
	s_waitcnt vmcnt(0)
	v_xor_b32_e32 v5, v0, v1
	v_ffbh_i32_e32 v4, v1
	v_ashrrev_i32_e32 v5, 31, v5
	v_add_u32_e32 v4, -1, v4
	v_add_u32_e32 v5, 32, v5
	v_min_u32_e32 v4, v4, v5
	v_lshlrev_b64 v[0:1], v4, v[0:1]
	v_min_u32_e32 v0, 1, v0
	v_or_b32_e32 v0, v1, v0
	v_cvt_f32_i32_e32 v0, v0
	v_sub_u32_e32 v1, 32, v4
	v_ldexp_f32 v0, v0, v1
	s_branch .LBB134_146
.LBB134_143:
	s_mov_b64 s[0:1], -1
                                        ; implicit-def: $vgpr0
	s_branch .LBB134_152
.LBB134_144:
	s_mov_b64 s[0:1], -1
                                        ; implicit-def: $vgpr0
	s_branch .LBB134_149
.LBB134_145:
	s_mov_b64 s[0:1], -1
                                        ; implicit-def: $vgpr0
.LBB134_146:
	s_andn2_b64 vcc, exec, s[0:1]
	s_cbranch_vccnz .LBB134_148
; %bb.147:
	global_load_dword v0, v[2:3], off
	s_waitcnt vmcnt(0)
	v_cvt_f32_i32_e32 v0, v0
.LBB134_148:
	s_mov_b64 s[0:1], 0
.LBB134_149:
	s_andn2_b64 vcc, exec, s[0:1]
	s_cbranch_vccnz .LBB134_151
; %bb.150:
	global_load_sshort v0, v[2:3], off
	s_waitcnt vmcnt(0)
	v_cvt_f32_i32_e32 v0, v0
.LBB134_151:
	s_mov_b64 s[0:1], 0
.LBB134_152:
	s_andn2_b64 vcc, exec, s[0:1]
	s_cbranch_vccnz .LBB134_158
; %bb.153:
	s_cmp_gt_i32 s18, 0
	s_cbranch_scc0 .LBB134_155
; %bb.154:
	global_load_sbyte v0, v[2:3], off
	s_mov_b64 s[0:1], 0
	s_waitcnt vmcnt(0)
	v_cvt_f32_i32_e32 v0, v0
	s_branch .LBB134_156
.LBB134_155:
	s_mov_b64 s[0:1], -1
                                        ; implicit-def: $vgpr0
.LBB134_156:
	s_andn2_b64 vcc, exec, s[0:1]
	s_cbranch_vccnz .LBB134_158
; %bb.157:
	global_load_ubyte v0, v[2:3], off
	s_waitcnt vmcnt(0)
	v_cvt_f32_ubyte0_e32 v0, v0
.LBB134_158:
	s_waitcnt vmcnt(0)
	v_mov_b32_e32 v1, 0
.LBB134_159:
	s_branch .LBB134_11
.LBB134_160:
	s_mov_b64 s[0:1], 0
	s_mov_b64 s[20:21], 0
	s_branch .LBB134_394
.LBB134_161:
	s_mov_b64 s[20:21], -1
.LBB134_162:
	s_mov_b64 s[0:1], 0
                                        ; implicit-def: $vgpr5
.LBB134_163:
	s_and_b64 vcc, exec, s[18:19]
	s_cbranch_vccz .LBB134_280
; %bb.164:
	s_cmp_eq_u32 s31, 44
	s_cbranch_scc0 .LBB134_278
; %bb.165:
	global_load_ubyte v4, v[2:3], off
	s_movk_i32 s18, 0xff
	v_mov_b32_e32 v5, 0x7f800001
	v_mov_b32_e32 v7, 0x400000
	s_mov_b64 s[0:1], -1
	s_mov_b64 s[20:21], 0
	s_waitcnt vmcnt(0)
	v_lshlrev_b32_e32 v8, 23, v4
	v_cmp_ne_u32_e32 vcc, s18, v4
	v_cndmask_b32_e32 v5, v5, v8, vcc
	v_cmp_ne_u32_e32 vcc, 0, v4
	v_cndmask_b32_e32 v4, v7, v5, vcc
	s_branch .LBB134_279
.LBB134_166:
	s_mov_b64 s[30:31], -1
	s_mov_b64 s[0:1], 0
	s_mov_b64 s[26:27], 0
.LBB134_167:
	s_and_b64 vcc, exec, s[30:31]
	s_cbranch_vccz .LBB134_172
; %bb.168:
	s_cmp_eq_u32 s37, 44
	s_mov_b64 s[0:1], -1
	s_cbranch_scc0 .LBB134_172
; %bb.169:
	v_cndmask_b32_e64 v3, 0, 1.0, s[18:19]
	v_lshrrev_b32_e32 v2, 23, v3
	s_movk_i32 s0, 0xff
	v_cmp_ne_u32_e32 vcc, s0, v2
	v_mov_b32_e32 v4, 0xff
	s_and_saveexec_b64 s[26:27], vcc
; %bb.170:
	s_mov_b32 s0, 0x3fffff
	v_and_b32_e32 v4, 0x400000, v3
	v_and_or_b32 v3, v3, s0, v2
	v_cmp_ne_u32_e32 vcc, 0, v4
	v_cmp_ne_u32_e64 s[0:1], 0, v3
	s_and_b64 s[0:1], vcc, s[0:1]
	v_cndmask_b32_e64 v3, 0, 1, s[0:1]
	v_add_u32_e32 v4, v2, v3
; %bb.171:
	s_or_b64 exec, exec, s[26:27]
	s_mov_b64 s[26:27], -1
	s_mov_b64 s[0:1], 0
	global_store_byte v[0:1], v4, off
.LBB134_172:
	s_mov_b64 s[30:31], 0
.LBB134_173:
	s_and_b64 vcc, exec, s[30:31]
	s_cbranch_vccz .LBB134_176
; %bb.174:
	s_cmp_eq_u32 s37, 29
	s_mov_b64 s[0:1], -1
	s_cbranch_scc0 .LBB134_176
; %bb.175:
	s_mov_b32 s0, 0
	v_cndmask_b32_e64 v2, 0, 1, s[18:19]
	v_mov_b32_e32 v3, s0
	global_store_dwordx2 v[0:1], v[2:3], off
	s_mov_b64 s[26:27], -1
	s_mov_b64 s[0:1], 0
.LBB134_176:
	s_mov_b64 s[30:31], 0
.LBB134_177:
	s_and_b64 vcc, exec, s[30:31]
	s_cbranch_vccz .LBB134_193
; %bb.178:
	s_cmp_lt_i32 s37, 27
	s_mov_b64 s[26:27], -1
	s_cbranch_scc1 .LBB134_184
; %bb.179:
	s_cmp_gt_i32 s37, 27
	s_cbranch_scc0 .LBB134_181
; %bb.180:
	v_cndmask_b32_e64 v2, 0, 1, s[18:19]
	s_mov_b64 s[26:27], 0
	global_store_dword v[0:1], v2, off
.LBB134_181:
	s_andn2_b64 vcc, exec, s[26:27]
	s_cbranch_vccnz .LBB134_183
; %bb.182:
	v_cndmask_b32_e64 v2, 0, 1, s[18:19]
	global_store_short v[0:1], v2, off
.LBB134_183:
	s_mov_b64 s[26:27], 0
.LBB134_184:
	s_andn2_b64 vcc, exec, s[26:27]
	s_cbranch_vccnz .LBB134_192
; %bb.185:
	v_cndmask_b32_e64 v3, 0, 1.0, s[18:19]
	s_mov_b32 s26, 0x43800000
	v_cmp_gt_u32_e32 vcc, s26, v3
	v_mov_b32_e32 v4, 0x80
	s_and_saveexec_b64 s[26:27], vcc
	s_cbranch_execz .LBB134_191
; %bb.186:
	s_mov_b32 s30, 0x3bffffff
	v_cmp_lt_u32_e32 vcc, s30, v3
	s_mov_b64 s[30:31], 0
                                        ; implicit-def: $vgpr2
	s_and_saveexec_b64 s[34:35], vcc
	s_xor_b64 s[34:35], exec, s[34:35]
	s_cbranch_execz .LBB134_425
; %bb.187:
	v_bfe_u32 v2, v3, 20, 1
	s_mov_b32 s38, 0x487ffff
	v_add3_u32 v2, v3, v2, s38
	s_mov_b64 s[30:31], exec
	v_lshrrev_b32_e32 v2, 20, v2
                                        ; implicit-def: $vgpr3
	s_andn2_saveexec_b64 s[34:35], s[34:35]
	s_cbranch_execnz .LBB134_426
.LBB134_188:
	s_or_b64 exec, exec, s[34:35]
	v_mov_b32_e32 v4, 0
	s_and_saveexec_b64 s[34:35], s[30:31]
.LBB134_189:
	v_mov_b32_e32 v4, v2
.LBB134_190:
	s_or_b64 exec, exec, s[34:35]
.LBB134_191:
	s_or_b64 exec, exec, s[26:27]
	global_store_byte v[0:1], v4, off
.LBB134_192:
	s_mov_b64 s[26:27], -1
.LBB134_193:
	s_mov_b64 s[30:31], 0
.LBB134_194:
	s_and_b64 vcc, exec, s[30:31]
	s_cbranch_vccz .LBB134_235
; %bb.195:
	s_cmp_gt_i32 s37, 22
	s_mov_b64 s[30:31], -1
	s_cbranch_scc0 .LBB134_227
; %bb.196:
	s_cmp_lt_i32 s37, 24
	s_mov_b64 s[26:27], -1
	s_cbranch_scc1 .LBB134_216
; %bb.197:
	s_cmp_gt_i32 s37, 24
	s_cbranch_scc0 .LBB134_205
; %bb.198:
	v_cndmask_b32_e64 v3, 0, 1.0, s[18:19]
	s_mov_b32 s26, 0x47800000
	v_cmp_gt_u32_e32 vcc, s26, v3
	v_mov_b32_e32 v4, 0x80
	s_and_saveexec_b64 s[26:27], vcc
	s_cbranch_execz .LBB134_204
; %bb.199:
	s_mov_b32 s30, 0x37ffffff
	v_cmp_lt_u32_e32 vcc, s30, v3
	s_mov_b64 s[30:31], 0
                                        ; implicit-def: $vgpr2
	s_and_saveexec_b64 s[34:35], vcc
	s_xor_b64 s[34:35], exec, s[34:35]
	s_cbranch_execz .LBB134_549
; %bb.200:
	v_bfe_u32 v2, v3, 21, 1
	s_mov_b32 s38, 0x88fffff
	v_add3_u32 v2, v3, v2, s38
	s_mov_b64 s[30:31], exec
	v_lshrrev_b32_e32 v2, 21, v2
                                        ; implicit-def: $vgpr3
	s_andn2_saveexec_b64 s[34:35], s[34:35]
	s_cbranch_execnz .LBB134_550
.LBB134_201:
	s_or_b64 exec, exec, s[34:35]
	v_mov_b32_e32 v4, 0
	s_and_saveexec_b64 s[34:35], s[30:31]
.LBB134_202:
	v_mov_b32_e32 v4, v2
.LBB134_203:
	s_or_b64 exec, exec, s[34:35]
.LBB134_204:
	s_or_b64 exec, exec, s[26:27]
	s_mov_b64 s[26:27], 0
	global_store_byte v[0:1], v4, off
.LBB134_205:
	s_and_b64 vcc, exec, s[26:27]
	s_cbranch_vccz .LBB134_215
; %bb.206:
	v_cndmask_b32_e64 v2, 0, 1.0, s[18:19]
	s_mov_b32 s26, 0x43f00000
	v_cmp_gt_u32_e32 vcc, s26, v2
                                        ; implicit-def: $vgpr3
	s_and_saveexec_b64 s[26:27], vcc
	s_xor_b64 s[26:27], exec, s[26:27]
	s_cbranch_execz .LBB134_212
; %bb.207:
	s_mov_b32 s30, 0x3c7fffff
	v_cmp_lt_u32_e32 vcc, s30, v2
                                        ; implicit-def: $vgpr3
	s_and_saveexec_b64 s[30:31], vcc
	s_xor_b64 s[30:31], exec, s[30:31]
; %bb.208:
	v_bfe_u32 v3, v2, 20, 1
	s_mov_b32 s34, 0x407ffff
	v_add3_u32 v2, v2, v3, s34
	v_lshrrev_b32_e32 v3, 20, v2
	v_and_b32_e32 v2, 0xff00000, v2
	s_mov_b32 s34, 0x7f00000
	v_mov_b32_e32 v4, 0x7e
	v_cmp_ne_u32_e32 vcc, s34, v2
	v_cndmask_b32_e32 v3, v4, v3, vcc
                                        ; implicit-def: $vgpr2
; %bb.209:
	s_andn2_saveexec_b64 s[30:31], s[30:31]
; %bb.210:
	v_add_f32_e32 v3, 0x46800000, v2
; %bb.211:
	s_or_b64 exec, exec, s[30:31]
                                        ; implicit-def: $vgpr2
.LBB134_212:
	s_andn2_saveexec_b64 s[26:27], s[26:27]
; %bb.213:
	s_mov_b32 s30, 0x7f800000
	v_mov_b32_e32 v3, 0x7e
	v_mov_b32_e32 v4, 0x7f
	v_cmp_lt_u32_e32 vcc, s30, v2
	v_cndmask_b32_e32 v3, v3, v4, vcc
; %bb.214:
	s_or_b64 exec, exec, s[26:27]
	global_store_byte v[0:1], v3, off
.LBB134_215:
	s_mov_b64 s[26:27], 0
.LBB134_216:
	s_andn2_b64 vcc, exec, s[26:27]
	s_cbranch_vccnz .LBB134_226
; %bb.217:
	v_cndmask_b32_e64 v2, 0, 1.0, s[18:19]
	s_mov_b32 s26, 0x47800000
	v_cmp_gt_u32_e32 vcc, s26, v2
                                        ; implicit-def: $vgpr3
	s_and_saveexec_b64 s[26:27], vcc
	s_xor_b64 s[26:27], exec, s[26:27]
	s_cbranch_execz .LBB134_223
; %bb.218:
	s_mov_b32 s30, 0x387fffff
	v_cmp_lt_u32_e32 vcc, s30, v2
                                        ; implicit-def: $vgpr3
	s_and_saveexec_b64 s[30:31], vcc
	s_xor_b64 s[30:31], exec, s[30:31]
; %bb.219:
	v_bfe_u32 v3, v2, 21, 1
	s_mov_b32 s34, 0x80fffff
	v_add3_u32 v2, v2, v3, s34
	v_lshrrev_b32_e32 v3, 21, v2
                                        ; implicit-def: $vgpr2
; %bb.220:
	s_andn2_saveexec_b64 s[30:31], s[30:31]
; %bb.221:
	v_add_f32_e32 v3, 0x43000000, v2
; %bb.222:
	s_or_b64 exec, exec, s[30:31]
                                        ; implicit-def: $vgpr2
.LBB134_223:
	s_andn2_saveexec_b64 s[26:27], s[26:27]
; %bb.224:
	s_mov_b32 s30, 0x7f800000
	v_mov_b32_e32 v3, 0x7c
	v_mov_b32_e32 v4, 0x7f
	v_cmp_lt_u32_e32 vcc, s30, v2
	v_cndmask_b32_e32 v3, v3, v4, vcc
; %bb.225:
	s_or_b64 exec, exec, s[26:27]
	global_store_byte v[0:1], v3, off
.LBB134_226:
	s_mov_b64 s[30:31], 0
	s_mov_b64 s[26:27], -1
.LBB134_227:
	s_andn2_b64 vcc, exec, s[30:31]
	s_cbranch_vccnz .LBB134_235
; %bb.228:
	s_cmp_gt_i32 s37, 14
	s_mov_b64 s[30:31], -1
	s_cbranch_scc0 .LBB134_232
; %bb.229:
	s_cmp_eq_u32 s37, 15
	s_mov_b64 s[0:1], -1
	s_cbranch_scc0 .LBB134_231
; %bb.230:
	v_cndmask_b32_e64 v2, 0, 1.0, s[18:19]
	v_bfe_u32 v3, v2, 16, 1
	s_movk_i32 s0, 0x7fff
	v_add3_u32 v2, v2, v3, s0
	global_store_short_d16_hi v[0:1], v2, off
	s_mov_b64 s[26:27], -1
	s_mov_b64 s[0:1], 0
.LBB134_231:
	s_mov_b64 s[30:31], 0
.LBB134_232:
	s_and_b64 vcc, exec, s[30:31]
	s_cbranch_vccz .LBB134_235
; %bb.233:
	s_cmp_eq_u32 s37, 11
	s_mov_b64 s[0:1], -1
	s_cbranch_scc0 .LBB134_235
; %bb.234:
	v_cndmask_b32_e64 v2, 0, 1, s[18:19]
	s_mov_b64 s[26:27], -1
	s_mov_b64 s[0:1], 0
	global_store_byte v[0:1], v2, off
.LBB134_235:
	s_mov_b64 s[30:31], 0
.LBB134_236:
	s_and_b64 vcc, exec, s[30:31]
	s_cbranch_vccz .LBB134_275
; %bb.237:
	s_and_b32 s30, 0xffff, s36
	s_cmp_lt_i32 s30, 5
	s_mov_b64 s[26:27], -1
	s_cbranch_scc1 .LBB134_258
; %bb.238:
	s_cmp_lt_i32 s30, 8
	s_cbranch_scc1 .LBB134_248
; %bb.239:
	s_cmp_lt_i32 s30, 9
	s_cbranch_scc1 .LBB134_245
; %bb.240:
	s_cmp_gt_i32 s30, 9
	s_cbranch_scc0 .LBB134_242
; %bb.241:
	v_cndmask_b32_e64 v2, 0, 1, s[18:19]
	v_cvt_f64_u32_e32 v[2:3], v2
	v_mov_b32_e32 v4, 0
	v_mov_b32_e32 v5, v4
	s_mov_b64 s[26:27], 0
	global_store_dwordx4 v[0:1], v[2:5], off
.LBB134_242:
	s_andn2_b64 vcc, exec, s[26:27]
	s_cbranch_vccnz .LBB134_244
; %bb.243:
	v_cndmask_b32_e64 v2, 0, 1.0, s[18:19]
	v_mov_b32_e32 v3, 0
	global_store_dwordx2 v[0:1], v[2:3], off
.LBB134_244:
	s_mov_b64 s[26:27], 0
.LBB134_245:
	s_andn2_b64 vcc, exec, s[26:27]
	s_cbranch_vccnz .LBB134_247
; %bb.246:
	v_cndmask_b32_e64 v2, 0, 1.0, s[18:19]
	v_cvt_f16_f32_e32 v2, v2
	global_store_dword v[0:1], v2, off
.LBB134_247:
	s_mov_b64 s[26:27], 0
.LBB134_248:
	s_andn2_b64 vcc, exec, s[26:27]
	s_cbranch_vccnz .LBB134_257
; %bb.249:
	s_cmp_lt_i32 s30, 6
	s_mov_b64 s[26:27], -1
	s_cbranch_scc1 .LBB134_255
; %bb.250:
	s_cmp_gt_i32 s30, 6
	s_cbranch_scc0 .LBB134_252
; %bb.251:
	v_cndmask_b32_e64 v2, 0, 1, s[18:19]
	v_cvt_f64_u32_e32 v[2:3], v2
	s_mov_b64 s[26:27], 0
	global_store_dwordx2 v[0:1], v[2:3], off
.LBB134_252:
	s_andn2_b64 vcc, exec, s[26:27]
	s_cbranch_vccnz .LBB134_254
; %bb.253:
	v_cndmask_b32_e64 v2, 0, 1.0, s[18:19]
	global_store_dword v[0:1], v2, off
.LBB134_254:
	s_mov_b64 s[26:27], 0
.LBB134_255:
	s_andn2_b64 vcc, exec, s[26:27]
	s_cbranch_vccnz .LBB134_257
; %bb.256:
	v_cndmask_b32_e64 v2, 0, 1.0, s[18:19]
	v_cvt_f16_f32_e32 v2, v2
	global_store_short v[0:1], v2, off
.LBB134_257:
	s_mov_b64 s[26:27], 0
.LBB134_258:
	s_andn2_b64 vcc, exec, s[26:27]
	s_cbranch_vccnz .LBB134_274
; %bb.259:
	s_cmp_lt_i32 s30, 2
	s_mov_b64 s[26:27], -1
	s_cbranch_scc1 .LBB134_269
; %bb.260:
	s_cmp_lt_i32 s30, 3
	s_cbranch_scc1 .LBB134_266
; %bb.261:
	s_cmp_gt_i32 s30, 3
	s_cbranch_scc0 .LBB134_263
; %bb.262:
	s_mov_b32 s26, 0
	v_cndmask_b32_e64 v2, 0, 1, s[18:19]
	v_mov_b32_e32 v3, s26
	global_store_dwordx2 v[0:1], v[2:3], off
	s_mov_b64 s[26:27], 0
.LBB134_263:
	s_andn2_b64 vcc, exec, s[26:27]
	s_cbranch_vccnz .LBB134_265
; %bb.264:
	v_cndmask_b32_e64 v2, 0, 1, s[18:19]
	global_store_dword v[0:1], v2, off
.LBB134_265:
	s_mov_b64 s[26:27], 0
.LBB134_266:
	s_andn2_b64 vcc, exec, s[26:27]
	s_cbranch_vccnz .LBB134_268
; %bb.267:
	v_cndmask_b32_e64 v2, 0, 1, s[18:19]
	global_store_short v[0:1], v2, off
.LBB134_268:
	s_mov_b64 s[26:27], 0
.LBB134_269:
	s_andn2_b64 vcc, exec, s[26:27]
	s_cbranch_vccnz .LBB134_274
; %bb.270:
	s_mov_b64 s[26:27], -1
	s_cmp_gt_i32 s30, 0
	v_cndmask_b32_e64 v2, 0, 1, s[18:19]
	s_cbranch_scc0 .LBB134_272
; %bb.271:
	global_store_byte v[0:1], v2, off
	s_mov_b64 s[26:27], 0
.LBB134_272:
	s_andn2_b64 vcc, exec, s[26:27]
	s_cbranch_vccnz .LBB134_274
; %bb.273:
	global_store_byte v[0:1], v2, off
.LBB134_274:
	s_mov_b64 s[26:27], -1
.LBB134_275:
	s_andn2_b64 vcc, exec, s[26:27]
	s_cbranch_vccnz .LBB134_277
; %bb.276:
	v_add_u32_e32 v6, 0x80, v6
	s_mov_b64 s[26:27], -1
	s_branch .LBB134_395
.LBB134_277:
	s_mov_b64 s[26:27], 0
                                        ; implicit-def: $vgpr6
	s_branch .LBB134_395
.LBB134_278:
	s_mov_b64 s[20:21], -1
                                        ; implicit-def: $vgpr4
.LBB134_279:
	v_mov_b32_e32 v5, 0
.LBB134_280:
	s_mov_b64 s[18:19], 0
.LBB134_281:
	s_and_b64 vcc, exec, s[18:19]
	s_cbranch_vccz .LBB134_286
; %bb.282:
	s_cmp_eq_u32 s31, 29
	s_cbranch_scc0 .LBB134_284
; %bb.283:
	global_load_dwordx2 v[4:5], v[2:3], off
	s_mov_b64 s[0:1], -1
	s_mov_b64 s[20:21], 0
	s_waitcnt vmcnt(0)
	v_ffbh_u32_e32 v7, v5
	v_min_u32_e32 v7, 32, v7
	v_lshlrev_b64 v[4:5], v7, v[4:5]
	v_min_u32_e32 v4, 1, v4
	v_or_b32_e32 v4, v5, v4
	v_cvt_f32_u32_e32 v4, v4
	v_sub_u32_e32 v5, 32, v7
	v_ldexp_f32 v4, v4, v5
	s_branch .LBB134_285
.LBB134_284:
	s_mov_b64 s[20:21], -1
                                        ; implicit-def: $vgpr4
.LBB134_285:
	v_mov_b32_e32 v5, 0
.LBB134_286:
	s_mov_b64 s[18:19], 0
.LBB134_287:
	s_and_b64 vcc, exec, s[18:19]
	s_cbranch_vccz .LBB134_305
; %bb.288:
	s_cmp_lt_i32 s31, 27
	s_cbranch_scc1 .LBB134_291
; %bb.289:
	s_cmp_gt_i32 s31, 27
	s_cbranch_scc0 .LBB134_292
; %bb.290:
	global_load_dword v4, v[2:3], off
	s_mov_b64 s[0:1], 0
	s_waitcnt vmcnt(0)
	v_cvt_f32_u32_e32 v4, v4
	s_branch .LBB134_293
.LBB134_291:
	s_mov_b64 s[0:1], -1
                                        ; implicit-def: $vgpr4
	s_branch .LBB134_296
.LBB134_292:
	s_mov_b64 s[0:1], -1
                                        ; implicit-def: $vgpr4
.LBB134_293:
	s_andn2_b64 vcc, exec, s[0:1]
	s_cbranch_vccnz .LBB134_295
; %bb.294:
	global_load_ushort v4, v[2:3], off
	s_waitcnt vmcnt(0)
	v_cvt_f32_u32_e32 v4, v4
.LBB134_295:
	s_mov_b64 s[0:1], 0
.LBB134_296:
	s_andn2_b64 vcc, exec, s[0:1]
	s_cbranch_vccnz .LBB134_304
; %bb.297:
	global_load_ubyte v5, v[2:3], off
	s_movk_i32 s0, 0x7f
	s_waitcnt vmcnt(0)
	v_cmp_lt_i16_e32 vcc, s0, v5
	s_mov_b64 s[0:1], 0
	s_and_saveexec_b64 s[18:19], vcc
	s_xor_b64 s[18:19], exec, s[18:19]
	s_cbranch_execz .LBB134_318
; %bb.298:
	s_movk_i32 s0, 0x80
	v_cmp_eq_u16_e32 vcc, s0, v5
	s_mov_b64 s[0:1], -1
	s_and_saveexec_b64 s[26:27], vcc
; %bb.299:
	s_xor_b64 s[0:1], exec, -1
; %bb.300:
	s_or_b64 exec, exec, s[26:27]
	s_and_b64 s[0:1], s[0:1], exec
	s_or_saveexec_b64 s[18:19], s[18:19]
	v_mov_b32_e32 v4, 0x7f800001
	s_xor_b64 exec, exec, s[18:19]
	s_cbranch_execnz .LBB134_319
.LBB134_301:
	s_or_b64 exec, exec, s[18:19]
	s_and_saveexec_b64 s[18:19], s[0:1]
	s_cbranch_execz .LBB134_303
.LBB134_302:
	v_lshlrev_b32_e32 v4, 24, v5
	v_and_b32_e32 v5, 0xffff, v5
	v_and_b32_e32 v7, 7, v5
	v_ffbh_u32_e32 v9, v7
	v_min_u32_e32 v9, 32, v9
	v_subrev_u32_e32 v10, 28, v9
	v_bfe_u32 v8, v5, 3, 4
	v_lshlrev_b32_e32 v5, v10, v5
	v_sub_u32_e32 v9, 29, v9
	v_and_b32_e32 v5, 7, v5
	v_cmp_eq_u32_e32 vcc, 0, v8
	v_cndmask_b32_e32 v8, v8, v9, vcc
	v_cndmask_b32_e32 v5, v7, v5, vcc
	v_mov_b32_e32 v7, 0x3b800000
	v_lshlrev_b32_e32 v5, 20, v5
	v_and_b32_e32 v4, 0x80000000, v4
	v_lshl_add_u32 v7, v8, 23, v7
	v_or3_b32 v4, v4, v7, v5
.LBB134_303:
	s_or_b64 exec, exec, s[18:19]
.LBB134_304:
	s_mov_b64 s[0:1], -1
	v_mov_b32_e32 v5, 0
.LBB134_305:
	s_mov_b64 s[18:19], 0
.LBB134_306:
	s_and_b64 vcc, exec, s[18:19]
	s_cbranch_vccz .LBB134_342
; %bb.307:
	s_cmp_gt_i32 s31, 22
	s_cbranch_scc0 .LBB134_317
; %bb.308:
	s_cmp_lt_i32 s31, 24
	s_cbranch_scc1 .LBB134_320
; %bb.309:
	s_cmp_gt_i32 s31, 24
	s_cbranch_scc0 .LBB134_321
; %bb.310:
	global_load_ubyte v5, v[2:3], off
	s_movk_i32 s0, 0x7f
	s_waitcnt vmcnt(0)
	v_cmp_lt_i16_e32 vcc, s0, v5
	s_mov_b64 s[0:1], 0
	s_and_saveexec_b64 s[18:19], vcc
	s_xor_b64 s[18:19], exec, s[18:19]
	s_cbranch_execz .LBB134_333
; %bb.311:
	s_movk_i32 s0, 0x80
	v_cmp_eq_u16_e32 vcc, s0, v5
	s_mov_b64 s[0:1], -1
	s_and_saveexec_b64 s[26:27], vcc
; %bb.312:
	s_xor_b64 s[0:1], exec, -1
; %bb.313:
	s_or_b64 exec, exec, s[26:27]
	s_and_b64 s[0:1], s[0:1], exec
	s_or_saveexec_b64 s[18:19], s[18:19]
	v_mov_b32_e32 v4, 0x7f800001
	s_xor_b64 exec, exec, s[18:19]
	s_cbranch_execnz .LBB134_334
.LBB134_314:
	s_or_b64 exec, exec, s[18:19]
	s_and_saveexec_b64 s[18:19], s[0:1]
	s_cbranch_execz .LBB134_316
.LBB134_315:
	v_lshlrev_b32_e32 v4, 24, v5
	v_and_b32_e32 v5, 0xffff, v5
	v_and_b32_e32 v7, 3, v5
	v_ffbh_u32_e32 v9, v7
	v_min_u32_e32 v9, 32, v9
	v_subrev_u32_e32 v10, 29, v9
	v_bfe_u32 v8, v5, 2, 5
	v_lshlrev_b32_e32 v5, v10, v5
	v_sub_u32_e32 v9, 30, v9
	v_and_b32_e32 v5, 3, v5
	v_cmp_eq_u32_e32 vcc, 0, v8
	v_cndmask_b32_e32 v8, v8, v9, vcc
	v_cndmask_b32_e32 v5, v7, v5, vcc
	v_mov_b32_e32 v7, 0x37800000
	v_lshlrev_b32_e32 v5, 21, v5
	v_and_b32_e32 v4, 0x80000000, v4
	v_lshl_add_u32 v7, v8, 23, v7
	v_or3_b32 v4, v4, v7, v5
.LBB134_316:
	s_or_b64 exec, exec, s[18:19]
	s_mov_b64 s[0:1], 0
	s_branch .LBB134_322
.LBB134_317:
	s_mov_b64 s[18:19], -1
                                        ; implicit-def: $vgpr4
	s_branch .LBB134_328
.LBB134_318:
	s_or_saveexec_b64 s[18:19], s[18:19]
	v_mov_b32_e32 v4, 0x7f800001
	s_xor_b64 exec, exec, s[18:19]
	s_cbranch_execz .LBB134_301
.LBB134_319:
	v_cmp_ne_u16_e32 vcc, 0, v5
	s_andn2_b64 s[0:1], s[0:1], exec
	s_and_b64 s[26:27], vcc, exec
	v_mov_b32_e32 v4, 0
	s_or_b64 s[0:1], s[0:1], s[26:27]
	s_or_b64 exec, exec, s[18:19]
	s_and_saveexec_b64 s[18:19], s[0:1]
	s_cbranch_execnz .LBB134_302
	s_branch .LBB134_303
.LBB134_320:
	s_mov_b64 s[0:1], -1
                                        ; implicit-def: $vgpr4
	s_branch .LBB134_325
.LBB134_321:
	s_mov_b64 s[0:1], -1
                                        ; implicit-def: $vgpr4
.LBB134_322:
	s_and_b64 vcc, exec, s[0:1]
	s_cbranch_vccz .LBB134_324
; %bb.323:
	global_load_ubyte v4, v[2:3], off
	s_mov_b32 s0, 0x7f800000
	s_waitcnt vmcnt(0)
	v_lshlrev_b32_e32 v4, 24, v4
	v_and_b32_e32 v5, 0x7f000000, v4
	v_ffbh_u32_e32 v7, v5
	v_min_u32_e32 v7, 32, v7
	v_sub_u32_e64 v7, v7, 4 clamp
	v_lshlrev_b32_e32 v9, v7, v5
	v_lshlrev_b32_e32 v7, 23, v7
	v_lshrrev_b32_e32 v9, 4, v9
	v_add_u32_e32 v8, 0x1000000, v5
	v_sub_u32_e32 v7, v9, v7
	v_ashrrev_i32_e32 v8, 8, v8
	v_add_u32_e32 v7, 0x3c000000, v7
	v_and_or_b32 v7, v8, s0, v7
	v_cmp_ne_u32_e32 vcc, 0, v5
	v_cndmask_b32_e32 v5, 0, v7, vcc
	s_brev_b32 s0, 1
	v_and_or_b32 v4, v4, s0, v5
.LBB134_324:
	s_mov_b64 s[0:1], 0
.LBB134_325:
	s_andn2_b64 vcc, exec, s[0:1]
	s_cbranch_vccnz .LBB134_327
; %bb.326:
	global_load_ubyte v4, v[2:3], off
	s_movk_i32 s0, 0x7f00
	s_brev_b32 s1, 16
	s_waitcnt vmcnt(0)
	v_lshlrev_b16_e32 v5, 8, v4
	v_lshlrev_b32_e32 v4, 25, v4
	v_lshrrev_b32_e32 v7, 4, v4
	v_and_or_b32 v8, v5, s0, 0.5
	v_or_b32_e32 v7, 0x70000000, v7
	v_add_f32_e32 v8, -0.5, v8
	v_mul_f32_e32 v7, 0x7800000, v7
	v_cmp_gt_u32_e32 vcc, s1, v4
	v_bfe_i32 v5, v5, 0, 16
	v_cndmask_b32_e32 v4, v7, v8, vcc
	s_brev_b32 s0, 1
	v_and_or_b32 v4, v5, s0, v4
.LBB134_327:
	s_mov_b64 s[18:19], 0
	s_mov_b64 s[0:1], -1
.LBB134_328:
	s_andn2_b64 vcc, exec, s[18:19]
	s_cbranch_vccnz .LBB134_341
; %bb.329:
	s_cmp_gt_i32 s31, 14
	s_cbranch_scc0 .LBB134_332
; %bb.330:
	s_cmp_eq_u32 s31, 15
	s_cbranch_scc0 .LBB134_335
; %bb.331:
	global_load_ushort v4, v[2:3], off
	s_mov_b64 s[0:1], -1
	s_mov_b64 s[20:21], 0
	s_waitcnt vmcnt(0)
	v_lshlrev_b32_e32 v4, 16, v4
	s_branch .LBB134_336
.LBB134_332:
	s_mov_b64 s[18:19], -1
                                        ; implicit-def: $vgpr4
	s_branch .LBB134_337
.LBB134_333:
	s_or_saveexec_b64 s[18:19], s[18:19]
	v_mov_b32_e32 v4, 0x7f800001
	s_xor_b64 exec, exec, s[18:19]
	s_cbranch_execz .LBB134_314
.LBB134_334:
	v_cmp_ne_u16_e32 vcc, 0, v5
	s_andn2_b64 s[0:1], s[0:1], exec
	s_and_b64 s[26:27], vcc, exec
	v_mov_b32_e32 v4, 0
	s_or_b64 s[0:1], s[0:1], s[26:27]
	s_or_b64 exec, exec, s[18:19]
	s_and_saveexec_b64 s[18:19], s[0:1]
	s_cbranch_execnz .LBB134_315
	s_branch .LBB134_316
.LBB134_335:
	s_mov_b64 s[20:21], -1
                                        ; implicit-def: $vgpr4
.LBB134_336:
	s_mov_b64 s[18:19], 0
.LBB134_337:
	s_and_b64 vcc, exec, s[18:19]
	s_cbranch_vccz .LBB134_341
; %bb.338:
	s_cmp_eq_u32 s31, 11
	s_cbranch_scc0 .LBB134_340
; %bb.339:
	global_load_ubyte v4, v[2:3], off
	s_mov_b64 s[0:1], -1
	s_mov_b64 s[20:21], 0
	v_mov_b32_e32 v5, 0
	s_waitcnt vmcnt(0)
	v_cmp_ne_u16_e32 vcc, 0, v4
	v_cndmask_b32_e64 v4, 0, 1.0, vcc
	s_branch .LBB134_342
.LBB134_340:
	s_mov_b64 s[20:21], -1
                                        ; implicit-def: $vgpr4
.LBB134_341:
	v_mov_b32_e32 v5, 0
.LBB134_342:
	s_branch .LBB134_20
.LBB134_343:
	s_and_b32 s18, 0xffff, s30
	s_cmp_lt_i32 s18, 5
	s_cbranch_scc1 .LBB134_348
; %bb.344:
	s_cmp_lt_i32 s18, 8
	s_cbranch_scc1 .LBB134_349
; %bb.345:
	;; [unrolled: 3-line block ×3, first 2 shown]
	s_cmp_gt_i32 s18, 9
	s_cbranch_scc0 .LBB134_351
; %bb.347:
	global_load_dwordx4 v[7:10], v[2:3], off
	s_mov_b64 s[0:1], 0
	s_waitcnt vmcnt(0)
	v_cvt_f32_f64_e32 v4, v[7:8]
	v_cvt_f32_f64_e32 v5, v[9:10]
	s_branch .LBB134_352
.LBB134_348:
	s_mov_b64 s[0:1], -1
                                        ; implicit-def: $vgpr5
	s_branch .LBB134_371
.LBB134_349:
	s_mov_b64 s[0:1], -1
                                        ; implicit-def: $vgpr5
	s_branch .LBB134_358
.LBB134_350:
	s_mov_b64 s[0:1], -1
                                        ; implicit-def: $vgpr5
	s_branch .LBB134_355
.LBB134_351:
	s_mov_b64 s[0:1], -1
                                        ; implicit-def: $vgpr5
.LBB134_352:
	s_andn2_b64 vcc, exec, s[0:1]
	s_cbranch_vccnz .LBB134_354
; %bb.353:
	global_load_dwordx2 v[4:5], v[2:3], off
.LBB134_354:
	s_mov_b64 s[0:1], 0
.LBB134_355:
	s_andn2_b64 vcc, exec, s[0:1]
	s_cbranch_vccnz .LBB134_357
; %bb.356:
	global_load_dword v5, v[2:3], off
	s_waitcnt vmcnt(0)
	v_cvt_f32_f16_e32 v4, v5
	v_cvt_f32_f16_sdwa v5, v5 dst_sel:DWORD dst_unused:UNUSED_PAD src0_sel:WORD_1
.LBB134_357:
	s_mov_b64 s[0:1], 0
.LBB134_358:
	s_andn2_b64 vcc, exec, s[0:1]
	s_cbranch_vccnz .LBB134_370
; %bb.359:
	s_cmp_lt_i32 s18, 6
	s_cbranch_scc1 .LBB134_362
; %bb.360:
	s_cmp_gt_i32 s18, 6
	s_cbranch_scc0 .LBB134_363
; %bb.361:
	global_load_dwordx2 v[4:5], v[2:3], off
	s_mov_b64 s[0:1], 0
	s_waitcnt vmcnt(0)
	v_cvt_f32_f64_e32 v4, v[4:5]
	s_branch .LBB134_364
.LBB134_362:
	s_mov_b64 s[0:1], -1
                                        ; implicit-def: $vgpr4
	s_branch .LBB134_367
.LBB134_363:
	s_mov_b64 s[0:1], -1
                                        ; implicit-def: $vgpr4
.LBB134_364:
	s_andn2_b64 vcc, exec, s[0:1]
	s_cbranch_vccnz .LBB134_366
; %bb.365:
	global_load_dword v4, v[2:3], off
.LBB134_366:
	s_mov_b64 s[0:1], 0
.LBB134_367:
	s_andn2_b64 vcc, exec, s[0:1]
	s_cbranch_vccnz .LBB134_369
; %bb.368:
	global_load_ushort v4, v[2:3], off
	s_waitcnt vmcnt(0)
	v_cvt_f32_f16_e32 v4, v4
.LBB134_369:
	s_waitcnt vmcnt(0)
	v_mov_b32_e32 v5, 0
.LBB134_370:
	s_mov_b64 s[0:1], 0
.LBB134_371:
	s_andn2_b64 vcc, exec, s[0:1]
	s_cbranch_vccnz .LBB134_392
; %bb.372:
	s_cmp_lt_i32 s18, 2
	s_cbranch_scc1 .LBB134_376
; %bb.373:
	s_cmp_lt_i32 s18, 3
	s_cbranch_scc1 .LBB134_377
; %bb.374:
	s_cmp_gt_i32 s18, 3
	s_cbranch_scc0 .LBB134_378
; %bb.375:
	global_load_dwordx2 v[4:5], v[2:3], off
	s_mov_b64 s[0:1], 0
	s_waitcnt vmcnt(0)
	v_xor_b32_e32 v8, v4, v5
	v_ffbh_i32_e32 v7, v5
	v_ashrrev_i32_e32 v8, 31, v8
	v_add_u32_e32 v7, -1, v7
	v_add_u32_e32 v8, 32, v8
	v_min_u32_e32 v7, v7, v8
	v_lshlrev_b64 v[4:5], v7, v[4:5]
	v_min_u32_e32 v4, 1, v4
	v_or_b32_e32 v4, v5, v4
	v_cvt_f32_i32_e32 v4, v4
	v_sub_u32_e32 v5, 32, v7
	v_ldexp_f32 v4, v4, v5
	s_branch .LBB134_379
.LBB134_376:
	s_mov_b64 s[0:1], -1
                                        ; implicit-def: $vgpr4
	s_branch .LBB134_385
.LBB134_377:
	s_mov_b64 s[0:1], -1
                                        ; implicit-def: $vgpr4
	s_branch .LBB134_382
.LBB134_378:
	s_mov_b64 s[0:1], -1
                                        ; implicit-def: $vgpr4
.LBB134_379:
	s_andn2_b64 vcc, exec, s[0:1]
	s_cbranch_vccnz .LBB134_381
; %bb.380:
	global_load_dword v4, v[2:3], off
	s_waitcnt vmcnt(0)
	v_cvt_f32_i32_e32 v4, v4
.LBB134_381:
	s_mov_b64 s[0:1], 0
.LBB134_382:
	s_andn2_b64 vcc, exec, s[0:1]
	s_cbranch_vccnz .LBB134_384
; %bb.383:
	global_load_sshort v4, v[2:3], off
	s_waitcnt vmcnt(0)
	v_cvt_f32_i32_e32 v4, v4
.LBB134_384:
	s_mov_b64 s[0:1], 0
.LBB134_385:
	s_andn2_b64 vcc, exec, s[0:1]
	s_cbranch_vccnz .LBB134_391
; %bb.386:
	s_cmp_gt_i32 s18, 0
	s_cbranch_scc0 .LBB134_388
; %bb.387:
	global_load_sbyte v4, v[2:3], off
	s_mov_b64 s[0:1], 0
	s_waitcnt vmcnt(0)
	v_cvt_f32_i32_e32 v4, v4
	s_branch .LBB134_389
.LBB134_388:
	s_mov_b64 s[0:1], -1
                                        ; implicit-def: $vgpr4
.LBB134_389:
	s_andn2_b64 vcc, exec, s[0:1]
	s_cbranch_vccnz .LBB134_391
; %bb.390:
	global_load_ubyte v2, v[2:3], off
	s_waitcnt vmcnt(0)
	v_cvt_f32_ubyte0_e32 v4, v2
.LBB134_391:
	s_waitcnt vmcnt(0)
	v_mov_b32_e32 v5, 0
.LBB134_392:
	s_branch .LBB134_21
.LBB134_393:
	s_mov_b64 s[0:1], 0
.LBB134_394:
                                        ; implicit-def: $vgpr6
	s_mov_b64 s[26:27], 0
.LBB134_395:
	s_and_b64 s[18:19], s[0:1], exec
	s_and_b64 s[20:21], s[20:21], exec
	;; [unrolled: 1-line block ×3, first 2 shown]
	s_orn2_b64 s[0:1], s[26:27], exec
.LBB134_396:
	s_or_b64 exec, exec, s[24:25]
	s_mov_b64 s[34:35], 0
	s_mov_b64 s[30:31], 0
                                        ; implicit-def: $sgpr58
                                        ; implicit-def: $vgpr2_vgpr3
                                        ; implicit-def: $vgpr1
	s_and_saveexec_b64 s[24:25], s[0:1]
	s_cbranch_execz .LBB134_405
; %bb.397:
	v_cmp_gt_i32_e32 vcc, s50, v6
	s_mov_b64 s[0:1], -1
	s_mov_b64 s[26:27], s[22:23]
	s_mov_b64 s[28:29], s[20:21]
	;; [unrolled: 1-line block ×3, first 2 shown]
	s_and_saveexec_b64 s[34:35], vcc
	s_cbranch_execz .LBB134_801
; %bb.398:
	s_waitcnt vmcnt(0)
	v_mul_lo_u32 v0, v6, s13
	v_mov_b32_e32 v1, s11
	s_and_b32 s36, s57, 0xff
	s_cmp_lt_i32 s36, 11
	v_ashrrev_i32_e32 v3, 31, v0
	v_add_co_u32_e32 v2, vcc, s10, v0
	v_addc_co_u32_e32 v3, vcc, v1, v3, vcc
	s_cbranch_scc1 .LBB134_408
; %bb.399:
	s_and_b32 s37, 0xffff, s36
	s_cmp_gt_i32 s37, 25
	s_cbranch_scc0 .LBB134_417
; %bb.400:
	s_cmp_gt_i32 s37, 28
	s_cbranch_scc0 .LBB134_419
; %bb.401:
	;; [unrolled: 3-line block ×4, first 2 shown]
	s_cmp_eq_u32 s37, 46
	s_mov_b64 s[28:29], 0
	s_cbranch_scc0 .LBB134_427
; %bb.404:
	global_load_dword v0, v[2:3], off
	s_mov_b64 s[26:27], 0
	s_waitcnt vmcnt(0)
	v_and_b32_e32 v1, 0xffff0000, v0
	v_lshlrev_b32_e32 v0, 16, v0
	s_branch .LBB134_428
.LBB134_405:
	s_or_b64 exec, exec, s[24:25]
	s_mov_b64 s[24:25], 0
	s_and_saveexec_b64 s[0:1], s[22:23]
	s_cbranch_execnz .LBB134_1294
.LBB134_406:
	s_or_b64 exec, exec, s[0:1]
	s_and_saveexec_b64 s[0:1], s[28:29]
	s_xor_b64 s[0:1], exec, s[0:1]
	s_cbranch_execz .LBB134_1295
.LBB134_407:
	global_load_ubyte v0, v[2:3], off
	s_waitcnt vmcnt(1)
	v_mov_b32_e32 v1, 0
	s_or_b64 s[30:31], s[30:31], exec
	s_waitcnt vmcnt(0)
	v_cmp_ne_u16_e32 vcc, 0, v0
	v_cndmask_b32_e64 v0, 0, 1.0, vcc
	s_or_b64 exec, exec, s[0:1]
	s_and_saveexec_b64 s[0:1], s[34:35]
	s_cbranch_execz .LBB134_1343
	s_branch .LBB134_1296
.LBB134_408:
	s_mov_b64 s[0:1], 0
                                        ; implicit-def: $vgpr1
	s_mov_b64 s[26:27], s[22:23]
	s_cbranch_execnz .LBB134_497
.LBB134_409:
	s_andn2_b64 vcc, exec, s[0:1]
	s_cbranch_vccnz .LBB134_547
.LBB134_410:
	v_mul_lo_u32 v2, v6, s14
	v_mov_b32_e32 v3, s3
	s_and_b32 s38, s56, 0xff
	s_cmp_lt_i32 s38, 11
	v_ashrrev_i32_e32 v4, 31, v2
	v_add_co_u32_e32 v2, vcc, s2, v2
	v_addc_co_u32_e32 v3, vcc, v3, v4, vcc
	s_cbranch_scc1 .LBB134_418
; %bb.411:
	s_and_b32 s39, 0xffff, s38
	s_cmp_gt_i32 s39, 25
	s_cbranch_scc0 .LBB134_420
; %bb.412:
	s_cmp_gt_i32 s39, 28
	s_cbranch_scc0 .LBB134_422
; %bb.413:
	;; [unrolled: 3-line block ×4, first 2 shown]
	s_cmp_eq_u32 s39, 46
	s_mov_b64 s[30:31], 0
	s_cbranch_scc0 .LBB134_551
; %bb.416:
	global_load_dword v4, v[2:3], off
	s_mov_b64 s[0:1], -1
	s_mov_b64 s[28:29], 0
	s_waitcnt vmcnt(0)
	v_and_b32_e32 v5, 0xffff0000, v4
	v_lshlrev_b32_e32 v4, 16, v4
	s_branch .LBB134_552
.LBB134_417:
	s_mov_b64 s[28:29], -1
	s_mov_b64 s[0:1], 0
	s_mov_b64 s[26:27], s[22:23]
                                        ; implicit-def: $vgpr1
	s_branch .LBB134_460
.LBB134_418:
	s_mov_b64 s[30:31], -1
	s_mov_b64 s[0:1], 0
                                        ; implicit-def: $vgpr5
	s_mov_b64 s[28:29], s[20:21]
	s_branch .LBB134_620
.LBB134_419:
	s_mov_b64 s[28:29], -1
	s_mov_b64 s[0:1], 0
	s_mov_b64 s[26:27], s[22:23]
                                        ; implicit-def: $vgpr1
	s_branch .LBB134_441
.LBB134_420:
	s_mov_b64 s[30:31], -1
	s_mov_b64 s[0:1], 0
	s_mov_b64 s[28:29], s[20:21]
                                        ; implicit-def: $vgpr5
	s_branch .LBB134_583
.LBB134_421:
	s_mov_b64 s[28:29], -1
	s_mov_b64 s[0:1], 0
	s_mov_b64 s[26:27], s[22:23]
                                        ; implicit-def: $vgpr1
	s_branch .LBB134_435
.LBB134_422:
	s_mov_b64 s[30:31], -1
	s_mov_b64 s[0:1], 0
	s_mov_b64 s[28:29], s[20:21]
                                        ; implicit-def: $vgpr5
	s_branch .LBB134_564
.LBB134_423:
	s_mov_b64 s[28:29], -1
	s_mov_b64 s[0:1], 0
	s_mov_b64 s[26:27], s[22:23]
                                        ; implicit-def: $vgpr1
	s_branch .LBB134_428
.LBB134_424:
	s_mov_b64 s[30:31], -1
	s_mov_b64 s[0:1], 0
	s_mov_b64 s[28:29], s[20:21]
                                        ; implicit-def: $vgpr5
	s_branch .LBB134_558
.LBB134_425:
	s_andn2_saveexec_b64 s[34:35], s[34:35]
	s_cbranch_execz .LBB134_188
.LBB134_426:
	v_add_f32_e32 v2, 0x46000000, v3
	v_and_b32_e32 v2, 0xff, v2
	v_cmp_ne_u32_e32 vcc, 0, v2
	s_andn2_b64 s[30:31], s[30:31], exec
	s_and_b64 s[38:39], vcc, exec
	s_or_b64 s[30:31], s[30:31], s[38:39]
	s_or_b64 exec, exec, s[34:35]
	v_mov_b32_e32 v4, 0
	s_and_saveexec_b64 s[34:35], s[30:31]
	s_cbranch_execnz .LBB134_189
	s_branch .LBB134_190
.LBB134_427:
	s_mov_b64 s[26:27], -1
                                        ; implicit-def: $vgpr1
	s_mov_b64 s[0:1], 0
.LBB134_428:
	s_and_b64 vcc, exec, s[28:29]
	s_cbranch_vccz .LBB134_434
; %bb.429:
	s_cmp_eq_u32 s37, 44
	s_cbranch_scc0 .LBB134_432
; %bb.430:
	global_load_ubyte v0, v[2:3], off
	s_movk_i32 s26, 0xff
	v_mov_b32_e32 v1, 0x7f800001
	v_mov_b32_e32 v4, 0x400000
	s_mov_b64 s[0:1], -1
	s_waitcnt vmcnt(0)
	v_lshlrev_b32_e32 v5, 23, v0
	v_cmp_ne_u32_e32 vcc, s26, v0
	v_cndmask_b32_e32 v1, v1, v5, vcc
	v_cmp_ne_u32_e32 vcc, 0, v0
	v_cndmask_b32_e32 v0, v4, v1, vcc
	s_mov_b64 s[26:27], 0
	s_branch .LBB134_433
.LBB134_431:
	s_mov_b64 s[30:31], -1
	s_mov_b64 s[0:1], 0
	s_mov_b64 s[28:29], s[20:21]
                                        ; implicit-def: $vgpr5
	s_branch .LBB134_552
.LBB134_432:
	s_mov_b64 s[26:27], -1
                                        ; implicit-def: $vgpr0
.LBB134_433:
	v_mov_b32_e32 v1, 0
.LBB134_434:
	s_mov_b64 s[28:29], 0
.LBB134_435:
	s_and_b64 vcc, exec, s[28:29]
	s_cbranch_vccz .LBB134_440
; %bb.436:
	s_cmp_eq_u32 s37, 29
	s_cbranch_scc0 .LBB134_438
; %bb.437:
	global_load_dwordx2 v[0:1], v[2:3], off
	s_mov_b64 s[0:1], -1
	s_mov_b64 s[26:27], 0
	s_waitcnt vmcnt(0)
	v_ffbh_u32_e32 v4, v1
	v_min_u32_e32 v4, 32, v4
	v_lshlrev_b64 v[0:1], v4, v[0:1]
	v_min_u32_e32 v0, 1, v0
	v_or_b32_e32 v0, v1, v0
	v_cvt_f32_u32_e32 v0, v0
	v_sub_u32_e32 v1, 32, v4
	v_ldexp_f32 v0, v0, v1
	s_branch .LBB134_439
.LBB134_438:
	s_mov_b64 s[26:27], -1
                                        ; implicit-def: $vgpr0
.LBB134_439:
	v_mov_b32_e32 v1, 0
.LBB134_440:
	s_mov_b64 s[28:29], 0
.LBB134_441:
	s_and_b64 vcc, exec, s[28:29]
	s_cbranch_vccz .LBB134_459
; %bb.442:
	s_cmp_lt_i32 s37, 27
	s_cbranch_scc1 .LBB134_445
; %bb.443:
	s_cmp_gt_i32 s37, 27
	s_cbranch_scc0 .LBB134_446
; %bb.444:
	global_load_dword v0, v[2:3], off
	s_mov_b64 s[0:1], 0
	s_waitcnt vmcnt(0)
	v_cvt_f32_u32_e32 v0, v0
	s_branch .LBB134_447
.LBB134_445:
	s_mov_b64 s[0:1], -1
                                        ; implicit-def: $vgpr0
	s_branch .LBB134_450
.LBB134_446:
	s_mov_b64 s[0:1], -1
                                        ; implicit-def: $vgpr0
.LBB134_447:
	s_andn2_b64 vcc, exec, s[0:1]
	s_cbranch_vccnz .LBB134_449
; %bb.448:
	global_load_ushort v0, v[2:3], off
	s_waitcnt vmcnt(0)
	v_cvt_f32_u32_e32 v0, v0
.LBB134_449:
	s_mov_b64 s[0:1], 0
.LBB134_450:
	s_andn2_b64 vcc, exec, s[0:1]
	s_cbranch_vccnz .LBB134_458
; %bb.451:
	global_load_ubyte v1, v[2:3], off
	s_movk_i32 s0, 0x7f
	s_waitcnt vmcnt(0)
	v_cmp_lt_i16_e32 vcc, s0, v1
	s_mov_b64 s[0:1], 0
	s_and_saveexec_b64 s[28:29], vcc
	s_xor_b64 s[28:29], exec, s[28:29]
	s_cbranch_execz .LBB134_472
; %bb.452:
	s_movk_i32 s0, 0x80
	v_cmp_eq_u16_e32 vcc, s0, v1
	s_mov_b64 s[0:1], -1
	s_and_saveexec_b64 s[30:31], vcc
; %bb.453:
	s_xor_b64 s[0:1], exec, -1
; %bb.454:
	s_or_b64 exec, exec, s[30:31]
	s_and_b64 s[0:1], s[0:1], exec
	s_or_saveexec_b64 s[28:29], s[28:29]
	v_mov_b32_e32 v0, 0x7f800001
	s_xor_b64 exec, exec, s[28:29]
	s_cbranch_execnz .LBB134_473
.LBB134_455:
	s_or_b64 exec, exec, s[28:29]
	s_and_saveexec_b64 s[28:29], s[0:1]
	s_cbranch_execz .LBB134_457
.LBB134_456:
	v_lshlrev_b32_e32 v0, 24, v1
	v_and_b32_e32 v1, 0xffff, v1
	v_and_b32_e32 v4, 7, v1
	v_ffbh_u32_e32 v7, v4
	v_min_u32_e32 v7, 32, v7
	v_subrev_u32_e32 v8, 28, v7
	v_bfe_u32 v5, v1, 3, 4
	v_lshlrev_b32_e32 v1, v8, v1
	v_sub_u32_e32 v7, 29, v7
	v_and_b32_e32 v1, 7, v1
	v_cmp_eq_u32_e32 vcc, 0, v5
	v_cndmask_b32_e32 v5, v5, v7, vcc
	v_cndmask_b32_e32 v1, v4, v1, vcc
	v_mov_b32_e32 v4, 0x3b800000
	v_lshlrev_b32_e32 v1, 20, v1
	v_and_b32_e32 v0, 0x80000000, v0
	v_lshl_add_u32 v4, v5, 23, v4
	v_or3_b32 v0, v0, v4, v1
.LBB134_457:
	s_or_b64 exec, exec, s[28:29]
.LBB134_458:
	s_mov_b64 s[0:1], -1
	v_mov_b32_e32 v1, 0
.LBB134_459:
	s_mov_b64 s[28:29], 0
.LBB134_460:
	s_and_b64 vcc, exec, s[28:29]
	s_cbranch_vccz .LBB134_496
; %bb.461:
	s_cmp_gt_i32 s37, 22
	s_cbranch_scc0 .LBB134_471
; %bb.462:
	s_cmp_lt_i32 s37, 24
	s_cbranch_scc1 .LBB134_474
; %bb.463:
	s_cmp_gt_i32 s37, 24
	s_cbranch_scc0 .LBB134_475
; %bb.464:
	global_load_ubyte v1, v[2:3], off
	s_movk_i32 s0, 0x7f
	s_waitcnt vmcnt(0)
	v_cmp_lt_i16_e32 vcc, s0, v1
	s_mov_b64 s[0:1], 0
	s_and_saveexec_b64 s[28:29], vcc
	s_xor_b64 s[28:29], exec, s[28:29]
	s_cbranch_execz .LBB134_487
; %bb.465:
	s_movk_i32 s0, 0x80
	v_cmp_eq_u16_e32 vcc, s0, v1
	s_mov_b64 s[0:1], -1
	s_and_saveexec_b64 s[30:31], vcc
; %bb.466:
	s_xor_b64 s[0:1], exec, -1
; %bb.467:
	s_or_b64 exec, exec, s[30:31]
	s_and_b64 s[0:1], s[0:1], exec
	s_or_saveexec_b64 s[28:29], s[28:29]
	v_mov_b32_e32 v0, 0x7f800001
	s_xor_b64 exec, exec, s[28:29]
	s_cbranch_execnz .LBB134_488
.LBB134_468:
	s_or_b64 exec, exec, s[28:29]
	s_and_saveexec_b64 s[28:29], s[0:1]
	s_cbranch_execz .LBB134_470
.LBB134_469:
	v_lshlrev_b32_e32 v0, 24, v1
	v_and_b32_e32 v1, 0xffff, v1
	v_and_b32_e32 v4, 3, v1
	v_ffbh_u32_e32 v7, v4
	v_min_u32_e32 v7, 32, v7
	v_subrev_u32_e32 v8, 29, v7
	v_bfe_u32 v5, v1, 2, 5
	v_lshlrev_b32_e32 v1, v8, v1
	v_sub_u32_e32 v7, 30, v7
	v_and_b32_e32 v1, 3, v1
	v_cmp_eq_u32_e32 vcc, 0, v5
	v_cndmask_b32_e32 v5, v5, v7, vcc
	v_cndmask_b32_e32 v1, v4, v1, vcc
	v_mov_b32_e32 v4, 0x37800000
	v_lshlrev_b32_e32 v1, 21, v1
	v_and_b32_e32 v0, 0x80000000, v0
	v_lshl_add_u32 v4, v5, 23, v4
	v_or3_b32 v0, v0, v4, v1
.LBB134_470:
	s_or_b64 exec, exec, s[28:29]
	s_mov_b64 s[0:1], 0
	s_branch .LBB134_476
.LBB134_471:
	s_mov_b64 s[28:29], -1
                                        ; implicit-def: $vgpr0
	s_branch .LBB134_482
.LBB134_472:
	s_or_saveexec_b64 s[28:29], s[28:29]
	v_mov_b32_e32 v0, 0x7f800001
	s_xor_b64 exec, exec, s[28:29]
	s_cbranch_execz .LBB134_455
.LBB134_473:
	v_cmp_ne_u16_e32 vcc, 0, v1
	s_andn2_b64 s[0:1], s[0:1], exec
	s_and_b64 s[30:31], vcc, exec
	v_mov_b32_e32 v0, 0
	s_or_b64 s[0:1], s[0:1], s[30:31]
	s_or_b64 exec, exec, s[28:29]
	s_and_saveexec_b64 s[28:29], s[0:1]
	s_cbranch_execnz .LBB134_456
	s_branch .LBB134_457
.LBB134_474:
	s_mov_b64 s[0:1], -1
                                        ; implicit-def: $vgpr0
	s_branch .LBB134_479
.LBB134_475:
	s_mov_b64 s[0:1], -1
                                        ; implicit-def: $vgpr0
.LBB134_476:
	s_and_b64 vcc, exec, s[0:1]
	s_cbranch_vccz .LBB134_478
; %bb.477:
	global_load_ubyte v0, v[2:3], off
	s_mov_b32 s0, 0x7f800000
	s_waitcnt vmcnt(0)
	v_lshlrev_b32_e32 v0, 24, v0
	v_and_b32_e32 v1, 0x7f000000, v0
	v_ffbh_u32_e32 v4, v1
	v_min_u32_e32 v4, 32, v4
	v_sub_u32_e64 v4, v4, 4 clamp
	v_lshlrev_b32_e32 v7, v4, v1
	v_lshlrev_b32_e32 v4, 23, v4
	v_lshrrev_b32_e32 v7, 4, v7
	v_add_u32_e32 v5, 0x1000000, v1
	v_sub_u32_e32 v4, v7, v4
	v_ashrrev_i32_e32 v5, 8, v5
	v_add_u32_e32 v4, 0x3c000000, v4
	v_and_or_b32 v4, v5, s0, v4
	v_cmp_ne_u32_e32 vcc, 0, v1
	v_cndmask_b32_e32 v1, 0, v4, vcc
	s_brev_b32 s0, 1
	v_and_or_b32 v0, v0, s0, v1
.LBB134_478:
	s_mov_b64 s[0:1], 0
.LBB134_479:
	s_andn2_b64 vcc, exec, s[0:1]
	s_cbranch_vccnz .LBB134_481
; %bb.480:
	global_load_ubyte v0, v[2:3], off
	s_movk_i32 s0, 0x7f00
	s_brev_b32 s1, 16
	s_waitcnt vmcnt(0)
	v_lshlrev_b16_e32 v1, 8, v0
	v_lshlrev_b32_e32 v0, 25, v0
	v_lshrrev_b32_e32 v4, 4, v0
	v_and_or_b32 v5, v1, s0, 0.5
	v_or_b32_e32 v4, 0x70000000, v4
	v_add_f32_e32 v5, -0.5, v5
	v_mul_f32_e32 v4, 0x7800000, v4
	v_cmp_gt_u32_e32 vcc, s1, v0
	v_bfe_i32 v1, v1, 0, 16
	v_cndmask_b32_e32 v0, v4, v5, vcc
	s_brev_b32 s0, 1
	v_and_or_b32 v0, v1, s0, v0
.LBB134_481:
	s_mov_b64 s[28:29], 0
	s_mov_b64 s[0:1], -1
.LBB134_482:
	s_andn2_b64 vcc, exec, s[28:29]
	s_cbranch_vccnz .LBB134_495
; %bb.483:
	s_cmp_gt_i32 s37, 14
	s_cbranch_scc0 .LBB134_486
; %bb.484:
	s_cmp_eq_u32 s37, 15
	s_cbranch_scc0 .LBB134_489
; %bb.485:
	global_load_ushort v0, v[2:3], off
	s_mov_b64 s[0:1], -1
	s_mov_b64 s[26:27], 0
	s_waitcnt vmcnt(0)
	v_lshlrev_b32_e32 v0, 16, v0
	s_branch .LBB134_490
.LBB134_486:
	s_mov_b64 s[28:29], -1
                                        ; implicit-def: $vgpr0
	s_branch .LBB134_491
.LBB134_487:
	s_or_saveexec_b64 s[28:29], s[28:29]
	v_mov_b32_e32 v0, 0x7f800001
	s_xor_b64 exec, exec, s[28:29]
	s_cbranch_execz .LBB134_468
.LBB134_488:
	v_cmp_ne_u16_e32 vcc, 0, v1
	s_andn2_b64 s[0:1], s[0:1], exec
	s_and_b64 s[30:31], vcc, exec
	v_mov_b32_e32 v0, 0
	s_or_b64 s[0:1], s[0:1], s[30:31]
	s_or_b64 exec, exec, s[28:29]
	s_and_saveexec_b64 s[28:29], s[0:1]
	s_cbranch_execnz .LBB134_469
	s_branch .LBB134_470
.LBB134_489:
	s_mov_b64 s[26:27], -1
                                        ; implicit-def: $vgpr0
.LBB134_490:
	s_mov_b64 s[28:29], 0
.LBB134_491:
	s_and_b64 vcc, exec, s[28:29]
	s_cbranch_vccz .LBB134_495
; %bb.492:
	s_cmp_eq_u32 s37, 11
	s_cbranch_scc0 .LBB134_494
; %bb.493:
	global_load_ubyte v0, v[2:3], off
	s_mov_b64 s[0:1], -1
	s_mov_b64 s[26:27], 0
	v_mov_b32_e32 v1, 0
	s_waitcnt vmcnt(0)
	v_cmp_ne_u16_e32 vcc, 0, v0
	v_cndmask_b32_e64 v0, 0, 1.0, vcc
	s_branch .LBB134_496
.LBB134_494:
	s_mov_b64 s[26:27], -1
                                        ; implicit-def: $vgpr0
.LBB134_495:
	v_mov_b32_e32 v1, 0
.LBB134_496:
	s_branch .LBB134_409
.LBB134_497:
	s_and_b32 s28, 0xffff, s36
	s_cmp_lt_i32 s28, 5
	s_cbranch_scc1 .LBB134_502
; %bb.498:
	s_cmp_lt_i32 s28, 8
	s_cbranch_scc1 .LBB134_503
; %bb.499:
	s_cmp_lt_i32 s28, 9
	s_cbranch_scc1 .LBB134_504
; %bb.500:
	s_cmp_gt_i32 s28, 9
	s_cbranch_scc0 .LBB134_505
; %bb.501:
	global_load_dwordx4 v[7:10], v[2:3], off
	s_mov_b64 s[0:1], 0
	s_waitcnt vmcnt(0)
	v_cvt_f32_f64_e32 v0, v[7:8]
	v_cvt_f32_f64_e32 v1, v[9:10]
	s_branch .LBB134_506
.LBB134_502:
	s_mov_b64 s[0:1], -1
                                        ; implicit-def: $vgpr1
	s_branch .LBB134_525
.LBB134_503:
	s_mov_b64 s[0:1], -1
                                        ; implicit-def: $vgpr1
	s_branch .LBB134_512
.LBB134_504:
	s_mov_b64 s[0:1], -1
                                        ; implicit-def: $vgpr1
	s_branch .LBB134_509
.LBB134_505:
	s_mov_b64 s[0:1], -1
                                        ; implicit-def: $vgpr1
.LBB134_506:
	s_andn2_b64 vcc, exec, s[0:1]
	s_cbranch_vccnz .LBB134_508
; %bb.507:
	global_load_dwordx2 v[0:1], v[2:3], off
.LBB134_508:
	s_mov_b64 s[0:1], 0
.LBB134_509:
	s_andn2_b64 vcc, exec, s[0:1]
	s_cbranch_vccnz .LBB134_511
; %bb.510:
	global_load_dword v1, v[2:3], off
	s_waitcnt vmcnt(0)
	v_cvt_f32_f16_e32 v0, v1
	v_cvt_f32_f16_sdwa v1, v1 dst_sel:DWORD dst_unused:UNUSED_PAD src0_sel:WORD_1
.LBB134_511:
	s_mov_b64 s[0:1], 0
.LBB134_512:
	s_andn2_b64 vcc, exec, s[0:1]
	s_cbranch_vccnz .LBB134_524
; %bb.513:
	s_cmp_lt_i32 s28, 6
	s_cbranch_scc1 .LBB134_516
; %bb.514:
	s_cmp_gt_i32 s28, 6
	s_cbranch_scc0 .LBB134_517
; %bb.515:
	global_load_dwordx2 v[0:1], v[2:3], off
	s_mov_b64 s[0:1], 0
	s_waitcnt vmcnt(0)
	v_cvt_f32_f64_e32 v0, v[0:1]
	s_branch .LBB134_518
.LBB134_516:
	s_mov_b64 s[0:1], -1
                                        ; implicit-def: $vgpr0
	s_branch .LBB134_521
.LBB134_517:
	s_mov_b64 s[0:1], -1
                                        ; implicit-def: $vgpr0
.LBB134_518:
	s_andn2_b64 vcc, exec, s[0:1]
	s_cbranch_vccnz .LBB134_520
; %bb.519:
	global_load_dword v0, v[2:3], off
.LBB134_520:
	s_mov_b64 s[0:1], 0
.LBB134_521:
	s_andn2_b64 vcc, exec, s[0:1]
	s_cbranch_vccnz .LBB134_523
; %bb.522:
	global_load_ushort v0, v[2:3], off
	s_waitcnt vmcnt(0)
	v_cvt_f32_f16_e32 v0, v0
.LBB134_523:
	s_waitcnt vmcnt(0)
	v_mov_b32_e32 v1, 0
.LBB134_524:
	s_mov_b64 s[0:1], 0
.LBB134_525:
	s_andn2_b64 vcc, exec, s[0:1]
	s_cbranch_vccnz .LBB134_546
; %bb.526:
	s_cmp_lt_i32 s28, 2
	s_cbranch_scc1 .LBB134_530
; %bb.527:
	s_cmp_lt_i32 s28, 3
	s_cbranch_scc1 .LBB134_531
; %bb.528:
	s_cmp_gt_i32 s28, 3
	s_cbranch_scc0 .LBB134_532
; %bb.529:
	global_load_dwordx2 v[0:1], v[2:3], off
	s_mov_b64 s[0:1], 0
	s_waitcnt vmcnt(0)
	v_xor_b32_e32 v5, v0, v1
	v_ffbh_i32_e32 v4, v1
	v_ashrrev_i32_e32 v5, 31, v5
	v_add_u32_e32 v4, -1, v4
	v_add_u32_e32 v5, 32, v5
	v_min_u32_e32 v4, v4, v5
	v_lshlrev_b64 v[0:1], v4, v[0:1]
	v_min_u32_e32 v0, 1, v0
	v_or_b32_e32 v0, v1, v0
	v_cvt_f32_i32_e32 v0, v0
	v_sub_u32_e32 v1, 32, v4
	v_ldexp_f32 v0, v0, v1
	s_branch .LBB134_533
.LBB134_530:
	s_mov_b64 s[0:1], -1
                                        ; implicit-def: $vgpr0
	s_branch .LBB134_539
.LBB134_531:
	s_mov_b64 s[0:1], -1
                                        ; implicit-def: $vgpr0
	s_branch .LBB134_536
.LBB134_532:
	s_mov_b64 s[0:1], -1
                                        ; implicit-def: $vgpr0
.LBB134_533:
	s_andn2_b64 vcc, exec, s[0:1]
	s_cbranch_vccnz .LBB134_535
; %bb.534:
	global_load_dword v0, v[2:3], off
	s_waitcnt vmcnt(0)
	v_cvt_f32_i32_e32 v0, v0
.LBB134_535:
	s_mov_b64 s[0:1], 0
.LBB134_536:
	s_andn2_b64 vcc, exec, s[0:1]
	s_cbranch_vccnz .LBB134_538
; %bb.537:
	global_load_sshort v0, v[2:3], off
	s_waitcnt vmcnt(0)
	v_cvt_f32_i32_e32 v0, v0
.LBB134_538:
	s_mov_b64 s[0:1], 0
.LBB134_539:
	s_andn2_b64 vcc, exec, s[0:1]
	s_cbranch_vccnz .LBB134_545
; %bb.540:
	s_cmp_gt_i32 s28, 0
	s_cbranch_scc0 .LBB134_542
; %bb.541:
	global_load_sbyte v0, v[2:3], off
	s_mov_b64 s[0:1], 0
	s_waitcnt vmcnt(0)
	v_cvt_f32_i32_e32 v0, v0
	s_branch .LBB134_543
.LBB134_542:
	s_mov_b64 s[0:1], -1
                                        ; implicit-def: $vgpr0
.LBB134_543:
	s_andn2_b64 vcc, exec, s[0:1]
	s_cbranch_vccnz .LBB134_545
; %bb.544:
	global_load_ubyte v0, v[2:3], off
	s_waitcnt vmcnt(0)
	v_cvt_f32_ubyte0_e32 v0, v0
.LBB134_545:
	s_waitcnt vmcnt(0)
	v_mov_b32_e32 v1, 0
.LBB134_546:
	s_branch .LBB134_410
.LBB134_547:
	s_mov_b64 s[36:37], 0
	s_mov_b64 s[0:1], s[18:19]
	;; [unrolled: 1-line block ×3, first 2 shown]
.LBB134_548:
                                        ; implicit-def: $vgpr6
	s_branch .LBB134_800
.LBB134_549:
	s_andn2_saveexec_b64 s[34:35], s[34:35]
	s_cbranch_execz .LBB134_201
.LBB134_550:
	v_add_f32_e32 v2, 0x42800000, v3
	v_and_b32_e32 v2, 0xff, v2
	v_cmp_ne_u32_e32 vcc, 0, v2
	s_andn2_b64 s[30:31], s[30:31], exec
	s_and_b64 s[38:39], vcc, exec
	s_or_b64 s[30:31], s[30:31], s[38:39]
	s_or_b64 exec, exec, s[34:35]
	v_mov_b32_e32 v4, 0
	s_and_saveexec_b64 s[34:35], s[30:31]
	s_cbranch_execnz .LBB134_202
	s_branch .LBB134_203
.LBB134_551:
	s_mov_b64 s[28:29], -1
                                        ; implicit-def: $vgpr5
	s_mov_b64 s[0:1], 0
.LBB134_552:
	s_and_b64 vcc, exec, s[30:31]
	s_cbranch_vccz .LBB134_557
; %bb.553:
	s_cmp_eq_u32 s39, 44
	s_cbranch_scc0 .LBB134_555
; %bb.554:
	global_load_ubyte v4, v[2:3], off
	s_movk_i32 s28, 0xff
	v_mov_b32_e32 v5, 0x7f800001
	v_mov_b32_e32 v7, 0x400000
	s_mov_b64 s[0:1], -1
	s_waitcnt vmcnt(0)
	v_lshlrev_b32_e32 v8, 23, v4
	v_cmp_ne_u32_e32 vcc, s28, v4
	v_cndmask_b32_e32 v5, v5, v8, vcc
	v_cmp_ne_u32_e32 vcc, 0, v4
	v_cndmask_b32_e32 v4, v7, v5, vcc
	s_mov_b64 s[28:29], 0
	s_branch .LBB134_556
.LBB134_555:
	s_mov_b64 s[28:29], -1
                                        ; implicit-def: $vgpr4
.LBB134_556:
	v_mov_b32_e32 v5, 0
.LBB134_557:
	s_mov_b64 s[30:31], 0
.LBB134_558:
	s_and_b64 vcc, exec, s[30:31]
	s_cbranch_vccz .LBB134_563
; %bb.559:
	s_cmp_eq_u32 s39, 29
	s_cbranch_scc0 .LBB134_561
; %bb.560:
	global_load_dwordx2 v[4:5], v[2:3], off
	s_mov_b64 s[0:1], -1
	s_mov_b64 s[28:29], 0
	s_waitcnt vmcnt(0)
	v_ffbh_u32_e32 v7, v5
	v_min_u32_e32 v7, 32, v7
	v_lshlrev_b64 v[4:5], v7, v[4:5]
	v_min_u32_e32 v4, 1, v4
	v_or_b32_e32 v4, v5, v4
	v_cvt_f32_u32_e32 v4, v4
	v_sub_u32_e32 v5, 32, v7
	v_ldexp_f32 v4, v4, v5
	s_branch .LBB134_562
.LBB134_561:
	s_mov_b64 s[28:29], -1
                                        ; implicit-def: $vgpr4
.LBB134_562:
	v_mov_b32_e32 v5, 0
.LBB134_563:
	s_mov_b64 s[30:31], 0
.LBB134_564:
	s_and_b64 vcc, exec, s[30:31]
	s_cbranch_vccz .LBB134_582
; %bb.565:
	s_cmp_lt_i32 s39, 27
	s_cbranch_scc1 .LBB134_568
; %bb.566:
	s_cmp_gt_i32 s39, 27
	s_cbranch_scc0 .LBB134_569
; %bb.567:
	global_load_dword v4, v[2:3], off
	s_mov_b64 s[0:1], 0
	s_waitcnt vmcnt(0)
	v_cvt_f32_u32_e32 v4, v4
	s_branch .LBB134_570
.LBB134_568:
	s_mov_b64 s[0:1], -1
                                        ; implicit-def: $vgpr4
	s_branch .LBB134_573
.LBB134_569:
	s_mov_b64 s[0:1], -1
                                        ; implicit-def: $vgpr4
.LBB134_570:
	s_andn2_b64 vcc, exec, s[0:1]
	s_cbranch_vccnz .LBB134_572
; %bb.571:
	global_load_ushort v4, v[2:3], off
	s_waitcnt vmcnt(0)
	v_cvt_f32_u32_e32 v4, v4
.LBB134_572:
	s_mov_b64 s[0:1], 0
.LBB134_573:
	s_andn2_b64 vcc, exec, s[0:1]
	s_cbranch_vccnz .LBB134_581
; %bb.574:
	global_load_ubyte v5, v[2:3], off
	s_movk_i32 s0, 0x7f
	s_waitcnt vmcnt(0)
	v_cmp_lt_i16_e32 vcc, s0, v5
	s_mov_b64 s[0:1], 0
	s_and_saveexec_b64 s[30:31], vcc
	s_xor_b64 s[30:31], exec, s[30:31]
	s_cbranch_execz .LBB134_595
; %bb.575:
	s_movk_i32 s0, 0x80
	v_cmp_eq_u16_e32 vcc, s0, v5
	s_mov_b64 s[0:1], -1
	s_and_saveexec_b64 s[36:37], vcc
; %bb.576:
	s_xor_b64 s[0:1], exec, -1
; %bb.577:
	s_or_b64 exec, exec, s[36:37]
	s_and_b64 s[0:1], s[0:1], exec
	s_or_saveexec_b64 s[30:31], s[30:31]
	v_mov_b32_e32 v4, 0x7f800001
	s_xor_b64 exec, exec, s[30:31]
	s_cbranch_execnz .LBB134_596
.LBB134_578:
	s_or_b64 exec, exec, s[30:31]
	s_and_saveexec_b64 s[30:31], s[0:1]
	s_cbranch_execz .LBB134_580
.LBB134_579:
	v_lshlrev_b32_e32 v4, 24, v5
	v_and_b32_e32 v5, 0xffff, v5
	v_and_b32_e32 v7, 7, v5
	v_ffbh_u32_e32 v9, v7
	v_min_u32_e32 v9, 32, v9
	v_subrev_u32_e32 v10, 28, v9
	v_bfe_u32 v8, v5, 3, 4
	v_lshlrev_b32_e32 v5, v10, v5
	v_sub_u32_e32 v9, 29, v9
	v_and_b32_e32 v5, 7, v5
	v_cmp_eq_u32_e32 vcc, 0, v8
	v_cndmask_b32_e32 v8, v8, v9, vcc
	v_cndmask_b32_e32 v5, v7, v5, vcc
	v_mov_b32_e32 v7, 0x3b800000
	v_lshlrev_b32_e32 v5, 20, v5
	v_and_b32_e32 v4, 0x80000000, v4
	v_lshl_add_u32 v7, v8, 23, v7
	v_or3_b32 v4, v4, v7, v5
.LBB134_580:
	s_or_b64 exec, exec, s[30:31]
.LBB134_581:
	s_mov_b64 s[0:1], -1
	v_mov_b32_e32 v5, 0
.LBB134_582:
	s_mov_b64 s[30:31], 0
.LBB134_583:
	s_and_b64 vcc, exec, s[30:31]
	s_cbranch_vccz .LBB134_619
; %bb.584:
	s_cmp_gt_i32 s39, 22
	s_cbranch_scc0 .LBB134_594
; %bb.585:
	s_cmp_lt_i32 s39, 24
	s_cbranch_scc1 .LBB134_597
; %bb.586:
	s_cmp_gt_i32 s39, 24
	s_cbranch_scc0 .LBB134_598
; %bb.587:
	global_load_ubyte v5, v[2:3], off
	s_movk_i32 s0, 0x7f
	s_waitcnt vmcnt(0)
	v_cmp_lt_i16_e32 vcc, s0, v5
	s_mov_b64 s[0:1], 0
	s_and_saveexec_b64 s[30:31], vcc
	s_xor_b64 s[30:31], exec, s[30:31]
	s_cbranch_execz .LBB134_610
; %bb.588:
	s_movk_i32 s0, 0x80
	v_cmp_eq_u16_e32 vcc, s0, v5
	s_mov_b64 s[0:1], -1
	s_and_saveexec_b64 s[36:37], vcc
; %bb.589:
	s_xor_b64 s[0:1], exec, -1
; %bb.590:
	s_or_b64 exec, exec, s[36:37]
	s_and_b64 s[0:1], s[0:1], exec
	s_or_saveexec_b64 s[30:31], s[30:31]
	v_mov_b32_e32 v4, 0x7f800001
	s_xor_b64 exec, exec, s[30:31]
	s_cbranch_execnz .LBB134_611
.LBB134_591:
	s_or_b64 exec, exec, s[30:31]
	s_and_saveexec_b64 s[30:31], s[0:1]
	s_cbranch_execz .LBB134_593
.LBB134_592:
	v_lshlrev_b32_e32 v4, 24, v5
	v_and_b32_e32 v5, 0xffff, v5
	v_and_b32_e32 v7, 3, v5
	v_ffbh_u32_e32 v9, v7
	v_min_u32_e32 v9, 32, v9
	v_subrev_u32_e32 v10, 29, v9
	v_bfe_u32 v8, v5, 2, 5
	v_lshlrev_b32_e32 v5, v10, v5
	v_sub_u32_e32 v9, 30, v9
	v_and_b32_e32 v5, 3, v5
	v_cmp_eq_u32_e32 vcc, 0, v8
	v_cndmask_b32_e32 v8, v8, v9, vcc
	v_cndmask_b32_e32 v5, v7, v5, vcc
	v_mov_b32_e32 v7, 0x37800000
	v_lshlrev_b32_e32 v5, 21, v5
	v_and_b32_e32 v4, 0x80000000, v4
	v_lshl_add_u32 v7, v8, 23, v7
	v_or3_b32 v4, v4, v7, v5
.LBB134_593:
	s_or_b64 exec, exec, s[30:31]
	s_mov_b64 s[0:1], 0
	s_branch .LBB134_599
.LBB134_594:
	s_mov_b64 s[30:31], -1
                                        ; implicit-def: $vgpr4
	s_branch .LBB134_605
.LBB134_595:
	s_or_saveexec_b64 s[30:31], s[30:31]
	v_mov_b32_e32 v4, 0x7f800001
	s_xor_b64 exec, exec, s[30:31]
	s_cbranch_execz .LBB134_578
.LBB134_596:
	v_cmp_ne_u16_e32 vcc, 0, v5
	s_andn2_b64 s[0:1], s[0:1], exec
	s_and_b64 s[36:37], vcc, exec
	v_mov_b32_e32 v4, 0
	s_or_b64 s[0:1], s[0:1], s[36:37]
	s_or_b64 exec, exec, s[30:31]
	s_and_saveexec_b64 s[30:31], s[0:1]
	s_cbranch_execnz .LBB134_579
	s_branch .LBB134_580
.LBB134_597:
	s_mov_b64 s[0:1], -1
                                        ; implicit-def: $vgpr4
	s_branch .LBB134_602
.LBB134_598:
	s_mov_b64 s[0:1], -1
                                        ; implicit-def: $vgpr4
.LBB134_599:
	s_and_b64 vcc, exec, s[0:1]
	s_cbranch_vccz .LBB134_601
; %bb.600:
	global_load_ubyte v4, v[2:3], off
	s_mov_b32 s0, 0x7f800000
	s_waitcnt vmcnt(0)
	v_lshlrev_b32_e32 v4, 24, v4
	v_and_b32_e32 v5, 0x7f000000, v4
	v_ffbh_u32_e32 v7, v5
	v_min_u32_e32 v7, 32, v7
	v_sub_u32_e64 v7, v7, 4 clamp
	v_lshlrev_b32_e32 v9, v7, v5
	v_lshlrev_b32_e32 v7, 23, v7
	v_lshrrev_b32_e32 v9, 4, v9
	v_add_u32_e32 v8, 0x1000000, v5
	v_sub_u32_e32 v7, v9, v7
	v_ashrrev_i32_e32 v8, 8, v8
	v_add_u32_e32 v7, 0x3c000000, v7
	v_and_or_b32 v7, v8, s0, v7
	v_cmp_ne_u32_e32 vcc, 0, v5
	v_cndmask_b32_e32 v5, 0, v7, vcc
	s_brev_b32 s0, 1
	v_and_or_b32 v4, v4, s0, v5
.LBB134_601:
	s_mov_b64 s[0:1], 0
.LBB134_602:
	s_andn2_b64 vcc, exec, s[0:1]
	s_cbranch_vccnz .LBB134_604
; %bb.603:
	global_load_ubyte v4, v[2:3], off
	s_movk_i32 s0, 0x7f00
	s_brev_b32 s1, 16
	s_waitcnt vmcnt(0)
	v_lshlrev_b16_e32 v5, 8, v4
	v_lshlrev_b32_e32 v4, 25, v4
	v_lshrrev_b32_e32 v7, 4, v4
	v_and_or_b32 v8, v5, s0, 0.5
	v_or_b32_e32 v7, 0x70000000, v7
	v_add_f32_e32 v8, -0.5, v8
	v_mul_f32_e32 v7, 0x7800000, v7
	v_cmp_gt_u32_e32 vcc, s1, v4
	v_bfe_i32 v5, v5, 0, 16
	v_cndmask_b32_e32 v4, v7, v8, vcc
	s_brev_b32 s0, 1
	v_and_or_b32 v4, v5, s0, v4
.LBB134_604:
	s_mov_b64 s[30:31], 0
	s_mov_b64 s[0:1], -1
.LBB134_605:
	s_andn2_b64 vcc, exec, s[30:31]
	s_cbranch_vccnz .LBB134_618
; %bb.606:
	s_cmp_gt_i32 s39, 14
	s_cbranch_scc0 .LBB134_609
; %bb.607:
	s_cmp_eq_u32 s39, 15
	s_cbranch_scc0 .LBB134_612
; %bb.608:
	global_load_ushort v4, v[2:3], off
	s_mov_b64 s[0:1], -1
	s_mov_b64 s[28:29], 0
	s_waitcnt vmcnt(0)
	v_lshlrev_b32_e32 v4, 16, v4
	s_branch .LBB134_613
.LBB134_609:
	s_mov_b64 s[30:31], -1
                                        ; implicit-def: $vgpr4
	s_branch .LBB134_614
.LBB134_610:
	s_or_saveexec_b64 s[30:31], s[30:31]
	v_mov_b32_e32 v4, 0x7f800001
	s_xor_b64 exec, exec, s[30:31]
	s_cbranch_execz .LBB134_591
.LBB134_611:
	v_cmp_ne_u16_e32 vcc, 0, v5
	s_andn2_b64 s[0:1], s[0:1], exec
	s_and_b64 s[36:37], vcc, exec
	v_mov_b32_e32 v4, 0
	s_or_b64 s[0:1], s[0:1], s[36:37]
	s_or_b64 exec, exec, s[30:31]
	s_and_saveexec_b64 s[30:31], s[0:1]
	s_cbranch_execnz .LBB134_592
	s_branch .LBB134_593
.LBB134_612:
	s_mov_b64 s[28:29], -1
                                        ; implicit-def: $vgpr4
.LBB134_613:
	s_mov_b64 s[30:31], 0
.LBB134_614:
	s_and_b64 vcc, exec, s[30:31]
	s_cbranch_vccz .LBB134_618
; %bb.615:
	s_cmp_eq_u32 s39, 11
	s_cbranch_scc0 .LBB134_617
; %bb.616:
	global_load_ubyte v4, v[2:3], off
	s_mov_b64 s[0:1], -1
	s_mov_b64 s[28:29], 0
	v_mov_b32_e32 v5, 0
	s_waitcnt vmcnt(0)
	v_cmp_ne_u16_e32 vcc, 0, v4
	v_cndmask_b32_e64 v4, 0, 1.0, vcc
	s_branch .LBB134_619
.LBB134_617:
	s_mov_b64 s[28:29], -1
                                        ; implicit-def: $vgpr4
.LBB134_618:
	v_mov_b32_e32 v5, 0
.LBB134_619:
	s_mov_b64 s[30:31], 0
.LBB134_620:
	s_and_b64 vcc, exec, s[30:31]
	s_cbranch_vccz .LBB134_671
; %bb.621:
	s_and_b32 s30, 0xffff, s38
	s_cmp_lt_i32 s30, 5
	s_cbranch_scc1 .LBB134_626
; %bb.622:
	s_cmp_lt_i32 s30, 8
	s_cbranch_scc1 .LBB134_627
; %bb.623:
	;; [unrolled: 3-line block ×3, first 2 shown]
	s_cmp_gt_i32 s30, 9
	s_cbranch_scc0 .LBB134_629
; %bb.625:
	global_load_dwordx4 v[7:10], v[2:3], off
	s_mov_b64 s[0:1], 0
	s_waitcnt vmcnt(0)
	v_cvt_f32_f64_e32 v4, v[7:8]
	v_cvt_f32_f64_e32 v5, v[9:10]
	s_branch .LBB134_630
.LBB134_626:
	s_mov_b64 s[0:1], -1
                                        ; implicit-def: $vgpr5
	s_branch .LBB134_649
.LBB134_627:
	s_mov_b64 s[0:1], -1
                                        ; implicit-def: $vgpr5
	s_branch .LBB134_636
.LBB134_628:
	s_mov_b64 s[0:1], -1
                                        ; implicit-def: $vgpr5
	s_branch .LBB134_633
.LBB134_629:
	s_mov_b64 s[0:1], -1
                                        ; implicit-def: $vgpr5
.LBB134_630:
	s_andn2_b64 vcc, exec, s[0:1]
	s_cbranch_vccnz .LBB134_632
; %bb.631:
	global_load_dwordx2 v[4:5], v[2:3], off
.LBB134_632:
	s_mov_b64 s[0:1], 0
.LBB134_633:
	s_andn2_b64 vcc, exec, s[0:1]
	s_cbranch_vccnz .LBB134_635
; %bb.634:
	global_load_dword v5, v[2:3], off
	s_waitcnt vmcnt(0)
	v_cvt_f32_f16_e32 v4, v5
	v_cvt_f32_f16_sdwa v5, v5 dst_sel:DWORD dst_unused:UNUSED_PAD src0_sel:WORD_1
.LBB134_635:
	s_mov_b64 s[0:1], 0
.LBB134_636:
	s_andn2_b64 vcc, exec, s[0:1]
	s_cbranch_vccnz .LBB134_648
; %bb.637:
	s_cmp_lt_i32 s30, 6
	s_cbranch_scc1 .LBB134_640
; %bb.638:
	s_cmp_gt_i32 s30, 6
	s_cbranch_scc0 .LBB134_641
; %bb.639:
	global_load_dwordx2 v[4:5], v[2:3], off
	s_mov_b64 s[0:1], 0
	s_waitcnt vmcnt(0)
	v_cvt_f32_f64_e32 v4, v[4:5]
	s_branch .LBB134_642
.LBB134_640:
	s_mov_b64 s[0:1], -1
                                        ; implicit-def: $vgpr4
	s_branch .LBB134_645
.LBB134_641:
	s_mov_b64 s[0:1], -1
                                        ; implicit-def: $vgpr4
.LBB134_642:
	s_andn2_b64 vcc, exec, s[0:1]
	s_cbranch_vccnz .LBB134_644
; %bb.643:
	global_load_dword v4, v[2:3], off
.LBB134_644:
	s_mov_b64 s[0:1], 0
.LBB134_645:
	s_andn2_b64 vcc, exec, s[0:1]
	s_cbranch_vccnz .LBB134_647
; %bb.646:
	global_load_ushort v4, v[2:3], off
	s_waitcnt vmcnt(0)
	v_cvt_f32_f16_e32 v4, v4
.LBB134_647:
	s_waitcnt vmcnt(0)
	v_mov_b32_e32 v5, 0
.LBB134_648:
	s_mov_b64 s[0:1], 0
.LBB134_649:
	s_andn2_b64 vcc, exec, s[0:1]
	s_cbranch_vccnz .LBB134_670
; %bb.650:
	s_cmp_lt_i32 s30, 2
	s_cbranch_scc1 .LBB134_654
; %bb.651:
	s_cmp_lt_i32 s30, 3
	s_cbranch_scc1 .LBB134_655
; %bb.652:
	s_cmp_gt_i32 s30, 3
	s_cbranch_scc0 .LBB134_656
; %bb.653:
	global_load_dwordx2 v[4:5], v[2:3], off
	s_mov_b64 s[0:1], 0
	s_waitcnt vmcnt(0)
	v_xor_b32_e32 v8, v4, v5
	v_ffbh_i32_e32 v7, v5
	v_ashrrev_i32_e32 v8, 31, v8
	v_add_u32_e32 v7, -1, v7
	v_add_u32_e32 v8, 32, v8
	v_min_u32_e32 v7, v7, v8
	v_lshlrev_b64 v[4:5], v7, v[4:5]
	v_min_u32_e32 v4, 1, v4
	v_or_b32_e32 v4, v5, v4
	v_cvt_f32_i32_e32 v4, v4
	v_sub_u32_e32 v5, 32, v7
	v_ldexp_f32 v4, v4, v5
	s_branch .LBB134_657
.LBB134_654:
	s_mov_b64 s[0:1], -1
                                        ; implicit-def: $vgpr4
	s_branch .LBB134_663
.LBB134_655:
	s_mov_b64 s[0:1], -1
                                        ; implicit-def: $vgpr4
	s_branch .LBB134_660
.LBB134_656:
	s_mov_b64 s[0:1], -1
                                        ; implicit-def: $vgpr4
.LBB134_657:
	s_andn2_b64 vcc, exec, s[0:1]
	s_cbranch_vccnz .LBB134_659
; %bb.658:
	global_load_dword v4, v[2:3], off
	s_waitcnt vmcnt(0)
	v_cvt_f32_i32_e32 v4, v4
.LBB134_659:
	s_mov_b64 s[0:1], 0
.LBB134_660:
	s_andn2_b64 vcc, exec, s[0:1]
	s_cbranch_vccnz .LBB134_662
; %bb.661:
	global_load_sshort v4, v[2:3], off
	s_waitcnt vmcnt(0)
	v_cvt_f32_i32_e32 v4, v4
.LBB134_662:
	s_mov_b64 s[0:1], 0
.LBB134_663:
	s_andn2_b64 vcc, exec, s[0:1]
	s_cbranch_vccnz .LBB134_669
; %bb.664:
	s_cmp_gt_i32 s30, 0
	s_cbranch_scc0 .LBB134_666
; %bb.665:
	global_load_sbyte v4, v[2:3], off
	s_mov_b64 s[0:1], 0
	s_waitcnt vmcnt(0)
	v_cvt_f32_i32_e32 v4, v4
	s_branch .LBB134_667
.LBB134_666:
	s_mov_b64 s[0:1], -1
                                        ; implicit-def: $vgpr4
.LBB134_667:
	s_andn2_b64 vcc, exec, s[0:1]
	s_cbranch_vccnz .LBB134_669
; %bb.668:
	global_load_ubyte v2, v[2:3], off
	s_waitcnt vmcnt(0)
	v_cvt_f32_ubyte0_e32 v4, v2
.LBB134_669:
	s_waitcnt vmcnt(0)
	v_mov_b32_e32 v5, 0
.LBB134_670:
	s_mov_b64 s[0:1], -1
.LBB134_671:
	s_andn2_b64 vcc, exec, s[0:1]
	s_cbranch_vccnz .LBB134_674
; %bb.672:
	s_andn2_b64 vcc, exec, s[16:17]
	s_cbranch_vccnz .LBB134_675
; %bb.673:
	s_waitcnt vmcnt(0)
	v_cmp_neq_f32_e32 vcc, v0, v4
	v_cmp_neq_f32_e64 s[0:1], v1, v5
	s_or_b64 s[30:31], vcc, s[0:1]
	s_mov_b64 s[0:1], 0
	s_branch .LBB134_676
.LBB134_674:
	s_mov_b64 s[36:37], 0
                                        ; implicit-def: $vgpr6
	s_mov_b64 s[0:1], s[18:19]
	s_branch .LBB134_800
.LBB134_675:
	s_mov_b64 s[0:1], -1
                                        ; implicit-def: $sgpr30_sgpr31
.LBB134_676:
	s_andn2_b64 vcc, exec, s[0:1]
	s_cbranch_vccnz .LBB134_678
; %bb.677:
	s_waitcnt vmcnt(0)
	v_cmp_eq_f32_e32 vcc, v0, v4
	v_cmp_eq_f32_e64 s[0:1], v1, v5
	s_and_b64 s[0:1], vcc, s[0:1]
	s_andn2_b64 s[30:31], s[30:31], exec
	s_and_b64 s[0:1], s[0:1], exec
	s_or_b64 s[30:31], s[30:31], s[0:1]
.LBB134_678:
	s_waitcnt vmcnt(0)
	v_mul_lo_u32 v0, v6, s12
	v_mov_b32_e32 v1, s9
	s_and_b32 s42, s33, 0xff
	s_cmp_lt_i32 s42, 11
	v_ashrrev_i32_e32 v2, 31, v0
	v_add_co_u32_e32 v0, vcc, s8, v0
	v_addc_co_u32_e32 v1, vcc, v1, v2, vcc
	s_cbranch_scc1 .LBB134_685
; %bb.679:
	s_and_b32 s43, 0xffff, s42
	s_cmp_gt_i32 s43, 25
	s_cbranch_scc0 .LBB134_686
; %bb.680:
	s_cmp_gt_i32 s43, 28
	s_cbranch_scc0 .LBB134_687
; %bb.681:
	;; [unrolled: 3-line block ×4, first 2 shown]
	s_mov_b64 s[38:39], 0
	s_mov_b64 s[0:1], -1
	s_cmp_eq_u32 s43, 46
	s_mov_b64 s[36:37], 0
	s_cbranch_scc0 .LBB134_690
; %bb.684:
	v_cndmask_b32_e64 v2, 0, 1.0, s[30:31]
	v_bfe_u32 v3, v2, 16, 1
	s_movk_i32 s0, 0x7fff
	v_add3_u32 v2, v2, v3, s0
	v_lshrrev_b32_e32 v2, 16, v2
	global_store_dword v[0:1], v2, off
	s_mov_b64 s[36:37], -1
	s_mov_b64 s[0:1], 0
	s_branch .LBB134_690
.LBB134_685:
	s_mov_b64 s[38:39], -1
	s_mov_b64 s[36:37], 0
	s_mov_b64 s[0:1], s[18:19]
	s_branch .LBB134_759
.LBB134_686:
	s_mov_b64 s[38:39], -1
	s_mov_b64 s[36:37], 0
	s_mov_b64 s[0:1], s[18:19]
	s_branch .LBB134_717
.LBB134_687:
	s_mov_b64 s[38:39], -1
	s_mov_b64 s[36:37], 0
	s_mov_b64 s[0:1], s[18:19]
	s_branch .LBB134_700
.LBB134_688:
	s_mov_b64 s[38:39], -1
	s_mov_b64 s[36:37], 0
	s_mov_b64 s[0:1], s[18:19]
	s_branch .LBB134_696
.LBB134_689:
	s_mov_b64 s[38:39], -1
	s_mov_b64 s[36:37], 0
	s_mov_b64 s[0:1], s[18:19]
.LBB134_690:
	s_and_b64 vcc, exec, s[38:39]
	s_cbranch_vccz .LBB134_695
; %bb.691:
	s_cmp_eq_u32 s43, 44
	s_mov_b64 s[0:1], -1
	s_cbranch_scc0 .LBB134_695
; %bb.692:
	v_cndmask_b32_e64 v3, 0, 1.0, s[30:31]
	v_lshrrev_b32_e32 v2, 23, v3
	s_movk_i32 s0, 0xff
	v_cmp_ne_u32_e32 vcc, s0, v2
	v_mov_b32_e32 v4, 0xff
	s_and_saveexec_b64 s[36:37], vcc
; %bb.693:
	s_mov_b32 s0, 0x3fffff
	v_and_b32_e32 v4, 0x400000, v3
	v_and_or_b32 v3, v3, s0, v2
	v_cmp_ne_u32_e32 vcc, 0, v4
	v_cmp_ne_u32_e64 s[0:1], 0, v3
	s_and_b64 s[0:1], vcc, s[0:1]
	v_cndmask_b32_e64 v3, 0, 1, s[0:1]
	v_add_u32_e32 v4, v2, v3
; %bb.694:
	s_or_b64 exec, exec, s[36:37]
	s_mov_b64 s[36:37], -1
	s_mov_b64 s[0:1], 0
	global_store_byte v[0:1], v4, off
.LBB134_695:
	s_mov_b64 s[38:39], 0
.LBB134_696:
	s_and_b64 vcc, exec, s[38:39]
	s_cbranch_vccz .LBB134_699
; %bb.697:
	s_cmp_eq_u32 s43, 29
	s_mov_b64 s[0:1], -1
	s_cbranch_scc0 .LBB134_699
; %bb.698:
	s_mov_b32 s0, 0
	v_cndmask_b32_e64 v2, 0, 1, s[30:31]
	v_mov_b32_e32 v3, s0
	global_store_dwordx2 v[0:1], v[2:3], off
	s_mov_b64 s[36:37], -1
	s_mov_b64 s[0:1], 0
.LBB134_699:
	s_mov_b64 s[38:39], 0
.LBB134_700:
	s_and_b64 vcc, exec, s[38:39]
	s_cbranch_vccz .LBB134_716
; %bb.701:
	s_cmp_lt_i32 s43, 27
	s_mov_b64 s[36:37], -1
	s_cbranch_scc1 .LBB134_707
; %bb.702:
	s_cmp_gt_i32 s43, 27
	s_cbranch_scc0 .LBB134_704
; %bb.703:
	v_cndmask_b32_e64 v2, 0, 1, s[30:31]
	s_mov_b64 s[36:37], 0
	global_store_dword v[0:1], v2, off
.LBB134_704:
	s_andn2_b64 vcc, exec, s[36:37]
	s_cbranch_vccnz .LBB134_706
; %bb.705:
	v_cndmask_b32_e64 v2, 0, 1, s[30:31]
	global_store_short v[0:1], v2, off
.LBB134_706:
	s_mov_b64 s[36:37], 0
.LBB134_707:
	s_andn2_b64 vcc, exec, s[36:37]
	s_cbranch_vccnz .LBB134_715
; %bb.708:
	v_cndmask_b32_e64 v3, 0, 1.0, s[30:31]
	s_mov_b32 s36, 0x43800000
	v_cmp_gt_u32_e32 vcc, s36, v3
	v_mov_b32_e32 v4, 0x80
	s_and_saveexec_b64 s[36:37], vcc
	s_cbranch_execz .LBB134_714
; %bb.709:
	s_mov_b32 s38, 0x3bffffff
	v_cmp_lt_u32_e32 vcc, s38, v3
	s_mov_b64 s[38:39], 0
                                        ; implicit-def: $vgpr2
	s_and_saveexec_b64 s[40:41], vcc
	s_xor_b64 s[40:41], exec, s[40:41]
	s_cbranch_execz .LBB134_816
; %bb.710:
	v_bfe_u32 v2, v3, 20, 1
	s_mov_b32 s44, 0x487ffff
	v_add3_u32 v2, v3, v2, s44
	s_mov_b64 s[38:39], exec
	v_lshrrev_b32_e32 v2, 20, v2
                                        ; implicit-def: $vgpr3
	s_andn2_saveexec_b64 s[40:41], s[40:41]
	s_cbranch_execnz .LBB134_817
.LBB134_711:
	s_or_b64 exec, exec, s[40:41]
	v_mov_b32_e32 v4, 0
	s_and_saveexec_b64 s[40:41], s[38:39]
.LBB134_712:
	v_mov_b32_e32 v4, v2
.LBB134_713:
	s_or_b64 exec, exec, s[40:41]
.LBB134_714:
	s_or_b64 exec, exec, s[36:37]
	global_store_byte v[0:1], v4, off
.LBB134_715:
	s_mov_b64 s[36:37], -1
.LBB134_716:
	s_mov_b64 s[38:39], 0
.LBB134_717:
	s_and_b64 vcc, exec, s[38:39]
	s_cbranch_vccz .LBB134_758
; %bb.718:
	s_cmp_gt_i32 s43, 22
	s_mov_b64 s[38:39], -1
	s_cbranch_scc0 .LBB134_750
; %bb.719:
	s_cmp_lt_i32 s43, 24
	s_mov_b64 s[36:37], -1
	s_cbranch_scc1 .LBB134_739
; %bb.720:
	s_cmp_gt_i32 s43, 24
	s_cbranch_scc0 .LBB134_728
; %bb.721:
	v_cndmask_b32_e64 v3, 0, 1.0, s[30:31]
	s_mov_b32 s36, 0x47800000
	v_cmp_gt_u32_e32 vcc, s36, v3
	v_mov_b32_e32 v4, 0x80
	s_and_saveexec_b64 s[36:37], vcc
	s_cbranch_execz .LBB134_727
; %bb.722:
	s_mov_b32 s38, 0x37ffffff
	v_cmp_lt_u32_e32 vcc, s38, v3
	s_mov_b64 s[38:39], 0
                                        ; implicit-def: $vgpr2
	s_and_saveexec_b64 s[40:41], vcc
	s_xor_b64 s[40:41], exec, s[40:41]
	s_cbranch_execz .LBB134_953
; %bb.723:
	v_bfe_u32 v2, v3, 21, 1
	s_mov_b32 s44, 0x88fffff
	v_add3_u32 v2, v3, v2, s44
	s_mov_b64 s[38:39], exec
	v_lshrrev_b32_e32 v2, 21, v2
                                        ; implicit-def: $vgpr3
	s_andn2_saveexec_b64 s[40:41], s[40:41]
	s_cbranch_execnz .LBB134_954
.LBB134_724:
	s_or_b64 exec, exec, s[40:41]
	v_mov_b32_e32 v4, 0
	s_and_saveexec_b64 s[40:41], s[38:39]
.LBB134_725:
	v_mov_b32_e32 v4, v2
.LBB134_726:
	s_or_b64 exec, exec, s[40:41]
.LBB134_727:
	s_or_b64 exec, exec, s[36:37]
	s_mov_b64 s[36:37], 0
	global_store_byte v[0:1], v4, off
.LBB134_728:
	s_and_b64 vcc, exec, s[36:37]
	s_cbranch_vccz .LBB134_738
; %bb.729:
	v_cndmask_b32_e64 v2, 0, 1.0, s[30:31]
	s_mov_b32 s36, 0x43f00000
	v_cmp_gt_u32_e32 vcc, s36, v2
                                        ; implicit-def: $vgpr3
	s_and_saveexec_b64 s[36:37], vcc
	s_xor_b64 s[36:37], exec, s[36:37]
	s_cbranch_execz .LBB134_735
; %bb.730:
	s_mov_b32 s38, 0x3c7fffff
	v_cmp_lt_u32_e32 vcc, s38, v2
                                        ; implicit-def: $vgpr3
	s_and_saveexec_b64 s[38:39], vcc
	s_xor_b64 s[38:39], exec, s[38:39]
; %bb.731:
	v_bfe_u32 v3, v2, 20, 1
	s_mov_b32 s40, 0x407ffff
	v_add3_u32 v2, v2, v3, s40
	v_lshrrev_b32_e32 v3, 20, v2
	v_and_b32_e32 v2, 0xff00000, v2
	s_mov_b32 s40, 0x7f00000
	v_mov_b32_e32 v4, 0x7e
	v_cmp_ne_u32_e32 vcc, s40, v2
	v_cndmask_b32_e32 v3, v4, v3, vcc
                                        ; implicit-def: $vgpr2
; %bb.732:
	s_andn2_saveexec_b64 s[38:39], s[38:39]
; %bb.733:
	v_add_f32_e32 v3, 0x46800000, v2
; %bb.734:
	s_or_b64 exec, exec, s[38:39]
                                        ; implicit-def: $vgpr2
.LBB134_735:
	s_andn2_saveexec_b64 s[36:37], s[36:37]
; %bb.736:
	s_mov_b32 s38, 0x7f800000
	v_mov_b32_e32 v3, 0x7e
	v_mov_b32_e32 v4, 0x7f
	v_cmp_lt_u32_e32 vcc, s38, v2
	v_cndmask_b32_e32 v3, v3, v4, vcc
; %bb.737:
	s_or_b64 exec, exec, s[36:37]
	global_store_byte v[0:1], v3, off
.LBB134_738:
	s_mov_b64 s[36:37], 0
.LBB134_739:
	s_andn2_b64 vcc, exec, s[36:37]
	s_cbranch_vccnz .LBB134_749
; %bb.740:
	v_cndmask_b32_e64 v2, 0, 1.0, s[30:31]
	s_mov_b32 s36, 0x47800000
	v_cmp_gt_u32_e32 vcc, s36, v2
                                        ; implicit-def: $vgpr3
	s_and_saveexec_b64 s[36:37], vcc
	s_xor_b64 s[36:37], exec, s[36:37]
	s_cbranch_execz .LBB134_746
; %bb.741:
	s_mov_b32 s38, 0x387fffff
	v_cmp_lt_u32_e32 vcc, s38, v2
                                        ; implicit-def: $vgpr3
	s_and_saveexec_b64 s[38:39], vcc
	s_xor_b64 s[38:39], exec, s[38:39]
; %bb.742:
	v_bfe_u32 v3, v2, 21, 1
	s_mov_b32 s40, 0x80fffff
	v_add3_u32 v2, v2, v3, s40
	v_lshrrev_b32_e32 v3, 21, v2
                                        ; implicit-def: $vgpr2
; %bb.743:
	s_andn2_saveexec_b64 s[38:39], s[38:39]
; %bb.744:
	v_add_f32_e32 v3, 0x43000000, v2
; %bb.745:
	s_or_b64 exec, exec, s[38:39]
                                        ; implicit-def: $vgpr2
.LBB134_746:
	s_andn2_saveexec_b64 s[36:37], s[36:37]
; %bb.747:
	s_mov_b32 s38, 0x7f800000
	v_mov_b32_e32 v3, 0x7c
	v_mov_b32_e32 v4, 0x7f
	v_cmp_lt_u32_e32 vcc, s38, v2
	v_cndmask_b32_e32 v3, v3, v4, vcc
; %bb.748:
	s_or_b64 exec, exec, s[36:37]
	global_store_byte v[0:1], v3, off
.LBB134_749:
	s_mov_b64 s[38:39], 0
	s_mov_b64 s[36:37], -1
.LBB134_750:
	s_andn2_b64 vcc, exec, s[38:39]
	s_cbranch_vccnz .LBB134_758
; %bb.751:
	s_cmp_gt_i32 s43, 14
	s_mov_b64 s[38:39], -1
	s_cbranch_scc0 .LBB134_755
; %bb.752:
	s_cmp_eq_u32 s43, 15
	s_mov_b64 s[0:1], -1
	s_cbranch_scc0 .LBB134_754
; %bb.753:
	v_cndmask_b32_e64 v2, 0, 1.0, s[30:31]
	v_bfe_u32 v3, v2, 16, 1
	s_movk_i32 s0, 0x7fff
	v_add3_u32 v2, v2, v3, s0
	global_store_short_d16_hi v[0:1], v2, off
	s_mov_b64 s[36:37], -1
	s_mov_b64 s[0:1], 0
.LBB134_754:
	s_mov_b64 s[38:39], 0
.LBB134_755:
	s_and_b64 vcc, exec, s[38:39]
	s_cbranch_vccz .LBB134_758
; %bb.756:
	s_cmp_eq_u32 s43, 11
	s_mov_b64 s[0:1], -1
	s_cbranch_scc0 .LBB134_758
; %bb.757:
	v_cndmask_b32_e64 v2, 0, 1, s[30:31]
	s_mov_b64 s[36:37], -1
	s_mov_b64 s[0:1], 0
	global_store_byte v[0:1], v2, off
.LBB134_758:
	s_mov_b64 s[38:39], 0
.LBB134_759:
	s_and_b64 vcc, exec, s[38:39]
	s_cbranch_vccz .LBB134_798
; %bb.760:
	s_and_b32 s38, 0xffff, s42
	s_cmp_lt_i32 s38, 5
	s_mov_b64 s[36:37], -1
	s_cbranch_scc1 .LBB134_781
; %bb.761:
	s_cmp_lt_i32 s38, 8
	s_cbranch_scc1 .LBB134_771
; %bb.762:
	s_cmp_lt_i32 s38, 9
	s_cbranch_scc1 .LBB134_768
; %bb.763:
	s_cmp_gt_i32 s38, 9
	s_cbranch_scc0 .LBB134_765
; %bb.764:
	v_cndmask_b32_e64 v2, 0, 1, s[30:31]
	v_cvt_f64_u32_e32 v[2:3], v2
	v_mov_b32_e32 v4, 0
	v_mov_b32_e32 v5, v4
	s_mov_b64 s[36:37], 0
	global_store_dwordx4 v[0:1], v[2:5], off
.LBB134_765:
	s_andn2_b64 vcc, exec, s[36:37]
	s_cbranch_vccnz .LBB134_767
; %bb.766:
	v_cndmask_b32_e64 v2, 0, 1.0, s[30:31]
	v_mov_b32_e32 v3, 0
	global_store_dwordx2 v[0:1], v[2:3], off
.LBB134_767:
	s_mov_b64 s[36:37], 0
.LBB134_768:
	s_andn2_b64 vcc, exec, s[36:37]
	s_cbranch_vccnz .LBB134_770
; %bb.769:
	v_cndmask_b32_e64 v2, 0, 1.0, s[30:31]
	v_cvt_f16_f32_e32 v2, v2
	global_store_dword v[0:1], v2, off
.LBB134_770:
	s_mov_b64 s[36:37], 0
.LBB134_771:
	s_andn2_b64 vcc, exec, s[36:37]
	s_cbranch_vccnz .LBB134_780
; %bb.772:
	s_cmp_lt_i32 s38, 6
	s_mov_b64 s[36:37], -1
	s_cbranch_scc1 .LBB134_778
; %bb.773:
	s_cmp_gt_i32 s38, 6
	s_cbranch_scc0 .LBB134_775
; %bb.774:
	v_cndmask_b32_e64 v2, 0, 1, s[30:31]
	v_cvt_f64_u32_e32 v[2:3], v2
	s_mov_b64 s[36:37], 0
	global_store_dwordx2 v[0:1], v[2:3], off
.LBB134_775:
	s_andn2_b64 vcc, exec, s[36:37]
	s_cbranch_vccnz .LBB134_777
; %bb.776:
	v_cndmask_b32_e64 v2, 0, 1.0, s[30:31]
	global_store_dword v[0:1], v2, off
.LBB134_777:
	s_mov_b64 s[36:37], 0
.LBB134_778:
	s_andn2_b64 vcc, exec, s[36:37]
	s_cbranch_vccnz .LBB134_780
; %bb.779:
	v_cndmask_b32_e64 v2, 0, 1.0, s[30:31]
	v_cvt_f16_f32_e32 v2, v2
	global_store_short v[0:1], v2, off
.LBB134_780:
	s_mov_b64 s[36:37], 0
.LBB134_781:
	s_andn2_b64 vcc, exec, s[36:37]
	s_cbranch_vccnz .LBB134_797
; %bb.782:
	s_cmp_lt_i32 s38, 2
	s_mov_b64 s[36:37], -1
	s_cbranch_scc1 .LBB134_792
; %bb.783:
	s_cmp_lt_i32 s38, 3
	s_cbranch_scc1 .LBB134_789
; %bb.784:
	s_cmp_gt_i32 s38, 3
	s_cbranch_scc0 .LBB134_786
; %bb.785:
	s_mov_b32 s36, 0
	v_cndmask_b32_e64 v2, 0, 1, s[30:31]
	v_mov_b32_e32 v3, s36
	s_mov_b64 s[36:37], 0
	global_store_dwordx2 v[0:1], v[2:3], off
.LBB134_786:
	s_andn2_b64 vcc, exec, s[36:37]
	s_cbranch_vccnz .LBB134_788
; %bb.787:
	v_cndmask_b32_e64 v2, 0, 1, s[30:31]
	global_store_dword v[0:1], v2, off
.LBB134_788:
	s_mov_b64 s[36:37], 0
.LBB134_789:
	s_andn2_b64 vcc, exec, s[36:37]
	s_cbranch_vccnz .LBB134_791
; %bb.790:
	v_cndmask_b32_e64 v2, 0, 1, s[30:31]
	global_store_short v[0:1], v2, off
.LBB134_791:
	s_mov_b64 s[36:37], 0
.LBB134_792:
	s_andn2_b64 vcc, exec, s[36:37]
	s_cbranch_vccnz .LBB134_797
; %bb.793:
	s_mov_b64 s[36:37], -1
	s_cmp_gt_i32 s38, 0
	v_cndmask_b32_e64 v2, 0, 1, s[30:31]
	s_cbranch_scc0 .LBB134_795
; %bb.794:
	s_mov_b64 s[36:37], 0
	global_store_byte v[0:1], v2, off
.LBB134_795:
	s_andn2_b64 vcc, exec, s[36:37]
	s_cbranch_vccnz .LBB134_797
; %bb.796:
	global_store_byte v[0:1], v2, off
.LBB134_797:
	s_mov_b64 s[36:37], -1
.LBB134_798:
	s_andn2_b64 vcc, exec, s[36:37]
	s_cbranch_vccnz .LBB134_811
; %bb.799:
	v_add_u32_e32 v6, 0x80, v6
	s_mov_b64 s[36:37], -1
.LBB134_800:
	s_andn2_b64 s[30:31], s[18:19], exec
	s_and_b64 s[0:1], s[0:1], exec
	s_or_b64 s[30:31], s[30:31], s[0:1]
	s_andn2_b64 s[0:1], s[20:21], exec
	s_and_b64 s[28:29], s[28:29], exec
	s_or_b64 s[28:29], s[0:1], s[28:29]
	;; [unrolled: 3-line block ×3, first 2 shown]
	s_orn2_b64 s[0:1], s[36:37], exec
.LBB134_801:
	s_or_b64 exec, exec, s[34:35]
	s_mov_b64 s[36:37], 0
	s_mov_b64 s[38:39], 0
	;; [unrolled: 1-line block ×3, first 2 shown]
                                        ; implicit-def: $sgpr58
                                        ; implicit-def: $vgpr2_vgpr3
                                        ; implicit-def: $vgpr1
	s_and_saveexec_b64 s[34:35], s[0:1]
	s_cbranch_execz .LBB134_1293
; %bb.802:
	v_cmp_gt_i32_e32 vcc, s50, v6
	s_mov_b64 s[48:49], -1
	s_mov_b64 s[0:1], s[26:27]
	s_mov_b64 s[40:41], s[28:29]
	s_mov_b64 s[42:43], s[30:31]
	s_and_saveexec_b64 s[36:37], vcc
	s_cbranch_execz .LBB134_1205
; %bb.803:
	s_waitcnt vmcnt(0)
	v_mul_lo_u32 v0, v6, s13
	v_mov_b32_e32 v1, s11
	s_and_b32 s44, s57, 0xff
	s_cmp_lt_i32 s44, 11
	v_ashrrev_i32_e32 v3, 31, v0
	v_add_co_u32_e32 v2, vcc, s10, v0
	v_addc_co_u32_e32 v3, vcc, v1, v3, vcc
	s_cbranch_scc1 .LBB134_810
; %bb.804:
	s_and_b32 s45, 0xffff, s44
	s_cmp_gt_i32 s45, 25
	s_cbranch_scc0 .LBB134_812
; %bb.805:
	s_cmp_gt_i32 s45, 28
	s_cbranch_scc0 .LBB134_813
; %bb.806:
	s_cmp_gt_i32 s45, 43
	s_cbranch_scc0 .LBB134_814
; %bb.807:
	s_cmp_gt_i32 s45, 45
	s_cbranch_scc0 .LBB134_815
; %bb.808:
	s_cmp_eq_u32 s45, 46
	s_mov_b64 s[40:41], 0
	s_cbranch_scc0 .LBB134_818
; %bb.809:
	global_load_dword v0, v[2:3], off
	s_mov_b64 s[0:1], -1
	s_waitcnt vmcnt(0)
	v_and_b32_e32 v1, 0xffff0000, v0
	v_lshlrev_b32_e32 v0, 16, v0
	s_branch .LBB134_819
.LBB134_810:
	s_mov_b64 s[40:41], -1
	s_mov_b64 s[0:1], 0
                                        ; implicit-def: $vgpr1
	s_mov_b64 s[38:39], s[26:27]
	s_branch .LBB134_887
.LBB134_811:
	s_mov_b64 s[36:37], 0
	s_branch .LBB134_548
.LBB134_812:
	s_mov_b64 s[40:41], -1
	s_mov_b64 s[0:1], 0
	s_mov_b64 s[38:39], s[26:27]
                                        ; implicit-def: $vgpr1
	s_branch .LBB134_850
.LBB134_813:
	s_mov_b64 s[40:41], -1
	s_mov_b64 s[0:1], 0
	s_mov_b64 s[38:39], s[26:27]
                                        ; implicit-def: $vgpr1
	s_branch .LBB134_831
.LBB134_814:
	s_mov_b64 s[40:41], -1
	s_mov_b64 s[0:1], 0
	s_mov_b64 s[38:39], s[26:27]
                                        ; implicit-def: $vgpr1
	s_branch .LBB134_825
.LBB134_815:
	s_mov_b64 s[40:41], -1
	s_mov_b64 s[0:1], 0
	s_mov_b64 s[38:39], s[26:27]
                                        ; implicit-def: $vgpr1
	s_branch .LBB134_819
.LBB134_816:
	s_andn2_saveexec_b64 s[40:41], s[40:41]
	s_cbranch_execz .LBB134_711
.LBB134_817:
	v_add_f32_e32 v2, 0x46000000, v3
	v_and_b32_e32 v2, 0xff, v2
	v_cmp_ne_u32_e32 vcc, 0, v2
	s_andn2_b64 s[38:39], s[38:39], exec
	s_and_b64 s[44:45], vcc, exec
	s_or_b64 s[38:39], s[38:39], s[44:45]
	s_or_b64 exec, exec, s[40:41]
	v_mov_b32_e32 v4, 0
	s_and_saveexec_b64 s[40:41], s[38:39]
	s_cbranch_execnz .LBB134_712
	s_branch .LBB134_713
.LBB134_818:
	s_mov_b64 s[38:39], -1
                                        ; implicit-def: $vgpr1
	s_mov_b64 s[0:1], 0
.LBB134_819:
	s_and_b64 vcc, exec, s[40:41]
	s_cbranch_vccz .LBB134_824
; %bb.820:
	s_cmp_eq_u32 s45, 44
	s_cbranch_scc0 .LBB134_822
; %bb.821:
	global_load_ubyte v0, v[2:3], off
	s_movk_i32 s38, 0xff
	v_mov_b32_e32 v1, 0x7f800001
	v_mov_b32_e32 v4, 0x400000
	s_mov_b64 s[0:1], -1
	s_waitcnt vmcnt(0)
	v_lshlrev_b32_e32 v5, 23, v0
	v_cmp_ne_u32_e32 vcc, s38, v0
	v_cndmask_b32_e32 v1, v1, v5, vcc
	v_cmp_ne_u32_e32 vcc, 0, v0
	v_cndmask_b32_e32 v0, v4, v1, vcc
	s_mov_b64 s[38:39], 0
	s_branch .LBB134_823
.LBB134_822:
	s_mov_b64 s[38:39], -1
                                        ; implicit-def: $vgpr0
.LBB134_823:
	v_mov_b32_e32 v1, 0
.LBB134_824:
	s_mov_b64 s[40:41], 0
.LBB134_825:
	s_and_b64 vcc, exec, s[40:41]
	s_cbranch_vccz .LBB134_830
; %bb.826:
	s_cmp_eq_u32 s45, 29
	s_cbranch_scc0 .LBB134_828
; %bb.827:
	global_load_dwordx2 v[0:1], v[2:3], off
	s_mov_b64 s[0:1], -1
	s_mov_b64 s[38:39], 0
	s_waitcnt vmcnt(0)
	v_ffbh_u32_e32 v4, v1
	v_min_u32_e32 v4, 32, v4
	v_lshlrev_b64 v[0:1], v4, v[0:1]
	v_min_u32_e32 v0, 1, v0
	v_or_b32_e32 v0, v1, v0
	v_cvt_f32_u32_e32 v0, v0
	v_sub_u32_e32 v1, 32, v4
	v_ldexp_f32 v0, v0, v1
	s_branch .LBB134_829
.LBB134_828:
	s_mov_b64 s[38:39], -1
                                        ; implicit-def: $vgpr0
.LBB134_829:
	v_mov_b32_e32 v1, 0
.LBB134_830:
	s_mov_b64 s[40:41], 0
.LBB134_831:
	s_and_b64 vcc, exec, s[40:41]
	s_cbranch_vccz .LBB134_849
; %bb.832:
	s_cmp_lt_i32 s45, 27
	s_cbranch_scc1 .LBB134_835
; %bb.833:
	s_cmp_gt_i32 s45, 27
	s_cbranch_scc0 .LBB134_836
; %bb.834:
	global_load_dword v0, v[2:3], off
	s_mov_b64 s[0:1], 0
	s_waitcnt vmcnt(0)
	v_cvt_f32_u32_e32 v0, v0
	s_branch .LBB134_837
.LBB134_835:
	s_mov_b64 s[0:1], -1
                                        ; implicit-def: $vgpr0
	s_branch .LBB134_840
.LBB134_836:
	s_mov_b64 s[0:1], -1
                                        ; implicit-def: $vgpr0
.LBB134_837:
	s_andn2_b64 vcc, exec, s[0:1]
	s_cbranch_vccnz .LBB134_839
; %bb.838:
	global_load_ushort v0, v[2:3], off
	s_waitcnt vmcnt(0)
	v_cvt_f32_u32_e32 v0, v0
.LBB134_839:
	s_mov_b64 s[0:1], 0
.LBB134_840:
	s_andn2_b64 vcc, exec, s[0:1]
	s_cbranch_vccnz .LBB134_848
; %bb.841:
	global_load_ubyte v1, v[2:3], off
	s_movk_i32 s0, 0x7f
	s_waitcnt vmcnt(0)
	v_cmp_lt_i16_e32 vcc, s0, v1
	s_mov_b64 s[0:1], 0
	s_and_saveexec_b64 s[40:41], vcc
	s_xor_b64 s[40:41], exec, s[40:41]
	s_cbranch_execz .LBB134_862
; %bb.842:
	s_movk_i32 s0, 0x80
	v_cmp_eq_u16_e32 vcc, s0, v1
	s_mov_b64 s[0:1], -1
	s_and_saveexec_b64 s[42:43], vcc
; %bb.843:
	s_xor_b64 s[0:1], exec, -1
; %bb.844:
	s_or_b64 exec, exec, s[42:43]
	s_and_b64 s[0:1], s[0:1], exec
	s_or_saveexec_b64 s[40:41], s[40:41]
	v_mov_b32_e32 v0, 0x7f800001
	s_xor_b64 exec, exec, s[40:41]
	s_cbranch_execnz .LBB134_863
.LBB134_845:
	s_or_b64 exec, exec, s[40:41]
	s_and_saveexec_b64 s[40:41], s[0:1]
	s_cbranch_execz .LBB134_847
.LBB134_846:
	v_lshlrev_b32_e32 v0, 24, v1
	v_and_b32_e32 v1, 0xffff, v1
	v_and_b32_e32 v4, 7, v1
	v_ffbh_u32_e32 v7, v4
	v_min_u32_e32 v7, 32, v7
	v_subrev_u32_e32 v8, 28, v7
	v_bfe_u32 v5, v1, 3, 4
	v_lshlrev_b32_e32 v1, v8, v1
	v_sub_u32_e32 v7, 29, v7
	v_and_b32_e32 v1, 7, v1
	v_cmp_eq_u32_e32 vcc, 0, v5
	v_cndmask_b32_e32 v5, v5, v7, vcc
	v_cndmask_b32_e32 v1, v4, v1, vcc
	v_mov_b32_e32 v4, 0x3b800000
	v_lshlrev_b32_e32 v1, 20, v1
	v_and_b32_e32 v0, 0x80000000, v0
	v_lshl_add_u32 v4, v5, 23, v4
	v_or3_b32 v0, v0, v4, v1
.LBB134_847:
	s_or_b64 exec, exec, s[40:41]
.LBB134_848:
	s_mov_b64 s[0:1], -1
	v_mov_b32_e32 v1, 0
.LBB134_849:
	s_mov_b64 s[40:41], 0
.LBB134_850:
	s_and_b64 vcc, exec, s[40:41]
	s_cbranch_vccz .LBB134_886
; %bb.851:
	s_cmp_gt_i32 s45, 22
	s_cbranch_scc0 .LBB134_861
; %bb.852:
	s_cmp_lt_i32 s45, 24
	s_cbranch_scc1 .LBB134_864
; %bb.853:
	s_cmp_gt_i32 s45, 24
	s_cbranch_scc0 .LBB134_865
; %bb.854:
	global_load_ubyte v1, v[2:3], off
	s_movk_i32 s0, 0x7f
	s_waitcnt vmcnt(0)
	v_cmp_lt_i16_e32 vcc, s0, v1
	s_mov_b64 s[0:1], 0
	s_and_saveexec_b64 s[40:41], vcc
	s_xor_b64 s[40:41], exec, s[40:41]
	s_cbranch_execz .LBB134_877
; %bb.855:
	s_movk_i32 s0, 0x80
	v_cmp_eq_u16_e32 vcc, s0, v1
	s_mov_b64 s[0:1], -1
	s_and_saveexec_b64 s[42:43], vcc
; %bb.856:
	s_xor_b64 s[0:1], exec, -1
; %bb.857:
	s_or_b64 exec, exec, s[42:43]
	s_and_b64 s[0:1], s[0:1], exec
	s_or_saveexec_b64 s[40:41], s[40:41]
	v_mov_b32_e32 v0, 0x7f800001
	s_xor_b64 exec, exec, s[40:41]
	s_cbranch_execnz .LBB134_878
.LBB134_858:
	s_or_b64 exec, exec, s[40:41]
	s_and_saveexec_b64 s[40:41], s[0:1]
	s_cbranch_execz .LBB134_860
.LBB134_859:
	v_lshlrev_b32_e32 v0, 24, v1
	v_and_b32_e32 v1, 0xffff, v1
	v_and_b32_e32 v4, 3, v1
	v_ffbh_u32_e32 v7, v4
	v_min_u32_e32 v7, 32, v7
	v_subrev_u32_e32 v8, 29, v7
	v_bfe_u32 v5, v1, 2, 5
	v_lshlrev_b32_e32 v1, v8, v1
	v_sub_u32_e32 v7, 30, v7
	v_and_b32_e32 v1, 3, v1
	v_cmp_eq_u32_e32 vcc, 0, v5
	v_cndmask_b32_e32 v5, v5, v7, vcc
	v_cndmask_b32_e32 v1, v4, v1, vcc
	v_mov_b32_e32 v4, 0x37800000
	v_lshlrev_b32_e32 v1, 21, v1
	v_and_b32_e32 v0, 0x80000000, v0
	v_lshl_add_u32 v4, v5, 23, v4
	v_or3_b32 v0, v0, v4, v1
.LBB134_860:
	s_or_b64 exec, exec, s[40:41]
	s_mov_b64 s[0:1], 0
	s_branch .LBB134_866
.LBB134_861:
	s_mov_b64 s[40:41], -1
                                        ; implicit-def: $vgpr0
	s_branch .LBB134_872
.LBB134_862:
	s_or_saveexec_b64 s[40:41], s[40:41]
	v_mov_b32_e32 v0, 0x7f800001
	s_xor_b64 exec, exec, s[40:41]
	s_cbranch_execz .LBB134_845
.LBB134_863:
	v_cmp_ne_u16_e32 vcc, 0, v1
	s_andn2_b64 s[0:1], s[0:1], exec
	s_and_b64 s[42:43], vcc, exec
	v_mov_b32_e32 v0, 0
	s_or_b64 s[0:1], s[0:1], s[42:43]
	s_or_b64 exec, exec, s[40:41]
	s_and_saveexec_b64 s[40:41], s[0:1]
	s_cbranch_execnz .LBB134_846
	s_branch .LBB134_847
.LBB134_864:
	s_mov_b64 s[0:1], -1
                                        ; implicit-def: $vgpr0
	s_branch .LBB134_869
.LBB134_865:
	s_mov_b64 s[0:1], -1
                                        ; implicit-def: $vgpr0
.LBB134_866:
	s_and_b64 vcc, exec, s[0:1]
	s_cbranch_vccz .LBB134_868
; %bb.867:
	global_load_ubyte v0, v[2:3], off
	s_mov_b32 s0, 0x7f800000
	s_waitcnt vmcnt(0)
	v_lshlrev_b32_e32 v0, 24, v0
	v_and_b32_e32 v1, 0x7f000000, v0
	v_ffbh_u32_e32 v4, v1
	v_min_u32_e32 v4, 32, v4
	v_sub_u32_e64 v4, v4, 4 clamp
	v_lshlrev_b32_e32 v7, v4, v1
	v_lshlrev_b32_e32 v4, 23, v4
	v_lshrrev_b32_e32 v7, 4, v7
	v_add_u32_e32 v5, 0x1000000, v1
	v_sub_u32_e32 v4, v7, v4
	v_ashrrev_i32_e32 v5, 8, v5
	v_add_u32_e32 v4, 0x3c000000, v4
	v_and_or_b32 v4, v5, s0, v4
	v_cmp_ne_u32_e32 vcc, 0, v1
	v_cndmask_b32_e32 v1, 0, v4, vcc
	s_brev_b32 s0, 1
	v_and_or_b32 v0, v0, s0, v1
.LBB134_868:
	s_mov_b64 s[0:1], 0
.LBB134_869:
	s_andn2_b64 vcc, exec, s[0:1]
	s_cbranch_vccnz .LBB134_871
; %bb.870:
	global_load_ubyte v0, v[2:3], off
	s_movk_i32 s0, 0x7f00
	s_brev_b32 s1, 16
	s_waitcnt vmcnt(0)
	v_lshlrev_b16_e32 v1, 8, v0
	v_lshlrev_b32_e32 v0, 25, v0
	v_lshrrev_b32_e32 v4, 4, v0
	v_and_or_b32 v5, v1, s0, 0.5
	v_or_b32_e32 v4, 0x70000000, v4
	v_add_f32_e32 v5, -0.5, v5
	v_mul_f32_e32 v4, 0x7800000, v4
	v_cmp_gt_u32_e32 vcc, s1, v0
	v_bfe_i32 v1, v1, 0, 16
	v_cndmask_b32_e32 v0, v4, v5, vcc
	s_brev_b32 s0, 1
	v_and_or_b32 v0, v1, s0, v0
.LBB134_871:
	s_mov_b64 s[40:41], 0
	s_mov_b64 s[0:1], -1
.LBB134_872:
	s_andn2_b64 vcc, exec, s[40:41]
	s_cbranch_vccnz .LBB134_885
; %bb.873:
	s_cmp_gt_i32 s45, 14
	s_cbranch_scc0 .LBB134_876
; %bb.874:
	s_cmp_eq_u32 s45, 15
	s_cbranch_scc0 .LBB134_879
; %bb.875:
	global_load_ushort v0, v[2:3], off
	s_mov_b64 s[0:1], -1
	s_mov_b64 s[38:39], 0
	s_waitcnt vmcnt(0)
	v_lshlrev_b32_e32 v0, 16, v0
	s_branch .LBB134_880
.LBB134_876:
	s_mov_b64 s[40:41], -1
                                        ; implicit-def: $vgpr0
	s_branch .LBB134_881
.LBB134_877:
	s_or_saveexec_b64 s[40:41], s[40:41]
	v_mov_b32_e32 v0, 0x7f800001
	s_xor_b64 exec, exec, s[40:41]
	s_cbranch_execz .LBB134_858
.LBB134_878:
	v_cmp_ne_u16_e32 vcc, 0, v1
	s_andn2_b64 s[0:1], s[0:1], exec
	s_and_b64 s[42:43], vcc, exec
	v_mov_b32_e32 v0, 0
	s_or_b64 s[0:1], s[0:1], s[42:43]
	s_or_b64 exec, exec, s[40:41]
	s_and_saveexec_b64 s[40:41], s[0:1]
	s_cbranch_execnz .LBB134_859
	s_branch .LBB134_860
.LBB134_879:
	s_mov_b64 s[38:39], -1
                                        ; implicit-def: $vgpr0
.LBB134_880:
	s_mov_b64 s[40:41], 0
.LBB134_881:
	s_and_b64 vcc, exec, s[40:41]
	s_cbranch_vccz .LBB134_885
; %bb.882:
	s_cmp_eq_u32 s45, 11
	s_cbranch_scc0 .LBB134_884
; %bb.883:
	global_load_ubyte v0, v[2:3], off
	s_mov_b64 s[0:1], -1
	s_mov_b64 s[38:39], 0
	v_mov_b32_e32 v1, 0
	s_waitcnt vmcnt(0)
	v_cmp_ne_u16_e32 vcc, 0, v0
	v_cndmask_b32_e64 v0, 0, 1.0, vcc
	s_branch .LBB134_886
.LBB134_884:
	s_mov_b64 s[38:39], -1
                                        ; implicit-def: $vgpr0
.LBB134_885:
	v_mov_b32_e32 v1, 0
.LBB134_886:
	s_mov_b64 s[40:41], 0
.LBB134_887:
	s_and_b64 vcc, exec, s[40:41]
	s_cbranch_vccz .LBB134_938
; %bb.888:
	s_and_b32 s40, 0xffff, s44
	s_cmp_lt_i32 s40, 5
	s_cbranch_scc1 .LBB134_893
; %bb.889:
	s_cmp_lt_i32 s40, 8
	s_cbranch_scc1 .LBB134_894
; %bb.890:
	;; [unrolled: 3-line block ×3, first 2 shown]
	s_cmp_gt_i32 s40, 9
	s_cbranch_scc0 .LBB134_896
; %bb.892:
	global_load_dwordx4 v[7:10], v[2:3], off
	s_mov_b64 s[0:1], 0
	s_waitcnt vmcnt(0)
	v_cvt_f32_f64_e32 v0, v[7:8]
	v_cvt_f32_f64_e32 v1, v[9:10]
	s_branch .LBB134_897
.LBB134_893:
	s_mov_b64 s[0:1], -1
                                        ; implicit-def: $vgpr1
	s_branch .LBB134_916
.LBB134_894:
	s_mov_b64 s[0:1], -1
                                        ; implicit-def: $vgpr1
	s_branch .LBB134_903
.LBB134_895:
	s_mov_b64 s[0:1], -1
                                        ; implicit-def: $vgpr1
	s_branch .LBB134_900
.LBB134_896:
	s_mov_b64 s[0:1], -1
                                        ; implicit-def: $vgpr1
.LBB134_897:
	s_andn2_b64 vcc, exec, s[0:1]
	s_cbranch_vccnz .LBB134_899
; %bb.898:
	global_load_dwordx2 v[0:1], v[2:3], off
.LBB134_899:
	s_mov_b64 s[0:1], 0
.LBB134_900:
	s_andn2_b64 vcc, exec, s[0:1]
	s_cbranch_vccnz .LBB134_902
; %bb.901:
	global_load_dword v1, v[2:3], off
	s_waitcnt vmcnt(0)
	v_cvt_f32_f16_e32 v0, v1
	v_cvt_f32_f16_sdwa v1, v1 dst_sel:DWORD dst_unused:UNUSED_PAD src0_sel:WORD_1
.LBB134_902:
	s_mov_b64 s[0:1], 0
.LBB134_903:
	s_andn2_b64 vcc, exec, s[0:1]
	s_cbranch_vccnz .LBB134_915
; %bb.904:
	s_cmp_lt_i32 s40, 6
	s_cbranch_scc1 .LBB134_907
; %bb.905:
	s_cmp_gt_i32 s40, 6
	s_cbranch_scc0 .LBB134_908
; %bb.906:
	global_load_dwordx2 v[0:1], v[2:3], off
	s_mov_b64 s[0:1], 0
	s_waitcnt vmcnt(0)
	v_cvt_f32_f64_e32 v0, v[0:1]
	s_branch .LBB134_909
.LBB134_907:
	s_mov_b64 s[0:1], -1
                                        ; implicit-def: $vgpr0
	s_branch .LBB134_912
.LBB134_908:
	s_mov_b64 s[0:1], -1
                                        ; implicit-def: $vgpr0
.LBB134_909:
	s_andn2_b64 vcc, exec, s[0:1]
	s_cbranch_vccnz .LBB134_911
; %bb.910:
	global_load_dword v0, v[2:3], off
.LBB134_911:
	s_mov_b64 s[0:1], 0
.LBB134_912:
	s_andn2_b64 vcc, exec, s[0:1]
	s_cbranch_vccnz .LBB134_914
; %bb.913:
	global_load_ushort v0, v[2:3], off
	s_waitcnt vmcnt(0)
	v_cvt_f32_f16_e32 v0, v0
.LBB134_914:
	s_waitcnt vmcnt(0)
	v_mov_b32_e32 v1, 0
.LBB134_915:
	s_mov_b64 s[0:1], 0
.LBB134_916:
	s_andn2_b64 vcc, exec, s[0:1]
	s_cbranch_vccnz .LBB134_937
; %bb.917:
	s_cmp_lt_i32 s40, 2
	s_cbranch_scc1 .LBB134_921
; %bb.918:
	s_cmp_lt_i32 s40, 3
	s_cbranch_scc1 .LBB134_922
; %bb.919:
	s_cmp_gt_i32 s40, 3
	s_cbranch_scc0 .LBB134_923
; %bb.920:
	global_load_dwordx2 v[0:1], v[2:3], off
	s_mov_b64 s[0:1], 0
	s_waitcnt vmcnt(0)
	v_xor_b32_e32 v5, v0, v1
	v_ffbh_i32_e32 v4, v1
	v_ashrrev_i32_e32 v5, 31, v5
	v_add_u32_e32 v4, -1, v4
	v_add_u32_e32 v5, 32, v5
	v_min_u32_e32 v4, v4, v5
	v_lshlrev_b64 v[0:1], v4, v[0:1]
	v_min_u32_e32 v0, 1, v0
	v_or_b32_e32 v0, v1, v0
	v_cvt_f32_i32_e32 v0, v0
	v_sub_u32_e32 v1, 32, v4
	v_ldexp_f32 v0, v0, v1
	s_branch .LBB134_924
.LBB134_921:
	s_mov_b64 s[0:1], -1
                                        ; implicit-def: $vgpr0
	s_branch .LBB134_930
.LBB134_922:
	s_mov_b64 s[0:1], -1
                                        ; implicit-def: $vgpr0
	s_branch .LBB134_927
.LBB134_923:
	s_mov_b64 s[0:1], -1
                                        ; implicit-def: $vgpr0
.LBB134_924:
	s_andn2_b64 vcc, exec, s[0:1]
	s_cbranch_vccnz .LBB134_926
; %bb.925:
	global_load_dword v0, v[2:3], off
	s_waitcnt vmcnt(0)
	v_cvt_f32_i32_e32 v0, v0
.LBB134_926:
	s_mov_b64 s[0:1], 0
.LBB134_927:
	s_andn2_b64 vcc, exec, s[0:1]
	s_cbranch_vccnz .LBB134_929
; %bb.928:
	global_load_sshort v0, v[2:3], off
	s_waitcnt vmcnt(0)
	v_cvt_f32_i32_e32 v0, v0
.LBB134_929:
	s_mov_b64 s[0:1], 0
.LBB134_930:
	s_andn2_b64 vcc, exec, s[0:1]
	s_cbranch_vccnz .LBB134_936
; %bb.931:
	s_cmp_gt_i32 s40, 0
	s_cbranch_scc0 .LBB134_933
; %bb.932:
	global_load_sbyte v0, v[2:3], off
	s_mov_b64 s[0:1], 0
	s_waitcnt vmcnt(0)
	v_cvt_f32_i32_e32 v0, v0
	s_branch .LBB134_934
.LBB134_933:
	s_mov_b64 s[0:1], -1
                                        ; implicit-def: $vgpr0
.LBB134_934:
	s_andn2_b64 vcc, exec, s[0:1]
	s_cbranch_vccnz .LBB134_936
; %bb.935:
	global_load_ubyte v0, v[2:3], off
	s_waitcnt vmcnt(0)
	v_cvt_f32_ubyte0_e32 v0, v0
.LBB134_936:
	s_waitcnt vmcnt(0)
	v_mov_b32_e32 v1, 0
.LBB134_937:
	s_mov_b64 s[0:1], -1
.LBB134_938:
	s_andn2_b64 vcc, exec, s[0:1]
	s_cbranch_vccnz .LBB134_946
; %bb.939:
	v_mul_lo_u32 v2, v6, s14
	v_mov_b32_e32 v3, s3
	s_and_b32 s46, s56, 0xff
	s_cmp_lt_i32 s46, 11
	v_ashrrev_i32_e32 v4, 31, v2
	v_add_co_u32_e32 v2, vcc, s2, v2
	v_addc_co_u32_e32 v3, vcc, v3, v4, vcc
	s_cbranch_scc1 .LBB134_948
; %bb.940:
	s_and_b32 s47, 0xffff, s46
	s_cmp_gt_i32 s47, 25
	s_cbranch_scc0 .LBB134_949
; %bb.941:
	s_cmp_gt_i32 s47, 28
	s_cbranch_scc0 .LBB134_950
; %bb.942:
	;; [unrolled: 3-line block ×4, first 2 shown]
	s_cmp_eq_u32 s47, 46
	s_mov_b64 s[42:43], 0
	s_cbranch_scc0 .LBB134_955
; %bb.945:
	global_load_dword v4, v[2:3], off
	s_mov_b64 s[0:1], -1
	s_mov_b64 s[40:41], 0
	s_waitcnt vmcnt(0)
	v_and_b32_e32 v5, 0xffff0000, v4
	v_lshlrev_b32_e32 v4, 16, v4
	s_branch .LBB134_956
.LBB134_946:
	s_mov_b64 s[44:45], 0
	s_mov_b64 s[0:1], s[30:31]
	;; [unrolled: 1-line block ×3, first 2 shown]
.LBB134_947:
                                        ; implicit-def: $vgpr6
	s_branch .LBB134_1204
.LBB134_948:
	s_mov_b64 s[42:43], -1
	s_mov_b64 s[0:1], 0
                                        ; implicit-def: $vgpr5
	s_mov_b64 s[40:41], s[28:29]
	s_branch .LBB134_1024
.LBB134_949:
	s_mov_b64 s[42:43], -1
	s_mov_b64 s[0:1], 0
	s_mov_b64 s[40:41], s[28:29]
                                        ; implicit-def: $vgpr5
	s_branch .LBB134_987
.LBB134_950:
	s_mov_b64 s[42:43], -1
	s_mov_b64 s[0:1], 0
	s_mov_b64 s[40:41], s[28:29]
                                        ; implicit-def: $vgpr5
	s_branch .LBB134_968
.LBB134_951:
	s_mov_b64 s[42:43], -1
	s_mov_b64 s[0:1], 0
	s_mov_b64 s[40:41], s[28:29]
                                        ; implicit-def: $vgpr5
	s_branch .LBB134_962
.LBB134_952:
	s_mov_b64 s[42:43], -1
	s_mov_b64 s[0:1], 0
	s_mov_b64 s[40:41], s[28:29]
                                        ; implicit-def: $vgpr5
	s_branch .LBB134_956
.LBB134_953:
	s_andn2_saveexec_b64 s[40:41], s[40:41]
	s_cbranch_execz .LBB134_724
.LBB134_954:
	v_add_f32_e32 v2, 0x42800000, v3
	v_and_b32_e32 v2, 0xff, v2
	v_cmp_ne_u32_e32 vcc, 0, v2
	s_andn2_b64 s[38:39], s[38:39], exec
	s_and_b64 s[44:45], vcc, exec
	s_or_b64 s[38:39], s[38:39], s[44:45]
	s_or_b64 exec, exec, s[40:41]
	v_mov_b32_e32 v4, 0
	s_and_saveexec_b64 s[40:41], s[38:39]
	s_cbranch_execnz .LBB134_725
	s_branch .LBB134_726
.LBB134_955:
	s_mov_b64 s[40:41], -1
                                        ; implicit-def: $vgpr5
	s_mov_b64 s[0:1], 0
.LBB134_956:
	s_and_b64 vcc, exec, s[42:43]
	s_cbranch_vccz .LBB134_961
; %bb.957:
	s_cmp_eq_u32 s47, 44
	s_cbranch_scc0 .LBB134_959
; %bb.958:
	global_load_ubyte v4, v[2:3], off
	s_movk_i32 s40, 0xff
	v_mov_b32_e32 v5, 0x7f800001
	v_mov_b32_e32 v7, 0x400000
	s_mov_b64 s[0:1], -1
	s_waitcnt vmcnt(0)
	v_lshlrev_b32_e32 v8, 23, v4
	v_cmp_ne_u32_e32 vcc, s40, v4
	v_cndmask_b32_e32 v5, v5, v8, vcc
	v_cmp_ne_u32_e32 vcc, 0, v4
	v_cndmask_b32_e32 v4, v7, v5, vcc
	s_mov_b64 s[40:41], 0
	s_branch .LBB134_960
.LBB134_959:
	s_mov_b64 s[40:41], -1
                                        ; implicit-def: $vgpr4
.LBB134_960:
	v_mov_b32_e32 v5, 0
.LBB134_961:
	s_mov_b64 s[42:43], 0
.LBB134_962:
	s_and_b64 vcc, exec, s[42:43]
	s_cbranch_vccz .LBB134_967
; %bb.963:
	s_cmp_eq_u32 s47, 29
	s_cbranch_scc0 .LBB134_965
; %bb.964:
	global_load_dwordx2 v[4:5], v[2:3], off
	s_mov_b64 s[0:1], -1
	s_mov_b64 s[40:41], 0
	s_waitcnt vmcnt(0)
	v_ffbh_u32_e32 v7, v5
	v_min_u32_e32 v7, 32, v7
	v_lshlrev_b64 v[4:5], v7, v[4:5]
	v_min_u32_e32 v4, 1, v4
	v_or_b32_e32 v4, v5, v4
	v_cvt_f32_u32_e32 v4, v4
	v_sub_u32_e32 v5, 32, v7
	v_ldexp_f32 v4, v4, v5
	s_branch .LBB134_966
.LBB134_965:
	s_mov_b64 s[40:41], -1
                                        ; implicit-def: $vgpr4
.LBB134_966:
	v_mov_b32_e32 v5, 0
.LBB134_967:
	s_mov_b64 s[42:43], 0
.LBB134_968:
	s_and_b64 vcc, exec, s[42:43]
	s_cbranch_vccz .LBB134_986
; %bb.969:
	s_cmp_lt_i32 s47, 27
	s_cbranch_scc1 .LBB134_972
; %bb.970:
	s_cmp_gt_i32 s47, 27
	s_cbranch_scc0 .LBB134_973
; %bb.971:
	global_load_dword v4, v[2:3], off
	s_mov_b64 s[0:1], 0
	s_waitcnt vmcnt(0)
	v_cvt_f32_u32_e32 v4, v4
	s_branch .LBB134_974
.LBB134_972:
	s_mov_b64 s[0:1], -1
                                        ; implicit-def: $vgpr4
	s_branch .LBB134_977
.LBB134_973:
	s_mov_b64 s[0:1], -1
                                        ; implicit-def: $vgpr4
.LBB134_974:
	s_andn2_b64 vcc, exec, s[0:1]
	s_cbranch_vccnz .LBB134_976
; %bb.975:
	global_load_ushort v4, v[2:3], off
	s_waitcnt vmcnt(0)
	v_cvt_f32_u32_e32 v4, v4
.LBB134_976:
	s_mov_b64 s[0:1], 0
.LBB134_977:
	s_andn2_b64 vcc, exec, s[0:1]
	s_cbranch_vccnz .LBB134_985
; %bb.978:
	global_load_ubyte v5, v[2:3], off
	s_movk_i32 s0, 0x7f
	s_waitcnt vmcnt(0)
	v_cmp_lt_i16_e32 vcc, s0, v5
	s_mov_b64 s[0:1], 0
	s_and_saveexec_b64 s[42:43], vcc
	s_xor_b64 s[42:43], exec, s[42:43]
	s_cbranch_execz .LBB134_999
; %bb.979:
	s_movk_i32 s0, 0x80
	v_cmp_eq_u16_e32 vcc, s0, v5
	s_mov_b64 s[0:1], -1
	s_and_saveexec_b64 s[44:45], vcc
; %bb.980:
	s_xor_b64 s[0:1], exec, -1
; %bb.981:
	s_or_b64 exec, exec, s[44:45]
	s_and_b64 s[0:1], s[0:1], exec
	s_or_saveexec_b64 s[42:43], s[42:43]
	v_mov_b32_e32 v4, 0x7f800001
	s_xor_b64 exec, exec, s[42:43]
	s_cbranch_execnz .LBB134_1000
.LBB134_982:
	s_or_b64 exec, exec, s[42:43]
	s_and_saveexec_b64 s[42:43], s[0:1]
	s_cbranch_execz .LBB134_984
.LBB134_983:
	v_lshlrev_b32_e32 v4, 24, v5
	v_and_b32_e32 v5, 0xffff, v5
	v_and_b32_e32 v7, 7, v5
	v_ffbh_u32_e32 v9, v7
	v_min_u32_e32 v9, 32, v9
	v_subrev_u32_e32 v10, 28, v9
	v_bfe_u32 v8, v5, 3, 4
	v_lshlrev_b32_e32 v5, v10, v5
	v_sub_u32_e32 v9, 29, v9
	v_and_b32_e32 v5, 7, v5
	v_cmp_eq_u32_e32 vcc, 0, v8
	v_cndmask_b32_e32 v8, v8, v9, vcc
	v_cndmask_b32_e32 v5, v7, v5, vcc
	v_mov_b32_e32 v7, 0x3b800000
	v_lshlrev_b32_e32 v5, 20, v5
	v_and_b32_e32 v4, 0x80000000, v4
	v_lshl_add_u32 v7, v8, 23, v7
	v_or3_b32 v4, v4, v7, v5
.LBB134_984:
	s_or_b64 exec, exec, s[42:43]
.LBB134_985:
	s_mov_b64 s[0:1], -1
	v_mov_b32_e32 v5, 0
.LBB134_986:
	s_mov_b64 s[42:43], 0
.LBB134_987:
	s_and_b64 vcc, exec, s[42:43]
	s_cbranch_vccz .LBB134_1023
; %bb.988:
	s_cmp_gt_i32 s47, 22
	s_cbranch_scc0 .LBB134_998
; %bb.989:
	s_cmp_lt_i32 s47, 24
	s_cbranch_scc1 .LBB134_1001
; %bb.990:
	s_cmp_gt_i32 s47, 24
	s_cbranch_scc0 .LBB134_1002
; %bb.991:
	global_load_ubyte v5, v[2:3], off
	s_movk_i32 s0, 0x7f
	s_waitcnt vmcnt(0)
	v_cmp_lt_i16_e32 vcc, s0, v5
	s_mov_b64 s[0:1], 0
	s_and_saveexec_b64 s[42:43], vcc
	s_xor_b64 s[42:43], exec, s[42:43]
	s_cbranch_execz .LBB134_1014
; %bb.992:
	s_movk_i32 s0, 0x80
	v_cmp_eq_u16_e32 vcc, s0, v5
	s_mov_b64 s[0:1], -1
	s_and_saveexec_b64 s[44:45], vcc
; %bb.993:
	s_xor_b64 s[0:1], exec, -1
; %bb.994:
	s_or_b64 exec, exec, s[44:45]
	s_and_b64 s[0:1], s[0:1], exec
	s_or_saveexec_b64 s[42:43], s[42:43]
	v_mov_b32_e32 v4, 0x7f800001
	s_xor_b64 exec, exec, s[42:43]
	s_cbranch_execnz .LBB134_1015
.LBB134_995:
	s_or_b64 exec, exec, s[42:43]
	s_and_saveexec_b64 s[42:43], s[0:1]
	s_cbranch_execz .LBB134_997
.LBB134_996:
	v_lshlrev_b32_e32 v4, 24, v5
	v_and_b32_e32 v5, 0xffff, v5
	v_and_b32_e32 v7, 3, v5
	v_ffbh_u32_e32 v9, v7
	v_min_u32_e32 v9, 32, v9
	v_subrev_u32_e32 v10, 29, v9
	v_bfe_u32 v8, v5, 2, 5
	v_lshlrev_b32_e32 v5, v10, v5
	v_sub_u32_e32 v9, 30, v9
	v_and_b32_e32 v5, 3, v5
	v_cmp_eq_u32_e32 vcc, 0, v8
	v_cndmask_b32_e32 v8, v8, v9, vcc
	v_cndmask_b32_e32 v5, v7, v5, vcc
	v_mov_b32_e32 v7, 0x37800000
	v_lshlrev_b32_e32 v5, 21, v5
	v_and_b32_e32 v4, 0x80000000, v4
	v_lshl_add_u32 v7, v8, 23, v7
	v_or3_b32 v4, v4, v7, v5
.LBB134_997:
	s_or_b64 exec, exec, s[42:43]
	s_mov_b64 s[0:1], 0
	s_branch .LBB134_1003
.LBB134_998:
	s_mov_b64 s[42:43], -1
                                        ; implicit-def: $vgpr4
	s_branch .LBB134_1009
.LBB134_999:
	s_or_saveexec_b64 s[42:43], s[42:43]
	v_mov_b32_e32 v4, 0x7f800001
	s_xor_b64 exec, exec, s[42:43]
	s_cbranch_execz .LBB134_982
.LBB134_1000:
	v_cmp_ne_u16_e32 vcc, 0, v5
	s_andn2_b64 s[0:1], s[0:1], exec
	s_and_b64 s[44:45], vcc, exec
	v_mov_b32_e32 v4, 0
	s_or_b64 s[0:1], s[0:1], s[44:45]
	s_or_b64 exec, exec, s[42:43]
	s_and_saveexec_b64 s[42:43], s[0:1]
	s_cbranch_execnz .LBB134_983
	s_branch .LBB134_984
.LBB134_1001:
	s_mov_b64 s[0:1], -1
                                        ; implicit-def: $vgpr4
	s_branch .LBB134_1006
.LBB134_1002:
	s_mov_b64 s[0:1], -1
                                        ; implicit-def: $vgpr4
.LBB134_1003:
	s_and_b64 vcc, exec, s[0:1]
	s_cbranch_vccz .LBB134_1005
; %bb.1004:
	global_load_ubyte v4, v[2:3], off
	s_mov_b32 s0, 0x7f800000
	s_waitcnt vmcnt(0)
	v_lshlrev_b32_e32 v4, 24, v4
	v_and_b32_e32 v5, 0x7f000000, v4
	v_ffbh_u32_e32 v7, v5
	v_min_u32_e32 v7, 32, v7
	v_sub_u32_e64 v7, v7, 4 clamp
	v_lshlrev_b32_e32 v9, v7, v5
	v_lshlrev_b32_e32 v7, 23, v7
	v_lshrrev_b32_e32 v9, 4, v9
	v_add_u32_e32 v8, 0x1000000, v5
	v_sub_u32_e32 v7, v9, v7
	v_ashrrev_i32_e32 v8, 8, v8
	v_add_u32_e32 v7, 0x3c000000, v7
	v_and_or_b32 v7, v8, s0, v7
	v_cmp_ne_u32_e32 vcc, 0, v5
	v_cndmask_b32_e32 v5, 0, v7, vcc
	s_brev_b32 s0, 1
	v_and_or_b32 v4, v4, s0, v5
.LBB134_1005:
	s_mov_b64 s[0:1], 0
.LBB134_1006:
	s_andn2_b64 vcc, exec, s[0:1]
	s_cbranch_vccnz .LBB134_1008
; %bb.1007:
	global_load_ubyte v4, v[2:3], off
	s_movk_i32 s0, 0x7f00
	s_brev_b32 s1, 16
	s_waitcnt vmcnt(0)
	v_lshlrev_b16_e32 v5, 8, v4
	v_lshlrev_b32_e32 v4, 25, v4
	v_lshrrev_b32_e32 v7, 4, v4
	v_and_or_b32 v8, v5, s0, 0.5
	v_or_b32_e32 v7, 0x70000000, v7
	v_add_f32_e32 v8, -0.5, v8
	v_mul_f32_e32 v7, 0x7800000, v7
	v_cmp_gt_u32_e32 vcc, s1, v4
	v_bfe_i32 v5, v5, 0, 16
	v_cndmask_b32_e32 v4, v7, v8, vcc
	s_brev_b32 s0, 1
	v_and_or_b32 v4, v5, s0, v4
.LBB134_1008:
	s_mov_b64 s[42:43], 0
	s_mov_b64 s[0:1], -1
.LBB134_1009:
	s_andn2_b64 vcc, exec, s[42:43]
	s_cbranch_vccnz .LBB134_1022
; %bb.1010:
	s_cmp_gt_i32 s47, 14
	s_cbranch_scc0 .LBB134_1013
; %bb.1011:
	s_cmp_eq_u32 s47, 15
	s_cbranch_scc0 .LBB134_1016
; %bb.1012:
	global_load_ushort v4, v[2:3], off
	s_mov_b64 s[0:1], -1
	s_mov_b64 s[40:41], 0
	s_waitcnt vmcnt(0)
	v_lshlrev_b32_e32 v4, 16, v4
	s_branch .LBB134_1017
.LBB134_1013:
	s_mov_b64 s[42:43], -1
                                        ; implicit-def: $vgpr4
	s_branch .LBB134_1018
.LBB134_1014:
	s_or_saveexec_b64 s[42:43], s[42:43]
	v_mov_b32_e32 v4, 0x7f800001
	s_xor_b64 exec, exec, s[42:43]
	s_cbranch_execz .LBB134_995
.LBB134_1015:
	v_cmp_ne_u16_e32 vcc, 0, v5
	s_andn2_b64 s[0:1], s[0:1], exec
	s_and_b64 s[44:45], vcc, exec
	v_mov_b32_e32 v4, 0
	s_or_b64 s[0:1], s[0:1], s[44:45]
	s_or_b64 exec, exec, s[42:43]
	s_and_saveexec_b64 s[42:43], s[0:1]
	s_cbranch_execnz .LBB134_996
	s_branch .LBB134_997
.LBB134_1016:
	s_mov_b64 s[40:41], -1
                                        ; implicit-def: $vgpr4
.LBB134_1017:
	s_mov_b64 s[42:43], 0
.LBB134_1018:
	s_and_b64 vcc, exec, s[42:43]
	s_cbranch_vccz .LBB134_1022
; %bb.1019:
	s_cmp_eq_u32 s47, 11
	s_cbranch_scc0 .LBB134_1021
; %bb.1020:
	global_load_ubyte v4, v[2:3], off
	s_mov_b64 s[0:1], -1
	s_mov_b64 s[40:41], 0
	v_mov_b32_e32 v5, 0
	s_waitcnt vmcnt(0)
	v_cmp_ne_u16_e32 vcc, 0, v4
	v_cndmask_b32_e64 v4, 0, 1.0, vcc
	s_branch .LBB134_1023
.LBB134_1021:
	s_mov_b64 s[40:41], -1
                                        ; implicit-def: $vgpr4
.LBB134_1022:
	v_mov_b32_e32 v5, 0
.LBB134_1023:
	s_mov_b64 s[42:43], 0
.LBB134_1024:
	s_and_b64 vcc, exec, s[42:43]
	s_cbranch_vccz .LBB134_1075
; %bb.1025:
	s_and_b32 s42, 0xffff, s46
	s_cmp_lt_i32 s42, 5
	s_cbranch_scc1 .LBB134_1030
; %bb.1026:
	s_cmp_lt_i32 s42, 8
	s_cbranch_scc1 .LBB134_1031
; %bb.1027:
	;; [unrolled: 3-line block ×3, first 2 shown]
	s_cmp_gt_i32 s42, 9
	s_cbranch_scc0 .LBB134_1033
; %bb.1029:
	global_load_dwordx4 v[7:10], v[2:3], off
	s_mov_b64 s[0:1], 0
	s_waitcnt vmcnt(0)
	v_cvt_f32_f64_e32 v4, v[7:8]
	v_cvt_f32_f64_e32 v5, v[9:10]
	s_branch .LBB134_1034
.LBB134_1030:
	s_mov_b64 s[0:1], -1
                                        ; implicit-def: $vgpr5
	s_branch .LBB134_1053
.LBB134_1031:
	s_mov_b64 s[0:1], -1
                                        ; implicit-def: $vgpr5
	s_branch .LBB134_1040
.LBB134_1032:
	s_mov_b64 s[0:1], -1
                                        ; implicit-def: $vgpr5
	s_branch .LBB134_1037
.LBB134_1033:
	s_mov_b64 s[0:1], -1
                                        ; implicit-def: $vgpr5
.LBB134_1034:
	s_andn2_b64 vcc, exec, s[0:1]
	s_cbranch_vccnz .LBB134_1036
; %bb.1035:
	global_load_dwordx2 v[4:5], v[2:3], off
.LBB134_1036:
	s_mov_b64 s[0:1], 0
.LBB134_1037:
	s_andn2_b64 vcc, exec, s[0:1]
	s_cbranch_vccnz .LBB134_1039
; %bb.1038:
	global_load_dword v5, v[2:3], off
	s_waitcnt vmcnt(0)
	v_cvt_f32_f16_e32 v4, v5
	v_cvt_f32_f16_sdwa v5, v5 dst_sel:DWORD dst_unused:UNUSED_PAD src0_sel:WORD_1
.LBB134_1039:
	s_mov_b64 s[0:1], 0
.LBB134_1040:
	s_andn2_b64 vcc, exec, s[0:1]
	s_cbranch_vccnz .LBB134_1052
; %bb.1041:
	s_cmp_lt_i32 s42, 6
	s_cbranch_scc1 .LBB134_1044
; %bb.1042:
	s_cmp_gt_i32 s42, 6
	s_cbranch_scc0 .LBB134_1045
; %bb.1043:
	global_load_dwordx2 v[4:5], v[2:3], off
	s_mov_b64 s[0:1], 0
	s_waitcnt vmcnt(0)
	v_cvt_f32_f64_e32 v4, v[4:5]
	s_branch .LBB134_1046
.LBB134_1044:
	s_mov_b64 s[0:1], -1
                                        ; implicit-def: $vgpr4
	s_branch .LBB134_1049
.LBB134_1045:
	s_mov_b64 s[0:1], -1
                                        ; implicit-def: $vgpr4
.LBB134_1046:
	s_andn2_b64 vcc, exec, s[0:1]
	s_cbranch_vccnz .LBB134_1048
; %bb.1047:
	global_load_dword v4, v[2:3], off
.LBB134_1048:
	s_mov_b64 s[0:1], 0
.LBB134_1049:
	s_andn2_b64 vcc, exec, s[0:1]
	s_cbranch_vccnz .LBB134_1051
; %bb.1050:
	global_load_ushort v4, v[2:3], off
	s_waitcnt vmcnt(0)
	v_cvt_f32_f16_e32 v4, v4
.LBB134_1051:
	s_waitcnt vmcnt(0)
	v_mov_b32_e32 v5, 0
.LBB134_1052:
	s_mov_b64 s[0:1], 0
.LBB134_1053:
	s_andn2_b64 vcc, exec, s[0:1]
	s_cbranch_vccnz .LBB134_1074
; %bb.1054:
	s_cmp_lt_i32 s42, 2
	s_cbranch_scc1 .LBB134_1058
; %bb.1055:
	s_cmp_lt_i32 s42, 3
	s_cbranch_scc1 .LBB134_1059
; %bb.1056:
	s_cmp_gt_i32 s42, 3
	s_cbranch_scc0 .LBB134_1060
; %bb.1057:
	global_load_dwordx2 v[4:5], v[2:3], off
	s_mov_b64 s[0:1], 0
	s_waitcnt vmcnt(0)
	v_xor_b32_e32 v8, v4, v5
	v_ffbh_i32_e32 v7, v5
	v_ashrrev_i32_e32 v8, 31, v8
	v_add_u32_e32 v7, -1, v7
	v_add_u32_e32 v8, 32, v8
	v_min_u32_e32 v7, v7, v8
	v_lshlrev_b64 v[4:5], v7, v[4:5]
	v_min_u32_e32 v4, 1, v4
	v_or_b32_e32 v4, v5, v4
	v_cvt_f32_i32_e32 v4, v4
	v_sub_u32_e32 v5, 32, v7
	v_ldexp_f32 v4, v4, v5
	s_branch .LBB134_1061
.LBB134_1058:
	s_mov_b64 s[0:1], -1
                                        ; implicit-def: $vgpr4
	s_branch .LBB134_1067
.LBB134_1059:
	s_mov_b64 s[0:1], -1
                                        ; implicit-def: $vgpr4
	s_branch .LBB134_1064
.LBB134_1060:
	s_mov_b64 s[0:1], -1
                                        ; implicit-def: $vgpr4
.LBB134_1061:
	s_andn2_b64 vcc, exec, s[0:1]
	s_cbranch_vccnz .LBB134_1063
; %bb.1062:
	global_load_dword v4, v[2:3], off
	s_waitcnt vmcnt(0)
	v_cvt_f32_i32_e32 v4, v4
.LBB134_1063:
	s_mov_b64 s[0:1], 0
.LBB134_1064:
	s_andn2_b64 vcc, exec, s[0:1]
	s_cbranch_vccnz .LBB134_1066
; %bb.1065:
	global_load_sshort v4, v[2:3], off
	s_waitcnt vmcnt(0)
	v_cvt_f32_i32_e32 v4, v4
.LBB134_1066:
	s_mov_b64 s[0:1], 0
.LBB134_1067:
	s_andn2_b64 vcc, exec, s[0:1]
	s_cbranch_vccnz .LBB134_1073
; %bb.1068:
	s_cmp_gt_i32 s42, 0
	s_cbranch_scc0 .LBB134_1070
; %bb.1069:
	global_load_sbyte v4, v[2:3], off
	s_mov_b64 s[0:1], 0
	s_waitcnt vmcnt(0)
	v_cvt_f32_i32_e32 v4, v4
	s_branch .LBB134_1071
.LBB134_1070:
	s_mov_b64 s[0:1], -1
                                        ; implicit-def: $vgpr4
.LBB134_1071:
	s_andn2_b64 vcc, exec, s[0:1]
	s_cbranch_vccnz .LBB134_1073
; %bb.1072:
	global_load_ubyte v2, v[2:3], off
	s_waitcnt vmcnt(0)
	v_cvt_f32_ubyte0_e32 v4, v2
.LBB134_1073:
	s_waitcnt vmcnt(0)
	v_mov_b32_e32 v5, 0
.LBB134_1074:
	s_mov_b64 s[0:1], -1
.LBB134_1075:
	s_andn2_b64 vcc, exec, s[0:1]
	s_cbranch_vccnz .LBB134_1078
; %bb.1076:
	s_andn2_b64 vcc, exec, s[16:17]
	s_cbranch_vccnz .LBB134_1079
; %bb.1077:
	s_waitcnt vmcnt(0)
	v_cmp_neq_f32_e32 vcc, v0, v4
	v_cmp_neq_f32_e64 s[0:1], v1, v5
	s_or_b64 s[42:43], vcc, s[0:1]
	s_mov_b64 s[0:1], 0
	s_branch .LBB134_1080
.LBB134_1078:
	s_mov_b64 s[44:45], 0
                                        ; implicit-def: $vgpr6
	s_mov_b64 s[0:1], s[30:31]
	s_branch .LBB134_1204
.LBB134_1079:
	s_mov_b64 s[0:1], -1
                                        ; implicit-def: $sgpr42_sgpr43
.LBB134_1080:
	s_andn2_b64 vcc, exec, s[0:1]
	s_cbranch_vccnz .LBB134_1082
; %bb.1081:
	s_waitcnt vmcnt(0)
	v_cmp_eq_f32_e32 vcc, v0, v4
	v_cmp_eq_f32_e64 s[0:1], v1, v5
	s_and_b64 s[0:1], vcc, s[0:1]
	s_andn2_b64 s[42:43], s[42:43], exec
	s_and_b64 s[0:1], s[0:1], exec
	s_or_b64 s[42:43], s[42:43], s[0:1]
.LBB134_1082:
	s_waitcnt vmcnt(0)
	v_mul_lo_u32 v0, v6, s12
	v_mov_b32_e32 v1, s9
	s_and_b32 s51, s33, 0xff
	s_cmp_lt_i32 s51, 11
	v_ashrrev_i32_e32 v2, 31, v0
	v_add_co_u32_e32 v0, vcc, s8, v0
	v_addc_co_u32_e32 v1, vcc, v1, v2, vcc
	s_cbranch_scc1 .LBB134_1089
; %bb.1083:
	s_and_b32 s52, 0xffff, s51
	s_cmp_gt_i32 s52, 25
	s_cbranch_scc0 .LBB134_1090
; %bb.1084:
	s_cmp_gt_i32 s52, 28
	s_cbranch_scc0 .LBB134_1091
; %bb.1085:
	;; [unrolled: 3-line block ×4, first 2 shown]
	s_mov_b64 s[46:47], 0
	s_mov_b64 s[0:1], -1
	s_cmp_eq_u32 s52, 46
	s_mov_b64 s[44:45], 0
	s_cbranch_scc0 .LBB134_1094
; %bb.1088:
	v_cndmask_b32_e64 v2, 0, 1.0, s[42:43]
	v_bfe_u32 v3, v2, 16, 1
	s_movk_i32 s0, 0x7fff
	v_add3_u32 v2, v2, v3, s0
	v_lshrrev_b32_e32 v2, 16, v2
	global_store_dword v[0:1], v2, off
	s_mov_b64 s[44:45], -1
	s_mov_b64 s[0:1], 0
	s_branch .LBB134_1094
.LBB134_1089:
	s_mov_b64 s[46:47], -1
	s_mov_b64 s[44:45], 0
	s_mov_b64 s[0:1], s[30:31]
	s_branch .LBB134_1163
.LBB134_1090:
	s_mov_b64 s[46:47], -1
	s_mov_b64 s[44:45], 0
	s_mov_b64 s[0:1], s[30:31]
	s_branch .LBB134_1121
.LBB134_1091:
	s_mov_b64 s[46:47], -1
	s_mov_b64 s[44:45], 0
	s_mov_b64 s[0:1], s[30:31]
	s_branch .LBB134_1104
.LBB134_1092:
	s_mov_b64 s[46:47], -1
	s_mov_b64 s[44:45], 0
	s_mov_b64 s[0:1], s[30:31]
	s_branch .LBB134_1100
.LBB134_1093:
	s_mov_b64 s[46:47], -1
	s_mov_b64 s[44:45], 0
	s_mov_b64 s[0:1], s[30:31]
.LBB134_1094:
	s_and_b64 vcc, exec, s[46:47]
	s_cbranch_vccz .LBB134_1099
; %bb.1095:
	s_cmp_eq_u32 s52, 44
	s_mov_b64 s[0:1], -1
	s_cbranch_scc0 .LBB134_1099
; %bb.1096:
	v_cndmask_b32_e64 v3, 0, 1.0, s[42:43]
	v_lshrrev_b32_e32 v2, 23, v3
	s_movk_i32 s0, 0xff
	v_cmp_ne_u32_e32 vcc, s0, v2
	v_mov_b32_e32 v4, 0xff
	s_and_saveexec_b64 s[44:45], vcc
; %bb.1097:
	s_mov_b32 s0, 0x3fffff
	v_and_b32_e32 v4, 0x400000, v3
	v_and_or_b32 v3, v3, s0, v2
	v_cmp_ne_u32_e32 vcc, 0, v4
	v_cmp_ne_u32_e64 s[0:1], 0, v3
	s_and_b64 s[0:1], vcc, s[0:1]
	v_cndmask_b32_e64 v3, 0, 1, s[0:1]
	v_add_u32_e32 v4, v2, v3
; %bb.1098:
	s_or_b64 exec, exec, s[44:45]
	s_mov_b64 s[44:45], -1
	s_mov_b64 s[0:1], 0
	global_store_byte v[0:1], v4, off
.LBB134_1099:
	s_mov_b64 s[46:47], 0
.LBB134_1100:
	s_and_b64 vcc, exec, s[46:47]
	s_cbranch_vccz .LBB134_1103
; %bb.1101:
	s_cmp_eq_u32 s52, 29
	s_mov_b64 s[0:1], -1
	s_cbranch_scc0 .LBB134_1103
; %bb.1102:
	s_mov_b32 s0, 0
	v_cndmask_b32_e64 v2, 0, 1, s[42:43]
	v_mov_b32_e32 v3, s0
	global_store_dwordx2 v[0:1], v[2:3], off
	s_mov_b64 s[44:45], -1
	s_mov_b64 s[0:1], 0
.LBB134_1103:
	s_mov_b64 s[46:47], 0
.LBB134_1104:
	s_and_b64 vcc, exec, s[46:47]
	s_cbranch_vccz .LBB134_1120
; %bb.1105:
	s_cmp_lt_i32 s52, 27
	s_mov_b64 s[44:45], -1
	s_cbranch_scc1 .LBB134_1111
; %bb.1106:
	s_cmp_gt_i32 s52, 27
	s_cbranch_scc0 .LBB134_1108
; %bb.1107:
	v_cndmask_b32_e64 v2, 0, 1, s[42:43]
	s_mov_b64 s[44:45], 0
	global_store_dword v[0:1], v2, off
.LBB134_1108:
	s_andn2_b64 vcc, exec, s[44:45]
	s_cbranch_vccnz .LBB134_1110
; %bb.1109:
	v_cndmask_b32_e64 v2, 0, 1, s[42:43]
	global_store_short v[0:1], v2, off
.LBB134_1110:
	s_mov_b64 s[44:45], 0
.LBB134_1111:
	s_andn2_b64 vcc, exec, s[44:45]
	s_cbranch_vccnz .LBB134_1119
; %bb.1112:
	v_cndmask_b32_e64 v3, 0, 1.0, s[42:43]
	s_mov_b32 s44, 0x43800000
	v_cmp_gt_u32_e32 vcc, s44, v3
	v_mov_b32_e32 v4, 0x80
	s_and_saveexec_b64 s[44:45], vcc
	s_cbranch_execz .LBB134_1118
; %bb.1113:
	s_mov_b32 s46, 0x3bffffff
	v_cmp_lt_u32_e32 vcc, s46, v3
	s_mov_b64 s[46:47], 0
                                        ; implicit-def: $vgpr2
	s_and_saveexec_b64 s[48:49], vcc
	s_xor_b64 s[48:49], exec, s[48:49]
	s_cbranch_execz .LBB134_1220
; %bb.1114:
	v_bfe_u32 v2, v3, 20, 1
	s_mov_b32 s53, 0x487ffff
	v_add3_u32 v2, v3, v2, s53
	s_mov_b64 s[46:47], exec
	v_lshrrev_b32_e32 v2, 20, v2
                                        ; implicit-def: $vgpr3
	s_andn2_saveexec_b64 s[48:49], s[48:49]
	s_cbranch_execnz .LBB134_1221
.LBB134_1115:
	s_or_b64 exec, exec, s[48:49]
	v_mov_b32_e32 v4, 0
	s_and_saveexec_b64 s[48:49], s[46:47]
.LBB134_1116:
	v_mov_b32_e32 v4, v2
.LBB134_1117:
	s_or_b64 exec, exec, s[48:49]
.LBB134_1118:
	s_or_b64 exec, exec, s[44:45]
	global_store_byte v[0:1], v4, off
.LBB134_1119:
	s_mov_b64 s[44:45], -1
.LBB134_1120:
	s_mov_b64 s[46:47], 0
.LBB134_1121:
	s_and_b64 vcc, exec, s[46:47]
	s_cbranch_vccz .LBB134_1162
; %bb.1122:
	s_cmp_gt_i32 s52, 22
	s_mov_b64 s[46:47], -1
	s_cbranch_scc0 .LBB134_1154
; %bb.1123:
	s_cmp_lt_i32 s52, 24
	s_mov_b64 s[44:45], -1
	s_cbranch_scc1 .LBB134_1143
; %bb.1124:
	s_cmp_gt_i32 s52, 24
	s_cbranch_scc0 .LBB134_1132
; %bb.1125:
	v_cndmask_b32_e64 v3, 0, 1.0, s[42:43]
	s_mov_b32 s44, 0x47800000
	v_cmp_gt_u32_e32 vcc, s44, v3
	v_mov_b32_e32 v4, 0x80
	s_and_saveexec_b64 s[44:45], vcc
	s_cbranch_execz .LBB134_1131
; %bb.1126:
	s_mov_b32 s46, 0x37ffffff
	v_cmp_lt_u32_e32 vcc, s46, v3
	s_mov_b64 s[46:47], 0
                                        ; implicit-def: $vgpr2
	s_and_saveexec_b64 s[48:49], vcc
	s_xor_b64 s[48:49], exec, s[48:49]
	s_cbranch_execz .LBB134_2290
; %bb.1127:
	v_bfe_u32 v2, v3, 21, 1
	s_mov_b32 s53, 0x88fffff
	v_add3_u32 v2, v3, v2, s53
	s_mov_b64 s[46:47], exec
	v_lshrrev_b32_e32 v2, 21, v2
                                        ; implicit-def: $vgpr3
	s_andn2_saveexec_b64 s[48:49], s[48:49]
	s_cbranch_execnz .LBB134_2291
.LBB134_1128:
	s_or_b64 exec, exec, s[48:49]
	v_mov_b32_e32 v4, 0
	s_and_saveexec_b64 s[48:49], s[46:47]
.LBB134_1129:
	v_mov_b32_e32 v4, v2
.LBB134_1130:
	s_or_b64 exec, exec, s[48:49]
.LBB134_1131:
	s_or_b64 exec, exec, s[44:45]
	s_mov_b64 s[44:45], 0
	global_store_byte v[0:1], v4, off
.LBB134_1132:
	s_and_b64 vcc, exec, s[44:45]
	s_cbranch_vccz .LBB134_1142
; %bb.1133:
	v_cndmask_b32_e64 v2, 0, 1.0, s[42:43]
	s_mov_b32 s44, 0x43f00000
	v_cmp_gt_u32_e32 vcc, s44, v2
                                        ; implicit-def: $vgpr3
	s_and_saveexec_b64 s[44:45], vcc
	s_xor_b64 s[44:45], exec, s[44:45]
	s_cbranch_execz .LBB134_1139
; %bb.1134:
	s_mov_b32 s46, 0x3c7fffff
	v_cmp_lt_u32_e32 vcc, s46, v2
                                        ; implicit-def: $vgpr3
	s_and_saveexec_b64 s[46:47], vcc
	s_xor_b64 s[46:47], exec, s[46:47]
; %bb.1135:
	v_bfe_u32 v3, v2, 20, 1
	s_mov_b32 s48, 0x407ffff
	v_add3_u32 v2, v2, v3, s48
	v_lshrrev_b32_e32 v3, 20, v2
	v_and_b32_e32 v2, 0xff00000, v2
	s_mov_b32 s48, 0x7f00000
	v_mov_b32_e32 v4, 0x7e
	v_cmp_ne_u32_e32 vcc, s48, v2
	v_cndmask_b32_e32 v3, v4, v3, vcc
                                        ; implicit-def: $vgpr2
; %bb.1136:
	s_andn2_saveexec_b64 s[46:47], s[46:47]
; %bb.1137:
	v_add_f32_e32 v3, 0x46800000, v2
; %bb.1138:
	s_or_b64 exec, exec, s[46:47]
                                        ; implicit-def: $vgpr2
.LBB134_1139:
	s_andn2_saveexec_b64 s[44:45], s[44:45]
; %bb.1140:
	s_mov_b32 s46, 0x7f800000
	v_mov_b32_e32 v3, 0x7e
	v_mov_b32_e32 v4, 0x7f
	v_cmp_lt_u32_e32 vcc, s46, v2
	v_cndmask_b32_e32 v3, v3, v4, vcc
; %bb.1141:
	s_or_b64 exec, exec, s[44:45]
	global_store_byte v[0:1], v3, off
.LBB134_1142:
	s_mov_b64 s[44:45], 0
.LBB134_1143:
	s_andn2_b64 vcc, exec, s[44:45]
	s_cbranch_vccnz .LBB134_1153
; %bb.1144:
	v_cndmask_b32_e64 v2, 0, 1.0, s[42:43]
	s_mov_b32 s44, 0x47800000
	v_cmp_gt_u32_e32 vcc, s44, v2
                                        ; implicit-def: $vgpr3
	s_and_saveexec_b64 s[44:45], vcc
	s_xor_b64 s[44:45], exec, s[44:45]
	s_cbranch_execz .LBB134_1150
; %bb.1145:
	s_mov_b32 s46, 0x387fffff
	v_cmp_lt_u32_e32 vcc, s46, v2
                                        ; implicit-def: $vgpr3
	s_and_saveexec_b64 s[46:47], vcc
	s_xor_b64 s[46:47], exec, s[46:47]
; %bb.1146:
	v_bfe_u32 v3, v2, 21, 1
	s_mov_b32 s48, 0x80fffff
	v_add3_u32 v2, v2, v3, s48
	v_lshrrev_b32_e32 v3, 21, v2
                                        ; implicit-def: $vgpr2
; %bb.1147:
	s_andn2_saveexec_b64 s[46:47], s[46:47]
; %bb.1148:
	v_add_f32_e32 v3, 0x43000000, v2
; %bb.1149:
	s_or_b64 exec, exec, s[46:47]
                                        ; implicit-def: $vgpr2
.LBB134_1150:
	s_andn2_saveexec_b64 s[44:45], s[44:45]
; %bb.1151:
	s_mov_b32 s46, 0x7f800000
	v_mov_b32_e32 v3, 0x7c
	v_mov_b32_e32 v4, 0x7f
	v_cmp_lt_u32_e32 vcc, s46, v2
	v_cndmask_b32_e32 v3, v3, v4, vcc
; %bb.1152:
	s_or_b64 exec, exec, s[44:45]
	global_store_byte v[0:1], v3, off
.LBB134_1153:
	s_mov_b64 s[46:47], 0
	s_mov_b64 s[44:45], -1
.LBB134_1154:
	s_andn2_b64 vcc, exec, s[46:47]
	s_cbranch_vccnz .LBB134_1162
; %bb.1155:
	s_cmp_gt_i32 s52, 14
	s_mov_b64 s[46:47], -1
	s_cbranch_scc0 .LBB134_1159
; %bb.1156:
	s_cmp_eq_u32 s52, 15
	s_mov_b64 s[0:1], -1
	s_cbranch_scc0 .LBB134_1158
; %bb.1157:
	v_cndmask_b32_e64 v2, 0, 1.0, s[42:43]
	v_bfe_u32 v3, v2, 16, 1
	s_movk_i32 s0, 0x7fff
	v_add3_u32 v2, v2, v3, s0
	global_store_short_d16_hi v[0:1], v2, off
	s_mov_b64 s[44:45], -1
	s_mov_b64 s[0:1], 0
.LBB134_1158:
	s_mov_b64 s[46:47], 0
.LBB134_1159:
	s_and_b64 vcc, exec, s[46:47]
	s_cbranch_vccz .LBB134_1162
; %bb.1160:
	s_cmp_eq_u32 s52, 11
	s_mov_b64 s[0:1], -1
	s_cbranch_scc0 .LBB134_1162
; %bb.1161:
	v_cndmask_b32_e64 v2, 0, 1, s[42:43]
	s_mov_b64 s[44:45], -1
	s_mov_b64 s[0:1], 0
	global_store_byte v[0:1], v2, off
.LBB134_1162:
	s_mov_b64 s[46:47], 0
.LBB134_1163:
	s_and_b64 vcc, exec, s[46:47]
	s_cbranch_vccz .LBB134_1202
; %bb.1164:
	s_and_b32 s46, 0xffff, s51
	s_cmp_lt_i32 s46, 5
	s_mov_b64 s[44:45], -1
	s_cbranch_scc1 .LBB134_1185
; %bb.1165:
	s_cmp_lt_i32 s46, 8
	s_cbranch_scc1 .LBB134_1175
; %bb.1166:
	s_cmp_lt_i32 s46, 9
	s_cbranch_scc1 .LBB134_1172
; %bb.1167:
	s_cmp_gt_i32 s46, 9
	s_cbranch_scc0 .LBB134_1169
; %bb.1168:
	v_cndmask_b32_e64 v2, 0, 1, s[42:43]
	v_cvt_f64_u32_e32 v[2:3], v2
	v_mov_b32_e32 v4, 0
	v_mov_b32_e32 v5, v4
	s_mov_b64 s[44:45], 0
	global_store_dwordx4 v[0:1], v[2:5], off
.LBB134_1169:
	s_andn2_b64 vcc, exec, s[44:45]
	s_cbranch_vccnz .LBB134_1171
; %bb.1170:
	v_cndmask_b32_e64 v2, 0, 1.0, s[42:43]
	v_mov_b32_e32 v3, 0
	global_store_dwordx2 v[0:1], v[2:3], off
.LBB134_1171:
	s_mov_b64 s[44:45], 0
.LBB134_1172:
	s_andn2_b64 vcc, exec, s[44:45]
	s_cbranch_vccnz .LBB134_1174
; %bb.1173:
	v_cndmask_b32_e64 v2, 0, 1.0, s[42:43]
	v_cvt_f16_f32_e32 v2, v2
	global_store_dword v[0:1], v2, off
.LBB134_1174:
	s_mov_b64 s[44:45], 0
.LBB134_1175:
	s_andn2_b64 vcc, exec, s[44:45]
	s_cbranch_vccnz .LBB134_1184
; %bb.1176:
	s_cmp_lt_i32 s46, 6
	s_mov_b64 s[44:45], -1
	s_cbranch_scc1 .LBB134_1182
; %bb.1177:
	s_cmp_gt_i32 s46, 6
	s_cbranch_scc0 .LBB134_1179
; %bb.1178:
	v_cndmask_b32_e64 v2, 0, 1, s[42:43]
	v_cvt_f64_u32_e32 v[2:3], v2
	s_mov_b64 s[44:45], 0
	global_store_dwordx2 v[0:1], v[2:3], off
.LBB134_1179:
	s_andn2_b64 vcc, exec, s[44:45]
	s_cbranch_vccnz .LBB134_1181
; %bb.1180:
	v_cndmask_b32_e64 v2, 0, 1.0, s[42:43]
	global_store_dword v[0:1], v2, off
.LBB134_1181:
	s_mov_b64 s[44:45], 0
.LBB134_1182:
	s_andn2_b64 vcc, exec, s[44:45]
	s_cbranch_vccnz .LBB134_1184
; %bb.1183:
	v_cndmask_b32_e64 v2, 0, 1.0, s[42:43]
	v_cvt_f16_f32_e32 v2, v2
	global_store_short v[0:1], v2, off
.LBB134_1184:
	s_mov_b64 s[44:45], 0
.LBB134_1185:
	s_andn2_b64 vcc, exec, s[44:45]
	s_cbranch_vccnz .LBB134_1201
; %bb.1186:
	s_cmp_lt_i32 s46, 2
	s_mov_b64 s[44:45], -1
	s_cbranch_scc1 .LBB134_1196
; %bb.1187:
	s_cmp_lt_i32 s46, 3
	s_cbranch_scc1 .LBB134_1193
; %bb.1188:
	s_cmp_gt_i32 s46, 3
	s_cbranch_scc0 .LBB134_1190
; %bb.1189:
	s_mov_b32 s44, 0
	v_cndmask_b32_e64 v2, 0, 1, s[42:43]
	v_mov_b32_e32 v3, s44
	s_mov_b64 s[44:45], 0
	global_store_dwordx2 v[0:1], v[2:3], off
.LBB134_1190:
	s_andn2_b64 vcc, exec, s[44:45]
	s_cbranch_vccnz .LBB134_1192
; %bb.1191:
	v_cndmask_b32_e64 v2, 0, 1, s[42:43]
	global_store_dword v[0:1], v2, off
.LBB134_1192:
	s_mov_b64 s[44:45], 0
.LBB134_1193:
	s_andn2_b64 vcc, exec, s[44:45]
	s_cbranch_vccnz .LBB134_1195
; %bb.1194:
	v_cndmask_b32_e64 v2, 0, 1, s[42:43]
	global_store_short v[0:1], v2, off
.LBB134_1195:
	s_mov_b64 s[44:45], 0
.LBB134_1196:
	s_andn2_b64 vcc, exec, s[44:45]
	s_cbranch_vccnz .LBB134_1201
; %bb.1197:
	s_mov_b64 s[44:45], -1
	s_cmp_gt_i32 s46, 0
	v_cndmask_b32_e64 v2, 0, 1, s[42:43]
	s_cbranch_scc0 .LBB134_1199
; %bb.1198:
	s_mov_b64 s[44:45], 0
	global_store_byte v[0:1], v2, off
.LBB134_1199:
	s_andn2_b64 vcc, exec, s[44:45]
	s_cbranch_vccnz .LBB134_1201
; %bb.1200:
	global_store_byte v[0:1], v2, off
.LBB134_1201:
	s_mov_b64 s[44:45], -1
.LBB134_1202:
	s_andn2_b64 vcc, exec, s[44:45]
	s_cbranch_vccnz .LBB134_1215
; %bb.1203:
	v_add_u32_e32 v6, 0x80, v6
	s_mov_b64 s[44:45], -1
.LBB134_1204:
	s_andn2_b64 s[42:43], s[30:31], exec
	s_and_b64 s[0:1], s[0:1], exec
	s_or_b64 s[42:43], s[42:43], s[0:1]
	s_andn2_b64 s[0:1], s[28:29], exec
	s_and_b64 s[40:41], s[40:41], exec
	s_or_b64 s[40:41], s[0:1], s[40:41]
	;; [unrolled: 3-line block ×3, first 2 shown]
	s_orn2_b64 s[48:49], s[44:45], exec
.LBB134_1205:
	s_or_b64 exec, exec, s[36:37]
	s_mov_b64 s[44:45], 0
	s_mov_b64 s[38:39], 0
	;; [unrolled: 1-line block ×3, first 2 shown]
                                        ; implicit-def: $sgpr58
                                        ; implicit-def: $vgpr2_vgpr3
                                        ; implicit-def: $vgpr1
	s_and_saveexec_b64 s[36:37], s[48:49]
	s_cbranch_execz .LBB134_1292
; %bb.1206:
	v_cmp_gt_i32_e32 vcc, s50, v6
	s_mov_b64 s[48:49], 0
	s_mov_b64 s[50:51], s[0:1]
	;; [unrolled: 1-line block ×4, first 2 shown]
                                        ; implicit-def: $sgpr58
                                        ; implicit-def: $vgpr2_vgpr3
                                        ; implicit-def: $vgpr1
	s_and_saveexec_b64 s[38:39], vcc
	s_cbranch_execz .LBB134_1291
; %bb.1207:
	s_waitcnt vmcnt(0)
	v_mul_lo_u32 v0, v6, s13
	v_mov_b32_e32 v1, s11
	s_and_b32 s58, s57, 0xff
	s_cmp_lt_i32 s58, 11
	v_ashrrev_i32_e32 v3, 31, v0
	v_add_co_u32_e32 v2, vcc, s10, v0
	v_addc_co_u32_e32 v3, vcc, v1, v3, vcc
	s_cbranch_scc1 .LBB134_1214
; %bb.1208:
	s_and_b32 s54, 0xffff, s58
	s_cmp_gt_i32 s54, 25
	s_cbranch_scc0 .LBB134_1216
; %bb.1209:
	s_cmp_gt_i32 s54, 28
	s_cbranch_scc0 .LBB134_1217
; %bb.1210:
	;; [unrolled: 3-line block ×4, first 2 shown]
	s_cmp_eq_u32 s54, 46
	s_mov_b64 s[50:51], 0
	s_cbranch_scc0 .LBB134_1222
; %bb.1213:
	global_load_dword v0, v[2:3], off
	s_mov_b64 s[48:49], -1
	s_waitcnt vmcnt(0)
	v_and_b32_e32 v1, 0xffff0000, v0
	v_lshlrev_b32_e32 v0, 16, v0
	s_branch .LBB134_1224
.LBB134_1214:
	s_mov_b64 s[50:51], -1
                                        ; implicit-def: $vgpr1
	s_mov_b64 s[44:45], s[0:1]
	s_branch .LBB134_1290
.LBB134_1215:
	s_mov_b64 s[44:45], 0
	s_branch .LBB134_947
.LBB134_1216:
	s_mov_b64 s[50:51], -1
	s_mov_b64 s[44:45], s[0:1]
                                        ; implicit-def: $vgpr1
	s_branch .LBB134_1255
.LBB134_1217:
	s_mov_b64 s[50:51], -1
	s_mov_b64 s[44:45], s[0:1]
                                        ; implicit-def: $vgpr1
	s_branch .LBB134_1236
.LBB134_1218:
	s_mov_b64 s[50:51], -1
	s_mov_b64 s[44:45], s[0:1]
                                        ; implicit-def: $vgpr1
	s_branch .LBB134_1230
.LBB134_1219:
	s_mov_b64 s[50:51], -1
	s_mov_b64 s[44:45], s[0:1]
	s_branch .LBB134_1223
.LBB134_1220:
	s_andn2_saveexec_b64 s[48:49], s[48:49]
	s_cbranch_execz .LBB134_1115
.LBB134_1221:
	v_add_f32_e32 v2, 0x46000000, v3
	v_and_b32_e32 v2, 0xff, v2
	v_cmp_ne_u32_e32 vcc, 0, v2
	s_andn2_b64 s[46:47], s[46:47], exec
	s_and_b64 s[54:55], vcc, exec
	s_or_b64 s[46:47], s[46:47], s[54:55]
	s_or_b64 exec, exec, s[48:49]
	v_mov_b32_e32 v4, 0
	s_and_saveexec_b64 s[48:49], s[46:47]
	s_cbranch_execnz .LBB134_1116
	s_branch .LBB134_1117
.LBB134_1222:
	s_mov_b64 s[44:45], -1
.LBB134_1223:
                                        ; implicit-def: $vgpr1
.LBB134_1224:
	s_and_b64 vcc, exec, s[50:51]
	s_cbranch_vccz .LBB134_1229
; %bb.1225:
	s_cmp_eq_u32 s54, 44
	s_cbranch_scc0 .LBB134_1227
; %bb.1226:
	global_load_ubyte v0, v[2:3], off
	s_movk_i32 s48, 0xff
	v_mov_b32_e32 v1, 0x7f800001
	v_mov_b32_e32 v4, 0x400000
	s_mov_b64 s[44:45], 0
	s_waitcnt vmcnt(0)
	v_lshlrev_b32_e32 v5, 23, v0
	v_cmp_ne_u32_e32 vcc, s48, v0
	v_cndmask_b32_e32 v1, v1, v5, vcc
	v_cmp_ne_u32_e32 vcc, 0, v0
	v_cndmask_b32_e32 v0, v4, v1, vcc
	s_mov_b64 s[48:49], -1
	s_branch .LBB134_1228
.LBB134_1227:
	s_mov_b64 s[44:45], -1
                                        ; implicit-def: $vgpr0
.LBB134_1228:
	v_mov_b32_e32 v1, 0
.LBB134_1229:
	s_mov_b64 s[50:51], 0
.LBB134_1230:
	s_and_b64 vcc, exec, s[50:51]
	s_cbranch_vccz .LBB134_1235
; %bb.1231:
	s_cmp_eq_u32 s54, 29
	s_cbranch_scc0 .LBB134_1233
; %bb.1232:
	global_load_dwordx2 v[0:1], v[2:3], off
	s_mov_b64 s[44:45], 0
	s_mov_b64 s[48:49], -1
	s_waitcnt vmcnt(0)
	v_ffbh_u32_e32 v4, v1
	v_min_u32_e32 v4, 32, v4
	v_lshlrev_b64 v[0:1], v4, v[0:1]
	v_min_u32_e32 v0, 1, v0
	v_or_b32_e32 v0, v1, v0
	v_cvt_f32_u32_e32 v0, v0
	v_sub_u32_e32 v1, 32, v4
	v_ldexp_f32 v0, v0, v1
	s_branch .LBB134_1234
.LBB134_1233:
	s_mov_b64 s[44:45], -1
                                        ; implicit-def: $vgpr0
.LBB134_1234:
	v_mov_b32_e32 v1, 0
.LBB134_1235:
	s_mov_b64 s[50:51], 0
.LBB134_1236:
	s_and_b64 vcc, exec, s[50:51]
	s_cbranch_vccz .LBB134_1254
; %bb.1237:
	s_cmp_lt_i32 s54, 27
	s_cbranch_scc1 .LBB134_1240
; %bb.1238:
	s_cmp_gt_i32 s54, 27
	s_cbranch_scc0 .LBB134_1241
; %bb.1239:
	global_load_dword v0, v[2:3], off
	s_mov_b64 s[48:49], 0
	s_waitcnt vmcnt(0)
	v_cvt_f32_u32_e32 v0, v0
	s_branch .LBB134_1242
.LBB134_1240:
	s_mov_b64 s[48:49], -1
                                        ; implicit-def: $vgpr0
	s_branch .LBB134_1245
.LBB134_1241:
	s_mov_b64 s[48:49], -1
                                        ; implicit-def: $vgpr0
.LBB134_1242:
	s_andn2_b64 vcc, exec, s[48:49]
	s_cbranch_vccnz .LBB134_1244
; %bb.1243:
	global_load_ushort v0, v[2:3], off
	s_waitcnt vmcnt(0)
	v_cvt_f32_u32_e32 v0, v0
.LBB134_1244:
	s_mov_b64 s[48:49], 0
.LBB134_1245:
	s_andn2_b64 vcc, exec, s[48:49]
	s_cbranch_vccnz .LBB134_1253
; %bb.1246:
	global_load_ubyte v1, v[2:3], off
	s_movk_i32 s48, 0x7f
	s_waitcnt vmcnt(0)
	v_cmp_lt_i16_e32 vcc, s48, v1
	s_mov_b64 s[48:49], 0
	s_and_saveexec_b64 s[50:51], vcc
	s_xor_b64 s[50:51], exec, s[50:51]
	s_cbranch_execz .LBB134_1267
; %bb.1247:
	s_movk_i32 s48, 0x80
	v_cmp_eq_u16_e32 vcc, s48, v1
	s_mov_b64 s[48:49], -1
	s_and_saveexec_b64 s[52:53], vcc
; %bb.1248:
	s_xor_b64 s[48:49], exec, -1
; %bb.1249:
	s_or_b64 exec, exec, s[52:53]
	s_and_b64 s[48:49], s[48:49], exec
	s_or_saveexec_b64 s[50:51], s[50:51]
	v_mov_b32_e32 v0, 0x7f800001
	s_xor_b64 exec, exec, s[50:51]
	s_cbranch_execnz .LBB134_1268
.LBB134_1250:
	s_or_b64 exec, exec, s[50:51]
	s_and_saveexec_b64 s[50:51], s[48:49]
	s_cbranch_execz .LBB134_1252
.LBB134_1251:
	v_lshlrev_b32_e32 v0, 24, v1
	v_and_b32_e32 v1, 0xffff, v1
	v_and_b32_e32 v4, 7, v1
	v_ffbh_u32_e32 v7, v4
	v_min_u32_e32 v7, 32, v7
	v_subrev_u32_e32 v8, 28, v7
	v_bfe_u32 v5, v1, 3, 4
	v_lshlrev_b32_e32 v1, v8, v1
	v_sub_u32_e32 v7, 29, v7
	v_and_b32_e32 v1, 7, v1
	v_cmp_eq_u32_e32 vcc, 0, v5
	v_cndmask_b32_e32 v5, v5, v7, vcc
	v_cndmask_b32_e32 v1, v4, v1, vcc
	v_mov_b32_e32 v4, 0x3b800000
	v_lshlrev_b32_e32 v1, 20, v1
	v_and_b32_e32 v0, 0x80000000, v0
	v_lshl_add_u32 v4, v5, 23, v4
	v_or3_b32 v0, v0, v4, v1
.LBB134_1252:
	s_or_b64 exec, exec, s[50:51]
.LBB134_1253:
	s_mov_b64 s[48:49], -1
	v_mov_b32_e32 v1, 0
.LBB134_1254:
	s_mov_b64 s[50:51], 0
.LBB134_1255:
	s_and_b64 vcc, exec, s[50:51]
	s_cbranch_vccz .LBB134_1289
; %bb.1256:
	s_cmp_gt_i32 s54, 22
	s_cbranch_scc0 .LBB134_1266
; %bb.1257:
	s_cmp_lt_i32 s54, 24
	s_cbranch_scc1 .LBB134_1269
; %bb.1258:
	s_cmp_gt_i32 s54, 24
	s_cbranch_scc0 .LBB134_1270
; %bb.1259:
	global_load_ubyte v1, v[2:3], off
	s_movk_i32 s46, 0x7f
	s_waitcnt vmcnt(0)
	v_cmp_lt_i16_e32 vcc, s46, v1
	s_mov_b64 s[46:47], 0
	s_and_saveexec_b64 s[48:49], vcc
	s_xor_b64 s[48:49], exec, s[48:49]
	s_cbranch_execz .LBB134_1282
; %bb.1260:
	s_movk_i32 s46, 0x80
	v_cmp_eq_u16_e32 vcc, s46, v1
	s_mov_b64 s[46:47], -1
	s_and_saveexec_b64 s[50:51], vcc
; %bb.1261:
	s_xor_b64 s[46:47], exec, -1
; %bb.1262:
	s_or_b64 exec, exec, s[50:51]
	s_and_b64 s[46:47], s[46:47], exec
	s_or_saveexec_b64 s[48:49], s[48:49]
	v_mov_b32_e32 v0, 0x7f800001
	s_xor_b64 exec, exec, s[48:49]
	s_cbranch_execnz .LBB134_1283
.LBB134_1263:
	s_or_b64 exec, exec, s[48:49]
	s_and_saveexec_b64 s[48:49], s[46:47]
	s_cbranch_execz .LBB134_1265
.LBB134_1264:
	v_lshlrev_b32_e32 v0, 24, v1
	v_and_b32_e32 v1, 0xffff, v1
	v_and_b32_e32 v4, 3, v1
	v_ffbh_u32_e32 v7, v4
	v_min_u32_e32 v7, 32, v7
	v_subrev_u32_e32 v8, 29, v7
	v_bfe_u32 v5, v1, 2, 5
	v_lshlrev_b32_e32 v1, v8, v1
	v_sub_u32_e32 v7, 30, v7
	v_and_b32_e32 v1, 3, v1
	v_cmp_eq_u32_e32 vcc, 0, v5
	v_cndmask_b32_e32 v5, v5, v7, vcc
	v_cndmask_b32_e32 v1, v4, v1, vcc
	v_mov_b32_e32 v4, 0x37800000
	v_lshlrev_b32_e32 v1, 21, v1
	v_and_b32_e32 v0, 0x80000000, v0
	v_lshl_add_u32 v4, v5, 23, v4
	v_or3_b32 v0, v0, v4, v1
.LBB134_1265:
	s_or_b64 exec, exec, s[48:49]
	s_mov_b64 s[46:47], 0
	s_branch .LBB134_1271
.LBB134_1266:
	s_mov_b64 s[46:47], -1
                                        ; implicit-def: $vgpr0
	s_branch .LBB134_1277
.LBB134_1267:
	s_or_saveexec_b64 s[50:51], s[50:51]
	v_mov_b32_e32 v0, 0x7f800001
	s_xor_b64 exec, exec, s[50:51]
	s_cbranch_execz .LBB134_1250
.LBB134_1268:
	v_cmp_ne_u16_e32 vcc, 0, v1
	s_andn2_b64 s[48:49], s[48:49], exec
	s_and_b64 s[52:53], vcc, exec
	v_mov_b32_e32 v0, 0
	s_or_b64 s[48:49], s[48:49], s[52:53]
	s_or_b64 exec, exec, s[50:51]
	s_and_saveexec_b64 s[50:51], s[48:49]
	s_cbranch_execnz .LBB134_1251
	s_branch .LBB134_1252
.LBB134_1269:
	s_mov_b64 s[46:47], -1
                                        ; implicit-def: $vgpr0
	s_branch .LBB134_1274
.LBB134_1270:
	s_mov_b64 s[46:47], -1
                                        ; implicit-def: $vgpr0
.LBB134_1271:
	s_and_b64 vcc, exec, s[46:47]
	s_cbranch_vccz .LBB134_1273
; %bb.1272:
	global_load_ubyte v0, v[2:3], off
	s_mov_b32 s46, 0x7f800000
	s_waitcnt vmcnt(0)
	v_lshlrev_b32_e32 v0, 24, v0
	v_and_b32_e32 v1, 0x7f000000, v0
	v_ffbh_u32_e32 v4, v1
	v_min_u32_e32 v4, 32, v4
	v_sub_u32_e64 v4, v4, 4 clamp
	v_lshlrev_b32_e32 v7, v4, v1
	v_lshlrev_b32_e32 v4, 23, v4
	v_lshrrev_b32_e32 v7, 4, v7
	v_add_u32_e32 v5, 0x1000000, v1
	v_sub_u32_e32 v4, v7, v4
	v_ashrrev_i32_e32 v5, 8, v5
	v_add_u32_e32 v4, 0x3c000000, v4
	v_and_or_b32 v4, v5, s46, v4
	v_cmp_ne_u32_e32 vcc, 0, v1
	v_cndmask_b32_e32 v1, 0, v4, vcc
	s_brev_b32 s46, 1
	v_and_or_b32 v0, v0, s46, v1
.LBB134_1273:
	s_mov_b64 s[46:47], 0
.LBB134_1274:
	s_andn2_b64 vcc, exec, s[46:47]
	s_cbranch_vccnz .LBB134_1276
; %bb.1275:
	global_load_ubyte v0, v[2:3], off
	s_movk_i32 s46, 0x7f00
	s_brev_b32 s47, 16
	s_waitcnt vmcnt(0)
	v_lshlrev_b16_e32 v1, 8, v0
	v_lshlrev_b32_e32 v0, 25, v0
	v_lshrrev_b32_e32 v4, 4, v0
	v_and_or_b32 v5, v1, s46, 0.5
	v_or_b32_e32 v4, 0x70000000, v4
	v_add_f32_e32 v5, -0.5, v5
	v_mul_f32_e32 v4, 0x7800000, v4
	v_cmp_gt_u32_e32 vcc, s47, v0
	v_bfe_i32 v1, v1, 0, 16
	v_cndmask_b32_e32 v0, v4, v5, vcc
	s_brev_b32 s46, 1
	v_and_or_b32 v0, v1, s46, v0
.LBB134_1276:
	s_mov_b64 s[46:47], 0
	s_mov_b64 s[48:49], -1
.LBB134_1277:
	s_andn2_b64 vcc, exec, s[46:47]
	s_mov_b64 s[46:47], 0
	s_cbranch_vccnz .LBB134_1288
; %bb.1278:
	s_cmp_gt_i32 s54, 14
	s_cbranch_scc0 .LBB134_1281
; %bb.1279:
	s_cmp_eq_u32 s54, 15
	s_cbranch_scc0 .LBB134_1284
; %bb.1280:
	global_load_ushort v0, v[2:3], off
	s_mov_b64 s[44:45], 0
	s_mov_b64 s[48:49], -1
	s_waitcnt vmcnt(0)
	v_lshlrev_b32_e32 v0, 16, v0
	s_branch .LBB134_1285
.LBB134_1281:
	s_mov_b64 s[50:51], -1
                                        ; implicit-def: $vgpr0
	s_branch .LBB134_1286
.LBB134_1282:
	s_or_saveexec_b64 s[48:49], s[48:49]
	v_mov_b32_e32 v0, 0x7f800001
	s_xor_b64 exec, exec, s[48:49]
	s_cbranch_execz .LBB134_1263
.LBB134_1283:
	v_cmp_ne_u16_e32 vcc, 0, v1
	s_andn2_b64 s[46:47], s[46:47], exec
	s_and_b64 s[50:51], vcc, exec
	v_mov_b32_e32 v0, 0
	s_or_b64 s[46:47], s[46:47], s[50:51]
	s_or_b64 exec, exec, s[48:49]
	s_and_saveexec_b64 s[48:49], s[46:47]
	s_cbranch_execnz .LBB134_1264
	s_branch .LBB134_1265
.LBB134_1284:
	s_mov_b64 s[44:45], -1
                                        ; implicit-def: $vgpr0
.LBB134_1285:
	s_mov_b64 s[50:51], 0
.LBB134_1286:
	s_and_b64 vcc, exec, s[50:51]
	s_cbranch_vccz .LBB134_1288
; %bb.1287:
	s_cmp_lg_u32 s54, 11
	s_cselect_b64 s[50:51], -1, 0
	s_andn2_b64 s[44:45], s[44:45], exec
	s_and_b64 s[50:51], s[50:51], exec
	s_mov_b64 s[46:47], -1
	s_or_b64 s[44:45], s[44:45], s[50:51]
.LBB134_1288:
	v_mov_b32_e32 v1, 0
.LBB134_1289:
	s_mov_b64 s[50:51], 0
.LBB134_1290:
	s_and_b64 s[54:55], s[48:49], exec
	s_and_b64 s[48:49], s[46:47], exec
	s_andn2_b64 s[46:47], s[0:1], exec
	s_and_b64 s[44:45], s[44:45], exec
	s_and_b64 s[52:53], s[50:51], exec
	s_or_b64 s[50:51], s[46:47], s[44:45]
.LBB134_1291:
	s_or_b64 exec, exec, s[38:39]
	s_and_b64 s[44:45], s[48:49], exec
	s_andn2_b64 s[0:1], s[0:1], exec
	s_and_b64 s[48:49], s[50:51], exec
	s_and_b64 s[46:47], s[54:55], exec
	;; [unrolled: 1-line block ×3, first 2 shown]
	s_or_b64 s[0:1], s[0:1], s[48:49]
.LBB134_1292:
	s_or_b64 exec, exec, s[36:37]
	s_andn2_b64 s[30:31], s[30:31], exec
	s_and_b64 s[36:37], s[42:43], exec
	s_or_b64 s[30:31], s[30:31], s[36:37]
	s_andn2_b64 s[28:29], s[28:29], exec
	s_and_b64 s[36:37], s[40:41], exec
	s_andn2_b64 s[26:27], s[26:27], exec
	s_and_b64 s[0:1], s[0:1], exec
	s_or_b64 s[28:29], s[28:29], s[36:37]
	s_and_b64 s[40:41], s[46:47], exec
	s_and_b64 s[38:39], s[38:39], exec
	;; [unrolled: 1-line block ×3, first 2 shown]
	s_or_b64 s[26:27], s[26:27], s[0:1]
.LBB134_1293:
	s_or_b64 exec, exec, s[34:35]
	s_andn2_b64 s[0:1], s[18:19], exec
	s_and_b64 s[18:19], s[30:31], exec
	s_or_b64 s[18:19], s[0:1], s[18:19]
	s_andn2_b64 s[0:1], s[20:21], exec
	s_and_b64 s[20:21], s[28:29], exec
	s_or_b64 s[20:21], s[0:1], s[20:21]
	s_andn2_b64 s[0:1], s[22:23], exec
	s_and_b64 s[22:23], s[26:27], exec
	s_and_b64 s[30:31], s[40:41], exec
	;; [unrolled: 1-line block ×4, first 2 shown]
	s_or_b64 s[22:23], s[0:1], s[22:23]
	s_or_b64 exec, exec, s[24:25]
	s_mov_b64 s[24:25], 0
	s_and_saveexec_b64 s[0:1], s[22:23]
	s_cbranch_execz .LBB134_406
.LBB134_1294:
	s_mov_b64 s[24:25], exec
	s_andn2_b64 s[28:29], s[28:29], exec
	s_trap 2
	s_or_b64 exec, exec, s[0:1]
	s_and_saveexec_b64 s[0:1], s[28:29]
	s_xor_b64 s[0:1], exec, s[0:1]
	s_cbranch_execnz .LBB134_407
.LBB134_1295:
	s_or_b64 exec, exec, s[0:1]
	s_and_saveexec_b64 s[0:1], s[34:35]
	s_cbranch_execz .LBB134_1343
.LBB134_1296:
	s_sext_i32_i16 s22, s58
	s_cmp_lt_i32 s22, 5
	s_cbranch_scc1 .LBB134_1301
; %bb.1297:
	s_cmp_lt_i32 s22, 8
	s_cbranch_scc1 .LBB134_1302
; %bb.1298:
	;; [unrolled: 3-line block ×3, first 2 shown]
	s_cmp_gt_i32 s22, 9
	s_cbranch_scc0 .LBB134_1304
; %bb.1300:
	global_load_dwordx4 v[7:10], v[2:3], off
	s_mov_b64 s[22:23], 0
	s_waitcnt vmcnt(0)
	v_cvt_f32_f64_e32 v0, v[7:8]
	v_cvt_f32_f64_e32 v1, v[9:10]
	s_branch .LBB134_1305
.LBB134_1301:
                                        ; implicit-def: $vgpr1
	s_branch .LBB134_1323
.LBB134_1302:
                                        ; implicit-def: $vgpr1
	s_branch .LBB134_1311
.LBB134_1303:
	s_mov_b64 s[22:23], -1
                                        ; implicit-def: $vgpr1
	s_branch .LBB134_1308
.LBB134_1304:
	s_mov_b64 s[22:23], -1
                                        ; implicit-def: $vgpr1
.LBB134_1305:
	s_andn2_b64 vcc, exec, s[22:23]
	s_cbranch_vccnz .LBB134_1307
; %bb.1306:
	global_load_dwordx2 v[0:1], v[2:3], off
.LBB134_1307:
	s_mov_b64 s[22:23], 0
.LBB134_1308:
	s_andn2_b64 vcc, exec, s[22:23]
	s_cbranch_vccnz .LBB134_1310
; %bb.1309:
	global_load_dword v1, v[2:3], off
	s_waitcnt vmcnt(0)
	v_cvt_f32_f16_e32 v0, v1
	v_cvt_f32_f16_sdwa v1, v1 dst_sel:DWORD dst_unused:UNUSED_PAD src0_sel:WORD_1
.LBB134_1310:
	s_cbranch_execnz .LBB134_1322
.LBB134_1311:
	s_sext_i32_i16 s22, s58
	s_cmp_lt_i32 s22, 6
	s_cbranch_scc1 .LBB134_1314
; %bb.1312:
	s_cmp_gt_i32 s22, 6
	s_cbranch_scc0 .LBB134_1315
; %bb.1313:
	global_load_dwordx2 v[0:1], v[2:3], off
	s_mov_b64 s[22:23], 0
	s_waitcnt vmcnt(0)
	v_cvt_f32_f64_e32 v0, v[0:1]
	s_branch .LBB134_1316
.LBB134_1314:
	s_mov_b64 s[22:23], -1
                                        ; implicit-def: $vgpr0
	s_branch .LBB134_1319
.LBB134_1315:
	s_mov_b64 s[22:23], -1
                                        ; implicit-def: $vgpr0
.LBB134_1316:
	s_andn2_b64 vcc, exec, s[22:23]
	s_cbranch_vccnz .LBB134_1318
; %bb.1317:
	global_load_dword v0, v[2:3], off
.LBB134_1318:
	s_mov_b64 s[22:23], 0
.LBB134_1319:
	s_andn2_b64 vcc, exec, s[22:23]
	s_cbranch_vccnz .LBB134_1321
; %bb.1320:
	global_load_ushort v0, v[2:3], off
	s_waitcnt vmcnt(0)
	v_cvt_f32_f16_e32 v0, v0
.LBB134_1321:
	s_waitcnt vmcnt(0)
	v_mov_b32_e32 v1, 0
.LBB134_1322:
	s_cbranch_execnz .LBB134_1342
.LBB134_1323:
	s_sext_i32_i16 s22, s58
	s_cmp_lt_i32 s22, 2
	s_cbranch_scc1 .LBB134_1327
; %bb.1324:
	s_cmp_lt_i32 s22, 3
	s_cbranch_scc1 .LBB134_1328
; %bb.1325:
	s_cmp_gt_i32 s22, 3
	s_cbranch_scc0 .LBB134_1329
; %bb.1326:
	global_load_dwordx2 v[0:1], v[2:3], off
	s_mov_b64 s[22:23], 0
	s_waitcnt vmcnt(0)
	v_xor_b32_e32 v5, v0, v1
	v_ffbh_i32_e32 v4, v1
	v_ashrrev_i32_e32 v5, 31, v5
	v_add_u32_e32 v4, -1, v4
	v_add_u32_e32 v5, 32, v5
	v_min_u32_e32 v4, v4, v5
	v_lshlrev_b64 v[0:1], v4, v[0:1]
	v_min_u32_e32 v0, 1, v0
	v_or_b32_e32 v0, v1, v0
	v_cvt_f32_i32_e32 v0, v0
	v_sub_u32_e32 v1, 32, v4
	v_ldexp_f32 v0, v0, v1
	s_branch .LBB134_1330
.LBB134_1327:
                                        ; implicit-def: $vgpr0
	s_branch .LBB134_1336
.LBB134_1328:
	s_mov_b64 s[22:23], -1
                                        ; implicit-def: $vgpr0
	s_branch .LBB134_1333
.LBB134_1329:
	s_mov_b64 s[22:23], -1
                                        ; implicit-def: $vgpr0
.LBB134_1330:
	s_andn2_b64 vcc, exec, s[22:23]
	s_cbranch_vccnz .LBB134_1332
; %bb.1331:
	global_load_dword v0, v[2:3], off
	s_waitcnt vmcnt(0)
	v_cvt_f32_i32_e32 v0, v0
.LBB134_1332:
	s_mov_b64 s[22:23], 0
.LBB134_1333:
	s_andn2_b64 vcc, exec, s[22:23]
	s_cbranch_vccnz .LBB134_1335
; %bb.1334:
	global_load_sshort v0, v[2:3], off
	s_waitcnt vmcnt(0)
	v_cvt_f32_i32_e32 v0, v0
.LBB134_1335:
	s_cbranch_execnz .LBB134_1341
.LBB134_1336:
	s_sext_i32_i16 s22, s58
	s_cmp_gt_i32 s22, 0
	s_cbranch_scc0 .LBB134_1338
; %bb.1337:
	global_load_sbyte v0, v[2:3], off
	s_mov_b64 s[22:23], 0
	s_waitcnt vmcnt(0)
	v_cvt_f32_i32_e32 v0, v0
	s_branch .LBB134_1339
.LBB134_1338:
	s_mov_b64 s[22:23], -1
                                        ; implicit-def: $vgpr0
.LBB134_1339:
	s_andn2_b64 vcc, exec, s[22:23]
	s_cbranch_vccnz .LBB134_1341
; %bb.1340:
	global_load_ubyte v0, v[2:3], off
	s_waitcnt vmcnt(0)
	v_cvt_f32_ubyte0_e32 v0, v0
.LBB134_1341:
	s_waitcnt vmcnt(0)
	v_mov_b32_e32 v1, 0
.LBB134_1342:
	s_or_b64 s[30:31], s[30:31], exec
.LBB134_1343:
	s_or_b64 exec, exec, s[0:1]
	s_mov_b64 s[26:27], 0
	s_mov_b64 s[34:35], 0
	;; [unrolled: 1-line block ×3, first 2 shown]
                                        ; implicit-def: $sgpr36
                                        ; implicit-def: $vgpr2_vgpr3
                                        ; implicit-def: $vgpr5
	s_and_saveexec_b64 s[0:1], s[30:31]
	s_cbranch_execz .LBB134_1351
; %bb.1344:
	v_mul_lo_u32 v2, v6, s14
	v_mov_b32_e32 v3, s3
	s_and_b32 s36, s56, 0xff
	s_cmp_lt_i32 s36, 11
	s_waitcnt vmcnt(0)
	v_ashrrev_i32_e32 v4, 31, v2
	v_add_co_u32_e32 v2, vcc, s2, v2
	v_addc_co_u32_e32 v3, vcc, v3, v4, vcc
	s_cbranch_scc1 .LBB134_1354
; %bb.1345:
	s_and_b32 s37, 0xffff, s36
	s_cmp_gt_i32 s37, 25
	s_cbranch_scc0 .LBB134_1355
; %bb.1346:
	s_cmp_gt_i32 s37, 28
	s_cbranch_scc0 .LBB134_1356
; %bb.1347:
	;; [unrolled: 3-line block ×4, first 2 shown]
	s_cmp_eq_u32 s37, 46
	s_mov_b64 s[30:31], 0
	s_cbranch_scc0 .LBB134_1359
; %bb.1350:
	global_load_dword v4, v[2:3], off
	s_mov_b64 s[22:23], 0
	s_mov_b64 s[28:29], -1
	s_waitcnt vmcnt(0)
	v_and_b32_e32 v5, 0xffff0000, v4
	v_lshlrev_b32_e32 v4, 16, v4
	s_branch .LBB134_1361
.LBB134_1351:
	s_or_b64 exec, exec, s[0:1]
	s_and_saveexec_b64 s[0:1], s[20:21]
	s_cbranch_execnz .LBB134_1427
.LBB134_1352:
	s_or_b64 exec, exec, s[0:1]
	s_and_saveexec_b64 s[0:1], s[26:27]
	s_xor_b64 s[0:1], exec, s[0:1]
	s_cbranch_execz .LBB134_1428
.LBB134_1353:
	global_load_ubyte v4, v[2:3], off
	s_waitcnt vmcnt(1)
	v_mov_b32_e32 v5, 0
	s_or_b64 s[28:29], s[28:29], exec
	s_waitcnt vmcnt(0)
	v_cmp_ne_u16_e32 vcc, 0, v4
	v_cndmask_b32_e64 v4, 0, 1.0, vcc
	s_or_b64 exec, exec, s[0:1]
	s_and_saveexec_b64 s[0:1], s[34:35]
	s_cbranch_execz .LBB134_1476
	s_branch .LBB134_1429
.LBB134_1354:
	s_mov_b64 s[30:31], -1
                                        ; implicit-def: $vgpr5
	s_mov_b64 s[22:23], s[20:21]
	s_branch .LBB134_1426
.LBB134_1355:
	s_mov_b64 s[22:23], s[20:21]
                                        ; implicit-def: $vgpr5
	s_cbranch_execnz .LBB134_1392
	s_branch .LBB134_1425
.LBB134_1356:
	s_mov_b64 s[30:31], -1
	s_mov_b64 s[22:23], s[20:21]
                                        ; implicit-def: $vgpr5
	s_branch .LBB134_1373
.LBB134_1357:
	s_mov_b64 s[30:31], -1
	s_mov_b64 s[22:23], s[20:21]
                                        ; implicit-def: $vgpr5
	s_branch .LBB134_1367
.LBB134_1358:
	s_mov_b64 s[30:31], -1
	s_mov_b64 s[22:23], s[20:21]
	s_branch .LBB134_1360
.LBB134_1359:
	s_mov_b64 s[22:23], -1
.LBB134_1360:
                                        ; implicit-def: $vgpr5
.LBB134_1361:
	s_and_b64 vcc, exec, s[30:31]
	s_cbranch_vccz .LBB134_1366
; %bb.1362:
	s_cmp_eq_u32 s37, 44
	s_cbranch_scc0 .LBB134_1364
; %bb.1363:
	global_load_ubyte v4, v[2:3], off
	s_movk_i32 s28, 0xff
	v_mov_b32_e32 v5, 0x7f800001
	v_mov_b32_e32 v7, 0x400000
	s_mov_b64 s[22:23], 0
	s_waitcnt vmcnt(0)
	v_lshlrev_b32_e32 v8, 23, v4
	v_cmp_ne_u32_e32 vcc, s28, v4
	v_cndmask_b32_e32 v5, v5, v8, vcc
	v_cmp_ne_u32_e32 vcc, 0, v4
	v_cndmask_b32_e32 v4, v7, v5, vcc
	s_mov_b64 s[28:29], -1
	s_branch .LBB134_1365
.LBB134_1364:
	s_mov_b64 s[22:23], -1
                                        ; implicit-def: $vgpr4
.LBB134_1365:
	v_mov_b32_e32 v5, 0
.LBB134_1366:
	s_mov_b64 s[30:31], 0
.LBB134_1367:
	s_and_b64 vcc, exec, s[30:31]
	s_cbranch_vccz .LBB134_1372
; %bb.1368:
	s_cmp_eq_u32 s37, 29
	s_cbranch_scc0 .LBB134_1370
; %bb.1369:
	global_load_dwordx2 v[4:5], v[2:3], off
	s_mov_b64 s[22:23], 0
	s_mov_b64 s[28:29], -1
	s_waitcnt vmcnt(0)
	v_ffbh_u32_e32 v7, v5
	v_min_u32_e32 v7, 32, v7
	v_lshlrev_b64 v[4:5], v7, v[4:5]
	v_min_u32_e32 v4, 1, v4
	v_or_b32_e32 v4, v5, v4
	v_cvt_f32_u32_e32 v4, v4
	v_sub_u32_e32 v5, 32, v7
	v_ldexp_f32 v4, v4, v5
	s_branch .LBB134_1371
.LBB134_1370:
	s_mov_b64 s[22:23], -1
                                        ; implicit-def: $vgpr4
.LBB134_1371:
	v_mov_b32_e32 v5, 0
.LBB134_1372:
	s_mov_b64 s[30:31], 0
.LBB134_1373:
	s_and_b64 vcc, exec, s[30:31]
	s_cbranch_vccz .LBB134_1391
; %bb.1374:
	s_cmp_lt_i32 s37, 27
	s_cbranch_scc1 .LBB134_1377
; %bb.1375:
	s_cmp_gt_i32 s37, 27
	s_cbranch_scc0 .LBB134_1378
; %bb.1376:
	global_load_dword v4, v[2:3], off
	s_mov_b64 s[28:29], 0
	s_waitcnt vmcnt(0)
	v_cvt_f32_u32_e32 v4, v4
	s_branch .LBB134_1379
.LBB134_1377:
	s_mov_b64 s[28:29], -1
                                        ; implicit-def: $vgpr4
	s_branch .LBB134_1382
.LBB134_1378:
	s_mov_b64 s[28:29], -1
                                        ; implicit-def: $vgpr4
.LBB134_1379:
	s_andn2_b64 vcc, exec, s[28:29]
	s_cbranch_vccnz .LBB134_1381
; %bb.1380:
	global_load_ushort v4, v[2:3], off
	s_waitcnt vmcnt(0)
	v_cvt_f32_u32_e32 v4, v4
.LBB134_1381:
	s_mov_b64 s[28:29], 0
.LBB134_1382:
	s_andn2_b64 vcc, exec, s[28:29]
	s_cbranch_vccnz .LBB134_1390
; %bb.1383:
	global_load_ubyte v5, v[2:3], off
	s_movk_i32 s28, 0x7f
	s_waitcnt vmcnt(0)
	v_cmp_lt_i16_e32 vcc, s28, v5
	s_mov_b64 s[28:29], 0
	s_and_saveexec_b64 s[30:31], vcc
	s_xor_b64 s[30:31], exec, s[30:31]
	s_cbranch_execz .LBB134_1403
; %bb.1384:
	s_movk_i32 s28, 0x80
	v_cmp_eq_u16_e32 vcc, s28, v5
	s_mov_b64 s[28:29], -1
	s_and_saveexec_b64 s[34:35], vcc
; %bb.1385:
	s_xor_b64 s[28:29], exec, -1
; %bb.1386:
	s_or_b64 exec, exec, s[34:35]
	s_and_b64 s[28:29], s[28:29], exec
	s_or_saveexec_b64 s[30:31], s[30:31]
	v_mov_b32_e32 v4, 0x7f800001
	s_xor_b64 exec, exec, s[30:31]
	s_cbranch_execnz .LBB134_1404
.LBB134_1387:
	s_or_b64 exec, exec, s[30:31]
	s_and_saveexec_b64 s[30:31], s[28:29]
	s_cbranch_execz .LBB134_1389
.LBB134_1388:
	v_lshlrev_b32_e32 v4, 24, v5
	v_and_b32_e32 v5, 0xffff, v5
	v_and_b32_e32 v7, 7, v5
	v_ffbh_u32_e32 v9, v7
	v_min_u32_e32 v9, 32, v9
	v_subrev_u32_e32 v10, 28, v9
	v_bfe_u32 v8, v5, 3, 4
	v_lshlrev_b32_e32 v5, v10, v5
	v_sub_u32_e32 v9, 29, v9
	v_and_b32_e32 v5, 7, v5
	v_cmp_eq_u32_e32 vcc, 0, v8
	v_cndmask_b32_e32 v8, v8, v9, vcc
	v_cndmask_b32_e32 v5, v7, v5, vcc
	v_mov_b32_e32 v7, 0x3b800000
	v_lshlrev_b32_e32 v5, 20, v5
	v_and_b32_e32 v4, 0x80000000, v4
	v_lshl_add_u32 v7, v8, 23, v7
	v_or3_b32 v4, v4, v7, v5
.LBB134_1389:
	s_or_b64 exec, exec, s[30:31]
.LBB134_1390:
	s_mov_b64 s[28:29], -1
	v_mov_b32_e32 v5, 0
.LBB134_1391:
	s_branch .LBB134_1425
.LBB134_1392:
	s_cmp_gt_i32 s37, 22
	s_cbranch_scc0 .LBB134_1402
; %bb.1393:
	s_cmp_lt_i32 s37, 24
	s_cbranch_scc1 .LBB134_1405
; %bb.1394:
	s_cmp_gt_i32 s37, 24
	s_cbranch_scc0 .LBB134_1406
; %bb.1395:
	global_load_ubyte v5, v[2:3], off
	s_movk_i32 s26, 0x7f
	s_waitcnt vmcnt(0)
	v_cmp_lt_i16_e32 vcc, s26, v5
	s_mov_b64 s[26:27], 0
	s_and_saveexec_b64 s[28:29], vcc
	s_xor_b64 s[28:29], exec, s[28:29]
	s_cbranch_execz .LBB134_1418
; %bb.1396:
	s_movk_i32 s26, 0x80
	v_cmp_eq_u16_e32 vcc, s26, v5
	s_mov_b64 s[26:27], -1
	s_and_saveexec_b64 s[30:31], vcc
; %bb.1397:
	s_xor_b64 s[26:27], exec, -1
; %bb.1398:
	s_or_b64 exec, exec, s[30:31]
	s_and_b64 s[26:27], s[26:27], exec
	s_or_saveexec_b64 s[28:29], s[28:29]
	v_mov_b32_e32 v4, 0x7f800001
	s_xor_b64 exec, exec, s[28:29]
	s_cbranch_execnz .LBB134_1419
.LBB134_1399:
	s_or_b64 exec, exec, s[28:29]
	s_and_saveexec_b64 s[28:29], s[26:27]
	s_cbranch_execz .LBB134_1401
.LBB134_1400:
	v_lshlrev_b32_e32 v4, 24, v5
	v_and_b32_e32 v5, 0xffff, v5
	v_and_b32_e32 v7, 3, v5
	v_ffbh_u32_e32 v9, v7
	v_min_u32_e32 v9, 32, v9
	v_subrev_u32_e32 v10, 29, v9
	v_bfe_u32 v8, v5, 2, 5
	v_lshlrev_b32_e32 v5, v10, v5
	v_sub_u32_e32 v9, 30, v9
	v_and_b32_e32 v5, 3, v5
	v_cmp_eq_u32_e32 vcc, 0, v8
	v_cndmask_b32_e32 v8, v8, v9, vcc
	v_cndmask_b32_e32 v5, v7, v5, vcc
	v_mov_b32_e32 v7, 0x37800000
	v_lshlrev_b32_e32 v5, 21, v5
	v_and_b32_e32 v4, 0x80000000, v4
	v_lshl_add_u32 v7, v8, 23, v7
	v_or3_b32 v4, v4, v7, v5
.LBB134_1401:
	s_or_b64 exec, exec, s[28:29]
	s_mov_b64 s[26:27], 0
	s_branch .LBB134_1407
.LBB134_1402:
	s_mov_b64 s[26:27], -1
                                        ; implicit-def: $vgpr4
	s_branch .LBB134_1413
.LBB134_1403:
	s_or_saveexec_b64 s[30:31], s[30:31]
	v_mov_b32_e32 v4, 0x7f800001
	s_xor_b64 exec, exec, s[30:31]
	s_cbranch_execz .LBB134_1387
.LBB134_1404:
	v_cmp_ne_u16_e32 vcc, 0, v5
	s_andn2_b64 s[28:29], s[28:29], exec
	s_and_b64 s[34:35], vcc, exec
	v_mov_b32_e32 v4, 0
	s_or_b64 s[28:29], s[28:29], s[34:35]
	s_or_b64 exec, exec, s[30:31]
	s_and_saveexec_b64 s[30:31], s[28:29]
	s_cbranch_execnz .LBB134_1388
	s_branch .LBB134_1389
.LBB134_1405:
	s_mov_b64 s[26:27], -1
                                        ; implicit-def: $vgpr4
	s_branch .LBB134_1410
.LBB134_1406:
	s_mov_b64 s[26:27], -1
                                        ; implicit-def: $vgpr4
.LBB134_1407:
	s_and_b64 vcc, exec, s[26:27]
	s_cbranch_vccz .LBB134_1409
; %bb.1408:
	global_load_ubyte v4, v[2:3], off
	s_mov_b32 s26, 0x7f800000
	s_waitcnt vmcnt(0)
	v_lshlrev_b32_e32 v4, 24, v4
	v_and_b32_e32 v5, 0x7f000000, v4
	v_ffbh_u32_e32 v7, v5
	v_min_u32_e32 v7, 32, v7
	v_sub_u32_e64 v7, v7, 4 clamp
	v_lshlrev_b32_e32 v9, v7, v5
	v_lshlrev_b32_e32 v7, 23, v7
	v_lshrrev_b32_e32 v9, 4, v9
	v_add_u32_e32 v8, 0x1000000, v5
	v_sub_u32_e32 v7, v9, v7
	v_ashrrev_i32_e32 v8, 8, v8
	v_add_u32_e32 v7, 0x3c000000, v7
	v_and_or_b32 v7, v8, s26, v7
	v_cmp_ne_u32_e32 vcc, 0, v5
	v_cndmask_b32_e32 v5, 0, v7, vcc
	s_brev_b32 s26, 1
	v_and_or_b32 v4, v4, s26, v5
.LBB134_1409:
	s_mov_b64 s[26:27], 0
.LBB134_1410:
	s_andn2_b64 vcc, exec, s[26:27]
	s_cbranch_vccnz .LBB134_1412
; %bb.1411:
	global_load_ubyte v4, v[2:3], off
	s_movk_i32 s26, 0x7f00
	s_brev_b32 s27, 16
	s_waitcnt vmcnt(0)
	v_lshlrev_b16_e32 v5, 8, v4
	v_lshlrev_b32_e32 v4, 25, v4
	v_lshrrev_b32_e32 v7, 4, v4
	v_and_or_b32 v8, v5, s26, 0.5
	v_or_b32_e32 v7, 0x70000000, v7
	v_add_f32_e32 v8, -0.5, v8
	v_mul_f32_e32 v7, 0x7800000, v7
	v_cmp_gt_u32_e32 vcc, s27, v4
	v_bfe_i32 v5, v5, 0, 16
	v_cndmask_b32_e32 v4, v7, v8, vcc
	s_brev_b32 s26, 1
	v_and_or_b32 v4, v5, s26, v4
.LBB134_1412:
	s_mov_b64 s[26:27], 0
	s_mov_b64 s[28:29], -1
.LBB134_1413:
	s_andn2_b64 vcc, exec, s[26:27]
	s_mov_b64 s[26:27], 0
	s_cbranch_vccnz .LBB134_1424
; %bb.1414:
	s_cmp_gt_i32 s37, 14
	s_cbranch_scc0 .LBB134_1417
; %bb.1415:
	s_cmp_eq_u32 s37, 15
	s_cbranch_scc0 .LBB134_1420
; %bb.1416:
	global_load_ushort v4, v[2:3], off
	s_mov_b64 s[22:23], 0
	s_mov_b64 s[28:29], -1
	s_waitcnt vmcnt(0)
	v_lshlrev_b32_e32 v4, 16, v4
	s_branch .LBB134_1421
.LBB134_1417:
	s_mov_b64 s[30:31], -1
                                        ; implicit-def: $vgpr4
	s_branch .LBB134_1422
.LBB134_1418:
	s_or_saveexec_b64 s[28:29], s[28:29]
	v_mov_b32_e32 v4, 0x7f800001
	s_xor_b64 exec, exec, s[28:29]
	s_cbranch_execz .LBB134_1399
.LBB134_1419:
	v_cmp_ne_u16_e32 vcc, 0, v5
	s_andn2_b64 s[26:27], s[26:27], exec
	s_and_b64 s[30:31], vcc, exec
	v_mov_b32_e32 v4, 0
	s_or_b64 s[26:27], s[26:27], s[30:31]
	s_or_b64 exec, exec, s[28:29]
	s_and_saveexec_b64 s[28:29], s[26:27]
	s_cbranch_execnz .LBB134_1400
	s_branch .LBB134_1401
.LBB134_1420:
	s_mov_b64 s[22:23], -1
                                        ; implicit-def: $vgpr4
.LBB134_1421:
	s_mov_b64 s[30:31], 0
.LBB134_1422:
	s_and_b64 vcc, exec, s[30:31]
	s_cbranch_vccz .LBB134_1424
; %bb.1423:
	s_cmp_lg_u32 s37, 11
	s_cselect_b64 s[30:31], -1, 0
	s_andn2_b64 s[22:23], s[22:23], exec
	s_and_b64 s[30:31], s[30:31], exec
	s_mov_b64 s[26:27], -1
	s_or_b64 s[22:23], s[22:23], s[30:31]
.LBB134_1424:
	v_mov_b32_e32 v5, 0
.LBB134_1425:
	s_mov_b64 s[30:31], 0
.LBB134_1426:
	s_andn2_b64 s[20:21], s[20:21], exec
	s_and_b64 s[22:23], s[22:23], exec
	s_and_b64 s[28:29], s[28:29], exec
	;; [unrolled: 1-line block ×4, first 2 shown]
	s_or_b64 s[20:21], s[20:21], s[22:23]
	s_or_b64 exec, exec, s[0:1]
	s_and_saveexec_b64 s[0:1], s[20:21]
	s_cbranch_execz .LBB134_1352
.LBB134_1427:
	s_or_b64 s[24:25], s[24:25], exec
	s_andn2_b64 s[26:27], s[26:27], exec
	s_trap 2
	s_or_b64 exec, exec, s[0:1]
	s_and_saveexec_b64 s[0:1], s[26:27]
	s_xor_b64 s[0:1], exec, s[0:1]
	s_cbranch_execnz .LBB134_1353
.LBB134_1428:
	s_or_b64 exec, exec, s[0:1]
	s_and_saveexec_b64 s[0:1], s[34:35]
	s_cbranch_execz .LBB134_1476
.LBB134_1429:
	s_sext_i32_i16 s20, s36
	s_cmp_lt_i32 s20, 5
	s_cbranch_scc1 .LBB134_1434
; %bb.1430:
	s_cmp_lt_i32 s20, 8
	s_cbranch_scc1 .LBB134_1435
; %bb.1431:
	;; [unrolled: 3-line block ×3, first 2 shown]
	s_cmp_gt_i32 s20, 9
	s_cbranch_scc0 .LBB134_1437
; %bb.1433:
	global_load_dwordx4 v[7:10], v[2:3], off
	s_mov_b64 s[20:21], 0
	s_waitcnt vmcnt(0)
	v_cvt_f32_f64_e32 v4, v[7:8]
	v_cvt_f32_f64_e32 v5, v[9:10]
	s_branch .LBB134_1438
.LBB134_1434:
                                        ; implicit-def: $vgpr5
	s_branch .LBB134_1456
.LBB134_1435:
                                        ; implicit-def: $vgpr5
	s_branch .LBB134_1444
.LBB134_1436:
	s_mov_b64 s[20:21], -1
                                        ; implicit-def: $vgpr5
	s_branch .LBB134_1441
.LBB134_1437:
	s_mov_b64 s[20:21], -1
                                        ; implicit-def: $vgpr5
.LBB134_1438:
	s_andn2_b64 vcc, exec, s[20:21]
	s_cbranch_vccnz .LBB134_1440
; %bb.1439:
	global_load_dwordx2 v[4:5], v[2:3], off
.LBB134_1440:
	s_mov_b64 s[20:21], 0
.LBB134_1441:
	s_andn2_b64 vcc, exec, s[20:21]
	s_cbranch_vccnz .LBB134_1443
; %bb.1442:
	global_load_dword v5, v[2:3], off
	s_waitcnt vmcnt(0)
	v_cvt_f32_f16_e32 v4, v5
	v_cvt_f32_f16_sdwa v5, v5 dst_sel:DWORD dst_unused:UNUSED_PAD src0_sel:WORD_1
.LBB134_1443:
	s_cbranch_execnz .LBB134_1455
.LBB134_1444:
	s_sext_i32_i16 s20, s36
	s_cmp_lt_i32 s20, 6
	s_cbranch_scc1 .LBB134_1447
; %bb.1445:
	s_cmp_gt_i32 s20, 6
	s_cbranch_scc0 .LBB134_1448
; %bb.1446:
	global_load_dwordx2 v[4:5], v[2:3], off
	s_mov_b64 s[20:21], 0
	s_waitcnt vmcnt(0)
	v_cvt_f32_f64_e32 v4, v[4:5]
	s_branch .LBB134_1449
.LBB134_1447:
	s_mov_b64 s[20:21], -1
                                        ; implicit-def: $vgpr4
	s_branch .LBB134_1452
.LBB134_1448:
	s_mov_b64 s[20:21], -1
                                        ; implicit-def: $vgpr4
.LBB134_1449:
	s_andn2_b64 vcc, exec, s[20:21]
	s_cbranch_vccnz .LBB134_1451
; %bb.1450:
	global_load_dword v4, v[2:3], off
.LBB134_1451:
	s_mov_b64 s[20:21], 0
.LBB134_1452:
	s_andn2_b64 vcc, exec, s[20:21]
	s_cbranch_vccnz .LBB134_1454
; %bb.1453:
	global_load_ushort v4, v[2:3], off
	s_waitcnt vmcnt(0)
	v_cvt_f32_f16_e32 v4, v4
.LBB134_1454:
	s_waitcnt vmcnt(0)
	v_mov_b32_e32 v5, 0
.LBB134_1455:
	s_cbranch_execnz .LBB134_1475
.LBB134_1456:
	s_sext_i32_i16 s20, s36
	s_cmp_lt_i32 s20, 2
	s_cbranch_scc1 .LBB134_1460
; %bb.1457:
	s_cmp_lt_i32 s20, 3
	s_cbranch_scc1 .LBB134_1461
; %bb.1458:
	s_cmp_gt_i32 s20, 3
	s_cbranch_scc0 .LBB134_1462
; %bb.1459:
	global_load_dwordx2 v[4:5], v[2:3], off
	s_mov_b64 s[20:21], 0
	s_waitcnt vmcnt(0)
	v_xor_b32_e32 v8, v4, v5
	v_ffbh_i32_e32 v7, v5
	v_ashrrev_i32_e32 v8, 31, v8
	v_add_u32_e32 v7, -1, v7
	v_add_u32_e32 v8, 32, v8
	v_min_u32_e32 v7, v7, v8
	v_lshlrev_b64 v[4:5], v7, v[4:5]
	v_min_u32_e32 v4, 1, v4
	v_or_b32_e32 v4, v5, v4
	v_cvt_f32_i32_e32 v4, v4
	v_sub_u32_e32 v5, 32, v7
	v_ldexp_f32 v4, v4, v5
	s_branch .LBB134_1463
.LBB134_1460:
                                        ; implicit-def: $vgpr4
	s_branch .LBB134_1469
.LBB134_1461:
	s_mov_b64 s[20:21], -1
                                        ; implicit-def: $vgpr4
	s_branch .LBB134_1466
.LBB134_1462:
	s_mov_b64 s[20:21], -1
                                        ; implicit-def: $vgpr4
.LBB134_1463:
	s_andn2_b64 vcc, exec, s[20:21]
	s_cbranch_vccnz .LBB134_1465
; %bb.1464:
	global_load_dword v4, v[2:3], off
	s_waitcnt vmcnt(0)
	v_cvt_f32_i32_e32 v4, v4
.LBB134_1465:
	s_mov_b64 s[20:21], 0
.LBB134_1466:
	s_andn2_b64 vcc, exec, s[20:21]
	s_cbranch_vccnz .LBB134_1468
; %bb.1467:
	global_load_sshort v4, v[2:3], off
	s_waitcnt vmcnt(0)
	v_cvt_f32_i32_e32 v4, v4
.LBB134_1468:
	s_cbranch_execnz .LBB134_1474
.LBB134_1469:
	s_sext_i32_i16 s20, s36
	s_cmp_gt_i32 s20, 0
	s_cbranch_scc0 .LBB134_1471
; %bb.1470:
	global_load_sbyte v4, v[2:3], off
	s_mov_b64 s[20:21], 0
	s_waitcnt vmcnt(0)
	v_cvt_f32_i32_e32 v4, v4
	s_branch .LBB134_1472
.LBB134_1471:
	s_mov_b64 s[20:21], -1
                                        ; implicit-def: $vgpr4
.LBB134_1472:
	s_andn2_b64 vcc, exec, s[20:21]
	s_cbranch_vccnz .LBB134_1474
; %bb.1473:
	global_load_ubyte v2, v[2:3], off
	s_waitcnt vmcnt(0)
	v_cvt_f32_ubyte0_e32 v4, v2
.LBB134_1474:
	s_waitcnt vmcnt(0)
	v_mov_b32_e32 v5, 0
.LBB134_1475:
	s_or_b64 s[28:29], s[28:29], exec
.LBB134_1476:
	s_or_b64 exec, exec, s[0:1]
	s_mov_b64 s[30:31], 0
	s_mov_b64 s[26:27], 0
                                        ; implicit-def: $sgpr20_sgpr21
                                        ; implicit-def: $sgpr34
                                        ; implicit-def: $vgpr2_vgpr3
	s_and_saveexec_b64 s[22:23], s[28:29]
	s_cbranch_execz .LBB134_1554
; %bb.1477:
	s_andn2_b64 vcc, exec, s[16:17]
	s_cbranch_vccnz .LBB134_1558
; %bb.1478:
	s_waitcnt vmcnt(0)
	v_cmp_neq_f32_e32 vcc, v0, v4
	v_cmp_neq_f32_e64 s[0:1], v1, v5
	s_or_b64 s[20:21], vcc, s[0:1]
	s_cbranch_execnz .LBB134_1480
.LBB134_1479:
	s_waitcnt vmcnt(0)
	v_cmp_eq_f32_e32 vcc, v0, v4
	v_cmp_eq_f32_e64 s[0:1], v1, v5
	s_and_b64 s[0:1], vcc, s[0:1]
	s_andn2_b64 s[16:17], s[20:21], exec
	s_and_b64 s[0:1], s[0:1], exec
	s_or_b64 s[20:21], s[16:17], s[0:1]
.LBB134_1480:
	s_waitcnt vmcnt(0)
	v_mul_lo_u32 v0, v6, s12
	v_mov_b32_e32 v1, s9
	s_and_b32 s34, s33, 0xff
	s_cmp_lt_i32 s34, 11
	v_ashrrev_i32_e32 v3, 31, v0
	v_add_co_u32_e32 v2, vcc, s8, v0
	v_addc_co_u32_e32 v3, vcc, v1, v3, vcc
	s_cbranch_scc1 .LBB134_1557
; %bb.1481:
	s_and_b32 s35, 0xffff, s34
	s_mov_b64 s[26:27], -1
	s_cmp_gt_i32 s35, 25
	s_mov_b64 s[0:1], s[18:19]
	s_cbranch_scc0 .LBB134_1514
; %bb.1482:
	s_mov_b64 s[16:17], -1
	s_cmp_gt_i32 s35, 28
	s_mov_b64 s[0:1], s[18:19]
	s_cbranch_scc0 .LBB134_1498
; %bb.1483:
	s_cmp_gt_i32 s35, 43
	s_mov_b64 s[0:1], s[18:19]
	s_cbranch_scc0 .LBB134_1494
; %bb.1484:
	;; [unrolled: 4-line block ×3, first 2 shown]
	s_cmp_eq_u32 s35, 46
	s_mov_b64 s[0:1], -1
	s_cbranch_scc0 .LBB134_1487
; %bb.1486:
	v_cndmask_b32_e64 v0, 0, 1.0, s[20:21]
	v_bfe_u32 v1, v0, 16, 1
	s_movk_i32 s0, 0x7fff
	v_add3_u32 v0, v0, v1, s0
	v_lshrrev_b32_e32 v0, 16, v0
	global_store_dword v[2:3], v0, off
	s_mov_b64 s[0:1], 0
.LBB134_1487:
	s_mov_b64 s[16:17], 0
.LBB134_1488:
	s_and_b64 vcc, exec, s[16:17]
	s_cbranch_vccz .LBB134_1493
; %bb.1489:
	s_cmp_eq_u32 s35, 44
	s_mov_b64 s[0:1], -1
	s_cbranch_scc0 .LBB134_1493
; %bb.1490:
	v_cndmask_b32_e64 v1, 0, 1.0, s[20:21]
	v_lshrrev_b32_e32 v0, 23, v1
	s_movk_i32 s0, 0xff
	v_cmp_ne_u32_e32 vcc, s0, v0
	v_mov_b32_e32 v4, 0xff
	s_and_saveexec_b64 s[16:17], vcc
; %bb.1491:
	s_mov_b32 s0, 0x3fffff
	v_and_b32_e32 v4, 0x400000, v1
	v_and_or_b32 v1, v1, s0, v0
	v_cmp_ne_u32_e32 vcc, 0, v4
	v_cmp_ne_u32_e64 s[0:1], 0, v1
	s_and_b64 s[0:1], vcc, s[0:1]
	v_cndmask_b32_e64 v1, 0, 1, s[0:1]
	v_add_u32_e32 v4, v0, v1
; %bb.1492:
	s_or_b64 exec, exec, s[16:17]
	s_mov_b64 s[0:1], 0
	global_store_byte v[2:3], v4, off
.LBB134_1493:
	s_mov_b64 s[16:17], 0
.LBB134_1494:
	s_and_b64 vcc, exec, s[16:17]
	s_cbranch_vccz .LBB134_1497
; %bb.1495:
	s_cmp_eq_u32 s35, 29
	s_mov_b64 s[0:1], -1
	s_cbranch_scc0 .LBB134_1497
; %bb.1496:
	s_mov_b32 s0, 0
	v_cndmask_b32_e64 v0, 0, 1, s[20:21]
	v_mov_b32_e32 v1, s0
	global_store_dwordx2 v[2:3], v[0:1], off
	s_mov_b64 s[0:1], 0
.LBB134_1497:
	s_mov_b64 s[16:17], 0
.LBB134_1498:
	s_and_b64 vcc, exec, s[16:17]
	s_cbranch_vccz .LBB134_1513
; %bb.1499:
	s_cmp_lt_i32 s35, 27
	s_mov_b64 s[16:17], -1
	s_cbranch_scc1 .LBB134_1505
; %bb.1500:
	s_cmp_gt_i32 s35, 27
	v_cndmask_b32_e64 v0, 0, 1, s[20:21]
	s_cbranch_scc0 .LBB134_1502
; %bb.1501:
	s_mov_b64 s[16:17], 0
	global_store_dword v[2:3], v0, off
.LBB134_1502:
	s_andn2_b64 vcc, exec, s[16:17]
	s_cbranch_vccnz .LBB134_1504
; %bb.1503:
	global_store_short v[2:3], v0, off
.LBB134_1504:
	s_mov_b64 s[16:17], 0
.LBB134_1505:
	s_andn2_b64 vcc, exec, s[16:17]
	s_cbranch_vccnz .LBB134_1513
; %bb.1506:
	v_cndmask_b32_e64 v1, 0, 1.0, s[20:21]
	s_mov_b32 s16, 0x43800000
	v_cmp_gt_u32_e32 vcc, s16, v1
	v_mov_b32_e32 v4, 0x80
	s_and_saveexec_b64 s[16:17], vcc
	s_cbranch_execz .LBB134_1512
; %bb.1507:
	s_mov_b32 s26, 0x3bffffff
	v_cmp_lt_u32_e32 vcc, s26, v1
	s_mov_b64 s[26:27], 0
                                        ; implicit-def: $vgpr0
	s_and_saveexec_b64 s[28:29], vcc
	s_xor_b64 s[28:29], exec, s[28:29]
	s_cbranch_execz .LBB134_1615
; %bb.1508:
	v_bfe_u32 v0, v1, 20, 1
	s_mov_b32 s30, 0x487ffff
	v_add3_u32 v0, v1, v0, s30
	s_mov_b64 s[26:27], exec
	v_lshrrev_b32_e32 v0, 20, v0
                                        ; implicit-def: $vgpr1
	s_andn2_saveexec_b64 s[28:29], s[28:29]
	s_cbranch_execnz .LBB134_1616
.LBB134_1509:
	s_or_b64 exec, exec, s[28:29]
	v_mov_b32_e32 v4, 0
	s_and_saveexec_b64 s[28:29], s[26:27]
.LBB134_1510:
	v_mov_b32_e32 v4, v0
.LBB134_1511:
	s_or_b64 exec, exec, s[28:29]
.LBB134_1512:
	s_or_b64 exec, exec, s[16:17]
	global_store_byte v[2:3], v4, off
.LBB134_1513:
	s_mov_b64 s[26:27], 0
.LBB134_1514:
	s_mov_b64 s[16:17], 0
	s_and_b64 vcc, exec, s[26:27]
	s_cbranch_vccz .LBB134_1559
; %bb.1515:
	s_cmp_gt_i32 s35, 22
	s_mov_b64 s[26:27], -1
	s_cbranch_scc0 .LBB134_1547
; %bb.1516:
	s_cmp_lt_i32 s35, 24
	s_cbranch_scc1 .LBB134_1536
; %bb.1517:
	s_cmp_gt_i32 s35, 24
	s_cbranch_scc0 .LBB134_1525
; %bb.1518:
	v_cndmask_b32_e64 v1, 0, 1.0, s[20:21]
	s_mov_b32 s26, 0x47800000
	v_cmp_gt_u32_e32 vcc, s26, v1
	v_mov_b32_e32 v4, 0x80
	s_and_saveexec_b64 s[26:27], vcc
	s_cbranch_execz .LBB134_1524
; %bb.1519:
	s_mov_b32 s28, 0x37ffffff
	v_cmp_lt_u32_e32 vcc, s28, v1
	s_mov_b64 s[28:29], 0
                                        ; implicit-def: $vgpr0
	s_and_saveexec_b64 s[30:31], vcc
	s_xor_b64 s[30:31], exec, s[30:31]
	s_cbranch_execz .LBB134_1745
; %bb.1520:
	v_bfe_u32 v0, v1, 21, 1
	s_mov_b32 s36, 0x88fffff
	v_add3_u32 v0, v1, v0, s36
	s_mov_b64 s[28:29], exec
	v_lshrrev_b32_e32 v0, 21, v0
                                        ; implicit-def: $vgpr1
	s_andn2_saveexec_b64 s[30:31], s[30:31]
	s_cbranch_execnz .LBB134_1746
.LBB134_1521:
	s_or_b64 exec, exec, s[30:31]
	v_mov_b32_e32 v4, 0
	s_and_saveexec_b64 s[30:31], s[28:29]
.LBB134_1522:
	v_mov_b32_e32 v4, v0
.LBB134_1523:
	s_or_b64 exec, exec, s[30:31]
.LBB134_1524:
	s_or_b64 exec, exec, s[26:27]
	s_mov_b64 s[26:27], 0
	global_store_byte v[2:3], v4, off
.LBB134_1525:
	s_and_b64 vcc, exec, s[26:27]
	s_cbranch_vccz .LBB134_1535
; %bb.1526:
	v_cndmask_b32_e64 v0, 0, 1.0, s[20:21]
	s_mov_b32 s26, 0x43f00000
	v_cmp_gt_u32_e32 vcc, s26, v0
                                        ; implicit-def: $vgpr1
	s_and_saveexec_b64 s[26:27], vcc
	s_xor_b64 s[26:27], exec, s[26:27]
	s_cbranch_execz .LBB134_1532
; %bb.1527:
	s_mov_b32 s28, 0x3c7fffff
	v_cmp_lt_u32_e32 vcc, s28, v0
                                        ; implicit-def: $vgpr1
	s_and_saveexec_b64 s[28:29], vcc
	s_xor_b64 s[28:29], exec, s[28:29]
; %bb.1528:
	v_bfe_u32 v1, v0, 20, 1
	s_mov_b32 s30, 0x407ffff
	v_add3_u32 v0, v0, v1, s30
	v_lshrrev_b32_e32 v1, 20, v0
	v_and_b32_e32 v0, 0xff00000, v0
	s_mov_b32 s30, 0x7f00000
	v_mov_b32_e32 v4, 0x7e
	v_cmp_ne_u32_e32 vcc, s30, v0
	v_cndmask_b32_e32 v1, v4, v1, vcc
                                        ; implicit-def: $vgpr0
; %bb.1529:
	s_andn2_saveexec_b64 s[28:29], s[28:29]
; %bb.1530:
	v_add_f32_e32 v1, 0x46800000, v0
; %bb.1531:
	s_or_b64 exec, exec, s[28:29]
                                        ; implicit-def: $vgpr0
.LBB134_1532:
	s_andn2_saveexec_b64 s[26:27], s[26:27]
; %bb.1533:
	s_mov_b32 s28, 0x7f800000
	v_mov_b32_e32 v1, 0x7e
	v_mov_b32_e32 v4, 0x7f
	v_cmp_lt_u32_e32 vcc, s28, v0
	v_cndmask_b32_e32 v1, v1, v4, vcc
; %bb.1534:
	s_or_b64 exec, exec, s[26:27]
	global_store_byte v[2:3], v1, off
.LBB134_1535:
	s_mov_b64 s[26:27], 0
.LBB134_1536:
	s_andn2_b64 vcc, exec, s[26:27]
	s_cbranch_vccnz .LBB134_1546
; %bb.1537:
	v_cndmask_b32_e64 v0, 0, 1.0, s[20:21]
	s_mov_b32 s26, 0x47800000
	v_cmp_gt_u32_e32 vcc, s26, v0
                                        ; implicit-def: $vgpr1
	s_and_saveexec_b64 s[26:27], vcc
	s_xor_b64 s[26:27], exec, s[26:27]
	s_cbranch_execz .LBB134_1543
; %bb.1538:
	s_mov_b32 s28, 0x387fffff
	v_cmp_lt_u32_e32 vcc, s28, v0
                                        ; implicit-def: $vgpr1
	s_and_saveexec_b64 s[28:29], vcc
	s_xor_b64 s[28:29], exec, s[28:29]
; %bb.1539:
	v_bfe_u32 v1, v0, 21, 1
	s_mov_b32 s30, 0x80fffff
	v_add3_u32 v0, v0, v1, s30
	v_lshrrev_b32_e32 v1, 21, v0
                                        ; implicit-def: $vgpr0
; %bb.1540:
	s_andn2_saveexec_b64 s[28:29], s[28:29]
; %bb.1541:
	v_add_f32_e32 v1, 0x43000000, v0
; %bb.1542:
	s_or_b64 exec, exec, s[28:29]
                                        ; implicit-def: $vgpr0
.LBB134_1543:
	s_andn2_saveexec_b64 s[26:27], s[26:27]
; %bb.1544:
	s_mov_b32 s28, 0x7f800000
	v_mov_b32_e32 v1, 0x7c
	v_mov_b32_e32 v4, 0x7f
	v_cmp_lt_u32_e32 vcc, s28, v0
	v_cndmask_b32_e32 v1, v1, v4, vcc
; %bb.1545:
	s_or_b64 exec, exec, s[26:27]
	global_store_byte v[2:3], v1, off
.LBB134_1546:
	s_mov_b64 s[26:27], 0
.LBB134_1547:
	s_andn2_b64 vcc, exec, s[26:27]
	s_mov_b64 s[28:29], 0
	s_cbranch_vccnz .LBB134_1560
; %bb.1548:
	s_cmp_gt_i32 s35, 14
	s_mov_b64 s[26:27], -1
	s_cbranch_scc0 .LBB134_1552
; %bb.1549:
	s_cmp_eq_u32 s35, 15
	s_mov_b64 s[0:1], -1
	s_cbranch_scc0 .LBB134_1551
; %bb.1550:
	v_cndmask_b32_e64 v0, 0, 1.0, s[20:21]
	v_bfe_u32 v1, v0, 16, 1
	s_movk_i32 s0, 0x7fff
	v_add3_u32 v0, v0, v1, s0
	global_store_short_d16_hi v[2:3], v0, off
	s_mov_b64 s[0:1], 0
.LBB134_1551:
	s_mov_b64 s[26:27], 0
.LBB134_1552:
	s_and_b64 vcc, exec, s[26:27]
	s_cbranch_vccz .LBB134_1560
; %bb.1553:
	s_cmp_lg_u32 s35, 11
	s_cselect_b64 s[26:27], -1, 0
	s_andn2_b64 s[0:1], s[0:1], exec
	s_and_b64 s[26:27], s[26:27], exec
	s_mov_b64 s[28:29], -1
	s_or_b64 s[0:1], s[0:1], s[26:27]
	s_branch .LBB134_1560
.LBB134_1554:
	s_or_b64 exec, exec, s[22:23]
	s_and_saveexec_b64 s[0:1], s[18:19]
	s_cbranch_execnz .LBB134_1561
.LBB134_1555:
	s_or_b64 exec, exec, s[0:1]
	s_and_saveexec_b64 s[0:1], s[30:31]
	s_xor_b64 s[0:1], exec, s[0:1]
	s_cbranch_execz .LBB134_1562
.LBB134_1556:
	s_waitcnt vmcnt(0)
	v_cndmask_b32_e64 v0, 0, 1, s[20:21]
	global_store_byte v[2:3], v0, off
	s_or_b64 exec, exec, s[0:1]
	s_and_saveexec_b64 s[0:1], s[26:27]
	s_xor_b64 s[0:1], exec, s[0:1]
	s_cbranch_execz .LBB134_1600
	s_branch .LBB134_1563
.LBB134_1557:
	s_mov_b64 s[28:29], 0
	s_mov_b64 s[16:17], -1
	s_mov_b64 s[0:1], s[18:19]
	s_branch .LBB134_1560
.LBB134_1558:
                                        ; implicit-def: $sgpr20_sgpr21
	s_branch .LBB134_1479
.LBB134_1559:
	s_mov_b64 s[28:29], 0
.LBB134_1560:
	s_and_b64 s[26:27], s[16:17], exec
	s_andn2_b64 s[16:17], s[18:19], exec
	s_and_b64 s[0:1], s[0:1], exec
	s_and_b64 s[30:31], s[28:29], exec
	s_or_b64 s[18:19], s[16:17], s[0:1]
	s_or_b64 exec, exec, s[22:23]
	s_and_saveexec_b64 s[0:1], s[18:19]
	s_cbranch_execz .LBB134_1555
.LBB134_1561:
	s_or_b64 s[24:25], s[24:25], exec
	s_andn2_b64 s[30:31], s[30:31], exec
	s_trap 2
	s_or_b64 exec, exec, s[0:1]
	s_and_saveexec_b64 s[0:1], s[30:31]
	s_xor_b64 s[0:1], exec, s[0:1]
	s_cbranch_execnz .LBB134_1556
.LBB134_1562:
	s_or_b64 exec, exec, s[0:1]
	s_and_saveexec_b64 s[0:1], s[26:27]
	s_xor_b64 s[0:1], exec, s[0:1]
	s_cbranch_execz .LBB134_1600
.LBB134_1563:
	s_sext_i32_i16 s18, s34
	s_cmp_lt_i32 s18, 5
	s_mov_b64 s[16:17], -1
	s_cbranch_scc1 .LBB134_1584
; %bb.1564:
	s_cmp_lt_i32 s18, 8
	s_cbranch_scc1 .LBB134_1574
; %bb.1565:
	s_cmp_lt_i32 s18, 9
	s_cbranch_scc1 .LBB134_1571
; %bb.1566:
	s_cmp_gt_i32 s18, 9
	s_cbranch_scc0 .LBB134_1568
; %bb.1567:
	s_waitcnt vmcnt(0)
	v_cndmask_b32_e64 v0, 0, 1, s[20:21]
	v_cvt_f64_u32_e32 v[4:5], v0
	v_mov_b32_e32 v6, 0
	v_mov_b32_e32 v7, v6
	s_mov_b64 s[16:17], 0
	global_store_dwordx4 v[2:3], v[4:7], off
.LBB134_1568:
	s_andn2_b64 vcc, exec, s[16:17]
	s_cbranch_vccnz .LBB134_1570
; %bb.1569:
	s_waitcnt vmcnt(0)
	v_cndmask_b32_e64 v0, 0, 1.0, s[20:21]
	v_mov_b32_e32 v1, 0
	global_store_dwordx2 v[2:3], v[0:1], off
.LBB134_1570:
	s_mov_b64 s[16:17], 0
.LBB134_1571:
	s_andn2_b64 vcc, exec, s[16:17]
	s_cbranch_vccnz .LBB134_1573
; %bb.1572:
	s_waitcnt vmcnt(0)
	v_cndmask_b32_e64 v0, 0, 1.0, s[20:21]
	v_cvt_f16_f32_e32 v0, v0
	global_store_dword v[2:3], v0, off
.LBB134_1573:
	s_mov_b64 s[16:17], 0
.LBB134_1574:
	s_andn2_b64 vcc, exec, s[16:17]
	s_cbranch_vccnz .LBB134_1583
; %bb.1575:
	s_sext_i32_i16 s18, s34
	s_cmp_lt_i32 s18, 6
	s_mov_b64 s[16:17], -1
	s_cbranch_scc1 .LBB134_1581
; %bb.1576:
	s_cmp_gt_i32 s18, 6
	s_cbranch_scc0 .LBB134_1578
; %bb.1577:
	s_waitcnt vmcnt(0)
	v_cndmask_b32_e64 v0, 0, 1, s[20:21]
	v_cvt_f64_u32_e32 v[0:1], v0
	s_mov_b64 s[16:17], 0
	global_store_dwordx2 v[2:3], v[0:1], off
.LBB134_1578:
	s_andn2_b64 vcc, exec, s[16:17]
	s_cbranch_vccnz .LBB134_1580
; %bb.1579:
	s_waitcnt vmcnt(0)
	v_cndmask_b32_e64 v0, 0, 1.0, s[20:21]
	global_store_dword v[2:3], v0, off
.LBB134_1580:
	s_mov_b64 s[16:17], 0
.LBB134_1581:
	s_andn2_b64 vcc, exec, s[16:17]
	s_cbranch_vccnz .LBB134_1583
; %bb.1582:
	s_waitcnt vmcnt(0)
	v_cndmask_b32_e64 v0, 0, 1.0, s[20:21]
	v_cvt_f16_f32_e32 v0, v0
	global_store_short v[2:3], v0, off
.LBB134_1583:
	s_mov_b64 s[16:17], 0
.LBB134_1584:
	s_andn2_b64 vcc, exec, s[16:17]
	s_cbranch_vccnz .LBB134_1600
; %bb.1585:
	s_sext_i32_i16 s18, s34
	s_cmp_lt_i32 s18, 2
	s_mov_b64 s[16:17], -1
	s_cbranch_scc1 .LBB134_1595
; %bb.1586:
	s_cmp_lt_i32 s18, 3
	s_cbranch_scc1 .LBB134_1592
; %bb.1587:
	s_cmp_gt_i32 s18, 3
	s_cbranch_scc0 .LBB134_1589
; %bb.1588:
	s_mov_b32 s16, 0
	s_waitcnt vmcnt(0)
	v_cndmask_b32_e64 v0, 0, 1, s[20:21]
	v_mov_b32_e32 v1, s16
	s_mov_b64 s[16:17], 0
	global_store_dwordx2 v[2:3], v[0:1], off
.LBB134_1589:
	s_andn2_b64 vcc, exec, s[16:17]
	s_cbranch_vccnz .LBB134_1591
; %bb.1590:
	s_waitcnt vmcnt(0)
	v_cndmask_b32_e64 v0, 0, 1, s[20:21]
	global_store_dword v[2:3], v0, off
.LBB134_1591:
	s_mov_b64 s[16:17], 0
.LBB134_1592:
	s_andn2_b64 vcc, exec, s[16:17]
	s_cbranch_vccnz .LBB134_1594
; %bb.1593:
	s_waitcnt vmcnt(0)
	v_cndmask_b32_e64 v0, 0, 1, s[20:21]
	global_store_short v[2:3], v0, off
.LBB134_1594:
	s_mov_b64 s[16:17], 0
.LBB134_1595:
	s_andn2_b64 vcc, exec, s[16:17]
	s_cbranch_vccnz .LBB134_1600
; %bb.1596:
	s_sext_i32_i16 s18, s34
	s_mov_b64 s[16:17], -1
	s_cmp_gt_i32 s18, 0
	s_waitcnt vmcnt(0)
	v_cndmask_b32_e64 v0, 0, 1, s[20:21]
	s_cbranch_scc0 .LBB134_1598
; %bb.1597:
	s_mov_b64 s[16:17], 0
	global_store_byte v[2:3], v0, off
.LBB134_1598:
	s_andn2_b64 vcc, exec, s[16:17]
	s_cbranch_vccnz .LBB134_1600
; %bb.1599:
	global_store_byte v[2:3], v0, off
.LBB134_1600:
	s_or_b64 exec, exec, s[0:1]
	s_and_b64 s[16:17], s[24:25], exec
                                        ; implicit-def: $vgpr6
.LBB134_1601:
	s_or_saveexec_b64 s[6:7], s[6:7]
	s_mov_b64 s[0:1], 0
                                        ; implicit-def: $sgpr20_sgpr21
                                        ; implicit-def: $sgpr28
                                        ; implicit-def: $vgpr0_vgpr1
	s_xor_b64 exec, exec, s[6:7]
	s_cbranch_execz .LBB134_2695
; %bb.1602:
	v_mul_lo_u32 v7, s13, v6
	s_waitcnt vmcnt(0)
	v_mov_b32_e32 v0, s11
	s_and_b32 s30, s57, 0xff
	s_cmp_lt_i32 s30, 11
	v_ashrrev_i32_e32 v1, 31, v7
	v_add_co_u32_e32 v2, vcc, s10, v7
	v_addc_co_u32_e32 v3, vcc, v0, v1, vcc
	s_cbranch_scc1 .LBB134_1609
; %bb.1603:
	s_and_b32 s24, 0xffff, s30
	s_cmp_gt_i32 s24, 25
	s_cbranch_scc0 .LBB134_1611
; %bb.1604:
	s_cmp_gt_i32 s24, 28
	s_cbranch_scc0 .LBB134_1612
; %bb.1605:
	;; [unrolled: 3-line block ×4, first 2 shown]
	s_cmp_eq_u32 s24, 46
	s_mov_b64 s[18:19], 0
	s_cbranch_scc0 .LBB134_1617
; %bb.1608:
	global_load_dword v0, v[2:3], off
	s_mov_b64 s[20:21], -1
	s_waitcnt vmcnt(0)
	v_and_b32_e32 v1, 0xffff0000, v0
	v_lshlrev_b32_e32 v0, 16, v0
	s_branch .LBB134_1618
.LBB134_1609:
	s_mov_b64 s[20:21], 0
                                        ; implicit-def: $vgpr1
	s_mov_b64 s[18:19], s[16:17]
	s_cbranch_execnz .LBB134_1684
.LBB134_1610:
	s_andn2_b64 vcc, exec, s[20:21]
	s_cbranch_vccz .LBB134_1731
	s_branch .LBB134_2692
.LBB134_1611:
	s_mov_b64 s[20:21], 0
                                        ; implicit-def: $vgpr1
	s_cbranch_execnz .LBB134_1648
	s_branch .LBB134_1680
.LBB134_1612:
	s_mov_b64 s[20:21], 0
                                        ; implicit-def: $vgpr1
	s_cbranch_execnz .LBB134_1630
	s_branch .LBB134_1647
.LBB134_1613:
	s_mov_b64 s[18:19], -1
	s_mov_b64 s[20:21], 0
                                        ; implicit-def: $vgpr1
	s_branch .LBB134_1624
.LBB134_1614:
	s_mov_b64 s[18:19], -1
	s_mov_b64 s[20:21], 0
                                        ; implicit-def: $vgpr1
	s_branch .LBB134_1618
.LBB134_1615:
	s_andn2_saveexec_b64 s[28:29], s[28:29]
	s_cbranch_execz .LBB134_1509
.LBB134_1616:
	v_add_f32_e32 v0, 0x46000000, v1
	v_and_b32_e32 v0, 0xff, v0
	v_cmp_ne_u32_e32 vcc, 0, v0
	s_andn2_b64 s[26:27], s[26:27], exec
	s_and_b64 s[30:31], vcc, exec
	s_or_b64 s[26:27], s[26:27], s[30:31]
	s_or_b64 exec, exec, s[28:29]
	v_mov_b32_e32 v4, 0
	s_and_saveexec_b64 s[28:29], s[26:27]
	s_cbranch_execnz .LBB134_1510
	s_branch .LBB134_1511
.LBB134_1617:
	s_mov_b64 s[0:1], -1
                                        ; implicit-def: $vgpr1
	s_mov_b64 s[20:21], 0
.LBB134_1618:
	s_and_b64 vcc, exec, s[18:19]
	s_cbranch_vccz .LBB134_1623
; %bb.1619:
	s_cmp_eq_u32 s24, 44
	s_cbranch_scc0 .LBB134_1621
; %bb.1620:
	global_load_ubyte v0, v[2:3], off
	s_movk_i32 s18, 0xff
	v_mov_b32_e32 v1, 0x7f800001
	v_mov_b32_e32 v4, 0x400000
	s_mov_b64 s[0:1], 0
	s_mov_b64 s[20:21], -1
	s_waitcnt vmcnt(0)
	v_lshlrev_b32_e32 v5, 23, v0
	v_cmp_ne_u32_e32 vcc, s18, v0
	v_cndmask_b32_e32 v1, v1, v5, vcc
	v_cmp_ne_u32_e32 vcc, 0, v0
	v_cndmask_b32_e32 v0, v4, v1, vcc
	s_branch .LBB134_1622
.LBB134_1621:
	s_mov_b64 s[0:1], -1
                                        ; implicit-def: $vgpr0
.LBB134_1622:
	v_mov_b32_e32 v1, 0
.LBB134_1623:
	s_mov_b64 s[18:19], 0
.LBB134_1624:
	s_and_b64 vcc, exec, s[18:19]
	s_cbranch_vccz .LBB134_1629
; %bb.1625:
	s_cmp_eq_u32 s24, 29
	s_cbranch_scc0 .LBB134_1627
; %bb.1626:
	global_load_dwordx2 v[0:1], v[2:3], off
	s_mov_b64 s[0:1], 0
	s_mov_b64 s[20:21], -1
	s_waitcnt vmcnt(0)
	v_ffbh_u32_e32 v4, v1
	v_min_u32_e32 v4, 32, v4
	v_lshlrev_b64 v[0:1], v4, v[0:1]
	v_min_u32_e32 v0, 1, v0
	v_or_b32_e32 v0, v1, v0
	v_cvt_f32_u32_e32 v0, v0
	v_sub_u32_e32 v1, 32, v4
	v_ldexp_f32 v0, v0, v1
	s_branch .LBB134_1628
.LBB134_1627:
	s_mov_b64 s[0:1], -1
                                        ; implicit-def: $vgpr0
.LBB134_1628:
	v_mov_b32_e32 v1, 0
.LBB134_1629:
	s_branch .LBB134_1647
.LBB134_1630:
	s_cmp_lt_i32 s24, 27
	s_cbranch_scc1 .LBB134_1633
; %bb.1631:
	s_cmp_gt_i32 s24, 27
	s_cbranch_scc0 .LBB134_1634
; %bb.1632:
	global_load_dword v0, v[2:3], off
	s_mov_b64 s[18:19], 0
	s_waitcnt vmcnt(0)
	v_cvt_f32_u32_e32 v0, v0
	s_branch .LBB134_1635
.LBB134_1633:
	s_mov_b64 s[18:19], -1
                                        ; implicit-def: $vgpr0
	s_branch .LBB134_1638
.LBB134_1634:
	s_mov_b64 s[18:19], -1
                                        ; implicit-def: $vgpr0
.LBB134_1635:
	s_andn2_b64 vcc, exec, s[18:19]
	s_cbranch_vccnz .LBB134_1637
; %bb.1636:
	global_load_ushort v0, v[2:3], off
	s_waitcnt vmcnt(0)
	v_cvt_f32_u32_e32 v0, v0
.LBB134_1637:
	s_mov_b64 s[18:19], 0
.LBB134_1638:
	s_andn2_b64 vcc, exec, s[18:19]
	s_cbranch_vccnz .LBB134_1646
; %bb.1639:
	global_load_ubyte v1, v[2:3], off
	s_movk_i32 s18, 0x7f
	s_waitcnt vmcnt(0)
	v_cmp_lt_i16_e32 vcc, s18, v1
	s_mov_b64 s[18:19], 0
	s_and_saveexec_b64 s[20:21], vcc
	s_xor_b64 s[20:21], exec, s[20:21]
	s_cbranch_execz .LBB134_1659
; %bb.1640:
	s_movk_i32 s18, 0x80
	v_cmp_eq_u16_e32 vcc, s18, v1
	s_mov_b64 s[18:19], -1
	s_and_saveexec_b64 s[22:23], vcc
; %bb.1641:
	s_xor_b64 s[18:19], exec, -1
; %bb.1642:
	s_or_b64 exec, exec, s[22:23]
	s_and_b64 s[18:19], s[18:19], exec
	s_or_saveexec_b64 s[20:21], s[20:21]
	v_mov_b32_e32 v0, 0x7f800001
	s_xor_b64 exec, exec, s[20:21]
	s_cbranch_execnz .LBB134_1660
.LBB134_1643:
	s_or_b64 exec, exec, s[20:21]
	s_and_saveexec_b64 s[20:21], s[18:19]
	s_cbranch_execz .LBB134_1645
.LBB134_1644:
	v_lshlrev_b32_e32 v0, 24, v1
	v_and_b32_e32 v1, 0xffff, v1
	v_and_b32_e32 v4, 7, v1
	v_ffbh_u32_e32 v8, v4
	v_min_u32_e32 v8, 32, v8
	v_subrev_u32_e32 v9, 28, v8
	v_bfe_u32 v5, v1, 3, 4
	v_lshlrev_b32_e32 v1, v9, v1
	v_sub_u32_e32 v8, 29, v8
	v_and_b32_e32 v1, 7, v1
	v_cmp_eq_u32_e32 vcc, 0, v5
	v_cndmask_b32_e32 v5, v5, v8, vcc
	v_cndmask_b32_e32 v1, v4, v1, vcc
	v_mov_b32_e32 v4, 0x3b800000
	v_lshlrev_b32_e32 v1, 20, v1
	v_and_b32_e32 v0, 0x80000000, v0
	v_lshl_add_u32 v4, v5, 23, v4
	v_or3_b32 v0, v0, v4, v1
.LBB134_1645:
	s_or_b64 exec, exec, s[20:21]
.LBB134_1646:
	s_mov_b64 s[20:21], -1
	v_mov_b32_e32 v1, 0
.LBB134_1647:
	s_branch .LBB134_1680
.LBB134_1648:
	s_cmp_gt_i32 s24, 22
	s_cbranch_scc0 .LBB134_1658
; %bb.1649:
	s_cmp_lt_i32 s24, 24
	s_cbranch_scc1 .LBB134_1661
; %bb.1650:
	s_cmp_gt_i32 s24, 24
	s_cbranch_scc0 .LBB134_1662
; %bb.1651:
	global_load_ubyte v1, v[2:3], off
	s_movk_i32 s4, 0x7f
	s_waitcnt vmcnt(0)
	v_cmp_lt_i16_e32 vcc, s4, v1
	s_mov_b64 s[4:5], 0
	s_and_saveexec_b64 s[18:19], vcc
	s_xor_b64 s[18:19], exec, s[18:19]
	s_cbranch_execz .LBB134_1673
; %bb.1652:
	s_movk_i32 s4, 0x80
	v_cmp_eq_u16_e32 vcc, s4, v1
	s_mov_b64 s[4:5], -1
	s_and_saveexec_b64 s[20:21], vcc
; %bb.1653:
	s_xor_b64 s[4:5], exec, -1
; %bb.1654:
	s_or_b64 exec, exec, s[20:21]
	s_and_b64 s[4:5], s[4:5], exec
	s_or_saveexec_b64 s[18:19], s[18:19]
	v_mov_b32_e32 v0, 0x7f800001
	s_xor_b64 exec, exec, s[18:19]
	s_cbranch_execnz .LBB134_1674
.LBB134_1655:
	s_or_b64 exec, exec, s[18:19]
	s_and_saveexec_b64 s[18:19], s[4:5]
	s_cbranch_execz .LBB134_1657
.LBB134_1656:
	v_lshlrev_b32_e32 v0, 24, v1
	v_and_b32_e32 v1, 0xffff, v1
	v_and_b32_e32 v4, 3, v1
	v_ffbh_u32_e32 v8, v4
	v_min_u32_e32 v8, 32, v8
	v_subrev_u32_e32 v9, 29, v8
	v_bfe_u32 v5, v1, 2, 5
	v_lshlrev_b32_e32 v1, v9, v1
	v_sub_u32_e32 v8, 30, v8
	v_and_b32_e32 v1, 3, v1
	v_cmp_eq_u32_e32 vcc, 0, v5
	v_cndmask_b32_e32 v5, v5, v8, vcc
	v_cndmask_b32_e32 v1, v4, v1, vcc
	v_mov_b32_e32 v4, 0x37800000
	v_lshlrev_b32_e32 v1, 21, v1
	v_and_b32_e32 v0, 0x80000000, v0
	v_lshl_add_u32 v4, v5, 23, v4
	v_or3_b32 v0, v0, v4, v1
.LBB134_1657:
	s_or_b64 exec, exec, s[18:19]
	s_mov_b64 s[4:5], 0
	s_branch .LBB134_1663
.LBB134_1658:
                                        ; implicit-def: $vgpr0
	s_mov_b64 s[4:5], 0
	s_branch .LBB134_1669
.LBB134_1659:
	s_or_saveexec_b64 s[20:21], s[20:21]
	v_mov_b32_e32 v0, 0x7f800001
	s_xor_b64 exec, exec, s[20:21]
	s_cbranch_execz .LBB134_1643
.LBB134_1660:
	v_cmp_ne_u16_e32 vcc, 0, v1
	s_andn2_b64 s[18:19], s[18:19], exec
	s_and_b64 s[22:23], vcc, exec
	v_mov_b32_e32 v0, 0
	s_or_b64 s[18:19], s[18:19], s[22:23]
	s_or_b64 exec, exec, s[20:21]
	s_and_saveexec_b64 s[20:21], s[18:19]
	s_cbranch_execnz .LBB134_1644
	s_branch .LBB134_1645
.LBB134_1661:
	s_mov_b64 s[4:5], -1
                                        ; implicit-def: $vgpr0
	s_branch .LBB134_1666
.LBB134_1662:
	s_mov_b64 s[4:5], -1
                                        ; implicit-def: $vgpr0
.LBB134_1663:
	s_and_b64 vcc, exec, s[4:5]
	s_cbranch_vccz .LBB134_1665
; %bb.1664:
	global_load_ubyte v0, v[2:3], off
	s_mov_b32 s4, 0x7f800000
	s_waitcnt vmcnt(0)
	v_lshlrev_b32_e32 v0, 24, v0
	v_and_b32_e32 v1, 0x7f000000, v0
	v_ffbh_u32_e32 v4, v1
	v_min_u32_e32 v4, 32, v4
	v_sub_u32_e64 v4, v4, 4 clamp
	v_lshlrev_b32_e32 v8, v4, v1
	v_lshlrev_b32_e32 v4, 23, v4
	v_lshrrev_b32_e32 v8, 4, v8
	v_add_u32_e32 v5, 0x1000000, v1
	v_sub_u32_e32 v4, v8, v4
	v_ashrrev_i32_e32 v5, 8, v5
	v_add_u32_e32 v4, 0x3c000000, v4
	v_and_or_b32 v4, v5, s4, v4
	v_cmp_ne_u32_e32 vcc, 0, v1
	v_cndmask_b32_e32 v1, 0, v4, vcc
	s_brev_b32 s4, 1
	v_and_or_b32 v0, v0, s4, v1
.LBB134_1665:
	s_mov_b64 s[4:5], 0
.LBB134_1666:
	s_andn2_b64 vcc, exec, s[4:5]
	s_cbranch_vccnz .LBB134_1668
; %bb.1667:
	global_load_ubyte v0, v[2:3], off
	s_movk_i32 s4, 0x7f00
	s_brev_b32 s5, 16
	s_waitcnt vmcnt(0)
	v_lshlrev_b16_e32 v1, 8, v0
	v_lshlrev_b32_e32 v0, 25, v0
	v_lshrrev_b32_e32 v4, 4, v0
	v_and_or_b32 v5, v1, s4, 0.5
	v_or_b32_e32 v4, 0x70000000, v4
	v_add_f32_e32 v5, -0.5, v5
	v_mul_f32_e32 v4, 0x7800000, v4
	v_cmp_gt_u32_e32 vcc, s5, v0
	v_bfe_i32 v1, v1, 0, 16
	v_cndmask_b32_e32 v0, v4, v5, vcc
	s_brev_b32 s4, 1
	v_and_or_b32 v0, v1, s4, v0
.LBB134_1668:
	s_mov_b64 s[20:21], -1
	s_mov_b64 s[4:5], 0
	s_cbranch_execnz .LBB134_1679
.LBB134_1669:
	s_cmp_gt_i32 s24, 14
	s_cbranch_scc0 .LBB134_1672
; %bb.1670:
	s_cmp_eq_u32 s24, 15
	s_cbranch_scc0 .LBB134_1675
; %bb.1671:
	global_load_ushort v0, v[2:3], off
	s_mov_b64 s[0:1], 0
	s_mov_b64 s[20:21], -1
	s_waitcnt vmcnt(0)
	v_lshlrev_b32_e32 v0, 16, v0
	s_branch .LBB134_1676
.LBB134_1672:
	s_mov_b64 s[18:19], -1
                                        ; implicit-def: $vgpr0
	s_branch .LBB134_1677
.LBB134_1673:
	s_or_saveexec_b64 s[18:19], s[18:19]
	v_mov_b32_e32 v0, 0x7f800001
	s_xor_b64 exec, exec, s[18:19]
	s_cbranch_execz .LBB134_1655
.LBB134_1674:
	v_cmp_ne_u16_e32 vcc, 0, v1
	s_andn2_b64 s[4:5], s[4:5], exec
	s_and_b64 s[20:21], vcc, exec
	v_mov_b32_e32 v0, 0
	s_or_b64 s[4:5], s[4:5], s[20:21]
	s_or_b64 exec, exec, s[18:19]
	s_and_saveexec_b64 s[18:19], s[4:5]
	s_cbranch_execnz .LBB134_1656
	s_branch .LBB134_1657
.LBB134_1675:
	s_mov_b64 s[0:1], -1
                                        ; implicit-def: $vgpr0
.LBB134_1676:
	s_mov_b64 s[18:19], 0
.LBB134_1677:
	s_and_b64 vcc, exec, s[18:19]
	s_cbranch_vccz .LBB134_1679
; %bb.1678:
	s_cmp_lg_u32 s24, 11
	s_mov_b64 s[4:5], -1
	s_cselect_b64 s[0:1], -1, 0
.LBB134_1679:
	v_mov_b32_e32 v1, 0
.LBB134_1680:
	s_and_b64 vcc, exec, s[0:1]
	s_mov_b64 s[18:19], s[16:17]
	s_cbranch_vccnz .LBB134_1743
; %bb.1681:
	s_andn2_b64 vcc, exec, s[4:5]
	s_cbranch_vccnz .LBB134_1683
.LBB134_1682:
	global_load_ubyte v0, v[2:3], off
	v_mov_b32_e32 v1, 0
	s_mov_b64 s[20:21], -1
	s_waitcnt vmcnt(0)
	v_cmp_ne_u16_e32 vcc, 0, v0
	v_cndmask_b32_e64 v0, 0, 1.0, vcc
.LBB134_1683:
	s_branch .LBB134_1610
.LBB134_1684:
	s_and_b32 s4, 0xffff, s30
	s_cmp_lt_i32 s4, 5
	s_cbranch_scc1 .LBB134_1689
; %bb.1685:
	s_cmp_lt_i32 s4, 8
	s_cbranch_scc1 .LBB134_1691
; %bb.1686:
	;; [unrolled: 3-line block ×3, first 2 shown]
	s_cmp_gt_i32 s4, 9
	s_cbranch_scc0 .LBB134_1693
; %bb.1688:
	global_load_dwordx4 v[8:11], v[2:3], off
	s_mov_b64 s[0:1], 0
	s_waitcnt vmcnt(0)
	v_cvt_f32_f64_e32 v0, v[8:9]
	v_cvt_f32_f64_e32 v1, v[10:11]
	s_branch .LBB134_1694
.LBB134_1689:
                                        ; implicit-def: $vgpr1
	s_branch .LBB134_1712
.LBB134_1690:
	s_branch .LBB134_1731
.LBB134_1691:
                                        ; implicit-def: $vgpr1
	s_branch .LBB134_1700
.LBB134_1692:
	s_mov_b64 s[0:1], -1
                                        ; implicit-def: $vgpr1
	s_branch .LBB134_1697
.LBB134_1693:
	s_mov_b64 s[0:1], -1
                                        ; implicit-def: $vgpr1
.LBB134_1694:
	s_andn2_b64 vcc, exec, s[0:1]
	s_cbranch_vccnz .LBB134_1696
; %bb.1695:
	global_load_dwordx2 v[0:1], v[2:3], off
.LBB134_1696:
	s_mov_b64 s[0:1], 0
.LBB134_1697:
	s_andn2_b64 vcc, exec, s[0:1]
	s_cbranch_vccnz .LBB134_1699
; %bb.1698:
	global_load_dword v1, v[2:3], off
	s_waitcnt vmcnt(0)
	v_cvt_f32_f16_e32 v0, v1
	v_cvt_f32_f16_sdwa v1, v1 dst_sel:DWORD dst_unused:UNUSED_PAD src0_sel:WORD_1
.LBB134_1699:
	s_cbranch_execnz .LBB134_1711
.LBB134_1700:
	s_cmp_lt_i32 s4, 6
	s_cbranch_scc1 .LBB134_1703
; %bb.1701:
	s_cmp_gt_i32 s4, 6
	s_cbranch_scc0 .LBB134_1704
; %bb.1702:
	global_load_dwordx2 v[0:1], v[2:3], off
	s_mov_b64 s[0:1], 0
	s_waitcnt vmcnt(0)
	v_cvt_f32_f64_e32 v0, v[0:1]
	s_branch .LBB134_1705
.LBB134_1703:
	s_mov_b64 s[0:1], -1
                                        ; implicit-def: $vgpr0
	s_branch .LBB134_1708
.LBB134_1704:
	s_mov_b64 s[0:1], -1
                                        ; implicit-def: $vgpr0
.LBB134_1705:
	s_andn2_b64 vcc, exec, s[0:1]
	s_cbranch_vccnz .LBB134_1707
; %bb.1706:
	global_load_dword v0, v[2:3], off
.LBB134_1707:
	s_mov_b64 s[0:1], 0
.LBB134_1708:
	s_andn2_b64 vcc, exec, s[0:1]
	s_cbranch_vccnz .LBB134_1710
; %bb.1709:
	global_load_ushort v0, v[2:3], off
	s_waitcnt vmcnt(0)
	v_cvt_f32_f16_e32 v0, v0
.LBB134_1710:
	s_waitcnt vmcnt(0)
	v_mov_b32_e32 v1, 0
.LBB134_1711:
	s_cbranch_execnz .LBB134_1690
.LBB134_1712:
	s_cmp_lt_i32 s4, 2
	s_cbranch_scc1 .LBB134_1716
; %bb.1713:
	s_cmp_lt_i32 s4, 3
	s_cbranch_scc1 .LBB134_1717
; %bb.1714:
	s_cmp_gt_i32 s4, 3
	s_cbranch_scc0 .LBB134_1718
; %bb.1715:
	global_load_dwordx2 v[0:1], v[2:3], off
	s_mov_b64 s[0:1], 0
	s_waitcnt vmcnt(0)
	v_xor_b32_e32 v5, v0, v1
	v_ffbh_i32_e32 v4, v1
	v_ashrrev_i32_e32 v5, 31, v5
	v_add_u32_e32 v4, -1, v4
	v_add_u32_e32 v5, 32, v5
	v_min_u32_e32 v4, v4, v5
	v_lshlrev_b64 v[0:1], v4, v[0:1]
	v_min_u32_e32 v0, 1, v0
	v_or_b32_e32 v0, v1, v0
	v_cvt_f32_i32_e32 v0, v0
	v_sub_u32_e32 v1, 32, v4
	v_ldexp_f32 v0, v0, v1
	s_branch .LBB134_1719
.LBB134_1716:
                                        ; implicit-def: $vgpr0
	s_branch .LBB134_1725
.LBB134_1717:
	s_mov_b64 s[0:1], -1
                                        ; implicit-def: $vgpr0
	s_branch .LBB134_1722
.LBB134_1718:
	s_mov_b64 s[0:1], -1
                                        ; implicit-def: $vgpr0
.LBB134_1719:
	s_andn2_b64 vcc, exec, s[0:1]
	s_cbranch_vccnz .LBB134_1721
; %bb.1720:
	global_load_dword v0, v[2:3], off
	s_waitcnt vmcnt(0)
	v_cvt_f32_i32_e32 v0, v0
.LBB134_1721:
	s_mov_b64 s[0:1], 0
.LBB134_1722:
	s_andn2_b64 vcc, exec, s[0:1]
	s_cbranch_vccnz .LBB134_1724
; %bb.1723:
	global_load_sshort v0, v[2:3], off
	s_waitcnt vmcnt(0)
	v_cvt_f32_i32_e32 v0, v0
.LBB134_1724:
	s_cbranch_execnz .LBB134_1730
.LBB134_1725:
	s_cmp_gt_i32 s4, 0
	s_cbranch_scc0 .LBB134_1727
; %bb.1726:
	global_load_sbyte v0, v[2:3], off
	s_mov_b64 s[0:1], 0
	s_waitcnt vmcnt(0)
	v_cvt_f32_i32_e32 v0, v0
	s_branch .LBB134_1728
.LBB134_1727:
	s_mov_b64 s[0:1], -1
                                        ; implicit-def: $vgpr0
.LBB134_1728:
	s_andn2_b64 vcc, exec, s[0:1]
	s_cbranch_vccnz .LBB134_1730
; %bb.1729:
	global_load_ubyte v0, v[2:3], off
	s_waitcnt vmcnt(0)
	v_cvt_f32_ubyte0_e32 v0, v0
.LBB134_1730:
	s_waitcnt vmcnt(0)
	v_mov_b32_e32 v1, 0
.LBB134_1731:
	v_mul_lo_u32 v8, s14, v6
	v_mov_b32_e32 v3, s3
	s_and_b32 s31, s56, 0xff
	s_cmp_lt_i32 s31, 11
	v_ashrrev_i32_e32 v4, 31, v8
	v_add_co_u32_e32 v2, vcc, s2, v8
	v_addc_co_u32_e32 v3, vcc, v3, v4, vcc
	s_cbranch_scc1 .LBB134_1738
; %bb.1732:
	s_and_b32 s26, 0xffff, s31
	s_cmp_gt_i32 s26, 25
	s_mov_b64 s[4:5], 0
	s_cbranch_scc0 .LBB134_1740
; %bb.1733:
	s_cmp_gt_i32 s26, 28
	s_cbranch_scc0 .LBB134_1741
; %bb.1734:
	s_cmp_gt_i32 s26, 43
	;; [unrolled: 3-line block ×3, first 2 shown]
	s_cbranch_scc0 .LBB134_1744
; %bb.1736:
	s_cmp_eq_u32 s26, 46
	s_mov_b64 s[22:23], 0
	s_cbranch_scc0 .LBB134_1747
; %bb.1737:
	global_load_dword v4, v[2:3], off
	s_mov_b64 s[0:1], 0
	s_mov_b64 s[20:21], -1
	s_waitcnt vmcnt(0)
	v_and_b32_e32 v5, 0xffff0000, v4
	v_lshlrev_b32_e32 v4, 16, v4
	s_branch .LBB134_1748
.LBB134_1738:
	s_mov_b64 s[20:21], 0
                                        ; implicit-def: $vgpr5
	s_cbranch_execnz .LBB134_1816
.LBB134_1739:
	s_andn2_b64 vcc, exec, s[20:21]
	s_cbranch_vccnz .LBB134_2692
	s_branch .LBB134_1865
.LBB134_1740:
	s_mov_b64 s[20:21], 0
	s_mov_b64 s[0:1], 0
                                        ; implicit-def: $vgpr5
	s_cbranch_execnz .LBB134_1779
	s_branch .LBB134_1812
.LBB134_1741:
	s_mov_b64 s[22:23], -1
	s_mov_b64 s[20:21], 0
	s_mov_b64 s[0:1], 0
                                        ; implicit-def: $vgpr5
	s_branch .LBB134_1760
.LBB134_1742:
	s_mov_b64 s[22:23], -1
	s_mov_b64 s[20:21], 0
	s_mov_b64 s[0:1], 0
                                        ; implicit-def: $vgpr5
	s_branch .LBB134_1754
.LBB134_1743:
	s_trap 2
	s_or_b64 s[18:19], s[16:17], exec
	s_cbranch_execz .LBB134_1682
	s_branch .LBB134_1683
.LBB134_1744:
	s_mov_b64 s[22:23], -1
	s_mov_b64 s[20:21], 0
	s_mov_b64 s[0:1], 0
                                        ; implicit-def: $vgpr5
	s_branch .LBB134_1748
.LBB134_1745:
	s_andn2_saveexec_b64 s[30:31], s[30:31]
	s_cbranch_execz .LBB134_1521
.LBB134_1746:
	v_add_f32_e32 v0, 0x42800000, v1
	v_and_b32_e32 v0, 0xff, v0
	v_cmp_ne_u32_e32 vcc, 0, v0
	s_andn2_b64 s[28:29], s[28:29], exec
	s_and_b64 s[36:37], vcc, exec
	s_or_b64 s[28:29], s[28:29], s[36:37]
	s_or_b64 exec, exec, s[30:31]
	v_mov_b32_e32 v4, 0
	s_and_saveexec_b64 s[30:31], s[28:29]
	s_cbranch_execnz .LBB134_1522
	s_branch .LBB134_1523
.LBB134_1747:
	s_mov_b64 s[0:1], -1
                                        ; implicit-def: $vgpr5
	s_mov_b64 s[20:21], 0
.LBB134_1748:
	s_and_b64 vcc, exec, s[22:23]
	s_cbranch_vccz .LBB134_1753
; %bb.1749:
	s_cmp_eq_u32 s26, 44
	s_cbranch_scc0 .LBB134_1751
; %bb.1750:
	global_load_ubyte v4, v[2:3], off
	s_movk_i32 s20, 0xff
	v_mov_b32_e32 v5, 0x7f800001
	v_mov_b32_e32 v9, 0x400000
	s_mov_b64 s[0:1], 0
	s_waitcnt vmcnt(0)
	v_lshlrev_b32_e32 v10, 23, v4
	v_cmp_ne_u32_e32 vcc, s20, v4
	v_cndmask_b32_e32 v5, v5, v10, vcc
	v_cmp_ne_u32_e32 vcc, 0, v4
	v_cndmask_b32_e32 v4, v9, v5, vcc
	s_mov_b64 s[20:21], -1
	s_branch .LBB134_1752
.LBB134_1751:
	s_mov_b64 s[0:1], -1
                                        ; implicit-def: $vgpr4
.LBB134_1752:
	v_mov_b32_e32 v5, 0
.LBB134_1753:
	s_mov_b64 s[22:23], 0
.LBB134_1754:
	s_and_b64 vcc, exec, s[22:23]
	s_cbranch_vccz .LBB134_1759
; %bb.1755:
	s_cmp_eq_u32 s26, 29
	s_cbranch_scc0 .LBB134_1757
; %bb.1756:
	global_load_dwordx2 v[4:5], v[2:3], off
	s_mov_b64 s[0:1], 0
	s_mov_b64 s[20:21], -1
	s_waitcnt vmcnt(0)
	v_ffbh_u32_e32 v9, v5
	v_min_u32_e32 v9, 32, v9
	v_lshlrev_b64 v[4:5], v9, v[4:5]
	v_min_u32_e32 v4, 1, v4
	v_or_b32_e32 v4, v5, v4
	v_cvt_f32_u32_e32 v4, v4
	v_sub_u32_e32 v5, 32, v9
	v_ldexp_f32 v4, v4, v5
	s_branch .LBB134_1758
.LBB134_1757:
	s_mov_b64 s[0:1], -1
                                        ; implicit-def: $vgpr4
.LBB134_1758:
	v_mov_b32_e32 v5, 0
.LBB134_1759:
	s_mov_b64 s[22:23], 0
.LBB134_1760:
	s_and_b64 vcc, exec, s[22:23]
	s_cbranch_vccz .LBB134_1778
; %bb.1761:
	s_cmp_lt_i32 s26, 27
	s_cbranch_scc1 .LBB134_1764
; %bb.1762:
	s_cmp_gt_i32 s26, 27
	s_cbranch_scc0 .LBB134_1765
; %bb.1763:
	global_load_dword v4, v[2:3], off
	s_mov_b64 s[20:21], 0
	s_waitcnt vmcnt(0)
	v_cvt_f32_u32_e32 v4, v4
	s_branch .LBB134_1766
.LBB134_1764:
	s_mov_b64 s[20:21], -1
                                        ; implicit-def: $vgpr4
	s_branch .LBB134_1769
.LBB134_1765:
	s_mov_b64 s[20:21], -1
                                        ; implicit-def: $vgpr4
.LBB134_1766:
	s_andn2_b64 vcc, exec, s[20:21]
	s_cbranch_vccnz .LBB134_1768
; %bb.1767:
	global_load_ushort v4, v[2:3], off
	s_waitcnt vmcnt(0)
	v_cvt_f32_u32_e32 v4, v4
.LBB134_1768:
	s_mov_b64 s[20:21], 0
.LBB134_1769:
	s_andn2_b64 vcc, exec, s[20:21]
	s_cbranch_vccnz .LBB134_1777
; %bb.1770:
	global_load_ubyte v5, v[2:3], off
	s_movk_i32 s20, 0x7f
	s_waitcnt vmcnt(0)
	v_cmp_lt_i16_e32 vcc, s20, v5
	s_mov_b64 s[20:21], 0
	s_and_saveexec_b64 s[22:23], vcc
	s_xor_b64 s[22:23], exec, s[22:23]
	s_cbranch_execz .LBB134_1790
; %bb.1771:
	s_movk_i32 s20, 0x80
	v_cmp_eq_u16_e32 vcc, s20, v5
	s_mov_b64 s[20:21], -1
	s_and_saveexec_b64 s[24:25], vcc
; %bb.1772:
	s_xor_b64 s[20:21], exec, -1
; %bb.1773:
	s_or_b64 exec, exec, s[24:25]
	s_and_b64 s[20:21], s[20:21], exec
	s_or_saveexec_b64 s[22:23], s[22:23]
	v_mov_b32_e32 v4, 0x7f800001
	s_xor_b64 exec, exec, s[22:23]
	s_cbranch_execnz .LBB134_1791
.LBB134_1774:
	s_or_b64 exec, exec, s[22:23]
	s_and_saveexec_b64 s[22:23], s[20:21]
	s_cbranch_execz .LBB134_1776
.LBB134_1775:
	v_lshlrev_b32_e32 v4, 24, v5
	v_and_b32_e32 v5, 0xffff, v5
	v_and_b32_e32 v9, 7, v5
	v_ffbh_u32_e32 v11, v9
	v_min_u32_e32 v11, 32, v11
	v_subrev_u32_e32 v12, 28, v11
	v_bfe_u32 v10, v5, 3, 4
	v_lshlrev_b32_e32 v5, v12, v5
	v_sub_u32_e32 v11, 29, v11
	v_and_b32_e32 v5, 7, v5
	v_cmp_eq_u32_e32 vcc, 0, v10
	v_cndmask_b32_e32 v10, v10, v11, vcc
	v_cndmask_b32_e32 v5, v9, v5, vcc
	v_mov_b32_e32 v9, 0x3b800000
	v_lshlrev_b32_e32 v5, 20, v5
	v_and_b32_e32 v4, 0x80000000, v4
	v_lshl_add_u32 v9, v10, 23, v9
	v_or3_b32 v4, v4, v9, v5
.LBB134_1776:
	s_or_b64 exec, exec, s[22:23]
.LBB134_1777:
	s_mov_b64 s[20:21], -1
	v_mov_b32_e32 v5, 0
.LBB134_1778:
	s_branch .LBB134_1812
.LBB134_1779:
	s_cmp_gt_i32 s26, 22
	s_cbranch_scc0 .LBB134_1789
; %bb.1780:
	s_cmp_lt_i32 s26, 24
	s_cbranch_scc1 .LBB134_1792
; %bb.1781:
	s_cmp_gt_i32 s26, 24
	s_cbranch_scc0 .LBB134_1793
; %bb.1782:
	global_load_ubyte v5, v[2:3], off
	s_movk_i32 s4, 0x7f
	s_waitcnt vmcnt(0)
	v_cmp_lt_i16_e32 vcc, s4, v5
	s_mov_b64 s[4:5], 0
	s_and_saveexec_b64 s[20:21], vcc
	s_xor_b64 s[20:21], exec, s[20:21]
	s_cbranch_execz .LBB134_1805
; %bb.1783:
	s_movk_i32 s4, 0x80
	v_cmp_eq_u16_e32 vcc, s4, v5
	s_mov_b64 s[4:5], -1
	s_and_saveexec_b64 s[22:23], vcc
; %bb.1784:
	s_xor_b64 s[4:5], exec, -1
; %bb.1785:
	s_or_b64 exec, exec, s[22:23]
	s_and_b64 s[4:5], s[4:5], exec
	s_or_saveexec_b64 s[20:21], s[20:21]
	v_mov_b32_e32 v4, 0x7f800001
	s_xor_b64 exec, exec, s[20:21]
	s_cbranch_execnz .LBB134_1806
.LBB134_1786:
	s_or_b64 exec, exec, s[20:21]
	s_and_saveexec_b64 s[20:21], s[4:5]
	s_cbranch_execz .LBB134_1788
.LBB134_1787:
	v_lshlrev_b32_e32 v4, 24, v5
	v_and_b32_e32 v5, 0xffff, v5
	v_and_b32_e32 v9, 3, v5
	v_ffbh_u32_e32 v11, v9
	v_min_u32_e32 v11, 32, v11
	v_subrev_u32_e32 v12, 29, v11
	v_bfe_u32 v10, v5, 2, 5
	v_lshlrev_b32_e32 v5, v12, v5
	v_sub_u32_e32 v11, 30, v11
	v_and_b32_e32 v5, 3, v5
	v_cmp_eq_u32_e32 vcc, 0, v10
	v_cndmask_b32_e32 v10, v10, v11, vcc
	v_cndmask_b32_e32 v5, v9, v5, vcc
	v_mov_b32_e32 v9, 0x37800000
	v_lshlrev_b32_e32 v5, 21, v5
	v_and_b32_e32 v4, 0x80000000, v4
	v_lshl_add_u32 v9, v10, 23, v9
	v_or3_b32 v4, v4, v9, v5
.LBB134_1788:
	s_or_b64 exec, exec, s[20:21]
	s_mov_b64 s[4:5], 0
	s_branch .LBB134_1794
.LBB134_1789:
	s_mov_b64 s[4:5], -1
                                        ; implicit-def: $vgpr4
	s_branch .LBB134_1800
.LBB134_1790:
	s_or_saveexec_b64 s[22:23], s[22:23]
	v_mov_b32_e32 v4, 0x7f800001
	s_xor_b64 exec, exec, s[22:23]
	s_cbranch_execz .LBB134_1774
.LBB134_1791:
	v_cmp_ne_u16_e32 vcc, 0, v5
	s_andn2_b64 s[20:21], s[20:21], exec
	s_and_b64 s[24:25], vcc, exec
	v_mov_b32_e32 v4, 0
	s_or_b64 s[20:21], s[20:21], s[24:25]
	s_or_b64 exec, exec, s[22:23]
	s_and_saveexec_b64 s[22:23], s[20:21]
	s_cbranch_execnz .LBB134_1775
	s_branch .LBB134_1776
.LBB134_1792:
	s_mov_b64 s[4:5], -1
                                        ; implicit-def: $vgpr4
	s_branch .LBB134_1797
.LBB134_1793:
	s_mov_b64 s[4:5], -1
                                        ; implicit-def: $vgpr4
.LBB134_1794:
	s_and_b64 vcc, exec, s[4:5]
	s_cbranch_vccz .LBB134_1796
; %bb.1795:
	global_load_ubyte v4, v[2:3], off
	s_mov_b32 s4, 0x7f800000
	s_waitcnt vmcnt(0)
	v_lshlrev_b32_e32 v4, 24, v4
	v_and_b32_e32 v5, 0x7f000000, v4
	v_ffbh_u32_e32 v9, v5
	v_min_u32_e32 v9, 32, v9
	v_sub_u32_e64 v9, v9, 4 clamp
	v_lshlrev_b32_e32 v11, v9, v5
	v_lshlrev_b32_e32 v9, 23, v9
	v_lshrrev_b32_e32 v11, 4, v11
	v_add_u32_e32 v10, 0x1000000, v5
	v_sub_u32_e32 v9, v11, v9
	v_ashrrev_i32_e32 v10, 8, v10
	v_add_u32_e32 v9, 0x3c000000, v9
	v_and_or_b32 v9, v10, s4, v9
	v_cmp_ne_u32_e32 vcc, 0, v5
	v_cndmask_b32_e32 v5, 0, v9, vcc
	s_brev_b32 s4, 1
	v_and_or_b32 v4, v4, s4, v5
.LBB134_1796:
	s_mov_b64 s[4:5], 0
.LBB134_1797:
	s_andn2_b64 vcc, exec, s[4:5]
	s_cbranch_vccnz .LBB134_1799
; %bb.1798:
	global_load_ubyte v4, v[2:3], off
	s_movk_i32 s4, 0x7f00
	s_brev_b32 s5, 16
	s_waitcnt vmcnt(0)
	v_lshlrev_b16_e32 v5, 8, v4
	v_lshlrev_b32_e32 v4, 25, v4
	v_lshrrev_b32_e32 v9, 4, v4
	v_and_or_b32 v10, v5, s4, 0.5
	v_or_b32_e32 v9, 0x70000000, v9
	v_add_f32_e32 v10, -0.5, v10
	v_mul_f32_e32 v9, 0x7800000, v9
	v_cmp_gt_u32_e32 vcc, s5, v4
	v_bfe_i32 v5, v5, 0, 16
	v_cndmask_b32_e32 v4, v9, v10, vcc
	s_brev_b32 s4, 1
	v_and_or_b32 v4, v5, s4, v4
.LBB134_1799:
	s_mov_b64 s[4:5], 0
	s_mov_b64 s[20:21], -1
.LBB134_1800:
	s_andn2_b64 vcc, exec, s[4:5]
	s_mov_b64 s[4:5], 0
	s_cbranch_vccnz .LBB134_1811
; %bb.1801:
	s_cmp_gt_i32 s26, 14
	s_cbranch_scc0 .LBB134_1804
; %bb.1802:
	s_cmp_eq_u32 s26, 15
	s_cbranch_scc0 .LBB134_1807
; %bb.1803:
	global_load_ushort v4, v[2:3], off
	s_mov_b64 s[0:1], 0
	s_mov_b64 s[20:21], -1
	s_waitcnt vmcnt(0)
	v_lshlrev_b32_e32 v4, 16, v4
	s_branch .LBB134_1808
.LBB134_1804:
	s_mov_b64 s[22:23], -1
                                        ; implicit-def: $vgpr4
	s_branch .LBB134_1809
.LBB134_1805:
	s_or_saveexec_b64 s[20:21], s[20:21]
	v_mov_b32_e32 v4, 0x7f800001
	s_xor_b64 exec, exec, s[20:21]
	s_cbranch_execz .LBB134_1786
.LBB134_1806:
	v_cmp_ne_u16_e32 vcc, 0, v5
	s_andn2_b64 s[4:5], s[4:5], exec
	s_and_b64 s[22:23], vcc, exec
	v_mov_b32_e32 v4, 0
	s_or_b64 s[4:5], s[4:5], s[22:23]
	s_or_b64 exec, exec, s[20:21]
	s_and_saveexec_b64 s[20:21], s[4:5]
	s_cbranch_execnz .LBB134_1787
	s_branch .LBB134_1788
.LBB134_1807:
	s_mov_b64 s[0:1], -1
                                        ; implicit-def: $vgpr4
.LBB134_1808:
	s_mov_b64 s[22:23], 0
.LBB134_1809:
	s_and_b64 vcc, exec, s[22:23]
	s_cbranch_vccz .LBB134_1811
; %bb.1810:
	s_cmp_lg_u32 s26, 11
	s_mov_b64 s[4:5], -1
	s_cselect_b64 s[0:1], -1, 0
.LBB134_1811:
	v_mov_b32_e32 v5, 0
.LBB134_1812:
	s_and_b64 vcc, exec, s[0:1]
	s_cbranch_vccnz .LBB134_1893
; %bb.1813:
	s_andn2_b64 vcc, exec, s[4:5]
	s_cbranch_vccnz .LBB134_1815
.LBB134_1814:
	global_load_ubyte v4, v[2:3], off
	v_mov_b32_e32 v5, 0
	s_mov_b64 s[20:21], -1
	s_waitcnt vmcnt(0)
	v_cmp_ne_u16_e32 vcc, 0, v4
	v_cndmask_b32_e64 v4, 0, 1.0, vcc
.LBB134_1815:
	s_branch .LBB134_1739
.LBB134_1816:
	s_and_b32 s4, 0xffff, s31
	s_cmp_lt_i32 s4, 5
	s_cbranch_scc1 .LBB134_1821
; %bb.1817:
	s_cmp_lt_i32 s4, 8
	s_cbranch_scc1 .LBB134_1823
; %bb.1818:
	s_cmp_lt_i32 s4, 9
	s_cbranch_scc1 .LBB134_1824
; %bb.1819:
	s_cmp_gt_i32 s4, 9
	s_cbranch_scc0 .LBB134_1825
; %bb.1820:
	global_load_dwordx4 v[9:12], v[2:3], off
	s_mov_b64 s[0:1], 0
	s_waitcnt vmcnt(0)
	v_cvt_f32_f64_e32 v4, v[9:10]
	v_cvt_f32_f64_e32 v5, v[11:12]
	s_branch .LBB134_1826
.LBB134_1821:
                                        ; implicit-def: $vgpr5
	s_branch .LBB134_1845
.LBB134_1822:
	s_branch .LBB134_1865
.LBB134_1823:
	s_mov_b64 s[0:1], -1
                                        ; implicit-def: $vgpr5
	s_branch .LBB134_1832
.LBB134_1824:
	s_mov_b64 s[0:1], -1
                                        ; implicit-def: $vgpr5
	s_branch .LBB134_1829
.LBB134_1825:
	s_mov_b64 s[0:1], -1
                                        ; implicit-def: $vgpr5
.LBB134_1826:
	s_andn2_b64 vcc, exec, s[0:1]
	s_cbranch_vccnz .LBB134_1828
; %bb.1827:
	global_load_dwordx2 v[4:5], v[2:3], off
.LBB134_1828:
	s_mov_b64 s[0:1], 0
.LBB134_1829:
	s_andn2_b64 vcc, exec, s[0:1]
	s_cbranch_vccnz .LBB134_1831
; %bb.1830:
	global_load_dword v5, v[2:3], off
	s_waitcnt vmcnt(0)
	v_cvt_f32_f16_e32 v4, v5
	v_cvt_f32_f16_sdwa v5, v5 dst_sel:DWORD dst_unused:UNUSED_PAD src0_sel:WORD_1
.LBB134_1831:
	s_mov_b64 s[0:1], 0
.LBB134_1832:
	s_andn2_b64 vcc, exec, s[0:1]
	s_cbranch_vccnz .LBB134_1844
; %bb.1833:
	s_cmp_lt_i32 s4, 6
	s_cbranch_scc1 .LBB134_1836
; %bb.1834:
	s_cmp_gt_i32 s4, 6
	s_cbranch_scc0 .LBB134_1837
; %bb.1835:
	global_load_dwordx2 v[4:5], v[2:3], off
	s_mov_b64 s[0:1], 0
	s_waitcnt vmcnt(0)
	v_cvt_f32_f64_e32 v4, v[4:5]
	s_branch .LBB134_1838
.LBB134_1836:
	s_mov_b64 s[0:1], -1
                                        ; implicit-def: $vgpr4
	s_branch .LBB134_1841
.LBB134_1837:
	s_mov_b64 s[0:1], -1
                                        ; implicit-def: $vgpr4
.LBB134_1838:
	s_andn2_b64 vcc, exec, s[0:1]
	s_cbranch_vccnz .LBB134_1840
; %bb.1839:
	global_load_dword v4, v[2:3], off
.LBB134_1840:
	s_mov_b64 s[0:1], 0
.LBB134_1841:
	s_andn2_b64 vcc, exec, s[0:1]
	s_cbranch_vccnz .LBB134_1843
; %bb.1842:
	global_load_ushort v4, v[2:3], off
	s_waitcnt vmcnt(0)
	v_cvt_f32_f16_e32 v4, v4
.LBB134_1843:
	s_waitcnt vmcnt(0)
	v_mov_b32_e32 v5, 0
.LBB134_1844:
	s_cbranch_execnz .LBB134_1822
.LBB134_1845:
	s_cmp_lt_i32 s4, 2
	s_cbranch_scc1 .LBB134_1849
; %bb.1846:
	s_cmp_lt_i32 s4, 3
	s_cbranch_scc1 .LBB134_1850
; %bb.1847:
	s_cmp_gt_i32 s4, 3
	s_cbranch_scc0 .LBB134_1851
; %bb.1848:
	global_load_dwordx2 v[4:5], v[2:3], off
	s_mov_b64 s[0:1], 0
	s_waitcnt vmcnt(0)
	v_xor_b32_e32 v10, v4, v5
	v_ffbh_i32_e32 v9, v5
	v_ashrrev_i32_e32 v10, 31, v10
	v_add_u32_e32 v9, -1, v9
	v_add_u32_e32 v10, 32, v10
	v_min_u32_e32 v9, v9, v10
	v_lshlrev_b64 v[4:5], v9, v[4:5]
	v_min_u32_e32 v4, 1, v4
	v_or_b32_e32 v4, v5, v4
	v_cvt_f32_i32_e32 v4, v4
	v_sub_u32_e32 v5, 32, v9
	v_ldexp_f32 v4, v4, v5
	s_branch .LBB134_1852
.LBB134_1849:
	s_mov_b64 s[0:1], -1
                                        ; implicit-def: $vgpr4
	s_branch .LBB134_1858
.LBB134_1850:
	s_mov_b64 s[0:1], -1
                                        ; implicit-def: $vgpr4
	s_branch .LBB134_1855
.LBB134_1851:
	s_mov_b64 s[0:1], -1
                                        ; implicit-def: $vgpr4
.LBB134_1852:
	s_andn2_b64 vcc, exec, s[0:1]
	s_cbranch_vccnz .LBB134_1854
; %bb.1853:
	global_load_dword v4, v[2:3], off
	s_waitcnt vmcnt(0)
	v_cvt_f32_i32_e32 v4, v4
.LBB134_1854:
	s_mov_b64 s[0:1], 0
.LBB134_1855:
	s_andn2_b64 vcc, exec, s[0:1]
	s_cbranch_vccnz .LBB134_1857
; %bb.1856:
	global_load_sshort v4, v[2:3], off
	s_waitcnt vmcnt(0)
	v_cvt_f32_i32_e32 v4, v4
.LBB134_1857:
	s_mov_b64 s[0:1], 0
.LBB134_1858:
	s_andn2_b64 vcc, exec, s[0:1]
	s_cbranch_vccnz .LBB134_1864
; %bb.1859:
	s_cmp_gt_i32 s4, 0
	s_cbranch_scc0 .LBB134_1861
; %bb.1860:
	global_load_sbyte v4, v[2:3], off
	s_mov_b64 s[0:1], 0
	s_waitcnt vmcnt(0)
	v_cvt_f32_i32_e32 v4, v4
	s_branch .LBB134_1862
.LBB134_1861:
	s_mov_b64 s[0:1], -1
                                        ; implicit-def: $vgpr4
.LBB134_1862:
	s_andn2_b64 vcc, exec, s[0:1]
	s_cbranch_vccnz .LBB134_1864
; %bb.1863:
	global_load_ubyte v2, v[2:3], off
	s_waitcnt vmcnt(0)
	v_cvt_f32_ubyte0_e32 v4, v2
.LBB134_1864:
	s_waitcnt vmcnt(0)
	v_mov_b32_e32 v5, 0
.LBB134_1865:
	s_cmp_lg_u32 s15, 0
	s_cselect_b64 s[20:21], -1, 0
	s_and_b64 vcc, exec, s[20:21]
	s_cbranch_vccz .LBB134_1877
; %bb.1866:
	s_waitcnt vmcnt(0)
	v_cmp_neq_f32_e32 vcc, v0, v4
	v_cmp_neq_f32_e64 s[0:1], v1, v5
	s_or_b64 s[4:5], vcc, s[0:1]
	s_cbranch_execnz .LBB134_1868
.LBB134_1867:
	s_waitcnt vmcnt(0)
	v_cmp_eq_f32_e32 vcc, v0, v4
	v_cmp_eq_f32_e64 s[0:1], v1, v5
	s_and_b64 s[0:1], vcc, s[0:1]
	s_andn2_b64 s[4:5], s[4:5], exec
	s_and_b64 s[0:1], s[0:1], exec
	s_or_b64 s[4:5], s[4:5], s[0:1]
.LBB134_1868:
	s_lshl_b32 s13, s13, 7
	v_add_u32_e32 v7, s13, v7
	s_waitcnt vmcnt(0)
	v_ashrrev_i32_e32 v0, 31, v7
	v_mov_b32_e32 v1, s11
	v_add_co_u32_e32 v2, vcc, s10, v7
	s_cmp_lt_i32 s30, 11
	v_addc_co_u32_e32 v3, vcc, v1, v0, vcc
	s_cbranch_scc1 .LBB134_1875
; %bb.1869:
	s_and_b32 s15, 0xffff, s30
	s_cmp_gt_i32 s15, 25
	s_mov_b64 s[22:23], 0
	s_cbranch_scc0 .LBB134_1878
; %bb.1870:
	s_cmp_gt_i32 s15, 28
	s_cbranch_scc0 .LBB134_1889
; %bb.1871:
	s_cmp_gt_i32 s15, 43
	;; [unrolled: 3-line block ×3, first 2 shown]
	s_cbranch_scc0 .LBB134_1894
; %bb.1873:
	s_cmp_eq_u32 s15, 46
	s_mov_b64 s[26:27], 0
	s_cbranch_scc0 .LBB134_1948
; %bb.1874:
	global_load_dword v0, v[2:3], off
	s_mov_b64 s[0:1], 0
	s_mov_b64 s[24:25], -1
	s_waitcnt vmcnt(0)
	v_and_b32_e32 v1, 0xffff0000, v0
	v_lshlrev_b32_e32 v0, 16, v0
	s_branch .LBB134_1949
.LBB134_1875:
	s_mov_b64 s[24:25], 0
                                        ; implicit-def: $vgpr1
	s_cbranch_execnz .LBB134_1883
.LBB134_1876:
	s_andn2_b64 vcc, exec, s[24:25]
	s_cbranch_vccnz .LBB134_2692
	s_branch .LBB134_1937
.LBB134_1877:
                                        ; implicit-def: $sgpr4_sgpr5
	s_branch .LBB134_1867
.LBB134_1878:
	s_mov_b64 s[24:25], 0
	s_mov_b64 s[0:1], 0
                                        ; implicit-def: $vgpr1
	s_cbranch_execnz .LBB134_1981
.LBB134_1879:
	s_and_b64 vcc, exec, s[0:1]
	s_cbranch_vccnz .LBB134_2014
.LBB134_1880:
	s_andn2_b64 vcc, exec, s[22:23]
	s_cbranch_vccnz .LBB134_1882
.LBB134_1881:
	global_load_ubyte v0, v[2:3], off
	v_mov_b32_e32 v1, 0
	s_mov_b64 s[24:25], -1
	s_waitcnt vmcnt(0)
	v_cmp_ne_u16_e32 vcc, 0, v0
	v_cndmask_b32_e64 v0, 0, 1.0, vcc
.LBB134_1882:
	s_branch .LBB134_1876
.LBB134_1883:
	s_and_b32 s15, 0xffff, s30
	s_cmp_lt_i32 s15, 5
	s_cbranch_scc1 .LBB134_1888
; %bb.1884:
	s_cmp_lt_i32 s15, 8
	s_cbranch_scc1 .LBB134_1890
; %bb.1885:
	;; [unrolled: 3-line block ×3, first 2 shown]
	s_cmp_gt_i32 s15, 9
	s_cbranch_scc0 .LBB134_1895
; %bb.1887:
	global_load_dwordx4 v[9:12], v[2:3], off
	s_mov_b64 s[0:1], 0
	s_waitcnt vmcnt(0)
	v_cvt_f32_f64_e32 v0, v[9:10]
	v_cvt_f32_f64_e32 v1, v[11:12]
	s_branch .LBB134_1896
.LBB134_1888:
	s_mov_b64 s[0:1], -1
                                        ; implicit-def: $vgpr1
	s_branch .LBB134_1915
.LBB134_1889:
	s_mov_b64 s[26:27], -1
	s_mov_b64 s[24:25], 0
	s_mov_b64 s[0:1], 0
                                        ; implicit-def: $vgpr1
	s_branch .LBB134_1962
.LBB134_1890:
	s_mov_b64 s[0:1], -1
                                        ; implicit-def: $vgpr1
	s_branch .LBB134_1902
.LBB134_1891:
	s_mov_b64 s[26:27], -1
	s_mov_b64 s[24:25], 0
	s_mov_b64 s[0:1], 0
                                        ; implicit-def: $vgpr1
	s_branch .LBB134_1956
.LBB134_1892:
	s_mov_b64 s[0:1], -1
                                        ; implicit-def: $vgpr1
	s_branch .LBB134_1899
.LBB134_1893:
	s_trap 2
	s_or_b64 s[18:19], s[18:19], exec
	s_cbranch_execz .LBB134_1814
	s_branch .LBB134_1815
.LBB134_1894:
	s_mov_b64 s[26:27], -1
	s_mov_b64 s[24:25], 0
	s_mov_b64 s[0:1], 0
                                        ; implicit-def: $vgpr1
	s_branch .LBB134_1949
.LBB134_1895:
	s_mov_b64 s[0:1], -1
                                        ; implicit-def: $vgpr1
.LBB134_1896:
	s_andn2_b64 vcc, exec, s[0:1]
	s_cbranch_vccnz .LBB134_1898
; %bb.1897:
	global_load_dwordx2 v[0:1], v[2:3], off
.LBB134_1898:
	s_mov_b64 s[0:1], 0
.LBB134_1899:
	s_andn2_b64 vcc, exec, s[0:1]
	s_cbranch_vccnz .LBB134_1901
; %bb.1900:
	global_load_dword v1, v[2:3], off
	s_waitcnt vmcnt(0)
	v_cvt_f32_f16_e32 v0, v1
	v_cvt_f32_f16_sdwa v1, v1 dst_sel:DWORD dst_unused:UNUSED_PAD src0_sel:WORD_1
.LBB134_1901:
	s_mov_b64 s[0:1], 0
.LBB134_1902:
	s_andn2_b64 vcc, exec, s[0:1]
	s_cbranch_vccnz .LBB134_1914
; %bb.1903:
	s_cmp_lt_i32 s15, 6
	s_cbranch_scc1 .LBB134_1906
; %bb.1904:
	s_cmp_gt_i32 s15, 6
	s_cbranch_scc0 .LBB134_1907
; %bb.1905:
	global_load_dwordx2 v[0:1], v[2:3], off
	s_mov_b64 s[0:1], 0
	s_waitcnt vmcnt(0)
	v_cvt_f32_f64_e32 v0, v[0:1]
	s_branch .LBB134_1908
.LBB134_1906:
	s_mov_b64 s[0:1], -1
                                        ; implicit-def: $vgpr0
	s_branch .LBB134_1911
.LBB134_1907:
	s_mov_b64 s[0:1], -1
                                        ; implicit-def: $vgpr0
.LBB134_1908:
	s_andn2_b64 vcc, exec, s[0:1]
	s_cbranch_vccnz .LBB134_1910
; %bb.1909:
	global_load_dword v0, v[2:3], off
.LBB134_1910:
	s_mov_b64 s[0:1], 0
.LBB134_1911:
	s_andn2_b64 vcc, exec, s[0:1]
	s_cbranch_vccnz .LBB134_1913
; %bb.1912:
	global_load_ushort v0, v[2:3], off
	s_waitcnt vmcnt(0)
	v_cvt_f32_f16_e32 v0, v0
.LBB134_1913:
	s_waitcnt vmcnt(0)
	v_mov_b32_e32 v1, 0
.LBB134_1914:
	s_mov_b64 s[0:1], 0
.LBB134_1915:
	s_andn2_b64 vcc, exec, s[0:1]
	s_cbranch_vccnz .LBB134_1936
; %bb.1916:
	s_cmp_lt_i32 s15, 2
	s_cbranch_scc1 .LBB134_1920
; %bb.1917:
	s_cmp_lt_i32 s15, 3
	s_cbranch_scc1 .LBB134_1921
; %bb.1918:
	s_cmp_gt_i32 s15, 3
	s_cbranch_scc0 .LBB134_1922
; %bb.1919:
	global_load_dwordx2 v[0:1], v[2:3], off
	s_mov_b64 s[0:1], 0
	s_waitcnt vmcnt(0)
	v_xor_b32_e32 v5, v0, v1
	v_ffbh_i32_e32 v4, v1
	v_ashrrev_i32_e32 v5, 31, v5
	v_add_u32_e32 v4, -1, v4
	v_add_u32_e32 v5, 32, v5
	v_min_u32_e32 v4, v4, v5
	v_lshlrev_b64 v[0:1], v4, v[0:1]
	v_min_u32_e32 v0, 1, v0
	v_or_b32_e32 v0, v1, v0
	v_cvt_f32_i32_e32 v0, v0
	v_sub_u32_e32 v1, 32, v4
	v_ldexp_f32 v0, v0, v1
	s_branch .LBB134_1923
.LBB134_1920:
	s_mov_b64 s[0:1], -1
                                        ; implicit-def: $vgpr0
	s_branch .LBB134_1929
.LBB134_1921:
	s_mov_b64 s[0:1], -1
                                        ; implicit-def: $vgpr0
	s_branch .LBB134_1926
.LBB134_1922:
	s_mov_b64 s[0:1], -1
                                        ; implicit-def: $vgpr0
.LBB134_1923:
	s_andn2_b64 vcc, exec, s[0:1]
	s_cbranch_vccnz .LBB134_1925
; %bb.1924:
	global_load_dword v0, v[2:3], off
	s_waitcnt vmcnt(0)
	v_cvt_f32_i32_e32 v0, v0
.LBB134_1925:
	s_mov_b64 s[0:1], 0
.LBB134_1926:
	s_andn2_b64 vcc, exec, s[0:1]
	s_cbranch_vccnz .LBB134_1928
; %bb.1927:
	global_load_sshort v0, v[2:3], off
	s_waitcnt vmcnt(0)
	v_cvt_f32_i32_e32 v0, v0
.LBB134_1928:
	s_mov_b64 s[0:1], 0
.LBB134_1929:
	s_andn2_b64 vcc, exec, s[0:1]
	s_cbranch_vccnz .LBB134_1935
; %bb.1930:
	s_cmp_gt_i32 s15, 0
	s_cbranch_scc0 .LBB134_1932
; %bb.1931:
	global_load_sbyte v0, v[2:3], off
	s_mov_b64 s[0:1], 0
	s_waitcnt vmcnt(0)
	v_cvt_f32_i32_e32 v0, v0
	s_branch .LBB134_1933
.LBB134_1932:
	s_mov_b64 s[0:1], -1
                                        ; implicit-def: $vgpr0
.LBB134_1933:
	s_andn2_b64 vcc, exec, s[0:1]
	s_cbranch_vccnz .LBB134_1935
; %bb.1934:
	global_load_ubyte v0, v[2:3], off
	s_waitcnt vmcnt(0)
	v_cvt_f32_ubyte0_e32 v0, v0
.LBB134_1935:
	s_waitcnt vmcnt(0)
	v_mov_b32_e32 v1, 0
.LBB134_1936:
.LBB134_1937:
	s_lshl_b32 s34, s14, 7
	v_add_u32_e32 v8, s34, v8
	v_ashrrev_i32_e32 v3, 31, v8
	v_mov_b32_e32 v4, s3
	v_add_co_u32_e32 v2, vcc, s2, v8
	s_cmp_lt_i32 s31, 11
	v_addc_co_u32_e32 v3, vcc, v4, v3, vcc
	s_cbranch_scc1 .LBB134_1944
; %bb.1938:
	s_and_b32 s28, 0xffff, s31
	s_cmp_gt_i32 s28, 25
	s_mov_b64 s[14:15], 0
	s_cbranch_scc0 .LBB134_1945
; %bb.1939:
	s_cmp_gt_i32 s28, 28
	s_cbranch_scc0 .LBB134_1946
; %bb.1940:
	s_cmp_gt_i32 s28, 43
	;; [unrolled: 3-line block ×3, first 2 shown]
	s_cbranch_scc0 .LBB134_1952
; %bb.1942:
	s_cmp_eq_u32 s28, 46
	s_mov_b64 s[24:25], 0
	s_cbranch_scc0 .LBB134_2015
; %bb.1943:
	global_load_dword v4, v[2:3], off
	s_mov_b64 s[0:1], 0
	s_mov_b64 s[22:23], -1
	s_waitcnt vmcnt(0)
	v_and_b32_e32 v5, 0xffff0000, v4
	v_lshlrev_b32_e32 v4, 16, v4
	s_branch .LBB134_2016
.LBB134_1944:
	s_mov_b64 s[0:1], -1
	s_mov_b64 s[22:23], 0
                                        ; implicit-def: $vgpr5
	s_branch .LBB134_2062
.LBB134_1945:
	s_mov_b64 s[24:25], -1
	s_mov_b64 s[22:23], 0
	s_mov_b64 s[0:1], 0
                                        ; implicit-def: $vgpr5
	s_branch .LBB134_2047
.LBB134_1946:
	s_mov_b64 s[24:25], -1
	s_mov_b64 s[22:23], 0
	s_mov_b64 s[0:1], 0
                                        ; implicit-def: $vgpr5
	s_branch .LBB134_2028
.LBB134_1947:
	s_mov_b64 s[24:25], -1
	s_mov_b64 s[22:23], 0
	s_mov_b64 s[0:1], 0
                                        ; implicit-def: $vgpr5
	s_branch .LBB134_2022
.LBB134_1948:
	s_mov_b64 s[0:1], -1
                                        ; implicit-def: $vgpr1
	s_mov_b64 s[24:25], 0
.LBB134_1949:
	s_and_b64 vcc, exec, s[26:27]
	s_cbranch_vccz .LBB134_1955
; %bb.1950:
	s_cmp_eq_u32 s15, 44
	s_cbranch_scc0 .LBB134_1953
; %bb.1951:
	global_load_ubyte v0, v[2:3], off
	s_movk_i32 s24, 0xff
	v_mov_b32_e32 v1, 0x7f800001
	v_mov_b32_e32 v4, 0x400000
	s_mov_b64 s[0:1], 0
	s_waitcnt vmcnt(0)
	v_lshlrev_b32_e32 v5, 23, v0
	v_cmp_ne_u32_e32 vcc, s24, v0
	v_cndmask_b32_e32 v1, v1, v5, vcc
	v_cmp_ne_u32_e32 vcc, 0, v0
	v_cndmask_b32_e32 v0, v4, v1, vcc
	s_mov_b64 s[24:25], -1
	s_branch .LBB134_1954
.LBB134_1952:
	s_mov_b64 s[24:25], -1
	s_mov_b64 s[22:23], 0
	s_mov_b64 s[0:1], 0
                                        ; implicit-def: $vgpr5
	s_branch .LBB134_2016
.LBB134_1953:
	s_mov_b64 s[0:1], -1
                                        ; implicit-def: $vgpr0
.LBB134_1954:
	v_mov_b32_e32 v1, 0
.LBB134_1955:
	s_mov_b64 s[26:27], 0
.LBB134_1956:
	s_and_b64 vcc, exec, s[26:27]
	s_cbranch_vccz .LBB134_1961
; %bb.1957:
	s_cmp_eq_u32 s15, 29
	s_cbranch_scc0 .LBB134_1959
; %bb.1958:
	global_load_dwordx2 v[0:1], v[2:3], off
	s_mov_b64 s[0:1], 0
	s_mov_b64 s[24:25], -1
	s_waitcnt vmcnt(0)
	v_ffbh_u32_e32 v4, v1
	v_min_u32_e32 v4, 32, v4
	v_lshlrev_b64 v[0:1], v4, v[0:1]
	v_min_u32_e32 v0, 1, v0
	v_or_b32_e32 v0, v1, v0
	v_cvt_f32_u32_e32 v0, v0
	v_sub_u32_e32 v1, 32, v4
	v_ldexp_f32 v0, v0, v1
	s_branch .LBB134_1960
.LBB134_1959:
	s_mov_b64 s[0:1], -1
                                        ; implicit-def: $vgpr0
.LBB134_1960:
	v_mov_b32_e32 v1, 0
.LBB134_1961:
	s_mov_b64 s[26:27], 0
.LBB134_1962:
	s_and_b64 vcc, exec, s[26:27]
	s_cbranch_vccz .LBB134_1980
; %bb.1963:
	s_cmp_lt_i32 s15, 27
	s_cbranch_scc1 .LBB134_1966
; %bb.1964:
	s_cmp_gt_i32 s15, 27
	s_cbranch_scc0 .LBB134_1967
; %bb.1965:
	global_load_dword v0, v[2:3], off
	s_mov_b64 s[24:25], 0
	s_waitcnt vmcnt(0)
	v_cvt_f32_u32_e32 v0, v0
	s_branch .LBB134_1968
.LBB134_1966:
	s_mov_b64 s[24:25], -1
                                        ; implicit-def: $vgpr0
	s_branch .LBB134_1971
.LBB134_1967:
	s_mov_b64 s[24:25], -1
                                        ; implicit-def: $vgpr0
.LBB134_1968:
	s_andn2_b64 vcc, exec, s[24:25]
	s_cbranch_vccnz .LBB134_1970
; %bb.1969:
	global_load_ushort v0, v[2:3], off
	s_waitcnt vmcnt(0)
	v_cvt_f32_u32_e32 v0, v0
.LBB134_1970:
	s_mov_b64 s[24:25], 0
.LBB134_1971:
	s_andn2_b64 vcc, exec, s[24:25]
	s_cbranch_vccnz .LBB134_1979
; %bb.1972:
	global_load_ubyte v1, v[2:3], off
	s_movk_i32 s24, 0x7f
	s_waitcnt vmcnt(0)
	v_cmp_lt_i16_e32 vcc, s24, v1
	s_mov_b64 s[24:25], 0
	s_and_saveexec_b64 s[26:27], vcc
	s_xor_b64 s[26:27], exec, s[26:27]
	s_cbranch_execz .LBB134_1992
; %bb.1973:
	s_movk_i32 s24, 0x80
	v_cmp_eq_u16_e32 vcc, s24, v1
	s_mov_b64 s[24:25], -1
	s_and_saveexec_b64 s[28:29], vcc
; %bb.1974:
	s_xor_b64 s[24:25], exec, -1
; %bb.1975:
	s_or_b64 exec, exec, s[28:29]
	s_and_b64 s[24:25], s[24:25], exec
	s_or_saveexec_b64 s[26:27], s[26:27]
	v_mov_b32_e32 v0, 0x7f800001
	s_xor_b64 exec, exec, s[26:27]
	s_cbranch_execnz .LBB134_1993
.LBB134_1976:
	s_or_b64 exec, exec, s[26:27]
	s_and_saveexec_b64 s[26:27], s[24:25]
	s_cbranch_execz .LBB134_1978
.LBB134_1977:
	v_lshlrev_b32_e32 v0, 24, v1
	v_and_b32_e32 v1, 0xffff, v1
	v_and_b32_e32 v4, 7, v1
	v_ffbh_u32_e32 v9, v4
	v_min_u32_e32 v9, 32, v9
	v_subrev_u32_e32 v10, 28, v9
	v_bfe_u32 v5, v1, 3, 4
	v_lshlrev_b32_e32 v1, v10, v1
	v_sub_u32_e32 v9, 29, v9
	v_and_b32_e32 v1, 7, v1
	v_cmp_eq_u32_e32 vcc, 0, v5
	v_cndmask_b32_e32 v5, v5, v9, vcc
	v_cndmask_b32_e32 v1, v4, v1, vcc
	v_mov_b32_e32 v4, 0x3b800000
	v_lshlrev_b32_e32 v1, 20, v1
	v_and_b32_e32 v0, 0x80000000, v0
	v_lshl_add_u32 v4, v5, 23, v4
	v_or3_b32 v0, v0, v4, v1
.LBB134_1978:
	s_or_b64 exec, exec, s[26:27]
.LBB134_1979:
	s_mov_b64 s[24:25], -1
	v_mov_b32_e32 v1, 0
.LBB134_1980:
	s_branch .LBB134_1879
.LBB134_1981:
	s_cmp_gt_i32 s15, 22
	s_cbranch_scc0 .LBB134_1991
; %bb.1982:
	s_cmp_lt_i32 s15, 24
	s_cbranch_scc1 .LBB134_1994
; %bb.1983:
	s_cmp_gt_i32 s15, 24
	s_cbranch_scc0 .LBB134_1995
; %bb.1984:
	global_load_ubyte v1, v[2:3], off
	s_movk_i32 s22, 0x7f
	s_waitcnt vmcnt(0)
	v_cmp_lt_i16_e32 vcc, s22, v1
	s_mov_b64 s[22:23], 0
	s_and_saveexec_b64 s[24:25], vcc
	s_xor_b64 s[24:25], exec, s[24:25]
	s_cbranch_execz .LBB134_2007
; %bb.1985:
	s_movk_i32 s22, 0x80
	v_cmp_eq_u16_e32 vcc, s22, v1
	s_mov_b64 s[22:23], -1
	s_and_saveexec_b64 s[26:27], vcc
; %bb.1986:
	s_xor_b64 s[22:23], exec, -1
; %bb.1987:
	s_or_b64 exec, exec, s[26:27]
	s_and_b64 s[22:23], s[22:23], exec
	s_or_saveexec_b64 s[24:25], s[24:25]
	v_mov_b32_e32 v0, 0x7f800001
	s_xor_b64 exec, exec, s[24:25]
	s_cbranch_execnz .LBB134_2008
.LBB134_1988:
	s_or_b64 exec, exec, s[24:25]
	s_and_saveexec_b64 s[24:25], s[22:23]
	s_cbranch_execz .LBB134_1990
.LBB134_1989:
	v_lshlrev_b32_e32 v0, 24, v1
	v_and_b32_e32 v1, 0xffff, v1
	v_and_b32_e32 v4, 3, v1
	v_ffbh_u32_e32 v9, v4
	v_min_u32_e32 v9, 32, v9
	v_subrev_u32_e32 v10, 29, v9
	v_bfe_u32 v5, v1, 2, 5
	v_lshlrev_b32_e32 v1, v10, v1
	v_sub_u32_e32 v9, 30, v9
	v_and_b32_e32 v1, 3, v1
	v_cmp_eq_u32_e32 vcc, 0, v5
	v_cndmask_b32_e32 v5, v5, v9, vcc
	v_cndmask_b32_e32 v1, v4, v1, vcc
	v_mov_b32_e32 v4, 0x37800000
	v_lshlrev_b32_e32 v1, 21, v1
	v_and_b32_e32 v0, 0x80000000, v0
	v_lshl_add_u32 v4, v5, 23, v4
	v_or3_b32 v0, v0, v4, v1
.LBB134_1990:
	s_or_b64 exec, exec, s[24:25]
	s_mov_b64 s[22:23], 0
	s_branch .LBB134_1996
.LBB134_1991:
	s_mov_b64 s[22:23], -1
                                        ; implicit-def: $vgpr0
	s_branch .LBB134_2002
.LBB134_1992:
	s_or_saveexec_b64 s[26:27], s[26:27]
	v_mov_b32_e32 v0, 0x7f800001
	s_xor_b64 exec, exec, s[26:27]
	s_cbranch_execz .LBB134_1976
.LBB134_1993:
	v_cmp_ne_u16_e32 vcc, 0, v1
	s_andn2_b64 s[24:25], s[24:25], exec
	s_and_b64 s[28:29], vcc, exec
	v_mov_b32_e32 v0, 0
	s_or_b64 s[24:25], s[24:25], s[28:29]
	s_or_b64 exec, exec, s[26:27]
	s_and_saveexec_b64 s[26:27], s[24:25]
	s_cbranch_execnz .LBB134_1977
	s_branch .LBB134_1978
.LBB134_1994:
	s_mov_b64 s[22:23], -1
                                        ; implicit-def: $vgpr0
	s_branch .LBB134_1999
.LBB134_1995:
	s_mov_b64 s[22:23], -1
                                        ; implicit-def: $vgpr0
.LBB134_1996:
	s_and_b64 vcc, exec, s[22:23]
	s_cbranch_vccz .LBB134_1998
; %bb.1997:
	global_load_ubyte v0, v[2:3], off
	s_mov_b32 s22, 0x7f800000
	s_waitcnt vmcnt(0)
	v_lshlrev_b32_e32 v0, 24, v0
	v_and_b32_e32 v1, 0x7f000000, v0
	v_ffbh_u32_e32 v4, v1
	v_min_u32_e32 v4, 32, v4
	v_sub_u32_e64 v4, v4, 4 clamp
	v_lshlrev_b32_e32 v9, v4, v1
	v_lshlrev_b32_e32 v4, 23, v4
	v_lshrrev_b32_e32 v9, 4, v9
	v_add_u32_e32 v5, 0x1000000, v1
	v_sub_u32_e32 v4, v9, v4
	v_ashrrev_i32_e32 v5, 8, v5
	v_add_u32_e32 v4, 0x3c000000, v4
	v_and_or_b32 v4, v5, s22, v4
	v_cmp_ne_u32_e32 vcc, 0, v1
	v_cndmask_b32_e32 v1, 0, v4, vcc
	s_brev_b32 s22, 1
	v_and_or_b32 v0, v0, s22, v1
.LBB134_1998:
	s_mov_b64 s[22:23], 0
.LBB134_1999:
	s_andn2_b64 vcc, exec, s[22:23]
	s_cbranch_vccnz .LBB134_2001
; %bb.2000:
	global_load_ubyte v0, v[2:3], off
	s_movk_i32 s22, 0x7f00
	s_brev_b32 s23, 16
	s_waitcnt vmcnt(0)
	v_lshlrev_b16_e32 v1, 8, v0
	v_lshlrev_b32_e32 v0, 25, v0
	v_lshrrev_b32_e32 v4, 4, v0
	v_and_or_b32 v5, v1, s22, 0.5
	v_or_b32_e32 v4, 0x70000000, v4
	v_add_f32_e32 v5, -0.5, v5
	v_mul_f32_e32 v4, 0x7800000, v4
	v_cmp_gt_u32_e32 vcc, s23, v0
	v_bfe_i32 v1, v1, 0, 16
	v_cndmask_b32_e32 v0, v4, v5, vcc
	s_brev_b32 s22, 1
	v_and_or_b32 v0, v1, s22, v0
.LBB134_2001:
	s_mov_b64 s[22:23], 0
	s_mov_b64 s[24:25], -1
.LBB134_2002:
	s_andn2_b64 vcc, exec, s[22:23]
	s_mov_b64 s[22:23], 0
	s_cbranch_vccnz .LBB134_2013
; %bb.2003:
	s_cmp_gt_i32 s15, 14
	s_cbranch_scc0 .LBB134_2006
; %bb.2004:
	s_cmp_eq_u32 s15, 15
	s_cbranch_scc0 .LBB134_2009
; %bb.2005:
	global_load_ushort v0, v[2:3], off
	s_mov_b64 s[0:1], 0
	s_mov_b64 s[24:25], -1
	s_waitcnt vmcnt(0)
	v_lshlrev_b32_e32 v0, 16, v0
	s_branch .LBB134_2010
.LBB134_2006:
	s_mov_b64 s[26:27], -1
                                        ; implicit-def: $vgpr0
	s_branch .LBB134_2011
.LBB134_2007:
	s_or_saveexec_b64 s[24:25], s[24:25]
	v_mov_b32_e32 v0, 0x7f800001
	s_xor_b64 exec, exec, s[24:25]
	s_cbranch_execz .LBB134_1988
.LBB134_2008:
	v_cmp_ne_u16_e32 vcc, 0, v1
	s_andn2_b64 s[22:23], s[22:23], exec
	s_and_b64 s[26:27], vcc, exec
	v_mov_b32_e32 v0, 0
	s_or_b64 s[22:23], s[22:23], s[26:27]
	s_or_b64 exec, exec, s[24:25]
	s_and_saveexec_b64 s[24:25], s[22:23]
	s_cbranch_execnz .LBB134_1989
	s_branch .LBB134_1990
.LBB134_2009:
	s_mov_b64 s[0:1], -1
                                        ; implicit-def: $vgpr0
.LBB134_2010:
	s_mov_b64 s[26:27], 0
.LBB134_2011:
	s_and_b64 vcc, exec, s[26:27]
	s_cbranch_vccz .LBB134_2013
; %bb.2012:
	s_cmp_lg_u32 s15, 11
	s_mov_b64 s[22:23], -1
	s_cselect_b64 s[0:1], -1, 0
.LBB134_2013:
	v_mov_b32_e32 v1, 0
	s_and_b64 vcc, exec, s[0:1]
	s_cbranch_vccz .LBB134_1880
.LBB134_2014:
	s_trap 2
	s_or_b64 s[18:19], s[18:19], exec
	s_cbranch_execz .LBB134_1881
	s_branch .LBB134_1882
.LBB134_2015:
	s_mov_b64 s[0:1], -1
                                        ; implicit-def: $vgpr5
	s_mov_b64 s[22:23], 0
.LBB134_2016:
	s_and_b64 vcc, exec, s[24:25]
	s_cbranch_vccz .LBB134_2021
; %bb.2017:
	s_cmp_eq_u32 s28, 44
	s_cbranch_scc0 .LBB134_2019
; %bb.2018:
	global_load_ubyte v4, v[2:3], off
	s_movk_i32 s22, 0xff
	v_mov_b32_e32 v5, 0x7f800001
	v_mov_b32_e32 v9, 0x400000
	s_mov_b64 s[0:1], 0
	s_waitcnt vmcnt(0)
	v_lshlrev_b32_e32 v10, 23, v4
	v_cmp_ne_u32_e32 vcc, s22, v4
	v_cndmask_b32_e32 v5, v5, v10, vcc
	v_cmp_ne_u32_e32 vcc, 0, v4
	v_cndmask_b32_e32 v4, v9, v5, vcc
	s_mov_b64 s[22:23], -1
	s_branch .LBB134_2020
.LBB134_2019:
	s_mov_b64 s[0:1], -1
                                        ; implicit-def: $vgpr4
.LBB134_2020:
	v_mov_b32_e32 v5, 0
.LBB134_2021:
	s_mov_b64 s[24:25], 0
.LBB134_2022:
	s_and_b64 vcc, exec, s[24:25]
	s_cbranch_vccz .LBB134_2027
; %bb.2023:
	s_cmp_eq_u32 s28, 29
	s_cbranch_scc0 .LBB134_2025
; %bb.2024:
	global_load_dwordx2 v[4:5], v[2:3], off
	s_mov_b64 s[0:1], 0
	s_mov_b64 s[22:23], -1
	s_waitcnt vmcnt(0)
	v_ffbh_u32_e32 v9, v5
	v_min_u32_e32 v9, 32, v9
	v_lshlrev_b64 v[4:5], v9, v[4:5]
	v_min_u32_e32 v4, 1, v4
	v_or_b32_e32 v4, v5, v4
	v_cvt_f32_u32_e32 v4, v4
	v_sub_u32_e32 v5, 32, v9
	v_ldexp_f32 v4, v4, v5
	s_branch .LBB134_2026
.LBB134_2025:
	s_mov_b64 s[0:1], -1
                                        ; implicit-def: $vgpr4
.LBB134_2026:
	v_mov_b32_e32 v5, 0
.LBB134_2027:
	s_mov_b64 s[24:25], 0
.LBB134_2028:
	s_and_b64 vcc, exec, s[24:25]
	s_cbranch_vccz .LBB134_2046
; %bb.2029:
	s_cmp_lt_i32 s28, 27
	s_cbranch_scc1 .LBB134_2032
; %bb.2030:
	s_cmp_gt_i32 s28, 27
	s_cbranch_scc0 .LBB134_2033
; %bb.2031:
	global_load_dword v4, v[2:3], off
	s_mov_b64 s[22:23], 0
	s_waitcnt vmcnt(0)
	v_cvt_f32_u32_e32 v4, v4
	s_branch .LBB134_2034
.LBB134_2032:
	s_mov_b64 s[22:23], -1
                                        ; implicit-def: $vgpr4
	s_branch .LBB134_2037
.LBB134_2033:
	s_mov_b64 s[22:23], -1
                                        ; implicit-def: $vgpr4
.LBB134_2034:
	s_andn2_b64 vcc, exec, s[22:23]
	s_cbranch_vccnz .LBB134_2036
; %bb.2035:
	global_load_ushort v4, v[2:3], off
	s_waitcnt vmcnt(0)
	v_cvt_f32_u32_e32 v4, v4
.LBB134_2036:
	s_mov_b64 s[22:23], 0
.LBB134_2037:
	s_andn2_b64 vcc, exec, s[22:23]
	s_cbranch_vccnz .LBB134_2045
; %bb.2038:
	global_load_ubyte v5, v[2:3], off
	s_movk_i32 s22, 0x7f
	s_waitcnt vmcnt(0)
	v_cmp_lt_i16_e32 vcc, s22, v5
	s_mov_b64 s[22:23], 0
	s_and_saveexec_b64 s[24:25], vcc
	s_xor_b64 s[24:25], exec, s[24:25]
	s_cbranch_execz .LBB134_2071
; %bb.2039:
	s_movk_i32 s22, 0x80
	v_cmp_eq_u16_e32 vcc, s22, v5
	s_mov_b64 s[22:23], -1
	s_and_saveexec_b64 s[26:27], vcc
; %bb.2040:
	s_xor_b64 s[22:23], exec, -1
; %bb.2041:
	s_or_b64 exec, exec, s[26:27]
	s_and_b64 s[22:23], s[22:23], exec
	s_or_saveexec_b64 s[24:25], s[24:25]
	v_mov_b32_e32 v4, 0x7f800001
	s_xor_b64 exec, exec, s[24:25]
	s_cbranch_execnz .LBB134_2072
.LBB134_2042:
	s_or_b64 exec, exec, s[24:25]
	s_and_saveexec_b64 s[24:25], s[22:23]
	s_cbranch_execz .LBB134_2044
.LBB134_2043:
	v_lshlrev_b32_e32 v4, 24, v5
	v_and_b32_e32 v5, 0xffff, v5
	v_and_b32_e32 v9, 7, v5
	v_ffbh_u32_e32 v11, v9
	v_min_u32_e32 v11, 32, v11
	v_subrev_u32_e32 v12, 28, v11
	v_bfe_u32 v10, v5, 3, 4
	v_lshlrev_b32_e32 v5, v12, v5
	v_sub_u32_e32 v11, 29, v11
	v_and_b32_e32 v5, 7, v5
	v_cmp_eq_u32_e32 vcc, 0, v10
	v_cndmask_b32_e32 v10, v10, v11, vcc
	v_cndmask_b32_e32 v5, v9, v5, vcc
	v_mov_b32_e32 v9, 0x3b800000
	v_lshlrev_b32_e32 v5, 20, v5
	v_and_b32_e32 v4, 0x80000000, v4
	v_lshl_add_u32 v9, v10, 23, v9
	v_or3_b32 v4, v4, v9, v5
.LBB134_2044:
	s_or_b64 exec, exec, s[24:25]
.LBB134_2045:
	s_mov_b64 s[22:23], -1
	v_mov_b32_e32 v5, 0
.LBB134_2046:
	s_mov_b64 s[24:25], 0
.LBB134_2047:
	s_and_b64 vcc, exec, s[24:25]
	s_cbranch_vccz .LBB134_2058
; %bb.2048:
	s_cmp_gt_i32 s28, 22
	s_cbranch_scc0 .LBB134_2069
; %bb.2049:
	s_cmp_lt_i32 s28, 24
	s_cbranch_scc1 .LBB134_2073
; %bb.2050:
	s_cmp_gt_i32 s28, 24
	s_cbranch_scc0 .LBB134_2075
; %bb.2051:
	global_load_ubyte v5, v[2:3], off
	s_movk_i32 s14, 0x7f
	s_waitcnt vmcnt(0)
	v_cmp_lt_i16_e32 vcc, s14, v5
	s_mov_b64 s[14:15], 0
	s_and_saveexec_b64 s[22:23], vcc
	s_xor_b64 s[22:23], exec, s[22:23]
	s_cbranch_execz .LBB134_2087
; %bb.2052:
	s_movk_i32 s14, 0x80
	v_cmp_eq_u16_e32 vcc, s14, v5
	s_mov_b64 s[14:15], -1
	s_and_saveexec_b64 s[24:25], vcc
; %bb.2053:
	s_xor_b64 s[14:15], exec, -1
; %bb.2054:
	s_or_b64 exec, exec, s[24:25]
	s_and_b64 s[14:15], s[14:15], exec
	s_or_saveexec_b64 s[22:23], s[22:23]
	v_mov_b32_e32 v4, 0x7f800001
	s_xor_b64 exec, exec, s[22:23]
	s_cbranch_execnz .LBB134_2088
.LBB134_2055:
	s_or_b64 exec, exec, s[22:23]
	s_and_saveexec_b64 s[22:23], s[14:15]
	s_cbranch_execz .LBB134_2057
.LBB134_2056:
	v_lshlrev_b32_e32 v4, 24, v5
	v_and_b32_e32 v5, 0xffff, v5
	v_and_b32_e32 v9, 3, v5
	v_ffbh_u32_e32 v11, v9
	v_min_u32_e32 v11, 32, v11
	v_subrev_u32_e32 v12, 29, v11
	v_bfe_u32 v10, v5, 2, 5
	v_lshlrev_b32_e32 v5, v12, v5
	v_sub_u32_e32 v11, 30, v11
	v_and_b32_e32 v5, 3, v5
	v_cmp_eq_u32_e32 vcc, 0, v10
	v_cndmask_b32_e32 v10, v10, v11, vcc
	v_cndmask_b32_e32 v5, v9, v5, vcc
	v_mov_b32_e32 v9, 0x37800000
	v_lshlrev_b32_e32 v5, 21, v5
	v_and_b32_e32 v4, 0x80000000, v4
	v_lshl_add_u32 v9, v10, 23, v9
	v_or3_b32 v4, v4, v9, v5
.LBB134_2057:
	s_or_b64 exec, exec, s[22:23]
	s_mov_b64 s[14:15], 0
	s_branch .LBB134_2076
.LBB134_2058:
	s_and_b64 vcc, exec, s[0:1]
	s_cbranch_vccnz .LBB134_2106
.LBB134_2059:
	s_andn2_b64 vcc, exec, s[14:15]
	s_cbranch_vccnz .LBB134_2061
.LBB134_2060:
	global_load_ubyte v4, v[2:3], off
	v_mov_b32_e32 v5, 0
	s_mov_b64 s[22:23], -1
	s_waitcnt vmcnt(0)
	v_cmp_ne_u16_e32 vcc, 0, v4
	v_cndmask_b32_e64 v4, 0, 1.0, vcc
.LBB134_2061:
	s_mov_b64 s[0:1], 0
.LBB134_2062:
	s_and_b64 vcc, exec, s[0:1]
	s_cbranch_vccz .LBB134_2137
; %bb.2063:
	s_and_b32 s14, 0xffff, s31
	s_cmp_lt_i32 s14, 5
	s_cbranch_scc1 .LBB134_2068
; %bb.2064:
	s_cmp_lt_i32 s14, 8
	s_cbranch_scc1 .LBB134_2070
; %bb.2065:
	;; [unrolled: 3-line block ×3, first 2 shown]
	s_cmp_gt_i32 s14, 9
	s_cbranch_scc0 .LBB134_2089
; %bb.2067:
	global_load_dwordx4 v[9:12], v[2:3], off
	s_mov_b64 s[0:1], 0
	s_waitcnt vmcnt(0)
	v_cvt_f32_f64_e32 v4, v[9:10]
	v_cvt_f32_f64_e32 v5, v[11:12]
	s_branch .LBB134_2090
.LBB134_2068:
	s_mov_b64 s[0:1], -1
                                        ; implicit-def: $vgpr5
	s_branch .LBB134_2115
.LBB134_2069:
	s_mov_b64 s[14:15], -1
                                        ; implicit-def: $vgpr4
	s_branch .LBB134_2082
.LBB134_2070:
	s_mov_b64 s[0:1], -1
                                        ; implicit-def: $vgpr5
	s_branch .LBB134_2096
.LBB134_2071:
	s_or_saveexec_b64 s[24:25], s[24:25]
	v_mov_b32_e32 v4, 0x7f800001
	s_xor_b64 exec, exec, s[24:25]
	s_cbranch_execz .LBB134_2042
.LBB134_2072:
	v_cmp_ne_u16_e32 vcc, 0, v5
	s_andn2_b64 s[22:23], s[22:23], exec
	s_and_b64 s[26:27], vcc, exec
	v_mov_b32_e32 v4, 0
	s_or_b64 s[22:23], s[22:23], s[26:27]
	s_or_b64 exec, exec, s[24:25]
	s_and_saveexec_b64 s[24:25], s[22:23]
	s_cbranch_execnz .LBB134_2043
	s_branch .LBB134_2044
.LBB134_2073:
	s_mov_b64 s[14:15], -1
                                        ; implicit-def: $vgpr4
	s_branch .LBB134_2079
.LBB134_2074:
	s_mov_b64 s[0:1], -1
                                        ; implicit-def: $vgpr5
	s_branch .LBB134_2093
.LBB134_2075:
	s_mov_b64 s[14:15], -1
                                        ; implicit-def: $vgpr4
.LBB134_2076:
	s_and_b64 vcc, exec, s[14:15]
	s_cbranch_vccz .LBB134_2078
; %bb.2077:
	global_load_ubyte v4, v[2:3], off
	s_mov_b32 s14, 0x7f800000
	s_waitcnt vmcnt(0)
	v_lshlrev_b32_e32 v4, 24, v4
	v_and_b32_e32 v5, 0x7f000000, v4
	v_ffbh_u32_e32 v9, v5
	v_min_u32_e32 v9, 32, v9
	v_sub_u32_e64 v9, v9, 4 clamp
	v_lshlrev_b32_e32 v11, v9, v5
	v_lshlrev_b32_e32 v9, 23, v9
	v_lshrrev_b32_e32 v11, 4, v11
	v_add_u32_e32 v10, 0x1000000, v5
	v_sub_u32_e32 v9, v11, v9
	v_ashrrev_i32_e32 v10, 8, v10
	v_add_u32_e32 v9, 0x3c000000, v9
	v_and_or_b32 v9, v10, s14, v9
	v_cmp_ne_u32_e32 vcc, 0, v5
	v_cndmask_b32_e32 v5, 0, v9, vcc
	s_brev_b32 s14, 1
	v_and_or_b32 v4, v4, s14, v5
.LBB134_2078:
	s_mov_b64 s[14:15], 0
.LBB134_2079:
	s_andn2_b64 vcc, exec, s[14:15]
	s_cbranch_vccnz .LBB134_2081
; %bb.2080:
	global_load_ubyte v4, v[2:3], off
	s_movk_i32 s14, 0x7f00
	s_brev_b32 s15, 16
	s_waitcnt vmcnt(0)
	v_lshlrev_b16_e32 v5, 8, v4
	v_lshlrev_b32_e32 v4, 25, v4
	v_lshrrev_b32_e32 v9, 4, v4
	v_and_or_b32 v10, v5, s14, 0.5
	v_or_b32_e32 v9, 0x70000000, v9
	v_add_f32_e32 v10, -0.5, v10
	v_mul_f32_e32 v9, 0x7800000, v9
	v_cmp_gt_u32_e32 vcc, s15, v4
	v_bfe_i32 v5, v5, 0, 16
	v_cndmask_b32_e32 v4, v9, v10, vcc
	s_brev_b32 s14, 1
	v_and_or_b32 v4, v5, s14, v4
.LBB134_2081:
	s_mov_b64 s[14:15], 0
	s_mov_b64 s[22:23], -1
.LBB134_2082:
	s_andn2_b64 vcc, exec, s[14:15]
	s_mov_b64 s[14:15], 0
	s_cbranch_vccnz .LBB134_2105
; %bb.2083:
	s_cmp_gt_i32 s28, 14
	s_cbranch_scc0 .LBB134_2086
; %bb.2084:
	s_cmp_eq_u32 s28, 15
	s_cbranch_scc0 .LBB134_2101
; %bb.2085:
	global_load_ushort v4, v[2:3], off
	s_mov_b64 s[0:1], 0
	s_mov_b64 s[22:23], -1
	s_waitcnt vmcnt(0)
	v_lshlrev_b32_e32 v4, 16, v4
	s_branch .LBB134_2102
.LBB134_2086:
	s_mov_b64 s[24:25], -1
                                        ; implicit-def: $vgpr4
	s_branch .LBB134_2103
.LBB134_2087:
	s_or_saveexec_b64 s[22:23], s[22:23]
	v_mov_b32_e32 v4, 0x7f800001
	s_xor_b64 exec, exec, s[22:23]
	s_cbranch_execz .LBB134_2055
.LBB134_2088:
	v_cmp_ne_u16_e32 vcc, 0, v5
	s_andn2_b64 s[14:15], s[14:15], exec
	s_and_b64 s[24:25], vcc, exec
	v_mov_b32_e32 v4, 0
	s_or_b64 s[14:15], s[14:15], s[24:25]
	s_or_b64 exec, exec, s[22:23]
	s_and_saveexec_b64 s[22:23], s[14:15]
	s_cbranch_execnz .LBB134_2056
	s_branch .LBB134_2057
.LBB134_2089:
	s_mov_b64 s[0:1], -1
                                        ; implicit-def: $vgpr5
.LBB134_2090:
	s_andn2_b64 vcc, exec, s[0:1]
	s_cbranch_vccnz .LBB134_2092
; %bb.2091:
	global_load_dwordx2 v[4:5], v[2:3], off
.LBB134_2092:
	s_mov_b64 s[0:1], 0
.LBB134_2093:
	s_andn2_b64 vcc, exec, s[0:1]
	s_cbranch_vccnz .LBB134_2095
; %bb.2094:
	global_load_dword v5, v[2:3], off
	s_waitcnt vmcnt(0)
	v_cvt_f32_f16_e32 v4, v5
	v_cvt_f32_f16_sdwa v5, v5 dst_sel:DWORD dst_unused:UNUSED_PAD src0_sel:WORD_1
.LBB134_2095:
	s_mov_b64 s[0:1], 0
.LBB134_2096:
	s_andn2_b64 vcc, exec, s[0:1]
	s_cbranch_vccnz .LBB134_2114
; %bb.2097:
	s_cmp_lt_i32 s14, 6
	s_cbranch_scc1 .LBB134_2100
; %bb.2098:
	s_cmp_gt_i32 s14, 6
	s_cbranch_scc0 .LBB134_2107
; %bb.2099:
	global_load_dwordx2 v[4:5], v[2:3], off
	s_mov_b64 s[0:1], 0
	s_waitcnt vmcnt(0)
	v_cvt_f32_f64_e32 v4, v[4:5]
	s_branch .LBB134_2108
.LBB134_2100:
	s_mov_b64 s[0:1], -1
                                        ; implicit-def: $vgpr4
	s_branch .LBB134_2111
.LBB134_2101:
	s_mov_b64 s[0:1], -1
                                        ; implicit-def: $vgpr4
.LBB134_2102:
	s_mov_b64 s[24:25], 0
.LBB134_2103:
	s_and_b64 vcc, exec, s[24:25]
	s_cbranch_vccz .LBB134_2105
; %bb.2104:
	s_cmp_lg_u32 s28, 11
	s_mov_b64 s[14:15], -1
	s_cselect_b64 s[0:1], -1, 0
.LBB134_2105:
	v_mov_b32_e32 v5, 0
	s_and_b64 vcc, exec, s[0:1]
	s_cbranch_vccz .LBB134_2059
.LBB134_2106:
	s_trap 2
	s_or_b64 s[18:19], s[18:19], exec
	s_cbranch_execz .LBB134_2060
	s_branch .LBB134_2061
.LBB134_2107:
	s_mov_b64 s[0:1], -1
                                        ; implicit-def: $vgpr4
.LBB134_2108:
	s_andn2_b64 vcc, exec, s[0:1]
	s_cbranch_vccnz .LBB134_2110
; %bb.2109:
	global_load_dword v4, v[2:3], off
.LBB134_2110:
	s_mov_b64 s[0:1], 0
.LBB134_2111:
	s_andn2_b64 vcc, exec, s[0:1]
	s_cbranch_vccnz .LBB134_2113
; %bb.2112:
	global_load_ushort v4, v[2:3], off
	s_waitcnt vmcnt(0)
	v_cvt_f32_f16_e32 v4, v4
.LBB134_2113:
	s_waitcnt vmcnt(0)
	v_mov_b32_e32 v5, 0
.LBB134_2114:
	s_mov_b64 s[0:1], 0
.LBB134_2115:
	s_andn2_b64 vcc, exec, s[0:1]
	s_cbranch_vccnz .LBB134_2136
; %bb.2116:
	s_cmp_lt_i32 s14, 2
	s_cbranch_scc1 .LBB134_2120
; %bb.2117:
	s_cmp_lt_i32 s14, 3
	s_cbranch_scc1 .LBB134_2121
; %bb.2118:
	s_cmp_gt_i32 s14, 3
	s_cbranch_scc0 .LBB134_2122
; %bb.2119:
	global_load_dwordx2 v[4:5], v[2:3], off
	s_mov_b64 s[0:1], 0
	s_waitcnt vmcnt(0)
	v_xor_b32_e32 v10, v4, v5
	v_ffbh_i32_e32 v9, v5
	v_ashrrev_i32_e32 v10, 31, v10
	v_add_u32_e32 v9, -1, v9
	v_add_u32_e32 v10, 32, v10
	v_min_u32_e32 v9, v9, v10
	v_lshlrev_b64 v[4:5], v9, v[4:5]
	v_min_u32_e32 v4, 1, v4
	v_or_b32_e32 v4, v5, v4
	v_cvt_f32_i32_e32 v4, v4
	v_sub_u32_e32 v5, 32, v9
	v_ldexp_f32 v4, v4, v5
	s_branch .LBB134_2123
.LBB134_2120:
	s_mov_b64 s[0:1], -1
                                        ; implicit-def: $vgpr4
	s_branch .LBB134_2129
.LBB134_2121:
	s_mov_b64 s[0:1], -1
                                        ; implicit-def: $vgpr4
	s_branch .LBB134_2126
.LBB134_2122:
	s_mov_b64 s[0:1], -1
                                        ; implicit-def: $vgpr4
.LBB134_2123:
	s_andn2_b64 vcc, exec, s[0:1]
	s_cbranch_vccnz .LBB134_2125
; %bb.2124:
	global_load_dword v4, v[2:3], off
	s_waitcnt vmcnt(0)
	v_cvt_f32_i32_e32 v4, v4
.LBB134_2125:
	s_mov_b64 s[0:1], 0
.LBB134_2126:
	s_andn2_b64 vcc, exec, s[0:1]
	s_cbranch_vccnz .LBB134_2128
; %bb.2127:
	global_load_sshort v4, v[2:3], off
	s_waitcnt vmcnt(0)
	v_cvt_f32_i32_e32 v4, v4
.LBB134_2128:
	s_mov_b64 s[0:1], 0
.LBB134_2129:
	s_andn2_b64 vcc, exec, s[0:1]
	s_cbranch_vccnz .LBB134_2135
; %bb.2130:
	s_cmp_gt_i32 s14, 0
	s_cbranch_scc0 .LBB134_2132
; %bb.2131:
	global_load_sbyte v4, v[2:3], off
	s_mov_b64 s[0:1], 0
	s_waitcnt vmcnt(0)
	v_cvt_f32_i32_e32 v4, v4
	s_branch .LBB134_2133
.LBB134_2132:
	s_mov_b64 s[0:1], -1
                                        ; implicit-def: $vgpr4
.LBB134_2133:
	s_andn2_b64 vcc, exec, s[0:1]
	s_cbranch_vccnz .LBB134_2135
; %bb.2134:
	global_load_ubyte v2, v[2:3], off
	s_waitcnt vmcnt(0)
	v_cvt_f32_ubyte0_e32 v4, v2
.LBB134_2135:
	s_waitcnt vmcnt(0)
	v_mov_b32_e32 v5, 0
.LBB134_2136:
	s_mov_b64 s[22:23], -1
.LBB134_2137:
	s_andn2_b64 vcc, exec, s[22:23]
	s_cbranch_vccnz .LBB134_2692
; %bb.2138:
	s_and_b64 vcc, exec, s[20:21]
	s_cbranch_vccz .LBB134_2140
; %bb.2139:
	s_waitcnt vmcnt(0)
	v_cmp_neq_f32_e32 vcc, v0, v4
	v_cmp_neq_f32_e64 s[0:1], v1, v5
	s_or_b64 s[14:15], vcc, s[0:1]
	s_mov_b64 s[0:1], 0
	s_branch .LBB134_2141
.LBB134_2140:
	s_mov_b64 s[0:1], -1
                                        ; implicit-def: $sgpr14_sgpr15
.LBB134_2141:
	s_andn2_b64 vcc, exec, s[0:1]
	s_cbranch_vccnz .LBB134_2143
; %bb.2142:
	s_waitcnt vmcnt(0)
	v_cmp_eq_f32_e32 vcc, v0, v4
	v_cmp_eq_f32_e64 s[0:1], v1, v5
	s_and_b64 s[0:1], vcc, s[0:1]
	s_andn2_b64 s[14:15], s[14:15], exec
	s_and_b64 s[0:1], s[0:1], exec
	s_or_b64 s[14:15], s[14:15], s[0:1]
.LBB134_2143:
	v_add_u32_e32 v7, s13, v7
	s_waitcnt vmcnt(0)
	v_ashrrev_i32_e32 v0, 31, v7
	v_mov_b32_e32 v1, s11
	v_add_co_u32_e32 v2, vcc, s10, v7
	s_cmp_lt_i32 s30, 11
	v_addc_co_u32_e32 v3, vcc, v1, v0, vcc
	s_cbranch_scc1 .LBB134_2150
; %bb.2144:
	s_and_b32 s35, 0xffff, s30
	s_cmp_gt_i32 s35, 25
	s_mov_b64 s[22:23], 0
	s_cbranch_scc0 .LBB134_2151
; %bb.2145:
	s_cmp_gt_i32 s35, 28
	s_cbranch_scc0 .LBB134_2152
; %bb.2146:
	s_cmp_gt_i32 s35, 43
	;; [unrolled: 3-line block ×3, first 2 shown]
	s_cbranch_scc0 .LBB134_2154
; %bb.2148:
	s_cmp_eq_u32 s35, 46
	s_mov_b64 s[26:27], 0
	s_cbranch_scc0 .LBB134_2155
; %bb.2149:
	global_load_dword v0, v[2:3], off
	s_mov_b64 s[0:1], 0
	s_mov_b64 s[24:25], -1
	s_waitcnt vmcnt(0)
	v_and_b32_e32 v1, 0xffff0000, v0
	v_lshlrev_b32_e32 v0, 16, v0
	s_branch .LBB134_2156
.LBB134_2150:
	s_mov_b64 s[0:1], -1
	s_mov_b64 s[24:25], 0
                                        ; implicit-def: $vgpr1
	s_branch .LBB134_2202
.LBB134_2151:
	s_mov_b64 s[26:27], -1
	s_mov_b64 s[24:25], 0
	s_mov_b64 s[0:1], 0
                                        ; implicit-def: $vgpr1
	s_branch .LBB134_2187
.LBB134_2152:
	s_mov_b64 s[26:27], -1
	s_mov_b64 s[24:25], 0
	s_mov_b64 s[0:1], 0
                                        ; implicit-def: $vgpr1
	s_branch .LBB134_2168
.LBB134_2153:
	s_mov_b64 s[26:27], -1
	s_mov_b64 s[24:25], 0
	s_mov_b64 s[0:1], 0
                                        ; implicit-def: $vgpr1
	s_branch .LBB134_2162
.LBB134_2154:
	s_mov_b64 s[26:27], -1
	s_mov_b64 s[24:25], 0
	s_mov_b64 s[0:1], 0
                                        ; implicit-def: $vgpr1
	s_branch .LBB134_2156
.LBB134_2155:
	s_mov_b64 s[0:1], -1
                                        ; implicit-def: $vgpr1
	s_mov_b64 s[24:25], 0
.LBB134_2156:
	s_and_b64 vcc, exec, s[26:27]
	s_cbranch_vccz .LBB134_2161
; %bb.2157:
	s_cmp_eq_u32 s35, 44
	s_cbranch_scc0 .LBB134_2159
; %bb.2158:
	global_load_ubyte v0, v[2:3], off
	s_movk_i32 s24, 0xff
	v_mov_b32_e32 v1, 0x7f800001
	v_mov_b32_e32 v4, 0x400000
	s_mov_b64 s[0:1], 0
	s_waitcnt vmcnt(0)
	v_lshlrev_b32_e32 v5, 23, v0
	v_cmp_ne_u32_e32 vcc, s24, v0
	v_cndmask_b32_e32 v1, v1, v5, vcc
	v_cmp_ne_u32_e32 vcc, 0, v0
	v_cndmask_b32_e32 v0, v4, v1, vcc
	s_mov_b64 s[24:25], -1
	s_branch .LBB134_2160
.LBB134_2159:
	s_mov_b64 s[0:1], -1
                                        ; implicit-def: $vgpr0
.LBB134_2160:
	v_mov_b32_e32 v1, 0
.LBB134_2161:
	s_mov_b64 s[26:27], 0
.LBB134_2162:
	s_and_b64 vcc, exec, s[26:27]
	s_cbranch_vccz .LBB134_2167
; %bb.2163:
	s_cmp_eq_u32 s35, 29
	s_cbranch_scc0 .LBB134_2165
; %bb.2164:
	global_load_dwordx2 v[0:1], v[2:3], off
	s_mov_b64 s[0:1], 0
	s_mov_b64 s[24:25], -1
	s_waitcnt vmcnt(0)
	v_ffbh_u32_e32 v4, v1
	v_min_u32_e32 v4, 32, v4
	v_lshlrev_b64 v[0:1], v4, v[0:1]
	v_min_u32_e32 v0, 1, v0
	v_or_b32_e32 v0, v1, v0
	v_cvt_f32_u32_e32 v0, v0
	v_sub_u32_e32 v1, 32, v4
	v_ldexp_f32 v0, v0, v1
	s_branch .LBB134_2166
.LBB134_2165:
	s_mov_b64 s[0:1], -1
                                        ; implicit-def: $vgpr0
.LBB134_2166:
	v_mov_b32_e32 v1, 0
.LBB134_2167:
	s_mov_b64 s[26:27], 0
.LBB134_2168:
	s_and_b64 vcc, exec, s[26:27]
	s_cbranch_vccz .LBB134_2186
; %bb.2169:
	s_cmp_lt_i32 s35, 27
	s_cbranch_scc1 .LBB134_2172
; %bb.2170:
	s_cmp_gt_i32 s35, 27
	s_cbranch_scc0 .LBB134_2173
; %bb.2171:
	global_load_dword v0, v[2:3], off
	s_mov_b64 s[24:25], 0
	s_waitcnt vmcnt(0)
	v_cvt_f32_u32_e32 v0, v0
	s_branch .LBB134_2174
.LBB134_2172:
	s_mov_b64 s[24:25], -1
                                        ; implicit-def: $vgpr0
	s_branch .LBB134_2177
.LBB134_2173:
	s_mov_b64 s[24:25], -1
                                        ; implicit-def: $vgpr0
.LBB134_2174:
	s_andn2_b64 vcc, exec, s[24:25]
	s_cbranch_vccnz .LBB134_2176
; %bb.2175:
	global_load_ushort v0, v[2:3], off
	s_waitcnt vmcnt(0)
	v_cvt_f32_u32_e32 v0, v0
.LBB134_2176:
	s_mov_b64 s[24:25], 0
.LBB134_2177:
	s_andn2_b64 vcc, exec, s[24:25]
	s_cbranch_vccnz .LBB134_2185
; %bb.2178:
	global_load_ubyte v1, v[2:3], off
	s_movk_i32 s24, 0x7f
	s_waitcnt vmcnt(0)
	v_cmp_lt_i16_e32 vcc, s24, v1
	s_mov_b64 s[24:25], 0
	s_and_saveexec_b64 s[26:27], vcc
	s_xor_b64 s[26:27], exec, s[26:27]
	s_cbranch_execz .LBB134_2211
; %bb.2179:
	s_movk_i32 s24, 0x80
	v_cmp_eq_u16_e32 vcc, s24, v1
	s_mov_b64 s[24:25], -1
	s_and_saveexec_b64 s[28:29], vcc
; %bb.2180:
	s_xor_b64 s[24:25], exec, -1
; %bb.2181:
	s_or_b64 exec, exec, s[28:29]
	s_and_b64 s[24:25], s[24:25], exec
	s_or_saveexec_b64 s[26:27], s[26:27]
	v_mov_b32_e32 v0, 0x7f800001
	s_xor_b64 exec, exec, s[26:27]
	s_cbranch_execnz .LBB134_2212
.LBB134_2182:
	s_or_b64 exec, exec, s[26:27]
	s_and_saveexec_b64 s[26:27], s[24:25]
	s_cbranch_execz .LBB134_2184
.LBB134_2183:
	v_lshlrev_b32_e32 v0, 24, v1
	v_and_b32_e32 v1, 0xffff, v1
	v_and_b32_e32 v4, 7, v1
	v_ffbh_u32_e32 v9, v4
	v_min_u32_e32 v9, 32, v9
	v_subrev_u32_e32 v10, 28, v9
	v_bfe_u32 v5, v1, 3, 4
	v_lshlrev_b32_e32 v1, v10, v1
	v_sub_u32_e32 v9, 29, v9
	v_and_b32_e32 v1, 7, v1
	v_cmp_eq_u32_e32 vcc, 0, v5
	v_cndmask_b32_e32 v5, v5, v9, vcc
	v_cndmask_b32_e32 v1, v4, v1, vcc
	v_mov_b32_e32 v4, 0x3b800000
	v_lshlrev_b32_e32 v1, 20, v1
	v_and_b32_e32 v0, 0x80000000, v0
	v_lshl_add_u32 v4, v5, 23, v4
	v_or3_b32 v0, v0, v4, v1
.LBB134_2184:
	s_or_b64 exec, exec, s[26:27]
.LBB134_2185:
	s_mov_b64 s[24:25], -1
	v_mov_b32_e32 v1, 0
.LBB134_2186:
	s_mov_b64 s[26:27], 0
.LBB134_2187:
	s_and_b64 vcc, exec, s[26:27]
	s_cbranch_vccz .LBB134_2198
; %bb.2188:
	s_cmp_gt_i32 s35, 22
	s_cbranch_scc0 .LBB134_2209
; %bb.2189:
	s_cmp_lt_i32 s35, 24
	s_cbranch_scc1 .LBB134_2213
; %bb.2190:
	s_cmp_gt_i32 s35, 24
	s_cbranch_scc0 .LBB134_2215
; %bb.2191:
	global_load_ubyte v1, v[2:3], off
	s_movk_i32 s22, 0x7f
	s_waitcnt vmcnt(0)
	v_cmp_lt_i16_e32 vcc, s22, v1
	s_mov_b64 s[22:23], 0
	s_and_saveexec_b64 s[24:25], vcc
	s_xor_b64 s[24:25], exec, s[24:25]
	s_cbranch_execz .LBB134_2227
; %bb.2192:
	s_movk_i32 s22, 0x80
	v_cmp_eq_u16_e32 vcc, s22, v1
	s_mov_b64 s[22:23], -1
	s_and_saveexec_b64 s[26:27], vcc
; %bb.2193:
	s_xor_b64 s[22:23], exec, -1
; %bb.2194:
	s_or_b64 exec, exec, s[26:27]
	s_and_b64 s[22:23], s[22:23], exec
	s_or_saveexec_b64 s[24:25], s[24:25]
	v_mov_b32_e32 v0, 0x7f800001
	s_xor_b64 exec, exec, s[24:25]
	s_cbranch_execnz .LBB134_2228
.LBB134_2195:
	s_or_b64 exec, exec, s[24:25]
	s_and_saveexec_b64 s[24:25], s[22:23]
	s_cbranch_execz .LBB134_2197
.LBB134_2196:
	v_lshlrev_b32_e32 v0, 24, v1
	v_and_b32_e32 v1, 0xffff, v1
	v_and_b32_e32 v4, 3, v1
	v_ffbh_u32_e32 v9, v4
	v_min_u32_e32 v9, 32, v9
	v_subrev_u32_e32 v10, 29, v9
	v_bfe_u32 v5, v1, 2, 5
	v_lshlrev_b32_e32 v1, v10, v1
	v_sub_u32_e32 v9, 30, v9
	v_and_b32_e32 v1, 3, v1
	v_cmp_eq_u32_e32 vcc, 0, v5
	v_cndmask_b32_e32 v5, v5, v9, vcc
	v_cndmask_b32_e32 v1, v4, v1, vcc
	v_mov_b32_e32 v4, 0x37800000
	v_lshlrev_b32_e32 v1, 21, v1
	v_and_b32_e32 v0, 0x80000000, v0
	v_lshl_add_u32 v4, v5, 23, v4
	v_or3_b32 v0, v0, v4, v1
.LBB134_2197:
	s_or_b64 exec, exec, s[24:25]
	s_mov_b64 s[22:23], 0
	s_branch .LBB134_2216
.LBB134_2198:
	s_and_b64 vcc, exec, s[0:1]
	s_cbranch_vccnz .LBB134_2246
.LBB134_2199:
	s_andn2_b64 vcc, exec, s[22:23]
	s_cbranch_vccnz .LBB134_2201
.LBB134_2200:
	global_load_ubyte v0, v[2:3], off
	v_mov_b32_e32 v1, 0
	s_mov_b64 s[24:25], -1
	s_waitcnt vmcnt(0)
	v_cmp_ne_u16_e32 vcc, 0, v0
	v_cndmask_b32_e64 v0, 0, 1.0, vcc
.LBB134_2201:
	s_mov_b64 s[0:1], 0
.LBB134_2202:
	s_and_b64 vcc, exec, s[0:1]
	s_cbranch_vccz .LBB134_2277
; %bb.2203:
	s_and_b32 s22, 0xffff, s30
	s_cmp_lt_i32 s22, 5
	s_cbranch_scc1 .LBB134_2208
; %bb.2204:
	s_cmp_lt_i32 s22, 8
	s_cbranch_scc1 .LBB134_2210
; %bb.2205:
	;; [unrolled: 3-line block ×3, first 2 shown]
	s_cmp_gt_i32 s22, 9
	s_cbranch_scc0 .LBB134_2229
; %bb.2207:
	global_load_dwordx4 v[9:12], v[2:3], off
	s_mov_b64 s[0:1], 0
	s_waitcnt vmcnt(0)
	v_cvt_f32_f64_e32 v0, v[9:10]
	v_cvt_f32_f64_e32 v1, v[11:12]
	s_branch .LBB134_2230
.LBB134_2208:
	s_mov_b64 s[0:1], -1
                                        ; implicit-def: $vgpr1
	s_branch .LBB134_2255
.LBB134_2209:
	s_mov_b64 s[22:23], -1
                                        ; implicit-def: $vgpr0
	s_branch .LBB134_2222
.LBB134_2210:
	s_mov_b64 s[0:1], -1
                                        ; implicit-def: $vgpr1
	s_branch .LBB134_2236
.LBB134_2211:
	s_or_saveexec_b64 s[26:27], s[26:27]
	v_mov_b32_e32 v0, 0x7f800001
	s_xor_b64 exec, exec, s[26:27]
	s_cbranch_execz .LBB134_2182
.LBB134_2212:
	v_cmp_ne_u16_e32 vcc, 0, v1
	s_andn2_b64 s[24:25], s[24:25], exec
	s_and_b64 s[28:29], vcc, exec
	v_mov_b32_e32 v0, 0
	s_or_b64 s[24:25], s[24:25], s[28:29]
	s_or_b64 exec, exec, s[26:27]
	s_and_saveexec_b64 s[26:27], s[24:25]
	s_cbranch_execnz .LBB134_2183
	s_branch .LBB134_2184
.LBB134_2213:
	s_mov_b64 s[22:23], -1
                                        ; implicit-def: $vgpr0
	s_branch .LBB134_2219
.LBB134_2214:
	s_mov_b64 s[0:1], -1
                                        ; implicit-def: $vgpr1
	s_branch .LBB134_2233
.LBB134_2215:
	s_mov_b64 s[22:23], -1
                                        ; implicit-def: $vgpr0
.LBB134_2216:
	s_and_b64 vcc, exec, s[22:23]
	s_cbranch_vccz .LBB134_2218
; %bb.2217:
	global_load_ubyte v0, v[2:3], off
	s_mov_b32 s22, 0x7f800000
	s_waitcnt vmcnt(0)
	v_lshlrev_b32_e32 v0, 24, v0
	v_and_b32_e32 v1, 0x7f000000, v0
	v_ffbh_u32_e32 v4, v1
	v_min_u32_e32 v4, 32, v4
	v_sub_u32_e64 v4, v4, 4 clamp
	v_lshlrev_b32_e32 v9, v4, v1
	v_lshlrev_b32_e32 v4, 23, v4
	v_lshrrev_b32_e32 v9, 4, v9
	v_add_u32_e32 v5, 0x1000000, v1
	v_sub_u32_e32 v4, v9, v4
	v_ashrrev_i32_e32 v5, 8, v5
	v_add_u32_e32 v4, 0x3c000000, v4
	v_and_or_b32 v4, v5, s22, v4
	v_cmp_ne_u32_e32 vcc, 0, v1
	v_cndmask_b32_e32 v1, 0, v4, vcc
	s_brev_b32 s22, 1
	v_and_or_b32 v0, v0, s22, v1
.LBB134_2218:
	s_mov_b64 s[22:23], 0
.LBB134_2219:
	s_andn2_b64 vcc, exec, s[22:23]
	s_cbranch_vccnz .LBB134_2221
; %bb.2220:
	global_load_ubyte v0, v[2:3], off
	s_movk_i32 s22, 0x7f00
	s_brev_b32 s23, 16
	s_waitcnt vmcnt(0)
	v_lshlrev_b16_e32 v1, 8, v0
	v_lshlrev_b32_e32 v0, 25, v0
	v_lshrrev_b32_e32 v4, 4, v0
	v_and_or_b32 v5, v1, s22, 0.5
	v_or_b32_e32 v4, 0x70000000, v4
	v_add_f32_e32 v5, -0.5, v5
	v_mul_f32_e32 v4, 0x7800000, v4
	v_cmp_gt_u32_e32 vcc, s23, v0
	v_bfe_i32 v1, v1, 0, 16
	v_cndmask_b32_e32 v0, v4, v5, vcc
	s_brev_b32 s22, 1
	v_and_or_b32 v0, v1, s22, v0
.LBB134_2221:
	s_mov_b64 s[22:23], 0
	s_mov_b64 s[24:25], -1
.LBB134_2222:
	s_andn2_b64 vcc, exec, s[22:23]
	s_mov_b64 s[22:23], 0
	s_cbranch_vccnz .LBB134_2245
; %bb.2223:
	s_cmp_gt_i32 s35, 14
	s_cbranch_scc0 .LBB134_2226
; %bb.2224:
	s_cmp_eq_u32 s35, 15
	s_cbranch_scc0 .LBB134_2241
; %bb.2225:
	global_load_ushort v0, v[2:3], off
	s_mov_b64 s[0:1], 0
	s_mov_b64 s[24:25], -1
	s_waitcnt vmcnt(0)
	v_lshlrev_b32_e32 v0, 16, v0
	s_branch .LBB134_2242
.LBB134_2226:
	s_mov_b64 s[26:27], -1
                                        ; implicit-def: $vgpr0
	s_branch .LBB134_2243
.LBB134_2227:
	s_or_saveexec_b64 s[24:25], s[24:25]
	v_mov_b32_e32 v0, 0x7f800001
	s_xor_b64 exec, exec, s[24:25]
	s_cbranch_execz .LBB134_2195
.LBB134_2228:
	v_cmp_ne_u16_e32 vcc, 0, v1
	s_andn2_b64 s[22:23], s[22:23], exec
	s_and_b64 s[26:27], vcc, exec
	v_mov_b32_e32 v0, 0
	s_or_b64 s[22:23], s[22:23], s[26:27]
	s_or_b64 exec, exec, s[24:25]
	s_and_saveexec_b64 s[24:25], s[22:23]
	s_cbranch_execnz .LBB134_2196
	s_branch .LBB134_2197
.LBB134_2229:
	s_mov_b64 s[0:1], -1
                                        ; implicit-def: $vgpr1
.LBB134_2230:
	s_andn2_b64 vcc, exec, s[0:1]
	s_cbranch_vccnz .LBB134_2232
; %bb.2231:
	global_load_dwordx2 v[0:1], v[2:3], off
.LBB134_2232:
	s_mov_b64 s[0:1], 0
.LBB134_2233:
	s_andn2_b64 vcc, exec, s[0:1]
	s_cbranch_vccnz .LBB134_2235
; %bb.2234:
	global_load_dword v1, v[2:3], off
	s_waitcnt vmcnt(0)
	v_cvt_f32_f16_e32 v0, v1
	v_cvt_f32_f16_sdwa v1, v1 dst_sel:DWORD dst_unused:UNUSED_PAD src0_sel:WORD_1
.LBB134_2235:
	s_mov_b64 s[0:1], 0
.LBB134_2236:
	s_andn2_b64 vcc, exec, s[0:1]
	s_cbranch_vccnz .LBB134_2254
; %bb.2237:
	s_cmp_lt_i32 s22, 6
	s_cbranch_scc1 .LBB134_2240
; %bb.2238:
	s_cmp_gt_i32 s22, 6
	s_cbranch_scc0 .LBB134_2247
; %bb.2239:
	global_load_dwordx2 v[0:1], v[2:3], off
	s_mov_b64 s[0:1], 0
	s_waitcnt vmcnt(0)
	v_cvt_f32_f64_e32 v0, v[0:1]
	s_branch .LBB134_2248
.LBB134_2240:
	s_mov_b64 s[0:1], -1
                                        ; implicit-def: $vgpr0
	s_branch .LBB134_2251
.LBB134_2241:
	s_mov_b64 s[0:1], -1
                                        ; implicit-def: $vgpr0
.LBB134_2242:
	s_mov_b64 s[26:27], 0
.LBB134_2243:
	s_and_b64 vcc, exec, s[26:27]
	s_cbranch_vccz .LBB134_2245
; %bb.2244:
	s_cmp_lg_u32 s35, 11
	s_mov_b64 s[22:23], -1
	s_cselect_b64 s[0:1], -1, 0
.LBB134_2245:
	v_mov_b32_e32 v1, 0
	s_and_b64 vcc, exec, s[0:1]
	s_cbranch_vccz .LBB134_2199
.LBB134_2246:
	s_trap 2
	s_or_b64 s[18:19], s[18:19], exec
	s_cbranch_execz .LBB134_2200
	s_branch .LBB134_2201
.LBB134_2247:
	s_mov_b64 s[0:1], -1
                                        ; implicit-def: $vgpr0
.LBB134_2248:
	s_andn2_b64 vcc, exec, s[0:1]
	s_cbranch_vccnz .LBB134_2250
; %bb.2249:
	global_load_dword v0, v[2:3], off
.LBB134_2250:
	s_mov_b64 s[0:1], 0
.LBB134_2251:
	s_andn2_b64 vcc, exec, s[0:1]
	s_cbranch_vccnz .LBB134_2253
; %bb.2252:
	global_load_ushort v0, v[2:3], off
	s_waitcnt vmcnt(0)
	v_cvt_f32_f16_e32 v0, v0
.LBB134_2253:
	s_waitcnt vmcnt(0)
	v_mov_b32_e32 v1, 0
.LBB134_2254:
	s_mov_b64 s[0:1], 0
.LBB134_2255:
	s_andn2_b64 vcc, exec, s[0:1]
	s_cbranch_vccnz .LBB134_2276
; %bb.2256:
	s_cmp_lt_i32 s22, 2
	s_cbranch_scc1 .LBB134_2260
; %bb.2257:
	s_cmp_lt_i32 s22, 3
	s_cbranch_scc1 .LBB134_2261
; %bb.2258:
	s_cmp_gt_i32 s22, 3
	s_cbranch_scc0 .LBB134_2262
; %bb.2259:
	global_load_dwordx2 v[0:1], v[2:3], off
	s_mov_b64 s[0:1], 0
	s_waitcnt vmcnt(0)
	v_xor_b32_e32 v5, v0, v1
	v_ffbh_i32_e32 v4, v1
	v_ashrrev_i32_e32 v5, 31, v5
	v_add_u32_e32 v4, -1, v4
	v_add_u32_e32 v5, 32, v5
	v_min_u32_e32 v4, v4, v5
	v_lshlrev_b64 v[0:1], v4, v[0:1]
	v_min_u32_e32 v0, 1, v0
	v_or_b32_e32 v0, v1, v0
	v_cvt_f32_i32_e32 v0, v0
	v_sub_u32_e32 v1, 32, v4
	v_ldexp_f32 v0, v0, v1
	s_branch .LBB134_2263
.LBB134_2260:
	s_mov_b64 s[0:1], -1
                                        ; implicit-def: $vgpr0
	s_branch .LBB134_2269
.LBB134_2261:
	s_mov_b64 s[0:1], -1
                                        ; implicit-def: $vgpr0
	s_branch .LBB134_2266
.LBB134_2262:
	s_mov_b64 s[0:1], -1
                                        ; implicit-def: $vgpr0
.LBB134_2263:
	s_andn2_b64 vcc, exec, s[0:1]
	s_cbranch_vccnz .LBB134_2265
; %bb.2264:
	global_load_dword v0, v[2:3], off
	s_waitcnt vmcnt(0)
	v_cvt_f32_i32_e32 v0, v0
.LBB134_2265:
	s_mov_b64 s[0:1], 0
.LBB134_2266:
	s_andn2_b64 vcc, exec, s[0:1]
	s_cbranch_vccnz .LBB134_2268
; %bb.2267:
	global_load_sshort v0, v[2:3], off
	s_waitcnt vmcnt(0)
	v_cvt_f32_i32_e32 v0, v0
.LBB134_2268:
	s_mov_b64 s[0:1], 0
.LBB134_2269:
	s_andn2_b64 vcc, exec, s[0:1]
	s_cbranch_vccnz .LBB134_2275
; %bb.2270:
	s_cmp_gt_i32 s22, 0
	s_cbranch_scc0 .LBB134_2272
; %bb.2271:
	global_load_sbyte v0, v[2:3], off
	s_mov_b64 s[0:1], 0
	s_waitcnt vmcnt(0)
	v_cvt_f32_i32_e32 v0, v0
	s_branch .LBB134_2273
.LBB134_2272:
	s_mov_b64 s[0:1], -1
                                        ; implicit-def: $vgpr0
.LBB134_2273:
	s_andn2_b64 vcc, exec, s[0:1]
	s_cbranch_vccnz .LBB134_2275
; %bb.2274:
	global_load_ubyte v0, v[2:3], off
	s_waitcnt vmcnt(0)
	v_cvt_f32_ubyte0_e32 v0, v0
.LBB134_2275:
	s_waitcnt vmcnt(0)
	v_mov_b32_e32 v1, 0
.LBB134_2276:
	s_mov_b64 s[24:25], -1
.LBB134_2277:
	s_andn2_b64 vcc, exec, s[24:25]
	s_cbranch_vccnz .LBB134_2692
; %bb.2278:
	v_add_u32_e32 v8, s34, v8
	v_ashrrev_i32_e32 v3, 31, v8
	v_mov_b32_e32 v4, s3
	v_add_co_u32_e32 v2, vcc, s2, v8
	s_cmp_lt_i32 s31, 11
	v_addc_co_u32_e32 v3, vcc, v4, v3, vcc
	s_cbranch_scc1 .LBB134_2285
; %bb.2279:
	s_and_b32 s35, 0xffff, s31
	s_cmp_gt_i32 s35, 25
	s_mov_b64 s[22:23], 0
	s_cbranch_scc0 .LBB134_2286
; %bb.2280:
	s_cmp_gt_i32 s35, 28
	s_cbranch_scc0 .LBB134_2287
; %bb.2281:
	s_cmp_gt_i32 s35, 43
	;; [unrolled: 3-line block ×3, first 2 shown]
	s_cbranch_scc0 .LBB134_2289
; %bb.2283:
	s_cmp_eq_u32 s35, 46
	s_mov_b64 s[26:27], 0
	s_cbranch_scc0 .LBB134_2292
; %bb.2284:
	global_load_dword v4, v[2:3], off
	s_mov_b64 s[0:1], 0
	s_mov_b64 s[24:25], -1
	s_waitcnt vmcnt(0)
	v_and_b32_e32 v5, 0xffff0000, v4
	v_lshlrev_b32_e32 v4, 16, v4
	s_branch .LBB134_2293
.LBB134_2285:
	s_mov_b64 s[0:1], -1
	s_mov_b64 s[24:25], 0
                                        ; implicit-def: $vgpr5
	s_branch .LBB134_2339
.LBB134_2286:
	s_mov_b64 s[26:27], -1
	s_mov_b64 s[24:25], 0
	s_mov_b64 s[0:1], 0
                                        ; implicit-def: $vgpr5
	s_branch .LBB134_2324
.LBB134_2287:
	s_mov_b64 s[26:27], -1
	s_mov_b64 s[24:25], 0
	s_mov_b64 s[0:1], 0
                                        ; implicit-def: $vgpr5
	s_branch .LBB134_2305
.LBB134_2288:
	s_mov_b64 s[26:27], -1
	s_mov_b64 s[24:25], 0
	s_mov_b64 s[0:1], 0
                                        ; implicit-def: $vgpr5
	s_branch .LBB134_2299
.LBB134_2289:
	s_mov_b64 s[26:27], -1
	s_mov_b64 s[24:25], 0
	s_mov_b64 s[0:1], 0
                                        ; implicit-def: $vgpr5
	s_branch .LBB134_2293
.LBB134_2290:
	s_andn2_saveexec_b64 s[48:49], s[48:49]
	s_cbranch_execz .LBB134_1128
.LBB134_2291:
	v_add_f32_e32 v2, 0x42800000, v3
	v_and_b32_e32 v2, 0xff, v2
	v_cmp_ne_u32_e32 vcc, 0, v2
	s_andn2_b64 s[46:47], s[46:47], exec
	s_and_b64 s[54:55], vcc, exec
	s_or_b64 s[46:47], s[46:47], s[54:55]
	s_or_b64 exec, exec, s[48:49]
	v_mov_b32_e32 v4, 0
	s_and_saveexec_b64 s[48:49], s[46:47]
	s_cbranch_execnz .LBB134_1129
	s_branch .LBB134_1130
.LBB134_2292:
	s_mov_b64 s[0:1], -1
                                        ; implicit-def: $vgpr5
	s_mov_b64 s[24:25], 0
.LBB134_2293:
	s_and_b64 vcc, exec, s[26:27]
	s_cbranch_vccz .LBB134_2298
; %bb.2294:
	s_cmp_eq_u32 s35, 44
	s_cbranch_scc0 .LBB134_2296
; %bb.2295:
	global_load_ubyte v4, v[2:3], off
	s_movk_i32 s24, 0xff
	v_mov_b32_e32 v5, 0x7f800001
	v_mov_b32_e32 v9, 0x400000
	s_mov_b64 s[0:1], 0
	s_waitcnt vmcnt(0)
	v_lshlrev_b32_e32 v10, 23, v4
	v_cmp_ne_u32_e32 vcc, s24, v4
	v_cndmask_b32_e32 v5, v5, v10, vcc
	v_cmp_ne_u32_e32 vcc, 0, v4
	v_cndmask_b32_e32 v4, v9, v5, vcc
	s_mov_b64 s[24:25], -1
	s_branch .LBB134_2297
.LBB134_2296:
	s_mov_b64 s[0:1], -1
                                        ; implicit-def: $vgpr4
.LBB134_2297:
	v_mov_b32_e32 v5, 0
.LBB134_2298:
	s_mov_b64 s[26:27], 0
.LBB134_2299:
	s_and_b64 vcc, exec, s[26:27]
	s_cbranch_vccz .LBB134_2304
; %bb.2300:
	s_cmp_eq_u32 s35, 29
	s_cbranch_scc0 .LBB134_2302
; %bb.2301:
	global_load_dwordx2 v[4:5], v[2:3], off
	s_mov_b64 s[0:1], 0
	s_mov_b64 s[24:25], -1
	s_waitcnt vmcnt(0)
	v_ffbh_u32_e32 v9, v5
	v_min_u32_e32 v9, 32, v9
	v_lshlrev_b64 v[4:5], v9, v[4:5]
	v_min_u32_e32 v4, 1, v4
	v_or_b32_e32 v4, v5, v4
	v_cvt_f32_u32_e32 v4, v4
	v_sub_u32_e32 v5, 32, v9
	v_ldexp_f32 v4, v4, v5
	s_branch .LBB134_2303
.LBB134_2302:
	s_mov_b64 s[0:1], -1
                                        ; implicit-def: $vgpr4
.LBB134_2303:
	v_mov_b32_e32 v5, 0
.LBB134_2304:
	s_mov_b64 s[26:27], 0
.LBB134_2305:
	s_and_b64 vcc, exec, s[26:27]
	s_cbranch_vccz .LBB134_2323
; %bb.2306:
	s_cmp_lt_i32 s35, 27
	s_cbranch_scc1 .LBB134_2309
; %bb.2307:
	s_cmp_gt_i32 s35, 27
	s_cbranch_scc0 .LBB134_2310
; %bb.2308:
	global_load_dword v4, v[2:3], off
	s_mov_b64 s[24:25], 0
	s_waitcnt vmcnt(0)
	v_cvt_f32_u32_e32 v4, v4
	s_branch .LBB134_2311
.LBB134_2309:
	s_mov_b64 s[24:25], -1
                                        ; implicit-def: $vgpr4
	s_branch .LBB134_2314
.LBB134_2310:
	s_mov_b64 s[24:25], -1
                                        ; implicit-def: $vgpr4
.LBB134_2311:
	s_andn2_b64 vcc, exec, s[24:25]
	s_cbranch_vccnz .LBB134_2313
; %bb.2312:
	global_load_ushort v4, v[2:3], off
	s_waitcnt vmcnt(0)
	v_cvt_f32_u32_e32 v4, v4
.LBB134_2313:
	s_mov_b64 s[24:25], 0
.LBB134_2314:
	s_andn2_b64 vcc, exec, s[24:25]
	s_cbranch_vccnz .LBB134_2322
; %bb.2315:
	global_load_ubyte v5, v[2:3], off
	s_movk_i32 s24, 0x7f
	s_waitcnt vmcnt(0)
	v_cmp_lt_i16_e32 vcc, s24, v5
	s_mov_b64 s[24:25], 0
	s_and_saveexec_b64 s[26:27], vcc
	s_xor_b64 s[26:27], exec, s[26:27]
	s_cbranch_execz .LBB134_2348
; %bb.2316:
	s_movk_i32 s24, 0x80
	v_cmp_eq_u16_e32 vcc, s24, v5
	s_mov_b64 s[24:25], -1
	s_and_saveexec_b64 s[28:29], vcc
; %bb.2317:
	s_xor_b64 s[24:25], exec, -1
; %bb.2318:
	s_or_b64 exec, exec, s[28:29]
	s_and_b64 s[24:25], s[24:25], exec
	s_or_saveexec_b64 s[26:27], s[26:27]
	v_mov_b32_e32 v4, 0x7f800001
	s_xor_b64 exec, exec, s[26:27]
	s_cbranch_execnz .LBB134_2349
.LBB134_2319:
	s_or_b64 exec, exec, s[26:27]
	s_and_saveexec_b64 s[26:27], s[24:25]
	s_cbranch_execz .LBB134_2321
.LBB134_2320:
	v_lshlrev_b32_e32 v4, 24, v5
	v_and_b32_e32 v5, 0xffff, v5
	v_and_b32_e32 v9, 7, v5
	v_ffbh_u32_e32 v11, v9
	v_min_u32_e32 v11, 32, v11
	v_subrev_u32_e32 v12, 28, v11
	v_bfe_u32 v10, v5, 3, 4
	v_lshlrev_b32_e32 v5, v12, v5
	v_sub_u32_e32 v11, 29, v11
	v_and_b32_e32 v5, 7, v5
	v_cmp_eq_u32_e32 vcc, 0, v10
	v_cndmask_b32_e32 v10, v10, v11, vcc
	v_cndmask_b32_e32 v5, v9, v5, vcc
	v_mov_b32_e32 v9, 0x3b800000
	v_lshlrev_b32_e32 v5, 20, v5
	v_and_b32_e32 v4, 0x80000000, v4
	v_lshl_add_u32 v9, v10, 23, v9
	v_or3_b32 v4, v4, v9, v5
.LBB134_2321:
	s_or_b64 exec, exec, s[26:27]
.LBB134_2322:
	s_mov_b64 s[24:25], -1
	v_mov_b32_e32 v5, 0
.LBB134_2323:
	s_mov_b64 s[26:27], 0
.LBB134_2324:
	s_and_b64 vcc, exec, s[26:27]
	s_cbranch_vccz .LBB134_2335
; %bb.2325:
	s_cmp_gt_i32 s35, 22
	s_cbranch_scc0 .LBB134_2346
; %bb.2326:
	s_cmp_lt_i32 s35, 24
	s_cbranch_scc1 .LBB134_2350
; %bb.2327:
	s_cmp_gt_i32 s35, 24
	s_cbranch_scc0 .LBB134_2352
; %bb.2328:
	global_load_ubyte v5, v[2:3], off
	s_movk_i32 s22, 0x7f
	s_waitcnt vmcnt(0)
	v_cmp_lt_i16_e32 vcc, s22, v5
	s_mov_b64 s[22:23], 0
	s_and_saveexec_b64 s[24:25], vcc
	s_xor_b64 s[24:25], exec, s[24:25]
	s_cbranch_execz .LBB134_2364
; %bb.2329:
	s_movk_i32 s22, 0x80
	v_cmp_eq_u16_e32 vcc, s22, v5
	s_mov_b64 s[22:23], -1
	s_and_saveexec_b64 s[26:27], vcc
; %bb.2330:
	s_xor_b64 s[22:23], exec, -1
; %bb.2331:
	s_or_b64 exec, exec, s[26:27]
	s_and_b64 s[22:23], s[22:23], exec
	s_or_saveexec_b64 s[24:25], s[24:25]
	v_mov_b32_e32 v4, 0x7f800001
	s_xor_b64 exec, exec, s[24:25]
	s_cbranch_execnz .LBB134_2365
.LBB134_2332:
	s_or_b64 exec, exec, s[24:25]
	s_and_saveexec_b64 s[24:25], s[22:23]
	s_cbranch_execz .LBB134_2334
.LBB134_2333:
	v_lshlrev_b32_e32 v4, 24, v5
	v_and_b32_e32 v5, 0xffff, v5
	v_and_b32_e32 v9, 3, v5
	v_ffbh_u32_e32 v11, v9
	v_min_u32_e32 v11, 32, v11
	v_subrev_u32_e32 v12, 29, v11
	v_bfe_u32 v10, v5, 2, 5
	v_lshlrev_b32_e32 v5, v12, v5
	v_sub_u32_e32 v11, 30, v11
	v_and_b32_e32 v5, 3, v5
	v_cmp_eq_u32_e32 vcc, 0, v10
	v_cndmask_b32_e32 v10, v10, v11, vcc
	v_cndmask_b32_e32 v5, v9, v5, vcc
	v_mov_b32_e32 v9, 0x37800000
	v_lshlrev_b32_e32 v5, 21, v5
	v_and_b32_e32 v4, 0x80000000, v4
	v_lshl_add_u32 v9, v10, 23, v9
	v_or3_b32 v4, v4, v9, v5
.LBB134_2334:
	s_or_b64 exec, exec, s[24:25]
	s_mov_b64 s[22:23], 0
	s_branch .LBB134_2353
.LBB134_2335:
	s_and_b64 vcc, exec, s[0:1]
	s_cbranch_vccnz .LBB134_2383
.LBB134_2336:
	s_andn2_b64 vcc, exec, s[22:23]
	s_cbranch_vccnz .LBB134_2338
.LBB134_2337:
	global_load_ubyte v4, v[2:3], off
	v_mov_b32_e32 v5, 0
	s_mov_b64 s[24:25], -1
	s_waitcnt vmcnt(0)
	v_cmp_ne_u16_e32 vcc, 0, v4
	v_cndmask_b32_e64 v4, 0, 1.0, vcc
.LBB134_2338:
	s_mov_b64 s[0:1], 0
.LBB134_2339:
	s_and_b64 vcc, exec, s[0:1]
	s_cbranch_vccz .LBB134_2414
; %bb.2340:
	s_and_b32 s22, 0xffff, s31
	s_cmp_lt_i32 s22, 5
	s_cbranch_scc1 .LBB134_2345
; %bb.2341:
	s_cmp_lt_i32 s22, 8
	s_cbranch_scc1 .LBB134_2347
; %bb.2342:
	;; [unrolled: 3-line block ×3, first 2 shown]
	s_cmp_gt_i32 s22, 9
	s_cbranch_scc0 .LBB134_2366
; %bb.2344:
	global_load_dwordx4 v[9:12], v[2:3], off
	s_mov_b64 s[0:1], 0
	s_waitcnt vmcnt(0)
	v_cvt_f32_f64_e32 v4, v[9:10]
	v_cvt_f32_f64_e32 v5, v[11:12]
	s_branch .LBB134_2367
.LBB134_2345:
	s_mov_b64 s[0:1], -1
                                        ; implicit-def: $vgpr5
	s_branch .LBB134_2392
.LBB134_2346:
	s_mov_b64 s[22:23], -1
                                        ; implicit-def: $vgpr4
	s_branch .LBB134_2359
.LBB134_2347:
	s_mov_b64 s[0:1], -1
                                        ; implicit-def: $vgpr5
	s_branch .LBB134_2373
.LBB134_2348:
	s_or_saveexec_b64 s[26:27], s[26:27]
	v_mov_b32_e32 v4, 0x7f800001
	s_xor_b64 exec, exec, s[26:27]
	s_cbranch_execz .LBB134_2319
.LBB134_2349:
	v_cmp_ne_u16_e32 vcc, 0, v5
	s_andn2_b64 s[24:25], s[24:25], exec
	s_and_b64 s[28:29], vcc, exec
	v_mov_b32_e32 v4, 0
	s_or_b64 s[24:25], s[24:25], s[28:29]
	s_or_b64 exec, exec, s[26:27]
	s_and_saveexec_b64 s[26:27], s[24:25]
	s_cbranch_execnz .LBB134_2320
	s_branch .LBB134_2321
.LBB134_2350:
	s_mov_b64 s[22:23], -1
                                        ; implicit-def: $vgpr4
	s_branch .LBB134_2356
.LBB134_2351:
	s_mov_b64 s[0:1], -1
                                        ; implicit-def: $vgpr5
	s_branch .LBB134_2370
.LBB134_2352:
	s_mov_b64 s[22:23], -1
                                        ; implicit-def: $vgpr4
.LBB134_2353:
	s_and_b64 vcc, exec, s[22:23]
	s_cbranch_vccz .LBB134_2355
; %bb.2354:
	global_load_ubyte v4, v[2:3], off
	s_mov_b32 s22, 0x7f800000
	s_waitcnt vmcnt(0)
	v_lshlrev_b32_e32 v4, 24, v4
	v_and_b32_e32 v5, 0x7f000000, v4
	v_ffbh_u32_e32 v9, v5
	v_min_u32_e32 v9, 32, v9
	v_sub_u32_e64 v9, v9, 4 clamp
	v_lshlrev_b32_e32 v11, v9, v5
	v_lshlrev_b32_e32 v9, 23, v9
	v_lshrrev_b32_e32 v11, 4, v11
	v_add_u32_e32 v10, 0x1000000, v5
	v_sub_u32_e32 v9, v11, v9
	v_ashrrev_i32_e32 v10, 8, v10
	v_add_u32_e32 v9, 0x3c000000, v9
	v_and_or_b32 v9, v10, s22, v9
	v_cmp_ne_u32_e32 vcc, 0, v5
	v_cndmask_b32_e32 v5, 0, v9, vcc
	s_brev_b32 s22, 1
	v_and_or_b32 v4, v4, s22, v5
.LBB134_2355:
	s_mov_b64 s[22:23], 0
.LBB134_2356:
	s_andn2_b64 vcc, exec, s[22:23]
	s_cbranch_vccnz .LBB134_2358
; %bb.2357:
	global_load_ubyte v4, v[2:3], off
	s_movk_i32 s22, 0x7f00
	s_brev_b32 s23, 16
	s_waitcnt vmcnt(0)
	v_lshlrev_b16_e32 v5, 8, v4
	v_lshlrev_b32_e32 v4, 25, v4
	v_lshrrev_b32_e32 v9, 4, v4
	v_and_or_b32 v10, v5, s22, 0.5
	v_or_b32_e32 v9, 0x70000000, v9
	v_add_f32_e32 v10, -0.5, v10
	v_mul_f32_e32 v9, 0x7800000, v9
	v_cmp_gt_u32_e32 vcc, s23, v4
	v_bfe_i32 v5, v5, 0, 16
	v_cndmask_b32_e32 v4, v9, v10, vcc
	s_brev_b32 s22, 1
	v_and_or_b32 v4, v5, s22, v4
.LBB134_2358:
	s_mov_b64 s[22:23], 0
	s_mov_b64 s[24:25], -1
.LBB134_2359:
	s_andn2_b64 vcc, exec, s[22:23]
	s_mov_b64 s[22:23], 0
	s_cbranch_vccnz .LBB134_2382
; %bb.2360:
	s_cmp_gt_i32 s35, 14
	s_cbranch_scc0 .LBB134_2363
; %bb.2361:
	s_cmp_eq_u32 s35, 15
	s_cbranch_scc0 .LBB134_2378
; %bb.2362:
	global_load_ushort v4, v[2:3], off
	s_mov_b64 s[0:1], 0
	s_mov_b64 s[24:25], -1
	s_waitcnt vmcnt(0)
	v_lshlrev_b32_e32 v4, 16, v4
	s_branch .LBB134_2379
.LBB134_2363:
	s_mov_b64 s[26:27], -1
                                        ; implicit-def: $vgpr4
	s_branch .LBB134_2380
.LBB134_2364:
	s_or_saveexec_b64 s[24:25], s[24:25]
	v_mov_b32_e32 v4, 0x7f800001
	s_xor_b64 exec, exec, s[24:25]
	s_cbranch_execz .LBB134_2332
.LBB134_2365:
	v_cmp_ne_u16_e32 vcc, 0, v5
	s_andn2_b64 s[22:23], s[22:23], exec
	s_and_b64 s[26:27], vcc, exec
	v_mov_b32_e32 v4, 0
	s_or_b64 s[22:23], s[22:23], s[26:27]
	s_or_b64 exec, exec, s[24:25]
	s_and_saveexec_b64 s[24:25], s[22:23]
	s_cbranch_execnz .LBB134_2333
	s_branch .LBB134_2334
.LBB134_2366:
	s_mov_b64 s[0:1], -1
                                        ; implicit-def: $vgpr5
.LBB134_2367:
	s_andn2_b64 vcc, exec, s[0:1]
	s_cbranch_vccnz .LBB134_2369
; %bb.2368:
	global_load_dwordx2 v[4:5], v[2:3], off
.LBB134_2369:
	s_mov_b64 s[0:1], 0
.LBB134_2370:
	s_andn2_b64 vcc, exec, s[0:1]
	s_cbranch_vccnz .LBB134_2372
; %bb.2371:
	global_load_dword v5, v[2:3], off
	s_waitcnt vmcnt(0)
	v_cvt_f32_f16_e32 v4, v5
	v_cvt_f32_f16_sdwa v5, v5 dst_sel:DWORD dst_unused:UNUSED_PAD src0_sel:WORD_1
.LBB134_2372:
	s_mov_b64 s[0:1], 0
.LBB134_2373:
	s_andn2_b64 vcc, exec, s[0:1]
	s_cbranch_vccnz .LBB134_2391
; %bb.2374:
	s_cmp_lt_i32 s22, 6
	s_cbranch_scc1 .LBB134_2377
; %bb.2375:
	s_cmp_gt_i32 s22, 6
	s_cbranch_scc0 .LBB134_2384
; %bb.2376:
	global_load_dwordx2 v[4:5], v[2:3], off
	s_mov_b64 s[0:1], 0
	s_waitcnt vmcnt(0)
	v_cvt_f32_f64_e32 v4, v[4:5]
	s_branch .LBB134_2385
.LBB134_2377:
	s_mov_b64 s[0:1], -1
                                        ; implicit-def: $vgpr4
	s_branch .LBB134_2388
.LBB134_2378:
	s_mov_b64 s[0:1], -1
                                        ; implicit-def: $vgpr4
.LBB134_2379:
	s_mov_b64 s[26:27], 0
.LBB134_2380:
	s_and_b64 vcc, exec, s[26:27]
	s_cbranch_vccz .LBB134_2382
; %bb.2381:
	s_cmp_lg_u32 s35, 11
	s_mov_b64 s[22:23], -1
	s_cselect_b64 s[0:1], -1, 0
.LBB134_2382:
	v_mov_b32_e32 v5, 0
	s_and_b64 vcc, exec, s[0:1]
	s_cbranch_vccz .LBB134_2336
.LBB134_2383:
	s_trap 2
	s_or_b64 s[18:19], s[18:19], exec
	s_cbranch_execz .LBB134_2337
	s_branch .LBB134_2338
.LBB134_2384:
	s_mov_b64 s[0:1], -1
                                        ; implicit-def: $vgpr4
.LBB134_2385:
	s_andn2_b64 vcc, exec, s[0:1]
	s_cbranch_vccnz .LBB134_2387
; %bb.2386:
	global_load_dword v4, v[2:3], off
.LBB134_2387:
	s_mov_b64 s[0:1], 0
.LBB134_2388:
	s_andn2_b64 vcc, exec, s[0:1]
	s_cbranch_vccnz .LBB134_2390
; %bb.2389:
	global_load_ushort v4, v[2:3], off
	s_waitcnt vmcnt(0)
	v_cvt_f32_f16_e32 v4, v4
.LBB134_2390:
	s_waitcnt vmcnt(0)
	v_mov_b32_e32 v5, 0
.LBB134_2391:
	s_mov_b64 s[0:1], 0
.LBB134_2392:
	s_andn2_b64 vcc, exec, s[0:1]
	s_cbranch_vccnz .LBB134_2413
; %bb.2393:
	s_cmp_lt_i32 s22, 2
	s_cbranch_scc1 .LBB134_2397
; %bb.2394:
	s_cmp_lt_i32 s22, 3
	s_cbranch_scc1 .LBB134_2398
; %bb.2395:
	s_cmp_gt_i32 s22, 3
	s_cbranch_scc0 .LBB134_2399
; %bb.2396:
	global_load_dwordx2 v[4:5], v[2:3], off
	s_mov_b64 s[0:1], 0
	s_waitcnt vmcnt(0)
	v_xor_b32_e32 v10, v4, v5
	v_ffbh_i32_e32 v9, v5
	v_ashrrev_i32_e32 v10, 31, v10
	v_add_u32_e32 v9, -1, v9
	v_add_u32_e32 v10, 32, v10
	v_min_u32_e32 v9, v9, v10
	v_lshlrev_b64 v[4:5], v9, v[4:5]
	v_min_u32_e32 v4, 1, v4
	v_or_b32_e32 v4, v5, v4
	v_cvt_f32_i32_e32 v4, v4
	v_sub_u32_e32 v5, 32, v9
	v_ldexp_f32 v4, v4, v5
	s_branch .LBB134_2400
.LBB134_2397:
	s_mov_b64 s[0:1], -1
                                        ; implicit-def: $vgpr4
	s_branch .LBB134_2406
.LBB134_2398:
	s_mov_b64 s[0:1], -1
                                        ; implicit-def: $vgpr4
	s_branch .LBB134_2403
.LBB134_2399:
	s_mov_b64 s[0:1], -1
                                        ; implicit-def: $vgpr4
.LBB134_2400:
	s_andn2_b64 vcc, exec, s[0:1]
	s_cbranch_vccnz .LBB134_2402
; %bb.2401:
	global_load_dword v4, v[2:3], off
	s_waitcnt vmcnt(0)
	v_cvt_f32_i32_e32 v4, v4
.LBB134_2402:
	s_mov_b64 s[0:1], 0
.LBB134_2403:
	s_andn2_b64 vcc, exec, s[0:1]
	s_cbranch_vccnz .LBB134_2405
; %bb.2404:
	global_load_sshort v4, v[2:3], off
	s_waitcnt vmcnt(0)
	v_cvt_f32_i32_e32 v4, v4
.LBB134_2405:
	s_mov_b64 s[0:1], 0
.LBB134_2406:
	s_andn2_b64 vcc, exec, s[0:1]
	s_cbranch_vccnz .LBB134_2412
; %bb.2407:
	s_cmp_gt_i32 s22, 0
	s_cbranch_scc0 .LBB134_2409
; %bb.2408:
	global_load_sbyte v4, v[2:3], off
	s_mov_b64 s[0:1], 0
	s_waitcnt vmcnt(0)
	v_cvt_f32_i32_e32 v4, v4
	s_branch .LBB134_2410
.LBB134_2409:
	s_mov_b64 s[0:1], -1
                                        ; implicit-def: $vgpr4
.LBB134_2410:
	s_andn2_b64 vcc, exec, s[0:1]
	s_cbranch_vccnz .LBB134_2412
; %bb.2411:
	global_load_ubyte v2, v[2:3], off
	s_waitcnt vmcnt(0)
	v_cvt_f32_ubyte0_e32 v4, v2
.LBB134_2412:
	s_waitcnt vmcnt(0)
	v_mov_b32_e32 v5, 0
.LBB134_2413:
	s_mov_b64 s[24:25], -1
.LBB134_2414:
	s_andn2_b64 vcc, exec, s[24:25]
	s_cbranch_vccnz .LBB134_2692
; %bb.2415:
	s_and_b64 vcc, exec, s[20:21]
	s_cbranch_vccz .LBB134_2417
; %bb.2416:
	s_waitcnt vmcnt(0)
	v_cmp_neq_f32_e32 vcc, v0, v4
	v_cmp_neq_f32_e64 s[0:1], v1, v5
	s_or_b64 s[22:23], vcc, s[0:1]
	s_mov_b64 s[0:1], 0
	s_branch .LBB134_2418
.LBB134_2417:
	s_mov_b64 s[0:1], -1
                                        ; implicit-def: $sgpr22_sgpr23
.LBB134_2418:
	s_andn2_b64 vcc, exec, s[0:1]
	s_cbranch_vccnz .LBB134_2420
; %bb.2419:
	s_waitcnt vmcnt(0)
	v_cmp_eq_f32_e32 vcc, v0, v4
	v_cmp_eq_f32_e64 s[0:1], v1, v5
	s_and_b64 s[0:1], vcc, s[0:1]
	s_andn2_b64 s[22:23], s[22:23], exec
	s_and_b64 s[0:1], s[0:1], exec
	s_or_b64 s[22:23], s[22:23], s[0:1]
.LBB134_2420:
	s_waitcnt vmcnt(0)
	v_add_u32_e32 v0, s13, v7
	v_ashrrev_i32_e32 v1, 31, v0
	v_mov_b32_e32 v3, s11
	v_add_co_u32_e32 v2, vcc, s10, v0
	s_cmp_lt_i32 s30, 11
	v_addc_co_u32_e32 v3, vcc, v3, v1, vcc
	s_cbranch_scc1 .LBB134_2427
; %bb.2421:
	s_and_b32 s13, 0xffff, s30
	s_cmp_gt_i32 s13, 25
	s_mov_b64 s[10:11], 0
	s_cbranch_scc0 .LBB134_2428
; %bb.2422:
	s_cmp_gt_i32 s13, 28
	s_cbranch_scc0 .LBB134_2429
; %bb.2423:
	s_cmp_gt_i32 s13, 43
	;; [unrolled: 3-line block ×3, first 2 shown]
	s_cbranch_scc0 .LBB134_2431
; %bb.2425:
	s_cmp_eq_u32 s13, 46
	s_mov_b64 s[26:27], 0
	s_cbranch_scc0 .LBB134_2432
; %bb.2426:
	global_load_dword v0, v[2:3], off
	s_mov_b64 s[0:1], 0
	s_mov_b64 s[24:25], -1
	s_waitcnt vmcnt(0)
	v_and_b32_e32 v1, 0xffff0000, v0
	v_lshlrev_b32_e32 v0, 16, v0
	s_branch .LBB134_2433
.LBB134_2427:
	s_mov_b64 s[0:1], -1
	s_mov_b64 s[24:25], 0
                                        ; implicit-def: $vgpr1
	s_branch .LBB134_2479
.LBB134_2428:
	s_mov_b64 s[26:27], -1
	s_mov_b64 s[24:25], 0
	s_mov_b64 s[0:1], 0
                                        ; implicit-def: $vgpr1
	s_branch .LBB134_2464
.LBB134_2429:
	s_mov_b64 s[26:27], -1
	s_mov_b64 s[24:25], 0
	s_mov_b64 s[0:1], 0
                                        ; implicit-def: $vgpr1
	s_branch .LBB134_2445
.LBB134_2430:
	s_mov_b64 s[26:27], -1
	s_mov_b64 s[24:25], 0
	s_mov_b64 s[0:1], 0
                                        ; implicit-def: $vgpr1
	s_branch .LBB134_2439
.LBB134_2431:
	s_mov_b64 s[26:27], -1
	s_mov_b64 s[24:25], 0
	s_mov_b64 s[0:1], 0
                                        ; implicit-def: $vgpr1
	s_branch .LBB134_2433
.LBB134_2432:
	s_mov_b64 s[0:1], -1
                                        ; implicit-def: $vgpr1
	s_mov_b64 s[24:25], 0
.LBB134_2433:
	s_and_b64 vcc, exec, s[26:27]
	s_cbranch_vccz .LBB134_2438
; %bb.2434:
	s_cmp_eq_u32 s13, 44
	s_cbranch_scc0 .LBB134_2436
; %bb.2435:
	global_load_ubyte v0, v[2:3], off
	s_movk_i32 s24, 0xff
	v_mov_b32_e32 v1, 0x7f800001
	v_mov_b32_e32 v4, 0x400000
	s_mov_b64 s[0:1], 0
	s_waitcnt vmcnt(0)
	v_lshlrev_b32_e32 v5, 23, v0
	v_cmp_ne_u32_e32 vcc, s24, v0
	v_cndmask_b32_e32 v1, v1, v5, vcc
	v_cmp_ne_u32_e32 vcc, 0, v0
	v_cndmask_b32_e32 v0, v4, v1, vcc
	s_mov_b64 s[24:25], -1
	s_branch .LBB134_2437
.LBB134_2436:
	s_mov_b64 s[0:1], -1
                                        ; implicit-def: $vgpr0
.LBB134_2437:
	v_mov_b32_e32 v1, 0
.LBB134_2438:
	s_mov_b64 s[26:27], 0
.LBB134_2439:
	s_and_b64 vcc, exec, s[26:27]
	s_cbranch_vccz .LBB134_2444
; %bb.2440:
	s_cmp_eq_u32 s13, 29
	s_cbranch_scc0 .LBB134_2442
; %bb.2441:
	global_load_dwordx2 v[0:1], v[2:3], off
	s_mov_b64 s[0:1], 0
	s_mov_b64 s[24:25], -1
	s_waitcnt vmcnt(0)
	v_ffbh_u32_e32 v4, v1
	v_min_u32_e32 v4, 32, v4
	v_lshlrev_b64 v[0:1], v4, v[0:1]
	v_min_u32_e32 v0, 1, v0
	v_or_b32_e32 v0, v1, v0
	v_cvt_f32_u32_e32 v0, v0
	v_sub_u32_e32 v1, 32, v4
	v_ldexp_f32 v0, v0, v1
	s_branch .LBB134_2443
.LBB134_2442:
	s_mov_b64 s[0:1], -1
                                        ; implicit-def: $vgpr0
.LBB134_2443:
	v_mov_b32_e32 v1, 0
.LBB134_2444:
	s_mov_b64 s[26:27], 0
.LBB134_2445:
	s_and_b64 vcc, exec, s[26:27]
	s_cbranch_vccz .LBB134_2463
; %bb.2446:
	s_cmp_lt_i32 s13, 27
	s_cbranch_scc1 .LBB134_2449
; %bb.2447:
	s_cmp_gt_i32 s13, 27
	s_cbranch_scc0 .LBB134_2450
; %bb.2448:
	global_load_dword v0, v[2:3], off
	s_mov_b64 s[24:25], 0
	s_waitcnt vmcnt(0)
	v_cvt_f32_u32_e32 v0, v0
	s_branch .LBB134_2451
.LBB134_2449:
	s_mov_b64 s[24:25], -1
                                        ; implicit-def: $vgpr0
	s_branch .LBB134_2454
.LBB134_2450:
	s_mov_b64 s[24:25], -1
                                        ; implicit-def: $vgpr0
.LBB134_2451:
	s_andn2_b64 vcc, exec, s[24:25]
	s_cbranch_vccnz .LBB134_2453
; %bb.2452:
	global_load_ushort v0, v[2:3], off
	s_waitcnt vmcnt(0)
	v_cvt_f32_u32_e32 v0, v0
.LBB134_2453:
	s_mov_b64 s[24:25], 0
.LBB134_2454:
	s_andn2_b64 vcc, exec, s[24:25]
	s_cbranch_vccnz .LBB134_2462
; %bb.2455:
	global_load_ubyte v1, v[2:3], off
	s_movk_i32 s24, 0x7f
	s_waitcnt vmcnt(0)
	v_cmp_lt_i16_e32 vcc, s24, v1
	s_mov_b64 s[24:25], 0
	s_and_saveexec_b64 s[26:27], vcc
	s_xor_b64 s[26:27], exec, s[26:27]
	s_cbranch_execz .LBB134_2488
; %bb.2456:
	s_movk_i32 s24, 0x80
	v_cmp_eq_u16_e32 vcc, s24, v1
	s_mov_b64 s[24:25], -1
	s_and_saveexec_b64 s[28:29], vcc
; %bb.2457:
	s_xor_b64 s[24:25], exec, -1
; %bb.2458:
	s_or_b64 exec, exec, s[28:29]
	s_and_b64 s[24:25], s[24:25], exec
	s_or_saveexec_b64 s[26:27], s[26:27]
	v_mov_b32_e32 v0, 0x7f800001
	s_xor_b64 exec, exec, s[26:27]
	s_cbranch_execnz .LBB134_2489
.LBB134_2459:
	s_or_b64 exec, exec, s[26:27]
	s_and_saveexec_b64 s[26:27], s[24:25]
	s_cbranch_execz .LBB134_2461
.LBB134_2460:
	v_lshlrev_b32_e32 v0, 24, v1
	v_and_b32_e32 v1, 0xffff, v1
	v_and_b32_e32 v4, 7, v1
	v_ffbh_u32_e32 v7, v4
	v_min_u32_e32 v7, 32, v7
	v_subrev_u32_e32 v9, 28, v7
	v_bfe_u32 v5, v1, 3, 4
	v_lshlrev_b32_e32 v1, v9, v1
	v_sub_u32_e32 v7, 29, v7
	v_and_b32_e32 v1, 7, v1
	v_cmp_eq_u32_e32 vcc, 0, v5
	v_cndmask_b32_e32 v5, v5, v7, vcc
	v_cndmask_b32_e32 v1, v4, v1, vcc
	v_mov_b32_e32 v4, 0x3b800000
	v_lshlrev_b32_e32 v1, 20, v1
	v_and_b32_e32 v0, 0x80000000, v0
	v_lshl_add_u32 v4, v5, 23, v4
	v_or3_b32 v0, v0, v4, v1
.LBB134_2461:
	s_or_b64 exec, exec, s[26:27]
.LBB134_2462:
	s_mov_b64 s[24:25], -1
	v_mov_b32_e32 v1, 0
.LBB134_2463:
	s_mov_b64 s[26:27], 0
.LBB134_2464:
	s_and_b64 vcc, exec, s[26:27]
	s_cbranch_vccz .LBB134_2475
; %bb.2465:
	s_cmp_gt_i32 s13, 22
	s_cbranch_scc0 .LBB134_2486
; %bb.2466:
	s_cmp_lt_i32 s13, 24
	s_cbranch_scc1 .LBB134_2490
; %bb.2467:
	s_cmp_gt_i32 s13, 24
	s_cbranch_scc0 .LBB134_2492
; %bb.2468:
	global_load_ubyte v1, v[2:3], off
	s_movk_i32 s10, 0x7f
	s_waitcnt vmcnt(0)
	v_cmp_lt_i16_e32 vcc, s10, v1
	s_mov_b64 s[10:11], 0
	s_and_saveexec_b64 s[24:25], vcc
	s_xor_b64 s[24:25], exec, s[24:25]
	s_cbranch_execz .LBB134_2504
; %bb.2469:
	s_movk_i32 s10, 0x80
	v_cmp_eq_u16_e32 vcc, s10, v1
	s_mov_b64 s[10:11], -1
	s_and_saveexec_b64 s[26:27], vcc
; %bb.2470:
	s_xor_b64 s[10:11], exec, -1
; %bb.2471:
	s_or_b64 exec, exec, s[26:27]
	s_and_b64 s[10:11], s[10:11], exec
	s_or_saveexec_b64 s[24:25], s[24:25]
	v_mov_b32_e32 v0, 0x7f800001
	s_xor_b64 exec, exec, s[24:25]
	s_cbranch_execnz .LBB134_2505
.LBB134_2472:
	s_or_b64 exec, exec, s[24:25]
	s_and_saveexec_b64 s[24:25], s[10:11]
	s_cbranch_execz .LBB134_2474
.LBB134_2473:
	v_lshlrev_b32_e32 v0, 24, v1
	v_and_b32_e32 v1, 0xffff, v1
	v_and_b32_e32 v4, 3, v1
	v_ffbh_u32_e32 v7, v4
	v_min_u32_e32 v7, 32, v7
	v_subrev_u32_e32 v9, 29, v7
	v_bfe_u32 v5, v1, 2, 5
	v_lshlrev_b32_e32 v1, v9, v1
	v_sub_u32_e32 v7, 30, v7
	v_and_b32_e32 v1, 3, v1
	v_cmp_eq_u32_e32 vcc, 0, v5
	v_cndmask_b32_e32 v5, v5, v7, vcc
	v_cndmask_b32_e32 v1, v4, v1, vcc
	v_mov_b32_e32 v4, 0x37800000
	v_lshlrev_b32_e32 v1, 21, v1
	v_and_b32_e32 v0, 0x80000000, v0
	v_lshl_add_u32 v4, v5, 23, v4
	v_or3_b32 v0, v0, v4, v1
.LBB134_2474:
	s_or_b64 exec, exec, s[24:25]
	s_mov_b64 s[10:11], 0
	s_branch .LBB134_2493
.LBB134_2475:
	s_and_b64 vcc, exec, s[0:1]
	s_cbranch_vccnz .LBB134_2523
.LBB134_2476:
	s_andn2_b64 vcc, exec, s[10:11]
	s_cbranch_vccnz .LBB134_2478
.LBB134_2477:
	global_load_ubyte v0, v[2:3], off
	v_mov_b32_e32 v1, 0
	s_mov_b64 s[24:25], -1
	s_waitcnt vmcnt(0)
	v_cmp_ne_u16_e32 vcc, 0, v0
	v_cndmask_b32_e64 v0, 0, 1.0, vcc
.LBB134_2478:
	s_mov_b64 s[0:1], 0
.LBB134_2479:
	s_and_b64 vcc, exec, s[0:1]
	s_cbranch_vccz .LBB134_2554
; %bb.2480:
	s_and_b32 s10, 0xffff, s30
	s_cmp_lt_i32 s10, 5
	s_cbranch_scc1 .LBB134_2485
; %bb.2481:
	s_cmp_lt_i32 s10, 8
	s_cbranch_scc1 .LBB134_2487
; %bb.2482:
	;; [unrolled: 3-line block ×3, first 2 shown]
	s_cmp_gt_i32 s10, 9
	s_cbranch_scc0 .LBB134_2506
; %bb.2484:
	global_load_dwordx4 v[9:12], v[2:3], off
	s_mov_b64 s[0:1], 0
	s_waitcnt vmcnt(0)
	v_cvt_f32_f64_e32 v0, v[9:10]
	v_cvt_f32_f64_e32 v1, v[11:12]
	s_branch .LBB134_2507
.LBB134_2485:
	s_mov_b64 s[0:1], -1
                                        ; implicit-def: $vgpr1
	s_branch .LBB134_2532
.LBB134_2486:
	s_mov_b64 s[10:11], -1
                                        ; implicit-def: $vgpr0
	s_branch .LBB134_2499
.LBB134_2487:
	s_mov_b64 s[0:1], -1
                                        ; implicit-def: $vgpr1
	s_branch .LBB134_2513
.LBB134_2488:
	s_or_saveexec_b64 s[26:27], s[26:27]
	v_mov_b32_e32 v0, 0x7f800001
	s_xor_b64 exec, exec, s[26:27]
	s_cbranch_execz .LBB134_2459
.LBB134_2489:
	v_cmp_ne_u16_e32 vcc, 0, v1
	s_andn2_b64 s[24:25], s[24:25], exec
	s_and_b64 s[28:29], vcc, exec
	v_mov_b32_e32 v0, 0
	s_or_b64 s[24:25], s[24:25], s[28:29]
	s_or_b64 exec, exec, s[26:27]
	s_and_saveexec_b64 s[26:27], s[24:25]
	s_cbranch_execnz .LBB134_2460
	s_branch .LBB134_2461
.LBB134_2490:
	s_mov_b64 s[10:11], -1
                                        ; implicit-def: $vgpr0
	s_branch .LBB134_2496
.LBB134_2491:
	s_mov_b64 s[0:1], -1
                                        ; implicit-def: $vgpr1
	s_branch .LBB134_2510
.LBB134_2492:
	s_mov_b64 s[10:11], -1
                                        ; implicit-def: $vgpr0
.LBB134_2493:
	s_and_b64 vcc, exec, s[10:11]
	s_cbranch_vccz .LBB134_2495
; %bb.2494:
	global_load_ubyte v0, v[2:3], off
	s_mov_b32 s10, 0x7f800000
	s_waitcnt vmcnt(0)
	v_lshlrev_b32_e32 v0, 24, v0
	v_and_b32_e32 v1, 0x7f000000, v0
	v_ffbh_u32_e32 v4, v1
	v_min_u32_e32 v4, 32, v4
	v_sub_u32_e64 v4, v4, 4 clamp
	v_lshlrev_b32_e32 v7, v4, v1
	v_lshlrev_b32_e32 v4, 23, v4
	v_lshrrev_b32_e32 v7, 4, v7
	v_add_u32_e32 v5, 0x1000000, v1
	v_sub_u32_e32 v4, v7, v4
	v_ashrrev_i32_e32 v5, 8, v5
	v_add_u32_e32 v4, 0x3c000000, v4
	v_and_or_b32 v4, v5, s10, v4
	v_cmp_ne_u32_e32 vcc, 0, v1
	v_cndmask_b32_e32 v1, 0, v4, vcc
	s_brev_b32 s10, 1
	v_and_or_b32 v0, v0, s10, v1
.LBB134_2495:
	s_mov_b64 s[10:11], 0
.LBB134_2496:
	s_andn2_b64 vcc, exec, s[10:11]
	s_cbranch_vccnz .LBB134_2498
; %bb.2497:
	global_load_ubyte v0, v[2:3], off
	s_movk_i32 s10, 0x7f00
	s_brev_b32 s11, 16
	s_waitcnt vmcnt(0)
	v_lshlrev_b16_e32 v1, 8, v0
	v_lshlrev_b32_e32 v0, 25, v0
	v_lshrrev_b32_e32 v4, 4, v0
	v_and_or_b32 v5, v1, s10, 0.5
	v_or_b32_e32 v4, 0x70000000, v4
	v_add_f32_e32 v5, -0.5, v5
	v_mul_f32_e32 v4, 0x7800000, v4
	v_cmp_gt_u32_e32 vcc, s11, v0
	v_bfe_i32 v1, v1, 0, 16
	v_cndmask_b32_e32 v0, v4, v5, vcc
	s_brev_b32 s10, 1
	v_and_or_b32 v0, v1, s10, v0
.LBB134_2498:
	s_mov_b64 s[10:11], 0
	s_mov_b64 s[24:25], -1
.LBB134_2499:
	s_andn2_b64 vcc, exec, s[10:11]
	s_mov_b64 s[10:11], 0
	s_cbranch_vccnz .LBB134_2522
; %bb.2500:
	s_cmp_gt_i32 s13, 14
	s_cbranch_scc0 .LBB134_2503
; %bb.2501:
	s_cmp_eq_u32 s13, 15
	s_cbranch_scc0 .LBB134_2518
; %bb.2502:
	global_load_ushort v0, v[2:3], off
	s_mov_b64 s[0:1], 0
	s_mov_b64 s[24:25], -1
	s_waitcnt vmcnt(0)
	v_lshlrev_b32_e32 v0, 16, v0
	s_branch .LBB134_2519
.LBB134_2503:
	s_mov_b64 s[26:27], -1
                                        ; implicit-def: $vgpr0
	s_branch .LBB134_2520
.LBB134_2504:
	s_or_saveexec_b64 s[24:25], s[24:25]
	v_mov_b32_e32 v0, 0x7f800001
	s_xor_b64 exec, exec, s[24:25]
	s_cbranch_execz .LBB134_2472
.LBB134_2505:
	v_cmp_ne_u16_e32 vcc, 0, v1
	s_andn2_b64 s[10:11], s[10:11], exec
	s_and_b64 s[26:27], vcc, exec
	v_mov_b32_e32 v0, 0
	s_or_b64 s[10:11], s[10:11], s[26:27]
	s_or_b64 exec, exec, s[24:25]
	s_and_saveexec_b64 s[24:25], s[10:11]
	s_cbranch_execnz .LBB134_2473
	s_branch .LBB134_2474
.LBB134_2506:
	s_mov_b64 s[0:1], -1
                                        ; implicit-def: $vgpr1
.LBB134_2507:
	s_andn2_b64 vcc, exec, s[0:1]
	s_cbranch_vccnz .LBB134_2509
; %bb.2508:
	global_load_dwordx2 v[0:1], v[2:3], off
.LBB134_2509:
	s_mov_b64 s[0:1], 0
.LBB134_2510:
	s_andn2_b64 vcc, exec, s[0:1]
	s_cbranch_vccnz .LBB134_2512
; %bb.2511:
	global_load_dword v1, v[2:3], off
	s_waitcnt vmcnt(0)
	v_cvt_f32_f16_e32 v0, v1
	v_cvt_f32_f16_sdwa v1, v1 dst_sel:DWORD dst_unused:UNUSED_PAD src0_sel:WORD_1
.LBB134_2512:
	s_mov_b64 s[0:1], 0
.LBB134_2513:
	s_andn2_b64 vcc, exec, s[0:1]
	s_cbranch_vccnz .LBB134_2531
; %bb.2514:
	s_cmp_lt_i32 s10, 6
	s_cbranch_scc1 .LBB134_2517
; %bb.2515:
	s_cmp_gt_i32 s10, 6
	s_cbranch_scc0 .LBB134_2524
; %bb.2516:
	global_load_dwordx2 v[0:1], v[2:3], off
	s_mov_b64 s[0:1], 0
	s_waitcnt vmcnt(0)
	v_cvt_f32_f64_e32 v0, v[0:1]
	s_branch .LBB134_2525
.LBB134_2517:
	s_mov_b64 s[0:1], -1
                                        ; implicit-def: $vgpr0
	s_branch .LBB134_2528
.LBB134_2518:
	s_mov_b64 s[0:1], -1
                                        ; implicit-def: $vgpr0
.LBB134_2519:
	s_mov_b64 s[26:27], 0
.LBB134_2520:
	s_and_b64 vcc, exec, s[26:27]
	s_cbranch_vccz .LBB134_2522
; %bb.2521:
	s_cmp_lg_u32 s13, 11
	s_mov_b64 s[10:11], -1
	s_cselect_b64 s[0:1], -1, 0
.LBB134_2522:
	v_mov_b32_e32 v1, 0
	s_and_b64 vcc, exec, s[0:1]
	s_cbranch_vccz .LBB134_2476
.LBB134_2523:
	s_trap 2
	s_or_b64 s[18:19], s[18:19], exec
	s_cbranch_execz .LBB134_2477
	s_branch .LBB134_2478
.LBB134_2524:
	s_mov_b64 s[0:1], -1
                                        ; implicit-def: $vgpr0
.LBB134_2525:
	s_andn2_b64 vcc, exec, s[0:1]
	s_cbranch_vccnz .LBB134_2527
; %bb.2526:
	global_load_dword v0, v[2:3], off
.LBB134_2527:
	s_mov_b64 s[0:1], 0
.LBB134_2528:
	s_andn2_b64 vcc, exec, s[0:1]
	s_cbranch_vccnz .LBB134_2530
; %bb.2529:
	global_load_ushort v0, v[2:3], off
	s_waitcnt vmcnt(0)
	v_cvt_f32_f16_e32 v0, v0
.LBB134_2530:
	s_waitcnt vmcnt(0)
	v_mov_b32_e32 v1, 0
.LBB134_2531:
	s_mov_b64 s[0:1], 0
.LBB134_2532:
	s_andn2_b64 vcc, exec, s[0:1]
	s_cbranch_vccnz .LBB134_2553
; %bb.2533:
	s_cmp_lt_i32 s10, 2
	s_cbranch_scc1 .LBB134_2537
; %bb.2534:
	s_cmp_lt_i32 s10, 3
	s_cbranch_scc1 .LBB134_2538
; %bb.2535:
	s_cmp_gt_i32 s10, 3
	s_cbranch_scc0 .LBB134_2539
; %bb.2536:
	global_load_dwordx2 v[0:1], v[2:3], off
	s_mov_b64 s[0:1], 0
	s_waitcnt vmcnt(0)
	v_xor_b32_e32 v5, v0, v1
	v_ffbh_i32_e32 v4, v1
	v_ashrrev_i32_e32 v5, 31, v5
	v_add_u32_e32 v4, -1, v4
	v_add_u32_e32 v5, 32, v5
	v_min_u32_e32 v4, v4, v5
	v_lshlrev_b64 v[0:1], v4, v[0:1]
	v_min_u32_e32 v0, 1, v0
	v_or_b32_e32 v0, v1, v0
	v_cvt_f32_i32_e32 v0, v0
	v_sub_u32_e32 v1, 32, v4
	v_ldexp_f32 v0, v0, v1
	s_branch .LBB134_2540
.LBB134_2537:
	s_mov_b64 s[0:1], -1
                                        ; implicit-def: $vgpr0
	s_branch .LBB134_2546
.LBB134_2538:
	s_mov_b64 s[0:1], -1
                                        ; implicit-def: $vgpr0
	s_branch .LBB134_2543
.LBB134_2539:
	s_mov_b64 s[0:1], -1
                                        ; implicit-def: $vgpr0
.LBB134_2540:
	s_andn2_b64 vcc, exec, s[0:1]
	s_cbranch_vccnz .LBB134_2542
; %bb.2541:
	global_load_dword v0, v[2:3], off
	s_waitcnt vmcnt(0)
	v_cvt_f32_i32_e32 v0, v0
.LBB134_2542:
	s_mov_b64 s[0:1], 0
.LBB134_2543:
	s_andn2_b64 vcc, exec, s[0:1]
	s_cbranch_vccnz .LBB134_2545
; %bb.2544:
	global_load_sshort v0, v[2:3], off
	s_waitcnt vmcnt(0)
	v_cvt_f32_i32_e32 v0, v0
.LBB134_2545:
	s_mov_b64 s[0:1], 0
.LBB134_2546:
	s_andn2_b64 vcc, exec, s[0:1]
	s_cbranch_vccnz .LBB134_2552
; %bb.2547:
	s_cmp_gt_i32 s10, 0
	s_cbranch_scc0 .LBB134_2549
; %bb.2548:
	global_load_sbyte v0, v[2:3], off
	s_mov_b64 s[0:1], 0
	s_waitcnt vmcnt(0)
	v_cvt_f32_i32_e32 v0, v0
	s_branch .LBB134_2550
.LBB134_2549:
	s_mov_b64 s[0:1], -1
                                        ; implicit-def: $vgpr0
.LBB134_2550:
	s_andn2_b64 vcc, exec, s[0:1]
	s_cbranch_vccnz .LBB134_2552
; %bb.2551:
	global_load_ubyte v0, v[2:3], off
	s_waitcnt vmcnt(0)
	v_cvt_f32_ubyte0_e32 v0, v0
.LBB134_2552:
	s_waitcnt vmcnt(0)
	v_mov_b32_e32 v1, 0
.LBB134_2553:
	s_mov_b64 s[24:25], -1
.LBB134_2554:
	s_andn2_b64 vcc, exec, s[24:25]
	s_cbranch_vccnz .LBB134_2692
; %bb.2555:
	v_add_u32_e32 v2, s34, v8
	v_ashrrev_i32_e32 v3, 31, v2
	v_mov_b32_e32 v4, s3
	v_add_co_u32_e32 v2, vcc, s2, v2
	s_cmp_lt_i32 s31, 11
	v_addc_co_u32_e32 v3, vcc, v4, v3, vcc
	s_cbranch_scc1 .LBB134_2562
; %bb.2556:
	s_and_b32 s13, 0xffff, s31
	s_cmp_gt_i32 s13, 25
	s_mov_b64 s[2:3], 0
	s_cbranch_scc0 .LBB134_2563
; %bb.2557:
	s_cmp_gt_i32 s13, 28
	s_cbranch_scc0 .LBB134_2564
; %bb.2558:
	s_cmp_gt_i32 s13, 43
	;; [unrolled: 3-line block ×3, first 2 shown]
	s_cbranch_scc0 .LBB134_2566
; %bb.2560:
	s_cmp_eq_u32 s13, 46
	s_mov_b64 s[24:25], 0
	s_cbranch_scc0 .LBB134_2567
; %bb.2561:
	global_load_dword v4, v[2:3], off
	s_mov_b64 s[0:1], 0
	s_mov_b64 s[10:11], -1
	s_waitcnt vmcnt(0)
	v_and_b32_e32 v5, 0xffff0000, v4
	v_lshlrev_b32_e32 v4, 16, v4
	s_branch .LBB134_2568
.LBB134_2562:
	s_mov_b64 s[0:1], -1
	s_mov_b64 s[10:11], 0
                                        ; implicit-def: $vgpr5
	s_branch .LBB134_2614
.LBB134_2563:
	s_mov_b64 s[24:25], -1
	s_mov_b64 s[10:11], 0
	s_mov_b64 s[0:1], 0
                                        ; implicit-def: $vgpr5
	s_branch .LBB134_2599
.LBB134_2564:
	s_mov_b64 s[24:25], -1
	s_mov_b64 s[10:11], 0
	s_mov_b64 s[0:1], 0
                                        ; implicit-def: $vgpr5
	s_branch .LBB134_2580
.LBB134_2565:
	s_mov_b64 s[24:25], -1
	s_mov_b64 s[10:11], 0
	s_mov_b64 s[0:1], 0
                                        ; implicit-def: $vgpr5
	s_branch .LBB134_2574
.LBB134_2566:
	s_mov_b64 s[24:25], -1
	s_mov_b64 s[10:11], 0
	s_mov_b64 s[0:1], 0
                                        ; implicit-def: $vgpr5
	s_branch .LBB134_2568
.LBB134_2567:
	s_mov_b64 s[0:1], -1
                                        ; implicit-def: $vgpr5
	s_mov_b64 s[10:11], 0
.LBB134_2568:
	s_and_b64 vcc, exec, s[24:25]
	s_cbranch_vccz .LBB134_2573
; %bb.2569:
	s_cmp_eq_u32 s13, 44
	s_cbranch_scc0 .LBB134_2571
; %bb.2570:
	global_load_ubyte v4, v[2:3], off
	s_movk_i32 s10, 0xff
	v_mov_b32_e32 v5, 0x7f800001
	v_mov_b32_e32 v7, 0x400000
	s_mov_b64 s[0:1], 0
	s_waitcnt vmcnt(0)
	v_lshlrev_b32_e32 v8, 23, v4
	v_cmp_ne_u32_e32 vcc, s10, v4
	v_cndmask_b32_e32 v5, v5, v8, vcc
	v_cmp_ne_u32_e32 vcc, 0, v4
	v_cndmask_b32_e32 v4, v7, v5, vcc
	s_mov_b64 s[10:11], -1
	s_branch .LBB134_2572
.LBB134_2571:
	s_mov_b64 s[0:1], -1
                                        ; implicit-def: $vgpr4
.LBB134_2572:
	v_mov_b32_e32 v5, 0
.LBB134_2573:
	s_mov_b64 s[24:25], 0
.LBB134_2574:
	s_and_b64 vcc, exec, s[24:25]
	s_cbranch_vccz .LBB134_2579
; %bb.2575:
	s_cmp_eq_u32 s13, 29
	s_cbranch_scc0 .LBB134_2577
; %bb.2576:
	global_load_dwordx2 v[4:5], v[2:3], off
	s_mov_b64 s[0:1], 0
	s_mov_b64 s[10:11], -1
	s_waitcnt vmcnt(0)
	v_ffbh_u32_e32 v7, v5
	v_min_u32_e32 v7, 32, v7
	v_lshlrev_b64 v[4:5], v7, v[4:5]
	v_min_u32_e32 v4, 1, v4
	v_or_b32_e32 v4, v5, v4
	v_cvt_f32_u32_e32 v4, v4
	v_sub_u32_e32 v5, 32, v7
	v_ldexp_f32 v4, v4, v5
	s_branch .LBB134_2578
.LBB134_2577:
	s_mov_b64 s[0:1], -1
                                        ; implicit-def: $vgpr4
.LBB134_2578:
	v_mov_b32_e32 v5, 0
.LBB134_2579:
	s_mov_b64 s[24:25], 0
.LBB134_2580:
	s_and_b64 vcc, exec, s[24:25]
	s_cbranch_vccz .LBB134_2598
; %bb.2581:
	s_cmp_lt_i32 s13, 27
	s_cbranch_scc1 .LBB134_2584
; %bb.2582:
	s_cmp_gt_i32 s13, 27
	s_cbranch_scc0 .LBB134_2585
; %bb.2583:
	global_load_dword v4, v[2:3], off
	s_mov_b64 s[10:11], 0
	s_waitcnt vmcnt(0)
	v_cvt_f32_u32_e32 v4, v4
	s_branch .LBB134_2586
.LBB134_2584:
	s_mov_b64 s[10:11], -1
                                        ; implicit-def: $vgpr4
	s_branch .LBB134_2589
.LBB134_2585:
	s_mov_b64 s[10:11], -1
                                        ; implicit-def: $vgpr4
.LBB134_2586:
	s_andn2_b64 vcc, exec, s[10:11]
	s_cbranch_vccnz .LBB134_2588
; %bb.2587:
	global_load_ushort v4, v[2:3], off
	s_waitcnt vmcnt(0)
	v_cvt_f32_u32_e32 v4, v4
.LBB134_2588:
	s_mov_b64 s[10:11], 0
.LBB134_2589:
	s_andn2_b64 vcc, exec, s[10:11]
	s_cbranch_vccnz .LBB134_2597
; %bb.2590:
	global_load_ubyte v5, v[2:3], off
	s_movk_i32 s10, 0x7f
	s_waitcnt vmcnt(0)
	v_cmp_lt_i16_e32 vcc, s10, v5
	s_mov_b64 s[10:11], 0
	s_and_saveexec_b64 s[24:25], vcc
	s_xor_b64 s[24:25], exec, s[24:25]
	s_cbranch_execz .LBB134_2623
; %bb.2591:
	s_movk_i32 s10, 0x80
	v_cmp_eq_u16_e32 vcc, s10, v5
	s_mov_b64 s[10:11], -1
	s_and_saveexec_b64 s[26:27], vcc
; %bb.2592:
	s_xor_b64 s[10:11], exec, -1
; %bb.2593:
	s_or_b64 exec, exec, s[26:27]
	s_and_b64 s[10:11], s[10:11], exec
	s_or_saveexec_b64 s[24:25], s[24:25]
	v_mov_b32_e32 v4, 0x7f800001
	s_xor_b64 exec, exec, s[24:25]
	s_cbranch_execnz .LBB134_2624
.LBB134_2594:
	s_or_b64 exec, exec, s[24:25]
	s_and_saveexec_b64 s[24:25], s[10:11]
	s_cbranch_execz .LBB134_2596
.LBB134_2595:
	v_lshlrev_b32_e32 v4, 24, v5
	v_and_b32_e32 v5, 0xffff, v5
	v_and_b32_e32 v7, 7, v5
	v_ffbh_u32_e32 v9, v7
	v_min_u32_e32 v9, 32, v9
	v_subrev_u32_e32 v10, 28, v9
	v_bfe_u32 v8, v5, 3, 4
	v_lshlrev_b32_e32 v5, v10, v5
	v_sub_u32_e32 v9, 29, v9
	v_and_b32_e32 v5, 7, v5
	v_cmp_eq_u32_e32 vcc, 0, v8
	v_cndmask_b32_e32 v8, v8, v9, vcc
	v_cndmask_b32_e32 v5, v7, v5, vcc
	v_mov_b32_e32 v7, 0x3b800000
	v_lshlrev_b32_e32 v5, 20, v5
	v_and_b32_e32 v4, 0x80000000, v4
	v_lshl_add_u32 v7, v8, 23, v7
	v_or3_b32 v4, v4, v7, v5
.LBB134_2596:
	s_or_b64 exec, exec, s[24:25]
.LBB134_2597:
	s_mov_b64 s[10:11], -1
	v_mov_b32_e32 v5, 0
.LBB134_2598:
	s_mov_b64 s[24:25], 0
.LBB134_2599:
	s_and_b64 vcc, exec, s[24:25]
	s_cbranch_vccz .LBB134_2610
; %bb.2600:
	s_cmp_gt_i32 s13, 22
	s_cbranch_scc0 .LBB134_2621
; %bb.2601:
	s_cmp_lt_i32 s13, 24
	s_cbranch_scc1 .LBB134_2625
; %bb.2602:
	s_cmp_gt_i32 s13, 24
	s_cbranch_scc0 .LBB134_2627
; %bb.2603:
	global_load_ubyte v5, v[2:3], off
	s_movk_i32 s2, 0x7f
	s_waitcnt vmcnt(0)
	v_cmp_lt_i16_e32 vcc, s2, v5
	s_mov_b64 s[2:3], 0
	s_and_saveexec_b64 s[10:11], vcc
	s_xor_b64 s[10:11], exec, s[10:11]
	s_cbranch_execz .LBB134_2639
; %bb.2604:
	s_movk_i32 s2, 0x80
	v_cmp_eq_u16_e32 vcc, s2, v5
	s_mov_b64 s[2:3], -1
	s_and_saveexec_b64 s[24:25], vcc
; %bb.2605:
	s_xor_b64 s[2:3], exec, -1
; %bb.2606:
	s_or_b64 exec, exec, s[24:25]
	s_and_b64 s[2:3], s[2:3], exec
	s_or_saveexec_b64 s[10:11], s[10:11]
	v_mov_b32_e32 v4, 0x7f800001
	s_xor_b64 exec, exec, s[10:11]
	s_cbranch_execnz .LBB134_2640
.LBB134_2607:
	s_or_b64 exec, exec, s[10:11]
	s_and_saveexec_b64 s[10:11], s[2:3]
	s_cbranch_execz .LBB134_2609
.LBB134_2608:
	v_lshlrev_b32_e32 v4, 24, v5
	v_and_b32_e32 v5, 0xffff, v5
	v_and_b32_e32 v7, 3, v5
	v_ffbh_u32_e32 v9, v7
	v_min_u32_e32 v9, 32, v9
	v_subrev_u32_e32 v10, 29, v9
	v_bfe_u32 v8, v5, 2, 5
	v_lshlrev_b32_e32 v5, v10, v5
	v_sub_u32_e32 v9, 30, v9
	v_and_b32_e32 v5, 3, v5
	v_cmp_eq_u32_e32 vcc, 0, v8
	v_cndmask_b32_e32 v8, v8, v9, vcc
	v_cndmask_b32_e32 v5, v7, v5, vcc
	v_mov_b32_e32 v7, 0x37800000
	v_lshlrev_b32_e32 v5, 21, v5
	v_and_b32_e32 v4, 0x80000000, v4
	v_lshl_add_u32 v7, v8, 23, v7
	v_or3_b32 v4, v4, v7, v5
.LBB134_2609:
	s_or_b64 exec, exec, s[10:11]
	s_mov_b64 s[2:3], 0
	s_branch .LBB134_2628
.LBB134_2610:
	s_and_b64 vcc, exec, s[0:1]
	s_cbranch_vccnz .LBB134_2658
.LBB134_2611:
	s_andn2_b64 vcc, exec, s[2:3]
	s_cbranch_vccnz .LBB134_2613
.LBB134_2612:
	global_load_ubyte v4, v[2:3], off
	v_mov_b32_e32 v5, 0
	s_mov_b64 s[10:11], -1
	s_waitcnt vmcnt(0)
	v_cmp_ne_u16_e32 vcc, 0, v4
	v_cndmask_b32_e64 v4, 0, 1.0, vcc
.LBB134_2613:
	s_mov_b64 s[0:1], 0
.LBB134_2614:
	s_and_b64 vcc, exec, s[0:1]
	s_cbranch_vccz .LBB134_2689
; %bb.2615:
	s_and_b32 s2, 0xffff, s31
	s_cmp_lt_i32 s2, 5
	s_cbranch_scc1 .LBB134_2620
; %bb.2616:
	s_cmp_lt_i32 s2, 8
	s_cbranch_scc1 .LBB134_2622
; %bb.2617:
	;; [unrolled: 3-line block ×3, first 2 shown]
	s_cmp_gt_i32 s2, 9
	s_cbranch_scc0 .LBB134_2641
; %bb.2619:
	global_load_dwordx4 v[7:10], v[2:3], off
	s_mov_b64 s[0:1], 0
	s_waitcnt vmcnt(0)
	v_cvt_f32_f64_e32 v4, v[7:8]
	v_cvt_f32_f64_e32 v5, v[9:10]
	s_branch .LBB134_2642
.LBB134_2620:
	s_mov_b64 s[0:1], -1
                                        ; implicit-def: $vgpr5
	s_branch .LBB134_2667
.LBB134_2621:
	s_mov_b64 s[2:3], -1
                                        ; implicit-def: $vgpr4
	s_branch .LBB134_2634
.LBB134_2622:
	s_mov_b64 s[0:1], -1
                                        ; implicit-def: $vgpr5
	s_branch .LBB134_2648
.LBB134_2623:
	s_or_saveexec_b64 s[24:25], s[24:25]
	v_mov_b32_e32 v4, 0x7f800001
	s_xor_b64 exec, exec, s[24:25]
	s_cbranch_execz .LBB134_2594
.LBB134_2624:
	v_cmp_ne_u16_e32 vcc, 0, v5
	s_andn2_b64 s[10:11], s[10:11], exec
	s_and_b64 s[26:27], vcc, exec
	v_mov_b32_e32 v4, 0
	s_or_b64 s[10:11], s[10:11], s[26:27]
	s_or_b64 exec, exec, s[24:25]
	s_and_saveexec_b64 s[24:25], s[10:11]
	s_cbranch_execnz .LBB134_2595
	s_branch .LBB134_2596
.LBB134_2625:
	s_mov_b64 s[2:3], -1
                                        ; implicit-def: $vgpr4
	s_branch .LBB134_2631
.LBB134_2626:
	s_mov_b64 s[0:1], -1
                                        ; implicit-def: $vgpr5
	s_branch .LBB134_2645
.LBB134_2627:
	s_mov_b64 s[2:3], -1
                                        ; implicit-def: $vgpr4
.LBB134_2628:
	s_and_b64 vcc, exec, s[2:3]
	s_cbranch_vccz .LBB134_2630
; %bb.2629:
	global_load_ubyte v4, v[2:3], off
	s_mov_b32 s2, 0x7f800000
	s_waitcnt vmcnt(0)
	v_lshlrev_b32_e32 v4, 24, v4
	v_and_b32_e32 v5, 0x7f000000, v4
	v_ffbh_u32_e32 v7, v5
	v_min_u32_e32 v7, 32, v7
	v_sub_u32_e64 v7, v7, 4 clamp
	v_lshlrev_b32_e32 v9, v7, v5
	v_lshlrev_b32_e32 v7, 23, v7
	v_lshrrev_b32_e32 v9, 4, v9
	v_add_u32_e32 v8, 0x1000000, v5
	v_sub_u32_e32 v7, v9, v7
	v_ashrrev_i32_e32 v8, 8, v8
	v_add_u32_e32 v7, 0x3c000000, v7
	v_and_or_b32 v7, v8, s2, v7
	v_cmp_ne_u32_e32 vcc, 0, v5
	v_cndmask_b32_e32 v5, 0, v7, vcc
	s_brev_b32 s2, 1
	v_and_or_b32 v4, v4, s2, v5
.LBB134_2630:
	s_mov_b64 s[2:3], 0
.LBB134_2631:
	s_andn2_b64 vcc, exec, s[2:3]
	s_cbranch_vccnz .LBB134_2633
; %bb.2632:
	global_load_ubyte v4, v[2:3], off
	s_movk_i32 s2, 0x7f00
	s_brev_b32 s3, 16
	s_waitcnt vmcnt(0)
	v_lshlrev_b16_e32 v5, 8, v4
	v_lshlrev_b32_e32 v4, 25, v4
	v_lshrrev_b32_e32 v7, 4, v4
	v_and_or_b32 v8, v5, s2, 0.5
	v_or_b32_e32 v7, 0x70000000, v7
	v_add_f32_e32 v8, -0.5, v8
	v_mul_f32_e32 v7, 0x7800000, v7
	v_cmp_gt_u32_e32 vcc, s3, v4
	v_bfe_i32 v5, v5, 0, 16
	v_cndmask_b32_e32 v4, v7, v8, vcc
	s_brev_b32 s2, 1
	v_and_or_b32 v4, v5, s2, v4
.LBB134_2633:
	s_mov_b64 s[2:3], 0
	s_mov_b64 s[10:11], -1
.LBB134_2634:
	s_andn2_b64 vcc, exec, s[2:3]
	s_mov_b64 s[2:3], 0
	s_cbranch_vccnz .LBB134_2657
; %bb.2635:
	s_cmp_gt_i32 s13, 14
	s_cbranch_scc0 .LBB134_2638
; %bb.2636:
	s_cmp_eq_u32 s13, 15
	s_cbranch_scc0 .LBB134_2653
; %bb.2637:
	global_load_ushort v4, v[2:3], off
	s_mov_b64 s[0:1], 0
	s_mov_b64 s[10:11], -1
	s_waitcnt vmcnt(0)
	v_lshlrev_b32_e32 v4, 16, v4
	s_branch .LBB134_2654
.LBB134_2638:
	s_mov_b64 s[24:25], -1
                                        ; implicit-def: $vgpr4
	s_branch .LBB134_2655
.LBB134_2639:
	s_or_saveexec_b64 s[10:11], s[10:11]
	v_mov_b32_e32 v4, 0x7f800001
	s_xor_b64 exec, exec, s[10:11]
	s_cbranch_execz .LBB134_2607
.LBB134_2640:
	v_cmp_ne_u16_e32 vcc, 0, v5
	s_andn2_b64 s[2:3], s[2:3], exec
	s_and_b64 s[24:25], vcc, exec
	v_mov_b32_e32 v4, 0
	s_or_b64 s[2:3], s[2:3], s[24:25]
	s_or_b64 exec, exec, s[10:11]
	s_and_saveexec_b64 s[10:11], s[2:3]
	s_cbranch_execnz .LBB134_2608
	s_branch .LBB134_2609
.LBB134_2641:
	s_mov_b64 s[0:1], -1
                                        ; implicit-def: $vgpr5
.LBB134_2642:
	s_andn2_b64 vcc, exec, s[0:1]
	s_cbranch_vccnz .LBB134_2644
; %bb.2643:
	global_load_dwordx2 v[4:5], v[2:3], off
.LBB134_2644:
	s_mov_b64 s[0:1], 0
.LBB134_2645:
	s_andn2_b64 vcc, exec, s[0:1]
	s_cbranch_vccnz .LBB134_2647
; %bb.2646:
	global_load_dword v5, v[2:3], off
	s_waitcnt vmcnt(0)
	v_cvt_f32_f16_e32 v4, v5
	v_cvt_f32_f16_sdwa v5, v5 dst_sel:DWORD dst_unused:UNUSED_PAD src0_sel:WORD_1
.LBB134_2647:
	s_mov_b64 s[0:1], 0
.LBB134_2648:
	s_andn2_b64 vcc, exec, s[0:1]
	s_cbranch_vccnz .LBB134_2666
; %bb.2649:
	s_cmp_lt_i32 s2, 6
	s_cbranch_scc1 .LBB134_2652
; %bb.2650:
	s_cmp_gt_i32 s2, 6
	s_cbranch_scc0 .LBB134_2659
; %bb.2651:
	global_load_dwordx2 v[4:5], v[2:3], off
	s_mov_b64 s[0:1], 0
	s_waitcnt vmcnt(0)
	v_cvt_f32_f64_e32 v4, v[4:5]
	s_branch .LBB134_2660
.LBB134_2652:
	s_mov_b64 s[0:1], -1
                                        ; implicit-def: $vgpr4
	s_branch .LBB134_2663
.LBB134_2653:
	s_mov_b64 s[0:1], -1
                                        ; implicit-def: $vgpr4
.LBB134_2654:
	s_mov_b64 s[24:25], 0
.LBB134_2655:
	s_and_b64 vcc, exec, s[24:25]
	s_cbranch_vccz .LBB134_2657
; %bb.2656:
	s_cmp_lg_u32 s13, 11
	s_mov_b64 s[2:3], -1
	s_cselect_b64 s[0:1], -1, 0
.LBB134_2657:
	v_mov_b32_e32 v5, 0
	s_and_b64 vcc, exec, s[0:1]
	s_cbranch_vccz .LBB134_2611
.LBB134_2658:
	s_trap 2
	s_or_b64 s[18:19], s[18:19], exec
	s_cbranch_execz .LBB134_2612
	s_branch .LBB134_2613
.LBB134_2659:
	s_mov_b64 s[0:1], -1
                                        ; implicit-def: $vgpr4
.LBB134_2660:
	s_andn2_b64 vcc, exec, s[0:1]
	s_cbranch_vccnz .LBB134_2662
; %bb.2661:
	global_load_dword v4, v[2:3], off
.LBB134_2662:
	s_mov_b64 s[0:1], 0
.LBB134_2663:
	s_andn2_b64 vcc, exec, s[0:1]
	s_cbranch_vccnz .LBB134_2665
; %bb.2664:
	global_load_ushort v4, v[2:3], off
	s_waitcnt vmcnt(0)
	v_cvt_f32_f16_e32 v4, v4
.LBB134_2665:
	s_waitcnt vmcnt(0)
	v_mov_b32_e32 v5, 0
.LBB134_2666:
	s_mov_b64 s[0:1], 0
.LBB134_2667:
	s_andn2_b64 vcc, exec, s[0:1]
	s_cbranch_vccnz .LBB134_2688
; %bb.2668:
	s_cmp_lt_i32 s2, 2
	s_cbranch_scc1 .LBB134_2672
; %bb.2669:
	s_cmp_lt_i32 s2, 3
	s_cbranch_scc1 .LBB134_2673
; %bb.2670:
	s_cmp_gt_i32 s2, 3
	s_cbranch_scc0 .LBB134_2674
; %bb.2671:
	global_load_dwordx2 v[4:5], v[2:3], off
	s_mov_b64 s[0:1], 0
	s_waitcnt vmcnt(0)
	v_xor_b32_e32 v8, v4, v5
	v_ffbh_i32_e32 v7, v5
	v_ashrrev_i32_e32 v8, 31, v8
	v_add_u32_e32 v7, -1, v7
	v_add_u32_e32 v8, 32, v8
	v_min_u32_e32 v7, v7, v8
	v_lshlrev_b64 v[4:5], v7, v[4:5]
	v_min_u32_e32 v4, 1, v4
	v_or_b32_e32 v4, v5, v4
	v_cvt_f32_i32_e32 v4, v4
	v_sub_u32_e32 v5, 32, v7
	v_ldexp_f32 v4, v4, v5
	s_branch .LBB134_2675
.LBB134_2672:
	s_mov_b64 s[0:1], -1
                                        ; implicit-def: $vgpr4
	s_branch .LBB134_2681
.LBB134_2673:
	s_mov_b64 s[0:1], -1
                                        ; implicit-def: $vgpr4
	s_branch .LBB134_2678
.LBB134_2674:
	s_mov_b64 s[0:1], -1
                                        ; implicit-def: $vgpr4
.LBB134_2675:
	s_andn2_b64 vcc, exec, s[0:1]
	s_cbranch_vccnz .LBB134_2677
; %bb.2676:
	global_load_dword v4, v[2:3], off
	s_waitcnt vmcnt(0)
	v_cvt_f32_i32_e32 v4, v4
.LBB134_2677:
	s_mov_b64 s[0:1], 0
.LBB134_2678:
	s_andn2_b64 vcc, exec, s[0:1]
	s_cbranch_vccnz .LBB134_2680
; %bb.2679:
	global_load_sshort v4, v[2:3], off
	s_waitcnt vmcnt(0)
	v_cvt_f32_i32_e32 v4, v4
.LBB134_2680:
	s_mov_b64 s[0:1], 0
.LBB134_2681:
	s_andn2_b64 vcc, exec, s[0:1]
	s_cbranch_vccnz .LBB134_2687
; %bb.2682:
	s_cmp_gt_i32 s2, 0
	s_cbranch_scc0 .LBB134_2684
; %bb.2683:
	global_load_sbyte v4, v[2:3], off
	s_mov_b64 s[0:1], 0
	s_waitcnt vmcnt(0)
	v_cvt_f32_i32_e32 v4, v4
	s_branch .LBB134_2685
.LBB134_2684:
	s_mov_b64 s[0:1], -1
                                        ; implicit-def: $vgpr4
.LBB134_2685:
	s_andn2_b64 vcc, exec, s[0:1]
	s_cbranch_vccnz .LBB134_2687
; %bb.2686:
	global_load_ubyte v2, v[2:3], off
	s_waitcnt vmcnt(0)
	v_cvt_f32_ubyte0_e32 v4, v2
.LBB134_2687:
	s_waitcnt vmcnt(0)
	v_mov_b32_e32 v5, 0
.LBB134_2688:
	s_mov_b64 s[10:11], -1
.LBB134_2689:
	s_andn2_b64 vcc, exec, s[10:11]
	s_cbranch_vccnz .LBB134_2692
; %bb.2690:
	s_and_b64 vcc, exec, s[20:21]
	s_cbranch_vccz .LBB134_2738
; %bb.2691:
	s_waitcnt vmcnt(0)
	v_cmp_neq_f32_e32 vcc, v0, v4
	v_cmp_neq_f32_e64 s[0:1], v1, v5
	s_or_b64 s[20:21], vcc, s[0:1]
	s_mov_b64 s[0:1], 0
	s_branch .LBB134_2739
.LBB134_2692:
	s_mov_b64 s[0:1], 0
                                        ; implicit-def: $sgpr20_sgpr21
.LBB134_2693:
                                        ; implicit-def: $sgpr28
                                        ; implicit-def: $vgpr0_vgpr1
	s_mov_b64 s[2:3], 0
.LBB134_2694:
	s_and_b64 s[4:5], s[2:3], exec
	s_andn2_b64 s[2:3], s[16:17], exec
	s_and_b64 s[8:9], s[18:19], exec
	s_and_b64 s[0:1], s[0:1], exec
	s_or_b64 s[16:17], s[2:3], s[8:9]
.LBB134_2695:
	s_or_b64 exec, exec, s[6:7]
	s_and_saveexec_b64 s[2:3], s[16:17]
	s_cbranch_execz .LBB134_2698
; %bb.2696:
	; divergent unreachable
	s_or_b64 exec, exec, s[2:3]
	s_and_saveexec_b64 s[2:3], s[4:5]
	s_xor_b64 s[2:3], exec, s[2:3]
	s_cbranch_execnz .LBB134_2699
.LBB134_2697:
	s_or_b64 exec, exec, s[2:3]
	s_and_saveexec_b64 s[2:3], s[0:1]
	s_cbranch_execnz .LBB134_2700
	s_branch .LBB134_2737
.LBB134_2698:
	s_or_b64 exec, exec, s[2:3]
	s_and_saveexec_b64 s[2:3], s[4:5]
	s_xor_b64 s[2:3], exec, s[2:3]
	s_cbranch_execz .LBB134_2697
.LBB134_2699:
	v_cndmask_b32_e64 v2, 0, 1, s[20:21]
	s_waitcnt vmcnt(0)
	global_store_byte v[0:1], v2, off
	s_or_b64 exec, exec, s[2:3]
	s_and_saveexec_b64 s[2:3], s[0:1]
	s_cbranch_execz .LBB134_2737
.LBB134_2700:
	s_sext_i32_i16 s2, s28
	s_cmp_lt_i32 s2, 5
	s_mov_b64 s[0:1], -1
	s_cbranch_scc1 .LBB134_2721
; %bb.2701:
	s_cmp_lt_i32 s2, 8
	s_cbranch_scc1 .LBB134_2711
; %bb.2702:
	s_cmp_lt_i32 s2, 9
	s_cbranch_scc1 .LBB134_2708
; %bb.2703:
	s_cmp_gt_i32 s2, 9
	s_cbranch_scc0 .LBB134_2705
; %bb.2704:
	v_cndmask_b32_e64 v2, 0, 1, s[20:21]
	v_cvt_f64_u32_e32 v[2:3], v2
	s_waitcnt vmcnt(0)
	v_mov_b32_e32 v4, 0
	v_mov_b32_e32 v5, v4
	s_mov_b64 s[0:1], 0
	global_store_dwordx4 v[0:1], v[2:5], off
.LBB134_2705:
	s_andn2_b64 vcc, exec, s[0:1]
	s_cbranch_vccnz .LBB134_2707
; %bb.2706:
	v_cndmask_b32_e64 v2, 0, 1.0, s[20:21]
	v_mov_b32_e32 v3, 0
	s_waitcnt vmcnt(0)
	global_store_dwordx2 v[0:1], v[2:3], off
.LBB134_2707:
	s_mov_b64 s[0:1], 0
.LBB134_2708:
	s_andn2_b64 vcc, exec, s[0:1]
	s_cbranch_vccnz .LBB134_2710
; %bb.2709:
	v_cndmask_b32_e64 v2, 0, 1.0, s[20:21]
	v_cvt_f16_f32_e32 v2, v2
	s_waitcnt vmcnt(0)
	global_store_dword v[0:1], v2, off
.LBB134_2710:
	s_mov_b64 s[0:1], 0
.LBB134_2711:
	s_andn2_b64 vcc, exec, s[0:1]
	s_cbranch_vccnz .LBB134_2720
; %bb.2712:
	s_sext_i32_i16 s2, s28
	s_cmp_lt_i32 s2, 6
	s_mov_b64 s[0:1], -1
	s_cbranch_scc1 .LBB134_2718
; %bb.2713:
	s_cmp_gt_i32 s2, 6
	s_cbranch_scc0 .LBB134_2715
; %bb.2714:
	v_cndmask_b32_e64 v2, 0, 1, s[20:21]
	v_cvt_f64_u32_e32 v[2:3], v2
	s_mov_b64 s[0:1], 0
	s_waitcnt vmcnt(0)
	global_store_dwordx2 v[0:1], v[2:3], off
.LBB134_2715:
	s_andn2_b64 vcc, exec, s[0:1]
	s_cbranch_vccnz .LBB134_2717
; %bb.2716:
	v_cndmask_b32_e64 v2, 0, 1.0, s[20:21]
	s_waitcnt vmcnt(0)
	global_store_dword v[0:1], v2, off
.LBB134_2717:
	s_mov_b64 s[0:1], 0
.LBB134_2718:
	s_andn2_b64 vcc, exec, s[0:1]
	s_cbranch_vccnz .LBB134_2720
; %bb.2719:
	v_cndmask_b32_e64 v2, 0, 1.0, s[20:21]
	v_cvt_f16_f32_e32 v2, v2
	s_waitcnt vmcnt(0)
	global_store_short v[0:1], v2, off
.LBB134_2720:
	s_mov_b64 s[0:1], 0
.LBB134_2721:
	s_andn2_b64 vcc, exec, s[0:1]
	s_cbranch_vccnz .LBB134_2737
; %bb.2722:
	s_sext_i32_i16 s2, s28
	s_cmp_lt_i32 s2, 2
	s_mov_b64 s[0:1], -1
	s_cbranch_scc1 .LBB134_2732
; %bb.2723:
	s_cmp_lt_i32 s2, 3
	s_cbranch_scc1 .LBB134_2729
; %bb.2724:
	s_cmp_gt_i32 s2, 3
	s_cbranch_scc0 .LBB134_2726
; %bb.2725:
	s_mov_b32 s0, 0
	v_cndmask_b32_e64 v2, 0, 1, s[20:21]
	v_mov_b32_e32 v3, s0
	s_waitcnt vmcnt(0)
	global_store_dwordx2 v[0:1], v[2:3], off
	s_mov_b64 s[0:1], 0
.LBB134_2726:
	s_andn2_b64 vcc, exec, s[0:1]
	s_cbranch_vccnz .LBB134_2728
; %bb.2727:
	v_cndmask_b32_e64 v2, 0, 1, s[20:21]
	s_waitcnt vmcnt(0)
	global_store_dword v[0:1], v2, off
.LBB134_2728:
	s_mov_b64 s[0:1], 0
.LBB134_2729:
	s_andn2_b64 vcc, exec, s[0:1]
	s_cbranch_vccnz .LBB134_2731
; %bb.2730:
	v_cndmask_b32_e64 v2, 0, 1, s[20:21]
	s_waitcnt vmcnt(0)
	global_store_short v[0:1], v2, off
.LBB134_2731:
	s_mov_b64 s[0:1], 0
.LBB134_2732:
	s_andn2_b64 vcc, exec, s[0:1]
	s_cbranch_vccnz .LBB134_2737
; %bb.2733:
	s_sext_i32_i16 s2, s28
	s_mov_b64 s[0:1], -1
	s_cmp_gt_i32 s2, 0
	v_cndmask_b32_e64 v2, 0, 1, s[20:21]
	s_cbranch_scc0 .LBB134_2735
; %bb.2734:
	s_waitcnt vmcnt(0)
	global_store_byte v[0:1], v2, off
	s_mov_b64 s[0:1], 0
.LBB134_2735:
	s_andn2_b64 vcc, exec, s[0:1]
	s_cbranch_vccnz .LBB134_2737
; %bb.2736:
	s_waitcnt vmcnt(0)
	global_store_byte v[0:1], v2, off
	s_endpgm
.LBB134_2737:
	s_endpgm
.LBB134_2738:
	s_mov_b64 s[0:1], -1
                                        ; implicit-def: $sgpr20_sgpr21
.LBB134_2739:
	s_andn2_b64 vcc, exec, s[0:1]
	s_cbranch_vccnz .LBB134_2741
; %bb.2740:
	s_waitcnt vmcnt(0)
	v_cmp_eq_f32_e32 vcc, v0, v4
	v_cmp_eq_f32_e64 s[0:1], v1, v5
	s_and_b64 s[0:1], vcc, s[0:1]
	s_andn2_b64 s[2:3], s[20:21], exec
	s_and_b64 s[0:1], s[0:1], exec
	s_or_b64 s[20:21], s[2:3], s[0:1]
.LBB134_2741:
	v_mul_lo_u32 v2, s12, v6
	s_waitcnt vmcnt(0)
	v_mov_b32_e32 v1, s9
	s_and_b32 s28, s33, 0xff
	s_cmp_lt_i32 s28, 11
	v_ashrrev_i32_e32 v3, 31, v2
	v_add_co_u32_e32 v0, vcc, s8, v2
	v_addc_co_u32_e32 v1, vcc, v1, v3, vcc
	s_cbranch_scc1 .LBB134_2819
; %bb.2742:
	s_and_b32 s13, 0xffff, s28
	s_mov_b64 s[24:25], -1
	s_mov_b64 s[2:3], 0
	s_cmp_gt_i32 s13, 25
	s_mov_b64 s[10:11], 0
	s_mov_b64 s[0:1], 0
	s_cbranch_scc0 .LBB134_2775
; %bb.2743:
	s_cmp_gt_i32 s13, 28
	s_cbranch_scc0 .LBB134_2758
; %bb.2744:
	s_cmp_gt_i32 s13, 43
	;; [unrolled: 3-line block ×3, first 2 shown]
	s_cbranch_scc0 .LBB134_2748
; %bb.2746:
	s_mov_b64 s[0:1], -1
	s_mov_b64 s[24:25], 0
	s_cmp_eq_u32 s13, 46
	s_cbranch_scc0 .LBB134_2748
; %bb.2747:
	v_cndmask_b32_e64 v3, 0, 1.0, s[4:5]
	v_bfe_u32 v4, v3, 16, 1
	s_movk_i32 s0, 0x7fff
	v_add3_u32 v3, v3, v4, s0
	v_lshrrev_b32_e32 v3, 16, v3
	global_store_dword v[0:1], v3, off
	s_mov_b64 s[0:1], 0
	s_mov_b64 s[10:11], -1
.LBB134_2748:
	s_and_b64 vcc, exec, s[24:25]
	s_cbranch_vccz .LBB134_2753
; %bb.2749:
	s_cmp_eq_u32 s13, 44
	s_mov_b64 s[0:1], -1
	s_cbranch_scc0 .LBB134_2753
; %bb.2750:
	v_cndmask_b32_e64 v4, 0, 1.0, s[4:5]
	v_lshrrev_b32_e32 v3, 23, v4
	s_movk_i32 s0, 0xff
	v_cmp_ne_u32_e32 vcc, s0, v3
	v_mov_b32_e32 v5, 0xff
	s_and_saveexec_b64 s[10:11], vcc
; %bb.2751:
	s_mov_b32 s0, 0x3fffff
	v_and_b32_e32 v5, 0x400000, v4
	v_and_or_b32 v4, v4, s0, v3
	v_cmp_ne_u32_e32 vcc, 0, v5
	v_cmp_ne_u32_e64 s[0:1], 0, v4
	s_and_b64 s[0:1], vcc, s[0:1]
	v_cndmask_b32_e64 v4, 0, 1, s[0:1]
	v_add_u32_e32 v5, v3, v4
; %bb.2752:
	s_or_b64 exec, exec, s[10:11]
	s_mov_b64 s[0:1], 0
	s_mov_b64 s[10:11], -1
	global_store_byte v[0:1], v5, off
.LBB134_2753:
	s_mov_b64 s[24:25], 0
.LBB134_2754:
	s_and_b64 vcc, exec, s[24:25]
	s_cbranch_vccz .LBB134_2757
; %bb.2755:
	s_cmp_eq_u32 s13, 29
	s_mov_b64 s[0:1], -1
	s_cbranch_scc0 .LBB134_2757
; %bb.2756:
	s_mov_b32 s0, 0
	v_cndmask_b32_e64 v3, 0, 1, s[4:5]
	v_mov_b32_e32 v4, s0
	global_store_dwordx2 v[0:1], v[3:4], off
	s_mov_b64 s[0:1], 0
	s_mov_b64 s[10:11], -1
.LBB134_2757:
	s_mov_b64 s[24:25], 0
.LBB134_2758:
	s_and_b64 vcc, exec, s[24:25]
	s_cbranch_vccz .LBB134_2774
; %bb.2759:
	s_cmp_lt_i32 s13, 27
	s_mov_b64 s[10:11], -1
	s_cbranch_scc1 .LBB134_2765
; %bb.2760:
	s_cmp_gt_i32 s13, 27
	s_cbranch_scc0 .LBB134_2762
; %bb.2761:
	v_cndmask_b32_e64 v3, 0, 1, s[4:5]
	s_mov_b64 s[10:11], 0
	global_store_dword v[0:1], v3, off
.LBB134_2762:
	s_andn2_b64 vcc, exec, s[10:11]
	s_cbranch_vccnz .LBB134_2764
; %bb.2763:
	v_cndmask_b32_e64 v3, 0, 1, s[4:5]
	global_store_short v[0:1], v3, off
.LBB134_2764:
	s_mov_b64 s[10:11], 0
.LBB134_2765:
	s_andn2_b64 vcc, exec, s[10:11]
	s_cbranch_vccnz .LBB134_2773
; %bb.2766:
	v_cndmask_b32_e64 v4, 0, 1.0, s[4:5]
	s_mov_b32 s10, 0x43800000
	v_cmp_gt_u32_e32 vcc, s10, v4
	v_mov_b32_e32 v5, 0x80
	s_and_saveexec_b64 s[10:11], vcc
	s_cbranch_execz .LBB134_2772
; %bb.2767:
	s_mov_b32 s24, 0x3bffffff
	v_cmp_lt_u32_e32 vcc, s24, v4
	s_mov_b64 s[24:25], 0
                                        ; implicit-def: $vgpr3
	s_and_saveexec_b64 s[26:27], vcc
	s_xor_b64 s[26:27], exec, s[26:27]
	s_cbranch_execz .LBB134_3176
; %bb.2768:
	v_bfe_u32 v3, v4, 20, 1
	s_mov_b32 s29, 0x487ffff
	v_add3_u32 v3, v4, v3, s29
	s_mov_b64 s[24:25], exec
	v_lshrrev_b32_e32 v3, 20, v3
                                        ; implicit-def: $vgpr4
	s_andn2_saveexec_b64 s[26:27], s[26:27]
	s_cbranch_execnz .LBB134_3177
.LBB134_2769:
	s_or_b64 exec, exec, s[26:27]
	v_mov_b32_e32 v5, 0
	s_and_saveexec_b64 s[26:27], s[24:25]
.LBB134_2770:
	v_mov_b32_e32 v5, v3
.LBB134_2771:
	s_or_b64 exec, exec, s[26:27]
.LBB134_2772:
	s_or_b64 exec, exec, s[10:11]
	global_store_byte v[0:1], v5, off
.LBB134_2773:
	s_mov_b64 s[10:11], -1
.LBB134_2774:
	s_mov_b64 s[24:25], 0
.LBB134_2775:
	s_and_b64 vcc, exec, s[24:25]
	s_cbranch_vccz .LBB134_2815
; %bb.2776:
	s_cmp_gt_i32 s13, 22
	s_mov_b64 s[2:3], -1
	s_cbranch_scc0 .LBB134_2808
; %bb.2777:
	s_cmp_lt_i32 s13, 24
	s_cbranch_scc1 .LBB134_2797
; %bb.2778:
	s_cmp_gt_i32 s13, 24
	s_cbranch_scc0 .LBB134_2786
; %bb.2779:
	v_cndmask_b32_e64 v4, 0, 1.0, s[4:5]
	s_mov_b32 s2, 0x47800000
	v_cmp_gt_u32_e32 vcc, s2, v4
	v_mov_b32_e32 v5, 0x80
	s_and_saveexec_b64 s[2:3], vcc
	s_cbranch_execz .LBB134_2785
; %bb.2780:
	s_mov_b32 s10, 0x37ffffff
	v_cmp_lt_u32_e32 vcc, s10, v4
	s_mov_b64 s[10:11], 0
                                        ; implicit-def: $vgpr3
	s_and_saveexec_b64 s[24:25], vcc
	s_xor_b64 s[24:25], exec, s[24:25]
	s_cbranch_execz .LBB134_3179
; %bb.2781:
	v_bfe_u32 v3, v4, 21, 1
	s_mov_b32 s26, 0x88fffff
	v_add3_u32 v3, v4, v3, s26
	s_mov_b64 s[10:11], exec
	v_lshrrev_b32_e32 v3, 21, v3
                                        ; implicit-def: $vgpr4
	s_andn2_saveexec_b64 s[24:25], s[24:25]
	s_cbranch_execnz .LBB134_3180
.LBB134_2782:
	s_or_b64 exec, exec, s[24:25]
	v_mov_b32_e32 v5, 0
	s_and_saveexec_b64 s[24:25], s[10:11]
.LBB134_2783:
	v_mov_b32_e32 v5, v3
.LBB134_2784:
	s_or_b64 exec, exec, s[24:25]
.LBB134_2785:
	s_or_b64 exec, exec, s[2:3]
	s_mov_b64 s[2:3], 0
	global_store_byte v[0:1], v5, off
.LBB134_2786:
	s_and_b64 vcc, exec, s[2:3]
	s_cbranch_vccz .LBB134_2796
; %bb.2787:
	v_cndmask_b32_e64 v3, 0, 1.0, s[4:5]
	s_mov_b32 s2, 0x43f00000
	v_cmp_gt_u32_e32 vcc, s2, v3
                                        ; implicit-def: $vgpr4
	s_and_saveexec_b64 s[2:3], vcc
	s_xor_b64 s[2:3], exec, s[2:3]
	s_cbranch_execz .LBB134_2793
; %bb.2788:
	s_mov_b32 s10, 0x3c7fffff
	v_cmp_lt_u32_e32 vcc, s10, v3
                                        ; implicit-def: $vgpr4
	s_and_saveexec_b64 s[10:11], vcc
	s_xor_b64 s[10:11], exec, s[10:11]
; %bb.2789:
	v_bfe_u32 v4, v3, 20, 1
	s_mov_b32 s24, 0x407ffff
	v_add3_u32 v3, v3, v4, s24
	v_lshrrev_b32_e32 v4, 20, v3
	v_and_b32_e32 v3, 0xff00000, v3
	s_mov_b32 s24, 0x7f00000
	v_mov_b32_e32 v5, 0x7e
	v_cmp_ne_u32_e32 vcc, s24, v3
	v_cndmask_b32_e32 v4, v5, v4, vcc
                                        ; implicit-def: $vgpr3
; %bb.2790:
	s_andn2_saveexec_b64 s[10:11], s[10:11]
; %bb.2791:
	v_add_f32_e32 v4, 0x46800000, v3
; %bb.2792:
	s_or_b64 exec, exec, s[10:11]
                                        ; implicit-def: $vgpr3
.LBB134_2793:
	s_andn2_saveexec_b64 s[2:3], s[2:3]
; %bb.2794:
	s_mov_b32 s10, 0x7f800000
	v_mov_b32_e32 v4, 0x7e
	v_mov_b32_e32 v5, 0x7f
	v_cmp_lt_u32_e32 vcc, s10, v3
	v_cndmask_b32_e32 v4, v4, v5, vcc
; %bb.2795:
	s_or_b64 exec, exec, s[2:3]
	global_store_byte v[0:1], v4, off
.LBB134_2796:
	s_mov_b64 s[2:3], 0
.LBB134_2797:
	s_andn2_b64 vcc, exec, s[2:3]
	s_cbranch_vccnz .LBB134_2807
; %bb.2798:
	v_cndmask_b32_e64 v3, 0, 1.0, s[4:5]
	s_mov_b32 s2, 0x47800000
	v_cmp_gt_u32_e32 vcc, s2, v3
                                        ; implicit-def: $vgpr4
	s_and_saveexec_b64 s[2:3], vcc
	s_xor_b64 s[2:3], exec, s[2:3]
	s_cbranch_execz .LBB134_2804
; %bb.2799:
	s_mov_b32 s10, 0x387fffff
	v_cmp_lt_u32_e32 vcc, s10, v3
                                        ; implicit-def: $vgpr4
	s_and_saveexec_b64 s[10:11], vcc
	s_xor_b64 s[10:11], exec, s[10:11]
; %bb.2800:
	v_bfe_u32 v4, v3, 21, 1
	s_mov_b32 s24, 0x80fffff
	v_add3_u32 v3, v3, v4, s24
	v_lshrrev_b32_e32 v4, 21, v3
                                        ; implicit-def: $vgpr3
; %bb.2801:
	s_andn2_saveexec_b64 s[10:11], s[10:11]
; %bb.2802:
	v_add_f32_e32 v4, 0x43000000, v3
; %bb.2803:
	s_or_b64 exec, exec, s[10:11]
                                        ; implicit-def: $vgpr3
.LBB134_2804:
	s_andn2_saveexec_b64 s[2:3], s[2:3]
; %bb.2805:
	s_mov_b32 s10, 0x7f800000
	v_mov_b32_e32 v4, 0x7c
	v_mov_b32_e32 v5, 0x7f
	v_cmp_lt_u32_e32 vcc, s10, v3
	v_cndmask_b32_e32 v4, v4, v5, vcc
; %bb.2806:
	s_or_b64 exec, exec, s[2:3]
	global_store_byte v[0:1], v4, off
.LBB134_2807:
	s_mov_b64 s[2:3], 0
	s_mov_b64 s[10:11], -1
.LBB134_2808:
	s_andn2_b64 vcc, exec, s[2:3]
	s_mov_b64 s[2:3], 0
	s_cbranch_vccnz .LBB134_2815
; %bb.2809:
	s_cmp_gt_i32 s13, 14
	s_mov_b64 s[24:25], -1
	s_cbranch_scc0 .LBB134_2813
; %bb.2810:
	s_cmp_eq_u32 s13, 15
	s_mov_b64 s[0:1], -1
	s_cbranch_scc0 .LBB134_2812
; %bb.2811:
	v_cndmask_b32_e64 v3, 0, 1.0, s[4:5]
	v_bfe_u32 v4, v3, 16, 1
	s_movk_i32 s0, 0x7fff
	v_add3_u32 v3, v3, v4, s0
	global_store_short_d16_hi v[0:1], v3, off
	s_mov_b64 s[0:1], 0
	s_mov_b64 s[10:11], -1
.LBB134_2812:
	s_mov_b64 s[24:25], 0
.LBB134_2813:
	s_and_b64 vcc, exec, s[24:25]
	s_cbranch_vccz .LBB134_2815
; %bb.2814:
	s_cmp_lg_u32 s13, 11
	s_mov_b64 s[2:3], -1
	s_cselect_b64 s[0:1], -1, 0
.LBB134_2815:
	s_and_b64 vcc, exec, s[0:1]
	s_cbranch_vccnz .LBB134_3178
; %bb.2816:
	s_andn2_b64 vcc, exec, s[2:3]
	s_cbranch_vccnz .LBB134_2818
.LBB134_2817:
	v_cndmask_b32_e64 v3, 0, 1, s[4:5]
	s_mov_b64 s[10:11], -1
	global_store_byte v[0:1], v3, off
.LBB134_2818:
	s_mov_b64 s[0:1], 0
	s_branch .LBB134_2820
.LBB134_2819:
	s_mov_b64 s[0:1], -1
	s_mov_b64 s[10:11], 0
.LBB134_2820:
	s_and_b64 vcc, exec, s[0:1]
	s_cbranch_vccz .LBB134_2859
; %bb.2821:
	s_and_b32 s2, 0xffff, s28
	s_cmp_lt_i32 s2, 5
	s_mov_b64 s[0:1], -1
	s_cbranch_scc1 .LBB134_2842
; %bb.2822:
	s_cmp_lt_i32 s2, 8
	s_cbranch_scc1 .LBB134_2832
; %bb.2823:
	s_cmp_lt_i32 s2, 9
	s_cbranch_scc1 .LBB134_2829
; %bb.2824:
	s_cmp_gt_i32 s2, 9
	s_cbranch_scc0 .LBB134_2826
; %bb.2825:
	v_cndmask_b32_e64 v3, 0, 1, s[4:5]
	v_cvt_f64_u32_e32 v[3:4], v3
	v_mov_b32_e32 v5, 0
	v_mov_b32_e32 v6, v5
	s_mov_b64 s[0:1], 0
	global_store_dwordx4 v[0:1], v[3:6], off
.LBB134_2826:
	s_andn2_b64 vcc, exec, s[0:1]
	s_cbranch_vccnz .LBB134_2828
; %bb.2827:
	v_cndmask_b32_e64 v3, 0, 1.0, s[4:5]
	v_mov_b32_e32 v4, 0
	global_store_dwordx2 v[0:1], v[3:4], off
.LBB134_2828:
	s_mov_b64 s[0:1], 0
.LBB134_2829:
	s_andn2_b64 vcc, exec, s[0:1]
	s_cbranch_vccnz .LBB134_2831
; %bb.2830:
	v_cndmask_b32_e64 v3, 0, 1.0, s[4:5]
	v_cvt_f16_f32_e32 v3, v3
	global_store_dword v[0:1], v3, off
.LBB134_2831:
	s_mov_b64 s[0:1], 0
.LBB134_2832:
	s_andn2_b64 vcc, exec, s[0:1]
	s_cbranch_vccnz .LBB134_2841
; %bb.2833:
	s_cmp_lt_i32 s2, 6
	s_mov_b64 s[0:1], -1
	s_cbranch_scc1 .LBB134_2839
; %bb.2834:
	s_cmp_gt_i32 s2, 6
	s_cbranch_scc0 .LBB134_2836
; %bb.2835:
	v_cndmask_b32_e64 v3, 0, 1, s[4:5]
	v_cvt_f64_u32_e32 v[3:4], v3
	s_mov_b64 s[0:1], 0
	global_store_dwordx2 v[0:1], v[3:4], off
.LBB134_2836:
	s_andn2_b64 vcc, exec, s[0:1]
	s_cbranch_vccnz .LBB134_2838
; %bb.2837:
	v_cndmask_b32_e64 v3, 0, 1.0, s[4:5]
	global_store_dword v[0:1], v3, off
.LBB134_2838:
	s_mov_b64 s[0:1], 0
.LBB134_2839:
	s_andn2_b64 vcc, exec, s[0:1]
	s_cbranch_vccnz .LBB134_2841
; %bb.2840:
	v_cndmask_b32_e64 v3, 0, 1.0, s[4:5]
	v_cvt_f16_f32_e32 v3, v3
	global_store_short v[0:1], v3, off
.LBB134_2841:
	s_mov_b64 s[0:1], 0
.LBB134_2842:
	s_andn2_b64 vcc, exec, s[0:1]
	s_cbranch_vccnz .LBB134_2858
; %bb.2843:
	s_cmp_lt_i32 s2, 2
	s_mov_b64 s[0:1], -1
	s_cbranch_scc1 .LBB134_2853
; %bb.2844:
	s_cmp_lt_i32 s2, 3
	s_cbranch_scc1 .LBB134_2850
; %bb.2845:
	s_cmp_gt_i32 s2, 3
	s_cbranch_scc0 .LBB134_2847
; %bb.2846:
	s_mov_b32 s0, 0
	v_cndmask_b32_e64 v3, 0, 1, s[4:5]
	v_mov_b32_e32 v4, s0
	global_store_dwordx2 v[0:1], v[3:4], off
	s_mov_b64 s[0:1], 0
.LBB134_2847:
	s_andn2_b64 vcc, exec, s[0:1]
	s_cbranch_vccnz .LBB134_2849
; %bb.2848:
	v_cndmask_b32_e64 v3, 0, 1, s[4:5]
	global_store_dword v[0:1], v3, off
.LBB134_2849:
	s_mov_b64 s[0:1], 0
.LBB134_2850:
	s_andn2_b64 vcc, exec, s[0:1]
	s_cbranch_vccnz .LBB134_2852
; %bb.2851:
	v_cndmask_b32_e64 v3, 0, 1, s[4:5]
	global_store_short v[0:1], v3, off
.LBB134_2852:
	s_mov_b64 s[0:1], 0
.LBB134_2853:
	s_andn2_b64 vcc, exec, s[0:1]
	s_cbranch_vccnz .LBB134_2858
; %bb.2854:
	s_mov_b64 s[0:1], -1
	s_cmp_gt_i32 s2, 0
	v_cndmask_b32_e64 v3, 0, 1, s[4:5]
	s_cbranch_scc0 .LBB134_2856
; %bb.2855:
	global_store_byte v[0:1], v3, off
	s_mov_b64 s[0:1], 0
.LBB134_2856:
	s_andn2_b64 vcc, exec, s[0:1]
	s_cbranch_vccnz .LBB134_2858
; %bb.2857:
	global_store_byte v[0:1], v3, off
.LBB134_2858:
	s_mov_b64 s[10:11], -1
.LBB134_2859:
	s_andn2_b64 vcc, exec, s[10:11]
	s_cbranch_vccnz .LBB134_3174
; %bb.2860:
	s_lshl_b32 s24, s12, 7
	v_add_u32_e32 v2, s24, v2
	v_ashrrev_i32_e32 v1, 31, v2
	v_mov_b32_e32 v3, s9
	v_add_co_u32_e32 v0, vcc, s8, v2
	s_cmp_lt_i32 s28, 11
	v_addc_co_u32_e32 v1, vcc, v3, v1, vcc
	s_cbranch_scc1 .LBB134_2938
; %bb.2861:
	s_and_b32 s25, 0xffff, s28
	s_mov_b64 s[10:11], -1
	s_mov_b64 s[2:3], 0
	s_cmp_gt_i32 s25, 25
	s_mov_b64 s[4:5], 0
	s_mov_b64 s[0:1], 0
	s_cbranch_scc0 .LBB134_2894
; %bb.2862:
	s_cmp_gt_i32 s25, 28
	s_cbranch_scc0 .LBB134_2877
; %bb.2863:
	s_cmp_gt_i32 s25, 43
	s_cbranch_scc0 .LBB134_2873
; %bb.2864:
	s_cmp_gt_i32 s25, 45
	s_cbranch_scc0 .LBB134_2867
; %bb.2865:
	s_mov_b64 s[0:1], -1
	s_mov_b64 s[10:11], 0
	s_cmp_eq_u32 s25, 46
	s_cbranch_scc0 .LBB134_2867
; %bb.2866:
	v_cndmask_b32_e64 v3, 0, 1.0, s[14:15]
	v_bfe_u32 v4, v3, 16, 1
	s_movk_i32 s0, 0x7fff
	v_add3_u32 v3, v3, v4, s0
	v_lshrrev_b32_e32 v3, 16, v3
	global_store_dword v[0:1], v3, off
	s_mov_b64 s[0:1], 0
	s_mov_b64 s[4:5], -1
.LBB134_2867:
	s_and_b64 vcc, exec, s[10:11]
	s_cbranch_vccz .LBB134_2872
; %bb.2868:
	s_cmp_eq_u32 s25, 44
	s_mov_b64 s[0:1], -1
	s_cbranch_scc0 .LBB134_2872
; %bb.2869:
	v_cndmask_b32_e64 v4, 0, 1.0, s[14:15]
	v_lshrrev_b32_e32 v3, 23, v4
	s_movk_i32 s0, 0xff
	v_cmp_ne_u32_e32 vcc, s0, v3
	v_mov_b32_e32 v5, 0xff
	s_and_saveexec_b64 s[4:5], vcc
; %bb.2870:
	s_mov_b32 s0, 0x3fffff
	v_and_b32_e32 v5, 0x400000, v4
	v_and_or_b32 v4, v4, s0, v3
	v_cmp_ne_u32_e32 vcc, 0, v5
	v_cmp_ne_u32_e64 s[0:1], 0, v4
	s_and_b64 s[0:1], vcc, s[0:1]
	v_cndmask_b32_e64 v4, 0, 1, s[0:1]
	v_add_u32_e32 v5, v3, v4
; %bb.2871:
	s_or_b64 exec, exec, s[4:5]
	s_mov_b64 s[0:1], 0
	s_mov_b64 s[4:5], -1
	global_store_byte v[0:1], v5, off
.LBB134_2872:
	s_mov_b64 s[10:11], 0
.LBB134_2873:
	s_and_b64 vcc, exec, s[10:11]
	s_cbranch_vccz .LBB134_2876
; %bb.2874:
	s_cmp_eq_u32 s25, 29
	s_mov_b64 s[0:1], -1
	s_cbranch_scc0 .LBB134_2876
; %bb.2875:
	s_mov_b32 s0, 0
	v_cndmask_b32_e64 v3, 0, 1, s[14:15]
	v_mov_b32_e32 v4, s0
	global_store_dwordx2 v[0:1], v[3:4], off
	s_mov_b64 s[0:1], 0
	s_mov_b64 s[4:5], -1
.LBB134_2876:
	s_mov_b64 s[10:11], 0
.LBB134_2877:
	s_and_b64 vcc, exec, s[10:11]
	s_cbranch_vccz .LBB134_2893
; %bb.2878:
	s_cmp_lt_i32 s25, 27
	s_mov_b64 s[4:5], -1
	s_cbranch_scc1 .LBB134_2884
; %bb.2879:
	s_cmp_gt_i32 s25, 27
	s_cbranch_scc0 .LBB134_2881
; %bb.2880:
	v_cndmask_b32_e64 v3, 0, 1, s[14:15]
	s_mov_b64 s[4:5], 0
	global_store_dword v[0:1], v3, off
.LBB134_2881:
	s_andn2_b64 vcc, exec, s[4:5]
	s_cbranch_vccnz .LBB134_2883
; %bb.2882:
	v_cndmask_b32_e64 v3, 0, 1, s[14:15]
	global_store_short v[0:1], v3, off
.LBB134_2883:
	s_mov_b64 s[4:5], 0
.LBB134_2884:
	s_andn2_b64 vcc, exec, s[4:5]
	s_cbranch_vccnz .LBB134_2892
; %bb.2885:
	v_cndmask_b32_e64 v4, 0, 1.0, s[14:15]
	s_mov_b32 s4, 0x43800000
	v_cmp_gt_u32_e32 vcc, s4, v4
	v_mov_b32_e32 v5, 0x80
	s_and_saveexec_b64 s[4:5], vcc
	s_cbranch_execz .LBB134_2891
; %bb.2886:
	s_mov_b32 s10, 0x3bffffff
	v_cmp_lt_u32_e32 vcc, s10, v4
	s_mov_b64 s[10:11], 0
                                        ; implicit-def: $vgpr3
	s_and_saveexec_b64 s[12:13], vcc
	s_xor_b64 s[12:13], exec, s[12:13]
	s_cbranch_execz .LBB134_3181
; %bb.2887:
	v_bfe_u32 v3, v4, 20, 1
	s_mov_b32 s26, 0x487ffff
	v_add3_u32 v3, v4, v3, s26
	s_mov_b64 s[10:11], exec
	v_lshrrev_b32_e32 v3, 20, v3
                                        ; implicit-def: $vgpr4
	s_andn2_saveexec_b64 s[12:13], s[12:13]
	s_cbranch_execnz .LBB134_3182
.LBB134_2888:
	s_or_b64 exec, exec, s[12:13]
	v_mov_b32_e32 v5, 0
	s_and_saveexec_b64 s[12:13], s[10:11]
.LBB134_2889:
	v_mov_b32_e32 v5, v3
.LBB134_2890:
	s_or_b64 exec, exec, s[12:13]
.LBB134_2891:
	s_or_b64 exec, exec, s[4:5]
	global_store_byte v[0:1], v5, off
.LBB134_2892:
	s_mov_b64 s[4:5], -1
.LBB134_2893:
	s_mov_b64 s[10:11], 0
.LBB134_2894:
	s_and_b64 vcc, exec, s[10:11]
	s_cbranch_vccz .LBB134_2934
; %bb.2895:
	s_cmp_gt_i32 s25, 22
	s_mov_b64 s[2:3], -1
	s_cbranch_scc0 .LBB134_2927
; %bb.2896:
	s_cmp_lt_i32 s25, 24
	s_cbranch_scc1 .LBB134_2916
; %bb.2897:
	s_cmp_gt_i32 s25, 24
	s_cbranch_scc0 .LBB134_2905
; %bb.2898:
	v_cndmask_b32_e64 v4, 0, 1.0, s[14:15]
	s_mov_b32 s2, 0x47800000
	v_cmp_gt_u32_e32 vcc, s2, v4
	v_mov_b32_e32 v5, 0x80
	s_and_saveexec_b64 s[2:3], vcc
	s_cbranch_execz .LBB134_2904
; %bb.2899:
	s_mov_b32 s4, 0x37ffffff
	v_cmp_lt_u32_e32 vcc, s4, v4
	s_mov_b64 s[4:5], 0
                                        ; implicit-def: $vgpr3
	s_and_saveexec_b64 s[10:11], vcc
	s_xor_b64 s[10:11], exec, s[10:11]
	s_cbranch_execz .LBB134_3184
; %bb.2900:
	v_bfe_u32 v3, v4, 21, 1
	s_mov_b32 s12, 0x88fffff
	v_add3_u32 v3, v4, v3, s12
	s_mov_b64 s[4:5], exec
	v_lshrrev_b32_e32 v3, 21, v3
                                        ; implicit-def: $vgpr4
	s_andn2_saveexec_b64 s[10:11], s[10:11]
	s_cbranch_execnz .LBB134_3185
.LBB134_2901:
	s_or_b64 exec, exec, s[10:11]
	v_mov_b32_e32 v5, 0
	s_and_saveexec_b64 s[10:11], s[4:5]
.LBB134_2902:
	v_mov_b32_e32 v5, v3
.LBB134_2903:
	s_or_b64 exec, exec, s[10:11]
.LBB134_2904:
	s_or_b64 exec, exec, s[2:3]
	s_mov_b64 s[2:3], 0
	global_store_byte v[0:1], v5, off
.LBB134_2905:
	s_and_b64 vcc, exec, s[2:3]
	s_cbranch_vccz .LBB134_2915
; %bb.2906:
	v_cndmask_b32_e64 v3, 0, 1.0, s[14:15]
	s_mov_b32 s2, 0x43f00000
	v_cmp_gt_u32_e32 vcc, s2, v3
                                        ; implicit-def: $vgpr4
	s_and_saveexec_b64 s[2:3], vcc
	s_xor_b64 s[2:3], exec, s[2:3]
	s_cbranch_execz .LBB134_2912
; %bb.2907:
	s_mov_b32 s4, 0x3c7fffff
	v_cmp_lt_u32_e32 vcc, s4, v3
                                        ; implicit-def: $vgpr4
	s_and_saveexec_b64 s[4:5], vcc
	s_xor_b64 s[4:5], exec, s[4:5]
; %bb.2908:
	v_bfe_u32 v4, v3, 20, 1
	s_mov_b32 s10, 0x407ffff
	v_add3_u32 v3, v3, v4, s10
	v_lshrrev_b32_e32 v4, 20, v3
	v_and_b32_e32 v3, 0xff00000, v3
	s_mov_b32 s10, 0x7f00000
	v_mov_b32_e32 v5, 0x7e
	v_cmp_ne_u32_e32 vcc, s10, v3
	v_cndmask_b32_e32 v4, v5, v4, vcc
                                        ; implicit-def: $vgpr3
; %bb.2909:
	s_andn2_saveexec_b64 s[4:5], s[4:5]
; %bb.2910:
	v_add_f32_e32 v4, 0x46800000, v3
; %bb.2911:
	s_or_b64 exec, exec, s[4:5]
                                        ; implicit-def: $vgpr3
.LBB134_2912:
	s_andn2_saveexec_b64 s[2:3], s[2:3]
; %bb.2913:
	s_mov_b32 s4, 0x7f800000
	v_mov_b32_e32 v4, 0x7e
	v_mov_b32_e32 v5, 0x7f
	v_cmp_lt_u32_e32 vcc, s4, v3
	v_cndmask_b32_e32 v4, v4, v5, vcc
; %bb.2914:
	s_or_b64 exec, exec, s[2:3]
	global_store_byte v[0:1], v4, off
.LBB134_2915:
	s_mov_b64 s[2:3], 0
.LBB134_2916:
	s_andn2_b64 vcc, exec, s[2:3]
	s_cbranch_vccnz .LBB134_2926
; %bb.2917:
	v_cndmask_b32_e64 v3, 0, 1.0, s[14:15]
	s_mov_b32 s2, 0x47800000
	v_cmp_gt_u32_e32 vcc, s2, v3
                                        ; implicit-def: $vgpr4
	s_and_saveexec_b64 s[2:3], vcc
	s_xor_b64 s[2:3], exec, s[2:3]
	s_cbranch_execz .LBB134_2923
; %bb.2918:
	s_mov_b32 s4, 0x387fffff
	v_cmp_lt_u32_e32 vcc, s4, v3
                                        ; implicit-def: $vgpr4
	s_and_saveexec_b64 s[4:5], vcc
	s_xor_b64 s[4:5], exec, s[4:5]
; %bb.2919:
	v_bfe_u32 v4, v3, 21, 1
	s_mov_b32 s10, 0x80fffff
	v_add3_u32 v3, v3, v4, s10
	v_lshrrev_b32_e32 v4, 21, v3
                                        ; implicit-def: $vgpr3
; %bb.2920:
	s_andn2_saveexec_b64 s[4:5], s[4:5]
; %bb.2921:
	v_add_f32_e32 v4, 0x43000000, v3
; %bb.2922:
	s_or_b64 exec, exec, s[4:5]
                                        ; implicit-def: $vgpr3
.LBB134_2923:
	s_andn2_saveexec_b64 s[2:3], s[2:3]
; %bb.2924:
	s_mov_b32 s4, 0x7f800000
	v_mov_b32_e32 v4, 0x7c
	v_mov_b32_e32 v5, 0x7f
	v_cmp_lt_u32_e32 vcc, s4, v3
	v_cndmask_b32_e32 v4, v4, v5, vcc
; %bb.2925:
	s_or_b64 exec, exec, s[2:3]
	global_store_byte v[0:1], v4, off
.LBB134_2926:
	s_mov_b64 s[2:3], 0
	s_mov_b64 s[4:5], -1
.LBB134_2927:
	s_andn2_b64 vcc, exec, s[2:3]
	s_mov_b64 s[2:3], 0
	s_cbranch_vccnz .LBB134_2934
; %bb.2928:
	s_cmp_gt_i32 s25, 14
	s_mov_b64 s[10:11], -1
	s_cbranch_scc0 .LBB134_2932
; %bb.2929:
	s_cmp_eq_u32 s25, 15
	s_mov_b64 s[0:1], -1
	s_cbranch_scc0 .LBB134_2931
; %bb.2930:
	v_cndmask_b32_e64 v3, 0, 1.0, s[14:15]
	v_bfe_u32 v4, v3, 16, 1
	s_movk_i32 s0, 0x7fff
	v_add3_u32 v3, v3, v4, s0
	global_store_short_d16_hi v[0:1], v3, off
	s_mov_b64 s[0:1], 0
	s_mov_b64 s[4:5], -1
.LBB134_2931:
	s_mov_b64 s[10:11], 0
.LBB134_2932:
	s_and_b64 vcc, exec, s[10:11]
	s_cbranch_vccz .LBB134_2934
; %bb.2933:
	s_cmp_lg_u32 s25, 11
	s_mov_b64 s[2:3], -1
	s_cselect_b64 s[0:1], -1, 0
.LBB134_2934:
	s_and_b64 vcc, exec, s[0:1]
	s_cbranch_vccnz .LBB134_3183
; %bb.2935:
	s_andn2_b64 vcc, exec, s[2:3]
	s_cbranch_vccnz .LBB134_2937
.LBB134_2936:
	v_cndmask_b32_e64 v3, 0, 1, s[14:15]
	s_mov_b64 s[4:5], -1
	global_store_byte v[0:1], v3, off
.LBB134_2937:
	s_mov_b64 s[0:1], 0
	s_branch .LBB134_2939
.LBB134_2938:
	s_mov_b64 s[0:1], -1
	s_mov_b64 s[4:5], 0
.LBB134_2939:
	s_and_b64 vcc, exec, s[0:1]
	s_cbranch_vccz .LBB134_2978
; %bb.2940:
	s_and_b32 s2, 0xffff, s28
	s_cmp_lt_i32 s2, 5
	s_mov_b64 s[0:1], -1
	s_cbranch_scc1 .LBB134_2961
; %bb.2941:
	s_cmp_lt_i32 s2, 8
	s_cbranch_scc1 .LBB134_2951
; %bb.2942:
	s_cmp_lt_i32 s2, 9
	s_cbranch_scc1 .LBB134_2948
; %bb.2943:
	s_cmp_gt_i32 s2, 9
	s_cbranch_scc0 .LBB134_2945
; %bb.2944:
	v_cndmask_b32_e64 v3, 0, 1, s[14:15]
	v_cvt_f64_u32_e32 v[3:4], v3
	v_mov_b32_e32 v5, 0
	v_mov_b32_e32 v6, v5
	s_mov_b64 s[0:1], 0
	global_store_dwordx4 v[0:1], v[3:6], off
.LBB134_2945:
	s_andn2_b64 vcc, exec, s[0:1]
	s_cbranch_vccnz .LBB134_2947
; %bb.2946:
	v_cndmask_b32_e64 v3, 0, 1.0, s[14:15]
	v_mov_b32_e32 v4, 0
	global_store_dwordx2 v[0:1], v[3:4], off
.LBB134_2947:
	s_mov_b64 s[0:1], 0
.LBB134_2948:
	s_andn2_b64 vcc, exec, s[0:1]
	s_cbranch_vccnz .LBB134_2950
; %bb.2949:
	v_cndmask_b32_e64 v3, 0, 1.0, s[14:15]
	v_cvt_f16_f32_e32 v3, v3
	global_store_dword v[0:1], v3, off
.LBB134_2950:
	s_mov_b64 s[0:1], 0
.LBB134_2951:
	s_andn2_b64 vcc, exec, s[0:1]
	s_cbranch_vccnz .LBB134_2960
; %bb.2952:
	s_cmp_lt_i32 s2, 6
	s_mov_b64 s[0:1], -1
	s_cbranch_scc1 .LBB134_2958
; %bb.2953:
	s_cmp_gt_i32 s2, 6
	s_cbranch_scc0 .LBB134_2955
; %bb.2954:
	v_cndmask_b32_e64 v3, 0, 1, s[14:15]
	v_cvt_f64_u32_e32 v[3:4], v3
	s_mov_b64 s[0:1], 0
	global_store_dwordx2 v[0:1], v[3:4], off
.LBB134_2955:
	s_andn2_b64 vcc, exec, s[0:1]
	s_cbranch_vccnz .LBB134_2957
; %bb.2956:
	v_cndmask_b32_e64 v3, 0, 1.0, s[14:15]
	global_store_dword v[0:1], v3, off
.LBB134_2957:
	s_mov_b64 s[0:1], 0
.LBB134_2958:
	s_andn2_b64 vcc, exec, s[0:1]
	s_cbranch_vccnz .LBB134_2960
; %bb.2959:
	v_cndmask_b32_e64 v3, 0, 1.0, s[14:15]
	v_cvt_f16_f32_e32 v3, v3
	global_store_short v[0:1], v3, off
.LBB134_2960:
	s_mov_b64 s[0:1], 0
.LBB134_2961:
	s_andn2_b64 vcc, exec, s[0:1]
	s_cbranch_vccnz .LBB134_2977
; %bb.2962:
	s_cmp_lt_i32 s2, 2
	s_mov_b64 s[0:1], -1
	s_cbranch_scc1 .LBB134_2972
; %bb.2963:
	s_cmp_lt_i32 s2, 3
	s_cbranch_scc1 .LBB134_2969
; %bb.2964:
	s_cmp_gt_i32 s2, 3
	s_cbranch_scc0 .LBB134_2966
; %bb.2965:
	s_mov_b32 s0, 0
	v_cndmask_b32_e64 v3, 0, 1, s[14:15]
	v_mov_b32_e32 v4, s0
	global_store_dwordx2 v[0:1], v[3:4], off
	s_mov_b64 s[0:1], 0
.LBB134_2966:
	s_andn2_b64 vcc, exec, s[0:1]
	s_cbranch_vccnz .LBB134_2968
; %bb.2967:
	v_cndmask_b32_e64 v3, 0, 1, s[14:15]
	global_store_dword v[0:1], v3, off
.LBB134_2968:
	s_mov_b64 s[0:1], 0
.LBB134_2969:
	s_andn2_b64 vcc, exec, s[0:1]
	s_cbranch_vccnz .LBB134_2971
; %bb.2970:
	v_cndmask_b32_e64 v3, 0, 1, s[14:15]
	global_store_short v[0:1], v3, off
.LBB134_2971:
	s_mov_b64 s[0:1], 0
.LBB134_2972:
	s_andn2_b64 vcc, exec, s[0:1]
	s_cbranch_vccnz .LBB134_2977
; %bb.2973:
	s_mov_b64 s[0:1], -1
	s_cmp_gt_i32 s2, 0
	v_cndmask_b32_e64 v3, 0, 1, s[14:15]
	s_cbranch_scc0 .LBB134_2975
; %bb.2974:
	global_store_byte v[0:1], v3, off
	s_mov_b64 s[0:1], 0
.LBB134_2975:
	s_andn2_b64 vcc, exec, s[0:1]
	s_cbranch_vccnz .LBB134_2977
; %bb.2976:
	global_store_byte v[0:1], v3, off
.LBB134_2977:
	s_mov_b64 s[4:5], -1
.LBB134_2978:
	s_andn2_b64 vcc, exec, s[4:5]
	s_cbranch_vccnz .LBB134_3174
; %bb.2979:
	v_add_u32_e32 v2, s24, v2
	v_ashrrev_i32_e32 v1, 31, v2
	v_mov_b32_e32 v3, s9
	v_add_co_u32_e32 v0, vcc, s8, v2
	s_cmp_lt_i32 s28, 11
	v_addc_co_u32_e32 v1, vcc, v3, v1, vcc
	s_cbranch_scc1 .LBB134_3057
; %bb.2980:
	s_and_b32 s14, 0xffff, s28
	s_mov_b64 s[10:11], -1
	s_mov_b64 s[2:3], 0
	s_cmp_gt_i32 s14, 25
	s_mov_b64 s[4:5], 0
	s_mov_b64 s[0:1], 0
	s_cbranch_scc0 .LBB134_3013
; %bb.2981:
	s_cmp_gt_i32 s14, 28
	s_cbranch_scc0 .LBB134_2996
; %bb.2982:
	s_cmp_gt_i32 s14, 43
	;; [unrolled: 3-line block ×3, first 2 shown]
	s_cbranch_scc0 .LBB134_2986
; %bb.2984:
	s_mov_b64 s[0:1], -1
	s_mov_b64 s[10:11], 0
	s_cmp_eq_u32 s14, 46
	s_cbranch_scc0 .LBB134_2986
; %bb.2985:
	v_cndmask_b32_e64 v3, 0, 1.0, s[22:23]
	v_bfe_u32 v4, v3, 16, 1
	s_movk_i32 s0, 0x7fff
	v_add3_u32 v3, v3, v4, s0
	v_lshrrev_b32_e32 v3, 16, v3
	global_store_dword v[0:1], v3, off
	s_mov_b64 s[0:1], 0
	s_mov_b64 s[4:5], -1
.LBB134_2986:
	s_and_b64 vcc, exec, s[10:11]
	s_cbranch_vccz .LBB134_2991
; %bb.2987:
	s_cmp_eq_u32 s14, 44
	s_mov_b64 s[0:1], -1
	s_cbranch_scc0 .LBB134_2991
; %bb.2988:
	v_cndmask_b32_e64 v4, 0, 1.0, s[22:23]
	v_lshrrev_b32_e32 v3, 23, v4
	s_movk_i32 s0, 0xff
	v_cmp_ne_u32_e32 vcc, s0, v3
	v_mov_b32_e32 v5, 0xff
	s_and_saveexec_b64 s[4:5], vcc
; %bb.2989:
	s_mov_b32 s0, 0x3fffff
	v_and_b32_e32 v5, 0x400000, v4
	v_and_or_b32 v4, v4, s0, v3
	v_cmp_ne_u32_e32 vcc, 0, v5
	v_cmp_ne_u32_e64 s[0:1], 0, v4
	s_and_b64 s[0:1], vcc, s[0:1]
	v_cndmask_b32_e64 v4, 0, 1, s[0:1]
	v_add_u32_e32 v5, v3, v4
; %bb.2990:
	s_or_b64 exec, exec, s[4:5]
	s_mov_b64 s[0:1], 0
	s_mov_b64 s[4:5], -1
	global_store_byte v[0:1], v5, off
.LBB134_2991:
	s_mov_b64 s[10:11], 0
.LBB134_2992:
	s_and_b64 vcc, exec, s[10:11]
	s_cbranch_vccz .LBB134_2995
; %bb.2993:
	s_cmp_eq_u32 s14, 29
	s_mov_b64 s[0:1], -1
	s_cbranch_scc0 .LBB134_2995
; %bb.2994:
	s_mov_b32 s0, 0
	v_cndmask_b32_e64 v3, 0, 1, s[22:23]
	v_mov_b32_e32 v4, s0
	global_store_dwordx2 v[0:1], v[3:4], off
	s_mov_b64 s[0:1], 0
	s_mov_b64 s[4:5], -1
.LBB134_2995:
	s_mov_b64 s[10:11], 0
.LBB134_2996:
	s_and_b64 vcc, exec, s[10:11]
	s_cbranch_vccz .LBB134_3012
; %bb.2997:
	s_cmp_lt_i32 s14, 27
	s_mov_b64 s[4:5], -1
	s_cbranch_scc1 .LBB134_3003
; %bb.2998:
	s_cmp_gt_i32 s14, 27
	s_cbranch_scc0 .LBB134_3000
; %bb.2999:
	v_cndmask_b32_e64 v3, 0, 1, s[22:23]
	s_mov_b64 s[4:5], 0
	global_store_dword v[0:1], v3, off
.LBB134_3000:
	s_andn2_b64 vcc, exec, s[4:5]
	s_cbranch_vccnz .LBB134_3002
; %bb.3001:
	v_cndmask_b32_e64 v3, 0, 1, s[22:23]
	global_store_short v[0:1], v3, off
.LBB134_3002:
	s_mov_b64 s[4:5], 0
.LBB134_3003:
	s_andn2_b64 vcc, exec, s[4:5]
	s_cbranch_vccnz .LBB134_3011
; %bb.3004:
	v_cndmask_b32_e64 v4, 0, 1.0, s[22:23]
	s_mov_b32 s4, 0x43800000
	v_cmp_gt_u32_e32 vcc, s4, v4
	v_mov_b32_e32 v5, 0x80
	s_and_saveexec_b64 s[4:5], vcc
	s_cbranch_execz .LBB134_3010
; %bb.3005:
	s_mov_b32 s10, 0x3bffffff
	v_cmp_lt_u32_e32 vcc, s10, v4
	s_mov_b64 s[10:11], 0
                                        ; implicit-def: $vgpr3
	s_and_saveexec_b64 s[12:13], vcc
	s_xor_b64 s[12:13], exec, s[12:13]
	s_cbranch_execz .LBB134_3186
; %bb.3006:
	v_bfe_u32 v3, v4, 20, 1
	s_mov_b32 s15, 0x487ffff
	v_add3_u32 v3, v4, v3, s15
	s_mov_b64 s[10:11], exec
	v_lshrrev_b32_e32 v3, 20, v3
                                        ; implicit-def: $vgpr4
	s_andn2_saveexec_b64 s[12:13], s[12:13]
	s_cbranch_execnz .LBB134_3187
.LBB134_3007:
	s_or_b64 exec, exec, s[12:13]
	v_mov_b32_e32 v5, 0
	s_and_saveexec_b64 s[12:13], s[10:11]
.LBB134_3008:
	v_mov_b32_e32 v5, v3
.LBB134_3009:
	s_or_b64 exec, exec, s[12:13]
.LBB134_3010:
	s_or_b64 exec, exec, s[4:5]
	global_store_byte v[0:1], v5, off
.LBB134_3011:
	s_mov_b64 s[4:5], -1
.LBB134_3012:
	s_mov_b64 s[10:11], 0
.LBB134_3013:
	s_and_b64 vcc, exec, s[10:11]
	s_cbranch_vccz .LBB134_3053
; %bb.3014:
	s_cmp_gt_i32 s14, 22
	s_mov_b64 s[2:3], -1
	s_cbranch_scc0 .LBB134_3046
; %bb.3015:
	s_cmp_lt_i32 s14, 24
	s_cbranch_scc1 .LBB134_3035
; %bb.3016:
	s_cmp_gt_i32 s14, 24
	s_cbranch_scc0 .LBB134_3024
; %bb.3017:
	v_cndmask_b32_e64 v4, 0, 1.0, s[22:23]
	s_mov_b32 s2, 0x47800000
	v_cmp_gt_u32_e32 vcc, s2, v4
	v_mov_b32_e32 v5, 0x80
	s_and_saveexec_b64 s[2:3], vcc
	s_cbranch_execz .LBB134_3023
; %bb.3018:
	s_mov_b32 s4, 0x37ffffff
	v_cmp_lt_u32_e32 vcc, s4, v4
	s_mov_b64 s[4:5], 0
                                        ; implicit-def: $vgpr3
	s_and_saveexec_b64 s[10:11], vcc
	s_xor_b64 s[10:11], exec, s[10:11]
	s_cbranch_execz .LBB134_3189
; %bb.3019:
	v_bfe_u32 v3, v4, 21, 1
	s_mov_b32 s12, 0x88fffff
	v_add3_u32 v3, v4, v3, s12
	s_mov_b64 s[4:5], exec
	v_lshrrev_b32_e32 v3, 21, v3
                                        ; implicit-def: $vgpr4
	s_andn2_saveexec_b64 s[10:11], s[10:11]
	s_cbranch_execnz .LBB134_3190
.LBB134_3020:
	s_or_b64 exec, exec, s[10:11]
	v_mov_b32_e32 v5, 0
	s_and_saveexec_b64 s[10:11], s[4:5]
.LBB134_3021:
	v_mov_b32_e32 v5, v3
.LBB134_3022:
	s_or_b64 exec, exec, s[10:11]
.LBB134_3023:
	s_or_b64 exec, exec, s[2:3]
	s_mov_b64 s[2:3], 0
	global_store_byte v[0:1], v5, off
.LBB134_3024:
	s_and_b64 vcc, exec, s[2:3]
	s_cbranch_vccz .LBB134_3034
; %bb.3025:
	v_cndmask_b32_e64 v3, 0, 1.0, s[22:23]
	s_mov_b32 s2, 0x43f00000
	v_cmp_gt_u32_e32 vcc, s2, v3
                                        ; implicit-def: $vgpr4
	s_and_saveexec_b64 s[2:3], vcc
	s_xor_b64 s[2:3], exec, s[2:3]
	s_cbranch_execz .LBB134_3031
; %bb.3026:
	s_mov_b32 s4, 0x3c7fffff
	v_cmp_lt_u32_e32 vcc, s4, v3
                                        ; implicit-def: $vgpr4
	s_and_saveexec_b64 s[4:5], vcc
	s_xor_b64 s[4:5], exec, s[4:5]
; %bb.3027:
	v_bfe_u32 v4, v3, 20, 1
	s_mov_b32 s10, 0x407ffff
	v_add3_u32 v3, v3, v4, s10
	v_lshrrev_b32_e32 v4, 20, v3
	v_and_b32_e32 v3, 0xff00000, v3
	s_mov_b32 s10, 0x7f00000
	v_mov_b32_e32 v5, 0x7e
	v_cmp_ne_u32_e32 vcc, s10, v3
	v_cndmask_b32_e32 v4, v5, v4, vcc
                                        ; implicit-def: $vgpr3
; %bb.3028:
	s_andn2_saveexec_b64 s[4:5], s[4:5]
; %bb.3029:
	v_add_f32_e32 v4, 0x46800000, v3
; %bb.3030:
	s_or_b64 exec, exec, s[4:5]
                                        ; implicit-def: $vgpr3
.LBB134_3031:
	s_andn2_saveexec_b64 s[2:3], s[2:3]
; %bb.3032:
	s_mov_b32 s4, 0x7f800000
	v_mov_b32_e32 v4, 0x7e
	v_mov_b32_e32 v5, 0x7f
	v_cmp_lt_u32_e32 vcc, s4, v3
	v_cndmask_b32_e32 v4, v4, v5, vcc
; %bb.3033:
	s_or_b64 exec, exec, s[2:3]
	global_store_byte v[0:1], v4, off
.LBB134_3034:
	s_mov_b64 s[2:3], 0
.LBB134_3035:
	s_andn2_b64 vcc, exec, s[2:3]
	s_cbranch_vccnz .LBB134_3045
; %bb.3036:
	v_cndmask_b32_e64 v3, 0, 1.0, s[22:23]
	s_mov_b32 s2, 0x47800000
	v_cmp_gt_u32_e32 vcc, s2, v3
                                        ; implicit-def: $vgpr4
	s_and_saveexec_b64 s[2:3], vcc
	s_xor_b64 s[2:3], exec, s[2:3]
	s_cbranch_execz .LBB134_3042
; %bb.3037:
	s_mov_b32 s4, 0x387fffff
	v_cmp_lt_u32_e32 vcc, s4, v3
                                        ; implicit-def: $vgpr4
	s_and_saveexec_b64 s[4:5], vcc
	s_xor_b64 s[4:5], exec, s[4:5]
; %bb.3038:
	v_bfe_u32 v4, v3, 21, 1
	s_mov_b32 s10, 0x80fffff
	v_add3_u32 v3, v3, v4, s10
	v_lshrrev_b32_e32 v4, 21, v3
                                        ; implicit-def: $vgpr3
; %bb.3039:
	s_andn2_saveexec_b64 s[4:5], s[4:5]
; %bb.3040:
	v_add_f32_e32 v4, 0x43000000, v3
; %bb.3041:
	s_or_b64 exec, exec, s[4:5]
                                        ; implicit-def: $vgpr3
.LBB134_3042:
	s_andn2_saveexec_b64 s[2:3], s[2:3]
; %bb.3043:
	s_mov_b32 s4, 0x7f800000
	v_mov_b32_e32 v4, 0x7c
	v_mov_b32_e32 v5, 0x7f
	v_cmp_lt_u32_e32 vcc, s4, v3
	v_cndmask_b32_e32 v4, v4, v5, vcc
; %bb.3044:
	s_or_b64 exec, exec, s[2:3]
	global_store_byte v[0:1], v4, off
.LBB134_3045:
	s_mov_b64 s[2:3], 0
	s_mov_b64 s[4:5], -1
.LBB134_3046:
	s_andn2_b64 vcc, exec, s[2:3]
	s_mov_b64 s[2:3], 0
	s_cbranch_vccnz .LBB134_3053
; %bb.3047:
	s_cmp_gt_i32 s14, 14
	s_mov_b64 s[10:11], -1
	s_cbranch_scc0 .LBB134_3051
; %bb.3048:
	s_cmp_eq_u32 s14, 15
	s_mov_b64 s[0:1], -1
	s_cbranch_scc0 .LBB134_3050
; %bb.3049:
	v_cndmask_b32_e64 v3, 0, 1.0, s[22:23]
	v_bfe_u32 v4, v3, 16, 1
	s_movk_i32 s0, 0x7fff
	v_add3_u32 v3, v3, v4, s0
	global_store_short_d16_hi v[0:1], v3, off
	s_mov_b64 s[0:1], 0
	s_mov_b64 s[4:5], -1
.LBB134_3050:
	s_mov_b64 s[10:11], 0
.LBB134_3051:
	s_and_b64 vcc, exec, s[10:11]
	s_cbranch_vccz .LBB134_3053
; %bb.3052:
	s_cmp_lg_u32 s14, 11
	s_mov_b64 s[2:3], -1
	s_cselect_b64 s[0:1], -1, 0
.LBB134_3053:
	s_and_b64 vcc, exec, s[0:1]
	s_cbranch_vccnz .LBB134_3188
; %bb.3054:
	s_andn2_b64 vcc, exec, s[2:3]
	s_cbranch_vccnz .LBB134_3056
.LBB134_3055:
	v_cndmask_b32_e64 v3, 0, 1, s[22:23]
	s_mov_b64 s[4:5], -1
	global_store_byte v[0:1], v3, off
.LBB134_3056:
	s_mov_b64 s[0:1], 0
	s_branch .LBB134_3058
.LBB134_3057:
	s_mov_b64 s[0:1], -1
	s_mov_b64 s[4:5], 0
.LBB134_3058:
	s_and_b64 vcc, exec, s[0:1]
	s_cbranch_vccz .LBB134_3097
; %bb.3059:
	s_and_b32 s2, 0xffff, s28
	s_cmp_lt_i32 s2, 5
	s_mov_b64 s[0:1], -1
	s_cbranch_scc1 .LBB134_3080
; %bb.3060:
	s_cmp_lt_i32 s2, 8
	s_cbranch_scc1 .LBB134_3070
; %bb.3061:
	s_cmp_lt_i32 s2, 9
	s_cbranch_scc1 .LBB134_3067
; %bb.3062:
	s_cmp_gt_i32 s2, 9
	s_cbranch_scc0 .LBB134_3064
; %bb.3063:
	v_cndmask_b32_e64 v3, 0, 1, s[22:23]
	v_cvt_f64_u32_e32 v[3:4], v3
	v_mov_b32_e32 v5, 0
	v_mov_b32_e32 v6, v5
	s_mov_b64 s[0:1], 0
	global_store_dwordx4 v[0:1], v[3:6], off
.LBB134_3064:
	s_andn2_b64 vcc, exec, s[0:1]
	s_cbranch_vccnz .LBB134_3066
; %bb.3065:
	v_cndmask_b32_e64 v3, 0, 1.0, s[22:23]
	v_mov_b32_e32 v4, 0
	global_store_dwordx2 v[0:1], v[3:4], off
.LBB134_3066:
	s_mov_b64 s[0:1], 0
.LBB134_3067:
	s_andn2_b64 vcc, exec, s[0:1]
	s_cbranch_vccnz .LBB134_3069
; %bb.3068:
	v_cndmask_b32_e64 v3, 0, 1.0, s[22:23]
	v_cvt_f16_f32_e32 v3, v3
	global_store_dword v[0:1], v3, off
.LBB134_3069:
	s_mov_b64 s[0:1], 0
.LBB134_3070:
	s_andn2_b64 vcc, exec, s[0:1]
	s_cbranch_vccnz .LBB134_3079
; %bb.3071:
	s_cmp_lt_i32 s2, 6
	s_mov_b64 s[0:1], -1
	s_cbranch_scc1 .LBB134_3077
; %bb.3072:
	s_cmp_gt_i32 s2, 6
	s_cbranch_scc0 .LBB134_3074
; %bb.3073:
	v_cndmask_b32_e64 v3, 0, 1, s[22:23]
	v_cvt_f64_u32_e32 v[3:4], v3
	s_mov_b64 s[0:1], 0
	global_store_dwordx2 v[0:1], v[3:4], off
.LBB134_3074:
	s_andn2_b64 vcc, exec, s[0:1]
	s_cbranch_vccnz .LBB134_3076
; %bb.3075:
	v_cndmask_b32_e64 v3, 0, 1.0, s[22:23]
	global_store_dword v[0:1], v3, off
.LBB134_3076:
	s_mov_b64 s[0:1], 0
.LBB134_3077:
	s_andn2_b64 vcc, exec, s[0:1]
	s_cbranch_vccnz .LBB134_3079
; %bb.3078:
	v_cndmask_b32_e64 v3, 0, 1.0, s[22:23]
	v_cvt_f16_f32_e32 v3, v3
	global_store_short v[0:1], v3, off
.LBB134_3079:
	s_mov_b64 s[0:1], 0
.LBB134_3080:
	s_andn2_b64 vcc, exec, s[0:1]
	s_cbranch_vccnz .LBB134_3096
; %bb.3081:
	s_cmp_lt_i32 s2, 2
	s_mov_b64 s[0:1], -1
	s_cbranch_scc1 .LBB134_3091
; %bb.3082:
	s_cmp_lt_i32 s2, 3
	s_cbranch_scc1 .LBB134_3088
; %bb.3083:
	s_cmp_gt_i32 s2, 3
	s_cbranch_scc0 .LBB134_3085
; %bb.3084:
	s_mov_b32 s0, 0
	v_cndmask_b32_e64 v3, 0, 1, s[22:23]
	v_mov_b32_e32 v4, s0
	global_store_dwordx2 v[0:1], v[3:4], off
	s_mov_b64 s[0:1], 0
.LBB134_3085:
	s_andn2_b64 vcc, exec, s[0:1]
	s_cbranch_vccnz .LBB134_3087
; %bb.3086:
	v_cndmask_b32_e64 v3, 0, 1, s[22:23]
	global_store_dword v[0:1], v3, off
.LBB134_3087:
	s_mov_b64 s[0:1], 0
.LBB134_3088:
	s_andn2_b64 vcc, exec, s[0:1]
	s_cbranch_vccnz .LBB134_3090
; %bb.3089:
	v_cndmask_b32_e64 v3, 0, 1, s[22:23]
	global_store_short v[0:1], v3, off
.LBB134_3090:
	s_mov_b64 s[0:1], 0
.LBB134_3091:
	s_andn2_b64 vcc, exec, s[0:1]
	s_cbranch_vccnz .LBB134_3096
; %bb.3092:
	s_mov_b64 s[0:1], -1
	s_cmp_gt_i32 s2, 0
	v_cndmask_b32_e64 v3, 0, 1, s[22:23]
	s_cbranch_scc0 .LBB134_3094
; %bb.3093:
	global_store_byte v[0:1], v3, off
	s_mov_b64 s[0:1], 0
.LBB134_3094:
	s_andn2_b64 vcc, exec, s[0:1]
	s_cbranch_vccnz .LBB134_3096
; %bb.3095:
	global_store_byte v[0:1], v3, off
.LBB134_3096:
	s_mov_b64 s[4:5], -1
.LBB134_3097:
	s_andn2_b64 vcc, exec, s[4:5]
	s_cbranch_vccnz .LBB134_3174
; %bb.3098:
	v_add_u32_e32 v0, s24, v2
	v_ashrrev_i32_e32 v1, 31, v0
	v_mov_b32_e32 v2, s9
	v_add_co_u32_e32 v0, vcc, s8, v0
	s_cmp_lt_i32 s28, 11
	v_addc_co_u32_e32 v1, vcc, v2, v1, vcc
	s_cbranch_scc1 .LBB134_3175
; %bb.3099:
	s_and_b32 s12, 0xffff, s28
	s_mov_b64 s[4:5], -1
	s_mov_b64 s[2:3], 0
	s_cmp_gt_i32 s12, 25
	s_mov_b64 s[0:1], 0
	s_cbranch_scc0 .LBB134_3132
; %bb.3100:
	s_cmp_gt_i32 s12, 28
	s_cbranch_scc0 .LBB134_3116
; %bb.3101:
	s_cmp_gt_i32 s12, 43
	s_cbranch_scc0 .LBB134_3112
; %bb.3102:
	s_cmp_gt_i32 s12, 45
	s_cbranch_scc0 .LBB134_3106
; %bb.3103:
	s_cmp_eq_u32 s12, 46
	s_mov_b64 s[0:1], -1
	s_cbranch_scc0 .LBB134_3105
; %bb.3104:
	v_cndmask_b32_e64 v2, 0, 1.0, s[20:21]
	v_bfe_u32 v3, v2, 16, 1
	s_movk_i32 s0, 0x7fff
	v_add3_u32 v2, v2, v3, s0
	v_lshrrev_b32_e32 v2, 16, v2
	global_store_dword v[0:1], v2, off
	s_mov_b64 s[0:1], 0
.LBB134_3105:
	s_mov_b64 s[4:5], 0
.LBB134_3106:
	s_and_b64 vcc, exec, s[4:5]
	s_cbranch_vccz .LBB134_3111
; %bb.3107:
	s_cmp_eq_u32 s12, 44
	s_mov_b64 s[0:1], -1
	s_cbranch_scc0 .LBB134_3111
; %bb.3108:
	v_cndmask_b32_e64 v3, 0, 1.0, s[20:21]
	v_lshrrev_b32_e32 v2, 23, v3
	s_movk_i32 s0, 0xff
	v_cmp_ne_u32_e32 vcc, s0, v2
	v_mov_b32_e32 v4, 0xff
	s_and_saveexec_b64 s[4:5], vcc
; %bb.3109:
	s_mov_b32 s0, 0x3fffff
	v_and_b32_e32 v4, 0x400000, v3
	v_and_or_b32 v3, v3, s0, v2
	v_cmp_ne_u32_e32 vcc, 0, v4
	v_cmp_ne_u32_e64 s[0:1], 0, v3
	s_and_b64 s[0:1], vcc, s[0:1]
	v_cndmask_b32_e64 v3, 0, 1, s[0:1]
	v_add_u32_e32 v4, v2, v3
; %bb.3110:
	s_or_b64 exec, exec, s[4:5]
	s_mov_b64 s[0:1], 0
	global_store_byte v[0:1], v4, off
.LBB134_3111:
	s_mov_b64 s[4:5], 0
.LBB134_3112:
	s_and_b64 vcc, exec, s[4:5]
	s_cbranch_vccz .LBB134_3115
; %bb.3113:
	s_cmp_eq_u32 s12, 29
	s_mov_b64 s[0:1], -1
	s_cbranch_scc0 .LBB134_3115
; %bb.3114:
	s_mov_b32 s0, 0
	v_cndmask_b32_e64 v2, 0, 1, s[20:21]
	v_mov_b32_e32 v3, s0
	global_store_dwordx2 v[0:1], v[2:3], off
	s_mov_b64 s[0:1], 0
.LBB134_3115:
	s_mov_b64 s[4:5], 0
.LBB134_3116:
	s_and_b64 vcc, exec, s[4:5]
	s_cbranch_vccz .LBB134_3131
; %bb.3117:
	s_cmp_lt_i32 s12, 27
	s_mov_b64 s[4:5], -1
	s_cbranch_scc1 .LBB134_3123
; %bb.3118:
	s_cmp_gt_i32 s12, 27
	v_cndmask_b32_e64 v2, 0, 1, s[20:21]
	s_cbranch_scc0 .LBB134_3120
; %bb.3119:
	global_store_dword v[0:1], v2, off
	s_mov_b64 s[4:5], 0
.LBB134_3120:
	s_andn2_b64 vcc, exec, s[4:5]
	s_cbranch_vccnz .LBB134_3122
; %bb.3121:
	global_store_short v[0:1], v2, off
.LBB134_3122:
	s_mov_b64 s[4:5], 0
.LBB134_3123:
	s_andn2_b64 vcc, exec, s[4:5]
	s_cbranch_vccnz .LBB134_3131
; %bb.3124:
	v_cndmask_b32_e64 v3, 0, 1.0, s[20:21]
	s_mov_b32 s4, 0x43800000
	v_cmp_gt_u32_e32 vcc, s4, v3
	v_mov_b32_e32 v4, 0x80
	s_and_saveexec_b64 s[4:5], vcc
	s_cbranch_execz .LBB134_3130
; %bb.3125:
	s_mov_b32 s8, 0x3bffffff
	v_cmp_lt_u32_e32 vcc, s8, v3
	s_mov_b64 s[8:9], 0
                                        ; implicit-def: $vgpr2
	s_and_saveexec_b64 s[10:11], vcc
	s_xor_b64 s[10:11], exec, s[10:11]
	s_cbranch_execz .LBB134_3191
; %bb.3126:
	v_bfe_u32 v2, v3, 20, 1
	s_mov_b32 s13, 0x487ffff
	v_add3_u32 v2, v3, v2, s13
	s_mov_b64 s[8:9], exec
	v_lshrrev_b32_e32 v2, 20, v2
                                        ; implicit-def: $vgpr3
	s_andn2_saveexec_b64 s[10:11], s[10:11]
	s_cbranch_execnz .LBB134_3192
.LBB134_3127:
	s_or_b64 exec, exec, s[10:11]
	v_mov_b32_e32 v4, 0
	s_and_saveexec_b64 s[10:11], s[8:9]
.LBB134_3128:
	v_mov_b32_e32 v4, v2
.LBB134_3129:
	s_or_b64 exec, exec, s[10:11]
.LBB134_3130:
	s_or_b64 exec, exec, s[4:5]
	global_store_byte v[0:1], v4, off
.LBB134_3131:
	s_mov_b64 s[4:5], 0
.LBB134_3132:
	s_and_b64 vcc, exec, s[4:5]
	s_cbranch_vccz .LBB134_3172
; %bb.3133:
	s_cmp_gt_i32 s12, 22
	s_mov_b64 s[2:3], -1
	s_cbranch_scc0 .LBB134_3165
; %bb.3134:
	s_cmp_lt_i32 s12, 24
	s_cbranch_scc1 .LBB134_3154
; %bb.3135:
	s_cmp_gt_i32 s12, 24
	s_cbranch_scc0 .LBB134_3143
; %bb.3136:
	v_cndmask_b32_e64 v3, 0, 1.0, s[20:21]
	s_mov_b32 s2, 0x47800000
	v_cmp_gt_u32_e32 vcc, s2, v3
	v_mov_b32_e32 v4, 0x80
	s_and_saveexec_b64 s[2:3], vcc
	s_cbranch_execz .LBB134_3142
; %bb.3137:
	s_mov_b32 s4, 0x37ffffff
	v_cmp_lt_u32_e32 vcc, s4, v3
	s_mov_b64 s[4:5], 0
                                        ; implicit-def: $vgpr2
	s_and_saveexec_b64 s[8:9], vcc
	s_xor_b64 s[8:9], exec, s[8:9]
	s_cbranch_execz .LBB134_3194
; %bb.3138:
	v_bfe_u32 v2, v3, 21, 1
	s_mov_b32 s10, 0x88fffff
	v_add3_u32 v2, v3, v2, s10
	s_mov_b64 s[4:5], exec
	v_lshrrev_b32_e32 v2, 21, v2
                                        ; implicit-def: $vgpr3
	s_andn2_saveexec_b64 s[8:9], s[8:9]
	s_cbranch_execnz .LBB134_3195
.LBB134_3139:
	s_or_b64 exec, exec, s[8:9]
	v_mov_b32_e32 v4, 0
	s_and_saveexec_b64 s[8:9], s[4:5]
.LBB134_3140:
	v_mov_b32_e32 v4, v2
.LBB134_3141:
	s_or_b64 exec, exec, s[8:9]
.LBB134_3142:
	s_or_b64 exec, exec, s[2:3]
	s_mov_b64 s[2:3], 0
	global_store_byte v[0:1], v4, off
.LBB134_3143:
	s_and_b64 vcc, exec, s[2:3]
	s_cbranch_vccz .LBB134_3153
; %bb.3144:
	v_cndmask_b32_e64 v2, 0, 1.0, s[20:21]
	s_mov_b32 s2, 0x43f00000
	v_cmp_gt_u32_e32 vcc, s2, v2
                                        ; implicit-def: $vgpr3
	s_and_saveexec_b64 s[2:3], vcc
	s_xor_b64 s[2:3], exec, s[2:3]
	s_cbranch_execz .LBB134_3150
; %bb.3145:
	s_mov_b32 s4, 0x3c7fffff
	v_cmp_lt_u32_e32 vcc, s4, v2
                                        ; implicit-def: $vgpr3
	s_and_saveexec_b64 s[4:5], vcc
	s_xor_b64 s[4:5], exec, s[4:5]
; %bb.3146:
	v_bfe_u32 v3, v2, 20, 1
	s_mov_b32 s8, 0x407ffff
	v_add3_u32 v2, v2, v3, s8
	v_lshrrev_b32_e32 v3, 20, v2
	v_and_b32_e32 v2, 0xff00000, v2
	s_mov_b32 s8, 0x7f00000
	v_mov_b32_e32 v4, 0x7e
	v_cmp_ne_u32_e32 vcc, s8, v2
	v_cndmask_b32_e32 v3, v4, v3, vcc
                                        ; implicit-def: $vgpr2
; %bb.3147:
	s_andn2_saveexec_b64 s[4:5], s[4:5]
; %bb.3148:
	v_add_f32_e32 v3, 0x46800000, v2
; %bb.3149:
	s_or_b64 exec, exec, s[4:5]
                                        ; implicit-def: $vgpr2
.LBB134_3150:
	s_andn2_saveexec_b64 s[2:3], s[2:3]
; %bb.3151:
	s_mov_b32 s4, 0x7f800000
	v_mov_b32_e32 v3, 0x7e
	v_mov_b32_e32 v4, 0x7f
	v_cmp_lt_u32_e32 vcc, s4, v2
	v_cndmask_b32_e32 v3, v3, v4, vcc
; %bb.3152:
	s_or_b64 exec, exec, s[2:3]
	global_store_byte v[0:1], v3, off
.LBB134_3153:
	s_mov_b64 s[2:3], 0
.LBB134_3154:
	s_andn2_b64 vcc, exec, s[2:3]
	s_cbranch_vccnz .LBB134_3164
; %bb.3155:
	v_cndmask_b32_e64 v2, 0, 1.0, s[20:21]
	s_mov_b32 s2, 0x47800000
	v_cmp_gt_u32_e32 vcc, s2, v2
                                        ; implicit-def: $vgpr3
	s_and_saveexec_b64 s[2:3], vcc
	s_xor_b64 s[2:3], exec, s[2:3]
	s_cbranch_execz .LBB134_3161
; %bb.3156:
	s_mov_b32 s4, 0x387fffff
	v_cmp_lt_u32_e32 vcc, s4, v2
                                        ; implicit-def: $vgpr3
	s_and_saveexec_b64 s[4:5], vcc
	s_xor_b64 s[4:5], exec, s[4:5]
; %bb.3157:
	v_bfe_u32 v3, v2, 21, 1
	s_mov_b32 s8, 0x80fffff
	v_add3_u32 v2, v2, v3, s8
	v_lshrrev_b32_e32 v3, 21, v2
                                        ; implicit-def: $vgpr2
; %bb.3158:
	s_andn2_saveexec_b64 s[4:5], s[4:5]
; %bb.3159:
	v_add_f32_e32 v3, 0x43000000, v2
; %bb.3160:
	s_or_b64 exec, exec, s[4:5]
                                        ; implicit-def: $vgpr2
.LBB134_3161:
	s_andn2_saveexec_b64 s[2:3], s[2:3]
; %bb.3162:
	s_mov_b32 s4, 0x7f800000
	v_mov_b32_e32 v3, 0x7c
	v_mov_b32_e32 v4, 0x7f
	v_cmp_lt_u32_e32 vcc, s4, v2
	v_cndmask_b32_e32 v3, v3, v4, vcc
; %bb.3163:
	s_or_b64 exec, exec, s[2:3]
	global_store_byte v[0:1], v3, off
.LBB134_3164:
	s_mov_b64 s[2:3], 0
.LBB134_3165:
	s_andn2_b64 vcc, exec, s[2:3]
	s_mov_b64 s[2:3], 0
	s_cbranch_vccnz .LBB134_3172
; %bb.3166:
	s_cmp_gt_i32 s12, 14
	s_mov_b64 s[4:5], -1
	s_cbranch_scc0 .LBB134_3170
; %bb.3167:
	s_cmp_eq_u32 s12, 15
	s_mov_b64 s[0:1], -1
	s_cbranch_scc0 .LBB134_3169
; %bb.3168:
	v_cndmask_b32_e64 v2, 0, 1.0, s[20:21]
	v_bfe_u32 v3, v2, 16, 1
	s_movk_i32 s0, 0x7fff
	v_add3_u32 v2, v2, v3, s0
	global_store_short_d16_hi v[0:1], v2, off
	s_mov_b64 s[0:1], 0
.LBB134_3169:
	s_mov_b64 s[4:5], 0
.LBB134_3170:
	s_and_b64 vcc, exec, s[4:5]
	s_cbranch_vccz .LBB134_3172
; %bb.3171:
	s_cmp_lg_u32 s12, 11
	s_mov_b64 s[2:3], -1
	s_cselect_b64 s[0:1], -1, 0
.LBB134_3172:
	s_and_b64 vcc, exec, s[0:1]
	s_cbranch_vccnz .LBB134_3193
.LBB134_3173:
	s_mov_b64 s[0:1], 0
	s_branch .LBB134_2694
.LBB134_3174:
	s_mov_b64 s[0:1], 0
	s_branch .LBB134_2693
.LBB134_3175:
	s_mov_b64 s[2:3], 0
	s_mov_b64 s[0:1], -1
	s_branch .LBB134_2694
.LBB134_3176:
	s_andn2_saveexec_b64 s[26:27], s[26:27]
	s_cbranch_execz .LBB134_2769
.LBB134_3177:
	v_add_f32_e32 v3, 0x46000000, v4
	v_and_b32_e32 v3, 0xff, v3
	v_cmp_ne_u32_e32 vcc, 0, v3
	s_andn2_b64 s[24:25], s[24:25], exec
	s_and_b64 s[30:31], vcc, exec
	s_or_b64 s[24:25], s[24:25], s[30:31]
	s_or_b64 exec, exec, s[26:27]
	v_mov_b32_e32 v5, 0
	s_and_saveexec_b64 s[26:27], s[24:25]
	s_cbranch_execnz .LBB134_2770
	s_branch .LBB134_2771
.LBB134_3178:
	s_trap 2
	s_or_b64 s[18:19], s[18:19], exec
	s_cbranch_execz .LBB134_2817
	s_branch .LBB134_2818
.LBB134_3179:
	s_andn2_saveexec_b64 s[24:25], s[24:25]
	s_cbranch_execz .LBB134_2782
.LBB134_3180:
	v_add_f32_e32 v3, 0x42800000, v4
	v_and_b32_e32 v3, 0xff, v3
	v_cmp_ne_u32_e32 vcc, 0, v3
	s_andn2_b64 s[10:11], s[10:11], exec
	s_and_b64 s[26:27], vcc, exec
	s_or_b64 s[10:11], s[10:11], s[26:27]
	s_or_b64 exec, exec, s[24:25]
	v_mov_b32_e32 v5, 0
	s_and_saveexec_b64 s[24:25], s[10:11]
	s_cbranch_execnz .LBB134_2783
	s_branch .LBB134_2784
.LBB134_3181:
	s_andn2_saveexec_b64 s[12:13], s[12:13]
	s_cbranch_execz .LBB134_2888
.LBB134_3182:
	v_add_f32_e32 v3, 0x46000000, v4
	v_and_b32_e32 v3, 0xff, v3
	v_cmp_ne_u32_e32 vcc, 0, v3
	s_andn2_b64 s[10:11], s[10:11], exec
	s_and_b64 s[26:27], vcc, exec
	s_or_b64 s[10:11], s[10:11], s[26:27]
	s_or_b64 exec, exec, s[12:13]
	v_mov_b32_e32 v5, 0
	s_and_saveexec_b64 s[12:13], s[10:11]
	s_cbranch_execnz .LBB134_2889
	s_branch .LBB134_2890
.LBB134_3183:
	s_trap 2
	s_or_b64 s[18:19], s[18:19], exec
	s_cbranch_execz .LBB134_2936
	s_branch .LBB134_2937
.LBB134_3184:
	s_andn2_saveexec_b64 s[10:11], s[10:11]
	s_cbranch_execz .LBB134_2901
.LBB134_3185:
	v_add_f32_e32 v3, 0x42800000, v4
	v_and_b32_e32 v3, 0xff, v3
	v_cmp_ne_u32_e32 vcc, 0, v3
	s_andn2_b64 s[4:5], s[4:5], exec
	s_and_b64 s[12:13], vcc, exec
	s_or_b64 s[4:5], s[4:5], s[12:13]
	s_or_b64 exec, exec, s[10:11]
	v_mov_b32_e32 v5, 0
	s_and_saveexec_b64 s[10:11], s[4:5]
	s_cbranch_execnz .LBB134_2902
	s_branch .LBB134_2903
.LBB134_3186:
	s_andn2_saveexec_b64 s[12:13], s[12:13]
	s_cbranch_execz .LBB134_3007
.LBB134_3187:
	v_add_f32_e32 v3, 0x46000000, v4
	v_and_b32_e32 v3, 0xff, v3
	v_cmp_ne_u32_e32 vcc, 0, v3
	s_andn2_b64 s[10:11], s[10:11], exec
	s_and_b64 s[26:27], vcc, exec
	s_or_b64 s[10:11], s[10:11], s[26:27]
	s_or_b64 exec, exec, s[12:13]
	v_mov_b32_e32 v5, 0
	s_and_saveexec_b64 s[12:13], s[10:11]
	s_cbranch_execnz .LBB134_3008
	s_branch .LBB134_3009
.LBB134_3188:
	s_trap 2
	s_or_b64 s[18:19], s[18:19], exec
	s_cbranch_execz .LBB134_3055
	s_branch .LBB134_3056
.LBB134_3189:
	s_andn2_saveexec_b64 s[10:11], s[10:11]
	s_cbranch_execz .LBB134_3020
.LBB134_3190:
	v_add_f32_e32 v3, 0x42800000, v4
	v_and_b32_e32 v3, 0xff, v3
	v_cmp_ne_u32_e32 vcc, 0, v3
	s_andn2_b64 s[4:5], s[4:5], exec
	s_and_b64 s[12:13], vcc, exec
	s_or_b64 s[4:5], s[4:5], s[12:13]
	s_or_b64 exec, exec, s[10:11]
	v_mov_b32_e32 v5, 0
	s_and_saveexec_b64 s[10:11], s[4:5]
	s_cbranch_execnz .LBB134_3021
	s_branch .LBB134_3022
.LBB134_3191:
	s_andn2_saveexec_b64 s[10:11], s[10:11]
	s_cbranch_execz .LBB134_3127
.LBB134_3192:
	v_add_f32_e32 v2, 0x46000000, v3
	v_and_b32_e32 v2, 0xff, v2
	v_cmp_ne_u32_e32 vcc, 0, v2
	s_andn2_b64 s[8:9], s[8:9], exec
	s_and_b64 s[14:15], vcc, exec
	s_or_b64 s[8:9], s[8:9], s[14:15]
	s_or_b64 exec, exec, s[10:11]
	v_mov_b32_e32 v4, 0
	s_and_saveexec_b64 s[10:11], s[8:9]
	s_cbranch_execnz .LBB134_3128
	s_branch .LBB134_3129
.LBB134_3193:
	s_mov_b64 s[2:3], 0
	s_or_b64 s[18:19], s[18:19], exec
	s_trap 2
	s_branch .LBB134_3173
.LBB134_3194:
	s_andn2_saveexec_b64 s[8:9], s[8:9]
	s_cbranch_execz .LBB134_3139
.LBB134_3195:
	v_add_f32_e32 v2, 0x42800000, v3
	v_and_b32_e32 v2, 0xff, v2
	v_cmp_ne_u32_e32 vcc, 0, v2
	s_andn2_b64 s[4:5], s[4:5], exec
	s_and_b64 s[10:11], vcc, exec
	s_or_b64 s[4:5], s[4:5], s[10:11]
	s_or_b64 exec, exec, s[8:9]
	v_mov_b32_e32 v4, 0
	s_and_saveexec_b64 s[8:9], s[4:5]
	s_cbranch_execnz .LBB134_3140
	s_branch .LBB134_3141
	.section	.rodata,"a",@progbits
	.p2align	6, 0x0
	.amdhsa_kernel _ZN2at6native32elementwise_kernel_manual_unrollILi128ELi4EZNS0_15gpu_kernel_implINS0_13BinaryFunctorIN3c107complexIfEES6_bNS0_12_GLOBAL__N_116CompareEqFunctorIS6_EEEEEEvRNS_18TensorIteratorBaseERKT_EUlibE_EEviT1_
		.amdhsa_group_segment_fixed_size 0
		.amdhsa_private_segment_fixed_size 0
		.amdhsa_kernarg_size 56
		.amdhsa_user_sgpr_count 6
		.amdhsa_user_sgpr_private_segment_buffer 1
		.amdhsa_user_sgpr_dispatch_ptr 0
		.amdhsa_user_sgpr_queue_ptr 0
		.amdhsa_user_sgpr_kernarg_segment_ptr 1
		.amdhsa_user_sgpr_dispatch_id 0
		.amdhsa_user_sgpr_flat_scratch_init 0
		.amdhsa_user_sgpr_private_segment_size 0
		.amdhsa_uses_dynamic_stack 0
		.amdhsa_system_sgpr_private_segment_wavefront_offset 0
		.amdhsa_system_sgpr_workgroup_id_x 1
		.amdhsa_system_sgpr_workgroup_id_y 0
		.amdhsa_system_sgpr_workgroup_id_z 0
		.amdhsa_system_sgpr_workgroup_info 0
		.amdhsa_system_vgpr_workitem_id 0
		.amdhsa_next_free_vgpr 13
		.amdhsa_next_free_sgpr 59
		.amdhsa_reserve_vcc 1
		.amdhsa_reserve_flat_scratch 0
		.amdhsa_float_round_mode_32 0
		.amdhsa_float_round_mode_16_64 0
		.amdhsa_float_denorm_mode_32 3
		.amdhsa_float_denorm_mode_16_64 3
		.amdhsa_dx10_clamp 1
		.amdhsa_ieee_mode 1
		.amdhsa_fp16_overflow 0
		.amdhsa_exception_fp_ieee_invalid_op 0
		.amdhsa_exception_fp_denorm_src 0
		.amdhsa_exception_fp_ieee_div_zero 0
		.amdhsa_exception_fp_ieee_overflow 0
		.amdhsa_exception_fp_ieee_underflow 0
		.amdhsa_exception_fp_ieee_inexact 0
		.amdhsa_exception_int_div_zero 0
	.end_amdhsa_kernel
	.section	.text._ZN2at6native32elementwise_kernel_manual_unrollILi128ELi4EZNS0_15gpu_kernel_implINS0_13BinaryFunctorIN3c107complexIfEES6_bNS0_12_GLOBAL__N_116CompareEqFunctorIS6_EEEEEEvRNS_18TensorIteratorBaseERKT_EUlibE_EEviT1_,"axG",@progbits,_ZN2at6native32elementwise_kernel_manual_unrollILi128ELi4EZNS0_15gpu_kernel_implINS0_13BinaryFunctorIN3c107complexIfEES6_bNS0_12_GLOBAL__N_116CompareEqFunctorIS6_EEEEEEvRNS_18TensorIteratorBaseERKT_EUlibE_EEviT1_,comdat
.Lfunc_end134:
	.size	_ZN2at6native32elementwise_kernel_manual_unrollILi128ELi4EZNS0_15gpu_kernel_implINS0_13BinaryFunctorIN3c107complexIfEES6_bNS0_12_GLOBAL__N_116CompareEqFunctorIS6_EEEEEEvRNS_18TensorIteratorBaseERKT_EUlibE_EEviT1_, .Lfunc_end134-_ZN2at6native32elementwise_kernel_manual_unrollILi128ELi4EZNS0_15gpu_kernel_implINS0_13BinaryFunctorIN3c107complexIfEES6_bNS0_12_GLOBAL__N_116CompareEqFunctorIS6_EEEEEEvRNS_18TensorIteratorBaseERKT_EUlibE_EEviT1_
                                        ; -- End function
	.set _ZN2at6native32elementwise_kernel_manual_unrollILi128ELi4EZNS0_15gpu_kernel_implINS0_13BinaryFunctorIN3c107complexIfEES6_bNS0_12_GLOBAL__N_116CompareEqFunctorIS6_EEEEEEvRNS_18TensorIteratorBaseERKT_EUlibE_EEviT1_.num_vgpr, 13
	.set _ZN2at6native32elementwise_kernel_manual_unrollILi128ELi4EZNS0_15gpu_kernel_implINS0_13BinaryFunctorIN3c107complexIfEES6_bNS0_12_GLOBAL__N_116CompareEqFunctorIS6_EEEEEEvRNS_18TensorIteratorBaseERKT_EUlibE_EEviT1_.num_agpr, 0
	.set _ZN2at6native32elementwise_kernel_manual_unrollILi128ELi4EZNS0_15gpu_kernel_implINS0_13BinaryFunctorIN3c107complexIfEES6_bNS0_12_GLOBAL__N_116CompareEqFunctorIS6_EEEEEEvRNS_18TensorIteratorBaseERKT_EUlibE_EEviT1_.numbered_sgpr, 59
	.set _ZN2at6native32elementwise_kernel_manual_unrollILi128ELi4EZNS0_15gpu_kernel_implINS0_13BinaryFunctorIN3c107complexIfEES6_bNS0_12_GLOBAL__N_116CompareEqFunctorIS6_EEEEEEvRNS_18TensorIteratorBaseERKT_EUlibE_EEviT1_.num_named_barrier, 0
	.set _ZN2at6native32elementwise_kernel_manual_unrollILi128ELi4EZNS0_15gpu_kernel_implINS0_13BinaryFunctorIN3c107complexIfEES6_bNS0_12_GLOBAL__N_116CompareEqFunctorIS6_EEEEEEvRNS_18TensorIteratorBaseERKT_EUlibE_EEviT1_.private_seg_size, 0
	.set _ZN2at6native32elementwise_kernel_manual_unrollILi128ELi4EZNS0_15gpu_kernel_implINS0_13BinaryFunctorIN3c107complexIfEES6_bNS0_12_GLOBAL__N_116CompareEqFunctorIS6_EEEEEEvRNS_18TensorIteratorBaseERKT_EUlibE_EEviT1_.uses_vcc, 1
	.set _ZN2at6native32elementwise_kernel_manual_unrollILi128ELi4EZNS0_15gpu_kernel_implINS0_13BinaryFunctorIN3c107complexIfEES6_bNS0_12_GLOBAL__N_116CompareEqFunctorIS6_EEEEEEvRNS_18TensorIteratorBaseERKT_EUlibE_EEviT1_.uses_flat_scratch, 0
	.set _ZN2at6native32elementwise_kernel_manual_unrollILi128ELi4EZNS0_15gpu_kernel_implINS0_13BinaryFunctorIN3c107complexIfEES6_bNS0_12_GLOBAL__N_116CompareEqFunctorIS6_EEEEEEvRNS_18TensorIteratorBaseERKT_EUlibE_EEviT1_.has_dyn_sized_stack, 0
	.set _ZN2at6native32elementwise_kernel_manual_unrollILi128ELi4EZNS0_15gpu_kernel_implINS0_13BinaryFunctorIN3c107complexIfEES6_bNS0_12_GLOBAL__N_116CompareEqFunctorIS6_EEEEEEvRNS_18TensorIteratorBaseERKT_EUlibE_EEviT1_.has_recursion, 0
	.set _ZN2at6native32elementwise_kernel_manual_unrollILi128ELi4EZNS0_15gpu_kernel_implINS0_13BinaryFunctorIN3c107complexIfEES6_bNS0_12_GLOBAL__N_116CompareEqFunctorIS6_EEEEEEvRNS_18TensorIteratorBaseERKT_EUlibE_EEviT1_.has_indirect_call, 0
	.section	.AMDGPU.csdata,"",@progbits
; Kernel info:
; codeLenInByte = 48176
; TotalNumSgprs: 63
; NumVgprs: 13
; ScratchSize: 0
; MemoryBound: 1
; FloatMode: 240
; IeeeMode: 1
; LDSByteSize: 0 bytes/workgroup (compile time only)
; SGPRBlocks: 7
; VGPRBlocks: 3
; NumSGPRsForWavesPerEU: 63
; NumVGPRsForWavesPerEU: 13
; Occupancy: 10
; WaveLimiterHint : 0
; COMPUTE_PGM_RSRC2:SCRATCH_EN: 0
; COMPUTE_PGM_RSRC2:USER_SGPR: 6
; COMPUTE_PGM_RSRC2:TRAP_HANDLER: 0
; COMPUTE_PGM_RSRC2:TGID_X_EN: 1
; COMPUTE_PGM_RSRC2:TGID_Y_EN: 0
; COMPUTE_PGM_RSRC2:TGID_Z_EN: 0
; COMPUTE_PGM_RSRC2:TIDIG_COMP_CNT: 0
	.section	.text._ZN2at6native32elementwise_kernel_manual_unrollILi128ELi4EZNS0_15gpu_kernel_implINS0_13BinaryFunctorIN3c107complexIfEES6_bNS0_12_GLOBAL__N_116CompareEqFunctorIS6_EEEEEEvRNS_18TensorIteratorBaseERKT_EUlibE0_EEviT1_,"axG",@progbits,_ZN2at6native32elementwise_kernel_manual_unrollILi128ELi4EZNS0_15gpu_kernel_implINS0_13BinaryFunctorIN3c107complexIfEES6_bNS0_12_GLOBAL__N_116CompareEqFunctorIS6_EEEEEEvRNS_18TensorIteratorBaseERKT_EUlibE0_EEviT1_,comdat
	.globl	_ZN2at6native32elementwise_kernel_manual_unrollILi128ELi4EZNS0_15gpu_kernel_implINS0_13BinaryFunctorIN3c107complexIfEES6_bNS0_12_GLOBAL__N_116CompareEqFunctorIS6_EEEEEEvRNS_18TensorIteratorBaseERKT_EUlibE0_EEviT1_ ; -- Begin function _ZN2at6native32elementwise_kernel_manual_unrollILi128ELi4EZNS0_15gpu_kernel_implINS0_13BinaryFunctorIN3c107complexIfEES6_bNS0_12_GLOBAL__N_116CompareEqFunctorIS6_EEEEEEvRNS_18TensorIteratorBaseERKT_EUlibE0_EEviT1_
	.p2align	8
	.type	_ZN2at6native32elementwise_kernel_manual_unrollILi128ELi4EZNS0_15gpu_kernel_implINS0_13BinaryFunctorIN3c107complexIfEES6_bNS0_12_GLOBAL__N_116CompareEqFunctorIS6_EEEEEEvRNS_18TensorIteratorBaseERKT_EUlibE0_EEviT1_,@function
_ZN2at6native32elementwise_kernel_manual_unrollILi128ELi4EZNS0_15gpu_kernel_implINS0_13BinaryFunctorIN3c107complexIfEES6_bNS0_12_GLOBAL__N_116CompareEqFunctorIS6_EEEEEEvRNS_18TensorIteratorBaseERKT_EUlibE0_EEviT1_: ; @_ZN2at6native32elementwise_kernel_manual_unrollILi128ELi4EZNS0_15gpu_kernel_implINS0_13BinaryFunctorIN3c107complexIfEES6_bNS0_12_GLOBAL__N_116CompareEqFunctorIS6_EEEEEEvRNS_18TensorIteratorBaseERKT_EUlibE0_EEviT1_
; %bb.0:
	s_load_dword s70, s[4:5], 0x0
	s_load_dword s33, s[4:5], 0x8
	s_add_u32 s2, s4, 8
	s_addc_u32 s3, s5, 0
	v_lshl_or_b32 v8, s6, 9, v0
	v_or_b32_e32 v23, 0x180, v8
	s_waitcnt lgkmcnt(0)
	s_add_i32 s72, s33, -1
	s_cmp_gt_u32 s72, 1
	v_cmp_le_i32_e32 vcc, s70, v23
	s_cselect_b64 s[24:25], -1, 0
	s_mov_b64 s[6:7], 0
	s_mov_b64 s[12:13], 0
	s_and_saveexec_b64 s[0:1], vcc
	s_xor_b64 s[26:27], exec, s[0:1]
	s_cbranch_execz .LBB135_1646
; %bb.1:
	s_cmp_lg_u32 s33, 0
	s_load_dwordx4 s[16:19], s[2:3], 0x4
	s_load_dwordx2 s[34:35], s[2:3], 0x14
	s_load_dwordx8 s[8:15], s[2:3], 0x188
	s_load_dwordx4 s[20:23], s[2:3], 0xc4
	s_load_dwordx2 s[30:31], s[2:3], 0xd4
	s_cselect_b64 s[38:39], -1, 0
	s_min_u32 s75, s72, 15
	s_cmp_gt_u32 s33, 1
	s_cselect_b64 s[36:37], -1, 0
	s_waitcnt lgkmcnt(0)
	s_lshr_b32 s74, s15, 8
	s_lshr_b32 s73, s15, 16
	s_cmp_lg_u32 s14, 0
	s_cselect_b64 s[28:29], -1, 0
	v_cmp_gt_i32_e32 vcc, s70, v8
	s_mov_b64 s[0:1], -1
	s_mov_b64 s[50:51], 0
	s_mov_b64 s[44:45], 0
	s_mov_b64 s[42:43], 0
	s_mov_b64 s[40:41], 0
	s_and_saveexec_b64 s[46:47], vcc
	s_cbranch_execz .LBB135_407
; %bb.2:
	s_andn2_b64 vcc, exec, s[24:25]
	s_cbranch_vccnz .LBB135_8
; %bb.3:
	s_andn2_b64 vcc, exec, s[38:39]
	s_cbranch_vccnz .LBB135_9
; %bb.4:
	s_add_i32 s0, s75, 1
	s_and_b32 s14, s0, 30
	s_add_u32 s0, s2, 0xffffffe8
	s_addc_u32 s1, s3, -1
	v_mov_b32_e32 v3, 0
	v_mov_b32_e32 v5, 0
	;; [unrolled: 1-line block ×4, first 2 shown]
.LBB135_5:                              ; =>This Inner Loop Header: Depth=1
	s_load_dwordx4 s[40:43], s[0:1], 0x1c
	s_load_dwordx2 s[44:45], s[0:1], 0x2c
	s_load_dwordx2 s[48:49], s[0:1], 0xec
	s_load_dwordx4 s[52:55], s[0:1], 0xdc
	s_add_u32 s0, s0, 24
	s_waitcnt lgkmcnt(0)
	v_mul_hi_u32 v2, s41, v1
	s_addc_u32 s1, s1, 0
	s_add_i32 s14, s14, -2
	s_cmp_lg_u32 s14, 0
	v_add_u32_e32 v2, v1, v2
	v_lshrrev_b32_e32 v2, s42, v2
	v_mul_lo_u32 v4, v2, s40
	v_mul_hi_u32 v6, s44, v2
	v_sub_u32_e32 v4, v1, v4
	v_add_u32_e32 v1, v2, v6
	v_lshrrev_b32_e32 v1, s45, v1
	v_mul_lo_u32 v9, v1, s43
	v_mul_lo_u32 v6, v4, s52
	;; [unrolled: 1-line block ×4, first 2 shown]
	v_sub_u32_e32 v2, v2, v9
	v_mul_lo_u32 v9, v2, s55
	v_mul_lo_u32 v10, v2, s48
	;; [unrolled: 1-line block ×3, first 2 shown]
	v_add3_u32 v0, v6, v0, v9
	v_add3_u32 v5, v7, v5, v10
	;; [unrolled: 1-line block ×3, first 2 shown]
	s_cbranch_scc1 .LBB135_5
; %bb.6:
	s_bitcmp1_b32 s75, 0
	s_cselect_b64 s[40:41], -1, 0
	s_and_b64 vcc, exec, s[40:41]
	s_cbranch_vccnz .LBB135_10
; %bb.7:
	s_load_dwordx2 s[40:41], s[0:1], 0x1c
	s_load_dword s14, s[0:1], 0x24
	s_load_dwordx2 s[42:43], s[0:1], 0xdc
	s_waitcnt lgkmcnt(0)
	v_mul_hi_u32 v2, s41, v1
	v_add_u32_e32 v2, v1, v2
	v_lshrrev_b32_e32 v2, s14, v2
	v_mul_lo_u32 v2, v2, s40
	s_load_dword s14, s[0:1], 0xe4
	v_sub_u32_e32 v2, v1, v2
	v_mad_u64_u32 v[0:1], s[0:1], v2, s42, v[0:1]
	v_mad_u64_u32 v[5:6], s[0:1], v2, s43, v[5:6]
	s_waitcnt lgkmcnt(0)
	v_mad_u64_u32 v[3:4], s[0:1], v2, s14, v[3:4]
	s_cbranch_execz .LBB135_11
	s_branch .LBB135_13
.LBB135_8:
                                        ; implicit-def: $vgpr0
                                        ; implicit-def: $vgpr5
                                        ; implicit-def: $vgpr3
	s_andn2_b64 vcc, exec, s[0:1]
	s_cbranch_vccz .LBB135_11
	s_branch .LBB135_13
.LBB135_9:
	v_mov_b32_e32 v0, 0
	v_mov_b32_e32 v5, 0
	;; [unrolled: 1-line block ×3, first 2 shown]
.LBB135_10:
	s_cbranch_execnz .LBB135_13
.LBB135_11:
	v_mul_hi_u32 v0, s17, v8
	s_andn2_b64 vcc, exec, s[36:37]
	v_add_u32_e32 v0, v8, v0
	v_lshrrev_b32_e32 v1, s18, v0
	v_mul_lo_u32 v0, v1, s16
	v_sub_u32_e32 v2, v8, v0
	v_mul_lo_u32 v0, v2, s20
	v_mul_lo_u32 v5, v2, s21
	;; [unrolled: 1-line block ×3, first 2 shown]
	s_cbranch_vccnz .LBB135_13
; %bb.12:
	v_mul_hi_u32 v2, s34, v1
	v_add_u32_e32 v2, v1, v2
	v_lshrrev_b32_e32 v2, s35, v2
	v_mul_lo_u32 v2, v2, s19
	v_sub_u32_e32 v2, v1, v2
	v_mad_u64_u32 v[0:1], s[0:1], v2, s23, v[0:1]
	v_mad_u64_u32 v[5:6], s[0:1], v2, s30, v[5:6]
	;; [unrolled: 1-line block ×3, first 2 shown]
.LBB135_13:
	v_mov_b32_e32 v1, s11
	s_and_b32 s14, s74, 0xff
	v_add_co_u32_e32 v4, vcc, s10, v5
	s_cmp_lt_i32 s14, 11
	v_addc_co_u32_e32 v5, vcc, 0, v1, vcc
	s_cbranch_scc1 .LBB135_20
; %bb.14:
	s_and_b32 s48, 0xffff, s14
	s_cmp_gt_i32 s48, 25
	s_cbranch_scc0 .LBB135_29
; %bb.15:
	s_cmp_gt_i32 s48, 28
	s_cbranch_scc0 .LBB135_42
; %bb.16:
	;; [unrolled: 3-line block ×4, first 2 shown]
	s_cmp_eq_u32 s48, 46
	s_mov_b64 s[40:41], 0
	s_cbranch_scc0 .LBB135_52
; %bb.19:
	global_load_dword v1, v[4:5], off
	s_mov_b64 s[0:1], -1
	s_mov_b64 s[44:45], 0
	s_waitcnt vmcnt(0)
	v_and_b32_e32 v2, 0xffff0000, v1
	v_lshlrev_b32_e32 v1, 16, v1
	s_branch .LBB135_54
.LBB135_20:
	s_mov_b64 s[44:45], 0
                                        ; implicit-def: $vgpr2
	s_mov_b64 s[0:1], 0
	s_cbranch_execnz .LBB135_122
.LBB135_21:
	s_andn2_b64 vcc, exec, s[0:1]
	s_cbranch_vccnz .LBB135_171
.LBB135_22:
	v_mov_b32_e32 v4, s13
	s_and_b32 s14, s73, 0xff
	v_add_co_u32_e32 v3, vcc, s12, v3
	s_cmp_lt_i32 s14, 11
	v_addc_co_u32_e32 v4, vcc, 0, v4, vcc
	s_cbranch_scc1 .LBB135_30
; %bb.23:
	s_and_b32 s52, 0xffff, s14
	s_cmp_gt_i32 s52, 25
	s_cbranch_scc0 .LBB135_43
; %bb.24:
	s_cmp_gt_i32 s52, 28
	s_cbranch_scc0 .LBB135_47
; %bb.25:
	;; [unrolled: 3-line block ×4, first 2 shown]
	s_cmp_eq_u32 s52, 46
	s_mov_b64 s[40:41], 0
	s_cbranch_scc0 .LBB135_172
; %bb.28:
	global_load_dword v5, v[3:4], off
	s_mov_b64 s[0:1], -1
	s_mov_b64 s[42:43], 0
	s_waitcnt vmcnt(0)
	v_and_b32_e32 v6, 0xffff0000, v5
	v_lshlrev_b32_e32 v5, 16, v5
	s_branch .LBB135_174
.LBB135_29:
	s_mov_b64 s[44:45], 0
	s_mov_b64 s[0:1], 0
                                        ; implicit-def: $vgpr2
	s_cbranch_execnz .LBB135_87
	s_branch .LBB135_121
.LBB135_30:
	s_mov_b64 s[42:43], 0
                                        ; implicit-def: $vgpr6
	s_mov_b64 s[0:1], 0
	s_cbranch_execnz .LBB135_354
.LBB135_31:
	s_andn2_b64 vcc, exec, s[0:1]
	s_cbranch_vccnz .LBB135_404
.LBB135_32:
	s_and_b64 vcc, exec, s[28:29]
	s_cbranch_vccz .LBB135_45
; %bb.33:
	s_waitcnt vmcnt(0)
	v_cmp_neq_f32_e32 vcc, v1, v5
	v_cmp_neq_f32_e64 s[0:1], v2, v6
	s_or_b64 s[40:41], vcc, s[0:1]
	s_cbranch_execnz .LBB135_35
.LBB135_34:
	s_waitcnt vmcnt(0)
	v_cmp_eq_f32_e32 vcc, v1, v5
	v_cmp_eq_f32_e64 s[0:1], v2, v6
	s_and_b64 s[0:1], vcc, s[0:1]
	s_andn2_b64 s[40:41], s[40:41], exec
	s_and_b64 s[0:1], s[0:1], exec
	s_or_b64 s[40:41], s[40:41], s[0:1]
.LBB135_35:
	s_waitcnt vmcnt(0)
	v_mov_b32_e32 v1, s9
	s_and_b32 s14, s15, 0xff
	v_add_co_u32_e32 v0, vcc, s8, v0
	s_cmp_lt_i32 s14, 11
	v_addc_co_u32_e32 v1, vcc, 0, v1, vcc
	s_cbranch_scc1 .LBB135_44
; %bb.36:
	s_and_b32 s56, 0xffff, s14
	s_cmp_gt_i32 s56, 25
	s_cbranch_scc0 .LBB135_48
; %bb.37:
	s_cmp_gt_i32 s56, 28
	s_cbranch_scc0 .LBB135_51
; %bb.38:
	;; [unrolled: 3-line block ×4, first 2 shown]
	s_mov_b64 s[52:53], 0
	s_mov_b64 s[0:1], -1
	s_cmp_eq_u32 s56, 46
	s_mov_b64 s[48:49], 0
	s_cbranch_scc0 .LBB135_178
; %bb.41:
	v_cndmask_b32_e64 v2, 0, 1.0, s[40:41]
	v_bfe_u32 v3, v2, 16, 1
	s_movk_i32 s0, 0x7fff
	v_add3_u32 v2, v2, v3, s0
	v_lshrrev_b32_e32 v2, 16, v2
	global_store_dword v[0:1], v2, off
	s_mov_b64 s[48:49], -1
	s_mov_b64 s[0:1], 0
	s_branch .LBB135_178
.LBB135_42:
	s_mov_b64 s[40:41], -1
	s_mov_b64 s[44:45], 0
	s_mov_b64 s[0:1], 0
                                        ; implicit-def: $vgpr2
	s_branch .LBB135_68
.LBB135_43:
	s_mov_b64 s[40:41], -1
	s_mov_b64 s[42:43], 0
	s_mov_b64 s[0:1], 0
                                        ; implicit-def: $vgpr6
	s_branch .LBB135_317
.LBB135_44:
	s_mov_b64 s[52:53], -1
	s_mov_b64 s[0:1], 0
	s_mov_b64 s[48:49], 0
	s_branch .LBB135_247
.LBB135_45:
                                        ; implicit-def: $sgpr40_sgpr41
	s_branch .LBB135_34
.LBB135_46:
	s_mov_b64 s[40:41], -1
	s_mov_b64 s[44:45], 0
	s_mov_b64 s[0:1], 0
                                        ; implicit-def: $vgpr2
	s_branch .LBB135_62
.LBB135_47:
	s_mov_b64 s[40:41], -1
	s_mov_b64 s[42:43], 0
	s_mov_b64 s[0:1], 0
                                        ; implicit-def: $vgpr6
	s_branch .LBB135_298
.LBB135_48:
	s_mov_b64 s[52:53], -1
	s_mov_b64 s[0:1], 0
	s_mov_b64 s[48:49], 0
	s_branch .LBB135_205
.LBB135_49:
	s_mov_b64 s[40:41], -1
	s_mov_b64 s[44:45], 0
	s_branch .LBB135_53
.LBB135_50:
	s_mov_b64 s[40:41], -1
	s_mov_b64 s[42:43], 0
	s_mov_b64 s[0:1], 0
                                        ; implicit-def: $vgpr6
	s_branch .LBB135_292
.LBB135_51:
	s_mov_b64 s[52:53], -1
	s_mov_b64 s[0:1], 0
	s_mov_b64 s[48:49], 0
	s_branch .LBB135_188
.LBB135_52:
	s_mov_b64 s[44:45], -1
.LBB135_53:
	s_mov_b64 s[0:1], 0
                                        ; implicit-def: $vgpr2
.LBB135_54:
	s_and_b64 vcc, exec, s[40:41]
	s_cbranch_vccz .LBB135_61
; %bb.55:
	s_cmp_eq_u32 s48, 44
	s_cbranch_scc0 .LBB135_59
; %bb.56:
	global_load_ubyte v1, v[4:5], off
	s_movk_i32 s40, 0xff
	v_mov_b32_e32 v2, 0x7f800001
	v_mov_b32_e32 v6, 0x400000
	s_mov_b64 s[0:1], -1
	s_mov_b64 s[44:45], 0
	s_waitcnt vmcnt(0)
	v_lshlrev_b32_e32 v7, 23, v1
	v_cmp_ne_u32_e32 vcc, s40, v1
	v_cndmask_b32_e32 v2, v2, v7, vcc
	v_cmp_ne_u32_e32 vcc, 0, v1
	v_cndmask_b32_e32 v1, v6, v2, vcc
	s_branch .LBB135_60
.LBB135_57:
	s_mov_b64 s[40:41], -1
	s_mov_b64 s[42:43], 0
	s_branch .LBB135_173
.LBB135_58:
	s_mov_b64 s[52:53], -1
	s_mov_b64 s[0:1], 0
	s_mov_b64 s[48:49], 0
	s_branch .LBB135_184
.LBB135_59:
	s_mov_b64 s[44:45], -1
                                        ; implicit-def: $vgpr1
.LBB135_60:
	v_mov_b32_e32 v2, 0
.LBB135_61:
	s_mov_b64 s[40:41], 0
.LBB135_62:
	s_and_b64 vcc, exec, s[40:41]
	s_cbranch_vccz .LBB135_67
; %bb.63:
	s_cmp_eq_u32 s48, 29
	s_cbranch_scc0 .LBB135_65
; %bb.64:
	global_load_dwordx2 v[1:2], v[4:5], off
	s_mov_b64 s[0:1], -1
	s_mov_b64 s[44:45], 0
	s_waitcnt vmcnt(0)
	v_ffbh_u32_e32 v6, v2
	v_min_u32_e32 v6, 32, v6
	v_lshlrev_b64 v[1:2], v6, v[1:2]
	v_min_u32_e32 v1, 1, v1
	v_or_b32_e32 v1, v2, v1
	v_cvt_f32_u32_e32 v1, v1
	v_sub_u32_e32 v2, 32, v6
	v_ldexp_f32 v1, v1, v2
	s_branch .LBB135_66
.LBB135_65:
	s_mov_b64 s[44:45], -1
                                        ; implicit-def: $vgpr1
.LBB135_66:
	v_mov_b32_e32 v2, 0
.LBB135_67:
	s_mov_b64 s[40:41], 0
.LBB135_68:
	s_and_b64 vcc, exec, s[40:41]
	s_cbranch_vccz .LBB135_86
; %bb.69:
	s_cmp_lt_i32 s48, 27
	s_cbranch_scc1 .LBB135_72
; %bb.70:
	s_cmp_gt_i32 s48, 27
	s_cbranch_scc0 .LBB135_73
; %bb.71:
	global_load_dword v1, v[4:5], off
	s_mov_b64 s[0:1], 0
	s_waitcnt vmcnt(0)
	v_cvt_f32_u32_e32 v1, v1
	s_branch .LBB135_74
.LBB135_72:
	s_mov_b64 s[0:1], -1
                                        ; implicit-def: $vgpr1
	s_branch .LBB135_77
.LBB135_73:
	s_mov_b64 s[0:1], -1
                                        ; implicit-def: $vgpr1
.LBB135_74:
	s_andn2_b64 vcc, exec, s[0:1]
	s_cbranch_vccnz .LBB135_76
; %bb.75:
	global_load_ushort v1, v[4:5], off
	s_waitcnt vmcnt(0)
	v_cvt_f32_u32_e32 v1, v1
.LBB135_76:
	s_mov_b64 s[0:1], 0
.LBB135_77:
	s_andn2_b64 vcc, exec, s[0:1]
	s_cbranch_vccnz .LBB135_85
; %bb.78:
	global_load_ubyte v2, v[4:5], off
	s_movk_i32 s0, 0x7f
	s_waitcnt vmcnt(0)
	v_cmp_lt_i16_e32 vcc, s0, v2
	s_mov_b64 s[0:1], 0
	s_and_saveexec_b64 s[40:41], vcc
	s_xor_b64 s[40:41], exec, s[40:41]
	s_cbranch_execz .LBB135_98
; %bb.79:
	s_movk_i32 s0, 0x80
	v_cmp_eq_u16_e32 vcc, s0, v2
	s_mov_b64 s[0:1], -1
	s_and_saveexec_b64 s[42:43], vcc
; %bb.80:
	s_xor_b64 s[0:1], exec, -1
; %bb.81:
	s_or_b64 exec, exec, s[42:43]
	s_and_b64 s[0:1], s[0:1], exec
	s_or_saveexec_b64 s[40:41], s[40:41]
	v_mov_b32_e32 v1, 0x7f800001
	s_xor_b64 exec, exec, s[40:41]
	s_cbranch_execnz .LBB135_99
.LBB135_82:
	s_or_b64 exec, exec, s[40:41]
	s_and_saveexec_b64 s[40:41], s[0:1]
	s_cbranch_execz .LBB135_84
.LBB135_83:
	v_lshlrev_b32_e32 v1, 24, v2
	v_and_b32_e32 v2, 0xffff, v2
	v_and_b32_e32 v6, 7, v2
	v_ffbh_u32_e32 v9, v6
	v_min_u32_e32 v9, 32, v9
	v_subrev_u32_e32 v10, 28, v9
	v_bfe_u32 v7, v2, 3, 4
	v_lshlrev_b32_e32 v2, v10, v2
	v_sub_u32_e32 v9, 29, v9
	v_and_b32_e32 v2, 7, v2
	v_cmp_eq_u32_e32 vcc, 0, v7
	v_cndmask_b32_e32 v7, v7, v9, vcc
	v_cndmask_b32_e32 v2, v6, v2, vcc
	v_mov_b32_e32 v6, 0x3b800000
	v_lshlrev_b32_e32 v2, 20, v2
	v_and_b32_e32 v1, 0x80000000, v1
	v_lshl_add_u32 v6, v7, 23, v6
	v_or3_b32 v1, v1, v6, v2
.LBB135_84:
	s_or_b64 exec, exec, s[40:41]
.LBB135_85:
	s_mov_b64 s[0:1], -1
	v_mov_b32_e32 v2, 0
.LBB135_86:
	s_branch .LBB135_121
.LBB135_87:
	s_cmp_gt_i32 s48, 22
	s_cbranch_scc0 .LBB135_97
; %bb.88:
	s_cmp_lt_i32 s48, 24
	s_cbranch_scc1 .LBB135_100
; %bb.89:
	s_cmp_gt_i32 s48, 24
	s_cbranch_scc0 .LBB135_101
; %bb.90:
	global_load_ubyte v2, v[4:5], off
	s_movk_i32 s0, 0x7f
	s_waitcnt vmcnt(0)
	v_cmp_lt_i16_e32 vcc, s0, v2
	s_mov_b64 s[0:1], 0
	s_and_saveexec_b64 s[40:41], vcc
	s_xor_b64 s[40:41], exec, s[40:41]
	s_cbranch_execz .LBB135_112
; %bb.91:
	s_movk_i32 s0, 0x80
	v_cmp_eq_u16_e32 vcc, s0, v2
	s_mov_b64 s[0:1], -1
	s_and_saveexec_b64 s[42:43], vcc
; %bb.92:
	s_xor_b64 s[0:1], exec, -1
; %bb.93:
	s_or_b64 exec, exec, s[42:43]
	s_and_b64 s[0:1], s[0:1], exec
	s_or_saveexec_b64 s[40:41], s[40:41]
	v_mov_b32_e32 v1, 0x7f800001
	s_xor_b64 exec, exec, s[40:41]
	s_cbranch_execnz .LBB135_113
.LBB135_94:
	s_or_b64 exec, exec, s[40:41]
	s_and_saveexec_b64 s[40:41], s[0:1]
	s_cbranch_execz .LBB135_96
.LBB135_95:
	v_lshlrev_b32_e32 v1, 24, v2
	v_and_b32_e32 v2, 0xffff, v2
	v_and_b32_e32 v6, 3, v2
	v_ffbh_u32_e32 v9, v6
	v_min_u32_e32 v9, 32, v9
	v_subrev_u32_e32 v10, 29, v9
	v_bfe_u32 v7, v2, 2, 5
	v_lshlrev_b32_e32 v2, v10, v2
	v_sub_u32_e32 v9, 30, v9
	v_and_b32_e32 v2, 3, v2
	v_cmp_eq_u32_e32 vcc, 0, v7
	v_cndmask_b32_e32 v7, v7, v9, vcc
	v_cndmask_b32_e32 v2, v6, v2, vcc
	v_mov_b32_e32 v6, 0x37800000
	v_lshlrev_b32_e32 v2, 21, v2
	v_and_b32_e32 v1, 0x80000000, v1
	v_lshl_add_u32 v6, v7, 23, v6
	v_or3_b32 v1, v1, v6, v2
.LBB135_96:
	s_or_b64 exec, exec, s[40:41]
	s_mov_b64 s[0:1], 0
	s_branch .LBB135_102
.LBB135_97:
                                        ; implicit-def: $vgpr1
	s_branch .LBB135_108
.LBB135_98:
	s_or_saveexec_b64 s[40:41], s[40:41]
	v_mov_b32_e32 v1, 0x7f800001
	s_xor_b64 exec, exec, s[40:41]
	s_cbranch_execz .LBB135_82
.LBB135_99:
	v_cmp_ne_u16_e32 vcc, 0, v2
	s_andn2_b64 s[0:1], s[0:1], exec
	s_and_b64 s[42:43], vcc, exec
	v_mov_b32_e32 v1, 0
	s_or_b64 s[0:1], s[0:1], s[42:43]
	s_or_b64 exec, exec, s[40:41]
	s_and_saveexec_b64 s[40:41], s[0:1]
	s_cbranch_execnz .LBB135_83
	s_branch .LBB135_84
.LBB135_100:
	s_mov_b64 s[0:1], -1
                                        ; implicit-def: $vgpr1
	s_branch .LBB135_105
.LBB135_101:
	s_mov_b64 s[0:1], -1
                                        ; implicit-def: $vgpr1
.LBB135_102:
	s_and_b64 vcc, exec, s[0:1]
	s_cbranch_vccz .LBB135_104
; %bb.103:
	global_load_ubyte v1, v[4:5], off
	s_mov_b32 s0, 0x7f800000
	s_waitcnt vmcnt(0)
	v_lshlrev_b32_e32 v1, 24, v1
	v_and_b32_e32 v2, 0x7f000000, v1
	v_ffbh_u32_e32 v6, v2
	v_min_u32_e32 v6, 32, v6
	v_sub_u32_e64 v6, v6, 4 clamp
	v_lshlrev_b32_e32 v9, v6, v2
	v_lshlrev_b32_e32 v6, 23, v6
	v_lshrrev_b32_e32 v9, 4, v9
	v_add_u32_e32 v7, 0x1000000, v2
	v_sub_u32_e32 v6, v9, v6
	v_ashrrev_i32_e32 v7, 8, v7
	v_add_u32_e32 v6, 0x3c000000, v6
	v_and_or_b32 v6, v7, s0, v6
	v_cmp_ne_u32_e32 vcc, 0, v2
	v_cndmask_b32_e32 v2, 0, v6, vcc
	s_brev_b32 s0, 1
	v_and_or_b32 v1, v1, s0, v2
.LBB135_104:
	s_mov_b64 s[0:1], 0
.LBB135_105:
	s_andn2_b64 vcc, exec, s[0:1]
	s_cbranch_vccnz .LBB135_107
; %bb.106:
	global_load_ubyte v1, v[4:5], off
	s_movk_i32 s0, 0x7f00
	s_brev_b32 s1, 16
	s_waitcnt vmcnt(0)
	v_lshlrev_b16_e32 v2, 8, v1
	v_lshlrev_b32_e32 v1, 25, v1
	v_lshrrev_b32_e32 v6, 4, v1
	v_and_or_b32 v7, v2, s0, 0.5
	v_or_b32_e32 v6, 0x70000000, v6
	v_add_f32_e32 v7, -0.5, v7
	v_mul_f32_e32 v6, 0x7800000, v6
	v_cmp_gt_u32_e32 vcc, s1, v1
	v_bfe_i32 v2, v2, 0, 16
	v_cndmask_b32_e32 v1, v6, v7, vcc
	s_brev_b32 s0, 1
	v_and_or_b32 v1, v2, s0, v1
.LBB135_107:
	s_mov_b64 s[0:1], -1
	s_cbranch_execnz .LBB135_120
.LBB135_108:
	s_cmp_gt_i32 s48, 14
	s_cbranch_scc0 .LBB135_111
; %bb.109:
	s_cmp_eq_u32 s48, 15
	s_cbranch_scc0 .LBB135_114
; %bb.110:
	global_load_ushort v1, v[4:5], off
	s_mov_b64 s[0:1], -1
	s_mov_b64 s[44:45], 0
	s_waitcnt vmcnt(0)
	v_lshlrev_b32_e32 v1, 16, v1
	s_branch .LBB135_115
.LBB135_111:
	s_mov_b64 s[40:41], -1
                                        ; implicit-def: $vgpr1
	s_branch .LBB135_116
.LBB135_112:
	s_or_saveexec_b64 s[40:41], s[40:41]
	v_mov_b32_e32 v1, 0x7f800001
	s_xor_b64 exec, exec, s[40:41]
	s_cbranch_execz .LBB135_94
.LBB135_113:
	v_cmp_ne_u16_e32 vcc, 0, v2
	s_andn2_b64 s[0:1], s[0:1], exec
	s_and_b64 s[42:43], vcc, exec
	v_mov_b32_e32 v1, 0
	s_or_b64 s[0:1], s[0:1], s[42:43]
	s_or_b64 exec, exec, s[40:41]
	s_and_saveexec_b64 s[40:41], s[0:1]
	s_cbranch_execnz .LBB135_95
	s_branch .LBB135_96
.LBB135_114:
	s_mov_b64 s[44:45], -1
                                        ; implicit-def: $vgpr1
.LBB135_115:
	s_mov_b64 s[40:41], 0
.LBB135_116:
	s_and_b64 vcc, exec, s[40:41]
	s_cbranch_vccz .LBB135_120
; %bb.117:
	s_cmp_eq_u32 s48, 11
	s_cbranch_scc0 .LBB135_119
; %bb.118:
	global_load_ubyte v1, v[4:5], off
	s_mov_b64 s[0:1], -1
	s_mov_b64 s[44:45], 0
	v_mov_b32_e32 v2, 0
	s_waitcnt vmcnt(0)
	v_cmp_ne_u16_e32 vcc, 0, v1
	v_cndmask_b32_e64 v1, 0, 1.0, vcc
	s_branch .LBB135_121
.LBB135_119:
	s_mov_b64 s[44:45], -1
                                        ; implicit-def: $vgpr1
.LBB135_120:
	v_mov_b32_e32 v2, 0
.LBB135_121:
	s_branch .LBB135_21
.LBB135_122:
	s_and_b32 s14, 0xffff, s14
	s_cmp_lt_i32 s14, 5
	s_cbranch_scc1 .LBB135_127
; %bb.123:
	s_cmp_lt_i32 s14, 8
	s_cbranch_scc1 .LBB135_128
; %bb.124:
	;; [unrolled: 3-line block ×3, first 2 shown]
	s_cmp_gt_i32 s14, 9
	s_cbranch_scc0 .LBB135_130
; %bb.126:
	global_load_dwordx4 v[9:12], v[4:5], off
	s_mov_b64 s[0:1], 0
	s_waitcnt vmcnt(0)
	v_cvt_f32_f64_e32 v1, v[9:10]
	v_cvt_f32_f64_e32 v2, v[11:12]
	s_branch .LBB135_131
.LBB135_127:
                                        ; implicit-def: $vgpr2
	s_branch .LBB135_150
.LBB135_128:
	s_mov_b64 s[0:1], -1
                                        ; implicit-def: $vgpr2
	s_branch .LBB135_137
.LBB135_129:
	s_mov_b64 s[0:1], -1
                                        ; implicit-def: $vgpr2
	s_branch .LBB135_134
.LBB135_130:
	s_mov_b64 s[0:1], -1
                                        ; implicit-def: $vgpr2
.LBB135_131:
	s_andn2_b64 vcc, exec, s[0:1]
	s_cbranch_vccnz .LBB135_133
; %bb.132:
	global_load_dwordx2 v[1:2], v[4:5], off
.LBB135_133:
	s_mov_b64 s[0:1], 0
.LBB135_134:
	s_andn2_b64 vcc, exec, s[0:1]
	s_cbranch_vccnz .LBB135_136
; %bb.135:
	global_load_dword v2, v[4:5], off
	s_waitcnt vmcnt(0)
	v_cvt_f32_f16_e32 v1, v2
	v_cvt_f32_f16_sdwa v2, v2 dst_sel:DWORD dst_unused:UNUSED_PAD src0_sel:WORD_1
.LBB135_136:
	s_mov_b64 s[0:1], 0
.LBB135_137:
	s_andn2_b64 vcc, exec, s[0:1]
	s_cbranch_vccnz .LBB135_149
; %bb.138:
	s_cmp_lt_i32 s14, 6
	s_cbranch_scc1 .LBB135_141
; %bb.139:
	s_cmp_gt_i32 s14, 6
	s_cbranch_scc0 .LBB135_142
; %bb.140:
	global_load_dwordx2 v[1:2], v[4:5], off
	s_mov_b64 s[0:1], 0
	s_waitcnt vmcnt(0)
	v_cvt_f32_f64_e32 v1, v[1:2]
	s_branch .LBB135_143
.LBB135_141:
	s_mov_b64 s[0:1], -1
                                        ; implicit-def: $vgpr1
	s_branch .LBB135_146
.LBB135_142:
	s_mov_b64 s[0:1], -1
                                        ; implicit-def: $vgpr1
.LBB135_143:
	s_andn2_b64 vcc, exec, s[0:1]
	s_cbranch_vccnz .LBB135_145
; %bb.144:
	global_load_dword v1, v[4:5], off
.LBB135_145:
	s_mov_b64 s[0:1], 0
.LBB135_146:
	s_andn2_b64 vcc, exec, s[0:1]
	s_cbranch_vccnz .LBB135_148
; %bb.147:
	global_load_ushort v1, v[4:5], off
	s_waitcnt vmcnt(0)
	v_cvt_f32_f16_e32 v1, v1
.LBB135_148:
	s_waitcnt vmcnt(0)
	v_mov_b32_e32 v2, 0
.LBB135_149:
	s_cbranch_execnz .LBB135_170
.LBB135_150:
	s_cmp_lt_i32 s14, 2
	s_cbranch_scc1 .LBB135_154
; %bb.151:
	s_cmp_lt_i32 s14, 3
	s_cbranch_scc1 .LBB135_155
; %bb.152:
	s_cmp_gt_i32 s14, 3
	s_cbranch_scc0 .LBB135_156
; %bb.153:
	global_load_dwordx2 v[1:2], v[4:5], off
	s_mov_b64 s[0:1], 0
	s_waitcnt vmcnt(0)
	v_xor_b32_e32 v7, v1, v2
	v_ffbh_i32_e32 v6, v2
	v_ashrrev_i32_e32 v7, 31, v7
	v_add_u32_e32 v6, -1, v6
	v_add_u32_e32 v7, 32, v7
	v_min_u32_e32 v6, v6, v7
	v_lshlrev_b64 v[1:2], v6, v[1:2]
	v_min_u32_e32 v1, 1, v1
	v_or_b32_e32 v1, v2, v1
	v_cvt_f32_i32_e32 v1, v1
	v_sub_u32_e32 v2, 32, v6
	v_ldexp_f32 v1, v1, v2
	s_branch .LBB135_157
.LBB135_154:
	s_mov_b64 s[0:1], -1
                                        ; implicit-def: $vgpr1
	s_branch .LBB135_163
.LBB135_155:
	s_mov_b64 s[0:1], -1
                                        ; implicit-def: $vgpr1
	s_branch .LBB135_160
.LBB135_156:
	s_mov_b64 s[0:1], -1
                                        ; implicit-def: $vgpr1
.LBB135_157:
	s_andn2_b64 vcc, exec, s[0:1]
	s_cbranch_vccnz .LBB135_159
; %bb.158:
	global_load_dword v1, v[4:5], off
	s_waitcnt vmcnt(0)
	v_cvt_f32_i32_e32 v1, v1
.LBB135_159:
	s_mov_b64 s[0:1], 0
.LBB135_160:
	s_andn2_b64 vcc, exec, s[0:1]
	s_cbranch_vccnz .LBB135_162
; %bb.161:
	global_load_sshort v1, v[4:5], off
	s_waitcnt vmcnt(0)
	v_cvt_f32_i32_e32 v1, v1
.LBB135_162:
	s_mov_b64 s[0:1], 0
.LBB135_163:
	s_andn2_b64 vcc, exec, s[0:1]
	s_cbranch_vccnz .LBB135_169
; %bb.164:
	s_cmp_gt_i32 s14, 0
	s_cbranch_scc0 .LBB135_166
; %bb.165:
	global_load_sbyte v1, v[4:5], off
	s_mov_b64 s[0:1], 0
	s_waitcnt vmcnt(0)
	v_cvt_f32_i32_e32 v1, v1
	s_branch .LBB135_167
.LBB135_166:
	s_mov_b64 s[0:1], -1
                                        ; implicit-def: $vgpr1
.LBB135_167:
	s_andn2_b64 vcc, exec, s[0:1]
	s_cbranch_vccnz .LBB135_169
; %bb.168:
	global_load_ubyte v1, v[4:5], off
	s_waitcnt vmcnt(0)
	v_cvt_f32_ubyte0_e32 v1, v1
.LBB135_169:
	s_waitcnt vmcnt(0)
	v_mov_b32_e32 v2, 0
.LBB135_170:
	s_branch .LBB135_22
.LBB135_171:
	s_mov_b64 s[0:1], 0
	s_mov_b64 s[42:43], 0
	s_branch .LBB135_405
.LBB135_172:
	s_mov_b64 s[42:43], -1
.LBB135_173:
	s_mov_b64 s[0:1], 0
                                        ; implicit-def: $vgpr6
.LBB135_174:
	s_and_b64 vcc, exec, s[40:41]
	s_cbranch_vccz .LBB135_291
; %bb.175:
	s_cmp_eq_u32 s52, 44
	s_cbranch_scc0 .LBB135_289
; %bb.176:
	global_load_ubyte v5, v[3:4], off
	s_movk_i32 s40, 0xff
	v_mov_b32_e32 v6, 0x7f800001
	v_mov_b32_e32 v7, 0x400000
	s_mov_b64 s[0:1], -1
	s_mov_b64 s[42:43], 0
	s_waitcnt vmcnt(0)
	v_lshlrev_b32_e32 v9, 23, v5
	v_cmp_ne_u32_e32 vcc, s40, v5
	v_cndmask_b32_e32 v6, v6, v9, vcc
	v_cmp_ne_u32_e32 vcc, 0, v5
	v_cndmask_b32_e32 v5, v7, v6, vcc
	s_branch .LBB135_290
.LBB135_177:
	s_mov_b64 s[52:53], -1
	s_mov_b64 s[0:1], 0
	s_mov_b64 s[48:49], 0
.LBB135_178:
	s_and_b64 vcc, exec, s[52:53]
	s_cbranch_vccz .LBB135_183
; %bb.179:
	s_cmp_eq_u32 s56, 44
	s_mov_b64 s[0:1], -1
	s_cbranch_scc0 .LBB135_183
; %bb.180:
	v_cndmask_b32_e64 v3, 0, 1.0, s[40:41]
	v_lshrrev_b32_e32 v2, 23, v3
	s_movk_i32 s0, 0xff
	v_cmp_ne_u32_e32 vcc, s0, v2
	v_mov_b32_e32 v4, 0xff
	s_and_saveexec_b64 s[48:49], vcc
; %bb.181:
	s_mov_b32 s0, 0x3fffff
	v_and_b32_e32 v4, 0x400000, v3
	v_and_or_b32 v3, v3, s0, v2
	v_cmp_ne_u32_e32 vcc, 0, v4
	v_cmp_ne_u32_e64 s[0:1], 0, v3
	s_and_b64 s[0:1], vcc, s[0:1]
	v_cndmask_b32_e64 v3, 0, 1, s[0:1]
	v_add_u32_e32 v4, v2, v3
; %bb.182:
	s_or_b64 exec, exec, s[48:49]
	s_mov_b64 s[48:49], -1
	s_mov_b64 s[0:1], 0
	global_store_byte v[0:1], v4, off
.LBB135_183:
	s_mov_b64 s[52:53], 0
.LBB135_184:
	s_and_b64 vcc, exec, s[52:53]
	s_cbranch_vccz .LBB135_187
; %bb.185:
	s_cmp_eq_u32 s56, 29
	s_mov_b64 s[0:1], -1
	s_cbranch_scc0 .LBB135_187
; %bb.186:
	s_mov_b32 s0, 0
	v_cndmask_b32_e64 v2, 0, 1, s[40:41]
	v_mov_b32_e32 v3, s0
	global_store_dwordx2 v[0:1], v[2:3], off
	s_mov_b64 s[48:49], -1
	s_mov_b64 s[0:1], 0
.LBB135_187:
	s_mov_b64 s[52:53], 0
.LBB135_188:
	s_and_b64 vcc, exec, s[52:53]
	s_cbranch_vccz .LBB135_204
; %bb.189:
	s_cmp_lt_i32 s56, 27
	s_mov_b64 s[48:49], -1
	s_cbranch_scc1 .LBB135_195
; %bb.190:
	s_cmp_gt_i32 s56, 27
	s_cbranch_scc0 .LBB135_192
; %bb.191:
	v_cndmask_b32_e64 v2, 0, 1, s[40:41]
	s_mov_b64 s[48:49], 0
	global_store_dword v[0:1], v2, off
.LBB135_192:
	s_andn2_b64 vcc, exec, s[48:49]
	s_cbranch_vccnz .LBB135_194
; %bb.193:
	v_cndmask_b32_e64 v2, 0, 1, s[40:41]
	global_store_short v[0:1], v2, off
.LBB135_194:
	s_mov_b64 s[48:49], 0
.LBB135_195:
	s_andn2_b64 vcc, exec, s[48:49]
	s_cbranch_vccnz .LBB135_203
; %bb.196:
	v_cndmask_b32_e64 v3, 0, 1.0, s[40:41]
	s_mov_b32 s48, 0x43800000
	v_cmp_gt_u32_e32 vcc, s48, v3
	v_mov_b32_e32 v4, 0x80
	s_and_saveexec_b64 s[48:49], vcc
	s_cbranch_execz .LBB135_202
; %bb.197:
	s_mov_b32 s52, 0x3bffffff
	v_cmp_lt_u32_e32 vcc, s52, v3
	s_mov_b64 s[52:53], 0
                                        ; implicit-def: $vgpr2
	s_and_saveexec_b64 s[54:55], vcc
	s_xor_b64 s[54:55], exec, s[54:55]
	s_cbranch_execz .LBB135_447
; %bb.198:
	v_bfe_u32 v2, v3, 20, 1
	s_mov_b32 s57, 0x487ffff
	v_add3_u32 v2, v3, v2, s57
	s_mov_b64 s[52:53], exec
	v_lshrrev_b32_e32 v2, 20, v2
                                        ; implicit-def: $vgpr3
	s_andn2_saveexec_b64 s[54:55], s[54:55]
	s_cbranch_execnz .LBB135_448
.LBB135_199:
	s_or_b64 exec, exec, s[54:55]
	v_mov_b32_e32 v4, 0
	s_and_saveexec_b64 s[54:55], s[52:53]
.LBB135_200:
	v_mov_b32_e32 v4, v2
.LBB135_201:
	s_or_b64 exec, exec, s[54:55]
.LBB135_202:
	s_or_b64 exec, exec, s[48:49]
	global_store_byte v[0:1], v4, off
.LBB135_203:
	s_mov_b64 s[48:49], -1
.LBB135_204:
	s_mov_b64 s[52:53], 0
.LBB135_205:
	s_and_b64 vcc, exec, s[52:53]
	s_cbranch_vccz .LBB135_246
; %bb.206:
	s_cmp_gt_i32 s56, 22
	s_mov_b64 s[52:53], -1
	s_cbranch_scc0 .LBB135_238
; %bb.207:
	s_cmp_lt_i32 s56, 24
	s_mov_b64 s[48:49], -1
	s_cbranch_scc1 .LBB135_227
; %bb.208:
	s_cmp_gt_i32 s56, 24
	s_cbranch_scc0 .LBB135_216
; %bb.209:
	v_cndmask_b32_e64 v3, 0, 1.0, s[40:41]
	s_mov_b32 s48, 0x47800000
	v_cmp_gt_u32_e32 vcc, s48, v3
	v_mov_b32_e32 v4, 0x80
	s_and_saveexec_b64 s[48:49], vcc
	s_cbranch_execz .LBB135_215
; %bb.210:
	s_mov_b32 s52, 0x37ffffff
	v_cmp_lt_u32_e32 vcc, s52, v3
	s_mov_b64 s[52:53], 0
                                        ; implicit-def: $vgpr2
	s_and_saveexec_b64 s[54:55], vcc
	s_xor_b64 s[54:55], exec, s[54:55]
	s_cbranch_execz .LBB135_571
; %bb.211:
	v_bfe_u32 v2, v3, 21, 1
	s_mov_b32 s57, 0x88fffff
	v_add3_u32 v2, v3, v2, s57
	s_mov_b64 s[52:53], exec
	v_lshrrev_b32_e32 v2, 21, v2
                                        ; implicit-def: $vgpr3
	s_andn2_saveexec_b64 s[54:55], s[54:55]
	s_cbranch_execnz .LBB135_572
.LBB135_212:
	s_or_b64 exec, exec, s[54:55]
	v_mov_b32_e32 v4, 0
	s_and_saveexec_b64 s[54:55], s[52:53]
.LBB135_213:
	v_mov_b32_e32 v4, v2
.LBB135_214:
	s_or_b64 exec, exec, s[54:55]
.LBB135_215:
	s_or_b64 exec, exec, s[48:49]
	s_mov_b64 s[48:49], 0
	global_store_byte v[0:1], v4, off
.LBB135_216:
	s_and_b64 vcc, exec, s[48:49]
	s_cbranch_vccz .LBB135_226
; %bb.217:
	v_cndmask_b32_e64 v2, 0, 1.0, s[40:41]
	s_mov_b32 s48, 0x43f00000
	v_cmp_gt_u32_e32 vcc, s48, v2
                                        ; implicit-def: $vgpr3
	s_and_saveexec_b64 s[48:49], vcc
	s_xor_b64 s[48:49], exec, s[48:49]
	s_cbranch_execz .LBB135_223
; %bb.218:
	s_mov_b32 s52, 0x3c7fffff
	v_cmp_lt_u32_e32 vcc, s52, v2
                                        ; implicit-def: $vgpr3
	s_and_saveexec_b64 s[52:53], vcc
	s_xor_b64 s[52:53], exec, s[52:53]
; %bb.219:
	v_bfe_u32 v3, v2, 20, 1
	s_mov_b32 s54, 0x407ffff
	v_add3_u32 v2, v2, v3, s54
	v_lshrrev_b32_e32 v3, 20, v2
	v_and_b32_e32 v2, 0xff00000, v2
	s_mov_b32 s54, 0x7f00000
	v_mov_b32_e32 v4, 0x7e
	v_cmp_ne_u32_e32 vcc, s54, v2
	v_cndmask_b32_e32 v3, v4, v3, vcc
                                        ; implicit-def: $vgpr2
; %bb.220:
	s_andn2_saveexec_b64 s[52:53], s[52:53]
; %bb.221:
	v_add_f32_e32 v3, 0x46800000, v2
; %bb.222:
	s_or_b64 exec, exec, s[52:53]
                                        ; implicit-def: $vgpr2
.LBB135_223:
	s_andn2_saveexec_b64 s[48:49], s[48:49]
; %bb.224:
	s_mov_b32 s52, 0x7f800000
	v_mov_b32_e32 v3, 0x7e
	v_mov_b32_e32 v4, 0x7f
	v_cmp_lt_u32_e32 vcc, s52, v2
	v_cndmask_b32_e32 v3, v3, v4, vcc
; %bb.225:
	s_or_b64 exec, exec, s[48:49]
	global_store_byte v[0:1], v3, off
.LBB135_226:
	s_mov_b64 s[48:49], 0
.LBB135_227:
	s_andn2_b64 vcc, exec, s[48:49]
	s_cbranch_vccnz .LBB135_237
; %bb.228:
	v_cndmask_b32_e64 v2, 0, 1.0, s[40:41]
	s_mov_b32 s48, 0x47800000
	v_cmp_gt_u32_e32 vcc, s48, v2
                                        ; implicit-def: $vgpr3
	s_and_saveexec_b64 s[48:49], vcc
	s_xor_b64 s[48:49], exec, s[48:49]
	s_cbranch_execz .LBB135_234
; %bb.229:
	s_mov_b32 s52, 0x387fffff
	v_cmp_lt_u32_e32 vcc, s52, v2
                                        ; implicit-def: $vgpr3
	s_and_saveexec_b64 s[52:53], vcc
	s_xor_b64 s[52:53], exec, s[52:53]
; %bb.230:
	v_bfe_u32 v3, v2, 21, 1
	s_mov_b32 s54, 0x80fffff
	v_add3_u32 v2, v2, v3, s54
	v_lshrrev_b32_e32 v3, 21, v2
                                        ; implicit-def: $vgpr2
; %bb.231:
	s_andn2_saveexec_b64 s[52:53], s[52:53]
; %bb.232:
	v_add_f32_e32 v3, 0x43000000, v2
; %bb.233:
	s_or_b64 exec, exec, s[52:53]
                                        ; implicit-def: $vgpr2
.LBB135_234:
	s_andn2_saveexec_b64 s[48:49], s[48:49]
; %bb.235:
	s_mov_b32 s52, 0x7f800000
	v_mov_b32_e32 v3, 0x7c
	v_mov_b32_e32 v4, 0x7f
	v_cmp_lt_u32_e32 vcc, s52, v2
	v_cndmask_b32_e32 v3, v3, v4, vcc
; %bb.236:
	s_or_b64 exec, exec, s[48:49]
	global_store_byte v[0:1], v3, off
.LBB135_237:
	s_mov_b64 s[52:53], 0
	s_mov_b64 s[48:49], -1
.LBB135_238:
	s_andn2_b64 vcc, exec, s[52:53]
	s_cbranch_vccnz .LBB135_246
; %bb.239:
	s_cmp_gt_i32 s56, 14
	s_mov_b64 s[52:53], -1
	s_cbranch_scc0 .LBB135_243
; %bb.240:
	s_cmp_eq_u32 s56, 15
	s_mov_b64 s[0:1], -1
	s_cbranch_scc0 .LBB135_242
; %bb.241:
	v_cndmask_b32_e64 v2, 0, 1.0, s[40:41]
	v_bfe_u32 v3, v2, 16, 1
	s_movk_i32 s0, 0x7fff
	v_add3_u32 v2, v2, v3, s0
	global_store_short_d16_hi v[0:1], v2, off
	s_mov_b64 s[48:49], -1
	s_mov_b64 s[0:1], 0
.LBB135_242:
	s_mov_b64 s[52:53], 0
.LBB135_243:
	s_and_b64 vcc, exec, s[52:53]
	s_cbranch_vccz .LBB135_246
; %bb.244:
	s_cmp_eq_u32 s56, 11
	s_mov_b64 s[0:1], -1
	s_cbranch_scc0 .LBB135_246
; %bb.245:
	v_cndmask_b32_e64 v2, 0, 1, s[40:41]
	s_mov_b64 s[48:49], -1
	s_mov_b64 s[0:1], 0
	global_store_byte v[0:1], v2, off
.LBB135_246:
	s_mov_b64 s[52:53], 0
.LBB135_247:
	s_and_b64 vcc, exec, s[52:53]
	s_cbranch_vccz .LBB135_286
; %bb.248:
	s_and_b32 s14, 0xffff, s14
	s_cmp_lt_i32 s14, 5
	s_mov_b64 s[48:49], -1
	s_cbranch_scc1 .LBB135_269
; %bb.249:
	s_cmp_lt_i32 s14, 8
	s_cbranch_scc1 .LBB135_259
; %bb.250:
	s_cmp_lt_i32 s14, 9
	s_cbranch_scc1 .LBB135_256
; %bb.251:
	s_cmp_gt_i32 s14, 9
	s_cbranch_scc0 .LBB135_253
; %bb.252:
	v_cndmask_b32_e64 v2, 0, 1, s[40:41]
	v_cvt_f64_u32_e32 v[2:3], v2
	v_mov_b32_e32 v4, 0
	v_mov_b32_e32 v5, v4
	s_mov_b64 s[48:49], 0
	global_store_dwordx4 v[0:1], v[2:5], off
.LBB135_253:
	s_andn2_b64 vcc, exec, s[48:49]
	s_cbranch_vccnz .LBB135_255
; %bb.254:
	v_cndmask_b32_e64 v2, 0, 1.0, s[40:41]
	v_mov_b32_e32 v3, 0
	global_store_dwordx2 v[0:1], v[2:3], off
.LBB135_255:
	s_mov_b64 s[48:49], 0
.LBB135_256:
	s_andn2_b64 vcc, exec, s[48:49]
	s_cbranch_vccnz .LBB135_258
; %bb.257:
	v_cndmask_b32_e64 v2, 0, 1.0, s[40:41]
	v_cvt_f16_f32_e32 v2, v2
	global_store_dword v[0:1], v2, off
.LBB135_258:
	s_mov_b64 s[48:49], 0
.LBB135_259:
	s_andn2_b64 vcc, exec, s[48:49]
	s_cbranch_vccnz .LBB135_268
; %bb.260:
	s_cmp_lt_i32 s14, 6
	s_mov_b64 s[48:49], -1
	s_cbranch_scc1 .LBB135_266
; %bb.261:
	s_cmp_gt_i32 s14, 6
	s_cbranch_scc0 .LBB135_263
; %bb.262:
	v_cndmask_b32_e64 v2, 0, 1, s[40:41]
	v_cvt_f64_u32_e32 v[2:3], v2
	s_mov_b64 s[48:49], 0
	global_store_dwordx2 v[0:1], v[2:3], off
.LBB135_263:
	s_andn2_b64 vcc, exec, s[48:49]
	s_cbranch_vccnz .LBB135_265
; %bb.264:
	v_cndmask_b32_e64 v2, 0, 1.0, s[40:41]
	global_store_dword v[0:1], v2, off
.LBB135_265:
	s_mov_b64 s[48:49], 0
.LBB135_266:
	s_andn2_b64 vcc, exec, s[48:49]
	s_cbranch_vccnz .LBB135_268
; %bb.267:
	v_cndmask_b32_e64 v2, 0, 1.0, s[40:41]
	v_cvt_f16_f32_e32 v2, v2
	global_store_short v[0:1], v2, off
.LBB135_268:
	s_mov_b64 s[48:49], 0
.LBB135_269:
	s_andn2_b64 vcc, exec, s[48:49]
	s_cbranch_vccnz .LBB135_285
; %bb.270:
	s_cmp_lt_i32 s14, 2
	s_mov_b64 s[48:49], -1
	s_cbranch_scc1 .LBB135_280
; %bb.271:
	s_cmp_lt_i32 s14, 3
	s_cbranch_scc1 .LBB135_277
; %bb.272:
	s_cmp_gt_i32 s14, 3
	s_cbranch_scc0 .LBB135_274
; %bb.273:
	s_mov_b32 s48, 0
	v_cndmask_b32_e64 v2, 0, 1, s[40:41]
	v_mov_b32_e32 v3, s48
	global_store_dwordx2 v[0:1], v[2:3], off
	s_mov_b64 s[48:49], 0
.LBB135_274:
	s_andn2_b64 vcc, exec, s[48:49]
	s_cbranch_vccnz .LBB135_276
; %bb.275:
	v_cndmask_b32_e64 v2, 0, 1, s[40:41]
	global_store_dword v[0:1], v2, off
.LBB135_276:
	s_mov_b64 s[48:49], 0
.LBB135_277:
	s_andn2_b64 vcc, exec, s[48:49]
	s_cbranch_vccnz .LBB135_279
; %bb.278:
	v_cndmask_b32_e64 v2, 0, 1, s[40:41]
	global_store_short v[0:1], v2, off
.LBB135_279:
	s_mov_b64 s[48:49], 0
.LBB135_280:
	s_andn2_b64 vcc, exec, s[48:49]
	s_cbranch_vccnz .LBB135_285
; %bb.281:
	s_cmp_gt_i32 s14, 0
	s_mov_b64 s[48:49], -1
	s_cbranch_scc0 .LBB135_283
; %bb.282:
	v_cndmask_b32_e64 v2, 0, 1, s[40:41]
	global_store_byte v[0:1], v2, off
	s_mov_b64 s[48:49], 0
.LBB135_283:
	s_andn2_b64 vcc, exec, s[48:49]
	s_cbranch_vccnz .LBB135_285
; %bb.284:
	v_cndmask_b32_e64 v2, 0, 1, s[40:41]
	global_store_byte v[0:1], v2, off
.LBB135_285:
	s_mov_b64 s[48:49], -1
.LBB135_286:
	s_andn2_b64 vcc, exec, s[48:49]
	s_cbranch_vccnz .LBB135_288
; %bb.287:
	v_add_u32_e32 v8, 0x80, v8
	s_mov_b64 s[48:49], -1
	s_branch .LBB135_406
.LBB135_288:
	s_mov_b64 s[48:49], 0
                                        ; implicit-def: $vgpr8
	s_branch .LBB135_406
.LBB135_289:
	s_mov_b64 s[42:43], -1
                                        ; implicit-def: $vgpr5
.LBB135_290:
	v_mov_b32_e32 v6, 0
.LBB135_291:
	s_mov_b64 s[40:41], 0
.LBB135_292:
	s_and_b64 vcc, exec, s[40:41]
	s_cbranch_vccz .LBB135_297
; %bb.293:
	s_cmp_eq_u32 s52, 29
	s_cbranch_scc0 .LBB135_295
; %bb.294:
	global_load_dwordx2 v[5:6], v[3:4], off
	s_mov_b64 s[0:1], -1
	s_mov_b64 s[42:43], 0
	s_waitcnt vmcnt(0)
	v_ffbh_u32_e32 v7, v6
	v_min_u32_e32 v7, 32, v7
	v_lshlrev_b64 v[5:6], v7, v[5:6]
	v_min_u32_e32 v5, 1, v5
	v_or_b32_e32 v5, v6, v5
	v_cvt_f32_u32_e32 v5, v5
	v_sub_u32_e32 v6, 32, v7
	v_ldexp_f32 v5, v5, v6
	s_branch .LBB135_296
.LBB135_295:
	s_mov_b64 s[42:43], -1
                                        ; implicit-def: $vgpr5
.LBB135_296:
	v_mov_b32_e32 v6, 0
.LBB135_297:
	s_mov_b64 s[40:41], 0
.LBB135_298:
	s_and_b64 vcc, exec, s[40:41]
	s_cbranch_vccz .LBB135_316
; %bb.299:
	s_cmp_lt_i32 s52, 27
	s_cbranch_scc1 .LBB135_302
; %bb.300:
	s_cmp_gt_i32 s52, 27
	s_cbranch_scc0 .LBB135_303
; %bb.301:
	global_load_dword v5, v[3:4], off
	s_mov_b64 s[0:1], 0
	s_waitcnt vmcnt(0)
	v_cvt_f32_u32_e32 v5, v5
	s_branch .LBB135_304
.LBB135_302:
	s_mov_b64 s[0:1], -1
                                        ; implicit-def: $vgpr5
	s_branch .LBB135_307
.LBB135_303:
	s_mov_b64 s[0:1], -1
                                        ; implicit-def: $vgpr5
.LBB135_304:
	s_andn2_b64 vcc, exec, s[0:1]
	s_cbranch_vccnz .LBB135_306
; %bb.305:
	global_load_ushort v5, v[3:4], off
	s_waitcnt vmcnt(0)
	v_cvt_f32_u32_e32 v5, v5
.LBB135_306:
	s_mov_b64 s[0:1], 0
.LBB135_307:
	s_andn2_b64 vcc, exec, s[0:1]
	s_cbranch_vccnz .LBB135_315
; %bb.308:
	global_load_ubyte v6, v[3:4], off
	s_movk_i32 s0, 0x7f
	s_waitcnt vmcnt(0)
	v_cmp_lt_i16_e32 vcc, s0, v6
	s_mov_b64 s[0:1], 0
	s_and_saveexec_b64 s[40:41], vcc
	s_xor_b64 s[40:41], exec, s[40:41]
	s_cbranch_execz .LBB135_329
; %bb.309:
	s_movk_i32 s0, 0x80
	v_cmp_eq_u16_e32 vcc, s0, v6
	s_mov_b64 s[0:1], -1
	s_and_saveexec_b64 s[48:49], vcc
; %bb.310:
	s_xor_b64 s[0:1], exec, -1
; %bb.311:
	s_or_b64 exec, exec, s[48:49]
	s_and_b64 s[0:1], s[0:1], exec
	s_or_saveexec_b64 s[40:41], s[40:41]
	v_mov_b32_e32 v5, 0x7f800001
	s_xor_b64 exec, exec, s[40:41]
	s_cbranch_execnz .LBB135_330
.LBB135_312:
	s_or_b64 exec, exec, s[40:41]
	s_and_saveexec_b64 s[40:41], s[0:1]
	s_cbranch_execz .LBB135_314
.LBB135_313:
	v_lshlrev_b32_e32 v5, 24, v6
	v_and_b32_e32 v6, 0xffff, v6
	v_and_b32_e32 v7, 7, v6
	v_ffbh_u32_e32 v10, v7
	v_min_u32_e32 v10, 32, v10
	v_subrev_u32_e32 v11, 28, v10
	v_bfe_u32 v9, v6, 3, 4
	v_lshlrev_b32_e32 v6, v11, v6
	v_sub_u32_e32 v10, 29, v10
	v_and_b32_e32 v6, 7, v6
	v_cmp_eq_u32_e32 vcc, 0, v9
	v_cndmask_b32_e32 v9, v9, v10, vcc
	v_cndmask_b32_e32 v6, v7, v6, vcc
	v_mov_b32_e32 v7, 0x3b800000
	v_lshlrev_b32_e32 v6, 20, v6
	v_and_b32_e32 v5, 0x80000000, v5
	v_lshl_add_u32 v7, v9, 23, v7
	v_or3_b32 v5, v5, v7, v6
.LBB135_314:
	s_or_b64 exec, exec, s[40:41]
.LBB135_315:
	s_mov_b64 s[0:1], -1
	v_mov_b32_e32 v6, 0
.LBB135_316:
	s_mov_b64 s[40:41], 0
.LBB135_317:
	s_and_b64 vcc, exec, s[40:41]
	s_cbranch_vccz .LBB135_353
; %bb.318:
	s_cmp_gt_i32 s52, 22
	s_cbranch_scc0 .LBB135_328
; %bb.319:
	s_cmp_lt_i32 s52, 24
	s_cbranch_scc1 .LBB135_331
; %bb.320:
	s_cmp_gt_i32 s52, 24
	s_cbranch_scc0 .LBB135_332
; %bb.321:
	global_load_ubyte v6, v[3:4], off
	s_movk_i32 s0, 0x7f
	s_waitcnt vmcnt(0)
	v_cmp_lt_i16_e32 vcc, s0, v6
	s_mov_b64 s[0:1], 0
	s_and_saveexec_b64 s[40:41], vcc
	s_xor_b64 s[40:41], exec, s[40:41]
	s_cbranch_execz .LBB135_344
; %bb.322:
	s_movk_i32 s0, 0x80
	v_cmp_eq_u16_e32 vcc, s0, v6
	s_mov_b64 s[0:1], -1
	s_and_saveexec_b64 s[48:49], vcc
; %bb.323:
	s_xor_b64 s[0:1], exec, -1
; %bb.324:
	s_or_b64 exec, exec, s[48:49]
	s_and_b64 s[0:1], s[0:1], exec
	s_or_saveexec_b64 s[40:41], s[40:41]
	v_mov_b32_e32 v5, 0x7f800001
	s_xor_b64 exec, exec, s[40:41]
	s_cbranch_execnz .LBB135_345
.LBB135_325:
	s_or_b64 exec, exec, s[40:41]
	s_and_saveexec_b64 s[40:41], s[0:1]
	s_cbranch_execz .LBB135_327
.LBB135_326:
	v_lshlrev_b32_e32 v5, 24, v6
	v_and_b32_e32 v6, 0xffff, v6
	v_and_b32_e32 v7, 3, v6
	v_ffbh_u32_e32 v10, v7
	v_min_u32_e32 v10, 32, v10
	v_subrev_u32_e32 v11, 29, v10
	v_bfe_u32 v9, v6, 2, 5
	v_lshlrev_b32_e32 v6, v11, v6
	v_sub_u32_e32 v10, 30, v10
	v_and_b32_e32 v6, 3, v6
	v_cmp_eq_u32_e32 vcc, 0, v9
	v_cndmask_b32_e32 v9, v9, v10, vcc
	v_cndmask_b32_e32 v6, v7, v6, vcc
	v_mov_b32_e32 v7, 0x37800000
	v_lshlrev_b32_e32 v6, 21, v6
	v_and_b32_e32 v5, 0x80000000, v5
	v_lshl_add_u32 v7, v9, 23, v7
	v_or3_b32 v5, v5, v7, v6
.LBB135_327:
	s_or_b64 exec, exec, s[40:41]
	s_mov_b64 s[0:1], 0
	s_branch .LBB135_333
.LBB135_328:
	s_mov_b64 s[40:41], -1
                                        ; implicit-def: $vgpr5
	s_branch .LBB135_339
.LBB135_329:
	s_or_saveexec_b64 s[40:41], s[40:41]
	v_mov_b32_e32 v5, 0x7f800001
	s_xor_b64 exec, exec, s[40:41]
	s_cbranch_execz .LBB135_312
.LBB135_330:
	v_cmp_ne_u16_e32 vcc, 0, v6
	s_andn2_b64 s[0:1], s[0:1], exec
	s_and_b64 s[48:49], vcc, exec
	v_mov_b32_e32 v5, 0
	s_or_b64 s[0:1], s[0:1], s[48:49]
	s_or_b64 exec, exec, s[40:41]
	s_and_saveexec_b64 s[40:41], s[0:1]
	s_cbranch_execnz .LBB135_313
	s_branch .LBB135_314
.LBB135_331:
	s_mov_b64 s[0:1], -1
                                        ; implicit-def: $vgpr5
	s_branch .LBB135_336
.LBB135_332:
	s_mov_b64 s[0:1], -1
                                        ; implicit-def: $vgpr5
.LBB135_333:
	s_and_b64 vcc, exec, s[0:1]
	s_cbranch_vccz .LBB135_335
; %bb.334:
	global_load_ubyte v5, v[3:4], off
	s_mov_b32 s0, 0x7f800000
	s_waitcnt vmcnt(0)
	v_lshlrev_b32_e32 v5, 24, v5
	v_and_b32_e32 v6, 0x7f000000, v5
	v_ffbh_u32_e32 v7, v6
	v_min_u32_e32 v7, 32, v7
	v_sub_u32_e64 v7, v7, 4 clamp
	v_lshlrev_b32_e32 v10, v7, v6
	v_lshlrev_b32_e32 v7, 23, v7
	v_lshrrev_b32_e32 v10, 4, v10
	v_add_u32_e32 v9, 0x1000000, v6
	v_sub_u32_e32 v7, v10, v7
	v_ashrrev_i32_e32 v9, 8, v9
	v_add_u32_e32 v7, 0x3c000000, v7
	v_and_or_b32 v7, v9, s0, v7
	v_cmp_ne_u32_e32 vcc, 0, v6
	v_cndmask_b32_e32 v6, 0, v7, vcc
	s_brev_b32 s0, 1
	v_and_or_b32 v5, v5, s0, v6
.LBB135_335:
	s_mov_b64 s[0:1], 0
.LBB135_336:
	s_andn2_b64 vcc, exec, s[0:1]
	s_cbranch_vccnz .LBB135_338
; %bb.337:
	global_load_ubyte v5, v[3:4], off
	s_movk_i32 s0, 0x7f00
	s_brev_b32 s1, 16
	s_waitcnt vmcnt(0)
	v_lshlrev_b16_e32 v6, 8, v5
	v_lshlrev_b32_e32 v5, 25, v5
	v_lshrrev_b32_e32 v7, 4, v5
	v_and_or_b32 v9, v6, s0, 0.5
	v_or_b32_e32 v7, 0x70000000, v7
	v_add_f32_e32 v9, -0.5, v9
	v_mul_f32_e32 v7, 0x7800000, v7
	v_cmp_gt_u32_e32 vcc, s1, v5
	v_bfe_i32 v6, v6, 0, 16
	v_cndmask_b32_e32 v5, v7, v9, vcc
	s_brev_b32 s0, 1
	v_and_or_b32 v5, v6, s0, v5
.LBB135_338:
	s_mov_b64 s[40:41], 0
	s_mov_b64 s[0:1], -1
.LBB135_339:
	s_andn2_b64 vcc, exec, s[40:41]
	s_cbranch_vccnz .LBB135_352
; %bb.340:
	s_cmp_gt_i32 s52, 14
	s_cbranch_scc0 .LBB135_343
; %bb.341:
	s_cmp_eq_u32 s52, 15
	s_cbranch_scc0 .LBB135_346
; %bb.342:
	global_load_ushort v5, v[3:4], off
	s_mov_b64 s[0:1], -1
	s_mov_b64 s[42:43], 0
	s_waitcnt vmcnt(0)
	v_lshlrev_b32_e32 v5, 16, v5
	s_branch .LBB135_347
.LBB135_343:
	s_mov_b64 s[40:41], -1
                                        ; implicit-def: $vgpr5
	s_branch .LBB135_348
.LBB135_344:
	s_or_saveexec_b64 s[40:41], s[40:41]
	v_mov_b32_e32 v5, 0x7f800001
	s_xor_b64 exec, exec, s[40:41]
	s_cbranch_execz .LBB135_325
.LBB135_345:
	v_cmp_ne_u16_e32 vcc, 0, v6
	s_andn2_b64 s[0:1], s[0:1], exec
	s_and_b64 s[48:49], vcc, exec
	v_mov_b32_e32 v5, 0
	s_or_b64 s[0:1], s[0:1], s[48:49]
	s_or_b64 exec, exec, s[40:41]
	s_and_saveexec_b64 s[40:41], s[0:1]
	s_cbranch_execnz .LBB135_326
	s_branch .LBB135_327
.LBB135_346:
	s_mov_b64 s[42:43], -1
                                        ; implicit-def: $vgpr5
.LBB135_347:
	s_mov_b64 s[40:41], 0
.LBB135_348:
	s_and_b64 vcc, exec, s[40:41]
	s_cbranch_vccz .LBB135_352
; %bb.349:
	s_cmp_eq_u32 s52, 11
	s_cbranch_scc0 .LBB135_351
; %bb.350:
	global_load_ubyte v5, v[3:4], off
	s_mov_b64 s[0:1], -1
	s_mov_b64 s[42:43], 0
	v_mov_b32_e32 v6, 0
	s_waitcnt vmcnt(0)
	v_cmp_ne_u16_e32 vcc, 0, v5
	v_cndmask_b32_e64 v5, 0, 1.0, vcc
	s_branch .LBB135_353
.LBB135_351:
	s_mov_b64 s[42:43], -1
                                        ; implicit-def: $vgpr5
.LBB135_352:
	v_mov_b32_e32 v6, 0
.LBB135_353:
	s_branch .LBB135_31
.LBB135_354:
	s_and_b32 s14, 0xffff, s14
	s_cmp_lt_i32 s14, 5
	s_cbranch_scc1 .LBB135_359
; %bb.355:
	s_cmp_lt_i32 s14, 8
	s_cbranch_scc1 .LBB135_360
; %bb.356:
	;; [unrolled: 3-line block ×3, first 2 shown]
	s_cmp_gt_i32 s14, 9
	s_cbranch_scc0 .LBB135_362
; %bb.358:
	global_load_dwordx4 v[9:12], v[3:4], off
	s_mov_b64 s[0:1], 0
	s_waitcnt vmcnt(0)
	v_cvt_f32_f64_e32 v5, v[9:10]
	v_cvt_f32_f64_e32 v6, v[11:12]
	s_branch .LBB135_363
.LBB135_359:
	s_mov_b64 s[0:1], -1
                                        ; implicit-def: $vgpr6
	s_branch .LBB135_382
.LBB135_360:
	s_mov_b64 s[0:1], -1
                                        ; implicit-def: $vgpr6
	s_branch .LBB135_369
.LBB135_361:
	s_mov_b64 s[0:1], -1
                                        ; implicit-def: $vgpr6
	s_branch .LBB135_366
.LBB135_362:
	s_mov_b64 s[0:1], -1
                                        ; implicit-def: $vgpr6
.LBB135_363:
	s_andn2_b64 vcc, exec, s[0:1]
	s_cbranch_vccnz .LBB135_365
; %bb.364:
	global_load_dwordx2 v[5:6], v[3:4], off
.LBB135_365:
	s_mov_b64 s[0:1], 0
.LBB135_366:
	s_andn2_b64 vcc, exec, s[0:1]
	s_cbranch_vccnz .LBB135_368
; %bb.367:
	global_load_dword v6, v[3:4], off
	s_waitcnt vmcnt(0)
	v_cvt_f32_f16_e32 v5, v6
	v_cvt_f32_f16_sdwa v6, v6 dst_sel:DWORD dst_unused:UNUSED_PAD src0_sel:WORD_1
.LBB135_368:
	s_mov_b64 s[0:1], 0
.LBB135_369:
	s_andn2_b64 vcc, exec, s[0:1]
	s_cbranch_vccnz .LBB135_381
; %bb.370:
	s_cmp_lt_i32 s14, 6
	s_cbranch_scc1 .LBB135_373
; %bb.371:
	s_cmp_gt_i32 s14, 6
	s_cbranch_scc0 .LBB135_374
; %bb.372:
	global_load_dwordx2 v[5:6], v[3:4], off
	s_mov_b64 s[0:1], 0
	s_waitcnt vmcnt(0)
	v_cvt_f32_f64_e32 v5, v[5:6]
	s_branch .LBB135_375
.LBB135_373:
	s_mov_b64 s[0:1], -1
                                        ; implicit-def: $vgpr5
	s_branch .LBB135_378
.LBB135_374:
	s_mov_b64 s[0:1], -1
                                        ; implicit-def: $vgpr5
.LBB135_375:
	s_andn2_b64 vcc, exec, s[0:1]
	s_cbranch_vccnz .LBB135_377
; %bb.376:
	global_load_dword v5, v[3:4], off
.LBB135_377:
	s_mov_b64 s[0:1], 0
.LBB135_378:
	s_andn2_b64 vcc, exec, s[0:1]
	s_cbranch_vccnz .LBB135_380
; %bb.379:
	global_load_ushort v5, v[3:4], off
	s_waitcnt vmcnt(0)
	v_cvt_f32_f16_e32 v5, v5
.LBB135_380:
	s_waitcnt vmcnt(0)
	v_mov_b32_e32 v6, 0
.LBB135_381:
	s_mov_b64 s[0:1], 0
.LBB135_382:
	s_andn2_b64 vcc, exec, s[0:1]
	s_cbranch_vccnz .LBB135_403
; %bb.383:
	s_cmp_lt_i32 s14, 2
	s_cbranch_scc1 .LBB135_387
; %bb.384:
	s_cmp_lt_i32 s14, 3
	s_cbranch_scc1 .LBB135_388
; %bb.385:
	s_cmp_gt_i32 s14, 3
	s_cbranch_scc0 .LBB135_389
; %bb.386:
	global_load_dwordx2 v[5:6], v[3:4], off
	s_mov_b64 s[0:1], 0
	s_waitcnt vmcnt(0)
	v_xor_b32_e32 v9, v5, v6
	v_ffbh_i32_e32 v7, v6
	v_ashrrev_i32_e32 v9, 31, v9
	v_add_u32_e32 v7, -1, v7
	v_add_u32_e32 v9, 32, v9
	v_min_u32_e32 v7, v7, v9
	v_lshlrev_b64 v[5:6], v7, v[5:6]
	v_min_u32_e32 v5, 1, v5
	v_or_b32_e32 v5, v6, v5
	v_cvt_f32_i32_e32 v5, v5
	v_sub_u32_e32 v6, 32, v7
	v_ldexp_f32 v5, v5, v6
	s_branch .LBB135_390
.LBB135_387:
	s_mov_b64 s[0:1], -1
                                        ; implicit-def: $vgpr5
	s_branch .LBB135_396
.LBB135_388:
	s_mov_b64 s[0:1], -1
                                        ; implicit-def: $vgpr5
	s_branch .LBB135_393
.LBB135_389:
	s_mov_b64 s[0:1], -1
                                        ; implicit-def: $vgpr5
.LBB135_390:
	s_andn2_b64 vcc, exec, s[0:1]
	s_cbranch_vccnz .LBB135_392
; %bb.391:
	global_load_dword v5, v[3:4], off
	s_waitcnt vmcnt(0)
	v_cvt_f32_i32_e32 v5, v5
.LBB135_392:
	s_mov_b64 s[0:1], 0
.LBB135_393:
	s_andn2_b64 vcc, exec, s[0:1]
	s_cbranch_vccnz .LBB135_395
; %bb.394:
	global_load_sshort v5, v[3:4], off
	s_waitcnt vmcnt(0)
	v_cvt_f32_i32_e32 v5, v5
.LBB135_395:
	s_mov_b64 s[0:1], 0
.LBB135_396:
	s_andn2_b64 vcc, exec, s[0:1]
	s_cbranch_vccnz .LBB135_402
; %bb.397:
	s_cmp_gt_i32 s14, 0
	s_cbranch_scc0 .LBB135_399
; %bb.398:
	global_load_sbyte v5, v[3:4], off
	s_mov_b64 s[0:1], 0
	s_waitcnt vmcnt(0)
	v_cvt_f32_i32_e32 v5, v5
	s_branch .LBB135_400
.LBB135_399:
	s_mov_b64 s[0:1], -1
                                        ; implicit-def: $vgpr5
.LBB135_400:
	s_andn2_b64 vcc, exec, s[0:1]
	s_cbranch_vccnz .LBB135_402
; %bb.401:
	global_load_ubyte v3, v[3:4], off
	s_waitcnt vmcnt(0)
	v_cvt_f32_ubyte0_e32 v5, v3
.LBB135_402:
	s_waitcnt vmcnt(0)
	v_mov_b32_e32 v6, 0
.LBB135_403:
	s_branch .LBB135_32
.LBB135_404:
	s_mov_b64 s[0:1], 0
.LBB135_405:
                                        ; implicit-def: $vgpr8
	s_mov_b64 s[48:49], 0
.LBB135_406:
	s_and_b64 s[40:41], s[0:1], exec
	s_and_b64 s[42:43], s[42:43], exec
	;; [unrolled: 1-line block ×3, first 2 shown]
	s_orn2_b64 s[0:1], s[48:49], exec
.LBB135_407:
	s_or_b64 exec, exec, s[46:47]
	s_mov_b64 s[54:55], 0
	s_mov_b64 s[52:53], 0
                                        ; implicit-def: $sgpr14
                                        ; implicit-def: $vgpr4_vgpr5
                                        ; implicit-def: $vgpr0
                                        ; implicit-def: $vgpr3
                                        ; implicit-def: $vgpr2
	s_and_saveexec_b64 s[46:47], s[0:1]
	s_cbranch_execz .LBB135_415
; %bb.408:
	v_cmp_gt_i32_e32 vcc, s70, v8
	s_mov_b64 s[0:1], -1
	s_mov_b64 s[48:49], s[44:45]
	s_mov_b64 s[50:51], s[42:43]
	;; [unrolled: 1-line block ×3, first 2 shown]
	s_and_saveexec_b64 s[54:55], vcc
	s_cbranch_execz .LBB135_823
; %bb.409:
	s_andn2_b64 vcc, exec, s[24:25]
	s_cbranch_vccnz .LBB135_418
; %bb.410:
	s_andn2_b64 vcc, exec, s[38:39]
	s_cbranch_vccnz .LBB135_419
; %bb.411:
	s_add_i32 s0, s75, 1
	s_and_b32 s14, s0, 30
	s_add_u32 s0, s2, 0xffffffe8
	s_addc_u32 s1, s3, -1
	v_mov_b32_e32 v3, 0
	s_waitcnt vmcnt(0)
	v_mov_b32_e32 v5, 0
	v_mov_b32_e32 v0, 0
	;; [unrolled: 1-line block ×3, first 2 shown]
.LBB135_412:                            ; =>This Inner Loop Header: Depth=1
	s_load_dwordx4 s[48:51], s[0:1], 0x1c
	s_load_dwordx2 s[52:53], s[0:1], 0x2c
	s_load_dwordx2 s[60:61], s[0:1], 0xec
	s_load_dwordx4 s[56:59], s[0:1], 0xdc
	s_add_u32 s0, s0, 24
	s_waitcnt lgkmcnt(0)
	v_mul_hi_u32 v2, s49, v1
	s_addc_u32 s1, s1, 0
	s_add_i32 s14, s14, -2
	s_cmp_eq_u32 s14, 0
	v_add_u32_e32 v2, v1, v2
	v_lshrrev_b32_e32 v2, s50, v2
	v_mul_lo_u32 v4, v2, s48
	v_mul_hi_u32 v6, s52, v2
	v_sub_u32_e32 v4, v1, v4
	v_add_u32_e32 v1, v2, v6
	v_lshrrev_b32_e32 v1, s53, v1
	v_mul_lo_u32 v9, v1, s51
	v_mul_lo_u32 v6, v4, s56
	;; [unrolled: 1-line block ×4, first 2 shown]
	v_sub_u32_e32 v2, v2, v9
	v_mul_lo_u32 v9, v2, s59
	v_mul_lo_u32 v10, v2, s60
	;; [unrolled: 1-line block ×3, first 2 shown]
	v_add3_u32 v0, v6, v0, v9
	v_add3_u32 v5, v7, v5, v10
	;; [unrolled: 1-line block ×3, first 2 shown]
	s_cbranch_scc0 .LBB135_412
; %bb.413:
	s_bitcmp1_b32 s75, 0
	s_cselect_b64 s[48:49], -1, 0
	s_and_b64 vcc, exec, s[48:49]
	s_cbranch_vccnz .LBB135_420
; %bb.414:
	s_load_dwordx2 s[48:49], s[0:1], 0x1c
	s_load_dword s14, s[0:1], 0x24
	s_load_dwordx2 s[50:51], s[0:1], 0xdc
	s_waitcnt lgkmcnt(0)
	v_mul_hi_u32 v2, s49, v1
	v_add_u32_e32 v2, v1, v2
	v_lshrrev_b32_e32 v2, s14, v2
	v_mul_lo_u32 v2, v2, s48
	s_load_dword s14, s[0:1], 0xe4
	v_sub_u32_e32 v2, v1, v2
	v_mad_u64_u32 v[0:1], s[0:1], v2, s50, v[0:1]
	v_mad_u64_u32 v[5:6], s[0:1], v2, s51, v[5:6]
	s_waitcnt lgkmcnt(0)
	v_mad_u64_u32 v[3:4], s[0:1], v2, s14, v[3:4]
	s_branch .LBB135_420
.LBB135_415:
	s_or_b64 exec, exec, s[46:47]
	s_mov_b64 s[10:11], 0
	s_and_saveexec_b64 s[0:1], s[44:45]
	s_cbranch_execnz .LBB135_1339
.LBB135_416:
	s_or_b64 exec, exec, s[0:1]
	s_and_saveexec_b64 s[0:1], s[50:51]
	s_xor_b64 s[0:1], exec, s[0:1]
	s_cbranch_execz .LBB135_1340
.LBB135_417:
	s_waitcnt vmcnt(0)
	global_load_ubyte v1, v[4:5], off
	v_mov_b32_e32 v2, 0
	s_or_b64 s[52:53], s[52:53], exec
	s_waitcnt vmcnt(0)
	v_cmp_ne_u16_e32 vcc, 0, v1
	v_cndmask_b32_e64 v1, 0, 1.0, vcc
	s_or_b64 exec, exec, s[0:1]
	s_and_saveexec_b64 s[0:1], s[54:55]
	s_cbranch_execz .LBB135_1388
	s_branch .LBB135_1341
.LBB135_418:
                                        ; implicit-def: $vgpr0
                                        ; implicit-def: $vgpr5
                                        ; implicit-def: $vgpr3
	s_andn2_b64 vcc, exec, s[0:1]
	s_cbranch_vccz .LBB135_421
	s_branch .LBB135_423
.LBB135_419:
	v_mov_b32_e32 v0, 0
	s_waitcnt vmcnt(0)
	v_mov_b32_e32 v5, 0
	v_mov_b32_e32 v3, 0
.LBB135_420:
	s_cbranch_execnz .LBB135_423
.LBB135_421:
	v_mul_hi_u32 v0, s17, v8
	s_andn2_b64 vcc, exec, s[36:37]
	v_add_u32_e32 v0, v8, v0
	s_waitcnt vmcnt(0)
	v_lshrrev_b32_e32 v1, s18, v0
	v_mul_lo_u32 v0, v1, s16
	v_sub_u32_e32 v2, v8, v0
	v_mul_lo_u32 v0, v2, s20
	v_mul_lo_u32 v5, v2, s21
	;; [unrolled: 1-line block ×3, first 2 shown]
	s_cbranch_vccnz .LBB135_423
; %bb.422:
	v_mul_hi_u32 v2, s34, v1
	v_add_u32_e32 v2, v1, v2
	v_lshrrev_b32_e32 v2, s35, v2
	v_mul_lo_u32 v2, v2, s19
	v_sub_u32_e32 v2, v1, v2
	v_mad_u64_u32 v[0:1], s[0:1], v2, s23, v[0:1]
	v_mad_u64_u32 v[5:6], s[0:1], v2, s30, v[5:6]
	;; [unrolled: 1-line block ×3, first 2 shown]
.LBB135_423:
	s_waitcnt vmcnt(0)
	v_mov_b32_e32 v1, s11
	s_and_b32 s14, s74, 0xff
	v_add_co_u32_e32 v4, vcc, s10, v5
	s_cmp_lt_i32 s14, 11
	v_addc_co_u32_e32 v5, vcc, 0, v1, vcc
	s_cbranch_scc1 .LBB135_430
; %bb.424:
	s_and_b32 s56, 0xffff, s14
	s_cmp_gt_i32 s56, 25
	s_cbranch_scc0 .LBB135_439
; %bb.425:
	s_cmp_gt_i32 s56, 28
	s_cbranch_scc0 .LBB135_441
; %bb.426:
	;; [unrolled: 3-line block ×4, first 2 shown]
	s_cmp_eq_u32 s56, 46
	s_mov_b64 s[50:51], 0
	s_cbranch_scc0 .LBB135_449
; %bb.429:
	global_load_dword v1, v[4:5], off
	s_mov_b64 s[0:1], -1
	s_mov_b64 s[48:49], 0
	s_waitcnt vmcnt(0)
	v_and_b32_e32 v2, 0xffff0000, v1
	v_lshlrev_b32_e32 v1, 16, v1
	s_branch .LBB135_450
.LBB135_430:
	s_mov_b64 s[0:1], 0
                                        ; implicit-def: $vgpr2
	s_mov_b64 s[48:49], s[44:45]
	s_cbranch_execnz .LBB135_519
.LBB135_431:
	s_andn2_b64 vcc, exec, s[0:1]
	s_cbranch_vccnz .LBB135_569
.LBB135_432:
	v_mov_b32_e32 v4, s13
	s_and_b32 s14, s73, 0xff
	v_add_co_u32_e32 v3, vcc, s12, v3
	s_cmp_lt_i32 s14, 11
	v_addc_co_u32_e32 v4, vcc, 0, v4, vcc
	s_cbranch_scc1 .LBB135_440
; %bb.433:
	s_and_b32 s58, 0xffff, s14
	s_cmp_gt_i32 s58, 25
	s_cbranch_scc0 .LBB135_442
; %bb.434:
	s_cmp_gt_i32 s58, 28
	s_cbranch_scc0 .LBB135_444
; %bb.435:
	;; [unrolled: 3-line block ×4, first 2 shown]
	s_cmp_eq_u32 s58, 46
	s_mov_b64 s[52:53], 0
	s_cbranch_scc0 .LBB135_573
; %bb.438:
	global_load_dword v5, v[3:4], off
	s_mov_b64 s[0:1], -1
	s_mov_b64 s[50:51], 0
	s_waitcnt vmcnt(0)
	v_and_b32_e32 v6, 0xffff0000, v5
	v_lshlrev_b32_e32 v5, 16, v5
	s_branch .LBB135_574
.LBB135_439:
	s_mov_b64 s[50:51], -1
	s_mov_b64 s[0:1], 0
	s_mov_b64 s[48:49], s[44:45]
                                        ; implicit-def: $vgpr2
	s_branch .LBB135_482
.LBB135_440:
	s_mov_b64 s[52:53], -1
	s_mov_b64 s[0:1], 0
                                        ; implicit-def: $vgpr6
	s_mov_b64 s[50:51], s[42:43]
	s_branch .LBB135_642
.LBB135_441:
	s_mov_b64 s[50:51], -1
	s_mov_b64 s[0:1], 0
	s_mov_b64 s[48:49], s[44:45]
                                        ; implicit-def: $vgpr2
	s_branch .LBB135_463
.LBB135_442:
	s_mov_b64 s[52:53], -1
	s_mov_b64 s[0:1], 0
	s_mov_b64 s[50:51], s[42:43]
                                        ; implicit-def: $vgpr6
	s_branch .LBB135_605
.LBB135_443:
	s_mov_b64 s[50:51], -1
	s_mov_b64 s[0:1], 0
	s_mov_b64 s[48:49], s[44:45]
                                        ; implicit-def: $vgpr2
	s_branch .LBB135_457
.LBB135_444:
	s_mov_b64 s[52:53], -1
	s_mov_b64 s[0:1], 0
	s_mov_b64 s[50:51], s[42:43]
                                        ; implicit-def: $vgpr6
	s_branch .LBB135_586
.LBB135_445:
	s_mov_b64 s[50:51], -1
	s_mov_b64 s[0:1], 0
	s_mov_b64 s[48:49], s[44:45]
                                        ; implicit-def: $vgpr2
	s_branch .LBB135_450
.LBB135_446:
	s_mov_b64 s[52:53], -1
	s_mov_b64 s[0:1], 0
	s_mov_b64 s[50:51], s[42:43]
                                        ; implicit-def: $vgpr6
	s_branch .LBB135_580
.LBB135_447:
	s_andn2_saveexec_b64 s[54:55], s[54:55]
	s_cbranch_execz .LBB135_199
.LBB135_448:
	v_add_f32_e32 v2, 0x46000000, v3
	v_and_b32_e32 v2, 0xff, v2
	v_cmp_ne_u32_e32 vcc, 0, v2
	s_andn2_b64 s[52:53], s[52:53], exec
	s_and_b64 s[58:59], vcc, exec
	s_or_b64 s[52:53], s[52:53], s[58:59]
	s_or_b64 exec, exec, s[54:55]
	v_mov_b32_e32 v4, 0
	s_and_saveexec_b64 s[54:55], s[52:53]
	s_cbranch_execnz .LBB135_200
	s_branch .LBB135_201
.LBB135_449:
	s_mov_b64 s[48:49], -1
                                        ; implicit-def: $vgpr2
	s_mov_b64 s[0:1], 0
.LBB135_450:
	s_and_b64 vcc, exec, s[50:51]
	s_cbranch_vccz .LBB135_456
; %bb.451:
	s_cmp_eq_u32 s56, 44
	s_cbranch_scc0 .LBB135_454
; %bb.452:
	global_load_ubyte v1, v[4:5], off
	s_movk_i32 s48, 0xff
	v_mov_b32_e32 v2, 0x7f800001
	v_mov_b32_e32 v6, 0x400000
	s_mov_b64 s[0:1], -1
	s_waitcnt vmcnt(0)
	v_lshlrev_b32_e32 v7, 23, v1
	v_cmp_ne_u32_e32 vcc, s48, v1
	v_cndmask_b32_e32 v2, v2, v7, vcc
	v_cmp_ne_u32_e32 vcc, 0, v1
	v_cndmask_b32_e32 v1, v6, v2, vcc
	s_mov_b64 s[48:49], 0
	s_branch .LBB135_455
.LBB135_453:
	s_mov_b64 s[52:53], -1
	s_mov_b64 s[0:1], 0
	s_mov_b64 s[50:51], s[42:43]
                                        ; implicit-def: $vgpr6
	s_branch .LBB135_574
.LBB135_454:
	s_mov_b64 s[48:49], -1
                                        ; implicit-def: $vgpr1
.LBB135_455:
	v_mov_b32_e32 v2, 0
.LBB135_456:
	s_mov_b64 s[50:51], 0
.LBB135_457:
	s_and_b64 vcc, exec, s[50:51]
	s_cbranch_vccz .LBB135_462
; %bb.458:
	s_cmp_eq_u32 s56, 29
	s_cbranch_scc0 .LBB135_460
; %bb.459:
	global_load_dwordx2 v[1:2], v[4:5], off
	s_mov_b64 s[0:1], -1
	s_mov_b64 s[48:49], 0
	s_waitcnt vmcnt(0)
	v_ffbh_u32_e32 v6, v2
	v_min_u32_e32 v6, 32, v6
	v_lshlrev_b64 v[1:2], v6, v[1:2]
	v_min_u32_e32 v1, 1, v1
	v_or_b32_e32 v1, v2, v1
	v_cvt_f32_u32_e32 v1, v1
	v_sub_u32_e32 v2, 32, v6
	v_ldexp_f32 v1, v1, v2
	s_branch .LBB135_461
.LBB135_460:
	s_mov_b64 s[48:49], -1
                                        ; implicit-def: $vgpr1
.LBB135_461:
	v_mov_b32_e32 v2, 0
.LBB135_462:
	s_mov_b64 s[50:51], 0
.LBB135_463:
	s_and_b64 vcc, exec, s[50:51]
	s_cbranch_vccz .LBB135_481
; %bb.464:
	s_cmp_lt_i32 s56, 27
	s_cbranch_scc1 .LBB135_467
; %bb.465:
	s_cmp_gt_i32 s56, 27
	s_cbranch_scc0 .LBB135_468
; %bb.466:
	global_load_dword v1, v[4:5], off
	s_mov_b64 s[0:1], 0
	s_waitcnt vmcnt(0)
	v_cvt_f32_u32_e32 v1, v1
	s_branch .LBB135_469
.LBB135_467:
	s_mov_b64 s[0:1], -1
                                        ; implicit-def: $vgpr1
	s_branch .LBB135_472
.LBB135_468:
	s_mov_b64 s[0:1], -1
                                        ; implicit-def: $vgpr1
.LBB135_469:
	s_andn2_b64 vcc, exec, s[0:1]
	s_cbranch_vccnz .LBB135_471
; %bb.470:
	global_load_ushort v1, v[4:5], off
	s_waitcnt vmcnt(0)
	v_cvt_f32_u32_e32 v1, v1
.LBB135_471:
	s_mov_b64 s[0:1], 0
.LBB135_472:
	s_andn2_b64 vcc, exec, s[0:1]
	s_cbranch_vccnz .LBB135_480
; %bb.473:
	global_load_ubyte v2, v[4:5], off
	s_movk_i32 s0, 0x7f
	s_waitcnt vmcnt(0)
	v_cmp_lt_i16_e32 vcc, s0, v2
	s_mov_b64 s[0:1], 0
	s_and_saveexec_b64 s[50:51], vcc
	s_xor_b64 s[50:51], exec, s[50:51]
	s_cbranch_execz .LBB135_494
; %bb.474:
	s_movk_i32 s0, 0x80
	v_cmp_eq_u16_e32 vcc, s0, v2
	s_mov_b64 s[0:1], -1
	s_and_saveexec_b64 s[52:53], vcc
; %bb.475:
	s_xor_b64 s[0:1], exec, -1
; %bb.476:
	s_or_b64 exec, exec, s[52:53]
	s_and_b64 s[0:1], s[0:1], exec
	s_or_saveexec_b64 s[50:51], s[50:51]
	v_mov_b32_e32 v1, 0x7f800001
	s_xor_b64 exec, exec, s[50:51]
	s_cbranch_execnz .LBB135_495
.LBB135_477:
	s_or_b64 exec, exec, s[50:51]
	s_and_saveexec_b64 s[50:51], s[0:1]
	s_cbranch_execz .LBB135_479
.LBB135_478:
	v_lshlrev_b32_e32 v1, 24, v2
	v_and_b32_e32 v2, 0xffff, v2
	v_and_b32_e32 v6, 7, v2
	v_ffbh_u32_e32 v9, v6
	v_min_u32_e32 v9, 32, v9
	v_subrev_u32_e32 v10, 28, v9
	v_bfe_u32 v7, v2, 3, 4
	v_lshlrev_b32_e32 v2, v10, v2
	v_sub_u32_e32 v9, 29, v9
	v_and_b32_e32 v2, 7, v2
	v_cmp_eq_u32_e32 vcc, 0, v7
	v_cndmask_b32_e32 v7, v7, v9, vcc
	v_cndmask_b32_e32 v2, v6, v2, vcc
	v_mov_b32_e32 v6, 0x3b800000
	v_lshlrev_b32_e32 v2, 20, v2
	v_and_b32_e32 v1, 0x80000000, v1
	v_lshl_add_u32 v6, v7, 23, v6
	v_or3_b32 v1, v1, v6, v2
.LBB135_479:
	s_or_b64 exec, exec, s[50:51]
.LBB135_480:
	s_mov_b64 s[0:1], -1
	v_mov_b32_e32 v2, 0
.LBB135_481:
	s_mov_b64 s[50:51], 0
.LBB135_482:
	s_and_b64 vcc, exec, s[50:51]
	s_cbranch_vccz .LBB135_518
; %bb.483:
	s_cmp_gt_i32 s56, 22
	s_cbranch_scc0 .LBB135_493
; %bb.484:
	s_cmp_lt_i32 s56, 24
	s_cbranch_scc1 .LBB135_496
; %bb.485:
	s_cmp_gt_i32 s56, 24
	s_cbranch_scc0 .LBB135_497
; %bb.486:
	global_load_ubyte v2, v[4:5], off
	s_movk_i32 s0, 0x7f
	s_waitcnt vmcnt(0)
	v_cmp_lt_i16_e32 vcc, s0, v2
	s_mov_b64 s[0:1], 0
	s_and_saveexec_b64 s[50:51], vcc
	s_xor_b64 s[50:51], exec, s[50:51]
	s_cbranch_execz .LBB135_509
; %bb.487:
	s_movk_i32 s0, 0x80
	v_cmp_eq_u16_e32 vcc, s0, v2
	s_mov_b64 s[0:1], -1
	s_and_saveexec_b64 s[52:53], vcc
; %bb.488:
	s_xor_b64 s[0:1], exec, -1
; %bb.489:
	s_or_b64 exec, exec, s[52:53]
	s_and_b64 s[0:1], s[0:1], exec
	s_or_saveexec_b64 s[50:51], s[50:51]
	v_mov_b32_e32 v1, 0x7f800001
	s_xor_b64 exec, exec, s[50:51]
	s_cbranch_execnz .LBB135_510
.LBB135_490:
	s_or_b64 exec, exec, s[50:51]
	s_and_saveexec_b64 s[50:51], s[0:1]
	s_cbranch_execz .LBB135_492
.LBB135_491:
	v_lshlrev_b32_e32 v1, 24, v2
	v_and_b32_e32 v2, 0xffff, v2
	v_and_b32_e32 v6, 3, v2
	v_ffbh_u32_e32 v9, v6
	v_min_u32_e32 v9, 32, v9
	v_subrev_u32_e32 v10, 29, v9
	v_bfe_u32 v7, v2, 2, 5
	v_lshlrev_b32_e32 v2, v10, v2
	v_sub_u32_e32 v9, 30, v9
	v_and_b32_e32 v2, 3, v2
	v_cmp_eq_u32_e32 vcc, 0, v7
	v_cndmask_b32_e32 v7, v7, v9, vcc
	v_cndmask_b32_e32 v2, v6, v2, vcc
	v_mov_b32_e32 v6, 0x37800000
	v_lshlrev_b32_e32 v2, 21, v2
	v_and_b32_e32 v1, 0x80000000, v1
	v_lshl_add_u32 v6, v7, 23, v6
	v_or3_b32 v1, v1, v6, v2
.LBB135_492:
	s_or_b64 exec, exec, s[50:51]
	s_mov_b64 s[0:1], 0
	s_branch .LBB135_498
.LBB135_493:
	s_mov_b64 s[50:51], -1
                                        ; implicit-def: $vgpr1
	s_branch .LBB135_504
.LBB135_494:
	s_or_saveexec_b64 s[50:51], s[50:51]
	v_mov_b32_e32 v1, 0x7f800001
	s_xor_b64 exec, exec, s[50:51]
	s_cbranch_execz .LBB135_477
.LBB135_495:
	v_cmp_ne_u16_e32 vcc, 0, v2
	s_andn2_b64 s[0:1], s[0:1], exec
	s_and_b64 s[52:53], vcc, exec
	v_mov_b32_e32 v1, 0
	s_or_b64 s[0:1], s[0:1], s[52:53]
	s_or_b64 exec, exec, s[50:51]
	s_and_saveexec_b64 s[50:51], s[0:1]
	s_cbranch_execnz .LBB135_478
	s_branch .LBB135_479
.LBB135_496:
	s_mov_b64 s[0:1], -1
                                        ; implicit-def: $vgpr1
	s_branch .LBB135_501
.LBB135_497:
	s_mov_b64 s[0:1], -1
                                        ; implicit-def: $vgpr1
.LBB135_498:
	s_and_b64 vcc, exec, s[0:1]
	s_cbranch_vccz .LBB135_500
; %bb.499:
	global_load_ubyte v1, v[4:5], off
	s_mov_b32 s0, 0x7f800000
	s_waitcnt vmcnt(0)
	v_lshlrev_b32_e32 v1, 24, v1
	v_and_b32_e32 v2, 0x7f000000, v1
	v_ffbh_u32_e32 v6, v2
	v_min_u32_e32 v6, 32, v6
	v_sub_u32_e64 v6, v6, 4 clamp
	v_lshlrev_b32_e32 v9, v6, v2
	v_lshlrev_b32_e32 v6, 23, v6
	v_lshrrev_b32_e32 v9, 4, v9
	v_add_u32_e32 v7, 0x1000000, v2
	v_sub_u32_e32 v6, v9, v6
	v_ashrrev_i32_e32 v7, 8, v7
	v_add_u32_e32 v6, 0x3c000000, v6
	v_and_or_b32 v6, v7, s0, v6
	v_cmp_ne_u32_e32 vcc, 0, v2
	v_cndmask_b32_e32 v2, 0, v6, vcc
	s_brev_b32 s0, 1
	v_and_or_b32 v1, v1, s0, v2
.LBB135_500:
	s_mov_b64 s[0:1], 0
.LBB135_501:
	s_andn2_b64 vcc, exec, s[0:1]
	s_cbranch_vccnz .LBB135_503
; %bb.502:
	global_load_ubyte v1, v[4:5], off
	s_movk_i32 s0, 0x7f00
	s_brev_b32 s1, 16
	s_waitcnt vmcnt(0)
	v_lshlrev_b16_e32 v2, 8, v1
	v_lshlrev_b32_e32 v1, 25, v1
	v_lshrrev_b32_e32 v6, 4, v1
	v_and_or_b32 v7, v2, s0, 0.5
	v_or_b32_e32 v6, 0x70000000, v6
	v_add_f32_e32 v7, -0.5, v7
	v_mul_f32_e32 v6, 0x7800000, v6
	v_cmp_gt_u32_e32 vcc, s1, v1
	v_bfe_i32 v2, v2, 0, 16
	v_cndmask_b32_e32 v1, v6, v7, vcc
	s_brev_b32 s0, 1
	v_and_or_b32 v1, v2, s0, v1
.LBB135_503:
	s_mov_b64 s[50:51], 0
	s_mov_b64 s[0:1], -1
.LBB135_504:
	s_andn2_b64 vcc, exec, s[50:51]
	s_cbranch_vccnz .LBB135_517
; %bb.505:
	s_cmp_gt_i32 s56, 14
	s_cbranch_scc0 .LBB135_508
; %bb.506:
	s_cmp_eq_u32 s56, 15
	s_cbranch_scc0 .LBB135_511
; %bb.507:
	global_load_ushort v1, v[4:5], off
	s_mov_b64 s[0:1], -1
	s_mov_b64 s[48:49], 0
	s_waitcnt vmcnt(0)
	v_lshlrev_b32_e32 v1, 16, v1
	s_branch .LBB135_512
.LBB135_508:
	s_mov_b64 s[50:51], -1
                                        ; implicit-def: $vgpr1
	s_branch .LBB135_513
.LBB135_509:
	s_or_saveexec_b64 s[50:51], s[50:51]
	v_mov_b32_e32 v1, 0x7f800001
	s_xor_b64 exec, exec, s[50:51]
	s_cbranch_execz .LBB135_490
.LBB135_510:
	v_cmp_ne_u16_e32 vcc, 0, v2
	s_andn2_b64 s[0:1], s[0:1], exec
	s_and_b64 s[52:53], vcc, exec
	v_mov_b32_e32 v1, 0
	s_or_b64 s[0:1], s[0:1], s[52:53]
	s_or_b64 exec, exec, s[50:51]
	s_and_saveexec_b64 s[50:51], s[0:1]
	s_cbranch_execnz .LBB135_491
	s_branch .LBB135_492
.LBB135_511:
	s_mov_b64 s[48:49], -1
                                        ; implicit-def: $vgpr1
.LBB135_512:
	s_mov_b64 s[50:51], 0
.LBB135_513:
	s_and_b64 vcc, exec, s[50:51]
	s_cbranch_vccz .LBB135_517
; %bb.514:
	s_cmp_eq_u32 s56, 11
	s_cbranch_scc0 .LBB135_516
; %bb.515:
	global_load_ubyte v1, v[4:5], off
	s_mov_b64 s[0:1], -1
	s_mov_b64 s[48:49], 0
	v_mov_b32_e32 v2, 0
	s_waitcnt vmcnt(0)
	v_cmp_ne_u16_e32 vcc, 0, v1
	v_cndmask_b32_e64 v1, 0, 1.0, vcc
	s_branch .LBB135_518
.LBB135_516:
	s_mov_b64 s[48:49], -1
                                        ; implicit-def: $vgpr1
.LBB135_517:
	v_mov_b32_e32 v2, 0
.LBB135_518:
	s_branch .LBB135_431
.LBB135_519:
	s_and_b32 s14, 0xffff, s14
	s_cmp_lt_i32 s14, 5
	s_cbranch_scc1 .LBB135_524
; %bb.520:
	s_cmp_lt_i32 s14, 8
	s_cbranch_scc1 .LBB135_525
; %bb.521:
	;; [unrolled: 3-line block ×3, first 2 shown]
	s_cmp_gt_i32 s14, 9
	s_cbranch_scc0 .LBB135_527
; %bb.523:
	global_load_dwordx4 v[9:12], v[4:5], off
	s_mov_b64 s[0:1], 0
	s_waitcnt vmcnt(0)
	v_cvt_f32_f64_e32 v1, v[9:10]
	v_cvt_f32_f64_e32 v2, v[11:12]
	s_branch .LBB135_528
.LBB135_524:
	s_mov_b64 s[0:1], -1
                                        ; implicit-def: $vgpr2
	s_branch .LBB135_547
.LBB135_525:
	s_mov_b64 s[0:1], -1
                                        ; implicit-def: $vgpr2
	s_branch .LBB135_534
.LBB135_526:
	s_mov_b64 s[0:1], -1
                                        ; implicit-def: $vgpr2
	s_branch .LBB135_531
.LBB135_527:
	s_mov_b64 s[0:1], -1
                                        ; implicit-def: $vgpr2
.LBB135_528:
	s_andn2_b64 vcc, exec, s[0:1]
	s_cbranch_vccnz .LBB135_530
; %bb.529:
	global_load_dwordx2 v[1:2], v[4:5], off
.LBB135_530:
	s_mov_b64 s[0:1], 0
.LBB135_531:
	s_andn2_b64 vcc, exec, s[0:1]
	s_cbranch_vccnz .LBB135_533
; %bb.532:
	global_load_dword v2, v[4:5], off
	s_waitcnt vmcnt(0)
	v_cvt_f32_f16_e32 v1, v2
	v_cvt_f32_f16_sdwa v2, v2 dst_sel:DWORD dst_unused:UNUSED_PAD src0_sel:WORD_1
.LBB135_533:
	s_mov_b64 s[0:1], 0
.LBB135_534:
	s_andn2_b64 vcc, exec, s[0:1]
	s_cbranch_vccnz .LBB135_546
; %bb.535:
	s_cmp_lt_i32 s14, 6
	s_cbranch_scc1 .LBB135_538
; %bb.536:
	s_cmp_gt_i32 s14, 6
	s_cbranch_scc0 .LBB135_539
; %bb.537:
	global_load_dwordx2 v[1:2], v[4:5], off
	s_mov_b64 s[0:1], 0
	s_waitcnt vmcnt(0)
	v_cvt_f32_f64_e32 v1, v[1:2]
	s_branch .LBB135_540
.LBB135_538:
	s_mov_b64 s[0:1], -1
                                        ; implicit-def: $vgpr1
	s_branch .LBB135_543
.LBB135_539:
	s_mov_b64 s[0:1], -1
                                        ; implicit-def: $vgpr1
.LBB135_540:
	s_andn2_b64 vcc, exec, s[0:1]
	s_cbranch_vccnz .LBB135_542
; %bb.541:
	global_load_dword v1, v[4:5], off
.LBB135_542:
	s_mov_b64 s[0:1], 0
.LBB135_543:
	s_andn2_b64 vcc, exec, s[0:1]
	s_cbranch_vccnz .LBB135_545
; %bb.544:
	global_load_ushort v1, v[4:5], off
	s_waitcnt vmcnt(0)
	v_cvt_f32_f16_e32 v1, v1
.LBB135_545:
	s_waitcnt vmcnt(0)
	v_mov_b32_e32 v2, 0
.LBB135_546:
	s_mov_b64 s[0:1], 0
.LBB135_547:
	s_andn2_b64 vcc, exec, s[0:1]
	s_cbranch_vccnz .LBB135_568
; %bb.548:
	s_cmp_lt_i32 s14, 2
	s_cbranch_scc1 .LBB135_552
; %bb.549:
	s_cmp_lt_i32 s14, 3
	s_cbranch_scc1 .LBB135_553
; %bb.550:
	s_cmp_gt_i32 s14, 3
	s_cbranch_scc0 .LBB135_554
; %bb.551:
	global_load_dwordx2 v[1:2], v[4:5], off
	s_mov_b64 s[0:1], 0
	s_waitcnt vmcnt(0)
	v_xor_b32_e32 v7, v1, v2
	v_ffbh_i32_e32 v6, v2
	v_ashrrev_i32_e32 v7, 31, v7
	v_add_u32_e32 v6, -1, v6
	v_add_u32_e32 v7, 32, v7
	v_min_u32_e32 v6, v6, v7
	v_lshlrev_b64 v[1:2], v6, v[1:2]
	v_min_u32_e32 v1, 1, v1
	v_or_b32_e32 v1, v2, v1
	v_cvt_f32_i32_e32 v1, v1
	v_sub_u32_e32 v2, 32, v6
	v_ldexp_f32 v1, v1, v2
	s_branch .LBB135_555
.LBB135_552:
	s_mov_b64 s[0:1], -1
                                        ; implicit-def: $vgpr1
	s_branch .LBB135_561
.LBB135_553:
	s_mov_b64 s[0:1], -1
                                        ; implicit-def: $vgpr1
	s_branch .LBB135_558
.LBB135_554:
	s_mov_b64 s[0:1], -1
                                        ; implicit-def: $vgpr1
.LBB135_555:
	s_andn2_b64 vcc, exec, s[0:1]
	s_cbranch_vccnz .LBB135_557
; %bb.556:
	global_load_dword v1, v[4:5], off
	s_waitcnt vmcnt(0)
	v_cvt_f32_i32_e32 v1, v1
.LBB135_557:
	s_mov_b64 s[0:1], 0
.LBB135_558:
	s_andn2_b64 vcc, exec, s[0:1]
	s_cbranch_vccnz .LBB135_560
; %bb.559:
	global_load_sshort v1, v[4:5], off
	s_waitcnt vmcnt(0)
	v_cvt_f32_i32_e32 v1, v1
.LBB135_560:
	s_mov_b64 s[0:1], 0
.LBB135_561:
	s_andn2_b64 vcc, exec, s[0:1]
	s_cbranch_vccnz .LBB135_567
; %bb.562:
	s_cmp_gt_i32 s14, 0
	s_cbranch_scc0 .LBB135_564
; %bb.563:
	global_load_sbyte v1, v[4:5], off
	s_mov_b64 s[0:1], 0
	s_waitcnt vmcnt(0)
	v_cvt_f32_i32_e32 v1, v1
	s_branch .LBB135_565
.LBB135_564:
	s_mov_b64 s[0:1], -1
                                        ; implicit-def: $vgpr1
.LBB135_565:
	s_andn2_b64 vcc, exec, s[0:1]
	s_cbranch_vccnz .LBB135_567
; %bb.566:
	global_load_ubyte v1, v[4:5], off
	s_waitcnt vmcnt(0)
	v_cvt_f32_ubyte0_e32 v1, v1
.LBB135_567:
	s_waitcnt vmcnt(0)
	v_mov_b32_e32 v2, 0
.LBB135_568:
	s_branch .LBB135_432
.LBB135_569:
	s_mov_b64 s[56:57], 0
	s_mov_b64 s[0:1], s[40:41]
	;; [unrolled: 1-line block ×3, first 2 shown]
.LBB135_570:
                                        ; implicit-def: $vgpr8
	s_branch .LBB135_822
.LBB135_571:
	s_andn2_saveexec_b64 s[54:55], s[54:55]
	s_cbranch_execz .LBB135_212
.LBB135_572:
	v_add_f32_e32 v2, 0x42800000, v3
	v_and_b32_e32 v2, 0xff, v2
	v_cmp_ne_u32_e32 vcc, 0, v2
	s_andn2_b64 s[52:53], s[52:53], exec
	s_and_b64 s[58:59], vcc, exec
	s_or_b64 s[52:53], s[52:53], s[58:59]
	s_or_b64 exec, exec, s[54:55]
	v_mov_b32_e32 v4, 0
	s_and_saveexec_b64 s[54:55], s[52:53]
	s_cbranch_execnz .LBB135_213
	s_branch .LBB135_214
.LBB135_573:
	s_mov_b64 s[50:51], -1
                                        ; implicit-def: $vgpr6
	s_mov_b64 s[0:1], 0
.LBB135_574:
	s_and_b64 vcc, exec, s[52:53]
	s_cbranch_vccz .LBB135_579
; %bb.575:
	s_cmp_eq_u32 s58, 44
	s_cbranch_scc0 .LBB135_577
; %bb.576:
	global_load_ubyte v5, v[3:4], off
	s_movk_i32 s50, 0xff
	v_mov_b32_e32 v6, 0x7f800001
	v_mov_b32_e32 v7, 0x400000
	s_mov_b64 s[0:1], -1
	s_waitcnt vmcnt(0)
	v_lshlrev_b32_e32 v9, 23, v5
	v_cmp_ne_u32_e32 vcc, s50, v5
	v_cndmask_b32_e32 v6, v6, v9, vcc
	v_cmp_ne_u32_e32 vcc, 0, v5
	v_cndmask_b32_e32 v5, v7, v6, vcc
	s_mov_b64 s[50:51], 0
	s_branch .LBB135_578
.LBB135_577:
	s_mov_b64 s[50:51], -1
                                        ; implicit-def: $vgpr5
.LBB135_578:
	v_mov_b32_e32 v6, 0
.LBB135_579:
	s_mov_b64 s[52:53], 0
.LBB135_580:
	s_and_b64 vcc, exec, s[52:53]
	s_cbranch_vccz .LBB135_585
; %bb.581:
	s_cmp_eq_u32 s58, 29
	s_cbranch_scc0 .LBB135_583
; %bb.582:
	global_load_dwordx2 v[5:6], v[3:4], off
	s_mov_b64 s[0:1], -1
	s_mov_b64 s[50:51], 0
	s_waitcnt vmcnt(0)
	v_ffbh_u32_e32 v7, v6
	v_min_u32_e32 v7, 32, v7
	v_lshlrev_b64 v[5:6], v7, v[5:6]
	v_min_u32_e32 v5, 1, v5
	v_or_b32_e32 v5, v6, v5
	v_cvt_f32_u32_e32 v5, v5
	v_sub_u32_e32 v6, 32, v7
	v_ldexp_f32 v5, v5, v6
	s_branch .LBB135_584
.LBB135_583:
	s_mov_b64 s[50:51], -1
                                        ; implicit-def: $vgpr5
.LBB135_584:
	v_mov_b32_e32 v6, 0
.LBB135_585:
	s_mov_b64 s[52:53], 0
.LBB135_586:
	s_and_b64 vcc, exec, s[52:53]
	s_cbranch_vccz .LBB135_604
; %bb.587:
	s_cmp_lt_i32 s58, 27
	s_cbranch_scc1 .LBB135_590
; %bb.588:
	s_cmp_gt_i32 s58, 27
	s_cbranch_scc0 .LBB135_591
; %bb.589:
	global_load_dword v5, v[3:4], off
	s_mov_b64 s[0:1], 0
	s_waitcnt vmcnt(0)
	v_cvt_f32_u32_e32 v5, v5
	s_branch .LBB135_592
.LBB135_590:
	s_mov_b64 s[0:1], -1
                                        ; implicit-def: $vgpr5
	s_branch .LBB135_595
.LBB135_591:
	s_mov_b64 s[0:1], -1
                                        ; implicit-def: $vgpr5
.LBB135_592:
	s_andn2_b64 vcc, exec, s[0:1]
	s_cbranch_vccnz .LBB135_594
; %bb.593:
	global_load_ushort v5, v[3:4], off
	s_waitcnt vmcnt(0)
	v_cvt_f32_u32_e32 v5, v5
.LBB135_594:
	s_mov_b64 s[0:1], 0
.LBB135_595:
	s_andn2_b64 vcc, exec, s[0:1]
	s_cbranch_vccnz .LBB135_603
; %bb.596:
	global_load_ubyte v6, v[3:4], off
	s_movk_i32 s0, 0x7f
	s_waitcnt vmcnt(0)
	v_cmp_lt_i16_e32 vcc, s0, v6
	s_mov_b64 s[0:1], 0
	s_and_saveexec_b64 s[52:53], vcc
	s_xor_b64 s[52:53], exec, s[52:53]
	s_cbranch_execz .LBB135_617
; %bb.597:
	s_movk_i32 s0, 0x80
	v_cmp_eq_u16_e32 vcc, s0, v6
	s_mov_b64 s[0:1], -1
	s_and_saveexec_b64 s[56:57], vcc
; %bb.598:
	s_xor_b64 s[0:1], exec, -1
; %bb.599:
	s_or_b64 exec, exec, s[56:57]
	s_and_b64 s[0:1], s[0:1], exec
	s_or_saveexec_b64 s[52:53], s[52:53]
	v_mov_b32_e32 v5, 0x7f800001
	s_xor_b64 exec, exec, s[52:53]
	s_cbranch_execnz .LBB135_618
.LBB135_600:
	s_or_b64 exec, exec, s[52:53]
	s_and_saveexec_b64 s[52:53], s[0:1]
	s_cbranch_execz .LBB135_602
.LBB135_601:
	v_lshlrev_b32_e32 v5, 24, v6
	v_and_b32_e32 v6, 0xffff, v6
	v_and_b32_e32 v7, 7, v6
	v_ffbh_u32_e32 v10, v7
	v_min_u32_e32 v10, 32, v10
	v_subrev_u32_e32 v11, 28, v10
	v_bfe_u32 v9, v6, 3, 4
	v_lshlrev_b32_e32 v6, v11, v6
	v_sub_u32_e32 v10, 29, v10
	v_and_b32_e32 v6, 7, v6
	v_cmp_eq_u32_e32 vcc, 0, v9
	v_cndmask_b32_e32 v9, v9, v10, vcc
	v_cndmask_b32_e32 v6, v7, v6, vcc
	v_mov_b32_e32 v7, 0x3b800000
	v_lshlrev_b32_e32 v6, 20, v6
	v_and_b32_e32 v5, 0x80000000, v5
	v_lshl_add_u32 v7, v9, 23, v7
	v_or3_b32 v5, v5, v7, v6
.LBB135_602:
	s_or_b64 exec, exec, s[52:53]
.LBB135_603:
	s_mov_b64 s[0:1], -1
	v_mov_b32_e32 v6, 0
.LBB135_604:
	s_mov_b64 s[52:53], 0
.LBB135_605:
	s_and_b64 vcc, exec, s[52:53]
	s_cbranch_vccz .LBB135_641
; %bb.606:
	s_cmp_gt_i32 s58, 22
	s_cbranch_scc0 .LBB135_616
; %bb.607:
	s_cmp_lt_i32 s58, 24
	s_cbranch_scc1 .LBB135_619
; %bb.608:
	s_cmp_gt_i32 s58, 24
	s_cbranch_scc0 .LBB135_620
; %bb.609:
	global_load_ubyte v6, v[3:4], off
	s_movk_i32 s0, 0x7f
	s_waitcnt vmcnt(0)
	v_cmp_lt_i16_e32 vcc, s0, v6
	s_mov_b64 s[0:1], 0
	s_and_saveexec_b64 s[52:53], vcc
	s_xor_b64 s[52:53], exec, s[52:53]
	s_cbranch_execz .LBB135_632
; %bb.610:
	s_movk_i32 s0, 0x80
	v_cmp_eq_u16_e32 vcc, s0, v6
	s_mov_b64 s[0:1], -1
	s_and_saveexec_b64 s[56:57], vcc
; %bb.611:
	s_xor_b64 s[0:1], exec, -1
; %bb.612:
	s_or_b64 exec, exec, s[56:57]
	s_and_b64 s[0:1], s[0:1], exec
	s_or_saveexec_b64 s[52:53], s[52:53]
	v_mov_b32_e32 v5, 0x7f800001
	s_xor_b64 exec, exec, s[52:53]
	s_cbranch_execnz .LBB135_633
.LBB135_613:
	s_or_b64 exec, exec, s[52:53]
	s_and_saveexec_b64 s[52:53], s[0:1]
	s_cbranch_execz .LBB135_615
.LBB135_614:
	v_lshlrev_b32_e32 v5, 24, v6
	v_and_b32_e32 v6, 0xffff, v6
	v_and_b32_e32 v7, 3, v6
	v_ffbh_u32_e32 v10, v7
	v_min_u32_e32 v10, 32, v10
	v_subrev_u32_e32 v11, 29, v10
	v_bfe_u32 v9, v6, 2, 5
	v_lshlrev_b32_e32 v6, v11, v6
	v_sub_u32_e32 v10, 30, v10
	v_and_b32_e32 v6, 3, v6
	v_cmp_eq_u32_e32 vcc, 0, v9
	v_cndmask_b32_e32 v9, v9, v10, vcc
	v_cndmask_b32_e32 v6, v7, v6, vcc
	v_mov_b32_e32 v7, 0x37800000
	v_lshlrev_b32_e32 v6, 21, v6
	v_and_b32_e32 v5, 0x80000000, v5
	v_lshl_add_u32 v7, v9, 23, v7
	v_or3_b32 v5, v5, v7, v6
.LBB135_615:
	s_or_b64 exec, exec, s[52:53]
	s_mov_b64 s[0:1], 0
	s_branch .LBB135_621
.LBB135_616:
	s_mov_b64 s[52:53], -1
                                        ; implicit-def: $vgpr5
	s_branch .LBB135_627
.LBB135_617:
	s_or_saveexec_b64 s[52:53], s[52:53]
	v_mov_b32_e32 v5, 0x7f800001
	s_xor_b64 exec, exec, s[52:53]
	s_cbranch_execz .LBB135_600
.LBB135_618:
	v_cmp_ne_u16_e32 vcc, 0, v6
	s_andn2_b64 s[0:1], s[0:1], exec
	s_and_b64 s[56:57], vcc, exec
	v_mov_b32_e32 v5, 0
	s_or_b64 s[0:1], s[0:1], s[56:57]
	s_or_b64 exec, exec, s[52:53]
	s_and_saveexec_b64 s[52:53], s[0:1]
	s_cbranch_execnz .LBB135_601
	s_branch .LBB135_602
.LBB135_619:
	s_mov_b64 s[0:1], -1
                                        ; implicit-def: $vgpr5
	s_branch .LBB135_624
.LBB135_620:
	s_mov_b64 s[0:1], -1
                                        ; implicit-def: $vgpr5
.LBB135_621:
	s_and_b64 vcc, exec, s[0:1]
	s_cbranch_vccz .LBB135_623
; %bb.622:
	global_load_ubyte v5, v[3:4], off
	s_mov_b32 s0, 0x7f800000
	s_waitcnt vmcnt(0)
	v_lshlrev_b32_e32 v5, 24, v5
	v_and_b32_e32 v6, 0x7f000000, v5
	v_ffbh_u32_e32 v7, v6
	v_min_u32_e32 v7, 32, v7
	v_sub_u32_e64 v7, v7, 4 clamp
	v_lshlrev_b32_e32 v10, v7, v6
	v_lshlrev_b32_e32 v7, 23, v7
	v_lshrrev_b32_e32 v10, 4, v10
	v_add_u32_e32 v9, 0x1000000, v6
	v_sub_u32_e32 v7, v10, v7
	v_ashrrev_i32_e32 v9, 8, v9
	v_add_u32_e32 v7, 0x3c000000, v7
	v_and_or_b32 v7, v9, s0, v7
	v_cmp_ne_u32_e32 vcc, 0, v6
	v_cndmask_b32_e32 v6, 0, v7, vcc
	s_brev_b32 s0, 1
	v_and_or_b32 v5, v5, s0, v6
.LBB135_623:
	s_mov_b64 s[0:1], 0
.LBB135_624:
	s_andn2_b64 vcc, exec, s[0:1]
	s_cbranch_vccnz .LBB135_626
; %bb.625:
	global_load_ubyte v5, v[3:4], off
	s_movk_i32 s0, 0x7f00
	s_brev_b32 s1, 16
	s_waitcnt vmcnt(0)
	v_lshlrev_b16_e32 v6, 8, v5
	v_lshlrev_b32_e32 v5, 25, v5
	v_lshrrev_b32_e32 v7, 4, v5
	v_and_or_b32 v9, v6, s0, 0.5
	v_or_b32_e32 v7, 0x70000000, v7
	v_add_f32_e32 v9, -0.5, v9
	v_mul_f32_e32 v7, 0x7800000, v7
	v_cmp_gt_u32_e32 vcc, s1, v5
	v_bfe_i32 v6, v6, 0, 16
	v_cndmask_b32_e32 v5, v7, v9, vcc
	s_brev_b32 s0, 1
	v_and_or_b32 v5, v6, s0, v5
.LBB135_626:
	s_mov_b64 s[52:53], 0
	s_mov_b64 s[0:1], -1
.LBB135_627:
	s_andn2_b64 vcc, exec, s[52:53]
	s_cbranch_vccnz .LBB135_640
; %bb.628:
	s_cmp_gt_i32 s58, 14
	s_cbranch_scc0 .LBB135_631
; %bb.629:
	s_cmp_eq_u32 s58, 15
	s_cbranch_scc0 .LBB135_634
; %bb.630:
	global_load_ushort v5, v[3:4], off
	s_mov_b64 s[0:1], -1
	s_mov_b64 s[50:51], 0
	s_waitcnt vmcnt(0)
	v_lshlrev_b32_e32 v5, 16, v5
	s_branch .LBB135_635
.LBB135_631:
	s_mov_b64 s[52:53], -1
                                        ; implicit-def: $vgpr5
	s_branch .LBB135_636
.LBB135_632:
	s_or_saveexec_b64 s[52:53], s[52:53]
	v_mov_b32_e32 v5, 0x7f800001
	s_xor_b64 exec, exec, s[52:53]
	s_cbranch_execz .LBB135_613
.LBB135_633:
	v_cmp_ne_u16_e32 vcc, 0, v6
	s_andn2_b64 s[0:1], s[0:1], exec
	s_and_b64 s[56:57], vcc, exec
	v_mov_b32_e32 v5, 0
	s_or_b64 s[0:1], s[0:1], s[56:57]
	s_or_b64 exec, exec, s[52:53]
	s_and_saveexec_b64 s[52:53], s[0:1]
	s_cbranch_execnz .LBB135_614
	s_branch .LBB135_615
.LBB135_634:
	s_mov_b64 s[50:51], -1
                                        ; implicit-def: $vgpr5
.LBB135_635:
	s_mov_b64 s[52:53], 0
.LBB135_636:
	s_and_b64 vcc, exec, s[52:53]
	s_cbranch_vccz .LBB135_640
; %bb.637:
	s_cmp_eq_u32 s58, 11
	s_cbranch_scc0 .LBB135_639
; %bb.638:
	global_load_ubyte v5, v[3:4], off
	s_mov_b64 s[0:1], -1
	s_mov_b64 s[50:51], 0
	v_mov_b32_e32 v6, 0
	s_waitcnt vmcnt(0)
	v_cmp_ne_u16_e32 vcc, 0, v5
	v_cndmask_b32_e64 v5, 0, 1.0, vcc
	s_branch .LBB135_641
.LBB135_639:
	s_mov_b64 s[50:51], -1
                                        ; implicit-def: $vgpr5
.LBB135_640:
	v_mov_b32_e32 v6, 0
.LBB135_641:
	s_mov_b64 s[52:53], 0
.LBB135_642:
	s_and_b64 vcc, exec, s[52:53]
	s_cbranch_vccz .LBB135_693
; %bb.643:
	s_and_b32 s14, 0xffff, s14
	s_cmp_lt_i32 s14, 5
	s_cbranch_scc1 .LBB135_648
; %bb.644:
	s_cmp_lt_i32 s14, 8
	s_cbranch_scc1 .LBB135_649
; %bb.645:
	;; [unrolled: 3-line block ×3, first 2 shown]
	s_cmp_gt_i32 s14, 9
	s_cbranch_scc0 .LBB135_651
; %bb.647:
	global_load_dwordx4 v[9:12], v[3:4], off
	s_mov_b64 s[0:1], 0
	s_waitcnt vmcnt(0)
	v_cvt_f32_f64_e32 v5, v[9:10]
	v_cvt_f32_f64_e32 v6, v[11:12]
	s_branch .LBB135_652
.LBB135_648:
	s_mov_b64 s[0:1], -1
                                        ; implicit-def: $vgpr6
	s_branch .LBB135_671
.LBB135_649:
	s_mov_b64 s[0:1], -1
                                        ; implicit-def: $vgpr6
	s_branch .LBB135_658
.LBB135_650:
	s_mov_b64 s[0:1], -1
                                        ; implicit-def: $vgpr6
	s_branch .LBB135_655
.LBB135_651:
	s_mov_b64 s[0:1], -1
                                        ; implicit-def: $vgpr6
.LBB135_652:
	s_andn2_b64 vcc, exec, s[0:1]
	s_cbranch_vccnz .LBB135_654
; %bb.653:
	global_load_dwordx2 v[5:6], v[3:4], off
.LBB135_654:
	s_mov_b64 s[0:1], 0
.LBB135_655:
	s_andn2_b64 vcc, exec, s[0:1]
	s_cbranch_vccnz .LBB135_657
; %bb.656:
	global_load_dword v6, v[3:4], off
	s_waitcnt vmcnt(0)
	v_cvt_f32_f16_e32 v5, v6
	v_cvt_f32_f16_sdwa v6, v6 dst_sel:DWORD dst_unused:UNUSED_PAD src0_sel:WORD_1
.LBB135_657:
	s_mov_b64 s[0:1], 0
.LBB135_658:
	s_andn2_b64 vcc, exec, s[0:1]
	s_cbranch_vccnz .LBB135_670
; %bb.659:
	s_cmp_lt_i32 s14, 6
	s_cbranch_scc1 .LBB135_662
; %bb.660:
	s_cmp_gt_i32 s14, 6
	s_cbranch_scc0 .LBB135_663
; %bb.661:
	global_load_dwordx2 v[5:6], v[3:4], off
	s_mov_b64 s[0:1], 0
	s_waitcnt vmcnt(0)
	v_cvt_f32_f64_e32 v5, v[5:6]
	s_branch .LBB135_664
.LBB135_662:
	s_mov_b64 s[0:1], -1
                                        ; implicit-def: $vgpr5
	s_branch .LBB135_667
.LBB135_663:
	s_mov_b64 s[0:1], -1
                                        ; implicit-def: $vgpr5
.LBB135_664:
	s_andn2_b64 vcc, exec, s[0:1]
	s_cbranch_vccnz .LBB135_666
; %bb.665:
	global_load_dword v5, v[3:4], off
.LBB135_666:
	s_mov_b64 s[0:1], 0
.LBB135_667:
	s_andn2_b64 vcc, exec, s[0:1]
	s_cbranch_vccnz .LBB135_669
; %bb.668:
	global_load_ushort v5, v[3:4], off
	s_waitcnt vmcnt(0)
	v_cvt_f32_f16_e32 v5, v5
.LBB135_669:
	s_waitcnt vmcnt(0)
	v_mov_b32_e32 v6, 0
.LBB135_670:
	s_mov_b64 s[0:1], 0
.LBB135_671:
	s_andn2_b64 vcc, exec, s[0:1]
	s_cbranch_vccnz .LBB135_692
; %bb.672:
	s_cmp_lt_i32 s14, 2
	s_cbranch_scc1 .LBB135_676
; %bb.673:
	s_cmp_lt_i32 s14, 3
	s_cbranch_scc1 .LBB135_677
; %bb.674:
	s_cmp_gt_i32 s14, 3
	s_cbranch_scc0 .LBB135_678
; %bb.675:
	global_load_dwordx2 v[5:6], v[3:4], off
	s_mov_b64 s[0:1], 0
	s_waitcnt vmcnt(0)
	v_xor_b32_e32 v9, v5, v6
	v_ffbh_i32_e32 v7, v6
	v_ashrrev_i32_e32 v9, 31, v9
	v_add_u32_e32 v7, -1, v7
	v_add_u32_e32 v9, 32, v9
	v_min_u32_e32 v7, v7, v9
	v_lshlrev_b64 v[5:6], v7, v[5:6]
	v_min_u32_e32 v5, 1, v5
	v_or_b32_e32 v5, v6, v5
	v_cvt_f32_i32_e32 v5, v5
	v_sub_u32_e32 v6, 32, v7
	v_ldexp_f32 v5, v5, v6
	s_branch .LBB135_679
.LBB135_676:
	s_mov_b64 s[0:1], -1
                                        ; implicit-def: $vgpr5
	s_branch .LBB135_685
.LBB135_677:
	s_mov_b64 s[0:1], -1
                                        ; implicit-def: $vgpr5
	s_branch .LBB135_682
.LBB135_678:
	s_mov_b64 s[0:1], -1
                                        ; implicit-def: $vgpr5
.LBB135_679:
	s_andn2_b64 vcc, exec, s[0:1]
	s_cbranch_vccnz .LBB135_681
; %bb.680:
	global_load_dword v5, v[3:4], off
	s_waitcnt vmcnt(0)
	v_cvt_f32_i32_e32 v5, v5
.LBB135_681:
	s_mov_b64 s[0:1], 0
.LBB135_682:
	s_andn2_b64 vcc, exec, s[0:1]
	s_cbranch_vccnz .LBB135_684
; %bb.683:
	global_load_sshort v5, v[3:4], off
	s_waitcnt vmcnt(0)
	v_cvt_f32_i32_e32 v5, v5
.LBB135_684:
	s_mov_b64 s[0:1], 0
.LBB135_685:
	s_andn2_b64 vcc, exec, s[0:1]
	s_cbranch_vccnz .LBB135_691
; %bb.686:
	s_cmp_gt_i32 s14, 0
	s_cbranch_scc0 .LBB135_688
; %bb.687:
	global_load_sbyte v5, v[3:4], off
	s_mov_b64 s[0:1], 0
	s_waitcnt vmcnt(0)
	v_cvt_f32_i32_e32 v5, v5
	s_branch .LBB135_689
.LBB135_688:
	s_mov_b64 s[0:1], -1
                                        ; implicit-def: $vgpr5
.LBB135_689:
	s_andn2_b64 vcc, exec, s[0:1]
	s_cbranch_vccnz .LBB135_691
; %bb.690:
	global_load_ubyte v3, v[3:4], off
	s_waitcnt vmcnt(0)
	v_cvt_f32_ubyte0_e32 v5, v3
.LBB135_691:
	s_waitcnt vmcnt(0)
	v_mov_b32_e32 v6, 0
.LBB135_692:
	s_mov_b64 s[0:1], -1
.LBB135_693:
	s_andn2_b64 vcc, exec, s[0:1]
	s_cbranch_vccnz .LBB135_696
; %bb.694:
	s_andn2_b64 vcc, exec, s[28:29]
	s_cbranch_vccnz .LBB135_697
; %bb.695:
	s_waitcnt vmcnt(0)
	v_cmp_neq_f32_e32 vcc, v1, v5
	v_cmp_neq_f32_e64 s[0:1], v2, v6
	s_or_b64 s[52:53], vcc, s[0:1]
	s_mov_b64 s[0:1], 0
	s_branch .LBB135_698
.LBB135_696:
	s_mov_b64 s[56:57], 0
                                        ; implicit-def: $vgpr8
	s_mov_b64 s[0:1], s[40:41]
	s_branch .LBB135_822
.LBB135_697:
	s_mov_b64 s[0:1], -1
                                        ; implicit-def: $sgpr52_sgpr53
.LBB135_698:
	s_andn2_b64 vcc, exec, s[0:1]
	s_cbranch_vccnz .LBB135_700
; %bb.699:
	s_waitcnt vmcnt(0)
	v_cmp_eq_f32_e32 vcc, v1, v5
	v_cmp_eq_f32_e64 s[0:1], v2, v6
	s_and_b64 s[0:1], vcc, s[0:1]
	s_andn2_b64 s[52:53], s[52:53], exec
	s_and_b64 s[0:1], s[0:1], exec
	s_or_b64 s[52:53], s[52:53], s[0:1]
.LBB135_700:
	s_waitcnt vmcnt(0)
	v_mov_b32_e32 v1, s9
	s_and_b32 s14, s15, 0xff
	v_add_co_u32_e32 v0, vcc, s8, v0
	s_cmp_lt_i32 s14, 11
	v_addc_co_u32_e32 v1, vcc, 0, v1, vcc
	s_cbranch_scc1 .LBB135_707
; %bb.701:
	s_and_b32 s62, 0xffff, s14
	s_cmp_gt_i32 s62, 25
	s_cbranch_scc0 .LBB135_708
; %bb.702:
	s_cmp_gt_i32 s62, 28
	s_cbranch_scc0 .LBB135_709
; %bb.703:
	;; [unrolled: 3-line block ×4, first 2 shown]
	s_mov_b64 s[58:59], 0
	s_mov_b64 s[0:1], -1
	s_cmp_eq_u32 s62, 46
	s_mov_b64 s[56:57], 0
	s_cbranch_scc0 .LBB135_712
; %bb.706:
	v_cndmask_b32_e64 v2, 0, 1.0, s[52:53]
	v_bfe_u32 v3, v2, 16, 1
	s_movk_i32 s0, 0x7fff
	v_add3_u32 v2, v2, v3, s0
	v_lshrrev_b32_e32 v2, 16, v2
	global_store_dword v[0:1], v2, off
	s_mov_b64 s[56:57], -1
	s_mov_b64 s[0:1], 0
	s_branch .LBB135_712
.LBB135_707:
	s_mov_b64 s[58:59], -1
	s_mov_b64 s[56:57], 0
	s_mov_b64 s[0:1], s[40:41]
	s_branch .LBB135_781
.LBB135_708:
	s_mov_b64 s[58:59], -1
	s_mov_b64 s[56:57], 0
	s_mov_b64 s[0:1], s[40:41]
	s_branch .LBB135_739
.LBB135_709:
	s_mov_b64 s[58:59], -1
	s_mov_b64 s[56:57], 0
	s_mov_b64 s[0:1], s[40:41]
	s_branch .LBB135_722
.LBB135_710:
	s_mov_b64 s[58:59], -1
	s_mov_b64 s[56:57], 0
	s_mov_b64 s[0:1], s[40:41]
	s_branch .LBB135_718
.LBB135_711:
	s_mov_b64 s[58:59], -1
	s_mov_b64 s[56:57], 0
	s_mov_b64 s[0:1], s[40:41]
.LBB135_712:
	s_and_b64 vcc, exec, s[58:59]
	s_cbranch_vccz .LBB135_717
; %bb.713:
	s_cmp_eq_u32 s62, 44
	s_mov_b64 s[0:1], -1
	s_cbranch_scc0 .LBB135_717
; %bb.714:
	v_cndmask_b32_e64 v3, 0, 1.0, s[52:53]
	v_lshrrev_b32_e32 v2, 23, v3
	s_movk_i32 s0, 0xff
	v_cmp_ne_u32_e32 vcc, s0, v2
	v_mov_b32_e32 v4, 0xff
	s_and_saveexec_b64 s[56:57], vcc
; %bb.715:
	s_mov_b32 s0, 0x3fffff
	v_and_b32_e32 v4, 0x400000, v3
	v_and_or_b32 v3, v3, s0, v2
	v_cmp_ne_u32_e32 vcc, 0, v4
	v_cmp_ne_u32_e64 s[0:1], 0, v3
	s_and_b64 s[0:1], vcc, s[0:1]
	v_cndmask_b32_e64 v3, 0, 1, s[0:1]
	v_add_u32_e32 v4, v2, v3
; %bb.716:
	s_or_b64 exec, exec, s[56:57]
	s_mov_b64 s[56:57], -1
	s_mov_b64 s[0:1], 0
	global_store_byte v[0:1], v4, off
.LBB135_717:
	s_mov_b64 s[58:59], 0
.LBB135_718:
	s_and_b64 vcc, exec, s[58:59]
	s_cbranch_vccz .LBB135_721
; %bb.719:
	s_cmp_eq_u32 s62, 29
	s_mov_b64 s[0:1], -1
	s_cbranch_scc0 .LBB135_721
; %bb.720:
	s_mov_b32 s0, 0
	v_cndmask_b32_e64 v2, 0, 1, s[52:53]
	v_mov_b32_e32 v3, s0
	global_store_dwordx2 v[0:1], v[2:3], off
	s_mov_b64 s[56:57], -1
	s_mov_b64 s[0:1], 0
.LBB135_721:
	s_mov_b64 s[58:59], 0
.LBB135_722:
	s_and_b64 vcc, exec, s[58:59]
	s_cbranch_vccz .LBB135_738
; %bb.723:
	s_cmp_lt_i32 s62, 27
	s_mov_b64 s[56:57], -1
	s_cbranch_scc1 .LBB135_729
; %bb.724:
	s_cmp_gt_i32 s62, 27
	s_cbranch_scc0 .LBB135_726
; %bb.725:
	v_cndmask_b32_e64 v2, 0, 1, s[52:53]
	s_mov_b64 s[56:57], 0
	global_store_dword v[0:1], v2, off
.LBB135_726:
	s_andn2_b64 vcc, exec, s[56:57]
	s_cbranch_vccnz .LBB135_728
; %bb.727:
	v_cndmask_b32_e64 v2, 0, 1, s[52:53]
	global_store_short v[0:1], v2, off
.LBB135_728:
	s_mov_b64 s[56:57], 0
.LBB135_729:
	s_andn2_b64 vcc, exec, s[56:57]
	s_cbranch_vccnz .LBB135_737
; %bb.730:
	v_cndmask_b32_e64 v3, 0, 1.0, s[52:53]
	s_mov_b32 s56, 0x43800000
	v_cmp_gt_u32_e32 vcc, s56, v3
	v_mov_b32_e32 v4, 0x80
	s_and_saveexec_b64 s[56:57], vcc
	s_cbranch_execz .LBB135_736
; %bb.731:
	s_mov_b32 s58, 0x3bffffff
	v_cmp_lt_u32_e32 vcc, s58, v3
	s_mov_b64 s[58:59], 0
                                        ; implicit-def: $vgpr2
	s_and_saveexec_b64 s[60:61], vcc
	s_xor_b64 s[60:61], exec, s[60:61]
	s_cbranch_execz .LBB135_850
; %bb.732:
	v_bfe_u32 v2, v3, 20, 1
	s_mov_b32 s63, 0x487ffff
	v_add3_u32 v2, v3, v2, s63
	s_mov_b64 s[58:59], exec
	v_lshrrev_b32_e32 v2, 20, v2
                                        ; implicit-def: $vgpr3
	s_andn2_saveexec_b64 s[60:61], s[60:61]
	s_cbranch_execnz .LBB135_851
.LBB135_733:
	s_or_b64 exec, exec, s[60:61]
	v_mov_b32_e32 v4, 0
	s_and_saveexec_b64 s[60:61], s[58:59]
.LBB135_734:
	v_mov_b32_e32 v4, v2
.LBB135_735:
	s_or_b64 exec, exec, s[60:61]
.LBB135_736:
	s_or_b64 exec, exec, s[56:57]
	global_store_byte v[0:1], v4, off
.LBB135_737:
	s_mov_b64 s[56:57], -1
.LBB135_738:
	s_mov_b64 s[58:59], 0
.LBB135_739:
	s_and_b64 vcc, exec, s[58:59]
	s_cbranch_vccz .LBB135_780
; %bb.740:
	s_cmp_gt_i32 s62, 22
	s_mov_b64 s[58:59], -1
	s_cbranch_scc0 .LBB135_772
; %bb.741:
	s_cmp_lt_i32 s62, 24
	s_mov_b64 s[56:57], -1
	s_cbranch_scc1 .LBB135_761
; %bb.742:
	s_cmp_gt_i32 s62, 24
	s_cbranch_scc0 .LBB135_750
; %bb.743:
	v_cndmask_b32_e64 v3, 0, 1.0, s[52:53]
	s_mov_b32 s56, 0x47800000
	v_cmp_gt_u32_e32 vcc, s56, v3
	v_mov_b32_e32 v4, 0x80
	s_and_saveexec_b64 s[56:57], vcc
	s_cbranch_execz .LBB135_749
; %bb.744:
	s_mov_b32 s58, 0x37ffffff
	v_cmp_lt_u32_e32 vcc, s58, v3
	s_mov_b64 s[58:59], 0
                                        ; implicit-def: $vgpr2
	s_and_saveexec_b64 s[60:61], vcc
	s_xor_b64 s[60:61], exec, s[60:61]
	s_cbranch_execz .LBB135_987
; %bb.745:
	v_bfe_u32 v2, v3, 21, 1
	s_mov_b32 s63, 0x88fffff
	v_add3_u32 v2, v3, v2, s63
	s_mov_b64 s[58:59], exec
	v_lshrrev_b32_e32 v2, 21, v2
                                        ; implicit-def: $vgpr3
	s_andn2_saveexec_b64 s[60:61], s[60:61]
	s_cbranch_execnz .LBB135_988
.LBB135_746:
	s_or_b64 exec, exec, s[60:61]
	v_mov_b32_e32 v4, 0
	s_and_saveexec_b64 s[60:61], s[58:59]
.LBB135_747:
	v_mov_b32_e32 v4, v2
.LBB135_748:
	s_or_b64 exec, exec, s[60:61]
.LBB135_749:
	s_or_b64 exec, exec, s[56:57]
	s_mov_b64 s[56:57], 0
	global_store_byte v[0:1], v4, off
.LBB135_750:
	s_and_b64 vcc, exec, s[56:57]
	s_cbranch_vccz .LBB135_760
; %bb.751:
	v_cndmask_b32_e64 v2, 0, 1.0, s[52:53]
	s_mov_b32 s56, 0x43f00000
	v_cmp_gt_u32_e32 vcc, s56, v2
                                        ; implicit-def: $vgpr3
	s_and_saveexec_b64 s[56:57], vcc
	s_xor_b64 s[56:57], exec, s[56:57]
	s_cbranch_execz .LBB135_757
; %bb.752:
	s_mov_b32 s58, 0x3c7fffff
	v_cmp_lt_u32_e32 vcc, s58, v2
                                        ; implicit-def: $vgpr3
	s_and_saveexec_b64 s[58:59], vcc
	s_xor_b64 s[58:59], exec, s[58:59]
; %bb.753:
	v_bfe_u32 v3, v2, 20, 1
	s_mov_b32 s60, 0x407ffff
	v_add3_u32 v2, v2, v3, s60
	v_lshrrev_b32_e32 v3, 20, v2
	v_and_b32_e32 v2, 0xff00000, v2
	s_mov_b32 s60, 0x7f00000
	v_mov_b32_e32 v4, 0x7e
	v_cmp_ne_u32_e32 vcc, s60, v2
	v_cndmask_b32_e32 v3, v4, v3, vcc
                                        ; implicit-def: $vgpr2
; %bb.754:
	s_andn2_saveexec_b64 s[58:59], s[58:59]
; %bb.755:
	v_add_f32_e32 v3, 0x46800000, v2
; %bb.756:
	s_or_b64 exec, exec, s[58:59]
                                        ; implicit-def: $vgpr2
.LBB135_757:
	s_andn2_saveexec_b64 s[56:57], s[56:57]
; %bb.758:
	s_mov_b32 s58, 0x7f800000
	v_mov_b32_e32 v3, 0x7e
	v_mov_b32_e32 v4, 0x7f
	v_cmp_lt_u32_e32 vcc, s58, v2
	v_cndmask_b32_e32 v3, v3, v4, vcc
; %bb.759:
	s_or_b64 exec, exec, s[56:57]
	global_store_byte v[0:1], v3, off
.LBB135_760:
	s_mov_b64 s[56:57], 0
.LBB135_761:
	s_andn2_b64 vcc, exec, s[56:57]
	s_cbranch_vccnz .LBB135_771
; %bb.762:
	v_cndmask_b32_e64 v2, 0, 1.0, s[52:53]
	s_mov_b32 s56, 0x47800000
	v_cmp_gt_u32_e32 vcc, s56, v2
                                        ; implicit-def: $vgpr3
	s_and_saveexec_b64 s[56:57], vcc
	s_xor_b64 s[56:57], exec, s[56:57]
	s_cbranch_execz .LBB135_768
; %bb.763:
	s_mov_b32 s58, 0x387fffff
	v_cmp_lt_u32_e32 vcc, s58, v2
                                        ; implicit-def: $vgpr3
	s_and_saveexec_b64 s[58:59], vcc
	s_xor_b64 s[58:59], exec, s[58:59]
; %bb.764:
	v_bfe_u32 v3, v2, 21, 1
	s_mov_b32 s60, 0x80fffff
	v_add3_u32 v2, v2, v3, s60
	v_lshrrev_b32_e32 v3, 21, v2
                                        ; implicit-def: $vgpr2
; %bb.765:
	s_andn2_saveexec_b64 s[58:59], s[58:59]
; %bb.766:
	v_add_f32_e32 v3, 0x43000000, v2
; %bb.767:
	s_or_b64 exec, exec, s[58:59]
                                        ; implicit-def: $vgpr2
.LBB135_768:
	s_andn2_saveexec_b64 s[56:57], s[56:57]
; %bb.769:
	s_mov_b32 s58, 0x7f800000
	v_mov_b32_e32 v3, 0x7c
	v_mov_b32_e32 v4, 0x7f
	v_cmp_lt_u32_e32 vcc, s58, v2
	v_cndmask_b32_e32 v3, v3, v4, vcc
; %bb.770:
	s_or_b64 exec, exec, s[56:57]
	global_store_byte v[0:1], v3, off
.LBB135_771:
	s_mov_b64 s[58:59], 0
	s_mov_b64 s[56:57], -1
.LBB135_772:
	s_andn2_b64 vcc, exec, s[58:59]
	s_cbranch_vccnz .LBB135_780
; %bb.773:
	s_cmp_gt_i32 s62, 14
	s_mov_b64 s[58:59], -1
	s_cbranch_scc0 .LBB135_777
; %bb.774:
	s_cmp_eq_u32 s62, 15
	s_mov_b64 s[0:1], -1
	s_cbranch_scc0 .LBB135_776
; %bb.775:
	v_cndmask_b32_e64 v2, 0, 1.0, s[52:53]
	v_bfe_u32 v3, v2, 16, 1
	s_movk_i32 s0, 0x7fff
	v_add3_u32 v2, v2, v3, s0
	global_store_short_d16_hi v[0:1], v2, off
	s_mov_b64 s[56:57], -1
	s_mov_b64 s[0:1], 0
.LBB135_776:
	s_mov_b64 s[58:59], 0
.LBB135_777:
	s_and_b64 vcc, exec, s[58:59]
	s_cbranch_vccz .LBB135_780
; %bb.778:
	s_cmp_eq_u32 s62, 11
	s_mov_b64 s[0:1], -1
	s_cbranch_scc0 .LBB135_780
; %bb.779:
	v_cndmask_b32_e64 v2, 0, 1, s[52:53]
	s_mov_b64 s[56:57], -1
	s_mov_b64 s[0:1], 0
	global_store_byte v[0:1], v2, off
.LBB135_780:
	s_mov_b64 s[58:59], 0
.LBB135_781:
	s_and_b64 vcc, exec, s[58:59]
	s_cbranch_vccz .LBB135_820
; %bb.782:
	s_and_b32 s14, 0xffff, s14
	s_cmp_lt_i32 s14, 5
	s_mov_b64 s[56:57], -1
	s_cbranch_scc1 .LBB135_803
; %bb.783:
	s_cmp_lt_i32 s14, 8
	s_cbranch_scc1 .LBB135_793
; %bb.784:
	s_cmp_lt_i32 s14, 9
	s_cbranch_scc1 .LBB135_790
; %bb.785:
	s_cmp_gt_i32 s14, 9
	s_cbranch_scc0 .LBB135_787
; %bb.786:
	v_cndmask_b32_e64 v2, 0, 1, s[52:53]
	v_cvt_f64_u32_e32 v[2:3], v2
	v_mov_b32_e32 v4, 0
	v_mov_b32_e32 v5, v4
	s_mov_b64 s[56:57], 0
	global_store_dwordx4 v[0:1], v[2:5], off
.LBB135_787:
	s_andn2_b64 vcc, exec, s[56:57]
	s_cbranch_vccnz .LBB135_789
; %bb.788:
	v_cndmask_b32_e64 v2, 0, 1.0, s[52:53]
	v_mov_b32_e32 v3, 0
	global_store_dwordx2 v[0:1], v[2:3], off
.LBB135_789:
	s_mov_b64 s[56:57], 0
.LBB135_790:
	s_andn2_b64 vcc, exec, s[56:57]
	s_cbranch_vccnz .LBB135_792
; %bb.791:
	v_cndmask_b32_e64 v2, 0, 1.0, s[52:53]
	v_cvt_f16_f32_e32 v2, v2
	global_store_dword v[0:1], v2, off
.LBB135_792:
	s_mov_b64 s[56:57], 0
.LBB135_793:
	s_andn2_b64 vcc, exec, s[56:57]
	s_cbranch_vccnz .LBB135_802
; %bb.794:
	s_cmp_lt_i32 s14, 6
	s_mov_b64 s[56:57], -1
	s_cbranch_scc1 .LBB135_800
; %bb.795:
	s_cmp_gt_i32 s14, 6
	s_cbranch_scc0 .LBB135_797
; %bb.796:
	v_cndmask_b32_e64 v2, 0, 1, s[52:53]
	v_cvt_f64_u32_e32 v[2:3], v2
	s_mov_b64 s[56:57], 0
	global_store_dwordx2 v[0:1], v[2:3], off
.LBB135_797:
	s_andn2_b64 vcc, exec, s[56:57]
	s_cbranch_vccnz .LBB135_799
; %bb.798:
	v_cndmask_b32_e64 v2, 0, 1.0, s[52:53]
	global_store_dword v[0:1], v2, off
.LBB135_799:
	s_mov_b64 s[56:57], 0
.LBB135_800:
	s_andn2_b64 vcc, exec, s[56:57]
	s_cbranch_vccnz .LBB135_802
; %bb.801:
	v_cndmask_b32_e64 v2, 0, 1.0, s[52:53]
	v_cvt_f16_f32_e32 v2, v2
	global_store_short v[0:1], v2, off
.LBB135_802:
	s_mov_b64 s[56:57], 0
.LBB135_803:
	s_andn2_b64 vcc, exec, s[56:57]
	s_cbranch_vccnz .LBB135_819
; %bb.804:
	s_cmp_lt_i32 s14, 2
	s_mov_b64 s[56:57], -1
	s_cbranch_scc1 .LBB135_814
; %bb.805:
	s_cmp_lt_i32 s14, 3
	s_cbranch_scc1 .LBB135_811
; %bb.806:
	s_cmp_gt_i32 s14, 3
	s_cbranch_scc0 .LBB135_808
; %bb.807:
	s_mov_b32 s56, 0
	v_cndmask_b32_e64 v2, 0, 1, s[52:53]
	v_mov_b32_e32 v3, s56
	s_mov_b64 s[56:57], 0
	global_store_dwordx2 v[0:1], v[2:3], off
.LBB135_808:
	s_andn2_b64 vcc, exec, s[56:57]
	s_cbranch_vccnz .LBB135_810
; %bb.809:
	v_cndmask_b32_e64 v2, 0, 1, s[52:53]
	global_store_dword v[0:1], v2, off
.LBB135_810:
	s_mov_b64 s[56:57], 0
.LBB135_811:
	s_andn2_b64 vcc, exec, s[56:57]
	s_cbranch_vccnz .LBB135_813
; %bb.812:
	v_cndmask_b32_e64 v2, 0, 1, s[52:53]
	global_store_short v[0:1], v2, off
.LBB135_813:
	s_mov_b64 s[56:57], 0
.LBB135_814:
	s_andn2_b64 vcc, exec, s[56:57]
	s_cbranch_vccnz .LBB135_819
; %bb.815:
	s_mov_b64 s[56:57], -1
	s_cmp_gt_i32 s14, 0
	v_cndmask_b32_e64 v2, 0, 1, s[52:53]
	s_cbranch_scc0 .LBB135_817
; %bb.816:
	s_mov_b64 s[56:57], 0
	global_store_byte v[0:1], v2, off
.LBB135_817:
	s_andn2_b64 vcc, exec, s[56:57]
	s_cbranch_vccnz .LBB135_819
; %bb.818:
	global_store_byte v[0:1], v2, off
.LBB135_819:
	s_mov_b64 s[56:57], -1
.LBB135_820:
	s_andn2_b64 vcc, exec, s[56:57]
	s_cbranch_vccnz .LBB135_832
; %bb.821:
	v_add_u32_e32 v8, 0x80, v8
	s_mov_b64 s[56:57], -1
.LBB135_822:
	s_andn2_b64 s[52:53], s[40:41], exec
	s_and_b64 s[0:1], s[0:1], exec
	s_or_b64 s[52:53], s[52:53], s[0:1]
	s_andn2_b64 s[0:1], s[42:43], exec
	s_and_b64 s[50:51], s[50:51], exec
	s_or_b64 s[50:51], s[0:1], s[50:51]
	;; [unrolled: 3-line block ×3, first 2 shown]
	s_orn2_b64 s[0:1], s[56:57], exec
.LBB135_823:
	s_or_b64 exec, exec, s[54:55]
	s_mov_b64 s[56:57], 0
	s_mov_b64 s[58:59], 0
	;; [unrolled: 1-line block ×3, first 2 shown]
                                        ; implicit-def: $sgpr14
                                        ; implicit-def: $vgpr4_vgpr5
                                        ; implicit-def: $vgpr0
                                        ; implicit-def: $vgpr3
                                        ; implicit-def: $vgpr2
	s_and_saveexec_b64 s[54:55], s[0:1]
	s_cbranch_execz .LBB135_1338
; %bb.824:
	v_cmp_gt_i32_e32 vcc, s70, v8
	s_mov_b64 s[68:69], -1
	s_mov_b64 s[0:1], s[48:49]
	s_mov_b64 s[60:61], s[50:51]
	;; [unrolled: 1-line block ×3, first 2 shown]
	s_and_saveexec_b64 s[56:57], vcc
	s_cbranch_execz .LBB135_1239
; %bb.825:
	s_andn2_b64 vcc, exec, s[24:25]
	s_cbranch_vccnz .LBB135_831
; %bb.826:
	s_andn2_b64 vcc, exec, s[38:39]
	s_cbranch_vccnz .LBB135_833
; %bb.827:
	s_add_i32 s0, s75, 1
	s_and_b32 s14, s0, 30
	s_add_u32 s0, s2, 0xffffffe8
	s_addc_u32 s1, s3, -1
	v_mov_b32_e32 v3, 0
	s_waitcnt vmcnt(0)
	v_mov_b32_e32 v5, 0
	v_mov_b32_e32 v0, 0
	;; [unrolled: 1-line block ×3, first 2 shown]
.LBB135_828:                            ; =>This Inner Loop Header: Depth=1
	s_load_dwordx4 s[60:63], s[0:1], 0x1c
	s_load_dwordx2 s[58:59], s[0:1], 0x2c
	s_load_dwordx2 s[68:69], s[0:1], 0xec
	s_load_dwordx4 s[64:67], s[0:1], 0xdc
	s_add_u32 s0, s0, 24
	s_waitcnt lgkmcnt(0)
	v_mul_hi_u32 v2, s61, v1
	s_addc_u32 s1, s1, 0
	s_add_i32 s14, s14, -2
	s_cmp_eq_u32 s14, 0
	v_add_u32_e32 v2, v1, v2
	v_lshrrev_b32_e32 v2, s62, v2
	v_mul_lo_u32 v4, v2, s60
	v_mul_hi_u32 v6, s58, v2
	v_sub_u32_e32 v4, v1, v4
	v_add_u32_e32 v1, v2, v6
	v_lshrrev_b32_e32 v1, s59, v1
	v_mul_lo_u32 v9, v1, s63
	v_mul_lo_u32 v6, v4, s64
	;; [unrolled: 1-line block ×4, first 2 shown]
	v_sub_u32_e32 v2, v2, v9
	v_mul_lo_u32 v9, v2, s67
	v_mul_lo_u32 v10, v2, s68
	;; [unrolled: 1-line block ×3, first 2 shown]
	v_add3_u32 v0, v6, v0, v9
	v_add3_u32 v5, v7, v5, v10
	;; [unrolled: 1-line block ×3, first 2 shown]
	s_cbranch_scc0 .LBB135_828
; %bb.829:
	s_bitcmp1_b32 s75, 0
	s_cselect_b64 s[58:59], -1, 0
	s_and_b64 vcc, exec, s[58:59]
	s_cbranch_vccnz .LBB135_834
; %bb.830:
	s_load_dwordx2 s[58:59], s[0:1], 0x1c
	s_load_dword s14, s[0:1], 0x24
	s_load_dwordx2 s[60:61], s[0:1], 0xdc
	s_waitcnt lgkmcnt(0)
	v_mul_hi_u32 v2, s59, v1
	v_add_u32_e32 v2, v1, v2
	v_lshrrev_b32_e32 v2, s14, v2
	v_mul_lo_u32 v2, v2, s58
	s_load_dword s14, s[0:1], 0xe4
	v_sub_u32_e32 v2, v1, v2
	v_mad_u64_u32 v[0:1], s[0:1], v2, s60, v[0:1]
	v_mad_u64_u32 v[5:6], s[0:1], v2, s61, v[5:6]
	s_waitcnt lgkmcnt(0)
	v_mad_u64_u32 v[3:4], s[0:1], v2, s14, v[3:4]
	s_branch .LBB135_834
.LBB135_831:
	s_mov_b64 s[0:1], -1
                                        ; implicit-def: $vgpr0
                                        ; implicit-def: $vgpr5
                                        ; implicit-def: $vgpr3
	s_branch .LBB135_835
.LBB135_832:
	s_mov_b64 s[56:57], 0
	s_branch .LBB135_570
.LBB135_833:
	v_mov_b32_e32 v0, 0
	s_waitcnt vmcnt(0)
	v_mov_b32_e32 v5, 0
	v_mov_b32_e32 v3, 0
.LBB135_834:
	s_mov_b64 s[0:1], 0
.LBB135_835:
	s_andn2_b64 vcc, exec, s[0:1]
	s_cbranch_vccnz .LBB135_838
; %bb.836:
	v_mul_hi_u32 v0, s17, v8
	s_andn2_b64 vcc, exec, s[36:37]
	v_add_u32_e32 v0, v8, v0
	s_waitcnt vmcnt(0)
	v_lshrrev_b32_e32 v1, s18, v0
	v_mul_lo_u32 v0, v1, s16
	v_sub_u32_e32 v2, v8, v0
	v_mul_lo_u32 v0, v2, s20
	v_mul_lo_u32 v5, v2, s21
	;; [unrolled: 1-line block ×3, first 2 shown]
	s_cbranch_vccnz .LBB135_838
; %bb.837:
	v_mul_hi_u32 v2, s34, v1
	v_add_u32_e32 v2, v1, v2
	v_lshrrev_b32_e32 v2, s35, v2
	v_mul_lo_u32 v2, v2, s19
	v_sub_u32_e32 v2, v1, v2
	v_mad_u64_u32 v[0:1], s[0:1], v2, s23, v[0:1]
	v_mad_u64_u32 v[5:6], s[0:1], v2, s30, v[5:6]
	;; [unrolled: 1-line block ×3, first 2 shown]
.LBB135_838:
	s_waitcnt vmcnt(0)
	v_mov_b32_e32 v1, s11
	s_and_b32 s14, s74, 0xff
	v_add_co_u32_e32 v4, vcc, s10, v5
	s_cmp_lt_i32 s14, 11
	v_addc_co_u32_e32 v5, vcc, 0, v1, vcc
	s_cbranch_scc1 .LBB135_845
; %bb.839:
	s_and_b32 s64, 0xffff, s14
	s_cmp_gt_i32 s64, 25
	s_cbranch_scc0 .LBB135_846
; %bb.840:
	s_cmp_gt_i32 s64, 28
	s_cbranch_scc0 .LBB135_847
; %bb.841:
	s_cmp_gt_i32 s64, 43
	s_cbranch_scc0 .LBB135_848
; %bb.842:
	s_cmp_gt_i32 s64, 45
	s_cbranch_scc0 .LBB135_849
; %bb.843:
	s_cmp_eq_u32 s64, 46
	s_mov_b64 s[60:61], 0
	s_cbranch_scc0 .LBB135_852
; %bb.844:
	global_load_dword v1, v[4:5], off
	s_mov_b64 s[0:1], -1
	s_mov_b64 s[58:59], 0
	s_waitcnt vmcnt(0)
	v_and_b32_e32 v2, 0xffff0000, v1
	v_lshlrev_b32_e32 v1, 16, v1
	s_branch .LBB135_853
.LBB135_845:
	s_mov_b64 s[60:61], -1
	s_mov_b64 s[0:1], 0
                                        ; implicit-def: $vgpr2
	s_mov_b64 s[58:59], s[48:49]
	s_branch .LBB135_921
.LBB135_846:
	s_mov_b64 s[60:61], -1
	s_mov_b64 s[0:1], 0
	s_mov_b64 s[58:59], s[48:49]
                                        ; implicit-def: $vgpr2
	s_branch .LBB135_884
.LBB135_847:
	s_mov_b64 s[60:61], -1
	s_mov_b64 s[0:1], 0
	s_mov_b64 s[58:59], s[48:49]
                                        ; implicit-def: $vgpr2
	s_branch .LBB135_865
.LBB135_848:
	s_mov_b64 s[60:61], -1
	s_mov_b64 s[0:1], 0
	s_mov_b64 s[58:59], s[48:49]
                                        ; implicit-def: $vgpr2
	s_branch .LBB135_859
.LBB135_849:
	s_mov_b64 s[60:61], -1
	s_mov_b64 s[0:1], 0
	s_mov_b64 s[58:59], s[48:49]
                                        ; implicit-def: $vgpr2
	s_branch .LBB135_853
.LBB135_850:
	s_andn2_saveexec_b64 s[60:61], s[60:61]
	s_cbranch_execz .LBB135_733
.LBB135_851:
	v_add_f32_e32 v2, 0x46000000, v3
	v_and_b32_e32 v2, 0xff, v2
	v_cmp_ne_u32_e32 vcc, 0, v2
	s_andn2_b64 s[58:59], s[58:59], exec
	s_and_b64 s[64:65], vcc, exec
	s_or_b64 s[58:59], s[58:59], s[64:65]
	s_or_b64 exec, exec, s[60:61]
	v_mov_b32_e32 v4, 0
	s_and_saveexec_b64 s[60:61], s[58:59]
	s_cbranch_execnz .LBB135_734
	s_branch .LBB135_735
.LBB135_852:
	s_mov_b64 s[58:59], -1
                                        ; implicit-def: $vgpr2
	s_mov_b64 s[0:1], 0
.LBB135_853:
	s_and_b64 vcc, exec, s[60:61]
	s_cbranch_vccz .LBB135_858
; %bb.854:
	s_cmp_eq_u32 s64, 44
	s_cbranch_scc0 .LBB135_856
; %bb.855:
	global_load_ubyte v1, v[4:5], off
	s_movk_i32 s58, 0xff
	v_mov_b32_e32 v2, 0x7f800001
	v_mov_b32_e32 v6, 0x400000
	s_mov_b64 s[0:1], -1
	s_waitcnt vmcnt(0)
	v_lshlrev_b32_e32 v7, 23, v1
	v_cmp_ne_u32_e32 vcc, s58, v1
	v_cndmask_b32_e32 v2, v2, v7, vcc
	v_cmp_ne_u32_e32 vcc, 0, v1
	v_cndmask_b32_e32 v1, v6, v2, vcc
	s_mov_b64 s[58:59], 0
	s_branch .LBB135_857
.LBB135_856:
	s_mov_b64 s[58:59], -1
                                        ; implicit-def: $vgpr1
.LBB135_857:
	v_mov_b32_e32 v2, 0
.LBB135_858:
	s_mov_b64 s[60:61], 0
.LBB135_859:
	s_and_b64 vcc, exec, s[60:61]
	s_cbranch_vccz .LBB135_864
; %bb.860:
	s_cmp_eq_u32 s64, 29
	s_cbranch_scc0 .LBB135_862
; %bb.861:
	global_load_dwordx2 v[1:2], v[4:5], off
	s_mov_b64 s[0:1], -1
	s_mov_b64 s[58:59], 0
	s_waitcnt vmcnt(0)
	v_ffbh_u32_e32 v6, v2
	v_min_u32_e32 v6, 32, v6
	v_lshlrev_b64 v[1:2], v6, v[1:2]
	v_min_u32_e32 v1, 1, v1
	v_or_b32_e32 v1, v2, v1
	v_cvt_f32_u32_e32 v1, v1
	v_sub_u32_e32 v2, 32, v6
	v_ldexp_f32 v1, v1, v2
	s_branch .LBB135_863
.LBB135_862:
	s_mov_b64 s[58:59], -1
                                        ; implicit-def: $vgpr1
.LBB135_863:
	v_mov_b32_e32 v2, 0
.LBB135_864:
	s_mov_b64 s[60:61], 0
.LBB135_865:
	s_and_b64 vcc, exec, s[60:61]
	s_cbranch_vccz .LBB135_883
; %bb.866:
	s_cmp_lt_i32 s64, 27
	s_cbranch_scc1 .LBB135_869
; %bb.867:
	s_cmp_gt_i32 s64, 27
	s_cbranch_scc0 .LBB135_870
; %bb.868:
	global_load_dword v1, v[4:5], off
	s_mov_b64 s[0:1], 0
	s_waitcnt vmcnt(0)
	v_cvt_f32_u32_e32 v1, v1
	s_branch .LBB135_871
.LBB135_869:
	s_mov_b64 s[0:1], -1
                                        ; implicit-def: $vgpr1
	s_branch .LBB135_874
.LBB135_870:
	s_mov_b64 s[0:1], -1
                                        ; implicit-def: $vgpr1
.LBB135_871:
	s_andn2_b64 vcc, exec, s[0:1]
	s_cbranch_vccnz .LBB135_873
; %bb.872:
	global_load_ushort v1, v[4:5], off
	s_waitcnt vmcnt(0)
	v_cvt_f32_u32_e32 v1, v1
.LBB135_873:
	s_mov_b64 s[0:1], 0
.LBB135_874:
	s_andn2_b64 vcc, exec, s[0:1]
	s_cbranch_vccnz .LBB135_882
; %bb.875:
	global_load_ubyte v2, v[4:5], off
	s_movk_i32 s0, 0x7f
	s_waitcnt vmcnt(0)
	v_cmp_lt_i16_e32 vcc, s0, v2
	s_mov_b64 s[0:1], 0
	s_and_saveexec_b64 s[60:61], vcc
	s_xor_b64 s[60:61], exec, s[60:61]
	s_cbranch_execz .LBB135_896
; %bb.876:
	s_movk_i32 s0, 0x80
	v_cmp_eq_u16_e32 vcc, s0, v2
	s_mov_b64 s[0:1], -1
	s_and_saveexec_b64 s[62:63], vcc
; %bb.877:
	s_xor_b64 s[0:1], exec, -1
; %bb.878:
	s_or_b64 exec, exec, s[62:63]
	s_and_b64 s[0:1], s[0:1], exec
	s_or_saveexec_b64 s[60:61], s[60:61]
	v_mov_b32_e32 v1, 0x7f800001
	s_xor_b64 exec, exec, s[60:61]
	s_cbranch_execnz .LBB135_897
.LBB135_879:
	s_or_b64 exec, exec, s[60:61]
	s_and_saveexec_b64 s[60:61], s[0:1]
	s_cbranch_execz .LBB135_881
.LBB135_880:
	v_lshlrev_b32_e32 v1, 24, v2
	v_and_b32_e32 v2, 0xffff, v2
	v_and_b32_e32 v6, 7, v2
	v_ffbh_u32_e32 v9, v6
	v_min_u32_e32 v9, 32, v9
	v_subrev_u32_e32 v10, 28, v9
	v_bfe_u32 v7, v2, 3, 4
	v_lshlrev_b32_e32 v2, v10, v2
	v_sub_u32_e32 v9, 29, v9
	v_and_b32_e32 v2, 7, v2
	v_cmp_eq_u32_e32 vcc, 0, v7
	v_cndmask_b32_e32 v7, v7, v9, vcc
	v_cndmask_b32_e32 v2, v6, v2, vcc
	v_mov_b32_e32 v6, 0x3b800000
	v_lshlrev_b32_e32 v2, 20, v2
	v_and_b32_e32 v1, 0x80000000, v1
	v_lshl_add_u32 v6, v7, 23, v6
	v_or3_b32 v1, v1, v6, v2
.LBB135_881:
	s_or_b64 exec, exec, s[60:61]
.LBB135_882:
	s_mov_b64 s[0:1], -1
	v_mov_b32_e32 v2, 0
.LBB135_883:
	s_mov_b64 s[60:61], 0
.LBB135_884:
	s_and_b64 vcc, exec, s[60:61]
	s_cbranch_vccz .LBB135_920
; %bb.885:
	s_cmp_gt_i32 s64, 22
	s_cbranch_scc0 .LBB135_895
; %bb.886:
	s_cmp_lt_i32 s64, 24
	s_cbranch_scc1 .LBB135_898
; %bb.887:
	s_cmp_gt_i32 s64, 24
	s_cbranch_scc0 .LBB135_899
; %bb.888:
	global_load_ubyte v2, v[4:5], off
	s_movk_i32 s0, 0x7f
	s_waitcnt vmcnt(0)
	v_cmp_lt_i16_e32 vcc, s0, v2
	s_mov_b64 s[0:1], 0
	s_and_saveexec_b64 s[60:61], vcc
	s_xor_b64 s[60:61], exec, s[60:61]
	s_cbranch_execz .LBB135_911
; %bb.889:
	s_movk_i32 s0, 0x80
	v_cmp_eq_u16_e32 vcc, s0, v2
	s_mov_b64 s[0:1], -1
	s_and_saveexec_b64 s[62:63], vcc
; %bb.890:
	s_xor_b64 s[0:1], exec, -1
; %bb.891:
	s_or_b64 exec, exec, s[62:63]
	s_and_b64 s[0:1], s[0:1], exec
	s_or_saveexec_b64 s[60:61], s[60:61]
	v_mov_b32_e32 v1, 0x7f800001
	s_xor_b64 exec, exec, s[60:61]
	s_cbranch_execnz .LBB135_912
.LBB135_892:
	s_or_b64 exec, exec, s[60:61]
	s_and_saveexec_b64 s[60:61], s[0:1]
	s_cbranch_execz .LBB135_894
.LBB135_893:
	v_lshlrev_b32_e32 v1, 24, v2
	v_and_b32_e32 v2, 0xffff, v2
	v_and_b32_e32 v6, 3, v2
	v_ffbh_u32_e32 v9, v6
	v_min_u32_e32 v9, 32, v9
	v_subrev_u32_e32 v10, 29, v9
	v_bfe_u32 v7, v2, 2, 5
	v_lshlrev_b32_e32 v2, v10, v2
	v_sub_u32_e32 v9, 30, v9
	v_and_b32_e32 v2, 3, v2
	v_cmp_eq_u32_e32 vcc, 0, v7
	v_cndmask_b32_e32 v7, v7, v9, vcc
	v_cndmask_b32_e32 v2, v6, v2, vcc
	v_mov_b32_e32 v6, 0x37800000
	v_lshlrev_b32_e32 v2, 21, v2
	v_and_b32_e32 v1, 0x80000000, v1
	v_lshl_add_u32 v6, v7, 23, v6
	v_or3_b32 v1, v1, v6, v2
.LBB135_894:
	s_or_b64 exec, exec, s[60:61]
	s_mov_b64 s[0:1], 0
	s_branch .LBB135_900
.LBB135_895:
	s_mov_b64 s[60:61], -1
                                        ; implicit-def: $vgpr1
	s_branch .LBB135_906
.LBB135_896:
	s_or_saveexec_b64 s[60:61], s[60:61]
	v_mov_b32_e32 v1, 0x7f800001
	s_xor_b64 exec, exec, s[60:61]
	s_cbranch_execz .LBB135_879
.LBB135_897:
	v_cmp_ne_u16_e32 vcc, 0, v2
	s_andn2_b64 s[0:1], s[0:1], exec
	s_and_b64 s[62:63], vcc, exec
	v_mov_b32_e32 v1, 0
	s_or_b64 s[0:1], s[0:1], s[62:63]
	s_or_b64 exec, exec, s[60:61]
	s_and_saveexec_b64 s[60:61], s[0:1]
	s_cbranch_execnz .LBB135_880
	s_branch .LBB135_881
.LBB135_898:
	s_mov_b64 s[0:1], -1
                                        ; implicit-def: $vgpr1
	s_branch .LBB135_903
.LBB135_899:
	s_mov_b64 s[0:1], -1
                                        ; implicit-def: $vgpr1
.LBB135_900:
	s_and_b64 vcc, exec, s[0:1]
	s_cbranch_vccz .LBB135_902
; %bb.901:
	global_load_ubyte v1, v[4:5], off
	s_mov_b32 s0, 0x7f800000
	s_waitcnt vmcnt(0)
	v_lshlrev_b32_e32 v1, 24, v1
	v_and_b32_e32 v2, 0x7f000000, v1
	v_ffbh_u32_e32 v6, v2
	v_min_u32_e32 v6, 32, v6
	v_sub_u32_e64 v6, v6, 4 clamp
	v_lshlrev_b32_e32 v9, v6, v2
	v_lshlrev_b32_e32 v6, 23, v6
	v_lshrrev_b32_e32 v9, 4, v9
	v_add_u32_e32 v7, 0x1000000, v2
	v_sub_u32_e32 v6, v9, v6
	v_ashrrev_i32_e32 v7, 8, v7
	v_add_u32_e32 v6, 0x3c000000, v6
	v_and_or_b32 v6, v7, s0, v6
	v_cmp_ne_u32_e32 vcc, 0, v2
	v_cndmask_b32_e32 v2, 0, v6, vcc
	s_brev_b32 s0, 1
	v_and_or_b32 v1, v1, s0, v2
.LBB135_902:
	s_mov_b64 s[0:1], 0
.LBB135_903:
	s_andn2_b64 vcc, exec, s[0:1]
	s_cbranch_vccnz .LBB135_905
; %bb.904:
	global_load_ubyte v1, v[4:5], off
	s_movk_i32 s0, 0x7f00
	s_brev_b32 s1, 16
	s_waitcnt vmcnt(0)
	v_lshlrev_b16_e32 v2, 8, v1
	v_lshlrev_b32_e32 v1, 25, v1
	v_lshrrev_b32_e32 v6, 4, v1
	v_and_or_b32 v7, v2, s0, 0.5
	v_or_b32_e32 v6, 0x70000000, v6
	v_add_f32_e32 v7, -0.5, v7
	v_mul_f32_e32 v6, 0x7800000, v6
	v_cmp_gt_u32_e32 vcc, s1, v1
	v_bfe_i32 v2, v2, 0, 16
	v_cndmask_b32_e32 v1, v6, v7, vcc
	s_brev_b32 s0, 1
	v_and_or_b32 v1, v2, s0, v1
.LBB135_905:
	s_mov_b64 s[60:61], 0
	s_mov_b64 s[0:1], -1
.LBB135_906:
	s_andn2_b64 vcc, exec, s[60:61]
	s_cbranch_vccnz .LBB135_919
; %bb.907:
	s_cmp_gt_i32 s64, 14
	s_cbranch_scc0 .LBB135_910
; %bb.908:
	s_cmp_eq_u32 s64, 15
	s_cbranch_scc0 .LBB135_913
; %bb.909:
	global_load_ushort v1, v[4:5], off
	s_mov_b64 s[0:1], -1
	s_mov_b64 s[58:59], 0
	s_waitcnt vmcnt(0)
	v_lshlrev_b32_e32 v1, 16, v1
	s_branch .LBB135_914
.LBB135_910:
	s_mov_b64 s[60:61], -1
                                        ; implicit-def: $vgpr1
	s_branch .LBB135_915
.LBB135_911:
	s_or_saveexec_b64 s[60:61], s[60:61]
	v_mov_b32_e32 v1, 0x7f800001
	s_xor_b64 exec, exec, s[60:61]
	s_cbranch_execz .LBB135_892
.LBB135_912:
	v_cmp_ne_u16_e32 vcc, 0, v2
	s_andn2_b64 s[0:1], s[0:1], exec
	s_and_b64 s[62:63], vcc, exec
	v_mov_b32_e32 v1, 0
	s_or_b64 s[0:1], s[0:1], s[62:63]
	s_or_b64 exec, exec, s[60:61]
	s_and_saveexec_b64 s[60:61], s[0:1]
	s_cbranch_execnz .LBB135_893
	s_branch .LBB135_894
.LBB135_913:
	s_mov_b64 s[58:59], -1
                                        ; implicit-def: $vgpr1
.LBB135_914:
	s_mov_b64 s[60:61], 0
.LBB135_915:
	s_and_b64 vcc, exec, s[60:61]
	s_cbranch_vccz .LBB135_919
; %bb.916:
	s_cmp_eq_u32 s64, 11
	s_cbranch_scc0 .LBB135_918
; %bb.917:
	global_load_ubyte v1, v[4:5], off
	s_mov_b64 s[0:1], -1
	s_mov_b64 s[58:59], 0
	v_mov_b32_e32 v2, 0
	s_waitcnt vmcnt(0)
	v_cmp_ne_u16_e32 vcc, 0, v1
	v_cndmask_b32_e64 v1, 0, 1.0, vcc
	s_branch .LBB135_920
.LBB135_918:
	s_mov_b64 s[58:59], -1
                                        ; implicit-def: $vgpr1
.LBB135_919:
	v_mov_b32_e32 v2, 0
.LBB135_920:
	s_mov_b64 s[60:61], 0
.LBB135_921:
	s_and_b64 vcc, exec, s[60:61]
	s_cbranch_vccz .LBB135_972
; %bb.922:
	s_and_b32 s14, 0xffff, s14
	s_cmp_lt_i32 s14, 5
	s_cbranch_scc1 .LBB135_927
; %bb.923:
	s_cmp_lt_i32 s14, 8
	s_cbranch_scc1 .LBB135_928
; %bb.924:
	;; [unrolled: 3-line block ×3, first 2 shown]
	s_cmp_gt_i32 s14, 9
	s_cbranch_scc0 .LBB135_930
; %bb.926:
	global_load_dwordx4 v[9:12], v[4:5], off
	s_mov_b64 s[0:1], 0
	s_waitcnt vmcnt(0)
	v_cvt_f32_f64_e32 v1, v[9:10]
	v_cvt_f32_f64_e32 v2, v[11:12]
	s_branch .LBB135_931
.LBB135_927:
	s_mov_b64 s[0:1], -1
                                        ; implicit-def: $vgpr2
	s_branch .LBB135_950
.LBB135_928:
	s_mov_b64 s[0:1], -1
                                        ; implicit-def: $vgpr2
	s_branch .LBB135_937
.LBB135_929:
	s_mov_b64 s[0:1], -1
                                        ; implicit-def: $vgpr2
	s_branch .LBB135_934
.LBB135_930:
	s_mov_b64 s[0:1], -1
                                        ; implicit-def: $vgpr2
.LBB135_931:
	s_andn2_b64 vcc, exec, s[0:1]
	s_cbranch_vccnz .LBB135_933
; %bb.932:
	global_load_dwordx2 v[1:2], v[4:5], off
.LBB135_933:
	s_mov_b64 s[0:1], 0
.LBB135_934:
	s_andn2_b64 vcc, exec, s[0:1]
	s_cbranch_vccnz .LBB135_936
; %bb.935:
	global_load_dword v2, v[4:5], off
	s_waitcnt vmcnt(0)
	v_cvt_f32_f16_e32 v1, v2
	v_cvt_f32_f16_sdwa v2, v2 dst_sel:DWORD dst_unused:UNUSED_PAD src0_sel:WORD_1
.LBB135_936:
	s_mov_b64 s[0:1], 0
.LBB135_937:
	s_andn2_b64 vcc, exec, s[0:1]
	s_cbranch_vccnz .LBB135_949
; %bb.938:
	s_cmp_lt_i32 s14, 6
	s_cbranch_scc1 .LBB135_941
; %bb.939:
	s_cmp_gt_i32 s14, 6
	s_cbranch_scc0 .LBB135_942
; %bb.940:
	global_load_dwordx2 v[1:2], v[4:5], off
	s_mov_b64 s[0:1], 0
	s_waitcnt vmcnt(0)
	v_cvt_f32_f64_e32 v1, v[1:2]
	s_branch .LBB135_943
.LBB135_941:
	s_mov_b64 s[0:1], -1
                                        ; implicit-def: $vgpr1
	s_branch .LBB135_946
.LBB135_942:
	s_mov_b64 s[0:1], -1
                                        ; implicit-def: $vgpr1
.LBB135_943:
	s_andn2_b64 vcc, exec, s[0:1]
	s_cbranch_vccnz .LBB135_945
; %bb.944:
	global_load_dword v1, v[4:5], off
.LBB135_945:
	s_mov_b64 s[0:1], 0
.LBB135_946:
	s_andn2_b64 vcc, exec, s[0:1]
	s_cbranch_vccnz .LBB135_948
; %bb.947:
	global_load_ushort v1, v[4:5], off
	s_waitcnt vmcnt(0)
	v_cvt_f32_f16_e32 v1, v1
.LBB135_948:
	s_waitcnt vmcnt(0)
	v_mov_b32_e32 v2, 0
.LBB135_949:
	s_mov_b64 s[0:1], 0
.LBB135_950:
	s_andn2_b64 vcc, exec, s[0:1]
	s_cbranch_vccnz .LBB135_971
; %bb.951:
	s_cmp_lt_i32 s14, 2
	s_cbranch_scc1 .LBB135_955
; %bb.952:
	s_cmp_lt_i32 s14, 3
	s_cbranch_scc1 .LBB135_956
; %bb.953:
	s_cmp_gt_i32 s14, 3
	s_cbranch_scc0 .LBB135_957
; %bb.954:
	global_load_dwordx2 v[1:2], v[4:5], off
	s_mov_b64 s[0:1], 0
	s_waitcnt vmcnt(0)
	v_xor_b32_e32 v7, v1, v2
	v_ffbh_i32_e32 v6, v2
	v_ashrrev_i32_e32 v7, 31, v7
	v_add_u32_e32 v6, -1, v6
	v_add_u32_e32 v7, 32, v7
	v_min_u32_e32 v6, v6, v7
	v_lshlrev_b64 v[1:2], v6, v[1:2]
	v_min_u32_e32 v1, 1, v1
	v_or_b32_e32 v1, v2, v1
	v_cvt_f32_i32_e32 v1, v1
	v_sub_u32_e32 v2, 32, v6
	v_ldexp_f32 v1, v1, v2
	s_branch .LBB135_958
.LBB135_955:
	s_mov_b64 s[0:1], -1
                                        ; implicit-def: $vgpr1
	s_branch .LBB135_964
.LBB135_956:
	s_mov_b64 s[0:1], -1
                                        ; implicit-def: $vgpr1
	s_branch .LBB135_961
.LBB135_957:
	s_mov_b64 s[0:1], -1
                                        ; implicit-def: $vgpr1
.LBB135_958:
	s_andn2_b64 vcc, exec, s[0:1]
	s_cbranch_vccnz .LBB135_960
; %bb.959:
	global_load_dword v1, v[4:5], off
	s_waitcnt vmcnt(0)
	v_cvt_f32_i32_e32 v1, v1
.LBB135_960:
	s_mov_b64 s[0:1], 0
.LBB135_961:
	s_andn2_b64 vcc, exec, s[0:1]
	s_cbranch_vccnz .LBB135_963
; %bb.962:
	global_load_sshort v1, v[4:5], off
	s_waitcnt vmcnt(0)
	v_cvt_f32_i32_e32 v1, v1
.LBB135_963:
	s_mov_b64 s[0:1], 0
.LBB135_964:
	s_andn2_b64 vcc, exec, s[0:1]
	s_cbranch_vccnz .LBB135_970
; %bb.965:
	s_cmp_gt_i32 s14, 0
	s_cbranch_scc0 .LBB135_967
; %bb.966:
	global_load_sbyte v1, v[4:5], off
	s_mov_b64 s[0:1], 0
	s_waitcnt vmcnt(0)
	v_cvt_f32_i32_e32 v1, v1
	s_branch .LBB135_968
.LBB135_967:
	s_mov_b64 s[0:1], -1
                                        ; implicit-def: $vgpr1
.LBB135_968:
	s_andn2_b64 vcc, exec, s[0:1]
	s_cbranch_vccnz .LBB135_970
; %bb.969:
	global_load_ubyte v1, v[4:5], off
	s_waitcnt vmcnt(0)
	v_cvt_f32_ubyte0_e32 v1, v1
.LBB135_970:
	s_waitcnt vmcnt(0)
	v_mov_b32_e32 v2, 0
.LBB135_971:
	s_mov_b64 s[0:1], -1
.LBB135_972:
	s_andn2_b64 vcc, exec, s[0:1]
	s_cbranch_vccnz .LBB135_980
; %bb.973:
	v_mov_b32_e32 v4, s13
	s_and_b32 s14, s73, 0xff
	v_add_co_u32_e32 v3, vcc, s12, v3
	s_cmp_lt_i32 s14, 11
	v_addc_co_u32_e32 v4, vcc, 0, v4, vcc
	s_cbranch_scc1 .LBB135_982
; %bb.974:
	s_and_b32 s66, 0xffff, s14
	s_cmp_gt_i32 s66, 25
	s_cbranch_scc0 .LBB135_983
; %bb.975:
	s_cmp_gt_i32 s66, 28
	s_cbranch_scc0 .LBB135_984
; %bb.976:
	;; [unrolled: 3-line block ×4, first 2 shown]
	s_cmp_eq_u32 s66, 46
	s_mov_b64 s[62:63], 0
	s_cbranch_scc0 .LBB135_989
; %bb.979:
	global_load_dword v5, v[3:4], off
	s_mov_b64 s[0:1], -1
	s_mov_b64 s[60:61], 0
	s_waitcnt vmcnt(0)
	v_and_b32_e32 v6, 0xffff0000, v5
	v_lshlrev_b32_e32 v5, 16, v5
	s_branch .LBB135_990
.LBB135_980:
	s_mov_b64 s[64:65], 0
	s_mov_b64 s[0:1], s[52:53]
	;; [unrolled: 1-line block ×3, first 2 shown]
.LBB135_981:
                                        ; implicit-def: $vgpr8
	s_branch .LBB135_1238
.LBB135_982:
	s_mov_b64 s[62:63], -1
	s_mov_b64 s[0:1], 0
                                        ; implicit-def: $vgpr6
	s_mov_b64 s[60:61], s[50:51]
	s_branch .LBB135_1058
.LBB135_983:
	s_mov_b64 s[62:63], -1
	s_mov_b64 s[0:1], 0
	s_mov_b64 s[60:61], s[50:51]
                                        ; implicit-def: $vgpr6
	s_branch .LBB135_1021
.LBB135_984:
	s_mov_b64 s[62:63], -1
	s_mov_b64 s[0:1], 0
	s_mov_b64 s[60:61], s[50:51]
                                        ; implicit-def: $vgpr6
	s_branch .LBB135_1002
.LBB135_985:
	s_mov_b64 s[62:63], -1
	s_mov_b64 s[0:1], 0
	s_mov_b64 s[60:61], s[50:51]
                                        ; implicit-def: $vgpr6
	s_branch .LBB135_996
.LBB135_986:
	s_mov_b64 s[62:63], -1
	s_mov_b64 s[0:1], 0
	s_mov_b64 s[60:61], s[50:51]
                                        ; implicit-def: $vgpr6
	s_branch .LBB135_990
.LBB135_987:
	s_andn2_saveexec_b64 s[60:61], s[60:61]
	s_cbranch_execz .LBB135_746
.LBB135_988:
	v_add_f32_e32 v2, 0x42800000, v3
	v_and_b32_e32 v2, 0xff, v2
	v_cmp_ne_u32_e32 vcc, 0, v2
	s_andn2_b64 s[58:59], s[58:59], exec
	s_and_b64 s[64:65], vcc, exec
	s_or_b64 s[58:59], s[58:59], s[64:65]
	s_or_b64 exec, exec, s[60:61]
	v_mov_b32_e32 v4, 0
	s_and_saveexec_b64 s[60:61], s[58:59]
	s_cbranch_execnz .LBB135_747
	s_branch .LBB135_748
.LBB135_989:
	s_mov_b64 s[60:61], -1
                                        ; implicit-def: $vgpr6
	s_mov_b64 s[0:1], 0
.LBB135_990:
	s_and_b64 vcc, exec, s[62:63]
	s_cbranch_vccz .LBB135_995
; %bb.991:
	s_cmp_eq_u32 s66, 44
	s_cbranch_scc0 .LBB135_993
; %bb.992:
	global_load_ubyte v5, v[3:4], off
	s_movk_i32 s60, 0xff
	v_mov_b32_e32 v6, 0x7f800001
	v_mov_b32_e32 v7, 0x400000
	s_mov_b64 s[0:1], -1
	s_waitcnt vmcnt(0)
	v_lshlrev_b32_e32 v9, 23, v5
	v_cmp_ne_u32_e32 vcc, s60, v5
	v_cndmask_b32_e32 v6, v6, v9, vcc
	v_cmp_ne_u32_e32 vcc, 0, v5
	v_cndmask_b32_e32 v5, v7, v6, vcc
	s_mov_b64 s[60:61], 0
	s_branch .LBB135_994
.LBB135_993:
	s_mov_b64 s[60:61], -1
                                        ; implicit-def: $vgpr5
.LBB135_994:
	v_mov_b32_e32 v6, 0
.LBB135_995:
	s_mov_b64 s[62:63], 0
.LBB135_996:
	s_and_b64 vcc, exec, s[62:63]
	s_cbranch_vccz .LBB135_1001
; %bb.997:
	s_cmp_eq_u32 s66, 29
	s_cbranch_scc0 .LBB135_999
; %bb.998:
	global_load_dwordx2 v[5:6], v[3:4], off
	s_mov_b64 s[0:1], -1
	s_mov_b64 s[60:61], 0
	s_waitcnt vmcnt(0)
	v_ffbh_u32_e32 v7, v6
	v_min_u32_e32 v7, 32, v7
	v_lshlrev_b64 v[5:6], v7, v[5:6]
	v_min_u32_e32 v5, 1, v5
	v_or_b32_e32 v5, v6, v5
	v_cvt_f32_u32_e32 v5, v5
	v_sub_u32_e32 v6, 32, v7
	v_ldexp_f32 v5, v5, v6
	s_branch .LBB135_1000
.LBB135_999:
	s_mov_b64 s[60:61], -1
                                        ; implicit-def: $vgpr5
.LBB135_1000:
	v_mov_b32_e32 v6, 0
.LBB135_1001:
	s_mov_b64 s[62:63], 0
.LBB135_1002:
	s_and_b64 vcc, exec, s[62:63]
	s_cbranch_vccz .LBB135_1020
; %bb.1003:
	s_cmp_lt_i32 s66, 27
	s_cbranch_scc1 .LBB135_1006
; %bb.1004:
	s_cmp_gt_i32 s66, 27
	s_cbranch_scc0 .LBB135_1007
; %bb.1005:
	global_load_dword v5, v[3:4], off
	s_mov_b64 s[0:1], 0
	s_waitcnt vmcnt(0)
	v_cvt_f32_u32_e32 v5, v5
	s_branch .LBB135_1008
.LBB135_1006:
	s_mov_b64 s[0:1], -1
                                        ; implicit-def: $vgpr5
	s_branch .LBB135_1011
.LBB135_1007:
	s_mov_b64 s[0:1], -1
                                        ; implicit-def: $vgpr5
.LBB135_1008:
	s_andn2_b64 vcc, exec, s[0:1]
	s_cbranch_vccnz .LBB135_1010
; %bb.1009:
	global_load_ushort v5, v[3:4], off
	s_waitcnt vmcnt(0)
	v_cvt_f32_u32_e32 v5, v5
.LBB135_1010:
	s_mov_b64 s[0:1], 0
.LBB135_1011:
	s_andn2_b64 vcc, exec, s[0:1]
	s_cbranch_vccnz .LBB135_1019
; %bb.1012:
	global_load_ubyte v6, v[3:4], off
	s_movk_i32 s0, 0x7f
	s_waitcnt vmcnt(0)
	v_cmp_lt_i16_e32 vcc, s0, v6
	s_mov_b64 s[0:1], 0
	s_and_saveexec_b64 s[62:63], vcc
	s_xor_b64 s[62:63], exec, s[62:63]
	s_cbranch_execz .LBB135_1033
; %bb.1013:
	s_movk_i32 s0, 0x80
	v_cmp_eq_u16_e32 vcc, s0, v6
	s_mov_b64 s[0:1], -1
	s_and_saveexec_b64 s[64:65], vcc
; %bb.1014:
	s_xor_b64 s[0:1], exec, -1
; %bb.1015:
	s_or_b64 exec, exec, s[64:65]
	s_and_b64 s[0:1], s[0:1], exec
	s_or_saveexec_b64 s[62:63], s[62:63]
	v_mov_b32_e32 v5, 0x7f800001
	s_xor_b64 exec, exec, s[62:63]
	s_cbranch_execnz .LBB135_1034
.LBB135_1016:
	s_or_b64 exec, exec, s[62:63]
	s_and_saveexec_b64 s[62:63], s[0:1]
	s_cbranch_execz .LBB135_1018
.LBB135_1017:
	v_lshlrev_b32_e32 v5, 24, v6
	v_and_b32_e32 v6, 0xffff, v6
	v_and_b32_e32 v7, 7, v6
	v_ffbh_u32_e32 v10, v7
	v_min_u32_e32 v10, 32, v10
	v_subrev_u32_e32 v11, 28, v10
	v_bfe_u32 v9, v6, 3, 4
	v_lshlrev_b32_e32 v6, v11, v6
	v_sub_u32_e32 v10, 29, v10
	v_and_b32_e32 v6, 7, v6
	v_cmp_eq_u32_e32 vcc, 0, v9
	v_cndmask_b32_e32 v9, v9, v10, vcc
	v_cndmask_b32_e32 v6, v7, v6, vcc
	v_mov_b32_e32 v7, 0x3b800000
	v_lshlrev_b32_e32 v6, 20, v6
	v_and_b32_e32 v5, 0x80000000, v5
	v_lshl_add_u32 v7, v9, 23, v7
	v_or3_b32 v5, v5, v7, v6
.LBB135_1018:
	s_or_b64 exec, exec, s[62:63]
.LBB135_1019:
	s_mov_b64 s[0:1], -1
	v_mov_b32_e32 v6, 0
.LBB135_1020:
	s_mov_b64 s[62:63], 0
.LBB135_1021:
	s_and_b64 vcc, exec, s[62:63]
	s_cbranch_vccz .LBB135_1057
; %bb.1022:
	s_cmp_gt_i32 s66, 22
	s_cbranch_scc0 .LBB135_1032
; %bb.1023:
	s_cmp_lt_i32 s66, 24
	s_cbranch_scc1 .LBB135_1035
; %bb.1024:
	s_cmp_gt_i32 s66, 24
	s_cbranch_scc0 .LBB135_1036
; %bb.1025:
	global_load_ubyte v6, v[3:4], off
	s_movk_i32 s0, 0x7f
	s_waitcnt vmcnt(0)
	v_cmp_lt_i16_e32 vcc, s0, v6
	s_mov_b64 s[0:1], 0
	s_and_saveexec_b64 s[62:63], vcc
	s_xor_b64 s[62:63], exec, s[62:63]
	s_cbranch_execz .LBB135_1048
; %bb.1026:
	s_movk_i32 s0, 0x80
	v_cmp_eq_u16_e32 vcc, s0, v6
	s_mov_b64 s[0:1], -1
	s_and_saveexec_b64 s[64:65], vcc
; %bb.1027:
	s_xor_b64 s[0:1], exec, -1
; %bb.1028:
	s_or_b64 exec, exec, s[64:65]
	s_and_b64 s[0:1], s[0:1], exec
	s_or_saveexec_b64 s[62:63], s[62:63]
	v_mov_b32_e32 v5, 0x7f800001
	s_xor_b64 exec, exec, s[62:63]
	s_cbranch_execnz .LBB135_1049
.LBB135_1029:
	s_or_b64 exec, exec, s[62:63]
	s_and_saveexec_b64 s[62:63], s[0:1]
	s_cbranch_execz .LBB135_1031
.LBB135_1030:
	v_lshlrev_b32_e32 v5, 24, v6
	v_and_b32_e32 v6, 0xffff, v6
	v_and_b32_e32 v7, 3, v6
	v_ffbh_u32_e32 v10, v7
	v_min_u32_e32 v10, 32, v10
	v_subrev_u32_e32 v11, 29, v10
	v_bfe_u32 v9, v6, 2, 5
	v_lshlrev_b32_e32 v6, v11, v6
	v_sub_u32_e32 v10, 30, v10
	v_and_b32_e32 v6, 3, v6
	v_cmp_eq_u32_e32 vcc, 0, v9
	v_cndmask_b32_e32 v9, v9, v10, vcc
	v_cndmask_b32_e32 v6, v7, v6, vcc
	v_mov_b32_e32 v7, 0x37800000
	v_lshlrev_b32_e32 v6, 21, v6
	v_and_b32_e32 v5, 0x80000000, v5
	v_lshl_add_u32 v7, v9, 23, v7
	v_or3_b32 v5, v5, v7, v6
.LBB135_1031:
	s_or_b64 exec, exec, s[62:63]
	s_mov_b64 s[0:1], 0
	s_branch .LBB135_1037
.LBB135_1032:
	s_mov_b64 s[62:63], -1
                                        ; implicit-def: $vgpr5
	s_branch .LBB135_1043
.LBB135_1033:
	s_or_saveexec_b64 s[62:63], s[62:63]
	v_mov_b32_e32 v5, 0x7f800001
	s_xor_b64 exec, exec, s[62:63]
	s_cbranch_execz .LBB135_1016
.LBB135_1034:
	v_cmp_ne_u16_e32 vcc, 0, v6
	s_andn2_b64 s[0:1], s[0:1], exec
	s_and_b64 s[64:65], vcc, exec
	v_mov_b32_e32 v5, 0
	s_or_b64 s[0:1], s[0:1], s[64:65]
	s_or_b64 exec, exec, s[62:63]
	s_and_saveexec_b64 s[62:63], s[0:1]
	s_cbranch_execnz .LBB135_1017
	s_branch .LBB135_1018
.LBB135_1035:
	s_mov_b64 s[0:1], -1
                                        ; implicit-def: $vgpr5
	s_branch .LBB135_1040
.LBB135_1036:
	s_mov_b64 s[0:1], -1
                                        ; implicit-def: $vgpr5
.LBB135_1037:
	s_and_b64 vcc, exec, s[0:1]
	s_cbranch_vccz .LBB135_1039
; %bb.1038:
	global_load_ubyte v5, v[3:4], off
	s_mov_b32 s0, 0x7f800000
	s_waitcnt vmcnt(0)
	v_lshlrev_b32_e32 v5, 24, v5
	v_and_b32_e32 v6, 0x7f000000, v5
	v_ffbh_u32_e32 v7, v6
	v_min_u32_e32 v7, 32, v7
	v_sub_u32_e64 v7, v7, 4 clamp
	v_lshlrev_b32_e32 v10, v7, v6
	v_lshlrev_b32_e32 v7, 23, v7
	v_lshrrev_b32_e32 v10, 4, v10
	v_add_u32_e32 v9, 0x1000000, v6
	v_sub_u32_e32 v7, v10, v7
	v_ashrrev_i32_e32 v9, 8, v9
	v_add_u32_e32 v7, 0x3c000000, v7
	v_and_or_b32 v7, v9, s0, v7
	v_cmp_ne_u32_e32 vcc, 0, v6
	v_cndmask_b32_e32 v6, 0, v7, vcc
	s_brev_b32 s0, 1
	v_and_or_b32 v5, v5, s0, v6
.LBB135_1039:
	s_mov_b64 s[0:1], 0
.LBB135_1040:
	s_andn2_b64 vcc, exec, s[0:1]
	s_cbranch_vccnz .LBB135_1042
; %bb.1041:
	global_load_ubyte v5, v[3:4], off
	s_movk_i32 s0, 0x7f00
	s_brev_b32 s1, 16
	s_waitcnt vmcnt(0)
	v_lshlrev_b16_e32 v6, 8, v5
	v_lshlrev_b32_e32 v5, 25, v5
	v_lshrrev_b32_e32 v7, 4, v5
	v_and_or_b32 v9, v6, s0, 0.5
	v_or_b32_e32 v7, 0x70000000, v7
	v_add_f32_e32 v9, -0.5, v9
	v_mul_f32_e32 v7, 0x7800000, v7
	v_cmp_gt_u32_e32 vcc, s1, v5
	v_bfe_i32 v6, v6, 0, 16
	v_cndmask_b32_e32 v5, v7, v9, vcc
	s_brev_b32 s0, 1
	v_and_or_b32 v5, v6, s0, v5
.LBB135_1042:
	s_mov_b64 s[62:63], 0
	s_mov_b64 s[0:1], -1
.LBB135_1043:
	s_andn2_b64 vcc, exec, s[62:63]
	s_cbranch_vccnz .LBB135_1056
; %bb.1044:
	s_cmp_gt_i32 s66, 14
	s_cbranch_scc0 .LBB135_1047
; %bb.1045:
	s_cmp_eq_u32 s66, 15
	s_cbranch_scc0 .LBB135_1050
; %bb.1046:
	global_load_ushort v5, v[3:4], off
	s_mov_b64 s[0:1], -1
	s_mov_b64 s[60:61], 0
	s_waitcnt vmcnt(0)
	v_lshlrev_b32_e32 v5, 16, v5
	s_branch .LBB135_1051
.LBB135_1047:
	s_mov_b64 s[62:63], -1
                                        ; implicit-def: $vgpr5
	s_branch .LBB135_1052
.LBB135_1048:
	s_or_saveexec_b64 s[62:63], s[62:63]
	v_mov_b32_e32 v5, 0x7f800001
	s_xor_b64 exec, exec, s[62:63]
	s_cbranch_execz .LBB135_1029
.LBB135_1049:
	v_cmp_ne_u16_e32 vcc, 0, v6
	s_andn2_b64 s[0:1], s[0:1], exec
	s_and_b64 s[64:65], vcc, exec
	v_mov_b32_e32 v5, 0
	s_or_b64 s[0:1], s[0:1], s[64:65]
	s_or_b64 exec, exec, s[62:63]
	s_and_saveexec_b64 s[62:63], s[0:1]
	s_cbranch_execnz .LBB135_1030
	s_branch .LBB135_1031
.LBB135_1050:
	s_mov_b64 s[60:61], -1
                                        ; implicit-def: $vgpr5
.LBB135_1051:
	s_mov_b64 s[62:63], 0
.LBB135_1052:
	s_and_b64 vcc, exec, s[62:63]
	s_cbranch_vccz .LBB135_1056
; %bb.1053:
	s_cmp_eq_u32 s66, 11
	s_cbranch_scc0 .LBB135_1055
; %bb.1054:
	global_load_ubyte v5, v[3:4], off
	s_mov_b64 s[0:1], -1
	s_mov_b64 s[60:61], 0
	v_mov_b32_e32 v6, 0
	s_waitcnt vmcnt(0)
	v_cmp_ne_u16_e32 vcc, 0, v5
	v_cndmask_b32_e64 v5, 0, 1.0, vcc
	s_branch .LBB135_1057
.LBB135_1055:
	s_mov_b64 s[60:61], -1
                                        ; implicit-def: $vgpr5
.LBB135_1056:
	v_mov_b32_e32 v6, 0
.LBB135_1057:
	s_mov_b64 s[62:63], 0
.LBB135_1058:
	s_and_b64 vcc, exec, s[62:63]
	s_cbranch_vccz .LBB135_1109
; %bb.1059:
	s_and_b32 s14, 0xffff, s14
	s_cmp_lt_i32 s14, 5
	s_cbranch_scc1 .LBB135_1064
; %bb.1060:
	s_cmp_lt_i32 s14, 8
	s_cbranch_scc1 .LBB135_1065
; %bb.1061:
	;; [unrolled: 3-line block ×3, first 2 shown]
	s_cmp_gt_i32 s14, 9
	s_cbranch_scc0 .LBB135_1067
; %bb.1063:
	global_load_dwordx4 v[9:12], v[3:4], off
	s_mov_b64 s[0:1], 0
	s_waitcnt vmcnt(0)
	v_cvt_f32_f64_e32 v5, v[9:10]
	v_cvt_f32_f64_e32 v6, v[11:12]
	s_branch .LBB135_1068
.LBB135_1064:
	s_mov_b64 s[0:1], -1
                                        ; implicit-def: $vgpr6
	s_branch .LBB135_1087
.LBB135_1065:
	s_mov_b64 s[0:1], -1
                                        ; implicit-def: $vgpr6
	s_branch .LBB135_1074
.LBB135_1066:
	s_mov_b64 s[0:1], -1
                                        ; implicit-def: $vgpr6
	s_branch .LBB135_1071
.LBB135_1067:
	s_mov_b64 s[0:1], -1
                                        ; implicit-def: $vgpr6
.LBB135_1068:
	s_andn2_b64 vcc, exec, s[0:1]
	s_cbranch_vccnz .LBB135_1070
; %bb.1069:
	global_load_dwordx2 v[5:6], v[3:4], off
.LBB135_1070:
	s_mov_b64 s[0:1], 0
.LBB135_1071:
	s_andn2_b64 vcc, exec, s[0:1]
	s_cbranch_vccnz .LBB135_1073
; %bb.1072:
	global_load_dword v6, v[3:4], off
	s_waitcnt vmcnt(0)
	v_cvt_f32_f16_e32 v5, v6
	v_cvt_f32_f16_sdwa v6, v6 dst_sel:DWORD dst_unused:UNUSED_PAD src0_sel:WORD_1
.LBB135_1073:
	s_mov_b64 s[0:1], 0
.LBB135_1074:
	s_andn2_b64 vcc, exec, s[0:1]
	s_cbranch_vccnz .LBB135_1086
; %bb.1075:
	s_cmp_lt_i32 s14, 6
	s_cbranch_scc1 .LBB135_1078
; %bb.1076:
	s_cmp_gt_i32 s14, 6
	s_cbranch_scc0 .LBB135_1079
; %bb.1077:
	global_load_dwordx2 v[5:6], v[3:4], off
	s_mov_b64 s[0:1], 0
	s_waitcnt vmcnt(0)
	v_cvt_f32_f64_e32 v5, v[5:6]
	s_branch .LBB135_1080
.LBB135_1078:
	s_mov_b64 s[0:1], -1
                                        ; implicit-def: $vgpr5
	s_branch .LBB135_1083
.LBB135_1079:
	s_mov_b64 s[0:1], -1
                                        ; implicit-def: $vgpr5
.LBB135_1080:
	s_andn2_b64 vcc, exec, s[0:1]
	s_cbranch_vccnz .LBB135_1082
; %bb.1081:
	global_load_dword v5, v[3:4], off
.LBB135_1082:
	s_mov_b64 s[0:1], 0
.LBB135_1083:
	s_andn2_b64 vcc, exec, s[0:1]
	s_cbranch_vccnz .LBB135_1085
; %bb.1084:
	global_load_ushort v5, v[3:4], off
	s_waitcnt vmcnt(0)
	v_cvt_f32_f16_e32 v5, v5
.LBB135_1085:
	s_waitcnt vmcnt(0)
	v_mov_b32_e32 v6, 0
.LBB135_1086:
	s_mov_b64 s[0:1], 0
.LBB135_1087:
	s_andn2_b64 vcc, exec, s[0:1]
	s_cbranch_vccnz .LBB135_1108
; %bb.1088:
	s_cmp_lt_i32 s14, 2
	s_cbranch_scc1 .LBB135_1092
; %bb.1089:
	s_cmp_lt_i32 s14, 3
	s_cbranch_scc1 .LBB135_1093
; %bb.1090:
	s_cmp_gt_i32 s14, 3
	s_cbranch_scc0 .LBB135_1094
; %bb.1091:
	global_load_dwordx2 v[5:6], v[3:4], off
	s_mov_b64 s[0:1], 0
	s_waitcnt vmcnt(0)
	v_xor_b32_e32 v9, v5, v6
	v_ffbh_i32_e32 v7, v6
	v_ashrrev_i32_e32 v9, 31, v9
	v_add_u32_e32 v7, -1, v7
	v_add_u32_e32 v9, 32, v9
	v_min_u32_e32 v7, v7, v9
	v_lshlrev_b64 v[5:6], v7, v[5:6]
	v_min_u32_e32 v5, 1, v5
	v_or_b32_e32 v5, v6, v5
	v_cvt_f32_i32_e32 v5, v5
	v_sub_u32_e32 v6, 32, v7
	v_ldexp_f32 v5, v5, v6
	s_branch .LBB135_1095
.LBB135_1092:
	s_mov_b64 s[0:1], -1
                                        ; implicit-def: $vgpr5
	s_branch .LBB135_1101
.LBB135_1093:
	s_mov_b64 s[0:1], -1
                                        ; implicit-def: $vgpr5
	s_branch .LBB135_1098
.LBB135_1094:
	s_mov_b64 s[0:1], -1
                                        ; implicit-def: $vgpr5
.LBB135_1095:
	s_andn2_b64 vcc, exec, s[0:1]
	s_cbranch_vccnz .LBB135_1097
; %bb.1096:
	global_load_dword v5, v[3:4], off
	s_waitcnt vmcnt(0)
	v_cvt_f32_i32_e32 v5, v5
.LBB135_1097:
	s_mov_b64 s[0:1], 0
.LBB135_1098:
	s_andn2_b64 vcc, exec, s[0:1]
	s_cbranch_vccnz .LBB135_1100
; %bb.1099:
	global_load_sshort v5, v[3:4], off
	s_waitcnt vmcnt(0)
	v_cvt_f32_i32_e32 v5, v5
.LBB135_1100:
	s_mov_b64 s[0:1], 0
.LBB135_1101:
	s_andn2_b64 vcc, exec, s[0:1]
	s_cbranch_vccnz .LBB135_1107
; %bb.1102:
	s_cmp_gt_i32 s14, 0
	s_cbranch_scc0 .LBB135_1104
; %bb.1103:
	global_load_sbyte v5, v[3:4], off
	s_mov_b64 s[0:1], 0
	s_waitcnt vmcnt(0)
	v_cvt_f32_i32_e32 v5, v5
	s_branch .LBB135_1105
.LBB135_1104:
	s_mov_b64 s[0:1], -1
                                        ; implicit-def: $vgpr5
.LBB135_1105:
	s_andn2_b64 vcc, exec, s[0:1]
	s_cbranch_vccnz .LBB135_1107
; %bb.1106:
	global_load_ubyte v3, v[3:4], off
	s_waitcnt vmcnt(0)
	v_cvt_f32_ubyte0_e32 v5, v3
.LBB135_1107:
	s_waitcnt vmcnt(0)
	v_mov_b32_e32 v6, 0
.LBB135_1108:
	s_mov_b64 s[0:1], -1
.LBB135_1109:
	s_andn2_b64 vcc, exec, s[0:1]
	s_cbranch_vccnz .LBB135_1112
; %bb.1110:
	s_andn2_b64 vcc, exec, s[28:29]
	s_cbranch_vccnz .LBB135_1113
; %bb.1111:
	s_waitcnt vmcnt(0)
	v_cmp_neq_f32_e32 vcc, v1, v5
	v_cmp_neq_f32_e64 s[0:1], v2, v6
	s_or_b64 s[62:63], vcc, s[0:1]
	s_mov_b64 s[0:1], 0
	s_branch .LBB135_1114
.LBB135_1112:
	s_mov_b64 s[64:65], 0
                                        ; implicit-def: $vgpr8
	s_mov_b64 s[0:1], s[52:53]
	s_branch .LBB135_1238
.LBB135_1113:
	s_mov_b64 s[0:1], -1
                                        ; implicit-def: $sgpr62_sgpr63
.LBB135_1114:
	s_andn2_b64 vcc, exec, s[0:1]
	s_cbranch_vccnz .LBB135_1116
; %bb.1115:
	s_waitcnt vmcnt(0)
	v_cmp_eq_f32_e32 vcc, v1, v5
	v_cmp_eq_f32_e64 s[0:1], v2, v6
	s_and_b64 s[0:1], vcc, s[0:1]
	s_andn2_b64 s[62:63], s[62:63], exec
	s_and_b64 s[0:1], s[0:1], exec
	s_or_b64 s[62:63], s[62:63], s[0:1]
.LBB135_1116:
	s_waitcnt vmcnt(0)
	v_mov_b32_e32 v1, s9
	s_and_b32 s14, s15, 0xff
	v_add_co_u32_e32 v0, vcc, s8, v0
	s_cmp_lt_i32 s14, 11
	v_addc_co_u32_e32 v1, vcc, 0, v1, vcc
	s_cbranch_scc1 .LBB135_1123
; %bb.1117:
	s_and_b32 s71, 0xffff, s14
	s_cmp_gt_i32 s71, 25
	s_cbranch_scc0 .LBB135_1124
; %bb.1118:
	s_cmp_gt_i32 s71, 28
	s_cbranch_scc0 .LBB135_1125
; %bb.1119:
	;; [unrolled: 3-line block ×4, first 2 shown]
	s_mov_b64 s[66:67], 0
	s_mov_b64 s[0:1], -1
	s_cmp_eq_u32 s71, 46
	s_mov_b64 s[64:65], 0
	s_cbranch_scc0 .LBB135_1128
; %bb.1122:
	v_cndmask_b32_e64 v2, 0, 1.0, s[62:63]
	v_bfe_u32 v3, v2, 16, 1
	s_movk_i32 s0, 0x7fff
	v_add3_u32 v2, v2, v3, s0
	v_lshrrev_b32_e32 v2, 16, v2
	global_store_dword v[0:1], v2, off
	s_mov_b64 s[64:65], -1
	s_mov_b64 s[0:1], 0
	s_branch .LBB135_1128
.LBB135_1123:
	s_mov_b64 s[66:67], -1
	s_mov_b64 s[64:65], 0
	s_mov_b64 s[0:1], s[52:53]
	s_branch .LBB135_1197
.LBB135_1124:
	s_mov_b64 s[66:67], -1
	s_mov_b64 s[64:65], 0
	s_mov_b64 s[0:1], s[52:53]
	s_branch .LBB135_1155
.LBB135_1125:
	s_mov_b64 s[66:67], -1
	s_mov_b64 s[64:65], 0
	s_mov_b64 s[0:1], s[52:53]
	s_branch .LBB135_1138
.LBB135_1126:
	s_mov_b64 s[66:67], -1
	s_mov_b64 s[64:65], 0
	s_mov_b64 s[0:1], s[52:53]
	s_branch .LBB135_1134
.LBB135_1127:
	s_mov_b64 s[66:67], -1
	s_mov_b64 s[64:65], 0
	s_mov_b64 s[0:1], s[52:53]
.LBB135_1128:
	s_and_b64 vcc, exec, s[66:67]
	s_cbranch_vccz .LBB135_1133
; %bb.1129:
	s_cmp_eq_u32 s71, 44
	s_mov_b64 s[0:1], -1
	s_cbranch_scc0 .LBB135_1133
; %bb.1130:
	v_cndmask_b32_e64 v3, 0, 1.0, s[62:63]
	v_lshrrev_b32_e32 v2, 23, v3
	s_movk_i32 s0, 0xff
	v_cmp_ne_u32_e32 vcc, s0, v2
	v_mov_b32_e32 v4, 0xff
	s_and_saveexec_b64 s[64:65], vcc
; %bb.1131:
	s_mov_b32 s0, 0x3fffff
	v_and_b32_e32 v4, 0x400000, v3
	v_and_or_b32 v3, v3, s0, v2
	v_cmp_ne_u32_e32 vcc, 0, v4
	v_cmp_ne_u32_e64 s[0:1], 0, v3
	s_and_b64 s[0:1], vcc, s[0:1]
	v_cndmask_b32_e64 v3, 0, 1, s[0:1]
	v_add_u32_e32 v4, v2, v3
; %bb.1132:
	s_or_b64 exec, exec, s[64:65]
	s_mov_b64 s[64:65], -1
	s_mov_b64 s[0:1], 0
	global_store_byte v[0:1], v4, off
.LBB135_1133:
	s_mov_b64 s[66:67], 0
.LBB135_1134:
	s_and_b64 vcc, exec, s[66:67]
	s_cbranch_vccz .LBB135_1137
; %bb.1135:
	s_cmp_eq_u32 s71, 29
	s_mov_b64 s[0:1], -1
	s_cbranch_scc0 .LBB135_1137
; %bb.1136:
	s_mov_b32 s0, 0
	v_cndmask_b32_e64 v2, 0, 1, s[62:63]
	v_mov_b32_e32 v3, s0
	global_store_dwordx2 v[0:1], v[2:3], off
	s_mov_b64 s[64:65], -1
	s_mov_b64 s[0:1], 0
.LBB135_1137:
	s_mov_b64 s[66:67], 0
.LBB135_1138:
	s_and_b64 vcc, exec, s[66:67]
	s_cbranch_vccz .LBB135_1154
; %bb.1139:
	s_cmp_lt_i32 s71, 27
	s_mov_b64 s[64:65], -1
	s_cbranch_scc1 .LBB135_1145
; %bb.1140:
	s_cmp_gt_i32 s71, 27
	s_cbranch_scc0 .LBB135_1142
; %bb.1141:
	v_cndmask_b32_e64 v2, 0, 1, s[62:63]
	s_mov_b64 s[64:65], 0
	global_store_dword v[0:1], v2, off
.LBB135_1142:
	s_andn2_b64 vcc, exec, s[64:65]
	s_cbranch_vccnz .LBB135_1144
; %bb.1143:
	v_cndmask_b32_e64 v2, 0, 1, s[62:63]
	global_store_short v[0:1], v2, off
.LBB135_1144:
	s_mov_b64 s[64:65], 0
.LBB135_1145:
	s_andn2_b64 vcc, exec, s[64:65]
	s_cbranch_vccnz .LBB135_1153
; %bb.1146:
	v_cndmask_b32_e64 v3, 0, 1.0, s[62:63]
	s_mov_b32 s64, 0x43800000
	v_cmp_gt_u32_e32 vcc, s64, v3
	v_mov_b32_e32 v4, 0x80
	s_and_saveexec_b64 s[64:65], vcc
	s_cbranch_execz .LBB135_1152
; %bb.1147:
	s_mov_b32 s66, 0x3bffffff
	v_cmp_lt_u32_e32 vcc, s66, v3
	s_mov_b64 s[66:67], 0
                                        ; implicit-def: $vgpr2
	s_and_saveexec_b64 s[68:69], vcc
	s_xor_b64 s[68:69], exec, s[68:69]
	s_cbranch_execz .LBB135_1266
; %bb.1148:
	v_bfe_u32 v2, v3, 20, 1
	s_mov_b32 s76, 0x487ffff
	v_add3_u32 v2, v3, v2, s76
	s_mov_b64 s[66:67], exec
	v_lshrrev_b32_e32 v2, 20, v2
                                        ; implicit-def: $vgpr3
	s_andn2_saveexec_b64 s[68:69], s[68:69]
	s_cbranch_execnz .LBB135_1267
.LBB135_1149:
	s_or_b64 exec, exec, s[68:69]
	v_mov_b32_e32 v4, 0
	s_and_saveexec_b64 s[68:69], s[66:67]
.LBB135_1150:
	v_mov_b32_e32 v4, v2
.LBB135_1151:
	s_or_b64 exec, exec, s[68:69]
.LBB135_1152:
	s_or_b64 exec, exec, s[64:65]
	global_store_byte v[0:1], v4, off
.LBB135_1153:
	s_mov_b64 s[64:65], -1
.LBB135_1154:
	s_mov_b64 s[66:67], 0
.LBB135_1155:
	s_and_b64 vcc, exec, s[66:67]
	s_cbranch_vccz .LBB135_1196
; %bb.1156:
	s_cmp_gt_i32 s71, 22
	s_mov_b64 s[66:67], -1
	s_cbranch_scc0 .LBB135_1188
; %bb.1157:
	s_cmp_lt_i32 s71, 24
	s_mov_b64 s[64:65], -1
	s_cbranch_scc1 .LBB135_1177
; %bb.1158:
	s_cmp_gt_i32 s71, 24
	s_cbranch_scc0 .LBB135_1166
; %bb.1159:
	v_cndmask_b32_e64 v3, 0, 1.0, s[62:63]
	s_mov_b32 s64, 0x47800000
	v_cmp_gt_u32_e32 vcc, s64, v3
	v_mov_b32_e32 v4, 0x80
	s_and_saveexec_b64 s[64:65], vcc
	s_cbranch_execz .LBB135_1165
; %bb.1160:
	s_mov_b32 s66, 0x37ffffff
	v_cmp_lt_u32_e32 vcc, s66, v3
	s_mov_b64 s[66:67], 0
                                        ; implicit-def: $vgpr2
	s_and_saveexec_b64 s[68:69], vcc
	s_xor_b64 s[68:69], exec, s[68:69]
	s_cbranch_execz .LBB135_2379
; %bb.1161:
	v_bfe_u32 v2, v3, 21, 1
	s_mov_b32 s76, 0x88fffff
	v_add3_u32 v2, v3, v2, s76
	s_mov_b64 s[66:67], exec
	v_lshrrev_b32_e32 v2, 21, v2
                                        ; implicit-def: $vgpr3
	s_andn2_saveexec_b64 s[68:69], s[68:69]
	s_cbranch_execnz .LBB135_2380
.LBB135_1162:
	s_or_b64 exec, exec, s[68:69]
	v_mov_b32_e32 v4, 0
	s_and_saveexec_b64 s[68:69], s[66:67]
.LBB135_1163:
	v_mov_b32_e32 v4, v2
.LBB135_1164:
	s_or_b64 exec, exec, s[68:69]
.LBB135_1165:
	s_or_b64 exec, exec, s[64:65]
	s_mov_b64 s[64:65], 0
	global_store_byte v[0:1], v4, off
.LBB135_1166:
	s_and_b64 vcc, exec, s[64:65]
	s_cbranch_vccz .LBB135_1176
; %bb.1167:
	v_cndmask_b32_e64 v2, 0, 1.0, s[62:63]
	s_mov_b32 s64, 0x43f00000
	v_cmp_gt_u32_e32 vcc, s64, v2
                                        ; implicit-def: $vgpr3
	s_and_saveexec_b64 s[64:65], vcc
	s_xor_b64 s[64:65], exec, s[64:65]
	s_cbranch_execz .LBB135_1173
; %bb.1168:
	s_mov_b32 s66, 0x3c7fffff
	v_cmp_lt_u32_e32 vcc, s66, v2
                                        ; implicit-def: $vgpr3
	s_and_saveexec_b64 s[66:67], vcc
	s_xor_b64 s[66:67], exec, s[66:67]
; %bb.1169:
	v_bfe_u32 v3, v2, 20, 1
	s_mov_b32 s68, 0x407ffff
	v_add3_u32 v2, v2, v3, s68
	v_lshrrev_b32_e32 v3, 20, v2
	v_and_b32_e32 v2, 0xff00000, v2
	s_mov_b32 s68, 0x7f00000
	v_mov_b32_e32 v4, 0x7e
	v_cmp_ne_u32_e32 vcc, s68, v2
	v_cndmask_b32_e32 v3, v4, v3, vcc
                                        ; implicit-def: $vgpr2
; %bb.1170:
	s_andn2_saveexec_b64 s[66:67], s[66:67]
; %bb.1171:
	v_add_f32_e32 v3, 0x46800000, v2
; %bb.1172:
	s_or_b64 exec, exec, s[66:67]
                                        ; implicit-def: $vgpr2
.LBB135_1173:
	s_andn2_saveexec_b64 s[64:65], s[64:65]
; %bb.1174:
	s_mov_b32 s66, 0x7f800000
	v_mov_b32_e32 v3, 0x7e
	v_mov_b32_e32 v4, 0x7f
	v_cmp_lt_u32_e32 vcc, s66, v2
	v_cndmask_b32_e32 v3, v3, v4, vcc
; %bb.1175:
	s_or_b64 exec, exec, s[64:65]
	global_store_byte v[0:1], v3, off
.LBB135_1176:
	s_mov_b64 s[64:65], 0
.LBB135_1177:
	s_andn2_b64 vcc, exec, s[64:65]
	s_cbranch_vccnz .LBB135_1187
; %bb.1178:
	v_cndmask_b32_e64 v2, 0, 1.0, s[62:63]
	s_mov_b32 s64, 0x47800000
	v_cmp_gt_u32_e32 vcc, s64, v2
                                        ; implicit-def: $vgpr3
	s_and_saveexec_b64 s[64:65], vcc
	s_xor_b64 s[64:65], exec, s[64:65]
	s_cbranch_execz .LBB135_1184
; %bb.1179:
	s_mov_b32 s66, 0x387fffff
	v_cmp_lt_u32_e32 vcc, s66, v2
                                        ; implicit-def: $vgpr3
	s_and_saveexec_b64 s[66:67], vcc
	s_xor_b64 s[66:67], exec, s[66:67]
; %bb.1180:
	v_bfe_u32 v3, v2, 21, 1
	s_mov_b32 s68, 0x80fffff
	v_add3_u32 v2, v2, v3, s68
	v_lshrrev_b32_e32 v3, 21, v2
                                        ; implicit-def: $vgpr2
; %bb.1181:
	s_andn2_saveexec_b64 s[66:67], s[66:67]
; %bb.1182:
	v_add_f32_e32 v3, 0x43000000, v2
; %bb.1183:
	s_or_b64 exec, exec, s[66:67]
                                        ; implicit-def: $vgpr2
.LBB135_1184:
	s_andn2_saveexec_b64 s[64:65], s[64:65]
; %bb.1185:
	s_mov_b32 s66, 0x7f800000
	v_mov_b32_e32 v3, 0x7c
	v_mov_b32_e32 v4, 0x7f
	v_cmp_lt_u32_e32 vcc, s66, v2
	v_cndmask_b32_e32 v3, v3, v4, vcc
; %bb.1186:
	s_or_b64 exec, exec, s[64:65]
	global_store_byte v[0:1], v3, off
.LBB135_1187:
	s_mov_b64 s[66:67], 0
	s_mov_b64 s[64:65], -1
.LBB135_1188:
	s_andn2_b64 vcc, exec, s[66:67]
	s_cbranch_vccnz .LBB135_1196
; %bb.1189:
	s_cmp_gt_i32 s71, 14
	s_mov_b64 s[66:67], -1
	s_cbranch_scc0 .LBB135_1193
; %bb.1190:
	s_cmp_eq_u32 s71, 15
	s_mov_b64 s[0:1], -1
	s_cbranch_scc0 .LBB135_1192
; %bb.1191:
	v_cndmask_b32_e64 v2, 0, 1.0, s[62:63]
	v_bfe_u32 v3, v2, 16, 1
	s_movk_i32 s0, 0x7fff
	v_add3_u32 v2, v2, v3, s0
	global_store_short_d16_hi v[0:1], v2, off
	s_mov_b64 s[64:65], -1
	s_mov_b64 s[0:1], 0
.LBB135_1192:
	s_mov_b64 s[66:67], 0
.LBB135_1193:
	s_and_b64 vcc, exec, s[66:67]
	s_cbranch_vccz .LBB135_1196
; %bb.1194:
	s_cmp_eq_u32 s71, 11
	s_mov_b64 s[0:1], -1
	s_cbranch_scc0 .LBB135_1196
; %bb.1195:
	v_cndmask_b32_e64 v2, 0, 1, s[62:63]
	s_mov_b64 s[64:65], -1
	s_mov_b64 s[0:1], 0
	global_store_byte v[0:1], v2, off
.LBB135_1196:
	s_mov_b64 s[66:67], 0
.LBB135_1197:
	s_and_b64 vcc, exec, s[66:67]
	s_cbranch_vccz .LBB135_1236
; %bb.1198:
	s_and_b32 s14, 0xffff, s14
	s_cmp_lt_i32 s14, 5
	s_mov_b64 s[64:65], -1
	s_cbranch_scc1 .LBB135_1219
; %bb.1199:
	s_cmp_lt_i32 s14, 8
	s_cbranch_scc1 .LBB135_1209
; %bb.1200:
	s_cmp_lt_i32 s14, 9
	s_cbranch_scc1 .LBB135_1206
; %bb.1201:
	s_cmp_gt_i32 s14, 9
	s_cbranch_scc0 .LBB135_1203
; %bb.1202:
	v_cndmask_b32_e64 v2, 0, 1, s[62:63]
	v_cvt_f64_u32_e32 v[2:3], v2
	v_mov_b32_e32 v4, 0
	v_mov_b32_e32 v5, v4
	s_mov_b64 s[64:65], 0
	global_store_dwordx4 v[0:1], v[2:5], off
.LBB135_1203:
	s_andn2_b64 vcc, exec, s[64:65]
	s_cbranch_vccnz .LBB135_1205
; %bb.1204:
	v_cndmask_b32_e64 v2, 0, 1.0, s[62:63]
	v_mov_b32_e32 v3, 0
	global_store_dwordx2 v[0:1], v[2:3], off
.LBB135_1205:
	s_mov_b64 s[64:65], 0
.LBB135_1206:
	s_andn2_b64 vcc, exec, s[64:65]
	s_cbranch_vccnz .LBB135_1208
; %bb.1207:
	v_cndmask_b32_e64 v2, 0, 1.0, s[62:63]
	v_cvt_f16_f32_e32 v2, v2
	global_store_dword v[0:1], v2, off
.LBB135_1208:
	s_mov_b64 s[64:65], 0
.LBB135_1209:
	s_andn2_b64 vcc, exec, s[64:65]
	s_cbranch_vccnz .LBB135_1218
; %bb.1210:
	s_cmp_lt_i32 s14, 6
	s_mov_b64 s[64:65], -1
	s_cbranch_scc1 .LBB135_1216
; %bb.1211:
	s_cmp_gt_i32 s14, 6
	s_cbranch_scc0 .LBB135_1213
; %bb.1212:
	v_cndmask_b32_e64 v2, 0, 1, s[62:63]
	v_cvt_f64_u32_e32 v[2:3], v2
	s_mov_b64 s[64:65], 0
	global_store_dwordx2 v[0:1], v[2:3], off
.LBB135_1213:
	s_andn2_b64 vcc, exec, s[64:65]
	s_cbranch_vccnz .LBB135_1215
; %bb.1214:
	v_cndmask_b32_e64 v2, 0, 1.0, s[62:63]
	global_store_dword v[0:1], v2, off
.LBB135_1215:
	s_mov_b64 s[64:65], 0
.LBB135_1216:
	s_andn2_b64 vcc, exec, s[64:65]
	s_cbranch_vccnz .LBB135_1218
; %bb.1217:
	v_cndmask_b32_e64 v2, 0, 1.0, s[62:63]
	v_cvt_f16_f32_e32 v2, v2
	global_store_short v[0:1], v2, off
.LBB135_1218:
	s_mov_b64 s[64:65], 0
.LBB135_1219:
	s_andn2_b64 vcc, exec, s[64:65]
	s_cbranch_vccnz .LBB135_1235
; %bb.1220:
	s_cmp_lt_i32 s14, 2
	s_mov_b64 s[64:65], -1
	s_cbranch_scc1 .LBB135_1230
; %bb.1221:
	s_cmp_lt_i32 s14, 3
	s_cbranch_scc1 .LBB135_1227
; %bb.1222:
	s_cmp_gt_i32 s14, 3
	s_cbranch_scc0 .LBB135_1224
; %bb.1223:
	s_mov_b32 s64, 0
	v_cndmask_b32_e64 v2, 0, 1, s[62:63]
	v_mov_b32_e32 v3, s64
	s_mov_b64 s[64:65], 0
	global_store_dwordx2 v[0:1], v[2:3], off
.LBB135_1224:
	s_andn2_b64 vcc, exec, s[64:65]
	s_cbranch_vccnz .LBB135_1226
; %bb.1225:
	v_cndmask_b32_e64 v2, 0, 1, s[62:63]
	global_store_dword v[0:1], v2, off
.LBB135_1226:
	s_mov_b64 s[64:65], 0
.LBB135_1227:
	s_andn2_b64 vcc, exec, s[64:65]
	s_cbranch_vccnz .LBB135_1229
; %bb.1228:
	v_cndmask_b32_e64 v2, 0, 1, s[62:63]
	global_store_short v[0:1], v2, off
.LBB135_1229:
	s_mov_b64 s[64:65], 0
.LBB135_1230:
	s_andn2_b64 vcc, exec, s[64:65]
	s_cbranch_vccnz .LBB135_1235
; %bb.1231:
	s_mov_b64 s[64:65], -1
	s_cmp_gt_i32 s14, 0
	v_cndmask_b32_e64 v2, 0, 1, s[62:63]
	s_cbranch_scc0 .LBB135_1233
; %bb.1232:
	s_mov_b64 s[64:65], 0
	global_store_byte v[0:1], v2, off
.LBB135_1233:
	s_andn2_b64 vcc, exec, s[64:65]
	s_cbranch_vccnz .LBB135_1235
; %bb.1234:
	global_store_byte v[0:1], v2, off
.LBB135_1235:
	s_mov_b64 s[64:65], -1
.LBB135_1236:
	s_andn2_b64 vcc, exec, s[64:65]
	s_cbranch_vccnz .LBB135_1248
; %bb.1237:
	v_add_u32_e32 v8, 0x80, v8
	s_mov_b64 s[64:65], -1
.LBB135_1238:
	s_andn2_b64 s[62:63], s[52:53], exec
	s_and_b64 s[0:1], s[0:1], exec
	s_or_b64 s[62:63], s[62:63], s[0:1]
	s_andn2_b64 s[0:1], s[50:51], exec
	s_and_b64 s[60:61], s[60:61], exec
	s_or_b64 s[60:61], s[0:1], s[60:61]
	;; [unrolled: 3-line block ×3, first 2 shown]
	s_orn2_b64 s[68:69], s[64:65], exec
.LBB135_1239:
	s_or_b64 exec, exec, s[56:57]
	s_mov_b64 s[64:65], 0
	s_mov_b64 s[58:59], 0
	;; [unrolled: 1-line block ×3, first 2 shown]
                                        ; implicit-def: $sgpr14
                                        ; implicit-def: $vgpr4_vgpr5
                                        ; implicit-def: $vgpr0
                                        ; implicit-def: $vgpr3
                                        ; implicit-def: $vgpr2
	s_and_saveexec_b64 s[56:57], s[68:69]
	s_cbranch_execz .LBB135_1337
; %bb.1240:
	v_cmp_gt_i32_e32 vcc, s70, v8
	s_mov_b64 s[68:69], s[0:1]
	s_mov_b64 s[70:71], 0
                                        ; implicit-def: $sgpr14
                                        ; implicit-def: $vgpr4_vgpr5
                                        ; implicit-def: $vgpr0
                                        ; implicit-def: $vgpr3
                                        ; implicit-def: $vgpr2
	s_and_saveexec_b64 s[58:59], vcc
	s_cbranch_execz .LBB135_1336
; %bb.1241:
	s_andn2_b64 vcc, exec, s[24:25]
	s_cbranch_vccnz .LBB135_1247
; %bb.1242:
	s_andn2_b64 vcc, exec, s[38:39]
	s_cbranch_vccnz .LBB135_1249
; %bb.1243:
	s_add_i32 s14, s75, 1
	s_and_b32 s14, s14, 30
	s_add_u32 s38, s2, 0xffffffe8
	s_addc_u32 s39, s3, -1
	v_mov_b32_e32 v3, 0
	s_waitcnt vmcnt(0)
	v_mov_b32_e32 v5, 0
	v_mov_b32_e32 v0, 0
	;; [unrolled: 1-line block ×3, first 2 shown]
.LBB135_1244:                           ; =>This Inner Loop Header: Depth=1
	s_load_dwordx4 s[64:67], s[38:39], 0x1c
	s_load_dwordx2 s[76:77], s[38:39], 0x2c
	s_load_dwordx2 s[78:79], s[38:39], 0xec
	s_load_dwordx4 s[68:71], s[38:39], 0xdc
	s_add_u32 s38, s38, 24
	s_waitcnt lgkmcnt(0)
	v_mul_hi_u32 v2, s65, v1
	s_addc_u32 s39, s39, 0
	s_add_i32 s14, s14, -2
	s_cmp_eq_u32 s14, 0
	v_add_u32_e32 v2, v1, v2
	v_lshrrev_b32_e32 v2, s66, v2
	v_mul_lo_u32 v4, v2, s64
	v_mul_hi_u32 v6, s76, v2
	v_sub_u32_e32 v4, v1, v4
	v_add_u32_e32 v1, v2, v6
	v_lshrrev_b32_e32 v1, s77, v1
	v_mul_lo_u32 v9, v1, s67
	v_mul_lo_u32 v6, v4, s68
	;; [unrolled: 1-line block ×4, first 2 shown]
	v_sub_u32_e32 v2, v2, v9
	v_mul_lo_u32 v9, v2, s71
	v_mul_lo_u32 v10, v2, s78
	;; [unrolled: 1-line block ×3, first 2 shown]
	v_add3_u32 v0, v6, v0, v9
	v_add3_u32 v5, v7, v5, v10
	;; [unrolled: 1-line block ×3, first 2 shown]
	s_cbranch_scc0 .LBB135_1244
; %bb.1245:
	s_bitcmp1_b32 s75, 0
	s_cselect_b64 s[64:65], -1, 0
	s_and_b64 vcc, exec, s[64:65]
	s_cbranch_vccnz .LBB135_1250
; %bb.1246:
	s_load_dwordx2 s[64:65], s[38:39], 0x1c
	s_load_dword s14, s[38:39], 0x24
	s_load_dwordx2 s[66:67], s[38:39], 0xdc
	s_waitcnt lgkmcnt(0)
	v_mul_hi_u32 v2, s65, v1
	v_add_u32_e32 v2, v1, v2
	v_lshrrev_b32_e32 v2, s14, v2
	v_mul_lo_u32 v2, v2, s64
	s_load_dword s14, s[38:39], 0xe4
	v_sub_u32_e32 v2, v1, v2
	v_mad_u64_u32 v[0:1], s[38:39], v2, s66, v[0:1]
	v_mad_u64_u32 v[5:6], s[38:39], v2, s67, v[5:6]
	s_waitcnt lgkmcnt(0)
	v_mad_u64_u32 v[3:4], s[38:39], v2, s14, v[3:4]
	s_branch .LBB135_1250
.LBB135_1247:
	s_mov_b64 s[38:39], -1
                                        ; implicit-def: $vgpr0
                                        ; implicit-def: $vgpr5
                                        ; implicit-def: $vgpr3
	s_branch .LBB135_1251
.LBB135_1248:
	s_mov_b64 s[64:65], 0
	s_branch .LBB135_981
.LBB135_1249:
	v_mov_b32_e32 v0, 0
	s_waitcnt vmcnt(0)
	v_mov_b32_e32 v5, 0
	v_mov_b32_e32 v3, 0
.LBB135_1250:
	s_mov_b64 s[38:39], 0
.LBB135_1251:
	s_andn2_b64 vcc, exec, s[38:39]
	s_cbranch_vccnz .LBB135_1254
; %bb.1252:
	v_mul_hi_u32 v0, s17, v8
	s_andn2_b64 vcc, exec, s[36:37]
	v_add_u32_e32 v0, v8, v0
	s_waitcnt vmcnt(0)
	v_lshrrev_b32_e32 v1, s18, v0
	v_mul_lo_u32 v0, v1, s16
	v_sub_u32_e32 v2, v8, v0
	v_mul_lo_u32 v0, v2, s20
	v_mul_lo_u32 v5, v2, s21
	;; [unrolled: 1-line block ×3, first 2 shown]
	s_cbranch_vccnz .LBB135_1254
; %bb.1253:
	v_mul_hi_u32 v2, s34, v1
	v_add_u32_e32 v2, v1, v2
	v_lshrrev_b32_e32 v2, s35, v2
	v_mul_lo_u32 v2, v2, s19
	v_sub_u32_e32 v2, v1, v2
	v_mad_u64_u32 v[0:1], s[16:17], v2, s23, v[0:1]
	v_mad_u64_u32 v[5:6], s[16:17], v2, s30, v[5:6]
	;; [unrolled: 1-line block ×3, first 2 shown]
.LBB135_1254:
	s_waitcnt vmcnt(0)
	v_mov_b32_e32 v1, s11
	s_and_b32 s14, s74, 0xff
	v_add_co_u32_e32 v4, vcc, s10, v5
	s_cmp_lt_i32 s14, 11
	v_addc_co_u32_e32 v5, vcc, 0, v1, vcc
	s_cbranch_scc1 .LBB135_1261
; %bb.1255:
	s_and_b32 s30, 0xffff, s14
	s_cmp_gt_i32 s30, 25
	s_mov_b64 s[16:17], 0
	s_cbranch_scc0 .LBB135_1262
; %bb.1256:
	s_cmp_gt_i32 s30, 28
	s_cbranch_scc0 .LBB135_1263
; %bb.1257:
	s_cmp_gt_i32 s30, 43
	;; [unrolled: 3-line block ×3, first 2 shown]
	s_cbranch_scc0 .LBB135_1265
; %bb.1259:
	s_cmp_eq_u32 s30, 46
	s_mov_b64 s[20:21], 0
	s_cbranch_scc0 .LBB135_1268
; %bb.1260:
	global_load_dword v1, v[4:5], off
	s_mov_b64 s[10:11], 0
	s_mov_b64 s[18:19], -1
	s_waitcnt vmcnt(0)
	v_and_b32_e32 v2, 0xffff0000, v1
	v_lshlrev_b32_e32 v1, 16, v1
	s_branch .LBB135_1269
.LBB135_1261:
	s_mov_b64 s[20:21], -1
	s_mov_b64 s[18:19], 0
	s_mov_b64 s[16:17], 0
	;; [unrolled: 1-line block ×3, first 2 shown]
                                        ; implicit-def: $vgpr2
	s_branch .LBB135_1335
.LBB135_1262:
	s_mov_b64 s[20:21], -1
	s_mov_b64 s[18:19], 0
	s_mov_b64 s[10:11], s[0:1]
                                        ; implicit-def: $vgpr2
	s_branch .LBB135_1300
.LBB135_1263:
	s_mov_b64 s[20:21], -1
	s_mov_b64 s[18:19], 0
	s_mov_b64 s[10:11], s[0:1]
                                        ; implicit-def: $vgpr2
	s_branch .LBB135_1281
.LBB135_1264:
	s_mov_b64 s[20:21], -1
	s_mov_b64 s[18:19], 0
	s_mov_b64 s[10:11], s[0:1]
                                        ; implicit-def: $vgpr2
	s_branch .LBB135_1275
.LBB135_1265:
	s_mov_b64 s[20:21], -1
	s_mov_b64 s[18:19], 0
	s_mov_b64 s[10:11], s[0:1]
                                        ; implicit-def: $vgpr2
	s_branch .LBB135_1269
.LBB135_1266:
	s_andn2_saveexec_b64 s[68:69], s[68:69]
	s_cbranch_execz .LBB135_1149
.LBB135_1267:
	v_add_f32_e32 v2, 0x46000000, v3
	v_and_b32_e32 v2, 0xff, v2
	v_cmp_ne_u32_e32 vcc, 0, v2
	s_andn2_b64 s[66:67], s[66:67], exec
	s_and_b64 s[76:77], vcc, exec
	s_or_b64 s[66:67], s[66:67], s[76:77]
	s_or_b64 exec, exec, s[68:69]
	v_mov_b32_e32 v4, 0
	s_and_saveexec_b64 s[68:69], s[66:67]
	s_cbranch_execnz .LBB135_1150
	s_branch .LBB135_1151
.LBB135_1268:
	s_mov_b64 s[10:11], -1
                                        ; implicit-def: $vgpr2
	s_mov_b64 s[18:19], 0
.LBB135_1269:
	s_and_b64 vcc, exec, s[20:21]
	s_cbranch_vccz .LBB135_1274
; %bb.1270:
	s_cmp_eq_u32 s30, 44
	s_cbranch_scc0 .LBB135_1272
; %bb.1271:
	global_load_ubyte v1, v[4:5], off
	s_movk_i32 s18, 0xff
	v_mov_b32_e32 v2, 0x7f800001
	v_mov_b32_e32 v6, 0x400000
	s_mov_b64 s[10:11], 0
	s_waitcnt vmcnt(0)
	v_lshlrev_b32_e32 v7, 23, v1
	v_cmp_ne_u32_e32 vcc, s18, v1
	v_cndmask_b32_e32 v2, v2, v7, vcc
	v_cmp_ne_u32_e32 vcc, 0, v1
	v_cndmask_b32_e32 v1, v6, v2, vcc
	s_mov_b64 s[18:19], -1
	s_branch .LBB135_1273
.LBB135_1272:
	s_mov_b64 s[10:11], -1
                                        ; implicit-def: $vgpr1
.LBB135_1273:
	v_mov_b32_e32 v2, 0
.LBB135_1274:
	s_mov_b64 s[20:21], 0
.LBB135_1275:
	s_and_b64 vcc, exec, s[20:21]
	s_cbranch_vccz .LBB135_1280
; %bb.1276:
	s_cmp_eq_u32 s30, 29
	s_cbranch_scc0 .LBB135_1278
; %bb.1277:
	global_load_dwordx2 v[1:2], v[4:5], off
	s_mov_b64 s[10:11], 0
	s_mov_b64 s[18:19], -1
	s_waitcnt vmcnt(0)
	v_ffbh_u32_e32 v6, v2
	v_min_u32_e32 v6, 32, v6
	v_lshlrev_b64 v[1:2], v6, v[1:2]
	v_min_u32_e32 v1, 1, v1
	v_or_b32_e32 v1, v2, v1
	v_cvt_f32_u32_e32 v1, v1
	v_sub_u32_e32 v2, 32, v6
	v_ldexp_f32 v1, v1, v2
	s_branch .LBB135_1279
.LBB135_1278:
	s_mov_b64 s[10:11], -1
                                        ; implicit-def: $vgpr1
.LBB135_1279:
	v_mov_b32_e32 v2, 0
.LBB135_1280:
	s_mov_b64 s[20:21], 0
.LBB135_1281:
	s_and_b64 vcc, exec, s[20:21]
	s_cbranch_vccz .LBB135_1299
; %bb.1282:
	s_cmp_lt_i32 s30, 27
	s_cbranch_scc1 .LBB135_1285
; %bb.1283:
	s_cmp_gt_i32 s30, 27
	s_cbranch_scc0 .LBB135_1286
; %bb.1284:
	global_load_dword v1, v[4:5], off
	s_mov_b64 s[18:19], 0
	s_waitcnt vmcnt(0)
	v_cvt_f32_u32_e32 v1, v1
	s_branch .LBB135_1287
.LBB135_1285:
	s_mov_b64 s[18:19], -1
                                        ; implicit-def: $vgpr1
	s_branch .LBB135_1290
.LBB135_1286:
	s_mov_b64 s[18:19], -1
                                        ; implicit-def: $vgpr1
.LBB135_1287:
	s_andn2_b64 vcc, exec, s[18:19]
	s_cbranch_vccnz .LBB135_1289
; %bb.1288:
	global_load_ushort v1, v[4:5], off
	s_waitcnt vmcnt(0)
	v_cvt_f32_u32_e32 v1, v1
.LBB135_1289:
	s_mov_b64 s[18:19], 0
.LBB135_1290:
	s_andn2_b64 vcc, exec, s[18:19]
	s_cbranch_vccnz .LBB135_1298
; %bb.1291:
	global_load_ubyte v2, v[4:5], off
	s_movk_i32 s18, 0x7f
	s_waitcnt vmcnt(0)
	v_cmp_lt_i16_e32 vcc, s18, v2
	s_mov_b64 s[18:19], 0
	s_and_saveexec_b64 s[20:21], vcc
	s_xor_b64 s[20:21], exec, s[20:21]
	s_cbranch_execz .LBB135_1312
; %bb.1292:
	s_movk_i32 s18, 0x80
	v_cmp_eq_u16_e32 vcc, s18, v2
	s_mov_b64 s[18:19], -1
	s_and_saveexec_b64 s[22:23], vcc
; %bb.1293:
	s_xor_b64 s[18:19], exec, -1
; %bb.1294:
	s_or_b64 exec, exec, s[22:23]
	s_and_b64 s[18:19], s[18:19], exec
	s_or_saveexec_b64 s[20:21], s[20:21]
	v_mov_b32_e32 v1, 0x7f800001
	s_xor_b64 exec, exec, s[20:21]
	s_cbranch_execnz .LBB135_1313
.LBB135_1295:
	s_or_b64 exec, exec, s[20:21]
	s_and_saveexec_b64 s[20:21], s[18:19]
	s_cbranch_execz .LBB135_1297
.LBB135_1296:
	v_lshlrev_b32_e32 v1, 24, v2
	v_and_b32_e32 v2, 0xffff, v2
	v_and_b32_e32 v6, 7, v2
	v_ffbh_u32_e32 v8, v6
	v_min_u32_e32 v8, 32, v8
	v_subrev_u32_e32 v9, 28, v8
	v_bfe_u32 v7, v2, 3, 4
	v_lshlrev_b32_e32 v2, v9, v2
	v_sub_u32_e32 v8, 29, v8
	v_and_b32_e32 v2, 7, v2
	v_cmp_eq_u32_e32 vcc, 0, v7
	v_cndmask_b32_e32 v7, v7, v8, vcc
	v_cndmask_b32_e32 v2, v6, v2, vcc
	v_mov_b32_e32 v6, 0x3b800000
	v_lshlrev_b32_e32 v2, 20, v2
	v_and_b32_e32 v1, 0x80000000, v1
	v_lshl_add_u32 v6, v7, 23, v6
	v_or3_b32 v1, v1, v6, v2
.LBB135_1297:
	s_or_b64 exec, exec, s[20:21]
.LBB135_1298:
	s_mov_b64 s[18:19], -1
	v_mov_b32_e32 v2, 0
.LBB135_1299:
	s_mov_b64 s[20:21], 0
.LBB135_1300:
	s_and_b64 vcc, exec, s[20:21]
	s_cbranch_vccz .LBB135_1334
; %bb.1301:
	s_cmp_gt_i32 s30, 22
	s_cbranch_scc0 .LBB135_1311
; %bb.1302:
	s_cmp_lt_i32 s30, 24
	s_cbranch_scc1 .LBB135_1314
; %bb.1303:
	s_cmp_gt_i32 s30, 24
	s_cbranch_scc0 .LBB135_1315
; %bb.1304:
	global_load_ubyte v2, v[4:5], off
	s_movk_i32 s16, 0x7f
	s_waitcnt vmcnt(0)
	v_cmp_lt_i16_e32 vcc, s16, v2
	s_mov_b64 s[16:17], 0
	s_and_saveexec_b64 s[18:19], vcc
	s_xor_b64 s[18:19], exec, s[18:19]
	s_cbranch_execz .LBB135_1327
; %bb.1305:
	s_movk_i32 s16, 0x80
	v_cmp_eq_u16_e32 vcc, s16, v2
	s_mov_b64 s[16:17], -1
	s_and_saveexec_b64 s[20:21], vcc
; %bb.1306:
	s_xor_b64 s[16:17], exec, -1
; %bb.1307:
	s_or_b64 exec, exec, s[20:21]
	s_and_b64 s[16:17], s[16:17], exec
	s_or_saveexec_b64 s[18:19], s[18:19]
	v_mov_b32_e32 v1, 0x7f800001
	s_xor_b64 exec, exec, s[18:19]
	s_cbranch_execnz .LBB135_1328
.LBB135_1308:
	s_or_b64 exec, exec, s[18:19]
	s_and_saveexec_b64 s[18:19], s[16:17]
	s_cbranch_execz .LBB135_1310
.LBB135_1309:
	v_lshlrev_b32_e32 v1, 24, v2
	v_and_b32_e32 v2, 0xffff, v2
	v_and_b32_e32 v6, 3, v2
	v_ffbh_u32_e32 v8, v6
	v_min_u32_e32 v8, 32, v8
	v_subrev_u32_e32 v9, 29, v8
	v_bfe_u32 v7, v2, 2, 5
	v_lshlrev_b32_e32 v2, v9, v2
	v_sub_u32_e32 v8, 30, v8
	v_and_b32_e32 v2, 3, v2
	v_cmp_eq_u32_e32 vcc, 0, v7
	v_cndmask_b32_e32 v7, v7, v8, vcc
	v_cndmask_b32_e32 v2, v6, v2, vcc
	v_mov_b32_e32 v6, 0x37800000
	v_lshlrev_b32_e32 v2, 21, v2
	v_and_b32_e32 v1, 0x80000000, v1
	v_lshl_add_u32 v6, v7, 23, v6
	v_or3_b32 v1, v1, v6, v2
.LBB135_1310:
	s_or_b64 exec, exec, s[18:19]
	s_mov_b64 s[16:17], 0
	s_branch .LBB135_1316
.LBB135_1311:
	s_mov_b64 s[16:17], -1
                                        ; implicit-def: $vgpr1
	s_branch .LBB135_1322
.LBB135_1312:
	s_or_saveexec_b64 s[20:21], s[20:21]
	v_mov_b32_e32 v1, 0x7f800001
	s_xor_b64 exec, exec, s[20:21]
	s_cbranch_execz .LBB135_1295
.LBB135_1313:
	v_cmp_ne_u16_e32 vcc, 0, v2
	s_andn2_b64 s[18:19], s[18:19], exec
	s_and_b64 s[22:23], vcc, exec
	v_mov_b32_e32 v1, 0
	s_or_b64 s[18:19], s[18:19], s[22:23]
	s_or_b64 exec, exec, s[20:21]
	s_and_saveexec_b64 s[20:21], s[18:19]
	s_cbranch_execnz .LBB135_1296
	s_branch .LBB135_1297
.LBB135_1314:
	s_mov_b64 s[16:17], -1
                                        ; implicit-def: $vgpr1
	s_branch .LBB135_1319
.LBB135_1315:
	s_mov_b64 s[16:17], -1
                                        ; implicit-def: $vgpr1
.LBB135_1316:
	s_and_b64 vcc, exec, s[16:17]
	s_cbranch_vccz .LBB135_1318
; %bb.1317:
	global_load_ubyte v1, v[4:5], off
	s_mov_b32 s16, 0x7f800000
	s_waitcnt vmcnt(0)
	v_lshlrev_b32_e32 v1, 24, v1
	v_and_b32_e32 v2, 0x7f000000, v1
	v_ffbh_u32_e32 v6, v2
	v_min_u32_e32 v6, 32, v6
	v_sub_u32_e64 v6, v6, 4 clamp
	v_lshlrev_b32_e32 v8, v6, v2
	v_lshlrev_b32_e32 v6, 23, v6
	v_lshrrev_b32_e32 v8, 4, v8
	v_add_u32_e32 v7, 0x1000000, v2
	v_sub_u32_e32 v6, v8, v6
	v_ashrrev_i32_e32 v7, 8, v7
	v_add_u32_e32 v6, 0x3c000000, v6
	v_and_or_b32 v6, v7, s16, v6
	v_cmp_ne_u32_e32 vcc, 0, v2
	v_cndmask_b32_e32 v2, 0, v6, vcc
	s_brev_b32 s16, 1
	v_and_or_b32 v1, v1, s16, v2
.LBB135_1318:
	s_mov_b64 s[16:17], 0
.LBB135_1319:
	s_andn2_b64 vcc, exec, s[16:17]
	s_cbranch_vccnz .LBB135_1321
; %bb.1320:
	global_load_ubyte v1, v[4:5], off
	s_movk_i32 s16, 0x7f00
	s_brev_b32 s17, 16
	s_waitcnt vmcnt(0)
	v_lshlrev_b16_e32 v2, 8, v1
	v_lshlrev_b32_e32 v1, 25, v1
	v_lshrrev_b32_e32 v6, 4, v1
	v_and_or_b32 v7, v2, s16, 0.5
	v_or_b32_e32 v6, 0x70000000, v6
	v_add_f32_e32 v7, -0.5, v7
	v_mul_f32_e32 v6, 0x7800000, v6
	v_cmp_gt_u32_e32 vcc, s17, v1
	v_bfe_i32 v2, v2, 0, 16
	v_cndmask_b32_e32 v1, v6, v7, vcc
	s_brev_b32 s16, 1
	v_and_or_b32 v1, v2, s16, v1
.LBB135_1321:
	s_mov_b64 s[16:17], 0
	s_mov_b64 s[18:19], -1
.LBB135_1322:
	s_andn2_b64 vcc, exec, s[16:17]
	s_mov_b64 s[16:17], 0
	s_cbranch_vccnz .LBB135_1333
; %bb.1323:
	s_cmp_gt_i32 s30, 14
	s_cbranch_scc0 .LBB135_1326
; %bb.1324:
	s_cmp_eq_u32 s30, 15
	s_cbranch_scc0 .LBB135_1329
; %bb.1325:
	global_load_ushort v1, v[4:5], off
	s_mov_b64 s[10:11], 0
	s_mov_b64 s[18:19], -1
	s_waitcnt vmcnt(0)
	v_lshlrev_b32_e32 v1, 16, v1
	s_branch .LBB135_1330
.LBB135_1326:
	s_mov_b64 s[20:21], -1
                                        ; implicit-def: $vgpr1
	s_branch .LBB135_1331
.LBB135_1327:
	s_or_saveexec_b64 s[18:19], s[18:19]
	v_mov_b32_e32 v1, 0x7f800001
	s_xor_b64 exec, exec, s[18:19]
	s_cbranch_execz .LBB135_1308
.LBB135_1328:
	v_cmp_ne_u16_e32 vcc, 0, v2
	s_andn2_b64 s[16:17], s[16:17], exec
	s_and_b64 s[20:21], vcc, exec
	v_mov_b32_e32 v1, 0
	s_or_b64 s[16:17], s[16:17], s[20:21]
	s_or_b64 exec, exec, s[18:19]
	s_and_saveexec_b64 s[18:19], s[16:17]
	s_cbranch_execnz .LBB135_1309
	s_branch .LBB135_1310
.LBB135_1329:
	s_mov_b64 s[10:11], -1
                                        ; implicit-def: $vgpr1
.LBB135_1330:
	s_mov_b64 s[20:21], 0
.LBB135_1331:
	s_and_b64 vcc, exec, s[20:21]
	s_cbranch_vccz .LBB135_1333
; %bb.1332:
	s_cmp_lg_u32 s30, 11
	s_cselect_b64 s[20:21], -1, 0
	s_andn2_b64 s[10:11], s[10:11], exec
	s_and_b64 s[20:21], s[20:21], exec
	s_mov_b64 s[16:17], -1
	s_or_b64 s[10:11], s[10:11], s[20:21]
.LBB135_1333:
	v_mov_b32_e32 v2, 0
.LBB135_1334:
	s_mov_b64 s[20:21], 0
.LBB135_1335:
	s_and_b64 s[64:65], s[16:17], exec
	s_andn2_b64 s[16:17], s[0:1], exec
	s_and_b64 s[10:11], s[10:11], exec
	s_and_b64 s[66:67], s[18:19], exec
	;; [unrolled: 1-line block ×3, first 2 shown]
	s_or_b64 s[68:69], s[16:17], s[10:11]
.LBB135_1336:
	s_or_b64 exec, exec, s[58:59]
	s_andn2_b64 s[0:1], s[0:1], exec
	s_and_b64 s[10:11], s[68:69], exec
	s_and_b64 s[66:67], s[66:67], exec
	;; [unrolled: 1-line block ×4, first 2 shown]
	s_or_b64 s[0:1], s[0:1], s[10:11]
.LBB135_1337:
	s_or_b64 exec, exec, s[56:57]
	s_andn2_b64 s[10:11], s[52:53], exec
	s_and_b64 s[16:17], s[62:63], exec
	s_or_b64 s[52:53], s[10:11], s[16:17]
	s_andn2_b64 s[10:11], s[50:51], exec
	s_and_b64 s[16:17], s[60:61], exec
	s_or_b64 s[50:51], s[10:11], s[16:17]
	s_andn2_b64 s[10:11], s[48:49], exec
	s_and_b64 s[0:1], s[0:1], exec
	s_and_b64 s[60:61], s[66:67], exec
	;; [unrolled: 1-line block ×4, first 2 shown]
	s_or_b64 s[48:49], s[10:11], s[0:1]
.LBB135_1338:
	s_or_b64 exec, exec, s[54:55]
	s_andn2_b64 s[0:1], s[40:41], exec
	s_and_b64 s[10:11], s[52:53], exec
	s_or_b64 s[40:41], s[0:1], s[10:11]
	s_andn2_b64 s[0:1], s[42:43], exec
	s_and_b64 s[10:11], s[50:51], exec
	s_or_b64 s[42:43], s[0:1], s[10:11]
	s_andn2_b64 s[0:1], s[44:45], exec
	s_and_b64 s[10:11], s[48:49], exec
	s_and_b64 s[52:53], s[60:61], exec
	;; [unrolled: 1-line block ×4, first 2 shown]
	s_or_b64 s[44:45], s[0:1], s[10:11]
	s_or_b64 exec, exec, s[46:47]
	s_mov_b64 s[10:11], 0
	s_and_saveexec_b64 s[0:1], s[44:45]
	s_cbranch_execz .LBB135_416
.LBB135_1339:
	s_mov_b64 s[10:11], exec
	s_andn2_b64 s[50:51], s[50:51], exec
	s_trap 2
	s_or_b64 exec, exec, s[0:1]
	s_and_saveexec_b64 s[0:1], s[50:51]
	s_xor_b64 s[0:1], exec, s[0:1]
	s_cbranch_execnz .LBB135_417
.LBB135_1340:
	s_or_b64 exec, exec, s[0:1]
	s_and_saveexec_b64 s[0:1], s[54:55]
	s_cbranch_execz .LBB135_1388
.LBB135_1341:
	s_sext_i32_i16 s16, s14
	s_cmp_lt_i32 s16, 5
	s_cbranch_scc1 .LBB135_1346
; %bb.1342:
	s_cmp_lt_i32 s16, 8
	s_cbranch_scc1 .LBB135_1347
; %bb.1343:
	;; [unrolled: 3-line block ×3, first 2 shown]
	s_cmp_gt_i32 s16, 9
	s_cbranch_scc0 .LBB135_1349
; %bb.1345:
	s_waitcnt vmcnt(0)
	global_load_dwordx4 v[6:9], v[4:5], off
	s_mov_b64 s[16:17], 0
	s_waitcnt vmcnt(0)
	v_cvt_f32_f64_e32 v1, v[6:7]
	v_cvt_f32_f64_e32 v2, v[8:9]
	s_branch .LBB135_1350
.LBB135_1346:
                                        ; implicit-def: $vgpr2
	s_branch .LBB135_1368
.LBB135_1347:
                                        ; implicit-def: $vgpr2
	s_branch .LBB135_1356
.LBB135_1348:
	s_mov_b64 s[16:17], -1
                                        ; implicit-def: $vgpr2
	s_branch .LBB135_1353
.LBB135_1349:
	s_mov_b64 s[16:17], -1
                                        ; implicit-def: $vgpr2
.LBB135_1350:
	s_andn2_b64 vcc, exec, s[16:17]
	s_cbranch_vccnz .LBB135_1352
; %bb.1351:
	s_waitcnt vmcnt(0)
	global_load_dwordx2 v[1:2], v[4:5], off
.LBB135_1352:
	s_mov_b64 s[16:17], 0
.LBB135_1353:
	s_andn2_b64 vcc, exec, s[16:17]
	s_cbranch_vccnz .LBB135_1355
; %bb.1354:
	s_waitcnt vmcnt(0)
	global_load_dword v2, v[4:5], off
	s_waitcnt vmcnt(0)
	v_cvt_f32_f16_e32 v1, v2
	v_cvt_f32_f16_sdwa v2, v2 dst_sel:DWORD dst_unused:UNUSED_PAD src0_sel:WORD_1
.LBB135_1355:
	s_cbranch_execnz .LBB135_1367
.LBB135_1356:
	s_sext_i32_i16 s16, s14
	s_cmp_lt_i32 s16, 6
	s_cbranch_scc1 .LBB135_1359
; %bb.1357:
	s_cmp_gt_i32 s16, 6
	s_cbranch_scc0 .LBB135_1360
; %bb.1358:
	s_waitcnt vmcnt(0)
	global_load_dwordx2 v[1:2], v[4:5], off
	s_mov_b64 s[16:17], 0
	s_waitcnt vmcnt(0)
	v_cvt_f32_f64_e32 v1, v[1:2]
	s_branch .LBB135_1361
.LBB135_1359:
	s_mov_b64 s[16:17], -1
                                        ; implicit-def: $vgpr1
	s_branch .LBB135_1364
.LBB135_1360:
	s_mov_b64 s[16:17], -1
                                        ; implicit-def: $vgpr1
.LBB135_1361:
	s_andn2_b64 vcc, exec, s[16:17]
	s_cbranch_vccnz .LBB135_1363
; %bb.1362:
	s_waitcnt vmcnt(0)
	global_load_dword v1, v[4:5], off
.LBB135_1363:
	s_mov_b64 s[16:17], 0
.LBB135_1364:
	s_andn2_b64 vcc, exec, s[16:17]
	s_cbranch_vccnz .LBB135_1366
; %bb.1365:
	s_waitcnt vmcnt(0)
	global_load_ushort v1, v[4:5], off
	s_waitcnt vmcnt(0)
	v_cvt_f32_f16_e32 v1, v1
.LBB135_1366:
	s_waitcnt vmcnt(0)
	v_mov_b32_e32 v2, 0
.LBB135_1367:
	s_cbranch_execnz .LBB135_1387
.LBB135_1368:
	s_sext_i32_i16 s16, s14
	s_cmp_lt_i32 s16, 2
	s_cbranch_scc1 .LBB135_1372
; %bb.1369:
	s_cmp_lt_i32 s16, 3
	s_cbranch_scc1 .LBB135_1373
; %bb.1370:
	s_cmp_gt_i32 s16, 3
	s_cbranch_scc0 .LBB135_1374
; %bb.1371:
	s_waitcnt vmcnt(0)
	global_load_dwordx2 v[1:2], v[4:5], off
	s_mov_b64 s[16:17], 0
	s_waitcnt vmcnt(0)
	v_xor_b32_e32 v7, v1, v2
	v_ffbh_i32_e32 v6, v2
	v_ashrrev_i32_e32 v7, 31, v7
	v_add_u32_e32 v6, -1, v6
	v_add_u32_e32 v7, 32, v7
	v_min_u32_e32 v6, v6, v7
	v_lshlrev_b64 v[1:2], v6, v[1:2]
	v_min_u32_e32 v1, 1, v1
	v_or_b32_e32 v1, v2, v1
	v_cvt_f32_i32_e32 v1, v1
	v_sub_u32_e32 v2, 32, v6
	v_ldexp_f32 v1, v1, v2
	s_branch .LBB135_1375
.LBB135_1372:
                                        ; implicit-def: $vgpr1
	s_branch .LBB135_1381
.LBB135_1373:
	s_mov_b64 s[16:17], -1
                                        ; implicit-def: $vgpr1
	s_branch .LBB135_1378
.LBB135_1374:
	s_mov_b64 s[16:17], -1
                                        ; implicit-def: $vgpr1
.LBB135_1375:
	s_andn2_b64 vcc, exec, s[16:17]
	s_cbranch_vccnz .LBB135_1377
; %bb.1376:
	s_waitcnt vmcnt(0)
	global_load_dword v1, v[4:5], off
	s_waitcnt vmcnt(0)
	v_cvt_f32_i32_e32 v1, v1
.LBB135_1377:
	s_mov_b64 s[16:17], 0
.LBB135_1378:
	s_andn2_b64 vcc, exec, s[16:17]
	s_cbranch_vccnz .LBB135_1380
; %bb.1379:
	s_waitcnt vmcnt(0)
	global_load_sshort v1, v[4:5], off
	s_waitcnt vmcnt(0)
	v_cvt_f32_i32_e32 v1, v1
.LBB135_1380:
	s_cbranch_execnz .LBB135_1386
.LBB135_1381:
	s_sext_i32_i16 s14, s14
	s_cmp_gt_i32 s14, 0
	s_cbranch_scc0 .LBB135_1383
; %bb.1382:
	s_waitcnt vmcnt(0)
	global_load_sbyte v1, v[4:5], off
	s_mov_b64 s[16:17], 0
	s_waitcnt vmcnt(0)
	v_cvt_f32_i32_e32 v1, v1
	s_branch .LBB135_1384
.LBB135_1383:
	s_mov_b64 s[16:17], -1
                                        ; implicit-def: $vgpr1
.LBB135_1384:
	s_andn2_b64 vcc, exec, s[16:17]
	s_cbranch_vccnz .LBB135_1386
; %bb.1385:
	s_waitcnt vmcnt(0)
	global_load_ubyte v1, v[4:5], off
	s_waitcnt vmcnt(0)
	v_cvt_f32_ubyte0_e32 v1, v1
.LBB135_1386:
	s_waitcnt vmcnt(0)
	v_mov_b32_e32 v2, 0
.LBB135_1387:
	s_or_b64 s[52:53], s[52:53], exec
.LBB135_1388:
	s_or_b64 exec, exec, s[0:1]
	s_mov_b64 s[16:17], 0
	s_mov_b64 s[20:21], 0
	;; [unrolled: 1-line block ×3, first 2 shown]
                                        ; implicit-def: $sgpr14
                                        ; implicit-def: $vgpr4_vgpr5
                                        ; implicit-def: $vgpr7
	s_and_saveexec_b64 s[0:1], s[52:53]
	s_cbranch_execz .LBB135_1396
; %bb.1389:
	s_waitcnt vmcnt(0)
	v_mov_b32_e32 v5, s13
	s_and_b32 s14, s73, 0xff
	v_add_co_u32_e32 v4, vcc, s12, v3
	s_cmp_lt_i32 s14, 11
	v_addc_co_u32_e32 v5, vcc, 0, v5, vcc
	s_cbranch_scc1 .LBB135_1399
; %bb.1390:
	s_and_b32 s30, 0xffff, s14
	s_cmp_gt_i32 s30, 25
	s_cbranch_scc0 .LBB135_1400
; %bb.1391:
	s_cmp_gt_i32 s30, 28
	s_cbranch_scc0 .LBB135_1401
; %bb.1392:
	;; [unrolled: 3-line block ×4, first 2 shown]
	s_cmp_eq_u32 s30, 46
	s_cbranch_scc0 .LBB135_1404
; %bb.1395:
	global_load_dword v3, v[4:5], off
	s_mov_b64 s[12:13], 0
	s_mov_b64 s[18:19], -1
	s_waitcnt vmcnt(0)
	v_and_b32_e32 v7, 0xffff0000, v3
	v_lshlrev_b32_e32 v6, 16, v3
	s_branch .LBB135_1406
.LBB135_1396:
	s_or_b64 exec, exec, s[0:1]
	s_and_saveexec_b64 s[0:1], s[42:43]
	s_cbranch_execnz .LBB135_1472
.LBB135_1397:
	s_or_b64 exec, exec, s[0:1]
	s_and_saveexec_b64 s[0:1], s[16:17]
	s_xor_b64 s[0:1], exec, s[0:1]
	s_cbranch_execz .LBB135_1473
.LBB135_1398:
	s_waitcnt vmcnt(0)
	global_load_ubyte v3, v[4:5], off
	v_mov_b32_e32 v7, 0
	s_or_b64 s[18:19], s[18:19], exec
	s_waitcnt vmcnt(0)
	v_cmp_ne_u16_e32 vcc, 0, v3
	v_cndmask_b32_e64 v6, 0, 1.0, vcc
	s_or_b64 exec, exec, s[0:1]
	s_and_saveexec_b64 s[0:1], s[20:21]
	s_cbranch_execz .LBB135_1521
	s_branch .LBB135_1474
.LBB135_1399:
	s_mov_b64 s[20:21], -1
                                        ; implicit-def: $vgpr7
	s_mov_b64 s[12:13], s[42:43]
	s_branch .LBB135_1471
.LBB135_1400:
	s_mov_b64 s[12:13], s[42:43]
                                        ; implicit-def: $vgpr7
	s_cbranch_execnz .LBB135_1437
	s_branch .LBB135_1470
.LBB135_1401:
	s_mov_b64 s[20:21], -1
	s_mov_b64 s[12:13], s[42:43]
                                        ; implicit-def: $vgpr7
	s_branch .LBB135_1418
.LBB135_1402:
	s_mov_b64 s[20:21], -1
	s_mov_b64 s[12:13], s[42:43]
                                        ; implicit-def: $vgpr7
	s_branch .LBB135_1412
.LBB135_1403:
	s_mov_b64 s[20:21], -1
	s_mov_b64 s[12:13], s[42:43]
	s_branch .LBB135_1405
.LBB135_1404:
	s_mov_b64 s[12:13], -1
.LBB135_1405:
                                        ; implicit-def: $vgpr7
.LBB135_1406:
	s_and_b64 vcc, exec, s[20:21]
	s_cbranch_vccz .LBB135_1411
; %bb.1407:
	s_cmp_eq_u32 s30, 44
	s_cbranch_scc0 .LBB135_1409
; %bb.1408:
	global_load_ubyte v3, v[4:5], off
	s_movk_i32 s18, 0xff
	v_mov_b32_e32 v6, 0x7f800001
	v_mov_b32_e32 v7, 0x400000
	s_mov_b64 s[12:13], 0
	s_waitcnt vmcnt(0)
	v_lshlrev_b32_e32 v8, 23, v3
	v_cmp_ne_u32_e32 vcc, s18, v3
	v_cndmask_b32_e32 v6, v6, v8, vcc
	v_cmp_ne_u32_e32 vcc, 0, v3
	v_cndmask_b32_e32 v6, v7, v6, vcc
	s_mov_b64 s[18:19], -1
	s_branch .LBB135_1410
.LBB135_1409:
	s_mov_b64 s[12:13], -1
                                        ; implicit-def: $vgpr6
.LBB135_1410:
	v_mov_b32_e32 v7, 0
.LBB135_1411:
	s_mov_b64 s[20:21], 0
.LBB135_1412:
	s_and_b64 vcc, exec, s[20:21]
	s_cbranch_vccz .LBB135_1417
; %bb.1413:
	s_cmp_eq_u32 s30, 29
	s_cbranch_scc0 .LBB135_1415
; %bb.1414:
	global_load_dwordx2 v[6:7], v[4:5], off
	s_mov_b64 s[12:13], 0
	s_mov_b64 s[18:19], -1
	s_waitcnt vmcnt(0)
	v_ffbh_u32_e32 v3, v7
	v_min_u32_e32 v3, 32, v3
	v_lshlrev_b64 v[6:7], v3, v[6:7]
	v_sub_u32_e32 v3, 32, v3
	v_min_u32_e32 v6, 1, v6
	v_or_b32_e32 v6, v7, v6
	v_cvt_f32_u32_e32 v6, v6
	v_ldexp_f32 v6, v6, v3
	s_branch .LBB135_1416
.LBB135_1415:
	s_mov_b64 s[12:13], -1
                                        ; implicit-def: $vgpr6
.LBB135_1416:
	v_mov_b32_e32 v7, 0
.LBB135_1417:
	s_mov_b64 s[20:21], 0
.LBB135_1418:
	s_and_b64 vcc, exec, s[20:21]
	s_cbranch_vccz .LBB135_1436
; %bb.1419:
	s_cmp_lt_i32 s30, 27
	s_cbranch_scc1 .LBB135_1422
; %bb.1420:
	s_cmp_gt_i32 s30, 27
	s_cbranch_scc0 .LBB135_1423
; %bb.1421:
	global_load_dword v3, v[4:5], off
	s_mov_b64 s[18:19], 0
	s_waitcnt vmcnt(0)
	v_cvt_f32_u32_e32 v6, v3
	s_branch .LBB135_1424
.LBB135_1422:
	s_mov_b64 s[18:19], -1
                                        ; implicit-def: $vgpr6
	s_branch .LBB135_1427
.LBB135_1423:
	s_mov_b64 s[18:19], -1
                                        ; implicit-def: $vgpr6
.LBB135_1424:
	s_andn2_b64 vcc, exec, s[18:19]
	s_cbranch_vccnz .LBB135_1426
; %bb.1425:
	global_load_ushort v3, v[4:5], off
	s_waitcnt vmcnt(0)
	v_cvt_f32_u32_e32 v6, v3
.LBB135_1426:
	s_mov_b64 s[18:19], 0
.LBB135_1427:
	s_andn2_b64 vcc, exec, s[18:19]
	s_cbranch_vccnz .LBB135_1435
; %bb.1428:
	global_load_ubyte v3, v[4:5], off
	s_movk_i32 s18, 0x7f
	s_waitcnt vmcnt(0)
	v_cmp_lt_i16_e32 vcc, s18, v3
	s_mov_b64 s[18:19], 0
	s_and_saveexec_b64 s[20:21], vcc
	s_xor_b64 s[20:21], exec, s[20:21]
	s_cbranch_execz .LBB135_1448
; %bb.1429:
	s_movk_i32 s18, 0x80
	v_cmp_eq_u16_e32 vcc, s18, v3
	s_mov_b64 s[18:19], -1
	s_and_saveexec_b64 s[22:23], vcc
; %bb.1430:
	s_xor_b64 s[18:19], exec, -1
; %bb.1431:
	s_or_b64 exec, exec, s[22:23]
	s_and_b64 s[18:19], s[18:19], exec
	s_or_saveexec_b64 s[20:21], s[20:21]
	v_mov_b32_e32 v6, 0x7f800001
	s_xor_b64 exec, exec, s[20:21]
	s_cbranch_execnz .LBB135_1449
.LBB135_1432:
	s_or_b64 exec, exec, s[20:21]
	s_and_saveexec_b64 s[20:21], s[18:19]
	s_cbranch_execz .LBB135_1434
.LBB135_1433:
	v_lshlrev_b32_e32 v6, 24, v3
	v_and_b32_e32 v3, 0xffff, v3
	v_and_b32_e32 v7, 7, v3
	v_ffbh_u32_e32 v9, v7
	v_min_u32_e32 v9, 32, v9
	v_subrev_u32_e32 v10, 28, v9
	v_bfe_u32 v8, v3, 3, 4
	v_lshlrev_b32_e32 v3, v10, v3
	v_sub_u32_e32 v9, 29, v9
	v_and_b32_e32 v3, 7, v3
	v_cmp_eq_u32_e32 vcc, 0, v8
	v_cndmask_b32_e32 v8, v8, v9, vcc
	v_cndmask_b32_e32 v3, v7, v3, vcc
	v_mov_b32_e32 v7, 0x3b800000
	v_lshlrev_b32_e32 v3, 20, v3
	v_and_b32_e32 v6, 0x80000000, v6
	v_lshl_add_u32 v7, v8, 23, v7
	v_or3_b32 v6, v6, v7, v3
.LBB135_1434:
	s_or_b64 exec, exec, s[20:21]
.LBB135_1435:
	s_mov_b64 s[18:19], -1
	v_mov_b32_e32 v7, 0
.LBB135_1436:
	s_branch .LBB135_1470
.LBB135_1437:
	s_cmp_gt_i32 s30, 22
	s_cbranch_scc0 .LBB135_1447
; %bb.1438:
	s_cmp_lt_i32 s30, 24
	s_cbranch_scc1 .LBB135_1450
; %bb.1439:
	s_cmp_gt_i32 s30, 24
	s_cbranch_scc0 .LBB135_1451
; %bb.1440:
	global_load_ubyte v3, v[4:5], off
	s_movk_i32 s16, 0x7f
	s_waitcnt vmcnt(0)
	v_cmp_lt_i16_e32 vcc, s16, v3
	s_mov_b64 s[16:17], 0
	s_and_saveexec_b64 s[18:19], vcc
	s_xor_b64 s[18:19], exec, s[18:19]
	s_cbranch_execz .LBB135_1463
; %bb.1441:
	s_movk_i32 s16, 0x80
	v_cmp_eq_u16_e32 vcc, s16, v3
	s_mov_b64 s[16:17], -1
	s_and_saveexec_b64 s[20:21], vcc
; %bb.1442:
	s_xor_b64 s[16:17], exec, -1
; %bb.1443:
	s_or_b64 exec, exec, s[20:21]
	s_and_b64 s[16:17], s[16:17], exec
	s_or_saveexec_b64 s[18:19], s[18:19]
	v_mov_b32_e32 v6, 0x7f800001
	s_xor_b64 exec, exec, s[18:19]
	s_cbranch_execnz .LBB135_1464
.LBB135_1444:
	s_or_b64 exec, exec, s[18:19]
	s_and_saveexec_b64 s[18:19], s[16:17]
	s_cbranch_execz .LBB135_1446
.LBB135_1445:
	v_lshlrev_b32_e32 v6, 24, v3
	v_and_b32_e32 v3, 0xffff, v3
	v_and_b32_e32 v7, 3, v3
	v_ffbh_u32_e32 v9, v7
	v_min_u32_e32 v9, 32, v9
	v_subrev_u32_e32 v10, 29, v9
	v_bfe_u32 v8, v3, 2, 5
	v_lshlrev_b32_e32 v3, v10, v3
	v_sub_u32_e32 v9, 30, v9
	v_and_b32_e32 v3, 3, v3
	v_cmp_eq_u32_e32 vcc, 0, v8
	v_cndmask_b32_e32 v8, v8, v9, vcc
	v_cndmask_b32_e32 v3, v7, v3, vcc
	v_mov_b32_e32 v7, 0x37800000
	v_lshlrev_b32_e32 v3, 21, v3
	v_and_b32_e32 v6, 0x80000000, v6
	v_lshl_add_u32 v7, v8, 23, v7
	v_or3_b32 v6, v6, v7, v3
.LBB135_1446:
	s_or_b64 exec, exec, s[18:19]
	s_mov_b64 s[16:17], 0
	s_branch .LBB135_1452
.LBB135_1447:
	s_mov_b64 s[16:17], -1
                                        ; implicit-def: $vgpr6
	s_branch .LBB135_1458
.LBB135_1448:
	s_or_saveexec_b64 s[20:21], s[20:21]
	v_mov_b32_e32 v6, 0x7f800001
	s_xor_b64 exec, exec, s[20:21]
	s_cbranch_execz .LBB135_1432
.LBB135_1449:
	v_cmp_ne_u16_e32 vcc, 0, v3
	s_andn2_b64 s[18:19], s[18:19], exec
	s_and_b64 s[22:23], vcc, exec
	v_mov_b32_e32 v6, 0
	s_or_b64 s[18:19], s[18:19], s[22:23]
	s_or_b64 exec, exec, s[20:21]
	s_and_saveexec_b64 s[20:21], s[18:19]
	s_cbranch_execnz .LBB135_1433
	s_branch .LBB135_1434
.LBB135_1450:
	s_mov_b64 s[16:17], -1
                                        ; implicit-def: $vgpr6
	s_branch .LBB135_1455
.LBB135_1451:
	s_mov_b64 s[16:17], -1
                                        ; implicit-def: $vgpr6
.LBB135_1452:
	s_and_b64 vcc, exec, s[16:17]
	s_cbranch_vccz .LBB135_1454
; %bb.1453:
	global_load_ubyte v3, v[4:5], off
	s_mov_b32 s16, 0x7f800000
	s_waitcnt vmcnt(0)
	v_lshlrev_b32_e32 v3, 24, v3
	v_and_b32_e32 v6, 0x7f000000, v3
	v_ffbh_u32_e32 v7, v6
	v_min_u32_e32 v7, 32, v7
	v_sub_u32_e64 v7, v7, 4 clamp
	v_lshlrev_b32_e32 v9, v7, v6
	v_lshlrev_b32_e32 v7, 23, v7
	v_lshrrev_b32_e32 v9, 4, v9
	v_add_u32_e32 v8, 0x1000000, v6
	v_sub_u32_e32 v7, v9, v7
	v_ashrrev_i32_e32 v8, 8, v8
	v_add_u32_e32 v7, 0x3c000000, v7
	v_and_or_b32 v7, v8, s16, v7
	v_cmp_ne_u32_e32 vcc, 0, v6
	v_cndmask_b32_e32 v6, 0, v7, vcc
	s_brev_b32 s16, 1
	v_and_or_b32 v6, v3, s16, v6
.LBB135_1454:
	s_mov_b64 s[16:17], 0
.LBB135_1455:
	s_andn2_b64 vcc, exec, s[16:17]
	s_cbranch_vccnz .LBB135_1457
; %bb.1456:
	global_load_ubyte v3, v[4:5], off
	s_movk_i32 s16, 0x7f00
	s_brev_b32 s17, 16
	s_waitcnt vmcnt(0)
	v_lshlrev_b16_e32 v6, 8, v3
	v_lshlrev_b32_e32 v3, 25, v3
	v_lshrrev_b32_e32 v7, 4, v3
	v_and_or_b32 v8, v6, s16, 0.5
	v_or_b32_e32 v7, 0x70000000, v7
	v_add_f32_e32 v8, -0.5, v8
	v_mul_f32_e32 v7, 0x7800000, v7
	v_cmp_gt_u32_e32 vcc, s17, v3
	v_bfe_i32 v6, v6, 0, 16
	v_cndmask_b32_e32 v3, v7, v8, vcc
	s_brev_b32 s16, 1
	v_and_or_b32 v6, v6, s16, v3
.LBB135_1457:
	s_mov_b64 s[16:17], 0
	s_mov_b64 s[18:19], -1
.LBB135_1458:
	s_andn2_b64 vcc, exec, s[16:17]
	s_mov_b64 s[16:17], 0
	s_cbranch_vccnz .LBB135_1469
; %bb.1459:
	s_cmp_gt_i32 s30, 14
	s_cbranch_scc0 .LBB135_1462
; %bb.1460:
	s_cmp_eq_u32 s30, 15
	s_cbranch_scc0 .LBB135_1465
; %bb.1461:
	global_load_ushort v3, v[4:5], off
	s_mov_b64 s[12:13], 0
	s_mov_b64 s[18:19], -1
	s_waitcnt vmcnt(0)
	v_lshlrev_b32_e32 v6, 16, v3
	s_branch .LBB135_1466
.LBB135_1462:
	s_mov_b64 s[20:21], -1
                                        ; implicit-def: $vgpr6
	s_branch .LBB135_1467
.LBB135_1463:
	s_or_saveexec_b64 s[18:19], s[18:19]
	v_mov_b32_e32 v6, 0x7f800001
	s_xor_b64 exec, exec, s[18:19]
	s_cbranch_execz .LBB135_1444
.LBB135_1464:
	v_cmp_ne_u16_e32 vcc, 0, v3
	s_andn2_b64 s[16:17], s[16:17], exec
	s_and_b64 s[20:21], vcc, exec
	v_mov_b32_e32 v6, 0
	s_or_b64 s[16:17], s[16:17], s[20:21]
	s_or_b64 exec, exec, s[18:19]
	s_and_saveexec_b64 s[18:19], s[16:17]
	s_cbranch_execnz .LBB135_1445
	s_branch .LBB135_1446
.LBB135_1465:
	s_mov_b64 s[12:13], -1
                                        ; implicit-def: $vgpr6
.LBB135_1466:
	s_mov_b64 s[20:21], 0
.LBB135_1467:
	s_and_b64 vcc, exec, s[20:21]
	s_cbranch_vccz .LBB135_1469
; %bb.1468:
	s_cmp_lg_u32 s30, 11
	s_cselect_b64 s[20:21], -1, 0
	s_andn2_b64 s[12:13], s[12:13], exec
	s_and_b64 s[20:21], s[20:21], exec
	s_mov_b64 s[16:17], -1
	s_or_b64 s[12:13], s[12:13], s[20:21]
.LBB135_1469:
	v_mov_b32_e32 v7, 0
.LBB135_1470:
	s_mov_b64 s[20:21], 0
.LBB135_1471:
	s_andn2_b64 s[22:23], s[42:43], exec
	s_and_b64 s[12:13], s[12:13], exec
	s_and_b64 s[18:19], s[18:19], exec
	;; [unrolled: 1-line block ×4, first 2 shown]
	s_or_b64 s[42:43], s[22:23], s[12:13]
	s_or_b64 exec, exec, s[0:1]
	s_and_saveexec_b64 s[0:1], s[42:43]
	s_cbranch_execz .LBB135_1397
.LBB135_1472:
	s_or_b64 s[10:11], s[10:11], exec
	s_andn2_b64 s[16:17], s[16:17], exec
	s_trap 2
	s_or_b64 exec, exec, s[0:1]
	s_and_saveexec_b64 s[0:1], s[16:17]
	s_xor_b64 s[0:1], exec, s[0:1]
	s_cbranch_execnz .LBB135_1398
.LBB135_1473:
	s_or_b64 exec, exec, s[0:1]
	s_and_saveexec_b64 s[0:1], s[20:21]
	s_cbranch_execz .LBB135_1521
.LBB135_1474:
	s_sext_i32_i16 s12, s14
	s_cmp_lt_i32 s12, 5
	s_cbranch_scc1 .LBB135_1479
; %bb.1475:
	s_cmp_lt_i32 s12, 8
	s_cbranch_scc1 .LBB135_1480
; %bb.1476:
	;; [unrolled: 3-line block ×3, first 2 shown]
	s_cmp_gt_i32 s12, 9
	s_cbranch_scc0 .LBB135_1482
; %bb.1478:
	s_waitcnt vmcnt(0)
	global_load_dwordx4 v[6:9], v[4:5], off
	s_mov_b64 s[12:13], 0
	s_waitcnt vmcnt(0)
	v_cvt_f32_f64_e32 v6, v[6:7]
	v_cvt_f32_f64_e32 v7, v[8:9]
	s_branch .LBB135_1483
.LBB135_1479:
                                        ; implicit-def: $vgpr7
	s_branch .LBB135_1501
.LBB135_1480:
                                        ; implicit-def: $vgpr7
	s_branch .LBB135_1489
.LBB135_1481:
	s_mov_b64 s[12:13], -1
                                        ; implicit-def: $vgpr7
	s_branch .LBB135_1486
.LBB135_1482:
	s_mov_b64 s[12:13], -1
                                        ; implicit-def: $vgpr7
.LBB135_1483:
	s_andn2_b64 vcc, exec, s[12:13]
	s_cbranch_vccnz .LBB135_1485
; %bb.1484:
	s_waitcnt vmcnt(0)
	global_load_dwordx2 v[6:7], v[4:5], off
.LBB135_1485:
	s_mov_b64 s[12:13], 0
.LBB135_1486:
	s_andn2_b64 vcc, exec, s[12:13]
	s_cbranch_vccnz .LBB135_1488
; %bb.1487:
	s_waitcnt vmcnt(0)
	global_load_dword v3, v[4:5], off
	s_waitcnt vmcnt(0)
	v_cvt_f32_f16_e32 v6, v3
	v_cvt_f32_f16_sdwa v7, v3 dst_sel:DWORD dst_unused:UNUSED_PAD src0_sel:WORD_1
.LBB135_1488:
	s_cbranch_execnz .LBB135_1500
.LBB135_1489:
	s_sext_i32_i16 s12, s14
	s_cmp_lt_i32 s12, 6
	s_cbranch_scc1 .LBB135_1492
; %bb.1490:
	s_cmp_gt_i32 s12, 6
	s_cbranch_scc0 .LBB135_1493
; %bb.1491:
	s_waitcnt vmcnt(0)
	global_load_dwordx2 v[6:7], v[4:5], off
	s_mov_b64 s[12:13], 0
	s_waitcnt vmcnt(0)
	v_cvt_f32_f64_e32 v6, v[6:7]
	s_branch .LBB135_1494
.LBB135_1492:
	s_mov_b64 s[12:13], -1
                                        ; implicit-def: $vgpr6
	s_branch .LBB135_1497
.LBB135_1493:
	s_mov_b64 s[12:13], -1
                                        ; implicit-def: $vgpr6
.LBB135_1494:
	s_andn2_b64 vcc, exec, s[12:13]
	s_cbranch_vccnz .LBB135_1496
; %bb.1495:
	s_waitcnt vmcnt(0)
	global_load_dword v6, v[4:5], off
.LBB135_1496:
	s_mov_b64 s[12:13], 0
.LBB135_1497:
	s_andn2_b64 vcc, exec, s[12:13]
	s_cbranch_vccnz .LBB135_1499
; %bb.1498:
	s_waitcnt vmcnt(0)
	global_load_ushort v3, v[4:5], off
	s_waitcnt vmcnt(0)
	v_cvt_f32_f16_e32 v6, v3
.LBB135_1499:
	s_waitcnt vmcnt(0)
	v_mov_b32_e32 v7, 0
.LBB135_1500:
	s_cbranch_execnz .LBB135_1520
.LBB135_1501:
	s_sext_i32_i16 s12, s14
	s_cmp_lt_i32 s12, 2
	s_cbranch_scc1 .LBB135_1505
; %bb.1502:
	s_cmp_lt_i32 s12, 3
	s_cbranch_scc1 .LBB135_1506
; %bb.1503:
	s_cmp_gt_i32 s12, 3
	s_cbranch_scc0 .LBB135_1507
; %bb.1504:
	s_waitcnt vmcnt(0)
	global_load_dwordx2 v[6:7], v[4:5], off
	s_mov_b64 s[12:13], 0
	s_waitcnt vmcnt(0)
	v_xor_b32_e32 v8, v6, v7
	v_ffbh_i32_e32 v3, v7
	v_ashrrev_i32_e32 v8, 31, v8
	v_add_u32_e32 v3, -1, v3
	v_add_u32_e32 v8, 32, v8
	v_min_u32_e32 v3, v3, v8
	v_lshlrev_b64 v[6:7], v3, v[6:7]
	v_sub_u32_e32 v3, 32, v3
	v_min_u32_e32 v6, 1, v6
	v_or_b32_e32 v6, v7, v6
	v_cvt_f32_i32_e32 v6, v6
	v_ldexp_f32 v6, v6, v3
	s_branch .LBB135_1508
.LBB135_1505:
                                        ; implicit-def: $vgpr6
	s_branch .LBB135_1514
.LBB135_1506:
	s_mov_b64 s[12:13], -1
                                        ; implicit-def: $vgpr6
	s_branch .LBB135_1511
.LBB135_1507:
	s_mov_b64 s[12:13], -1
                                        ; implicit-def: $vgpr6
.LBB135_1508:
	s_andn2_b64 vcc, exec, s[12:13]
	s_cbranch_vccnz .LBB135_1510
; %bb.1509:
	s_waitcnt vmcnt(0)
	global_load_dword v3, v[4:5], off
	s_waitcnt vmcnt(0)
	v_cvt_f32_i32_e32 v6, v3
.LBB135_1510:
	s_mov_b64 s[12:13], 0
.LBB135_1511:
	s_andn2_b64 vcc, exec, s[12:13]
	s_cbranch_vccnz .LBB135_1513
; %bb.1512:
	s_waitcnt vmcnt(0)
	global_load_sshort v3, v[4:5], off
	s_waitcnt vmcnt(0)
	v_cvt_f32_i32_e32 v6, v3
.LBB135_1513:
	s_cbranch_execnz .LBB135_1519
.LBB135_1514:
	s_sext_i32_i16 s12, s14
	s_cmp_gt_i32 s12, 0
	s_cbranch_scc0 .LBB135_1516
; %bb.1515:
	s_waitcnt vmcnt(0)
	global_load_sbyte v3, v[4:5], off
	s_mov_b64 s[12:13], 0
	s_waitcnt vmcnt(0)
	v_cvt_f32_i32_e32 v6, v3
	s_branch .LBB135_1517
.LBB135_1516:
	s_mov_b64 s[12:13], -1
                                        ; implicit-def: $vgpr6
.LBB135_1517:
	s_andn2_b64 vcc, exec, s[12:13]
	s_cbranch_vccnz .LBB135_1519
; %bb.1518:
	s_waitcnt vmcnt(0)
	global_load_ubyte v3, v[4:5], off
	s_waitcnt vmcnt(0)
	v_cvt_f32_ubyte0_e32 v6, v3
.LBB135_1519:
	s_waitcnt vmcnt(0)
	v_mov_b32_e32 v7, 0
.LBB135_1520:
	s_or_b64 s[18:19], s[18:19], exec
.LBB135_1521:
	s_or_b64 exec, exec, s[0:1]
	s_mov_b64 s[22:23], 0
	s_mov_b64 s[20:21], 0
                                        ; implicit-def: $sgpr12_sgpr13
                                        ; implicit-def: $sgpr30
                                        ; implicit-def: $vgpr3_vgpr4
	s_and_saveexec_b64 s[16:17], s[18:19]
	s_cbranch_execz .LBB135_1599
; %bb.1522:
	s_andn2_b64 vcc, exec, s[28:29]
	s_cbranch_vccnz .LBB135_1603
; %bb.1523:
	s_waitcnt vmcnt(0)
	v_cmp_neq_f32_e32 vcc, v1, v6
	v_cmp_neq_f32_e64 s[0:1], v2, v7
	s_or_b64 s[12:13], vcc, s[0:1]
	s_cbranch_execnz .LBB135_1525
.LBB135_1524:
	s_waitcnt vmcnt(0)
	v_cmp_eq_f32_e32 vcc, v1, v6
	v_cmp_eq_f32_e64 s[0:1], v2, v7
	s_and_b64 s[0:1], vcc, s[0:1]
	s_andn2_b64 s[12:13], s[12:13], exec
	s_and_b64 s[0:1], s[0:1], exec
	s_or_b64 s[12:13], s[12:13], s[0:1]
.LBB135_1525:
	s_waitcnt vmcnt(0)
	v_mov_b32_e32 v1, s9
	s_and_b32 s30, s15, 0xff
	v_add_co_u32_e32 v3, vcc, s8, v0
	s_cmp_lt_i32 s30, 11
	v_addc_co_u32_e32 v4, vcc, 0, v1, vcc
	s_cbranch_scc1 .LBB135_1602
; %bb.1526:
	s_and_b32 s22, 0xffff, s30
	s_mov_b64 s[14:15], -1
	s_cmp_gt_i32 s22, 25
	s_mov_b64 s[0:1], s[40:41]
	s_cbranch_scc0 .LBB135_1559
; %bb.1527:
	s_mov_b64 s[8:9], -1
	s_cmp_gt_i32 s22, 28
	s_mov_b64 s[0:1], s[40:41]
	s_cbranch_scc0 .LBB135_1543
; %bb.1528:
	s_cmp_gt_i32 s22, 43
	s_mov_b64 s[0:1], s[40:41]
	s_cbranch_scc0 .LBB135_1539
; %bb.1529:
	;; [unrolled: 4-line block ×3, first 2 shown]
	s_cmp_eq_u32 s22, 46
	s_mov_b64 s[0:1], -1
	s_cbranch_scc0 .LBB135_1532
; %bb.1531:
	v_cndmask_b32_e64 v0, 0, 1.0, s[12:13]
	v_bfe_u32 v1, v0, 16, 1
	s_movk_i32 s0, 0x7fff
	v_add3_u32 v0, v0, v1, s0
	v_lshrrev_b32_e32 v0, 16, v0
	global_store_dword v[3:4], v0, off
	s_mov_b64 s[0:1], 0
.LBB135_1532:
	s_mov_b64 s[8:9], 0
.LBB135_1533:
	s_and_b64 vcc, exec, s[8:9]
	s_cbranch_vccz .LBB135_1538
; %bb.1534:
	s_cmp_eq_u32 s22, 44
	s_mov_b64 s[0:1], -1
	s_cbranch_scc0 .LBB135_1538
; %bb.1535:
	v_cndmask_b32_e64 v1, 0, 1.0, s[12:13]
	v_lshrrev_b32_e32 v0, 23, v1
	s_movk_i32 s0, 0xff
	v_cmp_ne_u32_e32 vcc, s0, v0
	v_mov_b32_e32 v2, 0xff
	s_and_saveexec_b64 s[8:9], vcc
; %bb.1536:
	s_mov_b32 s0, 0x3fffff
	v_and_b32_e32 v2, 0x400000, v1
	v_and_or_b32 v1, v1, s0, v0
	v_cmp_ne_u32_e32 vcc, 0, v2
	v_cmp_ne_u32_e64 s[0:1], 0, v1
	s_and_b64 s[0:1], vcc, s[0:1]
	v_cndmask_b32_e64 v1, 0, 1, s[0:1]
	v_add_u32_e32 v2, v0, v1
; %bb.1537:
	s_or_b64 exec, exec, s[8:9]
	s_mov_b64 s[0:1], 0
	global_store_byte v[3:4], v2, off
.LBB135_1538:
	s_mov_b64 s[8:9], 0
.LBB135_1539:
	s_and_b64 vcc, exec, s[8:9]
	s_cbranch_vccz .LBB135_1542
; %bb.1540:
	s_cmp_eq_u32 s22, 29
	s_mov_b64 s[0:1], -1
	s_cbranch_scc0 .LBB135_1542
; %bb.1541:
	s_mov_b32 s0, 0
	v_cndmask_b32_e64 v0, 0, 1, s[12:13]
	v_mov_b32_e32 v1, s0
	global_store_dwordx2 v[3:4], v[0:1], off
	s_mov_b64 s[0:1], 0
.LBB135_1542:
	s_mov_b64 s[8:9], 0
.LBB135_1543:
	s_and_b64 vcc, exec, s[8:9]
	s_cbranch_vccz .LBB135_1558
; %bb.1544:
	s_cmp_lt_i32 s22, 27
	s_mov_b64 s[8:9], -1
	s_cbranch_scc1 .LBB135_1550
; %bb.1545:
	s_cmp_gt_i32 s22, 27
	s_cbranch_scc0 .LBB135_1547
; %bb.1546:
	v_cndmask_b32_e64 v0, 0, 1, s[12:13]
	s_mov_b64 s[8:9], 0
	global_store_dword v[3:4], v0, off
.LBB135_1547:
	s_andn2_b64 vcc, exec, s[8:9]
	s_cbranch_vccnz .LBB135_1549
; %bb.1548:
	v_cndmask_b32_e64 v0, 0, 1, s[12:13]
	global_store_short v[3:4], v0, off
.LBB135_1549:
	s_mov_b64 s[8:9], 0
.LBB135_1550:
	s_andn2_b64 vcc, exec, s[8:9]
	s_cbranch_vccnz .LBB135_1558
; %bb.1551:
	v_cndmask_b32_e64 v1, 0, 1.0, s[12:13]
	s_mov_b32 s8, 0x43800000
	v_cmp_gt_u32_e32 vcc, s8, v1
	v_mov_b32_e32 v2, 0x80
	s_and_saveexec_b64 s[8:9], vcc
	s_cbranch_execz .LBB135_1557
; %bb.1552:
	s_mov_b32 s14, 0x3bffffff
	v_cmp_lt_u32_e32 vcc, s14, v1
	s_mov_b64 s[14:15], 0
                                        ; implicit-def: $vgpr0
	s_and_saveexec_b64 s[18:19], vcc
	s_xor_b64 s[18:19], exec, s[18:19]
	s_cbranch_execz .LBB135_1704
; %bb.1553:
	v_bfe_u32 v0, v1, 20, 1
	s_mov_b32 s20, 0x487ffff
	v_add3_u32 v0, v1, v0, s20
	s_mov_b64 s[14:15], exec
	v_lshrrev_b32_e32 v0, 20, v0
                                        ; implicit-def: $vgpr1
	s_andn2_saveexec_b64 s[18:19], s[18:19]
	s_cbranch_execnz .LBB135_1705
.LBB135_1554:
	s_or_b64 exec, exec, s[18:19]
	v_mov_b32_e32 v2, 0
	s_and_saveexec_b64 s[18:19], s[14:15]
.LBB135_1555:
	v_mov_b32_e32 v2, v0
.LBB135_1556:
	s_or_b64 exec, exec, s[18:19]
.LBB135_1557:
	s_or_b64 exec, exec, s[8:9]
	global_store_byte v[3:4], v2, off
.LBB135_1558:
	s_mov_b64 s[14:15], 0
.LBB135_1559:
	s_mov_b64 s[8:9], 0
	s_and_b64 vcc, exec, s[14:15]
	s_cbranch_vccz .LBB135_1604
; %bb.1560:
	s_cmp_gt_i32 s22, 22
	s_mov_b64 s[14:15], -1
	s_cbranch_scc0 .LBB135_1592
; %bb.1561:
	s_cmp_lt_i32 s22, 24
	s_cbranch_scc1 .LBB135_1581
; %bb.1562:
	s_cmp_gt_i32 s22, 24
	s_cbranch_scc0 .LBB135_1570
; %bb.1563:
	v_cndmask_b32_e64 v1, 0, 1.0, s[12:13]
	s_mov_b32 s14, 0x47800000
	v_cmp_gt_u32_e32 vcc, s14, v1
	v_mov_b32_e32 v2, 0x80
	s_and_saveexec_b64 s[14:15], vcc
	s_cbranch_execz .LBB135_1569
; %bb.1564:
	s_mov_b32 s18, 0x37ffffff
	v_cmp_lt_u32_e32 vcc, s18, v1
	s_mov_b64 s[18:19], 0
                                        ; implicit-def: $vgpr0
	s_and_saveexec_b64 s[20:21], vcc
	s_xor_b64 s[20:21], exec, s[20:21]
	s_cbranch_execz .LBB135_1834
; %bb.1565:
	v_bfe_u32 v0, v1, 21, 1
	s_mov_b32 s23, 0x88fffff
	v_add3_u32 v0, v1, v0, s23
	s_mov_b64 s[18:19], exec
	v_lshrrev_b32_e32 v0, 21, v0
                                        ; implicit-def: $vgpr1
	s_andn2_saveexec_b64 s[20:21], s[20:21]
	s_cbranch_execnz .LBB135_1835
.LBB135_1566:
	s_or_b64 exec, exec, s[20:21]
	v_mov_b32_e32 v2, 0
	s_and_saveexec_b64 s[20:21], s[18:19]
.LBB135_1567:
	v_mov_b32_e32 v2, v0
.LBB135_1568:
	s_or_b64 exec, exec, s[20:21]
.LBB135_1569:
	s_or_b64 exec, exec, s[14:15]
	s_mov_b64 s[14:15], 0
	global_store_byte v[3:4], v2, off
.LBB135_1570:
	s_and_b64 vcc, exec, s[14:15]
	s_cbranch_vccz .LBB135_1580
; %bb.1571:
	v_cndmask_b32_e64 v0, 0, 1.0, s[12:13]
	s_mov_b32 s14, 0x43f00000
	v_cmp_gt_u32_e32 vcc, s14, v0
                                        ; implicit-def: $vgpr1
	s_and_saveexec_b64 s[14:15], vcc
	s_xor_b64 s[14:15], exec, s[14:15]
	s_cbranch_execz .LBB135_1577
; %bb.1572:
	s_mov_b32 s18, 0x3c7fffff
	v_cmp_lt_u32_e32 vcc, s18, v0
                                        ; implicit-def: $vgpr1
	s_and_saveexec_b64 s[18:19], vcc
	s_xor_b64 s[18:19], exec, s[18:19]
; %bb.1573:
	v_bfe_u32 v1, v0, 20, 1
	s_mov_b32 s20, 0x407ffff
	v_add3_u32 v0, v0, v1, s20
	v_lshrrev_b32_e32 v1, 20, v0
	v_and_b32_e32 v0, 0xff00000, v0
	s_mov_b32 s20, 0x7f00000
	v_mov_b32_e32 v2, 0x7e
	v_cmp_ne_u32_e32 vcc, s20, v0
	v_cndmask_b32_e32 v1, v2, v1, vcc
                                        ; implicit-def: $vgpr0
; %bb.1574:
	s_andn2_saveexec_b64 s[18:19], s[18:19]
; %bb.1575:
	v_add_f32_e32 v1, 0x46800000, v0
; %bb.1576:
	s_or_b64 exec, exec, s[18:19]
                                        ; implicit-def: $vgpr0
.LBB135_1577:
	s_andn2_saveexec_b64 s[14:15], s[14:15]
; %bb.1578:
	s_mov_b32 s18, 0x7f800000
	v_mov_b32_e32 v1, 0x7e
	v_mov_b32_e32 v2, 0x7f
	v_cmp_lt_u32_e32 vcc, s18, v0
	v_cndmask_b32_e32 v1, v1, v2, vcc
; %bb.1579:
	s_or_b64 exec, exec, s[14:15]
	global_store_byte v[3:4], v1, off
.LBB135_1580:
	s_mov_b64 s[14:15], 0
.LBB135_1581:
	s_andn2_b64 vcc, exec, s[14:15]
	s_cbranch_vccnz .LBB135_1591
; %bb.1582:
	v_cndmask_b32_e64 v0, 0, 1.0, s[12:13]
	s_mov_b32 s14, 0x47800000
	v_cmp_gt_u32_e32 vcc, s14, v0
                                        ; implicit-def: $vgpr1
	s_and_saveexec_b64 s[14:15], vcc
	s_xor_b64 s[14:15], exec, s[14:15]
	s_cbranch_execz .LBB135_1588
; %bb.1583:
	s_mov_b32 s18, 0x387fffff
	v_cmp_lt_u32_e32 vcc, s18, v0
                                        ; implicit-def: $vgpr1
	s_and_saveexec_b64 s[18:19], vcc
	s_xor_b64 s[18:19], exec, s[18:19]
; %bb.1584:
	v_bfe_u32 v1, v0, 21, 1
	s_mov_b32 s20, 0x80fffff
	v_add3_u32 v0, v0, v1, s20
	v_lshrrev_b32_e32 v1, 21, v0
                                        ; implicit-def: $vgpr0
; %bb.1585:
	s_andn2_saveexec_b64 s[18:19], s[18:19]
; %bb.1586:
	v_add_f32_e32 v1, 0x43000000, v0
; %bb.1587:
	s_or_b64 exec, exec, s[18:19]
                                        ; implicit-def: $vgpr0
.LBB135_1588:
	s_andn2_saveexec_b64 s[14:15], s[14:15]
; %bb.1589:
	s_mov_b32 s18, 0x7f800000
	v_mov_b32_e32 v1, 0x7c
	v_mov_b32_e32 v2, 0x7f
	v_cmp_lt_u32_e32 vcc, s18, v0
	v_cndmask_b32_e32 v1, v1, v2, vcc
; %bb.1590:
	s_or_b64 exec, exec, s[14:15]
	global_store_byte v[3:4], v1, off
.LBB135_1591:
	s_mov_b64 s[14:15], 0
.LBB135_1592:
	s_andn2_b64 vcc, exec, s[14:15]
	s_mov_b64 s[14:15], 0
	s_cbranch_vccnz .LBB135_1605
; %bb.1593:
	s_cmp_gt_i32 s22, 14
	s_mov_b64 s[18:19], -1
	s_cbranch_scc0 .LBB135_1597
; %bb.1594:
	s_cmp_eq_u32 s22, 15
	s_mov_b64 s[0:1], -1
	s_cbranch_scc0 .LBB135_1596
; %bb.1595:
	v_cndmask_b32_e64 v0, 0, 1.0, s[12:13]
	v_bfe_u32 v1, v0, 16, 1
	s_movk_i32 s0, 0x7fff
	v_add3_u32 v0, v0, v1, s0
	global_store_short_d16_hi v[3:4], v0, off
	s_mov_b64 s[0:1], 0
.LBB135_1596:
	s_mov_b64 s[18:19], 0
.LBB135_1597:
	s_and_b64 vcc, exec, s[18:19]
	s_cbranch_vccz .LBB135_1605
; %bb.1598:
	s_cmp_lg_u32 s22, 11
	s_cselect_b64 s[18:19], -1, 0
	s_andn2_b64 s[0:1], s[0:1], exec
	s_and_b64 s[18:19], s[18:19], exec
	s_mov_b64 s[14:15], -1
	s_or_b64 s[0:1], s[0:1], s[18:19]
	s_branch .LBB135_1605
.LBB135_1599:
	s_or_b64 exec, exec, s[16:17]
	s_and_saveexec_b64 s[0:1], s[40:41]
	s_cbranch_execnz .LBB135_1606
.LBB135_1600:
	s_or_b64 exec, exec, s[0:1]
	s_and_saveexec_b64 s[0:1], s[22:23]
	s_xor_b64 s[0:1], exec, s[0:1]
	s_cbranch_execz .LBB135_1607
.LBB135_1601:
	v_cndmask_b32_e64 v0, 0, 1, s[12:13]
	global_store_byte v[3:4], v0, off
	s_or_b64 exec, exec, s[0:1]
	s_and_saveexec_b64 s[0:1], s[20:21]
	s_xor_b64 s[0:1], exec, s[0:1]
	s_cbranch_execz .LBB135_1645
	s_branch .LBB135_1608
.LBB135_1602:
	s_mov_b64 s[14:15], 0
	s_mov_b64 s[8:9], -1
	s_mov_b64 s[0:1], s[40:41]
	s_branch .LBB135_1605
.LBB135_1603:
                                        ; implicit-def: $sgpr12_sgpr13
	s_branch .LBB135_1524
.LBB135_1604:
	s_mov_b64 s[14:15], 0
.LBB135_1605:
	s_and_b64 s[20:21], s[8:9], exec
	s_andn2_b64 s[8:9], s[40:41], exec
	s_and_b64 s[0:1], s[0:1], exec
	s_and_b64 s[22:23], s[14:15], exec
	s_or_b64 s[40:41], s[8:9], s[0:1]
	s_or_b64 exec, exec, s[16:17]
	s_and_saveexec_b64 s[0:1], s[40:41]
	s_cbranch_execz .LBB135_1600
.LBB135_1606:
	s_or_b64 s[10:11], s[10:11], exec
	s_andn2_b64 s[22:23], s[22:23], exec
	s_trap 2
	s_or_b64 exec, exec, s[0:1]
	s_and_saveexec_b64 s[0:1], s[22:23]
	s_xor_b64 s[0:1], exec, s[0:1]
	s_cbranch_execnz .LBB135_1601
.LBB135_1607:
	s_or_b64 exec, exec, s[0:1]
	s_and_saveexec_b64 s[0:1], s[20:21]
	s_xor_b64 s[0:1], exec, s[0:1]
	s_cbranch_execz .LBB135_1645
.LBB135_1608:
	s_sext_i32_i16 s14, s30
	s_cmp_lt_i32 s14, 5
	s_mov_b64 s[8:9], -1
	s_cbranch_scc1 .LBB135_1629
; %bb.1609:
	s_cmp_lt_i32 s14, 8
	s_cbranch_scc1 .LBB135_1619
; %bb.1610:
	s_cmp_lt_i32 s14, 9
	s_cbranch_scc1 .LBB135_1616
; %bb.1611:
	s_cmp_gt_i32 s14, 9
	s_cbranch_scc0 .LBB135_1613
; %bb.1612:
	v_cndmask_b32_e64 v0, 0, 1, s[12:13]
	s_waitcnt vmcnt(0)
	v_cvt_f64_u32_e32 v[5:6], v0
	v_mov_b32_e32 v7, 0
	v_mov_b32_e32 v8, v7
	s_mov_b64 s[8:9], 0
	global_store_dwordx4 v[3:4], v[5:8], off
.LBB135_1613:
	s_andn2_b64 vcc, exec, s[8:9]
	s_cbranch_vccnz .LBB135_1615
; %bb.1614:
	v_cndmask_b32_e64 v0, 0, 1.0, s[12:13]
	s_waitcnt vmcnt(0)
	v_mov_b32_e32 v1, 0
	global_store_dwordx2 v[3:4], v[0:1], off
.LBB135_1615:
	s_mov_b64 s[8:9], 0
.LBB135_1616:
	s_andn2_b64 vcc, exec, s[8:9]
	s_cbranch_vccnz .LBB135_1618
; %bb.1617:
	v_cndmask_b32_e64 v0, 0, 1.0, s[12:13]
	v_cvt_f16_f32_e32 v0, v0
	global_store_dword v[3:4], v0, off
.LBB135_1618:
	s_mov_b64 s[8:9], 0
.LBB135_1619:
	s_andn2_b64 vcc, exec, s[8:9]
	s_cbranch_vccnz .LBB135_1628
; %bb.1620:
	s_sext_i32_i16 s14, s30
	s_cmp_lt_i32 s14, 6
	s_mov_b64 s[8:9], -1
	s_cbranch_scc1 .LBB135_1626
; %bb.1621:
	s_cmp_gt_i32 s14, 6
	s_cbranch_scc0 .LBB135_1623
; %bb.1622:
	v_cndmask_b32_e64 v0, 0, 1, s[12:13]
	s_waitcnt vmcnt(0)
	v_cvt_f64_u32_e32 v[0:1], v0
	s_mov_b64 s[8:9], 0
	global_store_dwordx2 v[3:4], v[0:1], off
.LBB135_1623:
	s_andn2_b64 vcc, exec, s[8:9]
	s_cbranch_vccnz .LBB135_1625
; %bb.1624:
	v_cndmask_b32_e64 v0, 0, 1.0, s[12:13]
	global_store_dword v[3:4], v0, off
.LBB135_1625:
	s_mov_b64 s[8:9], 0
.LBB135_1626:
	s_andn2_b64 vcc, exec, s[8:9]
	s_cbranch_vccnz .LBB135_1628
; %bb.1627:
	v_cndmask_b32_e64 v0, 0, 1.0, s[12:13]
	v_cvt_f16_f32_e32 v0, v0
	global_store_short v[3:4], v0, off
.LBB135_1628:
	s_mov_b64 s[8:9], 0
.LBB135_1629:
	s_andn2_b64 vcc, exec, s[8:9]
	s_cbranch_vccnz .LBB135_1645
; %bb.1630:
	s_sext_i32_i16 s14, s30
	s_cmp_lt_i32 s14, 2
	s_mov_b64 s[8:9], -1
	s_cbranch_scc1 .LBB135_1640
; %bb.1631:
	s_cmp_lt_i32 s14, 3
	s_cbranch_scc1 .LBB135_1637
; %bb.1632:
	s_cmp_gt_i32 s14, 3
	s_cbranch_scc0 .LBB135_1634
; %bb.1633:
	s_mov_b32 s8, 0
	v_cndmask_b32_e64 v0, 0, 1, s[12:13]
	s_waitcnt vmcnt(0)
	v_mov_b32_e32 v1, s8
	s_mov_b64 s[8:9], 0
	global_store_dwordx2 v[3:4], v[0:1], off
.LBB135_1634:
	s_andn2_b64 vcc, exec, s[8:9]
	s_cbranch_vccnz .LBB135_1636
; %bb.1635:
	v_cndmask_b32_e64 v0, 0, 1, s[12:13]
	global_store_dword v[3:4], v0, off
.LBB135_1636:
	s_mov_b64 s[8:9], 0
.LBB135_1637:
	s_andn2_b64 vcc, exec, s[8:9]
	s_cbranch_vccnz .LBB135_1639
; %bb.1638:
	v_cndmask_b32_e64 v0, 0, 1, s[12:13]
	global_store_short v[3:4], v0, off
.LBB135_1639:
	s_mov_b64 s[8:9], 0
.LBB135_1640:
	s_andn2_b64 vcc, exec, s[8:9]
	s_cbranch_vccnz .LBB135_1645
; %bb.1641:
	s_sext_i32_i16 s14, s30
	s_mov_b64 s[8:9], -1
	s_cmp_gt_i32 s14, 0
	v_cndmask_b32_e64 v0, 0, 1, s[12:13]
	s_cbranch_scc0 .LBB135_1643
; %bb.1642:
	s_mov_b64 s[8:9], 0
	global_store_byte v[3:4], v0, off
.LBB135_1643:
	s_andn2_b64 vcc, exec, s[8:9]
	s_cbranch_vccnz .LBB135_1645
; %bb.1644:
	global_store_byte v[3:4], v0, off
.LBB135_1645:
	s_or_b64 exec, exec, s[0:1]
	s_and_b64 s[12:13], s[10:11], exec
                                        ; implicit-def: $vgpr23
                                        ; implicit-def: $vgpr8
.LBB135_1646:
	s_or_saveexec_b64 s[14:15], s[26:27]
	s_mov_b64 s[0:1], 0
                                        ; implicit-def: $sgpr10_sgpr11
                                        ; implicit-def: $vgpr0_vgpr1
                                        ; implicit-def: $sgpr26
	s_xor_b64 exec, exec, s[14:15]
	s_cbranch_execz .LBB135_2784
; %bb.1647:
	v_cndmask_b32_e64 v0, 0, 1, s[24:25]
	v_cmp_ne_u32_e64 s[0:1], 1, v0
	s_andn2_b64 vcc, exec, s[24:25]
	s_cbranch_vccnz .LBB135_1653
; %bb.1648:
	s_cmp_lg_u32 s33, 0
	s_cbranch_scc0 .LBB135_1654
; %bb.1649:
	s_min_u32 s8, s72, 15
	s_add_i32 s6, s8, 1
	s_and_b32 s9, s6, 30
	s_add_u32 s6, s2, 0xffffffe8
	s_addc_u32 s7, s3, -1
	v_mov_b32_e32 v19, 0
	v_mov_b32_e32 v21, 0
	s_waitcnt vmcnt(0)
	v_mov_b32_e32 v6, 0
	v_mov_b32_e32 v0, v8
.LBB135_1650:                           ; =>This Inner Loop Header: Depth=1
	s_load_dwordx4 s[16:19], s[6:7], 0x1c
	s_load_dwordx2 s[10:11], s[6:7], 0x2c
	s_load_dwordx2 s[24:25], s[6:7], 0xec
	s_load_dwordx4 s[20:23], s[6:7], 0xdc
	s_add_u32 s6, s6, 24
	s_waitcnt lgkmcnt(0)
	v_mul_hi_u32 v1, s17, v0
	s_addc_u32 s7, s7, 0
	s_add_i32 s9, s9, -2
	s_cmp_lg_u32 s9, 0
	v_add_u32_e32 v1, v0, v1
	v_lshrrev_b32_e32 v1, s18, v1
	v_mul_lo_u32 v2, v1, s16
	v_mul_hi_u32 v3, s10, v1
	v_sub_u32_e32 v2, v0, v2
	v_add_u32_e32 v0, v1, v3
	v_lshrrev_b32_e32 v0, s11, v0
	v_mul_lo_u32 v5, v0, s19
	v_mul_lo_u32 v3, v2, s20
	;; [unrolled: 1-line block ×4, first 2 shown]
	v_sub_u32_e32 v1, v1, v5
	v_mul_lo_u32 v5, v1, s23
	v_mul_lo_u32 v7, v1, s24
	;; [unrolled: 1-line block ×3, first 2 shown]
	v_add3_u32 v6, v3, v6, v5
	v_add3_u32 v21, v4, v21, v7
	;; [unrolled: 1-line block ×3, first 2 shown]
	s_cbranch_scc1 .LBB135_1650
; %bb.1651:
	s_bitcmp1_b32 s8, 0
	s_cselect_b64 s[8:9], -1, 0
	s_and_b64 vcc, exec, s[8:9]
	s_cbranch_vccnz .LBB135_1655
; %bb.1652:
	s_load_dwordx2 s[8:9], s[6:7], 0x1c
	s_load_dword s16, s[6:7], 0x24
	s_load_dwordx2 s[10:11], s[6:7], 0xdc
	s_waitcnt lgkmcnt(0)
	v_mul_hi_u32 v1, s9, v0
	v_add_u32_e32 v1, v0, v1
	v_lshrrev_b32_e32 v1, s16, v1
	v_mul_lo_u32 v1, v1, s8
	s_load_dword s8, s[6:7], 0xe4
	v_sub_u32_e32 v0, v0, v1
	v_mad_u64_u32 v[6:7], s[6:7], v0, s10, v[6:7]
	v_mad_u64_u32 v[21:22], s[6:7], v0, s11, v[21:22]
	s_waitcnt lgkmcnt(0)
	v_mad_u64_u32 v[19:20], s[6:7], v0, s8, v[19:20]
	s_cbranch_execz .LBB135_1656
	s_branch .LBB135_1658
.LBB135_1653:
                                        ; implicit-def: $vgpr6
                                        ; implicit-def: $vgpr21
                                        ; implicit-def: $vgpr19
	s_branch .LBB135_1656
.LBB135_1654:
	s_waitcnt vmcnt(0)
	v_mov_b32_e32 v6, 0
	v_mov_b32_e32 v21, 0
	;; [unrolled: 1-line block ×3, first 2 shown]
.LBB135_1655:
	s_cbranch_execnz .LBB135_1658
.LBB135_1656:
	s_load_dwordx4 s[8:11], s[2:3], 0x4
	s_load_dwordx4 s[16:19], s[2:3], 0xc4
	s_cmp_lt_u32 s33, 2
	s_waitcnt lgkmcnt(0)
	v_mul_hi_u32 v0, s9, v8
	v_add_u32_e32 v0, v8, v0
	v_lshrrev_b32_e32 v0, s10, v0
	s_waitcnt vmcnt(0)
	v_mul_lo_u32 v1, v0, s8
	v_sub_u32_e32 v1, v8, v1
	v_mul_lo_u32 v6, v1, s16
	v_mul_lo_u32 v21, v1, s17
	;; [unrolled: 1-line block ×3, first 2 shown]
	s_cbranch_scc1 .LBB135_1658
; %bb.1657:
	s_load_dwordx4 s[8:11], s[2:3], 0x10
	s_load_dwordx4 s[16:19], s[2:3], 0xd0
	s_waitcnt lgkmcnt(0)
	v_mul_hi_u32 v1, s9, v0
	v_add_u32_e32 v1, v0, v1
	v_lshrrev_b32_e32 v1, s10, v1
	v_mul_lo_u32 v1, v1, s8
	v_sub_u32_e32 v0, v0, v1
	v_mad_u64_u32 v[6:7], s[6:7], v0, s16, v[6:7]
	v_mad_u64_u32 v[21:22], s[6:7], v0, s17, v[21:22]
	;; [unrolled: 1-line block ×3, first 2 shown]
.LBB135_1658:
	s_and_b64 vcc, exec, s[0:1]
	v_add_u32_e32 v0, 0x80, v8
	s_cbranch_vccnz .LBB135_1664
; %bb.1659:
	s_cmp_lg_u32 s33, 0
	s_cbranch_scc0 .LBB135_1665
; %bb.1660:
	s_min_u32 s8, s72, 15
	s_add_i32 s6, s8, 1
	s_and_b32 s9, s6, 30
	s_add_u32 s6, s2, 0xffffffe8
	s_addc_u32 s7, s3, -1
	v_mov_b32_e32 v15, 0
	v_mov_b32_e32 v17, 0
	;; [unrolled: 1-line block ×3, first 2 shown]
	s_waitcnt vmcnt(0)
	v_mov_b32_e32 v1, v0
.LBB135_1661:                           ; =>This Inner Loop Header: Depth=1
	s_load_dwordx4 s[16:19], s[6:7], 0x1c
	s_load_dwordx2 s[10:11], s[6:7], 0x2c
	s_load_dwordx2 s[24:25], s[6:7], 0xec
	s_load_dwordx4 s[20:23], s[6:7], 0xdc
	s_add_u32 s6, s6, 24
	s_waitcnt lgkmcnt(0)
	v_mul_hi_u32 v2, s17, v1
	s_addc_u32 s7, s7, 0
	s_add_i32 s9, s9, -2
	s_cmp_lg_u32 s9, 0
	v_add_u32_e32 v2, v1, v2
	v_lshrrev_b32_e32 v2, s18, v2
	v_mul_lo_u32 v3, v2, s16
	v_mul_hi_u32 v5, s10, v2
	v_sub_u32_e32 v3, v1, v3
	v_add_u32_e32 v1, v2, v5
	v_lshrrev_b32_e32 v1, s11, v1
	v_mul_lo_u32 v9, v1, s19
	v_mul_lo_u32 v5, v3, s20
	;; [unrolled: 1-line block ×4, first 2 shown]
	v_sub_u32_e32 v2, v2, v9
	v_mul_lo_u32 v9, v2, s23
	v_mul_lo_u32 v10, v2, s24
	;; [unrolled: 1-line block ×3, first 2 shown]
	v_add3_u32 v4, v5, v4, v9
	v_add3_u32 v17, v7, v17, v10
	;; [unrolled: 1-line block ×3, first 2 shown]
	s_cbranch_scc1 .LBB135_1661
; %bb.1662:
	s_bitcmp1_b32 s8, 0
	s_cselect_b64 s[8:9], -1, 0
	s_and_b64 vcc, exec, s[8:9]
	s_cbranch_vccnz .LBB135_1666
; %bb.1663:
	s_load_dwordx2 s[8:9], s[6:7], 0x1c
	s_load_dword s16, s[6:7], 0x24
	s_load_dwordx2 s[10:11], s[6:7], 0xdc
	s_waitcnt lgkmcnt(0)
	v_mul_hi_u32 v2, s9, v1
	v_add_u32_e32 v2, v1, v2
	v_lshrrev_b32_e32 v2, s16, v2
	v_mul_lo_u32 v2, v2, s8
	s_load_dword s8, s[6:7], 0xe4
	v_sub_u32_e32 v1, v1, v2
	v_mad_u64_u32 v[4:5], s[6:7], v1, s10, v[4:5]
	v_mad_u64_u32 v[17:18], s[6:7], v1, s11, v[17:18]
	s_waitcnt lgkmcnt(0)
	v_mad_u64_u32 v[15:16], s[6:7], v1, s8, v[15:16]
	s_cbranch_execz .LBB135_1667
	s_branch .LBB135_1669
.LBB135_1664:
                                        ; implicit-def: $vgpr4
                                        ; implicit-def: $vgpr17
                                        ; implicit-def: $vgpr15
	s_branch .LBB135_1667
.LBB135_1665:
	v_mov_b32_e32 v4, 0
	v_mov_b32_e32 v17, 0
	;; [unrolled: 1-line block ×3, first 2 shown]
.LBB135_1666:
	s_cbranch_execnz .LBB135_1669
.LBB135_1667:
	s_load_dwordx4 s[8:11], s[2:3], 0x4
	s_load_dwordx4 s[16:19], s[2:3], 0xc4
	s_cmp_lt_u32 s33, 2
	s_waitcnt vmcnt(0) lgkmcnt(0)
	v_mul_hi_u32 v1, s9, v0
	v_add_u32_e32 v1, v0, v1
	v_lshrrev_b32_e32 v1, s10, v1
	v_mul_lo_u32 v2, v1, s8
	v_sub_u32_e32 v0, v0, v2
	v_mul_lo_u32 v4, v0, s16
	v_mul_lo_u32 v17, v0, s17
	v_mul_lo_u32 v15, v0, s18
	s_cbranch_scc1 .LBB135_1669
; %bb.1668:
	s_load_dwordx4 s[8:11], s[2:3], 0x10
	s_load_dwordx4 s[16:19], s[2:3], 0xd0
	s_waitcnt lgkmcnt(0)
	v_mul_hi_u32 v0, s9, v1
	v_add_u32_e32 v0, v1, v0
	v_lshrrev_b32_e32 v0, s10, v0
	v_mul_lo_u32 v0, v0, s8
	v_sub_u32_e32 v0, v1, v0
	v_mad_u64_u32 v[4:5], s[6:7], v0, s16, v[4:5]
	v_mad_u64_u32 v[17:18], s[6:7], v0, s17, v[17:18]
	;; [unrolled: 1-line block ×3, first 2 shown]
.LBB135_1669:
	s_and_b64 vcc, exec, s[0:1]
	v_add_u32_e32 v0, 0x100, v8
	s_cbranch_vccnz .LBB135_1675
; %bb.1670:
	s_cmp_lg_u32 s33, 0
	s_cbranch_scc0 .LBB135_1676
; %bb.1671:
	s_min_u32 s8, s72, 15
	s_add_i32 s6, s8, 1
	s_and_b32 s9, s6, 30
	s_add_u32 s6, s2, 0xffffffe8
	s_addc_u32 s7, s3, -1
	v_mov_b32_e32 v11, 0
	v_mov_b32_e32 v13, 0
	s_waitcnt vmcnt(0)
	v_mov_b32_e32 v2, 0
	v_mov_b32_e32 v1, v0
.LBB135_1672:                           ; =>This Inner Loop Header: Depth=1
	s_load_dwordx4 s[16:19], s[6:7], 0x1c
	s_load_dwordx2 s[10:11], s[6:7], 0x2c
	s_load_dwordx2 s[24:25], s[6:7], 0xec
	s_load_dwordx4 s[20:23], s[6:7], 0xdc
	s_add_u32 s6, s6, 24
	s_waitcnt lgkmcnt(0)
	v_mul_hi_u32 v3, s17, v1
	s_addc_u32 s7, s7, 0
	s_add_i32 s9, s9, -2
	s_cmp_lg_u32 s9, 0
	v_add_u32_e32 v3, v1, v3
	v_lshrrev_b32_e32 v3, s18, v3
	v_mul_lo_u32 v5, v3, s16
	v_mul_hi_u32 v7, s10, v3
	v_sub_u32_e32 v5, v1, v5
	v_add_u32_e32 v1, v3, v7
	v_lshrrev_b32_e32 v1, s11, v1
	v_mul_lo_u32 v9, v1, s19
	v_mul_lo_u32 v7, v5, s20
	;; [unrolled: 1-line block ×4, first 2 shown]
	v_sub_u32_e32 v3, v3, v9
	v_mul_lo_u32 v9, v3, s23
	v_mul_lo_u32 v10, v3, s24
	;; [unrolled: 1-line block ×3, first 2 shown]
	v_add3_u32 v2, v7, v2, v9
	v_add3_u32 v13, v8, v13, v10
	;; [unrolled: 1-line block ×3, first 2 shown]
	s_cbranch_scc1 .LBB135_1672
; %bb.1673:
	s_bitcmp1_b32 s8, 0
	s_cselect_b64 s[8:9], -1, 0
	s_and_b64 vcc, exec, s[8:9]
	s_cbranch_vccnz .LBB135_1677
; %bb.1674:
	s_load_dwordx2 s[8:9], s[6:7], 0x1c
	s_load_dword s16, s[6:7], 0x24
	s_load_dwordx2 s[10:11], s[6:7], 0xdc
	s_waitcnt lgkmcnt(0)
	v_mul_hi_u32 v3, s9, v1
	v_add_u32_e32 v3, v1, v3
	v_lshrrev_b32_e32 v3, s16, v3
	v_mul_lo_u32 v3, v3, s8
	s_load_dword s8, s[6:7], 0xe4
	v_sub_u32_e32 v1, v1, v3
	v_mad_u64_u32 v[2:3], s[6:7], v1, s10, v[2:3]
	v_mad_u64_u32 v[13:14], s[6:7], v1, s11, v[13:14]
	s_waitcnt lgkmcnt(0)
	v_mad_u64_u32 v[11:12], s[6:7], v1, s8, v[11:12]
	s_cbranch_execz .LBB135_1678
	s_branch .LBB135_1680
.LBB135_1675:
                                        ; implicit-def: $vgpr2
                                        ; implicit-def: $vgpr13
                                        ; implicit-def: $vgpr11
	s_branch .LBB135_1678
.LBB135_1676:
	s_waitcnt vmcnt(0)
	v_mov_b32_e32 v2, 0
	v_mov_b32_e32 v13, 0
	;; [unrolled: 1-line block ×3, first 2 shown]
.LBB135_1677:
	s_cbranch_execnz .LBB135_1680
.LBB135_1678:
	s_load_dwordx4 s[8:11], s[2:3], 0x4
	s_load_dwordx4 s[16:19], s[2:3], 0xc4
	s_cmp_lt_u32 s33, 2
	s_waitcnt vmcnt(0) lgkmcnt(0)
	v_mul_hi_u32 v1, s9, v0
	v_add_u32_e32 v1, v0, v1
	v_lshrrev_b32_e32 v1, s10, v1
	v_mul_lo_u32 v2, v1, s8
	v_sub_u32_e32 v0, v0, v2
	v_mul_lo_u32 v2, v0, s16
	v_mul_lo_u32 v13, v0, s17
	;; [unrolled: 1-line block ×3, first 2 shown]
	s_cbranch_scc1 .LBB135_1680
; %bb.1679:
	s_load_dwordx4 s[8:11], s[2:3], 0x10
	s_load_dwordx4 s[16:19], s[2:3], 0xd0
	s_waitcnt lgkmcnt(0)
	v_mul_hi_u32 v0, s9, v1
	v_add_u32_e32 v0, v1, v0
	v_lshrrev_b32_e32 v0, s10, v0
	v_mul_lo_u32 v0, v0, s8
	v_sub_u32_e32 v0, v1, v0
	v_mad_u64_u32 v[2:3], s[6:7], v0, s16, v[2:3]
	v_mad_u64_u32 v[13:14], s[6:7], v0, s17, v[13:14]
	;; [unrolled: 1-line block ×3, first 2 shown]
.LBB135_1680:
	s_and_b64 vcc, exec, s[0:1]
	s_cbranch_vccnz .LBB135_1686
; %bb.1681:
	s_cmp_lg_u32 s33, 0
	s_cbranch_scc0 .LBB135_1687
; %bb.1682:
	s_min_u32 s6, s72, 15
	s_add_i32 s0, s6, 1
	s_and_b32 s7, s0, 30
	s_add_u32 s0, s2, 0xffffffe8
	s_addc_u32 s1, s3, -1
	s_waitcnt vmcnt(0)
	v_mov_b32_e32 v7, 0
	v_mov_b32_e32 v9, 0
	;; [unrolled: 1-line block ×4, first 2 shown]
.LBB135_1683:                           ; =>This Inner Loop Header: Depth=1
	s_load_dwordx4 s[8:11], s[0:1], 0x1c
	s_load_dwordx2 s[20:21], s[0:1], 0x2c
	s_load_dwordx2 s[22:23], s[0:1], 0xec
	s_load_dwordx4 s[16:19], s[0:1], 0xdc
	s_add_u32 s0, s0, 24
	s_waitcnt lgkmcnt(0)
	v_mul_hi_u32 v3, s9, v1
	s_addc_u32 s1, s1, 0
	s_add_i32 s7, s7, -2
	s_cmp_lg_u32 s7, 0
	v_add_u32_e32 v3, v1, v3
	v_lshrrev_b32_e32 v3, s10, v3
	v_mul_lo_u32 v5, v3, s8
	v_mul_hi_u32 v8, s20, v3
	v_sub_u32_e32 v5, v1, v5
	v_add_u32_e32 v1, v3, v8
	v_lshrrev_b32_e32 v1, s21, v1
	v_mul_lo_u32 v12, v1, s11
	v_mul_lo_u32 v8, v5, s16
	;; [unrolled: 1-line block ×4, first 2 shown]
	v_sub_u32_e32 v3, v3, v12
	v_mul_lo_u32 v12, v3, s19
	v_mul_lo_u32 v14, v3, s22
	;; [unrolled: 1-line block ×3, first 2 shown]
	v_add3_u32 v0, v8, v0, v12
	v_add3_u32 v9, v10, v9, v14
	;; [unrolled: 1-line block ×3, first 2 shown]
	s_cbranch_scc1 .LBB135_1683
; %bb.1684:
	s_bitcmp1_b32 s6, 0
	s_cselect_b64 s[6:7], -1, 0
	s_and_b64 vcc, exec, s[6:7]
	s_cbranch_vccnz .LBB135_1688
; %bb.1685:
	s_load_dwordx2 s[6:7], s[0:1], 0x1c
	s_load_dword s10, s[0:1], 0x24
	s_load_dwordx2 s[8:9], s[0:1], 0xdc
	s_waitcnt lgkmcnt(0)
	v_mul_hi_u32 v3, s7, v1
	v_add_u32_e32 v3, v1, v3
	v_lshrrev_b32_e32 v3, s10, v3
	v_mul_lo_u32 v3, v3, s6
	s_load_dword s6, s[0:1], 0xe4
	v_sub_u32_e32 v3, v1, v3
	v_mad_u64_u32 v[0:1], s[0:1], v3, s8, v[0:1]
	v_mad_u64_u32 v[9:10], s[0:1], v3, s9, v[9:10]
	s_waitcnt lgkmcnt(0)
	v_mad_u64_u32 v[7:8], s[0:1], v3, s6, v[7:8]
	s_cbranch_execz .LBB135_1689
	s_branch .LBB135_1691
.LBB135_1686:
                                        ; implicit-def: $vgpr0
                                        ; implicit-def: $vgpr9
                                        ; implicit-def: $vgpr7
	s_branch .LBB135_1689
.LBB135_1687:
	v_mov_b32_e32 v0, 0
	v_mov_b32_e32 v9, 0
	s_waitcnt vmcnt(0)
	v_mov_b32_e32 v7, 0
.LBB135_1688:
	s_cbranch_execnz .LBB135_1691
.LBB135_1689:
	s_load_dwordx4 s[8:11], s[2:3], 0x4
	s_load_dwordx4 s[16:19], s[2:3], 0xc4
	s_cmp_lt_u32 s33, 2
	s_waitcnt lgkmcnt(0)
	v_mul_hi_u32 v0, s9, v23
	v_add_u32_e32 v0, v23, v0
	s_waitcnt vmcnt(0)
	v_lshrrev_b32_e32 v1, s10, v0
	v_mul_lo_u32 v0, v1, s8
	v_sub_u32_e32 v3, v23, v0
	v_mul_lo_u32 v0, v3, s16
	v_mul_lo_u32 v9, v3, s17
	;; [unrolled: 1-line block ×3, first 2 shown]
	s_cbranch_scc1 .LBB135_1691
; %bb.1690:
	s_load_dwordx4 s[8:11], s[2:3], 0x10
	s_load_dwordx4 s[16:19], s[2:3], 0xd0
	s_waitcnt lgkmcnt(0)
	v_mul_hi_u32 v3, s9, v1
	v_add_u32_e32 v3, v1, v3
	v_lshrrev_b32_e32 v3, s10, v3
	v_mul_lo_u32 v3, v3, s8
	v_sub_u32_e32 v3, v1, v3
	v_mad_u64_u32 v[0:1], s[0:1], v3, s16, v[0:1]
	v_mad_u64_u32 v[9:10], s[0:1], v3, s17, v[9:10]
	;; [unrolled: 1-line block ×3, first 2 shown]
.LBB135_1691:
	s_load_dwordx4 s[8:11], s[2:3], 0x188
	s_load_dword s24, s[4:5], 0x1ac
	s_waitcnt vmcnt(0) lgkmcnt(0)
	v_mov_b32_e32 v1, s11
	s_bfe_u32 s20, s24, 0x80008
	v_add_co_u32_e32 v22, vcc, s10, v21
	s_cmp_lt_i32 s20, 11
	v_addc_co_u32_e32 v23, vcc, 0, v1, vcc
	s_cbranch_scc1 .LBB135_1698
; %bb.1692:
	s_and_b32 s21, 0xffff, s20
	s_cmp_gt_i32 s21, 25
	s_mov_b64 s[6:7], 0
	s_cbranch_scc0 .LBB135_1700
; %bb.1693:
	s_cmp_gt_i32 s21, 28
	s_cbranch_scc0 .LBB135_1701
; %bb.1694:
	s_cmp_gt_i32 s21, 43
	;; [unrolled: 3-line block ×3, first 2 shown]
	s_cbranch_scc0 .LBB135_1703
; %bb.1696:
	s_cmp_eq_u32 s21, 46
	s_mov_b64 s[4:5], 0
	s_cbranch_scc0 .LBB135_1706
; %bb.1697:
	global_load_dword v1, v[22:23], off
	s_mov_b64 s[0:1], 0
	s_mov_b64 s[16:17], -1
	s_waitcnt vmcnt(0)
	v_and_b32_e32 v21, 0xffff0000, v1
	v_lshlrev_b32_e32 v20, 16, v1
	s_branch .LBB135_1707
.LBB135_1698:
	s_mov_b64 s[16:17], 0
                                        ; implicit-def: $vgpr21
	s_mov_b64 s[4:5], s[12:13]
	s_cbranch_execnz .LBB135_1773
.LBB135_1699:
	s_andn2_b64 vcc, exec, s[16:17]
	s_cbranch_vccz .LBB135_1820
	s_branch .LBB135_2781
.LBB135_1700:
	s_mov_b64 s[16:17], 0
	s_mov_b64 s[0:1], 0
                                        ; implicit-def: $vgpr21
	s_cbranch_execnz .LBB135_1737
	s_branch .LBB135_1769
.LBB135_1701:
	s_mov_b64 s[16:17], 0
	s_mov_b64 s[0:1], 0
                                        ; implicit-def: $vgpr21
	s_cbranch_execnz .LBB135_1719
	s_branch .LBB135_1736
.LBB135_1702:
	s_mov_b64 s[4:5], -1
	s_mov_b64 s[16:17], 0
	s_mov_b64 s[0:1], 0
                                        ; implicit-def: $vgpr21
	s_branch .LBB135_1713
.LBB135_1703:
	s_mov_b64 s[4:5], -1
	s_mov_b64 s[16:17], 0
	s_mov_b64 s[0:1], 0
                                        ; implicit-def: $vgpr21
	s_branch .LBB135_1707
.LBB135_1704:
	s_andn2_saveexec_b64 s[18:19], s[18:19]
	s_cbranch_execz .LBB135_1554
.LBB135_1705:
	v_add_f32_e32 v0, 0x46000000, v1
	v_and_b32_e32 v0, 0xff, v0
	v_cmp_ne_u32_e32 vcc, 0, v0
	s_andn2_b64 s[14:15], s[14:15], exec
	s_and_b64 s[20:21], vcc, exec
	s_or_b64 s[14:15], s[14:15], s[20:21]
	s_or_b64 exec, exec, s[18:19]
	v_mov_b32_e32 v2, 0
	s_and_saveexec_b64 s[18:19], s[14:15]
	s_cbranch_execnz .LBB135_1555
	s_branch .LBB135_1556
.LBB135_1706:
	s_mov_b64 s[0:1], -1
                                        ; implicit-def: $vgpr21
	s_mov_b64 s[16:17], 0
.LBB135_1707:
	s_and_b64 vcc, exec, s[4:5]
	s_cbranch_vccz .LBB135_1712
; %bb.1708:
	s_cmp_eq_u32 s21, 44
	s_cbranch_scc0 .LBB135_1710
; %bb.1709:
	global_load_ubyte v1, v[22:23], off
	s_movk_i32 s4, 0xff
	v_mov_b32_e32 v3, 0x7f800001
	v_mov_b32_e32 v5, 0x400000
	s_mov_b64 s[0:1], 0
	s_mov_b64 s[16:17], -1
	s_waitcnt vmcnt(0)
	v_lshlrev_b32_e32 v8, 23, v1
	v_cmp_ne_u32_e32 vcc, s4, v1
	v_cndmask_b32_e32 v3, v3, v8, vcc
	v_cmp_ne_u32_e32 vcc, 0, v1
	v_cndmask_b32_e32 v20, v5, v3, vcc
	s_branch .LBB135_1711
.LBB135_1710:
	s_mov_b64 s[0:1], -1
                                        ; implicit-def: $vgpr20
.LBB135_1711:
	v_mov_b32_e32 v21, 0
.LBB135_1712:
	s_mov_b64 s[4:5], 0
.LBB135_1713:
	s_and_b64 vcc, exec, s[4:5]
	s_cbranch_vccz .LBB135_1718
; %bb.1714:
	s_cmp_eq_u32 s21, 29
	s_cbranch_scc0 .LBB135_1716
; %bb.1715:
	global_load_dwordx2 v[20:21], v[22:23], off
	s_mov_b64 s[0:1], 0
	s_mov_b64 s[16:17], -1
	s_waitcnt vmcnt(0)
	v_ffbh_u32_e32 v1, v21
	v_min_u32_e32 v1, 32, v1
	v_lshlrev_b64 v[20:21], v1, v[20:21]
	v_sub_u32_e32 v1, 32, v1
	v_min_u32_e32 v3, 1, v20
	v_or_b32_e32 v3, v21, v3
	v_cvt_f32_u32_e32 v3, v3
	v_ldexp_f32 v20, v3, v1
	s_branch .LBB135_1717
.LBB135_1716:
	s_mov_b64 s[0:1], -1
                                        ; implicit-def: $vgpr20
.LBB135_1717:
	v_mov_b32_e32 v21, 0
.LBB135_1718:
	s_branch .LBB135_1736
.LBB135_1719:
	s_cmp_lt_i32 s21, 27
	s_cbranch_scc1 .LBB135_1722
; %bb.1720:
	s_cmp_gt_i32 s21, 27
	s_cbranch_scc0 .LBB135_1723
; %bb.1721:
	global_load_dword v1, v[22:23], off
	s_mov_b64 s[4:5], 0
	s_waitcnt vmcnt(0)
	v_cvt_f32_u32_e32 v20, v1
	s_branch .LBB135_1724
.LBB135_1722:
	s_mov_b64 s[4:5], -1
                                        ; implicit-def: $vgpr20
	s_branch .LBB135_1727
.LBB135_1723:
	s_mov_b64 s[4:5], -1
                                        ; implicit-def: $vgpr20
.LBB135_1724:
	s_andn2_b64 vcc, exec, s[4:5]
	s_cbranch_vccnz .LBB135_1726
; %bb.1725:
	global_load_ushort v1, v[22:23], off
	s_waitcnt vmcnt(0)
	v_cvt_f32_u32_e32 v20, v1
.LBB135_1726:
	s_mov_b64 s[4:5], 0
.LBB135_1727:
	s_andn2_b64 vcc, exec, s[4:5]
	s_cbranch_vccnz .LBB135_1735
; %bb.1728:
	global_load_ubyte v1, v[22:23], off
	s_movk_i32 s4, 0x7f
	s_waitcnt vmcnt(0)
	v_cmp_lt_i16_e32 vcc, s4, v1
	s_mov_b64 s[4:5], 0
	s_and_saveexec_b64 s[16:17], vcc
	s_xor_b64 s[16:17], exec, s[16:17]
	s_cbranch_execz .LBB135_1748
; %bb.1729:
	s_movk_i32 s4, 0x80
	v_cmp_eq_u16_e32 vcc, s4, v1
	s_mov_b64 s[4:5], -1
	s_and_saveexec_b64 s[18:19], vcc
; %bb.1730:
	s_xor_b64 s[4:5], exec, -1
; %bb.1731:
	s_or_b64 exec, exec, s[18:19]
	s_and_b64 s[4:5], s[4:5], exec
	s_or_saveexec_b64 s[16:17], s[16:17]
	v_mov_b32_e32 v20, 0x7f800001
	s_xor_b64 exec, exec, s[16:17]
	s_cbranch_execnz .LBB135_1749
.LBB135_1732:
	s_or_b64 exec, exec, s[16:17]
	s_and_saveexec_b64 s[16:17], s[4:5]
	s_cbranch_execz .LBB135_1734
.LBB135_1733:
	v_lshlrev_b32_e32 v3, 24, v1
	v_and_b32_e32 v1, 0xffff, v1
	v_and_b32_e32 v5, 7, v1
	v_ffbh_u32_e32 v10, v5
	v_min_u32_e32 v10, 32, v10
	v_subrev_u32_e32 v12, 28, v10
	v_bfe_u32 v8, v1, 3, 4
	v_lshlrev_b32_e32 v1, v12, v1
	v_sub_u32_e32 v10, 29, v10
	v_and_b32_e32 v1, 7, v1
	v_cmp_eq_u32_e32 vcc, 0, v8
	v_cndmask_b32_e32 v8, v8, v10, vcc
	v_cndmask_b32_e32 v1, v5, v1, vcc
	v_mov_b32_e32 v5, 0x3b800000
	v_lshlrev_b32_e32 v1, 20, v1
	v_and_b32_e32 v3, 0x80000000, v3
	v_lshl_add_u32 v5, v8, 23, v5
	v_or3_b32 v20, v3, v5, v1
.LBB135_1734:
	s_or_b64 exec, exec, s[16:17]
.LBB135_1735:
	s_mov_b64 s[16:17], -1
	v_mov_b32_e32 v21, 0
.LBB135_1736:
	s_branch .LBB135_1769
.LBB135_1737:
	s_cmp_gt_i32 s21, 22
	s_cbranch_scc0 .LBB135_1747
; %bb.1738:
	s_cmp_lt_i32 s21, 24
	s_cbranch_scc1 .LBB135_1750
; %bb.1739:
	s_cmp_gt_i32 s21, 24
	s_cbranch_scc0 .LBB135_1751
; %bb.1740:
	global_load_ubyte v1, v[22:23], off
	s_movk_i32 s4, 0x7f
	s_waitcnt vmcnt(0)
	v_cmp_lt_i16_e32 vcc, s4, v1
	s_mov_b64 s[4:5], 0
	s_and_saveexec_b64 s[6:7], vcc
	s_xor_b64 s[6:7], exec, s[6:7]
	s_cbranch_execz .LBB135_1762
; %bb.1741:
	s_movk_i32 s4, 0x80
	v_cmp_eq_u16_e32 vcc, s4, v1
	s_mov_b64 s[4:5], -1
	s_and_saveexec_b64 s[16:17], vcc
; %bb.1742:
	s_xor_b64 s[4:5], exec, -1
; %bb.1743:
	s_or_b64 exec, exec, s[16:17]
	s_and_b64 s[4:5], s[4:5], exec
	s_or_saveexec_b64 s[6:7], s[6:7]
	v_mov_b32_e32 v20, 0x7f800001
	s_xor_b64 exec, exec, s[6:7]
	s_cbranch_execnz .LBB135_1763
.LBB135_1744:
	s_or_b64 exec, exec, s[6:7]
	s_and_saveexec_b64 s[6:7], s[4:5]
	s_cbranch_execz .LBB135_1746
.LBB135_1745:
	v_lshlrev_b32_e32 v3, 24, v1
	v_and_b32_e32 v1, 0xffff, v1
	v_and_b32_e32 v5, 3, v1
	v_ffbh_u32_e32 v10, v5
	v_min_u32_e32 v10, 32, v10
	v_subrev_u32_e32 v12, 29, v10
	v_bfe_u32 v8, v1, 2, 5
	v_lshlrev_b32_e32 v1, v12, v1
	v_sub_u32_e32 v10, 30, v10
	v_and_b32_e32 v1, 3, v1
	v_cmp_eq_u32_e32 vcc, 0, v8
	v_cndmask_b32_e32 v8, v8, v10, vcc
	v_cndmask_b32_e32 v1, v5, v1, vcc
	v_mov_b32_e32 v5, 0x37800000
	v_lshlrev_b32_e32 v1, 21, v1
	v_and_b32_e32 v3, 0x80000000, v3
	v_lshl_add_u32 v5, v8, 23, v5
	v_or3_b32 v20, v3, v5, v1
.LBB135_1746:
	s_or_b64 exec, exec, s[6:7]
	s_mov_b64 s[4:5], 0
	s_branch .LBB135_1752
.LBB135_1747:
                                        ; implicit-def: $vgpr20
	s_mov_b64 s[6:7], 0
	s_branch .LBB135_1758
.LBB135_1748:
	s_or_saveexec_b64 s[16:17], s[16:17]
	v_mov_b32_e32 v20, 0x7f800001
	s_xor_b64 exec, exec, s[16:17]
	s_cbranch_execz .LBB135_1732
.LBB135_1749:
	v_cmp_ne_u16_e32 vcc, 0, v1
	s_andn2_b64 s[4:5], s[4:5], exec
	s_and_b64 s[18:19], vcc, exec
	v_mov_b32_e32 v20, 0
	s_or_b64 s[4:5], s[4:5], s[18:19]
	s_or_b64 exec, exec, s[16:17]
	s_and_saveexec_b64 s[16:17], s[4:5]
	s_cbranch_execnz .LBB135_1733
	s_branch .LBB135_1734
.LBB135_1750:
	s_mov_b64 s[4:5], -1
                                        ; implicit-def: $vgpr20
	s_branch .LBB135_1755
.LBB135_1751:
	s_mov_b64 s[4:5], -1
                                        ; implicit-def: $vgpr20
.LBB135_1752:
	s_and_b64 vcc, exec, s[4:5]
	s_cbranch_vccz .LBB135_1754
; %bb.1753:
	global_load_ubyte v1, v[22:23], off
	s_mov_b32 s4, 0x7f800000
	s_waitcnt vmcnt(0)
	v_lshlrev_b32_e32 v1, 24, v1
	v_and_b32_e32 v3, 0x7f000000, v1
	v_ffbh_u32_e32 v5, v3
	v_min_u32_e32 v5, 32, v5
	v_sub_u32_e64 v5, v5, 4 clamp
	v_lshlrev_b32_e32 v10, v5, v3
	v_lshlrev_b32_e32 v5, 23, v5
	v_lshrrev_b32_e32 v10, 4, v10
	v_add_u32_e32 v8, 0x1000000, v3
	v_sub_u32_e32 v5, v10, v5
	v_ashrrev_i32_e32 v8, 8, v8
	v_add_u32_e32 v5, 0x3c000000, v5
	v_and_or_b32 v5, v8, s4, v5
	v_cmp_ne_u32_e32 vcc, 0, v3
	v_cndmask_b32_e32 v3, 0, v5, vcc
	s_brev_b32 s4, 1
	v_and_or_b32 v20, v1, s4, v3
.LBB135_1754:
	s_mov_b64 s[4:5], 0
.LBB135_1755:
	s_andn2_b64 vcc, exec, s[4:5]
	s_cbranch_vccnz .LBB135_1757
; %bb.1756:
	global_load_ubyte v1, v[22:23], off
	s_movk_i32 s4, 0x7f00
	s_brev_b32 s5, 16
	s_waitcnt vmcnt(0)
	v_lshlrev_b16_e32 v3, 8, v1
	v_lshlrev_b32_e32 v1, 25, v1
	v_lshrrev_b32_e32 v5, 4, v1
	v_and_or_b32 v8, v3, s4, 0.5
	v_or_b32_e32 v5, 0x70000000, v5
	v_add_f32_e32 v8, -0.5, v8
	v_mul_f32_e32 v5, 0x7800000, v5
	v_cmp_gt_u32_e32 vcc, s5, v1
	v_bfe_i32 v3, v3, 0, 16
	v_cndmask_b32_e32 v1, v5, v8, vcc
	s_brev_b32 s4, 1
	v_and_or_b32 v20, v3, s4, v1
.LBB135_1757:
	s_mov_b64 s[16:17], -1
	s_mov_b64 s[6:7], 0
	s_cbranch_execnz .LBB135_1768
.LBB135_1758:
	s_cmp_gt_i32 s21, 14
	s_cbranch_scc0 .LBB135_1761
; %bb.1759:
	s_cmp_eq_u32 s21, 15
	s_cbranch_scc0 .LBB135_1764
; %bb.1760:
	global_load_ushort v1, v[22:23], off
	s_mov_b64 s[0:1], 0
	s_mov_b64 s[16:17], -1
	s_waitcnt vmcnt(0)
	v_lshlrev_b32_e32 v20, 16, v1
	s_branch .LBB135_1765
.LBB135_1761:
	s_mov_b64 s[4:5], -1
                                        ; implicit-def: $vgpr20
	s_branch .LBB135_1766
.LBB135_1762:
	s_or_saveexec_b64 s[6:7], s[6:7]
	v_mov_b32_e32 v20, 0x7f800001
	s_xor_b64 exec, exec, s[6:7]
	s_cbranch_execz .LBB135_1744
.LBB135_1763:
	v_cmp_ne_u16_e32 vcc, 0, v1
	s_andn2_b64 s[4:5], s[4:5], exec
	s_and_b64 s[16:17], vcc, exec
	v_mov_b32_e32 v20, 0
	s_or_b64 s[4:5], s[4:5], s[16:17]
	s_or_b64 exec, exec, s[6:7]
	s_and_saveexec_b64 s[6:7], s[4:5]
	s_cbranch_execnz .LBB135_1745
	s_branch .LBB135_1746
.LBB135_1764:
	s_mov_b64 s[0:1], -1
                                        ; implicit-def: $vgpr20
.LBB135_1765:
	s_mov_b64 s[4:5], 0
.LBB135_1766:
	s_and_b64 vcc, exec, s[4:5]
	s_cbranch_vccz .LBB135_1768
; %bb.1767:
	s_cmp_lg_u32 s21, 11
	s_mov_b64 s[6:7], -1
	s_cselect_b64 s[0:1], -1, 0
.LBB135_1768:
	v_mov_b32_e32 v21, 0
.LBB135_1769:
	s_and_b64 vcc, exec, s[0:1]
	s_mov_b64 s[4:5], s[12:13]
	s_cbranch_vccnz .LBB135_1832
; %bb.1770:
	s_andn2_b64 vcc, exec, s[6:7]
	s_cbranch_vccnz .LBB135_1772
.LBB135_1771:
	global_load_ubyte v1, v[22:23], off
	v_mov_b32_e32 v21, 0
	s_mov_b64 s[16:17], -1
	s_waitcnt vmcnt(0)
	v_cmp_ne_u16_e32 vcc, 0, v1
	v_cndmask_b32_e64 v20, 0, 1.0, vcc
.LBB135_1772:
	s_branch .LBB135_1699
.LBB135_1773:
	s_and_b32 s6, 0xffff, s20
	s_cmp_lt_i32 s6, 5
	s_cbranch_scc1 .LBB135_1778
; %bb.1774:
	s_cmp_lt_i32 s6, 8
	s_cbranch_scc1 .LBB135_1780
; %bb.1775:
	;; [unrolled: 3-line block ×3, first 2 shown]
	s_cmp_gt_i32 s6, 9
	s_cbranch_scc0 .LBB135_1782
; %bb.1777:
	global_load_dwordx4 v[24:27], v[22:23], off
	s_mov_b64 s[0:1], 0
	s_waitcnt vmcnt(0)
	v_cvt_f32_f64_e32 v20, v[24:25]
	v_cvt_f32_f64_e32 v21, v[26:27]
	s_branch .LBB135_1783
.LBB135_1778:
                                        ; implicit-def: $vgpr21
	s_branch .LBB135_1801
.LBB135_1779:
	s_branch .LBB135_1820
.LBB135_1780:
                                        ; implicit-def: $vgpr21
	s_branch .LBB135_1789
.LBB135_1781:
	s_mov_b64 s[0:1], -1
                                        ; implicit-def: $vgpr21
	s_branch .LBB135_1786
.LBB135_1782:
	s_mov_b64 s[0:1], -1
                                        ; implicit-def: $vgpr21
.LBB135_1783:
	s_andn2_b64 vcc, exec, s[0:1]
	s_cbranch_vccnz .LBB135_1785
; %bb.1784:
	global_load_dwordx2 v[20:21], v[22:23], off
.LBB135_1785:
	s_mov_b64 s[0:1], 0
.LBB135_1786:
	s_andn2_b64 vcc, exec, s[0:1]
	s_cbranch_vccnz .LBB135_1788
; %bb.1787:
	global_load_dword v1, v[22:23], off
	s_waitcnt vmcnt(0)
	v_cvt_f32_f16_e32 v20, v1
	v_cvt_f32_f16_sdwa v21, v1 dst_sel:DWORD dst_unused:UNUSED_PAD src0_sel:WORD_1
.LBB135_1788:
	s_cbranch_execnz .LBB135_1800
.LBB135_1789:
	s_cmp_lt_i32 s6, 6
	s_cbranch_scc1 .LBB135_1792
; %bb.1790:
	s_cmp_gt_i32 s6, 6
	s_cbranch_scc0 .LBB135_1793
; %bb.1791:
	global_load_dwordx2 v[20:21], v[22:23], off
	s_mov_b64 s[0:1], 0
	s_waitcnt vmcnt(0)
	v_cvt_f32_f64_e32 v20, v[20:21]
	s_branch .LBB135_1794
.LBB135_1792:
	s_mov_b64 s[0:1], -1
                                        ; implicit-def: $vgpr20
	s_branch .LBB135_1797
.LBB135_1793:
	s_mov_b64 s[0:1], -1
                                        ; implicit-def: $vgpr20
.LBB135_1794:
	s_andn2_b64 vcc, exec, s[0:1]
	s_cbranch_vccnz .LBB135_1796
; %bb.1795:
	global_load_dword v20, v[22:23], off
.LBB135_1796:
	s_mov_b64 s[0:1], 0
.LBB135_1797:
	s_andn2_b64 vcc, exec, s[0:1]
	s_cbranch_vccnz .LBB135_1799
; %bb.1798:
	global_load_ushort v1, v[22:23], off
	s_waitcnt vmcnt(0)
	v_cvt_f32_f16_e32 v20, v1
.LBB135_1799:
	s_waitcnt vmcnt(0)
	v_mov_b32_e32 v21, 0
.LBB135_1800:
	s_cbranch_execnz .LBB135_1779
.LBB135_1801:
	s_cmp_lt_i32 s6, 2
	s_cbranch_scc1 .LBB135_1805
; %bb.1802:
	s_cmp_lt_i32 s6, 3
	s_cbranch_scc1 .LBB135_1806
; %bb.1803:
	s_cmp_gt_i32 s6, 3
	s_cbranch_scc0 .LBB135_1807
; %bb.1804:
	global_load_dwordx2 v[20:21], v[22:23], off
	s_mov_b64 s[0:1], 0
	s_waitcnt vmcnt(0)
	v_xor_b32_e32 v3, v20, v21
	v_ffbh_i32_e32 v1, v21
	v_ashrrev_i32_e32 v3, 31, v3
	v_add_u32_e32 v1, -1, v1
	v_add_u32_e32 v3, 32, v3
	v_min_u32_e32 v1, v1, v3
	v_lshlrev_b64 v[20:21], v1, v[20:21]
	v_sub_u32_e32 v1, 32, v1
	v_min_u32_e32 v3, 1, v20
	v_or_b32_e32 v3, v21, v3
	v_cvt_f32_i32_e32 v3, v3
	v_ldexp_f32 v20, v3, v1
	s_branch .LBB135_1808
.LBB135_1805:
                                        ; implicit-def: $vgpr20
	s_branch .LBB135_1814
.LBB135_1806:
	s_mov_b64 s[0:1], -1
                                        ; implicit-def: $vgpr20
	s_branch .LBB135_1811
.LBB135_1807:
	s_mov_b64 s[0:1], -1
                                        ; implicit-def: $vgpr20
.LBB135_1808:
	s_andn2_b64 vcc, exec, s[0:1]
	s_cbranch_vccnz .LBB135_1810
; %bb.1809:
	global_load_dword v1, v[22:23], off
	s_waitcnt vmcnt(0)
	v_cvt_f32_i32_e32 v20, v1
.LBB135_1810:
	s_mov_b64 s[0:1], 0
.LBB135_1811:
	s_andn2_b64 vcc, exec, s[0:1]
	s_cbranch_vccnz .LBB135_1813
; %bb.1812:
	global_load_sshort v1, v[22:23], off
	s_waitcnt vmcnt(0)
	v_cvt_f32_i32_e32 v20, v1
.LBB135_1813:
	s_cbranch_execnz .LBB135_1819
.LBB135_1814:
	s_cmp_gt_i32 s6, 0
	s_cbranch_scc0 .LBB135_1816
; %bb.1815:
	global_load_sbyte v1, v[22:23], off
	s_mov_b64 s[0:1], 0
	s_waitcnt vmcnt(0)
	v_cvt_f32_i32_e32 v20, v1
	s_branch .LBB135_1817
.LBB135_1816:
	s_mov_b64 s[0:1], -1
                                        ; implicit-def: $vgpr20
.LBB135_1817:
	s_andn2_b64 vcc, exec, s[0:1]
	s_cbranch_vccnz .LBB135_1819
; %bb.1818:
	global_load_ubyte v1, v[22:23], off
	s_waitcnt vmcnt(0)
	v_cvt_f32_ubyte0_e32 v20, v1
.LBB135_1819:
	s_waitcnt vmcnt(0)
	v_mov_b32_e32 v21, 0
.LBB135_1820:
	s_load_dwordx2 s[16:17], s[2:3], 0x198
	s_bfe_u32 s25, s24, 0x80010
	s_cmp_lt_i32 s25, 11
	s_waitcnt lgkmcnt(0)
	v_mov_b32_e32 v1, s17
	v_add_co_u32_e32 v18, vcc, s16, v19
	v_addc_co_u32_e32 v19, vcc, 0, v1, vcc
	s_cbranch_scc1 .LBB135_1827
; %bb.1821:
	s_and_b32 s26, 0xffff, s25
	s_cmp_gt_i32 s26, 25
	s_mov_b64 s[6:7], 0
	s_cbranch_scc0 .LBB135_1829
; %bb.1822:
	s_cmp_gt_i32 s26, 28
	s_cbranch_scc0 .LBB135_1830
; %bb.1823:
	s_cmp_gt_i32 s26, 43
	;; [unrolled: 3-line block ×3, first 2 shown]
	s_cbranch_scc0 .LBB135_1833
; %bb.1825:
	s_cmp_eq_u32 s26, 46
	s_mov_b64 s[20:21], 0
	s_cbranch_scc0 .LBB135_1836
; %bb.1826:
	global_load_dword v1, v[18:19], off
	s_mov_b64 s[0:1], 0
	s_mov_b64 s[18:19], -1
	s_waitcnt vmcnt(0)
	v_and_b32_e32 v23, 0xffff0000, v1
	v_lshlrev_b32_e32 v22, 16, v1
	s_branch .LBB135_1837
.LBB135_1827:
	s_mov_b64 s[18:19], 0
                                        ; implicit-def: $vgpr23
	s_cbranch_execnz .LBB135_1905
.LBB135_1828:
	s_andn2_b64 vcc, exec, s[18:19]
	s_cbranch_vccnz .LBB135_2781
	s_branch .LBB135_1954
.LBB135_1829:
	s_mov_b64 s[18:19], 0
	s_mov_b64 s[0:1], 0
                                        ; implicit-def: $vgpr23
	s_cbranch_execnz .LBB135_1868
	s_branch .LBB135_1901
.LBB135_1830:
	s_mov_b64 s[20:21], -1
	s_mov_b64 s[18:19], 0
	s_mov_b64 s[0:1], 0
                                        ; implicit-def: $vgpr23
	s_branch .LBB135_1849
.LBB135_1831:
	s_mov_b64 s[20:21], -1
	s_mov_b64 s[18:19], 0
	s_mov_b64 s[0:1], 0
                                        ; implicit-def: $vgpr23
	s_branch .LBB135_1843
.LBB135_1832:
	s_trap 2
	s_or_b64 s[4:5], s[12:13], exec
	s_cbranch_execz .LBB135_1771
	s_branch .LBB135_1772
.LBB135_1833:
	s_mov_b64 s[20:21], -1
	s_mov_b64 s[18:19], 0
	s_mov_b64 s[0:1], 0
                                        ; implicit-def: $vgpr23
	s_branch .LBB135_1837
.LBB135_1834:
	s_andn2_saveexec_b64 s[20:21], s[20:21]
	s_cbranch_execz .LBB135_1566
.LBB135_1835:
	v_add_f32_e32 v0, 0x42800000, v1
	v_and_b32_e32 v0, 0xff, v0
	v_cmp_ne_u32_e32 vcc, 0, v0
	s_andn2_b64 s[18:19], s[18:19], exec
	s_and_b64 s[28:29], vcc, exec
	s_or_b64 s[18:19], s[18:19], s[28:29]
	s_or_b64 exec, exec, s[20:21]
	v_mov_b32_e32 v2, 0
	s_and_saveexec_b64 s[20:21], s[18:19]
	s_cbranch_execnz .LBB135_1567
	s_branch .LBB135_1568
.LBB135_1836:
	s_mov_b64 s[0:1], -1
                                        ; implicit-def: $vgpr23
	s_mov_b64 s[18:19], 0
.LBB135_1837:
	s_and_b64 vcc, exec, s[20:21]
	s_cbranch_vccz .LBB135_1842
; %bb.1838:
	s_cmp_eq_u32 s26, 44
	s_cbranch_scc0 .LBB135_1840
; %bb.1839:
	global_load_ubyte v1, v[18:19], off
	s_movk_i32 s18, 0xff
	v_mov_b32_e32 v3, 0x7f800001
	v_mov_b32_e32 v5, 0x400000
	s_mov_b64 s[0:1], 0
	s_waitcnt vmcnt(0)
	v_lshlrev_b32_e32 v8, 23, v1
	v_cmp_ne_u32_e32 vcc, s18, v1
	v_cndmask_b32_e32 v3, v3, v8, vcc
	v_cmp_ne_u32_e32 vcc, 0, v1
	v_cndmask_b32_e32 v22, v5, v3, vcc
	s_mov_b64 s[18:19], -1
	s_branch .LBB135_1841
.LBB135_1840:
	s_mov_b64 s[0:1], -1
                                        ; implicit-def: $vgpr22
.LBB135_1841:
	v_mov_b32_e32 v23, 0
.LBB135_1842:
	s_mov_b64 s[20:21], 0
.LBB135_1843:
	s_and_b64 vcc, exec, s[20:21]
	s_cbranch_vccz .LBB135_1848
; %bb.1844:
	s_cmp_eq_u32 s26, 29
	s_cbranch_scc0 .LBB135_1846
; %bb.1845:
	global_load_dwordx2 v[22:23], v[18:19], off
	s_mov_b64 s[0:1], 0
	s_mov_b64 s[18:19], -1
	s_waitcnt vmcnt(0)
	v_ffbh_u32_e32 v1, v23
	v_min_u32_e32 v1, 32, v1
	v_lshlrev_b64 v[22:23], v1, v[22:23]
	v_sub_u32_e32 v1, 32, v1
	v_min_u32_e32 v3, 1, v22
	v_or_b32_e32 v3, v23, v3
	v_cvt_f32_u32_e32 v3, v3
	v_ldexp_f32 v22, v3, v1
	s_branch .LBB135_1847
.LBB135_1846:
	s_mov_b64 s[0:1], -1
                                        ; implicit-def: $vgpr22
.LBB135_1847:
	v_mov_b32_e32 v23, 0
.LBB135_1848:
	s_mov_b64 s[20:21], 0
.LBB135_1849:
	s_and_b64 vcc, exec, s[20:21]
	s_cbranch_vccz .LBB135_1867
; %bb.1850:
	s_cmp_lt_i32 s26, 27
	s_cbranch_scc1 .LBB135_1853
; %bb.1851:
	s_cmp_gt_i32 s26, 27
	s_cbranch_scc0 .LBB135_1854
; %bb.1852:
	global_load_dword v1, v[18:19], off
	s_mov_b64 s[18:19], 0
	s_waitcnt vmcnt(0)
	v_cvt_f32_u32_e32 v22, v1
	s_branch .LBB135_1855
.LBB135_1853:
	s_mov_b64 s[18:19], -1
                                        ; implicit-def: $vgpr22
	s_branch .LBB135_1858
.LBB135_1854:
	s_mov_b64 s[18:19], -1
                                        ; implicit-def: $vgpr22
.LBB135_1855:
	s_andn2_b64 vcc, exec, s[18:19]
	s_cbranch_vccnz .LBB135_1857
; %bb.1856:
	global_load_ushort v1, v[18:19], off
	s_waitcnt vmcnt(0)
	v_cvt_f32_u32_e32 v22, v1
.LBB135_1857:
	s_mov_b64 s[18:19], 0
.LBB135_1858:
	s_andn2_b64 vcc, exec, s[18:19]
	s_cbranch_vccnz .LBB135_1866
; %bb.1859:
	global_load_ubyte v1, v[18:19], off
	s_movk_i32 s18, 0x7f
	s_waitcnt vmcnt(0)
	v_cmp_lt_i16_e32 vcc, s18, v1
	s_mov_b64 s[18:19], 0
	s_and_saveexec_b64 s[20:21], vcc
	s_xor_b64 s[20:21], exec, s[20:21]
	s_cbranch_execz .LBB135_1879
; %bb.1860:
	s_movk_i32 s18, 0x80
	v_cmp_eq_u16_e32 vcc, s18, v1
	s_mov_b64 s[18:19], -1
	s_and_saveexec_b64 s[22:23], vcc
; %bb.1861:
	s_xor_b64 s[18:19], exec, -1
; %bb.1862:
	s_or_b64 exec, exec, s[22:23]
	s_and_b64 s[18:19], s[18:19], exec
	s_or_saveexec_b64 s[20:21], s[20:21]
	v_mov_b32_e32 v22, 0x7f800001
	s_xor_b64 exec, exec, s[20:21]
	s_cbranch_execnz .LBB135_1880
.LBB135_1863:
	s_or_b64 exec, exec, s[20:21]
	s_and_saveexec_b64 s[20:21], s[18:19]
	s_cbranch_execz .LBB135_1865
.LBB135_1864:
	v_lshlrev_b32_e32 v3, 24, v1
	v_and_b32_e32 v1, 0xffff, v1
	v_and_b32_e32 v5, 7, v1
	v_ffbh_u32_e32 v10, v5
	v_min_u32_e32 v10, 32, v10
	v_subrev_u32_e32 v12, 28, v10
	v_bfe_u32 v8, v1, 3, 4
	v_lshlrev_b32_e32 v1, v12, v1
	v_sub_u32_e32 v10, 29, v10
	v_and_b32_e32 v1, 7, v1
	v_cmp_eq_u32_e32 vcc, 0, v8
	v_cndmask_b32_e32 v8, v8, v10, vcc
	v_cndmask_b32_e32 v1, v5, v1, vcc
	v_mov_b32_e32 v5, 0x3b800000
	v_lshlrev_b32_e32 v1, 20, v1
	v_and_b32_e32 v3, 0x80000000, v3
	v_lshl_add_u32 v5, v8, 23, v5
	v_or3_b32 v22, v3, v5, v1
.LBB135_1865:
	s_or_b64 exec, exec, s[20:21]
.LBB135_1866:
	s_mov_b64 s[18:19], -1
	v_mov_b32_e32 v23, 0
.LBB135_1867:
	s_branch .LBB135_1901
.LBB135_1868:
	s_cmp_gt_i32 s26, 22
	s_cbranch_scc0 .LBB135_1878
; %bb.1869:
	s_cmp_lt_i32 s26, 24
	s_cbranch_scc1 .LBB135_1881
; %bb.1870:
	s_cmp_gt_i32 s26, 24
	s_cbranch_scc0 .LBB135_1882
; %bb.1871:
	global_load_ubyte v1, v[18:19], off
	s_movk_i32 s6, 0x7f
	s_waitcnt vmcnt(0)
	v_cmp_lt_i16_e32 vcc, s6, v1
	s_mov_b64 s[6:7], 0
	s_and_saveexec_b64 s[18:19], vcc
	s_xor_b64 s[18:19], exec, s[18:19]
	s_cbranch_execz .LBB135_1894
; %bb.1872:
	s_movk_i32 s6, 0x80
	v_cmp_eq_u16_e32 vcc, s6, v1
	s_mov_b64 s[6:7], -1
	s_and_saveexec_b64 s[20:21], vcc
; %bb.1873:
	s_xor_b64 s[6:7], exec, -1
; %bb.1874:
	s_or_b64 exec, exec, s[20:21]
	s_and_b64 s[6:7], s[6:7], exec
	s_or_saveexec_b64 s[18:19], s[18:19]
	v_mov_b32_e32 v22, 0x7f800001
	s_xor_b64 exec, exec, s[18:19]
	s_cbranch_execnz .LBB135_1895
.LBB135_1875:
	s_or_b64 exec, exec, s[18:19]
	s_and_saveexec_b64 s[18:19], s[6:7]
	s_cbranch_execz .LBB135_1877
.LBB135_1876:
	v_lshlrev_b32_e32 v3, 24, v1
	v_and_b32_e32 v1, 0xffff, v1
	v_and_b32_e32 v5, 3, v1
	v_ffbh_u32_e32 v10, v5
	v_min_u32_e32 v10, 32, v10
	v_subrev_u32_e32 v12, 29, v10
	v_bfe_u32 v8, v1, 2, 5
	v_lshlrev_b32_e32 v1, v12, v1
	v_sub_u32_e32 v10, 30, v10
	v_and_b32_e32 v1, 3, v1
	v_cmp_eq_u32_e32 vcc, 0, v8
	v_cndmask_b32_e32 v8, v8, v10, vcc
	v_cndmask_b32_e32 v1, v5, v1, vcc
	v_mov_b32_e32 v5, 0x37800000
	v_lshlrev_b32_e32 v1, 21, v1
	v_and_b32_e32 v3, 0x80000000, v3
	v_lshl_add_u32 v5, v8, 23, v5
	v_or3_b32 v22, v3, v5, v1
.LBB135_1877:
	s_or_b64 exec, exec, s[18:19]
	s_mov_b64 s[6:7], 0
	s_branch .LBB135_1883
.LBB135_1878:
	s_mov_b64 s[6:7], -1
                                        ; implicit-def: $vgpr22
	s_branch .LBB135_1889
.LBB135_1879:
	s_or_saveexec_b64 s[20:21], s[20:21]
	v_mov_b32_e32 v22, 0x7f800001
	s_xor_b64 exec, exec, s[20:21]
	s_cbranch_execz .LBB135_1863
.LBB135_1880:
	v_cmp_ne_u16_e32 vcc, 0, v1
	s_andn2_b64 s[18:19], s[18:19], exec
	s_and_b64 s[22:23], vcc, exec
	v_mov_b32_e32 v22, 0
	s_or_b64 s[18:19], s[18:19], s[22:23]
	s_or_b64 exec, exec, s[20:21]
	s_and_saveexec_b64 s[20:21], s[18:19]
	s_cbranch_execnz .LBB135_1864
	s_branch .LBB135_1865
.LBB135_1881:
	s_mov_b64 s[6:7], -1
                                        ; implicit-def: $vgpr22
	s_branch .LBB135_1886
.LBB135_1882:
	s_mov_b64 s[6:7], -1
                                        ; implicit-def: $vgpr22
.LBB135_1883:
	s_and_b64 vcc, exec, s[6:7]
	s_cbranch_vccz .LBB135_1885
; %bb.1884:
	global_load_ubyte v1, v[18:19], off
	s_mov_b32 s6, 0x7f800000
	s_waitcnt vmcnt(0)
	v_lshlrev_b32_e32 v1, 24, v1
	v_and_b32_e32 v3, 0x7f000000, v1
	v_ffbh_u32_e32 v5, v3
	v_min_u32_e32 v5, 32, v5
	v_sub_u32_e64 v5, v5, 4 clamp
	v_lshlrev_b32_e32 v10, v5, v3
	v_lshlrev_b32_e32 v5, 23, v5
	v_lshrrev_b32_e32 v10, 4, v10
	v_add_u32_e32 v8, 0x1000000, v3
	v_sub_u32_e32 v5, v10, v5
	v_ashrrev_i32_e32 v8, 8, v8
	v_add_u32_e32 v5, 0x3c000000, v5
	v_and_or_b32 v5, v8, s6, v5
	v_cmp_ne_u32_e32 vcc, 0, v3
	v_cndmask_b32_e32 v3, 0, v5, vcc
	s_brev_b32 s6, 1
	v_and_or_b32 v22, v1, s6, v3
.LBB135_1885:
	s_mov_b64 s[6:7], 0
.LBB135_1886:
	s_andn2_b64 vcc, exec, s[6:7]
	s_cbranch_vccnz .LBB135_1888
; %bb.1887:
	global_load_ubyte v1, v[18:19], off
	s_movk_i32 s6, 0x7f00
	s_brev_b32 s7, 16
	s_waitcnt vmcnt(0)
	v_lshlrev_b16_e32 v3, 8, v1
	v_lshlrev_b32_e32 v1, 25, v1
	v_lshrrev_b32_e32 v5, 4, v1
	v_and_or_b32 v8, v3, s6, 0.5
	v_or_b32_e32 v5, 0x70000000, v5
	v_add_f32_e32 v8, -0.5, v8
	v_mul_f32_e32 v5, 0x7800000, v5
	v_cmp_gt_u32_e32 vcc, s7, v1
	v_bfe_i32 v3, v3, 0, 16
	v_cndmask_b32_e32 v1, v5, v8, vcc
	s_brev_b32 s6, 1
	v_and_or_b32 v22, v3, s6, v1
.LBB135_1888:
	s_mov_b64 s[6:7], 0
	s_mov_b64 s[18:19], -1
.LBB135_1889:
	s_andn2_b64 vcc, exec, s[6:7]
	s_mov_b64 s[6:7], 0
	s_cbranch_vccnz .LBB135_1900
; %bb.1890:
	s_cmp_gt_i32 s26, 14
	s_cbranch_scc0 .LBB135_1893
; %bb.1891:
	s_cmp_eq_u32 s26, 15
	s_cbranch_scc0 .LBB135_1896
; %bb.1892:
	global_load_ushort v1, v[18:19], off
	s_mov_b64 s[0:1], 0
	s_mov_b64 s[18:19], -1
	s_waitcnt vmcnt(0)
	v_lshlrev_b32_e32 v22, 16, v1
	s_branch .LBB135_1897
.LBB135_1893:
	s_mov_b64 s[20:21], -1
                                        ; implicit-def: $vgpr22
	s_branch .LBB135_1898
.LBB135_1894:
	s_or_saveexec_b64 s[18:19], s[18:19]
	v_mov_b32_e32 v22, 0x7f800001
	s_xor_b64 exec, exec, s[18:19]
	s_cbranch_execz .LBB135_1875
.LBB135_1895:
	v_cmp_ne_u16_e32 vcc, 0, v1
	s_andn2_b64 s[6:7], s[6:7], exec
	s_and_b64 s[20:21], vcc, exec
	v_mov_b32_e32 v22, 0
	s_or_b64 s[6:7], s[6:7], s[20:21]
	s_or_b64 exec, exec, s[18:19]
	s_and_saveexec_b64 s[18:19], s[6:7]
	s_cbranch_execnz .LBB135_1876
	s_branch .LBB135_1877
.LBB135_1896:
	s_mov_b64 s[0:1], -1
                                        ; implicit-def: $vgpr22
.LBB135_1897:
	s_mov_b64 s[20:21], 0
.LBB135_1898:
	s_and_b64 vcc, exec, s[20:21]
	s_cbranch_vccz .LBB135_1900
; %bb.1899:
	s_cmp_lg_u32 s26, 11
	s_mov_b64 s[6:7], -1
	s_cselect_b64 s[0:1], -1, 0
.LBB135_1900:
	v_mov_b32_e32 v23, 0
.LBB135_1901:
	s_and_b64 vcc, exec, s[0:1]
	s_cbranch_vccnz .LBB135_1982
; %bb.1902:
	s_andn2_b64 vcc, exec, s[6:7]
	s_cbranch_vccnz .LBB135_1904
.LBB135_1903:
	global_load_ubyte v1, v[18:19], off
	v_mov_b32_e32 v23, 0
	s_mov_b64 s[18:19], -1
	s_waitcnt vmcnt(0)
	v_cmp_ne_u16_e32 vcc, 0, v1
	v_cndmask_b32_e64 v22, 0, 1.0, vcc
.LBB135_1904:
	s_branch .LBB135_1828
.LBB135_1905:
	s_and_b32 s6, 0xffff, s25
	s_cmp_lt_i32 s6, 5
	s_cbranch_scc1 .LBB135_1910
; %bb.1906:
	s_cmp_lt_i32 s6, 8
	s_cbranch_scc1 .LBB135_1912
; %bb.1907:
	;; [unrolled: 3-line block ×3, first 2 shown]
	s_cmp_gt_i32 s6, 9
	s_cbranch_scc0 .LBB135_1914
; %bb.1909:
	global_load_dwordx4 v[22:25], v[18:19], off
	s_mov_b64 s[0:1], 0
	s_waitcnt vmcnt(0)
	v_cvt_f32_f64_e32 v22, v[22:23]
	v_cvt_f32_f64_e32 v23, v[24:25]
	s_branch .LBB135_1915
.LBB135_1910:
                                        ; implicit-def: $vgpr23
	s_branch .LBB135_1934
.LBB135_1911:
	s_branch .LBB135_1954
.LBB135_1912:
	s_mov_b64 s[0:1], -1
                                        ; implicit-def: $vgpr23
	s_branch .LBB135_1921
.LBB135_1913:
	s_mov_b64 s[0:1], -1
                                        ; implicit-def: $vgpr23
	s_branch .LBB135_1918
.LBB135_1914:
	s_mov_b64 s[0:1], -1
                                        ; implicit-def: $vgpr23
.LBB135_1915:
	s_andn2_b64 vcc, exec, s[0:1]
	s_cbranch_vccnz .LBB135_1917
; %bb.1916:
	global_load_dwordx2 v[22:23], v[18:19], off
.LBB135_1917:
	s_mov_b64 s[0:1], 0
.LBB135_1918:
	s_andn2_b64 vcc, exec, s[0:1]
	s_cbranch_vccnz .LBB135_1920
; %bb.1919:
	global_load_dword v1, v[18:19], off
	s_waitcnt vmcnt(0)
	v_cvt_f32_f16_e32 v22, v1
	v_cvt_f32_f16_sdwa v23, v1 dst_sel:DWORD dst_unused:UNUSED_PAD src0_sel:WORD_1
.LBB135_1920:
	s_mov_b64 s[0:1], 0
.LBB135_1921:
	s_andn2_b64 vcc, exec, s[0:1]
	s_cbranch_vccnz .LBB135_1933
; %bb.1922:
	s_cmp_lt_i32 s6, 6
	s_cbranch_scc1 .LBB135_1925
; %bb.1923:
	s_cmp_gt_i32 s6, 6
	s_cbranch_scc0 .LBB135_1926
; %bb.1924:
	global_load_dwordx2 v[22:23], v[18:19], off
	s_mov_b64 s[0:1], 0
	s_waitcnt vmcnt(0)
	v_cvt_f32_f64_e32 v22, v[22:23]
	s_branch .LBB135_1927
.LBB135_1925:
	s_mov_b64 s[0:1], -1
                                        ; implicit-def: $vgpr22
	s_branch .LBB135_1930
.LBB135_1926:
	s_mov_b64 s[0:1], -1
                                        ; implicit-def: $vgpr22
.LBB135_1927:
	s_andn2_b64 vcc, exec, s[0:1]
	s_cbranch_vccnz .LBB135_1929
; %bb.1928:
	global_load_dword v22, v[18:19], off
.LBB135_1929:
	s_mov_b64 s[0:1], 0
.LBB135_1930:
	s_andn2_b64 vcc, exec, s[0:1]
	s_cbranch_vccnz .LBB135_1932
; %bb.1931:
	global_load_ushort v1, v[18:19], off
	s_waitcnt vmcnt(0)
	v_cvt_f32_f16_e32 v22, v1
.LBB135_1932:
	s_waitcnt vmcnt(0)
	v_mov_b32_e32 v23, 0
.LBB135_1933:
	s_cbranch_execnz .LBB135_1911
.LBB135_1934:
	s_cmp_lt_i32 s6, 2
	s_cbranch_scc1 .LBB135_1938
; %bb.1935:
	s_cmp_lt_i32 s6, 3
	s_cbranch_scc1 .LBB135_1939
; %bb.1936:
	s_cmp_gt_i32 s6, 3
	s_cbranch_scc0 .LBB135_1940
; %bb.1937:
	global_load_dwordx2 v[22:23], v[18:19], off
	s_mov_b64 s[0:1], 0
	s_waitcnt vmcnt(0)
	v_xor_b32_e32 v3, v22, v23
	v_ffbh_i32_e32 v1, v23
	v_ashrrev_i32_e32 v3, 31, v3
	v_add_u32_e32 v1, -1, v1
	v_add_u32_e32 v3, 32, v3
	v_min_u32_e32 v1, v1, v3
	v_lshlrev_b64 v[22:23], v1, v[22:23]
	v_sub_u32_e32 v1, 32, v1
	v_min_u32_e32 v3, 1, v22
	v_or_b32_e32 v3, v23, v3
	v_cvt_f32_i32_e32 v3, v3
	v_ldexp_f32 v22, v3, v1
	s_branch .LBB135_1941
.LBB135_1938:
	s_mov_b64 s[0:1], -1
                                        ; implicit-def: $vgpr22
	s_branch .LBB135_1947
.LBB135_1939:
	s_mov_b64 s[0:1], -1
                                        ; implicit-def: $vgpr22
	s_branch .LBB135_1944
.LBB135_1940:
	s_mov_b64 s[0:1], -1
                                        ; implicit-def: $vgpr22
.LBB135_1941:
	s_andn2_b64 vcc, exec, s[0:1]
	s_cbranch_vccnz .LBB135_1943
; %bb.1942:
	global_load_dword v1, v[18:19], off
	s_waitcnt vmcnt(0)
	v_cvt_f32_i32_e32 v22, v1
.LBB135_1943:
	s_mov_b64 s[0:1], 0
.LBB135_1944:
	s_andn2_b64 vcc, exec, s[0:1]
	s_cbranch_vccnz .LBB135_1946
; %bb.1945:
	global_load_sshort v1, v[18:19], off
	s_waitcnt vmcnt(0)
	v_cvt_f32_i32_e32 v22, v1
.LBB135_1946:
	s_mov_b64 s[0:1], 0
.LBB135_1947:
	s_andn2_b64 vcc, exec, s[0:1]
	s_cbranch_vccnz .LBB135_1953
; %bb.1948:
	s_cmp_gt_i32 s6, 0
	s_cbranch_scc0 .LBB135_1950
; %bb.1949:
	global_load_sbyte v1, v[18:19], off
	s_mov_b64 s[0:1], 0
	s_waitcnt vmcnt(0)
	v_cvt_f32_i32_e32 v22, v1
	s_branch .LBB135_1951
.LBB135_1950:
	s_mov_b64 s[0:1], -1
                                        ; implicit-def: $vgpr22
.LBB135_1951:
	s_andn2_b64 vcc, exec, s[0:1]
	s_cbranch_vccnz .LBB135_1953
; %bb.1952:
	global_load_ubyte v1, v[18:19], off
	s_waitcnt vmcnt(0)
	v_cvt_f32_ubyte0_e32 v22, v1
.LBB135_1953:
	s_waitcnt vmcnt(0)
	v_mov_b32_e32 v23, 0
.LBB135_1954:
	s_load_dword s0, s[2:3], 0x1a0
	s_waitcnt lgkmcnt(0)
	s_cmp_lg_u32 s0, 0
	s_cselect_b64 s[18:19], -1, 0
	s_and_b64 vcc, exec, s[18:19]
	s_cbranch_vccz .LBB135_1966
; %bb.1955:
	s_waitcnt vmcnt(0)
	v_cmp_neq_f32_e32 vcc, v20, v22
	v_cmp_neq_f32_e64 s[0:1], v21, v23
	s_or_b64 s[6:7], vcc, s[0:1]
	s_cbranch_execnz .LBB135_1957
.LBB135_1956:
	s_waitcnt vmcnt(0)
	v_cmp_eq_f32_e32 vcc, v20, v22
	v_cmp_eq_f32_e64 s[0:1], v21, v23
	s_and_b64 s[0:1], vcc, s[0:1]
	s_andn2_b64 s[6:7], s[6:7], exec
	s_and_b64 s[0:1], s[0:1], exec
	s_or_b64 s[6:7], s[6:7], s[0:1]
.LBB135_1957:
	s_lshr_b32 s0, s24, 8
	s_lshr_b32 s28, s24, 16
	v_mov_b32_e32 v1, s11
	s_and_b32 s30, s0, 0xff
	v_add_co_u32_e32 v18, vcc, s10, v17
	s_cmp_lt_i32 s30, 11
	v_addc_co_u32_e32 v19, vcc, 0, v1, vcc
	s_cbranch_scc1 .LBB135_1964
; %bb.1958:
	s_and_b32 s29, 0xffff, s30
	s_cmp_gt_i32 s29, 25
	s_mov_b64 s[20:21], 0
	s_cbranch_scc0 .LBB135_1967
; %bb.1959:
	s_cmp_gt_i32 s29, 28
	s_cbranch_scc0 .LBB135_1978
; %bb.1960:
	s_cmp_gt_i32 s29, 43
	;; [unrolled: 3-line block ×3, first 2 shown]
	s_cbranch_scc0 .LBB135_1983
; %bb.1962:
	s_cmp_eq_u32 s29, 46
	s_mov_b64 s[24:25], 0
	s_cbranch_scc0 .LBB135_2037
; %bb.1963:
	global_load_dword v1, v[18:19], off
	s_mov_b64 s[0:1], 0
	s_mov_b64 s[22:23], -1
	s_waitcnt vmcnt(0)
	v_and_b32_e32 v17, 0xffff0000, v1
	v_lshlrev_b32_e32 v16, 16, v1
	s_branch .LBB135_2038
.LBB135_1964:
	s_mov_b64 s[22:23], 0
                                        ; implicit-def: $vgpr17
	s_cbranch_execnz .LBB135_1972
.LBB135_1965:
	s_andn2_b64 vcc, exec, s[22:23]
	s_cbranch_vccnz .LBB135_2781
	s_branch .LBB135_2026
.LBB135_1966:
                                        ; implicit-def: $sgpr6_sgpr7
	s_branch .LBB135_1956
.LBB135_1967:
	s_mov_b64 s[22:23], 0
	s_mov_b64 s[0:1], 0
                                        ; implicit-def: $vgpr17
	s_cbranch_execnz .LBB135_2070
.LBB135_1968:
	s_and_b64 vcc, exec, s[0:1]
	s_cbranch_vccnz .LBB135_2103
.LBB135_1969:
	s_andn2_b64 vcc, exec, s[20:21]
	s_cbranch_vccnz .LBB135_1971
.LBB135_1970:
	global_load_ubyte v1, v[18:19], off
	v_mov_b32_e32 v17, 0
	s_mov_b64 s[22:23], -1
	s_waitcnt vmcnt(0)
	v_cmp_ne_u16_e32 vcc, 0, v1
	v_cndmask_b32_e64 v16, 0, 1.0, vcc
.LBB135_1971:
	s_branch .LBB135_1965
.LBB135_1972:
	s_and_b32 s20, 0xffff, s30
	s_cmp_lt_i32 s20, 5
	s_cbranch_scc1 .LBB135_1977
; %bb.1973:
	s_cmp_lt_i32 s20, 8
	s_cbranch_scc1 .LBB135_1979
; %bb.1974:
	;; [unrolled: 3-line block ×3, first 2 shown]
	s_cmp_gt_i32 s20, 9
	s_cbranch_scc0 .LBB135_1984
; %bb.1976:
	global_load_dwordx4 v[20:23], v[18:19], off
	s_mov_b64 s[0:1], 0
	s_waitcnt vmcnt(0)
	v_cvt_f32_f64_e32 v16, v[20:21]
	v_cvt_f32_f64_e32 v17, v[22:23]
	s_branch .LBB135_1985
.LBB135_1977:
	s_mov_b64 s[0:1], -1
                                        ; implicit-def: $vgpr17
	s_branch .LBB135_2004
.LBB135_1978:
	s_mov_b64 s[24:25], -1
	s_mov_b64 s[22:23], 0
	s_mov_b64 s[0:1], 0
                                        ; implicit-def: $vgpr17
	s_branch .LBB135_2051
.LBB135_1979:
	s_mov_b64 s[0:1], -1
                                        ; implicit-def: $vgpr17
	s_branch .LBB135_1991
.LBB135_1980:
	s_mov_b64 s[24:25], -1
	s_mov_b64 s[22:23], 0
	s_mov_b64 s[0:1], 0
                                        ; implicit-def: $vgpr17
	s_branch .LBB135_2045
.LBB135_1981:
	s_mov_b64 s[0:1], -1
                                        ; implicit-def: $vgpr17
	s_branch .LBB135_1988
.LBB135_1982:
	s_trap 2
	s_or_b64 s[4:5], s[4:5], exec
	s_cbranch_execz .LBB135_1903
	s_branch .LBB135_1904
.LBB135_1983:
	s_mov_b64 s[24:25], -1
	s_mov_b64 s[22:23], 0
	s_mov_b64 s[0:1], 0
                                        ; implicit-def: $vgpr17
	s_branch .LBB135_2038
.LBB135_1984:
	s_mov_b64 s[0:1], -1
                                        ; implicit-def: $vgpr17
.LBB135_1985:
	s_andn2_b64 vcc, exec, s[0:1]
	s_cbranch_vccnz .LBB135_1987
; %bb.1986:
	global_load_dwordx2 v[16:17], v[18:19], off
.LBB135_1987:
	s_mov_b64 s[0:1], 0
.LBB135_1988:
	s_andn2_b64 vcc, exec, s[0:1]
	s_cbranch_vccnz .LBB135_1990
; %bb.1989:
	global_load_dword v1, v[18:19], off
	s_waitcnt vmcnt(0)
	v_cvt_f32_f16_e32 v16, v1
	v_cvt_f32_f16_sdwa v17, v1 dst_sel:DWORD dst_unused:UNUSED_PAD src0_sel:WORD_1
.LBB135_1990:
	s_mov_b64 s[0:1], 0
.LBB135_1991:
	s_andn2_b64 vcc, exec, s[0:1]
	s_cbranch_vccnz .LBB135_2003
; %bb.1992:
	s_cmp_lt_i32 s20, 6
	s_cbranch_scc1 .LBB135_1995
; %bb.1993:
	s_cmp_gt_i32 s20, 6
	s_cbranch_scc0 .LBB135_1996
; %bb.1994:
	global_load_dwordx2 v[16:17], v[18:19], off
	s_mov_b64 s[0:1], 0
	s_waitcnt vmcnt(0)
	v_cvt_f32_f64_e32 v16, v[16:17]
	s_branch .LBB135_1997
.LBB135_1995:
	s_mov_b64 s[0:1], -1
                                        ; implicit-def: $vgpr16
	s_branch .LBB135_2000
.LBB135_1996:
	s_mov_b64 s[0:1], -1
                                        ; implicit-def: $vgpr16
.LBB135_1997:
	s_andn2_b64 vcc, exec, s[0:1]
	s_cbranch_vccnz .LBB135_1999
; %bb.1998:
	global_load_dword v16, v[18:19], off
.LBB135_1999:
	s_mov_b64 s[0:1], 0
.LBB135_2000:
	s_andn2_b64 vcc, exec, s[0:1]
	s_cbranch_vccnz .LBB135_2002
; %bb.2001:
	global_load_ushort v1, v[18:19], off
	s_waitcnt vmcnt(0)
	v_cvt_f32_f16_e32 v16, v1
.LBB135_2002:
	s_waitcnt vmcnt(0)
	v_mov_b32_e32 v17, 0
.LBB135_2003:
	s_mov_b64 s[0:1], 0
.LBB135_2004:
	s_andn2_b64 vcc, exec, s[0:1]
	s_cbranch_vccnz .LBB135_2025
; %bb.2005:
	s_cmp_lt_i32 s20, 2
	s_cbranch_scc1 .LBB135_2009
; %bb.2006:
	s_cmp_lt_i32 s20, 3
	s_cbranch_scc1 .LBB135_2010
; %bb.2007:
	s_cmp_gt_i32 s20, 3
	s_cbranch_scc0 .LBB135_2011
; %bb.2008:
	global_load_dwordx2 v[16:17], v[18:19], off
	s_mov_b64 s[0:1], 0
	s_waitcnt vmcnt(0)
	v_xor_b32_e32 v3, v16, v17
	v_ffbh_i32_e32 v1, v17
	v_ashrrev_i32_e32 v3, 31, v3
	v_add_u32_e32 v1, -1, v1
	v_add_u32_e32 v3, 32, v3
	v_min_u32_e32 v1, v1, v3
	v_lshlrev_b64 v[16:17], v1, v[16:17]
	v_sub_u32_e32 v1, 32, v1
	v_min_u32_e32 v3, 1, v16
	v_or_b32_e32 v3, v17, v3
	v_cvt_f32_i32_e32 v3, v3
	v_ldexp_f32 v16, v3, v1
	s_branch .LBB135_2012
.LBB135_2009:
	s_mov_b64 s[0:1], -1
                                        ; implicit-def: $vgpr16
	s_branch .LBB135_2018
.LBB135_2010:
	s_mov_b64 s[0:1], -1
                                        ; implicit-def: $vgpr16
	s_branch .LBB135_2015
.LBB135_2011:
	s_mov_b64 s[0:1], -1
                                        ; implicit-def: $vgpr16
.LBB135_2012:
	s_andn2_b64 vcc, exec, s[0:1]
	s_cbranch_vccnz .LBB135_2014
; %bb.2013:
	global_load_dword v1, v[18:19], off
	s_waitcnt vmcnt(0)
	v_cvt_f32_i32_e32 v16, v1
.LBB135_2014:
	s_mov_b64 s[0:1], 0
.LBB135_2015:
	s_andn2_b64 vcc, exec, s[0:1]
	s_cbranch_vccnz .LBB135_2017
; %bb.2016:
	global_load_sshort v1, v[18:19], off
	s_waitcnt vmcnt(0)
	v_cvt_f32_i32_e32 v16, v1
.LBB135_2017:
	s_mov_b64 s[0:1], 0
.LBB135_2018:
	s_andn2_b64 vcc, exec, s[0:1]
	s_cbranch_vccnz .LBB135_2024
; %bb.2019:
	s_cmp_gt_i32 s20, 0
	s_cbranch_scc0 .LBB135_2021
; %bb.2020:
	global_load_sbyte v1, v[18:19], off
	s_mov_b64 s[0:1], 0
	s_waitcnt vmcnt(0)
	v_cvt_f32_i32_e32 v16, v1
	s_branch .LBB135_2022
.LBB135_2021:
	s_mov_b64 s[0:1], -1
                                        ; implicit-def: $vgpr16
.LBB135_2022:
	s_andn2_b64 vcc, exec, s[0:1]
	s_cbranch_vccnz .LBB135_2024
; %bb.2023:
	global_load_ubyte v1, v[18:19], off
	s_waitcnt vmcnt(0)
	v_cvt_f32_ubyte0_e32 v16, v1
.LBB135_2024:
	s_waitcnt vmcnt(0)
	v_mov_b32_e32 v17, 0
.LBB135_2025:
.LBB135_2026:
	v_mov_b32_e32 v1, s17
	s_and_b32 s31, s28, 0xff
	v_add_co_u32_e32 v14, vcc, s16, v15
	s_cmp_lt_i32 s31, 11
	v_addc_co_u32_e32 v15, vcc, 0, v1, vcc
	s_cbranch_scc1 .LBB135_2033
; %bb.2027:
	s_and_b32 s28, 0xffff, s31
	s_cmp_gt_i32 s28, 25
	s_mov_b64 s[20:21], 0
	s_cbranch_scc0 .LBB135_2034
; %bb.2028:
	s_cmp_gt_i32 s28, 28
	s_cbranch_scc0 .LBB135_2035
; %bb.2029:
	s_cmp_gt_i32 s28, 43
	;; [unrolled: 3-line block ×3, first 2 shown]
	s_cbranch_scc0 .LBB135_2041
; %bb.2031:
	s_cmp_eq_u32 s28, 46
	s_mov_b64 s[24:25], 0
	s_cbranch_scc0 .LBB135_2104
; %bb.2032:
	global_load_dword v1, v[14:15], off
	s_mov_b64 s[0:1], 0
	s_mov_b64 s[22:23], -1
	s_waitcnt vmcnt(0)
	v_and_b32_e32 v19, 0xffff0000, v1
	v_lshlrev_b32_e32 v18, 16, v1
	s_branch .LBB135_2105
.LBB135_2033:
	s_mov_b64 s[0:1], -1
	s_mov_b64 s[22:23], 0
                                        ; implicit-def: $vgpr19
	s_branch .LBB135_2151
.LBB135_2034:
	s_mov_b64 s[24:25], -1
	s_mov_b64 s[22:23], 0
	s_mov_b64 s[0:1], 0
                                        ; implicit-def: $vgpr19
	s_branch .LBB135_2136
.LBB135_2035:
	s_mov_b64 s[24:25], -1
	s_mov_b64 s[22:23], 0
	s_mov_b64 s[0:1], 0
                                        ; implicit-def: $vgpr19
	s_branch .LBB135_2117
.LBB135_2036:
	s_mov_b64 s[24:25], -1
	s_mov_b64 s[22:23], 0
	s_mov_b64 s[0:1], 0
                                        ; implicit-def: $vgpr19
	s_branch .LBB135_2111
.LBB135_2037:
	s_mov_b64 s[0:1], -1
                                        ; implicit-def: $vgpr17
	s_mov_b64 s[22:23], 0
.LBB135_2038:
	s_and_b64 vcc, exec, s[24:25]
	s_cbranch_vccz .LBB135_2044
; %bb.2039:
	s_cmp_eq_u32 s29, 44
	s_cbranch_scc0 .LBB135_2042
; %bb.2040:
	global_load_ubyte v1, v[18:19], off
	s_movk_i32 s22, 0xff
	v_mov_b32_e32 v3, 0x7f800001
	v_mov_b32_e32 v5, 0x400000
	s_mov_b64 s[0:1], 0
	s_waitcnt vmcnt(0)
	v_lshlrev_b32_e32 v8, 23, v1
	v_cmp_ne_u32_e32 vcc, s22, v1
	v_cndmask_b32_e32 v3, v3, v8, vcc
	v_cmp_ne_u32_e32 vcc, 0, v1
	v_cndmask_b32_e32 v16, v5, v3, vcc
	s_mov_b64 s[22:23], -1
	s_branch .LBB135_2043
.LBB135_2041:
	s_mov_b64 s[24:25], -1
	s_mov_b64 s[22:23], 0
	s_mov_b64 s[0:1], 0
                                        ; implicit-def: $vgpr19
	s_branch .LBB135_2105
.LBB135_2042:
	s_mov_b64 s[0:1], -1
                                        ; implicit-def: $vgpr16
.LBB135_2043:
	v_mov_b32_e32 v17, 0
.LBB135_2044:
	s_mov_b64 s[24:25], 0
.LBB135_2045:
	s_and_b64 vcc, exec, s[24:25]
	s_cbranch_vccz .LBB135_2050
; %bb.2046:
	s_cmp_eq_u32 s29, 29
	s_cbranch_scc0 .LBB135_2048
; %bb.2047:
	global_load_dwordx2 v[16:17], v[18:19], off
	s_mov_b64 s[0:1], 0
	s_mov_b64 s[22:23], -1
	s_waitcnt vmcnt(0)
	v_ffbh_u32_e32 v1, v17
	v_min_u32_e32 v1, 32, v1
	v_lshlrev_b64 v[16:17], v1, v[16:17]
	v_sub_u32_e32 v1, 32, v1
	v_min_u32_e32 v3, 1, v16
	v_or_b32_e32 v3, v17, v3
	v_cvt_f32_u32_e32 v3, v3
	v_ldexp_f32 v16, v3, v1
	s_branch .LBB135_2049
.LBB135_2048:
	s_mov_b64 s[0:1], -1
                                        ; implicit-def: $vgpr16
.LBB135_2049:
	v_mov_b32_e32 v17, 0
.LBB135_2050:
	s_mov_b64 s[24:25], 0
.LBB135_2051:
	s_and_b64 vcc, exec, s[24:25]
	s_cbranch_vccz .LBB135_2069
; %bb.2052:
	s_cmp_lt_i32 s29, 27
	s_cbranch_scc1 .LBB135_2055
; %bb.2053:
	s_cmp_gt_i32 s29, 27
	s_cbranch_scc0 .LBB135_2056
; %bb.2054:
	global_load_dword v1, v[18:19], off
	s_mov_b64 s[22:23], 0
	s_waitcnt vmcnt(0)
	v_cvt_f32_u32_e32 v16, v1
	s_branch .LBB135_2057
.LBB135_2055:
	s_mov_b64 s[22:23], -1
                                        ; implicit-def: $vgpr16
	s_branch .LBB135_2060
.LBB135_2056:
	s_mov_b64 s[22:23], -1
                                        ; implicit-def: $vgpr16
.LBB135_2057:
	s_andn2_b64 vcc, exec, s[22:23]
	s_cbranch_vccnz .LBB135_2059
; %bb.2058:
	global_load_ushort v1, v[18:19], off
	s_waitcnt vmcnt(0)
	v_cvt_f32_u32_e32 v16, v1
.LBB135_2059:
	s_mov_b64 s[22:23], 0
.LBB135_2060:
	s_andn2_b64 vcc, exec, s[22:23]
	s_cbranch_vccnz .LBB135_2068
; %bb.2061:
	global_load_ubyte v1, v[18:19], off
	s_movk_i32 s22, 0x7f
	s_waitcnt vmcnt(0)
	v_cmp_lt_i16_e32 vcc, s22, v1
	s_mov_b64 s[22:23], 0
	s_and_saveexec_b64 s[24:25], vcc
	s_xor_b64 s[24:25], exec, s[24:25]
	s_cbranch_execz .LBB135_2081
; %bb.2062:
	s_movk_i32 s22, 0x80
	v_cmp_eq_u16_e32 vcc, s22, v1
	s_mov_b64 s[22:23], -1
	s_and_saveexec_b64 s[26:27], vcc
; %bb.2063:
	s_xor_b64 s[22:23], exec, -1
; %bb.2064:
	s_or_b64 exec, exec, s[26:27]
	s_and_b64 s[22:23], s[22:23], exec
	s_or_saveexec_b64 s[24:25], s[24:25]
	v_mov_b32_e32 v16, 0x7f800001
	s_xor_b64 exec, exec, s[24:25]
	s_cbranch_execnz .LBB135_2082
.LBB135_2065:
	s_or_b64 exec, exec, s[24:25]
	s_and_saveexec_b64 s[24:25], s[22:23]
	s_cbranch_execz .LBB135_2067
.LBB135_2066:
	v_lshlrev_b32_e32 v3, 24, v1
	v_and_b32_e32 v1, 0xffff, v1
	v_and_b32_e32 v5, 7, v1
	v_ffbh_u32_e32 v10, v5
	v_min_u32_e32 v10, 32, v10
	v_subrev_u32_e32 v12, 28, v10
	v_bfe_u32 v8, v1, 3, 4
	v_lshlrev_b32_e32 v1, v12, v1
	v_sub_u32_e32 v10, 29, v10
	v_and_b32_e32 v1, 7, v1
	v_cmp_eq_u32_e32 vcc, 0, v8
	v_cndmask_b32_e32 v8, v8, v10, vcc
	v_cndmask_b32_e32 v1, v5, v1, vcc
	v_mov_b32_e32 v5, 0x3b800000
	v_lshlrev_b32_e32 v1, 20, v1
	v_and_b32_e32 v3, 0x80000000, v3
	v_lshl_add_u32 v5, v8, 23, v5
	v_or3_b32 v16, v3, v5, v1
.LBB135_2067:
	s_or_b64 exec, exec, s[24:25]
.LBB135_2068:
	s_mov_b64 s[22:23], -1
	v_mov_b32_e32 v17, 0
.LBB135_2069:
	s_branch .LBB135_1968
.LBB135_2070:
	s_cmp_gt_i32 s29, 22
	s_cbranch_scc0 .LBB135_2080
; %bb.2071:
	s_cmp_lt_i32 s29, 24
	s_cbranch_scc1 .LBB135_2083
; %bb.2072:
	s_cmp_gt_i32 s29, 24
	s_cbranch_scc0 .LBB135_2084
; %bb.2073:
	global_load_ubyte v1, v[18:19], off
	s_movk_i32 s20, 0x7f
	s_waitcnt vmcnt(0)
	v_cmp_lt_i16_e32 vcc, s20, v1
	s_mov_b64 s[20:21], 0
	s_and_saveexec_b64 s[22:23], vcc
	s_xor_b64 s[22:23], exec, s[22:23]
	s_cbranch_execz .LBB135_2096
; %bb.2074:
	s_movk_i32 s20, 0x80
	v_cmp_eq_u16_e32 vcc, s20, v1
	s_mov_b64 s[20:21], -1
	s_and_saveexec_b64 s[24:25], vcc
; %bb.2075:
	s_xor_b64 s[20:21], exec, -1
; %bb.2076:
	s_or_b64 exec, exec, s[24:25]
	s_and_b64 s[20:21], s[20:21], exec
	s_or_saveexec_b64 s[22:23], s[22:23]
	v_mov_b32_e32 v16, 0x7f800001
	s_xor_b64 exec, exec, s[22:23]
	s_cbranch_execnz .LBB135_2097
.LBB135_2077:
	s_or_b64 exec, exec, s[22:23]
	s_and_saveexec_b64 s[22:23], s[20:21]
	s_cbranch_execz .LBB135_2079
.LBB135_2078:
	v_lshlrev_b32_e32 v3, 24, v1
	v_and_b32_e32 v1, 0xffff, v1
	v_and_b32_e32 v5, 3, v1
	v_ffbh_u32_e32 v10, v5
	v_min_u32_e32 v10, 32, v10
	v_subrev_u32_e32 v12, 29, v10
	v_bfe_u32 v8, v1, 2, 5
	v_lshlrev_b32_e32 v1, v12, v1
	v_sub_u32_e32 v10, 30, v10
	v_and_b32_e32 v1, 3, v1
	v_cmp_eq_u32_e32 vcc, 0, v8
	v_cndmask_b32_e32 v8, v8, v10, vcc
	v_cndmask_b32_e32 v1, v5, v1, vcc
	v_mov_b32_e32 v5, 0x37800000
	v_lshlrev_b32_e32 v1, 21, v1
	v_and_b32_e32 v3, 0x80000000, v3
	v_lshl_add_u32 v5, v8, 23, v5
	v_or3_b32 v16, v3, v5, v1
.LBB135_2079:
	s_or_b64 exec, exec, s[22:23]
	s_mov_b64 s[20:21], 0
	s_branch .LBB135_2085
.LBB135_2080:
	s_mov_b64 s[20:21], -1
                                        ; implicit-def: $vgpr16
	s_branch .LBB135_2091
.LBB135_2081:
	s_or_saveexec_b64 s[24:25], s[24:25]
	v_mov_b32_e32 v16, 0x7f800001
	s_xor_b64 exec, exec, s[24:25]
	s_cbranch_execz .LBB135_2065
.LBB135_2082:
	v_cmp_ne_u16_e32 vcc, 0, v1
	s_andn2_b64 s[22:23], s[22:23], exec
	s_and_b64 s[26:27], vcc, exec
	v_mov_b32_e32 v16, 0
	s_or_b64 s[22:23], s[22:23], s[26:27]
	s_or_b64 exec, exec, s[24:25]
	s_and_saveexec_b64 s[24:25], s[22:23]
	s_cbranch_execnz .LBB135_2066
	s_branch .LBB135_2067
.LBB135_2083:
	s_mov_b64 s[20:21], -1
                                        ; implicit-def: $vgpr16
	s_branch .LBB135_2088
.LBB135_2084:
	s_mov_b64 s[20:21], -1
                                        ; implicit-def: $vgpr16
.LBB135_2085:
	s_and_b64 vcc, exec, s[20:21]
	s_cbranch_vccz .LBB135_2087
; %bb.2086:
	global_load_ubyte v1, v[18:19], off
	s_mov_b32 s20, 0x7f800000
	s_waitcnt vmcnt(0)
	v_lshlrev_b32_e32 v1, 24, v1
	v_and_b32_e32 v3, 0x7f000000, v1
	v_ffbh_u32_e32 v5, v3
	v_min_u32_e32 v5, 32, v5
	v_sub_u32_e64 v5, v5, 4 clamp
	v_lshlrev_b32_e32 v10, v5, v3
	v_lshlrev_b32_e32 v5, 23, v5
	v_lshrrev_b32_e32 v10, 4, v10
	v_add_u32_e32 v8, 0x1000000, v3
	v_sub_u32_e32 v5, v10, v5
	v_ashrrev_i32_e32 v8, 8, v8
	v_add_u32_e32 v5, 0x3c000000, v5
	v_and_or_b32 v5, v8, s20, v5
	v_cmp_ne_u32_e32 vcc, 0, v3
	v_cndmask_b32_e32 v3, 0, v5, vcc
	s_brev_b32 s20, 1
	v_and_or_b32 v16, v1, s20, v3
.LBB135_2087:
	s_mov_b64 s[20:21], 0
.LBB135_2088:
	s_andn2_b64 vcc, exec, s[20:21]
	s_cbranch_vccnz .LBB135_2090
; %bb.2089:
	global_load_ubyte v1, v[18:19], off
	s_movk_i32 s20, 0x7f00
	s_brev_b32 s21, 16
	s_waitcnt vmcnt(0)
	v_lshlrev_b16_e32 v3, 8, v1
	v_lshlrev_b32_e32 v1, 25, v1
	v_lshrrev_b32_e32 v5, 4, v1
	v_and_or_b32 v8, v3, s20, 0.5
	v_or_b32_e32 v5, 0x70000000, v5
	v_add_f32_e32 v8, -0.5, v8
	v_mul_f32_e32 v5, 0x7800000, v5
	v_cmp_gt_u32_e32 vcc, s21, v1
	v_bfe_i32 v3, v3, 0, 16
	v_cndmask_b32_e32 v1, v5, v8, vcc
	s_brev_b32 s20, 1
	v_and_or_b32 v16, v3, s20, v1
.LBB135_2090:
	s_mov_b64 s[20:21], 0
	s_mov_b64 s[22:23], -1
.LBB135_2091:
	s_andn2_b64 vcc, exec, s[20:21]
	s_mov_b64 s[20:21], 0
	s_cbranch_vccnz .LBB135_2102
; %bb.2092:
	s_cmp_gt_i32 s29, 14
	s_cbranch_scc0 .LBB135_2095
; %bb.2093:
	s_cmp_eq_u32 s29, 15
	s_cbranch_scc0 .LBB135_2098
; %bb.2094:
	global_load_ushort v1, v[18:19], off
	s_mov_b64 s[0:1], 0
	s_mov_b64 s[22:23], -1
	s_waitcnt vmcnt(0)
	v_lshlrev_b32_e32 v16, 16, v1
	s_branch .LBB135_2099
.LBB135_2095:
	s_mov_b64 s[24:25], -1
                                        ; implicit-def: $vgpr16
	s_branch .LBB135_2100
.LBB135_2096:
	s_or_saveexec_b64 s[22:23], s[22:23]
	v_mov_b32_e32 v16, 0x7f800001
	s_xor_b64 exec, exec, s[22:23]
	s_cbranch_execz .LBB135_2077
.LBB135_2097:
	v_cmp_ne_u16_e32 vcc, 0, v1
	s_andn2_b64 s[20:21], s[20:21], exec
	s_and_b64 s[24:25], vcc, exec
	v_mov_b32_e32 v16, 0
	s_or_b64 s[20:21], s[20:21], s[24:25]
	s_or_b64 exec, exec, s[22:23]
	s_and_saveexec_b64 s[22:23], s[20:21]
	s_cbranch_execnz .LBB135_2078
	s_branch .LBB135_2079
.LBB135_2098:
	s_mov_b64 s[0:1], -1
                                        ; implicit-def: $vgpr16
.LBB135_2099:
	s_mov_b64 s[24:25], 0
.LBB135_2100:
	s_and_b64 vcc, exec, s[24:25]
	s_cbranch_vccz .LBB135_2102
; %bb.2101:
	s_cmp_lg_u32 s29, 11
	s_mov_b64 s[20:21], -1
	s_cselect_b64 s[0:1], -1, 0
.LBB135_2102:
	v_mov_b32_e32 v17, 0
	s_and_b64 vcc, exec, s[0:1]
	s_cbranch_vccz .LBB135_1969
.LBB135_2103:
	s_trap 2
	s_or_b64 s[4:5], s[4:5], exec
	s_cbranch_execz .LBB135_1970
	s_branch .LBB135_1971
.LBB135_2104:
	s_mov_b64 s[0:1], -1
                                        ; implicit-def: $vgpr19
	s_mov_b64 s[22:23], 0
.LBB135_2105:
	s_and_b64 vcc, exec, s[24:25]
	s_cbranch_vccz .LBB135_2110
; %bb.2106:
	s_cmp_eq_u32 s28, 44
	s_cbranch_scc0 .LBB135_2108
; %bb.2107:
	global_load_ubyte v1, v[14:15], off
	s_movk_i32 s22, 0xff
	v_mov_b32_e32 v3, 0x7f800001
	v_mov_b32_e32 v5, 0x400000
	s_mov_b64 s[0:1], 0
	s_waitcnt vmcnt(0)
	v_lshlrev_b32_e32 v8, 23, v1
	v_cmp_ne_u32_e32 vcc, s22, v1
	v_cndmask_b32_e32 v3, v3, v8, vcc
	v_cmp_ne_u32_e32 vcc, 0, v1
	v_cndmask_b32_e32 v18, v5, v3, vcc
	s_mov_b64 s[22:23], -1
	s_branch .LBB135_2109
.LBB135_2108:
	s_mov_b64 s[0:1], -1
                                        ; implicit-def: $vgpr18
.LBB135_2109:
	v_mov_b32_e32 v19, 0
.LBB135_2110:
	s_mov_b64 s[24:25], 0
.LBB135_2111:
	s_and_b64 vcc, exec, s[24:25]
	s_cbranch_vccz .LBB135_2116
; %bb.2112:
	s_cmp_eq_u32 s28, 29
	s_cbranch_scc0 .LBB135_2114
; %bb.2113:
	global_load_dwordx2 v[18:19], v[14:15], off
	s_mov_b64 s[0:1], 0
	s_mov_b64 s[22:23], -1
	s_waitcnt vmcnt(0)
	v_ffbh_u32_e32 v1, v19
	v_min_u32_e32 v1, 32, v1
	v_lshlrev_b64 v[18:19], v1, v[18:19]
	v_sub_u32_e32 v1, 32, v1
	v_min_u32_e32 v3, 1, v18
	v_or_b32_e32 v3, v19, v3
	v_cvt_f32_u32_e32 v3, v3
	v_ldexp_f32 v18, v3, v1
	s_branch .LBB135_2115
.LBB135_2114:
	s_mov_b64 s[0:1], -1
                                        ; implicit-def: $vgpr18
.LBB135_2115:
	v_mov_b32_e32 v19, 0
.LBB135_2116:
	s_mov_b64 s[24:25], 0
.LBB135_2117:
	s_and_b64 vcc, exec, s[24:25]
	s_cbranch_vccz .LBB135_2135
; %bb.2118:
	s_cmp_lt_i32 s28, 27
	s_cbranch_scc1 .LBB135_2121
; %bb.2119:
	s_cmp_gt_i32 s28, 27
	s_cbranch_scc0 .LBB135_2122
; %bb.2120:
	global_load_dword v1, v[14:15], off
	s_mov_b64 s[22:23], 0
	s_waitcnt vmcnt(0)
	v_cvt_f32_u32_e32 v18, v1
	s_branch .LBB135_2123
.LBB135_2121:
	s_mov_b64 s[22:23], -1
                                        ; implicit-def: $vgpr18
	s_branch .LBB135_2126
.LBB135_2122:
	s_mov_b64 s[22:23], -1
                                        ; implicit-def: $vgpr18
.LBB135_2123:
	s_andn2_b64 vcc, exec, s[22:23]
	s_cbranch_vccnz .LBB135_2125
; %bb.2124:
	global_load_ushort v1, v[14:15], off
	s_waitcnt vmcnt(0)
	v_cvt_f32_u32_e32 v18, v1
.LBB135_2125:
	s_mov_b64 s[22:23], 0
.LBB135_2126:
	s_andn2_b64 vcc, exec, s[22:23]
	s_cbranch_vccnz .LBB135_2134
; %bb.2127:
	global_load_ubyte v1, v[14:15], off
	s_movk_i32 s22, 0x7f
	s_waitcnt vmcnt(0)
	v_cmp_lt_i16_e32 vcc, s22, v1
	s_mov_b64 s[22:23], 0
	s_and_saveexec_b64 s[24:25], vcc
	s_xor_b64 s[24:25], exec, s[24:25]
	s_cbranch_execz .LBB135_2160
; %bb.2128:
	s_movk_i32 s22, 0x80
	v_cmp_eq_u16_e32 vcc, s22, v1
	s_mov_b64 s[22:23], -1
	s_and_saveexec_b64 s[26:27], vcc
; %bb.2129:
	s_xor_b64 s[22:23], exec, -1
; %bb.2130:
	s_or_b64 exec, exec, s[26:27]
	s_and_b64 s[22:23], s[22:23], exec
	s_or_saveexec_b64 s[24:25], s[24:25]
	v_mov_b32_e32 v18, 0x7f800001
	s_xor_b64 exec, exec, s[24:25]
	s_cbranch_execnz .LBB135_2161
.LBB135_2131:
	s_or_b64 exec, exec, s[24:25]
	s_and_saveexec_b64 s[24:25], s[22:23]
	s_cbranch_execz .LBB135_2133
.LBB135_2132:
	v_lshlrev_b32_e32 v3, 24, v1
	v_and_b32_e32 v1, 0xffff, v1
	v_and_b32_e32 v5, 7, v1
	v_ffbh_u32_e32 v10, v5
	v_min_u32_e32 v10, 32, v10
	v_subrev_u32_e32 v12, 28, v10
	v_bfe_u32 v8, v1, 3, 4
	v_lshlrev_b32_e32 v1, v12, v1
	v_sub_u32_e32 v10, 29, v10
	v_and_b32_e32 v1, 7, v1
	v_cmp_eq_u32_e32 vcc, 0, v8
	v_cndmask_b32_e32 v8, v8, v10, vcc
	v_cndmask_b32_e32 v1, v5, v1, vcc
	v_mov_b32_e32 v5, 0x3b800000
	v_lshlrev_b32_e32 v1, 20, v1
	v_and_b32_e32 v3, 0x80000000, v3
	v_lshl_add_u32 v5, v8, 23, v5
	v_or3_b32 v18, v3, v5, v1
.LBB135_2133:
	s_or_b64 exec, exec, s[24:25]
.LBB135_2134:
	s_mov_b64 s[22:23], -1
	v_mov_b32_e32 v19, 0
.LBB135_2135:
	s_mov_b64 s[24:25], 0
.LBB135_2136:
	s_and_b64 vcc, exec, s[24:25]
	s_cbranch_vccz .LBB135_2147
; %bb.2137:
	s_cmp_gt_i32 s28, 22
	s_cbranch_scc0 .LBB135_2158
; %bb.2138:
	s_cmp_lt_i32 s28, 24
	s_cbranch_scc1 .LBB135_2162
; %bb.2139:
	s_cmp_gt_i32 s28, 24
	s_cbranch_scc0 .LBB135_2164
; %bb.2140:
	global_load_ubyte v1, v[14:15], off
	s_movk_i32 s20, 0x7f
	s_waitcnt vmcnt(0)
	v_cmp_lt_i16_e32 vcc, s20, v1
	s_mov_b64 s[20:21], 0
	s_and_saveexec_b64 s[22:23], vcc
	s_xor_b64 s[22:23], exec, s[22:23]
	s_cbranch_execz .LBB135_2176
; %bb.2141:
	s_movk_i32 s20, 0x80
	v_cmp_eq_u16_e32 vcc, s20, v1
	s_mov_b64 s[20:21], -1
	s_and_saveexec_b64 s[24:25], vcc
; %bb.2142:
	s_xor_b64 s[20:21], exec, -1
; %bb.2143:
	s_or_b64 exec, exec, s[24:25]
	s_and_b64 s[20:21], s[20:21], exec
	s_or_saveexec_b64 s[22:23], s[22:23]
	v_mov_b32_e32 v18, 0x7f800001
	s_xor_b64 exec, exec, s[22:23]
	s_cbranch_execnz .LBB135_2177
.LBB135_2144:
	s_or_b64 exec, exec, s[22:23]
	s_and_saveexec_b64 s[22:23], s[20:21]
	s_cbranch_execz .LBB135_2146
.LBB135_2145:
	v_lshlrev_b32_e32 v3, 24, v1
	v_and_b32_e32 v1, 0xffff, v1
	v_and_b32_e32 v5, 3, v1
	v_ffbh_u32_e32 v10, v5
	v_min_u32_e32 v10, 32, v10
	v_subrev_u32_e32 v12, 29, v10
	v_bfe_u32 v8, v1, 2, 5
	v_lshlrev_b32_e32 v1, v12, v1
	v_sub_u32_e32 v10, 30, v10
	v_and_b32_e32 v1, 3, v1
	v_cmp_eq_u32_e32 vcc, 0, v8
	v_cndmask_b32_e32 v8, v8, v10, vcc
	v_cndmask_b32_e32 v1, v5, v1, vcc
	v_mov_b32_e32 v5, 0x37800000
	v_lshlrev_b32_e32 v1, 21, v1
	v_and_b32_e32 v3, 0x80000000, v3
	v_lshl_add_u32 v5, v8, 23, v5
	v_or3_b32 v18, v3, v5, v1
.LBB135_2146:
	s_or_b64 exec, exec, s[22:23]
	s_mov_b64 s[20:21], 0
	s_branch .LBB135_2165
.LBB135_2147:
	s_and_b64 vcc, exec, s[0:1]
	s_cbranch_vccnz .LBB135_2195
.LBB135_2148:
	s_andn2_b64 vcc, exec, s[20:21]
	s_cbranch_vccnz .LBB135_2150
.LBB135_2149:
	global_load_ubyte v1, v[14:15], off
	v_mov_b32_e32 v19, 0
	s_mov_b64 s[22:23], -1
	s_waitcnt vmcnt(0)
	v_cmp_ne_u16_e32 vcc, 0, v1
	v_cndmask_b32_e64 v18, 0, 1.0, vcc
.LBB135_2150:
	s_mov_b64 s[0:1], 0
.LBB135_2151:
	s_and_b64 vcc, exec, s[0:1]
	s_cbranch_vccz .LBB135_2226
; %bb.2152:
	s_and_b32 s20, 0xffff, s31
	s_cmp_lt_i32 s20, 5
	s_cbranch_scc1 .LBB135_2157
; %bb.2153:
	s_cmp_lt_i32 s20, 8
	s_cbranch_scc1 .LBB135_2159
; %bb.2154:
	;; [unrolled: 3-line block ×3, first 2 shown]
	s_cmp_gt_i32 s20, 9
	s_cbranch_scc0 .LBB135_2178
; %bb.2156:
	global_load_dwordx4 v[18:21], v[14:15], off
	s_mov_b64 s[0:1], 0
	s_waitcnt vmcnt(0)
	v_cvt_f32_f64_e32 v18, v[18:19]
	v_cvt_f32_f64_e32 v19, v[20:21]
	s_branch .LBB135_2179
.LBB135_2157:
	s_mov_b64 s[0:1], -1
                                        ; implicit-def: $vgpr19
	s_branch .LBB135_2204
.LBB135_2158:
	s_mov_b64 s[20:21], -1
                                        ; implicit-def: $vgpr18
	s_branch .LBB135_2171
.LBB135_2159:
	s_mov_b64 s[0:1], -1
                                        ; implicit-def: $vgpr19
	s_branch .LBB135_2185
.LBB135_2160:
	s_or_saveexec_b64 s[24:25], s[24:25]
	v_mov_b32_e32 v18, 0x7f800001
	s_xor_b64 exec, exec, s[24:25]
	s_cbranch_execz .LBB135_2131
.LBB135_2161:
	v_cmp_ne_u16_e32 vcc, 0, v1
	s_andn2_b64 s[22:23], s[22:23], exec
	s_and_b64 s[26:27], vcc, exec
	v_mov_b32_e32 v18, 0
	s_or_b64 s[22:23], s[22:23], s[26:27]
	s_or_b64 exec, exec, s[24:25]
	s_and_saveexec_b64 s[24:25], s[22:23]
	s_cbranch_execnz .LBB135_2132
	s_branch .LBB135_2133
.LBB135_2162:
	s_mov_b64 s[20:21], -1
                                        ; implicit-def: $vgpr18
	s_branch .LBB135_2168
.LBB135_2163:
	s_mov_b64 s[0:1], -1
                                        ; implicit-def: $vgpr19
	s_branch .LBB135_2182
.LBB135_2164:
	s_mov_b64 s[20:21], -1
                                        ; implicit-def: $vgpr18
.LBB135_2165:
	s_and_b64 vcc, exec, s[20:21]
	s_cbranch_vccz .LBB135_2167
; %bb.2166:
	global_load_ubyte v1, v[14:15], off
	s_mov_b32 s20, 0x7f800000
	s_waitcnt vmcnt(0)
	v_lshlrev_b32_e32 v1, 24, v1
	v_and_b32_e32 v3, 0x7f000000, v1
	v_ffbh_u32_e32 v5, v3
	v_min_u32_e32 v5, 32, v5
	v_sub_u32_e64 v5, v5, 4 clamp
	v_lshlrev_b32_e32 v10, v5, v3
	v_lshlrev_b32_e32 v5, 23, v5
	v_lshrrev_b32_e32 v10, 4, v10
	v_add_u32_e32 v8, 0x1000000, v3
	v_sub_u32_e32 v5, v10, v5
	v_ashrrev_i32_e32 v8, 8, v8
	v_add_u32_e32 v5, 0x3c000000, v5
	v_and_or_b32 v5, v8, s20, v5
	v_cmp_ne_u32_e32 vcc, 0, v3
	v_cndmask_b32_e32 v3, 0, v5, vcc
	s_brev_b32 s20, 1
	v_and_or_b32 v18, v1, s20, v3
.LBB135_2167:
	s_mov_b64 s[20:21], 0
.LBB135_2168:
	s_andn2_b64 vcc, exec, s[20:21]
	s_cbranch_vccnz .LBB135_2170
; %bb.2169:
	global_load_ubyte v1, v[14:15], off
	s_movk_i32 s20, 0x7f00
	s_brev_b32 s21, 16
	s_waitcnt vmcnt(0)
	v_lshlrev_b16_e32 v3, 8, v1
	v_lshlrev_b32_e32 v1, 25, v1
	v_lshrrev_b32_e32 v5, 4, v1
	v_and_or_b32 v8, v3, s20, 0.5
	v_or_b32_e32 v5, 0x70000000, v5
	v_add_f32_e32 v8, -0.5, v8
	v_mul_f32_e32 v5, 0x7800000, v5
	v_cmp_gt_u32_e32 vcc, s21, v1
	v_bfe_i32 v3, v3, 0, 16
	v_cndmask_b32_e32 v1, v5, v8, vcc
	s_brev_b32 s20, 1
	v_and_or_b32 v18, v3, s20, v1
.LBB135_2170:
	s_mov_b64 s[20:21], 0
	s_mov_b64 s[22:23], -1
.LBB135_2171:
	s_andn2_b64 vcc, exec, s[20:21]
	s_mov_b64 s[20:21], 0
	s_cbranch_vccnz .LBB135_2194
; %bb.2172:
	s_cmp_gt_i32 s28, 14
	s_cbranch_scc0 .LBB135_2175
; %bb.2173:
	s_cmp_eq_u32 s28, 15
	s_cbranch_scc0 .LBB135_2190
; %bb.2174:
	global_load_ushort v1, v[14:15], off
	s_mov_b64 s[0:1], 0
	s_mov_b64 s[22:23], -1
	s_waitcnt vmcnt(0)
	v_lshlrev_b32_e32 v18, 16, v1
	s_branch .LBB135_2191
.LBB135_2175:
	s_mov_b64 s[24:25], -1
                                        ; implicit-def: $vgpr18
	s_branch .LBB135_2192
.LBB135_2176:
	s_or_saveexec_b64 s[22:23], s[22:23]
	v_mov_b32_e32 v18, 0x7f800001
	s_xor_b64 exec, exec, s[22:23]
	s_cbranch_execz .LBB135_2144
.LBB135_2177:
	v_cmp_ne_u16_e32 vcc, 0, v1
	s_andn2_b64 s[20:21], s[20:21], exec
	s_and_b64 s[24:25], vcc, exec
	v_mov_b32_e32 v18, 0
	s_or_b64 s[20:21], s[20:21], s[24:25]
	s_or_b64 exec, exec, s[22:23]
	s_and_saveexec_b64 s[22:23], s[20:21]
	s_cbranch_execnz .LBB135_2145
	s_branch .LBB135_2146
.LBB135_2178:
	s_mov_b64 s[0:1], -1
                                        ; implicit-def: $vgpr19
.LBB135_2179:
	s_andn2_b64 vcc, exec, s[0:1]
	s_cbranch_vccnz .LBB135_2181
; %bb.2180:
	global_load_dwordx2 v[18:19], v[14:15], off
.LBB135_2181:
	s_mov_b64 s[0:1], 0
.LBB135_2182:
	s_andn2_b64 vcc, exec, s[0:1]
	s_cbranch_vccnz .LBB135_2184
; %bb.2183:
	global_load_dword v1, v[14:15], off
	s_waitcnt vmcnt(0)
	v_cvt_f32_f16_e32 v18, v1
	v_cvt_f32_f16_sdwa v19, v1 dst_sel:DWORD dst_unused:UNUSED_PAD src0_sel:WORD_1
.LBB135_2184:
	s_mov_b64 s[0:1], 0
.LBB135_2185:
	s_andn2_b64 vcc, exec, s[0:1]
	s_cbranch_vccnz .LBB135_2203
; %bb.2186:
	s_cmp_lt_i32 s20, 6
	s_cbranch_scc1 .LBB135_2189
; %bb.2187:
	s_cmp_gt_i32 s20, 6
	s_cbranch_scc0 .LBB135_2196
; %bb.2188:
	global_load_dwordx2 v[18:19], v[14:15], off
	s_mov_b64 s[0:1], 0
	s_waitcnt vmcnt(0)
	v_cvt_f32_f64_e32 v18, v[18:19]
	s_branch .LBB135_2197
.LBB135_2189:
	s_mov_b64 s[0:1], -1
                                        ; implicit-def: $vgpr18
	s_branch .LBB135_2200
.LBB135_2190:
	s_mov_b64 s[0:1], -1
                                        ; implicit-def: $vgpr18
.LBB135_2191:
	s_mov_b64 s[24:25], 0
.LBB135_2192:
	s_and_b64 vcc, exec, s[24:25]
	s_cbranch_vccz .LBB135_2194
; %bb.2193:
	s_cmp_lg_u32 s28, 11
	s_mov_b64 s[20:21], -1
	s_cselect_b64 s[0:1], -1, 0
.LBB135_2194:
	v_mov_b32_e32 v19, 0
	s_and_b64 vcc, exec, s[0:1]
	s_cbranch_vccz .LBB135_2148
.LBB135_2195:
	s_trap 2
	s_or_b64 s[4:5], s[4:5], exec
	s_cbranch_execz .LBB135_2149
	s_branch .LBB135_2150
.LBB135_2196:
	s_mov_b64 s[0:1], -1
                                        ; implicit-def: $vgpr18
.LBB135_2197:
	s_andn2_b64 vcc, exec, s[0:1]
	s_cbranch_vccnz .LBB135_2199
; %bb.2198:
	global_load_dword v18, v[14:15], off
.LBB135_2199:
	s_mov_b64 s[0:1], 0
.LBB135_2200:
	s_andn2_b64 vcc, exec, s[0:1]
	s_cbranch_vccnz .LBB135_2202
; %bb.2201:
	global_load_ushort v1, v[14:15], off
	s_waitcnt vmcnt(0)
	v_cvt_f32_f16_e32 v18, v1
.LBB135_2202:
	s_waitcnt vmcnt(0)
	v_mov_b32_e32 v19, 0
.LBB135_2203:
	s_mov_b64 s[0:1], 0
.LBB135_2204:
	s_andn2_b64 vcc, exec, s[0:1]
	s_cbranch_vccnz .LBB135_2225
; %bb.2205:
	s_cmp_lt_i32 s20, 2
	s_cbranch_scc1 .LBB135_2209
; %bb.2206:
	s_cmp_lt_i32 s20, 3
	s_cbranch_scc1 .LBB135_2210
; %bb.2207:
	s_cmp_gt_i32 s20, 3
	s_cbranch_scc0 .LBB135_2211
; %bb.2208:
	global_load_dwordx2 v[18:19], v[14:15], off
	s_mov_b64 s[0:1], 0
	s_waitcnt vmcnt(0)
	v_xor_b32_e32 v3, v18, v19
	v_ffbh_i32_e32 v1, v19
	v_ashrrev_i32_e32 v3, 31, v3
	v_add_u32_e32 v1, -1, v1
	v_add_u32_e32 v3, 32, v3
	v_min_u32_e32 v1, v1, v3
	v_lshlrev_b64 v[18:19], v1, v[18:19]
	v_sub_u32_e32 v1, 32, v1
	v_min_u32_e32 v3, 1, v18
	v_or_b32_e32 v3, v19, v3
	v_cvt_f32_i32_e32 v3, v3
	v_ldexp_f32 v18, v3, v1
	s_branch .LBB135_2212
.LBB135_2209:
	s_mov_b64 s[0:1], -1
                                        ; implicit-def: $vgpr18
	s_branch .LBB135_2218
.LBB135_2210:
	s_mov_b64 s[0:1], -1
                                        ; implicit-def: $vgpr18
	s_branch .LBB135_2215
.LBB135_2211:
	s_mov_b64 s[0:1], -1
                                        ; implicit-def: $vgpr18
.LBB135_2212:
	s_andn2_b64 vcc, exec, s[0:1]
	s_cbranch_vccnz .LBB135_2214
; %bb.2213:
	global_load_dword v1, v[14:15], off
	s_waitcnt vmcnt(0)
	v_cvt_f32_i32_e32 v18, v1
.LBB135_2214:
	s_mov_b64 s[0:1], 0
.LBB135_2215:
	s_andn2_b64 vcc, exec, s[0:1]
	s_cbranch_vccnz .LBB135_2217
; %bb.2216:
	global_load_sshort v1, v[14:15], off
	s_waitcnt vmcnt(0)
	v_cvt_f32_i32_e32 v18, v1
.LBB135_2217:
	s_mov_b64 s[0:1], 0
.LBB135_2218:
	s_andn2_b64 vcc, exec, s[0:1]
	s_cbranch_vccnz .LBB135_2224
; %bb.2219:
	s_cmp_gt_i32 s20, 0
	s_cbranch_scc0 .LBB135_2221
; %bb.2220:
	global_load_sbyte v1, v[14:15], off
	s_mov_b64 s[0:1], 0
	s_waitcnt vmcnt(0)
	v_cvt_f32_i32_e32 v18, v1
	s_branch .LBB135_2222
.LBB135_2221:
	s_mov_b64 s[0:1], -1
                                        ; implicit-def: $vgpr18
.LBB135_2222:
	s_andn2_b64 vcc, exec, s[0:1]
	s_cbranch_vccnz .LBB135_2224
; %bb.2223:
	global_load_ubyte v1, v[14:15], off
	s_waitcnt vmcnt(0)
	v_cvt_f32_ubyte0_e32 v18, v1
.LBB135_2224:
	s_waitcnt vmcnt(0)
	v_mov_b32_e32 v19, 0
.LBB135_2225:
	s_mov_b64 s[22:23], -1
.LBB135_2226:
	s_andn2_b64 vcc, exec, s[22:23]
	s_cbranch_vccnz .LBB135_2781
; %bb.2227:
	s_and_b64 vcc, exec, s[18:19]
	s_cbranch_vccz .LBB135_2229
; %bb.2228:
	s_waitcnt vmcnt(0)
	v_cmp_neq_f32_e32 vcc, v16, v18
	v_cmp_neq_f32_e64 s[0:1], v17, v19
	s_or_b64 s[20:21], vcc, s[0:1]
	s_mov_b64 s[0:1], 0
	s_branch .LBB135_2230
.LBB135_2229:
	s_mov_b64 s[0:1], -1
                                        ; implicit-def: $sgpr20_sgpr21
.LBB135_2230:
	s_andn2_b64 vcc, exec, s[0:1]
	s_cbranch_vccnz .LBB135_2232
; %bb.2231:
	s_waitcnt vmcnt(0)
	v_cmp_eq_f32_e32 vcc, v16, v18
	v_cmp_eq_f32_e64 s[0:1], v17, v19
	s_and_b64 s[0:1], vcc, s[0:1]
	s_andn2_b64 s[20:21], s[20:21], exec
	s_and_b64 s[0:1], s[0:1], exec
	s_or_b64 s[20:21], s[20:21], s[0:1]
.LBB135_2232:
	v_mov_b32_e32 v1, s11
	v_add_co_u32_e32 v14, vcc, s10, v13
	s_cmp_lt_i32 s30, 11
	v_addc_co_u32_e32 v15, vcc, 0, v1, vcc
	s_cbranch_scc1 .LBB135_2239
; %bb.2233:
	s_and_b32 s33, 0xffff, s30
	s_cmp_gt_i32 s33, 25
	s_mov_b64 s[22:23], 0
	s_cbranch_scc0 .LBB135_2240
; %bb.2234:
	s_cmp_gt_i32 s33, 28
	s_cbranch_scc0 .LBB135_2241
; %bb.2235:
	s_cmp_gt_i32 s33, 43
	;; [unrolled: 3-line block ×3, first 2 shown]
	s_cbranch_scc0 .LBB135_2243
; %bb.2237:
	s_cmp_eq_u32 s33, 46
	s_mov_b64 s[26:27], 0
	s_cbranch_scc0 .LBB135_2244
; %bb.2238:
	global_load_dword v1, v[14:15], off
	s_mov_b64 s[0:1], 0
	s_mov_b64 s[24:25], -1
	s_waitcnt vmcnt(0)
	v_and_b32_e32 v13, 0xffff0000, v1
	v_lshlrev_b32_e32 v12, 16, v1
	s_branch .LBB135_2245
.LBB135_2239:
	s_mov_b64 s[0:1], -1
	s_mov_b64 s[24:25], 0
                                        ; implicit-def: $vgpr13
	s_branch .LBB135_2291
.LBB135_2240:
	s_mov_b64 s[26:27], -1
	s_mov_b64 s[24:25], 0
	s_mov_b64 s[0:1], 0
                                        ; implicit-def: $vgpr13
	s_branch .LBB135_2276
.LBB135_2241:
	s_mov_b64 s[26:27], -1
	s_mov_b64 s[24:25], 0
	s_mov_b64 s[0:1], 0
                                        ; implicit-def: $vgpr13
	s_branch .LBB135_2257
.LBB135_2242:
	s_mov_b64 s[26:27], -1
	s_mov_b64 s[24:25], 0
	s_mov_b64 s[0:1], 0
                                        ; implicit-def: $vgpr13
	s_branch .LBB135_2251
.LBB135_2243:
	s_mov_b64 s[26:27], -1
	s_mov_b64 s[24:25], 0
	s_mov_b64 s[0:1], 0
                                        ; implicit-def: $vgpr13
	s_branch .LBB135_2245
.LBB135_2244:
	s_mov_b64 s[0:1], -1
                                        ; implicit-def: $vgpr13
	s_mov_b64 s[24:25], 0
.LBB135_2245:
	s_and_b64 vcc, exec, s[26:27]
	s_cbranch_vccz .LBB135_2250
; %bb.2246:
	s_cmp_eq_u32 s33, 44
	s_cbranch_scc0 .LBB135_2248
; %bb.2247:
	global_load_ubyte v1, v[14:15], off
	s_movk_i32 s24, 0xff
	v_mov_b32_e32 v3, 0x7f800001
	v_mov_b32_e32 v5, 0x400000
	s_mov_b64 s[0:1], 0
	s_waitcnt vmcnt(0)
	v_lshlrev_b32_e32 v8, 23, v1
	v_cmp_ne_u32_e32 vcc, s24, v1
	v_cndmask_b32_e32 v3, v3, v8, vcc
	v_cmp_ne_u32_e32 vcc, 0, v1
	v_cndmask_b32_e32 v12, v5, v3, vcc
	s_mov_b64 s[24:25], -1
	s_branch .LBB135_2249
.LBB135_2248:
	s_mov_b64 s[0:1], -1
                                        ; implicit-def: $vgpr12
.LBB135_2249:
	v_mov_b32_e32 v13, 0
.LBB135_2250:
	s_mov_b64 s[26:27], 0
.LBB135_2251:
	s_and_b64 vcc, exec, s[26:27]
	s_cbranch_vccz .LBB135_2256
; %bb.2252:
	s_cmp_eq_u32 s33, 29
	s_cbranch_scc0 .LBB135_2254
; %bb.2253:
	global_load_dwordx2 v[12:13], v[14:15], off
	s_mov_b64 s[0:1], 0
	s_mov_b64 s[24:25], -1
	s_waitcnt vmcnt(0)
	v_ffbh_u32_e32 v1, v13
	v_min_u32_e32 v1, 32, v1
	v_lshlrev_b64 v[12:13], v1, v[12:13]
	v_sub_u32_e32 v1, 32, v1
	v_min_u32_e32 v3, 1, v12
	v_or_b32_e32 v3, v13, v3
	v_cvt_f32_u32_e32 v3, v3
	v_ldexp_f32 v12, v3, v1
	s_branch .LBB135_2255
.LBB135_2254:
	s_mov_b64 s[0:1], -1
                                        ; implicit-def: $vgpr12
.LBB135_2255:
	v_mov_b32_e32 v13, 0
.LBB135_2256:
	s_mov_b64 s[26:27], 0
.LBB135_2257:
	s_and_b64 vcc, exec, s[26:27]
	s_cbranch_vccz .LBB135_2275
; %bb.2258:
	s_cmp_lt_i32 s33, 27
	s_cbranch_scc1 .LBB135_2261
; %bb.2259:
	s_cmp_gt_i32 s33, 27
	s_cbranch_scc0 .LBB135_2262
; %bb.2260:
	global_load_dword v1, v[14:15], off
	s_mov_b64 s[24:25], 0
	s_waitcnt vmcnt(0)
	v_cvt_f32_u32_e32 v12, v1
	s_branch .LBB135_2263
.LBB135_2261:
	s_mov_b64 s[24:25], -1
                                        ; implicit-def: $vgpr12
	s_branch .LBB135_2266
.LBB135_2262:
	s_mov_b64 s[24:25], -1
                                        ; implicit-def: $vgpr12
.LBB135_2263:
	s_andn2_b64 vcc, exec, s[24:25]
	s_cbranch_vccnz .LBB135_2265
; %bb.2264:
	global_load_ushort v1, v[14:15], off
	s_waitcnt vmcnt(0)
	v_cvt_f32_u32_e32 v12, v1
.LBB135_2265:
	s_mov_b64 s[24:25], 0
.LBB135_2266:
	s_andn2_b64 vcc, exec, s[24:25]
	s_cbranch_vccnz .LBB135_2274
; %bb.2267:
	global_load_ubyte v1, v[14:15], off
	s_movk_i32 s24, 0x7f
	s_waitcnt vmcnt(0)
	v_cmp_lt_i16_e32 vcc, s24, v1
	s_mov_b64 s[24:25], 0
	s_and_saveexec_b64 s[26:27], vcc
	s_xor_b64 s[26:27], exec, s[26:27]
	s_cbranch_execz .LBB135_2300
; %bb.2268:
	s_movk_i32 s24, 0x80
	v_cmp_eq_u16_e32 vcc, s24, v1
	s_mov_b64 s[24:25], -1
	s_and_saveexec_b64 s[28:29], vcc
; %bb.2269:
	s_xor_b64 s[24:25], exec, -1
; %bb.2270:
	s_or_b64 exec, exec, s[28:29]
	s_and_b64 s[24:25], s[24:25], exec
	s_or_saveexec_b64 s[26:27], s[26:27]
	v_mov_b32_e32 v12, 0x7f800001
	s_xor_b64 exec, exec, s[26:27]
	s_cbranch_execnz .LBB135_2301
.LBB135_2271:
	s_or_b64 exec, exec, s[26:27]
	s_and_saveexec_b64 s[26:27], s[24:25]
	s_cbranch_execz .LBB135_2273
.LBB135_2272:
	v_lshlrev_b32_e32 v3, 24, v1
	v_and_b32_e32 v1, 0xffff, v1
	v_and_b32_e32 v5, 7, v1
	v_ffbh_u32_e32 v10, v5
	v_min_u32_e32 v10, 32, v10
	v_subrev_u32_e32 v12, 28, v10
	v_bfe_u32 v8, v1, 3, 4
	v_lshlrev_b32_e32 v1, v12, v1
	v_sub_u32_e32 v10, 29, v10
	v_and_b32_e32 v1, 7, v1
	v_cmp_eq_u32_e32 vcc, 0, v8
	v_cndmask_b32_e32 v8, v8, v10, vcc
	v_cndmask_b32_e32 v1, v5, v1, vcc
	v_mov_b32_e32 v5, 0x3b800000
	v_lshlrev_b32_e32 v1, 20, v1
	v_and_b32_e32 v3, 0x80000000, v3
	v_lshl_add_u32 v5, v8, 23, v5
	v_or3_b32 v12, v3, v5, v1
.LBB135_2273:
	s_or_b64 exec, exec, s[26:27]
.LBB135_2274:
	s_mov_b64 s[24:25], -1
	v_mov_b32_e32 v13, 0
.LBB135_2275:
	s_mov_b64 s[26:27], 0
.LBB135_2276:
	s_and_b64 vcc, exec, s[26:27]
	s_cbranch_vccz .LBB135_2287
; %bb.2277:
	s_cmp_gt_i32 s33, 22
	s_cbranch_scc0 .LBB135_2298
; %bb.2278:
	s_cmp_lt_i32 s33, 24
	s_cbranch_scc1 .LBB135_2302
; %bb.2279:
	s_cmp_gt_i32 s33, 24
	s_cbranch_scc0 .LBB135_2304
; %bb.2280:
	global_load_ubyte v1, v[14:15], off
	s_movk_i32 s22, 0x7f
	s_waitcnt vmcnt(0)
	v_cmp_lt_i16_e32 vcc, s22, v1
	s_mov_b64 s[22:23], 0
	s_and_saveexec_b64 s[24:25], vcc
	s_xor_b64 s[24:25], exec, s[24:25]
	s_cbranch_execz .LBB135_2316
; %bb.2281:
	s_movk_i32 s22, 0x80
	v_cmp_eq_u16_e32 vcc, s22, v1
	s_mov_b64 s[22:23], -1
	s_and_saveexec_b64 s[26:27], vcc
; %bb.2282:
	s_xor_b64 s[22:23], exec, -1
; %bb.2283:
	s_or_b64 exec, exec, s[26:27]
	s_and_b64 s[22:23], s[22:23], exec
	s_or_saveexec_b64 s[24:25], s[24:25]
	v_mov_b32_e32 v12, 0x7f800001
	s_xor_b64 exec, exec, s[24:25]
	s_cbranch_execnz .LBB135_2317
.LBB135_2284:
	s_or_b64 exec, exec, s[24:25]
	s_and_saveexec_b64 s[24:25], s[22:23]
	s_cbranch_execz .LBB135_2286
.LBB135_2285:
	v_lshlrev_b32_e32 v3, 24, v1
	v_and_b32_e32 v1, 0xffff, v1
	v_and_b32_e32 v5, 3, v1
	v_ffbh_u32_e32 v10, v5
	v_min_u32_e32 v10, 32, v10
	v_subrev_u32_e32 v12, 29, v10
	v_bfe_u32 v8, v1, 2, 5
	v_lshlrev_b32_e32 v1, v12, v1
	v_sub_u32_e32 v10, 30, v10
	v_and_b32_e32 v1, 3, v1
	v_cmp_eq_u32_e32 vcc, 0, v8
	v_cndmask_b32_e32 v8, v8, v10, vcc
	v_cndmask_b32_e32 v1, v5, v1, vcc
	v_mov_b32_e32 v5, 0x37800000
	v_lshlrev_b32_e32 v1, 21, v1
	v_and_b32_e32 v3, 0x80000000, v3
	v_lshl_add_u32 v5, v8, 23, v5
	v_or3_b32 v12, v3, v5, v1
.LBB135_2286:
	s_or_b64 exec, exec, s[24:25]
	s_mov_b64 s[22:23], 0
	s_branch .LBB135_2305
.LBB135_2287:
	s_and_b64 vcc, exec, s[0:1]
	s_cbranch_vccnz .LBB135_2335
.LBB135_2288:
	s_andn2_b64 vcc, exec, s[22:23]
	s_cbranch_vccnz .LBB135_2290
.LBB135_2289:
	global_load_ubyte v1, v[14:15], off
	v_mov_b32_e32 v13, 0
	s_mov_b64 s[24:25], -1
	s_waitcnt vmcnt(0)
	v_cmp_ne_u16_e32 vcc, 0, v1
	v_cndmask_b32_e64 v12, 0, 1.0, vcc
.LBB135_2290:
	s_mov_b64 s[0:1], 0
.LBB135_2291:
	s_and_b64 vcc, exec, s[0:1]
	s_cbranch_vccz .LBB135_2366
; %bb.2292:
	s_and_b32 s22, 0xffff, s30
	s_cmp_lt_i32 s22, 5
	s_cbranch_scc1 .LBB135_2297
; %bb.2293:
	s_cmp_lt_i32 s22, 8
	s_cbranch_scc1 .LBB135_2299
; %bb.2294:
	;; [unrolled: 3-line block ×3, first 2 shown]
	s_cmp_gt_i32 s22, 9
	s_cbranch_scc0 .LBB135_2318
; %bb.2296:
	global_load_dwordx4 v[16:19], v[14:15], off
	s_mov_b64 s[0:1], 0
	s_waitcnt vmcnt(0)
	v_cvt_f32_f64_e32 v12, v[16:17]
	v_cvt_f32_f64_e32 v13, v[18:19]
	s_branch .LBB135_2319
.LBB135_2297:
	s_mov_b64 s[0:1], -1
                                        ; implicit-def: $vgpr13
	s_branch .LBB135_2344
.LBB135_2298:
	s_mov_b64 s[22:23], -1
                                        ; implicit-def: $vgpr12
	s_branch .LBB135_2311
.LBB135_2299:
	s_mov_b64 s[0:1], -1
                                        ; implicit-def: $vgpr13
	s_branch .LBB135_2325
.LBB135_2300:
	s_or_saveexec_b64 s[26:27], s[26:27]
	v_mov_b32_e32 v12, 0x7f800001
	s_xor_b64 exec, exec, s[26:27]
	s_cbranch_execz .LBB135_2271
.LBB135_2301:
	v_cmp_ne_u16_e32 vcc, 0, v1
	s_andn2_b64 s[24:25], s[24:25], exec
	s_and_b64 s[28:29], vcc, exec
	v_mov_b32_e32 v12, 0
	s_or_b64 s[24:25], s[24:25], s[28:29]
	s_or_b64 exec, exec, s[26:27]
	s_and_saveexec_b64 s[26:27], s[24:25]
	s_cbranch_execnz .LBB135_2272
	s_branch .LBB135_2273
.LBB135_2302:
	s_mov_b64 s[22:23], -1
                                        ; implicit-def: $vgpr12
	s_branch .LBB135_2308
.LBB135_2303:
	s_mov_b64 s[0:1], -1
                                        ; implicit-def: $vgpr13
	s_branch .LBB135_2322
.LBB135_2304:
	s_mov_b64 s[22:23], -1
                                        ; implicit-def: $vgpr12
.LBB135_2305:
	s_and_b64 vcc, exec, s[22:23]
	s_cbranch_vccz .LBB135_2307
; %bb.2306:
	global_load_ubyte v1, v[14:15], off
	s_mov_b32 s22, 0x7f800000
	s_waitcnt vmcnt(0)
	v_lshlrev_b32_e32 v1, 24, v1
	v_and_b32_e32 v3, 0x7f000000, v1
	v_ffbh_u32_e32 v5, v3
	v_min_u32_e32 v5, 32, v5
	v_sub_u32_e64 v5, v5, 4 clamp
	v_lshlrev_b32_e32 v10, v5, v3
	v_lshlrev_b32_e32 v5, 23, v5
	v_lshrrev_b32_e32 v10, 4, v10
	v_add_u32_e32 v8, 0x1000000, v3
	v_sub_u32_e32 v5, v10, v5
	v_ashrrev_i32_e32 v8, 8, v8
	v_add_u32_e32 v5, 0x3c000000, v5
	v_and_or_b32 v5, v8, s22, v5
	v_cmp_ne_u32_e32 vcc, 0, v3
	v_cndmask_b32_e32 v3, 0, v5, vcc
	s_brev_b32 s22, 1
	v_and_or_b32 v12, v1, s22, v3
.LBB135_2307:
	s_mov_b64 s[22:23], 0
.LBB135_2308:
	s_andn2_b64 vcc, exec, s[22:23]
	s_cbranch_vccnz .LBB135_2310
; %bb.2309:
	global_load_ubyte v1, v[14:15], off
	s_movk_i32 s22, 0x7f00
	s_brev_b32 s23, 16
	s_waitcnt vmcnt(0)
	v_lshlrev_b16_e32 v3, 8, v1
	v_lshlrev_b32_e32 v1, 25, v1
	v_lshrrev_b32_e32 v5, 4, v1
	v_and_or_b32 v8, v3, s22, 0.5
	v_or_b32_e32 v5, 0x70000000, v5
	v_add_f32_e32 v8, -0.5, v8
	v_mul_f32_e32 v5, 0x7800000, v5
	v_cmp_gt_u32_e32 vcc, s23, v1
	v_bfe_i32 v3, v3, 0, 16
	v_cndmask_b32_e32 v1, v5, v8, vcc
	s_brev_b32 s22, 1
	v_and_or_b32 v12, v3, s22, v1
.LBB135_2310:
	s_mov_b64 s[22:23], 0
	s_mov_b64 s[24:25], -1
.LBB135_2311:
	s_andn2_b64 vcc, exec, s[22:23]
	s_mov_b64 s[22:23], 0
	s_cbranch_vccnz .LBB135_2334
; %bb.2312:
	s_cmp_gt_i32 s33, 14
	s_cbranch_scc0 .LBB135_2315
; %bb.2313:
	s_cmp_eq_u32 s33, 15
	s_cbranch_scc0 .LBB135_2330
; %bb.2314:
	global_load_ushort v1, v[14:15], off
	s_mov_b64 s[0:1], 0
	s_mov_b64 s[24:25], -1
	s_waitcnt vmcnt(0)
	v_lshlrev_b32_e32 v12, 16, v1
	s_branch .LBB135_2331
.LBB135_2315:
	s_mov_b64 s[26:27], -1
                                        ; implicit-def: $vgpr12
	s_branch .LBB135_2332
.LBB135_2316:
	s_or_saveexec_b64 s[24:25], s[24:25]
	v_mov_b32_e32 v12, 0x7f800001
	s_xor_b64 exec, exec, s[24:25]
	s_cbranch_execz .LBB135_2284
.LBB135_2317:
	v_cmp_ne_u16_e32 vcc, 0, v1
	s_andn2_b64 s[22:23], s[22:23], exec
	s_and_b64 s[26:27], vcc, exec
	v_mov_b32_e32 v12, 0
	s_or_b64 s[22:23], s[22:23], s[26:27]
	s_or_b64 exec, exec, s[24:25]
	s_and_saveexec_b64 s[24:25], s[22:23]
	s_cbranch_execnz .LBB135_2285
	s_branch .LBB135_2286
.LBB135_2318:
	s_mov_b64 s[0:1], -1
                                        ; implicit-def: $vgpr13
.LBB135_2319:
	s_andn2_b64 vcc, exec, s[0:1]
	s_cbranch_vccnz .LBB135_2321
; %bb.2320:
	global_load_dwordx2 v[12:13], v[14:15], off
.LBB135_2321:
	s_mov_b64 s[0:1], 0
.LBB135_2322:
	s_andn2_b64 vcc, exec, s[0:1]
	s_cbranch_vccnz .LBB135_2324
; %bb.2323:
	global_load_dword v1, v[14:15], off
	s_waitcnt vmcnt(0)
	v_cvt_f32_f16_e32 v12, v1
	v_cvt_f32_f16_sdwa v13, v1 dst_sel:DWORD dst_unused:UNUSED_PAD src0_sel:WORD_1
.LBB135_2324:
	s_mov_b64 s[0:1], 0
.LBB135_2325:
	s_andn2_b64 vcc, exec, s[0:1]
	s_cbranch_vccnz .LBB135_2343
; %bb.2326:
	s_cmp_lt_i32 s22, 6
	s_cbranch_scc1 .LBB135_2329
; %bb.2327:
	s_cmp_gt_i32 s22, 6
	s_cbranch_scc0 .LBB135_2336
; %bb.2328:
	global_load_dwordx2 v[12:13], v[14:15], off
	s_mov_b64 s[0:1], 0
	s_waitcnt vmcnt(0)
	v_cvt_f32_f64_e32 v12, v[12:13]
	s_branch .LBB135_2337
.LBB135_2329:
	s_mov_b64 s[0:1], -1
                                        ; implicit-def: $vgpr12
	s_branch .LBB135_2340
.LBB135_2330:
	s_mov_b64 s[0:1], -1
                                        ; implicit-def: $vgpr12
.LBB135_2331:
	s_mov_b64 s[26:27], 0
.LBB135_2332:
	s_and_b64 vcc, exec, s[26:27]
	s_cbranch_vccz .LBB135_2334
; %bb.2333:
	s_cmp_lg_u32 s33, 11
	s_mov_b64 s[22:23], -1
	s_cselect_b64 s[0:1], -1, 0
.LBB135_2334:
	v_mov_b32_e32 v13, 0
	s_and_b64 vcc, exec, s[0:1]
	s_cbranch_vccz .LBB135_2288
.LBB135_2335:
	s_trap 2
	s_or_b64 s[4:5], s[4:5], exec
	s_cbranch_execz .LBB135_2289
	s_branch .LBB135_2290
.LBB135_2336:
	s_mov_b64 s[0:1], -1
                                        ; implicit-def: $vgpr12
.LBB135_2337:
	s_andn2_b64 vcc, exec, s[0:1]
	s_cbranch_vccnz .LBB135_2339
; %bb.2338:
	global_load_dword v12, v[14:15], off
.LBB135_2339:
	s_mov_b64 s[0:1], 0
.LBB135_2340:
	s_andn2_b64 vcc, exec, s[0:1]
	s_cbranch_vccnz .LBB135_2342
; %bb.2341:
	global_load_ushort v1, v[14:15], off
	s_waitcnt vmcnt(0)
	v_cvt_f32_f16_e32 v12, v1
.LBB135_2342:
	s_waitcnt vmcnt(0)
	v_mov_b32_e32 v13, 0
.LBB135_2343:
	s_mov_b64 s[0:1], 0
.LBB135_2344:
	s_andn2_b64 vcc, exec, s[0:1]
	s_cbranch_vccnz .LBB135_2365
; %bb.2345:
	s_cmp_lt_i32 s22, 2
	s_cbranch_scc1 .LBB135_2349
; %bb.2346:
	s_cmp_lt_i32 s22, 3
	s_cbranch_scc1 .LBB135_2350
; %bb.2347:
	s_cmp_gt_i32 s22, 3
	s_cbranch_scc0 .LBB135_2351
; %bb.2348:
	global_load_dwordx2 v[12:13], v[14:15], off
	s_mov_b64 s[0:1], 0
	s_waitcnt vmcnt(0)
	v_xor_b32_e32 v3, v12, v13
	v_ffbh_i32_e32 v1, v13
	v_ashrrev_i32_e32 v3, 31, v3
	v_add_u32_e32 v1, -1, v1
	v_add_u32_e32 v3, 32, v3
	v_min_u32_e32 v1, v1, v3
	v_lshlrev_b64 v[12:13], v1, v[12:13]
	v_sub_u32_e32 v1, 32, v1
	v_min_u32_e32 v3, 1, v12
	v_or_b32_e32 v3, v13, v3
	v_cvt_f32_i32_e32 v3, v3
	v_ldexp_f32 v12, v3, v1
	s_branch .LBB135_2352
.LBB135_2349:
	s_mov_b64 s[0:1], -1
                                        ; implicit-def: $vgpr12
	s_branch .LBB135_2358
.LBB135_2350:
	s_mov_b64 s[0:1], -1
                                        ; implicit-def: $vgpr12
	s_branch .LBB135_2355
.LBB135_2351:
	s_mov_b64 s[0:1], -1
                                        ; implicit-def: $vgpr12
.LBB135_2352:
	s_andn2_b64 vcc, exec, s[0:1]
	s_cbranch_vccnz .LBB135_2354
; %bb.2353:
	global_load_dword v1, v[14:15], off
	s_waitcnt vmcnt(0)
	v_cvt_f32_i32_e32 v12, v1
.LBB135_2354:
	s_mov_b64 s[0:1], 0
.LBB135_2355:
	s_andn2_b64 vcc, exec, s[0:1]
	s_cbranch_vccnz .LBB135_2357
; %bb.2356:
	global_load_sshort v1, v[14:15], off
	s_waitcnt vmcnt(0)
	v_cvt_f32_i32_e32 v12, v1
.LBB135_2357:
	s_mov_b64 s[0:1], 0
.LBB135_2358:
	s_andn2_b64 vcc, exec, s[0:1]
	s_cbranch_vccnz .LBB135_2364
; %bb.2359:
	s_cmp_gt_i32 s22, 0
	s_cbranch_scc0 .LBB135_2361
; %bb.2360:
	global_load_sbyte v1, v[14:15], off
	s_mov_b64 s[0:1], 0
	s_waitcnt vmcnt(0)
	v_cvt_f32_i32_e32 v12, v1
	s_branch .LBB135_2362
.LBB135_2361:
	s_mov_b64 s[0:1], -1
                                        ; implicit-def: $vgpr12
.LBB135_2362:
	s_andn2_b64 vcc, exec, s[0:1]
	s_cbranch_vccnz .LBB135_2364
; %bb.2363:
	global_load_ubyte v1, v[14:15], off
	s_waitcnt vmcnt(0)
	v_cvt_f32_ubyte0_e32 v12, v1
.LBB135_2364:
	s_waitcnt vmcnt(0)
	v_mov_b32_e32 v13, 0
.LBB135_2365:
	s_mov_b64 s[24:25], -1
.LBB135_2366:
	s_andn2_b64 vcc, exec, s[24:25]
	s_cbranch_vccnz .LBB135_2781
; %bb.2367:
	v_mov_b32_e32 v1, s17
	v_add_co_u32_e32 v10, vcc, s16, v11
	s_cmp_lt_i32 s31, 11
	v_addc_co_u32_e32 v11, vcc, 0, v1, vcc
	s_cbranch_scc1 .LBB135_2374
; %bb.2368:
	s_and_b32 s33, 0xffff, s31
	s_cmp_gt_i32 s33, 25
	s_mov_b64 s[22:23], 0
	s_cbranch_scc0 .LBB135_2375
; %bb.2369:
	s_cmp_gt_i32 s33, 28
	s_cbranch_scc0 .LBB135_2376
; %bb.2370:
	s_cmp_gt_i32 s33, 43
	;; [unrolled: 3-line block ×3, first 2 shown]
	s_cbranch_scc0 .LBB135_2378
; %bb.2372:
	s_cmp_eq_u32 s33, 46
	s_mov_b64 s[26:27], 0
	s_cbranch_scc0 .LBB135_2381
; %bb.2373:
	global_load_dword v1, v[10:11], off
	s_mov_b64 s[0:1], 0
	s_mov_b64 s[24:25], -1
	s_waitcnt vmcnt(0)
	v_and_b32_e32 v15, 0xffff0000, v1
	v_lshlrev_b32_e32 v14, 16, v1
	s_branch .LBB135_2382
.LBB135_2374:
	s_mov_b64 s[0:1], -1
	s_mov_b64 s[24:25], 0
                                        ; implicit-def: $vgpr15
	s_branch .LBB135_2428
.LBB135_2375:
	s_mov_b64 s[26:27], -1
	s_mov_b64 s[24:25], 0
	s_mov_b64 s[0:1], 0
                                        ; implicit-def: $vgpr15
	s_branch .LBB135_2413
.LBB135_2376:
	s_mov_b64 s[26:27], -1
	s_mov_b64 s[24:25], 0
	s_mov_b64 s[0:1], 0
                                        ; implicit-def: $vgpr15
	s_branch .LBB135_2394
.LBB135_2377:
	s_mov_b64 s[26:27], -1
	s_mov_b64 s[24:25], 0
	s_mov_b64 s[0:1], 0
                                        ; implicit-def: $vgpr15
	s_branch .LBB135_2388
.LBB135_2378:
	s_mov_b64 s[26:27], -1
	s_mov_b64 s[24:25], 0
	s_mov_b64 s[0:1], 0
                                        ; implicit-def: $vgpr15
	s_branch .LBB135_2382
.LBB135_2379:
	s_andn2_saveexec_b64 s[68:69], s[68:69]
	s_cbranch_execz .LBB135_1162
.LBB135_2380:
	v_add_f32_e32 v2, 0x42800000, v3
	v_and_b32_e32 v2, 0xff, v2
	v_cmp_ne_u32_e32 vcc, 0, v2
	s_andn2_b64 s[66:67], s[66:67], exec
	s_and_b64 s[76:77], vcc, exec
	s_or_b64 s[66:67], s[66:67], s[76:77]
	s_or_b64 exec, exec, s[68:69]
	v_mov_b32_e32 v4, 0
	s_and_saveexec_b64 s[68:69], s[66:67]
	s_cbranch_execnz .LBB135_1163
	s_branch .LBB135_1164
.LBB135_2381:
	s_mov_b64 s[0:1], -1
                                        ; implicit-def: $vgpr15
	s_mov_b64 s[24:25], 0
.LBB135_2382:
	s_and_b64 vcc, exec, s[26:27]
	s_cbranch_vccz .LBB135_2387
; %bb.2383:
	s_cmp_eq_u32 s33, 44
	s_cbranch_scc0 .LBB135_2385
; %bb.2384:
	global_load_ubyte v1, v[10:11], off
	s_movk_i32 s24, 0xff
	v_mov_b32_e32 v3, 0x7f800001
	v_mov_b32_e32 v5, 0x400000
	s_mov_b64 s[0:1], 0
	s_waitcnt vmcnt(0)
	v_lshlrev_b32_e32 v8, 23, v1
	v_cmp_ne_u32_e32 vcc, s24, v1
	v_cndmask_b32_e32 v3, v3, v8, vcc
	v_cmp_ne_u32_e32 vcc, 0, v1
	v_cndmask_b32_e32 v14, v5, v3, vcc
	s_mov_b64 s[24:25], -1
	s_branch .LBB135_2386
.LBB135_2385:
	s_mov_b64 s[0:1], -1
                                        ; implicit-def: $vgpr14
.LBB135_2386:
	v_mov_b32_e32 v15, 0
.LBB135_2387:
	s_mov_b64 s[26:27], 0
.LBB135_2388:
	s_and_b64 vcc, exec, s[26:27]
	s_cbranch_vccz .LBB135_2393
; %bb.2389:
	s_cmp_eq_u32 s33, 29
	s_cbranch_scc0 .LBB135_2391
; %bb.2390:
	global_load_dwordx2 v[14:15], v[10:11], off
	s_mov_b64 s[0:1], 0
	s_mov_b64 s[24:25], -1
	s_waitcnt vmcnt(0)
	v_ffbh_u32_e32 v1, v15
	v_min_u32_e32 v1, 32, v1
	v_lshlrev_b64 v[14:15], v1, v[14:15]
	v_sub_u32_e32 v1, 32, v1
	v_min_u32_e32 v3, 1, v14
	v_or_b32_e32 v3, v15, v3
	v_cvt_f32_u32_e32 v3, v3
	v_ldexp_f32 v14, v3, v1
	s_branch .LBB135_2392
.LBB135_2391:
	s_mov_b64 s[0:1], -1
                                        ; implicit-def: $vgpr14
.LBB135_2392:
	v_mov_b32_e32 v15, 0
.LBB135_2393:
	s_mov_b64 s[26:27], 0
.LBB135_2394:
	s_and_b64 vcc, exec, s[26:27]
	s_cbranch_vccz .LBB135_2412
; %bb.2395:
	s_cmp_lt_i32 s33, 27
	s_cbranch_scc1 .LBB135_2398
; %bb.2396:
	s_cmp_gt_i32 s33, 27
	s_cbranch_scc0 .LBB135_2399
; %bb.2397:
	global_load_dword v1, v[10:11], off
	s_mov_b64 s[24:25], 0
	s_waitcnt vmcnt(0)
	v_cvt_f32_u32_e32 v14, v1
	s_branch .LBB135_2400
.LBB135_2398:
	s_mov_b64 s[24:25], -1
                                        ; implicit-def: $vgpr14
	s_branch .LBB135_2403
.LBB135_2399:
	s_mov_b64 s[24:25], -1
                                        ; implicit-def: $vgpr14
.LBB135_2400:
	s_andn2_b64 vcc, exec, s[24:25]
	s_cbranch_vccnz .LBB135_2402
; %bb.2401:
	global_load_ushort v1, v[10:11], off
	s_waitcnt vmcnt(0)
	v_cvt_f32_u32_e32 v14, v1
.LBB135_2402:
	s_mov_b64 s[24:25], 0
.LBB135_2403:
	s_andn2_b64 vcc, exec, s[24:25]
	s_cbranch_vccnz .LBB135_2411
; %bb.2404:
	global_load_ubyte v1, v[10:11], off
	s_movk_i32 s24, 0x7f
	s_waitcnt vmcnt(0)
	v_cmp_lt_i16_e32 vcc, s24, v1
	s_mov_b64 s[24:25], 0
	s_and_saveexec_b64 s[26:27], vcc
	s_xor_b64 s[26:27], exec, s[26:27]
	s_cbranch_execz .LBB135_2437
; %bb.2405:
	s_movk_i32 s24, 0x80
	v_cmp_eq_u16_e32 vcc, s24, v1
	s_mov_b64 s[24:25], -1
	s_and_saveexec_b64 s[28:29], vcc
; %bb.2406:
	s_xor_b64 s[24:25], exec, -1
; %bb.2407:
	s_or_b64 exec, exec, s[28:29]
	s_and_b64 s[24:25], s[24:25], exec
	s_or_saveexec_b64 s[26:27], s[26:27]
	v_mov_b32_e32 v14, 0x7f800001
	s_xor_b64 exec, exec, s[26:27]
	s_cbranch_execnz .LBB135_2438
.LBB135_2408:
	s_or_b64 exec, exec, s[26:27]
	s_and_saveexec_b64 s[26:27], s[24:25]
	s_cbranch_execz .LBB135_2410
.LBB135_2409:
	v_lshlrev_b32_e32 v3, 24, v1
	v_and_b32_e32 v1, 0xffff, v1
	v_and_b32_e32 v5, 7, v1
	v_ffbh_u32_e32 v14, v5
	v_min_u32_e32 v14, 32, v14
	v_subrev_u32_e32 v15, 28, v14
	v_bfe_u32 v8, v1, 3, 4
	v_lshlrev_b32_e32 v1, v15, v1
	v_sub_u32_e32 v14, 29, v14
	v_and_b32_e32 v1, 7, v1
	v_cmp_eq_u32_e32 vcc, 0, v8
	v_cndmask_b32_e32 v8, v8, v14, vcc
	v_cndmask_b32_e32 v1, v5, v1, vcc
	v_mov_b32_e32 v5, 0x3b800000
	v_lshlrev_b32_e32 v1, 20, v1
	v_and_b32_e32 v3, 0x80000000, v3
	v_lshl_add_u32 v5, v8, 23, v5
	v_or3_b32 v14, v3, v5, v1
.LBB135_2410:
	s_or_b64 exec, exec, s[26:27]
.LBB135_2411:
	s_mov_b64 s[24:25], -1
	v_mov_b32_e32 v15, 0
.LBB135_2412:
	s_mov_b64 s[26:27], 0
.LBB135_2413:
	s_and_b64 vcc, exec, s[26:27]
	s_cbranch_vccz .LBB135_2424
; %bb.2414:
	s_cmp_gt_i32 s33, 22
	s_cbranch_scc0 .LBB135_2435
; %bb.2415:
	s_cmp_lt_i32 s33, 24
	s_cbranch_scc1 .LBB135_2439
; %bb.2416:
	s_cmp_gt_i32 s33, 24
	s_cbranch_scc0 .LBB135_2441
; %bb.2417:
	global_load_ubyte v1, v[10:11], off
	s_movk_i32 s22, 0x7f
	s_waitcnt vmcnt(0)
	v_cmp_lt_i16_e32 vcc, s22, v1
	s_mov_b64 s[22:23], 0
	s_and_saveexec_b64 s[24:25], vcc
	s_xor_b64 s[24:25], exec, s[24:25]
	s_cbranch_execz .LBB135_2453
; %bb.2418:
	s_movk_i32 s22, 0x80
	v_cmp_eq_u16_e32 vcc, s22, v1
	s_mov_b64 s[22:23], -1
	s_and_saveexec_b64 s[26:27], vcc
; %bb.2419:
	s_xor_b64 s[22:23], exec, -1
; %bb.2420:
	s_or_b64 exec, exec, s[26:27]
	s_and_b64 s[22:23], s[22:23], exec
	s_or_saveexec_b64 s[24:25], s[24:25]
	v_mov_b32_e32 v14, 0x7f800001
	s_xor_b64 exec, exec, s[24:25]
	s_cbranch_execnz .LBB135_2454
.LBB135_2421:
	s_or_b64 exec, exec, s[24:25]
	s_and_saveexec_b64 s[24:25], s[22:23]
	s_cbranch_execz .LBB135_2423
.LBB135_2422:
	v_lshlrev_b32_e32 v3, 24, v1
	v_and_b32_e32 v1, 0xffff, v1
	v_and_b32_e32 v5, 3, v1
	v_ffbh_u32_e32 v14, v5
	v_min_u32_e32 v14, 32, v14
	v_subrev_u32_e32 v15, 29, v14
	v_bfe_u32 v8, v1, 2, 5
	v_lshlrev_b32_e32 v1, v15, v1
	v_sub_u32_e32 v14, 30, v14
	v_and_b32_e32 v1, 3, v1
	v_cmp_eq_u32_e32 vcc, 0, v8
	v_cndmask_b32_e32 v8, v8, v14, vcc
	v_cndmask_b32_e32 v1, v5, v1, vcc
	v_mov_b32_e32 v5, 0x37800000
	v_lshlrev_b32_e32 v1, 21, v1
	v_and_b32_e32 v3, 0x80000000, v3
	v_lshl_add_u32 v5, v8, 23, v5
	v_or3_b32 v14, v3, v5, v1
.LBB135_2423:
	s_or_b64 exec, exec, s[24:25]
	s_mov_b64 s[22:23], 0
	s_branch .LBB135_2442
.LBB135_2424:
	s_and_b64 vcc, exec, s[0:1]
	s_cbranch_vccnz .LBB135_2472
.LBB135_2425:
	s_andn2_b64 vcc, exec, s[22:23]
	s_cbranch_vccnz .LBB135_2427
.LBB135_2426:
	global_load_ubyte v1, v[10:11], off
	v_mov_b32_e32 v15, 0
	s_mov_b64 s[24:25], -1
	s_waitcnt vmcnt(0)
	v_cmp_ne_u16_e32 vcc, 0, v1
	v_cndmask_b32_e64 v14, 0, 1.0, vcc
.LBB135_2427:
	s_mov_b64 s[0:1], 0
.LBB135_2428:
	s_and_b64 vcc, exec, s[0:1]
	s_cbranch_vccz .LBB135_2503
; %bb.2429:
	s_and_b32 s22, 0xffff, s31
	s_cmp_lt_i32 s22, 5
	s_cbranch_scc1 .LBB135_2434
; %bb.2430:
	s_cmp_lt_i32 s22, 8
	s_cbranch_scc1 .LBB135_2436
; %bb.2431:
	;; [unrolled: 3-line block ×3, first 2 shown]
	s_cmp_gt_i32 s22, 9
	s_cbranch_scc0 .LBB135_2455
; %bb.2433:
	global_load_dwordx4 v[14:17], v[10:11], off
	s_mov_b64 s[0:1], 0
	s_waitcnt vmcnt(0)
	v_cvt_f32_f64_e32 v14, v[14:15]
	v_cvt_f32_f64_e32 v15, v[16:17]
	s_branch .LBB135_2456
.LBB135_2434:
	s_mov_b64 s[0:1], -1
                                        ; implicit-def: $vgpr15
	s_branch .LBB135_2481
.LBB135_2435:
	s_mov_b64 s[22:23], -1
                                        ; implicit-def: $vgpr14
	s_branch .LBB135_2448
.LBB135_2436:
	s_mov_b64 s[0:1], -1
                                        ; implicit-def: $vgpr15
	s_branch .LBB135_2462
.LBB135_2437:
	s_or_saveexec_b64 s[26:27], s[26:27]
	v_mov_b32_e32 v14, 0x7f800001
	s_xor_b64 exec, exec, s[26:27]
	s_cbranch_execz .LBB135_2408
.LBB135_2438:
	v_cmp_ne_u16_e32 vcc, 0, v1
	s_andn2_b64 s[24:25], s[24:25], exec
	s_and_b64 s[28:29], vcc, exec
	v_mov_b32_e32 v14, 0
	s_or_b64 s[24:25], s[24:25], s[28:29]
	s_or_b64 exec, exec, s[26:27]
	s_and_saveexec_b64 s[26:27], s[24:25]
	s_cbranch_execnz .LBB135_2409
	s_branch .LBB135_2410
.LBB135_2439:
	s_mov_b64 s[22:23], -1
                                        ; implicit-def: $vgpr14
	s_branch .LBB135_2445
.LBB135_2440:
	s_mov_b64 s[0:1], -1
                                        ; implicit-def: $vgpr15
	s_branch .LBB135_2459
.LBB135_2441:
	s_mov_b64 s[22:23], -1
                                        ; implicit-def: $vgpr14
.LBB135_2442:
	s_and_b64 vcc, exec, s[22:23]
	s_cbranch_vccz .LBB135_2444
; %bb.2443:
	global_load_ubyte v1, v[10:11], off
	s_mov_b32 s22, 0x7f800000
	s_waitcnt vmcnt(0)
	v_lshlrev_b32_e32 v1, 24, v1
	v_and_b32_e32 v3, 0x7f000000, v1
	v_ffbh_u32_e32 v5, v3
	v_min_u32_e32 v5, 32, v5
	v_sub_u32_e64 v5, v5, 4 clamp
	v_lshlrev_b32_e32 v14, v5, v3
	v_lshlrev_b32_e32 v5, 23, v5
	v_lshrrev_b32_e32 v14, 4, v14
	v_add_u32_e32 v8, 0x1000000, v3
	v_sub_u32_e32 v5, v14, v5
	v_ashrrev_i32_e32 v8, 8, v8
	v_add_u32_e32 v5, 0x3c000000, v5
	v_and_or_b32 v5, v8, s22, v5
	v_cmp_ne_u32_e32 vcc, 0, v3
	v_cndmask_b32_e32 v3, 0, v5, vcc
	s_brev_b32 s22, 1
	v_and_or_b32 v14, v1, s22, v3
.LBB135_2444:
	s_mov_b64 s[22:23], 0
.LBB135_2445:
	s_andn2_b64 vcc, exec, s[22:23]
	s_cbranch_vccnz .LBB135_2447
; %bb.2446:
	global_load_ubyte v1, v[10:11], off
	s_movk_i32 s22, 0x7f00
	s_brev_b32 s23, 16
	s_waitcnt vmcnt(0)
	v_lshlrev_b16_e32 v3, 8, v1
	v_lshlrev_b32_e32 v1, 25, v1
	v_lshrrev_b32_e32 v5, 4, v1
	v_and_or_b32 v8, v3, s22, 0.5
	v_or_b32_e32 v5, 0x70000000, v5
	v_add_f32_e32 v8, -0.5, v8
	v_mul_f32_e32 v5, 0x7800000, v5
	v_cmp_gt_u32_e32 vcc, s23, v1
	v_bfe_i32 v3, v3, 0, 16
	v_cndmask_b32_e32 v1, v5, v8, vcc
	s_brev_b32 s22, 1
	v_and_or_b32 v14, v3, s22, v1
.LBB135_2447:
	s_mov_b64 s[22:23], 0
	s_mov_b64 s[24:25], -1
.LBB135_2448:
	s_andn2_b64 vcc, exec, s[22:23]
	s_mov_b64 s[22:23], 0
	s_cbranch_vccnz .LBB135_2471
; %bb.2449:
	s_cmp_gt_i32 s33, 14
	s_cbranch_scc0 .LBB135_2452
; %bb.2450:
	s_cmp_eq_u32 s33, 15
	s_cbranch_scc0 .LBB135_2467
; %bb.2451:
	global_load_ushort v1, v[10:11], off
	s_mov_b64 s[0:1], 0
	s_mov_b64 s[24:25], -1
	s_waitcnt vmcnt(0)
	v_lshlrev_b32_e32 v14, 16, v1
	s_branch .LBB135_2468
.LBB135_2452:
	s_mov_b64 s[26:27], -1
                                        ; implicit-def: $vgpr14
	s_branch .LBB135_2469
.LBB135_2453:
	s_or_saveexec_b64 s[24:25], s[24:25]
	v_mov_b32_e32 v14, 0x7f800001
	s_xor_b64 exec, exec, s[24:25]
	s_cbranch_execz .LBB135_2421
.LBB135_2454:
	v_cmp_ne_u16_e32 vcc, 0, v1
	s_andn2_b64 s[22:23], s[22:23], exec
	s_and_b64 s[26:27], vcc, exec
	v_mov_b32_e32 v14, 0
	s_or_b64 s[22:23], s[22:23], s[26:27]
	s_or_b64 exec, exec, s[24:25]
	s_and_saveexec_b64 s[24:25], s[22:23]
	s_cbranch_execnz .LBB135_2422
	s_branch .LBB135_2423
.LBB135_2455:
	s_mov_b64 s[0:1], -1
                                        ; implicit-def: $vgpr15
.LBB135_2456:
	s_andn2_b64 vcc, exec, s[0:1]
	s_cbranch_vccnz .LBB135_2458
; %bb.2457:
	global_load_dwordx2 v[14:15], v[10:11], off
.LBB135_2458:
	s_mov_b64 s[0:1], 0
.LBB135_2459:
	s_andn2_b64 vcc, exec, s[0:1]
	s_cbranch_vccnz .LBB135_2461
; %bb.2460:
	global_load_dword v1, v[10:11], off
	s_waitcnt vmcnt(0)
	v_cvt_f32_f16_e32 v14, v1
	v_cvt_f32_f16_sdwa v15, v1 dst_sel:DWORD dst_unused:UNUSED_PAD src0_sel:WORD_1
.LBB135_2461:
	s_mov_b64 s[0:1], 0
.LBB135_2462:
	s_andn2_b64 vcc, exec, s[0:1]
	s_cbranch_vccnz .LBB135_2480
; %bb.2463:
	s_cmp_lt_i32 s22, 6
	s_cbranch_scc1 .LBB135_2466
; %bb.2464:
	s_cmp_gt_i32 s22, 6
	s_cbranch_scc0 .LBB135_2473
; %bb.2465:
	global_load_dwordx2 v[14:15], v[10:11], off
	s_mov_b64 s[0:1], 0
	s_waitcnt vmcnt(0)
	v_cvt_f32_f64_e32 v14, v[14:15]
	s_branch .LBB135_2474
.LBB135_2466:
	s_mov_b64 s[0:1], -1
                                        ; implicit-def: $vgpr14
	s_branch .LBB135_2477
.LBB135_2467:
	s_mov_b64 s[0:1], -1
                                        ; implicit-def: $vgpr14
.LBB135_2468:
	s_mov_b64 s[26:27], 0
.LBB135_2469:
	s_and_b64 vcc, exec, s[26:27]
	s_cbranch_vccz .LBB135_2471
; %bb.2470:
	s_cmp_lg_u32 s33, 11
	s_mov_b64 s[22:23], -1
	s_cselect_b64 s[0:1], -1, 0
.LBB135_2471:
	v_mov_b32_e32 v15, 0
	s_and_b64 vcc, exec, s[0:1]
	s_cbranch_vccz .LBB135_2425
.LBB135_2472:
	s_trap 2
	s_or_b64 s[4:5], s[4:5], exec
	s_cbranch_execz .LBB135_2426
	s_branch .LBB135_2427
.LBB135_2473:
	s_mov_b64 s[0:1], -1
                                        ; implicit-def: $vgpr14
.LBB135_2474:
	s_andn2_b64 vcc, exec, s[0:1]
	s_cbranch_vccnz .LBB135_2476
; %bb.2475:
	global_load_dword v14, v[10:11], off
.LBB135_2476:
	s_mov_b64 s[0:1], 0
.LBB135_2477:
	s_andn2_b64 vcc, exec, s[0:1]
	s_cbranch_vccnz .LBB135_2479
; %bb.2478:
	global_load_ushort v1, v[10:11], off
	s_waitcnt vmcnt(0)
	v_cvt_f32_f16_e32 v14, v1
.LBB135_2479:
	s_waitcnt vmcnt(0)
	v_mov_b32_e32 v15, 0
.LBB135_2480:
	s_mov_b64 s[0:1], 0
.LBB135_2481:
	s_andn2_b64 vcc, exec, s[0:1]
	s_cbranch_vccnz .LBB135_2502
; %bb.2482:
	s_cmp_lt_i32 s22, 2
	s_cbranch_scc1 .LBB135_2486
; %bb.2483:
	s_cmp_lt_i32 s22, 3
	s_cbranch_scc1 .LBB135_2487
; %bb.2484:
	s_cmp_gt_i32 s22, 3
	s_cbranch_scc0 .LBB135_2488
; %bb.2485:
	global_load_dwordx2 v[14:15], v[10:11], off
	s_mov_b64 s[0:1], 0
	s_waitcnt vmcnt(0)
	v_xor_b32_e32 v3, v14, v15
	v_ffbh_i32_e32 v1, v15
	v_ashrrev_i32_e32 v3, 31, v3
	v_add_u32_e32 v1, -1, v1
	v_add_u32_e32 v3, 32, v3
	v_min_u32_e32 v1, v1, v3
	v_lshlrev_b64 v[14:15], v1, v[14:15]
	v_sub_u32_e32 v1, 32, v1
	v_min_u32_e32 v3, 1, v14
	v_or_b32_e32 v3, v15, v3
	v_cvt_f32_i32_e32 v3, v3
	v_ldexp_f32 v14, v3, v1
	s_branch .LBB135_2489
.LBB135_2486:
	s_mov_b64 s[0:1], -1
                                        ; implicit-def: $vgpr14
	s_branch .LBB135_2495
.LBB135_2487:
	s_mov_b64 s[0:1], -1
                                        ; implicit-def: $vgpr14
	s_branch .LBB135_2492
.LBB135_2488:
	s_mov_b64 s[0:1], -1
                                        ; implicit-def: $vgpr14
.LBB135_2489:
	s_andn2_b64 vcc, exec, s[0:1]
	s_cbranch_vccnz .LBB135_2491
; %bb.2490:
	global_load_dword v1, v[10:11], off
	s_waitcnt vmcnt(0)
	v_cvt_f32_i32_e32 v14, v1
.LBB135_2491:
	s_mov_b64 s[0:1], 0
.LBB135_2492:
	s_andn2_b64 vcc, exec, s[0:1]
	s_cbranch_vccnz .LBB135_2494
; %bb.2493:
	global_load_sshort v1, v[10:11], off
	s_waitcnt vmcnt(0)
	v_cvt_f32_i32_e32 v14, v1
.LBB135_2494:
	s_mov_b64 s[0:1], 0
.LBB135_2495:
	s_andn2_b64 vcc, exec, s[0:1]
	s_cbranch_vccnz .LBB135_2501
; %bb.2496:
	s_cmp_gt_i32 s22, 0
	s_cbranch_scc0 .LBB135_2498
; %bb.2497:
	global_load_sbyte v1, v[10:11], off
	s_mov_b64 s[0:1], 0
	s_waitcnt vmcnt(0)
	v_cvt_f32_i32_e32 v14, v1
	s_branch .LBB135_2499
.LBB135_2498:
	s_mov_b64 s[0:1], -1
                                        ; implicit-def: $vgpr14
.LBB135_2499:
	s_andn2_b64 vcc, exec, s[0:1]
	s_cbranch_vccnz .LBB135_2501
; %bb.2500:
	global_load_ubyte v1, v[10:11], off
	s_waitcnt vmcnt(0)
	v_cvt_f32_ubyte0_e32 v14, v1
.LBB135_2501:
	s_waitcnt vmcnt(0)
	v_mov_b32_e32 v15, 0
.LBB135_2502:
	s_mov_b64 s[24:25], -1
.LBB135_2503:
	s_andn2_b64 vcc, exec, s[24:25]
	s_cbranch_vccnz .LBB135_2781
; %bb.2504:
	s_and_b64 vcc, exec, s[18:19]
	s_cbranch_vccz .LBB135_2506
; %bb.2505:
	s_waitcnt vmcnt(0)
	v_cmp_neq_f32_e32 vcc, v12, v14
	v_cmp_neq_f32_e64 s[0:1], v13, v15
	s_or_b64 s[22:23], vcc, s[0:1]
	s_mov_b64 s[0:1], 0
	s_branch .LBB135_2507
.LBB135_2506:
	s_mov_b64 s[0:1], -1
                                        ; implicit-def: $sgpr22_sgpr23
.LBB135_2507:
	s_andn2_b64 vcc, exec, s[0:1]
	s_cbranch_vccnz .LBB135_2509
; %bb.2508:
	s_waitcnt vmcnt(0)
	v_cmp_eq_f32_e32 vcc, v12, v14
	v_cmp_eq_f32_e64 s[0:1], v13, v15
	s_and_b64 s[0:1], vcc, s[0:1]
	s_andn2_b64 s[22:23], s[22:23], exec
	s_and_b64 s[0:1], s[0:1], exec
	s_or_b64 s[22:23], s[22:23], s[0:1]
.LBB135_2509:
	v_mov_b32_e32 v1, s11
	v_add_co_u32_e32 v10, vcc, s10, v9
	s_cmp_lt_i32 s30, 11
	v_addc_co_u32_e32 v11, vcc, 0, v1, vcc
	s_cbranch_scc1 .LBB135_2516
; %bb.2510:
	s_and_b32 s33, 0xffff, s30
	s_cmp_gt_i32 s33, 25
	s_mov_b64 s[10:11], 0
	s_cbranch_scc0 .LBB135_2517
; %bb.2511:
	s_cmp_gt_i32 s33, 28
	s_cbranch_scc0 .LBB135_2518
; %bb.2512:
	s_cmp_gt_i32 s33, 43
	s_cbranch_scc0 .LBB135_2519
; %bb.2513:
	s_cmp_gt_i32 s33, 45
	s_cbranch_scc0 .LBB135_2520
; %bb.2514:
	s_cmp_eq_u32 s33, 46
	s_mov_b64 s[26:27], 0
	s_cbranch_scc0 .LBB135_2521
; %bb.2515:
	global_load_dword v1, v[10:11], off
	s_mov_b64 s[0:1], 0
	s_mov_b64 s[24:25], -1
	s_waitcnt vmcnt(0)
	v_and_b32_e32 v9, 0xffff0000, v1
	v_lshlrev_b32_e32 v8, 16, v1
	s_branch .LBB135_2522
.LBB135_2516:
	s_mov_b64 s[0:1], -1
	s_mov_b64 s[24:25], 0
                                        ; implicit-def: $vgpr9
	s_branch .LBB135_2568
.LBB135_2517:
	s_mov_b64 s[26:27], -1
	s_mov_b64 s[24:25], 0
	s_mov_b64 s[0:1], 0
                                        ; implicit-def: $vgpr9
	s_branch .LBB135_2553
.LBB135_2518:
	s_mov_b64 s[26:27], -1
	s_mov_b64 s[24:25], 0
	s_mov_b64 s[0:1], 0
                                        ; implicit-def: $vgpr9
	s_branch .LBB135_2534
.LBB135_2519:
	s_mov_b64 s[26:27], -1
	s_mov_b64 s[24:25], 0
	s_mov_b64 s[0:1], 0
                                        ; implicit-def: $vgpr9
	s_branch .LBB135_2528
.LBB135_2520:
	s_mov_b64 s[26:27], -1
	s_mov_b64 s[24:25], 0
	s_mov_b64 s[0:1], 0
                                        ; implicit-def: $vgpr9
	s_branch .LBB135_2522
.LBB135_2521:
	s_mov_b64 s[0:1], -1
                                        ; implicit-def: $vgpr9
	s_mov_b64 s[24:25], 0
.LBB135_2522:
	s_and_b64 vcc, exec, s[26:27]
	s_cbranch_vccz .LBB135_2527
; %bb.2523:
	s_cmp_eq_u32 s33, 44
	s_cbranch_scc0 .LBB135_2525
; %bb.2524:
	global_load_ubyte v1, v[10:11], off
	s_movk_i32 s24, 0xff
	v_mov_b32_e32 v3, 0x7f800001
	v_mov_b32_e32 v5, 0x400000
	s_mov_b64 s[0:1], 0
	s_waitcnt vmcnt(0)
	v_lshlrev_b32_e32 v8, 23, v1
	v_cmp_ne_u32_e32 vcc, s24, v1
	v_cndmask_b32_e32 v3, v3, v8, vcc
	v_cmp_ne_u32_e32 vcc, 0, v1
	v_cndmask_b32_e32 v8, v5, v3, vcc
	s_mov_b64 s[24:25], -1
	s_branch .LBB135_2526
.LBB135_2525:
	s_mov_b64 s[0:1], -1
                                        ; implicit-def: $vgpr8
.LBB135_2526:
	v_mov_b32_e32 v9, 0
.LBB135_2527:
	s_mov_b64 s[26:27], 0
.LBB135_2528:
	s_and_b64 vcc, exec, s[26:27]
	s_cbranch_vccz .LBB135_2533
; %bb.2529:
	s_cmp_eq_u32 s33, 29
	s_cbranch_scc0 .LBB135_2531
; %bb.2530:
	global_load_dwordx2 v[8:9], v[10:11], off
	s_mov_b64 s[0:1], 0
	s_mov_b64 s[24:25], -1
	s_waitcnt vmcnt(0)
	v_ffbh_u32_e32 v1, v9
	v_min_u32_e32 v1, 32, v1
	v_lshlrev_b64 v[8:9], v1, v[8:9]
	v_sub_u32_e32 v1, 32, v1
	v_min_u32_e32 v3, 1, v8
	v_or_b32_e32 v3, v9, v3
	v_cvt_f32_u32_e32 v3, v3
	v_ldexp_f32 v8, v3, v1
	s_branch .LBB135_2532
.LBB135_2531:
	s_mov_b64 s[0:1], -1
                                        ; implicit-def: $vgpr8
.LBB135_2532:
	v_mov_b32_e32 v9, 0
.LBB135_2533:
	s_mov_b64 s[26:27], 0
.LBB135_2534:
	s_and_b64 vcc, exec, s[26:27]
	s_cbranch_vccz .LBB135_2552
; %bb.2535:
	s_cmp_lt_i32 s33, 27
	s_cbranch_scc1 .LBB135_2538
; %bb.2536:
	s_cmp_gt_i32 s33, 27
	s_cbranch_scc0 .LBB135_2539
; %bb.2537:
	global_load_dword v1, v[10:11], off
	s_mov_b64 s[24:25], 0
	s_waitcnt vmcnt(0)
	v_cvt_f32_u32_e32 v8, v1
	s_branch .LBB135_2540
.LBB135_2538:
	s_mov_b64 s[24:25], -1
                                        ; implicit-def: $vgpr8
	s_branch .LBB135_2543
.LBB135_2539:
	s_mov_b64 s[24:25], -1
                                        ; implicit-def: $vgpr8
.LBB135_2540:
	s_andn2_b64 vcc, exec, s[24:25]
	s_cbranch_vccnz .LBB135_2542
; %bb.2541:
	global_load_ushort v1, v[10:11], off
	s_waitcnt vmcnt(0)
	v_cvt_f32_u32_e32 v8, v1
.LBB135_2542:
	s_mov_b64 s[24:25], 0
.LBB135_2543:
	s_andn2_b64 vcc, exec, s[24:25]
	s_cbranch_vccnz .LBB135_2551
; %bb.2544:
	global_load_ubyte v1, v[10:11], off
	s_movk_i32 s24, 0x7f
	s_waitcnt vmcnt(0)
	v_cmp_lt_i16_e32 vcc, s24, v1
	s_mov_b64 s[24:25], 0
	s_and_saveexec_b64 s[26:27], vcc
	s_xor_b64 s[26:27], exec, s[26:27]
	s_cbranch_execz .LBB135_2577
; %bb.2545:
	s_movk_i32 s24, 0x80
	v_cmp_eq_u16_e32 vcc, s24, v1
	s_mov_b64 s[24:25], -1
	s_and_saveexec_b64 s[28:29], vcc
; %bb.2546:
	s_xor_b64 s[24:25], exec, -1
; %bb.2547:
	s_or_b64 exec, exec, s[28:29]
	s_and_b64 s[24:25], s[24:25], exec
	s_or_saveexec_b64 s[26:27], s[26:27]
	v_mov_b32_e32 v8, 0x7f800001
	s_xor_b64 exec, exec, s[26:27]
	s_cbranch_execnz .LBB135_2578
.LBB135_2548:
	s_or_b64 exec, exec, s[26:27]
	s_and_saveexec_b64 s[26:27], s[24:25]
	s_cbranch_execz .LBB135_2550
.LBB135_2549:
	v_lshlrev_b32_e32 v3, 24, v1
	v_and_b32_e32 v1, 0xffff, v1
	v_and_b32_e32 v5, 7, v1
	v_ffbh_u32_e32 v9, v5
	v_min_u32_e32 v9, 32, v9
	v_subrev_u32_e32 v12, 28, v9
	v_bfe_u32 v8, v1, 3, 4
	v_lshlrev_b32_e32 v1, v12, v1
	v_sub_u32_e32 v9, 29, v9
	v_and_b32_e32 v1, 7, v1
	v_cmp_eq_u32_e32 vcc, 0, v8
	v_cndmask_b32_e32 v8, v8, v9, vcc
	v_cndmask_b32_e32 v1, v5, v1, vcc
	v_mov_b32_e32 v5, 0x3b800000
	v_lshlrev_b32_e32 v1, 20, v1
	v_and_b32_e32 v3, 0x80000000, v3
	v_lshl_add_u32 v5, v8, 23, v5
	v_or3_b32 v8, v3, v5, v1
.LBB135_2550:
	s_or_b64 exec, exec, s[26:27]
.LBB135_2551:
	s_mov_b64 s[24:25], -1
	v_mov_b32_e32 v9, 0
.LBB135_2552:
	s_mov_b64 s[26:27], 0
.LBB135_2553:
	s_and_b64 vcc, exec, s[26:27]
	s_cbranch_vccz .LBB135_2564
; %bb.2554:
	s_cmp_gt_i32 s33, 22
	s_cbranch_scc0 .LBB135_2575
; %bb.2555:
	s_cmp_lt_i32 s33, 24
	s_cbranch_scc1 .LBB135_2579
; %bb.2556:
	s_cmp_gt_i32 s33, 24
	s_cbranch_scc0 .LBB135_2581
; %bb.2557:
	global_load_ubyte v1, v[10:11], off
	s_movk_i32 s10, 0x7f
	s_waitcnt vmcnt(0)
	v_cmp_lt_i16_e32 vcc, s10, v1
	s_mov_b64 s[10:11], 0
	s_and_saveexec_b64 s[24:25], vcc
	s_xor_b64 s[24:25], exec, s[24:25]
	s_cbranch_execz .LBB135_2593
; %bb.2558:
	s_movk_i32 s10, 0x80
	v_cmp_eq_u16_e32 vcc, s10, v1
	s_mov_b64 s[10:11], -1
	s_and_saveexec_b64 s[26:27], vcc
; %bb.2559:
	s_xor_b64 s[10:11], exec, -1
; %bb.2560:
	s_or_b64 exec, exec, s[26:27]
	s_and_b64 s[10:11], s[10:11], exec
	s_or_saveexec_b64 s[24:25], s[24:25]
	v_mov_b32_e32 v8, 0x7f800001
	s_xor_b64 exec, exec, s[24:25]
	s_cbranch_execnz .LBB135_2594
.LBB135_2561:
	s_or_b64 exec, exec, s[24:25]
	s_and_saveexec_b64 s[24:25], s[10:11]
	s_cbranch_execz .LBB135_2563
.LBB135_2562:
	v_lshlrev_b32_e32 v3, 24, v1
	v_and_b32_e32 v1, 0xffff, v1
	v_and_b32_e32 v5, 3, v1
	v_ffbh_u32_e32 v9, v5
	v_min_u32_e32 v9, 32, v9
	v_subrev_u32_e32 v12, 29, v9
	v_bfe_u32 v8, v1, 2, 5
	v_lshlrev_b32_e32 v1, v12, v1
	v_sub_u32_e32 v9, 30, v9
	v_and_b32_e32 v1, 3, v1
	v_cmp_eq_u32_e32 vcc, 0, v8
	v_cndmask_b32_e32 v8, v8, v9, vcc
	v_cndmask_b32_e32 v1, v5, v1, vcc
	v_mov_b32_e32 v5, 0x37800000
	v_lshlrev_b32_e32 v1, 21, v1
	v_and_b32_e32 v3, 0x80000000, v3
	v_lshl_add_u32 v5, v8, 23, v5
	v_or3_b32 v8, v3, v5, v1
.LBB135_2563:
	s_or_b64 exec, exec, s[24:25]
	s_mov_b64 s[10:11], 0
	s_branch .LBB135_2582
.LBB135_2564:
	s_and_b64 vcc, exec, s[0:1]
	s_cbranch_vccnz .LBB135_2612
.LBB135_2565:
	s_andn2_b64 vcc, exec, s[10:11]
	s_cbranch_vccnz .LBB135_2567
.LBB135_2566:
	global_load_ubyte v1, v[10:11], off
	v_mov_b32_e32 v9, 0
	s_mov_b64 s[24:25], -1
	s_waitcnt vmcnt(0)
	v_cmp_ne_u16_e32 vcc, 0, v1
	v_cndmask_b32_e64 v8, 0, 1.0, vcc
.LBB135_2567:
	s_mov_b64 s[0:1], 0
.LBB135_2568:
	s_and_b64 vcc, exec, s[0:1]
	s_cbranch_vccz .LBB135_2643
; %bb.2569:
	s_and_b32 s10, 0xffff, s30
	s_cmp_lt_i32 s10, 5
	s_cbranch_scc1 .LBB135_2574
; %bb.2570:
	s_cmp_lt_i32 s10, 8
	s_cbranch_scc1 .LBB135_2576
; %bb.2571:
	;; [unrolled: 3-line block ×3, first 2 shown]
	s_cmp_gt_i32 s10, 9
	s_cbranch_scc0 .LBB135_2595
; %bb.2573:
	global_load_dwordx4 v[12:15], v[10:11], off
	s_mov_b64 s[0:1], 0
	s_waitcnt vmcnt(0)
	v_cvt_f32_f64_e32 v8, v[12:13]
	v_cvt_f32_f64_e32 v9, v[14:15]
	s_branch .LBB135_2596
.LBB135_2574:
	s_mov_b64 s[0:1], -1
                                        ; implicit-def: $vgpr9
	s_branch .LBB135_2621
.LBB135_2575:
	s_mov_b64 s[10:11], -1
                                        ; implicit-def: $vgpr8
	s_branch .LBB135_2588
.LBB135_2576:
	s_mov_b64 s[0:1], -1
                                        ; implicit-def: $vgpr9
	s_branch .LBB135_2602
.LBB135_2577:
	s_or_saveexec_b64 s[26:27], s[26:27]
	v_mov_b32_e32 v8, 0x7f800001
	s_xor_b64 exec, exec, s[26:27]
	s_cbranch_execz .LBB135_2548
.LBB135_2578:
	v_cmp_ne_u16_e32 vcc, 0, v1
	s_andn2_b64 s[24:25], s[24:25], exec
	s_and_b64 s[28:29], vcc, exec
	v_mov_b32_e32 v8, 0
	s_or_b64 s[24:25], s[24:25], s[28:29]
	s_or_b64 exec, exec, s[26:27]
	s_and_saveexec_b64 s[26:27], s[24:25]
	s_cbranch_execnz .LBB135_2549
	s_branch .LBB135_2550
.LBB135_2579:
	s_mov_b64 s[10:11], -1
                                        ; implicit-def: $vgpr8
	s_branch .LBB135_2585
.LBB135_2580:
	s_mov_b64 s[0:1], -1
                                        ; implicit-def: $vgpr9
	s_branch .LBB135_2599
.LBB135_2581:
	s_mov_b64 s[10:11], -1
                                        ; implicit-def: $vgpr8
.LBB135_2582:
	s_and_b64 vcc, exec, s[10:11]
	s_cbranch_vccz .LBB135_2584
; %bb.2583:
	global_load_ubyte v1, v[10:11], off
	s_mov_b32 s10, 0x7f800000
	s_waitcnt vmcnt(0)
	v_lshlrev_b32_e32 v1, 24, v1
	v_and_b32_e32 v3, 0x7f000000, v1
	v_ffbh_u32_e32 v5, v3
	v_min_u32_e32 v5, 32, v5
	v_sub_u32_e64 v5, v5, 4 clamp
	v_lshlrev_b32_e32 v9, v5, v3
	v_lshlrev_b32_e32 v5, 23, v5
	v_lshrrev_b32_e32 v9, 4, v9
	v_add_u32_e32 v8, 0x1000000, v3
	v_sub_u32_e32 v5, v9, v5
	v_ashrrev_i32_e32 v8, 8, v8
	v_add_u32_e32 v5, 0x3c000000, v5
	v_and_or_b32 v5, v8, s10, v5
	v_cmp_ne_u32_e32 vcc, 0, v3
	v_cndmask_b32_e32 v3, 0, v5, vcc
	s_brev_b32 s10, 1
	v_and_or_b32 v8, v1, s10, v3
.LBB135_2584:
	s_mov_b64 s[10:11], 0
.LBB135_2585:
	s_andn2_b64 vcc, exec, s[10:11]
	s_cbranch_vccnz .LBB135_2587
; %bb.2586:
	global_load_ubyte v1, v[10:11], off
	s_movk_i32 s10, 0x7f00
	s_brev_b32 s11, 16
	s_waitcnt vmcnt(0)
	v_lshlrev_b16_e32 v3, 8, v1
	v_lshlrev_b32_e32 v1, 25, v1
	v_lshrrev_b32_e32 v5, 4, v1
	v_and_or_b32 v8, v3, s10, 0.5
	v_or_b32_e32 v5, 0x70000000, v5
	v_add_f32_e32 v8, -0.5, v8
	v_mul_f32_e32 v5, 0x7800000, v5
	v_cmp_gt_u32_e32 vcc, s11, v1
	v_bfe_i32 v3, v3, 0, 16
	v_cndmask_b32_e32 v1, v5, v8, vcc
	s_brev_b32 s10, 1
	v_and_or_b32 v8, v3, s10, v1
.LBB135_2587:
	s_mov_b64 s[10:11], 0
	s_mov_b64 s[24:25], -1
.LBB135_2588:
	s_andn2_b64 vcc, exec, s[10:11]
	s_mov_b64 s[10:11], 0
	s_cbranch_vccnz .LBB135_2611
; %bb.2589:
	s_cmp_gt_i32 s33, 14
	s_cbranch_scc0 .LBB135_2592
; %bb.2590:
	s_cmp_eq_u32 s33, 15
	s_cbranch_scc0 .LBB135_2607
; %bb.2591:
	global_load_ushort v1, v[10:11], off
	s_mov_b64 s[0:1], 0
	s_mov_b64 s[24:25], -1
	s_waitcnt vmcnt(0)
	v_lshlrev_b32_e32 v8, 16, v1
	s_branch .LBB135_2608
.LBB135_2592:
	s_mov_b64 s[26:27], -1
                                        ; implicit-def: $vgpr8
	s_branch .LBB135_2609
.LBB135_2593:
	s_or_saveexec_b64 s[24:25], s[24:25]
	v_mov_b32_e32 v8, 0x7f800001
	s_xor_b64 exec, exec, s[24:25]
	s_cbranch_execz .LBB135_2561
.LBB135_2594:
	v_cmp_ne_u16_e32 vcc, 0, v1
	s_andn2_b64 s[10:11], s[10:11], exec
	s_and_b64 s[26:27], vcc, exec
	v_mov_b32_e32 v8, 0
	s_or_b64 s[10:11], s[10:11], s[26:27]
	s_or_b64 exec, exec, s[24:25]
	s_and_saveexec_b64 s[24:25], s[10:11]
	s_cbranch_execnz .LBB135_2562
	s_branch .LBB135_2563
.LBB135_2595:
	s_mov_b64 s[0:1], -1
                                        ; implicit-def: $vgpr9
.LBB135_2596:
	s_andn2_b64 vcc, exec, s[0:1]
	s_cbranch_vccnz .LBB135_2598
; %bb.2597:
	global_load_dwordx2 v[8:9], v[10:11], off
.LBB135_2598:
	s_mov_b64 s[0:1], 0
.LBB135_2599:
	s_andn2_b64 vcc, exec, s[0:1]
	s_cbranch_vccnz .LBB135_2601
; %bb.2600:
	global_load_dword v1, v[10:11], off
	s_waitcnt vmcnt(0)
	v_cvt_f32_f16_e32 v8, v1
	v_cvt_f32_f16_sdwa v9, v1 dst_sel:DWORD dst_unused:UNUSED_PAD src0_sel:WORD_1
.LBB135_2601:
	s_mov_b64 s[0:1], 0
.LBB135_2602:
	s_andn2_b64 vcc, exec, s[0:1]
	s_cbranch_vccnz .LBB135_2620
; %bb.2603:
	s_cmp_lt_i32 s10, 6
	s_cbranch_scc1 .LBB135_2606
; %bb.2604:
	s_cmp_gt_i32 s10, 6
	s_cbranch_scc0 .LBB135_2613
; %bb.2605:
	global_load_dwordx2 v[8:9], v[10:11], off
	s_mov_b64 s[0:1], 0
	s_waitcnt vmcnt(0)
	v_cvt_f32_f64_e32 v8, v[8:9]
	s_branch .LBB135_2614
.LBB135_2606:
	s_mov_b64 s[0:1], -1
                                        ; implicit-def: $vgpr8
	s_branch .LBB135_2617
.LBB135_2607:
	s_mov_b64 s[0:1], -1
                                        ; implicit-def: $vgpr8
.LBB135_2608:
	s_mov_b64 s[26:27], 0
.LBB135_2609:
	s_and_b64 vcc, exec, s[26:27]
	s_cbranch_vccz .LBB135_2611
; %bb.2610:
	s_cmp_lg_u32 s33, 11
	s_mov_b64 s[10:11], -1
	s_cselect_b64 s[0:1], -1, 0
.LBB135_2611:
	v_mov_b32_e32 v9, 0
	s_and_b64 vcc, exec, s[0:1]
	s_cbranch_vccz .LBB135_2565
.LBB135_2612:
	s_trap 2
	s_or_b64 s[4:5], s[4:5], exec
	s_cbranch_execz .LBB135_2566
	s_branch .LBB135_2567
.LBB135_2613:
	s_mov_b64 s[0:1], -1
                                        ; implicit-def: $vgpr8
.LBB135_2614:
	s_andn2_b64 vcc, exec, s[0:1]
	s_cbranch_vccnz .LBB135_2616
; %bb.2615:
	global_load_dword v8, v[10:11], off
.LBB135_2616:
	s_mov_b64 s[0:1], 0
.LBB135_2617:
	s_andn2_b64 vcc, exec, s[0:1]
	s_cbranch_vccnz .LBB135_2619
; %bb.2618:
	global_load_ushort v1, v[10:11], off
	s_waitcnt vmcnt(0)
	v_cvt_f32_f16_e32 v8, v1
.LBB135_2619:
	s_waitcnt vmcnt(0)
	v_mov_b32_e32 v9, 0
.LBB135_2620:
	s_mov_b64 s[0:1], 0
.LBB135_2621:
	s_andn2_b64 vcc, exec, s[0:1]
	s_cbranch_vccnz .LBB135_2642
; %bb.2622:
	s_cmp_lt_i32 s10, 2
	s_cbranch_scc1 .LBB135_2626
; %bb.2623:
	s_cmp_lt_i32 s10, 3
	s_cbranch_scc1 .LBB135_2627
; %bb.2624:
	s_cmp_gt_i32 s10, 3
	s_cbranch_scc0 .LBB135_2628
; %bb.2625:
	global_load_dwordx2 v[8:9], v[10:11], off
	s_mov_b64 s[0:1], 0
	s_waitcnt vmcnt(0)
	v_xor_b32_e32 v3, v8, v9
	v_ffbh_i32_e32 v1, v9
	v_ashrrev_i32_e32 v3, 31, v3
	v_add_u32_e32 v1, -1, v1
	v_add_u32_e32 v3, 32, v3
	v_min_u32_e32 v1, v1, v3
	v_lshlrev_b64 v[8:9], v1, v[8:9]
	v_sub_u32_e32 v1, 32, v1
	v_min_u32_e32 v3, 1, v8
	v_or_b32_e32 v3, v9, v3
	v_cvt_f32_i32_e32 v3, v3
	v_ldexp_f32 v8, v3, v1
	s_branch .LBB135_2629
.LBB135_2626:
	s_mov_b64 s[0:1], -1
                                        ; implicit-def: $vgpr8
	s_branch .LBB135_2635
.LBB135_2627:
	s_mov_b64 s[0:1], -1
                                        ; implicit-def: $vgpr8
	s_branch .LBB135_2632
.LBB135_2628:
	s_mov_b64 s[0:1], -1
                                        ; implicit-def: $vgpr8
.LBB135_2629:
	s_andn2_b64 vcc, exec, s[0:1]
	s_cbranch_vccnz .LBB135_2631
; %bb.2630:
	global_load_dword v1, v[10:11], off
	s_waitcnt vmcnt(0)
	v_cvt_f32_i32_e32 v8, v1
.LBB135_2631:
	s_mov_b64 s[0:1], 0
.LBB135_2632:
	s_andn2_b64 vcc, exec, s[0:1]
	s_cbranch_vccnz .LBB135_2634
; %bb.2633:
	global_load_sshort v1, v[10:11], off
	s_waitcnt vmcnt(0)
	v_cvt_f32_i32_e32 v8, v1
.LBB135_2634:
	s_mov_b64 s[0:1], 0
.LBB135_2635:
	s_andn2_b64 vcc, exec, s[0:1]
	s_cbranch_vccnz .LBB135_2641
; %bb.2636:
	s_cmp_gt_i32 s10, 0
	s_cbranch_scc0 .LBB135_2638
; %bb.2637:
	global_load_sbyte v1, v[10:11], off
	s_mov_b64 s[0:1], 0
	s_waitcnt vmcnt(0)
	v_cvt_f32_i32_e32 v8, v1
	s_branch .LBB135_2639
.LBB135_2638:
	s_mov_b64 s[0:1], -1
                                        ; implicit-def: $vgpr8
.LBB135_2639:
	s_andn2_b64 vcc, exec, s[0:1]
	s_cbranch_vccnz .LBB135_2641
; %bb.2640:
	global_load_ubyte v1, v[10:11], off
	s_waitcnt vmcnt(0)
	v_cvt_f32_ubyte0_e32 v8, v1
.LBB135_2641:
	s_waitcnt vmcnt(0)
	v_mov_b32_e32 v9, 0
.LBB135_2642:
	s_mov_b64 s[24:25], -1
.LBB135_2643:
	s_andn2_b64 vcc, exec, s[24:25]
	s_cbranch_vccnz .LBB135_2781
; %bb.2644:
	v_mov_b32_e32 v1, s17
	v_add_co_u32_e32 v10, vcc, s16, v7
	s_cmp_lt_i32 s31, 11
	v_addc_co_u32_e32 v11, vcc, 0, v1, vcc
	s_cbranch_scc1 .LBB135_2651
; %bb.2645:
	s_and_b32 s28, 0xffff, s31
	s_cmp_gt_i32 s28, 25
	s_mov_b64 s[10:11], 0
	s_cbranch_scc0 .LBB135_2652
; %bb.2646:
	s_cmp_gt_i32 s28, 28
	s_cbranch_scc0 .LBB135_2653
; %bb.2647:
	s_cmp_gt_i32 s28, 43
	;; [unrolled: 3-line block ×3, first 2 shown]
	s_cbranch_scc0 .LBB135_2655
; %bb.2649:
	s_cmp_eq_u32 s28, 46
	s_mov_b64 s[24:25], 0
	s_cbranch_scc0 .LBB135_2656
; %bb.2650:
	global_load_dword v1, v[10:11], off
	s_mov_b64 s[0:1], 0
	s_mov_b64 s[16:17], -1
	s_waitcnt vmcnt(0)
	v_and_b32_e32 v13, 0xffff0000, v1
	v_lshlrev_b32_e32 v12, 16, v1
	s_branch .LBB135_2657
.LBB135_2651:
	s_mov_b64 s[0:1], -1
	s_mov_b64 s[16:17], 0
                                        ; implicit-def: $vgpr13
	s_branch .LBB135_2703
.LBB135_2652:
	s_mov_b64 s[24:25], -1
	s_mov_b64 s[16:17], 0
	s_mov_b64 s[0:1], 0
                                        ; implicit-def: $vgpr13
	s_branch .LBB135_2688
.LBB135_2653:
	s_mov_b64 s[24:25], -1
	s_mov_b64 s[16:17], 0
	s_mov_b64 s[0:1], 0
                                        ; implicit-def: $vgpr13
	s_branch .LBB135_2669
.LBB135_2654:
	s_mov_b64 s[24:25], -1
	s_mov_b64 s[16:17], 0
	s_mov_b64 s[0:1], 0
                                        ; implicit-def: $vgpr13
	s_branch .LBB135_2663
.LBB135_2655:
	s_mov_b64 s[24:25], -1
	s_mov_b64 s[16:17], 0
	s_mov_b64 s[0:1], 0
                                        ; implicit-def: $vgpr13
	s_branch .LBB135_2657
.LBB135_2656:
	s_mov_b64 s[0:1], -1
                                        ; implicit-def: $vgpr13
	s_mov_b64 s[16:17], 0
.LBB135_2657:
	s_and_b64 vcc, exec, s[24:25]
	s_cbranch_vccz .LBB135_2662
; %bb.2658:
	s_cmp_eq_u32 s28, 44
	s_cbranch_scc0 .LBB135_2660
; %bb.2659:
	global_load_ubyte v1, v[10:11], off
	s_movk_i32 s16, 0xff
	v_mov_b32_e32 v3, 0x7f800001
	v_mov_b32_e32 v5, 0x400000
	s_mov_b64 s[0:1], 0
	s_waitcnt vmcnt(0)
	v_lshlrev_b32_e32 v7, 23, v1
	v_cmp_ne_u32_e32 vcc, s16, v1
	v_cndmask_b32_e32 v3, v3, v7, vcc
	v_cmp_ne_u32_e32 vcc, 0, v1
	v_cndmask_b32_e32 v12, v5, v3, vcc
	s_mov_b64 s[16:17], -1
	s_branch .LBB135_2661
.LBB135_2660:
	s_mov_b64 s[0:1], -1
                                        ; implicit-def: $vgpr12
.LBB135_2661:
	s_waitcnt vmcnt(0)
	v_mov_b32_e32 v13, 0
.LBB135_2662:
	s_mov_b64 s[24:25], 0
.LBB135_2663:
	s_and_b64 vcc, exec, s[24:25]
	s_cbranch_vccz .LBB135_2668
; %bb.2664:
	s_cmp_eq_u32 s28, 29
	s_cbranch_scc0 .LBB135_2666
; %bb.2665:
	global_load_dwordx2 v[12:13], v[10:11], off
	s_mov_b64 s[0:1], 0
	s_mov_b64 s[16:17], -1
	s_waitcnt vmcnt(0)
	v_ffbh_u32_e32 v1, v13
	v_min_u32_e32 v1, 32, v1
	v_lshlrev_b64 v[12:13], v1, v[12:13]
	v_sub_u32_e32 v1, 32, v1
	v_min_u32_e32 v3, 1, v12
	v_or_b32_e32 v3, v13, v3
	v_cvt_f32_u32_e32 v3, v3
	v_ldexp_f32 v12, v3, v1
	s_branch .LBB135_2667
.LBB135_2666:
	s_mov_b64 s[0:1], -1
                                        ; implicit-def: $vgpr12
.LBB135_2667:
	s_waitcnt vmcnt(0)
	v_mov_b32_e32 v13, 0
.LBB135_2668:
	s_mov_b64 s[24:25], 0
.LBB135_2669:
	s_and_b64 vcc, exec, s[24:25]
	s_cbranch_vccz .LBB135_2687
; %bb.2670:
	s_cmp_lt_i32 s28, 27
	s_cbranch_scc1 .LBB135_2673
; %bb.2671:
	s_cmp_gt_i32 s28, 27
	s_cbranch_scc0 .LBB135_2674
; %bb.2672:
	global_load_dword v1, v[10:11], off
	s_mov_b64 s[16:17], 0
	s_waitcnt vmcnt(0)
	v_cvt_f32_u32_e32 v12, v1
	s_branch .LBB135_2675
.LBB135_2673:
	s_mov_b64 s[16:17], -1
                                        ; implicit-def: $vgpr12
	s_branch .LBB135_2678
.LBB135_2674:
	s_mov_b64 s[16:17], -1
                                        ; implicit-def: $vgpr12
.LBB135_2675:
	s_andn2_b64 vcc, exec, s[16:17]
	s_cbranch_vccnz .LBB135_2677
; %bb.2676:
	global_load_ushort v1, v[10:11], off
	s_waitcnt vmcnt(0)
	v_cvt_f32_u32_e32 v12, v1
.LBB135_2677:
	s_mov_b64 s[16:17], 0
.LBB135_2678:
	s_andn2_b64 vcc, exec, s[16:17]
	s_cbranch_vccnz .LBB135_2686
; %bb.2679:
	global_load_ubyte v1, v[10:11], off
	s_movk_i32 s16, 0x7f
	s_waitcnt vmcnt(0)
	v_cmp_lt_i16_e32 vcc, s16, v1
	s_mov_b64 s[16:17], 0
	s_and_saveexec_b64 s[24:25], vcc
	s_xor_b64 s[24:25], exec, s[24:25]
	s_cbranch_execz .LBB135_2712
; %bb.2680:
	s_movk_i32 s16, 0x80
	v_cmp_eq_u16_e32 vcc, s16, v1
	s_mov_b64 s[16:17], -1
	s_and_saveexec_b64 s[26:27], vcc
; %bb.2681:
	s_xor_b64 s[16:17], exec, -1
; %bb.2682:
	s_or_b64 exec, exec, s[26:27]
	s_and_b64 s[16:17], s[16:17], exec
	s_or_saveexec_b64 s[24:25], s[24:25]
	v_mov_b32_e32 v12, 0x7f800001
	s_xor_b64 exec, exec, s[24:25]
	s_cbranch_execnz .LBB135_2713
.LBB135_2683:
	s_or_b64 exec, exec, s[24:25]
	s_and_saveexec_b64 s[24:25], s[16:17]
	s_cbranch_execz .LBB135_2685
.LBB135_2684:
	v_lshlrev_b32_e32 v3, 24, v1
	v_and_b32_e32 v1, 0xffff, v1
	v_and_b32_e32 v5, 7, v1
	v_ffbh_u32_e32 v12, v5
	v_min_u32_e32 v12, 32, v12
	v_subrev_u32_e32 v13, 28, v12
	v_bfe_u32 v7, v1, 3, 4
	v_lshlrev_b32_e32 v1, v13, v1
	v_sub_u32_e32 v12, 29, v12
	v_and_b32_e32 v1, 7, v1
	v_cmp_eq_u32_e32 vcc, 0, v7
	v_cndmask_b32_e32 v7, v7, v12, vcc
	v_cndmask_b32_e32 v1, v5, v1, vcc
	v_mov_b32_e32 v5, 0x3b800000
	v_lshlrev_b32_e32 v1, 20, v1
	v_and_b32_e32 v3, 0x80000000, v3
	v_lshl_add_u32 v5, v7, 23, v5
	v_or3_b32 v12, v3, v5, v1
.LBB135_2685:
	s_or_b64 exec, exec, s[24:25]
.LBB135_2686:
	s_mov_b64 s[16:17], -1
	s_waitcnt vmcnt(0)
	v_mov_b32_e32 v13, 0
.LBB135_2687:
	s_mov_b64 s[24:25], 0
.LBB135_2688:
	s_and_b64 vcc, exec, s[24:25]
	s_cbranch_vccz .LBB135_2699
; %bb.2689:
	s_cmp_gt_i32 s28, 22
	s_cbranch_scc0 .LBB135_2710
; %bb.2690:
	s_cmp_lt_i32 s28, 24
	s_cbranch_scc1 .LBB135_2714
; %bb.2691:
	s_cmp_gt_i32 s28, 24
	s_cbranch_scc0 .LBB135_2716
; %bb.2692:
	global_load_ubyte v1, v[10:11], off
	s_movk_i32 s10, 0x7f
	s_waitcnt vmcnt(0)
	v_cmp_lt_i16_e32 vcc, s10, v1
	s_mov_b64 s[10:11], 0
	s_and_saveexec_b64 s[16:17], vcc
	s_xor_b64 s[16:17], exec, s[16:17]
	s_cbranch_execz .LBB135_2728
; %bb.2693:
	s_movk_i32 s10, 0x80
	v_cmp_eq_u16_e32 vcc, s10, v1
	s_mov_b64 s[10:11], -1
	s_and_saveexec_b64 s[24:25], vcc
; %bb.2694:
	s_xor_b64 s[10:11], exec, -1
; %bb.2695:
	s_or_b64 exec, exec, s[24:25]
	s_and_b64 s[10:11], s[10:11], exec
	s_or_saveexec_b64 s[16:17], s[16:17]
	v_mov_b32_e32 v12, 0x7f800001
	s_xor_b64 exec, exec, s[16:17]
	s_cbranch_execnz .LBB135_2729
.LBB135_2696:
	s_or_b64 exec, exec, s[16:17]
	s_and_saveexec_b64 s[16:17], s[10:11]
	s_cbranch_execz .LBB135_2698
.LBB135_2697:
	v_lshlrev_b32_e32 v3, 24, v1
	v_and_b32_e32 v1, 0xffff, v1
	v_and_b32_e32 v5, 3, v1
	v_ffbh_u32_e32 v12, v5
	v_min_u32_e32 v12, 32, v12
	v_subrev_u32_e32 v13, 29, v12
	v_bfe_u32 v7, v1, 2, 5
	v_lshlrev_b32_e32 v1, v13, v1
	v_sub_u32_e32 v12, 30, v12
	v_and_b32_e32 v1, 3, v1
	v_cmp_eq_u32_e32 vcc, 0, v7
	v_cndmask_b32_e32 v7, v7, v12, vcc
	v_cndmask_b32_e32 v1, v5, v1, vcc
	v_mov_b32_e32 v5, 0x37800000
	v_lshlrev_b32_e32 v1, 21, v1
	v_and_b32_e32 v3, 0x80000000, v3
	v_lshl_add_u32 v5, v7, 23, v5
	v_or3_b32 v12, v3, v5, v1
.LBB135_2698:
	s_or_b64 exec, exec, s[16:17]
	s_mov_b64 s[10:11], 0
	s_branch .LBB135_2717
.LBB135_2699:
	s_and_b64 vcc, exec, s[0:1]
	s_cbranch_vccnz .LBB135_2747
.LBB135_2700:
	s_andn2_b64 vcc, exec, s[10:11]
	s_cbranch_vccnz .LBB135_2702
.LBB135_2701:
	global_load_ubyte v1, v[10:11], off
	s_waitcnt vmcnt(1)
	v_mov_b32_e32 v13, 0
	s_mov_b64 s[16:17], -1
	s_waitcnt vmcnt(0)
	v_cmp_ne_u16_e32 vcc, 0, v1
	v_cndmask_b32_e64 v12, 0, 1.0, vcc
.LBB135_2702:
	s_mov_b64 s[0:1], 0
.LBB135_2703:
	s_and_b64 vcc, exec, s[0:1]
	s_cbranch_vccz .LBB135_2778
; %bb.2704:
	s_and_b32 s10, 0xffff, s31
	s_cmp_lt_i32 s10, 5
	s_cbranch_scc1 .LBB135_2709
; %bb.2705:
	s_cmp_lt_i32 s10, 8
	s_cbranch_scc1 .LBB135_2711
; %bb.2706:
	;; [unrolled: 3-line block ×3, first 2 shown]
	s_cmp_gt_i32 s10, 9
	s_cbranch_scc0 .LBB135_2730
; %bb.2708:
	global_load_dwordx4 v[12:15], v[10:11], off
	s_mov_b64 s[0:1], 0
	s_waitcnt vmcnt(0)
	v_cvt_f32_f64_e32 v12, v[12:13]
	v_cvt_f32_f64_e32 v13, v[14:15]
	s_branch .LBB135_2731
.LBB135_2709:
	s_mov_b64 s[0:1], -1
                                        ; implicit-def: $vgpr13
	s_branch .LBB135_2756
.LBB135_2710:
	s_mov_b64 s[10:11], -1
                                        ; implicit-def: $vgpr12
	s_branch .LBB135_2723
.LBB135_2711:
	s_mov_b64 s[0:1], -1
                                        ; implicit-def: $vgpr13
	s_branch .LBB135_2737
.LBB135_2712:
	s_or_saveexec_b64 s[24:25], s[24:25]
	v_mov_b32_e32 v12, 0x7f800001
	s_xor_b64 exec, exec, s[24:25]
	s_cbranch_execz .LBB135_2683
.LBB135_2713:
	v_cmp_ne_u16_e32 vcc, 0, v1
	s_andn2_b64 s[16:17], s[16:17], exec
	s_and_b64 s[26:27], vcc, exec
	v_mov_b32_e32 v12, 0
	s_or_b64 s[16:17], s[16:17], s[26:27]
	s_or_b64 exec, exec, s[24:25]
	s_and_saveexec_b64 s[24:25], s[16:17]
	s_cbranch_execnz .LBB135_2684
	s_branch .LBB135_2685
.LBB135_2714:
	s_mov_b64 s[10:11], -1
                                        ; implicit-def: $vgpr12
	s_branch .LBB135_2720
.LBB135_2715:
	s_mov_b64 s[0:1], -1
                                        ; implicit-def: $vgpr13
	s_branch .LBB135_2734
.LBB135_2716:
	s_mov_b64 s[10:11], -1
                                        ; implicit-def: $vgpr12
.LBB135_2717:
	s_and_b64 vcc, exec, s[10:11]
	s_cbranch_vccz .LBB135_2719
; %bb.2718:
	global_load_ubyte v1, v[10:11], off
	s_mov_b32 s10, 0x7f800000
	s_waitcnt vmcnt(0)
	v_lshlrev_b32_e32 v1, 24, v1
	v_and_b32_e32 v3, 0x7f000000, v1
	v_ffbh_u32_e32 v5, v3
	v_min_u32_e32 v5, 32, v5
	v_sub_u32_e64 v5, v5, 4 clamp
	v_lshlrev_b32_e32 v12, v5, v3
	v_lshlrev_b32_e32 v5, 23, v5
	v_lshrrev_b32_e32 v12, 4, v12
	v_add_u32_e32 v7, 0x1000000, v3
	v_sub_u32_e32 v5, v12, v5
	v_ashrrev_i32_e32 v7, 8, v7
	v_add_u32_e32 v5, 0x3c000000, v5
	v_and_or_b32 v5, v7, s10, v5
	v_cmp_ne_u32_e32 vcc, 0, v3
	v_cndmask_b32_e32 v3, 0, v5, vcc
	s_brev_b32 s10, 1
	v_and_or_b32 v12, v1, s10, v3
.LBB135_2719:
	s_mov_b64 s[10:11], 0
.LBB135_2720:
	s_andn2_b64 vcc, exec, s[10:11]
	s_cbranch_vccnz .LBB135_2722
; %bb.2721:
	global_load_ubyte v1, v[10:11], off
	s_movk_i32 s10, 0x7f00
	s_brev_b32 s11, 16
	s_waitcnt vmcnt(0)
	v_lshlrev_b16_e32 v3, 8, v1
	v_lshlrev_b32_e32 v1, 25, v1
	v_lshrrev_b32_e32 v5, 4, v1
	v_and_or_b32 v7, v3, s10, 0.5
	v_or_b32_e32 v5, 0x70000000, v5
	v_add_f32_e32 v7, -0.5, v7
	v_mul_f32_e32 v5, 0x7800000, v5
	v_cmp_gt_u32_e32 vcc, s11, v1
	v_bfe_i32 v3, v3, 0, 16
	v_cndmask_b32_e32 v1, v5, v7, vcc
	s_brev_b32 s10, 1
	v_and_or_b32 v12, v3, s10, v1
.LBB135_2722:
	s_mov_b64 s[10:11], 0
	s_mov_b64 s[16:17], -1
.LBB135_2723:
	s_andn2_b64 vcc, exec, s[10:11]
	s_mov_b64 s[10:11], 0
	s_cbranch_vccnz .LBB135_2746
; %bb.2724:
	s_cmp_gt_i32 s28, 14
	s_cbranch_scc0 .LBB135_2727
; %bb.2725:
	s_cmp_eq_u32 s28, 15
	s_cbranch_scc0 .LBB135_2742
; %bb.2726:
	global_load_ushort v1, v[10:11], off
	s_mov_b64 s[0:1], 0
	s_mov_b64 s[16:17], -1
	s_waitcnt vmcnt(0)
	v_lshlrev_b32_e32 v12, 16, v1
	s_branch .LBB135_2743
.LBB135_2727:
	s_mov_b64 s[24:25], -1
                                        ; implicit-def: $vgpr12
	s_branch .LBB135_2744
.LBB135_2728:
	s_or_saveexec_b64 s[16:17], s[16:17]
	v_mov_b32_e32 v12, 0x7f800001
	s_xor_b64 exec, exec, s[16:17]
	s_cbranch_execz .LBB135_2696
.LBB135_2729:
	v_cmp_ne_u16_e32 vcc, 0, v1
	s_andn2_b64 s[10:11], s[10:11], exec
	s_and_b64 s[24:25], vcc, exec
	v_mov_b32_e32 v12, 0
	s_or_b64 s[10:11], s[10:11], s[24:25]
	s_or_b64 exec, exec, s[16:17]
	s_and_saveexec_b64 s[16:17], s[10:11]
	s_cbranch_execnz .LBB135_2697
	s_branch .LBB135_2698
.LBB135_2730:
	s_mov_b64 s[0:1], -1
                                        ; implicit-def: $vgpr13
.LBB135_2731:
	s_andn2_b64 vcc, exec, s[0:1]
	s_cbranch_vccnz .LBB135_2733
; %bb.2732:
	global_load_dwordx2 v[12:13], v[10:11], off
.LBB135_2733:
	s_mov_b64 s[0:1], 0
.LBB135_2734:
	s_andn2_b64 vcc, exec, s[0:1]
	s_cbranch_vccnz .LBB135_2736
; %bb.2735:
	global_load_dword v1, v[10:11], off
	s_waitcnt vmcnt(0)
	v_cvt_f32_f16_e32 v12, v1
	v_cvt_f32_f16_sdwa v13, v1 dst_sel:DWORD dst_unused:UNUSED_PAD src0_sel:WORD_1
.LBB135_2736:
	s_mov_b64 s[0:1], 0
.LBB135_2737:
	s_andn2_b64 vcc, exec, s[0:1]
	s_cbranch_vccnz .LBB135_2755
; %bb.2738:
	s_cmp_lt_i32 s10, 6
	s_cbranch_scc1 .LBB135_2741
; %bb.2739:
	s_cmp_gt_i32 s10, 6
	s_cbranch_scc0 .LBB135_2748
; %bb.2740:
	global_load_dwordx2 v[12:13], v[10:11], off
	s_mov_b64 s[0:1], 0
	s_waitcnt vmcnt(0)
	v_cvt_f32_f64_e32 v12, v[12:13]
	s_branch .LBB135_2749
.LBB135_2741:
	s_mov_b64 s[0:1], -1
                                        ; implicit-def: $vgpr12
	s_branch .LBB135_2752
.LBB135_2742:
	s_mov_b64 s[0:1], -1
                                        ; implicit-def: $vgpr12
.LBB135_2743:
	s_mov_b64 s[24:25], 0
.LBB135_2744:
	s_and_b64 vcc, exec, s[24:25]
	s_cbranch_vccz .LBB135_2746
; %bb.2745:
	s_cmp_lg_u32 s28, 11
	s_mov_b64 s[10:11], -1
	s_cselect_b64 s[0:1], -1, 0
.LBB135_2746:
	s_waitcnt vmcnt(0)
	v_mov_b32_e32 v13, 0
	s_and_b64 vcc, exec, s[0:1]
	s_cbranch_vccz .LBB135_2700
.LBB135_2747:
	s_trap 2
	s_or_b64 s[4:5], s[4:5], exec
	s_cbranch_execz .LBB135_2701
	s_branch .LBB135_2702
.LBB135_2748:
	s_mov_b64 s[0:1], -1
                                        ; implicit-def: $vgpr12
.LBB135_2749:
	s_andn2_b64 vcc, exec, s[0:1]
	s_cbranch_vccnz .LBB135_2751
; %bb.2750:
	global_load_dword v12, v[10:11], off
.LBB135_2751:
	s_mov_b64 s[0:1], 0
.LBB135_2752:
	s_andn2_b64 vcc, exec, s[0:1]
	s_cbranch_vccnz .LBB135_2754
; %bb.2753:
	global_load_ushort v1, v[10:11], off
	s_waitcnt vmcnt(0)
	v_cvt_f32_f16_e32 v12, v1
.LBB135_2754:
	s_waitcnt vmcnt(0)
	v_mov_b32_e32 v13, 0
.LBB135_2755:
	s_mov_b64 s[0:1], 0
.LBB135_2756:
	s_andn2_b64 vcc, exec, s[0:1]
	s_cbranch_vccnz .LBB135_2777
; %bb.2757:
	s_cmp_lt_i32 s10, 2
	s_cbranch_scc1 .LBB135_2761
; %bb.2758:
	s_cmp_lt_i32 s10, 3
	s_cbranch_scc1 .LBB135_2762
; %bb.2759:
	s_cmp_gt_i32 s10, 3
	s_cbranch_scc0 .LBB135_2763
; %bb.2760:
	global_load_dwordx2 v[12:13], v[10:11], off
	s_mov_b64 s[0:1], 0
	s_waitcnt vmcnt(0)
	v_xor_b32_e32 v3, v12, v13
	v_ffbh_i32_e32 v1, v13
	v_ashrrev_i32_e32 v3, 31, v3
	v_add_u32_e32 v1, -1, v1
	v_add_u32_e32 v3, 32, v3
	v_min_u32_e32 v1, v1, v3
	v_lshlrev_b64 v[12:13], v1, v[12:13]
	v_sub_u32_e32 v1, 32, v1
	v_min_u32_e32 v3, 1, v12
	v_or_b32_e32 v3, v13, v3
	v_cvt_f32_i32_e32 v3, v3
	v_ldexp_f32 v12, v3, v1
	s_branch .LBB135_2764
.LBB135_2761:
	s_mov_b64 s[0:1], -1
                                        ; implicit-def: $vgpr12
	s_branch .LBB135_2770
.LBB135_2762:
	s_mov_b64 s[0:1], -1
                                        ; implicit-def: $vgpr12
	s_branch .LBB135_2767
.LBB135_2763:
	s_mov_b64 s[0:1], -1
                                        ; implicit-def: $vgpr12
.LBB135_2764:
	s_andn2_b64 vcc, exec, s[0:1]
	s_cbranch_vccnz .LBB135_2766
; %bb.2765:
	global_load_dword v1, v[10:11], off
	s_waitcnt vmcnt(0)
	v_cvt_f32_i32_e32 v12, v1
.LBB135_2766:
	s_mov_b64 s[0:1], 0
.LBB135_2767:
	s_andn2_b64 vcc, exec, s[0:1]
	s_cbranch_vccnz .LBB135_2769
; %bb.2768:
	global_load_sshort v1, v[10:11], off
	s_waitcnt vmcnt(0)
	v_cvt_f32_i32_e32 v12, v1
.LBB135_2769:
	s_mov_b64 s[0:1], 0
.LBB135_2770:
	s_andn2_b64 vcc, exec, s[0:1]
	s_cbranch_vccnz .LBB135_2776
; %bb.2771:
	s_cmp_gt_i32 s10, 0
	s_cbranch_scc0 .LBB135_2773
; %bb.2772:
	global_load_sbyte v1, v[10:11], off
	s_mov_b64 s[0:1], 0
	s_waitcnt vmcnt(0)
	v_cvt_f32_i32_e32 v12, v1
	s_branch .LBB135_2774
.LBB135_2773:
	s_mov_b64 s[0:1], -1
                                        ; implicit-def: $vgpr12
.LBB135_2774:
	s_andn2_b64 vcc, exec, s[0:1]
	s_cbranch_vccnz .LBB135_2776
; %bb.2775:
	global_load_ubyte v1, v[10:11], off
	s_waitcnt vmcnt(0)
	v_cvt_f32_ubyte0_e32 v12, v1
.LBB135_2776:
	s_waitcnt vmcnt(0)
	v_mov_b32_e32 v13, 0
.LBB135_2777:
	s_mov_b64 s[16:17], -1
.LBB135_2778:
	s_andn2_b64 vcc, exec, s[16:17]
	s_cbranch_vccnz .LBB135_2781
; %bb.2779:
	s_and_b64 vcc, exec, s[18:19]
	s_cbranch_vccz .LBB135_2827
; %bb.2780:
	s_waitcnt vmcnt(0)
	v_cmp_neq_f32_e32 vcc, v8, v12
	v_cmp_neq_f32_e64 s[0:1], v9, v13
	s_or_b64 s[10:11], vcc, s[0:1]
	s_mov_b64 s[0:1], 0
	s_branch .LBB135_2828
.LBB135_2781:
	s_mov_b64 s[0:1], 0
                                        ; implicit-def: $sgpr10_sgpr11
.LBB135_2782:
                                        ; implicit-def: $vgpr0_vgpr1
                                        ; implicit-def: $sgpr26
	s_mov_b64 s[2:3], 0
.LBB135_2783:
	s_and_b64 s[6:7], s[2:3], exec
	s_andn2_b64 s[2:3], s[12:13], exec
	s_and_b64 s[4:5], s[4:5], exec
	s_and_b64 s[0:1], s[0:1], exec
	s_or_b64 s[12:13], s[2:3], s[4:5]
.LBB135_2784:
	s_or_b64 exec, exec, s[14:15]
	s_and_saveexec_b64 s[2:3], s[12:13]
	s_cbranch_execz .LBB135_2787
; %bb.2785:
	; divergent unreachable
	s_or_b64 exec, exec, s[2:3]
	s_and_saveexec_b64 s[2:3], s[6:7]
	s_xor_b64 s[2:3], exec, s[2:3]
	s_cbranch_execnz .LBB135_2788
.LBB135_2786:
	s_or_b64 exec, exec, s[2:3]
	s_and_saveexec_b64 s[2:3], s[0:1]
	s_cbranch_execnz .LBB135_2789
	s_branch .LBB135_2826
.LBB135_2787:
	s_or_b64 exec, exec, s[2:3]
	s_and_saveexec_b64 s[2:3], s[6:7]
	s_xor_b64 s[2:3], exec, s[2:3]
	s_cbranch_execz .LBB135_2786
.LBB135_2788:
	s_waitcnt vmcnt(0)
	v_cndmask_b32_e64 v2, 0, 1, s[10:11]
	global_store_byte v[0:1], v2, off
	s_or_b64 exec, exec, s[2:3]
	s_and_saveexec_b64 s[2:3], s[0:1]
	s_cbranch_execz .LBB135_2826
.LBB135_2789:
	s_sext_i32_i16 s2, s26
	s_cmp_lt_i32 s2, 5
	s_mov_b64 s[0:1], -1
	s_cbranch_scc1 .LBB135_2810
; %bb.2790:
	s_cmp_lt_i32 s2, 8
	s_cbranch_scc1 .LBB135_2800
; %bb.2791:
	s_cmp_lt_i32 s2, 9
	s_cbranch_scc1 .LBB135_2797
; %bb.2792:
	s_cmp_gt_i32 s2, 9
	s_cbranch_scc0 .LBB135_2794
; %bb.2793:
	s_waitcnt vmcnt(0)
	v_cndmask_b32_e64 v2, 0, 1, s[10:11]
	v_cvt_f64_u32_e32 v[2:3], v2
	v_mov_b32_e32 v4, 0
	v_mov_b32_e32 v5, v4
	s_mov_b64 s[0:1], 0
	global_store_dwordx4 v[0:1], v[2:5], off
.LBB135_2794:
	s_andn2_b64 vcc, exec, s[0:1]
	s_cbranch_vccnz .LBB135_2796
; %bb.2795:
	s_waitcnt vmcnt(0)
	v_cndmask_b32_e64 v2, 0, 1.0, s[10:11]
	v_mov_b32_e32 v3, 0
	global_store_dwordx2 v[0:1], v[2:3], off
.LBB135_2796:
	s_mov_b64 s[0:1], 0
.LBB135_2797:
	s_andn2_b64 vcc, exec, s[0:1]
	s_cbranch_vccnz .LBB135_2799
; %bb.2798:
	s_waitcnt vmcnt(0)
	v_cndmask_b32_e64 v2, 0, 1.0, s[10:11]
	v_cvt_f16_f32_e32 v2, v2
	global_store_dword v[0:1], v2, off
.LBB135_2799:
	s_mov_b64 s[0:1], 0
.LBB135_2800:
	s_andn2_b64 vcc, exec, s[0:1]
	s_cbranch_vccnz .LBB135_2809
; %bb.2801:
	s_sext_i32_i16 s2, s26
	s_cmp_lt_i32 s2, 6
	s_mov_b64 s[0:1], -1
	s_cbranch_scc1 .LBB135_2807
; %bb.2802:
	s_cmp_gt_i32 s2, 6
	s_cbranch_scc0 .LBB135_2804
; %bb.2803:
	s_waitcnt vmcnt(0)
	v_cndmask_b32_e64 v2, 0, 1, s[10:11]
	v_cvt_f64_u32_e32 v[2:3], v2
	s_mov_b64 s[0:1], 0
	global_store_dwordx2 v[0:1], v[2:3], off
.LBB135_2804:
	s_andn2_b64 vcc, exec, s[0:1]
	s_cbranch_vccnz .LBB135_2806
; %bb.2805:
	s_waitcnt vmcnt(0)
	v_cndmask_b32_e64 v2, 0, 1.0, s[10:11]
	global_store_dword v[0:1], v2, off
.LBB135_2806:
	s_mov_b64 s[0:1], 0
.LBB135_2807:
	s_andn2_b64 vcc, exec, s[0:1]
	s_cbranch_vccnz .LBB135_2809
; %bb.2808:
	s_waitcnt vmcnt(0)
	v_cndmask_b32_e64 v2, 0, 1.0, s[10:11]
	v_cvt_f16_f32_e32 v2, v2
	global_store_short v[0:1], v2, off
.LBB135_2809:
	s_mov_b64 s[0:1], 0
.LBB135_2810:
	s_andn2_b64 vcc, exec, s[0:1]
	s_cbranch_vccnz .LBB135_2826
; %bb.2811:
	s_sext_i32_i16 s2, s26
	s_cmp_lt_i32 s2, 2
	s_mov_b64 s[0:1], -1
	s_cbranch_scc1 .LBB135_2821
; %bb.2812:
	s_cmp_lt_i32 s2, 3
	s_cbranch_scc1 .LBB135_2818
; %bb.2813:
	s_cmp_gt_i32 s2, 3
	s_cbranch_scc0 .LBB135_2815
; %bb.2814:
	s_mov_b32 s0, 0
	s_waitcnt vmcnt(0)
	v_cndmask_b32_e64 v2, 0, 1, s[10:11]
	v_mov_b32_e32 v3, s0
	global_store_dwordx2 v[0:1], v[2:3], off
	s_mov_b64 s[0:1], 0
.LBB135_2815:
	s_andn2_b64 vcc, exec, s[0:1]
	s_cbranch_vccnz .LBB135_2817
; %bb.2816:
	s_waitcnt vmcnt(0)
	v_cndmask_b32_e64 v2, 0, 1, s[10:11]
	global_store_dword v[0:1], v2, off
.LBB135_2817:
	s_mov_b64 s[0:1], 0
.LBB135_2818:
	s_andn2_b64 vcc, exec, s[0:1]
	s_cbranch_vccnz .LBB135_2820
; %bb.2819:
	s_waitcnt vmcnt(0)
	v_cndmask_b32_e64 v2, 0, 1, s[10:11]
	global_store_short v[0:1], v2, off
.LBB135_2820:
	s_mov_b64 s[0:1], 0
.LBB135_2821:
	s_andn2_b64 vcc, exec, s[0:1]
	s_cbranch_vccnz .LBB135_2826
; %bb.2822:
	s_sext_i32_i16 s0, s26
	s_cmp_gt_i32 s0, 0
	s_mov_b64 s[0:1], -1
	s_cbranch_scc0 .LBB135_2824
; %bb.2823:
	s_waitcnt vmcnt(0)
	v_cndmask_b32_e64 v2, 0, 1, s[10:11]
	global_store_byte v[0:1], v2, off
	s_mov_b64 s[0:1], 0
.LBB135_2824:
	s_andn2_b64 vcc, exec, s[0:1]
	s_cbranch_vccnz .LBB135_2826
; %bb.2825:
	s_waitcnt vmcnt(0)
	v_cndmask_b32_e64 v2, 0, 1, s[10:11]
	global_store_byte v[0:1], v2, off
	s_endpgm
.LBB135_2826:
	s_endpgm
.LBB135_2827:
	s_mov_b64 s[0:1], -1
                                        ; implicit-def: $sgpr10_sgpr11
.LBB135_2828:
	s_andn2_b64 vcc, exec, s[0:1]
	s_cbranch_vccnz .LBB135_2830
; %bb.2829:
	s_waitcnt vmcnt(0)
	v_cmp_eq_f32_e32 vcc, v8, v12
	v_cmp_eq_f32_e64 s[0:1], v9, v13
	s_and_b64 s[0:1], vcc, s[0:1]
	s_andn2_b64 s[10:11], s[10:11], exec
	s_and_b64 s[0:1], s[0:1], exec
	s_or_b64 s[10:11], s[10:11], s[0:1]
.LBB135_2830:
	s_load_dword s0, s[2:3], 0x1a4
	v_mov_b32_e32 v1, s9
	v_add_co_u32_e32 v5, vcc, s8, v6
	v_addc_co_u32_e32 v6, vcc, 0, v1, vcc
	s_waitcnt lgkmcnt(0)
	s_and_b32 s26, s0, 0xff
	s_cmp_lt_i32 s26, 11
	s_cbranch_scc1 .LBB135_2908
; %bb.2831:
	s_and_b32 s27, 0xffff, s26
	s_mov_b64 s[18:19], -1
	s_mov_b64 s[2:3], 0
	s_cmp_gt_i32 s27, 25
	s_mov_b64 s[16:17], 0
	s_mov_b64 s[0:1], 0
	s_cbranch_scc0 .LBB135_2864
; %bb.2832:
	s_cmp_gt_i32 s27, 28
	s_cbranch_scc0 .LBB135_2847
; %bb.2833:
	s_cmp_gt_i32 s27, 43
	;; [unrolled: 3-line block ×3, first 2 shown]
	s_cbranch_scc0 .LBB135_2837
; %bb.2835:
	s_mov_b64 s[0:1], -1
	s_mov_b64 s[18:19], 0
	s_cmp_eq_u32 s27, 46
	s_cbranch_scc0 .LBB135_2837
; %bb.2836:
	v_cndmask_b32_e64 v1, 0, 1.0, s[6:7]
	v_bfe_u32 v3, v1, 16, 1
	s_movk_i32 s0, 0x7fff
	v_add3_u32 v1, v1, v3, s0
	v_lshrrev_b32_e32 v1, 16, v1
	global_store_dword v[5:6], v1, off
	s_mov_b64 s[0:1], 0
	s_mov_b64 s[16:17], -1
.LBB135_2837:
	s_and_b64 vcc, exec, s[18:19]
	s_cbranch_vccz .LBB135_2842
; %bb.2838:
	s_cmp_eq_u32 s27, 44
	s_mov_b64 s[0:1], -1
	s_cbranch_scc0 .LBB135_2842
; %bb.2839:
	v_cndmask_b32_e64 v3, 0, 1.0, s[6:7]
	v_lshrrev_b32_e32 v1, 23, v3
	s_movk_i32 s0, 0xff
	v_cmp_ne_u32_e32 vcc, s0, v1
	v_mov_b32_e32 v7, 0xff
	s_and_saveexec_b64 s[16:17], vcc
; %bb.2840:
	s_mov_b32 s0, 0x3fffff
	v_and_b32_e32 v7, 0x400000, v3
	v_and_or_b32 v3, v3, s0, v1
	v_cmp_ne_u32_e32 vcc, 0, v7
	v_cmp_ne_u32_e64 s[0:1], 0, v3
	s_and_b64 s[0:1], vcc, s[0:1]
	v_cndmask_b32_e64 v3, 0, 1, s[0:1]
	v_add_u32_e32 v7, v1, v3
; %bb.2841:
	s_or_b64 exec, exec, s[16:17]
	s_mov_b64 s[0:1], 0
	s_mov_b64 s[16:17], -1
	global_store_byte v[5:6], v7, off
.LBB135_2842:
	s_mov_b64 s[18:19], 0
.LBB135_2843:
	s_and_b64 vcc, exec, s[18:19]
	s_cbranch_vccz .LBB135_2846
; %bb.2844:
	s_cmp_eq_u32 s27, 29
	s_mov_b64 s[0:1], -1
	s_cbranch_scc0 .LBB135_2846
; %bb.2845:
	s_mov_b32 s0, 0
	v_cndmask_b32_e64 v7, 0, 1, s[6:7]
	s_waitcnt vmcnt(0)
	v_mov_b32_e32 v8, s0
	global_store_dwordx2 v[5:6], v[7:8], off
	s_mov_b64 s[0:1], 0
	s_mov_b64 s[16:17], -1
.LBB135_2846:
	s_mov_b64 s[18:19], 0
.LBB135_2847:
	s_and_b64 vcc, exec, s[18:19]
	s_cbranch_vccz .LBB135_2863
; %bb.2848:
	s_cmp_lt_i32 s27, 27
	s_mov_b64 s[16:17], -1
	s_cbranch_scc1 .LBB135_2854
; %bb.2849:
	s_cmp_gt_i32 s27, 27
	s_cbranch_scc0 .LBB135_2851
; %bb.2850:
	v_cndmask_b32_e64 v1, 0, 1, s[6:7]
	s_mov_b64 s[16:17], 0
	global_store_dword v[5:6], v1, off
.LBB135_2851:
	s_andn2_b64 vcc, exec, s[16:17]
	s_cbranch_vccnz .LBB135_2853
; %bb.2852:
	v_cndmask_b32_e64 v1, 0, 1, s[6:7]
	global_store_short v[5:6], v1, off
.LBB135_2853:
	s_mov_b64 s[16:17], 0
.LBB135_2854:
	s_andn2_b64 vcc, exec, s[16:17]
	s_cbranch_vccnz .LBB135_2862
; %bb.2855:
	v_cndmask_b32_e64 v3, 0, 1.0, s[6:7]
	s_mov_b32 s16, 0x43800000
	v_cmp_gt_u32_e32 vcc, s16, v3
	v_mov_b32_e32 v7, 0x80
	s_and_saveexec_b64 s[16:17], vcc
	s_cbranch_execz .LBB135_2861
; %bb.2856:
	s_mov_b32 s18, 0x3bffffff
	v_cmp_lt_u32_e32 vcc, s18, v3
	s_mov_b64 s[18:19], 0
                                        ; implicit-def: $vgpr1
	s_and_saveexec_b64 s[24:25], vcc
	s_xor_b64 s[24:25], exec, s[24:25]
	s_cbranch_execz .LBB135_3265
; %bb.2857:
	v_bfe_u32 v1, v3, 20, 1
	s_mov_b32 s28, 0x487ffff
	v_add3_u32 v1, v3, v1, s28
	s_mov_b64 s[18:19], exec
	v_lshrrev_b32_e32 v1, 20, v1
                                        ; implicit-def: $vgpr3
	s_andn2_saveexec_b64 s[24:25], s[24:25]
	s_cbranch_execnz .LBB135_3266
.LBB135_2858:
	s_or_b64 exec, exec, s[24:25]
	v_mov_b32_e32 v7, 0
	s_and_saveexec_b64 s[24:25], s[18:19]
.LBB135_2859:
	v_mov_b32_e32 v7, v1
.LBB135_2860:
	s_or_b64 exec, exec, s[24:25]
.LBB135_2861:
	s_or_b64 exec, exec, s[16:17]
	global_store_byte v[5:6], v7, off
.LBB135_2862:
	s_mov_b64 s[16:17], -1
.LBB135_2863:
	s_mov_b64 s[18:19], 0
.LBB135_2864:
	s_and_b64 vcc, exec, s[18:19]
	s_cbranch_vccz .LBB135_2904
; %bb.2865:
	s_cmp_gt_i32 s27, 22
	s_mov_b64 s[2:3], -1
	s_cbranch_scc0 .LBB135_2897
; %bb.2866:
	s_cmp_lt_i32 s27, 24
	s_cbranch_scc1 .LBB135_2886
; %bb.2867:
	s_cmp_gt_i32 s27, 24
	s_cbranch_scc0 .LBB135_2875
; %bb.2868:
	v_cndmask_b32_e64 v3, 0, 1.0, s[6:7]
	s_mov_b32 s2, 0x47800000
	v_cmp_gt_u32_e32 vcc, s2, v3
	v_mov_b32_e32 v7, 0x80
	s_and_saveexec_b64 s[2:3], vcc
	s_cbranch_execz .LBB135_2874
; %bb.2869:
	s_mov_b32 s16, 0x37ffffff
	v_cmp_lt_u32_e32 vcc, s16, v3
	s_mov_b64 s[16:17], 0
                                        ; implicit-def: $vgpr1
	s_and_saveexec_b64 s[18:19], vcc
	s_xor_b64 s[18:19], exec, s[18:19]
	s_cbranch_execz .LBB135_3268
; %bb.2870:
	v_bfe_u32 v1, v3, 21, 1
	s_mov_b32 s24, 0x88fffff
	v_add3_u32 v1, v3, v1, s24
	s_mov_b64 s[16:17], exec
	v_lshrrev_b32_e32 v1, 21, v1
                                        ; implicit-def: $vgpr3
	s_andn2_saveexec_b64 s[18:19], s[18:19]
	s_cbranch_execnz .LBB135_3269
.LBB135_2871:
	s_or_b64 exec, exec, s[18:19]
	v_mov_b32_e32 v7, 0
	s_and_saveexec_b64 s[18:19], s[16:17]
.LBB135_2872:
	v_mov_b32_e32 v7, v1
.LBB135_2873:
	s_or_b64 exec, exec, s[18:19]
.LBB135_2874:
	s_or_b64 exec, exec, s[2:3]
	s_mov_b64 s[2:3], 0
	global_store_byte v[5:6], v7, off
.LBB135_2875:
	s_and_b64 vcc, exec, s[2:3]
	s_cbranch_vccz .LBB135_2885
; %bb.2876:
	v_cndmask_b32_e64 v1, 0, 1.0, s[6:7]
	s_mov_b32 s2, 0x43f00000
	v_cmp_gt_u32_e32 vcc, s2, v1
                                        ; implicit-def: $vgpr3
	s_and_saveexec_b64 s[2:3], vcc
	s_xor_b64 s[2:3], exec, s[2:3]
	s_cbranch_execz .LBB135_2882
; %bb.2877:
	s_mov_b32 s16, 0x3c7fffff
	v_cmp_lt_u32_e32 vcc, s16, v1
                                        ; implicit-def: $vgpr3
	s_and_saveexec_b64 s[16:17], vcc
	s_xor_b64 s[16:17], exec, s[16:17]
; %bb.2878:
	v_bfe_u32 v3, v1, 20, 1
	s_mov_b32 s18, 0x407ffff
	v_add3_u32 v1, v1, v3, s18
	v_lshrrev_b32_e32 v3, 20, v1
	v_and_b32_e32 v1, 0xff00000, v1
	s_mov_b32 s18, 0x7f00000
	v_mov_b32_e32 v7, 0x7e
	v_cmp_ne_u32_e32 vcc, s18, v1
	v_cndmask_b32_e32 v3, v7, v3, vcc
                                        ; implicit-def: $vgpr1
; %bb.2879:
	s_andn2_saveexec_b64 s[16:17], s[16:17]
; %bb.2880:
	v_add_f32_e32 v3, 0x46800000, v1
; %bb.2881:
	s_or_b64 exec, exec, s[16:17]
                                        ; implicit-def: $vgpr1
.LBB135_2882:
	s_andn2_saveexec_b64 s[2:3], s[2:3]
; %bb.2883:
	s_mov_b32 s16, 0x7f800000
	v_mov_b32_e32 v3, 0x7e
	v_mov_b32_e32 v7, 0x7f
	v_cmp_lt_u32_e32 vcc, s16, v1
	v_cndmask_b32_e32 v3, v3, v7, vcc
; %bb.2884:
	s_or_b64 exec, exec, s[2:3]
	global_store_byte v[5:6], v3, off
.LBB135_2885:
	s_mov_b64 s[2:3], 0
.LBB135_2886:
	s_andn2_b64 vcc, exec, s[2:3]
	s_cbranch_vccnz .LBB135_2896
; %bb.2887:
	v_cndmask_b32_e64 v1, 0, 1.0, s[6:7]
	s_mov_b32 s2, 0x47800000
	v_cmp_gt_u32_e32 vcc, s2, v1
                                        ; implicit-def: $vgpr3
	s_and_saveexec_b64 s[2:3], vcc
	s_xor_b64 s[2:3], exec, s[2:3]
	s_cbranch_execz .LBB135_2893
; %bb.2888:
	s_mov_b32 s16, 0x387fffff
	v_cmp_lt_u32_e32 vcc, s16, v1
                                        ; implicit-def: $vgpr3
	s_and_saveexec_b64 s[16:17], vcc
	s_xor_b64 s[16:17], exec, s[16:17]
; %bb.2889:
	v_bfe_u32 v3, v1, 21, 1
	s_mov_b32 s18, 0x80fffff
	v_add3_u32 v1, v1, v3, s18
	v_lshrrev_b32_e32 v3, 21, v1
                                        ; implicit-def: $vgpr1
; %bb.2890:
	s_andn2_saveexec_b64 s[16:17], s[16:17]
; %bb.2891:
	v_add_f32_e32 v3, 0x43000000, v1
; %bb.2892:
	s_or_b64 exec, exec, s[16:17]
                                        ; implicit-def: $vgpr1
.LBB135_2893:
	s_andn2_saveexec_b64 s[2:3], s[2:3]
; %bb.2894:
	s_mov_b32 s16, 0x7f800000
	v_mov_b32_e32 v3, 0x7c
	v_mov_b32_e32 v7, 0x7f
	v_cmp_lt_u32_e32 vcc, s16, v1
	v_cndmask_b32_e32 v3, v3, v7, vcc
; %bb.2895:
	s_or_b64 exec, exec, s[2:3]
	global_store_byte v[5:6], v3, off
.LBB135_2896:
	s_mov_b64 s[2:3], 0
	s_mov_b64 s[16:17], -1
.LBB135_2897:
	s_andn2_b64 vcc, exec, s[2:3]
	s_mov_b64 s[2:3], 0
	s_cbranch_vccnz .LBB135_2904
; %bb.2898:
	s_cmp_gt_i32 s27, 14
	s_mov_b64 s[18:19], -1
	s_cbranch_scc0 .LBB135_2902
; %bb.2899:
	s_cmp_eq_u32 s27, 15
	s_mov_b64 s[0:1], -1
	s_cbranch_scc0 .LBB135_2901
; %bb.2900:
	v_cndmask_b32_e64 v1, 0, 1.0, s[6:7]
	v_bfe_u32 v3, v1, 16, 1
	s_movk_i32 s0, 0x7fff
	v_add3_u32 v1, v1, v3, s0
	global_store_short_d16_hi v[5:6], v1, off
	s_mov_b64 s[0:1], 0
	s_mov_b64 s[16:17], -1
.LBB135_2901:
	s_mov_b64 s[18:19], 0
.LBB135_2902:
	s_and_b64 vcc, exec, s[18:19]
	s_cbranch_vccz .LBB135_2904
; %bb.2903:
	s_cmp_lg_u32 s27, 11
	s_mov_b64 s[2:3], -1
	s_cselect_b64 s[0:1], -1, 0
.LBB135_2904:
	s_and_b64 vcc, exec, s[0:1]
	s_cbranch_vccnz .LBB135_3267
; %bb.2905:
	s_andn2_b64 vcc, exec, s[2:3]
	s_cbranch_vccnz .LBB135_2907
.LBB135_2906:
	v_cndmask_b32_e64 v1, 0, 1, s[6:7]
	s_mov_b64 s[16:17], -1
	global_store_byte v[5:6], v1, off
.LBB135_2907:
	s_mov_b64 s[0:1], 0
	s_branch .LBB135_2909
.LBB135_2908:
	s_mov_b64 s[0:1], -1
	s_mov_b64 s[16:17], 0
.LBB135_2909:
	s_and_b64 vcc, exec, s[0:1]
	s_cbranch_vccz .LBB135_2948
; %bb.2910:
	s_and_b32 s2, 0xffff, s26
	s_cmp_lt_i32 s2, 5
	s_mov_b64 s[0:1], -1
	s_cbranch_scc1 .LBB135_2931
; %bb.2911:
	s_cmp_lt_i32 s2, 8
	s_cbranch_scc1 .LBB135_2921
; %bb.2912:
	s_cmp_lt_i32 s2, 9
	s_cbranch_scc1 .LBB135_2918
; %bb.2913:
	s_cmp_gt_i32 s2, 9
	s_cbranch_scc0 .LBB135_2915
; %bb.2914:
	v_cndmask_b32_e64 v1, 0, 1, s[6:7]
	s_waitcnt vmcnt(0)
	v_cvt_f64_u32_e32 v[7:8], v1
	v_mov_b32_e32 v9, 0
	v_mov_b32_e32 v10, v9
	s_mov_b64 s[0:1], 0
	global_store_dwordx4 v[5:6], v[7:10], off
.LBB135_2915:
	s_andn2_b64 vcc, exec, s[0:1]
	s_cbranch_vccnz .LBB135_2917
; %bb.2916:
	v_cndmask_b32_e64 v7, 0, 1.0, s[6:7]
	s_waitcnt vmcnt(0)
	v_mov_b32_e32 v8, 0
	global_store_dwordx2 v[5:6], v[7:8], off
.LBB135_2917:
	s_mov_b64 s[0:1], 0
.LBB135_2918:
	s_andn2_b64 vcc, exec, s[0:1]
	s_cbranch_vccnz .LBB135_2920
; %bb.2919:
	v_cndmask_b32_e64 v1, 0, 1.0, s[6:7]
	v_cvt_f16_f32_e32 v1, v1
	global_store_dword v[5:6], v1, off
.LBB135_2920:
	s_mov_b64 s[0:1], 0
.LBB135_2921:
	s_andn2_b64 vcc, exec, s[0:1]
	s_cbranch_vccnz .LBB135_2930
; %bb.2922:
	s_cmp_lt_i32 s2, 6
	s_mov_b64 s[0:1], -1
	s_cbranch_scc1 .LBB135_2928
; %bb.2923:
	s_cmp_gt_i32 s2, 6
	s_cbranch_scc0 .LBB135_2925
; %bb.2924:
	v_cndmask_b32_e64 v1, 0, 1, s[6:7]
	s_waitcnt vmcnt(0)
	v_cvt_f64_u32_e32 v[7:8], v1
	s_mov_b64 s[0:1], 0
	global_store_dwordx2 v[5:6], v[7:8], off
.LBB135_2925:
	s_andn2_b64 vcc, exec, s[0:1]
	s_cbranch_vccnz .LBB135_2927
; %bb.2926:
	v_cndmask_b32_e64 v1, 0, 1.0, s[6:7]
	global_store_dword v[5:6], v1, off
.LBB135_2927:
	s_mov_b64 s[0:1], 0
.LBB135_2928:
	s_andn2_b64 vcc, exec, s[0:1]
	s_cbranch_vccnz .LBB135_2930
; %bb.2929:
	v_cndmask_b32_e64 v1, 0, 1.0, s[6:7]
	v_cvt_f16_f32_e32 v1, v1
	global_store_short v[5:6], v1, off
.LBB135_2930:
	s_mov_b64 s[0:1], 0
.LBB135_2931:
	s_andn2_b64 vcc, exec, s[0:1]
	s_cbranch_vccnz .LBB135_2947
; %bb.2932:
	s_cmp_lt_i32 s2, 2
	s_mov_b64 s[0:1], -1
	s_cbranch_scc1 .LBB135_2942
; %bb.2933:
	s_cmp_lt_i32 s2, 3
	s_cbranch_scc1 .LBB135_2939
; %bb.2934:
	s_cmp_gt_i32 s2, 3
	s_cbranch_scc0 .LBB135_2936
; %bb.2935:
	s_mov_b32 s0, 0
	v_cndmask_b32_e64 v7, 0, 1, s[6:7]
	s_waitcnt vmcnt(0)
	v_mov_b32_e32 v8, s0
	global_store_dwordx2 v[5:6], v[7:8], off
	s_mov_b64 s[0:1], 0
.LBB135_2936:
	s_andn2_b64 vcc, exec, s[0:1]
	s_cbranch_vccnz .LBB135_2938
; %bb.2937:
	v_cndmask_b32_e64 v1, 0, 1, s[6:7]
	global_store_dword v[5:6], v1, off
.LBB135_2938:
	s_mov_b64 s[0:1], 0
.LBB135_2939:
	s_andn2_b64 vcc, exec, s[0:1]
	s_cbranch_vccnz .LBB135_2941
; %bb.2940:
	v_cndmask_b32_e64 v1, 0, 1, s[6:7]
	global_store_short v[5:6], v1, off
.LBB135_2941:
	s_mov_b64 s[0:1], 0
.LBB135_2942:
	s_andn2_b64 vcc, exec, s[0:1]
	s_cbranch_vccnz .LBB135_2947
; %bb.2943:
	s_mov_b64 s[0:1], -1
	s_cmp_gt_i32 s2, 0
	v_cndmask_b32_e64 v1, 0, 1, s[6:7]
	s_cbranch_scc0 .LBB135_2945
; %bb.2944:
	global_store_byte v[5:6], v1, off
	s_mov_b64 s[0:1], 0
.LBB135_2945:
	s_andn2_b64 vcc, exec, s[0:1]
	s_cbranch_vccnz .LBB135_2947
; %bb.2946:
	global_store_byte v[5:6], v1, off
.LBB135_2947:
	s_mov_b64 s[16:17], -1
.LBB135_2948:
	s_andn2_b64 vcc, exec, s[16:17]
	s_cbranch_vccnz .LBB135_3263
; %bb.2949:
	v_mov_b32_e32 v1, s9
	s_and_b32 s24, 0xffff, s26
	v_add_co_u32_e32 v3, vcc, s8, v4
	s_cmp_lt_i32 s24, 11
	v_addc_co_u32_e32 v4, vcc, 0, v1, vcc
	s_cbranch_scc1 .LBB135_3027
; %bb.2950:
	s_mov_b64 s[16:17], -1
	s_mov_b64 s[2:3], 0
	s_cmp_gt_i32 s24, 25
	s_mov_b64 s[6:7], 0
	s_mov_b64 s[0:1], 0
	s_cbranch_scc0 .LBB135_2983
; %bb.2951:
	s_cmp_gt_i32 s24, 28
	s_cbranch_scc0 .LBB135_2966
; %bb.2952:
	s_cmp_gt_i32 s24, 43
	;; [unrolled: 3-line block ×3, first 2 shown]
	s_cbranch_scc0 .LBB135_2956
; %bb.2954:
	s_mov_b64 s[0:1], -1
	s_mov_b64 s[16:17], 0
	s_cmp_eq_u32 s24, 46
	s_cbranch_scc0 .LBB135_2956
; %bb.2955:
	v_cndmask_b32_e64 v1, 0, 1.0, s[20:21]
	v_bfe_u32 v5, v1, 16, 1
	s_movk_i32 s0, 0x7fff
	v_add3_u32 v1, v1, v5, s0
	v_lshrrev_b32_e32 v1, 16, v1
	global_store_dword v[3:4], v1, off
	s_mov_b64 s[0:1], 0
	s_mov_b64 s[6:7], -1
.LBB135_2956:
	s_and_b64 vcc, exec, s[16:17]
	s_cbranch_vccz .LBB135_2961
; %bb.2957:
	s_cmp_eq_u32 s24, 44
	s_mov_b64 s[0:1], -1
	s_cbranch_scc0 .LBB135_2961
; %bb.2958:
	v_cndmask_b32_e64 v5, 0, 1.0, s[20:21]
	v_lshrrev_b32_e32 v1, 23, v5
	s_movk_i32 s0, 0xff
	v_cmp_ne_u32_e32 vcc, s0, v1
	v_mov_b32_e32 v6, 0xff
	s_and_saveexec_b64 s[6:7], vcc
; %bb.2959:
	s_mov_b32 s0, 0x3fffff
	v_and_b32_e32 v6, 0x400000, v5
	v_and_or_b32 v5, v5, s0, v1
	v_cmp_ne_u32_e32 vcc, 0, v6
	v_cmp_ne_u32_e64 s[0:1], 0, v5
	s_and_b64 s[0:1], vcc, s[0:1]
	v_cndmask_b32_e64 v5, 0, 1, s[0:1]
	v_add_u32_e32 v6, v1, v5
; %bb.2960:
	s_or_b64 exec, exec, s[6:7]
	s_mov_b64 s[0:1], 0
	s_mov_b64 s[6:7], -1
	global_store_byte v[3:4], v6, off
.LBB135_2961:
	s_mov_b64 s[16:17], 0
.LBB135_2962:
	s_and_b64 vcc, exec, s[16:17]
	s_cbranch_vccz .LBB135_2965
; %bb.2963:
	s_cmp_eq_u32 s24, 29
	s_mov_b64 s[0:1], -1
	s_cbranch_scc0 .LBB135_2965
; %bb.2964:
	s_mov_b32 s0, 0
	v_cndmask_b32_e64 v5, 0, 1, s[20:21]
	v_mov_b32_e32 v6, s0
	global_store_dwordx2 v[3:4], v[5:6], off
	s_mov_b64 s[0:1], 0
	s_mov_b64 s[6:7], -1
.LBB135_2965:
	s_mov_b64 s[16:17], 0
.LBB135_2966:
	s_and_b64 vcc, exec, s[16:17]
	s_cbranch_vccz .LBB135_2982
; %bb.2967:
	s_cmp_lt_i32 s24, 27
	s_mov_b64 s[6:7], -1
	s_cbranch_scc1 .LBB135_2973
; %bb.2968:
	s_cmp_gt_i32 s24, 27
	s_cbranch_scc0 .LBB135_2970
; %bb.2969:
	v_cndmask_b32_e64 v1, 0, 1, s[20:21]
	s_mov_b64 s[6:7], 0
	global_store_dword v[3:4], v1, off
.LBB135_2970:
	s_andn2_b64 vcc, exec, s[6:7]
	s_cbranch_vccnz .LBB135_2972
; %bb.2971:
	v_cndmask_b32_e64 v1, 0, 1, s[20:21]
	global_store_short v[3:4], v1, off
.LBB135_2972:
	s_mov_b64 s[6:7], 0
.LBB135_2973:
	s_andn2_b64 vcc, exec, s[6:7]
	s_cbranch_vccnz .LBB135_2981
; %bb.2974:
	v_cndmask_b32_e64 v5, 0, 1.0, s[20:21]
	s_mov_b32 s6, 0x43800000
	v_cmp_gt_u32_e32 vcc, s6, v5
	v_mov_b32_e32 v6, 0x80
	s_and_saveexec_b64 s[6:7], vcc
	s_cbranch_execz .LBB135_2980
; %bb.2975:
	s_mov_b32 s16, 0x3bffffff
	v_cmp_lt_u32_e32 vcc, s16, v5
	s_mov_b64 s[16:17], 0
                                        ; implicit-def: $vgpr1
	s_and_saveexec_b64 s[18:19], vcc
	s_xor_b64 s[18:19], exec, s[18:19]
	s_cbranch_execz .LBB135_3270
; %bb.2976:
	v_bfe_u32 v1, v5, 20, 1
	s_mov_b32 s25, 0x487ffff
	v_add3_u32 v1, v5, v1, s25
	s_mov_b64 s[16:17], exec
	v_lshrrev_b32_e32 v1, 20, v1
                                        ; implicit-def: $vgpr5
	s_andn2_saveexec_b64 s[18:19], s[18:19]
	s_cbranch_execnz .LBB135_3271
.LBB135_2977:
	s_or_b64 exec, exec, s[18:19]
	v_mov_b32_e32 v6, 0
	s_and_saveexec_b64 s[18:19], s[16:17]
.LBB135_2978:
	v_mov_b32_e32 v6, v1
.LBB135_2979:
	s_or_b64 exec, exec, s[18:19]
.LBB135_2980:
	s_or_b64 exec, exec, s[6:7]
	global_store_byte v[3:4], v6, off
.LBB135_2981:
	s_mov_b64 s[6:7], -1
.LBB135_2982:
	s_mov_b64 s[16:17], 0
.LBB135_2983:
	s_and_b64 vcc, exec, s[16:17]
	s_cbranch_vccz .LBB135_3023
; %bb.2984:
	s_cmp_gt_i32 s24, 22
	s_mov_b64 s[2:3], -1
	s_cbranch_scc0 .LBB135_3016
; %bb.2985:
	s_cmp_lt_i32 s24, 24
	s_cbranch_scc1 .LBB135_3005
; %bb.2986:
	s_cmp_gt_i32 s24, 24
	s_cbranch_scc0 .LBB135_2994
; %bb.2987:
	v_cndmask_b32_e64 v5, 0, 1.0, s[20:21]
	s_mov_b32 s2, 0x47800000
	v_cmp_gt_u32_e32 vcc, s2, v5
	v_mov_b32_e32 v6, 0x80
	s_and_saveexec_b64 s[2:3], vcc
	s_cbranch_execz .LBB135_2993
; %bb.2988:
	s_mov_b32 s6, 0x37ffffff
	v_cmp_lt_u32_e32 vcc, s6, v5
	s_mov_b64 s[6:7], 0
                                        ; implicit-def: $vgpr1
	s_and_saveexec_b64 s[16:17], vcc
	s_xor_b64 s[16:17], exec, s[16:17]
	s_cbranch_execz .LBB135_3273
; %bb.2989:
	v_bfe_u32 v1, v5, 21, 1
	s_mov_b32 s18, 0x88fffff
	v_add3_u32 v1, v5, v1, s18
	s_mov_b64 s[6:7], exec
	v_lshrrev_b32_e32 v1, 21, v1
                                        ; implicit-def: $vgpr5
	s_andn2_saveexec_b64 s[16:17], s[16:17]
	s_cbranch_execnz .LBB135_3274
.LBB135_2990:
	s_or_b64 exec, exec, s[16:17]
	v_mov_b32_e32 v6, 0
	s_and_saveexec_b64 s[16:17], s[6:7]
.LBB135_2991:
	v_mov_b32_e32 v6, v1
.LBB135_2992:
	s_or_b64 exec, exec, s[16:17]
.LBB135_2993:
	s_or_b64 exec, exec, s[2:3]
	s_mov_b64 s[2:3], 0
	global_store_byte v[3:4], v6, off
.LBB135_2994:
	s_and_b64 vcc, exec, s[2:3]
	s_cbranch_vccz .LBB135_3004
; %bb.2995:
	v_cndmask_b32_e64 v1, 0, 1.0, s[20:21]
	s_mov_b32 s2, 0x43f00000
	v_cmp_gt_u32_e32 vcc, s2, v1
                                        ; implicit-def: $vgpr5
	s_and_saveexec_b64 s[2:3], vcc
	s_xor_b64 s[2:3], exec, s[2:3]
	s_cbranch_execz .LBB135_3001
; %bb.2996:
	s_mov_b32 s6, 0x3c7fffff
	v_cmp_lt_u32_e32 vcc, s6, v1
                                        ; implicit-def: $vgpr5
	s_and_saveexec_b64 s[6:7], vcc
	s_xor_b64 s[6:7], exec, s[6:7]
; %bb.2997:
	v_bfe_u32 v5, v1, 20, 1
	s_mov_b32 s16, 0x407ffff
	v_add3_u32 v1, v1, v5, s16
	v_lshrrev_b32_e32 v5, 20, v1
	v_and_b32_e32 v1, 0xff00000, v1
	s_mov_b32 s16, 0x7f00000
	v_mov_b32_e32 v6, 0x7e
	v_cmp_ne_u32_e32 vcc, s16, v1
	v_cndmask_b32_e32 v5, v6, v5, vcc
                                        ; implicit-def: $vgpr1
; %bb.2998:
	s_andn2_saveexec_b64 s[6:7], s[6:7]
; %bb.2999:
	v_add_f32_e32 v5, 0x46800000, v1
; %bb.3000:
	s_or_b64 exec, exec, s[6:7]
                                        ; implicit-def: $vgpr1
.LBB135_3001:
	s_andn2_saveexec_b64 s[2:3], s[2:3]
; %bb.3002:
	s_mov_b32 s6, 0x7f800000
	v_mov_b32_e32 v5, 0x7e
	v_mov_b32_e32 v6, 0x7f
	v_cmp_lt_u32_e32 vcc, s6, v1
	v_cndmask_b32_e32 v5, v5, v6, vcc
; %bb.3003:
	s_or_b64 exec, exec, s[2:3]
	global_store_byte v[3:4], v5, off
.LBB135_3004:
	s_mov_b64 s[2:3], 0
.LBB135_3005:
	s_andn2_b64 vcc, exec, s[2:3]
	s_cbranch_vccnz .LBB135_3015
; %bb.3006:
	v_cndmask_b32_e64 v1, 0, 1.0, s[20:21]
	s_mov_b32 s2, 0x47800000
	v_cmp_gt_u32_e32 vcc, s2, v1
                                        ; implicit-def: $vgpr5
	s_and_saveexec_b64 s[2:3], vcc
	s_xor_b64 s[2:3], exec, s[2:3]
	s_cbranch_execz .LBB135_3012
; %bb.3007:
	s_mov_b32 s6, 0x387fffff
	v_cmp_lt_u32_e32 vcc, s6, v1
                                        ; implicit-def: $vgpr5
	s_and_saveexec_b64 s[6:7], vcc
	s_xor_b64 s[6:7], exec, s[6:7]
; %bb.3008:
	v_bfe_u32 v5, v1, 21, 1
	s_mov_b32 s16, 0x80fffff
	v_add3_u32 v1, v1, v5, s16
	v_lshrrev_b32_e32 v5, 21, v1
                                        ; implicit-def: $vgpr1
; %bb.3009:
	s_andn2_saveexec_b64 s[6:7], s[6:7]
; %bb.3010:
	v_add_f32_e32 v5, 0x43000000, v1
; %bb.3011:
	s_or_b64 exec, exec, s[6:7]
                                        ; implicit-def: $vgpr1
.LBB135_3012:
	s_andn2_saveexec_b64 s[2:3], s[2:3]
; %bb.3013:
	s_mov_b32 s6, 0x7f800000
	v_mov_b32_e32 v5, 0x7c
	v_mov_b32_e32 v6, 0x7f
	v_cmp_lt_u32_e32 vcc, s6, v1
	v_cndmask_b32_e32 v5, v5, v6, vcc
; %bb.3014:
	s_or_b64 exec, exec, s[2:3]
	global_store_byte v[3:4], v5, off
.LBB135_3015:
	s_mov_b64 s[2:3], 0
	s_mov_b64 s[6:7], -1
.LBB135_3016:
	s_andn2_b64 vcc, exec, s[2:3]
	s_mov_b64 s[2:3], 0
	s_cbranch_vccnz .LBB135_3023
; %bb.3017:
	s_cmp_gt_i32 s24, 14
	s_mov_b64 s[16:17], -1
	s_cbranch_scc0 .LBB135_3021
; %bb.3018:
	s_cmp_eq_u32 s24, 15
	s_mov_b64 s[0:1], -1
	s_cbranch_scc0 .LBB135_3020
; %bb.3019:
	v_cndmask_b32_e64 v1, 0, 1.0, s[20:21]
	v_bfe_u32 v5, v1, 16, 1
	s_movk_i32 s0, 0x7fff
	v_add3_u32 v1, v1, v5, s0
	global_store_short_d16_hi v[3:4], v1, off
	s_mov_b64 s[0:1], 0
	s_mov_b64 s[6:7], -1
.LBB135_3020:
	s_mov_b64 s[16:17], 0
.LBB135_3021:
	s_and_b64 vcc, exec, s[16:17]
	s_cbranch_vccz .LBB135_3023
; %bb.3022:
	s_cmp_lg_u32 s24, 11
	s_mov_b64 s[2:3], -1
	s_cselect_b64 s[0:1], -1, 0
.LBB135_3023:
	s_and_b64 vcc, exec, s[0:1]
	s_cbranch_vccnz .LBB135_3272
; %bb.3024:
	s_andn2_b64 vcc, exec, s[2:3]
	s_cbranch_vccnz .LBB135_3026
.LBB135_3025:
	v_cndmask_b32_e64 v1, 0, 1, s[20:21]
	s_mov_b64 s[6:7], -1
	global_store_byte v[3:4], v1, off
.LBB135_3026:
	s_mov_b64 s[0:1], 0
	s_branch .LBB135_3028
.LBB135_3027:
	s_mov_b64 s[0:1], -1
	s_mov_b64 s[6:7], 0
.LBB135_3028:
	s_and_b64 vcc, exec, s[0:1]
	s_cbranch_vccz .LBB135_3067
; %bb.3029:
	s_cmp_lt_i32 s24, 5
	s_mov_b64 s[0:1], -1
	s_cbranch_scc1 .LBB135_3050
; %bb.3030:
	s_cmp_lt_i32 s24, 8
	s_cbranch_scc1 .LBB135_3040
; %bb.3031:
	s_cmp_lt_i32 s24, 9
	s_cbranch_scc1 .LBB135_3037
; %bb.3032:
	s_cmp_gt_i32 s24, 9
	s_cbranch_scc0 .LBB135_3034
; %bb.3033:
	v_cndmask_b32_e64 v1, 0, 1, s[20:21]
	v_cvt_f64_u32_e32 v[5:6], v1
	v_mov_b32_e32 v7, 0
	s_waitcnt vmcnt(0)
	v_mov_b32_e32 v8, v7
	s_mov_b64 s[0:1], 0
	global_store_dwordx4 v[3:4], v[5:8], off
.LBB135_3034:
	s_andn2_b64 vcc, exec, s[0:1]
	s_cbranch_vccnz .LBB135_3036
; %bb.3035:
	v_cndmask_b32_e64 v5, 0, 1.0, s[20:21]
	v_mov_b32_e32 v6, 0
	global_store_dwordx2 v[3:4], v[5:6], off
.LBB135_3036:
	s_mov_b64 s[0:1], 0
.LBB135_3037:
	s_andn2_b64 vcc, exec, s[0:1]
	s_cbranch_vccnz .LBB135_3039
; %bb.3038:
	v_cndmask_b32_e64 v1, 0, 1.0, s[20:21]
	v_cvt_f16_f32_e32 v1, v1
	global_store_dword v[3:4], v1, off
.LBB135_3039:
	s_mov_b64 s[0:1], 0
.LBB135_3040:
	s_andn2_b64 vcc, exec, s[0:1]
	s_cbranch_vccnz .LBB135_3049
; %bb.3041:
	s_cmp_lt_i32 s24, 6
	s_mov_b64 s[0:1], -1
	s_cbranch_scc1 .LBB135_3047
; %bb.3042:
	s_cmp_gt_i32 s24, 6
	s_cbranch_scc0 .LBB135_3044
; %bb.3043:
	v_cndmask_b32_e64 v1, 0, 1, s[20:21]
	v_cvt_f64_u32_e32 v[5:6], v1
	s_mov_b64 s[0:1], 0
	global_store_dwordx2 v[3:4], v[5:6], off
.LBB135_3044:
	s_andn2_b64 vcc, exec, s[0:1]
	s_cbranch_vccnz .LBB135_3046
; %bb.3045:
	v_cndmask_b32_e64 v1, 0, 1.0, s[20:21]
	global_store_dword v[3:4], v1, off
.LBB135_3046:
	s_mov_b64 s[0:1], 0
.LBB135_3047:
	s_andn2_b64 vcc, exec, s[0:1]
	s_cbranch_vccnz .LBB135_3049
; %bb.3048:
	v_cndmask_b32_e64 v1, 0, 1.0, s[20:21]
	v_cvt_f16_f32_e32 v1, v1
	global_store_short v[3:4], v1, off
.LBB135_3049:
	s_mov_b64 s[0:1], 0
.LBB135_3050:
	s_andn2_b64 vcc, exec, s[0:1]
	s_cbranch_vccnz .LBB135_3066
; %bb.3051:
	s_cmp_lt_i32 s24, 2
	s_mov_b64 s[0:1], -1
	s_cbranch_scc1 .LBB135_3061
; %bb.3052:
	s_cmp_lt_i32 s24, 3
	s_cbranch_scc1 .LBB135_3058
; %bb.3053:
	s_cmp_gt_i32 s24, 3
	s_cbranch_scc0 .LBB135_3055
; %bb.3054:
	s_mov_b32 s0, 0
	v_cndmask_b32_e64 v5, 0, 1, s[20:21]
	v_mov_b32_e32 v6, s0
	global_store_dwordx2 v[3:4], v[5:6], off
	s_mov_b64 s[0:1], 0
.LBB135_3055:
	s_andn2_b64 vcc, exec, s[0:1]
	s_cbranch_vccnz .LBB135_3057
; %bb.3056:
	v_cndmask_b32_e64 v1, 0, 1, s[20:21]
	global_store_dword v[3:4], v1, off
.LBB135_3057:
	s_mov_b64 s[0:1], 0
.LBB135_3058:
	s_andn2_b64 vcc, exec, s[0:1]
	s_cbranch_vccnz .LBB135_3060
; %bb.3059:
	v_cndmask_b32_e64 v1, 0, 1, s[20:21]
	global_store_short v[3:4], v1, off
.LBB135_3060:
	s_mov_b64 s[0:1], 0
.LBB135_3061:
	s_andn2_b64 vcc, exec, s[0:1]
	s_cbranch_vccnz .LBB135_3066
; %bb.3062:
	s_mov_b64 s[0:1], -1
	s_cmp_gt_i32 s24, 0
	v_cndmask_b32_e64 v1, 0, 1, s[20:21]
	s_cbranch_scc0 .LBB135_3064
; %bb.3063:
	global_store_byte v[3:4], v1, off
	s_mov_b64 s[0:1], 0
.LBB135_3064:
	s_andn2_b64 vcc, exec, s[0:1]
	s_cbranch_vccnz .LBB135_3066
; %bb.3065:
	global_store_byte v[3:4], v1, off
.LBB135_3066:
	s_mov_b64 s[6:7], -1
.LBB135_3067:
	s_andn2_b64 vcc, exec, s[6:7]
	s_cbranch_vccnz .LBB135_3263
; %bb.3068:
	v_mov_b32_e32 v3, s9
	v_add_co_u32_e32 v1, vcc, s8, v2
	s_cmp_lt_i32 s24, 11
	v_addc_co_u32_e32 v2, vcc, 0, v3, vcc
	s_cbranch_scc1 .LBB135_3146
; %bb.3069:
	s_mov_b64 s[16:17], -1
	s_mov_b64 s[2:3], 0
	s_cmp_gt_i32 s24, 25
	s_mov_b64 s[6:7], 0
	s_mov_b64 s[0:1], 0
	s_cbranch_scc0 .LBB135_3102
; %bb.3070:
	s_cmp_gt_i32 s24, 28
	s_cbranch_scc0 .LBB135_3085
; %bb.3071:
	s_cmp_gt_i32 s24, 43
	;; [unrolled: 3-line block ×3, first 2 shown]
	s_cbranch_scc0 .LBB135_3075
; %bb.3073:
	s_mov_b64 s[0:1], -1
	s_mov_b64 s[16:17], 0
	s_cmp_eq_u32 s24, 46
	s_cbranch_scc0 .LBB135_3075
; %bb.3074:
	v_cndmask_b32_e64 v3, 0, 1.0, s[22:23]
	v_bfe_u32 v4, v3, 16, 1
	s_movk_i32 s0, 0x7fff
	v_add3_u32 v3, v3, v4, s0
	v_lshrrev_b32_e32 v3, 16, v3
	global_store_dword v[1:2], v3, off
	s_mov_b64 s[0:1], 0
	s_mov_b64 s[6:7], -1
.LBB135_3075:
	s_and_b64 vcc, exec, s[16:17]
	s_cbranch_vccz .LBB135_3080
; %bb.3076:
	s_cmp_eq_u32 s24, 44
	s_mov_b64 s[0:1], -1
	s_cbranch_scc0 .LBB135_3080
; %bb.3077:
	v_cndmask_b32_e64 v4, 0, 1.0, s[22:23]
	v_lshrrev_b32_e32 v3, 23, v4
	s_movk_i32 s0, 0xff
	v_cmp_ne_u32_e32 vcc, s0, v3
	v_mov_b32_e32 v5, 0xff
	s_and_saveexec_b64 s[6:7], vcc
; %bb.3078:
	s_mov_b32 s0, 0x3fffff
	v_and_b32_e32 v5, 0x400000, v4
	v_and_or_b32 v4, v4, s0, v3
	v_cmp_ne_u32_e32 vcc, 0, v5
	v_cmp_ne_u32_e64 s[0:1], 0, v4
	s_and_b64 s[0:1], vcc, s[0:1]
	v_cndmask_b32_e64 v4, 0, 1, s[0:1]
	v_add_u32_e32 v5, v3, v4
; %bb.3079:
	s_or_b64 exec, exec, s[6:7]
	s_mov_b64 s[0:1], 0
	s_mov_b64 s[6:7], -1
	global_store_byte v[1:2], v5, off
.LBB135_3080:
	s_mov_b64 s[16:17], 0
.LBB135_3081:
	s_and_b64 vcc, exec, s[16:17]
	s_cbranch_vccz .LBB135_3084
; %bb.3082:
	s_cmp_eq_u32 s24, 29
	s_mov_b64 s[0:1], -1
	s_cbranch_scc0 .LBB135_3084
; %bb.3083:
	s_mov_b32 s0, 0
	v_cndmask_b32_e64 v3, 0, 1, s[22:23]
	v_mov_b32_e32 v4, s0
	global_store_dwordx2 v[1:2], v[3:4], off
	s_mov_b64 s[0:1], 0
	s_mov_b64 s[6:7], -1
.LBB135_3084:
	s_mov_b64 s[16:17], 0
.LBB135_3085:
	s_and_b64 vcc, exec, s[16:17]
	s_cbranch_vccz .LBB135_3101
; %bb.3086:
	s_cmp_lt_i32 s24, 27
	s_mov_b64 s[6:7], -1
	s_cbranch_scc1 .LBB135_3092
; %bb.3087:
	s_cmp_gt_i32 s24, 27
	s_cbranch_scc0 .LBB135_3089
; %bb.3088:
	v_cndmask_b32_e64 v3, 0, 1, s[22:23]
	s_mov_b64 s[6:7], 0
	global_store_dword v[1:2], v3, off
.LBB135_3089:
	s_andn2_b64 vcc, exec, s[6:7]
	s_cbranch_vccnz .LBB135_3091
; %bb.3090:
	v_cndmask_b32_e64 v3, 0, 1, s[22:23]
	global_store_short v[1:2], v3, off
.LBB135_3091:
	s_mov_b64 s[6:7], 0
.LBB135_3092:
	s_andn2_b64 vcc, exec, s[6:7]
	s_cbranch_vccnz .LBB135_3100
; %bb.3093:
	v_cndmask_b32_e64 v4, 0, 1.0, s[22:23]
	s_mov_b32 s6, 0x43800000
	v_cmp_gt_u32_e32 vcc, s6, v4
	v_mov_b32_e32 v5, 0x80
	s_and_saveexec_b64 s[6:7], vcc
	s_cbranch_execz .LBB135_3099
; %bb.3094:
	s_mov_b32 s16, 0x3bffffff
	v_cmp_lt_u32_e32 vcc, s16, v4
	s_mov_b64 s[16:17], 0
                                        ; implicit-def: $vgpr3
	s_and_saveexec_b64 s[18:19], vcc
	s_xor_b64 s[18:19], exec, s[18:19]
	s_cbranch_execz .LBB135_3275
; %bb.3095:
	v_bfe_u32 v3, v4, 20, 1
	s_mov_b32 s20, 0x487ffff
	v_add3_u32 v3, v4, v3, s20
	s_mov_b64 s[16:17], exec
	v_lshrrev_b32_e32 v3, 20, v3
                                        ; implicit-def: $vgpr4
	s_andn2_saveexec_b64 s[18:19], s[18:19]
	s_cbranch_execnz .LBB135_3276
.LBB135_3096:
	s_or_b64 exec, exec, s[18:19]
	v_mov_b32_e32 v5, 0
	s_and_saveexec_b64 s[18:19], s[16:17]
.LBB135_3097:
	v_mov_b32_e32 v5, v3
.LBB135_3098:
	s_or_b64 exec, exec, s[18:19]
.LBB135_3099:
	s_or_b64 exec, exec, s[6:7]
	global_store_byte v[1:2], v5, off
.LBB135_3100:
	s_mov_b64 s[6:7], -1
.LBB135_3101:
	s_mov_b64 s[16:17], 0
.LBB135_3102:
	s_and_b64 vcc, exec, s[16:17]
	s_cbranch_vccz .LBB135_3142
; %bb.3103:
	s_cmp_gt_i32 s24, 22
	s_mov_b64 s[2:3], -1
	s_cbranch_scc0 .LBB135_3135
; %bb.3104:
	s_cmp_lt_i32 s24, 24
	s_cbranch_scc1 .LBB135_3124
; %bb.3105:
	s_cmp_gt_i32 s24, 24
	s_cbranch_scc0 .LBB135_3113
; %bb.3106:
	v_cndmask_b32_e64 v4, 0, 1.0, s[22:23]
	s_mov_b32 s2, 0x47800000
	v_cmp_gt_u32_e32 vcc, s2, v4
	v_mov_b32_e32 v5, 0x80
	s_and_saveexec_b64 s[2:3], vcc
	s_cbranch_execz .LBB135_3112
; %bb.3107:
	s_mov_b32 s6, 0x37ffffff
	v_cmp_lt_u32_e32 vcc, s6, v4
	s_mov_b64 s[6:7], 0
                                        ; implicit-def: $vgpr3
	s_and_saveexec_b64 s[16:17], vcc
	s_xor_b64 s[16:17], exec, s[16:17]
	s_cbranch_execz .LBB135_3278
; %bb.3108:
	v_bfe_u32 v3, v4, 21, 1
	s_mov_b32 s18, 0x88fffff
	v_add3_u32 v3, v4, v3, s18
	s_mov_b64 s[6:7], exec
	v_lshrrev_b32_e32 v3, 21, v3
                                        ; implicit-def: $vgpr4
	s_andn2_saveexec_b64 s[16:17], s[16:17]
	s_cbranch_execnz .LBB135_3279
.LBB135_3109:
	s_or_b64 exec, exec, s[16:17]
	v_mov_b32_e32 v5, 0
	s_and_saveexec_b64 s[16:17], s[6:7]
.LBB135_3110:
	v_mov_b32_e32 v5, v3
.LBB135_3111:
	s_or_b64 exec, exec, s[16:17]
.LBB135_3112:
	s_or_b64 exec, exec, s[2:3]
	s_mov_b64 s[2:3], 0
	global_store_byte v[1:2], v5, off
.LBB135_3113:
	s_and_b64 vcc, exec, s[2:3]
	s_cbranch_vccz .LBB135_3123
; %bb.3114:
	v_cndmask_b32_e64 v3, 0, 1.0, s[22:23]
	s_mov_b32 s2, 0x43f00000
	v_cmp_gt_u32_e32 vcc, s2, v3
                                        ; implicit-def: $vgpr4
	s_and_saveexec_b64 s[2:3], vcc
	s_xor_b64 s[2:3], exec, s[2:3]
	s_cbranch_execz .LBB135_3120
; %bb.3115:
	s_mov_b32 s6, 0x3c7fffff
	v_cmp_lt_u32_e32 vcc, s6, v3
                                        ; implicit-def: $vgpr4
	s_and_saveexec_b64 s[6:7], vcc
	s_xor_b64 s[6:7], exec, s[6:7]
; %bb.3116:
	v_bfe_u32 v4, v3, 20, 1
	s_mov_b32 s16, 0x407ffff
	v_add3_u32 v3, v3, v4, s16
	v_lshrrev_b32_e32 v4, 20, v3
	v_and_b32_e32 v3, 0xff00000, v3
	s_mov_b32 s16, 0x7f00000
	v_mov_b32_e32 v5, 0x7e
	v_cmp_ne_u32_e32 vcc, s16, v3
	v_cndmask_b32_e32 v4, v5, v4, vcc
                                        ; implicit-def: $vgpr3
; %bb.3117:
	s_andn2_saveexec_b64 s[6:7], s[6:7]
; %bb.3118:
	v_add_f32_e32 v4, 0x46800000, v3
; %bb.3119:
	s_or_b64 exec, exec, s[6:7]
                                        ; implicit-def: $vgpr3
.LBB135_3120:
	s_andn2_saveexec_b64 s[2:3], s[2:3]
; %bb.3121:
	s_mov_b32 s6, 0x7f800000
	v_mov_b32_e32 v4, 0x7e
	v_mov_b32_e32 v5, 0x7f
	v_cmp_lt_u32_e32 vcc, s6, v3
	v_cndmask_b32_e32 v4, v4, v5, vcc
; %bb.3122:
	s_or_b64 exec, exec, s[2:3]
	global_store_byte v[1:2], v4, off
.LBB135_3123:
	s_mov_b64 s[2:3], 0
.LBB135_3124:
	s_andn2_b64 vcc, exec, s[2:3]
	s_cbranch_vccnz .LBB135_3134
; %bb.3125:
	v_cndmask_b32_e64 v3, 0, 1.0, s[22:23]
	s_mov_b32 s2, 0x47800000
	v_cmp_gt_u32_e32 vcc, s2, v3
                                        ; implicit-def: $vgpr4
	s_and_saveexec_b64 s[2:3], vcc
	s_xor_b64 s[2:3], exec, s[2:3]
	s_cbranch_execz .LBB135_3131
; %bb.3126:
	s_mov_b32 s6, 0x387fffff
	v_cmp_lt_u32_e32 vcc, s6, v3
                                        ; implicit-def: $vgpr4
	s_and_saveexec_b64 s[6:7], vcc
	s_xor_b64 s[6:7], exec, s[6:7]
; %bb.3127:
	v_bfe_u32 v4, v3, 21, 1
	s_mov_b32 s16, 0x80fffff
	v_add3_u32 v3, v3, v4, s16
	v_lshrrev_b32_e32 v4, 21, v3
                                        ; implicit-def: $vgpr3
; %bb.3128:
	s_andn2_saveexec_b64 s[6:7], s[6:7]
; %bb.3129:
	v_add_f32_e32 v4, 0x43000000, v3
; %bb.3130:
	s_or_b64 exec, exec, s[6:7]
                                        ; implicit-def: $vgpr3
.LBB135_3131:
	s_andn2_saveexec_b64 s[2:3], s[2:3]
; %bb.3132:
	s_mov_b32 s6, 0x7f800000
	v_mov_b32_e32 v4, 0x7c
	v_mov_b32_e32 v5, 0x7f
	v_cmp_lt_u32_e32 vcc, s6, v3
	v_cndmask_b32_e32 v4, v4, v5, vcc
; %bb.3133:
	s_or_b64 exec, exec, s[2:3]
	global_store_byte v[1:2], v4, off
.LBB135_3134:
	s_mov_b64 s[2:3], 0
	s_mov_b64 s[6:7], -1
.LBB135_3135:
	s_andn2_b64 vcc, exec, s[2:3]
	s_mov_b64 s[2:3], 0
	s_cbranch_vccnz .LBB135_3142
; %bb.3136:
	s_cmp_gt_i32 s24, 14
	s_mov_b64 s[16:17], -1
	s_cbranch_scc0 .LBB135_3140
; %bb.3137:
	s_cmp_eq_u32 s24, 15
	s_mov_b64 s[0:1], -1
	s_cbranch_scc0 .LBB135_3139
; %bb.3138:
	v_cndmask_b32_e64 v3, 0, 1.0, s[22:23]
	v_bfe_u32 v4, v3, 16, 1
	s_movk_i32 s0, 0x7fff
	v_add3_u32 v3, v3, v4, s0
	global_store_short_d16_hi v[1:2], v3, off
	s_mov_b64 s[0:1], 0
	s_mov_b64 s[6:7], -1
.LBB135_3139:
	s_mov_b64 s[16:17], 0
.LBB135_3140:
	s_and_b64 vcc, exec, s[16:17]
	s_cbranch_vccz .LBB135_3142
; %bb.3141:
	s_cmp_lg_u32 s24, 11
	s_mov_b64 s[2:3], -1
	s_cselect_b64 s[0:1], -1, 0
.LBB135_3142:
	s_and_b64 vcc, exec, s[0:1]
	s_cbranch_vccnz .LBB135_3277
; %bb.3143:
	s_andn2_b64 vcc, exec, s[2:3]
	s_cbranch_vccnz .LBB135_3145
.LBB135_3144:
	v_cndmask_b32_e64 v3, 0, 1, s[22:23]
	s_mov_b64 s[6:7], -1
	global_store_byte v[1:2], v3, off
.LBB135_3145:
	s_mov_b64 s[0:1], 0
	s_branch .LBB135_3147
.LBB135_3146:
	s_mov_b64 s[0:1], -1
	s_mov_b64 s[6:7], 0
.LBB135_3147:
	s_and_b64 vcc, exec, s[0:1]
	s_cbranch_vccz .LBB135_3186
; %bb.3148:
	s_cmp_lt_i32 s24, 5
	s_mov_b64 s[0:1], -1
	s_cbranch_scc1 .LBB135_3169
; %bb.3149:
	s_cmp_lt_i32 s24, 8
	s_cbranch_scc1 .LBB135_3159
; %bb.3150:
	s_cmp_lt_i32 s24, 9
	s_cbranch_scc1 .LBB135_3156
; %bb.3151:
	s_cmp_gt_i32 s24, 9
	s_cbranch_scc0 .LBB135_3153
; %bb.3152:
	v_cndmask_b32_e64 v3, 0, 1, s[22:23]
	v_cvt_f64_u32_e32 v[3:4], v3
	v_mov_b32_e32 v5, 0
	v_mov_b32_e32 v6, v5
	s_mov_b64 s[0:1], 0
	global_store_dwordx4 v[1:2], v[3:6], off
.LBB135_3153:
	s_andn2_b64 vcc, exec, s[0:1]
	s_cbranch_vccnz .LBB135_3155
; %bb.3154:
	v_cndmask_b32_e64 v3, 0, 1.0, s[22:23]
	v_mov_b32_e32 v4, 0
	global_store_dwordx2 v[1:2], v[3:4], off
.LBB135_3155:
	s_mov_b64 s[0:1], 0
.LBB135_3156:
	s_andn2_b64 vcc, exec, s[0:1]
	s_cbranch_vccnz .LBB135_3158
; %bb.3157:
	v_cndmask_b32_e64 v3, 0, 1.0, s[22:23]
	v_cvt_f16_f32_e32 v3, v3
	global_store_dword v[1:2], v3, off
.LBB135_3158:
	s_mov_b64 s[0:1], 0
.LBB135_3159:
	s_andn2_b64 vcc, exec, s[0:1]
	s_cbranch_vccnz .LBB135_3168
; %bb.3160:
	s_cmp_lt_i32 s24, 6
	s_mov_b64 s[0:1], -1
	s_cbranch_scc1 .LBB135_3166
; %bb.3161:
	s_cmp_gt_i32 s24, 6
	s_cbranch_scc0 .LBB135_3163
; %bb.3162:
	v_cndmask_b32_e64 v3, 0, 1, s[22:23]
	v_cvt_f64_u32_e32 v[3:4], v3
	s_mov_b64 s[0:1], 0
	global_store_dwordx2 v[1:2], v[3:4], off
.LBB135_3163:
	s_andn2_b64 vcc, exec, s[0:1]
	s_cbranch_vccnz .LBB135_3165
; %bb.3164:
	v_cndmask_b32_e64 v3, 0, 1.0, s[22:23]
	global_store_dword v[1:2], v3, off
.LBB135_3165:
	s_mov_b64 s[0:1], 0
.LBB135_3166:
	s_andn2_b64 vcc, exec, s[0:1]
	s_cbranch_vccnz .LBB135_3168
; %bb.3167:
	v_cndmask_b32_e64 v3, 0, 1.0, s[22:23]
	v_cvt_f16_f32_e32 v3, v3
	global_store_short v[1:2], v3, off
.LBB135_3168:
	s_mov_b64 s[0:1], 0
.LBB135_3169:
	s_andn2_b64 vcc, exec, s[0:1]
	s_cbranch_vccnz .LBB135_3185
; %bb.3170:
	s_cmp_lt_i32 s24, 2
	s_mov_b64 s[0:1], -1
	s_cbranch_scc1 .LBB135_3180
; %bb.3171:
	s_cmp_lt_i32 s24, 3
	s_cbranch_scc1 .LBB135_3177
; %bb.3172:
	s_cmp_gt_i32 s24, 3
	s_cbranch_scc0 .LBB135_3174
; %bb.3173:
	s_mov_b32 s0, 0
	v_cndmask_b32_e64 v3, 0, 1, s[22:23]
	v_mov_b32_e32 v4, s0
	global_store_dwordx2 v[1:2], v[3:4], off
	s_mov_b64 s[0:1], 0
.LBB135_3174:
	s_andn2_b64 vcc, exec, s[0:1]
	s_cbranch_vccnz .LBB135_3176
; %bb.3175:
	v_cndmask_b32_e64 v3, 0, 1, s[22:23]
	global_store_dword v[1:2], v3, off
.LBB135_3176:
	s_mov_b64 s[0:1], 0
.LBB135_3177:
	s_andn2_b64 vcc, exec, s[0:1]
	s_cbranch_vccnz .LBB135_3179
; %bb.3178:
	v_cndmask_b32_e64 v3, 0, 1, s[22:23]
	global_store_short v[1:2], v3, off
.LBB135_3179:
	s_mov_b64 s[0:1], 0
.LBB135_3180:
	s_andn2_b64 vcc, exec, s[0:1]
	s_cbranch_vccnz .LBB135_3185
; %bb.3181:
	s_cmp_gt_i32 s24, 0
	s_mov_b64 s[0:1], -1
	s_cbranch_scc0 .LBB135_3183
; %bb.3182:
	v_cndmask_b32_e64 v3, 0, 1, s[22:23]
	global_store_byte v[1:2], v3, off
	s_mov_b64 s[0:1], 0
.LBB135_3183:
	s_andn2_b64 vcc, exec, s[0:1]
	s_cbranch_vccnz .LBB135_3185
; %bb.3184:
	v_cndmask_b32_e64 v3, 0, 1, s[22:23]
	global_store_byte v[1:2], v3, off
.LBB135_3185:
	s_mov_b64 s[6:7], -1
.LBB135_3186:
	s_andn2_b64 vcc, exec, s[6:7]
	s_cbranch_vccnz .LBB135_3263
; %bb.3187:
	v_mov_b32_e32 v1, s9
	v_add_co_u32_e32 v0, vcc, s8, v0
	s_cmp_lt_i32 s24, 11
	v_addc_co_u32_e32 v1, vcc, 0, v1, vcc
	s_cbranch_scc1 .LBB135_3264
; %bb.3188:
	s_mov_b64 s[6:7], -1
	s_mov_b64 s[2:3], 0
	s_cmp_gt_i32 s24, 25
	s_mov_b64 s[0:1], 0
	s_cbranch_scc0 .LBB135_3221
; %bb.3189:
	s_cmp_gt_i32 s24, 28
	s_cbranch_scc0 .LBB135_3205
; %bb.3190:
	s_cmp_gt_i32 s24, 43
	;; [unrolled: 3-line block ×3, first 2 shown]
	s_cbranch_scc0 .LBB135_3195
; %bb.3192:
	s_cmp_eq_u32 s24, 46
	s_mov_b64 s[0:1], -1
	s_cbranch_scc0 .LBB135_3194
; %bb.3193:
	v_cndmask_b32_e64 v2, 0, 1.0, s[10:11]
	v_bfe_u32 v3, v2, 16, 1
	s_movk_i32 s0, 0x7fff
	v_add3_u32 v2, v2, v3, s0
	v_lshrrev_b32_e32 v2, 16, v2
	global_store_dword v[0:1], v2, off
	s_mov_b64 s[0:1], 0
.LBB135_3194:
	s_mov_b64 s[6:7], 0
.LBB135_3195:
	s_and_b64 vcc, exec, s[6:7]
	s_cbranch_vccz .LBB135_3200
; %bb.3196:
	s_cmp_eq_u32 s24, 44
	s_mov_b64 s[0:1], -1
	s_cbranch_scc0 .LBB135_3200
; %bb.3197:
	v_cndmask_b32_e64 v3, 0, 1.0, s[10:11]
	v_lshrrev_b32_e32 v2, 23, v3
	s_movk_i32 s0, 0xff
	v_cmp_ne_u32_e32 vcc, s0, v2
	v_mov_b32_e32 v4, 0xff
	s_and_saveexec_b64 s[6:7], vcc
; %bb.3198:
	s_mov_b32 s0, 0x3fffff
	v_and_b32_e32 v4, 0x400000, v3
	v_and_or_b32 v3, v3, s0, v2
	v_cmp_ne_u32_e32 vcc, 0, v4
	v_cmp_ne_u32_e64 s[0:1], 0, v3
	s_and_b64 s[0:1], vcc, s[0:1]
	v_cndmask_b32_e64 v3, 0, 1, s[0:1]
	v_add_u32_e32 v4, v2, v3
; %bb.3199:
	s_or_b64 exec, exec, s[6:7]
	s_mov_b64 s[0:1], 0
	global_store_byte v[0:1], v4, off
.LBB135_3200:
	s_mov_b64 s[6:7], 0
.LBB135_3201:
	s_and_b64 vcc, exec, s[6:7]
	s_cbranch_vccz .LBB135_3204
; %bb.3202:
	s_cmp_eq_u32 s24, 29
	s_mov_b64 s[0:1], -1
	s_cbranch_scc0 .LBB135_3204
; %bb.3203:
	s_mov_b32 s0, 0
	v_cndmask_b32_e64 v2, 0, 1, s[10:11]
	v_mov_b32_e32 v3, s0
	global_store_dwordx2 v[0:1], v[2:3], off
	s_mov_b64 s[0:1], 0
.LBB135_3204:
	s_mov_b64 s[6:7], 0
.LBB135_3205:
	s_and_b64 vcc, exec, s[6:7]
	s_cbranch_vccz .LBB135_3220
; %bb.3206:
	s_cmp_lt_i32 s24, 27
	s_mov_b64 s[6:7], -1
	s_cbranch_scc1 .LBB135_3212
; %bb.3207:
	s_cmp_gt_i32 s24, 27
	v_cndmask_b32_e64 v2, 0, 1, s[10:11]
	s_cbranch_scc0 .LBB135_3209
; %bb.3208:
	global_store_dword v[0:1], v2, off
	s_mov_b64 s[6:7], 0
.LBB135_3209:
	s_andn2_b64 vcc, exec, s[6:7]
	s_cbranch_vccnz .LBB135_3211
; %bb.3210:
	global_store_short v[0:1], v2, off
.LBB135_3211:
	s_mov_b64 s[6:7], 0
.LBB135_3212:
	s_andn2_b64 vcc, exec, s[6:7]
	s_cbranch_vccnz .LBB135_3220
; %bb.3213:
	v_cndmask_b32_e64 v3, 0, 1.0, s[10:11]
	s_mov_b32 s6, 0x43800000
	v_cmp_gt_u32_e32 vcc, s6, v3
	v_mov_b32_e32 v4, 0x80
	s_and_saveexec_b64 s[6:7], vcc
	s_cbranch_execz .LBB135_3219
; %bb.3214:
	s_mov_b32 s8, 0x3bffffff
	v_cmp_lt_u32_e32 vcc, s8, v3
	s_mov_b64 s[8:9], 0
                                        ; implicit-def: $vgpr2
	s_and_saveexec_b64 s[16:17], vcc
	s_xor_b64 s[16:17], exec, s[16:17]
	s_cbranch_execz .LBB135_3280
; %bb.3215:
	v_bfe_u32 v2, v3, 20, 1
	s_mov_b32 s18, 0x487ffff
	v_add3_u32 v2, v3, v2, s18
	s_mov_b64 s[8:9], exec
	v_lshrrev_b32_e32 v2, 20, v2
                                        ; implicit-def: $vgpr3
	s_andn2_saveexec_b64 s[16:17], s[16:17]
	s_cbranch_execnz .LBB135_3281
.LBB135_3216:
	s_or_b64 exec, exec, s[16:17]
	v_mov_b32_e32 v4, 0
	s_and_saveexec_b64 s[16:17], s[8:9]
.LBB135_3217:
	v_mov_b32_e32 v4, v2
.LBB135_3218:
	s_or_b64 exec, exec, s[16:17]
.LBB135_3219:
	s_or_b64 exec, exec, s[6:7]
	global_store_byte v[0:1], v4, off
.LBB135_3220:
	s_mov_b64 s[6:7], 0
.LBB135_3221:
	s_and_b64 vcc, exec, s[6:7]
	s_cbranch_vccz .LBB135_3261
; %bb.3222:
	s_cmp_gt_i32 s24, 22
	s_mov_b64 s[2:3], -1
	s_cbranch_scc0 .LBB135_3254
; %bb.3223:
	s_cmp_lt_i32 s24, 24
	s_cbranch_scc1 .LBB135_3243
; %bb.3224:
	s_cmp_gt_i32 s24, 24
	s_cbranch_scc0 .LBB135_3232
; %bb.3225:
	v_cndmask_b32_e64 v3, 0, 1.0, s[10:11]
	s_mov_b32 s2, 0x47800000
	v_cmp_gt_u32_e32 vcc, s2, v3
	v_mov_b32_e32 v4, 0x80
	s_and_saveexec_b64 s[2:3], vcc
	s_cbranch_execz .LBB135_3231
; %bb.3226:
	s_mov_b32 s6, 0x37ffffff
	v_cmp_lt_u32_e32 vcc, s6, v3
	s_mov_b64 s[6:7], 0
                                        ; implicit-def: $vgpr2
	s_and_saveexec_b64 s[8:9], vcc
	s_xor_b64 s[8:9], exec, s[8:9]
	s_cbranch_execz .LBB135_3283
; %bb.3227:
	v_bfe_u32 v2, v3, 21, 1
	s_mov_b32 s16, 0x88fffff
	v_add3_u32 v2, v3, v2, s16
	s_mov_b64 s[6:7], exec
	v_lshrrev_b32_e32 v2, 21, v2
                                        ; implicit-def: $vgpr3
	s_andn2_saveexec_b64 s[8:9], s[8:9]
	s_cbranch_execnz .LBB135_3284
.LBB135_3228:
	s_or_b64 exec, exec, s[8:9]
	v_mov_b32_e32 v4, 0
	s_and_saveexec_b64 s[8:9], s[6:7]
.LBB135_3229:
	v_mov_b32_e32 v4, v2
.LBB135_3230:
	s_or_b64 exec, exec, s[8:9]
.LBB135_3231:
	s_or_b64 exec, exec, s[2:3]
	s_mov_b64 s[2:3], 0
	global_store_byte v[0:1], v4, off
.LBB135_3232:
	s_and_b64 vcc, exec, s[2:3]
	s_cbranch_vccz .LBB135_3242
; %bb.3233:
	v_cndmask_b32_e64 v2, 0, 1.0, s[10:11]
	s_mov_b32 s2, 0x43f00000
	v_cmp_gt_u32_e32 vcc, s2, v2
                                        ; implicit-def: $vgpr3
	s_and_saveexec_b64 s[2:3], vcc
	s_xor_b64 s[2:3], exec, s[2:3]
	s_cbranch_execz .LBB135_3239
; %bb.3234:
	s_mov_b32 s6, 0x3c7fffff
	v_cmp_lt_u32_e32 vcc, s6, v2
                                        ; implicit-def: $vgpr3
	s_and_saveexec_b64 s[6:7], vcc
	s_xor_b64 s[6:7], exec, s[6:7]
; %bb.3235:
	v_bfe_u32 v3, v2, 20, 1
	s_mov_b32 s8, 0x407ffff
	v_add3_u32 v2, v2, v3, s8
	v_lshrrev_b32_e32 v3, 20, v2
	v_and_b32_e32 v2, 0xff00000, v2
	s_mov_b32 s8, 0x7f00000
	v_mov_b32_e32 v4, 0x7e
	v_cmp_ne_u32_e32 vcc, s8, v2
	v_cndmask_b32_e32 v3, v4, v3, vcc
                                        ; implicit-def: $vgpr2
; %bb.3236:
	s_andn2_saveexec_b64 s[6:7], s[6:7]
; %bb.3237:
	v_add_f32_e32 v3, 0x46800000, v2
; %bb.3238:
	s_or_b64 exec, exec, s[6:7]
                                        ; implicit-def: $vgpr2
.LBB135_3239:
	s_andn2_saveexec_b64 s[2:3], s[2:3]
; %bb.3240:
	s_mov_b32 s6, 0x7f800000
	v_mov_b32_e32 v3, 0x7e
	v_mov_b32_e32 v4, 0x7f
	v_cmp_lt_u32_e32 vcc, s6, v2
	v_cndmask_b32_e32 v3, v3, v4, vcc
; %bb.3241:
	s_or_b64 exec, exec, s[2:3]
	global_store_byte v[0:1], v3, off
.LBB135_3242:
	s_mov_b64 s[2:3], 0
.LBB135_3243:
	s_andn2_b64 vcc, exec, s[2:3]
	s_cbranch_vccnz .LBB135_3253
; %bb.3244:
	v_cndmask_b32_e64 v2, 0, 1.0, s[10:11]
	s_mov_b32 s2, 0x47800000
	v_cmp_gt_u32_e32 vcc, s2, v2
                                        ; implicit-def: $vgpr3
	s_and_saveexec_b64 s[2:3], vcc
	s_xor_b64 s[2:3], exec, s[2:3]
	s_cbranch_execz .LBB135_3250
; %bb.3245:
	s_mov_b32 s6, 0x387fffff
	v_cmp_lt_u32_e32 vcc, s6, v2
                                        ; implicit-def: $vgpr3
	s_and_saveexec_b64 s[6:7], vcc
	s_xor_b64 s[6:7], exec, s[6:7]
; %bb.3246:
	v_bfe_u32 v3, v2, 21, 1
	s_mov_b32 s8, 0x80fffff
	v_add3_u32 v2, v2, v3, s8
	v_lshrrev_b32_e32 v3, 21, v2
                                        ; implicit-def: $vgpr2
; %bb.3247:
	s_andn2_saveexec_b64 s[6:7], s[6:7]
; %bb.3248:
	v_add_f32_e32 v3, 0x43000000, v2
; %bb.3249:
	s_or_b64 exec, exec, s[6:7]
                                        ; implicit-def: $vgpr2
.LBB135_3250:
	s_andn2_saveexec_b64 s[2:3], s[2:3]
; %bb.3251:
	s_mov_b32 s6, 0x7f800000
	v_mov_b32_e32 v3, 0x7c
	v_mov_b32_e32 v4, 0x7f
	v_cmp_lt_u32_e32 vcc, s6, v2
	v_cndmask_b32_e32 v3, v3, v4, vcc
; %bb.3252:
	s_or_b64 exec, exec, s[2:3]
	global_store_byte v[0:1], v3, off
.LBB135_3253:
	s_mov_b64 s[2:3], 0
.LBB135_3254:
	s_andn2_b64 vcc, exec, s[2:3]
	s_mov_b64 s[2:3], 0
	s_cbranch_vccnz .LBB135_3261
; %bb.3255:
	s_cmp_gt_i32 s24, 14
	s_mov_b64 s[6:7], -1
	s_cbranch_scc0 .LBB135_3259
; %bb.3256:
	s_cmp_eq_u32 s24, 15
	s_mov_b64 s[0:1], -1
	s_cbranch_scc0 .LBB135_3258
; %bb.3257:
	v_cndmask_b32_e64 v2, 0, 1.0, s[10:11]
	v_bfe_u32 v3, v2, 16, 1
	s_movk_i32 s0, 0x7fff
	v_add3_u32 v2, v2, v3, s0
	global_store_short_d16_hi v[0:1], v2, off
	s_mov_b64 s[0:1], 0
.LBB135_3258:
	s_mov_b64 s[6:7], 0
.LBB135_3259:
	s_and_b64 vcc, exec, s[6:7]
	s_cbranch_vccz .LBB135_3261
; %bb.3260:
	s_cmp_lg_u32 s24, 11
	s_mov_b64 s[2:3], -1
	s_cselect_b64 s[0:1], -1, 0
.LBB135_3261:
	s_and_b64 vcc, exec, s[0:1]
	s_cbranch_vccnz .LBB135_3282
.LBB135_3262:
	s_mov_b64 s[0:1], 0
	s_branch .LBB135_2783
.LBB135_3263:
	s_mov_b64 s[0:1], 0
	s_branch .LBB135_2782
.LBB135_3264:
	s_mov_b64 s[2:3], 0
	s_mov_b64 s[0:1], -1
	s_branch .LBB135_2783
.LBB135_3265:
	s_andn2_saveexec_b64 s[24:25], s[24:25]
	s_cbranch_execz .LBB135_2858
.LBB135_3266:
	v_add_f32_e32 v1, 0x46000000, v3
	v_and_b32_e32 v1, 0xff, v1
	v_cmp_ne_u32_e32 vcc, 0, v1
	s_andn2_b64 s[18:19], s[18:19], exec
	s_and_b64 s[28:29], vcc, exec
	s_or_b64 s[18:19], s[18:19], s[28:29]
	s_or_b64 exec, exec, s[24:25]
	v_mov_b32_e32 v7, 0
	s_and_saveexec_b64 s[24:25], s[18:19]
	s_cbranch_execnz .LBB135_2859
	s_branch .LBB135_2860
.LBB135_3267:
	s_trap 2
	s_or_b64 s[4:5], s[4:5], exec
	s_cbranch_execz .LBB135_2906
	s_branch .LBB135_2907
.LBB135_3268:
	s_andn2_saveexec_b64 s[18:19], s[18:19]
	s_cbranch_execz .LBB135_2871
.LBB135_3269:
	v_add_f32_e32 v1, 0x42800000, v3
	v_and_b32_e32 v1, 0xff, v1
	v_cmp_ne_u32_e32 vcc, 0, v1
	s_andn2_b64 s[16:17], s[16:17], exec
	s_and_b64 s[24:25], vcc, exec
	s_or_b64 s[16:17], s[16:17], s[24:25]
	s_or_b64 exec, exec, s[18:19]
	v_mov_b32_e32 v7, 0
	s_and_saveexec_b64 s[18:19], s[16:17]
	s_cbranch_execnz .LBB135_2872
	s_branch .LBB135_2873
.LBB135_3270:
	s_andn2_saveexec_b64 s[18:19], s[18:19]
	s_cbranch_execz .LBB135_2977
.LBB135_3271:
	v_add_f32_e32 v1, 0x46000000, v5
	v_and_b32_e32 v1, 0xff, v1
	v_cmp_ne_u32_e32 vcc, 0, v1
	s_andn2_b64 s[16:17], s[16:17], exec
	s_and_b64 s[28:29], vcc, exec
	s_or_b64 s[16:17], s[16:17], s[28:29]
	s_or_b64 exec, exec, s[18:19]
	v_mov_b32_e32 v6, 0
	s_and_saveexec_b64 s[18:19], s[16:17]
	s_cbranch_execnz .LBB135_2978
	s_branch .LBB135_2979
.LBB135_3272:
	s_trap 2
	s_or_b64 s[4:5], s[4:5], exec
	s_cbranch_execz .LBB135_3025
	s_branch .LBB135_3026
.LBB135_3273:
	s_andn2_saveexec_b64 s[16:17], s[16:17]
	s_cbranch_execz .LBB135_2990
.LBB135_3274:
	v_add_f32_e32 v1, 0x42800000, v5
	v_and_b32_e32 v1, 0xff, v1
	v_cmp_ne_u32_e32 vcc, 0, v1
	s_andn2_b64 s[6:7], s[6:7], exec
	s_and_b64 s[18:19], vcc, exec
	s_or_b64 s[6:7], s[6:7], s[18:19]
	s_or_b64 exec, exec, s[16:17]
	v_mov_b32_e32 v6, 0
	s_and_saveexec_b64 s[16:17], s[6:7]
	s_cbranch_execnz .LBB135_2991
	s_branch .LBB135_2992
.LBB135_3275:
	s_andn2_saveexec_b64 s[18:19], s[18:19]
	s_cbranch_execz .LBB135_3096
.LBB135_3276:
	v_add_f32_e32 v3, 0x46000000, v4
	v_and_b32_e32 v3, 0xff, v3
	v_cmp_ne_u32_e32 vcc, 0, v3
	s_andn2_b64 s[16:17], s[16:17], exec
	s_and_b64 s[20:21], vcc, exec
	s_or_b64 s[16:17], s[16:17], s[20:21]
	s_or_b64 exec, exec, s[18:19]
	v_mov_b32_e32 v5, 0
	s_and_saveexec_b64 s[18:19], s[16:17]
	s_cbranch_execnz .LBB135_3097
	s_branch .LBB135_3098
.LBB135_3277:
	s_trap 2
	s_or_b64 s[4:5], s[4:5], exec
	s_cbranch_execz .LBB135_3144
	s_branch .LBB135_3145
.LBB135_3278:
	s_andn2_saveexec_b64 s[16:17], s[16:17]
	s_cbranch_execz .LBB135_3109
.LBB135_3279:
	v_add_f32_e32 v3, 0x42800000, v4
	v_and_b32_e32 v3, 0xff, v3
	v_cmp_ne_u32_e32 vcc, 0, v3
	s_andn2_b64 s[6:7], s[6:7], exec
	s_and_b64 s[18:19], vcc, exec
	s_or_b64 s[6:7], s[6:7], s[18:19]
	s_or_b64 exec, exec, s[16:17]
	v_mov_b32_e32 v5, 0
	s_and_saveexec_b64 s[16:17], s[6:7]
	s_cbranch_execnz .LBB135_3110
	s_branch .LBB135_3111
.LBB135_3280:
	s_andn2_saveexec_b64 s[16:17], s[16:17]
	s_cbranch_execz .LBB135_3216
.LBB135_3281:
	v_add_f32_e32 v2, 0x46000000, v3
	v_and_b32_e32 v2, 0xff, v2
	v_cmp_ne_u32_e32 vcc, 0, v2
	s_andn2_b64 s[8:9], s[8:9], exec
	s_and_b64 s[18:19], vcc, exec
	s_or_b64 s[8:9], s[8:9], s[18:19]
	s_or_b64 exec, exec, s[16:17]
	v_mov_b32_e32 v4, 0
	s_and_saveexec_b64 s[16:17], s[8:9]
	s_cbranch_execnz .LBB135_3217
	s_branch .LBB135_3218
.LBB135_3282:
	s_mov_b64 s[2:3], 0
	s_or_b64 s[4:5], s[4:5], exec
	s_trap 2
	s_branch .LBB135_3262
.LBB135_3283:
	s_andn2_saveexec_b64 s[8:9], s[8:9]
	s_cbranch_execz .LBB135_3228
.LBB135_3284:
	v_add_f32_e32 v2, 0x42800000, v3
	v_and_b32_e32 v2, 0xff, v2
	v_cmp_ne_u32_e32 vcc, 0, v2
	s_andn2_b64 s[6:7], s[6:7], exec
	s_and_b64 s[16:17], vcc, exec
	s_or_b64 s[6:7], s[6:7], s[16:17]
	s_or_b64 exec, exec, s[8:9]
	v_mov_b32_e32 v4, 0
	s_and_saveexec_b64 s[8:9], s[6:7]
	s_cbranch_execnz .LBB135_3229
	s_branch .LBB135_3230
	.section	.rodata,"a",@progbits
	.p2align	6, 0x0
	.amdhsa_kernel _ZN2at6native32elementwise_kernel_manual_unrollILi128ELi4EZNS0_15gpu_kernel_implINS0_13BinaryFunctorIN3c107complexIfEES6_bNS0_12_GLOBAL__N_116CompareEqFunctorIS6_EEEEEEvRNS_18TensorIteratorBaseERKT_EUlibE0_EEviT1_
		.amdhsa_group_segment_fixed_size 0
		.amdhsa_private_segment_fixed_size 0
		.amdhsa_kernarg_size 432
		.amdhsa_user_sgpr_count 6
		.amdhsa_user_sgpr_private_segment_buffer 1
		.amdhsa_user_sgpr_dispatch_ptr 0
		.amdhsa_user_sgpr_queue_ptr 0
		.amdhsa_user_sgpr_kernarg_segment_ptr 1
		.amdhsa_user_sgpr_dispatch_id 0
		.amdhsa_user_sgpr_flat_scratch_init 0
		.amdhsa_user_sgpr_private_segment_size 0
		.amdhsa_uses_dynamic_stack 0
		.amdhsa_system_sgpr_private_segment_wavefront_offset 0
		.amdhsa_system_sgpr_workgroup_id_x 1
		.amdhsa_system_sgpr_workgroup_id_y 0
		.amdhsa_system_sgpr_workgroup_id_z 0
		.amdhsa_system_sgpr_workgroup_info 0
		.amdhsa_system_vgpr_workitem_id 0
		.amdhsa_next_free_vgpr 28
		.amdhsa_next_free_sgpr 80
		.amdhsa_reserve_vcc 1
		.amdhsa_reserve_flat_scratch 0
		.amdhsa_float_round_mode_32 0
		.amdhsa_float_round_mode_16_64 0
		.amdhsa_float_denorm_mode_32 3
		.amdhsa_float_denorm_mode_16_64 3
		.amdhsa_dx10_clamp 1
		.amdhsa_ieee_mode 1
		.amdhsa_fp16_overflow 0
		.amdhsa_exception_fp_ieee_invalid_op 0
		.amdhsa_exception_fp_denorm_src 0
		.amdhsa_exception_fp_ieee_div_zero 0
		.amdhsa_exception_fp_ieee_overflow 0
		.amdhsa_exception_fp_ieee_underflow 0
		.amdhsa_exception_fp_ieee_inexact 0
		.amdhsa_exception_int_div_zero 0
	.end_amdhsa_kernel
	.section	.text._ZN2at6native32elementwise_kernel_manual_unrollILi128ELi4EZNS0_15gpu_kernel_implINS0_13BinaryFunctorIN3c107complexIfEES6_bNS0_12_GLOBAL__N_116CompareEqFunctorIS6_EEEEEEvRNS_18TensorIteratorBaseERKT_EUlibE0_EEviT1_,"axG",@progbits,_ZN2at6native32elementwise_kernel_manual_unrollILi128ELi4EZNS0_15gpu_kernel_implINS0_13BinaryFunctorIN3c107complexIfEES6_bNS0_12_GLOBAL__N_116CompareEqFunctorIS6_EEEEEEvRNS_18TensorIteratorBaseERKT_EUlibE0_EEviT1_,comdat
.Lfunc_end135:
	.size	_ZN2at6native32elementwise_kernel_manual_unrollILi128ELi4EZNS0_15gpu_kernel_implINS0_13BinaryFunctorIN3c107complexIfEES6_bNS0_12_GLOBAL__N_116CompareEqFunctorIS6_EEEEEEvRNS_18TensorIteratorBaseERKT_EUlibE0_EEviT1_, .Lfunc_end135-_ZN2at6native32elementwise_kernel_manual_unrollILi128ELi4EZNS0_15gpu_kernel_implINS0_13BinaryFunctorIN3c107complexIfEES6_bNS0_12_GLOBAL__N_116CompareEqFunctorIS6_EEEEEEvRNS_18TensorIteratorBaseERKT_EUlibE0_EEviT1_
                                        ; -- End function
	.set _ZN2at6native32elementwise_kernel_manual_unrollILi128ELi4EZNS0_15gpu_kernel_implINS0_13BinaryFunctorIN3c107complexIfEES6_bNS0_12_GLOBAL__N_116CompareEqFunctorIS6_EEEEEEvRNS_18TensorIteratorBaseERKT_EUlibE0_EEviT1_.num_vgpr, 28
	.set _ZN2at6native32elementwise_kernel_manual_unrollILi128ELi4EZNS0_15gpu_kernel_implINS0_13BinaryFunctorIN3c107complexIfEES6_bNS0_12_GLOBAL__N_116CompareEqFunctorIS6_EEEEEEvRNS_18TensorIteratorBaseERKT_EUlibE0_EEviT1_.num_agpr, 0
	.set _ZN2at6native32elementwise_kernel_manual_unrollILi128ELi4EZNS0_15gpu_kernel_implINS0_13BinaryFunctorIN3c107complexIfEES6_bNS0_12_GLOBAL__N_116CompareEqFunctorIS6_EEEEEEvRNS_18TensorIteratorBaseERKT_EUlibE0_EEviT1_.numbered_sgpr, 80
	.set _ZN2at6native32elementwise_kernel_manual_unrollILi128ELi4EZNS0_15gpu_kernel_implINS0_13BinaryFunctorIN3c107complexIfEES6_bNS0_12_GLOBAL__N_116CompareEqFunctorIS6_EEEEEEvRNS_18TensorIteratorBaseERKT_EUlibE0_EEviT1_.num_named_barrier, 0
	.set _ZN2at6native32elementwise_kernel_manual_unrollILi128ELi4EZNS0_15gpu_kernel_implINS0_13BinaryFunctorIN3c107complexIfEES6_bNS0_12_GLOBAL__N_116CompareEqFunctorIS6_EEEEEEvRNS_18TensorIteratorBaseERKT_EUlibE0_EEviT1_.private_seg_size, 0
	.set _ZN2at6native32elementwise_kernel_manual_unrollILi128ELi4EZNS0_15gpu_kernel_implINS0_13BinaryFunctorIN3c107complexIfEES6_bNS0_12_GLOBAL__N_116CompareEqFunctorIS6_EEEEEEvRNS_18TensorIteratorBaseERKT_EUlibE0_EEviT1_.uses_vcc, 1
	.set _ZN2at6native32elementwise_kernel_manual_unrollILi128ELi4EZNS0_15gpu_kernel_implINS0_13BinaryFunctorIN3c107complexIfEES6_bNS0_12_GLOBAL__N_116CompareEqFunctorIS6_EEEEEEvRNS_18TensorIteratorBaseERKT_EUlibE0_EEviT1_.uses_flat_scratch, 0
	.set _ZN2at6native32elementwise_kernel_manual_unrollILi128ELi4EZNS0_15gpu_kernel_implINS0_13BinaryFunctorIN3c107complexIfEES6_bNS0_12_GLOBAL__N_116CompareEqFunctorIS6_EEEEEEvRNS_18TensorIteratorBaseERKT_EUlibE0_EEviT1_.has_dyn_sized_stack, 0
	.set _ZN2at6native32elementwise_kernel_manual_unrollILi128ELi4EZNS0_15gpu_kernel_implINS0_13BinaryFunctorIN3c107complexIfEES6_bNS0_12_GLOBAL__N_116CompareEqFunctorIS6_EEEEEEvRNS_18TensorIteratorBaseERKT_EUlibE0_EEviT1_.has_recursion, 0
	.set _ZN2at6native32elementwise_kernel_manual_unrollILi128ELi4EZNS0_15gpu_kernel_implINS0_13BinaryFunctorIN3c107complexIfEES6_bNS0_12_GLOBAL__N_116CompareEqFunctorIS6_EEEEEEvRNS_18TensorIteratorBaseERKT_EUlibE0_EEviT1_.has_indirect_call, 0
	.section	.AMDGPU.csdata,"",@progbits
; Kernel info:
; codeLenInByte = 52404
; TotalNumSgprs: 84
; NumVgprs: 28
; ScratchSize: 0
; MemoryBound: 1
; FloatMode: 240
; IeeeMode: 1
; LDSByteSize: 0 bytes/workgroup (compile time only)
; SGPRBlocks: 10
; VGPRBlocks: 6
; NumSGPRsForWavesPerEU: 84
; NumVGPRsForWavesPerEU: 28
; Occupancy: 9
; WaveLimiterHint : 1
; COMPUTE_PGM_RSRC2:SCRATCH_EN: 0
; COMPUTE_PGM_RSRC2:USER_SGPR: 6
; COMPUTE_PGM_RSRC2:TRAP_HANDLER: 0
; COMPUTE_PGM_RSRC2:TGID_X_EN: 1
; COMPUTE_PGM_RSRC2:TGID_Y_EN: 0
; COMPUTE_PGM_RSRC2:TGID_Z_EN: 0
; COMPUTE_PGM_RSRC2:TIDIG_COMP_CNT: 0
	.section	.text._ZN2at6native29vectorized_elementwise_kernelILi16ENS0_13AUnaryFunctorIN3c107complexIfEES5_bNS0_12_GLOBAL__N_116CompareEqFunctorIS5_EEEESt5arrayIPcLm2EEEEviT0_T1_,"axG",@progbits,_ZN2at6native29vectorized_elementwise_kernelILi16ENS0_13AUnaryFunctorIN3c107complexIfEES5_bNS0_12_GLOBAL__N_116CompareEqFunctorIS5_EEEESt5arrayIPcLm2EEEEviT0_T1_,comdat
	.globl	_ZN2at6native29vectorized_elementwise_kernelILi16ENS0_13AUnaryFunctorIN3c107complexIfEES5_bNS0_12_GLOBAL__N_116CompareEqFunctorIS5_EEEESt5arrayIPcLm2EEEEviT0_T1_ ; -- Begin function _ZN2at6native29vectorized_elementwise_kernelILi16ENS0_13AUnaryFunctorIN3c107complexIfEES5_bNS0_12_GLOBAL__N_116CompareEqFunctorIS5_EEEESt5arrayIPcLm2EEEEviT0_T1_
	.p2align	8
	.type	_ZN2at6native29vectorized_elementwise_kernelILi16ENS0_13AUnaryFunctorIN3c107complexIfEES5_bNS0_12_GLOBAL__N_116CompareEqFunctorIS5_EEEESt5arrayIPcLm2EEEEviT0_T1_,@function
_ZN2at6native29vectorized_elementwise_kernelILi16ENS0_13AUnaryFunctorIN3c107complexIfEES5_bNS0_12_GLOBAL__N_116CompareEqFunctorIS5_EEEESt5arrayIPcLm2EEEEviT0_T1_: ; @_ZN2at6native29vectorized_elementwise_kernelILi16ENS0_13AUnaryFunctorIN3c107complexIfEES5_bNS0_12_GLOBAL__N_116CompareEqFunctorIS5_EEEESt5arrayIPcLm2EEEEviT0_T1_
; %bb.0:
	s_load_dword s0, s[4:5], 0x0
	s_load_dword s44, s[4:5], 0x8
	s_load_dwordx2 s[12:13], s[4:5], 0x10
	s_load_dwordx4 s[8:11], s[4:5], 0x18
	s_lshl_b32 s6, s6, 12
	s_waitcnt lgkmcnt(0)
	s_sub_i32 s33, s0, s6
	s_cmpk_gt_i32 s33, 0xfff
	s_mov_b64 s[0:1], -1
	s_cbranch_scc0 .LBB136_50
; %bb.1:
	s_ashr_i32 s7, s6, 31
	s_lshl_b64 s[0:1], s[6:7], 3
	s_add_u32 s0, s10, s0
	s_addc_u32 s1, s11, s1
	v_lshlrev_b32_e32 v33, 7, v0
	global_load_dwordx4 v[17:20], v33, s[0:1] offset:48
	global_load_dwordx4 v[21:24], v33, s[0:1] offset:32
	;; [unrolled: 1-line block ×3, first 2 shown]
	global_load_dwordx4 v[29:32], v33, s[0:1]
	global_load_dwordx4 v[1:4], v33, s[0:1] offset:112
	global_load_dwordx4 v[5:8], v33, s[0:1] offset:96
	global_load_dwordx4 v[9:12], v33, s[0:1] offset:80
	global_load_dwordx4 v[13:16], v33, s[0:1] offset:64
	s_cmp_lg_u32 s44, 0
	s_cselect_b64 s[2:3], -1, 0
	s_and_b64 vcc, exec, s[2:3]
	s_cbranch_vccz .LBB136_196
; %bb.2:
	s_waitcnt vmcnt(4)
	v_cmp_neq_f32_e32 vcc, s12, v29
	v_cmp_neq_f32_e64 s[0:1], s13, v30
	s_or_b64 s[4:5], vcc, s[0:1]
	s_cbranch_execnz .LBB136_4
.LBB136_3:
	s_waitcnt vmcnt(4)
	v_cmp_eq_f32_e32 vcc, s12, v29
	v_cmp_eq_f32_e64 s[0:1], s13, v30
	s_and_b64 s[0:1], vcc, s[0:1]
	s_andn2_b64 s[4:5], s[4:5], exec
	s_and_b64 s[0:1], s[0:1], exec
	s_or_b64 s[4:5], s[4:5], s[0:1]
.LBB136_4:
	s_waitcnt vmcnt(4)
	v_cndmask_b32_e64 v29, 0, 1, s[2:3]
	v_cmp_ne_u32_e64 s[0:1], 1, v29
	s_andn2_b64 vcc, exec, s[2:3]
	s_cbranch_vccnz .LBB136_197
; %bb.5:
	v_cmp_neq_f32_e32 vcc, s12, v31
	v_cmp_neq_f32_e64 s[2:3], s13, v32
	s_or_b64 s[14:15], vcc, s[2:3]
	s_cbranch_execnz .LBB136_7
.LBB136_6:
	v_cmp_eq_f32_e32 vcc, s12, v31
	v_cmp_eq_f32_e64 s[2:3], s13, v32
	s_and_b64 s[2:3], vcc, s[2:3]
	s_andn2_b64 s[14:15], s[14:15], exec
	s_and_b64 s[2:3], s[2:3], exec
	s_or_b64 s[14:15], s[14:15], s[2:3]
.LBB136_7:
	s_and_b64 vcc, exec, s[0:1]
	s_cbranch_vccnz .LBB136_198
; %bb.8:
	v_cmp_neq_f32_e32 vcc, s12, v25
	v_cmp_neq_f32_e64 s[2:3], s13, v26
	s_or_b64 s[16:17], vcc, s[2:3]
	s_cbranch_execnz .LBB136_10
.LBB136_9:
	v_cmp_eq_f32_e32 vcc, s12, v25
	v_cmp_eq_f32_e64 s[2:3], s13, v26
	s_and_b64 s[2:3], vcc, s[2:3]
	s_andn2_b64 s[16:17], s[16:17], exec
	s_and_b64 s[2:3], s[2:3], exec
	s_or_b64 s[16:17], s[16:17], s[2:3]
.LBB136_10:
	s_and_b64 vcc, exec, s[0:1]
	s_cbranch_vccnz .LBB136_199
; %bb.11:
	v_cmp_neq_f32_e32 vcc, s12, v27
	v_cmp_neq_f32_e64 s[2:3], s13, v28
	s_or_b64 s[18:19], vcc, s[2:3]
	s_cbranch_execnz .LBB136_13
.LBB136_12:
	v_cmp_eq_f32_e32 vcc, s12, v27
	v_cmp_eq_f32_e64 s[2:3], s13, v28
	s_and_b64 s[2:3], vcc, s[2:3]
	s_andn2_b64 s[18:19], s[18:19], exec
	s_and_b64 s[2:3], s[2:3], exec
	s_or_b64 s[18:19], s[18:19], s[2:3]
.LBB136_13:
	s_and_b64 vcc, exec, s[0:1]
	s_cbranch_vccnz .LBB136_200
; %bb.14:
	v_cmp_neq_f32_e32 vcc, s12, v21
	v_cmp_neq_f32_e64 s[2:3], s13, v22
	s_or_b64 s[20:21], vcc, s[2:3]
	s_cbranch_execnz .LBB136_16
.LBB136_15:
	v_cmp_eq_f32_e32 vcc, s12, v21
	v_cmp_eq_f32_e64 s[2:3], s13, v22
	s_and_b64 s[2:3], vcc, s[2:3]
	s_andn2_b64 s[20:21], s[20:21], exec
	s_and_b64 s[2:3], s[2:3], exec
	s_or_b64 s[20:21], s[20:21], s[2:3]
.LBB136_16:
	s_and_b64 vcc, exec, s[0:1]
	s_cbranch_vccnz .LBB136_201
; %bb.17:
	v_cmp_neq_f32_e32 vcc, s12, v23
	v_cmp_neq_f32_e64 s[2:3], s13, v24
	s_or_b64 s[22:23], vcc, s[2:3]
	s_cbranch_execnz .LBB136_19
.LBB136_18:
	v_cmp_eq_f32_e32 vcc, s12, v23
	v_cmp_eq_f32_e64 s[2:3], s13, v24
	s_and_b64 s[2:3], vcc, s[2:3]
	s_andn2_b64 s[22:23], s[22:23], exec
	s_and_b64 s[2:3], s[2:3], exec
	s_or_b64 s[22:23], s[22:23], s[2:3]
.LBB136_19:
	s_and_b64 vcc, exec, s[0:1]
	s_cbranch_vccnz .LBB136_202
; %bb.20:
	v_cmp_neq_f32_e32 vcc, s12, v17
	v_cmp_neq_f32_e64 s[2:3], s13, v18
	s_or_b64 s[24:25], vcc, s[2:3]
	s_cbranch_execnz .LBB136_22
.LBB136_21:
	v_cmp_eq_f32_e32 vcc, s12, v17
	v_cmp_eq_f32_e64 s[2:3], s13, v18
	s_and_b64 s[2:3], vcc, s[2:3]
	s_andn2_b64 s[24:25], s[24:25], exec
	s_and_b64 s[2:3], s[2:3], exec
	s_or_b64 s[24:25], s[24:25], s[2:3]
.LBB136_22:
	s_and_b64 vcc, exec, s[0:1]
	s_cbranch_vccnz .LBB136_203
; %bb.23:
	v_cmp_neq_f32_e32 vcc, s12, v19
	v_cmp_neq_f32_e64 s[2:3], s13, v20
	s_or_b64 s[26:27], vcc, s[2:3]
	s_cbranch_execnz .LBB136_25
.LBB136_24:
	v_cmp_eq_f32_e32 vcc, s12, v19
	v_cmp_eq_f32_e64 s[2:3], s13, v20
	s_and_b64 s[2:3], vcc, s[2:3]
	s_andn2_b64 s[26:27], s[26:27], exec
	s_and_b64 s[2:3], s[2:3], exec
	s_or_b64 s[26:27], s[26:27], s[2:3]
.LBB136_25:
	s_and_b64 vcc, exec, s[0:1]
	s_cbranch_vccnz .LBB136_204
; %bb.26:
	s_waitcnt vmcnt(0)
	v_cmp_neq_f32_e32 vcc, s12, v13
	v_cmp_neq_f32_e64 s[2:3], s13, v14
	s_or_b64 s[28:29], vcc, s[2:3]
	s_cbranch_execnz .LBB136_28
.LBB136_27:
	s_waitcnt vmcnt(0)
	v_cmp_eq_f32_e32 vcc, s12, v13
	v_cmp_eq_f32_e64 s[2:3], s13, v14
	s_and_b64 s[2:3], vcc, s[2:3]
	s_andn2_b64 s[28:29], s[28:29], exec
	s_and_b64 s[2:3], s[2:3], exec
	s_or_b64 s[28:29], s[28:29], s[2:3]
.LBB136_28:
	s_and_b64 vcc, exec, s[0:1]
	s_cbranch_vccnz .LBB136_205
; %bb.29:
	s_waitcnt vmcnt(0)
	v_cmp_neq_f32_e32 vcc, s12, v15
	v_cmp_neq_f32_e64 s[2:3], s13, v16
	s_or_b64 s[30:31], vcc, s[2:3]
	s_cbranch_execnz .LBB136_31
.LBB136_30:
	s_waitcnt vmcnt(0)
	v_cmp_eq_f32_e32 vcc, s12, v15
	v_cmp_eq_f32_e64 s[2:3], s13, v16
	s_and_b64 s[2:3], vcc, s[2:3]
	s_andn2_b64 s[30:31], s[30:31], exec
	s_and_b64 s[2:3], s[2:3], exec
	s_or_b64 s[30:31], s[30:31], s[2:3]
.LBB136_31:
	s_and_b64 vcc, exec, s[0:1]
	s_cbranch_vccnz .LBB136_206
; %bb.32:
	s_waitcnt vmcnt(1)
	v_cmp_neq_f32_e32 vcc, s12, v9
	v_cmp_neq_f32_e64 s[2:3], s13, v10
	s_or_b64 s[34:35], vcc, s[2:3]
	s_cbranch_execnz .LBB136_34
.LBB136_33:
	s_waitcnt vmcnt(1)
	v_cmp_eq_f32_e32 vcc, s12, v9
	v_cmp_eq_f32_e64 s[2:3], s13, v10
	s_and_b64 s[2:3], vcc, s[2:3]
	s_andn2_b64 s[34:35], s[34:35], exec
	s_and_b64 s[2:3], s[2:3], exec
	s_or_b64 s[34:35], s[34:35], s[2:3]
.LBB136_34:
	s_and_b64 vcc, exec, s[0:1]
	s_cbranch_vccnz .LBB136_207
; %bb.35:
	s_waitcnt vmcnt(1)
	v_cmp_neq_f32_e32 vcc, s12, v11
	v_cmp_neq_f32_e64 s[2:3], s13, v12
	s_or_b64 s[36:37], vcc, s[2:3]
	s_cbranch_execnz .LBB136_37
.LBB136_36:
	s_waitcnt vmcnt(1)
	v_cmp_eq_f32_e32 vcc, s12, v11
	v_cmp_eq_f32_e64 s[2:3], s13, v12
	s_and_b64 s[2:3], vcc, s[2:3]
	s_andn2_b64 s[36:37], s[36:37], exec
	s_and_b64 s[2:3], s[2:3], exec
	s_or_b64 s[36:37], s[36:37], s[2:3]
.LBB136_37:
	s_and_b64 vcc, exec, s[0:1]
	s_cbranch_vccnz .LBB136_208
; %bb.38:
	s_waitcnt vmcnt(2)
	v_cmp_neq_f32_e32 vcc, s12, v5
	v_cmp_neq_f32_e64 s[2:3], s13, v6
	s_or_b64 s[38:39], vcc, s[2:3]
	s_cbranch_execnz .LBB136_40
.LBB136_39:
	s_waitcnt vmcnt(2)
	v_cmp_eq_f32_e32 vcc, s12, v5
	v_cmp_eq_f32_e64 s[2:3], s13, v6
	s_and_b64 s[2:3], vcc, s[2:3]
	s_andn2_b64 s[38:39], s[38:39], exec
	s_and_b64 s[2:3], s[2:3], exec
	s_or_b64 s[38:39], s[38:39], s[2:3]
.LBB136_40:
	s_and_b64 vcc, exec, s[0:1]
	s_cbranch_vccnz .LBB136_209
; %bb.41:
	s_waitcnt vmcnt(2)
	v_cmp_neq_f32_e32 vcc, s12, v7
	v_cmp_neq_f32_e64 s[2:3], s13, v8
	s_or_b64 s[40:41], vcc, s[2:3]
	s_cbranch_execnz .LBB136_43
.LBB136_42:
	s_waitcnt vmcnt(2)
	v_cmp_eq_f32_e32 vcc, s12, v7
	v_cmp_eq_f32_e64 s[2:3], s13, v8
	s_and_b64 s[2:3], vcc, s[2:3]
	s_andn2_b64 s[40:41], s[40:41], exec
	s_and_b64 s[2:3], s[2:3], exec
	s_or_b64 s[40:41], s[40:41], s[2:3]
.LBB136_43:
	s_and_b64 vcc, exec, s[0:1]
	s_cbranch_vccnz .LBB136_210
; %bb.44:
	s_waitcnt vmcnt(3)
	v_cmp_neq_f32_e32 vcc, s12, v1
	v_cmp_neq_f32_e64 s[2:3], s13, v2
	s_or_b64 s[42:43], vcc, s[2:3]
	s_cbranch_execnz .LBB136_46
.LBB136_45:
	s_waitcnt vmcnt(3)
	v_cmp_eq_f32_e32 vcc, s12, v1
	v_cmp_eq_f32_e64 s[2:3], s13, v2
	s_and_b64 s[2:3], vcc, s[2:3]
	s_andn2_b64 s[42:43], s[42:43], exec
	s_and_b64 s[2:3], s[2:3], exec
	s_or_b64 s[42:43], s[42:43], s[2:3]
.LBB136_46:
	s_and_b64 vcc, exec, s[0:1]
	s_cbranch_vccnz .LBB136_211
; %bb.47:
	s_waitcnt vmcnt(3)
	v_cmp_neq_f32_e32 vcc, s12, v3
	v_cmp_neq_f32_e64 s[0:1], s13, v4
	s_or_b64 s[2:3], vcc, s[0:1]
	s_cbranch_execnz .LBB136_49
.LBB136_48:
	s_waitcnt vmcnt(3)
	v_cmp_eq_f32_e32 vcc, s12, v3
	v_cmp_eq_f32_e64 s[0:1], s13, v4
	s_and_b64 s[0:1], vcc, s[0:1]
	s_andn2_b64 s[2:3], s[2:3], exec
	s_and_b64 s[0:1], s[0:1], exec
	s_or_b64 s[2:3], s[2:3], s[0:1]
.LBB136_49:
	s_waitcnt vmcnt(3)
	v_cndmask_b32_e64 v1, 0, 1, s[14:15]
	v_lshlrev_b16_e32 v1, 8, v1
	v_cndmask_b32_e64 v2, 0, 1, s[4:5]
	v_or_b32_e32 v1, v2, v1
	v_cndmask_b32_e64 v2, 0, 1, s[18:19]
	v_lshlrev_b16_e32 v2, 8, v2
	v_cndmask_b32_e64 v3, 0, 1, s[16:17]
	v_or_b32_sdwa v2, v3, v2 dst_sel:WORD_1 dst_unused:UNUSED_PAD src0_sel:DWORD src1_sel:DWORD
	v_or_b32_sdwa v1, v1, v2 dst_sel:DWORD dst_unused:UNUSED_PAD src0_sel:WORD_0 src1_sel:DWORD
	v_cndmask_b32_e64 v2, 0, 1, s[22:23]
	v_lshlrev_b16_e32 v2, 8, v2
	v_cndmask_b32_e64 v3, 0, 1, s[20:21]
	v_or_b32_e32 v2, v3, v2
	v_cndmask_b32_e64 v3, 0, 1, s[26:27]
	v_lshlrev_b16_e32 v3, 8, v3
	v_cndmask_b32_e64 v4, 0, 1, s[24:25]
	v_or_b32_sdwa v3, v4, v3 dst_sel:WORD_1 dst_unused:UNUSED_PAD src0_sel:DWORD src1_sel:DWORD
	v_or_b32_sdwa v2, v2, v3 dst_sel:DWORD dst_unused:UNUSED_PAD src0_sel:WORD_0 src1_sel:DWORD
	v_cndmask_b32_e64 v3, 0, 1, s[30:31]
	v_lshlrev_b16_e32 v3, 8, v3
	v_cndmask_b32_e64 v4, 0, 1, s[28:29]
	v_or_b32_e32 v3, v4, v3
	v_cndmask_b32_e64 v4, 0, 1, s[36:37]
	v_lshlrev_b16_e32 v4, 8, v4
	s_waitcnt vmcnt(2)
	v_cndmask_b32_e64 v6, 0, 1, s[34:35]
	v_or_b32_sdwa v4, v6, v4 dst_sel:WORD_1 dst_unused:UNUSED_PAD src0_sel:DWORD src1_sel:DWORD
	v_or_b32_sdwa v3, v3, v4 dst_sel:DWORD dst_unused:UNUSED_PAD src0_sel:WORD_0 src1_sel:DWORD
	v_cndmask_b32_e64 v4, 0, 1, s[40:41]
	v_lshlrev_b16_e32 v4, 8, v4
	v_cndmask_b32_e64 v6, 0, 1, s[38:39]
	v_or_b32_e32 v4, v6, v4
	v_cndmask_b32_e64 v6, 0, 1, s[2:3]
	v_lshlrev_b16_e32 v6, 8, v6
	v_cndmask_b32_e64 v7, 0, 1, s[42:43]
	s_add_u32 s0, s8, s6
	v_or_b32_sdwa v6, v7, v6 dst_sel:WORD_1 dst_unused:UNUSED_PAD src0_sel:DWORD src1_sel:DWORD
	s_addc_u32 s1, s9, s7
	v_lshlrev_b32_e32 v5, 4, v0
	v_or_b32_sdwa v4, v4, v6 dst_sel:DWORD dst_unused:UNUSED_PAD src0_sel:WORD_0 src1_sel:DWORD
	global_store_dwordx4 v5, v[1:4], s[0:1]
	s_mov_b64 s[0:1], 0
.LBB136_50:
	s_and_b64 vcc, exec, s[0:1]
	s_cbranch_vccz .LBB136_195
; %bb.51:
	v_cmp_gt_i32_e64 s[0:1], s33, v0
	v_mov_b32_e32 v29, 0
	v_or_b32_e32 v1, s6, v0
	v_mov_b32_e32 v33, 0
	v_mov_b32_e32 v32, 0
	v_mov_b32_e32 v34, v0
	s_and_saveexec_b64 s[2:3], s[0:1]
	s_cbranch_execz .LBB136_53
; %bb.52:
	v_mov_b32_e32 v2, 0
	v_lshlrev_b64 v[2:3], 3, v[1:2]
	v_mov_b32_e32 v4, s11
	v_add_co_u32_e32 v2, vcc, s10, v2
	v_addc_co_u32_e32 v3, vcc, v4, v3, vcc
	global_load_dwordx2 v[32:33], v[2:3], off
	v_or_b32_e32 v34, 0x100, v0
.LBB136_53:
	s_or_b64 exec, exec, s[2:3]
	v_cmp_gt_i32_e32 vcc, s33, v34
	v_mov_b32_e32 v28, 0
	s_and_saveexec_b64 s[2:3], vcc
	s_cbranch_execz .LBB136_55
; %bb.54:
	v_add_u32_e32 v2, s6, v34
	v_mov_b32_e32 v3, 0
	v_lshlrev_b64 v[2:3], 3, v[2:3]
	v_mov_b32_e32 v4, s11
	v_add_co_u32_e32 v2, vcc, s10, v2
	v_addc_co_u32_e32 v3, vcc, v4, v3, vcc
	global_load_dwordx2 v[28:29], v[2:3], off
	v_add_u32_e32 v34, 0x100, v34
.LBB136_55:
	s_or_b64 exec, exec, s[2:3]
	v_cmp_gt_i32_e32 vcc, s33, v34
	v_mov_b32_e32 v25, 0
	v_mov_b32_e32 v31, 0
	v_mov_b32_e32 v30, 0
	s_and_saveexec_b64 s[2:3], vcc
	s_cbranch_execz .LBB136_57
; %bb.56:
	v_add_u32_e32 v2, s6, v34
	v_mov_b32_e32 v3, 0
	v_lshlrev_b64 v[2:3], 3, v[2:3]
	v_mov_b32_e32 v4, s11
	v_add_co_u32_e32 v2, vcc, s10, v2
	v_addc_co_u32_e32 v3, vcc, v4, v3, vcc
	global_load_dwordx2 v[30:31], v[2:3], off
	v_add_u32_e32 v34, 0x100, v34
.LBB136_57:
	s_or_b64 exec, exec, s[2:3]
	v_cmp_gt_i32_e32 vcc, s33, v34
	v_mov_b32_e32 v24, 0
	s_and_saveexec_b64 s[2:3], vcc
	s_cbranch_execz .LBB136_59
; %bb.58:
	v_add_u32_e32 v2, s6, v34
	v_mov_b32_e32 v3, 0
	v_lshlrev_b64 v[2:3], 3, v[2:3]
	v_mov_b32_e32 v4, s11
	v_add_co_u32_e32 v2, vcc, s10, v2
	v_addc_co_u32_e32 v3, vcc, v4, v3, vcc
	global_load_dwordx2 v[24:25], v[2:3], off
	v_add_u32_e32 v34, 0x100, v34
.LBB136_59:
	s_or_b64 exec, exec, s[2:3]
	v_cmp_gt_i32_e32 vcc, s33, v34
	v_mov_b32_e32 v21, 0
	v_mov_b32_e32 v27, 0
	v_mov_b32_e32 v26, 0
	s_and_saveexec_b64 s[2:3], vcc
	s_cbranch_execz .LBB136_61
; %bb.60:
	v_add_u32_e32 v2, s6, v34
	v_mov_b32_e32 v3, 0
	v_lshlrev_b64 v[2:3], 3, v[2:3]
	v_mov_b32_e32 v4, s11
	v_add_co_u32_e32 v2, vcc, s10, v2
	v_addc_co_u32_e32 v3, vcc, v4, v3, vcc
	global_load_dwordx2 v[26:27], v[2:3], off
	v_add_u32_e32 v34, 0x100, v34
.LBB136_61:
	;; [unrolled: 32-line block ×3, first 2 shown]
	s_or_b64 exec, exec, s[2:3]
	v_cmp_gt_i32_e32 vcc, s33, v34
	s_waitcnt vmcnt(1)
	v_mov_b32_e32 v16, 0
	s_and_saveexec_b64 s[2:3], vcc
	s_cbranch_execz .LBB136_67
; %bb.66:
	v_add_u32_e32 v2, s6, v34
	v_mov_b32_e32 v3, 0
	v_lshlrev_b64 v[2:3], 3, v[2:3]
	v_mov_b32_e32 v4, s11
	v_add_co_u32_e32 v2, vcc, s10, v2
	v_addc_co_u32_e32 v3, vcc, v4, v3, vcc
	global_load_dwordx2 v[16:17], v[2:3], off
	v_add_u32_e32 v34, 0x100, v34
.LBB136_67:
	s_or_b64 exec, exec, s[2:3]
	v_cmp_gt_i32_e32 vcc, s33, v34
	v_mov_b32_e32 v13, 0
	v_mov_b32_e32 v19, 0
	v_mov_b32_e32 v18, 0
	s_and_saveexec_b64 s[2:3], vcc
	s_cbranch_execz .LBB136_69
; %bb.68:
	v_add_u32_e32 v2, s6, v34
	v_mov_b32_e32 v3, 0
	v_lshlrev_b64 v[2:3], 3, v[2:3]
	v_mov_b32_e32 v4, s11
	v_add_co_u32_e32 v2, vcc, s10, v2
	v_addc_co_u32_e32 v3, vcc, v4, v3, vcc
	global_load_dwordx2 v[18:19], v[2:3], off
	v_add_u32_e32 v34, 0x100, v34
.LBB136_69:
	s_or_b64 exec, exec, s[2:3]
	v_cmp_gt_i32_e32 vcc, s33, v34
	v_mov_b32_e32 v12, 0
	s_and_saveexec_b64 s[2:3], vcc
	s_cbranch_execz .LBB136_71
; %bb.70:
	v_add_u32_e32 v2, s6, v34
	v_mov_b32_e32 v3, 0
	v_lshlrev_b64 v[2:3], 3, v[2:3]
	v_mov_b32_e32 v4, s11
	v_add_co_u32_e32 v2, vcc, s10, v2
	v_addc_co_u32_e32 v3, vcc, v4, v3, vcc
	global_load_dwordx2 v[12:13], v[2:3], off
	v_add_u32_e32 v34, 0x100, v34
.LBB136_71:
	s_or_b64 exec, exec, s[2:3]
	v_cmp_gt_i32_e32 vcc, s33, v34
	v_mov_b32_e32 v9, 0
	v_mov_b32_e32 v15, 0
	v_mov_b32_e32 v14, 0
	s_and_saveexec_b64 s[2:3], vcc
	s_cbranch_execz .LBB136_73
; %bb.72:
	v_add_u32_e32 v2, s6, v34
	v_mov_b32_e32 v3, 0
	v_lshlrev_b64 v[2:3], 3, v[2:3]
	v_mov_b32_e32 v4, s11
	v_add_co_u32_e32 v2, vcc, s10, v2
	v_addc_co_u32_e32 v3, vcc, v4, v3, vcc
	global_load_dwordx2 v[14:15], v[2:3], off
	v_add_u32_e32 v34, 0x100, v34
.LBB136_73:
	s_or_b64 exec, exec, s[2:3]
	v_cmp_gt_i32_e32 vcc, s33, v34
	;; [unrolled: 32-line block ×4, first 2 shown]
	v_mov_b32_e32 v2, 0
	s_and_saveexec_b64 s[2:3], vcc
	s_cbranch_execz .LBB136_83
; %bb.82:
	v_add_u32_e32 v2, s6, v34
	v_mov_b32_e32 v3, 0
	v_lshlrev_b64 v[2:3], 3, v[2:3]
	v_mov_b32_e32 v34, s11
	v_add_co_u32_e32 v2, vcc, s10, v2
	v_addc_co_u32_e32 v3, vcc, v34, v3, vcc
	global_load_dwordx2 v[2:3], v[2:3], off
.LBB136_83:
	s_or_b64 exec, exec, s[2:3]
	s_cmp_lg_u32 s44, 0
	s_cselect_b64 s[4:5], -1, 0
                                        ; implicit-def: $vgpr34
	s_and_saveexec_b64 s[10:11], s[0:1]
	s_cbranch_execz .LBB136_88
; %bb.84:
	s_and_b64 vcc, exec, s[4:5]
	s_cbranch_vccz .LBB136_212
; %bb.85:
	s_waitcnt vmcnt(0)
	v_cmp_neq_f32_e32 vcc, s12, v32
	v_cmp_neq_f32_e64 s[2:3], s13, v33
	s_or_b64 s[14:15], vcc, s[2:3]
	s_cbranch_execnz .LBB136_87
.LBB136_86:
	s_waitcnt vmcnt(0)
	v_cmp_eq_f32_e32 vcc, s12, v32
	v_cmp_eq_f32_e64 s[2:3], s13, v33
	s_and_b64 s[2:3], vcc, s[2:3]
	s_andn2_b64 s[14:15], s[14:15], exec
	s_and_b64 s[2:3], s[2:3], exec
	s_or_b64 s[14:15], s[14:15], s[2:3]
.LBB136_87:
	v_cndmask_b32_e64 v34, 0, 1, s[14:15]
.LBB136_88:
	s_or_b64 exec, exec, s[10:11]
	s_waitcnt vmcnt(0)
	v_or_b32_e32 v32, 0x100, v0
	v_cndmask_b32_e64 v33, 0, 1, s[4:5]
	v_cmp_gt_i32_e32 vcc, s33, v32
	v_cmp_ne_u32_e64 s[2:3], 1, v33
                                        ; implicit-def: $vgpr33
	s_and_saveexec_b64 s[10:11], vcc
	s_cbranch_execz .LBB136_93
; %bb.89:
	s_and_b64 vcc, exec, s[2:3]
	s_cbranch_vccnz .LBB136_213
; %bb.90:
	v_cmp_neq_f32_e32 vcc, s12, v28
	v_cmp_neq_f32_e64 s[4:5], s13, v29
	s_or_b64 s[14:15], vcc, s[4:5]
	s_cbranch_execnz .LBB136_92
.LBB136_91:
	v_cmp_eq_f32_e32 vcc, s12, v28
	v_cmp_eq_f32_e64 s[4:5], s13, v29
	s_and_b64 s[4:5], vcc, s[4:5]
	s_andn2_b64 s[14:15], s[14:15], exec
	s_and_b64 s[4:5], s[4:5], exec
	s_or_b64 s[14:15], s[14:15], s[4:5]
.LBB136_92:
	v_cndmask_b32_e64 v33, 0, 1, s[14:15]
.LBB136_93:
	s_or_b64 exec, exec, s[10:11]
	v_or_b32_e32 v28, 0x200, v0
	v_cmp_gt_i32_e32 vcc, s33, v28
                                        ; implicit-def: $vgpr28
	s_and_saveexec_b64 s[10:11], vcc
	s_cbranch_execz .LBB136_98
; %bb.94:
	s_and_b64 vcc, exec, s[2:3]
	s_cbranch_vccnz .LBB136_214
; %bb.95:
	v_cmp_neq_f32_e32 vcc, s12, v30
	v_cmp_neq_f32_e64 s[4:5], s13, v31
	s_or_b64 s[14:15], vcc, s[4:5]
	s_cbranch_execnz .LBB136_97
.LBB136_96:
	v_cmp_eq_f32_e32 vcc, s12, v30
	v_cmp_eq_f32_e64 s[4:5], s13, v31
	s_and_b64 s[4:5], vcc, s[4:5]
	s_andn2_b64 s[14:15], s[14:15], exec
	s_and_b64 s[4:5], s[4:5], exec
	s_or_b64 s[14:15], s[14:15], s[4:5]
.LBB136_97:
	v_cndmask_b32_e64 v28, 0, 1, s[14:15]
.LBB136_98:
	s_or_b64 exec, exec, s[10:11]
	v_or_b32_e32 v29, 0x300, v0
	v_cmp_gt_i32_e32 vcc, s33, v29
                                        ; implicit-def: $vgpr29
	s_and_saveexec_b64 s[10:11], vcc
	s_cbranch_execz .LBB136_103
; %bb.99:
	s_and_b64 vcc, exec, s[2:3]
	s_cbranch_vccnz .LBB136_215
; %bb.100:
	v_cmp_neq_f32_e32 vcc, s12, v24
	v_cmp_neq_f32_e64 s[4:5], s13, v25
	s_or_b64 s[14:15], vcc, s[4:5]
	s_cbranch_execnz .LBB136_102
.LBB136_101:
	v_cmp_eq_f32_e32 vcc, s12, v24
	v_cmp_eq_f32_e64 s[4:5], s13, v25
	s_and_b64 s[4:5], vcc, s[4:5]
	s_andn2_b64 s[14:15], s[14:15], exec
	s_and_b64 s[4:5], s[4:5], exec
	s_or_b64 s[14:15], s[14:15], s[4:5]
.LBB136_102:
	v_cndmask_b32_e64 v29, 0, 1, s[14:15]
.LBB136_103:
	s_or_b64 exec, exec, s[10:11]
	v_or_b32_e32 v24, 0x400, v0
	v_cmp_gt_i32_e32 vcc, s33, v24
                                        ; implicit-def: $vgpr24
	s_and_saveexec_b64 s[10:11], vcc
	s_cbranch_execz .LBB136_108
; %bb.104:
	s_and_b64 vcc, exec, s[2:3]
	s_cbranch_vccnz .LBB136_216
; %bb.105:
	v_cmp_neq_f32_e32 vcc, s12, v26
	v_cmp_neq_f32_e64 s[4:5], s13, v27
	s_or_b64 s[14:15], vcc, s[4:5]
	s_cbranch_execnz .LBB136_107
.LBB136_106:
	v_cmp_eq_f32_e32 vcc, s12, v26
	v_cmp_eq_f32_e64 s[4:5], s13, v27
	s_and_b64 s[4:5], vcc, s[4:5]
	s_andn2_b64 s[14:15], s[14:15], exec
	s_and_b64 s[4:5], s[4:5], exec
	s_or_b64 s[14:15], s[14:15], s[4:5]
.LBB136_107:
	v_cndmask_b32_e64 v24, 0, 1, s[14:15]
.LBB136_108:
	s_or_b64 exec, exec, s[10:11]
	v_or_b32_e32 v25, 0x500, v0
	v_cmp_gt_i32_e32 vcc, s33, v25
                                        ; implicit-def: $vgpr25
	s_and_saveexec_b64 s[10:11], vcc
	s_cbranch_execz .LBB136_113
; %bb.109:
	s_and_b64 vcc, exec, s[2:3]
	s_cbranch_vccnz .LBB136_217
; %bb.110:
	v_cmp_neq_f32_e32 vcc, s12, v20
	v_cmp_neq_f32_e64 s[4:5], s13, v21
	s_or_b64 s[14:15], vcc, s[4:5]
	s_cbranch_execnz .LBB136_112
.LBB136_111:
	v_cmp_eq_f32_e32 vcc, s12, v20
	v_cmp_eq_f32_e64 s[4:5], s13, v21
	s_and_b64 s[4:5], vcc, s[4:5]
	s_andn2_b64 s[14:15], s[14:15], exec
	s_and_b64 s[4:5], s[4:5], exec
	s_or_b64 s[14:15], s[14:15], s[4:5]
.LBB136_112:
	v_cndmask_b32_e64 v25, 0, 1, s[14:15]
.LBB136_113:
	s_or_b64 exec, exec, s[10:11]
	v_or_b32_e32 v20, 0x600, v0
	v_cmp_gt_i32_e32 vcc, s33, v20
                                        ; implicit-def: $vgpr20
	s_and_saveexec_b64 s[10:11], vcc
	s_cbranch_execz .LBB136_118
; %bb.114:
	s_and_b64 vcc, exec, s[2:3]
	s_cbranch_vccnz .LBB136_218
; %bb.115:
	v_cmp_neq_f32_e32 vcc, s12, v22
	v_cmp_neq_f32_e64 s[4:5], s13, v23
	s_or_b64 s[14:15], vcc, s[4:5]
	s_cbranch_execnz .LBB136_117
.LBB136_116:
	v_cmp_eq_f32_e32 vcc, s12, v22
	v_cmp_eq_f32_e64 s[4:5], s13, v23
	s_and_b64 s[4:5], vcc, s[4:5]
	s_andn2_b64 s[14:15], s[14:15], exec
	s_and_b64 s[4:5], s[4:5], exec
	s_or_b64 s[14:15], s[14:15], s[4:5]
.LBB136_117:
	v_cndmask_b32_e64 v20, 0, 1, s[14:15]
.LBB136_118:
	s_or_b64 exec, exec, s[10:11]
	v_or_b32_e32 v21, 0x700, v0
	v_cmp_gt_i32_e32 vcc, s33, v21
                                        ; implicit-def: $vgpr21
	s_and_saveexec_b64 s[10:11], vcc
	s_cbranch_execz .LBB136_123
; %bb.119:
	s_and_b64 vcc, exec, s[2:3]
	s_cbranch_vccnz .LBB136_219
; %bb.120:
	v_cmp_neq_f32_e32 vcc, s12, v16
	v_cmp_neq_f32_e64 s[4:5], s13, v17
	s_or_b64 s[14:15], vcc, s[4:5]
	s_cbranch_execnz .LBB136_122
.LBB136_121:
	v_cmp_eq_f32_e32 vcc, s12, v16
	v_cmp_eq_f32_e64 s[4:5], s13, v17
	s_and_b64 s[4:5], vcc, s[4:5]
	s_andn2_b64 s[14:15], s[14:15], exec
	s_and_b64 s[4:5], s[4:5], exec
	s_or_b64 s[14:15], s[14:15], s[4:5]
.LBB136_122:
	v_cndmask_b32_e64 v21, 0, 1, s[14:15]
.LBB136_123:
	s_or_b64 exec, exec, s[10:11]
	v_or_b32_e32 v16, 0x800, v0
	v_cmp_gt_i32_e32 vcc, s33, v16
                                        ; implicit-def: $vgpr16
	s_and_saveexec_b64 s[10:11], vcc
	s_cbranch_execz .LBB136_128
; %bb.124:
	s_and_b64 vcc, exec, s[2:3]
	s_cbranch_vccnz .LBB136_220
; %bb.125:
	v_cmp_neq_f32_e32 vcc, s12, v18
	v_cmp_neq_f32_e64 s[4:5], s13, v19
	s_or_b64 s[14:15], vcc, s[4:5]
	s_cbranch_execnz .LBB136_127
.LBB136_126:
	v_cmp_eq_f32_e32 vcc, s12, v18
	v_cmp_eq_f32_e64 s[4:5], s13, v19
	s_and_b64 s[4:5], vcc, s[4:5]
	s_andn2_b64 s[14:15], s[14:15], exec
	s_and_b64 s[4:5], s[4:5], exec
	s_or_b64 s[14:15], s[14:15], s[4:5]
.LBB136_127:
	v_cndmask_b32_e64 v16, 0, 1, s[14:15]
.LBB136_128:
	s_or_b64 exec, exec, s[10:11]
	v_or_b32_e32 v17, 0x900, v0
	v_cmp_gt_i32_e32 vcc, s33, v17
                                        ; implicit-def: $vgpr17
	s_and_saveexec_b64 s[10:11], vcc
	s_cbranch_execz .LBB136_133
; %bb.129:
	s_and_b64 vcc, exec, s[2:3]
	s_cbranch_vccnz .LBB136_221
; %bb.130:
	v_cmp_neq_f32_e32 vcc, s12, v12
	v_cmp_neq_f32_e64 s[4:5], s13, v13
	s_or_b64 s[14:15], vcc, s[4:5]
	s_cbranch_execnz .LBB136_132
.LBB136_131:
	v_cmp_eq_f32_e32 vcc, s12, v12
	v_cmp_eq_f32_e64 s[4:5], s13, v13
	s_and_b64 s[4:5], vcc, s[4:5]
	s_andn2_b64 s[14:15], s[14:15], exec
	s_and_b64 s[4:5], s[4:5], exec
	s_or_b64 s[14:15], s[14:15], s[4:5]
.LBB136_132:
	v_cndmask_b32_e64 v17, 0, 1, s[14:15]
.LBB136_133:
	s_or_b64 exec, exec, s[10:11]
	v_or_b32_e32 v12, 0xa00, v0
	v_cmp_gt_i32_e32 vcc, s33, v12
                                        ; implicit-def: $vgpr12
	s_and_saveexec_b64 s[10:11], vcc
	s_cbranch_execz .LBB136_138
; %bb.134:
	s_and_b64 vcc, exec, s[2:3]
	s_cbranch_vccnz .LBB136_222
; %bb.135:
	v_cmp_neq_f32_e32 vcc, s12, v14
	v_cmp_neq_f32_e64 s[4:5], s13, v15
	s_or_b64 s[14:15], vcc, s[4:5]
	s_cbranch_execnz .LBB136_137
.LBB136_136:
	v_cmp_eq_f32_e32 vcc, s12, v14
	v_cmp_eq_f32_e64 s[4:5], s13, v15
	s_and_b64 s[4:5], vcc, s[4:5]
	s_andn2_b64 s[14:15], s[14:15], exec
	s_and_b64 s[4:5], s[4:5], exec
	s_or_b64 s[14:15], s[14:15], s[4:5]
.LBB136_137:
	v_cndmask_b32_e64 v12, 0, 1, s[14:15]
.LBB136_138:
	s_or_b64 exec, exec, s[10:11]
	v_or_b32_e32 v13, 0xb00, v0
	v_cmp_gt_i32_e32 vcc, s33, v13
                                        ; implicit-def: $vgpr13
	s_and_saveexec_b64 s[10:11], vcc
	s_cbranch_execz .LBB136_143
; %bb.139:
	s_and_b64 vcc, exec, s[2:3]
	s_cbranch_vccnz .LBB136_223
; %bb.140:
	v_cmp_neq_f32_e32 vcc, s12, v8
	v_cmp_neq_f32_e64 s[4:5], s13, v9
	s_or_b64 s[14:15], vcc, s[4:5]
	s_cbranch_execnz .LBB136_142
.LBB136_141:
	v_cmp_eq_f32_e32 vcc, s12, v8
	v_cmp_eq_f32_e64 s[4:5], s13, v9
	s_and_b64 s[4:5], vcc, s[4:5]
	s_andn2_b64 s[14:15], s[14:15], exec
	s_and_b64 s[4:5], s[4:5], exec
	s_or_b64 s[14:15], s[14:15], s[4:5]
.LBB136_142:
	v_cndmask_b32_e64 v13, 0, 1, s[14:15]
.LBB136_143:
	s_or_b64 exec, exec, s[10:11]
	v_or_b32_e32 v8, 0xc00, v0
	v_cmp_gt_i32_e32 vcc, s33, v8
                                        ; implicit-def: $vgpr8
	s_and_saveexec_b64 s[10:11], vcc
	s_cbranch_execz .LBB136_148
; %bb.144:
	s_and_b64 vcc, exec, s[2:3]
	s_cbranch_vccnz .LBB136_224
; %bb.145:
	v_cmp_neq_f32_e32 vcc, s12, v10
	v_cmp_neq_f32_e64 s[4:5], s13, v11
	s_or_b64 s[14:15], vcc, s[4:5]
	s_cbranch_execnz .LBB136_147
.LBB136_146:
	v_cmp_eq_f32_e32 vcc, s12, v10
	v_cmp_eq_f32_e64 s[4:5], s13, v11
	s_and_b64 s[4:5], vcc, s[4:5]
	s_andn2_b64 s[14:15], s[14:15], exec
	s_and_b64 s[4:5], s[4:5], exec
	s_or_b64 s[14:15], s[14:15], s[4:5]
.LBB136_147:
	v_cndmask_b32_e64 v8, 0, 1, s[14:15]
.LBB136_148:
	s_or_b64 exec, exec, s[10:11]
	v_or_b32_e32 v9, 0xd00, v0
	v_cmp_gt_i32_e32 vcc, s33, v9
                                        ; implicit-def: $vgpr9
	s_and_saveexec_b64 s[10:11], vcc
	s_cbranch_execz .LBB136_153
; %bb.149:
	s_and_b64 vcc, exec, s[2:3]
	s_cbranch_vccnz .LBB136_225
; %bb.150:
	v_cmp_neq_f32_e32 vcc, s12, v4
	v_cmp_neq_f32_e64 s[4:5], s13, v5
	s_or_b64 s[14:15], vcc, s[4:5]
	s_cbranch_execnz .LBB136_152
.LBB136_151:
	v_cmp_eq_f32_e32 vcc, s12, v4
	v_cmp_eq_f32_e64 s[4:5], s13, v5
	s_and_b64 s[4:5], vcc, s[4:5]
	s_andn2_b64 s[14:15], s[14:15], exec
	s_and_b64 s[4:5], s[4:5], exec
	s_or_b64 s[14:15], s[14:15], s[4:5]
.LBB136_152:
	v_cndmask_b32_e64 v9, 0, 1, s[14:15]
.LBB136_153:
	s_or_b64 exec, exec, s[10:11]
	v_or_b32_e32 v4, 0xe00, v0
	v_cmp_gt_i32_e32 vcc, s33, v4
                                        ; implicit-def: $vgpr4
	s_and_saveexec_b64 s[10:11], vcc
	s_cbranch_execz .LBB136_158
; %bb.154:
	s_and_b64 vcc, exec, s[2:3]
	s_cbranch_vccnz .LBB136_226
; %bb.155:
	v_cmp_neq_f32_e32 vcc, s12, v6
	v_cmp_neq_f32_e64 s[4:5], s13, v7
	s_or_b64 s[14:15], vcc, s[4:5]
	s_cbranch_execnz .LBB136_157
.LBB136_156:
	v_cmp_eq_f32_e32 vcc, s12, v6
	v_cmp_eq_f32_e64 s[4:5], s13, v7
	s_and_b64 s[4:5], vcc, s[4:5]
	s_andn2_b64 s[14:15], s[14:15], exec
	s_and_b64 s[4:5], s[4:5], exec
	s_or_b64 s[14:15], s[14:15], s[4:5]
.LBB136_157:
	v_cndmask_b32_e64 v4, 0, 1, s[14:15]
.LBB136_158:
	s_or_b64 exec, exec, s[10:11]
	v_or_b32_e32 v5, 0xf00, v0
	v_cmp_gt_i32_e32 vcc, s33, v5
                                        ; implicit-def: $vgpr5
	s_and_saveexec_b64 s[4:5], vcc
	s_cbranch_execz .LBB136_163
; %bb.159:
	s_and_b64 vcc, exec, s[2:3]
	s_cbranch_vccnz .LBB136_227
; %bb.160:
	v_cmp_neq_f32_e32 vcc, s12, v2
	v_cmp_neq_f32_e64 s[2:3], s13, v3
	s_or_b64 s[10:11], vcc, s[2:3]
	s_cbranch_execnz .LBB136_162
.LBB136_161:
	v_cmp_eq_f32_e32 vcc, s12, v2
	v_cmp_eq_f32_e64 s[2:3], s13, v3
	s_and_b64 s[2:3], vcc, s[2:3]
	s_andn2_b64 s[10:11], s[10:11], exec
	s_and_b64 s[2:3], s[2:3], exec
	s_or_b64 s[10:11], s[10:11], s[2:3]
.LBB136_162:
	v_cndmask_b32_e64 v5, 0, 1, s[10:11]
.LBB136_163:
	s_or_b64 exec, exec, s[4:5]
	s_and_saveexec_b64 s[2:3], s[0:1]
	s_xor_b64 s[0:1], exec, s[2:3]
	s_cbranch_execz .LBB136_165
; %bb.164:
	v_mov_b32_e32 v0, v32
	global_store_byte v1, v34, s[8:9]
.LBB136_165:
	s_or_b64 exec, exec, s[0:1]
	v_cmp_gt_i32_e32 vcc, s33, v0
	s_and_saveexec_b64 s[0:1], vcc
	s_cbranch_execnz .LBB136_181
; %bb.166:
	s_or_b64 exec, exec, s[0:1]
	v_cmp_gt_i32_e32 vcc, s33, v0
	s_and_saveexec_b64 s[0:1], vcc
	s_cbranch_execnz .LBB136_182
.LBB136_167:
	s_or_b64 exec, exec, s[0:1]
	v_cmp_gt_i32_e32 vcc, s33, v0
	s_and_saveexec_b64 s[0:1], vcc
	s_cbranch_execnz .LBB136_183
.LBB136_168:
	s_or_b64 exec, exec, s[0:1]
	v_cmp_gt_i32_e32 vcc, s33, v0
	s_and_saveexec_b64 s[0:1], vcc
	s_cbranch_execnz .LBB136_184
.LBB136_169:
	s_or_b64 exec, exec, s[0:1]
	v_cmp_gt_i32_e32 vcc, s33, v0
	s_and_saveexec_b64 s[0:1], vcc
	s_cbranch_execnz .LBB136_185
.LBB136_170:
	s_or_b64 exec, exec, s[0:1]
	v_cmp_gt_i32_e32 vcc, s33, v0
	s_and_saveexec_b64 s[0:1], vcc
	s_cbranch_execnz .LBB136_186
.LBB136_171:
	s_or_b64 exec, exec, s[0:1]
	v_cmp_gt_i32_e32 vcc, s33, v0
	s_and_saveexec_b64 s[0:1], vcc
	s_cbranch_execnz .LBB136_187
.LBB136_172:
	s_or_b64 exec, exec, s[0:1]
	v_cmp_gt_i32_e32 vcc, s33, v0
	s_and_saveexec_b64 s[0:1], vcc
	s_cbranch_execnz .LBB136_188
.LBB136_173:
	s_or_b64 exec, exec, s[0:1]
	v_cmp_gt_i32_e32 vcc, s33, v0
	s_and_saveexec_b64 s[0:1], vcc
	s_cbranch_execnz .LBB136_189
.LBB136_174:
	s_or_b64 exec, exec, s[0:1]
	v_cmp_gt_i32_e32 vcc, s33, v0
	s_and_saveexec_b64 s[0:1], vcc
	s_cbranch_execnz .LBB136_190
.LBB136_175:
	s_or_b64 exec, exec, s[0:1]
	v_cmp_gt_i32_e32 vcc, s33, v0
	s_and_saveexec_b64 s[0:1], vcc
	s_cbranch_execnz .LBB136_191
.LBB136_176:
	s_or_b64 exec, exec, s[0:1]
	v_cmp_gt_i32_e32 vcc, s33, v0
	s_and_saveexec_b64 s[0:1], vcc
	s_cbranch_execnz .LBB136_192
.LBB136_177:
	s_or_b64 exec, exec, s[0:1]
	v_cmp_gt_i32_e32 vcc, s33, v0
	s_and_saveexec_b64 s[0:1], vcc
	s_cbranch_execnz .LBB136_193
.LBB136_178:
	s_or_b64 exec, exec, s[0:1]
	v_cmp_gt_i32_e32 vcc, s33, v0
	s_and_saveexec_b64 s[0:1], vcc
	s_cbranch_execnz .LBB136_194
.LBB136_179:
	s_or_b64 exec, exec, s[0:1]
	v_cmp_gt_i32_e32 vcc, s33, v0
	s_and_saveexec_b64 s[0:1], vcc
	s_cbranch_execz .LBB136_195
.LBB136_180:
	v_add_u32_e32 v0, s6, v0
	global_store_byte v0, v5, s[8:9]
	s_endpgm
.LBB136_181:
	v_add_u32_e32 v1, s6, v0
	v_add_u32_e32 v0, 0x100, v0
	global_store_byte v1, v33, s[8:9]
	s_or_b64 exec, exec, s[0:1]
	v_cmp_gt_i32_e32 vcc, s33, v0
	s_and_saveexec_b64 s[0:1], vcc
	s_cbranch_execz .LBB136_167
.LBB136_182:
	v_add_u32_e32 v1, s6, v0
	v_add_u32_e32 v0, 0x100, v0
	global_store_byte v1, v28, s[8:9]
	s_or_b64 exec, exec, s[0:1]
	v_cmp_gt_i32_e32 vcc, s33, v0
	s_and_saveexec_b64 s[0:1], vcc
	s_cbranch_execz .LBB136_168
.LBB136_183:
	v_add_u32_e32 v1, s6, v0
	v_add_u32_e32 v0, 0x100, v0
	global_store_byte v1, v29, s[8:9]
	s_or_b64 exec, exec, s[0:1]
	v_cmp_gt_i32_e32 vcc, s33, v0
	s_and_saveexec_b64 s[0:1], vcc
	s_cbranch_execz .LBB136_169
.LBB136_184:
	v_add_u32_e32 v1, s6, v0
	v_add_u32_e32 v0, 0x100, v0
	global_store_byte v1, v24, s[8:9]
	s_or_b64 exec, exec, s[0:1]
	v_cmp_gt_i32_e32 vcc, s33, v0
	s_and_saveexec_b64 s[0:1], vcc
	s_cbranch_execz .LBB136_170
.LBB136_185:
	v_add_u32_e32 v1, s6, v0
	v_add_u32_e32 v0, 0x100, v0
	global_store_byte v1, v25, s[8:9]
	s_or_b64 exec, exec, s[0:1]
	v_cmp_gt_i32_e32 vcc, s33, v0
	s_and_saveexec_b64 s[0:1], vcc
	s_cbranch_execz .LBB136_171
.LBB136_186:
	v_add_u32_e32 v1, s6, v0
	v_add_u32_e32 v0, 0x100, v0
	global_store_byte v1, v20, s[8:9]
	s_or_b64 exec, exec, s[0:1]
	v_cmp_gt_i32_e32 vcc, s33, v0
	s_and_saveexec_b64 s[0:1], vcc
	s_cbranch_execz .LBB136_172
.LBB136_187:
	v_add_u32_e32 v1, s6, v0
	v_add_u32_e32 v0, 0x100, v0
	global_store_byte v1, v21, s[8:9]
	s_or_b64 exec, exec, s[0:1]
	v_cmp_gt_i32_e32 vcc, s33, v0
	s_and_saveexec_b64 s[0:1], vcc
	s_cbranch_execz .LBB136_173
.LBB136_188:
	v_add_u32_e32 v1, s6, v0
	v_add_u32_e32 v0, 0x100, v0
	global_store_byte v1, v16, s[8:9]
	s_or_b64 exec, exec, s[0:1]
	v_cmp_gt_i32_e32 vcc, s33, v0
	s_and_saveexec_b64 s[0:1], vcc
	s_cbranch_execz .LBB136_174
.LBB136_189:
	v_add_u32_e32 v1, s6, v0
	v_add_u32_e32 v0, 0x100, v0
	global_store_byte v1, v17, s[8:9]
	s_or_b64 exec, exec, s[0:1]
	v_cmp_gt_i32_e32 vcc, s33, v0
	s_and_saveexec_b64 s[0:1], vcc
	s_cbranch_execz .LBB136_175
.LBB136_190:
	v_add_u32_e32 v1, s6, v0
	v_add_u32_e32 v0, 0x100, v0
	global_store_byte v1, v12, s[8:9]
	s_or_b64 exec, exec, s[0:1]
	v_cmp_gt_i32_e32 vcc, s33, v0
	s_and_saveexec_b64 s[0:1], vcc
	s_cbranch_execz .LBB136_176
.LBB136_191:
	v_add_u32_e32 v1, s6, v0
	v_add_u32_e32 v0, 0x100, v0
	global_store_byte v1, v13, s[8:9]
	s_or_b64 exec, exec, s[0:1]
	v_cmp_gt_i32_e32 vcc, s33, v0
	s_and_saveexec_b64 s[0:1], vcc
	s_cbranch_execz .LBB136_177
.LBB136_192:
	v_add_u32_e32 v1, s6, v0
	v_add_u32_e32 v0, 0x100, v0
	global_store_byte v1, v8, s[8:9]
	s_or_b64 exec, exec, s[0:1]
	v_cmp_gt_i32_e32 vcc, s33, v0
	s_and_saveexec_b64 s[0:1], vcc
	s_cbranch_execz .LBB136_178
.LBB136_193:
	v_add_u32_e32 v1, s6, v0
	v_add_u32_e32 v0, 0x100, v0
	global_store_byte v1, v9, s[8:9]
	s_or_b64 exec, exec, s[0:1]
	v_cmp_gt_i32_e32 vcc, s33, v0
	s_and_saveexec_b64 s[0:1], vcc
	s_cbranch_execz .LBB136_179
.LBB136_194:
	v_add_u32_e32 v1, s6, v0
	v_add_u32_e32 v0, 0x100, v0
	global_store_byte v1, v4, s[8:9]
	s_or_b64 exec, exec, s[0:1]
	v_cmp_gt_i32_e32 vcc, s33, v0
	s_and_saveexec_b64 s[0:1], vcc
	s_cbranch_execnz .LBB136_180
.LBB136_195:
	s_endpgm
.LBB136_196:
                                        ; implicit-def: $sgpr4_sgpr5
	s_branch .LBB136_3
.LBB136_197:
                                        ; implicit-def: $sgpr14_sgpr15
	s_branch .LBB136_6
.LBB136_198:
                                        ; implicit-def: $sgpr16_sgpr17
	s_branch .LBB136_9
.LBB136_199:
                                        ; implicit-def: $sgpr18_sgpr19
	s_branch .LBB136_12
.LBB136_200:
                                        ; implicit-def: $sgpr20_sgpr21
	s_branch .LBB136_15
.LBB136_201:
                                        ; implicit-def: $sgpr22_sgpr23
	s_branch .LBB136_18
.LBB136_202:
                                        ; implicit-def: $sgpr24_sgpr25
	s_branch .LBB136_21
.LBB136_203:
                                        ; implicit-def: $sgpr26_sgpr27
	s_branch .LBB136_24
.LBB136_204:
                                        ; implicit-def: $sgpr28_sgpr29
	s_branch .LBB136_27
.LBB136_205:
                                        ; implicit-def: $sgpr30_sgpr31
	s_branch .LBB136_30
.LBB136_206:
                                        ; implicit-def: $sgpr34_sgpr35
	s_branch .LBB136_33
.LBB136_207:
                                        ; implicit-def: $sgpr36_sgpr37
	s_branch .LBB136_36
.LBB136_208:
                                        ; implicit-def: $sgpr38_sgpr39
	s_branch .LBB136_39
.LBB136_209:
                                        ; implicit-def: $sgpr40_sgpr41
	s_branch .LBB136_42
.LBB136_210:
                                        ; implicit-def: $sgpr42_sgpr43
	s_branch .LBB136_45
.LBB136_211:
                                        ; implicit-def: $sgpr2_sgpr3
	s_branch .LBB136_48
.LBB136_212:
                                        ; implicit-def: $sgpr14_sgpr15
	s_branch .LBB136_86
.LBB136_213:
                                        ; implicit-def: $sgpr14_sgpr15
	s_branch .LBB136_91
.LBB136_214:
                                        ; implicit-def: $sgpr14_sgpr15
	s_branch .LBB136_96
.LBB136_215:
                                        ; implicit-def: $sgpr14_sgpr15
	s_branch .LBB136_101
.LBB136_216:
                                        ; implicit-def: $sgpr14_sgpr15
	s_branch .LBB136_106
.LBB136_217:
                                        ; implicit-def: $sgpr14_sgpr15
	s_branch .LBB136_111
.LBB136_218:
                                        ; implicit-def: $sgpr14_sgpr15
	s_branch .LBB136_116
.LBB136_219:
                                        ; implicit-def: $sgpr14_sgpr15
	s_branch .LBB136_121
.LBB136_220:
                                        ; implicit-def: $sgpr14_sgpr15
	s_branch .LBB136_126
.LBB136_221:
                                        ; implicit-def: $sgpr14_sgpr15
	s_branch .LBB136_131
.LBB136_222:
                                        ; implicit-def: $sgpr14_sgpr15
	s_branch .LBB136_136
.LBB136_223:
                                        ; implicit-def: $sgpr14_sgpr15
	s_branch .LBB136_141
.LBB136_224:
                                        ; implicit-def: $sgpr14_sgpr15
	s_branch .LBB136_146
.LBB136_225:
                                        ; implicit-def: $sgpr14_sgpr15
	s_branch .LBB136_151
.LBB136_226:
                                        ; implicit-def: $sgpr14_sgpr15
	s_branch .LBB136_156
.LBB136_227:
                                        ; implicit-def: $sgpr10_sgpr11
	s_branch .LBB136_161
	.section	.rodata,"a",@progbits
	.p2align	6, 0x0
	.amdhsa_kernel _ZN2at6native29vectorized_elementwise_kernelILi16ENS0_13AUnaryFunctorIN3c107complexIfEES5_bNS0_12_GLOBAL__N_116CompareEqFunctorIS5_EEEESt5arrayIPcLm2EEEEviT0_T1_
		.amdhsa_group_segment_fixed_size 0
		.amdhsa_private_segment_fixed_size 0
		.amdhsa_kernarg_size 40
		.amdhsa_user_sgpr_count 6
		.amdhsa_user_sgpr_private_segment_buffer 1
		.amdhsa_user_sgpr_dispatch_ptr 0
		.amdhsa_user_sgpr_queue_ptr 0
		.amdhsa_user_sgpr_kernarg_segment_ptr 1
		.amdhsa_user_sgpr_dispatch_id 0
		.amdhsa_user_sgpr_flat_scratch_init 0
		.amdhsa_user_sgpr_private_segment_size 0
		.amdhsa_uses_dynamic_stack 0
		.amdhsa_system_sgpr_private_segment_wavefront_offset 0
		.amdhsa_system_sgpr_workgroup_id_x 1
		.amdhsa_system_sgpr_workgroup_id_y 0
		.amdhsa_system_sgpr_workgroup_id_z 0
		.amdhsa_system_sgpr_workgroup_info 0
		.amdhsa_system_vgpr_workitem_id 0
		.amdhsa_next_free_vgpr 35
		.amdhsa_next_free_sgpr 45
		.amdhsa_reserve_vcc 1
		.amdhsa_reserve_flat_scratch 0
		.amdhsa_float_round_mode_32 0
		.amdhsa_float_round_mode_16_64 0
		.amdhsa_float_denorm_mode_32 3
		.amdhsa_float_denorm_mode_16_64 3
		.amdhsa_dx10_clamp 1
		.amdhsa_ieee_mode 1
		.amdhsa_fp16_overflow 0
		.amdhsa_exception_fp_ieee_invalid_op 0
		.amdhsa_exception_fp_denorm_src 0
		.amdhsa_exception_fp_ieee_div_zero 0
		.amdhsa_exception_fp_ieee_overflow 0
		.amdhsa_exception_fp_ieee_underflow 0
		.amdhsa_exception_fp_ieee_inexact 0
		.amdhsa_exception_int_div_zero 0
	.end_amdhsa_kernel
	.section	.text._ZN2at6native29vectorized_elementwise_kernelILi16ENS0_13AUnaryFunctorIN3c107complexIfEES5_bNS0_12_GLOBAL__N_116CompareEqFunctorIS5_EEEESt5arrayIPcLm2EEEEviT0_T1_,"axG",@progbits,_ZN2at6native29vectorized_elementwise_kernelILi16ENS0_13AUnaryFunctorIN3c107complexIfEES5_bNS0_12_GLOBAL__N_116CompareEqFunctorIS5_EEEESt5arrayIPcLm2EEEEviT0_T1_,comdat
.Lfunc_end136:
	.size	_ZN2at6native29vectorized_elementwise_kernelILi16ENS0_13AUnaryFunctorIN3c107complexIfEES5_bNS0_12_GLOBAL__N_116CompareEqFunctorIS5_EEEESt5arrayIPcLm2EEEEviT0_T1_, .Lfunc_end136-_ZN2at6native29vectorized_elementwise_kernelILi16ENS0_13AUnaryFunctorIN3c107complexIfEES5_bNS0_12_GLOBAL__N_116CompareEqFunctorIS5_EEEESt5arrayIPcLm2EEEEviT0_T1_
                                        ; -- End function
	.set _ZN2at6native29vectorized_elementwise_kernelILi16ENS0_13AUnaryFunctorIN3c107complexIfEES5_bNS0_12_GLOBAL__N_116CompareEqFunctorIS5_EEEESt5arrayIPcLm2EEEEviT0_T1_.num_vgpr, 35
	.set _ZN2at6native29vectorized_elementwise_kernelILi16ENS0_13AUnaryFunctorIN3c107complexIfEES5_bNS0_12_GLOBAL__N_116CompareEqFunctorIS5_EEEESt5arrayIPcLm2EEEEviT0_T1_.num_agpr, 0
	.set _ZN2at6native29vectorized_elementwise_kernelILi16ENS0_13AUnaryFunctorIN3c107complexIfEES5_bNS0_12_GLOBAL__N_116CompareEqFunctorIS5_EEEESt5arrayIPcLm2EEEEviT0_T1_.numbered_sgpr, 45
	.set _ZN2at6native29vectorized_elementwise_kernelILi16ENS0_13AUnaryFunctorIN3c107complexIfEES5_bNS0_12_GLOBAL__N_116CompareEqFunctorIS5_EEEESt5arrayIPcLm2EEEEviT0_T1_.num_named_barrier, 0
	.set _ZN2at6native29vectorized_elementwise_kernelILi16ENS0_13AUnaryFunctorIN3c107complexIfEES5_bNS0_12_GLOBAL__N_116CompareEqFunctorIS5_EEEESt5arrayIPcLm2EEEEviT0_T1_.private_seg_size, 0
	.set _ZN2at6native29vectorized_elementwise_kernelILi16ENS0_13AUnaryFunctorIN3c107complexIfEES5_bNS0_12_GLOBAL__N_116CompareEqFunctorIS5_EEEESt5arrayIPcLm2EEEEviT0_T1_.uses_vcc, 1
	.set _ZN2at6native29vectorized_elementwise_kernelILi16ENS0_13AUnaryFunctorIN3c107complexIfEES5_bNS0_12_GLOBAL__N_116CompareEqFunctorIS5_EEEESt5arrayIPcLm2EEEEviT0_T1_.uses_flat_scratch, 0
	.set _ZN2at6native29vectorized_elementwise_kernelILi16ENS0_13AUnaryFunctorIN3c107complexIfEES5_bNS0_12_GLOBAL__N_116CompareEqFunctorIS5_EEEESt5arrayIPcLm2EEEEviT0_T1_.has_dyn_sized_stack, 0
	.set _ZN2at6native29vectorized_elementwise_kernelILi16ENS0_13AUnaryFunctorIN3c107complexIfEES5_bNS0_12_GLOBAL__N_116CompareEqFunctorIS5_EEEESt5arrayIPcLm2EEEEviT0_T1_.has_recursion, 0
	.set _ZN2at6native29vectorized_elementwise_kernelILi16ENS0_13AUnaryFunctorIN3c107complexIfEES5_bNS0_12_GLOBAL__N_116CompareEqFunctorIS5_EEEESt5arrayIPcLm2EEEEviT0_T1_.has_indirect_call, 0
	.section	.AMDGPU.csdata,"",@progbits
; Kernel info:
; codeLenInByte = 4856
; TotalNumSgprs: 49
; NumVgprs: 35
; ScratchSize: 0
; MemoryBound: 1
; FloatMode: 240
; IeeeMode: 1
; LDSByteSize: 0 bytes/workgroup (compile time only)
; SGPRBlocks: 6
; VGPRBlocks: 8
; NumSGPRsForWavesPerEU: 49
; NumVGPRsForWavesPerEU: 35
; Occupancy: 7
; WaveLimiterHint : 0
; COMPUTE_PGM_RSRC2:SCRATCH_EN: 0
; COMPUTE_PGM_RSRC2:USER_SGPR: 6
; COMPUTE_PGM_RSRC2:TRAP_HANDLER: 0
; COMPUTE_PGM_RSRC2:TGID_X_EN: 1
; COMPUTE_PGM_RSRC2:TGID_Y_EN: 0
; COMPUTE_PGM_RSRC2:TGID_Z_EN: 0
; COMPUTE_PGM_RSRC2:TIDIG_COMP_CNT: 0
	.section	.text._ZN2at6native29vectorized_elementwise_kernelILi8ENS0_13AUnaryFunctorIN3c107complexIfEES5_bNS0_12_GLOBAL__N_116CompareEqFunctorIS5_EEEESt5arrayIPcLm2EEEEviT0_T1_,"axG",@progbits,_ZN2at6native29vectorized_elementwise_kernelILi8ENS0_13AUnaryFunctorIN3c107complexIfEES5_bNS0_12_GLOBAL__N_116CompareEqFunctorIS5_EEEESt5arrayIPcLm2EEEEviT0_T1_,comdat
	.globl	_ZN2at6native29vectorized_elementwise_kernelILi8ENS0_13AUnaryFunctorIN3c107complexIfEES5_bNS0_12_GLOBAL__N_116CompareEqFunctorIS5_EEEESt5arrayIPcLm2EEEEviT0_T1_ ; -- Begin function _ZN2at6native29vectorized_elementwise_kernelILi8ENS0_13AUnaryFunctorIN3c107complexIfEES5_bNS0_12_GLOBAL__N_116CompareEqFunctorIS5_EEEESt5arrayIPcLm2EEEEviT0_T1_
	.p2align	8
	.type	_ZN2at6native29vectorized_elementwise_kernelILi8ENS0_13AUnaryFunctorIN3c107complexIfEES5_bNS0_12_GLOBAL__N_116CompareEqFunctorIS5_EEEESt5arrayIPcLm2EEEEviT0_T1_,@function
_ZN2at6native29vectorized_elementwise_kernelILi8ENS0_13AUnaryFunctorIN3c107complexIfEES5_bNS0_12_GLOBAL__N_116CompareEqFunctorIS5_EEEESt5arrayIPcLm2EEEEviT0_T1_: ; @_ZN2at6native29vectorized_elementwise_kernelILi8ENS0_13AUnaryFunctorIN3c107complexIfEES5_bNS0_12_GLOBAL__N_116CompareEqFunctorIS5_EEEESt5arrayIPcLm2EEEEviT0_T1_
; %bb.0:
	s_load_dword s0, s[4:5], 0x0
	s_load_dword s44, s[4:5], 0x8
	s_load_dwordx2 s[12:13], s[4:5], 0x10
	s_load_dwordx4 s[8:11], s[4:5], 0x18
	s_lshl_b32 s6, s6, 12
	s_waitcnt lgkmcnt(0)
	s_sub_i32 s33, s0, s6
	s_cmpk_gt_i32 s33, 0xfff
	s_mov_b64 s[0:1], -1
	s_cbranch_scc0 .LBB137_50
; %bb.1:
	s_ashr_i32 s7, s6, 31
	s_lshl_b64 s[0:1], s[6:7], 3
	s_add_u32 s0, s10, s0
	s_addc_u32 s1, s11, s1
	v_lshlrev_b32_e32 v1, 6, v0
	v_mov_b32_e32 v2, s1
	v_add_co_u32_e32 v3, vcc, s0, v1
	v_addc_co_u32_e32 v2, vcc, 0, v2, vcc
	global_load_dwordx4 v[17:20], v1, s[0:1] offset:48
	global_load_dwordx4 v[21:24], v1, s[0:1] offset:32
	;; [unrolled: 1-line block ×3, first 2 shown]
	global_load_dwordx4 v[29:32], v1, s[0:1]
	s_movk_i32 s0, 0x4000
	v_add_co_u32_e32 v33, vcc, s0, v3
	v_addc_co_u32_e32 v34, vcc, 0, v2, vcc
	v_add_co_u32_e32 v5, vcc, 0x4000, v3
	v_addc_co_u32_e32 v6, vcc, 0, v2, vcc
	global_load_dwordx4 v[13:16], v[5:6], off
	global_load_dwordx4 v[1:4], v[33:34], off offset:48
	s_nop 0
	global_load_dwordx4 v[5:8], v[33:34], off offset:32
	global_load_dwordx4 v[9:12], v[33:34], off offset:16
	s_cmp_lg_u32 s44, 0
	s_cselect_b64 s[2:3], -1, 0
	s_and_b64 vcc, exec, s[2:3]
	s_cbranch_vccz .LBB137_196
; %bb.2:
	s_waitcnt vmcnt(4)
	v_cmp_neq_f32_e32 vcc, s12, v29
	v_cmp_neq_f32_e64 s[0:1], s13, v30
	s_or_b64 s[4:5], vcc, s[0:1]
	s_cbranch_execnz .LBB137_4
.LBB137_3:
	s_waitcnt vmcnt(4)
	v_cmp_eq_f32_e32 vcc, s12, v29
	v_cmp_eq_f32_e64 s[0:1], s13, v30
	s_and_b64 s[0:1], vcc, s[0:1]
	s_andn2_b64 s[4:5], s[4:5], exec
	s_and_b64 s[0:1], s[0:1], exec
	s_or_b64 s[4:5], s[4:5], s[0:1]
.LBB137_4:
	s_waitcnt vmcnt(4)
	v_cndmask_b32_e64 v29, 0, 1, s[2:3]
	v_cmp_ne_u32_e64 s[0:1], 1, v29
	s_andn2_b64 vcc, exec, s[2:3]
	s_cbranch_vccnz .LBB137_197
; %bb.5:
	v_cmp_neq_f32_e32 vcc, s12, v31
	v_cmp_neq_f32_e64 s[2:3], s13, v32
	s_or_b64 s[14:15], vcc, s[2:3]
	s_cbranch_execnz .LBB137_7
.LBB137_6:
	v_cmp_eq_f32_e32 vcc, s12, v31
	v_cmp_eq_f32_e64 s[2:3], s13, v32
	s_and_b64 s[2:3], vcc, s[2:3]
	s_andn2_b64 s[14:15], s[14:15], exec
	s_and_b64 s[2:3], s[2:3], exec
	s_or_b64 s[14:15], s[14:15], s[2:3]
.LBB137_7:
	s_and_b64 vcc, exec, s[0:1]
	s_cbranch_vccnz .LBB137_198
; %bb.8:
	v_cmp_neq_f32_e32 vcc, s12, v25
	v_cmp_neq_f32_e64 s[2:3], s13, v26
	s_or_b64 s[16:17], vcc, s[2:3]
	s_cbranch_execnz .LBB137_10
.LBB137_9:
	v_cmp_eq_f32_e32 vcc, s12, v25
	v_cmp_eq_f32_e64 s[2:3], s13, v26
	s_and_b64 s[2:3], vcc, s[2:3]
	s_andn2_b64 s[16:17], s[16:17], exec
	s_and_b64 s[2:3], s[2:3], exec
	s_or_b64 s[16:17], s[16:17], s[2:3]
.LBB137_10:
	s_and_b64 vcc, exec, s[0:1]
	s_cbranch_vccnz .LBB137_199
; %bb.11:
	v_cmp_neq_f32_e32 vcc, s12, v27
	v_cmp_neq_f32_e64 s[2:3], s13, v28
	s_or_b64 s[18:19], vcc, s[2:3]
	s_cbranch_execnz .LBB137_13
.LBB137_12:
	v_cmp_eq_f32_e32 vcc, s12, v27
	v_cmp_eq_f32_e64 s[2:3], s13, v28
	s_and_b64 s[2:3], vcc, s[2:3]
	s_andn2_b64 s[18:19], s[18:19], exec
	s_and_b64 s[2:3], s[2:3], exec
	s_or_b64 s[18:19], s[18:19], s[2:3]
.LBB137_13:
	s_and_b64 vcc, exec, s[0:1]
	s_cbranch_vccnz .LBB137_200
; %bb.14:
	v_cmp_neq_f32_e32 vcc, s12, v21
	v_cmp_neq_f32_e64 s[2:3], s13, v22
	s_or_b64 s[20:21], vcc, s[2:3]
	s_cbranch_execnz .LBB137_16
.LBB137_15:
	v_cmp_eq_f32_e32 vcc, s12, v21
	v_cmp_eq_f32_e64 s[2:3], s13, v22
	s_and_b64 s[2:3], vcc, s[2:3]
	s_andn2_b64 s[20:21], s[20:21], exec
	s_and_b64 s[2:3], s[2:3], exec
	s_or_b64 s[20:21], s[20:21], s[2:3]
.LBB137_16:
	s_and_b64 vcc, exec, s[0:1]
	s_cbranch_vccnz .LBB137_201
; %bb.17:
	v_cmp_neq_f32_e32 vcc, s12, v23
	v_cmp_neq_f32_e64 s[2:3], s13, v24
	s_or_b64 s[22:23], vcc, s[2:3]
	s_cbranch_execnz .LBB137_19
.LBB137_18:
	v_cmp_eq_f32_e32 vcc, s12, v23
	v_cmp_eq_f32_e64 s[2:3], s13, v24
	s_and_b64 s[2:3], vcc, s[2:3]
	s_andn2_b64 s[22:23], s[22:23], exec
	s_and_b64 s[2:3], s[2:3], exec
	s_or_b64 s[22:23], s[22:23], s[2:3]
.LBB137_19:
	s_and_b64 vcc, exec, s[0:1]
	s_cbranch_vccnz .LBB137_202
; %bb.20:
	v_cmp_neq_f32_e32 vcc, s12, v17
	v_cmp_neq_f32_e64 s[2:3], s13, v18
	s_or_b64 s[24:25], vcc, s[2:3]
	s_cbranch_execnz .LBB137_22
.LBB137_21:
	v_cmp_eq_f32_e32 vcc, s12, v17
	v_cmp_eq_f32_e64 s[2:3], s13, v18
	s_and_b64 s[2:3], vcc, s[2:3]
	s_andn2_b64 s[24:25], s[24:25], exec
	s_and_b64 s[2:3], s[2:3], exec
	s_or_b64 s[24:25], s[24:25], s[2:3]
.LBB137_22:
	s_and_b64 vcc, exec, s[0:1]
	s_cbranch_vccnz .LBB137_203
; %bb.23:
	v_cmp_neq_f32_e32 vcc, s12, v19
	v_cmp_neq_f32_e64 s[2:3], s13, v20
	s_or_b64 s[26:27], vcc, s[2:3]
	s_cbranch_execnz .LBB137_25
.LBB137_24:
	v_cmp_eq_f32_e32 vcc, s12, v19
	v_cmp_eq_f32_e64 s[2:3], s13, v20
	s_and_b64 s[2:3], vcc, s[2:3]
	s_andn2_b64 s[26:27], s[26:27], exec
	s_and_b64 s[2:3], s[2:3], exec
	s_or_b64 s[26:27], s[26:27], s[2:3]
.LBB137_25:
	s_and_b64 vcc, exec, s[0:1]
	s_cbranch_vccnz .LBB137_204
; %bb.26:
	s_waitcnt vmcnt(3)
	v_cmp_neq_f32_e32 vcc, s12, v13
	v_cmp_neq_f32_e64 s[2:3], s13, v14
	s_or_b64 s[28:29], vcc, s[2:3]
	s_cbranch_execnz .LBB137_28
.LBB137_27:
	s_waitcnt vmcnt(3)
	v_cmp_eq_f32_e32 vcc, s12, v13
	v_cmp_eq_f32_e64 s[2:3], s13, v14
	s_and_b64 s[2:3], vcc, s[2:3]
	s_andn2_b64 s[28:29], s[28:29], exec
	s_and_b64 s[2:3], s[2:3], exec
	s_or_b64 s[28:29], s[28:29], s[2:3]
.LBB137_28:
	s_and_b64 vcc, exec, s[0:1]
	s_cbranch_vccnz .LBB137_205
; %bb.29:
	s_waitcnt vmcnt(3)
	v_cmp_neq_f32_e32 vcc, s12, v15
	v_cmp_neq_f32_e64 s[2:3], s13, v16
	s_or_b64 s[30:31], vcc, s[2:3]
	s_cbranch_execnz .LBB137_31
.LBB137_30:
	s_waitcnt vmcnt(3)
	v_cmp_eq_f32_e32 vcc, s12, v15
	v_cmp_eq_f32_e64 s[2:3], s13, v16
	s_and_b64 s[2:3], vcc, s[2:3]
	s_andn2_b64 s[30:31], s[30:31], exec
	s_and_b64 s[2:3], s[2:3], exec
	s_or_b64 s[30:31], s[30:31], s[2:3]
.LBB137_31:
	s_and_b64 vcc, exec, s[0:1]
	s_cbranch_vccnz .LBB137_206
; %bb.32:
	s_waitcnt vmcnt(0)
	v_cmp_neq_f32_e32 vcc, s12, v9
	v_cmp_neq_f32_e64 s[2:3], s13, v10
	s_or_b64 s[34:35], vcc, s[2:3]
	s_cbranch_execnz .LBB137_34
.LBB137_33:
	s_waitcnt vmcnt(0)
	v_cmp_eq_f32_e32 vcc, s12, v9
	v_cmp_eq_f32_e64 s[2:3], s13, v10
	s_and_b64 s[2:3], vcc, s[2:3]
	s_andn2_b64 s[34:35], s[34:35], exec
	s_and_b64 s[2:3], s[2:3], exec
	s_or_b64 s[34:35], s[34:35], s[2:3]
.LBB137_34:
	s_and_b64 vcc, exec, s[0:1]
	s_cbranch_vccnz .LBB137_207
; %bb.35:
	s_waitcnt vmcnt(0)
	v_cmp_neq_f32_e32 vcc, s12, v11
	v_cmp_neq_f32_e64 s[2:3], s13, v12
	s_or_b64 s[36:37], vcc, s[2:3]
	s_cbranch_execnz .LBB137_37
.LBB137_36:
	s_waitcnt vmcnt(0)
	v_cmp_eq_f32_e32 vcc, s12, v11
	v_cmp_eq_f32_e64 s[2:3], s13, v12
	s_and_b64 s[2:3], vcc, s[2:3]
	s_andn2_b64 s[36:37], s[36:37], exec
	s_and_b64 s[2:3], s[2:3], exec
	s_or_b64 s[36:37], s[36:37], s[2:3]
.LBB137_37:
	s_and_b64 vcc, exec, s[0:1]
	s_cbranch_vccnz .LBB137_208
; %bb.38:
	s_waitcnt vmcnt(1)
	v_cmp_neq_f32_e32 vcc, s12, v5
	v_cmp_neq_f32_e64 s[2:3], s13, v6
	s_or_b64 s[38:39], vcc, s[2:3]
	s_cbranch_execnz .LBB137_40
.LBB137_39:
	s_waitcnt vmcnt(1)
	v_cmp_eq_f32_e32 vcc, s12, v5
	v_cmp_eq_f32_e64 s[2:3], s13, v6
	s_and_b64 s[2:3], vcc, s[2:3]
	s_andn2_b64 s[38:39], s[38:39], exec
	s_and_b64 s[2:3], s[2:3], exec
	s_or_b64 s[38:39], s[38:39], s[2:3]
.LBB137_40:
	s_and_b64 vcc, exec, s[0:1]
	s_cbranch_vccnz .LBB137_209
; %bb.41:
	s_waitcnt vmcnt(1)
	v_cmp_neq_f32_e32 vcc, s12, v7
	v_cmp_neq_f32_e64 s[2:3], s13, v8
	s_or_b64 s[40:41], vcc, s[2:3]
	s_cbranch_execnz .LBB137_43
.LBB137_42:
	s_waitcnt vmcnt(1)
	v_cmp_eq_f32_e32 vcc, s12, v7
	v_cmp_eq_f32_e64 s[2:3], s13, v8
	s_and_b64 s[2:3], vcc, s[2:3]
	s_andn2_b64 s[40:41], s[40:41], exec
	s_and_b64 s[2:3], s[2:3], exec
	s_or_b64 s[40:41], s[40:41], s[2:3]
.LBB137_43:
	s_and_b64 vcc, exec, s[0:1]
	s_cbranch_vccnz .LBB137_210
; %bb.44:
	s_waitcnt vmcnt(2)
	v_cmp_neq_f32_e32 vcc, s12, v1
	v_cmp_neq_f32_e64 s[2:3], s13, v2
	s_or_b64 s[42:43], vcc, s[2:3]
	s_cbranch_execnz .LBB137_46
.LBB137_45:
	s_waitcnt vmcnt(2)
	v_cmp_eq_f32_e32 vcc, s12, v1
	v_cmp_eq_f32_e64 s[2:3], s13, v2
	s_and_b64 s[2:3], vcc, s[2:3]
	s_andn2_b64 s[42:43], s[42:43], exec
	s_and_b64 s[2:3], s[2:3], exec
	s_or_b64 s[42:43], s[42:43], s[2:3]
.LBB137_46:
	s_and_b64 vcc, exec, s[0:1]
	s_cbranch_vccnz .LBB137_211
; %bb.47:
	s_waitcnt vmcnt(2)
	v_cmp_neq_f32_e32 vcc, s12, v3
	v_cmp_neq_f32_e64 s[0:1], s13, v4
	s_or_b64 s[2:3], vcc, s[0:1]
	s_cbranch_execnz .LBB137_49
.LBB137_48:
	s_waitcnt vmcnt(2)
	v_cmp_eq_f32_e32 vcc, s12, v3
	v_cmp_eq_f32_e64 s[0:1], s13, v4
	s_and_b64 s[0:1], vcc, s[0:1]
	s_andn2_b64 s[2:3], s[2:3], exec
	s_and_b64 s[0:1], s[0:1], exec
	s_or_b64 s[2:3], s[2:3], s[0:1]
.LBB137_49:
	s_waitcnt vmcnt(2)
	v_mov_b32_e32 v1, 0x100
	v_cndmask_b32_e64 v2, 0, v1, s[30:31]
	v_cndmask_b32_e64 v3, 0, 1, s[28:29]
	v_or_b32_e32 v2, v2, v3
	v_mov_b32_e32 v3, 0x10000
	s_waitcnt vmcnt(1)
	v_mov_b32_e32 v5, 0x1000000
	v_cndmask_b32_e64 v4, 0, v3, s[34:35]
	v_cndmask_b32_e64 v6, 0, v5, s[36:37]
	v_or3_b32 v7, 0, 0, 0
	v_or3_b32 v2, v2, v4, v6
	v_cndmask_b32_e64 v4, 0, 1, s[38:39]
	v_cndmask_b32_e64 v6, 0, v1, s[40:41]
	v_or3_b32 v4, v7, v4, v6
	v_or3_b32 v6, v2, 0, 0
	v_cndmask_b32_e64 v2, 0, v1, s[14:15]
	s_waitcnt vmcnt(0)
	v_cndmask_b32_e64 v9, 0, 1, s[4:5]
	v_or_b32_e32 v2, v2, v9
	v_cndmask_b32_e64 v9, 0, v3, s[16:17]
	v_cndmask_b32_e64 v10, 0, v5, s[18:19]
	v_or3_b32 v2, v2, v9, v10
	v_cndmask_b32_e64 v9, 0, 1, s[20:21]
	v_cndmask_b32_e64 v1, 0, v1, s[22:23]
	;; [unrolled: 1-line block ×3, first 2 shown]
	v_or3_b32 v1, v7, v9, v1
	v_or3_b32 v7, v2, 0, 0
	v_cndmask_b32_e64 v2, 0, v3, s[24:25]
	v_cndmask_b32_e64 v3, 0, v5, s[26:27]
	s_add_u32 s0, s8, s6
	v_or3_b32 v2, v1, v2, v3
	v_or3_b32 v1, v7, 0, 0
	v_cndmask_b32_e64 v3, 0, v5, s[2:3]
	s_addc_u32 s1, s9, s7
	v_lshlrev_b32_e32 v5, 3, v0
	v_or3_b32 v4, v4, v8, v3
	v_or3_b32 v3, v6, 0, 0
	global_store_dwordx2 v5, v[1:2], s[0:1]
	global_store_dwordx2 v5, v[3:4], s[0:1] offset:2048
	s_mov_b64 s[0:1], 0
.LBB137_50:
	s_and_b64 vcc, exec, s[0:1]
	s_cbranch_vccz .LBB137_195
; %bb.51:
	v_cmp_gt_i32_e64 s[0:1], s33, v0
	v_mov_b32_e32 v29, 0
	v_or_b32_e32 v1, s6, v0
	v_mov_b32_e32 v33, 0
	v_mov_b32_e32 v32, 0
	;; [unrolled: 1-line block ×3, first 2 shown]
	s_and_saveexec_b64 s[2:3], s[0:1]
	s_cbranch_execz .LBB137_53
; %bb.52:
	v_mov_b32_e32 v2, 0
	v_lshlrev_b64 v[2:3], 3, v[1:2]
	v_mov_b32_e32 v4, s11
	v_add_co_u32_e32 v2, vcc, s10, v2
	v_addc_co_u32_e32 v3, vcc, v4, v3, vcc
	global_load_dwordx2 v[32:33], v[2:3], off
	v_or_b32_e32 v34, 0x100, v0
.LBB137_53:
	s_or_b64 exec, exec, s[2:3]
	v_cmp_gt_i32_e32 vcc, s33, v34
	v_mov_b32_e32 v28, 0
	s_and_saveexec_b64 s[2:3], vcc
	s_cbranch_execz .LBB137_55
; %bb.54:
	v_add_u32_e32 v2, s6, v34
	v_mov_b32_e32 v3, 0
	v_lshlrev_b64 v[2:3], 3, v[2:3]
	v_mov_b32_e32 v4, s11
	v_add_co_u32_e32 v2, vcc, s10, v2
	v_addc_co_u32_e32 v3, vcc, v4, v3, vcc
	global_load_dwordx2 v[28:29], v[2:3], off
	v_add_u32_e32 v34, 0x100, v34
.LBB137_55:
	s_or_b64 exec, exec, s[2:3]
	v_cmp_gt_i32_e32 vcc, s33, v34
	v_mov_b32_e32 v25, 0
	v_mov_b32_e32 v31, 0
	v_mov_b32_e32 v30, 0
	s_and_saveexec_b64 s[2:3], vcc
	s_cbranch_execz .LBB137_57
; %bb.56:
	v_add_u32_e32 v2, s6, v34
	v_mov_b32_e32 v3, 0
	v_lshlrev_b64 v[2:3], 3, v[2:3]
	v_mov_b32_e32 v4, s11
	v_add_co_u32_e32 v2, vcc, s10, v2
	v_addc_co_u32_e32 v3, vcc, v4, v3, vcc
	global_load_dwordx2 v[30:31], v[2:3], off
	v_add_u32_e32 v34, 0x100, v34
.LBB137_57:
	s_or_b64 exec, exec, s[2:3]
	v_cmp_gt_i32_e32 vcc, s33, v34
	v_mov_b32_e32 v24, 0
	s_and_saveexec_b64 s[2:3], vcc
	s_cbranch_execz .LBB137_59
; %bb.58:
	v_add_u32_e32 v2, s6, v34
	v_mov_b32_e32 v3, 0
	v_lshlrev_b64 v[2:3], 3, v[2:3]
	v_mov_b32_e32 v4, s11
	v_add_co_u32_e32 v2, vcc, s10, v2
	v_addc_co_u32_e32 v3, vcc, v4, v3, vcc
	global_load_dwordx2 v[24:25], v[2:3], off
	v_add_u32_e32 v34, 0x100, v34
.LBB137_59:
	s_or_b64 exec, exec, s[2:3]
	v_cmp_gt_i32_e32 vcc, s33, v34
	v_mov_b32_e32 v21, 0
	v_mov_b32_e32 v27, 0
	v_mov_b32_e32 v26, 0
	s_and_saveexec_b64 s[2:3], vcc
	s_cbranch_execz .LBB137_61
; %bb.60:
	v_add_u32_e32 v2, s6, v34
	v_mov_b32_e32 v3, 0
	v_lshlrev_b64 v[2:3], 3, v[2:3]
	v_mov_b32_e32 v4, s11
	v_add_co_u32_e32 v2, vcc, s10, v2
	v_addc_co_u32_e32 v3, vcc, v4, v3, vcc
	global_load_dwordx2 v[26:27], v[2:3], off
	v_add_u32_e32 v34, 0x100, v34
.LBB137_61:
	;; [unrolled: 32-line block ×7, first 2 shown]
	s_or_b64 exec, exec, s[2:3]
	v_cmp_gt_i32_e32 vcc, s33, v34
	v_mov_b32_e32 v2, 0
	s_and_saveexec_b64 s[2:3], vcc
	s_cbranch_execz .LBB137_83
; %bb.82:
	v_add_u32_e32 v2, s6, v34
	v_mov_b32_e32 v3, 0
	v_lshlrev_b64 v[2:3], 3, v[2:3]
	v_mov_b32_e32 v34, s11
	v_add_co_u32_e32 v2, vcc, s10, v2
	v_addc_co_u32_e32 v3, vcc, v34, v3, vcc
	global_load_dwordx2 v[2:3], v[2:3], off
.LBB137_83:
	s_or_b64 exec, exec, s[2:3]
	s_cmp_lg_u32 s44, 0
	s_cselect_b64 s[4:5], -1, 0
                                        ; implicit-def: $vgpr34
	s_and_saveexec_b64 s[10:11], s[0:1]
	s_cbranch_execz .LBB137_88
; %bb.84:
	s_and_b64 vcc, exec, s[4:5]
	s_cbranch_vccz .LBB137_212
; %bb.85:
	s_waitcnt vmcnt(0)
	v_cmp_neq_f32_e32 vcc, s12, v32
	v_cmp_neq_f32_e64 s[2:3], s13, v33
	s_or_b64 s[14:15], vcc, s[2:3]
	s_cbranch_execnz .LBB137_87
.LBB137_86:
	s_waitcnt vmcnt(0)
	v_cmp_eq_f32_e32 vcc, s12, v32
	v_cmp_eq_f32_e64 s[2:3], s13, v33
	s_and_b64 s[2:3], vcc, s[2:3]
	s_andn2_b64 s[14:15], s[14:15], exec
	s_and_b64 s[2:3], s[2:3], exec
	s_or_b64 s[14:15], s[14:15], s[2:3]
.LBB137_87:
	v_cndmask_b32_e64 v34, 0, 1, s[14:15]
.LBB137_88:
	s_or_b64 exec, exec, s[10:11]
	s_waitcnt vmcnt(0)
	v_or_b32_e32 v32, 0x100, v0
	v_cndmask_b32_e64 v33, 0, 1, s[4:5]
	v_cmp_gt_i32_e32 vcc, s33, v32
	v_cmp_ne_u32_e64 s[2:3], 1, v33
                                        ; implicit-def: $vgpr33
	s_and_saveexec_b64 s[10:11], vcc
	s_cbranch_execz .LBB137_93
; %bb.89:
	s_and_b64 vcc, exec, s[2:3]
	s_cbranch_vccnz .LBB137_213
; %bb.90:
	v_cmp_neq_f32_e32 vcc, s12, v28
	v_cmp_neq_f32_e64 s[4:5], s13, v29
	s_or_b64 s[14:15], vcc, s[4:5]
	s_cbranch_execnz .LBB137_92
.LBB137_91:
	v_cmp_eq_f32_e32 vcc, s12, v28
	v_cmp_eq_f32_e64 s[4:5], s13, v29
	s_and_b64 s[4:5], vcc, s[4:5]
	s_andn2_b64 s[14:15], s[14:15], exec
	s_and_b64 s[4:5], s[4:5], exec
	s_or_b64 s[14:15], s[14:15], s[4:5]
.LBB137_92:
	v_cndmask_b32_e64 v33, 0, 1, s[14:15]
.LBB137_93:
	s_or_b64 exec, exec, s[10:11]
	v_or_b32_e32 v28, 0x200, v0
	v_cmp_gt_i32_e32 vcc, s33, v28
                                        ; implicit-def: $vgpr28
	s_and_saveexec_b64 s[10:11], vcc
	s_cbranch_execz .LBB137_98
; %bb.94:
	s_and_b64 vcc, exec, s[2:3]
	s_cbranch_vccnz .LBB137_214
; %bb.95:
	v_cmp_neq_f32_e32 vcc, s12, v30
	v_cmp_neq_f32_e64 s[4:5], s13, v31
	s_or_b64 s[14:15], vcc, s[4:5]
	s_cbranch_execnz .LBB137_97
.LBB137_96:
	v_cmp_eq_f32_e32 vcc, s12, v30
	v_cmp_eq_f32_e64 s[4:5], s13, v31
	s_and_b64 s[4:5], vcc, s[4:5]
	s_andn2_b64 s[14:15], s[14:15], exec
	s_and_b64 s[4:5], s[4:5], exec
	s_or_b64 s[14:15], s[14:15], s[4:5]
.LBB137_97:
	v_cndmask_b32_e64 v28, 0, 1, s[14:15]
.LBB137_98:
	s_or_b64 exec, exec, s[10:11]
	v_or_b32_e32 v29, 0x300, v0
	v_cmp_gt_i32_e32 vcc, s33, v29
                                        ; implicit-def: $vgpr29
	s_and_saveexec_b64 s[10:11], vcc
	s_cbranch_execz .LBB137_103
; %bb.99:
	s_and_b64 vcc, exec, s[2:3]
	s_cbranch_vccnz .LBB137_215
; %bb.100:
	v_cmp_neq_f32_e32 vcc, s12, v24
	v_cmp_neq_f32_e64 s[4:5], s13, v25
	s_or_b64 s[14:15], vcc, s[4:5]
	s_cbranch_execnz .LBB137_102
.LBB137_101:
	v_cmp_eq_f32_e32 vcc, s12, v24
	v_cmp_eq_f32_e64 s[4:5], s13, v25
	s_and_b64 s[4:5], vcc, s[4:5]
	s_andn2_b64 s[14:15], s[14:15], exec
	s_and_b64 s[4:5], s[4:5], exec
	s_or_b64 s[14:15], s[14:15], s[4:5]
.LBB137_102:
	v_cndmask_b32_e64 v29, 0, 1, s[14:15]
.LBB137_103:
	s_or_b64 exec, exec, s[10:11]
	v_or_b32_e32 v24, 0x400, v0
	v_cmp_gt_i32_e32 vcc, s33, v24
                                        ; implicit-def: $vgpr24
	s_and_saveexec_b64 s[10:11], vcc
	s_cbranch_execz .LBB137_108
; %bb.104:
	s_and_b64 vcc, exec, s[2:3]
	s_cbranch_vccnz .LBB137_216
; %bb.105:
	v_cmp_neq_f32_e32 vcc, s12, v26
	v_cmp_neq_f32_e64 s[4:5], s13, v27
	s_or_b64 s[14:15], vcc, s[4:5]
	s_cbranch_execnz .LBB137_107
.LBB137_106:
	v_cmp_eq_f32_e32 vcc, s12, v26
	v_cmp_eq_f32_e64 s[4:5], s13, v27
	s_and_b64 s[4:5], vcc, s[4:5]
	s_andn2_b64 s[14:15], s[14:15], exec
	s_and_b64 s[4:5], s[4:5], exec
	s_or_b64 s[14:15], s[14:15], s[4:5]
.LBB137_107:
	v_cndmask_b32_e64 v24, 0, 1, s[14:15]
.LBB137_108:
	s_or_b64 exec, exec, s[10:11]
	v_or_b32_e32 v25, 0x500, v0
	v_cmp_gt_i32_e32 vcc, s33, v25
                                        ; implicit-def: $vgpr25
	s_and_saveexec_b64 s[10:11], vcc
	s_cbranch_execz .LBB137_113
; %bb.109:
	s_and_b64 vcc, exec, s[2:3]
	s_cbranch_vccnz .LBB137_217
; %bb.110:
	v_cmp_neq_f32_e32 vcc, s12, v20
	v_cmp_neq_f32_e64 s[4:5], s13, v21
	s_or_b64 s[14:15], vcc, s[4:5]
	s_cbranch_execnz .LBB137_112
.LBB137_111:
	v_cmp_eq_f32_e32 vcc, s12, v20
	v_cmp_eq_f32_e64 s[4:5], s13, v21
	s_and_b64 s[4:5], vcc, s[4:5]
	s_andn2_b64 s[14:15], s[14:15], exec
	s_and_b64 s[4:5], s[4:5], exec
	s_or_b64 s[14:15], s[14:15], s[4:5]
.LBB137_112:
	v_cndmask_b32_e64 v25, 0, 1, s[14:15]
.LBB137_113:
	s_or_b64 exec, exec, s[10:11]
	v_or_b32_e32 v20, 0x600, v0
	v_cmp_gt_i32_e32 vcc, s33, v20
                                        ; implicit-def: $vgpr20
	s_and_saveexec_b64 s[10:11], vcc
	s_cbranch_execz .LBB137_118
; %bb.114:
	s_and_b64 vcc, exec, s[2:3]
	s_cbranch_vccnz .LBB137_218
; %bb.115:
	v_cmp_neq_f32_e32 vcc, s12, v22
	v_cmp_neq_f32_e64 s[4:5], s13, v23
	s_or_b64 s[14:15], vcc, s[4:5]
	s_cbranch_execnz .LBB137_117
.LBB137_116:
	v_cmp_eq_f32_e32 vcc, s12, v22
	v_cmp_eq_f32_e64 s[4:5], s13, v23
	s_and_b64 s[4:5], vcc, s[4:5]
	s_andn2_b64 s[14:15], s[14:15], exec
	s_and_b64 s[4:5], s[4:5], exec
	s_or_b64 s[14:15], s[14:15], s[4:5]
.LBB137_117:
	v_cndmask_b32_e64 v20, 0, 1, s[14:15]
.LBB137_118:
	s_or_b64 exec, exec, s[10:11]
	v_or_b32_e32 v21, 0x700, v0
	v_cmp_gt_i32_e32 vcc, s33, v21
                                        ; implicit-def: $vgpr21
	s_and_saveexec_b64 s[10:11], vcc
	s_cbranch_execz .LBB137_123
; %bb.119:
	s_and_b64 vcc, exec, s[2:3]
	s_cbranch_vccnz .LBB137_219
; %bb.120:
	v_cmp_neq_f32_e32 vcc, s12, v16
	v_cmp_neq_f32_e64 s[4:5], s13, v17
	s_or_b64 s[14:15], vcc, s[4:5]
	s_cbranch_execnz .LBB137_122
.LBB137_121:
	v_cmp_eq_f32_e32 vcc, s12, v16
	v_cmp_eq_f32_e64 s[4:5], s13, v17
	s_and_b64 s[4:5], vcc, s[4:5]
	s_andn2_b64 s[14:15], s[14:15], exec
	s_and_b64 s[4:5], s[4:5], exec
	s_or_b64 s[14:15], s[14:15], s[4:5]
.LBB137_122:
	v_cndmask_b32_e64 v21, 0, 1, s[14:15]
.LBB137_123:
	s_or_b64 exec, exec, s[10:11]
	v_or_b32_e32 v16, 0x800, v0
	v_cmp_gt_i32_e32 vcc, s33, v16
                                        ; implicit-def: $vgpr16
	s_and_saveexec_b64 s[10:11], vcc
	s_cbranch_execz .LBB137_128
; %bb.124:
	s_and_b64 vcc, exec, s[2:3]
	s_cbranch_vccnz .LBB137_220
; %bb.125:
	v_cmp_neq_f32_e32 vcc, s12, v18
	v_cmp_neq_f32_e64 s[4:5], s13, v19
	s_or_b64 s[14:15], vcc, s[4:5]
	s_cbranch_execnz .LBB137_127
.LBB137_126:
	v_cmp_eq_f32_e32 vcc, s12, v18
	v_cmp_eq_f32_e64 s[4:5], s13, v19
	s_and_b64 s[4:5], vcc, s[4:5]
	s_andn2_b64 s[14:15], s[14:15], exec
	s_and_b64 s[4:5], s[4:5], exec
	s_or_b64 s[14:15], s[14:15], s[4:5]
.LBB137_127:
	v_cndmask_b32_e64 v16, 0, 1, s[14:15]
.LBB137_128:
	s_or_b64 exec, exec, s[10:11]
	v_or_b32_e32 v17, 0x900, v0
	v_cmp_gt_i32_e32 vcc, s33, v17
                                        ; implicit-def: $vgpr17
	s_and_saveexec_b64 s[10:11], vcc
	s_cbranch_execz .LBB137_133
; %bb.129:
	s_and_b64 vcc, exec, s[2:3]
	s_cbranch_vccnz .LBB137_221
; %bb.130:
	v_cmp_neq_f32_e32 vcc, s12, v12
	v_cmp_neq_f32_e64 s[4:5], s13, v13
	s_or_b64 s[14:15], vcc, s[4:5]
	s_cbranch_execnz .LBB137_132
.LBB137_131:
	v_cmp_eq_f32_e32 vcc, s12, v12
	v_cmp_eq_f32_e64 s[4:5], s13, v13
	s_and_b64 s[4:5], vcc, s[4:5]
	s_andn2_b64 s[14:15], s[14:15], exec
	s_and_b64 s[4:5], s[4:5], exec
	s_or_b64 s[14:15], s[14:15], s[4:5]
.LBB137_132:
	v_cndmask_b32_e64 v17, 0, 1, s[14:15]
.LBB137_133:
	s_or_b64 exec, exec, s[10:11]
	v_or_b32_e32 v12, 0xa00, v0
	v_cmp_gt_i32_e32 vcc, s33, v12
                                        ; implicit-def: $vgpr12
	s_and_saveexec_b64 s[10:11], vcc
	s_cbranch_execz .LBB137_138
; %bb.134:
	s_and_b64 vcc, exec, s[2:3]
	s_cbranch_vccnz .LBB137_222
; %bb.135:
	v_cmp_neq_f32_e32 vcc, s12, v14
	v_cmp_neq_f32_e64 s[4:5], s13, v15
	s_or_b64 s[14:15], vcc, s[4:5]
	s_cbranch_execnz .LBB137_137
.LBB137_136:
	v_cmp_eq_f32_e32 vcc, s12, v14
	v_cmp_eq_f32_e64 s[4:5], s13, v15
	s_and_b64 s[4:5], vcc, s[4:5]
	s_andn2_b64 s[14:15], s[14:15], exec
	s_and_b64 s[4:5], s[4:5], exec
	s_or_b64 s[14:15], s[14:15], s[4:5]
.LBB137_137:
	v_cndmask_b32_e64 v12, 0, 1, s[14:15]
.LBB137_138:
	s_or_b64 exec, exec, s[10:11]
	v_or_b32_e32 v13, 0xb00, v0
	v_cmp_gt_i32_e32 vcc, s33, v13
                                        ; implicit-def: $vgpr13
	s_and_saveexec_b64 s[10:11], vcc
	s_cbranch_execz .LBB137_143
; %bb.139:
	s_and_b64 vcc, exec, s[2:3]
	s_cbranch_vccnz .LBB137_223
; %bb.140:
	v_cmp_neq_f32_e32 vcc, s12, v8
	v_cmp_neq_f32_e64 s[4:5], s13, v9
	s_or_b64 s[14:15], vcc, s[4:5]
	s_cbranch_execnz .LBB137_142
.LBB137_141:
	v_cmp_eq_f32_e32 vcc, s12, v8
	v_cmp_eq_f32_e64 s[4:5], s13, v9
	s_and_b64 s[4:5], vcc, s[4:5]
	s_andn2_b64 s[14:15], s[14:15], exec
	s_and_b64 s[4:5], s[4:5], exec
	s_or_b64 s[14:15], s[14:15], s[4:5]
.LBB137_142:
	v_cndmask_b32_e64 v13, 0, 1, s[14:15]
.LBB137_143:
	s_or_b64 exec, exec, s[10:11]
	v_or_b32_e32 v8, 0xc00, v0
	v_cmp_gt_i32_e32 vcc, s33, v8
                                        ; implicit-def: $vgpr8
	s_and_saveexec_b64 s[10:11], vcc
	s_cbranch_execz .LBB137_148
; %bb.144:
	s_and_b64 vcc, exec, s[2:3]
	s_cbranch_vccnz .LBB137_224
; %bb.145:
	v_cmp_neq_f32_e32 vcc, s12, v10
	v_cmp_neq_f32_e64 s[4:5], s13, v11
	s_or_b64 s[14:15], vcc, s[4:5]
	s_cbranch_execnz .LBB137_147
.LBB137_146:
	v_cmp_eq_f32_e32 vcc, s12, v10
	v_cmp_eq_f32_e64 s[4:5], s13, v11
	s_and_b64 s[4:5], vcc, s[4:5]
	s_andn2_b64 s[14:15], s[14:15], exec
	s_and_b64 s[4:5], s[4:5], exec
	s_or_b64 s[14:15], s[14:15], s[4:5]
.LBB137_147:
	v_cndmask_b32_e64 v8, 0, 1, s[14:15]
.LBB137_148:
	s_or_b64 exec, exec, s[10:11]
	v_or_b32_e32 v9, 0xd00, v0
	v_cmp_gt_i32_e32 vcc, s33, v9
                                        ; implicit-def: $vgpr9
	s_and_saveexec_b64 s[10:11], vcc
	s_cbranch_execz .LBB137_153
; %bb.149:
	s_and_b64 vcc, exec, s[2:3]
	s_cbranch_vccnz .LBB137_225
; %bb.150:
	v_cmp_neq_f32_e32 vcc, s12, v4
	v_cmp_neq_f32_e64 s[4:5], s13, v5
	s_or_b64 s[14:15], vcc, s[4:5]
	s_cbranch_execnz .LBB137_152
.LBB137_151:
	v_cmp_eq_f32_e32 vcc, s12, v4
	v_cmp_eq_f32_e64 s[4:5], s13, v5
	s_and_b64 s[4:5], vcc, s[4:5]
	s_andn2_b64 s[14:15], s[14:15], exec
	s_and_b64 s[4:5], s[4:5], exec
	s_or_b64 s[14:15], s[14:15], s[4:5]
.LBB137_152:
	v_cndmask_b32_e64 v9, 0, 1, s[14:15]
.LBB137_153:
	s_or_b64 exec, exec, s[10:11]
	v_or_b32_e32 v4, 0xe00, v0
	v_cmp_gt_i32_e32 vcc, s33, v4
                                        ; implicit-def: $vgpr4
	s_and_saveexec_b64 s[10:11], vcc
	s_cbranch_execz .LBB137_158
; %bb.154:
	s_and_b64 vcc, exec, s[2:3]
	s_cbranch_vccnz .LBB137_226
; %bb.155:
	v_cmp_neq_f32_e32 vcc, s12, v6
	v_cmp_neq_f32_e64 s[4:5], s13, v7
	s_or_b64 s[14:15], vcc, s[4:5]
	s_cbranch_execnz .LBB137_157
.LBB137_156:
	v_cmp_eq_f32_e32 vcc, s12, v6
	v_cmp_eq_f32_e64 s[4:5], s13, v7
	s_and_b64 s[4:5], vcc, s[4:5]
	s_andn2_b64 s[14:15], s[14:15], exec
	s_and_b64 s[4:5], s[4:5], exec
	s_or_b64 s[14:15], s[14:15], s[4:5]
.LBB137_157:
	v_cndmask_b32_e64 v4, 0, 1, s[14:15]
.LBB137_158:
	s_or_b64 exec, exec, s[10:11]
	v_or_b32_e32 v5, 0xf00, v0
	v_cmp_gt_i32_e32 vcc, s33, v5
                                        ; implicit-def: $vgpr5
	s_and_saveexec_b64 s[4:5], vcc
	s_cbranch_execz .LBB137_163
; %bb.159:
	s_and_b64 vcc, exec, s[2:3]
	s_cbranch_vccnz .LBB137_227
; %bb.160:
	v_cmp_neq_f32_e32 vcc, s12, v2
	v_cmp_neq_f32_e64 s[2:3], s13, v3
	s_or_b64 s[10:11], vcc, s[2:3]
	s_cbranch_execnz .LBB137_162
.LBB137_161:
	v_cmp_eq_f32_e32 vcc, s12, v2
	v_cmp_eq_f32_e64 s[2:3], s13, v3
	s_and_b64 s[2:3], vcc, s[2:3]
	s_andn2_b64 s[10:11], s[10:11], exec
	s_and_b64 s[2:3], s[2:3], exec
	s_or_b64 s[10:11], s[10:11], s[2:3]
.LBB137_162:
	v_cndmask_b32_e64 v5, 0, 1, s[10:11]
.LBB137_163:
	s_or_b64 exec, exec, s[4:5]
	s_and_saveexec_b64 s[2:3], s[0:1]
	s_xor_b64 s[0:1], exec, s[2:3]
	s_cbranch_execz .LBB137_165
; %bb.164:
	v_mov_b32_e32 v0, v32
	global_store_byte v1, v34, s[8:9]
.LBB137_165:
	s_or_b64 exec, exec, s[0:1]
	v_cmp_gt_i32_e32 vcc, s33, v0
	s_and_saveexec_b64 s[0:1], vcc
	s_cbranch_execnz .LBB137_181
; %bb.166:
	s_or_b64 exec, exec, s[0:1]
	v_cmp_gt_i32_e32 vcc, s33, v0
	s_and_saveexec_b64 s[0:1], vcc
	s_cbranch_execnz .LBB137_182
.LBB137_167:
	s_or_b64 exec, exec, s[0:1]
	v_cmp_gt_i32_e32 vcc, s33, v0
	s_and_saveexec_b64 s[0:1], vcc
	s_cbranch_execnz .LBB137_183
.LBB137_168:
	s_or_b64 exec, exec, s[0:1]
	v_cmp_gt_i32_e32 vcc, s33, v0
	s_and_saveexec_b64 s[0:1], vcc
	s_cbranch_execnz .LBB137_184
.LBB137_169:
	s_or_b64 exec, exec, s[0:1]
	v_cmp_gt_i32_e32 vcc, s33, v0
	s_and_saveexec_b64 s[0:1], vcc
	s_cbranch_execnz .LBB137_185
.LBB137_170:
	s_or_b64 exec, exec, s[0:1]
	v_cmp_gt_i32_e32 vcc, s33, v0
	s_and_saveexec_b64 s[0:1], vcc
	s_cbranch_execnz .LBB137_186
.LBB137_171:
	s_or_b64 exec, exec, s[0:1]
	v_cmp_gt_i32_e32 vcc, s33, v0
	s_and_saveexec_b64 s[0:1], vcc
	s_cbranch_execnz .LBB137_187
.LBB137_172:
	s_or_b64 exec, exec, s[0:1]
	v_cmp_gt_i32_e32 vcc, s33, v0
	s_and_saveexec_b64 s[0:1], vcc
	s_cbranch_execnz .LBB137_188
.LBB137_173:
	s_or_b64 exec, exec, s[0:1]
	v_cmp_gt_i32_e32 vcc, s33, v0
	s_and_saveexec_b64 s[0:1], vcc
	s_cbranch_execnz .LBB137_189
.LBB137_174:
	s_or_b64 exec, exec, s[0:1]
	v_cmp_gt_i32_e32 vcc, s33, v0
	s_and_saveexec_b64 s[0:1], vcc
	s_cbranch_execnz .LBB137_190
.LBB137_175:
	s_or_b64 exec, exec, s[0:1]
	v_cmp_gt_i32_e32 vcc, s33, v0
	s_and_saveexec_b64 s[0:1], vcc
	s_cbranch_execnz .LBB137_191
.LBB137_176:
	s_or_b64 exec, exec, s[0:1]
	v_cmp_gt_i32_e32 vcc, s33, v0
	s_and_saveexec_b64 s[0:1], vcc
	s_cbranch_execnz .LBB137_192
.LBB137_177:
	s_or_b64 exec, exec, s[0:1]
	v_cmp_gt_i32_e32 vcc, s33, v0
	s_and_saveexec_b64 s[0:1], vcc
	s_cbranch_execnz .LBB137_193
.LBB137_178:
	s_or_b64 exec, exec, s[0:1]
	v_cmp_gt_i32_e32 vcc, s33, v0
	s_and_saveexec_b64 s[0:1], vcc
	s_cbranch_execnz .LBB137_194
.LBB137_179:
	s_or_b64 exec, exec, s[0:1]
	v_cmp_gt_i32_e32 vcc, s33, v0
	s_and_saveexec_b64 s[0:1], vcc
	s_cbranch_execz .LBB137_195
.LBB137_180:
	v_add_u32_e32 v0, s6, v0
	global_store_byte v0, v5, s[8:9]
	s_endpgm
.LBB137_181:
	v_add_u32_e32 v1, s6, v0
	v_add_u32_e32 v0, 0x100, v0
	global_store_byte v1, v33, s[8:9]
	s_or_b64 exec, exec, s[0:1]
	v_cmp_gt_i32_e32 vcc, s33, v0
	s_and_saveexec_b64 s[0:1], vcc
	s_cbranch_execz .LBB137_167
.LBB137_182:
	v_add_u32_e32 v1, s6, v0
	v_add_u32_e32 v0, 0x100, v0
	global_store_byte v1, v28, s[8:9]
	s_or_b64 exec, exec, s[0:1]
	v_cmp_gt_i32_e32 vcc, s33, v0
	s_and_saveexec_b64 s[0:1], vcc
	s_cbranch_execz .LBB137_168
.LBB137_183:
	v_add_u32_e32 v1, s6, v0
	v_add_u32_e32 v0, 0x100, v0
	global_store_byte v1, v29, s[8:9]
	s_or_b64 exec, exec, s[0:1]
	v_cmp_gt_i32_e32 vcc, s33, v0
	s_and_saveexec_b64 s[0:1], vcc
	s_cbranch_execz .LBB137_169
.LBB137_184:
	v_add_u32_e32 v1, s6, v0
	v_add_u32_e32 v0, 0x100, v0
	global_store_byte v1, v24, s[8:9]
	s_or_b64 exec, exec, s[0:1]
	v_cmp_gt_i32_e32 vcc, s33, v0
	s_and_saveexec_b64 s[0:1], vcc
	s_cbranch_execz .LBB137_170
.LBB137_185:
	v_add_u32_e32 v1, s6, v0
	v_add_u32_e32 v0, 0x100, v0
	global_store_byte v1, v25, s[8:9]
	s_or_b64 exec, exec, s[0:1]
	v_cmp_gt_i32_e32 vcc, s33, v0
	s_and_saveexec_b64 s[0:1], vcc
	s_cbranch_execz .LBB137_171
.LBB137_186:
	v_add_u32_e32 v1, s6, v0
	v_add_u32_e32 v0, 0x100, v0
	global_store_byte v1, v20, s[8:9]
	s_or_b64 exec, exec, s[0:1]
	v_cmp_gt_i32_e32 vcc, s33, v0
	s_and_saveexec_b64 s[0:1], vcc
	s_cbranch_execz .LBB137_172
.LBB137_187:
	v_add_u32_e32 v1, s6, v0
	v_add_u32_e32 v0, 0x100, v0
	global_store_byte v1, v21, s[8:9]
	s_or_b64 exec, exec, s[0:1]
	v_cmp_gt_i32_e32 vcc, s33, v0
	s_and_saveexec_b64 s[0:1], vcc
	s_cbranch_execz .LBB137_173
.LBB137_188:
	v_add_u32_e32 v1, s6, v0
	v_add_u32_e32 v0, 0x100, v0
	global_store_byte v1, v16, s[8:9]
	s_or_b64 exec, exec, s[0:1]
	v_cmp_gt_i32_e32 vcc, s33, v0
	s_and_saveexec_b64 s[0:1], vcc
	s_cbranch_execz .LBB137_174
.LBB137_189:
	v_add_u32_e32 v1, s6, v0
	v_add_u32_e32 v0, 0x100, v0
	global_store_byte v1, v17, s[8:9]
	s_or_b64 exec, exec, s[0:1]
	v_cmp_gt_i32_e32 vcc, s33, v0
	s_and_saveexec_b64 s[0:1], vcc
	s_cbranch_execz .LBB137_175
.LBB137_190:
	v_add_u32_e32 v1, s6, v0
	v_add_u32_e32 v0, 0x100, v0
	global_store_byte v1, v12, s[8:9]
	s_or_b64 exec, exec, s[0:1]
	v_cmp_gt_i32_e32 vcc, s33, v0
	s_and_saveexec_b64 s[0:1], vcc
	s_cbranch_execz .LBB137_176
.LBB137_191:
	v_add_u32_e32 v1, s6, v0
	v_add_u32_e32 v0, 0x100, v0
	global_store_byte v1, v13, s[8:9]
	s_or_b64 exec, exec, s[0:1]
	v_cmp_gt_i32_e32 vcc, s33, v0
	s_and_saveexec_b64 s[0:1], vcc
	s_cbranch_execz .LBB137_177
.LBB137_192:
	v_add_u32_e32 v1, s6, v0
	v_add_u32_e32 v0, 0x100, v0
	global_store_byte v1, v8, s[8:9]
	s_or_b64 exec, exec, s[0:1]
	v_cmp_gt_i32_e32 vcc, s33, v0
	s_and_saveexec_b64 s[0:1], vcc
	s_cbranch_execz .LBB137_178
.LBB137_193:
	v_add_u32_e32 v1, s6, v0
	v_add_u32_e32 v0, 0x100, v0
	global_store_byte v1, v9, s[8:9]
	s_or_b64 exec, exec, s[0:1]
	v_cmp_gt_i32_e32 vcc, s33, v0
	s_and_saveexec_b64 s[0:1], vcc
	s_cbranch_execz .LBB137_179
.LBB137_194:
	v_add_u32_e32 v1, s6, v0
	v_add_u32_e32 v0, 0x100, v0
	global_store_byte v1, v4, s[8:9]
	s_or_b64 exec, exec, s[0:1]
	v_cmp_gt_i32_e32 vcc, s33, v0
	s_and_saveexec_b64 s[0:1], vcc
	s_cbranch_execnz .LBB137_180
.LBB137_195:
	s_endpgm
.LBB137_196:
                                        ; implicit-def: $sgpr4_sgpr5
	s_branch .LBB137_3
.LBB137_197:
                                        ; implicit-def: $sgpr14_sgpr15
	s_branch .LBB137_6
.LBB137_198:
                                        ; implicit-def: $sgpr16_sgpr17
	s_branch .LBB137_9
.LBB137_199:
                                        ; implicit-def: $sgpr18_sgpr19
	s_branch .LBB137_12
.LBB137_200:
                                        ; implicit-def: $sgpr20_sgpr21
	s_branch .LBB137_15
.LBB137_201:
                                        ; implicit-def: $sgpr22_sgpr23
	s_branch .LBB137_18
.LBB137_202:
                                        ; implicit-def: $sgpr24_sgpr25
	s_branch .LBB137_21
.LBB137_203:
                                        ; implicit-def: $sgpr26_sgpr27
	s_branch .LBB137_24
.LBB137_204:
                                        ; implicit-def: $sgpr28_sgpr29
	s_branch .LBB137_27
.LBB137_205:
                                        ; implicit-def: $sgpr30_sgpr31
	s_branch .LBB137_30
.LBB137_206:
                                        ; implicit-def: $sgpr34_sgpr35
	s_branch .LBB137_33
.LBB137_207:
                                        ; implicit-def: $sgpr36_sgpr37
	s_branch .LBB137_36
.LBB137_208:
                                        ; implicit-def: $sgpr38_sgpr39
	s_branch .LBB137_39
.LBB137_209:
                                        ; implicit-def: $sgpr40_sgpr41
	s_branch .LBB137_42
.LBB137_210:
                                        ; implicit-def: $sgpr42_sgpr43
	s_branch .LBB137_45
.LBB137_211:
                                        ; implicit-def: $sgpr2_sgpr3
	s_branch .LBB137_48
.LBB137_212:
                                        ; implicit-def: $sgpr14_sgpr15
	s_branch .LBB137_86
.LBB137_213:
                                        ; implicit-def: $sgpr14_sgpr15
	s_branch .LBB137_91
.LBB137_214:
                                        ; implicit-def: $sgpr14_sgpr15
	s_branch .LBB137_96
.LBB137_215:
                                        ; implicit-def: $sgpr14_sgpr15
	s_branch .LBB137_101
.LBB137_216:
                                        ; implicit-def: $sgpr14_sgpr15
	s_branch .LBB137_106
.LBB137_217:
                                        ; implicit-def: $sgpr14_sgpr15
	s_branch .LBB137_111
.LBB137_218:
                                        ; implicit-def: $sgpr14_sgpr15
	s_branch .LBB137_116
.LBB137_219:
                                        ; implicit-def: $sgpr14_sgpr15
	s_branch .LBB137_121
.LBB137_220:
                                        ; implicit-def: $sgpr14_sgpr15
	s_branch .LBB137_126
.LBB137_221:
                                        ; implicit-def: $sgpr14_sgpr15
	s_branch .LBB137_131
.LBB137_222:
                                        ; implicit-def: $sgpr14_sgpr15
	s_branch .LBB137_136
.LBB137_223:
                                        ; implicit-def: $sgpr14_sgpr15
	s_branch .LBB137_141
.LBB137_224:
                                        ; implicit-def: $sgpr14_sgpr15
	s_branch .LBB137_146
.LBB137_225:
                                        ; implicit-def: $sgpr14_sgpr15
	s_branch .LBB137_151
.LBB137_226:
                                        ; implicit-def: $sgpr14_sgpr15
	s_branch .LBB137_156
.LBB137_227:
                                        ; implicit-def: $sgpr10_sgpr11
	s_branch .LBB137_161
	.section	.rodata,"a",@progbits
	.p2align	6, 0x0
	.amdhsa_kernel _ZN2at6native29vectorized_elementwise_kernelILi8ENS0_13AUnaryFunctorIN3c107complexIfEES5_bNS0_12_GLOBAL__N_116CompareEqFunctorIS5_EEEESt5arrayIPcLm2EEEEviT0_T1_
		.amdhsa_group_segment_fixed_size 0
		.amdhsa_private_segment_fixed_size 0
		.amdhsa_kernarg_size 40
		.amdhsa_user_sgpr_count 6
		.amdhsa_user_sgpr_private_segment_buffer 1
		.amdhsa_user_sgpr_dispatch_ptr 0
		.amdhsa_user_sgpr_queue_ptr 0
		.amdhsa_user_sgpr_kernarg_segment_ptr 1
		.amdhsa_user_sgpr_dispatch_id 0
		.amdhsa_user_sgpr_flat_scratch_init 0
		.amdhsa_user_sgpr_private_segment_size 0
		.amdhsa_uses_dynamic_stack 0
		.amdhsa_system_sgpr_private_segment_wavefront_offset 0
		.amdhsa_system_sgpr_workgroup_id_x 1
		.amdhsa_system_sgpr_workgroup_id_y 0
		.amdhsa_system_sgpr_workgroup_id_z 0
		.amdhsa_system_sgpr_workgroup_info 0
		.amdhsa_system_vgpr_workitem_id 0
		.amdhsa_next_free_vgpr 35
		.amdhsa_next_free_sgpr 45
		.amdhsa_reserve_vcc 1
		.amdhsa_reserve_flat_scratch 0
		.amdhsa_float_round_mode_32 0
		.amdhsa_float_round_mode_16_64 0
		.amdhsa_float_denorm_mode_32 3
		.amdhsa_float_denorm_mode_16_64 3
		.amdhsa_dx10_clamp 1
		.amdhsa_ieee_mode 1
		.amdhsa_fp16_overflow 0
		.amdhsa_exception_fp_ieee_invalid_op 0
		.amdhsa_exception_fp_denorm_src 0
		.amdhsa_exception_fp_ieee_div_zero 0
		.amdhsa_exception_fp_ieee_overflow 0
		.amdhsa_exception_fp_ieee_underflow 0
		.amdhsa_exception_fp_ieee_inexact 0
		.amdhsa_exception_int_div_zero 0
	.end_amdhsa_kernel
	.section	.text._ZN2at6native29vectorized_elementwise_kernelILi8ENS0_13AUnaryFunctorIN3c107complexIfEES5_bNS0_12_GLOBAL__N_116CompareEqFunctorIS5_EEEESt5arrayIPcLm2EEEEviT0_T1_,"axG",@progbits,_ZN2at6native29vectorized_elementwise_kernelILi8ENS0_13AUnaryFunctorIN3c107complexIfEES5_bNS0_12_GLOBAL__N_116CompareEqFunctorIS5_EEEESt5arrayIPcLm2EEEEviT0_T1_,comdat
.Lfunc_end137:
	.size	_ZN2at6native29vectorized_elementwise_kernelILi8ENS0_13AUnaryFunctorIN3c107complexIfEES5_bNS0_12_GLOBAL__N_116CompareEqFunctorIS5_EEEESt5arrayIPcLm2EEEEviT0_T1_, .Lfunc_end137-_ZN2at6native29vectorized_elementwise_kernelILi8ENS0_13AUnaryFunctorIN3c107complexIfEES5_bNS0_12_GLOBAL__N_116CompareEqFunctorIS5_EEEESt5arrayIPcLm2EEEEviT0_T1_
                                        ; -- End function
	.set _ZN2at6native29vectorized_elementwise_kernelILi8ENS0_13AUnaryFunctorIN3c107complexIfEES5_bNS0_12_GLOBAL__N_116CompareEqFunctorIS5_EEEESt5arrayIPcLm2EEEEviT0_T1_.num_vgpr, 35
	.set _ZN2at6native29vectorized_elementwise_kernelILi8ENS0_13AUnaryFunctorIN3c107complexIfEES5_bNS0_12_GLOBAL__N_116CompareEqFunctorIS5_EEEESt5arrayIPcLm2EEEEviT0_T1_.num_agpr, 0
	.set _ZN2at6native29vectorized_elementwise_kernelILi8ENS0_13AUnaryFunctorIN3c107complexIfEES5_bNS0_12_GLOBAL__N_116CompareEqFunctorIS5_EEEESt5arrayIPcLm2EEEEviT0_T1_.numbered_sgpr, 45
	.set _ZN2at6native29vectorized_elementwise_kernelILi8ENS0_13AUnaryFunctorIN3c107complexIfEES5_bNS0_12_GLOBAL__N_116CompareEqFunctorIS5_EEEESt5arrayIPcLm2EEEEviT0_T1_.num_named_barrier, 0
	.set _ZN2at6native29vectorized_elementwise_kernelILi8ENS0_13AUnaryFunctorIN3c107complexIfEES5_bNS0_12_GLOBAL__N_116CompareEqFunctorIS5_EEEESt5arrayIPcLm2EEEEviT0_T1_.private_seg_size, 0
	.set _ZN2at6native29vectorized_elementwise_kernelILi8ENS0_13AUnaryFunctorIN3c107complexIfEES5_bNS0_12_GLOBAL__N_116CompareEqFunctorIS5_EEEESt5arrayIPcLm2EEEEviT0_T1_.uses_vcc, 1
	.set _ZN2at6native29vectorized_elementwise_kernelILi8ENS0_13AUnaryFunctorIN3c107complexIfEES5_bNS0_12_GLOBAL__N_116CompareEqFunctorIS5_EEEESt5arrayIPcLm2EEEEviT0_T1_.uses_flat_scratch, 0
	.set _ZN2at6native29vectorized_elementwise_kernelILi8ENS0_13AUnaryFunctorIN3c107complexIfEES5_bNS0_12_GLOBAL__N_116CompareEqFunctorIS5_EEEESt5arrayIPcLm2EEEEviT0_T1_.has_dyn_sized_stack, 0
	.set _ZN2at6native29vectorized_elementwise_kernelILi8ENS0_13AUnaryFunctorIN3c107complexIfEES5_bNS0_12_GLOBAL__N_116CompareEqFunctorIS5_EEEESt5arrayIPcLm2EEEEviT0_T1_.has_recursion, 0
	.set _ZN2at6native29vectorized_elementwise_kernelILi8ENS0_13AUnaryFunctorIN3c107complexIfEES5_bNS0_12_GLOBAL__N_116CompareEqFunctorIS5_EEEESt5arrayIPcLm2EEEEviT0_T1_.has_indirect_call, 0
	.section	.AMDGPU.csdata,"",@progbits
; Kernel info:
; codeLenInByte = 4912
; TotalNumSgprs: 49
; NumVgprs: 35
; ScratchSize: 0
; MemoryBound: 1
; FloatMode: 240
; IeeeMode: 1
; LDSByteSize: 0 bytes/workgroup (compile time only)
; SGPRBlocks: 6
; VGPRBlocks: 8
; NumSGPRsForWavesPerEU: 49
; NumVGPRsForWavesPerEU: 35
; Occupancy: 7
; WaveLimiterHint : 1
; COMPUTE_PGM_RSRC2:SCRATCH_EN: 0
; COMPUTE_PGM_RSRC2:USER_SGPR: 6
; COMPUTE_PGM_RSRC2:TRAP_HANDLER: 0
; COMPUTE_PGM_RSRC2:TGID_X_EN: 1
; COMPUTE_PGM_RSRC2:TGID_Y_EN: 0
; COMPUTE_PGM_RSRC2:TGID_Z_EN: 0
; COMPUTE_PGM_RSRC2:TIDIG_COMP_CNT: 0
	.section	.text._ZN2at6native29vectorized_elementwise_kernelILi4ENS0_13AUnaryFunctorIN3c107complexIfEES5_bNS0_12_GLOBAL__N_116CompareEqFunctorIS5_EEEESt5arrayIPcLm2EEEEviT0_T1_,"axG",@progbits,_ZN2at6native29vectorized_elementwise_kernelILi4ENS0_13AUnaryFunctorIN3c107complexIfEES5_bNS0_12_GLOBAL__N_116CompareEqFunctorIS5_EEEESt5arrayIPcLm2EEEEviT0_T1_,comdat
	.globl	_ZN2at6native29vectorized_elementwise_kernelILi4ENS0_13AUnaryFunctorIN3c107complexIfEES5_bNS0_12_GLOBAL__N_116CompareEqFunctorIS5_EEEESt5arrayIPcLm2EEEEviT0_T1_ ; -- Begin function _ZN2at6native29vectorized_elementwise_kernelILi4ENS0_13AUnaryFunctorIN3c107complexIfEES5_bNS0_12_GLOBAL__N_116CompareEqFunctorIS5_EEEESt5arrayIPcLm2EEEEviT0_T1_
	.p2align	8
	.type	_ZN2at6native29vectorized_elementwise_kernelILi4ENS0_13AUnaryFunctorIN3c107complexIfEES5_bNS0_12_GLOBAL__N_116CompareEqFunctorIS5_EEEESt5arrayIPcLm2EEEEviT0_T1_,@function
_ZN2at6native29vectorized_elementwise_kernelILi4ENS0_13AUnaryFunctorIN3c107complexIfEES5_bNS0_12_GLOBAL__N_116CompareEqFunctorIS5_EEEESt5arrayIPcLm2EEEEviT0_T1_: ; @_ZN2at6native29vectorized_elementwise_kernelILi4ENS0_13AUnaryFunctorIN3c107complexIfEES5_bNS0_12_GLOBAL__N_116CompareEqFunctorIS5_EEEESt5arrayIPcLm2EEEEviT0_T1_
; %bb.0:
	s_load_dword s0, s[4:5], 0x0
	s_load_dword s44, s[4:5], 0x8
	s_load_dwordx2 s[12:13], s[4:5], 0x10
	s_load_dwordx4 s[8:11], s[4:5], 0x18
	s_lshl_b32 s6, s6, 12
	s_waitcnt lgkmcnt(0)
	s_sub_i32 s33, s0, s6
	s_cmpk_gt_i32 s33, 0xfff
	s_mov_b64 s[0:1], -1
	s_cbranch_scc0 .LBB138_50
; %bb.1:
	s_ashr_i32 s7, s6, 31
	s_lshl_b64 s[0:1], s[6:7], 3
	s_add_u32 s0, s10, s0
	s_addc_u32 s1, s11, s1
	v_lshlrev_b32_e32 v1, 5, v0
	v_mov_b32_e32 v2, s1
	v_add_co_u32_e32 v5, vcc, s0, v1
	v_addc_co_u32_e32 v6, vcc, 0, v2, vcc
	global_load_dwordx4 v[25:28], v1, s[0:1] offset:16
	global_load_dwordx4 v[29:32], v1, s[0:1]
	v_add_co_u32_e32 v1, vcc, 0x2000, v5
	v_addc_co_u32_e64 v2, s[0:1], 0, v6, vcc
	v_addc_co_u32_e32 v4, vcc, 0, v6, vcc
	v_mov_b32_e32 v3, v1
	global_load_dwordx4 v[21:24], v[3:4], off
	global_load_dwordx4 v[17:20], v[1:2], off offset:16
	v_add_co_u32_e32 v1, vcc, 0x4000, v5
	v_addc_co_u32_e64 v2, s[0:1], 0, v6, vcc
	v_addc_co_u32_e32 v4, vcc, 0, v6, vcc
	v_add_co_u32_e32 v33, vcc, 0x6000, v5
	v_mov_b32_e32 v3, v1
	v_addc_co_u32_e64 v34, s[0:1], 0, v6, vcc
	v_addc_co_u32_e32 v36, vcc, 0, v6, vcc
	v_mov_b32_e32 v35, v33
	global_load_dwordx4 v[13:16], v[3:4], off
	global_load_dwordx4 v[9:12], v[1:2], off offset:16
	global_load_dwordx4 v[5:8], v[35:36], off
	s_nop 0
	global_load_dwordx4 v[1:4], v[33:34], off offset:16
	s_cmp_lg_u32 s44, 0
	s_cselect_b64 s[2:3], -1, 0
	s_and_b64 vcc, exec, s[2:3]
	s_cbranch_vccz .LBB138_196
; %bb.2:
	s_waitcnt vmcnt(6)
	v_cmp_neq_f32_e32 vcc, s12, v29
	v_cmp_neq_f32_e64 s[0:1], s13, v30
	s_or_b64 s[4:5], vcc, s[0:1]
	s_cbranch_execnz .LBB138_4
.LBB138_3:
	s_waitcnt vmcnt(6)
	v_cmp_eq_f32_e32 vcc, s12, v29
	v_cmp_eq_f32_e64 s[0:1], s13, v30
	s_and_b64 s[0:1], vcc, s[0:1]
	s_andn2_b64 s[4:5], s[4:5], exec
	s_and_b64 s[0:1], s[0:1], exec
	s_or_b64 s[4:5], s[4:5], s[0:1]
.LBB138_4:
	s_waitcnt vmcnt(6)
	v_cndmask_b32_e64 v29, 0, 1, s[2:3]
	v_cmp_ne_u32_e64 s[0:1], 1, v29
	s_andn2_b64 vcc, exec, s[2:3]
	s_cbranch_vccnz .LBB138_197
; %bb.5:
	v_cmp_neq_f32_e32 vcc, s12, v31
	v_cmp_neq_f32_e64 s[2:3], s13, v32
	s_or_b64 s[14:15], vcc, s[2:3]
	s_cbranch_execnz .LBB138_7
.LBB138_6:
	v_cmp_eq_f32_e32 vcc, s12, v31
	v_cmp_eq_f32_e64 s[2:3], s13, v32
	s_and_b64 s[2:3], vcc, s[2:3]
	s_andn2_b64 s[14:15], s[14:15], exec
	s_and_b64 s[2:3], s[2:3], exec
	s_or_b64 s[14:15], s[14:15], s[2:3]
.LBB138_7:
	s_and_b64 vcc, exec, s[0:1]
	s_cbranch_vccnz .LBB138_198
; %bb.8:
	v_cmp_neq_f32_e32 vcc, s12, v25
	v_cmp_neq_f32_e64 s[2:3], s13, v26
	s_or_b64 s[16:17], vcc, s[2:3]
	s_cbranch_execnz .LBB138_10
.LBB138_9:
	v_cmp_eq_f32_e32 vcc, s12, v25
	v_cmp_eq_f32_e64 s[2:3], s13, v26
	s_and_b64 s[2:3], vcc, s[2:3]
	s_andn2_b64 s[16:17], s[16:17], exec
	s_and_b64 s[2:3], s[2:3], exec
	s_or_b64 s[16:17], s[16:17], s[2:3]
.LBB138_10:
	s_and_b64 vcc, exec, s[0:1]
	s_cbranch_vccnz .LBB138_199
; %bb.11:
	v_cmp_neq_f32_e32 vcc, s12, v27
	v_cmp_neq_f32_e64 s[2:3], s13, v28
	s_or_b64 s[18:19], vcc, s[2:3]
	s_cbranch_execnz .LBB138_13
.LBB138_12:
	v_cmp_eq_f32_e32 vcc, s12, v27
	v_cmp_eq_f32_e64 s[2:3], s13, v28
	s_and_b64 s[2:3], vcc, s[2:3]
	s_andn2_b64 s[18:19], s[18:19], exec
	s_and_b64 s[2:3], s[2:3], exec
	s_or_b64 s[18:19], s[18:19], s[2:3]
.LBB138_13:
	s_and_b64 vcc, exec, s[0:1]
	s_cbranch_vccnz .LBB138_200
; %bb.14:
	s_waitcnt vmcnt(5)
	v_cmp_neq_f32_e32 vcc, s12, v21
	v_cmp_neq_f32_e64 s[2:3], s13, v22
	s_or_b64 s[20:21], vcc, s[2:3]
	s_cbranch_execnz .LBB138_16
.LBB138_15:
	s_waitcnt vmcnt(5)
	v_cmp_eq_f32_e32 vcc, s12, v21
	v_cmp_eq_f32_e64 s[2:3], s13, v22
	s_and_b64 s[2:3], vcc, s[2:3]
	s_andn2_b64 s[20:21], s[20:21], exec
	s_and_b64 s[2:3], s[2:3], exec
	s_or_b64 s[20:21], s[20:21], s[2:3]
.LBB138_16:
	s_and_b64 vcc, exec, s[0:1]
	s_cbranch_vccnz .LBB138_201
; %bb.17:
	s_waitcnt vmcnt(5)
	v_cmp_neq_f32_e32 vcc, s12, v23
	v_cmp_neq_f32_e64 s[2:3], s13, v24
	s_or_b64 s[22:23], vcc, s[2:3]
	s_cbranch_execnz .LBB138_19
.LBB138_18:
	s_waitcnt vmcnt(5)
	v_cmp_eq_f32_e32 vcc, s12, v23
	v_cmp_eq_f32_e64 s[2:3], s13, v24
	s_and_b64 s[2:3], vcc, s[2:3]
	s_andn2_b64 s[22:23], s[22:23], exec
	s_and_b64 s[2:3], s[2:3], exec
	s_or_b64 s[22:23], s[22:23], s[2:3]
.LBB138_19:
	s_and_b64 vcc, exec, s[0:1]
	s_cbranch_vccnz .LBB138_202
; %bb.20:
	s_waitcnt vmcnt(4)
	v_cmp_neq_f32_e32 vcc, s12, v17
	v_cmp_neq_f32_e64 s[2:3], s13, v18
	s_or_b64 s[24:25], vcc, s[2:3]
	s_cbranch_execnz .LBB138_22
.LBB138_21:
	s_waitcnt vmcnt(4)
	v_cmp_eq_f32_e32 vcc, s12, v17
	v_cmp_eq_f32_e64 s[2:3], s13, v18
	s_and_b64 s[2:3], vcc, s[2:3]
	s_andn2_b64 s[24:25], s[24:25], exec
	s_and_b64 s[2:3], s[2:3], exec
	s_or_b64 s[24:25], s[24:25], s[2:3]
.LBB138_22:
	s_and_b64 vcc, exec, s[0:1]
	s_cbranch_vccnz .LBB138_203
; %bb.23:
	s_waitcnt vmcnt(4)
	v_cmp_neq_f32_e32 vcc, s12, v19
	v_cmp_neq_f32_e64 s[2:3], s13, v20
	s_or_b64 s[26:27], vcc, s[2:3]
	s_cbranch_execnz .LBB138_25
.LBB138_24:
	s_waitcnt vmcnt(4)
	v_cmp_eq_f32_e32 vcc, s12, v19
	v_cmp_eq_f32_e64 s[2:3], s13, v20
	s_and_b64 s[2:3], vcc, s[2:3]
	s_andn2_b64 s[26:27], s[26:27], exec
	s_and_b64 s[2:3], s[2:3], exec
	s_or_b64 s[26:27], s[26:27], s[2:3]
.LBB138_25:
	s_and_b64 vcc, exec, s[0:1]
	s_cbranch_vccnz .LBB138_204
; %bb.26:
	s_waitcnt vmcnt(3)
	v_cmp_neq_f32_e32 vcc, s12, v13
	v_cmp_neq_f32_e64 s[2:3], s13, v14
	s_or_b64 s[28:29], vcc, s[2:3]
	s_cbranch_execnz .LBB138_28
.LBB138_27:
	s_waitcnt vmcnt(3)
	v_cmp_eq_f32_e32 vcc, s12, v13
	v_cmp_eq_f32_e64 s[2:3], s13, v14
	s_and_b64 s[2:3], vcc, s[2:3]
	s_andn2_b64 s[28:29], s[28:29], exec
	s_and_b64 s[2:3], s[2:3], exec
	s_or_b64 s[28:29], s[28:29], s[2:3]
.LBB138_28:
	s_and_b64 vcc, exec, s[0:1]
	s_cbranch_vccnz .LBB138_205
; %bb.29:
	s_waitcnt vmcnt(3)
	v_cmp_neq_f32_e32 vcc, s12, v15
	v_cmp_neq_f32_e64 s[2:3], s13, v16
	s_or_b64 s[30:31], vcc, s[2:3]
	s_cbranch_execnz .LBB138_31
.LBB138_30:
	s_waitcnt vmcnt(3)
	v_cmp_eq_f32_e32 vcc, s12, v15
	v_cmp_eq_f32_e64 s[2:3], s13, v16
	s_and_b64 s[2:3], vcc, s[2:3]
	s_andn2_b64 s[30:31], s[30:31], exec
	s_and_b64 s[2:3], s[2:3], exec
	s_or_b64 s[30:31], s[30:31], s[2:3]
.LBB138_31:
	s_and_b64 vcc, exec, s[0:1]
	s_cbranch_vccnz .LBB138_206
; %bb.32:
	s_waitcnt vmcnt(2)
	v_cmp_neq_f32_e32 vcc, s12, v9
	v_cmp_neq_f32_e64 s[2:3], s13, v10
	s_or_b64 s[34:35], vcc, s[2:3]
	s_cbranch_execnz .LBB138_34
.LBB138_33:
	s_waitcnt vmcnt(2)
	v_cmp_eq_f32_e32 vcc, s12, v9
	v_cmp_eq_f32_e64 s[2:3], s13, v10
	s_and_b64 s[2:3], vcc, s[2:3]
	s_andn2_b64 s[34:35], s[34:35], exec
	s_and_b64 s[2:3], s[2:3], exec
	s_or_b64 s[34:35], s[34:35], s[2:3]
.LBB138_34:
	s_and_b64 vcc, exec, s[0:1]
	s_cbranch_vccnz .LBB138_207
; %bb.35:
	s_waitcnt vmcnt(2)
	v_cmp_neq_f32_e32 vcc, s12, v11
	v_cmp_neq_f32_e64 s[2:3], s13, v12
	s_or_b64 s[36:37], vcc, s[2:3]
	s_cbranch_execnz .LBB138_37
.LBB138_36:
	s_waitcnt vmcnt(2)
	v_cmp_eq_f32_e32 vcc, s12, v11
	v_cmp_eq_f32_e64 s[2:3], s13, v12
	s_and_b64 s[2:3], vcc, s[2:3]
	s_andn2_b64 s[36:37], s[36:37], exec
	s_and_b64 s[2:3], s[2:3], exec
	s_or_b64 s[36:37], s[36:37], s[2:3]
.LBB138_37:
	s_and_b64 vcc, exec, s[0:1]
	s_cbranch_vccnz .LBB138_208
; %bb.38:
	s_waitcnt vmcnt(1)
	v_cmp_neq_f32_e32 vcc, s12, v5
	v_cmp_neq_f32_e64 s[2:3], s13, v6
	s_or_b64 s[38:39], vcc, s[2:3]
	s_cbranch_execnz .LBB138_40
.LBB138_39:
	s_waitcnt vmcnt(1)
	v_cmp_eq_f32_e32 vcc, s12, v5
	v_cmp_eq_f32_e64 s[2:3], s13, v6
	s_and_b64 s[2:3], vcc, s[2:3]
	s_andn2_b64 s[38:39], s[38:39], exec
	s_and_b64 s[2:3], s[2:3], exec
	s_or_b64 s[38:39], s[38:39], s[2:3]
.LBB138_40:
	s_and_b64 vcc, exec, s[0:1]
	s_cbranch_vccnz .LBB138_209
; %bb.41:
	s_waitcnt vmcnt(1)
	v_cmp_neq_f32_e32 vcc, s12, v7
	v_cmp_neq_f32_e64 s[2:3], s13, v8
	s_or_b64 s[40:41], vcc, s[2:3]
	s_cbranch_execnz .LBB138_43
.LBB138_42:
	s_waitcnt vmcnt(1)
	v_cmp_eq_f32_e32 vcc, s12, v7
	v_cmp_eq_f32_e64 s[2:3], s13, v8
	s_and_b64 s[2:3], vcc, s[2:3]
	s_andn2_b64 s[40:41], s[40:41], exec
	s_and_b64 s[2:3], s[2:3], exec
	s_or_b64 s[40:41], s[40:41], s[2:3]
.LBB138_43:
	s_and_b64 vcc, exec, s[0:1]
	s_cbranch_vccnz .LBB138_210
; %bb.44:
	s_waitcnt vmcnt(0)
	v_cmp_neq_f32_e32 vcc, s12, v1
	v_cmp_neq_f32_e64 s[2:3], s13, v2
	s_or_b64 s[42:43], vcc, s[2:3]
	s_cbranch_execnz .LBB138_46
.LBB138_45:
	s_waitcnt vmcnt(0)
	v_cmp_eq_f32_e32 vcc, s12, v1
	v_cmp_eq_f32_e64 s[2:3], s13, v2
	s_and_b64 s[2:3], vcc, s[2:3]
	s_andn2_b64 s[42:43], s[42:43], exec
	s_and_b64 s[2:3], s[2:3], exec
	s_or_b64 s[42:43], s[42:43], s[2:3]
.LBB138_46:
	s_and_b64 vcc, exec, s[0:1]
	s_cbranch_vccnz .LBB138_211
; %bb.47:
	s_waitcnt vmcnt(0)
	v_cmp_neq_f32_e32 vcc, s12, v3
	v_cmp_neq_f32_e64 s[0:1], s13, v4
	s_or_b64 s[2:3], vcc, s[0:1]
	s_cbranch_execnz .LBB138_49
.LBB138_48:
	s_waitcnt vmcnt(0)
	v_cmp_eq_f32_e32 vcc, s12, v3
	v_cmp_eq_f32_e64 s[0:1], s13, v4
	s_and_b64 s[0:1], vcc, s[0:1]
	s_andn2_b64 s[2:3], s[2:3], exec
	s_and_b64 s[0:1], s[0:1], exec
	s_or_b64 s[2:3], s[2:3], s[0:1]
.LBB138_49:
	s_waitcnt vmcnt(0)
	v_mov_b32_e32 v1, 0x100
	v_cndmask_b32_e64 v2, 0, v1, s[40:41]
	v_cndmask_b32_e64 v3, 0, 1, s[38:39]
	v_or_b32_e32 v2, v2, v3
	v_mov_b32_e32 v3, 0x10000
	v_cndmask_b32_e64 v5, 0, v1, s[30:31]
	v_cndmask_b32_e64 v6, 0, 1, s[28:29]
	v_mov_b32_e32 v7, 0x1000000
	v_or_b32_e32 v5, v5, v6
	v_cndmask_b32_e64 v6, 0, v3, s[34:35]
	v_cndmask_b32_e64 v8, 0, v7, s[36:37]
	v_or3_b32 v5, v5, v6, v8
	v_cndmask_b32_e64 v6, 0, v1, s[22:23]
	v_cndmask_b32_e64 v8, 0, 1, s[20:21]
	v_or_b32_e32 v6, v6, v8
	v_cndmask_b32_e64 v8, 0, v3, s[24:25]
	v_cndmask_b32_e64 v9, 0, v7, s[26:27]
	v_or3_b32 v6, v6, v8, v9
	v_cndmask_b32_e64 v1, 0, v1, s[14:15]
	v_cndmask_b32_e64 v8, 0, 1, s[4:5]
	;; [unrolled: 1-line block ×3, first 2 shown]
	v_or_b32_e32 v1, v1, v8
	v_cndmask_b32_e64 v3, 0, v3, s[16:17]
	v_cndmask_b32_e64 v8, 0, v7, s[18:19]
	v_or3_b32 v1, v1, v3, v8
	v_cndmask_b32_e64 v3, 0, v7, s[2:3]
	s_add_u32 s0, s8, s6
	v_or3_b32 v2, v2, v4, v3
	s_addc_u32 s1, s9, s7
	v_lshlrev_b32_e32 v3, 2, v0
	global_store_dword v3, v1, s[0:1]
	global_store_dword v3, v6, s[0:1] offset:1024
	global_store_dword v3, v5, s[0:1] offset:2048
	;; [unrolled: 1-line block ×3, first 2 shown]
	s_mov_b64 s[0:1], 0
.LBB138_50:
	s_and_b64 vcc, exec, s[0:1]
	s_cbranch_vccz .LBB138_195
; %bb.51:
	v_cmp_gt_i32_e64 s[0:1], s33, v0
	v_mov_b32_e32 v29, 0
	v_or_b32_e32 v1, s6, v0
	v_mov_b32_e32 v33, 0
	v_mov_b32_e32 v32, 0
	;; [unrolled: 1-line block ×3, first 2 shown]
	s_and_saveexec_b64 s[2:3], s[0:1]
	s_cbranch_execz .LBB138_53
; %bb.52:
	v_mov_b32_e32 v2, 0
	v_lshlrev_b64 v[2:3], 3, v[1:2]
	v_mov_b32_e32 v4, s11
	v_add_co_u32_e32 v2, vcc, s10, v2
	v_addc_co_u32_e32 v3, vcc, v4, v3, vcc
	global_load_dwordx2 v[32:33], v[2:3], off
	v_or_b32_e32 v34, 0x100, v0
.LBB138_53:
	s_or_b64 exec, exec, s[2:3]
	v_cmp_gt_i32_e32 vcc, s33, v34
	v_mov_b32_e32 v28, 0
	s_and_saveexec_b64 s[2:3], vcc
	s_cbranch_execz .LBB138_55
; %bb.54:
	v_add_u32_e32 v2, s6, v34
	v_mov_b32_e32 v3, 0
	v_lshlrev_b64 v[2:3], 3, v[2:3]
	v_mov_b32_e32 v4, s11
	v_add_co_u32_e32 v2, vcc, s10, v2
	v_addc_co_u32_e32 v3, vcc, v4, v3, vcc
	global_load_dwordx2 v[28:29], v[2:3], off
	v_add_u32_e32 v34, 0x100, v34
.LBB138_55:
	s_or_b64 exec, exec, s[2:3]
	v_cmp_gt_i32_e32 vcc, s33, v34
	v_mov_b32_e32 v25, 0
	v_mov_b32_e32 v31, 0
	v_mov_b32_e32 v30, 0
	s_and_saveexec_b64 s[2:3], vcc
	s_cbranch_execz .LBB138_57
; %bb.56:
	v_add_u32_e32 v2, s6, v34
	v_mov_b32_e32 v3, 0
	v_lshlrev_b64 v[2:3], 3, v[2:3]
	v_mov_b32_e32 v4, s11
	v_add_co_u32_e32 v2, vcc, s10, v2
	v_addc_co_u32_e32 v3, vcc, v4, v3, vcc
	global_load_dwordx2 v[30:31], v[2:3], off
	v_add_u32_e32 v34, 0x100, v34
.LBB138_57:
	s_or_b64 exec, exec, s[2:3]
	v_cmp_gt_i32_e32 vcc, s33, v34
	v_mov_b32_e32 v24, 0
	s_and_saveexec_b64 s[2:3], vcc
	s_cbranch_execz .LBB138_59
; %bb.58:
	v_add_u32_e32 v2, s6, v34
	v_mov_b32_e32 v3, 0
	v_lshlrev_b64 v[2:3], 3, v[2:3]
	v_mov_b32_e32 v4, s11
	v_add_co_u32_e32 v2, vcc, s10, v2
	v_addc_co_u32_e32 v3, vcc, v4, v3, vcc
	global_load_dwordx2 v[24:25], v[2:3], off
	v_add_u32_e32 v34, 0x100, v34
.LBB138_59:
	s_or_b64 exec, exec, s[2:3]
	v_cmp_gt_i32_e32 vcc, s33, v34
	v_mov_b32_e32 v21, 0
	v_mov_b32_e32 v27, 0
	v_mov_b32_e32 v26, 0
	s_and_saveexec_b64 s[2:3], vcc
	s_cbranch_execz .LBB138_61
; %bb.60:
	v_add_u32_e32 v2, s6, v34
	v_mov_b32_e32 v3, 0
	v_lshlrev_b64 v[2:3], 3, v[2:3]
	v_mov_b32_e32 v4, s11
	v_add_co_u32_e32 v2, vcc, s10, v2
	v_addc_co_u32_e32 v3, vcc, v4, v3, vcc
	global_load_dwordx2 v[26:27], v[2:3], off
	v_add_u32_e32 v34, 0x100, v34
.LBB138_61:
	;; [unrolled: 32-line block ×7, first 2 shown]
	s_or_b64 exec, exec, s[2:3]
	v_cmp_gt_i32_e32 vcc, s33, v34
	v_mov_b32_e32 v2, 0
	s_and_saveexec_b64 s[2:3], vcc
	s_cbranch_execz .LBB138_83
; %bb.82:
	v_add_u32_e32 v2, s6, v34
	v_mov_b32_e32 v3, 0
	v_lshlrev_b64 v[2:3], 3, v[2:3]
	v_mov_b32_e32 v34, s11
	v_add_co_u32_e32 v2, vcc, s10, v2
	v_addc_co_u32_e32 v3, vcc, v34, v3, vcc
	global_load_dwordx2 v[2:3], v[2:3], off
.LBB138_83:
	s_or_b64 exec, exec, s[2:3]
	s_cmp_lg_u32 s44, 0
	s_cselect_b64 s[4:5], -1, 0
                                        ; implicit-def: $vgpr34
	s_and_saveexec_b64 s[10:11], s[0:1]
	s_cbranch_execz .LBB138_88
; %bb.84:
	s_and_b64 vcc, exec, s[4:5]
	s_cbranch_vccz .LBB138_212
; %bb.85:
	s_waitcnt vmcnt(0)
	v_cmp_neq_f32_e32 vcc, s12, v32
	v_cmp_neq_f32_e64 s[2:3], s13, v33
	s_or_b64 s[14:15], vcc, s[2:3]
	s_cbranch_execnz .LBB138_87
.LBB138_86:
	s_waitcnt vmcnt(0)
	v_cmp_eq_f32_e32 vcc, s12, v32
	v_cmp_eq_f32_e64 s[2:3], s13, v33
	s_and_b64 s[2:3], vcc, s[2:3]
	s_andn2_b64 s[14:15], s[14:15], exec
	s_and_b64 s[2:3], s[2:3], exec
	s_or_b64 s[14:15], s[14:15], s[2:3]
.LBB138_87:
	v_cndmask_b32_e64 v34, 0, 1, s[14:15]
.LBB138_88:
	s_or_b64 exec, exec, s[10:11]
	s_waitcnt vmcnt(0)
	v_or_b32_e32 v32, 0x100, v0
	v_cndmask_b32_e64 v33, 0, 1, s[4:5]
	v_cmp_gt_i32_e32 vcc, s33, v32
	v_cmp_ne_u32_e64 s[2:3], 1, v33
                                        ; implicit-def: $vgpr33
	s_and_saveexec_b64 s[10:11], vcc
	s_cbranch_execz .LBB138_93
; %bb.89:
	s_and_b64 vcc, exec, s[2:3]
	s_cbranch_vccnz .LBB138_213
; %bb.90:
	v_cmp_neq_f32_e32 vcc, s12, v28
	v_cmp_neq_f32_e64 s[4:5], s13, v29
	s_or_b64 s[14:15], vcc, s[4:5]
	s_cbranch_execnz .LBB138_92
.LBB138_91:
	v_cmp_eq_f32_e32 vcc, s12, v28
	v_cmp_eq_f32_e64 s[4:5], s13, v29
	s_and_b64 s[4:5], vcc, s[4:5]
	s_andn2_b64 s[14:15], s[14:15], exec
	s_and_b64 s[4:5], s[4:5], exec
	s_or_b64 s[14:15], s[14:15], s[4:5]
.LBB138_92:
	v_cndmask_b32_e64 v33, 0, 1, s[14:15]
.LBB138_93:
	s_or_b64 exec, exec, s[10:11]
	v_or_b32_e32 v28, 0x200, v0
	v_cmp_gt_i32_e32 vcc, s33, v28
                                        ; implicit-def: $vgpr28
	s_and_saveexec_b64 s[10:11], vcc
	s_cbranch_execz .LBB138_98
; %bb.94:
	s_and_b64 vcc, exec, s[2:3]
	s_cbranch_vccnz .LBB138_214
; %bb.95:
	v_cmp_neq_f32_e32 vcc, s12, v30
	v_cmp_neq_f32_e64 s[4:5], s13, v31
	s_or_b64 s[14:15], vcc, s[4:5]
	s_cbranch_execnz .LBB138_97
.LBB138_96:
	v_cmp_eq_f32_e32 vcc, s12, v30
	v_cmp_eq_f32_e64 s[4:5], s13, v31
	s_and_b64 s[4:5], vcc, s[4:5]
	s_andn2_b64 s[14:15], s[14:15], exec
	s_and_b64 s[4:5], s[4:5], exec
	s_or_b64 s[14:15], s[14:15], s[4:5]
.LBB138_97:
	v_cndmask_b32_e64 v28, 0, 1, s[14:15]
.LBB138_98:
	s_or_b64 exec, exec, s[10:11]
	v_or_b32_e32 v29, 0x300, v0
	v_cmp_gt_i32_e32 vcc, s33, v29
                                        ; implicit-def: $vgpr29
	s_and_saveexec_b64 s[10:11], vcc
	s_cbranch_execz .LBB138_103
; %bb.99:
	s_and_b64 vcc, exec, s[2:3]
	s_cbranch_vccnz .LBB138_215
; %bb.100:
	v_cmp_neq_f32_e32 vcc, s12, v24
	v_cmp_neq_f32_e64 s[4:5], s13, v25
	s_or_b64 s[14:15], vcc, s[4:5]
	s_cbranch_execnz .LBB138_102
.LBB138_101:
	v_cmp_eq_f32_e32 vcc, s12, v24
	v_cmp_eq_f32_e64 s[4:5], s13, v25
	s_and_b64 s[4:5], vcc, s[4:5]
	s_andn2_b64 s[14:15], s[14:15], exec
	s_and_b64 s[4:5], s[4:5], exec
	s_or_b64 s[14:15], s[14:15], s[4:5]
.LBB138_102:
	v_cndmask_b32_e64 v29, 0, 1, s[14:15]
.LBB138_103:
	s_or_b64 exec, exec, s[10:11]
	v_or_b32_e32 v24, 0x400, v0
	v_cmp_gt_i32_e32 vcc, s33, v24
                                        ; implicit-def: $vgpr24
	s_and_saveexec_b64 s[10:11], vcc
	s_cbranch_execz .LBB138_108
; %bb.104:
	s_and_b64 vcc, exec, s[2:3]
	s_cbranch_vccnz .LBB138_216
; %bb.105:
	v_cmp_neq_f32_e32 vcc, s12, v26
	v_cmp_neq_f32_e64 s[4:5], s13, v27
	s_or_b64 s[14:15], vcc, s[4:5]
	s_cbranch_execnz .LBB138_107
.LBB138_106:
	v_cmp_eq_f32_e32 vcc, s12, v26
	v_cmp_eq_f32_e64 s[4:5], s13, v27
	s_and_b64 s[4:5], vcc, s[4:5]
	s_andn2_b64 s[14:15], s[14:15], exec
	s_and_b64 s[4:5], s[4:5], exec
	s_or_b64 s[14:15], s[14:15], s[4:5]
.LBB138_107:
	v_cndmask_b32_e64 v24, 0, 1, s[14:15]
.LBB138_108:
	s_or_b64 exec, exec, s[10:11]
	v_or_b32_e32 v25, 0x500, v0
	v_cmp_gt_i32_e32 vcc, s33, v25
                                        ; implicit-def: $vgpr25
	s_and_saveexec_b64 s[10:11], vcc
	s_cbranch_execz .LBB138_113
; %bb.109:
	s_and_b64 vcc, exec, s[2:3]
	s_cbranch_vccnz .LBB138_217
; %bb.110:
	v_cmp_neq_f32_e32 vcc, s12, v20
	v_cmp_neq_f32_e64 s[4:5], s13, v21
	s_or_b64 s[14:15], vcc, s[4:5]
	s_cbranch_execnz .LBB138_112
.LBB138_111:
	v_cmp_eq_f32_e32 vcc, s12, v20
	v_cmp_eq_f32_e64 s[4:5], s13, v21
	s_and_b64 s[4:5], vcc, s[4:5]
	s_andn2_b64 s[14:15], s[14:15], exec
	s_and_b64 s[4:5], s[4:5], exec
	s_or_b64 s[14:15], s[14:15], s[4:5]
.LBB138_112:
	v_cndmask_b32_e64 v25, 0, 1, s[14:15]
.LBB138_113:
	s_or_b64 exec, exec, s[10:11]
	v_or_b32_e32 v20, 0x600, v0
	v_cmp_gt_i32_e32 vcc, s33, v20
                                        ; implicit-def: $vgpr20
	s_and_saveexec_b64 s[10:11], vcc
	s_cbranch_execz .LBB138_118
; %bb.114:
	s_and_b64 vcc, exec, s[2:3]
	s_cbranch_vccnz .LBB138_218
; %bb.115:
	v_cmp_neq_f32_e32 vcc, s12, v22
	v_cmp_neq_f32_e64 s[4:5], s13, v23
	s_or_b64 s[14:15], vcc, s[4:5]
	s_cbranch_execnz .LBB138_117
.LBB138_116:
	v_cmp_eq_f32_e32 vcc, s12, v22
	v_cmp_eq_f32_e64 s[4:5], s13, v23
	s_and_b64 s[4:5], vcc, s[4:5]
	s_andn2_b64 s[14:15], s[14:15], exec
	s_and_b64 s[4:5], s[4:5], exec
	s_or_b64 s[14:15], s[14:15], s[4:5]
.LBB138_117:
	v_cndmask_b32_e64 v20, 0, 1, s[14:15]
.LBB138_118:
	s_or_b64 exec, exec, s[10:11]
	v_or_b32_e32 v21, 0x700, v0
	v_cmp_gt_i32_e32 vcc, s33, v21
                                        ; implicit-def: $vgpr21
	s_and_saveexec_b64 s[10:11], vcc
	s_cbranch_execz .LBB138_123
; %bb.119:
	s_and_b64 vcc, exec, s[2:3]
	s_cbranch_vccnz .LBB138_219
; %bb.120:
	v_cmp_neq_f32_e32 vcc, s12, v16
	v_cmp_neq_f32_e64 s[4:5], s13, v17
	s_or_b64 s[14:15], vcc, s[4:5]
	s_cbranch_execnz .LBB138_122
.LBB138_121:
	v_cmp_eq_f32_e32 vcc, s12, v16
	v_cmp_eq_f32_e64 s[4:5], s13, v17
	s_and_b64 s[4:5], vcc, s[4:5]
	s_andn2_b64 s[14:15], s[14:15], exec
	s_and_b64 s[4:5], s[4:5], exec
	s_or_b64 s[14:15], s[14:15], s[4:5]
.LBB138_122:
	v_cndmask_b32_e64 v21, 0, 1, s[14:15]
.LBB138_123:
	s_or_b64 exec, exec, s[10:11]
	v_or_b32_e32 v16, 0x800, v0
	v_cmp_gt_i32_e32 vcc, s33, v16
                                        ; implicit-def: $vgpr16
	s_and_saveexec_b64 s[10:11], vcc
	s_cbranch_execz .LBB138_128
; %bb.124:
	s_and_b64 vcc, exec, s[2:3]
	s_cbranch_vccnz .LBB138_220
; %bb.125:
	v_cmp_neq_f32_e32 vcc, s12, v18
	v_cmp_neq_f32_e64 s[4:5], s13, v19
	s_or_b64 s[14:15], vcc, s[4:5]
	s_cbranch_execnz .LBB138_127
.LBB138_126:
	v_cmp_eq_f32_e32 vcc, s12, v18
	v_cmp_eq_f32_e64 s[4:5], s13, v19
	s_and_b64 s[4:5], vcc, s[4:5]
	s_andn2_b64 s[14:15], s[14:15], exec
	s_and_b64 s[4:5], s[4:5], exec
	s_or_b64 s[14:15], s[14:15], s[4:5]
.LBB138_127:
	v_cndmask_b32_e64 v16, 0, 1, s[14:15]
.LBB138_128:
	s_or_b64 exec, exec, s[10:11]
	v_or_b32_e32 v17, 0x900, v0
	v_cmp_gt_i32_e32 vcc, s33, v17
                                        ; implicit-def: $vgpr17
	s_and_saveexec_b64 s[10:11], vcc
	s_cbranch_execz .LBB138_133
; %bb.129:
	s_and_b64 vcc, exec, s[2:3]
	s_cbranch_vccnz .LBB138_221
; %bb.130:
	v_cmp_neq_f32_e32 vcc, s12, v12
	v_cmp_neq_f32_e64 s[4:5], s13, v13
	s_or_b64 s[14:15], vcc, s[4:5]
	s_cbranch_execnz .LBB138_132
.LBB138_131:
	v_cmp_eq_f32_e32 vcc, s12, v12
	v_cmp_eq_f32_e64 s[4:5], s13, v13
	s_and_b64 s[4:5], vcc, s[4:5]
	s_andn2_b64 s[14:15], s[14:15], exec
	s_and_b64 s[4:5], s[4:5], exec
	s_or_b64 s[14:15], s[14:15], s[4:5]
.LBB138_132:
	v_cndmask_b32_e64 v17, 0, 1, s[14:15]
.LBB138_133:
	s_or_b64 exec, exec, s[10:11]
	v_or_b32_e32 v12, 0xa00, v0
	v_cmp_gt_i32_e32 vcc, s33, v12
                                        ; implicit-def: $vgpr12
	s_and_saveexec_b64 s[10:11], vcc
	s_cbranch_execz .LBB138_138
; %bb.134:
	s_and_b64 vcc, exec, s[2:3]
	s_cbranch_vccnz .LBB138_222
; %bb.135:
	v_cmp_neq_f32_e32 vcc, s12, v14
	v_cmp_neq_f32_e64 s[4:5], s13, v15
	s_or_b64 s[14:15], vcc, s[4:5]
	s_cbranch_execnz .LBB138_137
.LBB138_136:
	v_cmp_eq_f32_e32 vcc, s12, v14
	v_cmp_eq_f32_e64 s[4:5], s13, v15
	s_and_b64 s[4:5], vcc, s[4:5]
	s_andn2_b64 s[14:15], s[14:15], exec
	s_and_b64 s[4:5], s[4:5], exec
	s_or_b64 s[14:15], s[14:15], s[4:5]
.LBB138_137:
	v_cndmask_b32_e64 v12, 0, 1, s[14:15]
.LBB138_138:
	s_or_b64 exec, exec, s[10:11]
	v_or_b32_e32 v13, 0xb00, v0
	v_cmp_gt_i32_e32 vcc, s33, v13
                                        ; implicit-def: $vgpr13
	s_and_saveexec_b64 s[10:11], vcc
	s_cbranch_execz .LBB138_143
; %bb.139:
	s_and_b64 vcc, exec, s[2:3]
	s_cbranch_vccnz .LBB138_223
; %bb.140:
	v_cmp_neq_f32_e32 vcc, s12, v8
	v_cmp_neq_f32_e64 s[4:5], s13, v9
	s_or_b64 s[14:15], vcc, s[4:5]
	s_cbranch_execnz .LBB138_142
.LBB138_141:
	v_cmp_eq_f32_e32 vcc, s12, v8
	v_cmp_eq_f32_e64 s[4:5], s13, v9
	s_and_b64 s[4:5], vcc, s[4:5]
	s_andn2_b64 s[14:15], s[14:15], exec
	s_and_b64 s[4:5], s[4:5], exec
	s_or_b64 s[14:15], s[14:15], s[4:5]
.LBB138_142:
	v_cndmask_b32_e64 v13, 0, 1, s[14:15]
.LBB138_143:
	s_or_b64 exec, exec, s[10:11]
	v_or_b32_e32 v8, 0xc00, v0
	v_cmp_gt_i32_e32 vcc, s33, v8
                                        ; implicit-def: $vgpr8
	s_and_saveexec_b64 s[10:11], vcc
	s_cbranch_execz .LBB138_148
; %bb.144:
	s_and_b64 vcc, exec, s[2:3]
	s_cbranch_vccnz .LBB138_224
; %bb.145:
	v_cmp_neq_f32_e32 vcc, s12, v10
	v_cmp_neq_f32_e64 s[4:5], s13, v11
	s_or_b64 s[14:15], vcc, s[4:5]
	s_cbranch_execnz .LBB138_147
.LBB138_146:
	v_cmp_eq_f32_e32 vcc, s12, v10
	v_cmp_eq_f32_e64 s[4:5], s13, v11
	s_and_b64 s[4:5], vcc, s[4:5]
	s_andn2_b64 s[14:15], s[14:15], exec
	s_and_b64 s[4:5], s[4:5], exec
	s_or_b64 s[14:15], s[14:15], s[4:5]
.LBB138_147:
	v_cndmask_b32_e64 v8, 0, 1, s[14:15]
.LBB138_148:
	s_or_b64 exec, exec, s[10:11]
	v_or_b32_e32 v9, 0xd00, v0
	v_cmp_gt_i32_e32 vcc, s33, v9
                                        ; implicit-def: $vgpr9
	s_and_saveexec_b64 s[10:11], vcc
	s_cbranch_execz .LBB138_153
; %bb.149:
	s_and_b64 vcc, exec, s[2:3]
	s_cbranch_vccnz .LBB138_225
; %bb.150:
	v_cmp_neq_f32_e32 vcc, s12, v4
	v_cmp_neq_f32_e64 s[4:5], s13, v5
	s_or_b64 s[14:15], vcc, s[4:5]
	s_cbranch_execnz .LBB138_152
.LBB138_151:
	v_cmp_eq_f32_e32 vcc, s12, v4
	v_cmp_eq_f32_e64 s[4:5], s13, v5
	s_and_b64 s[4:5], vcc, s[4:5]
	s_andn2_b64 s[14:15], s[14:15], exec
	s_and_b64 s[4:5], s[4:5], exec
	s_or_b64 s[14:15], s[14:15], s[4:5]
.LBB138_152:
	v_cndmask_b32_e64 v9, 0, 1, s[14:15]
.LBB138_153:
	s_or_b64 exec, exec, s[10:11]
	v_or_b32_e32 v4, 0xe00, v0
	v_cmp_gt_i32_e32 vcc, s33, v4
                                        ; implicit-def: $vgpr4
	s_and_saveexec_b64 s[10:11], vcc
	s_cbranch_execz .LBB138_158
; %bb.154:
	s_and_b64 vcc, exec, s[2:3]
	s_cbranch_vccnz .LBB138_226
; %bb.155:
	v_cmp_neq_f32_e32 vcc, s12, v6
	v_cmp_neq_f32_e64 s[4:5], s13, v7
	s_or_b64 s[14:15], vcc, s[4:5]
	s_cbranch_execnz .LBB138_157
.LBB138_156:
	v_cmp_eq_f32_e32 vcc, s12, v6
	v_cmp_eq_f32_e64 s[4:5], s13, v7
	s_and_b64 s[4:5], vcc, s[4:5]
	s_andn2_b64 s[14:15], s[14:15], exec
	s_and_b64 s[4:5], s[4:5], exec
	s_or_b64 s[14:15], s[14:15], s[4:5]
.LBB138_157:
	v_cndmask_b32_e64 v4, 0, 1, s[14:15]
.LBB138_158:
	s_or_b64 exec, exec, s[10:11]
	v_or_b32_e32 v5, 0xf00, v0
	v_cmp_gt_i32_e32 vcc, s33, v5
                                        ; implicit-def: $vgpr5
	s_and_saveexec_b64 s[4:5], vcc
	s_cbranch_execz .LBB138_163
; %bb.159:
	s_and_b64 vcc, exec, s[2:3]
	s_cbranch_vccnz .LBB138_227
; %bb.160:
	v_cmp_neq_f32_e32 vcc, s12, v2
	v_cmp_neq_f32_e64 s[2:3], s13, v3
	s_or_b64 s[10:11], vcc, s[2:3]
	s_cbranch_execnz .LBB138_162
.LBB138_161:
	v_cmp_eq_f32_e32 vcc, s12, v2
	v_cmp_eq_f32_e64 s[2:3], s13, v3
	s_and_b64 s[2:3], vcc, s[2:3]
	s_andn2_b64 s[10:11], s[10:11], exec
	s_and_b64 s[2:3], s[2:3], exec
	s_or_b64 s[10:11], s[10:11], s[2:3]
.LBB138_162:
	v_cndmask_b32_e64 v5, 0, 1, s[10:11]
.LBB138_163:
	s_or_b64 exec, exec, s[4:5]
	s_and_saveexec_b64 s[2:3], s[0:1]
	s_xor_b64 s[0:1], exec, s[2:3]
	s_cbranch_execz .LBB138_165
; %bb.164:
	v_mov_b32_e32 v0, v32
	global_store_byte v1, v34, s[8:9]
.LBB138_165:
	s_or_b64 exec, exec, s[0:1]
	v_cmp_gt_i32_e32 vcc, s33, v0
	s_and_saveexec_b64 s[0:1], vcc
	s_cbranch_execnz .LBB138_181
; %bb.166:
	s_or_b64 exec, exec, s[0:1]
	v_cmp_gt_i32_e32 vcc, s33, v0
	s_and_saveexec_b64 s[0:1], vcc
	s_cbranch_execnz .LBB138_182
.LBB138_167:
	s_or_b64 exec, exec, s[0:1]
	v_cmp_gt_i32_e32 vcc, s33, v0
	s_and_saveexec_b64 s[0:1], vcc
	s_cbranch_execnz .LBB138_183
.LBB138_168:
	s_or_b64 exec, exec, s[0:1]
	v_cmp_gt_i32_e32 vcc, s33, v0
	s_and_saveexec_b64 s[0:1], vcc
	s_cbranch_execnz .LBB138_184
.LBB138_169:
	s_or_b64 exec, exec, s[0:1]
	v_cmp_gt_i32_e32 vcc, s33, v0
	s_and_saveexec_b64 s[0:1], vcc
	s_cbranch_execnz .LBB138_185
.LBB138_170:
	s_or_b64 exec, exec, s[0:1]
	v_cmp_gt_i32_e32 vcc, s33, v0
	s_and_saveexec_b64 s[0:1], vcc
	s_cbranch_execnz .LBB138_186
.LBB138_171:
	s_or_b64 exec, exec, s[0:1]
	v_cmp_gt_i32_e32 vcc, s33, v0
	s_and_saveexec_b64 s[0:1], vcc
	s_cbranch_execnz .LBB138_187
.LBB138_172:
	s_or_b64 exec, exec, s[0:1]
	v_cmp_gt_i32_e32 vcc, s33, v0
	s_and_saveexec_b64 s[0:1], vcc
	s_cbranch_execnz .LBB138_188
.LBB138_173:
	s_or_b64 exec, exec, s[0:1]
	v_cmp_gt_i32_e32 vcc, s33, v0
	s_and_saveexec_b64 s[0:1], vcc
	s_cbranch_execnz .LBB138_189
.LBB138_174:
	s_or_b64 exec, exec, s[0:1]
	v_cmp_gt_i32_e32 vcc, s33, v0
	s_and_saveexec_b64 s[0:1], vcc
	s_cbranch_execnz .LBB138_190
.LBB138_175:
	s_or_b64 exec, exec, s[0:1]
	v_cmp_gt_i32_e32 vcc, s33, v0
	s_and_saveexec_b64 s[0:1], vcc
	s_cbranch_execnz .LBB138_191
.LBB138_176:
	s_or_b64 exec, exec, s[0:1]
	v_cmp_gt_i32_e32 vcc, s33, v0
	s_and_saveexec_b64 s[0:1], vcc
	s_cbranch_execnz .LBB138_192
.LBB138_177:
	s_or_b64 exec, exec, s[0:1]
	v_cmp_gt_i32_e32 vcc, s33, v0
	s_and_saveexec_b64 s[0:1], vcc
	s_cbranch_execnz .LBB138_193
.LBB138_178:
	s_or_b64 exec, exec, s[0:1]
	v_cmp_gt_i32_e32 vcc, s33, v0
	s_and_saveexec_b64 s[0:1], vcc
	s_cbranch_execnz .LBB138_194
.LBB138_179:
	s_or_b64 exec, exec, s[0:1]
	v_cmp_gt_i32_e32 vcc, s33, v0
	s_and_saveexec_b64 s[0:1], vcc
	s_cbranch_execz .LBB138_195
.LBB138_180:
	v_add_u32_e32 v0, s6, v0
	global_store_byte v0, v5, s[8:9]
	s_endpgm
.LBB138_181:
	v_add_u32_e32 v1, s6, v0
	v_add_u32_e32 v0, 0x100, v0
	global_store_byte v1, v33, s[8:9]
	s_or_b64 exec, exec, s[0:1]
	v_cmp_gt_i32_e32 vcc, s33, v0
	s_and_saveexec_b64 s[0:1], vcc
	s_cbranch_execz .LBB138_167
.LBB138_182:
	v_add_u32_e32 v1, s6, v0
	v_add_u32_e32 v0, 0x100, v0
	global_store_byte v1, v28, s[8:9]
	s_or_b64 exec, exec, s[0:1]
	v_cmp_gt_i32_e32 vcc, s33, v0
	s_and_saveexec_b64 s[0:1], vcc
	s_cbranch_execz .LBB138_168
.LBB138_183:
	v_add_u32_e32 v1, s6, v0
	v_add_u32_e32 v0, 0x100, v0
	global_store_byte v1, v29, s[8:9]
	s_or_b64 exec, exec, s[0:1]
	v_cmp_gt_i32_e32 vcc, s33, v0
	s_and_saveexec_b64 s[0:1], vcc
	s_cbranch_execz .LBB138_169
.LBB138_184:
	v_add_u32_e32 v1, s6, v0
	v_add_u32_e32 v0, 0x100, v0
	global_store_byte v1, v24, s[8:9]
	s_or_b64 exec, exec, s[0:1]
	v_cmp_gt_i32_e32 vcc, s33, v0
	s_and_saveexec_b64 s[0:1], vcc
	s_cbranch_execz .LBB138_170
.LBB138_185:
	v_add_u32_e32 v1, s6, v0
	v_add_u32_e32 v0, 0x100, v0
	global_store_byte v1, v25, s[8:9]
	s_or_b64 exec, exec, s[0:1]
	v_cmp_gt_i32_e32 vcc, s33, v0
	s_and_saveexec_b64 s[0:1], vcc
	s_cbranch_execz .LBB138_171
.LBB138_186:
	v_add_u32_e32 v1, s6, v0
	v_add_u32_e32 v0, 0x100, v0
	global_store_byte v1, v20, s[8:9]
	s_or_b64 exec, exec, s[0:1]
	v_cmp_gt_i32_e32 vcc, s33, v0
	s_and_saveexec_b64 s[0:1], vcc
	s_cbranch_execz .LBB138_172
.LBB138_187:
	v_add_u32_e32 v1, s6, v0
	v_add_u32_e32 v0, 0x100, v0
	global_store_byte v1, v21, s[8:9]
	s_or_b64 exec, exec, s[0:1]
	v_cmp_gt_i32_e32 vcc, s33, v0
	s_and_saveexec_b64 s[0:1], vcc
	s_cbranch_execz .LBB138_173
.LBB138_188:
	v_add_u32_e32 v1, s6, v0
	v_add_u32_e32 v0, 0x100, v0
	global_store_byte v1, v16, s[8:9]
	s_or_b64 exec, exec, s[0:1]
	v_cmp_gt_i32_e32 vcc, s33, v0
	s_and_saveexec_b64 s[0:1], vcc
	s_cbranch_execz .LBB138_174
.LBB138_189:
	v_add_u32_e32 v1, s6, v0
	v_add_u32_e32 v0, 0x100, v0
	global_store_byte v1, v17, s[8:9]
	s_or_b64 exec, exec, s[0:1]
	v_cmp_gt_i32_e32 vcc, s33, v0
	s_and_saveexec_b64 s[0:1], vcc
	s_cbranch_execz .LBB138_175
.LBB138_190:
	v_add_u32_e32 v1, s6, v0
	v_add_u32_e32 v0, 0x100, v0
	global_store_byte v1, v12, s[8:9]
	s_or_b64 exec, exec, s[0:1]
	v_cmp_gt_i32_e32 vcc, s33, v0
	s_and_saveexec_b64 s[0:1], vcc
	s_cbranch_execz .LBB138_176
.LBB138_191:
	v_add_u32_e32 v1, s6, v0
	v_add_u32_e32 v0, 0x100, v0
	global_store_byte v1, v13, s[8:9]
	s_or_b64 exec, exec, s[0:1]
	v_cmp_gt_i32_e32 vcc, s33, v0
	s_and_saveexec_b64 s[0:1], vcc
	s_cbranch_execz .LBB138_177
.LBB138_192:
	v_add_u32_e32 v1, s6, v0
	v_add_u32_e32 v0, 0x100, v0
	global_store_byte v1, v8, s[8:9]
	s_or_b64 exec, exec, s[0:1]
	v_cmp_gt_i32_e32 vcc, s33, v0
	s_and_saveexec_b64 s[0:1], vcc
	s_cbranch_execz .LBB138_178
.LBB138_193:
	v_add_u32_e32 v1, s6, v0
	v_add_u32_e32 v0, 0x100, v0
	global_store_byte v1, v9, s[8:9]
	s_or_b64 exec, exec, s[0:1]
	v_cmp_gt_i32_e32 vcc, s33, v0
	s_and_saveexec_b64 s[0:1], vcc
	s_cbranch_execz .LBB138_179
.LBB138_194:
	v_add_u32_e32 v1, s6, v0
	v_add_u32_e32 v0, 0x100, v0
	global_store_byte v1, v4, s[8:9]
	s_or_b64 exec, exec, s[0:1]
	v_cmp_gt_i32_e32 vcc, s33, v0
	s_and_saveexec_b64 s[0:1], vcc
	s_cbranch_execnz .LBB138_180
.LBB138_195:
	s_endpgm
.LBB138_196:
                                        ; implicit-def: $sgpr4_sgpr5
	s_branch .LBB138_3
.LBB138_197:
                                        ; implicit-def: $sgpr14_sgpr15
	s_branch .LBB138_6
.LBB138_198:
                                        ; implicit-def: $sgpr16_sgpr17
	s_branch .LBB138_9
.LBB138_199:
                                        ; implicit-def: $sgpr18_sgpr19
	s_branch .LBB138_12
.LBB138_200:
                                        ; implicit-def: $sgpr20_sgpr21
	s_branch .LBB138_15
.LBB138_201:
                                        ; implicit-def: $sgpr22_sgpr23
	s_branch .LBB138_18
.LBB138_202:
                                        ; implicit-def: $sgpr24_sgpr25
	s_branch .LBB138_21
.LBB138_203:
                                        ; implicit-def: $sgpr26_sgpr27
	s_branch .LBB138_24
.LBB138_204:
                                        ; implicit-def: $sgpr28_sgpr29
	s_branch .LBB138_27
.LBB138_205:
                                        ; implicit-def: $sgpr30_sgpr31
	s_branch .LBB138_30
.LBB138_206:
                                        ; implicit-def: $sgpr34_sgpr35
	s_branch .LBB138_33
.LBB138_207:
                                        ; implicit-def: $sgpr36_sgpr37
	s_branch .LBB138_36
.LBB138_208:
                                        ; implicit-def: $sgpr38_sgpr39
	s_branch .LBB138_39
.LBB138_209:
                                        ; implicit-def: $sgpr40_sgpr41
	s_branch .LBB138_42
.LBB138_210:
                                        ; implicit-def: $sgpr42_sgpr43
	s_branch .LBB138_45
.LBB138_211:
                                        ; implicit-def: $sgpr2_sgpr3
	s_branch .LBB138_48
.LBB138_212:
                                        ; implicit-def: $sgpr14_sgpr15
	s_branch .LBB138_86
.LBB138_213:
                                        ; implicit-def: $sgpr14_sgpr15
	s_branch .LBB138_91
.LBB138_214:
                                        ; implicit-def: $sgpr14_sgpr15
	s_branch .LBB138_96
.LBB138_215:
                                        ; implicit-def: $sgpr14_sgpr15
	s_branch .LBB138_101
.LBB138_216:
                                        ; implicit-def: $sgpr14_sgpr15
	s_branch .LBB138_106
.LBB138_217:
                                        ; implicit-def: $sgpr14_sgpr15
	s_branch .LBB138_111
.LBB138_218:
                                        ; implicit-def: $sgpr14_sgpr15
	s_branch .LBB138_116
.LBB138_219:
                                        ; implicit-def: $sgpr14_sgpr15
	s_branch .LBB138_121
.LBB138_220:
                                        ; implicit-def: $sgpr14_sgpr15
	s_branch .LBB138_126
.LBB138_221:
                                        ; implicit-def: $sgpr14_sgpr15
	s_branch .LBB138_131
.LBB138_222:
                                        ; implicit-def: $sgpr14_sgpr15
	s_branch .LBB138_136
.LBB138_223:
                                        ; implicit-def: $sgpr14_sgpr15
	s_branch .LBB138_141
.LBB138_224:
                                        ; implicit-def: $sgpr14_sgpr15
	s_branch .LBB138_146
.LBB138_225:
                                        ; implicit-def: $sgpr14_sgpr15
	s_branch .LBB138_151
.LBB138_226:
                                        ; implicit-def: $sgpr14_sgpr15
	s_branch .LBB138_156
.LBB138_227:
                                        ; implicit-def: $sgpr10_sgpr11
	s_branch .LBB138_161
	.section	.rodata,"a",@progbits
	.p2align	6, 0x0
	.amdhsa_kernel _ZN2at6native29vectorized_elementwise_kernelILi4ENS0_13AUnaryFunctorIN3c107complexIfEES5_bNS0_12_GLOBAL__N_116CompareEqFunctorIS5_EEEESt5arrayIPcLm2EEEEviT0_T1_
		.amdhsa_group_segment_fixed_size 0
		.amdhsa_private_segment_fixed_size 0
		.amdhsa_kernarg_size 40
		.amdhsa_user_sgpr_count 6
		.amdhsa_user_sgpr_private_segment_buffer 1
		.amdhsa_user_sgpr_dispatch_ptr 0
		.amdhsa_user_sgpr_queue_ptr 0
		.amdhsa_user_sgpr_kernarg_segment_ptr 1
		.amdhsa_user_sgpr_dispatch_id 0
		.amdhsa_user_sgpr_flat_scratch_init 0
		.amdhsa_user_sgpr_private_segment_size 0
		.amdhsa_uses_dynamic_stack 0
		.amdhsa_system_sgpr_private_segment_wavefront_offset 0
		.amdhsa_system_sgpr_workgroup_id_x 1
		.amdhsa_system_sgpr_workgroup_id_y 0
		.amdhsa_system_sgpr_workgroup_id_z 0
		.amdhsa_system_sgpr_workgroup_info 0
		.amdhsa_system_vgpr_workitem_id 0
		.amdhsa_next_free_vgpr 37
		.amdhsa_next_free_sgpr 45
		.amdhsa_reserve_vcc 1
		.amdhsa_reserve_flat_scratch 0
		.amdhsa_float_round_mode_32 0
		.amdhsa_float_round_mode_16_64 0
		.amdhsa_float_denorm_mode_32 3
		.amdhsa_float_denorm_mode_16_64 3
		.amdhsa_dx10_clamp 1
		.amdhsa_ieee_mode 1
		.amdhsa_fp16_overflow 0
		.amdhsa_exception_fp_ieee_invalid_op 0
		.amdhsa_exception_fp_denorm_src 0
		.amdhsa_exception_fp_ieee_div_zero 0
		.amdhsa_exception_fp_ieee_overflow 0
		.amdhsa_exception_fp_ieee_underflow 0
		.amdhsa_exception_fp_ieee_inexact 0
		.amdhsa_exception_int_div_zero 0
	.end_amdhsa_kernel
	.section	.text._ZN2at6native29vectorized_elementwise_kernelILi4ENS0_13AUnaryFunctorIN3c107complexIfEES5_bNS0_12_GLOBAL__N_116CompareEqFunctorIS5_EEEESt5arrayIPcLm2EEEEviT0_T1_,"axG",@progbits,_ZN2at6native29vectorized_elementwise_kernelILi4ENS0_13AUnaryFunctorIN3c107complexIfEES5_bNS0_12_GLOBAL__N_116CompareEqFunctorIS5_EEEESt5arrayIPcLm2EEEEviT0_T1_,comdat
.Lfunc_end138:
	.size	_ZN2at6native29vectorized_elementwise_kernelILi4ENS0_13AUnaryFunctorIN3c107complexIfEES5_bNS0_12_GLOBAL__N_116CompareEqFunctorIS5_EEEESt5arrayIPcLm2EEEEviT0_T1_, .Lfunc_end138-_ZN2at6native29vectorized_elementwise_kernelILi4ENS0_13AUnaryFunctorIN3c107complexIfEES5_bNS0_12_GLOBAL__N_116CompareEqFunctorIS5_EEEESt5arrayIPcLm2EEEEviT0_T1_
                                        ; -- End function
	.set _ZN2at6native29vectorized_elementwise_kernelILi4ENS0_13AUnaryFunctorIN3c107complexIfEES5_bNS0_12_GLOBAL__N_116CompareEqFunctorIS5_EEEESt5arrayIPcLm2EEEEviT0_T1_.num_vgpr, 37
	.set _ZN2at6native29vectorized_elementwise_kernelILi4ENS0_13AUnaryFunctorIN3c107complexIfEES5_bNS0_12_GLOBAL__N_116CompareEqFunctorIS5_EEEESt5arrayIPcLm2EEEEviT0_T1_.num_agpr, 0
	.set _ZN2at6native29vectorized_elementwise_kernelILi4ENS0_13AUnaryFunctorIN3c107complexIfEES5_bNS0_12_GLOBAL__N_116CompareEqFunctorIS5_EEEESt5arrayIPcLm2EEEEviT0_T1_.numbered_sgpr, 45
	.set _ZN2at6native29vectorized_elementwise_kernelILi4ENS0_13AUnaryFunctorIN3c107complexIfEES5_bNS0_12_GLOBAL__N_116CompareEqFunctorIS5_EEEESt5arrayIPcLm2EEEEviT0_T1_.num_named_barrier, 0
	.set _ZN2at6native29vectorized_elementwise_kernelILi4ENS0_13AUnaryFunctorIN3c107complexIfEES5_bNS0_12_GLOBAL__N_116CompareEqFunctorIS5_EEEESt5arrayIPcLm2EEEEviT0_T1_.private_seg_size, 0
	.set _ZN2at6native29vectorized_elementwise_kernelILi4ENS0_13AUnaryFunctorIN3c107complexIfEES5_bNS0_12_GLOBAL__N_116CompareEqFunctorIS5_EEEESt5arrayIPcLm2EEEEviT0_T1_.uses_vcc, 1
	.set _ZN2at6native29vectorized_elementwise_kernelILi4ENS0_13AUnaryFunctorIN3c107complexIfEES5_bNS0_12_GLOBAL__N_116CompareEqFunctorIS5_EEEESt5arrayIPcLm2EEEEviT0_T1_.uses_flat_scratch, 0
	.set _ZN2at6native29vectorized_elementwise_kernelILi4ENS0_13AUnaryFunctorIN3c107complexIfEES5_bNS0_12_GLOBAL__N_116CompareEqFunctorIS5_EEEESt5arrayIPcLm2EEEEviT0_T1_.has_dyn_sized_stack, 0
	.set _ZN2at6native29vectorized_elementwise_kernelILi4ENS0_13AUnaryFunctorIN3c107complexIfEES5_bNS0_12_GLOBAL__N_116CompareEqFunctorIS5_EEEESt5arrayIPcLm2EEEEviT0_T1_.has_recursion, 0
	.set _ZN2at6native29vectorized_elementwise_kernelILi4ENS0_13AUnaryFunctorIN3c107complexIfEES5_bNS0_12_GLOBAL__N_116CompareEqFunctorIS5_EEEESt5arrayIPcLm2EEEEviT0_T1_.has_indirect_call, 0
	.section	.AMDGPU.csdata,"",@progbits
; Kernel info:
; codeLenInByte = 4952
; TotalNumSgprs: 49
; NumVgprs: 37
; ScratchSize: 0
; MemoryBound: 0
; FloatMode: 240
; IeeeMode: 1
; LDSByteSize: 0 bytes/workgroup (compile time only)
; SGPRBlocks: 6
; VGPRBlocks: 9
; NumSGPRsForWavesPerEU: 49
; NumVGPRsForWavesPerEU: 37
; Occupancy: 6
; WaveLimiterHint : 1
; COMPUTE_PGM_RSRC2:SCRATCH_EN: 0
; COMPUTE_PGM_RSRC2:USER_SGPR: 6
; COMPUTE_PGM_RSRC2:TRAP_HANDLER: 0
; COMPUTE_PGM_RSRC2:TGID_X_EN: 1
; COMPUTE_PGM_RSRC2:TGID_Y_EN: 0
; COMPUTE_PGM_RSRC2:TGID_Z_EN: 0
; COMPUTE_PGM_RSRC2:TIDIG_COMP_CNT: 0
	.section	.text._ZN2at6native29vectorized_elementwise_kernelILi2ENS0_13AUnaryFunctorIN3c107complexIfEES5_bNS0_12_GLOBAL__N_116CompareEqFunctorIS5_EEEESt5arrayIPcLm2EEEEviT0_T1_,"axG",@progbits,_ZN2at6native29vectorized_elementwise_kernelILi2ENS0_13AUnaryFunctorIN3c107complexIfEES5_bNS0_12_GLOBAL__N_116CompareEqFunctorIS5_EEEESt5arrayIPcLm2EEEEviT0_T1_,comdat
	.globl	_ZN2at6native29vectorized_elementwise_kernelILi2ENS0_13AUnaryFunctorIN3c107complexIfEES5_bNS0_12_GLOBAL__N_116CompareEqFunctorIS5_EEEESt5arrayIPcLm2EEEEviT0_T1_ ; -- Begin function _ZN2at6native29vectorized_elementwise_kernelILi2ENS0_13AUnaryFunctorIN3c107complexIfEES5_bNS0_12_GLOBAL__N_116CompareEqFunctorIS5_EEEESt5arrayIPcLm2EEEEviT0_T1_
	.p2align	8
	.type	_ZN2at6native29vectorized_elementwise_kernelILi2ENS0_13AUnaryFunctorIN3c107complexIfEES5_bNS0_12_GLOBAL__N_116CompareEqFunctorIS5_EEEESt5arrayIPcLm2EEEEviT0_T1_,@function
_ZN2at6native29vectorized_elementwise_kernelILi2ENS0_13AUnaryFunctorIN3c107complexIfEES5_bNS0_12_GLOBAL__N_116CompareEqFunctorIS5_EEEESt5arrayIPcLm2EEEEviT0_T1_: ; @_ZN2at6native29vectorized_elementwise_kernelILi2ENS0_13AUnaryFunctorIN3c107complexIfEES5_bNS0_12_GLOBAL__N_116CompareEqFunctorIS5_EEEESt5arrayIPcLm2EEEEviT0_T1_
; %bb.0:
	s_load_dword s0, s[4:5], 0x0
	s_load_dword s44, s[4:5], 0x8
	s_load_dwordx2 s[12:13], s[4:5], 0x10
	s_load_dwordx4 s[8:11], s[4:5], 0x18
	s_lshl_b32 s6, s6, 12
	s_waitcnt lgkmcnt(0)
	s_sub_i32 s33, s0, s6
	s_cmpk_gt_i32 s33, 0xfff
	s_mov_b64 s[0:1], -1
	s_cbranch_scc0 .LBB139_50
; %bb.1:
	s_ashr_i32 s7, s6, 31
	s_lshl_b64 s[0:1], s[6:7], 3
	s_add_u32 s0, s10, s0
	s_addc_u32 s1, s11, s1
	v_lshlrev_b32_e32 v3, 4, v0
	v_mov_b32_e32 v1, s1
	v_add_co_u32_e32 v5, vcc, s0, v3
	v_addc_co_u32_e32 v6, vcc, 0, v1, vcc
	v_add_co_u32_e32 v1, vcc, 0x1000, v5
	v_addc_co_u32_e32 v2, vcc, 0, v6, vcc
	global_load_dwordx4 v[29:32], v3, s[0:1]
	global_load_dwordx4 v[25:28], v[1:2], off
	v_add_co_u32_e32 v1, vcc, 0x2000, v5
	v_addc_co_u32_e32 v2, vcc, 0, v6, vcc
	v_add_co_u32_e32 v3, vcc, 0x3000, v5
	v_addc_co_u32_e32 v4, vcc, 0, v6, vcc
	global_load_dwordx4 v[21:24], v[1:2], off
	global_load_dwordx4 v[17:20], v[3:4], off
	v_add_co_u32_e32 v1, vcc, 0x4000, v5
	v_addc_co_u32_e32 v2, vcc, 0, v6, vcc
	v_add_co_u32_e32 v3, vcc, 0x5000, v5
	v_addc_co_u32_e32 v4, vcc, 0, v6, vcc
	;; [unrolled: 2-line block ×3, first 2 shown]
	v_add_co_u32_e32 v35, vcc, 0x7000, v5
	global_load_dwordx4 v[13:16], v[1:2], off
	global_load_dwordx4 v[9:12], v[3:4], off
	v_addc_co_u32_e32 v36, vcc, 0, v6, vcc
	global_load_dwordx4 v[5:8], v[33:34], off
	global_load_dwordx4 v[1:4], v[35:36], off
	s_cmp_lg_u32 s44, 0
	s_cselect_b64 s[2:3], -1, 0
	s_and_b64 vcc, exec, s[2:3]
	s_cbranch_vccz .LBB139_196
; %bb.2:
	s_waitcnt vmcnt(7)
	v_cmp_neq_f32_e32 vcc, s12, v29
	v_cmp_neq_f32_e64 s[0:1], s13, v30
	s_or_b64 s[4:5], vcc, s[0:1]
	s_cbranch_execnz .LBB139_4
.LBB139_3:
	s_waitcnt vmcnt(7)
	v_cmp_eq_f32_e32 vcc, s12, v29
	v_cmp_eq_f32_e64 s[0:1], s13, v30
	s_and_b64 s[0:1], vcc, s[0:1]
	s_andn2_b64 s[4:5], s[4:5], exec
	s_and_b64 s[0:1], s[0:1], exec
	s_or_b64 s[4:5], s[4:5], s[0:1]
.LBB139_4:
	s_waitcnt vmcnt(7)
	v_cndmask_b32_e64 v29, 0, 1, s[2:3]
	v_cmp_ne_u32_e64 s[0:1], 1, v29
	s_andn2_b64 vcc, exec, s[2:3]
	s_cbranch_vccnz .LBB139_197
; %bb.5:
	v_cmp_neq_f32_e32 vcc, s12, v31
	v_cmp_neq_f32_e64 s[2:3], s13, v32
	s_or_b64 s[14:15], vcc, s[2:3]
	s_cbranch_execnz .LBB139_7
.LBB139_6:
	v_cmp_eq_f32_e32 vcc, s12, v31
	v_cmp_eq_f32_e64 s[2:3], s13, v32
	s_and_b64 s[2:3], vcc, s[2:3]
	s_andn2_b64 s[14:15], s[14:15], exec
	s_and_b64 s[2:3], s[2:3], exec
	s_or_b64 s[14:15], s[14:15], s[2:3]
.LBB139_7:
	s_and_b64 vcc, exec, s[0:1]
	s_cbranch_vccnz .LBB139_198
; %bb.8:
	s_waitcnt vmcnt(6)
	v_cmp_neq_f32_e32 vcc, s12, v25
	v_cmp_neq_f32_e64 s[2:3], s13, v26
	s_or_b64 s[16:17], vcc, s[2:3]
	s_cbranch_execnz .LBB139_10
.LBB139_9:
	s_waitcnt vmcnt(6)
	v_cmp_eq_f32_e32 vcc, s12, v25
	v_cmp_eq_f32_e64 s[2:3], s13, v26
	s_and_b64 s[2:3], vcc, s[2:3]
	s_andn2_b64 s[16:17], s[16:17], exec
	s_and_b64 s[2:3], s[2:3], exec
	s_or_b64 s[16:17], s[16:17], s[2:3]
.LBB139_10:
	s_and_b64 vcc, exec, s[0:1]
	s_cbranch_vccnz .LBB139_199
; %bb.11:
	s_waitcnt vmcnt(6)
	v_cmp_neq_f32_e32 vcc, s12, v27
	v_cmp_neq_f32_e64 s[2:3], s13, v28
	s_or_b64 s[18:19], vcc, s[2:3]
	s_cbranch_execnz .LBB139_13
.LBB139_12:
	s_waitcnt vmcnt(6)
	v_cmp_eq_f32_e32 vcc, s12, v27
	v_cmp_eq_f32_e64 s[2:3], s13, v28
	s_and_b64 s[2:3], vcc, s[2:3]
	s_andn2_b64 s[18:19], s[18:19], exec
	s_and_b64 s[2:3], s[2:3], exec
	s_or_b64 s[18:19], s[18:19], s[2:3]
.LBB139_13:
	s_and_b64 vcc, exec, s[0:1]
	s_cbranch_vccnz .LBB139_200
; %bb.14:
	s_waitcnt vmcnt(5)
	v_cmp_neq_f32_e32 vcc, s12, v21
	v_cmp_neq_f32_e64 s[2:3], s13, v22
	s_or_b64 s[20:21], vcc, s[2:3]
	s_cbranch_execnz .LBB139_16
.LBB139_15:
	s_waitcnt vmcnt(5)
	v_cmp_eq_f32_e32 vcc, s12, v21
	v_cmp_eq_f32_e64 s[2:3], s13, v22
	s_and_b64 s[2:3], vcc, s[2:3]
	s_andn2_b64 s[20:21], s[20:21], exec
	s_and_b64 s[2:3], s[2:3], exec
	s_or_b64 s[20:21], s[20:21], s[2:3]
.LBB139_16:
	s_and_b64 vcc, exec, s[0:1]
	s_cbranch_vccnz .LBB139_201
; %bb.17:
	s_waitcnt vmcnt(5)
	v_cmp_neq_f32_e32 vcc, s12, v23
	v_cmp_neq_f32_e64 s[2:3], s13, v24
	s_or_b64 s[22:23], vcc, s[2:3]
	s_cbranch_execnz .LBB139_19
.LBB139_18:
	s_waitcnt vmcnt(5)
	v_cmp_eq_f32_e32 vcc, s12, v23
	v_cmp_eq_f32_e64 s[2:3], s13, v24
	s_and_b64 s[2:3], vcc, s[2:3]
	s_andn2_b64 s[22:23], s[22:23], exec
	s_and_b64 s[2:3], s[2:3], exec
	s_or_b64 s[22:23], s[22:23], s[2:3]
.LBB139_19:
	s_and_b64 vcc, exec, s[0:1]
	s_cbranch_vccnz .LBB139_202
; %bb.20:
	s_waitcnt vmcnt(4)
	v_cmp_neq_f32_e32 vcc, s12, v17
	v_cmp_neq_f32_e64 s[2:3], s13, v18
	s_or_b64 s[24:25], vcc, s[2:3]
	s_cbranch_execnz .LBB139_22
.LBB139_21:
	s_waitcnt vmcnt(4)
	v_cmp_eq_f32_e32 vcc, s12, v17
	v_cmp_eq_f32_e64 s[2:3], s13, v18
	s_and_b64 s[2:3], vcc, s[2:3]
	s_andn2_b64 s[24:25], s[24:25], exec
	s_and_b64 s[2:3], s[2:3], exec
	s_or_b64 s[24:25], s[24:25], s[2:3]
.LBB139_22:
	s_and_b64 vcc, exec, s[0:1]
	s_cbranch_vccnz .LBB139_203
; %bb.23:
	s_waitcnt vmcnt(4)
	v_cmp_neq_f32_e32 vcc, s12, v19
	v_cmp_neq_f32_e64 s[2:3], s13, v20
	s_or_b64 s[26:27], vcc, s[2:3]
	s_cbranch_execnz .LBB139_25
.LBB139_24:
	s_waitcnt vmcnt(4)
	v_cmp_eq_f32_e32 vcc, s12, v19
	v_cmp_eq_f32_e64 s[2:3], s13, v20
	s_and_b64 s[2:3], vcc, s[2:3]
	s_andn2_b64 s[26:27], s[26:27], exec
	s_and_b64 s[2:3], s[2:3], exec
	s_or_b64 s[26:27], s[26:27], s[2:3]
.LBB139_25:
	s_and_b64 vcc, exec, s[0:1]
	s_cbranch_vccnz .LBB139_204
; %bb.26:
	s_waitcnt vmcnt(3)
	v_cmp_neq_f32_e32 vcc, s12, v13
	v_cmp_neq_f32_e64 s[2:3], s13, v14
	s_or_b64 s[28:29], vcc, s[2:3]
	s_cbranch_execnz .LBB139_28
.LBB139_27:
	s_waitcnt vmcnt(3)
	v_cmp_eq_f32_e32 vcc, s12, v13
	v_cmp_eq_f32_e64 s[2:3], s13, v14
	s_and_b64 s[2:3], vcc, s[2:3]
	s_andn2_b64 s[28:29], s[28:29], exec
	s_and_b64 s[2:3], s[2:3], exec
	s_or_b64 s[28:29], s[28:29], s[2:3]
.LBB139_28:
	s_and_b64 vcc, exec, s[0:1]
	s_cbranch_vccnz .LBB139_205
; %bb.29:
	s_waitcnt vmcnt(3)
	v_cmp_neq_f32_e32 vcc, s12, v15
	v_cmp_neq_f32_e64 s[2:3], s13, v16
	s_or_b64 s[30:31], vcc, s[2:3]
	s_cbranch_execnz .LBB139_31
.LBB139_30:
	s_waitcnt vmcnt(3)
	v_cmp_eq_f32_e32 vcc, s12, v15
	v_cmp_eq_f32_e64 s[2:3], s13, v16
	s_and_b64 s[2:3], vcc, s[2:3]
	s_andn2_b64 s[30:31], s[30:31], exec
	s_and_b64 s[2:3], s[2:3], exec
	s_or_b64 s[30:31], s[30:31], s[2:3]
.LBB139_31:
	s_and_b64 vcc, exec, s[0:1]
	s_cbranch_vccnz .LBB139_206
; %bb.32:
	s_waitcnt vmcnt(2)
	v_cmp_neq_f32_e32 vcc, s12, v9
	v_cmp_neq_f32_e64 s[2:3], s13, v10
	s_or_b64 s[34:35], vcc, s[2:3]
	s_cbranch_execnz .LBB139_34
.LBB139_33:
	s_waitcnt vmcnt(2)
	v_cmp_eq_f32_e32 vcc, s12, v9
	v_cmp_eq_f32_e64 s[2:3], s13, v10
	s_and_b64 s[2:3], vcc, s[2:3]
	s_andn2_b64 s[34:35], s[34:35], exec
	s_and_b64 s[2:3], s[2:3], exec
	s_or_b64 s[34:35], s[34:35], s[2:3]
.LBB139_34:
	s_and_b64 vcc, exec, s[0:1]
	s_cbranch_vccnz .LBB139_207
; %bb.35:
	s_waitcnt vmcnt(2)
	v_cmp_neq_f32_e32 vcc, s12, v11
	v_cmp_neq_f32_e64 s[2:3], s13, v12
	s_or_b64 s[36:37], vcc, s[2:3]
	s_cbranch_execnz .LBB139_37
.LBB139_36:
	s_waitcnt vmcnt(2)
	v_cmp_eq_f32_e32 vcc, s12, v11
	v_cmp_eq_f32_e64 s[2:3], s13, v12
	s_and_b64 s[2:3], vcc, s[2:3]
	s_andn2_b64 s[36:37], s[36:37], exec
	s_and_b64 s[2:3], s[2:3], exec
	s_or_b64 s[36:37], s[36:37], s[2:3]
.LBB139_37:
	s_and_b64 vcc, exec, s[0:1]
	s_cbranch_vccnz .LBB139_208
; %bb.38:
	s_waitcnt vmcnt(1)
	v_cmp_neq_f32_e32 vcc, s12, v5
	v_cmp_neq_f32_e64 s[2:3], s13, v6
	s_or_b64 s[38:39], vcc, s[2:3]
	s_cbranch_execnz .LBB139_40
.LBB139_39:
	s_waitcnt vmcnt(1)
	v_cmp_eq_f32_e32 vcc, s12, v5
	v_cmp_eq_f32_e64 s[2:3], s13, v6
	s_and_b64 s[2:3], vcc, s[2:3]
	s_andn2_b64 s[38:39], s[38:39], exec
	s_and_b64 s[2:3], s[2:3], exec
	s_or_b64 s[38:39], s[38:39], s[2:3]
.LBB139_40:
	s_and_b64 vcc, exec, s[0:1]
	s_cbranch_vccnz .LBB139_209
; %bb.41:
	s_waitcnt vmcnt(1)
	v_cmp_neq_f32_e32 vcc, s12, v7
	v_cmp_neq_f32_e64 s[2:3], s13, v8
	s_or_b64 s[40:41], vcc, s[2:3]
	s_cbranch_execnz .LBB139_43
.LBB139_42:
	s_waitcnt vmcnt(1)
	v_cmp_eq_f32_e32 vcc, s12, v7
	v_cmp_eq_f32_e64 s[2:3], s13, v8
	s_and_b64 s[2:3], vcc, s[2:3]
	s_andn2_b64 s[40:41], s[40:41], exec
	s_and_b64 s[2:3], s[2:3], exec
	s_or_b64 s[40:41], s[40:41], s[2:3]
.LBB139_43:
	s_and_b64 vcc, exec, s[0:1]
	s_cbranch_vccnz .LBB139_210
; %bb.44:
	s_waitcnt vmcnt(0)
	v_cmp_neq_f32_e32 vcc, s12, v1
	v_cmp_neq_f32_e64 s[2:3], s13, v2
	s_or_b64 s[42:43], vcc, s[2:3]
	s_cbranch_execnz .LBB139_46
.LBB139_45:
	s_waitcnt vmcnt(0)
	v_cmp_eq_f32_e32 vcc, s12, v1
	v_cmp_eq_f32_e64 s[2:3], s13, v2
	s_and_b64 s[2:3], vcc, s[2:3]
	s_andn2_b64 s[42:43], s[42:43], exec
	s_and_b64 s[2:3], s[2:3], exec
	s_or_b64 s[42:43], s[42:43], s[2:3]
.LBB139_46:
	s_and_b64 vcc, exec, s[0:1]
	s_cbranch_vccnz .LBB139_211
; %bb.47:
	s_waitcnt vmcnt(0)
	v_cmp_neq_f32_e32 vcc, s12, v3
	v_cmp_neq_f32_e64 s[0:1], s13, v4
	s_or_b64 s[2:3], vcc, s[0:1]
	s_cbranch_execnz .LBB139_49
.LBB139_48:
	s_waitcnt vmcnt(0)
	v_cmp_eq_f32_e32 vcc, s12, v3
	v_cmp_eq_f32_e64 s[0:1], s13, v4
	s_and_b64 s[0:1], vcc, s[0:1]
	s_andn2_b64 s[2:3], s[2:3], exec
	s_and_b64 s[0:1], s[0:1], exec
	s_or_b64 s[2:3], s[2:3], s[0:1]
.LBB139_49:
	s_waitcnt vmcnt(0)
	v_mov_b32_e32 v3, 0x100
	v_cndmask_b32_e64 v2, 0, 1, s[38:39]
	v_cndmask_b32_e64 v4, 0, v3, s[40:41]
	v_or_b32_e32 v2, v4, v2
	v_cndmask_b32_e64 v4, 0, 1, s[34:35]
	v_cndmask_b32_e64 v5, 0, v3, s[36:37]
	v_or_b32_e32 v4, v5, v4
	;; [unrolled: 3-line block ×5, first 2 shown]
	v_cndmask_b32_e64 v8, 0, 1, s[16:17]
	v_cndmask_b32_e64 v9, 0, v3, s[18:19]
	;; [unrolled: 1-line block ×3, first 2 shown]
	v_or_b32_e32 v8, v9, v8
	v_cndmask_b32_e64 v9, 0, 1, s[4:5]
	v_cndmask_b32_e64 v10, 0, v3, s[14:15]
	;; [unrolled: 1-line block ×3, first 2 shown]
	s_add_u32 s0, s8, s6
	v_or_b32_e32 v9, v10, v9
	v_or_b32_e32 v1, v3, v1
	s_addc_u32 s1, s9, s7
	v_lshlrev_b32_e32 v3, 1, v0
	global_store_short v3, v9, s[0:1]
	global_store_short v3, v8, s[0:1] offset:512
	global_store_short v3, v7, s[0:1] offset:1024
	;; [unrolled: 1-line block ×7, first 2 shown]
	s_mov_b64 s[0:1], 0
.LBB139_50:
	s_and_b64 vcc, exec, s[0:1]
	s_cbranch_vccz .LBB139_195
; %bb.51:
	v_cmp_gt_i32_e64 s[0:1], s33, v0
	v_mov_b32_e32 v29, 0
	v_or_b32_e32 v1, s6, v0
	v_mov_b32_e32 v33, 0
	v_mov_b32_e32 v32, 0
	;; [unrolled: 1-line block ×3, first 2 shown]
	s_and_saveexec_b64 s[2:3], s[0:1]
	s_cbranch_execz .LBB139_53
; %bb.52:
	v_mov_b32_e32 v2, 0
	v_lshlrev_b64 v[2:3], 3, v[1:2]
	v_mov_b32_e32 v4, s11
	v_add_co_u32_e32 v2, vcc, s10, v2
	v_addc_co_u32_e32 v3, vcc, v4, v3, vcc
	global_load_dwordx2 v[32:33], v[2:3], off
	v_or_b32_e32 v34, 0x100, v0
.LBB139_53:
	s_or_b64 exec, exec, s[2:3]
	v_cmp_gt_i32_e32 vcc, s33, v34
	v_mov_b32_e32 v28, 0
	s_and_saveexec_b64 s[2:3], vcc
	s_cbranch_execz .LBB139_55
; %bb.54:
	v_add_u32_e32 v2, s6, v34
	v_mov_b32_e32 v3, 0
	v_lshlrev_b64 v[2:3], 3, v[2:3]
	v_mov_b32_e32 v4, s11
	v_add_co_u32_e32 v2, vcc, s10, v2
	v_addc_co_u32_e32 v3, vcc, v4, v3, vcc
	global_load_dwordx2 v[28:29], v[2:3], off
	v_add_u32_e32 v34, 0x100, v34
.LBB139_55:
	s_or_b64 exec, exec, s[2:3]
	v_cmp_gt_i32_e32 vcc, s33, v34
	v_mov_b32_e32 v25, 0
	v_mov_b32_e32 v31, 0
	v_mov_b32_e32 v30, 0
	s_and_saveexec_b64 s[2:3], vcc
	s_cbranch_execz .LBB139_57
; %bb.56:
	v_add_u32_e32 v2, s6, v34
	v_mov_b32_e32 v3, 0
	v_lshlrev_b64 v[2:3], 3, v[2:3]
	v_mov_b32_e32 v4, s11
	v_add_co_u32_e32 v2, vcc, s10, v2
	v_addc_co_u32_e32 v3, vcc, v4, v3, vcc
	global_load_dwordx2 v[30:31], v[2:3], off
	v_add_u32_e32 v34, 0x100, v34
.LBB139_57:
	s_or_b64 exec, exec, s[2:3]
	v_cmp_gt_i32_e32 vcc, s33, v34
	v_mov_b32_e32 v24, 0
	s_and_saveexec_b64 s[2:3], vcc
	s_cbranch_execz .LBB139_59
; %bb.58:
	v_add_u32_e32 v2, s6, v34
	v_mov_b32_e32 v3, 0
	v_lshlrev_b64 v[2:3], 3, v[2:3]
	v_mov_b32_e32 v4, s11
	v_add_co_u32_e32 v2, vcc, s10, v2
	v_addc_co_u32_e32 v3, vcc, v4, v3, vcc
	global_load_dwordx2 v[24:25], v[2:3], off
	v_add_u32_e32 v34, 0x100, v34
.LBB139_59:
	s_or_b64 exec, exec, s[2:3]
	v_cmp_gt_i32_e32 vcc, s33, v34
	v_mov_b32_e32 v21, 0
	v_mov_b32_e32 v27, 0
	v_mov_b32_e32 v26, 0
	s_and_saveexec_b64 s[2:3], vcc
	s_cbranch_execz .LBB139_61
; %bb.60:
	v_add_u32_e32 v2, s6, v34
	v_mov_b32_e32 v3, 0
	v_lshlrev_b64 v[2:3], 3, v[2:3]
	v_mov_b32_e32 v4, s11
	v_add_co_u32_e32 v2, vcc, s10, v2
	v_addc_co_u32_e32 v3, vcc, v4, v3, vcc
	global_load_dwordx2 v[26:27], v[2:3], off
	v_add_u32_e32 v34, 0x100, v34
.LBB139_61:
	;; [unrolled: 32-line block ×7, first 2 shown]
	s_or_b64 exec, exec, s[2:3]
	v_cmp_gt_i32_e32 vcc, s33, v34
	v_mov_b32_e32 v2, 0
	s_and_saveexec_b64 s[2:3], vcc
	s_cbranch_execz .LBB139_83
; %bb.82:
	v_add_u32_e32 v2, s6, v34
	v_mov_b32_e32 v3, 0
	v_lshlrev_b64 v[2:3], 3, v[2:3]
	v_mov_b32_e32 v34, s11
	v_add_co_u32_e32 v2, vcc, s10, v2
	v_addc_co_u32_e32 v3, vcc, v34, v3, vcc
	global_load_dwordx2 v[2:3], v[2:3], off
.LBB139_83:
	s_or_b64 exec, exec, s[2:3]
	s_cmp_lg_u32 s44, 0
	s_cselect_b64 s[4:5], -1, 0
                                        ; implicit-def: $vgpr34
	s_and_saveexec_b64 s[10:11], s[0:1]
	s_cbranch_execz .LBB139_88
; %bb.84:
	s_and_b64 vcc, exec, s[4:5]
	s_cbranch_vccz .LBB139_212
; %bb.85:
	s_waitcnt vmcnt(0)
	v_cmp_neq_f32_e32 vcc, s12, v32
	v_cmp_neq_f32_e64 s[2:3], s13, v33
	s_or_b64 s[14:15], vcc, s[2:3]
	s_cbranch_execnz .LBB139_87
.LBB139_86:
	s_waitcnt vmcnt(0)
	v_cmp_eq_f32_e32 vcc, s12, v32
	v_cmp_eq_f32_e64 s[2:3], s13, v33
	s_and_b64 s[2:3], vcc, s[2:3]
	s_andn2_b64 s[14:15], s[14:15], exec
	s_and_b64 s[2:3], s[2:3], exec
	s_or_b64 s[14:15], s[14:15], s[2:3]
.LBB139_87:
	v_cndmask_b32_e64 v34, 0, 1, s[14:15]
.LBB139_88:
	s_or_b64 exec, exec, s[10:11]
	s_waitcnt vmcnt(0)
	v_or_b32_e32 v32, 0x100, v0
	v_cndmask_b32_e64 v33, 0, 1, s[4:5]
	v_cmp_gt_i32_e32 vcc, s33, v32
	v_cmp_ne_u32_e64 s[2:3], 1, v33
                                        ; implicit-def: $vgpr33
	s_and_saveexec_b64 s[10:11], vcc
	s_cbranch_execz .LBB139_93
; %bb.89:
	s_and_b64 vcc, exec, s[2:3]
	s_cbranch_vccnz .LBB139_213
; %bb.90:
	v_cmp_neq_f32_e32 vcc, s12, v28
	v_cmp_neq_f32_e64 s[4:5], s13, v29
	s_or_b64 s[14:15], vcc, s[4:5]
	s_cbranch_execnz .LBB139_92
.LBB139_91:
	v_cmp_eq_f32_e32 vcc, s12, v28
	v_cmp_eq_f32_e64 s[4:5], s13, v29
	s_and_b64 s[4:5], vcc, s[4:5]
	s_andn2_b64 s[14:15], s[14:15], exec
	s_and_b64 s[4:5], s[4:5], exec
	s_or_b64 s[14:15], s[14:15], s[4:5]
.LBB139_92:
	v_cndmask_b32_e64 v33, 0, 1, s[14:15]
.LBB139_93:
	s_or_b64 exec, exec, s[10:11]
	v_or_b32_e32 v28, 0x200, v0
	v_cmp_gt_i32_e32 vcc, s33, v28
                                        ; implicit-def: $vgpr28
	s_and_saveexec_b64 s[10:11], vcc
	s_cbranch_execz .LBB139_98
; %bb.94:
	s_and_b64 vcc, exec, s[2:3]
	s_cbranch_vccnz .LBB139_214
; %bb.95:
	v_cmp_neq_f32_e32 vcc, s12, v30
	v_cmp_neq_f32_e64 s[4:5], s13, v31
	s_or_b64 s[14:15], vcc, s[4:5]
	s_cbranch_execnz .LBB139_97
.LBB139_96:
	v_cmp_eq_f32_e32 vcc, s12, v30
	v_cmp_eq_f32_e64 s[4:5], s13, v31
	s_and_b64 s[4:5], vcc, s[4:5]
	s_andn2_b64 s[14:15], s[14:15], exec
	s_and_b64 s[4:5], s[4:5], exec
	s_or_b64 s[14:15], s[14:15], s[4:5]
.LBB139_97:
	v_cndmask_b32_e64 v28, 0, 1, s[14:15]
.LBB139_98:
	s_or_b64 exec, exec, s[10:11]
	v_or_b32_e32 v29, 0x300, v0
	v_cmp_gt_i32_e32 vcc, s33, v29
                                        ; implicit-def: $vgpr29
	s_and_saveexec_b64 s[10:11], vcc
	s_cbranch_execz .LBB139_103
; %bb.99:
	s_and_b64 vcc, exec, s[2:3]
	s_cbranch_vccnz .LBB139_215
; %bb.100:
	v_cmp_neq_f32_e32 vcc, s12, v24
	v_cmp_neq_f32_e64 s[4:5], s13, v25
	s_or_b64 s[14:15], vcc, s[4:5]
	s_cbranch_execnz .LBB139_102
.LBB139_101:
	v_cmp_eq_f32_e32 vcc, s12, v24
	v_cmp_eq_f32_e64 s[4:5], s13, v25
	s_and_b64 s[4:5], vcc, s[4:5]
	s_andn2_b64 s[14:15], s[14:15], exec
	s_and_b64 s[4:5], s[4:5], exec
	s_or_b64 s[14:15], s[14:15], s[4:5]
.LBB139_102:
	v_cndmask_b32_e64 v29, 0, 1, s[14:15]
.LBB139_103:
	s_or_b64 exec, exec, s[10:11]
	v_or_b32_e32 v24, 0x400, v0
	v_cmp_gt_i32_e32 vcc, s33, v24
                                        ; implicit-def: $vgpr24
	s_and_saveexec_b64 s[10:11], vcc
	s_cbranch_execz .LBB139_108
; %bb.104:
	s_and_b64 vcc, exec, s[2:3]
	s_cbranch_vccnz .LBB139_216
; %bb.105:
	v_cmp_neq_f32_e32 vcc, s12, v26
	v_cmp_neq_f32_e64 s[4:5], s13, v27
	s_or_b64 s[14:15], vcc, s[4:5]
	s_cbranch_execnz .LBB139_107
.LBB139_106:
	v_cmp_eq_f32_e32 vcc, s12, v26
	v_cmp_eq_f32_e64 s[4:5], s13, v27
	s_and_b64 s[4:5], vcc, s[4:5]
	s_andn2_b64 s[14:15], s[14:15], exec
	s_and_b64 s[4:5], s[4:5], exec
	s_or_b64 s[14:15], s[14:15], s[4:5]
.LBB139_107:
	v_cndmask_b32_e64 v24, 0, 1, s[14:15]
.LBB139_108:
	s_or_b64 exec, exec, s[10:11]
	v_or_b32_e32 v25, 0x500, v0
	v_cmp_gt_i32_e32 vcc, s33, v25
                                        ; implicit-def: $vgpr25
	s_and_saveexec_b64 s[10:11], vcc
	s_cbranch_execz .LBB139_113
; %bb.109:
	s_and_b64 vcc, exec, s[2:3]
	s_cbranch_vccnz .LBB139_217
; %bb.110:
	v_cmp_neq_f32_e32 vcc, s12, v20
	v_cmp_neq_f32_e64 s[4:5], s13, v21
	s_or_b64 s[14:15], vcc, s[4:5]
	s_cbranch_execnz .LBB139_112
.LBB139_111:
	v_cmp_eq_f32_e32 vcc, s12, v20
	v_cmp_eq_f32_e64 s[4:5], s13, v21
	s_and_b64 s[4:5], vcc, s[4:5]
	s_andn2_b64 s[14:15], s[14:15], exec
	s_and_b64 s[4:5], s[4:5], exec
	s_or_b64 s[14:15], s[14:15], s[4:5]
.LBB139_112:
	v_cndmask_b32_e64 v25, 0, 1, s[14:15]
.LBB139_113:
	s_or_b64 exec, exec, s[10:11]
	v_or_b32_e32 v20, 0x600, v0
	v_cmp_gt_i32_e32 vcc, s33, v20
                                        ; implicit-def: $vgpr20
	s_and_saveexec_b64 s[10:11], vcc
	s_cbranch_execz .LBB139_118
; %bb.114:
	s_and_b64 vcc, exec, s[2:3]
	s_cbranch_vccnz .LBB139_218
; %bb.115:
	v_cmp_neq_f32_e32 vcc, s12, v22
	v_cmp_neq_f32_e64 s[4:5], s13, v23
	s_or_b64 s[14:15], vcc, s[4:5]
	s_cbranch_execnz .LBB139_117
.LBB139_116:
	v_cmp_eq_f32_e32 vcc, s12, v22
	v_cmp_eq_f32_e64 s[4:5], s13, v23
	s_and_b64 s[4:5], vcc, s[4:5]
	s_andn2_b64 s[14:15], s[14:15], exec
	s_and_b64 s[4:5], s[4:5], exec
	s_or_b64 s[14:15], s[14:15], s[4:5]
.LBB139_117:
	v_cndmask_b32_e64 v20, 0, 1, s[14:15]
.LBB139_118:
	s_or_b64 exec, exec, s[10:11]
	v_or_b32_e32 v21, 0x700, v0
	v_cmp_gt_i32_e32 vcc, s33, v21
                                        ; implicit-def: $vgpr21
	s_and_saveexec_b64 s[10:11], vcc
	s_cbranch_execz .LBB139_123
; %bb.119:
	s_and_b64 vcc, exec, s[2:3]
	s_cbranch_vccnz .LBB139_219
; %bb.120:
	v_cmp_neq_f32_e32 vcc, s12, v16
	v_cmp_neq_f32_e64 s[4:5], s13, v17
	s_or_b64 s[14:15], vcc, s[4:5]
	s_cbranch_execnz .LBB139_122
.LBB139_121:
	v_cmp_eq_f32_e32 vcc, s12, v16
	v_cmp_eq_f32_e64 s[4:5], s13, v17
	s_and_b64 s[4:5], vcc, s[4:5]
	s_andn2_b64 s[14:15], s[14:15], exec
	s_and_b64 s[4:5], s[4:5], exec
	s_or_b64 s[14:15], s[14:15], s[4:5]
.LBB139_122:
	v_cndmask_b32_e64 v21, 0, 1, s[14:15]
.LBB139_123:
	s_or_b64 exec, exec, s[10:11]
	v_or_b32_e32 v16, 0x800, v0
	v_cmp_gt_i32_e32 vcc, s33, v16
                                        ; implicit-def: $vgpr16
	s_and_saveexec_b64 s[10:11], vcc
	s_cbranch_execz .LBB139_128
; %bb.124:
	s_and_b64 vcc, exec, s[2:3]
	s_cbranch_vccnz .LBB139_220
; %bb.125:
	v_cmp_neq_f32_e32 vcc, s12, v18
	v_cmp_neq_f32_e64 s[4:5], s13, v19
	s_or_b64 s[14:15], vcc, s[4:5]
	s_cbranch_execnz .LBB139_127
.LBB139_126:
	v_cmp_eq_f32_e32 vcc, s12, v18
	v_cmp_eq_f32_e64 s[4:5], s13, v19
	s_and_b64 s[4:5], vcc, s[4:5]
	s_andn2_b64 s[14:15], s[14:15], exec
	s_and_b64 s[4:5], s[4:5], exec
	s_or_b64 s[14:15], s[14:15], s[4:5]
.LBB139_127:
	v_cndmask_b32_e64 v16, 0, 1, s[14:15]
.LBB139_128:
	s_or_b64 exec, exec, s[10:11]
	v_or_b32_e32 v17, 0x900, v0
	v_cmp_gt_i32_e32 vcc, s33, v17
                                        ; implicit-def: $vgpr17
	s_and_saveexec_b64 s[10:11], vcc
	s_cbranch_execz .LBB139_133
; %bb.129:
	s_and_b64 vcc, exec, s[2:3]
	s_cbranch_vccnz .LBB139_221
; %bb.130:
	v_cmp_neq_f32_e32 vcc, s12, v12
	v_cmp_neq_f32_e64 s[4:5], s13, v13
	s_or_b64 s[14:15], vcc, s[4:5]
	s_cbranch_execnz .LBB139_132
.LBB139_131:
	v_cmp_eq_f32_e32 vcc, s12, v12
	v_cmp_eq_f32_e64 s[4:5], s13, v13
	s_and_b64 s[4:5], vcc, s[4:5]
	s_andn2_b64 s[14:15], s[14:15], exec
	s_and_b64 s[4:5], s[4:5], exec
	s_or_b64 s[14:15], s[14:15], s[4:5]
.LBB139_132:
	v_cndmask_b32_e64 v17, 0, 1, s[14:15]
.LBB139_133:
	s_or_b64 exec, exec, s[10:11]
	v_or_b32_e32 v12, 0xa00, v0
	v_cmp_gt_i32_e32 vcc, s33, v12
                                        ; implicit-def: $vgpr12
	s_and_saveexec_b64 s[10:11], vcc
	s_cbranch_execz .LBB139_138
; %bb.134:
	s_and_b64 vcc, exec, s[2:3]
	s_cbranch_vccnz .LBB139_222
; %bb.135:
	v_cmp_neq_f32_e32 vcc, s12, v14
	v_cmp_neq_f32_e64 s[4:5], s13, v15
	s_or_b64 s[14:15], vcc, s[4:5]
	s_cbranch_execnz .LBB139_137
.LBB139_136:
	v_cmp_eq_f32_e32 vcc, s12, v14
	v_cmp_eq_f32_e64 s[4:5], s13, v15
	s_and_b64 s[4:5], vcc, s[4:5]
	s_andn2_b64 s[14:15], s[14:15], exec
	s_and_b64 s[4:5], s[4:5], exec
	s_or_b64 s[14:15], s[14:15], s[4:5]
.LBB139_137:
	v_cndmask_b32_e64 v12, 0, 1, s[14:15]
.LBB139_138:
	s_or_b64 exec, exec, s[10:11]
	v_or_b32_e32 v13, 0xb00, v0
	v_cmp_gt_i32_e32 vcc, s33, v13
                                        ; implicit-def: $vgpr13
	s_and_saveexec_b64 s[10:11], vcc
	s_cbranch_execz .LBB139_143
; %bb.139:
	s_and_b64 vcc, exec, s[2:3]
	s_cbranch_vccnz .LBB139_223
; %bb.140:
	v_cmp_neq_f32_e32 vcc, s12, v8
	v_cmp_neq_f32_e64 s[4:5], s13, v9
	s_or_b64 s[14:15], vcc, s[4:5]
	s_cbranch_execnz .LBB139_142
.LBB139_141:
	v_cmp_eq_f32_e32 vcc, s12, v8
	v_cmp_eq_f32_e64 s[4:5], s13, v9
	s_and_b64 s[4:5], vcc, s[4:5]
	s_andn2_b64 s[14:15], s[14:15], exec
	s_and_b64 s[4:5], s[4:5], exec
	s_or_b64 s[14:15], s[14:15], s[4:5]
.LBB139_142:
	v_cndmask_b32_e64 v13, 0, 1, s[14:15]
.LBB139_143:
	s_or_b64 exec, exec, s[10:11]
	v_or_b32_e32 v8, 0xc00, v0
	v_cmp_gt_i32_e32 vcc, s33, v8
                                        ; implicit-def: $vgpr8
	s_and_saveexec_b64 s[10:11], vcc
	s_cbranch_execz .LBB139_148
; %bb.144:
	s_and_b64 vcc, exec, s[2:3]
	s_cbranch_vccnz .LBB139_224
; %bb.145:
	v_cmp_neq_f32_e32 vcc, s12, v10
	v_cmp_neq_f32_e64 s[4:5], s13, v11
	s_or_b64 s[14:15], vcc, s[4:5]
	s_cbranch_execnz .LBB139_147
.LBB139_146:
	v_cmp_eq_f32_e32 vcc, s12, v10
	v_cmp_eq_f32_e64 s[4:5], s13, v11
	s_and_b64 s[4:5], vcc, s[4:5]
	s_andn2_b64 s[14:15], s[14:15], exec
	s_and_b64 s[4:5], s[4:5], exec
	s_or_b64 s[14:15], s[14:15], s[4:5]
.LBB139_147:
	v_cndmask_b32_e64 v8, 0, 1, s[14:15]
.LBB139_148:
	s_or_b64 exec, exec, s[10:11]
	v_or_b32_e32 v9, 0xd00, v0
	v_cmp_gt_i32_e32 vcc, s33, v9
                                        ; implicit-def: $vgpr9
	s_and_saveexec_b64 s[10:11], vcc
	s_cbranch_execz .LBB139_153
; %bb.149:
	s_and_b64 vcc, exec, s[2:3]
	s_cbranch_vccnz .LBB139_225
; %bb.150:
	v_cmp_neq_f32_e32 vcc, s12, v4
	v_cmp_neq_f32_e64 s[4:5], s13, v5
	s_or_b64 s[14:15], vcc, s[4:5]
	s_cbranch_execnz .LBB139_152
.LBB139_151:
	v_cmp_eq_f32_e32 vcc, s12, v4
	v_cmp_eq_f32_e64 s[4:5], s13, v5
	s_and_b64 s[4:5], vcc, s[4:5]
	s_andn2_b64 s[14:15], s[14:15], exec
	s_and_b64 s[4:5], s[4:5], exec
	s_or_b64 s[14:15], s[14:15], s[4:5]
.LBB139_152:
	v_cndmask_b32_e64 v9, 0, 1, s[14:15]
.LBB139_153:
	s_or_b64 exec, exec, s[10:11]
	v_or_b32_e32 v4, 0xe00, v0
	v_cmp_gt_i32_e32 vcc, s33, v4
                                        ; implicit-def: $vgpr4
	s_and_saveexec_b64 s[10:11], vcc
	s_cbranch_execz .LBB139_158
; %bb.154:
	s_and_b64 vcc, exec, s[2:3]
	s_cbranch_vccnz .LBB139_226
; %bb.155:
	v_cmp_neq_f32_e32 vcc, s12, v6
	v_cmp_neq_f32_e64 s[4:5], s13, v7
	s_or_b64 s[14:15], vcc, s[4:5]
	s_cbranch_execnz .LBB139_157
.LBB139_156:
	v_cmp_eq_f32_e32 vcc, s12, v6
	v_cmp_eq_f32_e64 s[4:5], s13, v7
	s_and_b64 s[4:5], vcc, s[4:5]
	s_andn2_b64 s[14:15], s[14:15], exec
	s_and_b64 s[4:5], s[4:5], exec
	s_or_b64 s[14:15], s[14:15], s[4:5]
.LBB139_157:
	v_cndmask_b32_e64 v4, 0, 1, s[14:15]
.LBB139_158:
	s_or_b64 exec, exec, s[10:11]
	v_or_b32_e32 v5, 0xf00, v0
	v_cmp_gt_i32_e32 vcc, s33, v5
                                        ; implicit-def: $vgpr5
	s_and_saveexec_b64 s[4:5], vcc
	s_cbranch_execz .LBB139_163
; %bb.159:
	s_and_b64 vcc, exec, s[2:3]
	s_cbranch_vccnz .LBB139_227
; %bb.160:
	v_cmp_neq_f32_e32 vcc, s12, v2
	v_cmp_neq_f32_e64 s[2:3], s13, v3
	s_or_b64 s[10:11], vcc, s[2:3]
	s_cbranch_execnz .LBB139_162
.LBB139_161:
	v_cmp_eq_f32_e32 vcc, s12, v2
	v_cmp_eq_f32_e64 s[2:3], s13, v3
	s_and_b64 s[2:3], vcc, s[2:3]
	s_andn2_b64 s[10:11], s[10:11], exec
	s_and_b64 s[2:3], s[2:3], exec
	s_or_b64 s[10:11], s[10:11], s[2:3]
.LBB139_162:
	v_cndmask_b32_e64 v5, 0, 1, s[10:11]
.LBB139_163:
	s_or_b64 exec, exec, s[4:5]
	s_and_saveexec_b64 s[2:3], s[0:1]
	s_xor_b64 s[0:1], exec, s[2:3]
	s_cbranch_execz .LBB139_165
; %bb.164:
	v_mov_b32_e32 v0, v32
	global_store_byte v1, v34, s[8:9]
.LBB139_165:
	s_or_b64 exec, exec, s[0:1]
	v_cmp_gt_i32_e32 vcc, s33, v0
	s_and_saveexec_b64 s[0:1], vcc
	s_cbranch_execnz .LBB139_181
; %bb.166:
	s_or_b64 exec, exec, s[0:1]
	v_cmp_gt_i32_e32 vcc, s33, v0
	s_and_saveexec_b64 s[0:1], vcc
	s_cbranch_execnz .LBB139_182
.LBB139_167:
	s_or_b64 exec, exec, s[0:1]
	v_cmp_gt_i32_e32 vcc, s33, v0
	s_and_saveexec_b64 s[0:1], vcc
	s_cbranch_execnz .LBB139_183
.LBB139_168:
	s_or_b64 exec, exec, s[0:1]
	v_cmp_gt_i32_e32 vcc, s33, v0
	s_and_saveexec_b64 s[0:1], vcc
	s_cbranch_execnz .LBB139_184
.LBB139_169:
	s_or_b64 exec, exec, s[0:1]
	v_cmp_gt_i32_e32 vcc, s33, v0
	s_and_saveexec_b64 s[0:1], vcc
	s_cbranch_execnz .LBB139_185
.LBB139_170:
	s_or_b64 exec, exec, s[0:1]
	v_cmp_gt_i32_e32 vcc, s33, v0
	s_and_saveexec_b64 s[0:1], vcc
	s_cbranch_execnz .LBB139_186
.LBB139_171:
	s_or_b64 exec, exec, s[0:1]
	v_cmp_gt_i32_e32 vcc, s33, v0
	s_and_saveexec_b64 s[0:1], vcc
	s_cbranch_execnz .LBB139_187
.LBB139_172:
	s_or_b64 exec, exec, s[0:1]
	v_cmp_gt_i32_e32 vcc, s33, v0
	s_and_saveexec_b64 s[0:1], vcc
	s_cbranch_execnz .LBB139_188
.LBB139_173:
	s_or_b64 exec, exec, s[0:1]
	v_cmp_gt_i32_e32 vcc, s33, v0
	s_and_saveexec_b64 s[0:1], vcc
	s_cbranch_execnz .LBB139_189
.LBB139_174:
	s_or_b64 exec, exec, s[0:1]
	v_cmp_gt_i32_e32 vcc, s33, v0
	s_and_saveexec_b64 s[0:1], vcc
	s_cbranch_execnz .LBB139_190
.LBB139_175:
	s_or_b64 exec, exec, s[0:1]
	v_cmp_gt_i32_e32 vcc, s33, v0
	s_and_saveexec_b64 s[0:1], vcc
	s_cbranch_execnz .LBB139_191
.LBB139_176:
	s_or_b64 exec, exec, s[0:1]
	v_cmp_gt_i32_e32 vcc, s33, v0
	s_and_saveexec_b64 s[0:1], vcc
	s_cbranch_execnz .LBB139_192
.LBB139_177:
	s_or_b64 exec, exec, s[0:1]
	v_cmp_gt_i32_e32 vcc, s33, v0
	s_and_saveexec_b64 s[0:1], vcc
	s_cbranch_execnz .LBB139_193
.LBB139_178:
	s_or_b64 exec, exec, s[0:1]
	v_cmp_gt_i32_e32 vcc, s33, v0
	s_and_saveexec_b64 s[0:1], vcc
	s_cbranch_execnz .LBB139_194
.LBB139_179:
	s_or_b64 exec, exec, s[0:1]
	v_cmp_gt_i32_e32 vcc, s33, v0
	s_and_saveexec_b64 s[0:1], vcc
	s_cbranch_execz .LBB139_195
.LBB139_180:
	v_add_u32_e32 v0, s6, v0
	global_store_byte v0, v5, s[8:9]
	s_endpgm
.LBB139_181:
	v_add_u32_e32 v1, s6, v0
	v_add_u32_e32 v0, 0x100, v0
	global_store_byte v1, v33, s[8:9]
	s_or_b64 exec, exec, s[0:1]
	v_cmp_gt_i32_e32 vcc, s33, v0
	s_and_saveexec_b64 s[0:1], vcc
	s_cbranch_execz .LBB139_167
.LBB139_182:
	v_add_u32_e32 v1, s6, v0
	v_add_u32_e32 v0, 0x100, v0
	global_store_byte v1, v28, s[8:9]
	s_or_b64 exec, exec, s[0:1]
	v_cmp_gt_i32_e32 vcc, s33, v0
	s_and_saveexec_b64 s[0:1], vcc
	s_cbranch_execz .LBB139_168
.LBB139_183:
	v_add_u32_e32 v1, s6, v0
	v_add_u32_e32 v0, 0x100, v0
	global_store_byte v1, v29, s[8:9]
	s_or_b64 exec, exec, s[0:1]
	v_cmp_gt_i32_e32 vcc, s33, v0
	s_and_saveexec_b64 s[0:1], vcc
	s_cbranch_execz .LBB139_169
.LBB139_184:
	v_add_u32_e32 v1, s6, v0
	v_add_u32_e32 v0, 0x100, v0
	global_store_byte v1, v24, s[8:9]
	s_or_b64 exec, exec, s[0:1]
	v_cmp_gt_i32_e32 vcc, s33, v0
	s_and_saveexec_b64 s[0:1], vcc
	s_cbranch_execz .LBB139_170
.LBB139_185:
	v_add_u32_e32 v1, s6, v0
	v_add_u32_e32 v0, 0x100, v0
	global_store_byte v1, v25, s[8:9]
	s_or_b64 exec, exec, s[0:1]
	v_cmp_gt_i32_e32 vcc, s33, v0
	s_and_saveexec_b64 s[0:1], vcc
	s_cbranch_execz .LBB139_171
.LBB139_186:
	v_add_u32_e32 v1, s6, v0
	v_add_u32_e32 v0, 0x100, v0
	global_store_byte v1, v20, s[8:9]
	s_or_b64 exec, exec, s[0:1]
	v_cmp_gt_i32_e32 vcc, s33, v0
	s_and_saveexec_b64 s[0:1], vcc
	s_cbranch_execz .LBB139_172
.LBB139_187:
	v_add_u32_e32 v1, s6, v0
	v_add_u32_e32 v0, 0x100, v0
	global_store_byte v1, v21, s[8:9]
	s_or_b64 exec, exec, s[0:1]
	v_cmp_gt_i32_e32 vcc, s33, v0
	s_and_saveexec_b64 s[0:1], vcc
	s_cbranch_execz .LBB139_173
.LBB139_188:
	v_add_u32_e32 v1, s6, v0
	v_add_u32_e32 v0, 0x100, v0
	global_store_byte v1, v16, s[8:9]
	s_or_b64 exec, exec, s[0:1]
	v_cmp_gt_i32_e32 vcc, s33, v0
	s_and_saveexec_b64 s[0:1], vcc
	s_cbranch_execz .LBB139_174
.LBB139_189:
	v_add_u32_e32 v1, s6, v0
	v_add_u32_e32 v0, 0x100, v0
	global_store_byte v1, v17, s[8:9]
	s_or_b64 exec, exec, s[0:1]
	v_cmp_gt_i32_e32 vcc, s33, v0
	s_and_saveexec_b64 s[0:1], vcc
	s_cbranch_execz .LBB139_175
.LBB139_190:
	v_add_u32_e32 v1, s6, v0
	v_add_u32_e32 v0, 0x100, v0
	global_store_byte v1, v12, s[8:9]
	s_or_b64 exec, exec, s[0:1]
	v_cmp_gt_i32_e32 vcc, s33, v0
	s_and_saveexec_b64 s[0:1], vcc
	s_cbranch_execz .LBB139_176
.LBB139_191:
	v_add_u32_e32 v1, s6, v0
	v_add_u32_e32 v0, 0x100, v0
	global_store_byte v1, v13, s[8:9]
	s_or_b64 exec, exec, s[0:1]
	v_cmp_gt_i32_e32 vcc, s33, v0
	s_and_saveexec_b64 s[0:1], vcc
	s_cbranch_execz .LBB139_177
.LBB139_192:
	v_add_u32_e32 v1, s6, v0
	v_add_u32_e32 v0, 0x100, v0
	global_store_byte v1, v8, s[8:9]
	s_or_b64 exec, exec, s[0:1]
	v_cmp_gt_i32_e32 vcc, s33, v0
	s_and_saveexec_b64 s[0:1], vcc
	s_cbranch_execz .LBB139_178
.LBB139_193:
	v_add_u32_e32 v1, s6, v0
	v_add_u32_e32 v0, 0x100, v0
	global_store_byte v1, v9, s[8:9]
	s_or_b64 exec, exec, s[0:1]
	v_cmp_gt_i32_e32 vcc, s33, v0
	s_and_saveexec_b64 s[0:1], vcc
	s_cbranch_execz .LBB139_179
.LBB139_194:
	v_add_u32_e32 v1, s6, v0
	v_add_u32_e32 v0, 0x100, v0
	global_store_byte v1, v4, s[8:9]
	s_or_b64 exec, exec, s[0:1]
	v_cmp_gt_i32_e32 vcc, s33, v0
	s_and_saveexec_b64 s[0:1], vcc
	s_cbranch_execnz .LBB139_180
.LBB139_195:
	s_endpgm
.LBB139_196:
                                        ; implicit-def: $sgpr4_sgpr5
	s_branch .LBB139_3
.LBB139_197:
                                        ; implicit-def: $sgpr14_sgpr15
	s_branch .LBB139_6
.LBB139_198:
                                        ; implicit-def: $sgpr16_sgpr17
	s_branch .LBB139_9
.LBB139_199:
                                        ; implicit-def: $sgpr18_sgpr19
	s_branch .LBB139_12
.LBB139_200:
                                        ; implicit-def: $sgpr20_sgpr21
	s_branch .LBB139_15
.LBB139_201:
                                        ; implicit-def: $sgpr22_sgpr23
	s_branch .LBB139_18
.LBB139_202:
                                        ; implicit-def: $sgpr24_sgpr25
	s_branch .LBB139_21
.LBB139_203:
                                        ; implicit-def: $sgpr26_sgpr27
	s_branch .LBB139_24
.LBB139_204:
                                        ; implicit-def: $sgpr28_sgpr29
	s_branch .LBB139_27
.LBB139_205:
                                        ; implicit-def: $sgpr30_sgpr31
	s_branch .LBB139_30
.LBB139_206:
                                        ; implicit-def: $sgpr34_sgpr35
	s_branch .LBB139_33
.LBB139_207:
                                        ; implicit-def: $sgpr36_sgpr37
	s_branch .LBB139_36
.LBB139_208:
                                        ; implicit-def: $sgpr38_sgpr39
	s_branch .LBB139_39
.LBB139_209:
                                        ; implicit-def: $sgpr40_sgpr41
	s_branch .LBB139_42
.LBB139_210:
                                        ; implicit-def: $sgpr42_sgpr43
	s_branch .LBB139_45
.LBB139_211:
                                        ; implicit-def: $sgpr2_sgpr3
	s_branch .LBB139_48
.LBB139_212:
                                        ; implicit-def: $sgpr14_sgpr15
	s_branch .LBB139_86
.LBB139_213:
                                        ; implicit-def: $sgpr14_sgpr15
	s_branch .LBB139_91
.LBB139_214:
                                        ; implicit-def: $sgpr14_sgpr15
	s_branch .LBB139_96
.LBB139_215:
                                        ; implicit-def: $sgpr14_sgpr15
	s_branch .LBB139_101
.LBB139_216:
                                        ; implicit-def: $sgpr14_sgpr15
	s_branch .LBB139_106
.LBB139_217:
                                        ; implicit-def: $sgpr14_sgpr15
	s_branch .LBB139_111
.LBB139_218:
                                        ; implicit-def: $sgpr14_sgpr15
	s_branch .LBB139_116
.LBB139_219:
                                        ; implicit-def: $sgpr14_sgpr15
	s_branch .LBB139_121
.LBB139_220:
                                        ; implicit-def: $sgpr14_sgpr15
	s_branch .LBB139_126
.LBB139_221:
                                        ; implicit-def: $sgpr14_sgpr15
	s_branch .LBB139_131
.LBB139_222:
                                        ; implicit-def: $sgpr14_sgpr15
	s_branch .LBB139_136
.LBB139_223:
                                        ; implicit-def: $sgpr14_sgpr15
	s_branch .LBB139_141
.LBB139_224:
                                        ; implicit-def: $sgpr14_sgpr15
	s_branch .LBB139_146
.LBB139_225:
                                        ; implicit-def: $sgpr14_sgpr15
	s_branch .LBB139_151
.LBB139_226:
                                        ; implicit-def: $sgpr14_sgpr15
	s_branch .LBB139_156
.LBB139_227:
                                        ; implicit-def: $sgpr10_sgpr11
	s_branch .LBB139_161
	.section	.rodata,"a",@progbits
	.p2align	6, 0x0
	.amdhsa_kernel _ZN2at6native29vectorized_elementwise_kernelILi2ENS0_13AUnaryFunctorIN3c107complexIfEES5_bNS0_12_GLOBAL__N_116CompareEqFunctorIS5_EEEESt5arrayIPcLm2EEEEviT0_T1_
		.amdhsa_group_segment_fixed_size 0
		.amdhsa_private_segment_fixed_size 0
		.amdhsa_kernarg_size 40
		.amdhsa_user_sgpr_count 6
		.amdhsa_user_sgpr_private_segment_buffer 1
		.amdhsa_user_sgpr_dispatch_ptr 0
		.amdhsa_user_sgpr_queue_ptr 0
		.amdhsa_user_sgpr_kernarg_segment_ptr 1
		.amdhsa_user_sgpr_dispatch_id 0
		.amdhsa_user_sgpr_flat_scratch_init 0
		.amdhsa_user_sgpr_private_segment_size 0
		.amdhsa_uses_dynamic_stack 0
		.amdhsa_system_sgpr_private_segment_wavefront_offset 0
		.amdhsa_system_sgpr_workgroup_id_x 1
		.amdhsa_system_sgpr_workgroup_id_y 0
		.amdhsa_system_sgpr_workgroup_id_z 0
		.amdhsa_system_sgpr_workgroup_info 0
		.amdhsa_system_vgpr_workitem_id 0
		.amdhsa_next_free_vgpr 37
		.amdhsa_next_free_sgpr 45
		.amdhsa_reserve_vcc 1
		.amdhsa_reserve_flat_scratch 0
		.amdhsa_float_round_mode_32 0
		.amdhsa_float_round_mode_16_64 0
		.amdhsa_float_denorm_mode_32 3
		.amdhsa_float_denorm_mode_16_64 3
		.amdhsa_dx10_clamp 1
		.amdhsa_ieee_mode 1
		.amdhsa_fp16_overflow 0
		.amdhsa_exception_fp_ieee_invalid_op 0
		.amdhsa_exception_fp_denorm_src 0
		.amdhsa_exception_fp_ieee_div_zero 0
		.amdhsa_exception_fp_ieee_overflow 0
		.amdhsa_exception_fp_ieee_underflow 0
		.amdhsa_exception_fp_ieee_inexact 0
		.amdhsa_exception_int_div_zero 0
	.end_amdhsa_kernel
	.section	.text._ZN2at6native29vectorized_elementwise_kernelILi2ENS0_13AUnaryFunctorIN3c107complexIfEES5_bNS0_12_GLOBAL__N_116CompareEqFunctorIS5_EEEESt5arrayIPcLm2EEEEviT0_T1_,"axG",@progbits,_ZN2at6native29vectorized_elementwise_kernelILi2ENS0_13AUnaryFunctorIN3c107complexIfEES5_bNS0_12_GLOBAL__N_116CompareEqFunctorIS5_EEEESt5arrayIPcLm2EEEEviT0_T1_,comdat
.Lfunc_end139:
	.size	_ZN2at6native29vectorized_elementwise_kernelILi2ENS0_13AUnaryFunctorIN3c107complexIfEES5_bNS0_12_GLOBAL__N_116CompareEqFunctorIS5_EEEESt5arrayIPcLm2EEEEviT0_T1_, .Lfunc_end139-_ZN2at6native29vectorized_elementwise_kernelILi2ENS0_13AUnaryFunctorIN3c107complexIfEES5_bNS0_12_GLOBAL__N_116CompareEqFunctorIS5_EEEESt5arrayIPcLm2EEEEviT0_T1_
                                        ; -- End function
	.set _ZN2at6native29vectorized_elementwise_kernelILi2ENS0_13AUnaryFunctorIN3c107complexIfEES5_bNS0_12_GLOBAL__N_116CompareEqFunctorIS5_EEEESt5arrayIPcLm2EEEEviT0_T1_.num_vgpr, 37
	.set _ZN2at6native29vectorized_elementwise_kernelILi2ENS0_13AUnaryFunctorIN3c107complexIfEES5_bNS0_12_GLOBAL__N_116CompareEqFunctorIS5_EEEESt5arrayIPcLm2EEEEviT0_T1_.num_agpr, 0
	.set _ZN2at6native29vectorized_elementwise_kernelILi2ENS0_13AUnaryFunctorIN3c107complexIfEES5_bNS0_12_GLOBAL__N_116CompareEqFunctorIS5_EEEESt5arrayIPcLm2EEEEviT0_T1_.numbered_sgpr, 45
	.set _ZN2at6native29vectorized_elementwise_kernelILi2ENS0_13AUnaryFunctorIN3c107complexIfEES5_bNS0_12_GLOBAL__N_116CompareEqFunctorIS5_EEEESt5arrayIPcLm2EEEEviT0_T1_.num_named_barrier, 0
	.set _ZN2at6native29vectorized_elementwise_kernelILi2ENS0_13AUnaryFunctorIN3c107complexIfEES5_bNS0_12_GLOBAL__N_116CompareEqFunctorIS5_EEEESt5arrayIPcLm2EEEEviT0_T1_.private_seg_size, 0
	.set _ZN2at6native29vectorized_elementwise_kernelILi2ENS0_13AUnaryFunctorIN3c107complexIfEES5_bNS0_12_GLOBAL__N_116CompareEqFunctorIS5_EEEESt5arrayIPcLm2EEEEviT0_T1_.uses_vcc, 1
	.set _ZN2at6native29vectorized_elementwise_kernelILi2ENS0_13AUnaryFunctorIN3c107complexIfEES5_bNS0_12_GLOBAL__N_116CompareEqFunctorIS5_EEEESt5arrayIPcLm2EEEEviT0_T1_.uses_flat_scratch, 0
	.set _ZN2at6native29vectorized_elementwise_kernelILi2ENS0_13AUnaryFunctorIN3c107complexIfEES5_bNS0_12_GLOBAL__N_116CompareEqFunctorIS5_EEEESt5arrayIPcLm2EEEEviT0_T1_.has_dyn_sized_stack, 0
	.set _ZN2at6native29vectorized_elementwise_kernelILi2ENS0_13AUnaryFunctorIN3c107complexIfEES5_bNS0_12_GLOBAL__N_116CompareEqFunctorIS5_EEEESt5arrayIPcLm2EEEEviT0_T1_.has_recursion, 0
	.set _ZN2at6native29vectorized_elementwise_kernelILi2ENS0_13AUnaryFunctorIN3c107complexIfEES5_bNS0_12_GLOBAL__N_116CompareEqFunctorIS5_EEEESt5arrayIPcLm2EEEEviT0_T1_.has_indirect_call, 0
	.section	.AMDGPU.csdata,"",@progbits
; Kernel info:
; codeLenInByte = 4976
; TotalNumSgprs: 49
; NumVgprs: 37
; ScratchSize: 0
; MemoryBound: 0
; FloatMode: 240
; IeeeMode: 1
; LDSByteSize: 0 bytes/workgroup (compile time only)
; SGPRBlocks: 6
; VGPRBlocks: 9
; NumSGPRsForWavesPerEU: 49
; NumVGPRsForWavesPerEU: 37
; Occupancy: 6
; WaveLimiterHint : 1
; COMPUTE_PGM_RSRC2:SCRATCH_EN: 0
; COMPUTE_PGM_RSRC2:USER_SGPR: 6
; COMPUTE_PGM_RSRC2:TRAP_HANDLER: 0
; COMPUTE_PGM_RSRC2:TGID_X_EN: 1
; COMPUTE_PGM_RSRC2:TGID_Y_EN: 0
; COMPUTE_PGM_RSRC2:TGID_Z_EN: 0
; COMPUTE_PGM_RSRC2:TIDIG_COMP_CNT: 0
	.section	.text._ZN2at6native27unrolled_elementwise_kernelINS0_13AUnaryFunctorIN3c107complexIfEES5_bNS0_12_GLOBAL__N_116CompareEqFunctorIS5_EEEESt5arrayIPcLm2EELi4E23TrivialOffsetCalculatorILi1EjESE_NS0_6memory15LoadWithoutCastENSF_16StoreWithoutCastEEEviT_T0_T2_T3_T4_T5_,"axG",@progbits,_ZN2at6native27unrolled_elementwise_kernelINS0_13AUnaryFunctorIN3c107complexIfEES5_bNS0_12_GLOBAL__N_116CompareEqFunctorIS5_EEEESt5arrayIPcLm2EELi4E23TrivialOffsetCalculatorILi1EjESE_NS0_6memory15LoadWithoutCastENSF_16StoreWithoutCastEEEviT_T0_T2_T3_T4_T5_,comdat
	.globl	_ZN2at6native27unrolled_elementwise_kernelINS0_13AUnaryFunctorIN3c107complexIfEES5_bNS0_12_GLOBAL__N_116CompareEqFunctorIS5_EEEESt5arrayIPcLm2EELi4E23TrivialOffsetCalculatorILi1EjESE_NS0_6memory15LoadWithoutCastENSF_16StoreWithoutCastEEEviT_T0_T2_T3_T4_T5_ ; -- Begin function _ZN2at6native27unrolled_elementwise_kernelINS0_13AUnaryFunctorIN3c107complexIfEES5_bNS0_12_GLOBAL__N_116CompareEqFunctorIS5_EEEESt5arrayIPcLm2EELi4E23TrivialOffsetCalculatorILi1EjESE_NS0_6memory15LoadWithoutCastENSF_16StoreWithoutCastEEEviT_T0_T2_T3_T4_T5_
	.p2align	8
	.type	_ZN2at6native27unrolled_elementwise_kernelINS0_13AUnaryFunctorIN3c107complexIfEES5_bNS0_12_GLOBAL__N_116CompareEqFunctorIS5_EEEESt5arrayIPcLm2EELi4E23TrivialOffsetCalculatorILi1EjESE_NS0_6memory15LoadWithoutCastENSF_16StoreWithoutCastEEEviT_T0_T2_T3_T4_T5_,@function
_ZN2at6native27unrolled_elementwise_kernelINS0_13AUnaryFunctorIN3c107complexIfEES5_bNS0_12_GLOBAL__N_116CompareEqFunctorIS5_EEEESt5arrayIPcLm2EELi4E23TrivialOffsetCalculatorILi1EjESE_NS0_6memory15LoadWithoutCastENSF_16StoreWithoutCastEEEviT_T0_T2_T3_T4_T5_: ; @_ZN2at6native27unrolled_elementwise_kernelINS0_13AUnaryFunctorIN3c107complexIfEES5_bNS0_12_GLOBAL__N_116CompareEqFunctorIS5_EEEESt5arrayIPcLm2EELi4E23TrivialOffsetCalculatorILi1EjESE_NS0_6memory15LoadWithoutCastENSF_16StoreWithoutCastEEEviT_T0_T2_T3_T4_T5_
; %bb.0:
	s_load_dword s0, s[4:5], 0x0
	s_load_dwordx4 s[8:11], s[4:5], 0x18
	s_lshl_b32 s14, s6, 10
	v_mov_b32_e32 v5, 0
	v_or_b32_e32 v1, s14, v0
	s_waitcnt lgkmcnt(0)
	s_sub_i32 s15, s0, s14
	v_cmp_gt_i32_e64 s[0:1], s15, v0
	v_mov_b32_e32 v9, 0
	v_mov_b32_e32 v8, 0
	;; [unrolled: 1-line block ×3, first 2 shown]
	s_and_saveexec_b64 s[2:3], s[0:1]
	s_cbranch_execz .LBB140_2
; %bb.1:
	v_mov_b32_e32 v2, 0
	v_lshlrev_b64 v[2:3], 3, v[1:2]
	v_mov_b32_e32 v4, s11
	v_add_co_u32_e32 v2, vcc, s10, v2
	v_addc_co_u32_e32 v3, vcc, v4, v3, vcc
	global_load_dwordx2 v[8:9], v[2:3], off
	v_or_b32_e32 v10, 0x100, v0
.LBB140_2:
	s_or_b64 exec, exec, s[2:3]
	v_cmp_gt_i32_e32 vcc, s15, v10
	v_mov_b32_e32 v4, 0
	s_and_saveexec_b64 s[2:3], vcc
	s_cbranch_execz .LBB140_4
; %bb.3:
	v_add_u32_e32 v2, s14, v10
	v_mov_b32_e32 v3, 0
	v_lshlrev_b64 v[2:3], 3, v[2:3]
	v_mov_b32_e32 v4, s11
	v_add_co_u32_e32 v2, vcc, s10, v2
	v_addc_co_u32_e32 v3, vcc, v4, v3, vcc
	global_load_dwordx2 v[4:5], v[2:3], off
	v_add_u32_e32 v10, 0x100, v10
.LBB140_4:
	s_or_b64 exec, exec, s[2:3]
	s_load_dwordx2 s[6:7], s[4:5], 0x10
	v_cmp_gt_i32_e32 vcc, s15, v10
	v_mov_b32_e32 v3, 0
	v_mov_b32_e32 v7, 0
	v_mov_b32_e32 v6, 0
	s_and_saveexec_b64 s[2:3], vcc
	s_cbranch_execz .LBB140_6
; %bb.5:
	v_add_u32_e32 v6, s14, v10
	v_mov_b32_e32 v7, 0
	v_lshlrev_b64 v[6:7], 3, v[6:7]
	v_mov_b32_e32 v2, s11
	v_add_co_u32_e32 v6, vcc, s10, v6
	v_addc_co_u32_e32 v7, vcc, v2, v7, vcc
	global_load_dwordx2 v[6:7], v[6:7], off
	v_add_u32_e32 v10, 0x100, v10
.LBB140_6:
	s_or_b64 exec, exec, s[2:3]
	s_load_dword s4, s[4:5], 0x8
	v_cmp_gt_i32_e32 vcc, s15, v10
	v_mov_b32_e32 v2, 0
	s_and_saveexec_b64 s[2:3], vcc
	s_cbranch_execz .LBB140_8
; %bb.7:
	v_add_u32_e32 v2, s14, v10
	v_mov_b32_e32 v3, 0
	v_lshlrev_b64 v[2:3], 3, v[2:3]
	v_mov_b32_e32 v10, s11
	v_add_co_u32_e32 v2, vcc, s10, v2
	v_addc_co_u32_e32 v3, vcc, v10, v3, vcc
	global_load_dwordx2 v[2:3], v[2:3], off
.LBB140_8:
	s_or_b64 exec, exec, s[2:3]
	s_waitcnt lgkmcnt(0)
	s_cmp_lg_u32 s4, 0
	s_cselect_b64 s[4:5], -1, 0
	v_mov_b32_e32 v10, 0
	s_and_saveexec_b64 s[10:11], s[0:1]
	s_cbranch_execz .LBB140_13
; %bb.9:
	s_and_b64 vcc, exec, s[4:5]
	s_cbranch_vccz .LBB140_37
; %bb.10:
	s_waitcnt vmcnt(0)
	v_cmp_neq_f32_e32 vcc, s6, v8
	v_cmp_neq_f32_e64 s[2:3], s7, v9
	s_or_b64 s[12:13], vcc, s[2:3]
	s_cbranch_execnz .LBB140_12
.LBB140_11:
	s_waitcnt vmcnt(0)
	v_cmp_eq_f32_e32 vcc, s6, v8
	v_cmp_eq_f32_e64 s[2:3], s7, v9
	s_and_b64 s[2:3], vcc, s[2:3]
	s_andn2_b64 s[12:13], s[12:13], exec
	s_and_b64 s[2:3], s[2:3], exec
	s_or_b64 s[12:13], s[12:13], s[2:3]
.LBB140_12:
	v_cndmask_b32_e64 v10, 0, 1, s[12:13]
.LBB140_13:
	s_or_b64 exec, exec, s[10:11]
	s_waitcnt vmcnt(0)
	v_or_b32_e32 v8, 0x100, v0
	v_cndmask_b32_e64 v9, 0, 1, s[4:5]
	v_cmp_gt_i32_e32 vcc, s15, v8
	v_cmp_ne_u32_e64 s[2:3], 1, v9
	s_and_saveexec_b64 s[10:11], vcc
	s_cbranch_execz .LBB140_18
; %bb.14:
	s_and_b64 vcc, exec, s[2:3]
	s_cbranch_vccnz .LBB140_38
; %bb.15:
	v_cmp_neq_f32_e32 vcc, s6, v4
	v_cmp_neq_f32_e64 s[4:5], s7, v5
	s_or_b64 s[12:13], vcc, s[4:5]
	s_cbranch_execnz .LBB140_17
.LBB140_16:
	v_cmp_eq_f32_e32 vcc, s6, v4
	v_cmp_eq_f32_e64 s[4:5], s7, v5
	s_and_b64 s[4:5], vcc, s[4:5]
	s_andn2_b64 s[12:13], s[12:13], exec
	s_and_b64 s[4:5], s[4:5], exec
	s_or_b64 s[12:13], s[12:13], s[4:5]
.LBB140_17:
	v_cndmask_b32_e64 v4, 0, 1, s[12:13]
	v_lshlrev_b16_e32 v4, 8, v4
	v_or_b32_e32 v4, v10, v4
	v_and_b32_e32 v10, 0xffff, v4
.LBB140_18:
	s_or_b64 exec, exec, s[10:11]
	v_or_b32_e32 v4, 0x200, v0
	v_cmp_gt_i32_e32 vcc, s15, v4
	s_and_saveexec_b64 s[10:11], vcc
	s_cbranch_execz .LBB140_23
; %bb.19:
	s_and_b64 vcc, exec, s[2:3]
	s_cbranch_vccnz .LBB140_39
; %bb.20:
	v_cmp_neq_f32_e32 vcc, s6, v6
	v_cmp_neq_f32_e64 s[4:5], s7, v7
	s_or_b64 s[12:13], vcc, s[4:5]
	s_cbranch_execnz .LBB140_22
.LBB140_21:
	v_cmp_eq_f32_e32 vcc, s6, v6
	v_cmp_eq_f32_e64 s[4:5], s7, v7
	s_and_b64 s[4:5], vcc, s[4:5]
	s_andn2_b64 s[12:13], s[12:13], exec
	s_and_b64 s[4:5], s[4:5], exec
	s_or_b64 s[12:13], s[12:13], s[4:5]
.LBB140_22:
	v_cndmask_b32_e64 v4, 0, 1, s[12:13]
	v_lshl_or_b32 v10, v4, 16, v10
.LBB140_23:
	s_or_b64 exec, exec, s[10:11]
	v_or_b32_e32 v4, 0x300, v0
	v_cmp_gt_i32_e32 vcc, s15, v4
	s_and_saveexec_b64 s[4:5], vcc
	s_cbranch_execz .LBB140_28
; %bb.24:
	s_and_b64 vcc, exec, s[2:3]
	s_cbranch_vccnz .LBB140_40
; %bb.25:
	v_cmp_neq_f32_e32 vcc, s6, v2
	v_cmp_neq_f32_e64 s[2:3], s7, v3
	s_or_b64 s[10:11], vcc, s[2:3]
	s_cbranch_execnz .LBB140_27
.LBB140_26:
	v_cmp_eq_f32_e32 vcc, s6, v2
	v_cmp_eq_f32_e64 s[2:3], s7, v3
	s_and_b64 s[2:3], vcc, s[2:3]
	s_andn2_b64 s[6:7], s[10:11], exec
	s_and_b64 s[2:3], s[2:3], exec
	s_or_b64 s[10:11], s[6:7], s[2:3]
.LBB140_27:
	v_cndmask_b32_e64 v2, 0, 1, s[10:11]
	v_lshlrev_b16_e32 v2, 8, v2
	v_or_b32_sdwa v2, v10, v2 dst_sel:WORD_1 dst_unused:UNUSED_PAD src0_sel:WORD_1 src1_sel:DWORD
	s_mov_b32 s2, 0xffff
	v_and_or_b32 v10, v10, s2, v2
.LBB140_28:
	s_or_b64 exec, exec, s[4:5]
	s_and_saveexec_b64 s[2:3], s[0:1]
	s_xor_b64 s[0:1], exec, s[2:3]
	s_cbranch_execz .LBB140_30
; %bb.29:
	v_mov_b32_e32 v0, v8
	global_store_byte v1, v10, s[8:9]
.LBB140_30:
	s_or_b64 exec, exec, s[0:1]
	v_cmp_gt_i32_e32 vcc, s15, v0
	s_and_saveexec_b64 s[0:1], vcc
	s_cbranch_execnz .LBB140_34
; %bb.31:
	s_or_b64 exec, exec, s[0:1]
	v_cmp_gt_i32_e32 vcc, s15, v0
	s_and_saveexec_b64 s[0:1], vcc
	s_cbranch_execnz .LBB140_35
.LBB140_32:
	s_or_b64 exec, exec, s[0:1]
	v_cmp_gt_i32_e32 vcc, s15, v0
	s_and_saveexec_b64 s[0:1], vcc
	s_cbranch_execnz .LBB140_36
.LBB140_33:
	s_endpgm
.LBB140_34:
	v_add_u32_e32 v1, 0x100, v0
	v_add_u32_e32 v0, s14, v0
	v_lshrrev_b32_e32 v2, 8, v10
	global_store_byte v0, v2, s[8:9]
	v_mov_b32_e32 v0, v1
	s_or_b64 exec, exec, s[0:1]
	v_cmp_gt_i32_e32 vcc, s15, v0
	s_and_saveexec_b64 s[0:1], vcc
	s_cbranch_execz .LBB140_32
.LBB140_35:
	v_add_u32_e32 v1, 0x100, v0
	v_add_u32_e32 v0, s14, v0
	global_store_byte_d16_hi v0, v10, s[8:9]
	v_mov_b32_e32 v0, v1
	s_or_b64 exec, exec, s[0:1]
	v_cmp_gt_i32_e32 vcc, s15, v0
	s_and_saveexec_b64 s[0:1], vcc
	s_cbranch_execz .LBB140_33
.LBB140_36:
	v_add_u32_e32 v0, s14, v0
	v_lshrrev_b32_e32 v1, 24, v10
	global_store_byte v0, v1, s[8:9]
	s_endpgm
.LBB140_37:
                                        ; implicit-def: $sgpr12_sgpr13
	s_branch .LBB140_11
.LBB140_38:
                                        ; implicit-def: $sgpr12_sgpr13
	s_branch .LBB140_16
.LBB140_39:
                                        ; implicit-def: $sgpr12_sgpr13
	s_branch .LBB140_21
.LBB140_40:
                                        ; implicit-def: $sgpr10_sgpr11
	s_branch .LBB140_26
	.section	.rodata,"a",@progbits
	.p2align	6, 0x0
	.amdhsa_kernel _ZN2at6native27unrolled_elementwise_kernelINS0_13AUnaryFunctorIN3c107complexIfEES5_bNS0_12_GLOBAL__N_116CompareEqFunctorIS5_EEEESt5arrayIPcLm2EELi4E23TrivialOffsetCalculatorILi1EjESE_NS0_6memory15LoadWithoutCastENSF_16StoreWithoutCastEEEviT_T0_T2_T3_T4_T5_
		.amdhsa_group_segment_fixed_size 0
		.amdhsa_private_segment_fixed_size 0
		.amdhsa_kernarg_size 44
		.amdhsa_user_sgpr_count 6
		.amdhsa_user_sgpr_private_segment_buffer 1
		.amdhsa_user_sgpr_dispatch_ptr 0
		.amdhsa_user_sgpr_queue_ptr 0
		.amdhsa_user_sgpr_kernarg_segment_ptr 1
		.amdhsa_user_sgpr_dispatch_id 0
		.amdhsa_user_sgpr_flat_scratch_init 0
		.amdhsa_user_sgpr_private_segment_size 0
		.amdhsa_uses_dynamic_stack 0
		.amdhsa_system_sgpr_private_segment_wavefront_offset 0
		.amdhsa_system_sgpr_workgroup_id_x 1
		.amdhsa_system_sgpr_workgroup_id_y 0
		.amdhsa_system_sgpr_workgroup_id_z 0
		.amdhsa_system_sgpr_workgroup_info 0
		.amdhsa_system_vgpr_workitem_id 0
		.amdhsa_next_free_vgpr 11
		.amdhsa_next_free_sgpr 16
		.amdhsa_reserve_vcc 1
		.amdhsa_reserve_flat_scratch 0
		.amdhsa_float_round_mode_32 0
		.amdhsa_float_round_mode_16_64 0
		.amdhsa_float_denorm_mode_32 3
		.amdhsa_float_denorm_mode_16_64 3
		.amdhsa_dx10_clamp 1
		.amdhsa_ieee_mode 1
		.amdhsa_fp16_overflow 0
		.amdhsa_exception_fp_ieee_invalid_op 0
		.amdhsa_exception_fp_denorm_src 0
		.amdhsa_exception_fp_ieee_div_zero 0
		.amdhsa_exception_fp_ieee_overflow 0
		.amdhsa_exception_fp_ieee_underflow 0
		.amdhsa_exception_fp_ieee_inexact 0
		.amdhsa_exception_int_div_zero 0
	.end_amdhsa_kernel
	.section	.text._ZN2at6native27unrolled_elementwise_kernelINS0_13AUnaryFunctorIN3c107complexIfEES5_bNS0_12_GLOBAL__N_116CompareEqFunctorIS5_EEEESt5arrayIPcLm2EELi4E23TrivialOffsetCalculatorILi1EjESE_NS0_6memory15LoadWithoutCastENSF_16StoreWithoutCastEEEviT_T0_T2_T3_T4_T5_,"axG",@progbits,_ZN2at6native27unrolled_elementwise_kernelINS0_13AUnaryFunctorIN3c107complexIfEES5_bNS0_12_GLOBAL__N_116CompareEqFunctorIS5_EEEESt5arrayIPcLm2EELi4E23TrivialOffsetCalculatorILi1EjESE_NS0_6memory15LoadWithoutCastENSF_16StoreWithoutCastEEEviT_T0_T2_T3_T4_T5_,comdat
.Lfunc_end140:
	.size	_ZN2at6native27unrolled_elementwise_kernelINS0_13AUnaryFunctorIN3c107complexIfEES5_bNS0_12_GLOBAL__N_116CompareEqFunctorIS5_EEEESt5arrayIPcLm2EELi4E23TrivialOffsetCalculatorILi1EjESE_NS0_6memory15LoadWithoutCastENSF_16StoreWithoutCastEEEviT_T0_T2_T3_T4_T5_, .Lfunc_end140-_ZN2at6native27unrolled_elementwise_kernelINS0_13AUnaryFunctorIN3c107complexIfEES5_bNS0_12_GLOBAL__N_116CompareEqFunctorIS5_EEEESt5arrayIPcLm2EELi4E23TrivialOffsetCalculatorILi1EjESE_NS0_6memory15LoadWithoutCastENSF_16StoreWithoutCastEEEviT_T0_T2_T3_T4_T5_
                                        ; -- End function
	.set _ZN2at6native27unrolled_elementwise_kernelINS0_13AUnaryFunctorIN3c107complexIfEES5_bNS0_12_GLOBAL__N_116CompareEqFunctorIS5_EEEESt5arrayIPcLm2EELi4E23TrivialOffsetCalculatorILi1EjESE_NS0_6memory15LoadWithoutCastENSF_16StoreWithoutCastEEEviT_T0_T2_T3_T4_T5_.num_vgpr, 11
	.set _ZN2at6native27unrolled_elementwise_kernelINS0_13AUnaryFunctorIN3c107complexIfEES5_bNS0_12_GLOBAL__N_116CompareEqFunctorIS5_EEEESt5arrayIPcLm2EELi4E23TrivialOffsetCalculatorILi1EjESE_NS0_6memory15LoadWithoutCastENSF_16StoreWithoutCastEEEviT_T0_T2_T3_T4_T5_.num_agpr, 0
	.set _ZN2at6native27unrolled_elementwise_kernelINS0_13AUnaryFunctorIN3c107complexIfEES5_bNS0_12_GLOBAL__N_116CompareEqFunctorIS5_EEEESt5arrayIPcLm2EELi4E23TrivialOffsetCalculatorILi1EjESE_NS0_6memory15LoadWithoutCastENSF_16StoreWithoutCastEEEviT_T0_T2_T3_T4_T5_.numbered_sgpr, 16
	.set _ZN2at6native27unrolled_elementwise_kernelINS0_13AUnaryFunctorIN3c107complexIfEES5_bNS0_12_GLOBAL__N_116CompareEqFunctorIS5_EEEESt5arrayIPcLm2EELi4E23TrivialOffsetCalculatorILi1EjESE_NS0_6memory15LoadWithoutCastENSF_16StoreWithoutCastEEEviT_T0_T2_T3_T4_T5_.num_named_barrier, 0
	.set _ZN2at6native27unrolled_elementwise_kernelINS0_13AUnaryFunctorIN3c107complexIfEES5_bNS0_12_GLOBAL__N_116CompareEqFunctorIS5_EEEESt5arrayIPcLm2EELi4E23TrivialOffsetCalculatorILi1EjESE_NS0_6memory15LoadWithoutCastENSF_16StoreWithoutCastEEEviT_T0_T2_T3_T4_T5_.private_seg_size, 0
	.set _ZN2at6native27unrolled_elementwise_kernelINS0_13AUnaryFunctorIN3c107complexIfEES5_bNS0_12_GLOBAL__N_116CompareEqFunctorIS5_EEEESt5arrayIPcLm2EELi4E23TrivialOffsetCalculatorILi1EjESE_NS0_6memory15LoadWithoutCastENSF_16StoreWithoutCastEEEviT_T0_T2_T3_T4_T5_.uses_vcc, 1
	.set _ZN2at6native27unrolled_elementwise_kernelINS0_13AUnaryFunctorIN3c107complexIfEES5_bNS0_12_GLOBAL__N_116CompareEqFunctorIS5_EEEESt5arrayIPcLm2EELi4E23TrivialOffsetCalculatorILi1EjESE_NS0_6memory15LoadWithoutCastENSF_16StoreWithoutCastEEEviT_T0_T2_T3_T4_T5_.uses_flat_scratch, 0
	.set _ZN2at6native27unrolled_elementwise_kernelINS0_13AUnaryFunctorIN3c107complexIfEES5_bNS0_12_GLOBAL__N_116CompareEqFunctorIS5_EEEESt5arrayIPcLm2EELi4E23TrivialOffsetCalculatorILi1EjESE_NS0_6memory15LoadWithoutCastENSF_16StoreWithoutCastEEEviT_T0_T2_T3_T4_T5_.has_dyn_sized_stack, 0
	.set _ZN2at6native27unrolled_elementwise_kernelINS0_13AUnaryFunctorIN3c107complexIfEES5_bNS0_12_GLOBAL__N_116CompareEqFunctorIS5_EEEESt5arrayIPcLm2EELi4E23TrivialOffsetCalculatorILi1EjESE_NS0_6memory15LoadWithoutCastENSF_16StoreWithoutCastEEEviT_T0_T2_T3_T4_T5_.has_recursion, 0
	.set _ZN2at6native27unrolled_elementwise_kernelINS0_13AUnaryFunctorIN3c107complexIfEES5_bNS0_12_GLOBAL__N_116CompareEqFunctorIS5_EEEESt5arrayIPcLm2EELi4E23TrivialOffsetCalculatorILi1EjESE_NS0_6memory15LoadWithoutCastENSF_16StoreWithoutCastEEEviT_T0_T2_T3_T4_T5_.has_indirect_call, 0
	.section	.AMDGPU.csdata,"",@progbits
; Kernel info:
; codeLenInByte = 948
; TotalNumSgprs: 20
; NumVgprs: 11
; ScratchSize: 0
; MemoryBound: 0
; FloatMode: 240
; IeeeMode: 1
; LDSByteSize: 0 bytes/workgroup (compile time only)
; SGPRBlocks: 2
; VGPRBlocks: 2
; NumSGPRsForWavesPerEU: 20
; NumVGPRsForWavesPerEU: 11
; Occupancy: 10
; WaveLimiterHint : 0
; COMPUTE_PGM_RSRC2:SCRATCH_EN: 0
; COMPUTE_PGM_RSRC2:USER_SGPR: 6
; COMPUTE_PGM_RSRC2:TRAP_HANDLER: 0
; COMPUTE_PGM_RSRC2:TGID_X_EN: 1
; COMPUTE_PGM_RSRC2:TGID_Y_EN: 0
; COMPUTE_PGM_RSRC2:TGID_Z_EN: 0
; COMPUTE_PGM_RSRC2:TIDIG_COMP_CNT: 0
	.section	.text._ZN2at6native32elementwise_kernel_manual_unrollILi128ELi8EZNS0_22gpu_kernel_impl_nocastINS0_13AUnaryFunctorIN3c107complexIfEES6_bNS0_12_GLOBAL__N_116CompareEqFunctorIS6_EEEEEEvRNS_18TensorIteratorBaseERKT_EUlibE_EEviT1_,"axG",@progbits,_ZN2at6native32elementwise_kernel_manual_unrollILi128ELi8EZNS0_22gpu_kernel_impl_nocastINS0_13AUnaryFunctorIN3c107complexIfEES6_bNS0_12_GLOBAL__N_116CompareEqFunctorIS6_EEEEEEvRNS_18TensorIteratorBaseERKT_EUlibE_EEviT1_,comdat
	.globl	_ZN2at6native32elementwise_kernel_manual_unrollILi128ELi8EZNS0_22gpu_kernel_impl_nocastINS0_13AUnaryFunctorIN3c107complexIfEES6_bNS0_12_GLOBAL__N_116CompareEqFunctorIS6_EEEEEEvRNS_18TensorIteratorBaseERKT_EUlibE_EEviT1_ ; -- Begin function _ZN2at6native32elementwise_kernel_manual_unrollILi128ELi8EZNS0_22gpu_kernel_impl_nocastINS0_13AUnaryFunctorIN3c107complexIfEES6_bNS0_12_GLOBAL__N_116CompareEqFunctorIS6_EEEEEEvRNS_18TensorIteratorBaseERKT_EUlibE_EEviT1_
	.p2align	8
	.type	_ZN2at6native32elementwise_kernel_manual_unrollILi128ELi8EZNS0_22gpu_kernel_impl_nocastINS0_13AUnaryFunctorIN3c107complexIfEES6_bNS0_12_GLOBAL__N_116CompareEqFunctorIS6_EEEEEEvRNS_18TensorIteratorBaseERKT_EUlibE_EEviT1_,@function
_ZN2at6native32elementwise_kernel_manual_unrollILi128ELi8EZNS0_22gpu_kernel_impl_nocastINS0_13AUnaryFunctorIN3c107complexIfEES6_bNS0_12_GLOBAL__N_116CompareEqFunctorIS6_EEEEEEvRNS_18TensorIteratorBaseERKT_EUlibE_EEviT1_: ; @_ZN2at6native32elementwise_kernel_manual_unrollILi128ELi8EZNS0_22gpu_kernel_impl_nocastINS0_13AUnaryFunctorIN3c107complexIfEES6_bNS0_12_GLOBAL__N_116CompareEqFunctorIS6_EEEEEEvRNS_18TensorIteratorBaseERKT_EUlibE_EEviT1_
; %bb.0:
	s_load_dword s59, s[4:5], 0x0
	s_load_dword s33, s[4:5], 0x8
	s_add_u32 s34, s4, 8
	s_addc_u32 s35, s5, 0
	v_lshl_or_b32 v19, s6, 10, v0
	v_or_b32_e32 v25, 0x380, v19
	s_waitcnt lgkmcnt(0)
	s_add_i32 s58, s33, -1
	s_cmp_gt_u32 s58, 1
	v_cmp_le_i32_e32 vcc, s59, v25
	s_cselect_b64 s[36:37], -1, 0
	s_and_saveexec_b64 s[0:1], vcc
	s_xor_b64 s[38:39], exec, s[0:1]
	s_cbranch_execz .LBB141_161
; %bb.1:
	s_load_dwordx4 s[20:23], s[34:35], 0x4
	s_load_dwordx2 s[44:45], s[34:35], 0x14
	s_load_dwordx2 s[40:41], s[34:35], 0x160
	s_load_dword s0, s[34:35], 0x158
	s_cmp_lg_u32 s33, 0
	s_cselect_b64 s[50:51], -1, 0
	s_add_u32 s48, s34, 0xc4
	s_load_dwordx4 s[24:27], s[34:35], 0xc4
	s_load_dwordx4 s[16:19], s[34:35], 0x148
	s_addc_u32 s49, s35, 0
	s_min_u32 s60, s58, 15
	s_cmp_gt_u32 s33, 1
	s_cselect_b64 s[46:47], -1, 0
	s_waitcnt lgkmcnt(0)
	s_cmp_lg_u32 s0, 0
	s_cselect_b64 s[42:43], -1, 0
	v_cmp_gt_i32_e32 vcc, s59, v19
	s_and_saveexec_b64 s[52:53], vcc
	s_cbranch_execnz .LBB141_9
; %bb.2:
	s_or_b64 exec, exec, s[52:53]
	v_cmp_gt_i32_e32 vcc, s59, v19
	s_and_saveexec_b64 s[52:53], vcc
	s_cbranch_execnz .LBB141_27
.LBB141_3:
	s_or_b64 exec, exec, s[52:53]
	v_cmp_gt_i32_e32 vcc, s59, v19
	s_and_saveexec_b64 s[52:53], vcc
	s_cbranch_execnz .LBB141_46
.LBB141_4:
	s_or_b64 exec, exec, s[52:53]
	v_cmp_gt_i32_e32 vcc, s59, v19
	s_and_saveexec_b64 s[52:53], vcc
	s_cbranch_execnz .LBB141_65
.LBB141_5:
	s_or_b64 exec, exec, s[52:53]
	v_cmp_gt_i32_e32 vcc, s59, v19
	s_and_saveexec_b64 s[52:53], vcc
	s_cbranch_execnz .LBB141_84
.LBB141_6:
	s_or_b64 exec, exec, s[52:53]
	v_cmp_gt_i32_e32 vcc, s59, v19
	s_and_saveexec_b64 s[52:53], vcc
	s_cbranch_execnz .LBB141_103
.LBB141_7:
	s_or_b64 exec, exec, s[52:53]
	v_cmp_gt_i32_e32 vcc, s59, v19
	s_and_saveexec_b64 s[52:53], vcc
	s_cbranch_execnz .LBB141_122
.LBB141_8:
	s_or_b64 exec, exec, s[52:53]
	v_cmp_gt_i32_e32 vcc, s59, v19
	s_and_saveexec_b64 s[52:53], vcc
	s_cbranch_execnz .LBB141_141
	s_branch .LBB141_160
.LBB141_9:
	s_andn2_b64 vcc, exec, s[36:37]
	s_cbranch_vccnz .LBB141_14
; %bb.10:
	s_andn2_b64 vcc, exec, s[50:51]
	s_cbranch_vccnz .LBB141_15
; %bb.11:
	s_add_i32 s62, s60, 1
	s_cmp_eq_u32 s58, 2
	s_cbranch_scc1 .LBB141_16
; %bb.12:
	s_and_b32 s61, s62, 28
	v_mov_b32_e32 v2, 0
	s_mov_b32 s63, 0
	s_mov_b64 s[54:55], s[34:35]
	s_mov_b64 s[56:57], s[48:49]
	v_mov_b32_e32 v0, 0
	v_mov_b32_e32 v1, v19
.LBB141_13:                             ; =>This Inner Loop Header: Depth=1
	s_load_dwordx8 s[8:15], s[54:55], 0x4
	s_load_dwordx4 s[28:31], s[54:55], 0x24
	s_load_dwordx8 s[0:7], s[56:57], 0x0
	s_add_u32 s54, s54, 48
	s_addc_u32 s55, s55, 0
	s_waitcnt lgkmcnt(0)
	v_mul_hi_u32 v3, s9, v1
	s_add_i32 s63, s63, 4
	s_add_u32 s56, s56, 32
	s_addc_u32 s57, s57, 0
	v_add_u32_e32 v3, v1, v3
	v_lshrrev_b32_e32 v3, s10, v3
	v_mul_lo_u32 v4, v3, s8
	v_mul_hi_u32 v5, s12, v3
	s_cmp_lg_u32 s61, s63
	v_sub_u32_e32 v1, v1, v4
	v_add_u32_e32 v4, v3, v5
	v_mul_lo_u32 v5, v1, s0
	v_mul_lo_u32 v6, v1, s1
	v_lshrrev_b32_e32 v1, s13, v4
	v_mul_lo_u32 v4, v1, s11
	v_mul_hi_u32 v7, s15, v1
	v_sub_u32_e32 v3, v3, v4
	v_add_u32_e32 v4, v1, v7
	v_lshrrev_b32_e32 v4, s28, v4
	v_mul_hi_u32 v8, s30, v4
	v_mul_lo_u32 v9, v4, s14
	v_mul_lo_u32 v7, v3, s2
	;; [unrolled: 1-line block ×3, first 2 shown]
	v_sub_u32_e32 v9, v1, v9
	v_add_u32_e32 v1, v4, v8
	v_lshrrev_b32_e32 v1, s31, v1
	v_mul_lo_u32 v8, v1, s29
	v_mul_lo_u32 v10, v9, s4
	;; [unrolled: 1-line block ×3, first 2 shown]
	v_add3_u32 v0, v5, v0, v7
	v_sub_u32_e32 v4, v4, v8
	v_mul_lo_u32 v8, v4, s6
	v_mul_lo_u32 v4, v4, s7
	v_add3_u32 v2, v6, v2, v3
	v_add3_u32 v0, v10, v0, v8
	v_add3_u32 v2, v9, v2, v4
	s_cbranch_scc1 .LBB141_13
	s_branch .LBB141_17
.LBB141_14:
                                        ; implicit-def: $vgpr0
                                        ; implicit-def: $vgpr2
	s_branch .LBB141_21
.LBB141_15:
	v_mov_b32_e32 v0, 0
	v_mov_b32_e32 v2, 0
	s_branch .LBB141_20
.LBB141_16:
	s_mov_b32 s61, 0
	v_mov_b32_e32 v0, 0
	v_mov_b32_e32 v2, 0
	;; [unrolled: 1-line block ×3, first 2 shown]
.LBB141_17:
	s_and_b32 s4, s62, 3
	s_cmp_eq_u32 s4, 0
	s_cbranch_scc1 .LBB141_20
; %bb.18:
	s_lshl_b32 s0, s61, 3
	s_add_u32 s0, s34, s0
	s_addc_u32 s1, s35, 0
	s_add_u32 s0, s0, 0xc4
	s_addc_u32 s1, s1, 0
	s_mul_i32 s2, s61, 12
	s_add_u32 s2, s34, s2
	s_addc_u32 s3, s35, 0
.LBB141_19:                             ; =>This Inner Loop Header: Depth=1
	s_load_dwordx2 s[6:7], s[2:3], 0x4
	s_load_dword s5, s[2:3], 0xc
	s_load_dwordx2 s[8:9], s[0:1], 0x0
	s_add_u32 s2, s2, 12
	s_addc_u32 s3, s3, 0
	s_waitcnt lgkmcnt(0)
	v_mul_hi_u32 v3, s7, v1
	s_add_u32 s0, s0, 8
	s_addc_u32 s1, s1, 0
	s_add_i32 s4, s4, -1
	v_add_u32_e32 v3, v1, v3
	v_lshrrev_b32_e32 v4, s5, v3
	v_mul_lo_u32 v3, v4, s6
	s_cmp_lg_u32 s4, 0
	v_sub_u32_e32 v3, v1, v3
	v_mad_u64_u32 v[0:1], s[6:7], v3, s8, v[0:1]
	v_mad_u64_u32 v[2:3], s[6:7], v3, s9, v[2:3]
	v_mov_b32_e32 v1, v4
	s_cbranch_scc1 .LBB141_19
.LBB141_20:
	s_cbranch_execnz .LBB141_23
.LBB141_21:
	v_mul_hi_u32 v0, s21, v19
	s_andn2_b64 vcc, exec, s[46:47]
	v_add_u32_e32 v0, v19, v0
	v_lshrrev_b32_e32 v1, s22, v0
	v_mul_lo_u32 v0, v1, s20
	v_sub_u32_e32 v2, v19, v0
	v_mul_lo_u32 v0, v2, s24
	v_mul_lo_u32 v2, v2, s25
	s_cbranch_vccnz .LBB141_23
; %bb.22:
	v_mul_hi_u32 v3, s44, v1
	v_add_u32_e32 v3, v1, v3
	v_lshrrev_b32_e32 v3, s45, v3
	v_mul_lo_u32 v3, v3, s23
	v_sub_u32_e32 v3, v1, v3
	v_mad_u64_u32 v[0:1], s[0:1], v3, s26, v[0:1]
	v_mad_u64_u32 v[2:3], s[0:1], v3, s27, v[2:3]
.LBB141_23:
	global_load_dwordx2 v[1:2], v2, s[18:19]
	s_and_b64 vcc, exec, s[42:43]
	s_cbranch_vccz .LBB141_33
; %bb.24:
	s_waitcnt vmcnt(0)
	v_cmp_neq_f32_e32 vcc, s40, v1
	v_cmp_neq_f32_e64 s[0:1], s41, v2
	s_or_b64 s[2:3], vcc, s[0:1]
	s_cbranch_execnz .LBB141_26
.LBB141_25:
	s_waitcnt vmcnt(0)
	v_cmp_eq_f32_e32 vcc, s40, v1
	v_cmp_eq_f32_e64 s[0:1], s41, v2
	s_and_b64 s[0:1], vcc, s[0:1]
	s_andn2_b64 s[2:3], s[2:3], exec
	s_and_b64 s[0:1], s[0:1], exec
	s_or_b64 s[2:3], s[2:3], s[0:1]
.LBB141_26:
	s_waitcnt vmcnt(0)
	v_cndmask_b32_e64 v1, 0, 1, s[2:3]
	v_add_u32_e32 v19, 0x80, v19
	global_store_byte v0, v1, s[16:17]
	s_or_b64 exec, exec, s[52:53]
	v_cmp_gt_i32_e32 vcc, s59, v19
	s_and_saveexec_b64 s[52:53], vcc
	s_cbranch_execz .LBB141_3
.LBB141_27:
	s_andn2_b64 vcc, exec, s[36:37]
	s_cbranch_vccnz .LBB141_32
; %bb.28:
	s_andn2_b64 vcc, exec, s[50:51]
	s_cbranch_vccnz .LBB141_34
; %bb.29:
	s_add_i32 s62, s60, 1
	s_cmp_eq_u32 s58, 2
	s_cbranch_scc1 .LBB141_35
; %bb.30:
	s_and_b32 s61, s62, 28
	v_mov_b32_e32 v2, 0
	s_mov_b32 s63, 0
	s_mov_b64 s[54:55], s[34:35]
	s_mov_b64 s[56:57], s[48:49]
	v_mov_b32_e32 v0, 0
	v_mov_b32_e32 v1, v19
.LBB141_31:                             ; =>This Inner Loop Header: Depth=1
	s_load_dwordx8 s[8:15], s[54:55], 0x4
	s_load_dwordx4 s[28:31], s[54:55], 0x24
	s_load_dwordx8 s[0:7], s[56:57], 0x0
	s_add_u32 s54, s54, 48
	s_addc_u32 s55, s55, 0
	s_waitcnt lgkmcnt(0)
	v_mul_hi_u32 v3, s9, v1
	s_add_i32 s63, s63, 4
	s_add_u32 s56, s56, 32
	s_addc_u32 s57, s57, 0
	v_add_u32_e32 v3, v1, v3
	v_lshrrev_b32_e32 v3, s10, v3
	v_mul_lo_u32 v4, v3, s8
	v_mul_hi_u32 v5, s12, v3
	s_cmp_eq_u32 s61, s63
	v_sub_u32_e32 v1, v1, v4
	v_add_u32_e32 v4, v3, v5
	v_mul_lo_u32 v5, v1, s0
	v_mul_lo_u32 v6, v1, s1
	v_lshrrev_b32_e32 v1, s13, v4
	v_mul_lo_u32 v4, v1, s11
	v_mul_hi_u32 v7, s15, v1
	v_sub_u32_e32 v3, v3, v4
	v_add_u32_e32 v4, v1, v7
	v_lshrrev_b32_e32 v4, s28, v4
	v_mul_hi_u32 v8, s30, v4
	v_mul_lo_u32 v9, v4, s14
	v_mul_lo_u32 v7, v3, s2
	;; [unrolled: 1-line block ×3, first 2 shown]
	v_sub_u32_e32 v9, v1, v9
	v_add_u32_e32 v1, v4, v8
	v_lshrrev_b32_e32 v1, s31, v1
	v_mul_lo_u32 v8, v1, s29
	v_mul_lo_u32 v10, v9, s4
	;; [unrolled: 1-line block ×3, first 2 shown]
	v_add3_u32 v0, v5, v0, v7
	v_sub_u32_e32 v4, v4, v8
	v_mul_lo_u32 v8, v4, s6
	v_mul_lo_u32 v4, v4, s7
	v_add3_u32 v2, v6, v2, v3
	v_add3_u32 v0, v10, v0, v8
	v_add3_u32 v2, v9, v2, v4
	s_cbranch_scc0 .LBB141_31
	s_branch .LBB141_36
.LBB141_32:
                                        ; implicit-def: $vgpr0
                                        ; implicit-def: $vgpr2
	s_branch .LBB141_40
.LBB141_33:
                                        ; implicit-def: $sgpr2_sgpr3
	s_branch .LBB141_25
.LBB141_34:
	v_mov_b32_e32 v0, 0
	v_mov_b32_e32 v2, 0
	s_branch .LBB141_39
.LBB141_35:
	s_mov_b32 s61, 0
	v_mov_b32_e32 v0, 0
	v_mov_b32_e32 v2, 0
	;; [unrolled: 1-line block ×3, first 2 shown]
.LBB141_36:
	s_and_b32 s4, s62, 3
	s_cmp_eq_u32 s4, 0
	s_cbranch_scc1 .LBB141_39
; %bb.37:
	s_lshl_b32 s0, s61, 3
	s_add_u32 s0, s34, s0
	s_addc_u32 s1, s35, 0
	s_add_u32 s0, s0, 0xc4
	s_addc_u32 s1, s1, 0
	s_mul_i32 s2, s61, 12
	s_add_u32 s2, s34, s2
	s_addc_u32 s3, s35, 0
.LBB141_38:                             ; =>This Inner Loop Header: Depth=1
	s_load_dwordx2 s[6:7], s[2:3], 0x4
	s_load_dword s5, s[2:3], 0xc
	s_load_dwordx2 s[8:9], s[0:1], 0x0
	s_add_u32 s2, s2, 12
	s_addc_u32 s3, s3, 0
	s_waitcnt lgkmcnt(0)
	v_mul_hi_u32 v3, s7, v1
	s_add_u32 s0, s0, 8
	s_addc_u32 s1, s1, 0
	s_add_i32 s4, s4, -1
	v_add_u32_e32 v3, v1, v3
	v_lshrrev_b32_e32 v4, s5, v3
	v_mul_lo_u32 v3, v4, s6
	s_cmp_lg_u32 s4, 0
	v_sub_u32_e32 v3, v1, v3
	v_mad_u64_u32 v[0:1], s[6:7], v3, s8, v[0:1]
	v_mad_u64_u32 v[2:3], s[6:7], v3, s9, v[2:3]
	v_mov_b32_e32 v1, v4
	s_cbranch_scc1 .LBB141_38
.LBB141_39:
	s_cbranch_execnz .LBB141_42
.LBB141_40:
	v_mul_hi_u32 v0, s21, v19
	s_andn2_b64 vcc, exec, s[46:47]
	v_add_u32_e32 v0, v19, v0
	v_lshrrev_b32_e32 v1, s22, v0
	v_mul_lo_u32 v0, v1, s20
	v_sub_u32_e32 v2, v19, v0
	v_mul_lo_u32 v0, v2, s24
	v_mul_lo_u32 v2, v2, s25
	s_cbranch_vccnz .LBB141_42
; %bb.41:
	v_mul_hi_u32 v3, s44, v1
	v_add_u32_e32 v3, v1, v3
	v_lshrrev_b32_e32 v3, s45, v3
	v_mul_lo_u32 v3, v3, s23
	v_sub_u32_e32 v3, v1, v3
	v_mad_u64_u32 v[0:1], s[0:1], v3, s26, v[0:1]
	v_mad_u64_u32 v[2:3], s[0:1], v3, s27, v[2:3]
.LBB141_42:
	global_load_dwordx2 v[1:2], v2, s[18:19]
	s_andn2_b64 vcc, exec, s[42:43]
	s_cbranch_vccnz .LBB141_52
; %bb.43:
	s_waitcnt vmcnt(0)
	v_cmp_neq_f32_e32 vcc, s40, v1
	v_cmp_neq_f32_e64 s[0:1], s41, v2
	s_or_b64 s[2:3], vcc, s[0:1]
	s_cbranch_execnz .LBB141_45
.LBB141_44:
	s_waitcnt vmcnt(0)
	v_cmp_eq_f32_e32 vcc, s40, v1
	v_cmp_eq_f32_e64 s[0:1], s41, v2
	s_and_b64 s[0:1], vcc, s[0:1]
	s_andn2_b64 s[2:3], s[2:3], exec
	s_and_b64 s[0:1], s[0:1], exec
	s_or_b64 s[2:3], s[2:3], s[0:1]
.LBB141_45:
	s_waitcnt vmcnt(0)
	v_cndmask_b32_e64 v1, 0, 1, s[2:3]
	v_add_u32_e32 v19, 0x80, v19
	global_store_byte v0, v1, s[16:17]
	s_or_b64 exec, exec, s[52:53]
	v_cmp_gt_i32_e32 vcc, s59, v19
	s_and_saveexec_b64 s[52:53], vcc
	s_cbranch_execz .LBB141_4
.LBB141_46:
	s_andn2_b64 vcc, exec, s[36:37]
	s_cbranch_vccnz .LBB141_51
; %bb.47:
	s_andn2_b64 vcc, exec, s[50:51]
	s_cbranch_vccnz .LBB141_53
; %bb.48:
	s_add_i32 s62, s60, 1
	s_cmp_eq_u32 s58, 2
	s_cbranch_scc1 .LBB141_54
; %bb.49:
	s_and_b32 s61, s62, 28
	v_mov_b32_e32 v2, 0
	s_mov_b32 s63, 0
	s_mov_b64 s[54:55], s[34:35]
	s_mov_b64 s[56:57], s[48:49]
	v_mov_b32_e32 v0, 0
	v_mov_b32_e32 v1, v19
.LBB141_50:                             ; =>This Inner Loop Header: Depth=1
	s_load_dwordx8 s[8:15], s[54:55], 0x4
	s_load_dwordx4 s[28:31], s[54:55], 0x24
	s_load_dwordx8 s[0:7], s[56:57], 0x0
	s_add_u32 s54, s54, 48
	s_addc_u32 s55, s55, 0
	s_waitcnt lgkmcnt(0)
	v_mul_hi_u32 v3, s9, v1
	s_add_i32 s63, s63, 4
	s_add_u32 s56, s56, 32
	s_addc_u32 s57, s57, 0
	v_add_u32_e32 v3, v1, v3
	v_lshrrev_b32_e32 v3, s10, v3
	v_mul_lo_u32 v4, v3, s8
	v_mul_hi_u32 v5, s12, v3
	s_cmp_eq_u32 s61, s63
	v_sub_u32_e32 v1, v1, v4
	v_add_u32_e32 v4, v3, v5
	v_mul_lo_u32 v5, v1, s0
	v_mul_lo_u32 v6, v1, s1
	v_lshrrev_b32_e32 v1, s13, v4
	v_mul_lo_u32 v4, v1, s11
	v_mul_hi_u32 v7, s15, v1
	v_sub_u32_e32 v3, v3, v4
	v_add_u32_e32 v4, v1, v7
	v_lshrrev_b32_e32 v4, s28, v4
	v_mul_hi_u32 v8, s30, v4
	v_mul_lo_u32 v9, v4, s14
	v_mul_lo_u32 v7, v3, s2
	;; [unrolled: 1-line block ×3, first 2 shown]
	v_sub_u32_e32 v9, v1, v9
	v_add_u32_e32 v1, v4, v8
	v_lshrrev_b32_e32 v1, s31, v1
	v_mul_lo_u32 v8, v1, s29
	v_mul_lo_u32 v10, v9, s4
	;; [unrolled: 1-line block ×3, first 2 shown]
	v_add3_u32 v0, v5, v0, v7
	v_sub_u32_e32 v4, v4, v8
	v_mul_lo_u32 v8, v4, s6
	v_mul_lo_u32 v4, v4, s7
	v_add3_u32 v2, v6, v2, v3
	v_add3_u32 v0, v10, v0, v8
	;; [unrolled: 1-line block ×3, first 2 shown]
	s_cbranch_scc0 .LBB141_50
	s_branch .LBB141_55
.LBB141_51:
                                        ; implicit-def: $vgpr0
                                        ; implicit-def: $vgpr2
	s_branch .LBB141_59
.LBB141_52:
                                        ; implicit-def: $sgpr2_sgpr3
	s_branch .LBB141_44
.LBB141_53:
	v_mov_b32_e32 v0, 0
	v_mov_b32_e32 v2, 0
	s_branch .LBB141_58
.LBB141_54:
	s_mov_b32 s61, 0
	v_mov_b32_e32 v0, 0
	v_mov_b32_e32 v2, 0
	;; [unrolled: 1-line block ×3, first 2 shown]
.LBB141_55:
	s_and_b32 s4, s62, 3
	s_cmp_eq_u32 s4, 0
	s_cbranch_scc1 .LBB141_58
; %bb.56:
	s_lshl_b32 s0, s61, 3
	s_add_u32 s0, s34, s0
	s_addc_u32 s1, s35, 0
	s_add_u32 s0, s0, 0xc4
	s_addc_u32 s1, s1, 0
	s_mul_i32 s2, s61, 12
	s_add_u32 s2, s34, s2
	s_addc_u32 s3, s35, 0
.LBB141_57:                             ; =>This Inner Loop Header: Depth=1
	s_load_dwordx2 s[6:7], s[2:3], 0x4
	s_load_dword s5, s[2:3], 0xc
	s_load_dwordx2 s[8:9], s[0:1], 0x0
	s_add_u32 s2, s2, 12
	s_addc_u32 s3, s3, 0
	s_waitcnt lgkmcnt(0)
	v_mul_hi_u32 v3, s7, v1
	s_add_u32 s0, s0, 8
	s_addc_u32 s1, s1, 0
	s_add_i32 s4, s4, -1
	v_add_u32_e32 v3, v1, v3
	v_lshrrev_b32_e32 v4, s5, v3
	v_mul_lo_u32 v3, v4, s6
	s_cmp_lg_u32 s4, 0
	v_sub_u32_e32 v3, v1, v3
	v_mad_u64_u32 v[0:1], s[6:7], v3, s8, v[0:1]
	v_mad_u64_u32 v[2:3], s[6:7], v3, s9, v[2:3]
	v_mov_b32_e32 v1, v4
	s_cbranch_scc1 .LBB141_57
.LBB141_58:
	s_cbranch_execnz .LBB141_61
.LBB141_59:
	v_mul_hi_u32 v0, s21, v19
	s_andn2_b64 vcc, exec, s[46:47]
	v_add_u32_e32 v0, v19, v0
	v_lshrrev_b32_e32 v1, s22, v0
	v_mul_lo_u32 v0, v1, s20
	v_sub_u32_e32 v2, v19, v0
	v_mul_lo_u32 v0, v2, s24
	v_mul_lo_u32 v2, v2, s25
	s_cbranch_vccnz .LBB141_61
; %bb.60:
	v_mul_hi_u32 v3, s44, v1
	v_add_u32_e32 v3, v1, v3
	v_lshrrev_b32_e32 v3, s45, v3
	v_mul_lo_u32 v3, v3, s23
	v_sub_u32_e32 v3, v1, v3
	v_mad_u64_u32 v[0:1], s[0:1], v3, s26, v[0:1]
	v_mad_u64_u32 v[2:3], s[0:1], v3, s27, v[2:3]
.LBB141_61:
	global_load_dwordx2 v[1:2], v2, s[18:19]
	s_andn2_b64 vcc, exec, s[42:43]
	s_cbranch_vccnz .LBB141_71
; %bb.62:
	s_waitcnt vmcnt(0)
	v_cmp_neq_f32_e32 vcc, s40, v1
	v_cmp_neq_f32_e64 s[0:1], s41, v2
	s_or_b64 s[2:3], vcc, s[0:1]
	s_cbranch_execnz .LBB141_64
.LBB141_63:
	s_waitcnt vmcnt(0)
	v_cmp_eq_f32_e32 vcc, s40, v1
	v_cmp_eq_f32_e64 s[0:1], s41, v2
	s_and_b64 s[0:1], vcc, s[0:1]
	s_andn2_b64 s[2:3], s[2:3], exec
	s_and_b64 s[0:1], s[0:1], exec
	s_or_b64 s[2:3], s[2:3], s[0:1]
.LBB141_64:
	s_waitcnt vmcnt(0)
	v_cndmask_b32_e64 v1, 0, 1, s[2:3]
	v_add_u32_e32 v19, 0x80, v19
	global_store_byte v0, v1, s[16:17]
	s_or_b64 exec, exec, s[52:53]
	v_cmp_gt_i32_e32 vcc, s59, v19
	s_and_saveexec_b64 s[52:53], vcc
	s_cbranch_execz .LBB141_5
.LBB141_65:
	s_andn2_b64 vcc, exec, s[36:37]
	s_cbranch_vccnz .LBB141_70
; %bb.66:
	s_andn2_b64 vcc, exec, s[50:51]
	s_cbranch_vccnz .LBB141_72
; %bb.67:
	s_add_i32 s62, s60, 1
	s_cmp_eq_u32 s58, 2
	s_cbranch_scc1 .LBB141_73
; %bb.68:
	s_and_b32 s61, s62, 28
	v_mov_b32_e32 v2, 0
	s_mov_b32 s63, 0
	s_mov_b64 s[54:55], s[34:35]
	s_mov_b64 s[56:57], s[48:49]
	v_mov_b32_e32 v0, 0
	v_mov_b32_e32 v1, v19
.LBB141_69:                             ; =>This Inner Loop Header: Depth=1
	s_load_dwordx8 s[8:15], s[54:55], 0x4
	s_load_dwordx4 s[28:31], s[54:55], 0x24
	s_load_dwordx8 s[0:7], s[56:57], 0x0
	s_add_u32 s54, s54, 48
	s_addc_u32 s55, s55, 0
	s_waitcnt lgkmcnt(0)
	v_mul_hi_u32 v3, s9, v1
	s_add_i32 s63, s63, 4
	s_add_u32 s56, s56, 32
	s_addc_u32 s57, s57, 0
	v_add_u32_e32 v3, v1, v3
	v_lshrrev_b32_e32 v3, s10, v3
	v_mul_lo_u32 v4, v3, s8
	v_mul_hi_u32 v5, s12, v3
	s_cmp_eq_u32 s61, s63
	v_sub_u32_e32 v1, v1, v4
	v_add_u32_e32 v4, v3, v5
	v_mul_lo_u32 v5, v1, s0
	v_mul_lo_u32 v6, v1, s1
	v_lshrrev_b32_e32 v1, s13, v4
	v_mul_lo_u32 v4, v1, s11
	v_mul_hi_u32 v7, s15, v1
	v_sub_u32_e32 v3, v3, v4
	v_add_u32_e32 v4, v1, v7
	v_lshrrev_b32_e32 v4, s28, v4
	v_mul_hi_u32 v8, s30, v4
	v_mul_lo_u32 v9, v4, s14
	v_mul_lo_u32 v7, v3, s2
	;; [unrolled: 1-line block ×3, first 2 shown]
	v_sub_u32_e32 v9, v1, v9
	v_add_u32_e32 v1, v4, v8
	v_lshrrev_b32_e32 v1, s31, v1
	v_mul_lo_u32 v8, v1, s29
	v_mul_lo_u32 v10, v9, s4
	;; [unrolled: 1-line block ×3, first 2 shown]
	v_add3_u32 v0, v5, v0, v7
	v_sub_u32_e32 v4, v4, v8
	v_mul_lo_u32 v8, v4, s6
	v_mul_lo_u32 v4, v4, s7
	v_add3_u32 v2, v6, v2, v3
	v_add3_u32 v0, v10, v0, v8
	;; [unrolled: 1-line block ×3, first 2 shown]
	s_cbranch_scc0 .LBB141_69
	s_branch .LBB141_74
.LBB141_70:
                                        ; implicit-def: $vgpr0
                                        ; implicit-def: $vgpr2
	s_branch .LBB141_78
.LBB141_71:
                                        ; implicit-def: $sgpr2_sgpr3
	s_branch .LBB141_63
.LBB141_72:
	v_mov_b32_e32 v0, 0
	v_mov_b32_e32 v2, 0
	s_branch .LBB141_77
.LBB141_73:
	s_mov_b32 s61, 0
	v_mov_b32_e32 v0, 0
	v_mov_b32_e32 v2, 0
	;; [unrolled: 1-line block ×3, first 2 shown]
.LBB141_74:
	s_and_b32 s4, s62, 3
	s_cmp_eq_u32 s4, 0
	s_cbranch_scc1 .LBB141_77
; %bb.75:
	s_lshl_b32 s0, s61, 3
	s_add_u32 s0, s34, s0
	s_addc_u32 s1, s35, 0
	s_add_u32 s0, s0, 0xc4
	s_addc_u32 s1, s1, 0
	s_mul_i32 s2, s61, 12
	s_add_u32 s2, s34, s2
	s_addc_u32 s3, s35, 0
.LBB141_76:                             ; =>This Inner Loop Header: Depth=1
	s_load_dwordx2 s[6:7], s[2:3], 0x4
	s_load_dword s5, s[2:3], 0xc
	s_load_dwordx2 s[8:9], s[0:1], 0x0
	s_add_u32 s2, s2, 12
	s_addc_u32 s3, s3, 0
	s_waitcnt lgkmcnt(0)
	v_mul_hi_u32 v3, s7, v1
	s_add_u32 s0, s0, 8
	s_addc_u32 s1, s1, 0
	s_add_i32 s4, s4, -1
	v_add_u32_e32 v3, v1, v3
	v_lshrrev_b32_e32 v4, s5, v3
	v_mul_lo_u32 v3, v4, s6
	s_cmp_lg_u32 s4, 0
	v_sub_u32_e32 v3, v1, v3
	v_mad_u64_u32 v[0:1], s[6:7], v3, s8, v[0:1]
	v_mad_u64_u32 v[2:3], s[6:7], v3, s9, v[2:3]
	v_mov_b32_e32 v1, v4
	s_cbranch_scc1 .LBB141_76
.LBB141_77:
	s_cbranch_execnz .LBB141_80
.LBB141_78:
	v_mul_hi_u32 v0, s21, v19
	s_andn2_b64 vcc, exec, s[46:47]
	v_add_u32_e32 v0, v19, v0
	v_lshrrev_b32_e32 v1, s22, v0
	v_mul_lo_u32 v0, v1, s20
	v_sub_u32_e32 v2, v19, v0
	v_mul_lo_u32 v0, v2, s24
	v_mul_lo_u32 v2, v2, s25
	s_cbranch_vccnz .LBB141_80
; %bb.79:
	v_mul_hi_u32 v3, s44, v1
	v_add_u32_e32 v3, v1, v3
	v_lshrrev_b32_e32 v3, s45, v3
	v_mul_lo_u32 v3, v3, s23
	v_sub_u32_e32 v3, v1, v3
	v_mad_u64_u32 v[0:1], s[0:1], v3, s26, v[0:1]
	v_mad_u64_u32 v[2:3], s[0:1], v3, s27, v[2:3]
.LBB141_80:
	global_load_dwordx2 v[1:2], v2, s[18:19]
	s_andn2_b64 vcc, exec, s[42:43]
	s_cbranch_vccnz .LBB141_90
; %bb.81:
	s_waitcnt vmcnt(0)
	v_cmp_neq_f32_e32 vcc, s40, v1
	v_cmp_neq_f32_e64 s[0:1], s41, v2
	s_or_b64 s[2:3], vcc, s[0:1]
	s_cbranch_execnz .LBB141_83
.LBB141_82:
	s_waitcnt vmcnt(0)
	v_cmp_eq_f32_e32 vcc, s40, v1
	v_cmp_eq_f32_e64 s[0:1], s41, v2
	s_and_b64 s[0:1], vcc, s[0:1]
	s_andn2_b64 s[2:3], s[2:3], exec
	s_and_b64 s[0:1], s[0:1], exec
	s_or_b64 s[2:3], s[2:3], s[0:1]
.LBB141_83:
	s_waitcnt vmcnt(0)
	v_cndmask_b32_e64 v1, 0, 1, s[2:3]
	v_add_u32_e32 v19, 0x80, v19
	global_store_byte v0, v1, s[16:17]
	s_or_b64 exec, exec, s[52:53]
	v_cmp_gt_i32_e32 vcc, s59, v19
	s_and_saveexec_b64 s[52:53], vcc
	s_cbranch_execz .LBB141_6
.LBB141_84:
	s_andn2_b64 vcc, exec, s[36:37]
	s_cbranch_vccnz .LBB141_89
; %bb.85:
	s_andn2_b64 vcc, exec, s[50:51]
	s_cbranch_vccnz .LBB141_91
; %bb.86:
	s_add_i32 s62, s60, 1
	s_cmp_eq_u32 s58, 2
	s_cbranch_scc1 .LBB141_92
; %bb.87:
	s_and_b32 s61, s62, 28
	v_mov_b32_e32 v2, 0
	s_mov_b32 s63, 0
	s_mov_b64 s[54:55], s[34:35]
	s_mov_b64 s[56:57], s[48:49]
	v_mov_b32_e32 v0, 0
	v_mov_b32_e32 v1, v19
.LBB141_88:                             ; =>This Inner Loop Header: Depth=1
	s_load_dwordx8 s[8:15], s[54:55], 0x4
	s_load_dwordx4 s[28:31], s[54:55], 0x24
	s_load_dwordx8 s[0:7], s[56:57], 0x0
	s_add_u32 s54, s54, 48
	s_addc_u32 s55, s55, 0
	s_waitcnt lgkmcnt(0)
	v_mul_hi_u32 v3, s9, v1
	s_add_i32 s63, s63, 4
	s_add_u32 s56, s56, 32
	s_addc_u32 s57, s57, 0
	v_add_u32_e32 v3, v1, v3
	v_lshrrev_b32_e32 v3, s10, v3
	v_mul_lo_u32 v4, v3, s8
	v_mul_hi_u32 v5, s12, v3
	s_cmp_eq_u32 s61, s63
	v_sub_u32_e32 v1, v1, v4
	v_add_u32_e32 v4, v3, v5
	v_mul_lo_u32 v5, v1, s0
	v_mul_lo_u32 v6, v1, s1
	v_lshrrev_b32_e32 v1, s13, v4
	v_mul_lo_u32 v4, v1, s11
	v_mul_hi_u32 v7, s15, v1
	v_sub_u32_e32 v3, v3, v4
	v_add_u32_e32 v4, v1, v7
	v_lshrrev_b32_e32 v4, s28, v4
	v_mul_hi_u32 v8, s30, v4
	v_mul_lo_u32 v9, v4, s14
	v_mul_lo_u32 v7, v3, s2
	;; [unrolled: 1-line block ×3, first 2 shown]
	v_sub_u32_e32 v9, v1, v9
	v_add_u32_e32 v1, v4, v8
	v_lshrrev_b32_e32 v1, s31, v1
	v_mul_lo_u32 v8, v1, s29
	v_mul_lo_u32 v10, v9, s4
	;; [unrolled: 1-line block ×3, first 2 shown]
	v_add3_u32 v0, v5, v0, v7
	v_sub_u32_e32 v4, v4, v8
	v_mul_lo_u32 v8, v4, s6
	v_mul_lo_u32 v4, v4, s7
	v_add3_u32 v2, v6, v2, v3
	v_add3_u32 v0, v10, v0, v8
	;; [unrolled: 1-line block ×3, first 2 shown]
	s_cbranch_scc0 .LBB141_88
	s_branch .LBB141_93
.LBB141_89:
                                        ; implicit-def: $vgpr0
                                        ; implicit-def: $vgpr2
	s_branch .LBB141_97
.LBB141_90:
                                        ; implicit-def: $sgpr2_sgpr3
	s_branch .LBB141_82
.LBB141_91:
	v_mov_b32_e32 v0, 0
	v_mov_b32_e32 v2, 0
	s_branch .LBB141_96
.LBB141_92:
	s_mov_b32 s61, 0
	v_mov_b32_e32 v0, 0
	v_mov_b32_e32 v2, 0
	;; [unrolled: 1-line block ×3, first 2 shown]
.LBB141_93:
	s_and_b32 s4, s62, 3
	s_cmp_eq_u32 s4, 0
	s_cbranch_scc1 .LBB141_96
; %bb.94:
	s_lshl_b32 s0, s61, 3
	s_add_u32 s0, s34, s0
	s_addc_u32 s1, s35, 0
	s_add_u32 s0, s0, 0xc4
	s_addc_u32 s1, s1, 0
	s_mul_i32 s2, s61, 12
	s_add_u32 s2, s34, s2
	s_addc_u32 s3, s35, 0
.LBB141_95:                             ; =>This Inner Loop Header: Depth=1
	s_load_dwordx2 s[6:7], s[2:3], 0x4
	s_load_dword s5, s[2:3], 0xc
	s_load_dwordx2 s[8:9], s[0:1], 0x0
	s_add_u32 s2, s2, 12
	s_addc_u32 s3, s3, 0
	s_waitcnt lgkmcnt(0)
	v_mul_hi_u32 v3, s7, v1
	s_add_u32 s0, s0, 8
	s_addc_u32 s1, s1, 0
	s_add_i32 s4, s4, -1
	v_add_u32_e32 v3, v1, v3
	v_lshrrev_b32_e32 v4, s5, v3
	v_mul_lo_u32 v3, v4, s6
	s_cmp_lg_u32 s4, 0
	v_sub_u32_e32 v3, v1, v3
	v_mad_u64_u32 v[0:1], s[6:7], v3, s8, v[0:1]
	v_mad_u64_u32 v[2:3], s[6:7], v3, s9, v[2:3]
	v_mov_b32_e32 v1, v4
	s_cbranch_scc1 .LBB141_95
.LBB141_96:
	s_cbranch_execnz .LBB141_99
.LBB141_97:
	v_mul_hi_u32 v0, s21, v19
	s_andn2_b64 vcc, exec, s[46:47]
	v_add_u32_e32 v0, v19, v0
	v_lshrrev_b32_e32 v1, s22, v0
	v_mul_lo_u32 v0, v1, s20
	v_sub_u32_e32 v2, v19, v0
	v_mul_lo_u32 v0, v2, s24
	v_mul_lo_u32 v2, v2, s25
	s_cbranch_vccnz .LBB141_99
; %bb.98:
	v_mul_hi_u32 v3, s44, v1
	v_add_u32_e32 v3, v1, v3
	v_lshrrev_b32_e32 v3, s45, v3
	v_mul_lo_u32 v3, v3, s23
	v_sub_u32_e32 v3, v1, v3
	v_mad_u64_u32 v[0:1], s[0:1], v3, s26, v[0:1]
	v_mad_u64_u32 v[2:3], s[0:1], v3, s27, v[2:3]
.LBB141_99:
	global_load_dwordx2 v[1:2], v2, s[18:19]
	s_andn2_b64 vcc, exec, s[42:43]
	s_cbranch_vccnz .LBB141_109
; %bb.100:
	s_waitcnt vmcnt(0)
	v_cmp_neq_f32_e32 vcc, s40, v1
	v_cmp_neq_f32_e64 s[0:1], s41, v2
	s_or_b64 s[2:3], vcc, s[0:1]
	s_cbranch_execnz .LBB141_102
.LBB141_101:
	s_waitcnt vmcnt(0)
	v_cmp_eq_f32_e32 vcc, s40, v1
	v_cmp_eq_f32_e64 s[0:1], s41, v2
	s_and_b64 s[0:1], vcc, s[0:1]
	s_andn2_b64 s[2:3], s[2:3], exec
	s_and_b64 s[0:1], s[0:1], exec
	s_or_b64 s[2:3], s[2:3], s[0:1]
.LBB141_102:
	s_waitcnt vmcnt(0)
	v_cndmask_b32_e64 v1, 0, 1, s[2:3]
	v_add_u32_e32 v19, 0x80, v19
	global_store_byte v0, v1, s[16:17]
	s_or_b64 exec, exec, s[52:53]
	v_cmp_gt_i32_e32 vcc, s59, v19
	s_and_saveexec_b64 s[52:53], vcc
	s_cbranch_execz .LBB141_7
.LBB141_103:
	s_andn2_b64 vcc, exec, s[36:37]
	s_cbranch_vccnz .LBB141_108
; %bb.104:
	s_andn2_b64 vcc, exec, s[50:51]
	s_cbranch_vccnz .LBB141_110
; %bb.105:
	s_add_i32 s62, s60, 1
	s_cmp_eq_u32 s58, 2
	s_cbranch_scc1 .LBB141_111
; %bb.106:
	s_and_b32 s61, s62, 28
	v_mov_b32_e32 v2, 0
	s_mov_b32 s63, 0
	s_mov_b64 s[54:55], s[34:35]
	s_mov_b64 s[56:57], s[48:49]
	v_mov_b32_e32 v0, 0
	v_mov_b32_e32 v1, v19
.LBB141_107:                            ; =>This Inner Loop Header: Depth=1
	s_load_dwordx8 s[8:15], s[54:55], 0x4
	s_load_dwordx4 s[28:31], s[54:55], 0x24
	s_load_dwordx8 s[0:7], s[56:57], 0x0
	s_add_u32 s54, s54, 48
	s_addc_u32 s55, s55, 0
	s_waitcnt lgkmcnt(0)
	v_mul_hi_u32 v3, s9, v1
	s_add_i32 s63, s63, 4
	s_add_u32 s56, s56, 32
	s_addc_u32 s57, s57, 0
	v_add_u32_e32 v3, v1, v3
	v_lshrrev_b32_e32 v3, s10, v3
	v_mul_lo_u32 v4, v3, s8
	v_mul_hi_u32 v5, s12, v3
	s_cmp_eq_u32 s61, s63
	v_sub_u32_e32 v1, v1, v4
	v_add_u32_e32 v4, v3, v5
	v_mul_lo_u32 v5, v1, s0
	v_mul_lo_u32 v6, v1, s1
	v_lshrrev_b32_e32 v1, s13, v4
	v_mul_lo_u32 v4, v1, s11
	v_mul_hi_u32 v7, s15, v1
	v_sub_u32_e32 v3, v3, v4
	v_add_u32_e32 v4, v1, v7
	v_lshrrev_b32_e32 v4, s28, v4
	v_mul_hi_u32 v8, s30, v4
	v_mul_lo_u32 v9, v4, s14
	v_mul_lo_u32 v7, v3, s2
	;; [unrolled: 1-line block ×3, first 2 shown]
	v_sub_u32_e32 v9, v1, v9
	v_add_u32_e32 v1, v4, v8
	v_lshrrev_b32_e32 v1, s31, v1
	v_mul_lo_u32 v8, v1, s29
	v_mul_lo_u32 v10, v9, s4
	;; [unrolled: 1-line block ×3, first 2 shown]
	v_add3_u32 v0, v5, v0, v7
	v_sub_u32_e32 v4, v4, v8
	v_mul_lo_u32 v8, v4, s6
	v_mul_lo_u32 v4, v4, s7
	v_add3_u32 v2, v6, v2, v3
	v_add3_u32 v0, v10, v0, v8
	;; [unrolled: 1-line block ×3, first 2 shown]
	s_cbranch_scc0 .LBB141_107
	s_branch .LBB141_112
.LBB141_108:
                                        ; implicit-def: $vgpr0
                                        ; implicit-def: $vgpr2
	s_branch .LBB141_116
.LBB141_109:
                                        ; implicit-def: $sgpr2_sgpr3
	s_branch .LBB141_101
.LBB141_110:
	v_mov_b32_e32 v0, 0
	v_mov_b32_e32 v2, 0
	s_branch .LBB141_115
.LBB141_111:
	s_mov_b32 s61, 0
	v_mov_b32_e32 v0, 0
	v_mov_b32_e32 v2, 0
	;; [unrolled: 1-line block ×3, first 2 shown]
.LBB141_112:
	s_and_b32 s4, s62, 3
	s_cmp_eq_u32 s4, 0
	s_cbranch_scc1 .LBB141_115
; %bb.113:
	s_lshl_b32 s0, s61, 3
	s_add_u32 s0, s34, s0
	s_addc_u32 s1, s35, 0
	s_add_u32 s0, s0, 0xc4
	s_addc_u32 s1, s1, 0
	s_mul_i32 s2, s61, 12
	s_add_u32 s2, s34, s2
	s_addc_u32 s3, s35, 0
.LBB141_114:                            ; =>This Inner Loop Header: Depth=1
	s_load_dwordx2 s[6:7], s[2:3], 0x4
	s_load_dword s5, s[2:3], 0xc
	s_load_dwordx2 s[8:9], s[0:1], 0x0
	s_add_u32 s2, s2, 12
	s_addc_u32 s3, s3, 0
	s_waitcnt lgkmcnt(0)
	v_mul_hi_u32 v3, s7, v1
	s_add_u32 s0, s0, 8
	s_addc_u32 s1, s1, 0
	s_add_i32 s4, s4, -1
	v_add_u32_e32 v3, v1, v3
	v_lshrrev_b32_e32 v4, s5, v3
	v_mul_lo_u32 v3, v4, s6
	s_cmp_lg_u32 s4, 0
	v_sub_u32_e32 v3, v1, v3
	v_mad_u64_u32 v[0:1], s[6:7], v3, s8, v[0:1]
	v_mad_u64_u32 v[2:3], s[6:7], v3, s9, v[2:3]
	v_mov_b32_e32 v1, v4
	s_cbranch_scc1 .LBB141_114
.LBB141_115:
	s_cbranch_execnz .LBB141_118
.LBB141_116:
	v_mul_hi_u32 v0, s21, v19
	s_andn2_b64 vcc, exec, s[46:47]
	v_add_u32_e32 v0, v19, v0
	v_lshrrev_b32_e32 v1, s22, v0
	v_mul_lo_u32 v0, v1, s20
	v_sub_u32_e32 v2, v19, v0
	v_mul_lo_u32 v0, v2, s24
	v_mul_lo_u32 v2, v2, s25
	s_cbranch_vccnz .LBB141_118
; %bb.117:
	v_mul_hi_u32 v3, s44, v1
	v_add_u32_e32 v3, v1, v3
	v_lshrrev_b32_e32 v3, s45, v3
	v_mul_lo_u32 v3, v3, s23
	v_sub_u32_e32 v3, v1, v3
	v_mad_u64_u32 v[0:1], s[0:1], v3, s26, v[0:1]
	v_mad_u64_u32 v[2:3], s[0:1], v3, s27, v[2:3]
.LBB141_118:
	global_load_dwordx2 v[1:2], v2, s[18:19]
	s_andn2_b64 vcc, exec, s[42:43]
	s_cbranch_vccnz .LBB141_128
; %bb.119:
	s_waitcnt vmcnt(0)
	v_cmp_neq_f32_e32 vcc, s40, v1
	v_cmp_neq_f32_e64 s[0:1], s41, v2
	s_or_b64 s[2:3], vcc, s[0:1]
	s_cbranch_execnz .LBB141_121
.LBB141_120:
	s_waitcnt vmcnt(0)
	v_cmp_eq_f32_e32 vcc, s40, v1
	v_cmp_eq_f32_e64 s[0:1], s41, v2
	s_and_b64 s[0:1], vcc, s[0:1]
	s_andn2_b64 s[2:3], s[2:3], exec
	s_and_b64 s[0:1], s[0:1], exec
	s_or_b64 s[2:3], s[2:3], s[0:1]
.LBB141_121:
	s_waitcnt vmcnt(0)
	v_cndmask_b32_e64 v1, 0, 1, s[2:3]
	v_add_u32_e32 v19, 0x80, v19
	global_store_byte v0, v1, s[16:17]
	s_or_b64 exec, exec, s[52:53]
	v_cmp_gt_i32_e32 vcc, s59, v19
	s_and_saveexec_b64 s[52:53], vcc
	s_cbranch_execz .LBB141_8
.LBB141_122:
	s_andn2_b64 vcc, exec, s[36:37]
	s_cbranch_vccnz .LBB141_127
; %bb.123:
	s_andn2_b64 vcc, exec, s[50:51]
	s_cbranch_vccnz .LBB141_129
; %bb.124:
	s_add_i32 s62, s60, 1
	s_cmp_eq_u32 s58, 2
	s_cbranch_scc1 .LBB141_130
; %bb.125:
	s_and_b32 s61, s62, 28
	v_mov_b32_e32 v2, 0
	s_mov_b32 s63, 0
	s_mov_b64 s[54:55], s[34:35]
	s_mov_b64 s[56:57], s[48:49]
	v_mov_b32_e32 v0, 0
	v_mov_b32_e32 v1, v19
.LBB141_126:                            ; =>This Inner Loop Header: Depth=1
	s_load_dwordx8 s[8:15], s[54:55], 0x4
	s_load_dwordx4 s[28:31], s[54:55], 0x24
	s_load_dwordx8 s[0:7], s[56:57], 0x0
	s_add_u32 s54, s54, 48
	s_addc_u32 s55, s55, 0
	s_waitcnt lgkmcnt(0)
	v_mul_hi_u32 v3, s9, v1
	s_add_i32 s63, s63, 4
	s_add_u32 s56, s56, 32
	s_addc_u32 s57, s57, 0
	v_add_u32_e32 v3, v1, v3
	v_lshrrev_b32_e32 v3, s10, v3
	v_mul_lo_u32 v4, v3, s8
	v_mul_hi_u32 v5, s12, v3
	s_cmp_eq_u32 s61, s63
	v_sub_u32_e32 v1, v1, v4
	v_add_u32_e32 v4, v3, v5
	v_mul_lo_u32 v5, v1, s0
	v_mul_lo_u32 v6, v1, s1
	v_lshrrev_b32_e32 v1, s13, v4
	v_mul_lo_u32 v4, v1, s11
	v_mul_hi_u32 v7, s15, v1
	v_sub_u32_e32 v3, v3, v4
	v_add_u32_e32 v4, v1, v7
	v_lshrrev_b32_e32 v4, s28, v4
	v_mul_hi_u32 v8, s30, v4
	v_mul_lo_u32 v9, v4, s14
	v_mul_lo_u32 v7, v3, s2
	;; [unrolled: 1-line block ×3, first 2 shown]
	v_sub_u32_e32 v9, v1, v9
	v_add_u32_e32 v1, v4, v8
	v_lshrrev_b32_e32 v1, s31, v1
	v_mul_lo_u32 v8, v1, s29
	v_mul_lo_u32 v10, v9, s4
	;; [unrolled: 1-line block ×3, first 2 shown]
	v_add3_u32 v0, v5, v0, v7
	v_sub_u32_e32 v4, v4, v8
	v_mul_lo_u32 v8, v4, s6
	v_mul_lo_u32 v4, v4, s7
	v_add3_u32 v2, v6, v2, v3
	v_add3_u32 v0, v10, v0, v8
	;; [unrolled: 1-line block ×3, first 2 shown]
	s_cbranch_scc0 .LBB141_126
	s_branch .LBB141_131
.LBB141_127:
                                        ; implicit-def: $vgpr0
                                        ; implicit-def: $vgpr2
	s_branch .LBB141_135
.LBB141_128:
                                        ; implicit-def: $sgpr2_sgpr3
	s_branch .LBB141_120
.LBB141_129:
	v_mov_b32_e32 v0, 0
	v_mov_b32_e32 v2, 0
	s_branch .LBB141_134
.LBB141_130:
	s_mov_b32 s61, 0
	v_mov_b32_e32 v0, 0
	v_mov_b32_e32 v2, 0
	;; [unrolled: 1-line block ×3, first 2 shown]
.LBB141_131:
	s_and_b32 s4, s62, 3
	s_cmp_eq_u32 s4, 0
	s_cbranch_scc1 .LBB141_134
; %bb.132:
	s_lshl_b32 s0, s61, 3
	s_add_u32 s0, s34, s0
	s_addc_u32 s1, s35, 0
	s_add_u32 s0, s0, 0xc4
	s_addc_u32 s1, s1, 0
	s_mul_i32 s2, s61, 12
	s_add_u32 s2, s34, s2
	s_addc_u32 s3, s35, 0
.LBB141_133:                            ; =>This Inner Loop Header: Depth=1
	s_load_dwordx2 s[6:7], s[2:3], 0x4
	s_load_dword s5, s[2:3], 0xc
	s_load_dwordx2 s[8:9], s[0:1], 0x0
	s_add_u32 s2, s2, 12
	s_addc_u32 s3, s3, 0
	s_waitcnt lgkmcnt(0)
	v_mul_hi_u32 v3, s7, v1
	s_add_u32 s0, s0, 8
	s_addc_u32 s1, s1, 0
	s_add_i32 s4, s4, -1
	v_add_u32_e32 v3, v1, v3
	v_lshrrev_b32_e32 v4, s5, v3
	v_mul_lo_u32 v3, v4, s6
	s_cmp_lg_u32 s4, 0
	v_sub_u32_e32 v3, v1, v3
	v_mad_u64_u32 v[0:1], s[6:7], v3, s8, v[0:1]
	v_mad_u64_u32 v[2:3], s[6:7], v3, s9, v[2:3]
	v_mov_b32_e32 v1, v4
	s_cbranch_scc1 .LBB141_133
.LBB141_134:
	s_cbranch_execnz .LBB141_137
.LBB141_135:
	v_mul_hi_u32 v0, s21, v19
	s_andn2_b64 vcc, exec, s[46:47]
	v_add_u32_e32 v0, v19, v0
	v_lshrrev_b32_e32 v1, s22, v0
	v_mul_lo_u32 v0, v1, s20
	v_sub_u32_e32 v2, v19, v0
	v_mul_lo_u32 v0, v2, s24
	v_mul_lo_u32 v2, v2, s25
	s_cbranch_vccnz .LBB141_137
; %bb.136:
	v_mul_hi_u32 v3, s44, v1
	v_add_u32_e32 v3, v1, v3
	v_lshrrev_b32_e32 v3, s45, v3
	v_mul_lo_u32 v3, v3, s23
	v_sub_u32_e32 v3, v1, v3
	v_mad_u64_u32 v[0:1], s[0:1], v3, s26, v[0:1]
	v_mad_u64_u32 v[2:3], s[0:1], v3, s27, v[2:3]
.LBB141_137:
	global_load_dwordx2 v[1:2], v2, s[18:19]
	s_andn2_b64 vcc, exec, s[42:43]
	s_cbranch_vccnz .LBB141_147
; %bb.138:
	s_waitcnt vmcnt(0)
	v_cmp_neq_f32_e32 vcc, s40, v1
	v_cmp_neq_f32_e64 s[0:1], s41, v2
	s_or_b64 s[2:3], vcc, s[0:1]
	s_cbranch_execnz .LBB141_140
.LBB141_139:
	s_waitcnt vmcnt(0)
	v_cmp_eq_f32_e32 vcc, s40, v1
	v_cmp_eq_f32_e64 s[0:1], s41, v2
	s_and_b64 s[0:1], vcc, s[0:1]
	s_andn2_b64 s[2:3], s[2:3], exec
	s_and_b64 s[0:1], s[0:1], exec
	s_or_b64 s[2:3], s[2:3], s[0:1]
.LBB141_140:
	s_waitcnt vmcnt(0)
	v_cndmask_b32_e64 v1, 0, 1, s[2:3]
	v_add_u32_e32 v19, 0x80, v19
	global_store_byte v0, v1, s[16:17]
	s_or_b64 exec, exec, s[52:53]
	v_cmp_gt_i32_e32 vcc, s59, v19
	s_and_saveexec_b64 s[52:53], vcc
	s_cbranch_execz .LBB141_160
.LBB141_141:
	s_andn2_b64 vcc, exec, s[36:37]
	s_cbranch_vccnz .LBB141_146
; %bb.142:
	s_andn2_b64 vcc, exec, s[50:51]
	s_cbranch_vccnz .LBB141_148
; %bb.143:
	s_add_i32 s60, s60, 1
	s_cmp_eq_u32 s58, 2
	s_cbranch_scc1 .LBB141_149
; %bb.144:
	s_and_b32 s54, s60, 28
	v_mov_b32_e32 v2, 0
	s_mov_b32 s55, 0
	s_mov_b64 s[50:51], s[34:35]
	v_mov_b32_e32 v0, 0
	v_mov_b32_e32 v1, v19
.LBB141_145:                            ; =>This Inner Loop Header: Depth=1
	s_load_dwordx8 s[8:15], s[50:51], 0x4
	s_load_dwordx4 s[28:31], s[50:51], 0x24
	s_load_dwordx8 s[0:7], s[48:49], 0x0
	s_add_u32 s50, s50, 48
	s_addc_u32 s51, s51, 0
	s_waitcnt lgkmcnt(0)
	v_mul_hi_u32 v3, s9, v1
	s_add_i32 s55, s55, 4
	s_add_u32 s48, s48, 32
	s_addc_u32 s49, s49, 0
	v_add_u32_e32 v3, v1, v3
	v_lshrrev_b32_e32 v3, s10, v3
	v_mul_lo_u32 v4, v3, s8
	v_mul_hi_u32 v5, s12, v3
	s_cmp_eq_u32 s54, s55
	v_sub_u32_e32 v1, v1, v4
	v_add_u32_e32 v4, v3, v5
	v_mul_lo_u32 v5, v1, s0
	v_mul_lo_u32 v6, v1, s1
	v_lshrrev_b32_e32 v1, s13, v4
	v_mul_lo_u32 v4, v1, s11
	v_mul_hi_u32 v7, s15, v1
	v_sub_u32_e32 v3, v3, v4
	v_add_u32_e32 v4, v1, v7
	v_lshrrev_b32_e32 v4, s28, v4
	v_mul_hi_u32 v8, s30, v4
	v_mul_lo_u32 v9, v4, s14
	v_mul_lo_u32 v7, v3, s2
	v_mul_lo_u32 v3, v3, s3
	v_sub_u32_e32 v9, v1, v9
	v_add_u32_e32 v1, v4, v8
	v_lshrrev_b32_e32 v1, s31, v1
	v_mul_lo_u32 v8, v1, s29
	v_mul_lo_u32 v10, v9, s4
	;; [unrolled: 1-line block ×3, first 2 shown]
	v_add3_u32 v0, v5, v0, v7
	v_sub_u32_e32 v4, v4, v8
	v_mul_lo_u32 v8, v4, s6
	v_mul_lo_u32 v4, v4, s7
	v_add3_u32 v2, v6, v2, v3
	v_add3_u32 v0, v10, v0, v8
	;; [unrolled: 1-line block ×3, first 2 shown]
	s_cbranch_scc0 .LBB141_145
	s_branch .LBB141_150
.LBB141_146:
                                        ; implicit-def: $vgpr0
                                        ; implicit-def: $vgpr2
	s_branch .LBB141_154
.LBB141_147:
                                        ; implicit-def: $sgpr2_sgpr3
	s_branch .LBB141_139
.LBB141_148:
	v_mov_b32_e32 v0, 0
	v_mov_b32_e32 v2, 0
	s_branch .LBB141_153
.LBB141_149:
	s_mov_b32 s54, 0
	v_mov_b32_e32 v0, 0
	v_mov_b32_e32 v2, 0
	;; [unrolled: 1-line block ×3, first 2 shown]
.LBB141_150:
	s_and_b32 s4, s60, 3
	s_cmp_eq_u32 s4, 0
	s_cbranch_scc1 .LBB141_153
; %bb.151:
	s_lshl_b32 s0, s54, 3
	s_add_u32 s0, s34, s0
	s_addc_u32 s1, s35, 0
	s_add_u32 s0, s0, 0xc4
	s_addc_u32 s1, s1, 0
	s_mul_i32 s2, s54, 12
	s_add_u32 s2, s34, s2
	s_addc_u32 s3, s35, 0
.LBB141_152:                            ; =>This Inner Loop Header: Depth=1
	s_load_dwordx2 s[6:7], s[2:3], 0x4
	s_load_dword s5, s[2:3], 0xc
	s_load_dwordx2 s[8:9], s[0:1], 0x0
	s_add_u32 s2, s2, 12
	s_addc_u32 s3, s3, 0
	s_waitcnt lgkmcnt(0)
	v_mul_hi_u32 v3, s7, v1
	s_add_u32 s0, s0, 8
	s_addc_u32 s1, s1, 0
	s_add_i32 s4, s4, -1
	v_add_u32_e32 v3, v1, v3
	v_lshrrev_b32_e32 v4, s5, v3
	v_mul_lo_u32 v3, v4, s6
	s_cmp_lg_u32 s4, 0
	v_sub_u32_e32 v3, v1, v3
	v_mad_u64_u32 v[0:1], s[6:7], v3, s8, v[0:1]
	v_mad_u64_u32 v[2:3], s[6:7], v3, s9, v[2:3]
	v_mov_b32_e32 v1, v4
	s_cbranch_scc1 .LBB141_152
.LBB141_153:
	s_cbranch_execnz .LBB141_156
.LBB141_154:
	v_mul_hi_u32 v0, s21, v19
	s_andn2_b64 vcc, exec, s[46:47]
	v_add_u32_e32 v0, v19, v0
	v_lshrrev_b32_e32 v1, s22, v0
	v_mul_lo_u32 v0, v1, s20
	v_sub_u32_e32 v2, v19, v0
	v_mul_lo_u32 v0, v2, s24
	v_mul_lo_u32 v2, v2, s25
	s_cbranch_vccnz .LBB141_156
; %bb.155:
	v_mul_hi_u32 v3, s44, v1
	v_add_u32_e32 v3, v1, v3
	v_lshrrev_b32_e32 v3, s45, v3
	v_mul_lo_u32 v3, v3, s23
	v_sub_u32_e32 v3, v1, v3
	v_mad_u64_u32 v[0:1], s[0:1], v3, s26, v[0:1]
	v_mad_u64_u32 v[2:3], s[0:1], v3, s27, v[2:3]
.LBB141_156:
	global_load_dwordx2 v[1:2], v2, s[18:19]
	s_andn2_b64 vcc, exec, s[42:43]
	s_cbranch_vccnz .LBB141_170
; %bb.157:
	s_waitcnt vmcnt(0)
	v_cmp_neq_f32_e32 vcc, s40, v1
	v_cmp_neq_f32_e64 s[0:1], s41, v2
	s_or_b64 s[2:3], vcc, s[0:1]
	s_cbranch_execnz .LBB141_159
.LBB141_158:
	s_waitcnt vmcnt(0)
	v_cmp_eq_f32_e32 vcc, s40, v1
	v_cmp_eq_f32_e64 s[0:1], s41, v2
	s_and_b64 s[0:1], vcc, s[0:1]
	s_andn2_b64 s[2:3], s[2:3], exec
	s_and_b64 s[0:1], s[0:1], exec
	s_or_b64 s[2:3], s[2:3], s[0:1]
.LBB141_159:
	s_waitcnt vmcnt(0)
	v_cndmask_b32_e64 v1, 0, 1, s[2:3]
	global_store_byte v0, v1, s[16:17]
.LBB141_160:
	s_or_b64 exec, exec, s[52:53]
                                        ; implicit-def: $vgpr25
                                        ; implicit-def: $vgpr19
.LBB141_161:
	s_andn2_saveexec_b64 s[0:1], s[38:39]
	s_cbranch_execz .LBB141_168
; %bb.162:
	v_cndmask_b32_e64 v0, 0, 1, s[36:37]
	v_cmp_ne_u32_e64 s[0:1], 1, v0
	s_andn2_b64 vcc, exec, s[36:37]
	s_cbranch_vccnz .LBB141_169
; %bb.163:
	s_cmp_lg_u32 s33, 0
	s_mov_b32 s26, 0
	s_cbranch_scc0 .LBB141_171
; %bb.164:
	s_min_u32 s27, s58, 15
	s_add_i32 s27, s27, 1
	s_cmp_eq_u32 s58, 2
	s_cbranch_scc1 .LBB141_172
; %bb.165:
	s_and_b32 s26, s27, 28
	s_add_u32 s2, s34, 0xc4
	s_addc_u32 s3, s35, 0
	v_mov_b32_e32 v2, 0
	s_mov_b32 s28, 0
	s_mov_b64 s[24:25], s[34:35]
	v_mov_b32_e32 v0, 0
	v_mov_b32_e32 v1, v19
.LBB141_166:                            ; =>This Inner Loop Header: Depth=1
	s_load_dwordx8 s[12:19], s[24:25], 0x4
	s_load_dwordx4 s[20:23], s[24:25], 0x24
	s_load_dwordx8 s[4:11], s[2:3], 0x0
	s_add_u32 s24, s24, 48
	s_addc_u32 s25, s25, 0
	s_waitcnt lgkmcnt(0)
	v_mul_hi_u32 v3, s13, v1
	s_add_i32 s28, s28, 4
	s_add_u32 s2, s2, 32
	s_addc_u32 s3, s3, 0
	v_add_u32_e32 v3, v1, v3
	v_lshrrev_b32_e32 v3, s14, v3
	v_mul_lo_u32 v4, v3, s12
	v_mul_hi_u32 v5, s16, v3
	s_cmp_lg_u32 s26, s28
	v_sub_u32_e32 v1, v1, v4
	v_add_u32_e32 v4, v3, v5
	v_mul_lo_u32 v5, v1, s4
	v_mul_lo_u32 v6, v1, s5
	v_lshrrev_b32_e32 v1, s17, v4
	v_mul_lo_u32 v4, v1, s15
	v_mul_hi_u32 v7, s19, v1
	v_sub_u32_e32 v3, v3, v4
	v_add_u32_e32 v4, v1, v7
	v_lshrrev_b32_e32 v4, s20, v4
	v_mul_hi_u32 v8, s22, v4
	v_mul_lo_u32 v9, v4, s18
	v_mul_lo_u32 v7, v3, s6
	;; [unrolled: 1-line block ×3, first 2 shown]
	v_sub_u32_e32 v9, v1, v9
	v_add_u32_e32 v1, v4, v8
	v_lshrrev_b32_e32 v1, s23, v1
	v_mul_lo_u32 v8, v1, s21
	v_mul_lo_u32 v10, v9, s8
	;; [unrolled: 1-line block ×3, first 2 shown]
	v_add3_u32 v0, v5, v0, v7
	v_sub_u32_e32 v4, v4, v8
	v_mul_lo_u32 v8, v4, s10
	v_mul_lo_u32 v4, v4, s11
	v_add3_u32 v2, v6, v2, v3
	v_add3_u32 v0, v10, v0, v8
	v_add3_u32 v2, v9, v2, v4
	s_cbranch_scc1 .LBB141_166
; %bb.167:
	s_and_b32 s6, s27, 3
	s_cmp_eq_u32 s6, 0
	s_cbranch_scc0 .LBB141_173
	s_branch .LBB141_175
.LBB141_168:
	s_endpgm
.LBB141_169:
                                        ; implicit-def: $vgpr0
                                        ; implicit-def: $vgpr2
	s_branch .LBB141_176
.LBB141_170:
                                        ; implicit-def: $sgpr2_sgpr3
	s_branch .LBB141_158
.LBB141_171:
	v_mov_b32_e32 v0, 0
	v_mov_b32_e32 v2, 0
	s_branch .LBB141_175
.LBB141_172:
	v_mov_b32_e32 v0, 0
	v_mov_b32_e32 v2, 0
	;; [unrolled: 1-line block ×3, first 2 shown]
	s_and_b32 s6, s27, 3
	s_cmp_eq_u32 s6, 0
	s_cbranch_scc1 .LBB141_175
.LBB141_173:
	s_lshl_b32 s2, s26, 3
	s_add_u32 s2, s34, s2
	s_addc_u32 s3, s35, 0
	s_add_u32 s2, s2, 0xc4
	s_addc_u32 s3, s3, 0
	s_mul_i32 s4, s26, 12
	s_add_u32 s4, s34, s4
	s_addc_u32 s5, s35, 0
.LBB141_174:                            ; =>This Inner Loop Header: Depth=1
	s_load_dwordx2 s[8:9], s[4:5], 0x4
	s_load_dword s7, s[4:5], 0xc
	s_load_dwordx2 s[10:11], s[2:3], 0x0
	s_add_u32 s4, s4, 12
	s_addc_u32 s5, s5, 0
	s_waitcnt lgkmcnt(0)
	v_mul_hi_u32 v3, s9, v1
	s_add_u32 s2, s2, 8
	s_addc_u32 s3, s3, 0
	s_add_i32 s6, s6, -1
	v_add_u32_e32 v3, v1, v3
	v_lshrrev_b32_e32 v4, s7, v3
	v_mul_lo_u32 v3, v4, s8
	s_cmp_lg_u32 s6, 0
	v_sub_u32_e32 v3, v1, v3
	v_mad_u64_u32 v[0:1], s[8:9], v3, s10, v[0:1]
	v_mad_u64_u32 v[2:3], s[8:9], v3, s11, v[2:3]
	v_mov_b32_e32 v1, v4
	s_cbranch_scc1 .LBB141_174
.LBB141_175:
	s_cbranch_execnz .LBB141_178
.LBB141_176:
	s_load_dwordx4 s[4:7], s[34:35], 0x4
	s_load_dwordx2 s[2:3], s[34:35], 0xc4
	s_cmp_lt_u32 s33, 2
	s_waitcnt lgkmcnt(0)
	v_mul_hi_u32 v0, s5, v19
	v_add_u32_e32 v0, v19, v0
	v_lshrrev_b32_e32 v1, s6, v0
	v_mul_lo_u32 v0, v1, s4
	v_sub_u32_e32 v2, v19, v0
	v_mul_lo_u32 v0, v2, s2
	v_mul_lo_u32 v2, v2, s3
	s_cbranch_scc1 .LBB141_178
; %bb.177:
	s_load_dwordx4 s[4:7], s[34:35], 0x10
	s_load_dwordx2 s[2:3], s[34:35], 0xcc
	s_waitcnt lgkmcnt(0)
	v_mul_hi_u32 v3, s5, v1
	v_add_u32_e32 v3, v1, v3
	v_lshrrev_b32_e32 v3, s6, v3
	v_mul_lo_u32 v3, v3, s4
	v_sub_u32_e32 v3, v1, v3
	v_mad_u64_u32 v[0:1], s[4:5], v3, s2, v[0:1]
	v_mad_u64_u32 v[2:3], s[2:3], v3, s3, v[2:3]
.LBB141_178:
	s_and_b64 vcc, exec, s[0:1]
	v_add_u32_e32 v1, 0x80, v19
	s_cbranch_vccnz .LBB141_184
; %bb.179:
	s_cmp_lg_u32 s33, 0
	s_mov_b32 s26, 0
	s_cbranch_scc0 .LBB141_185
; %bb.180:
	s_min_u32 s27, s58, 15
	s_add_i32 s27, s27, 1
	s_cmp_eq_u32 s58, 2
	s_cbranch_scc1 .LBB141_186
; %bb.181:
	s_and_b32 s26, s27, 28
	s_add_u32 s2, s34, 0xc4
	s_addc_u32 s3, s35, 0
	v_mov_b32_e32 v5, 0
	s_mov_b32 s28, 0
	s_mov_b64 s[24:25], s[34:35]
	v_mov_b32_e32 v3, 0
	v_mov_b32_e32 v4, v1
.LBB141_182:                            ; =>This Inner Loop Header: Depth=1
	s_load_dwordx8 s[12:19], s[24:25], 0x4
	s_load_dwordx4 s[20:23], s[24:25], 0x24
	s_load_dwordx8 s[4:11], s[2:3], 0x0
	s_add_u32 s24, s24, 48
	s_addc_u32 s25, s25, 0
	s_waitcnt lgkmcnt(0)
	v_mul_hi_u32 v6, s13, v4
	s_add_i32 s28, s28, 4
	s_add_u32 s2, s2, 32
	s_addc_u32 s3, s3, 0
	v_add_u32_e32 v6, v4, v6
	v_lshrrev_b32_e32 v6, s14, v6
	v_mul_lo_u32 v7, v6, s12
	v_mul_hi_u32 v8, s16, v6
	s_cmp_lg_u32 s26, s28
	v_sub_u32_e32 v4, v4, v7
	v_add_u32_e32 v7, v6, v8
	v_mul_lo_u32 v8, v4, s4
	v_mul_lo_u32 v9, v4, s5
	v_lshrrev_b32_e32 v4, s17, v7
	v_mul_lo_u32 v7, v4, s15
	v_mul_hi_u32 v10, s19, v4
	v_sub_u32_e32 v6, v6, v7
	v_add_u32_e32 v7, v4, v10
	v_lshrrev_b32_e32 v7, s20, v7
	v_mul_hi_u32 v11, s22, v7
	v_mul_lo_u32 v12, v7, s18
	v_mul_lo_u32 v10, v6, s6
	;; [unrolled: 1-line block ×3, first 2 shown]
	v_sub_u32_e32 v12, v4, v12
	v_add_u32_e32 v4, v7, v11
	v_lshrrev_b32_e32 v4, s23, v4
	v_mul_lo_u32 v11, v4, s21
	v_mul_lo_u32 v13, v12, s8
	;; [unrolled: 1-line block ×3, first 2 shown]
	v_add3_u32 v3, v8, v3, v10
	v_sub_u32_e32 v7, v7, v11
	v_mul_lo_u32 v11, v7, s10
	v_mul_lo_u32 v7, v7, s11
	v_add3_u32 v5, v9, v5, v6
	v_add3_u32 v3, v13, v3, v11
	;; [unrolled: 1-line block ×3, first 2 shown]
	s_cbranch_scc1 .LBB141_182
; %bb.183:
	s_and_b32 s6, s27, 3
	s_cmp_eq_u32 s6, 0
	s_cbranch_scc0 .LBB141_187
	s_branch .LBB141_189
.LBB141_184:
                                        ; implicit-def: $vgpr3
                                        ; implicit-def: $vgpr5
	s_branch .LBB141_190
.LBB141_185:
	v_mov_b32_e32 v3, 0
	v_mov_b32_e32 v5, 0
	s_branch .LBB141_189
.LBB141_186:
	v_mov_b32_e32 v3, 0
	v_mov_b32_e32 v5, 0
	;; [unrolled: 1-line block ×3, first 2 shown]
	s_and_b32 s6, s27, 3
	s_cmp_eq_u32 s6, 0
	s_cbranch_scc1 .LBB141_189
.LBB141_187:
	s_lshl_b32 s2, s26, 3
	s_add_u32 s2, s34, s2
	s_addc_u32 s3, s35, 0
	s_add_u32 s2, s2, 0xc4
	s_addc_u32 s3, s3, 0
	s_mul_i32 s4, s26, 12
	s_add_u32 s4, s34, s4
	s_addc_u32 s5, s35, 0
.LBB141_188:                            ; =>This Inner Loop Header: Depth=1
	s_load_dwordx2 s[8:9], s[4:5], 0x4
	s_load_dword s7, s[4:5], 0xc
	s_load_dwordx2 s[10:11], s[2:3], 0x0
	s_add_u32 s4, s4, 12
	s_addc_u32 s5, s5, 0
	s_waitcnt lgkmcnt(0)
	v_mul_hi_u32 v6, s9, v4
	s_add_u32 s2, s2, 8
	s_addc_u32 s3, s3, 0
	s_add_i32 s6, s6, -1
	v_add_u32_e32 v6, v4, v6
	v_lshrrev_b32_e32 v7, s7, v6
	v_mul_lo_u32 v6, v7, s8
	s_cmp_lg_u32 s6, 0
	v_sub_u32_e32 v6, v4, v6
	v_mad_u64_u32 v[3:4], s[8:9], v6, s10, v[3:4]
	v_mad_u64_u32 v[5:6], s[8:9], v6, s11, v[5:6]
	v_mov_b32_e32 v4, v7
	s_cbranch_scc1 .LBB141_188
.LBB141_189:
	s_cbranch_execnz .LBB141_192
.LBB141_190:
	s_load_dwordx4 s[4:7], s[34:35], 0x4
	s_load_dwordx2 s[2:3], s[34:35], 0xc4
	s_cmp_lt_u32 s33, 2
	s_waitcnt lgkmcnt(0)
	v_mul_hi_u32 v3, s5, v1
	v_add_u32_e32 v3, v1, v3
	v_lshrrev_b32_e32 v4, s6, v3
	v_mul_lo_u32 v3, v4, s4
	v_sub_u32_e32 v1, v1, v3
	v_mul_lo_u32 v3, v1, s2
	v_mul_lo_u32 v5, v1, s3
	s_cbranch_scc1 .LBB141_192
; %bb.191:
	s_load_dwordx4 s[4:7], s[34:35], 0x10
	s_load_dwordx2 s[2:3], s[34:35], 0xcc
	s_waitcnt lgkmcnt(0)
	v_mul_hi_u32 v1, s5, v4
	v_add_u32_e32 v1, v4, v1
	v_lshrrev_b32_e32 v1, s6, v1
	v_mul_lo_u32 v1, v1, s4
	v_sub_u32_e32 v1, v4, v1
	v_mad_u64_u32 v[3:4], s[4:5], v1, s2, v[3:4]
	v_mad_u64_u32 v[5:6], s[2:3], v1, s3, v[5:6]
.LBB141_192:
	s_and_b64 vcc, exec, s[0:1]
	v_add_u32_e32 v1, 0x100, v19
	s_cbranch_vccnz .LBB141_198
; %bb.193:
	s_cmp_lg_u32 s33, 0
	s_mov_b32 s26, 0
	s_cbranch_scc0 .LBB141_199
; %bb.194:
	s_min_u32 s27, s58, 15
	s_add_i32 s27, s27, 1
	s_cmp_eq_u32 s58, 2
	s_cbranch_scc1 .LBB141_200
; %bb.195:
	s_and_b32 s26, s27, 28
	s_add_u32 s2, s34, 0xc4
	s_addc_u32 s3, s35, 0
	v_mov_b32_e32 v8, 0
	s_mov_b32 s28, 0
	s_mov_b64 s[24:25], s[34:35]
	v_mov_b32_e32 v6, 0
	v_mov_b32_e32 v4, v1
.LBB141_196:                            ; =>This Inner Loop Header: Depth=1
	s_load_dwordx8 s[12:19], s[24:25], 0x4
	s_load_dwordx4 s[20:23], s[24:25], 0x24
	s_load_dwordx8 s[4:11], s[2:3], 0x0
	s_add_u32 s24, s24, 48
	s_addc_u32 s25, s25, 0
	s_waitcnt lgkmcnt(0)
	v_mul_hi_u32 v7, s13, v4
	s_add_i32 s28, s28, 4
	s_add_u32 s2, s2, 32
	s_addc_u32 s3, s3, 0
	v_add_u32_e32 v7, v4, v7
	v_lshrrev_b32_e32 v7, s14, v7
	v_mul_lo_u32 v9, v7, s12
	v_mul_hi_u32 v10, s16, v7
	s_cmp_lg_u32 s26, s28
	v_sub_u32_e32 v4, v4, v9
	v_add_u32_e32 v9, v7, v10
	v_mul_lo_u32 v10, v4, s4
	v_mul_lo_u32 v11, v4, s5
	v_lshrrev_b32_e32 v4, s17, v9
	v_mul_lo_u32 v9, v4, s15
	v_mul_hi_u32 v12, s19, v4
	v_sub_u32_e32 v7, v7, v9
	v_add_u32_e32 v9, v4, v12
	v_lshrrev_b32_e32 v9, s20, v9
	v_mul_hi_u32 v13, s22, v9
	v_mul_lo_u32 v14, v9, s18
	v_mul_lo_u32 v12, v7, s6
	;; [unrolled: 1-line block ×3, first 2 shown]
	v_sub_u32_e32 v14, v4, v14
	v_add_u32_e32 v4, v9, v13
	v_lshrrev_b32_e32 v4, s23, v4
	v_mul_lo_u32 v13, v4, s21
	v_mul_lo_u32 v15, v14, s8
	;; [unrolled: 1-line block ×3, first 2 shown]
	v_add3_u32 v6, v10, v6, v12
	v_sub_u32_e32 v9, v9, v13
	v_mul_lo_u32 v13, v9, s10
	v_mul_lo_u32 v9, v9, s11
	v_add3_u32 v7, v11, v8, v7
	v_add3_u32 v6, v15, v6, v13
	;; [unrolled: 1-line block ×3, first 2 shown]
	s_cbranch_scc1 .LBB141_196
; %bb.197:
	s_and_b32 s6, s27, 3
	s_cmp_eq_u32 s6, 0
	s_cbranch_scc0 .LBB141_201
	s_branch .LBB141_203
.LBB141_198:
                                        ; implicit-def: $vgpr6
                                        ; implicit-def: $vgpr8
	s_branch .LBB141_204
.LBB141_199:
	v_mov_b32_e32 v6, 0
	v_mov_b32_e32 v8, 0
	s_branch .LBB141_203
.LBB141_200:
	v_mov_b32_e32 v6, 0
	v_mov_b32_e32 v8, 0
	v_mov_b32_e32 v4, v1
	s_and_b32 s6, s27, 3
	s_cmp_eq_u32 s6, 0
	s_cbranch_scc1 .LBB141_203
.LBB141_201:
	s_lshl_b32 s2, s26, 3
	s_add_u32 s2, s34, s2
	s_addc_u32 s3, s35, 0
	s_add_u32 s2, s2, 0xc4
	s_addc_u32 s3, s3, 0
	s_mul_i32 s4, s26, 12
	s_add_u32 s4, s34, s4
	s_addc_u32 s5, s35, 0
.LBB141_202:                            ; =>This Inner Loop Header: Depth=1
	s_load_dwordx2 s[8:9], s[4:5], 0x4
	s_load_dword s7, s[4:5], 0xc
	s_load_dwordx2 s[10:11], s[2:3], 0x0
	s_add_u32 s4, s4, 12
	s_addc_u32 s5, s5, 0
	s_waitcnt lgkmcnt(0)
	v_mul_hi_u32 v7, s9, v4
	s_add_u32 s2, s2, 8
	s_addc_u32 s3, s3, 0
	s_add_i32 s6, s6, -1
	v_add_u32_e32 v7, v4, v7
	v_lshrrev_b32_e32 v10, s7, v7
	v_mul_lo_u32 v7, v10, s8
	s_cmp_lg_u32 s6, 0
	v_sub_u32_e32 v4, v4, v7
	v_mad_u64_u32 v[6:7], s[8:9], v4, s10, v[6:7]
	v_mad_u64_u32 v[8:9], s[8:9], v4, s11, v[8:9]
	v_mov_b32_e32 v4, v10
	s_cbranch_scc1 .LBB141_202
.LBB141_203:
	s_cbranch_execnz .LBB141_206
.LBB141_204:
	s_load_dwordx4 s[4:7], s[34:35], 0x4
	s_load_dwordx2 s[2:3], s[34:35], 0xc4
	s_cmp_lt_u32 s33, 2
	s_waitcnt lgkmcnt(0)
	v_mul_hi_u32 v4, s5, v1
	v_add_u32_e32 v4, v1, v4
	v_lshrrev_b32_e32 v4, s6, v4
	v_mul_lo_u32 v6, v4, s4
	v_sub_u32_e32 v1, v1, v6
	v_mul_lo_u32 v6, v1, s2
	v_mul_lo_u32 v8, v1, s3
	s_cbranch_scc1 .LBB141_206
; %bb.205:
	s_load_dwordx4 s[4:7], s[34:35], 0x10
	s_load_dwordx2 s[2:3], s[34:35], 0xcc
	s_waitcnt lgkmcnt(0)
	v_mul_hi_u32 v1, s5, v4
	v_add_u32_e32 v1, v4, v1
	v_lshrrev_b32_e32 v1, s6, v1
	v_mul_lo_u32 v1, v1, s4
	v_sub_u32_e32 v1, v4, v1
	v_mad_u64_u32 v[6:7], s[4:5], v1, s2, v[6:7]
	v_mad_u64_u32 v[8:9], s[2:3], v1, s3, v[8:9]
.LBB141_206:
	s_and_b64 vcc, exec, s[0:1]
	v_add_u32_e32 v1, 0x180, v19
	s_cbranch_vccnz .LBB141_212
; %bb.207:
	s_cmp_lg_u32 s33, 0
	s_mov_b32 s26, 0
	s_cbranch_scc0 .LBB141_213
; %bb.208:
	s_min_u32 s27, s58, 15
	s_add_i32 s27, s27, 1
	s_cmp_eq_u32 s58, 2
	s_cbranch_scc1 .LBB141_214
; %bb.209:
	s_and_b32 s26, s27, 28
	s_add_u32 s2, s34, 0xc4
	s_addc_u32 s3, s35, 0
	v_mov_b32_e32 v11, 0
	s_mov_b32 s28, 0
	s_mov_b64 s[24:25], s[34:35]
	v_mov_b32_e32 v9, 0
	v_mov_b32_e32 v4, v1
.LBB141_210:                            ; =>This Inner Loop Header: Depth=1
	s_load_dwordx8 s[12:19], s[24:25], 0x4
	s_load_dwordx4 s[20:23], s[24:25], 0x24
	s_load_dwordx8 s[4:11], s[2:3], 0x0
	s_add_u32 s24, s24, 48
	s_addc_u32 s25, s25, 0
	s_waitcnt lgkmcnt(0)
	v_mul_hi_u32 v7, s13, v4
	s_add_i32 s28, s28, 4
	s_add_u32 s2, s2, 32
	s_addc_u32 s3, s3, 0
	v_add_u32_e32 v7, v4, v7
	v_lshrrev_b32_e32 v7, s14, v7
	v_mul_lo_u32 v10, v7, s12
	v_mul_hi_u32 v12, s16, v7
	s_cmp_lg_u32 s26, s28
	v_sub_u32_e32 v4, v4, v10
	v_add_u32_e32 v10, v7, v12
	v_mul_lo_u32 v12, v4, s4
	v_mul_lo_u32 v13, v4, s5
	v_lshrrev_b32_e32 v4, s17, v10
	v_mul_lo_u32 v10, v4, s15
	v_mul_hi_u32 v14, s19, v4
	v_sub_u32_e32 v7, v7, v10
	v_add_u32_e32 v10, v4, v14
	v_lshrrev_b32_e32 v10, s20, v10
	v_mul_hi_u32 v15, s22, v10
	v_mul_lo_u32 v16, v10, s18
	v_mul_lo_u32 v14, v7, s6
	;; [unrolled: 1-line block ×3, first 2 shown]
	v_sub_u32_e32 v16, v4, v16
	v_add_u32_e32 v4, v10, v15
	v_lshrrev_b32_e32 v4, s23, v4
	v_mul_lo_u32 v15, v4, s21
	v_mul_lo_u32 v17, v16, s8
	;; [unrolled: 1-line block ×3, first 2 shown]
	v_add3_u32 v9, v12, v9, v14
	v_sub_u32_e32 v10, v10, v15
	v_mul_lo_u32 v15, v10, s10
	v_mul_lo_u32 v10, v10, s11
	v_add3_u32 v7, v13, v11, v7
	v_add3_u32 v9, v17, v9, v15
	;; [unrolled: 1-line block ×3, first 2 shown]
	s_cbranch_scc1 .LBB141_210
; %bb.211:
	s_and_b32 s6, s27, 3
	s_cmp_eq_u32 s6, 0
	s_cbranch_scc0 .LBB141_215
	s_branch .LBB141_217
.LBB141_212:
                                        ; implicit-def: $vgpr9
                                        ; implicit-def: $vgpr11
	s_branch .LBB141_218
.LBB141_213:
	v_mov_b32_e32 v9, 0
	v_mov_b32_e32 v11, 0
	s_branch .LBB141_217
.LBB141_214:
	v_mov_b32_e32 v9, 0
	v_mov_b32_e32 v11, 0
	;; [unrolled: 1-line block ×3, first 2 shown]
	s_and_b32 s6, s27, 3
	s_cmp_eq_u32 s6, 0
	s_cbranch_scc1 .LBB141_217
.LBB141_215:
	s_lshl_b32 s2, s26, 3
	s_add_u32 s2, s34, s2
	s_addc_u32 s3, s35, 0
	s_add_u32 s2, s2, 0xc4
	s_addc_u32 s3, s3, 0
	s_mul_i32 s4, s26, 12
	s_add_u32 s4, s34, s4
	s_addc_u32 s5, s35, 0
.LBB141_216:                            ; =>This Inner Loop Header: Depth=1
	s_load_dwordx2 s[8:9], s[4:5], 0x4
	s_load_dword s7, s[4:5], 0xc
	s_load_dwordx2 s[10:11], s[2:3], 0x0
	s_add_u32 s4, s4, 12
	s_addc_u32 s5, s5, 0
	s_waitcnt lgkmcnt(0)
	v_mul_hi_u32 v7, s9, v4
	s_add_u32 s2, s2, 8
	s_addc_u32 s3, s3, 0
	s_add_i32 s6, s6, -1
	v_add_u32_e32 v7, v4, v7
	v_lshrrev_b32_e32 v7, s7, v7
	v_mul_lo_u32 v10, v7, s8
	s_cmp_lg_u32 s6, 0
	v_sub_u32_e32 v4, v4, v10
	v_mad_u64_u32 v[9:10], s[8:9], v4, s10, v[9:10]
	v_mad_u64_u32 v[11:12], s[8:9], v4, s11, v[11:12]
	v_mov_b32_e32 v4, v7
	s_cbranch_scc1 .LBB141_216
.LBB141_217:
	s_cbranch_execnz .LBB141_220
.LBB141_218:
	s_load_dwordx4 s[4:7], s[34:35], 0x4
	s_load_dwordx2 s[2:3], s[34:35], 0xc4
	s_cmp_lt_u32 s33, 2
	s_waitcnt lgkmcnt(0)
	v_mul_hi_u32 v4, s5, v1
	v_add_u32_e32 v4, v1, v4
	v_lshrrev_b32_e32 v4, s6, v4
	v_mul_lo_u32 v7, v4, s4
	v_sub_u32_e32 v1, v1, v7
	v_mul_lo_u32 v9, v1, s2
	v_mul_lo_u32 v11, v1, s3
	s_cbranch_scc1 .LBB141_220
; %bb.219:
	s_load_dwordx4 s[4:7], s[34:35], 0x10
	s_load_dwordx2 s[2:3], s[34:35], 0xcc
	s_waitcnt lgkmcnt(0)
	v_mul_hi_u32 v1, s5, v4
	v_add_u32_e32 v1, v4, v1
	v_lshrrev_b32_e32 v1, s6, v1
	v_mul_lo_u32 v1, v1, s4
	v_sub_u32_e32 v1, v4, v1
	v_mad_u64_u32 v[9:10], s[4:5], v1, s2, v[9:10]
	v_mad_u64_u32 v[11:12], s[2:3], v1, s3, v[11:12]
.LBB141_220:
	s_and_b64 vcc, exec, s[0:1]
	v_add_u32_e32 v1, 0x200, v19
	s_cbranch_vccnz .LBB141_226
; %bb.221:
	s_cmp_lg_u32 s33, 0
	s_mov_b32 s26, 0
	s_cbranch_scc0 .LBB141_227
; %bb.222:
	s_min_u32 s27, s58, 15
	s_add_i32 s27, s27, 1
	s_cmp_eq_u32 s58, 2
	s_cbranch_scc1 .LBB141_228
; %bb.223:
	s_and_b32 s26, s27, 28
	s_add_u32 s2, s34, 0xc4
	s_addc_u32 s3, s35, 0
	v_mov_b32_e32 v14, 0
	s_mov_b32 s28, 0
	s_mov_b64 s[24:25], s[34:35]
	v_mov_b32_e32 v12, 0
	v_mov_b32_e32 v4, v1
.LBB141_224:                            ; =>This Inner Loop Header: Depth=1
	s_load_dwordx8 s[12:19], s[24:25], 0x4
	s_load_dwordx4 s[20:23], s[24:25], 0x24
	s_load_dwordx8 s[4:11], s[2:3], 0x0
	s_add_u32 s24, s24, 48
	s_addc_u32 s25, s25, 0
	s_waitcnt lgkmcnt(0)
	v_mul_hi_u32 v7, s13, v4
	s_add_i32 s28, s28, 4
	s_add_u32 s2, s2, 32
	s_addc_u32 s3, s3, 0
	v_add_u32_e32 v7, v4, v7
	v_lshrrev_b32_e32 v7, s14, v7
	v_mul_lo_u32 v10, v7, s12
	v_mul_hi_u32 v13, s16, v7
	s_cmp_lg_u32 s26, s28
	v_sub_u32_e32 v4, v4, v10
	v_add_u32_e32 v10, v7, v13
	v_mul_lo_u32 v13, v4, s4
	v_mul_lo_u32 v15, v4, s5
	v_lshrrev_b32_e32 v4, s17, v10
	v_mul_lo_u32 v10, v4, s15
	v_mul_hi_u32 v16, s19, v4
	v_sub_u32_e32 v7, v7, v10
	v_add_u32_e32 v10, v4, v16
	v_lshrrev_b32_e32 v10, s20, v10
	v_mul_hi_u32 v17, s22, v10
	v_mul_lo_u32 v18, v10, s18
	v_mul_lo_u32 v16, v7, s6
	;; [unrolled: 1-line block ×3, first 2 shown]
	v_sub_u32_e32 v18, v4, v18
	v_add_u32_e32 v4, v10, v17
	v_lshrrev_b32_e32 v4, s23, v4
	v_mul_lo_u32 v17, v4, s21
	v_mul_lo_u32 v20, v18, s8
	;; [unrolled: 1-line block ×3, first 2 shown]
	v_add3_u32 v12, v13, v12, v16
	v_sub_u32_e32 v10, v10, v17
	v_mul_lo_u32 v17, v10, s10
	v_mul_lo_u32 v10, v10, s11
	v_add3_u32 v7, v15, v14, v7
	v_add3_u32 v12, v20, v12, v17
	;; [unrolled: 1-line block ×3, first 2 shown]
	s_cbranch_scc1 .LBB141_224
; %bb.225:
	s_and_b32 s6, s27, 3
	s_cmp_eq_u32 s6, 0
	s_cbranch_scc0 .LBB141_229
	s_branch .LBB141_231
.LBB141_226:
                                        ; implicit-def: $vgpr12
                                        ; implicit-def: $vgpr14
	s_branch .LBB141_232
.LBB141_227:
	v_mov_b32_e32 v12, 0
	v_mov_b32_e32 v14, 0
	s_branch .LBB141_231
.LBB141_228:
	v_mov_b32_e32 v12, 0
	v_mov_b32_e32 v14, 0
	;; [unrolled: 1-line block ×3, first 2 shown]
	s_and_b32 s6, s27, 3
	s_cmp_eq_u32 s6, 0
	s_cbranch_scc1 .LBB141_231
.LBB141_229:
	s_lshl_b32 s2, s26, 3
	s_add_u32 s2, s34, s2
	s_addc_u32 s3, s35, 0
	s_add_u32 s2, s2, 0xc4
	s_addc_u32 s3, s3, 0
	s_mul_i32 s4, s26, 12
	s_add_u32 s4, s34, s4
	s_addc_u32 s5, s35, 0
.LBB141_230:                            ; =>This Inner Loop Header: Depth=1
	s_load_dwordx2 s[8:9], s[4:5], 0x4
	s_load_dword s7, s[4:5], 0xc
	s_load_dwordx2 s[10:11], s[2:3], 0x0
	s_add_u32 s4, s4, 12
	s_addc_u32 s5, s5, 0
	s_waitcnt lgkmcnt(0)
	v_mul_hi_u32 v7, s9, v4
	s_add_u32 s2, s2, 8
	s_addc_u32 s3, s3, 0
	s_add_i32 s6, s6, -1
	v_add_u32_e32 v7, v4, v7
	v_lshrrev_b32_e32 v7, s7, v7
	v_mul_lo_u32 v10, v7, s8
	s_cmp_lg_u32 s6, 0
	v_sub_u32_e32 v4, v4, v10
	v_mad_u64_u32 v[12:13], s[8:9], v4, s10, v[12:13]
	v_mad_u64_u32 v[14:15], s[8:9], v4, s11, v[14:15]
	v_mov_b32_e32 v4, v7
	s_cbranch_scc1 .LBB141_230
.LBB141_231:
	s_cbranch_execnz .LBB141_234
.LBB141_232:
	s_load_dwordx4 s[4:7], s[34:35], 0x4
	s_load_dwordx2 s[2:3], s[34:35], 0xc4
	s_cmp_lt_u32 s33, 2
	s_waitcnt lgkmcnt(0)
	v_mul_hi_u32 v4, s5, v1
	v_add_u32_e32 v4, v1, v4
	v_lshrrev_b32_e32 v4, s6, v4
	v_mul_lo_u32 v7, v4, s4
	v_sub_u32_e32 v1, v1, v7
	v_mul_lo_u32 v12, v1, s2
	v_mul_lo_u32 v14, v1, s3
	s_cbranch_scc1 .LBB141_234
; %bb.233:
	s_load_dwordx4 s[4:7], s[34:35], 0x10
	s_load_dwordx2 s[2:3], s[34:35], 0xcc
	s_waitcnt lgkmcnt(0)
	v_mul_hi_u32 v1, s5, v4
	v_add_u32_e32 v1, v4, v1
	v_lshrrev_b32_e32 v1, s6, v1
	v_mul_lo_u32 v1, v1, s4
	v_sub_u32_e32 v1, v4, v1
	v_mad_u64_u32 v[12:13], s[4:5], v1, s2, v[12:13]
	v_mad_u64_u32 v[14:15], s[2:3], v1, s3, v[14:15]
.LBB141_234:
	s_and_b64 vcc, exec, s[0:1]
	v_add_u32_e32 v1, 0x280, v19
	s_cbranch_vccnz .LBB141_240
; %bb.235:
	s_cmp_lg_u32 s33, 0
	s_mov_b32 s26, 0
	s_cbranch_scc0 .LBB141_241
; %bb.236:
	s_min_u32 s27, s58, 15
	s_add_i32 s27, s27, 1
	s_cmp_eq_u32 s58, 2
	s_cbranch_scc1 .LBB141_242
; %bb.237:
	s_and_b32 s26, s27, 28
	s_add_u32 s2, s34, 0xc4
	s_addc_u32 s3, s35, 0
	v_mov_b32_e32 v17, 0
	s_mov_b32 s28, 0
	s_mov_b64 s[24:25], s[34:35]
	v_mov_b32_e32 v15, 0
	v_mov_b32_e32 v4, v1
.LBB141_238:                            ; =>This Inner Loop Header: Depth=1
	s_load_dwordx8 s[12:19], s[24:25], 0x4
	s_load_dwordx4 s[20:23], s[24:25], 0x24
	s_load_dwordx8 s[4:11], s[2:3], 0x0
	s_add_u32 s24, s24, 48
	s_addc_u32 s25, s25, 0
	s_waitcnt lgkmcnt(0)
	v_mul_hi_u32 v7, s13, v4
	s_add_i32 s28, s28, 4
	s_add_u32 s2, s2, 32
	s_addc_u32 s3, s3, 0
	v_add_u32_e32 v7, v4, v7
	v_lshrrev_b32_e32 v7, s14, v7
	v_mul_lo_u32 v10, v7, s12
	v_mul_hi_u32 v13, s16, v7
	s_cmp_lg_u32 s26, s28
	v_sub_u32_e32 v4, v4, v10
	v_add_u32_e32 v10, v7, v13
	v_mul_lo_u32 v13, v4, s4
	v_mul_lo_u32 v16, v4, s5
	v_lshrrev_b32_e32 v4, s17, v10
	v_mul_lo_u32 v10, v4, s15
	v_mul_hi_u32 v18, s19, v4
	v_sub_u32_e32 v7, v7, v10
	v_add_u32_e32 v10, v4, v18
	v_lshrrev_b32_e32 v10, s20, v10
	v_mul_hi_u32 v20, s22, v10
	v_mul_lo_u32 v21, v10, s18
	v_mul_lo_u32 v18, v7, s6
	;; [unrolled: 1-line block ×3, first 2 shown]
	v_sub_u32_e32 v21, v4, v21
	v_add_u32_e32 v4, v10, v20
	v_lshrrev_b32_e32 v4, s23, v4
	v_mul_lo_u32 v20, v4, s21
	v_mul_lo_u32 v22, v21, s8
	;; [unrolled: 1-line block ×3, first 2 shown]
	v_add3_u32 v13, v13, v15, v18
	v_sub_u32_e32 v10, v10, v20
	v_mul_lo_u32 v20, v10, s10
	v_mul_lo_u32 v10, v10, s11
	v_add3_u32 v7, v16, v17, v7
	v_add3_u32 v15, v22, v13, v20
	;; [unrolled: 1-line block ×3, first 2 shown]
	s_cbranch_scc1 .LBB141_238
; %bb.239:
	s_and_b32 s6, s27, 3
	s_cmp_eq_u32 s6, 0
	s_cbranch_scc0 .LBB141_243
	s_branch .LBB141_245
.LBB141_240:
                                        ; implicit-def: $vgpr15
                                        ; implicit-def: $vgpr17
	s_branch .LBB141_246
.LBB141_241:
	v_mov_b32_e32 v15, 0
	v_mov_b32_e32 v17, 0
	s_branch .LBB141_245
.LBB141_242:
	v_mov_b32_e32 v15, 0
	v_mov_b32_e32 v17, 0
	;; [unrolled: 1-line block ×3, first 2 shown]
	s_and_b32 s6, s27, 3
	s_cmp_eq_u32 s6, 0
	s_cbranch_scc1 .LBB141_245
.LBB141_243:
	s_lshl_b32 s2, s26, 3
	s_add_u32 s2, s34, s2
	s_addc_u32 s3, s35, 0
	s_add_u32 s2, s2, 0xc4
	s_addc_u32 s3, s3, 0
	s_mul_i32 s4, s26, 12
	s_add_u32 s4, s34, s4
	s_addc_u32 s5, s35, 0
.LBB141_244:                            ; =>This Inner Loop Header: Depth=1
	s_load_dwordx2 s[8:9], s[4:5], 0x4
	s_load_dword s7, s[4:5], 0xc
	s_load_dwordx2 s[10:11], s[2:3], 0x0
	s_add_u32 s4, s4, 12
	s_addc_u32 s5, s5, 0
	s_waitcnt lgkmcnt(0)
	v_mul_hi_u32 v7, s9, v4
	s_add_u32 s2, s2, 8
	s_addc_u32 s3, s3, 0
	s_add_i32 s6, s6, -1
	v_add_u32_e32 v7, v4, v7
	v_lshrrev_b32_e32 v7, s7, v7
	v_mul_lo_u32 v10, v7, s8
	s_cmp_lg_u32 s6, 0
	v_sub_u32_e32 v4, v4, v10
	v_mad_u64_u32 v[15:16], s[8:9], v4, s10, v[15:16]
	v_mad_u64_u32 v[17:18], s[8:9], v4, s11, v[17:18]
	v_mov_b32_e32 v4, v7
	s_cbranch_scc1 .LBB141_244
.LBB141_245:
	s_cbranch_execnz .LBB141_248
.LBB141_246:
	s_load_dwordx4 s[4:7], s[34:35], 0x4
	s_load_dwordx2 s[2:3], s[34:35], 0xc4
	s_cmp_lt_u32 s33, 2
	s_waitcnt lgkmcnt(0)
	v_mul_hi_u32 v4, s5, v1
	v_add_u32_e32 v4, v1, v4
	v_lshrrev_b32_e32 v4, s6, v4
	v_mul_lo_u32 v7, v4, s4
	v_sub_u32_e32 v1, v1, v7
	v_mul_lo_u32 v15, v1, s2
	v_mul_lo_u32 v17, v1, s3
	s_cbranch_scc1 .LBB141_248
; %bb.247:
	s_load_dwordx4 s[4:7], s[34:35], 0x10
	s_load_dwordx2 s[2:3], s[34:35], 0xcc
	s_waitcnt lgkmcnt(0)
	v_mul_hi_u32 v1, s5, v4
	v_add_u32_e32 v1, v4, v1
	v_lshrrev_b32_e32 v1, s6, v1
	v_mul_lo_u32 v1, v1, s4
	v_sub_u32_e32 v1, v4, v1
	v_mad_u64_u32 v[15:16], s[4:5], v1, s2, v[15:16]
	v_mad_u64_u32 v[17:18], s[2:3], v1, s3, v[17:18]
.LBB141_248:
	s_and_b64 vcc, exec, s[0:1]
	v_add_u32_e32 v1, 0x300, v19
	s_cbranch_vccnz .LBB141_254
; %bb.249:
	s_cmp_lg_u32 s33, 0
	s_mov_b32 s26, 0
	s_cbranch_scc0 .LBB141_255
; %bb.250:
	s_min_u32 s27, s58, 15
	s_add_i32 s27, s27, 1
	s_cmp_eq_u32 s58, 2
	s_cbranch_scc1 .LBB141_256
; %bb.251:
	s_and_b32 s26, s27, 28
	s_add_u32 s2, s34, 0xc4
	s_addc_u32 s3, s35, 0
	v_mov_b32_e32 v20, 0
	s_mov_b32 s28, 0
	s_mov_b64 s[24:25], s[34:35]
	v_mov_b32_e32 v18, 0
	v_mov_b32_e32 v4, v1
.LBB141_252:                            ; =>This Inner Loop Header: Depth=1
	s_load_dwordx8 s[12:19], s[24:25], 0x4
	s_load_dwordx4 s[20:23], s[24:25], 0x24
	s_load_dwordx8 s[4:11], s[2:3], 0x0
	s_add_u32 s24, s24, 48
	s_addc_u32 s25, s25, 0
	s_waitcnt lgkmcnt(0)
	v_mul_hi_u32 v7, s13, v4
	s_add_i32 s28, s28, 4
	s_add_u32 s2, s2, 32
	s_addc_u32 s3, s3, 0
	v_add_u32_e32 v7, v4, v7
	v_lshrrev_b32_e32 v7, s14, v7
	v_mul_lo_u32 v10, v7, s12
	v_mul_hi_u32 v13, s16, v7
	s_cmp_lg_u32 s26, s28
	v_sub_u32_e32 v4, v4, v10
	v_add_u32_e32 v10, v7, v13
	v_mul_lo_u32 v13, v4, s4
	v_mul_lo_u32 v16, v4, s5
	v_lshrrev_b32_e32 v4, s17, v10
	v_mul_lo_u32 v10, v4, s15
	v_mul_hi_u32 v19, s19, v4
	v_sub_u32_e32 v7, v7, v10
	v_add_u32_e32 v10, v4, v19
	v_lshrrev_b32_e32 v10, s20, v10
	v_mul_hi_u32 v21, s22, v10
	v_mul_lo_u32 v22, v10, s18
	v_mul_lo_u32 v19, v7, s6
	;; [unrolled: 1-line block ×3, first 2 shown]
	v_sub_u32_e32 v22, v4, v22
	v_add_u32_e32 v4, v10, v21
	v_lshrrev_b32_e32 v4, s23, v4
	v_mul_lo_u32 v21, v4, s21
	v_mul_lo_u32 v23, v22, s8
	;; [unrolled: 1-line block ×3, first 2 shown]
	v_add3_u32 v13, v13, v18, v19
	v_sub_u32_e32 v10, v10, v21
	v_mul_lo_u32 v21, v10, s10
	v_mul_lo_u32 v10, v10, s11
	v_add3_u32 v7, v16, v20, v7
	v_add3_u32 v18, v23, v13, v21
	v_add3_u32 v20, v22, v7, v10
	s_cbranch_scc1 .LBB141_252
; %bb.253:
	s_and_b32 s6, s27, 3
	s_cmp_eq_u32 s6, 0
	s_cbranch_scc0 .LBB141_257
	s_branch .LBB141_259
.LBB141_254:
                                        ; implicit-def: $vgpr18
                                        ; implicit-def: $vgpr20
	s_branch .LBB141_260
.LBB141_255:
	v_mov_b32_e32 v18, 0
	v_mov_b32_e32 v20, 0
	s_branch .LBB141_259
.LBB141_256:
	v_mov_b32_e32 v18, 0
	v_mov_b32_e32 v20, 0
	;; [unrolled: 1-line block ×3, first 2 shown]
	s_and_b32 s6, s27, 3
	s_cmp_eq_u32 s6, 0
	s_cbranch_scc1 .LBB141_259
.LBB141_257:
	s_lshl_b32 s2, s26, 3
	s_add_u32 s2, s34, s2
	s_addc_u32 s3, s35, 0
	s_add_u32 s2, s2, 0xc4
	s_addc_u32 s3, s3, 0
	s_mul_i32 s4, s26, 12
	s_add_u32 s4, s34, s4
	s_addc_u32 s5, s35, 0
.LBB141_258:                            ; =>This Inner Loop Header: Depth=1
	s_load_dwordx2 s[8:9], s[4:5], 0x4
	s_load_dword s7, s[4:5], 0xc
	s_load_dwordx2 s[10:11], s[2:3], 0x0
	s_add_u32 s4, s4, 12
	s_addc_u32 s5, s5, 0
	s_waitcnt lgkmcnt(0)
	v_mul_hi_u32 v7, s9, v4
	s_add_u32 s2, s2, 8
	s_addc_u32 s3, s3, 0
	s_add_i32 s6, s6, -1
	v_add_u32_e32 v7, v4, v7
	v_lshrrev_b32_e32 v7, s7, v7
	v_mul_lo_u32 v10, v7, s8
	s_cmp_lg_u32 s6, 0
	v_sub_u32_e32 v4, v4, v10
	v_mad_u64_u32 v[18:19], s[8:9], v4, s10, v[18:19]
	v_mad_u64_u32 v[20:21], s[8:9], v4, s11, v[20:21]
	v_mov_b32_e32 v4, v7
	s_cbranch_scc1 .LBB141_258
.LBB141_259:
	s_cbranch_execnz .LBB141_262
.LBB141_260:
	s_load_dwordx4 s[4:7], s[34:35], 0x4
	s_load_dwordx2 s[2:3], s[34:35], 0xc4
	s_cmp_lt_u32 s33, 2
	s_waitcnt lgkmcnt(0)
	v_mul_hi_u32 v4, s5, v1
	v_add_u32_e32 v4, v1, v4
	v_lshrrev_b32_e32 v4, s6, v4
	v_mul_lo_u32 v7, v4, s4
	v_sub_u32_e32 v1, v1, v7
	v_mul_lo_u32 v18, v1, s2
	v_mul_lo_u32 v20, v1, s3
	s_cbranch_scc1 .LBB141_262
; %bb.261:
	s_load_dwordx4 s[4:7], s[34:35], 0x10
	s_load_dwordx2 s[2:3], s[34:35], 0xcc
	s_waitcnt lgkmcnt(0)
	v_mul_hi_u32 v1, s5, v4
	v_add_u32_e32 v1, v4, v1
	v_lshrrev_b32_e32 v1, s6, v1
	v_mul_lo_u32 v1, v1, s4
	v_sub_u32_e32 v1, v4, v1
	v_mad_u64_u32 v[18:19], s[4:5], v1, s2, v[18:19]
	v_mad_u64_u32 v[20:21], s[2:3], v1, s3, v[20:21]
.LBB141_262:
	s_and_b64 vcc, exec, s[0:1]
	s_cbranch_vccnz .LBB141_268
; %bb.263:
	s_cmp_lg_u32 s33, 0
	s_mov_b32 s24, 0
	s_cbranch_scc0 .LBB141_269
; %bb.264:
	s_min_u32 s25, s58, 15
	s_add_i32 s25, s25, 1
	s_cmp_eq_u32 s58, 2
	s_cbranch_scc1 .LBB141_270
; %bb.265:
	s_and_b32 s24, s25, 28
	s_add_u32 s20, s34, 0xc4
	s_addc_u32 s21, s35, 0
	v_mov_b32_e32 v23, 0
	s_mov_b32 s26, 0
	s_mov_b64 s[22:23], s[34:35]
	v_mov_b32_e32 v21, 0
	v_mov_b32_e32 v1, v25
.LBB141_266:                            ; =>This Inner Loop Header: Depth=1
	s_load_dwordx8 s[8:15], s[22:23], 0x4
	s_load_dwordx4 s[16:19], s[22:23], 0x24
	s_load_dwordx8 s[0:7], s[20:21], 0x0
	s_add_u32 s22, s22, 48
	s_addc_u32 s23, s23, 0
	s_waitcnt lgkmcnt(0)
	v_mul_hi_u32 v4, s9, v1
	s_add_i32 s26, s26, 4
	s_add_u32 s20, s20, 32
	s_addc_u32 s21, s21, 0
	v_add_u32_e32 v4, v1, v4
	v_lshrrev_b32_e32 v4, s10, v4
	v_mul_lo_u32 v7, v4, s8
	v_mul_hi_u32 v10, s12, v4
	s_cmp_lg_u32 s24, s26
	v_sub_u32_e32 v1, v1, v7
	v_add_u32_e32 v7, v4, v10
	v_mul_lo_u32 v10, v1, s0
	v_mul_lo_u32 v13, v1, s1
	v_lshrrev_b32_e32 v1, s13, v7
	v_mul_lo_u32 v7, v1, s11
	v_mul_hi_u32 v16, s15, v1
	v_sub_u32_e32 v4, v4, v7
	v_add_u32_e32 v7, v1, v16
	v_lshrrev_b32_e32 v7, s16, v7
	v_mul_hi_u32 v19, s18, v7
	v_mul_lo_u32 v22, v7, s14
	v_mul_lo_u32 v16, v4, s2
	;; [unrolled: 1-line block ×3, first 2 shown]
	v_sub_u32_e32 v22, v1, v22
	v_add_u32_e32 v1, v7, v19
	v_lshrrev_b32_e32 v1, s19, v1
	v_mul_lo_u32 v19, v1, s17
	v_mul_lo_u32 v24, v22, s4
	v_mul_lo_u32 v22, v22, s5
	v_add3_u32 v10, v10, v21, v16
	v_sub_u32_e32 v7, v7, v19
	v_mul_lo_u32 v19, v7, s6
	v_mul_lo_u32 v7, v7, s7
	v_add3_u32 v4, v13, v23, v4
	v_add3_u32 v21, v24, v10, v19
	;; [unrolled: 1-line block ×3, first 2 shown]
	s_cbranch_scc1 .LBB141_266
; %bb.267:
	s_and_b32 s4, s25, 3
	s_cmp_eq_u32 s4, 0
	s_cbranch_scc0 .LBB141_271
	s_branch .LBB141_273
.LBB141_268:
                                        ; implicit-def: $vgpr21
                                        ; implicit-def: $vgpr23
	s_branch .LBB141_274
.LBB141_269:
	v_mov_b32_e32 v21, 0
	v_mov_b32_e32 v23, 0
	s_branch .LBB141_273
.LBB141_270:
	v_mov_b32_e32 v21, 0
	v_mov_b32_e32 v23, 0
	;; [unrolled: 1-line block ×3, first 2 shown]
	s_and_b32 s4, s25, 3
	s_cmp_eq_u32 s4, 0
	s_cbranch_scc1 .LBB141_273
.LBB141_271:
	s_lshl_b32 s0, s24, 3
	s_add_u32 s0, s34, s0
	s_addc_u32 s1, s35, 0
	s_add_u32 s0, s0, 0xc4
	s_addc_u32 s1, s1, 0
	s_mul_i32 s2, s24, 12
	s_add_u32 s2, s34, s2
	s_addc_u32 s3, s35, 0
.LBB141_272:                            ; =>This Inner Loop Header: Depth=1
	s_load_dwordx2 s[6:7], s[2:3], 0x4
	s_load_dword s5, s[2:3], 0xc
	s_load_dwordx2 s[8:9], s[0:1], 0x0
	s_add_u32 s2, s2, 12
	s_addc_u32 s3, s3, 0
	s_waitcnt lgkmcnt(0)
	v_mul_hi_u32 v4, s7, v1
	s_add_u32 s0, s0, 8
	s_addc_u32 s1, s1, 0
	s_add_i32 s4, s4, -1
	v_add_u32_e32 v4, v1, v4
	v_lshrrev_b32_e32 v4, s5, v4
	v_mul_lo_u32 v7, v4, s6
	s_cmp_lg_u32 s4, 0
	v_sub_u32_e32 v1, v1, v7
	v_mad_u64_u32 v[21:22], s[6:7], v1, s8, v[21:22]
	v_mad_u64_u32 v[23:24], s[6:7], v1, s9, v[23:24]
	v_mov_b32_e32 v1, v4
	s_cbranch_scc1 .LBB141_272
.LBB141_273:
	s_cbranch_execnz .LBB141_276
.LBB141_274:
	s_load_dwordx4 s[0:3], s[34:35], 0x4
	s_load_dwordx2 s[4:5], s[34:35], 0xc4
	s_cmp_lt_u32 s33, 2
	s_waitcnt lgkmcnt(0)
	v_mul_hi_u32 v1, s1, v25
	v_add_u32_e32 v1, v25, v1
	v_lshrrev_b32_e32 v1, s2, v1
	v_mul_lo_u32 v4, v1, s0
	v_sub_u32_e32 v4, v25, v4
	v_mul_lo_u32 v21, v4, s4
	v_mul_lo_u32 v23, v4, s5
	s_cbranch_scc1 .LBB141_276
; %bb.275:
	s_load_dwordx4 s[0:3], s[34:35], 0x10
	s_load_dwordx2 s[4:5], s[34:35], 0xcc
	s_waitcnt lgkmcnt(0)
	v_mul_hi_u32 v4, s1, v1
	v_add_u32_e32 v4, v1, v4
	v_lshrrev_b32_e32 v4, s2, v4
	v_mul_lo_u32 v4, v4, s0
	v_sub_u32_e32 v1, v1, v4
	v_mad_u64_u32 v[21:22], s[0:1], v1, s4, v[21:22]
	v_mad_u64_u32 v[23:24], s[0:1], v1, s5, v[23:24]
.LBB141_276:
	s_load_dwordx4 s[4:7], s[34:35], 0x148
	s_load_dword s0, s[34:35], 0x158
	s_load_dwordx2 s[8:9], s[34:35], 0x160
	s_waitcnt lgkmcnt(0)
	global_load_dwordx2 v[1:2], v2, s[6:7]
	s_cmp_lg_u32 s0, 0
	s_cselect_b64 s[10:11], -1, 0
	s_and_b64 vcc, exec, s[10:11]
	s_cbranch_vccz .LBB141_301
; %bb.277:
	s_waitcnt vmcnt(0)
	v_cmp_neq_f32_e32 vcc, s8, v1
	v_cmp_neq_f32_e64 s[0:1], s9, v2
	s_or_b64 s[2:3], vcc, s[0:1]
	s_cbranch_execnz .LBB141_279
.LBB141_278:
	s_waitcnt vmcnt(0)
	v_cmp_eq_f32_e32 vcc, s8, v1
	v_cmp_eq_f32_e64 s[0:1], s9, v2
	s_and_b64 s[0:1], vcc, s[0:1]
	s_andn2_b64 s[2:3], s[2:3], exec
	s_and_b64 s[0:1], s[0:1], exec
	s_or_b64 s[2:3], s[2:3], s[0:1]
.LBB141_279:
	global_load_dwordx2 v[1:2], v5, s[6:7]
	s_and_b64 vcc, exec, s[10:11]
	s_cbranch_vccz .LBB141_302
; %bb.280:
	s_waitcnt vmcnt(0)
	v_cmp_neq_f32_e32 vcc, s8, v1
	v_cmp_neq_f32_e64 s[0:1], s9, v2
	s_or_b64 s[12:13], vcc, s[0:1]
	s_cbranch_execnz .LBB141_282
.LBB141_281:
	s_waitcnt vmcnt(0)
	v_cmp_eq_f32_e32 vcc, s8, v1
	v_cmp_eq_f32_e64 s[0:1], s9, v2
	s_and_b64 s[0:1], vcc, s[0:1]
	s_andn2_b64 s[12:13], s[12:13], exec
	s_and_b64 s[0:1], s[0:1], exec
	s_or_b64 s[12:13], s[12:13], s[0:1]
.LBB141_282:
	global_load_dwordx2 v[1:2], v8, s[6:7]
	s_and_b64 vcc, exec, s[10:11]
	s_cbranch_vccz .LBB141_303
; %bb.283:
	s_waitcnt vmcnt(0)
	v_cmp_neq_f32_e32 vcc, s8, v1
	v_cmp_neq_f32_e64 s[0:1], s9, v2
	s_or_b64 s[14:15], vcc, s[0:1]
	s_cbranch_execnz .LBB141_285
.LBB141_284:
	s_waitcnt vmcnt(0)
	v_cmp_eq_f32_e32 vcc, s8, v1
	v_cmp_eq_f32_e64 s[0:1], s9, v2
	s_and_b64 s[0:1], vcc, s[0:1]
	s_andn2_b64 s[14:15], s[14:15], exec
	s_and_b64 s[0:1], s[0:1], exec
	s_or_b64 s[14:15], s[14:15], s[0:1]
.LBB141_285:
	global_load_dwordx2 v[1:2], v11, s[6:7]
	s_and_b64 vcc, exec, s[10:11]
	s_cbranch_vccz .LBB141_304
; %bb.286:
	s_waitcnt vmcnt(0)
	v_cmp_neq_f32_e32 vcc, s8, v1
	v_cmp_neq_f32_e64 s[0:1], s9, v2
	s_or_b64 s[16:17], vcc, s[0:1]
	s_cbranch_execnz .LBB141_288
.LBB141_287:
	s_waitcnt vmcnt(0)
	v_cmp_eq_f32_e32 vcc, s8, v1
	v_cmp_eq_f32_e64 s[0:1], s9, v2
	s_and_b64 s[0:1], vcc, s[0:1]
	s_andn2_b64 s[16:17], s[16:17], exec
	s_and_b64 s[0:1], s[0:1], exec
	s_or_b64 s[16:17], s[16:17], s[0:1]
.LBB141_288:
	global_load_dwordx2 v[1:2], v14, s[6:7]
	s_and_b64 vcc, exec, s[10:11]
	s_cbranch_vccz .LBB141_305
; %bb.289:
	s_waitcnt vmcnt(0)
	v_cmp_neq_f32_e32 vcc, s8, v1
	v_cmp_neq_f32_e64 s[0:1], s9, v2
	s_or_b64 s[18:19], vcc, s[0:1]
	s_cbranch_execnz .LBB141_291
.LBB141_290:
	s_waitcnt vmcnt(0)
	v_cmp_eq_f32_e32 vcc, s8, v1
	v_cmp_eq_f32_e64 s[0:1], s9, v2
	s_and_b64 s[0:1], vcc, s[0:1]
	s_andn2_b64 s[18:19], s[18:19], exec
	s_and_b64 s[0:1], s[0:1], exec
	s_or_b64 s[18:19], s[18:19], s[0:1]
.LBB141_291:
	global_load_dwordx2 v[1:2], v17, s[6:7]
	s_and_b64 vcc, exec, s[10:11]
	s_cbranch_vccz .LBB141_306
; %bb.292:
	s_waitcnt vmcnt(0)
	v_cmp_neq_f32_e32 vcc, s8, v1
	v_cmp_neq_f32_e64 s[0:1], s9, v2
	s_or_b64 s[20:21], vcc, s[0:1]
	s_cbranch_execnz .LBB141_294
.LBB141_293:
	s_waitcnt vmcnt(0)
	v_cmp_eq_f32_e32 vcc, s8, v1
	v_cmp_eq_f32_e64 s[0:1], s9, v2
	s_and_b64 s[0:1], vcc, s[0:1]
	s_andn2_b64 s[20:21], s[20:21], exec
	s_and_b64 s[0:1], s[0:1], exec
	s_or_b64 s[20:21], s[20:21], s[0:1]
.LBB141_294:
	global_load_dwordx2 v[1:2], v20, s[6:7]
	s_and_b64 vcc, exec, s[10:11]
	s_cbranch_vccz .LBB141_307
; %bb.295:
	s_waitcnt vmcnt(0)
	v_cmp_neq_f32_e32 vcc, s8, v1
	v_cmp_neq_f32_e64 s[0:1], s9, v2
	s_or_b64 s[22:23], vcc, s[0:1]
	s_cbranch_execnz .LBB141_297
.LBB141_296:
	s_waitcnt vmcnt(0)
	v_cmp_eq_f32_e32 vcc, s8, v1
	v_cmp_eq_f32_e64 s[0:1], s9, v2
	s_and_b64 s[0:1], vcc, s[0:1]
	s_andn2_b64 s[22:23], s[22:23], exec
	s_and_b64 s[0:1], s[0:1], exec
	s_or_b64 s[22:23], s[22:23], s[0:1]
.LBB141_297:
	global_load_dwordx2 v[1:2], v23, s[6:7]
	s_and_b64 vcc, exec, s[10:11]
	s_cbranch_vccz .LBB141_308
; %bb.298:
	s_waitcnt vmcnt(0)
	v_cmp_neq_f32_e32 vcc, s8, v1
	v_cmp_neq_f32_e64 s[0:1], s9, v2
	s_or_b64 s[6:7], vcc, s[0:1]
	s_cbranch_execnz .LBB141_300
.LBB141_299:
	s_waitcnt vmcnt(0)
	v_cmp_eq_f32_e32 vcc, s8, v1
	v_cmp_eq_f32_e64 s[0:1], s9, v2
	s_and_b64 s[0:1], vcc, s[0:1]
	s_andn2_b64 s[6:7], s[6:7], exec
	s_and_b64 s[0:1], s[0:1], exec
	s_or_b64 s[6:7], s[6:7], s[0:1]
.LBB141_300:
	v_cndmask_b32_e64 v10, 0, 1, s[2:3]
	s_waitcnt vmcnt(0)
	v_cndmask_b32_e64 v1, 0, 1, s[22:23]
	v_cndmask_b32_e64 v2, 0, 1, s[20:21]
	v_cndmask_b32_e64 v4, 0, 1, s[18:19]
	v_cndmask_b32_e64 v5, 0, 1, s[16:17]
	v_cndmask_b32_e64 v7, 0, 1, s[14:15]
	v_cndmask_b32_e64 v8, 0, 1, s[12:13]
	v_cndmask_b32_e64 v11, 0, 1, s[6:7]
	global_store_byte v0, v10, s[4:5]
	global_store_byte v3, v8, s[4:5]
	;; [unrolled: 1-line block ×8, first 2 shown]
	s_endpgm
.LBB141_301:
                                        ; implicit-def: $sgpr2_sgpr3
	s_branch .LBB141_278
.LBB141_302:
                                        ; implicit-def: $sgpr12_sgpr13
	s_branch .LBB141_281
.LBB141_303:
                                        ; implicit-def: $sgpr14_sgpr15
	s_branch .LBB141_284
.LBB141_304:
                                        ; implicit-def: $sgpr16_sgpr17
	s_branch .LBB141_287
.LBB141_305:
                                        ; implicit-def: $sgpr18_sgpr19
	s_branch .LBB141_290
.LBB141_306:
                                        ; implicit-def: $sgpr20_sgpr21
	s_branch .LBB141_293
.LBB141_307:
                                        ; implicit-def: $sgpr22_sgpr23
	s_branch .LBB141_296
.LBB141_308:
                                        ; implicit-def: $sgpr6_sgpr7
	s_branch .LBB141_299
	.section	.rodata,"a",@progbits
	.p2align	6, 0x0
	.amdhsa_kernel _ZN2at6native32elementwise_kernel_manual_unrollILi128ELi8EZNS0_22gpu_kernel_impl_nocastINS0_13AUnaryFunctorIN3c107complexIfEES6_bNS0_12_GLOBAL__N_116CompareEqFunctorIS6_EEEEEEvRNS_18TensorIteratorBaseERKT_EUlibE_EEviT1_
		.amdhsa_group_segment_fixed_size 0
		.amdhsa_private_segment_fixed_size 0
		.amdhsa_kernarg_size 368
		.amdhsa_user_sgpr_count 6
		.amdhsa_user_sgpr_private_segment_buffer 1
		.amdhsa_user_sgpr_dispatch_ptr 0
		.amdhsa_user_sgpr_queue_ptr 0
		.amdhsa_user_sgpr_kernarg_segment_ptr 1
		.amdhsa_user_sgpr_dispatch_id 0
		.amdhsa_user_sgpr_flat_scratch_init 0
		.amdhsa_user_sgpr_private_segment_size 0
		.amdhsa_uses_dynamic_stack 0
		.amdhsa_system_sgpr_private_segment_wavefront_offset 0
		.amdhsa_system_sgpr_workgroup_id_x 1
		.amdhsa_system_sgpr_workgroup_id_y 0
		.amdhsa_system_sgpr_workgroup_id_z 0
		.amdhsa_system_sgpr_workgroup_info 0
		.amdhsa_system_vgpr_workitem_id 0
		.amdhsa_next_free_vgpr 26
		.amdhsa_next_free_sgpr 64
		.amdhsa_reserve_vcc 1
		.amdhsa_reserve_flat_scratch 0
		.amdhsa_float_round_mode_32 0
		.amdhsa_float_round_mode_16_64 0
		.amdhsa_float_denorm_mode_32 3
		.amdhsa_float_denorm_mode_16_64 3
		.amdhsa_dx10_clamp 1
		.amdhsa_ieee_mode 1
		.amdhsa_fp16_overflow 0
		.amdhsa_exception_fp_ieee_invalid_op 0
		.amdhsa_exception_fp_denorm_src 0
		.amdhsa_exception_fp_ieee_div_zero 0
		.amdhsa_exception_fp_ieee_overflow 0
		.amdhsa_exception_fp_ieee_underflow 0
		.amdhsa_exception_fp_ieee_inexact 0
		.amdhsa_exception_int_div_zero 0
	.end_amdhsa_kernel
	.section	.text._ZN2at6native32elementwise_kernel_manual_unrollILi128ELi8EZNS0_22gpu_kernel_impl_nocastINS0_13AUnaryFunctorIN3c107complexIfEES6_bNS0_12_GLOBAL__N_116CompareEqFunctorIS6_EEEEEEvRNS_18TensorIteratorBaseERKT_EUlibE_EEviT1_,"axG",@progbits,_ZN2at6native32elementwise_kernel_manual_unrollILi128ELi8EZNS0_22gpu_kernel_impl_nocastINS0_13AUnaryFunctorIN3c107complexIfEES6_bNS0_12_GLOBAL__N_116CompareEqFunctorIS6_EEEEEEvRNS_18TensorIteratorBaseERKT_EUlibE_EEviT1_,comdat
.Lfunc_end141:
	.size	_ZN2at6native32elementwise_kernel_manual_unrollILi128ELi8EZNS0_22gpu_kernel_impl_nocastINS0_13AUnaryFunctorIN3c107complexIfEES6_bNS0_12_GLOBAL__N_116CompareEqFunctorIS6_EEEEEEvRNS_18TensorIteratorBaseERKT_EUlibE_EEviT1_, .Lfunc_end141-_ZN2at6native32elementwise_kernel_manual_unrollILi128ELi8EZNS0_22gpu_kernel_impl_nocastINS0_13AUnaryFunctorIN3c107complexIfEES6_bNS0_12_GLOBAL__N_116CompareEqFunctorIS6_EEEEEEvRNS_18TensorIteratorBaseERKT_EUlibE_EEviT1_
                                        ; -- End function
	.set _ZN2at6native32elementwise_kernel_manual_unrollILi128ELi8EZNS0_22gpu_kernel_impl_nocastINS0_13AUnaryFunctorIN3c107complexIfEES6_bNS0_12_GLOBAL__N_116CompareEqFunctorIS6_EEEEEEvRNS_18TensorIteratorBaseERKT_EUlibE_EEviT1_.num_vgpr, 26
	.set _ZN2at6native32elementwise_kernel_manual_unrollILi128ELi8EZNS0_22gpu_kernel_impl_nocastINS0_13AUnaryFunctorIN3c107complexIfEES6_bNS0_12_GLOBAL__N_116CompareEqFunctorIS6_EEEEEEvRNS_18TensorIteratorBaseERKT_EUlibE_EEviT1_.num_agpr, 0
	.set _ZN2at6native32elementwise_kernel_manual_unrollILi128ELi8EZNS0_22gpu_kernel_impl_nocastINS0_13AUnaryFunctorIN3c107complexIfEES6_bNS0_12_GLOBAL__N_116CompareEqFunctorIS6_EEEEEEvRNS_18TensorIteratorBaseERKT_EUlibE_EEviT1_.numbered_sgpr, 64
	.set _ZN2at6native32elementwise_kernel_manual_unrollILi128ELi8EZNS0_22gpu_kernel_impl_nocastINS0_13AUnaryFunctorIN3c107complexIfEES6_bNS0_12_GLOBAL__N_116CompareEqFunctorIS6_EEEEEEvRNS_18TensorIteratorBaseERKT_EUlibE_EEviT1_.num_named_barrier, 0
	.set _ZN2at6native32elementwise_kernel_manual_unrollILi128ELi8EZNS0_22gpu_kernel_impl_nocastINS0_13AUnaryFunctorIN3c107complexIfEES6_bNS0_12_GLOBAL__N_116CompareEqFunctorIS6_EEEEEEvRNS_18TensorIteratorBaseERKT_EUlibE_EEviT1_.private_seg_size, 0
	.set _ZN2at6native32elementwise_kernel_manual_unrollILi128ELi8EZNS0_22gpu_kernel_impl_nocastINS0_13AUnaryFunctorIN3c107complexIfEES6_bNS0_12_GLOBAL__N_116CompareEqFunctorIS6_EEEEEEvRNS_18TensorIteratorBaseERKT_EUlibE_EEviT1_.uses_vcc, 1
	.set _ZN2at6native32elementwise_kernel_manual_unrollILi128ELi8EZNS0_22gpu_kernel_impl_nocastINS0_13AUnaryFunctorIN3c107complexIfEES6_bNS0_12_GLOBAL__N_116CompareEqFunctorIS6_EEEEEEvRNS_18TensorIteratorBaseERKT_EUlibE_EEviT1_.uses_flat_scratch, 0
	.set _ZN2at6native32elementwise_kernel_manual_unrollILi128ELi8EZNS0_22gpu_kernel_impl_nocastINS0_13AUnaryFunctorIN3c107complexIfEES6_bNS0_12_GLOBAL__N_116CompareEqFunctorIS6_EEEEEEvRNS_18TensorIteratorBaseERKT_EUlibE_EEviT1_.has_dyn_sized_stack, 0
	.set _ZN2at6native32elementwise_kernel_manual_unrollILi128ELi8EZNS0_22gpu_kernel_impl_nocastINS0_13AUnaryFunctorIN3c107complexIfEES6_bNS0_12_GLOBAL__N_116CompareEqFunctorIS6_EEEEEEvRNS_18TensorIteratorBaseERKT_EUlibE_EEviT1_.has_recursion, 0
	.set _ZN2at6native32elementwise_kernel_manual_unrollILi128ELi8EZNS0_22gpu_kernel_impl_nocastINS0_13AUnaryFunctorIN3c107complexIfEES6_bNS0_12_GLOBAL__N_116CompareEqFunctorIS6_EEEEEEvRNS_18TensorIteratorBaseERKT_EUlibE_EEviT1_.has_indirect_call, 0
	.section	.AMDGPU.csdata,"",@progbits
; Kernel info:
; codeLenInByte = 12324
; TotalNumSgprs: 68
; NumVgprs: 26
; ScratchSize: 0
; MemoryBound: 0
; FloatMode: 240
; IeeeMode: 1
; LDSByteSize: 0 bytes/workgroup (compile time only)
; SGPRBlocks: 8
; VGPRBlocks: 6
; NumSGPRsForWavesPerEU: 68
; NumVGPRsForWavesPerEU: 26
; Occupancy: 9
; WaveLimiterHint : 1
; COMPUTE_PGM_RSRC2:SCRATCH_EN: 0
; COMPUTE_PGM_RSRC2:USER_SGPR: 6
; COMPUTE_PGM_RSRC2:TRAP_HANDLER: 0
; COMPUTE_PGM_RSRC2:TGID_X_EN: 1
; COMPUTE_PGM_RSRC2:TGID_Y_EN: 0
; COMPUTE_PGM_RSRC2:TGID_Z_EN: 0
; COMPUTE_PGM_RSRC2:TIDIG_COMP_CNT: 0
	.section	.text._ZN2at6native32elementwise_kernel_manual_unrollILi128ELi4EZNS0_15gpu_kernel_implINS0_13AUnaryFunctorIN3c107complexIfEES6_bNS0_12_GLOBAL__N_116CompareEqFunctorIS6_EEEEEEvRNS_18TensorIteratorBaseERKT_EUlibE_EEviT1_,"axG",@progbits,_ZN2at6native32elementwise_kernel_manual_unrollILi128ELi4EZNS0_15gpu_kernel_implINS0_13AUnaryFunctorIN3c107complexIfEES6_bNS0_12_GLOBAL__N_116CompareEqFunctorIS6_EEEEEEvRNS_18TensorIteratorBaseERKT_EUlibE_EEviT1_,comdat
	.globl	_ZN2at6native32elementwise_kernel_manual_unrollILi128ELi4EZNS0_15gpu_kernel_implINS0_13AUnaryFunctorIN3c107complexIfEES6_bNS0_12_GLOBAL__N_116CompareEqFunctorIS6_EEEEEEvRNS_18TensorIteratorBaseERKT_EUlibE_EEviT1_ ; -- Begin function _ZN2at6native32elementwise_kernel_manual_unrollILi128ELi4EZNS0_15gpu_kernel_implINS0_13AUnaryFunctorIN3c107complexIfEES6_bNS0_12_GLOBAL__N_116CompareEqFunctorIS6_EEEEEEvRNS_18TensorIteratorBaseERKT_EUlibE_EEviT1_
	.p2align	8
	.type	_ZN2at6native32elementwise_kernel_manual_unrollILi128ELi4EZNS0_15gpu_kernel_implINS0_13AUnaryFunctorIN3c107complexIfEES6_bNS0_12_GLOBAL__N_116CompareEqFunctorIS6_EEEEEEvRNS_18TensorIteratorBaseERKT_EUlibE_EEviT1_,@function
_ZN2at6native32elementwise_kernel_manual_unrollILi128ELi4EZNS0_15gpu_kernel_implINS0_13AUnaryFunctorIN3c107complexIfEES6_bNS0_12_GLOBAL__N_116CompareEqFunctorIS6_EEEEEEvRNS_18TensorIteratorBaseERKT_EUlibE_EEviT1_: ; @_ZN2at6native32elementwise_kernel_manual_unrollILi128ELi4EZNS0_15gpu_kernel_implINS0_13AUnaryFunctorIN3c107complexIfEES6_bNS0_12_GLOBAL__N_116CompareEqFunctorIS6_EEEEEEvRNS_18TensorIteratorBaseERKT_EUlibE_EEviT1_
; %bb.0:
	s_load_dword s33, s[4:5], 0x30
	s_load_dwordx2 s[2:3], s[4:5], 0x28
	s_load_dword s44, s[4:5], 0x0
	s_load_dwordx8 s[8:15], s[4:5], 0x8
	v_lshl_or_b32 v4, s6, 9, v0
	v_or_b32_e32 v0, 0x180, v4
	s_waitcnt lgkmcnt(0)
	s_bfe_u32 s15, s33, 0x80008
	v_cmp_le_i32_e32 vcc, s44, v0
	s_mov_b64 s[4:5], 0
	s_mov_b64 s[16:17], 0
	s_and_saveexec_b64 s[0:1], vcc
	s_xor_b64 s[6:7], exec, s[0:1]
	s_cbranch_execz .LBB142_1063
; %bb.1:
	s_cmp_lg_u32 s14, 0
	s_cselect_b64 s[16:17], -1, 0
	v_cmp_gt_i32_e32 vcc, s44, v4
	s_mov_b64 s[24:25], -1
	s_mov_b64 s[26:27], 0
	s_mov_b64 s[20:21], 0
	;; [unrolled: 1-line block ×3, first 2 shown]
	s_and_saveexec_b64 s[22:23], vcc
	s_cbranch_execz .LBB142_260
; %bb.2:
	v_mul_lo_u32 v0, v4, s13
	v_mov_b32_e32 v1, s11
	s_and_b32 s28, 0xffff, s15
	s_cmp_lt_i32 s28, 11
	v_ashrrev_i32_e32 v2, 31, v0
	v_add_co_u32_e32 v0, vcc, s10, v0
	v_addc_co_u32_e32 v1, vcc, v1, v2, vcc
	s_cbranch_scc1 .LBB142_9
; %bb.3:
	s_cmp_gt_i32 s28, 25
	s_cbranch_scc0 .LBB142_21
; %bb.4:
	s_cmp_gt_i32 s28, 28
	s_cbranch_scc0 .LBB142_26
	;; [unrolled: 3-line block ×4, first 2 shown]
; %bb.7:
	s_cmp_eq_u32 s28, 46
	s_cbranch_scc0 .LBB142_32
; %bb.8:
	global_load_dword v2, v[0:1], off
	s_mov_b64 s[0:1], -1
	s_waitcnt vmcnt(0)
	v_and_b32_e32 v3, 0xffff0000, v2
	v_lshlrev_b32_e32 v2, 16, v2
	s_branch .LBB142_34
.LBB142_9:
                                        ; implicit-def: $vgpr3
	s_mov_b64 s[0:1], 0
	s_cbranch_execnz .LBB142_209
.LBB142_10:
	s_andn2_b64 vcc, exec, s[0:1]
	s_cbranch_vccnz .LBB142_258
.LBB142_11:
	s_and_b64 vcc, exec, s[16:17]
	s_cbranch_vccz .LBB142_25
; %bb.12:
	s_waitcnt vmcnt(0)
	v_cmp_neq_f32_e32 vcc, s2, v2
	v_cmp_neq_f32_e64 s[0:1], s3, v3
	s_or_b64 s[18:19], vcc, s[0:1]
	s_cbranch_execnz .LBB142_14
.LBB142_13:
	s_waitcnt vmcnt(0)
	v_cmp_eq_f32_e32 vcc, s2, v2
	v_cmp_eq_f32_e64 s[0:1], s3, v3
	s_and_b64 s[0:1], vcc, s[0:1]
	s_andn2_b64 s[18:19], s[18:19], exec
	s_and_b64 s[0:1], s[0:1], exec
	s_or_b64 s[18:19], s[18:19], s[0:1]
.LBB142_14:
	v_mul_lo_u32 v0, v4, s12
	v_mov_b32_e32 v1, s9
	s_and_b32 s34, s33, 0xff
	s_cmp_lt_i32 s34, 11
	s_waitcnt vmcnt(0)
	v_ashrrev_i32_e32 v2, 31, v0
	v_add_co_u32_e32 v0, vcc, s8, v0
	v_addc_co_u32_e32 v1, vcc, v1, v2, vcc
	s_cbranch_scc1 .LBB142_22
; %bb.15:
	s_and_b32 s35, 0xffff, s34
	s_cmp_gt_i32 s35, 25
	s_cbranch_scc0 .LBB142_27
; %bb.16:
	s_cmp_gt_i32 s35, 28
	s_cbranch_scc0 .LBB142_29
; %bb.17:
	s_cmp_gt_i32 s35, 43
	s_cbranch_scc0 .LBB142_31
; %bb.18:
	s_cmp_gt_i32 s35, 45
	s_cbranch_scc0 .LBB142_37
; %bb.19:
	s_mov_b64 s[28:29], 0
	s_mov_b64 s[0:1], -1
	s_cmp_eq_u32 s35, 46
	s_mov_b64 s[24:25], 0
	s_cbranch_scc0 .LBB142_38
; %bb.20:
	v_cndmask_b32_e64 v2, 0, 1.0, s[18:19]
	v_bfe_u32 v3, v2, 16, 1
	s_movk_i32 s0, 0x7fff
	v_add3_u32 v2, v2, v3, s0
	v_lshrrev_b32_e32 v2, 16, v2
	global_store_dword v[0:1], v2, off
	s_mov_b64 s[24:25], -1
	s_mov_b64 s[0:1], 0
	s_branch .LBB142_38
.LBB142_21:
	s_mov_b64 s[0:1], 0
                                        ; implicit-def: $vgpr3
	s_cbranch_execnz .LBB142_174
	s_branch .LBB142_208
.LBB142_22:
	s_mov_b64 s[0:1], 0
	s_mov_b64 s[24:25], 0
	s_cbranch_execnz .LBB142_107
.LBB142_23:
	s_andn2_b64 vcc, exec, s[24:25]
	s_cbranch_vccnz .LBB142_145
.LBB142_24:
	v_add_u32_e32 v4, 0x80, v4
	s_mov_b64 s[24:25], -1
	s_branch .LBB142_259
.LBB142_25:
                                        ; implicit-def: $sgpr18_sgpr19
	s_branch .LBB142_13
.LBB142_26:
	s_mov_b64 s[18:19], -1
	s_mov_b64 s[0:1], 0
                                        ; implicit-def: $vgpr3
	s_branch .LBB142_155
.LBB142_27:
	s_mov_b64 s[28:29], -1
	s_mov_b64 s[0:1], 0
	s_mov_b64 s[24:25], 0
	s_branch .LBB142_65
.LBB142_28:
	s_mov_b64 s[18:19], -1
	s_mov_b64 s[0:1], 0
                                        ; implicit-def: $vgpr3
	s_branch .LBB142_149
.LBB142_29:
	s_mov_b64 s[28:29], -1
	s_mov_b64 s[0:1], 0
	s_mov_b64 s[24:25], 0
	s_branch .LBB142_48
.LBB142_30:
	s_mov_b64 s[18:19], -1
	s_branch .LBB142_33
.LBB142_31:
	s_mov_b64 s[28:29], -1
	s_mov_b64 s[0:1], 0
	s_mov_b64 s[24:25], 0
	s_branch .LBB142_44
.LBB142_32:
	s_mov_b64 s[20:21], -1
.LBB142_33:
	s_mov_b64 s[0:1], 0
                                        ; implicit-def: $vgpr3
.LBB142_34:
	s_and_b64 vcc, exec, s[18:19]
	s_cbranch_vccz .LBB142_148
; %bb.35:
	s_cmp_eq_u32 s28, 44
	s_cbranch_scc0 .LBB142_146
; %bb.36:
	global_load_ubyte v2, v[0:1], off
	s_movk_i32 s18, 0xff
	v_mov_b32_e32 v3, 0x7f800001
	v_mov_b32_e32 v5, 0x400000
	s_mov_b64 s[0:1], -1
	s_mov_b64 s[20:21], 0
	s_waitcnt vmcnt(0)
	v_lshlrev_b32_e32 v6, 23, v2
	v_cmp_ne_u32_e32 vcc, s18, v2
	v_cndmask_b32_e32 v3, v3, v6, vcc
	v_cmp_ne_u32_e32 vcc, 0, v2
	v_cndmask_b32_e32 v2, v5, v3, vcc
	s_branch .LBB142_147
.LBB142_37:
	s_mov_b64 s[28:29], -1
	s_mov_b64 s[0:1], 0
	s_mov_b64 s[24:25], 0
.LBB142_38:
	s_and_b64 vcc, exec, s[28:29]
	s_cbranch_vccz .LBB142_43
; %bb.39:
	s_cmp_eq_u32 s35, 44
	s_mov_b64 s[0:1], -1
	s_cbranch_scc0 .LBB142_43
; %bb.40:
	v_cndmask_b32_e64 v3, 0, 1.0, s[18:19]
	v_lshrrev_b32_e32 v2, 23, v3
	s_movk_i32 s0, 0xff
	v_cmp_ne_u32_e32 vcc, s0, v2
	v_mov_b32_e32 v5, 0xff
	s_and_saveexec_b64 s[24:25], vcc
; %bb.41:
	s_mov_b32 s0, 0x3fffff
	v_and_b32_e32 v5, 0x400000, v3
	v_and_or_b32 v3, v3, s0, v2
	v_cmp_ne_u32_e32 vcc, 0, v5
	v_cmp_ne_u32_e64 s[0:1], 0, v3
	s_and_b64 s[0:1], vcc, s[0:1]
	v_cndmask_b32_e64 v3, 0, 1, s[0:1]
	v_add_u32_e32 v5, v2, v3
; %bb.42:
	s_or_b64 exec, exec, s[24:25]
	s_mov_b64 s[24:25], -1
	s_mov_b64 s[0:1], 0
	global_store_byte v[0:1], v5, off
.LBB142_43:
	s_mov_b64 s[28:29], 0
.LBB142_44:
	s_and_b64 vcc, exec, s[28:29]
	s_cbranch_vccz .LBB142_47
; %bb.45:
	s_cmp_eq_u32 s35, 29
	s_mov_b64 s[0:1], -1
	s_cbranch_scc0 .LBB142_47
; %bb.46:
	s_mov_b32 s0, 0
	v_cndmask_b32_e64 v2, 0, 1, s[18:19]
	v_mov_b32_e32 v3, s0
	global_store_dwordx2 v[0:1], v[2:3], off
	s_mov_b64 s[24:25], -1
	s_mov_b64 s[0:1], 0
.LBB142_47:
	s_mov_b64 s[28:29], 0
.LBB142_48:
	s_and_b64 vcc, exec, s[28:29]
	s_cbranch_vccz .LBB142_64
; %bb.49:
	s_cmp_lt_i32 s35, 27
	s_mov_b64 s[24:25], -1
	s_cbranch_scc1 .LBB142_55
; %bb.50:
	s_cmp_gt_i32 s35, 27
	s_cbranch_scc0 .LBB142_52
; %bb.51:
	v_cndmask_b32_e64 v2, 0, 1, s[18:19]
	s_mov_b64 s[24:25], 0
	global_store_dword v[0:1], v2, off
.LBB142_52:
	s_andn2_b64 vcc, exec, s[24:25]
	s_cbranch_vccnz .LBB142_54
; %bb.53:
	v_cndmask_b32_e64 v2, 0, 1, s[18:19]
	global_store_short v[0:1], v2, off
.LBB142_54:
	s_mov_b64 s[24:25], 0
.LBB142_55:
	s_andn2_b64 vcc, exec, s[24:25]
	s_cbranch_vccnz .LBB142_63
; %bb.56:
	v_cndmask_b32_e64 v3, 0, 1.0, s[18:19]
	s_mov_b32 s24, 0x43800000
	v_cmp_gt_u32_e32 vcc, s24, v3
	v_mov_b32_e32 v5, 0x80
	s_and_saveexec_b64 s[24:25], vcc
	s_cbranch_execz .LBB142_62
; %bb.57:
	s_mov_b32 s28, 0x3bffffff
	v_cmp_lt_u32_e32 vcc, s28, v3
	s_mov_b64 s[28:29], 0
                                        ; implicit-def: $vgpr2
	s_and_saveexec_b64 s[30:31], vcc
	s_xor_b64 s[30:31], exec, s[30:31]
	s_cbranch_execz .LBB142_291
; %bb.58:
	v_bfe_u32 v2, v3, 20, 1
	s_mov_b32 s36, 0x487ffff
	v_add3_u32 v2, v3, v2, s36
	s_mov_b64 s[28:29], exec
	v_lshrrev_b32_e32 v2, 20, v2
                                        ; implicit-def: $vgpr3
	s_andn2_saveexec_b64 s[30:31], s[30:31]
	s_cbranch_execnz .LBB142_292
.LBB142_59:
	s_or_b64 exec, exec, s[30:31]
	v_mov_b32_e32 v5, 0
	s_and_saveexec_b64 s[30:31], s[28:29]
.LBB142_60:
	v_mov_b32_e32 v5, v2
.LBB142_61:
	s_or_b64 exec, exec, s[30:31]
.LBB142_62:
	s_or_b64 exec, exec, s[24:25]
	global_store_byte v[0:1], v5, off
.LBB142_63:
	s_mov_b64 s[24:25], -1
.LBB142_64:
	s_mov_b64 s[28:29], 0
.LBB142_65:
	s_and_b64 vcc, exec, s[28:29]
	s_cbranch_vccz .LBB142_106
; %bb.66:
	s_cmp_gt_i32 s35, 22
	s_mov_b64 s[28:29], -1
	s_cbranch_scc0 .LBB142_98
; %bb.67:
	s_cmp_lt_i32 s35, 24
	s_mov_b64 s[24:25], -1
	s_cbranch_scc1 .LBB142_87
; %bb.68:
	s_cmp_gt_i32 s35, 24
	s_cbranch_scc0 .LBB142_76
; %bb.69:
	v_cndmask_b32_e64 v3, 0, 1.0, s[18:19]
	s_mov_b32 s24, 0x47800000
	v_cmp_gt_u32_e32 vcc, s24, v3
	v_mov_b32_e32 v5, 0x80
	s_and_saveexec_b64 s[24:25], vcc
	s_cbranch_execz .LBB142_75
; %bb.70:
	s_mov_b32 s28, 0x37ffffff
	v_cmp_lt_u32_e32 vcc, s28, v3
	s_mov_b64 s[28:29], 0
                                        ; implicit-def: $vgpr2
	s_and_saveexec_b64 s[30:31], vcc
	s_xor_b64 s[30:31], exec, s[30:31]
	s_cbranch_execz .LBB142_295
; %bb.71:
	v_bfe_u32 v2, v3, 21, 1
	s_mov_b32 s36, 0x88fffff
	v_add3_u32 v2, v3, v2, s36
	s_mov_b64 s[28:29], exec
	v_lshrrev_b32_e32 v2, 21, v2
                                        ; implicit-def: $vgpr3
	s_andn2_saveexec_b64 s[30:31], s[30:31]
	s_cbranch_execnz .LBB142_296
.LBB142_72:
	s_or_b64 exec, exec, s[30:31]
	v_mov_b32_e32 v5, 0
	s_and_saveexec_b64 s[30:31], s[28:29]
.LBB142_73:
	v_mov_b32_e32 v5, v2
.LBB142_74:
	s_or_b64 exec, exec, s[30:31]
.LBB142_75:
	s_or_b64 exec, exec, s[24:25]
	s_mov_b64 s[24:25], 0
	global_store_byte v[0:1], v5, off
.LBB142_76:
	s_and_b64 vcc, exec, s[24:25]
	s_cbranch_vccz .LBB142_86
; %bb.77:
	v_cndmask_b32_e64 v2, 0, 1.0, s[18:19]
	s_mov_b32 s24, 0x43f00000
	v_cmp_gt_u32_e32 vcc, s24, v2
                                        ; implicit-def: $vgpr3
	s_and_saveexec_b64 s[24:25], vcc
	s_xor_b64 s[24:25], exec, s[24:25]
	s_cbranch_execz .LBB142_83
; %bb.78:
	s_mov_b32 s28, 0x3c7fffff
	v_cmp_lt_u32_e32 vcc, s28, v2
                                        ; implicit-def: $vgpr3
	s_and_saveexec_b64 s[28:29], vcc
	s_xor_b64 s[28:29], exec, s[28:29]
; %bb.79:
	v_bfe_u32 v3, v2, 20, 1
	s_mov_b32 s30, 0x407ffff
	v_add3_u32 v2, v2, v3, s30
	v_lshrrev_b32_e32 v3, 20, v2
	v_and_b32_e32 v2, 0xff00000, v2
	s_mov_b32 s30, 0x7f00000
	v_mov_b32_e32 v5, 0x7e
	v_cmp_ne_u32_e32 vcc, s30, v2
	v_cndmask_b32_e32 v3, v5, v3, vcc
                                        ; implicit-def: $vgpr2
; %bb.80:
	s_andn2_saveexec_b64 s[28:29], s[28:29]
; %bb.81:
	v_add_f32_e32 v3, 0x46800000, v2
; %bb.82:
	s_or_b64 exec, exec, s[28:29]
                                        ; implicit-def: $vgpr2
.LBB142_83:
	s_andn2_saveexec_b64 s[24:25], s[24:25]
; %bb.84:
	s_mov_b32 s28, 0x7f800000
	v_mov_b32_e32 v3, 0x7e
	v_mov_b32_e32 v5, 0x7f
	v_cmp_lt_u32_e32 vcc, s28, v2
	v_cndmask_b32_e32 v3, v3, v5, vcc
; %bb.85:
	s_or_b64 exec, exec, s[24:25]
	global_store_byte v[0:1], v3, off
.LBB142_86:
	s_mov_b64 s[24:25], 0
.LBB142_87:
	s_andn2_b64 vcc, exec, s[24:25]
	s_cbranch_vccnz .LBB142_97
; %bb.88:
	v_cndmask_b32_e64 v2, 0, 1.0, s[18:19]
	s_mov_b32 s24, 0x47800000
	v_cmp_gt_u32_e32 vcc, s24, v2
                                        ; implicit-def: $vgpr3
	s_and_saveexec_b64 s[24:25], vcc
	s_xor_b64 s[24:25], exec, s[24:25]
	s_cbranch_execz .LBB142_94
; %bb.89:
	s_mov_b32 s28, 0x387fffff
	v_cmp_lt_u32_e32 vcc, s28, v2
                                        ; implicit-def: $vgpr3
	s_and_saveexec_b64 s[28:29], vcc
	s_xor_b64 s[28:29], exec, s[28:29]
; %bb.90:
	v_bfe_u32 v3, v2, 21, 1
	s_mov_b32 s30, 0x80fffff
	v_add3_u32 v2, v2, v3, s30
	v_lshrrev_b32_e32 v3, 21, v2
                                        ; implicit-def: $vgpr2
; %bb.91:
	s_andn2_saveexec_b64 s[28:29], s[28:29]
; %bb.92:
	v_add_f32_e32 v3, 0x43000000, v2
; %bb.93:
	s_or_b64 exec, exec, s[28:29]
                                        ; implicit-def: $vgpr2
.LBB142_94:
	s_andn2_saveexec_b64 s[24:25], s[24:25]
; %bb.95:
	s_mov_b32 s28, 0x7f800000
	v_mov_b32_e32 v3, 0x7c
	v_mov_b32_e32 v5, 0x7f
	v_cmp_lt_u32_e32 vcc, s28, v2
	v_cndmask_b32_e32 v3, v3, v5, vcc
; %bb.96:
	s_or_b64 exec, exec, s[24:25]
	global_store_byte v[0:1], v3, off
.LBB142_97:
	s_mov_b64 s[28:29], 0
	s_mov_b64 s[24:25], -1
.LBB142_98:
	s_andn2_b64 vcc, exec, s[28:29]
	s_cbranch_vccnz .LBB142_106
; %bb.99:
	s_cmp_gt_i32 s35, 14
	s_mov_b64 s[28:29], -1
	s_cbranch_scc0 .LBB142_103
; %bb.100:
	s_cmp_eq_u32 s35, 15
	s_mov_b64 s[0:1], -1
	s_cbranch_scc0 .LBB142_102
; %bb.101:
	v_cndmask_b32_e64 v2, 0, 1.0, s[18:19]
	v_bfe_u32 v3, v2, 16, 1
	s_movk_i32 s0, 0x7fff
	v_add3_u32 v2, v2, v3, s0
	global_store_short_d16_hi v[0:1], v2, off
	s_mov_b64 s[24:25], -1
	s_mov_b64 s[0:1], 0
.LBB142_102:
	s_mov_b64 s[28:29], 0
.LBB142_103:
	s_and_b64 vcc, exec, s[28:29]
	s_cbranch_vccz .LBB142_106
; %bb.104:
	s_cmp_eq_u32 s35, 11
	s_mov_b64 s[0:1], -1
	s_cbranch_scc0 .LBB142_106
; %bb.105:
	v_cndmask_b32_e64 v2, 0, 1, s[18:19]
	s_mov_b64 s[24:25], -1
	s_mov_b64 s[0:1], 0
	global_store_byte v[0:1], v2, off
.LBB142_106:
	s_branch .LBB142_23
.LBB142_107:
	s_and_b32 s28, 0xffff, s34
	s_cmp_lt_i32 s28, 5
	s_mov_b64 s[24:25], -1
	s_cbranch_scc1 .LBB142_128
; %bb.108:
	s_cmp_lt_i32 s28, 8
	s_cbranch_scc1 .LBB142_118
; %bb.109:
	s_cmp_lt_i32 s28, 9
	s_cbranch_scc1 .LBB142_115
; %bb.110:
	s_cmp_gt_i32 s28, 9
	s_cbranch_scc0 .LBB142_112
; %bb.111:
	v_cndmask_b32_e64 v2, 0, 1, s[18:19]
	v_cvt_f64_u32_e32 v[5:6], v2
	v_mov_b32_e32 v7, 0
	v_mov_b32_e32 v8, v7
	s_mov_b64 s[24:25], 0
	global_store_dwordx4 v[0:1], v[5:8], off
.LBB142_112:
	s_andn2_b64 vcc, exec, s[24:25]
	s_cbranch_vccnz .LBB142_114
; %bb.113:
	v_cndmask_b32_e64 v2, 0, 1.0, s[18:19]
	v_mov_b32_e32 v3, 0
	global_store_dwordx2 v[0:1], v[2:3], off
.LBB142_114:
	s_mov_b64 s[24:25], 0
.LBB142_115:
	s_andn2_b64 vcc, exec, s[24:25]
	s_cbranch_vccnz .LBB142_117
; %bb.116:
	v_cndmask_b32_e64 v2, 0, 1.0, s[18:19]
	v_cvt_f16_f32_e32 v2, v2
	global_store_dword v[0:1], v2, off
.LBB142_117:
	s_mov_b64 s[24:25], 0
.LBB142_118:
	s_andn2_b64 vcc, exec, s[24:25]
	s_cbranch_vccnz .LBB142_127
; %bb.119:
	s_cmp_lt_i32 s28, 6
	s_mov_b64 s[24:25], -1
	s_cbranch_scc1 .LBB142_125
; %bb.120:
	s_cmp_gt_i32 s28, 6
	s_cbranch_scc0 .LBB142_122
; %bb.121:
	v_cndmask_b32_e64 v2, 0, 1, s[18:19]
	v_cvt_f64_u32_e32 v[2:3], v2
	s_mov_b64 s[24:25], 0
	global_store_dwordx2 v[0:1], v[2:3], off
.LBB142_122:
	s_andn2_b64 vcc, exec, s[24:25]
	s_cbranch_vccnz .LBB142_124
; %bb.123:
	v_cndmask_b32_e64 v2, 0, 1.0, s[18:19]
	global_store_dword v[0:1], v2, off
.LBB142_124:
	s_mov_b64 s[24:25], 0
.LBB142_125:
	s_andn2_b64 vcc, exec, s[24:25]
	s_cbranch_vccnz .LBB142_127
; %bb.126:
	v_cndmask_b32_e64 v2, 0, 1.0, s[18:19]
	v_cvt_f16_f32_e32 v2, v2
	global_store_short v[0:1], v2, off
.LBB142_127:
	s_mov_b64 s[24:25], 0
.LBB142_128:
	s_andn2_b64 vcc, exec, s[24:25]
	s_cbranch_vccnz .LBB142_144
; %bb.129:
	s_cmp_lt_i32 s28, 2
	s_mov_b64 s[24:25], -1
	s_cbranch_scc1 .LBB142_139
; %bb.130:
	s_cmp_lt_i32 s28, 3
	s_cbranch_scc1 .LBB142_136
; %bb.131:
	s_cmp_gt_i32 s28, 3
	s_cbranch_scc0 .LBB142_133
; %bb.132:
	s_mov_b32 s24, 0
	v_cndmask_b32_e64 v2, 0, 1, s[18:19]
	v_mov_b32_e32 v3, s24
	global_store_dwordx2 v[0:1], v[2:3], off
	s_mov_b64 s[24:25], 0
.LBB142_133:
	s_andn2_b64 vcc, exec, s[24:25]
	s_cbranch_vccnz .LBB142_135
; %bb.134:
	v_cndmask_b32_e64 v2, 0, 1, s[18:19]
	global_store_dword v[0:1], v2, off
.LBB142_135:
	s_mov_b64 s[24:25], 0
.LBB142_136:
	s_andn2_b64 vcc, exec, s[24:25]
	s_cbranch_vccnz .LBB142_138
; %bb.137:
	v_cndmask_b32_e64 v2, 0, 1, s[18:19]
	global_store_short v[0:1], v2, off
.LBB142_138:
	s_mov_b64 s[24:25], 0
.LBB142_139:
	s_andn2_b64 vcc, exec, s[24:25]
	s_cbranch_vccnz .LBB142_144
; %bb.140:
	s_mov_b64 s[24:25], -1
	s_cmp_gt_i32 s28, 0
	v_cndmask_b32_e64 v2, 0, 1, s[18:19]
	s_cbranch_scc0 .LBB142_142
; %bb.141:
	global_store_byte v[0:1], v2, off
	s_mov_b64 s[24:25], 0
.LBB142_142:
	s_andn2_b64 vcc, exec, s[24:25]
	s_cbranch_vccnz .LBB142_144
; %bb.143:
	global_store_byte v[0:1], v2, off
.LBB142_144:
	s_branch .LBB142_24
.LBB142_145:
	s_mov_b64 s[24:25], 0
                                        ; implicit-def: $vgpr4
	s_branch .LBB142_259
.LBB142_146:
	s_mov_b64 s[20:21], -1
                                        ; implicit-def: $vgpr2
.LBB142_147:
	v_mov_b32_e32 v3, 0
.LBB142_148:
	s_mov_b64 s[18:19], 0
.LBB142_149:
	s_and_b64 vcc, exec, s[18:19]
	s_cbranch_vccz .LBB142_154
; %bb.150:
	s_cmp_eq_u32 s28, 29
	s_cbranch_scc0 .LBB142_152
; %bb.151:
	global_load_dwordx2 v[2:3], v[0:1], off
	s_mov_b64 s[0:1], -1
	s_mov_b64 s[20:21], 0
	s_waitcnt vmcnt(0)
	v_ffbh_u32_e32 v5, v3
	v_min_u32_e32 v5, 32, v5
	v_lshlrev_b64 v[2:3], v5, v[2:3]
	v_min_u32_e32 v2, 1, v2
	v_or_b32_e32 v2, v3, v2
	v_cvt_f32_u32_e32 v2, v2
	v_sub_u32_e32 v3, 32, v5
	v_ldexp_f32 v2, v2, v3
	s_branch .LBB142_153
.LBB142_152:
	s_mov_b64 s[20:21], -1
                                        ; implicit-def: $vgpr2
.LBB142_153:
	v_mov_b32_e32 v3, 0
.LBB142_154:
	s_mov_b64 s[18:19], 0
.LBB142_155:
	s_and_b64 vcc, exec, s[18:19]
	s_cbranch_vccz .LBB142_173
; %bb.156:
	s_cmp_lt_i32 s28, 27
	s_cbranch_scc1 .LBB142_159
; %bb.157:
	s_cmp_gt_i32 s28, 27
	s_cbranch_scc0 .LBB142_160
; %bb.158:
	global_load_dword v2, v[0:1], off
	s_mov_b64 s[0:1], 0
	s_waitcnt vmcnt(0)
	v_cvt_f32_u32_e32 v2, v2
	s_branch .LBB142_161
.LBB142_159:
	s_mov_b64 s[0:1], -1
                                        ; implicit-def: $vgpr2
	s_branch .LBB142_164
.LBB142_160:
	s_mov_b64 s[0:1], -1
                                        ; implicit-def: $vgpr2
.LBB142_161:
	s_andn2_b64 vcc, exec, s[0:1]
	s_cbranch_vccnz .LBB142_163
; %bb.162:
	global_load_ushort v2, v[0:1], off
	s_waitcnt vmcnt(0)
	v_cvt_f32_u32_e32 v2, v2
.LBB142_163:
	s_mov_b64 s[0:1], 0
.LBB142_164:
	s_andn2_b64 vcc, exec, s[0:1]
	s_cbranch_vccnz .LBB142_172
; %bb.165:
	global_load_ubyte v3, v[0:1], off
	s_movk_i32 s0, 0x7f
	s_waitcnt vmcnt(0)
	v_cmp_lt_i16_e32 vcc, s0, v3
	s_mov_b64 s[0:1], 0
	s_and_saveexec_b64 s[18:19], vcc
	s_xor_b64 s[18:19], exec, s[18:19]
	s_cbranch_execz .LBB142_185
; %bb.166:
	s_movk_i32 s0, 0x80
	v_cmp_eq_u16_e32 vcc, s0, v3
	s_mov_b64 s[0:1], -1
	s_and_saveexec_b64 s[24:25], vcc
; %bb.167:
	s_xor_b64 s[0:1], exec, -1
; %bb.168:
	s_or_b64 exec, exec, s[24:25]
	s_and_b64 s[0:1], s[0:1], exec
	s_or_saveexec_b64 s[18:19], s[18:19]
	v_mov_b32_e32 v2, 0x7f800001
	s_xor_b64 exec, exec, s[18:19]
	s_cbranch_execnz .LBB142_186
.LBB142_169:
	s_or_b64 exec, exec, s[18:19]
	s_and_saveexec_b64 s[18:19], s[0:1]
	s_cbranch_execz .LBB142_171
.LBB142_170:
	v_lshlrev_b32_e32 v2, 24, v3
	v_and_b32_e32 v3, 0xffff, v3
	v_and_b32_e32 v5, 7, v3
	v_ffbh_u32_e32 v7, v5
	v_min_u32_e32 v7, 32, v7
	v_subrev_u32_e32 v8, 28, v7
	v_bfe_u32 v6, v3, 3, 4
	v_lshlrev_b32_e32 v3, v8, v3
	v_sub_u32_e32 v7, 29, v7
	v_and_b32_e32 v3, 7, v3
	v_cmp_eq_u32_e32 vcc, 0, v6
	v_cndmask_b32_e32 v6, v6, v7, vcc
	v_cndmask_b32_e32 v3, v5, v3, vcc
	v_mov_b32_e32 v5, 0x3b800000
	v_lshlrev_b32_e32 v3, 20, v3
	v_and_b32_e32 v2, 0x80000000, v2
	v_lshl_add_u32 v5, v6, 23, v5
	v_or3_b32 v2, v2, v5, v3
.LBB142_171:
	s_or_b64 exec, exec, s[18:19]
.LBB142_172:
	s_mov_b64 s[0:1], -1
	v_mov_b32_e32 v3, 0
.LBB142_173:
	s_branch .LBB142_208
.LBB142_174:
	s_cmp_gt_i32 s28, 22
	s_cbranch_scc0 .LBB142_184
; %bb.175:
	s_cmp_lt_i32 s28, 24
	s_cbranch_scc1 .LBB142_187
; %bb.176:
	s_cmp_gt_i32 s28, 24
	s_cbranch_scc0 .LBB142_188
; %bb.177:
	global_load_ubyte v3, v[0:1], off
	s_movk_i32 s0, 0x7f
	s_waitcnt vmcnt(0)
	v_cmp_lt_i16_e32 vcc, s0, v3
	s_mov_b64 s[0:1], 0
	s_and_saveexec_b64 s[18:19], vcc
	s_xor_b64 s[18:19], exec, s[18:19]
	s_cbranch_execz .LBB142_199
; %bb.178:
	s_movk_i32 s0, 0x80
	v_cmp_eq_u16_e32 vcc, s0, v3
	s_mov_b64 s[0:1], -1
	s_and_saveexec_b64 s[24:25], vcc
; %bb.179:
	s_xor_b64 s[0:1], exec, -1
; %bb.180:
	s_or_b64 exec, exec, s[24:25]
	s_and_b64 s[0:1], s[0:1], exec
	s_or_saveexec_b64 s[18:19], s[18:19]
	v_mov_b32_e32 v2, 0x7f800001
	s_xor_b64 exec, exec, s[18:19]
	s_cbranch_execnz .LBB142_200
.LBB142_181:
	s_or_b64 exec, exec, s[18:19]
	s_and_saveexec_b64 s[18:19], s[0:1]
	s_cbranch_execz .LBB142_183
.LBB142_182:
	v_lshlrev_b32_e32 v2, 24, v3
	v_and_b32_e32 v3, 0xffff, v3
	v_and_b32_e32 v5, 3, v3
	v_ffbh_u32_e32 v7, v5
	v_min_u32_e32 v7, 32, v7
	v_subrev_u32_e32 v8, 29, v7
	v_bfe_u32 v6, v3, 2, 5
	v_lshlrev_b32_e32 v3, v8, v3
	v_sub_u32_e32 v7, 30, v7
	v_and_b32_e32 v3, 3, v3
	v_cmp_eq_u32_e32 vcc, 0, v6
	v_cndmask_b32_e32 v6, v6, v7, vcc
	v_cndmask_b32_e32 v3, v5, v3, vcc
	v_mov_b32_e32 v5, 0x37800000
	v_lshlrev_b32_e32 v3, 21, v3
	v_and_b32_e32 v2, 0x80000000, v2
	v_lshl_add_u32 v5, v6, 23, v5
	v_or3_b32 v2, v2, v5, v3
.LBB142_183:
	s_or_b64 exec, exec, s[18:19]
	s_mov_b64 s[0:1], 0
	s_branch .LBB142_189
.LBB142_184:
                                        ; implicit-def: $vgpr2
	s_branch .LBB142_195
.LBB142_185:
	s_or_saveexec_b64 s[18:19], s[18:19]
	v_mov_b32_e32 v2, 0x7f800001
	s_xor_b64 exec, exec, s[18:19]
	s_cbranch_execz .LBB142_169
.LBB142_186:
	v_cmp_ne_u16_e32 vcc, 0, v3
	s_andn2_b64 s[0:1], s[0:1], exec
	s_and_b64 s[24:25], vcc, exec
	v_mov_b32_e32 v2, 0
	s_or_b64 s[0:1], s[0:1], s[24:25]
	s_or_b64 exec, exec, s[18:19]
	s_and_saveexec_b64 s[18:19], s[0:1]
	s_cbranch_execnz .LBB142_170
	s_branch .LBB142_171
.LBB142_187:
	s_mov_b64 s[0:1], -1
                                        ; implicit-def: $vgpr2
	s_branch .LBB142_192
.LBB142_188:
	s_mov_b64 s[0:1], -1
                                        ; implicit-def: $vgpr2
.LBB142_189:
	s_and_b64 vcc, exec, s[0:1]
	s_cbranch_vccz .LBB142_191
; %bb.190:
	global_load_ubyte v2, v[0:1], off
	s_mov_b32 s0, 0x7f800000
	s_waitcnt vmcnt(0)
	v_lshlrev_b32_e32 v2, 24, v2
	v_and_b32_e32 v3, 0x7f000000, v2
	v_ffbh_u32_e32 v5, v3
	v_min_u32_e32 v5, 32, v5
	v_sub_u32_e64 v5, v5, 4 clamp
	v_lshlrev_b32_e32 v7, v5, v3
	v_lshlrev_b32_e32 v5, 23, v5
	v_lshrrev_b32_e32 v7, 4, v7
	v_add_u32_e32 v6, 0x1000000, v3
	v_sub_u32_e32 v5, v7, v5
	v_ashrrev_i32_e32 v6, 8, v6
	v_add_u32_e32 v5, 0x3c000000, v5
	v_and_or_b32 v5, v6, s0, v5
	v_cmp_ne_u32_e32 vcc, 0, v3
	v_cndmask_b32_e32 v3, 0, v5, vcc
	s_brev_b32 s0, 1
	v_and_or_b32 v2, v2, s0, v3
.LBB142_191:
	s_mov_b64 s[0:1], 0
.LBB142_192:
	s_andn2_b64 vcc, exec, s[0:1]
	s_cbranch_vccnz .LBB142_194
; %bb.193:
	global_load_ubyte v2, v[0:1], off
	s_movk_i32 s0, 0x7f00
	s_brev_b32 s1, 16
	s_waitcnt vmcnt(0)
	v_lshlrev_b16_e32 v3, 8, v2
	v_lshlrev_b32_e32 v2, 25, v2
	v_lshrrev_b32_e32 v5, 4, v2
	v_and_or_b32 v6, v3, s0, 0.5
	v_or_b32_e32 v5, 0x70000000, v5
	v_add_f32_e32 v6, -0.5, v6
	v_mul_f32_e32 v5, 0x7800000, v5
	v_cmp_gt_u32_e32 vcc, s1, v2
	v_bfe_i32 v3, v3, 0, 16
	v_cndmask_b32_e32 v2, v5, v6, vcc
	s_brev_b32 s0, 1
	v_and_or_b32 v2, v3, s0, v2
.LBB142_194:
	s_mov_b64 s[0:1], -1
	s_cbranch_execnz .LBB142_207
.LBB142_195:
	s_cmp_gt_i32 s28, 14
	s_cbranch_scc0 .LBB142_198
; %bb.196:
	s_cmp_eq_u32 s28, 15
	s_cbranch_scc0 .LBB142_201
; %bb.197:
	global_load_ushort v2, v[0:1], off
	s_mov_b64 s[0:1], -1
	s_mov_b64 s[20:21], 0
	s_waitcnt vmcnt(0)
	v_lshlrev_b32_e32 v2, 16, v2
	s_branch .LBB142_202
.LBB142_198:
	s_mov_b64 s[18:19], -1
                                        ; implicit-def: $vgpr2
	s_branch .LBB142_203
.LBB142_199:
	s_or_saveexec_b64 s[18:19], s[18:19]
	v_mov_b32_e32 v2, 0x7f800001
	s_xor_b64 exec, exec, s[18:19]
	s_cbranch_execz .LBB142_181
.LBB142_200:
	v_cmp_ne_u16_e32 vcc, 0, v3
	s_andn2_b64 s[0:1], s[0:1], exec
	s_and_b64 s[24:25], vcc, exec
	v_mov_b32_e32 v2, 0
	s_or_b64 s[0:1], s[0:1], s[24:25]
	s_or_b64 exec, exec, s[18:19]
	s_and_saveexec_b64 s[18:19], s[0:1]
	s_cbranch_execnz .LBB142_182
	s_branch .LBB142_183
.LBB142_201:
	s_mov_b64 s[20:21], -1
                                        ; implicit-def: $vgpr2
.LBB142_202:
	s_mov_b64 s[18:19], 0
.LBB142_203:
	s_and_b64 vcc, exec, s[18:19]
	s_cbranch_vccz .LBB142_207
; %bb.204:
	s_cmp_eq_u32 s28, 11
	s_cbranch_scc0 .LBB142_206
; %bb.205:
	global_load_ubyte v2, v[0:1], off
	s_mov_b64 s[0:1], -1
	s_mov_b64 s[20:21], 0
	v_mov_b32_e32 v3, 0
	s_waitcnt vmcnt(0)
	v_cmp_ne_u16_e32 vcc, 0, v2
	v_cndmask_b32_e64 v2, 0, 1.0, vcc
	s_branch .LBB142_208
.LBB142_206:
	s_mov_b64 s[20:21], -1
                                        ; implicit-def: $vgpr2
.LBB142_207:
	v_mov_b32_e32 v3, 0
.LBB142_208:
	s_branch .LBB142_10
.LBB142_209:
	s_cmp_lt_i32 s28, 5
	s_cbranch_scc1 .LBB142_214
; %bb.210:
	s_cmp_lt_i32 s28, 8
	s_cbranch_scc1 .LBB142_215
; %bb.211:
	;; [unrolled: 3-line block ×3, first 2 shown]
	s_cmp_gt_i32 s28, 9
	s_cbranch_scc0 .LBB142_217
; %bb.213:
	global_load_dwordx4 v[5:8], v[0:1], off
	s_mov_b64 s[0:1], 0
	s_waitcnt vmcnt(0)
	v_cvt_f32_f64_e32 v2, v[5:6]
	v_cvt_f32_f64_e32 v3, v[7:8]
	s_branch .LBB142_218
.LBB142_214:
                                        ; implicit-def: $vgpr3
	s_branch .LBB142_237
.LBB142_215:
	s_mov_b64 s[0:1], -1
                                        ; implicit-def: $vgpr3
	s_branch .LBB142_224
.LBB142_216:
	s_mov_b64 s[0:1], -1
                                        ; implicit-def: $vgpr3
	s_branch .LBB142_221
.LBB142_217:
	s_mov_b64 s[0:1], -1
                                        ; implicit-def: $vgpr3
.LBB142_218:
	s_andn2_b64 vcc, exec, s[0:1]
	s_cbranch_vccnz .LBB142_220
; %bb.219:
	global_load_dwordx2 v[2:3], v[0:1], off
.LBB142_220:
	s_mov_b64 s[0:1], 0
.LBB142_221:
	s_andn2_b64 vcc, exec, s[0:1]
	s_cbranch_vccnz .LBB142_223
; %bb.222:
	global_load_dword v3, v[0:1], off
	s_waitcnt vmcnt(0)
	v_cvt_f32_f16_e32 v2, v3
	v_cvt_f32_f16_sdwa v3, v3 dst_sel:DWORD dst_unused:UNUSED_PAD src0_sel:WORD_1
.LBB142_223:
	s_mov_b64 s[0:1], 0
.LBB142_224:
	s_andn2_b64 vcc, exec, s[0:1]
	s_cbranch_vccnz .LBB142_236
; %bb.225:
	s_cmp_lt_i32 s28, 6
	s_cbranch_scc1 .LBB142_228
; %bb.226:
	s_cmp_gt_i32 s28, 6
	s_cbranch_scc0 .LBB142_229
; %bb.227:
	global_load_dwordx2 v[2:3], v[0:1], off
	s_mov_b64 s[0:1], 0
	s_waitcnt vmcnt(0)
	v_cvt_f32_f64_e32 v2, v[2:3]
	s_branch .LBB142_230
.LBB142_228:
	s_mov_b64 s[0:1], -1
                                        ; implicit-def: $vgpr2
	s_branch .LBB142_233
.LBB142_229:
	s_mov_b64 s[0:1], -1
                                        ; implicit-def: $vgpr2
.LBB142_230:
	s_andn2_b64 vcc, exec, s[0:1]
	s_cbranch_vccnz .LBB142_232
; %bb.231:
	global_load_dword v2, v[0:1], off
.LBB142_232:
	s_mov_b64 s[0:1], 0
.LBB142_233:
	s_andn2_b64 vcc, exec, s[0:1]
	s_cbranch_vccnz .LBB142_235
; %bb.234:
	global_load_ushort v2, v[0:1], off
	s_waitcnt vmcnt(0)
	v_cvt_f32_f16_e32 v2, v2
.LBB142_235:
	s_waitcnt vmcnt(0)
	v_mov_b32_e32 v3, 0
.LBB142_236:
	s_cbranch_execnz .LBB142_257
.LBB142_237:
	s_cmp_lt_i32 s28, 2
	s_cbranch_scc1 .LBB142_241
; %bb.238:
	s_cmp_lt_i32 s28, 3
	s_cbranch_scc1 .LBB142_242
; %bb.239:
	s_cmp_gt_i32 s28, 3
	s_cbranch_scc0 .LBB142_243
; %bb.240:
	global_load_dwordx2 v[2:3], v[0:1], off
	s_mov_b64 s[0:1], 0
	s_waitcnt vmcnt(0)
	v_xor_b32_e32 v6, v2, v3
	v_ffbh_i32_e32 v5, v3
	v_ashrrev_i32_e32 v6, 31, v6
	v_add_u32_e32 v5, -1, v5
	v_add_u32_e32 v6, 32, v6
	v_min_u32_e32 v5, v5, v6
	v_lshlrev_b64 v[2:3], v5, v[2:3]
	v_min_u32_e32 v2, 1, v2
	v_or_b32_e32 v2, v3, v2
	v_cvt_f32_i32_e32 v2, v2
	v_sub_u32_e32 v3, 32, v5
	v_ldexp_f32 v2, v2, v3
	s_branch .LBB142_244
.LBB142_241:
	s_mov_b64 s[0:1], -1
                                        ; implicit-def: $vgpr2
	s_branch .LBB142_250
.LBB142_242:
	s_mov_b64 s[0:1], -1
                                        ; implicit-def: $vgpr2
	s_branch .LBB142_247
.LBB142_243:
	s_mov_b64 s[0:1], -1
                                        ; implicit-def: $vgpr2
.LBB142_244:
	s_andn2_b64 vcc, exec, s[0:1]
	s_cbranch_vccnz .LBB142_246
; %bb.245:
	global_load_dword v2, v[0:1], off
	s_waitcnt vmcnt(0)
	v_cvt_f32_i32_e32 v2, v2
.LBB142_246:
	s_mov_b64 s[0:1], 0
.LBB142_247:
	s_andn2_b64 vcc, exec, s[0:1]
	s_cbranch_vccnz .LBB142_249
; %bb.248:
	global_load_sshort v2, v[0:1], off
	s_waitcnt vmcnt(0)
	v_cvt_f32_i32_e32 v2, v2
.LBB142_249:
	s_mov_b64 s[0:1], 0
.LBB142_250:
	s_andn2_b64 vcc, exec, s[0:1]
	s_cbranch_vccnz .LBB142_256
; %bb.251:
	s_cmp_gt_i32 s28, 0
	s_cbranch_scc0 .LBB142_253
; %bb.252:
	global_load_sbyte v2, v[0:1], off
	s_mov_b64 s[0:1], 0
	s_waitcnt vmcnt(0)
	v_cvt_f32_i32_e32 v2, v2
	s_branch .LBB142_254
.LBB142_253:
	s_mov_b64 s[0:1], -1
                                        ; implicit-def: $vgpr2
.LBB142_254:
	s_andn2_b64 vcc, exec, s[0:1]
	s_cbranch_vccnz .LBB142_256
; %bb.255:
	global_load_ubyte v0, v[0:1], off
	s_waitcnt vmcnt(0)
	v_cvt_f32_ubyte0_e32 v2, v0
.LBB142_256:
	s_waitcnt vmcnt(0)
	v_mov_b32_e32 v3, 0
.LBB142_257:
	s_branch .LBB142_11
.LBB142_258:
	s_mov_b64 s[0:1], 0
                                        ; implicit-def: $vgpr4
	s_mov_b64 s[24:25], 0
.LBB142_259:
	s_and_b64 s[18:19], s[0:1], exec
	s_and_b64 s[20:21], s[20:21], exec
	s_orn2_b64 s[24:25], s[24:25], exec
.LBB142_260:
	s_or_b64 exec, exec, s[22:23]
	s_mov_b64 s[28:29], 0
	s_mov_b64 s[0:1], 0
                                        ; implicit-def: $vgpr0_vgpr1
                                        ; implicit-def: $vgpr3
	s_and_saveexec_b64 s[22:23], s[24:25]
	s_cbranch_execz .LBB142_269
; %bb.261:
	v_cmp_gt_i32_e32 vcc, s44, v4
	s_mov_b64 s[0:1], -1
	s_mov_b64 s[24:25], s[20:21]
	s_mov_b64 s[26:27], s[18:19]
	s_and_saveexec_b64 s[28:29], vcc
	s_cbranch_execz .LBB142_530
; %bb.262:
	v_mul_lo_u32 v0, v4, s13
	v_mov_b32_e32 v1, s11
	s_and_b32 s34, 0xffff, s15
	s_cmp_lt_i32 s34, 11
	s_waitcnt vmcnt(0)
	v_ashrrev_i32_e32 v2, 31, v0
	v_add_co_u32_e32 v0, vcc, s10, v0
	v_addc_co_u32_e32 v1, vcc, v1, v2, vcc
	s_cbranch_scc1 .LBB142_272
; %bb.263:
	s_cmp_gt_i32 s34, 25
	s_cbranch_scc0 .LBB142_284
; %bb.264:
	s_cmp_gt_i32 s34, 28
	s_cbranch_scc0 .LBB142_287
; %bb.265:
	s_cmp_gt_i32 s34, 43
	s_cbranch_scc0 .LBB142_289
; %bb.266:
	s_cmp_gt_i32 s34, 45
	s_cbranch_scc0 .LBB142_293
; %bb.267:
	s_cmp_eq_u32 s34, 46
	s_mov_b64 s[26:27], 0
	s_cbranch_scc0 .LBB142_297
; %bb.268:
	global_load_dword v2, v[0:1], off
	s_mov_b64 s[24:25], 0
	s_waitcnt vmcnt(0)
	v_and_b32_e32 v3, 0xffff0000, v2
	v_lshlrev_b32_e32 v2, 16, v2
	s_branch .LBB142_298
.LBB142_269:
	s_or_b64 exec, exec, s[22:23]
	s_mov_b64 s[22:23], 0
	s_and_saveexec_b64 s[24:25], s[20:21]
	s_cbranch_execnz .LBB142_889
.LBB142_270:
	s_or_b64 exec, exec, s[24:25]
	s_and_saveexec_b64 s[20:21], s[26:27]
	s_xor_b64 s[20:21], exec, s[20:21]
	s_cbranch_execz .LBB142_890
.LBB142_271:
	global_load_ubyte v2, v[0:1], off
	s_waitcnt vmcnt(1)
	v_mov_b32_e32 v3, 0
	s_or_b64 s[0:1], s[0:1], exec
	s_waitcnt vmcnt(0)
	v_cmp_ne_u16_e32 vcc, 0, v2
	v_cndmask_b32_e64 v2, 0, 1.0, vcc
	s_or_b64 exec, exec, s[20:21]
	s_and_saveexec_b64 s[20:21], s[28:29]
	s_cbranch_execz .LBB142_938
	s_branch .LBB142_891
.LBB142_272:
	s_mov_b64 s[0:1], 0
                                        ; implicit-def: $vgpr3
	s_mov_b64 s[24:25], s[20:21]
	s_cbranch_execnz .LBB142_478
.LBB142_273:
	s_andn2_b64 vcc, exec, s[0:1]
	s_cbranch_vccnz .LBB142_528
.LBB142_274:
	s_andn2_b64 vcc, exec, s[16:17]
	s_cbranch_vccnz .LBB142_286
; %bb.275:
	s_waitcnt vmcnt(0)
	v_cmp_neq_f32_e32 vcc, s2, v2
	v_cmp_neq_f32_e64 s[0:1], s3, v3
	s_or_b64 s[26:27], vcc, s[0:1]
	s_cbranch_execnz .LBB142_277
.LBB142_276:
	s_waitcnt vmcnt(0)
	v_cmp_eq_f32_e32 vcc, s2, v2
	v_cmp_eq_f32_e64 s[0:1], s3, v3
	s_and_b64 s[0:1], vcc, s[0:1]
	s_andn2_b64 s[26:27], s[26:27], exec
	s_and_b64 s[0:1], s[0:1], exec
	s_or_b64 s[26:27], s[26:27], s[0:1]
.LBB142_277:
	v_mul_lo_u32 v0, v4, s12
	v_mov_b32_e32 v1, s9
	s_and_b32 s38, s33, 0xff
	s_cmp_lt_i32 s38, 11
	s_waitcnt vmcnt(0)
	v_ashrrev_i32_e32 v2, 31, v0
	v_add_co_u32_e32 v0, vcc, s8, v0
	v_addc_co_u32_e32 v1, vcc, v1, v2, vcc
	s_cbranch_scc1 .LBB142_285
; %bb.278:
	s_and_b32 s39, 0xffff, s38
	s_cmp_gt_i32 s39, 25
	s_cbranch_scc0 .LBB142_288
; %bb.279:
	s_cmp_gt_i32 s39, 28
	s_cbranch_scc0 .LBB142_290
; %bb.280:
	;; [unrolled: 3-line block ×4, first 2 shown]
	s_mov_b64 s[34:35], 0
	s_mov_b64 s[0:1], -1
	s_cmp_eq_u32 s39, 46
	s_mov_b64 s[30:31], 0
	s_cbranch_scc0 .LBB142_302
; %bb.283:
	v_cndmask_b32_e64 v2, 0, 1.0, s[26:27]
	v_bfe_u32 v3, v2, 16, 1
	s_movk_i32 s0, 0x7fff
	v_add3_u32 v2, v2, v3, s0
	v_lshrrev_b32_e32 v2, 16, v2
	global_store_dword v[0:1], v2, off
	s_mov_b64 s[30:31], -1
	s_mov_b64 s[0:1], 0
	s_branch .LBB142_302
.LBB142_284:
	s_mov_b64 s[26:27], -1
	s_mov_b64 s[0:1], 0
	s_mov_b64 s[24:25], s[20:21]
                                        ; implicit-def: $vgpr3
	s_branch .LBB142_441
.LBB142_285:
	s_mov_b64 s[34:35], -1
	s_mov_b64 s[30:31], 0
	s_mov_b64 s[0:1], s[18:19]
	s_branch .LBB142_371
.LBB142_286:
                                        ; implicit-def: $sgpr26_sgpr27
	s_branch .LBB142_276
.LBB142_287:
	s_mov_b64 s[26:27], -1
	s_mov_b64 s[0:1], 0
	s_mov_b64 s[24:25], s[20:21]
                                        ; implicit-def: $vgpr3
	s_branch .LBB142_422
.LBB142_288:
	s_mov_b64 s[34:35], -1
	s_mov_b64 s[30:31], 0
	s_mov_b64 s[0:1], s[18:19]
	s_branch .LBB142_329
.LBB142_289:
	s_mov_b64 s[26:27], -1
	s_mov_b64 s[0:1], 0
	s_mov_b64 s[24:25], s[20:21]
                                        ; implicit-def: $vgpr3
	s_branch .LBB142_416
.LBB142_290:
	s_mov_b64 s[34:35], -1
	s_mov_b64 s[30:31], 0
	s_mov_b64 s[0:1], s[18:19]
	s_branch .LBB142_312
.LBB142_291:
	s_andn2_saveexec_b64 s[30:31], s[30:31]
	s_cbranch_execz .LBB142_59
.LBB142_292:
	v_add_f32_e32 v2, 0x46000000, v3
	v_and_b32_e32 v2, 0xff, v2
	v_cmp_ne_u32_e32 vcc, 0, v2
	s_andn2_b64 s[28:29], s[28:29], exec
	s_and_b64 s[36:37], vcc, exec
	s_or_b64 s[28:29], s[28:29], s[36:37]
	s_or_b64 exec, exec, s[30:31]
	v_mov_b32_e32 v5, 0
	s_and_saveexec_b64 s[30:31], s[28:29]
	s_cbranch_execnz .LBB142_60
	s_branch .LBB142_61
.LBB142_293:
	s_mov_b64 s[26:27], -1
	s_mov_b64 s[0:1], 0
	s_mov_b64 s[24:25], s[20:21]
                                        ; implicit-def: $vgpr3
	s_branch .LBB142_298
.LBB142_294:
	s_mov_b64 s[34:35], -1
	s_mov_b64 s[30:31], 0
	s_mov_b64 s[0:1], s[18:19]
	s_branch .LBB142_308
.LBB142_295:
	s_andn2_saveexec_b64 s[30:31], s[30:31]
	s_cbranch_execz .LBB142_72
.LBB142_296:
	v_add_f32_e32 v2, 0x42800000, v3
	v_and_b32_e32 v2, 0xff, v2
	v_cmp_ne_u32_e32 vcc, 0, v2
	s_andn2_b64 s[28:29], s[28:29], exec
	s_and_b64 s[36:37], vcc, exec
	s_or_b64 s[28:29], s[28:29], s[36:37]
	s_or_b64 exec, exec, s[30:31]
	v_mov_b32_e32 v5, 0
	s_and_saveexec_b64 s[30:31], s[28:29]
	s_cbranch_execnz .LBB142_73
	s_branch .LBB142_74
.LBB142_297:
	s_mov_b64 s[24:25], -1
                                        ; implicit-def: $vgpr3
	s_mov_b64 s[0:1], 0
.LBB142_298:
	s_and_b64 vcc, exec, s[26:27]
	s_cbranch_vccz .LBB142_415
; %bb.299:
	s_cmp_eq_u32 s34, 44
	s_cbranch_scc0 .LBB142_413
; %bb.300:
	global_load_ubyte v2, v[0:1], off
	s_movk_i32 s24, 0xff
	v_mov_b32_e32 v3, 0x7f800001
	v_mov_b32_e32 v5, 0x400000
	s_mov_b64 s[0:1], -1
	s_waitcnt vmcnt(0)
	v_lshlrev_b32_e32 v6, 23, v2
	v_cmp_ne_u32_e32 vcc, s24, v2
	v_cndmask_b32_e32 v3, v3, v6, vcc
	v_cmp_ne_u32_e32 vcc, 0, v2
	v_cndmask_b32_e32 v2, v5, v3, vcc
	s_mov_b64 s[24:25], 0
	s_branch .LBB142_414
.LBB142_301:
	s_mov_b64 s[34:35], -1
	s_mov_b64 s[30:31], 0
	s_mov_b64 s[0:1], s[18:19]
.LBB142_302:
	s_and_b64 vcc, exec, s[34:35]
	s_cbranch_vccz .LBB142_307
; %bb.303:
	s_cmp_eq_u32 s39, 44
	s_mov_b64 s[0:1], -1
	s_cbranch_scc0 .LBB142_307
; %bb.304:
	v_cndmask_b32_e64 v3, 0, 1.0, s[26:27]
	v_lshrrev_b32_e32 v2, 23, v3
	s_movk_i32 s0, 0xff
	v_cmp_ne_u32_e32 vcc, s0, v2
	v_mov_b32_e32 v5, 0xff
	s_and_saveexec_b64 s[30:31], vcc
; %bb.305:
	s_mov_b32 s0, 0x3fffff
	v_and_b32_e32 v5, 0x400000, v3
	v_and_or_b32 v3, v3, s0, v2
	v_cmp_ne_u32_e32 vcc, 0, v5
	v_cmp_ne_u32_e64 s[0:1], 0, v3
	s_and_b64 s[0:1], vcc, s[0:1]
	v_cndmask_b32_e64 v3, 0, 1, s[0:1]
	v_add_u32_e32 v5, v2, v3
; %bb.306:
	s_or_b64 exec, exec, s[30:31]
	s_mov_b64 s[30:31], -1
	s_mov_b64 s[0:1], 0
	global_store_byte v[0:1], v5, off
.LBB142_307:
	s_mov_b64 s[34:35], 0
.LBB142_308:
	s_and_b64 vcc, exec, s[34:35]
	s_cbranch_vccz .LBB142_311
; %bb.309:
	s_cmp_eq_u32 s39, 29
	s_mov_b64 s[0:1], -1
	s_cbranch_scc0 .LBB142_311
; %bb.310:
	s_mov_b32 s0, 0
	v_cndmask_b32_e64 v2, 0, 1, s[26:27]
	v_mov_b32_e32 v3, s0
	global_store_dwordx2 v[0:1], v[2:3], off
	s_mov_b64 s[30:31], -1
	s_mov_b64 s[0:1], 0
.LBB142_311:
	s_mov_b64 s[34:35], 0
.LBB142_312:
	s_and_b64 vcc, exec, s[34:35]
	s_cbranch_vccz .LBB142_328
; %bb.313:
	s_cmp_lt_i32 s39, 27
	s_mov_b64 s[30:31], -1
	s_cbranch_scc1 .LBB142_319
; %bb.314:
	s_cmp_gt_i32 s39, 27
	s_cbranch_scc0 .LBB142_316
; %bb.315:
	v_cndmask_b32_e64 v2, 0, 1, s[26:27]
	s_mov_b64 s[30:31], 0
	global_store_dword v[0:1], v2, off
.LBB142_316:
	s_andn2_b64 vcc, exec, s[30:31]
	s_cbranch_vccnz .LBB142_318
; %bb.317:
	v_cndmask_b32_e64 v2, 0, 1, s[26:27]
	global_store_short v[0:1], v2, off
.LBB142_318:
	s_mov_b64 s[30:31], 0
.LBB142_319:
	s_andn2_b64 vcc, exec, s[30:31]
	s_cbranch_vccnz .LBB142_327
; %bb.320:
	v_cndmask_b32_e64 v3, 0, 1.0, s[26:27]
	s_mov_b32 s30, 0x43800000
	v_cmp_gt_u32_e32 vcc, s30, v3
	v_mov_b32_e32 v5, 0x80
	s_and_saveexec_b64 s[30:31], vcc
	s_cbranch_execz .LBB142_326
; %bb.321:
	s_mov_b32 s34, 0x3bffffff
	v_cmp_lt_u32_e32 vcc, s34, v3
	s_mov_b64 s[34:35], 0
                                        ; implicit-def: $vgpr2
	s_and_saveexec_b64 s[36:37], vcc
	s_xor_b64 s[36:37], exec, s[36:37]
	s_cbranch_execz .LBB142_543
; %bb.322:
	v_bfe_u32 v2, v3, 20, 1
	s_mov_b32 s40, 0x487ffff
	v_add3_u32 v2, v3, v2, s40
	s_mov_b64 s[34:35], exec
	v_lshrrev_b32_e32 v2, 20, v2
                                        ; implicit-def: $vgpr3
	s_andn2_saveexec_b64 s[36:37], s[36:37]
	s_cbranch_execnz .LBB142_544
.LBB142_323:
	s_or_b64 exec, exec, s[36:37]
	v_mov_b32_e32 v5, 0
	s_and_saveexec_b64 s[36:37], s[34:35]
.LBB142_324:
	v_mov_b32_e32 v5, v2
.LBB142_325:
	s_or_b64 exec, exec, s[36:37]
.LBB142_326:
	s_or_b64 exec, exec, s[30:31]
	global_store_byte v[0:1], v5, off
.LBB142_327:
	s_mov_b64 s[30:31], -1
.LBB142_328:
	s_mov_b64 s[34:35], 0
.LBB142_329:
	s_and_b64 vcc, exec, s[34:35]
	s_cbranch_vccz .LBB142_370
; %bb.330:
	s_cmp_gt_i32 s39, 22
	s_mov_b64 s[34:35], -1
	s_cbranch_scc0 .LBB142_362
; %bb.331:
	s_cmp_lt_i32 s39, 24
	s_mov_b64 s[30:31], -1
	s_cbranch_scc1 .LBB142_351
; %bb.332:
	s_cmp_gt_i32 s39, 24
	s_cbranch_scc0 .LBB142_340
; %bb.333:
	v_cndmask_b32_e64 v3, 0, 1.0, s[26:27]
	s_mov_b32 s30, 0x47800000
	v_cmp_gt_u32_e32 vcc, s30, v3
	v_mov_b32_e32 v5, 0x80
	s_and_saveexec_b64 s[30:31], vcc
	s_cbranch_execz .LBB142_339
; %bb.334:
	s_mov_b32 s34, 0x37ffffff
	v_cmp_lt_u32_e32 vcc, s34, v3
	s_mov_b64 s[34:35], 0
                                        ; implicit-def: $vgpr2
	s_and_saveexec_b64 s[36:37], vcc
	s_xor_b64 s[36:37], exec, s[36:37]
	s_cbranch_execz .LBB142_546
; %bb.335:
	v_bfe_u32 v2, v3, 21, 1
	s_mov_b32 s40, 0x88fffff
	v_add3_u32 v2, v3, v2, s40
	s_mov_b64 s[34:35], exec
	v_lshrrev_b32_e32 v2, 21, v2
                                        ; implicit-def: $vgpr3
	s_andn2_saveexec_b64 s[36:37], s[36:37]
	s_cbranch_execnz .LBB142_547
.LBB142_336:
	s_or_b64 exec, exec, s[36:37]
	v_mov_b32_e32 v5, 0
	s_and_saveexec_b64 s[36:37], s[34:35]
.LBB142_337:
	v_mov_b32_e32 v5, v2
.LBB142_338:
	s_or_b64 exec, exec, s[36:37]
.LBB142_339:
	s_or_b64 exec, exec, s[30:31]
	s_mov_b64 s[30:31], 0
	global_store_byte v[0:1], v5, off
.LBB142_340:
	s_and_b64 vcc, exec, s[30:31]
	s_cbranch_vccz .LBB142_350
; %bb.341:
	v_cndmask_b32_e64 v2, 0, 1.0, s[26:27]
	s_mov_b32 s30, 0x43f00000
	v_cmp_gt_u32_e32 vcc, s30, v2
                                        ; implicit-def: $vgpr3
	s_and_saveexec_b64 s[30:31], vcc
	s_xor_b64 s[30:31], exec, s[30:31]
	s_cbranch_execz .LBB142_347
; %bb.342:
	s_mov_b32 s34, 0x3c7fffff
	v_cmp_lt_u32_e32 vcc, s34, v2
                                        ; implicit-def: $vgpr3
	s_and_saveexec_b64 s[34:35], vcc
	s_xor_b64 s[34:35], exec, s[34:35]
; %bb.343:
	v_bfe_u32 v3, v2, 20, 1
	s_mov_b32 s36, 0x407ffff
	v_add3_u32 v2, v2, v3, s36
	v_lshrrev_b32_e32 v3, 20, v2
	v_and_b32_e32 v2, 0xff00000, v2
	s_mov_b32 s36, 0x7f00000
	v_mov_b32_e32 v5, 0x7e
	v_cmp_ne_u32_e32 vcc, s36, v2
	v_cndmask_b32_e32 v3, v5, v3, vcc
                                        ; implicit-def: $vgpr2
; %bb.344:
	s_andn2_saveexec_b64 s[34:35], s[34:35]
; %bb.345:
	v_add_f32_e32 v3, 0x46800000, v2
; %bb.346:
	s_or_b64 exec, exec, s[34:35]
                                        ; implicit-def: $vgpr2
.LBB142_347:
	s_andn2_saveexec_b64 s[30:31], s[30:31]
; %bb.348:
	s_mov_b32 s34, 0x7f800000
	v_mov_b32_e32 v3, 0x7e
	v_mov_b32_e32 v5, 0x7f
	v_cmp_lt_u32_e32 vcc, s34, v2
	v_cndmask_b32_e32 v3, v3, v5, vcc
; %bb.349:
	s_or_b64 exec, exec, s[30:31]
	global_store_byte v[0:1], v3, off
.LBB142_350:
	s_mov_b64 s[30:31], 0
.LBB142_351:
	s_andn2_b64 vcc, exec, s[30:31]
	s_cbranch_vccnz .LBB142_361
; %bb.352:
	v_cndmask_b32_e64 v2, 0, 1.0, s[26:27]
	s_mov_b32 s30, 0x47800000
	v_cmp_gt_u32_e32 vcc, s30, v2
                                        ; implicit-def: $vgpr3
	s_and_saveexec_b64 s[30:31], vcc
	s_xor_b64 s[30:31], exec, s[30:31]
	s_cbranch_execz .LBB142_358
; %bb.353:
	s_mov_b32 s34, 0x387fffff
	v_cmp_lt_u32_e32 vcc, s34, v2
                                        ; implicit-def: $vgpr3
	s_and_saveexec_b64 s[34:35], vcc
	s_xor_b64 s[34:35], exec, s[34:35]
; %bb.354:
	v_bfe_u32 v3, v2, 21, 1
	s_mov_b32 s36, 0x80fffff
	v_add3_u32 v2, v2, v3, s36
	v_lshrrev_b32_e32 v3, 21, v2
                                        ; implicit-def: $vgpr2
; %bb.355:
	s_andn2_saveexec_b64 s[34:35], s[34:35]
; %bb.356:
	v_add_f32_e32 v3, 0x43000000, v2
; %bb.357:
	s_or_b64 exec, exec, s[34:35]
                                        ; implicit-def: $vgpr2
.LBB142_358:
	s_andn2_saveexec_b64 s[30:31], s[30:31]
; %bb.359:
	s_mov_b32 s34, 0x7f800000
	v_mov_b32_e32 v3, 0x7c
	v_mov_b32_e32 v5, 0x7f
	v_cmp_lt_u32_e32 vcc, s34, v2
	v_cndmask_b32_e32 v3, v3, v5, vcc
; %bb.360:
	s_or_b64 exec, exec, s[30:31]
	global_store_byte v[0:1], v3, off
.LBB142_361:
	s_mov_b64 s[34:35], 0
	s_mov_b64 s[30:31], -1
.LBB142_362:
	s_andn2_b64 vcc, exec, s[34:35]
	s_cbranch_vccnz .LBB142_370
; %bb.363:
	s_cmp_gt_i32 s39, 14
	s_mov_b64 s[34:35], -1
	s_cbranch_scc0 .LBB142_367
; %bb.364:
	s_cmp_eq_u32 s39, 15
	s_mov_b64 s[0:1], -1
	s_cbranch_scc0 .LBB142_366
; %bb.365:
	v_cndmask_b32_e64 v2, 0, 1.0, s[26:27]
	v_bfe_u32 v3, v2, 16, 1
	s_movk_i32 s0, 0x7fff
	v_add3_u32 v2, v2, v3, s0
	global_store_short_d16_hi v[0:1], v2, off
	s_mov_b64 s[30:31], -1
	s_mov_b64 s[0:1], 0
.LBB142_366:
	s_mov_b64 s[34:35], 0
.LBB142_367:
	s_and_b64 vcc, exec, s[34:35]
	s_cbranch_vccz .LBB142_370
; %bb.368:
	s_cmp_eq_u32 s39, 11
	s_mov_b64 s[0:1], -1
	s_cbranch_scc0 .LBB142_370
; %bb.369:
	v_cndmask_b32_e64 v2, 0, 1, s[26:27]
	s_mov_b64 s[30:31], -1
	s_mov_b64 s[0:1], 0
	global_store_byte v[0:1], v2, off
.LBB142_370:
	s_mov_b64 s[34:35], 0
.LBB142_371:
	s_and_b64 vcc, exec, s[34:35]
	s_cbranch_vccz .LBB142_410
; %bb.372:
	s_and_b32 s34, 0xffff, s38
	s_cmp_lt_i32 s34, 5
	s_mov_b64 s[30:31], -1
	s_cbranch_scc1 .LBB142_393
; %bb.373:
	s_cmp_lt_i32 s34, 8
	s_cbranch_scc1 .LBB142_383
; %bb.374:
	s_cmp_lt_i32 s34, 9
	s_cbranch_scc1 .LBB142_380
; %bb.375:
	s_cmp_gt_i32 s34, 9
	s_cbranch_scc0 .LBB142_377
; %bb.376:
	v_cndmask_b32_e64 v2, 0, 1, s[26:27]
	v_cvt_f64_u32_e32 v[5:6], v2
	v_mov_b32_e32 v7, 0
	v_mov_b32_e32 v8, v7
	s_mov_b64 s[30:31], 0
	global_store_dwordx4 v[0:1], v[5:8], off
.LBB142_377:
	s_andn2_b64 vcc, exec, s[30:31]
	s_cbranch_vccnz .LBB142_379
; %bb.378:
	v_cndmask_b32_e64 v2, 0, 1.0, s[26:27]
	v_mov_b32_e32 v3, 0
	global_store_dwordx2 v[0:1], v[2:3], off
.LBB142_379:
	s_mov_b64 s[30:31], 0
.LBB142_380:
	s_andn2_b64 vcc, exec, s[30:31]
	s_cbranch_vccnz .LBB142_382
; %bb.381:
	v_cndmask_b32_e64 v2, 0, 1.0, s[26:27]
	v_cvt_f16_f32_e32 v2, v2
	global_store_dword v[0:1], v2, off
.LBB142_382:
	s_mov_b64 s[30:31], 0
.LBB142_383:
	s_andn2_b64 vcc, exec, s[30:31]
	s_cbranch_vccnz .LBB142_392
; %bb.384:
	s_cmp_lt_i32 s34, 6
	s_mov_b64 s[30:31], -1
	s_cbranch_scc1 .LBB142_390
; %bb.385:
	s_cmp_gt_i32 s34, 6
	s_cbranch_scc0 .LBB142_387
; %bb.386:
	v_cndmask_b32_e64 v2, 0, 1, s[26:27]
	v_cvt_f64_u32_e32 v[2:3], v2
	s_mov_b64 s[30:31], 0
	global_store_dwordx2 v[0:1], v[2:3], off
.LBB142_387:
	s_andn2_b64 vcc, exec, s[30:31]
	s_cbranch_vccnz .LBB142_389
; %bb.388:
	v_cndmask_b32_e64 v2, 0, 1.0, s[26:27]
	global_store_dword v[0:1], v2, off
.LBB142_389:
	s_mov_b64 s[30:31], 0
.LBB142_390:
	s_andn2_b64 vcc, exec, s[30:31]
	s_cbranch_vccnz .LBB142_392
; %bb.391:
	v_cndmask_b32_e64 v2, 0, 1.0, s[26:27]
	v_cvt_f16_f32_e32 v2, v2
	global_store_short v[0:1], v2, off
.LBB142_392:
	s_mov_b64 s[30:31], 0
.LBB142_393:
	s_andn2_b64 vcc, exec, s[30:31]
	s_cbranch_vccnz .LBB142_409
; %bb.394:
	s_cmp_lt_i32 s34, 2
	s_mov_b64 s[30:31], -1
	s_cbranch_scc1 .LBB142_404
; %bb.395:
	s_cmp_lt_i32 s34, 3
	s_cbranch_scc1 .LBB142_401
; %bb.396:
	s_cmp_gt_i32 s34, 3
	s_cbranch_scc0 .LBB142_398
; %bb.397:
	s_mov_b32 s30, 0
	v_cndmask_b32_e64 v2, 0, 1, s[26:27]
	v_mov_b32_e32 v3, s30
	s_mov_b64 s[30:31], 0
	global_store_dwordx2 v[0:1], v[2:3], off
.LBB142_398:
	s_andn2_b64 vcc, exec, s[30:31]
	s_cbranch_vccnz .LBB142_400
; %bb.399:
	v_cndmask_b32_e64 v2, 0, 1, s[26:27]
	global_store_dword v[0:1], v2, off
.LBB142_400:
	s_mov_b64 s[30:31], 0
.LBB142_401:
	s_andn2_b64 vcc, exec, s[30:31]
	s_cbranch_vccnz .LBB142_403
; %bb.402:
	v_cndmask_b32_e64 v2, 0, 1, s[26:27]
	global_store_short v[0:1], v2, off
.LBB142_403:
	s_mov_b64 s[30:31], 0
.LBB142_404:
	s_andn2_b64 vcc, exec, s[30:31]
	s_cbranch_vccnz .LBB142_409
; %bb.405:
	s_mov_b64 s[30:31], -1
	s_cmp_gt_i32 s34, 0
	v_cndmask_b32_e64 v2, 0, 1, s[26:27]
	s_cbranch_scc0 .LBB142_407
; %bb.406:
	s_mov_b64 s[30:31], 0
	global_store_byte v[0:1], v2, off
.LBB142_407:
	s_andn2_b64 vcc, exec, s[30:31]
	s_cbranch_vccnz .LBB142_409
; %bb.408:
	global_store_byte v[0:1], v2, off
.LBB142_409:
	s_mov_b64 s[30:31], -1
.LBB142_410:
	s_andn2_b64 vcc, exec, s[30:31]
	s_cbranch_vccnz .LBB142_412
; %bb.411:
	v_add_u32_e32 v4, 0x80, v4
	s_mov_b64 s[30:31], -1
	s_branch .LBB142_529
.LBB142_412:
	s_mov_b64 s[30:31], 0
                                        ; implicit-def: $vgpr4
	s_branch .LBB142_529
.LBB142_413:
	s_mov_b64 s[24:25], -1
                                        ; implicit-def: $vgpr2
.LBB142_414:
	v_mov_b32_e32 v3, 0
.LBB142_415:
	s_mov_b64 s[26:27], 0
.LBB142_416:
	s_and_b64 vcc, exec, s[26:27]
	s_cbranch_vccz .LBB142_421
; %bb.417:
	s_cmp_eq_u32 s34, 29
	s_cbranch_scc0 .LBB142_419
; %bb.418:
	global_load_dwordx2 v[2:3], v[0:1], off
	s_mov_b64 s[0:1], -1
	s_mov_b64 s[24:25], 0
	s_waitcnt vmcnt(0)
	v_ffbh_u32_e32 v5, v3
	v_min_u32_e32 v5, 32, v5
	v_lshlrev_b64 v[2:3], v5, v[2:3]
	v_min_u32_e32 v2, 1, v2
	v_or_b32_e32 v2, v3, v2
	v_cvt_f32_u32_e32 v2, v2
	v_sub_u32_e32 v3, 32, v5
	v_ldexp_f32 v2, v2, v3
	s_branch .LBB142_420
.LBB142_419:
	s_mov_b64 s[24:25], -1
                                        ; implicit-def: $vgpr2
.LBB142_420:
	v_mov_b32_e32 v3, 0
.LBB142_421:
	s_mov_b64 s[26:27], 0
.LBB142_422:
	s_and_b64 vcc, exec, s[26:27]
	s_cbranch_vccz .LBB142_440
; %bb.423:
	s_cmp_lt_i32 s34, 27
	s_cbranch_scc1 .LBB142_426
; %bb.424:
	s_cmp_gt_i32 s34, 27
	s_cbranch_scc0 .LBB142_427
; %bb.425:
	global_load_dword v2, v[0:1], off
	s_mov_b64 s[0:1], 0
	s_waitcnt vmcnt(0)
	v_cvt_f32_u32_e32 v2, v2
	s_branch .LBB142_428
.LBB142_426:
	s_mov_b64 s[0:1], -1
                                        ; implicit-def: $vgpr2
	s_branch .LBB142_431
.LBB142_427:
	s_mov_b64 s[0:1], -1
                                        ; implicit-def: $vgpr2
.LBB142_428:
	s_andn2_b64 vcc, exec, s[0:1]
	s_cbranch_vccnz .LBB142_430
; %bb.429:
	global_load_ushort v2, v[0:1], off
	s_waitcnt vmcnt(0)
	v_cvt_f32_u32_e32 v2, v2
.LBB142_430:
	s_mov_b64 s[0:1], 0
.LBB142_431:
	s_andn2_b64 vcc, exec, s[0:1]
	s_cbranch_vccnz .LBB142_439
; %bb.432:
	global_load_ubyte v3, v[0:1], off
	s_movk_i32 s0, 0x7f
	s_waitcnt vmcnt(0)
	v_cmp_lt_i16_e32 vcc, s0, v3
	s_mov_b64 s[0:1], 0
	s_and_saveexec_b64 s[26:27], vcc
	s_xor_b64 s[26:27], exec, s[26:27]
	s_cbranch_execz .LBB142_453
; %bb.433:
	s_movk_i32 s0, 0x80
	v_cmp_eq_u16_e32 vcc, s0, v3
	s_mov_b64 s[0:1], -1
	s_and_saveexec_b64 s[30:31], vcc
; %bb.434:
	s_xor_b64 s[0:1], exec, -1
; %bb.435:
	s_or_b64 exec, exec, s[30:31]
	s_and_b64 s[0:1], s[0:1], exec
	s_or_saveexec_b64 s[26:27], s[26:27]
	v_mov_b32_e32 v2, 0x7f800001
	s_xor_b64 exec, exec, s[26:27]
	s_cbranch_execnz .LBB142_454
.LBB142_436:
	s_or_b64 exec, exec, s[26:27]
	s_and_saveexec_b64 s[26:27], s[0:1]
	s_cbranch_execz .LBB142_438
.LBB142_437:
	v_lshlrev_b32_e32 v2, 24, v3
	v_and_b32_e32 v3, 0xffff, v3
	v_and_b32_e32 v5, 7, v3
	v_ffbh_u32_e32 v7, v5
	v_min_u32_e32 v7, 32, v7
	v_subrev_u32_e32 v8, 28, v7
	v_bfe_u32 v6, v3, 3, 4
	v_lshlrev_b32_e32 v3, v8, v3
	v_sub_u32_e32 v7, 29, v7
	v_and_b32_e32 v3, 7, v3
	v_cmp_eq_u32_e32 vcc, 0, v6
	v_cndmask_b32_e32 v6, v6, v7, vcc
	v_cndmask_b32_e32 v3, v5, v3, vcc
	v_mov_b32_e32 v5, 0x3b800000
	v_lshlrev_b32_e32 v3, 20, v3
	v_and_b32_e32 v2, 0x80000000, v2
	v_lshl_add_u32 v5, v6, 23, v5
	v_or3_b32 v2, v2, v5, v3
.LBB142_438:
	s_or_b64 exec, exec, s[26:27]
.LBB142_439:
	s_mov_b64 s[0:1], -1
	v_mov_b32_e32 v3, 0
.LBB142_440:
	s_mov_b64 s[26:27], 0
.LBB142_441:
	s_and_b64 vcc, exec, s[26:27]
	s_cbranch_vccz .LBB142_477
; %bb.442:
	s_cmp_gt_i32 s34, 22
	s_cbranch_scc0 .LBB142_452
; %bb.443:
	s_cmp_lt_i32 s34, 24
	s_cbranch_scc1 .LBB142_455
; %bb.444:
	s_cmp_gt_i32 s34, 24
	s_cbranch_scc0 .LBB142_456
; %bb.445:
	global_load_ubyte v3, v[0:1], off
	s_movk_i32 s0, 0x7f
	s_waitcnt vmcnt(0)
	v_cmp_lt_i16_e32 vcc, s0, v3
	s_mov_b64 s[0:1], 0
	s_and_saveexec_b64 s[26:27], vcc
	s_xor_b64 s[26:27], exec, s[26:27]
	s_cbranch_execz .LBB142_468
; %bb.446:
	s_movk_i32 s0, 0x80
	v_cmp_eq_u16_e32 vcc, s0, v3
	s_mov_b64 s[0:1], -1
	s_and_saveexec_b64 s[30:31], vcc
; %bb.447:
	s_xor_b64 s[0:1], exec, -1
; %bb.448:
	s_or_b64 exec, exec, s[30:31]
	s_and_b64 s[0:1], s[0:1], exec
	s_or_saveexec_b64 s[26:27], s[26:27]
	v_mov_b32_e32 v2, 0x7f800001
	s_xor_b64 exec, exec, s[26:27]
	s_cbranch_execnz .LBB142_469
.LBB142_449:
	s_or_b64 exec, exec, s[26:27]
	s_and_saveexec_b64 s[26:27], s[0:1]
	s_cbranch_execz .LBB142_451
.LBB142_450:
	v_lshlrev_b32_e32 v2, 24, v3
	v_and_b32_e32 v3, 0xffff, v3
	v_and_b32_e32 v5, 3, v3
	v_ffbh_u32_e32 v7, v5
	v_min_u32_e32 v7, 32, v7
	v_subrev_u32_e32 v8, 29, v7
	v_bfe_u32 v6, v3, 2, 5
	v_lshlrev_b32_e32 v3, v8, v3
	v_sub_u32_e32 v7, 30, v7
	v_and_b32_e32 v3, 3, v3
	v_cmp_eq_u32_e32 vcc, 0, v6
	v_cndmask_b32_e32 v6, v6, v7, vcc
	v_cndmask_b32_e32 v3, v5, v3, vcc
	v_mov_b32_e32 v5, 0x37800000
	v_lshlrev_b32_e32 v3, 21, v3
	v_and_b32_e32 v2, 0x80000000, v2
	v_lshl_add_u32 v5, v6, 23, v5
	v_or3_b32 v2, v2, v5, v3
.LBB142_451:
	s_or_b64 exec, exec, s[26:27]
	s_mov_b64 s[0:1], 0
	s_branch .LBB142_457
.LBB142_452:
	s_mov_b64 s[26:27], -1
                                        ; implicit-def: $vgpr2
	s_branch .LBB142_463
.LBB142_453:
	s_or_saveexec_b64 s[26:27], s[26:27]
	v_mov_b32_e32 v2, 0x7f800001
	s_xor_b64 exec, exec, s[26:27]
	s_cbranch_execz .LBB142_436
.LBB142_454:
	v_cmp_ne_u16_e32 vcc, 0, v3
	s_andn2_b64 s[0:1], s[0:1], exec
	s_and_b64 s[30:31], vcc, exec
	v_mov_b32_e32 v2, 0
	s_or_b64 s[0:1], s[0:1], s[30:31]
	s_or_b64 exec, exec, s[26:27]
	s_and_saveexec_b64 s[26:27], s[0:1]
	s_cbranch_execnz .LBB142_437
	s_branch .LBB142_438
.LBB142_455:
	s_mov_b64 s[0:1], -1
                                        ; implicit-def: $vgpr2
	s_branch .LBB142_460
.LBB142_456:
	s_mov_b64 s[0:1], -1
                                        ; implicit-def: $vgpr2
.LBB142_457:
	s_and_b64 vcc, exec, s[0:1]
	s_cbranch_vccz .LBB142_459
; %bb.458:
	global_load_ubyte v2, v[0:1], off
	s_mov_b32 s0, 0x7f800000
	s_waitcnt vmcnt(0)
	v_lshlrev_b32_e32 v2, 24, v2
	v_and_b32_e32 v3, 0x7f000000, v2
	v_ffbh_u32_e32 v5, v3
	v_min_u32_e32 v5, 32, v5
	v_sub_u32_e64 v5, v5, 4 clamp
	v_lshlrev_b32_e32 v7, v5, v3
	v_lshlrev_b32_e32 v5, 23, v5
	v_lshrrev_b32_e32 v7, 4, v7
	v_add_u32_e32 v6, 0x1000000, v3
	v_sub_u32_e32 v5, v7, v5
	v_ashrrev_i32_e32 v6, 8, v6
	v_add_u32_e32 v5, 0x3c000000, v5
	v_and_or_b32 v5, v6, s0, v5
	v_cmp_ne_u32_e32 vcc, 0, v3
	v_cndmask_b32_e32 v3, 0, v5, vcc
	s_brev_b32 s0, 1
	v_and_or_b32 v2, v2, s0, v3
.LBB142_459:
	s_mov_b64 s[0:1], 0
.LBB142_460:
	s_andn2_b64 vcc, exec, s[0:1]
	s_cbranch_vccnz .LBB142_462
; %bb.461:
	global_load_ubyte v2, v[0:1], off
	s_movk_i32 s0, 0x7f00
	s_brev_b32 s1, 16
	s_waitcnt vmcnt(0)
	v_lshlrev_b16_e32 v3, 8, v2
	v_lshlrev_b32_e32 v2, 25, v2
	v_lshrrev_b32_e32 v5, 4, v2
	v_and_or_b32 v6, v3, s0, 0.5
	v_or_b32_e32 v5, 0x70000000, v5
	v_add_f32_e32 v6, -0.5, v6
	v_mul_f32_e32 v5, 0x7800000, v5
	v_cmp_gt_u32_e32 vcc, s1, v2
	v_bfe_i32 v3, v3, 0, 16
	v_cndmask_b32_e32 v2, v5, v6, vcc
	s_brev_b32 s0, 1
	v_and_or_b32 v2, v3, s0, v2
.LBB142_462:
	s_mov_b64 s[26:27], 0
	s_mov_b64 s[0:1], -1
.LBB142_463:
	s_andn2_b64 vcc, exec, s[26:27]
	s_cbranch_vccnz .LBB142_476
; %bb.464:
	s_cmp_gt_i32 s34, 14
	s_cbranch_scc0 .LBB142_467
; %bb.465:
	s_cmp_eq_u32 s34, 15
	s_cbranch_scc0 .LBB142_470
; %bb.466:
	global_load_ushort v2, v[0:1], off
	s_mov_b64 s[0:1], -1
	s_mov_b64 s[24:25], 0
	s_waitcnt vmcnt(0)
	v_lshlrev_b32_e32 v2, 16, v2
	s_branch .LBB142_471
.LBB142_467:
	s_mov_b64 s[26:27], -1
                                        ; implicit-def: $vgpr2
	s_branch .LBB142_472
.LBB142_468:
	s_or_saveexec_b64 s[26:27], s[26:27]
	v_mov_b32_e32 v2, 0x7f800001
	s_xor_b64 exec, exec, s[26:27]
	s_cbranch_execz .LBB142_449
.LBB142_469:
	v_cmp_ne_u16_e32 vcc, 0, v3
	s_andn2_b64 s[0:1], s[0:1], exec
	s_and_b64 s[30:31], vcc, exec
	v_mov_b32_e32 v2, 0
	s_or_b64 s[0:1], s[0:1], s[30:31]
	s_or_b64 exec, exec, s[26:27]
	s_and_saveexec_b64 s[26:27], s[0:1]
	s_cbranch_execnz .LBB142_450
	s_branch .LBB142_451
.LBB142_470:
	s_mov_b64 s[24:25], -1
                                        ; implicit-def: $vgpr2
.LBB142_471:
	s_mov_b64 s[26:27], 0
.LBB142_472:
	s_and_b64 vcc, exec, s[26:27]
	s_cbranch_vccz .LBB142_476
; %bb.473:
	s_cmp_eq_u32 s34, 11
	s_cbranch_scc0 .LBB142_475
; %bb.474:
	global_load_ubyte v2, v[0:1], off
	s_mov_b64 s[0:1], -1
	s_mov_b64 s[24:25], 0
	v_mov_b32_e32 v3, 0
	s_waitcnt vmcnt(0)
	v_cmp_ne_u16_e32 vcc, 0, v2
	v_cndmask_b32_e64 v2, 0, 1.0, vcc
	s_branch .LBB142_477
.LBB142_475:
	s_mov_b64 s[24:25], -1
                                        ; implicit-def: $vgpr2
.LBB142_476:
	v_mov_b32_e32 v3, 0
.LBB142_477:
	s_branch .LBB142_273
.LBB142_478:
	s_cmp_lt_i32 s34, 5
	s_cbranch_scc1 .LBB142_483
; %bb.479:
	s_cmp_lt_i32 s34, 8
	s_cbranch_scc1 .LBB142_484
; %bb.480:
	;; [unrolled: 3-line block ×3, first 2 shown]
	s_cmp_gt_i32 s34, 9
	s_cbranch_scc0 .LBB142_486
; %bb.482:
	global_load_dwordx4 v[5:8], v[0:1], off
	s_mov_b64 s[0:1], 0
	s_waitcnt vmcnt(0)
	v_cvt_f32_f64_e32 v2, v[5:6]
	v_cvt_f32_f64_e32 v3, v[7:8]
	s_branch .LBB142_487
.LBB142_483:
	s_mov_b64 s[0:1], -1
                                        ; implicit-def: $vgpr3
	s_branch .LBB142_506
.LBB142_484:
	s_mov_b64 s[0:1], -1
                                        ; implicit-def: $vgpr3
	s_branch .LBB142_493
.LBB142_485:
	s_mov_b64 s[0:1], -1
                                        ; implicit-def: $vgpr3
	s_branch .LBB142_490
.LBB142_486:
	s_mov_b64 s[0:1], -1
                                        ; implicit-def: $vgpr3
.LBB142_487:
	s_andn2_b64 vcc, exec, s[0:1]
	s_cbranch_vccnz .LBB142_489
; %bb.488:
	global_load_dwordx2 v[2:3], v[0:1], off
.LBB142_489:
	s_mov_b64 s[0:1], 0
.LBB142_490:
	s_andn2_b64 vcc, exec, s[0:1]
	s_cbranch_vccnz .LBB142_492
; %bb.491:
	global_load_dword v3, v[0:1], off
	s_waitcnt vmcnt(0)
	v_cvt_f32_f16_e32 v2, v3
	v_cvt_f32_f16_sdwa v3, v3 dst_sel:DWORD dst_unused:UNUSED_PAD src0_sel:WORD_1
.LBB142_492:
	s_mov_b64 s[0:1], 0
.LBB142_493:
	s_andn2_b64 vcc, exec, s[0:1]
	s_cbranch_vccnz .LBB142_505
; %bb.494:
	s_cmp_lt_i32 s34, 6
	s_cbranch_scc1 .LBB142_497
; %bb.495:
	s_cmp_gt_i32 s34, 6
	s_cbranch_scc0 .LBB142_498
; %bb.496:
	global_load_dwordx2 v[2:3], v[0:1], off
	s_mov_b64 s[0:1], 0
	s_waitcnt vmcnt(0)
	v_cvt_f32_f64_e32 v2, v[2:3]
	s_branch .LBB142_499
.LBB142_497:
	s_mov_b64 s[0:1], -1
                                        ; implicit-def: $vgpr2
	s_branch .LBB142_502
.LBB142_498:
	s_mov_b64 s[0:1], -1
                                        ; implicit-def: $vgpr2
.LBB142_499:
	s_andn2_b64 vcc, exec, s[0:1]
	s_cbranch_vccnz .LBB142_501
; %bb.500:
	global_load_dword v2, v[0:1], off
.LBB142_501:
	s_mov_b64 s[0:1], 0
.LBB142_502:
	s_andn2_b64 vcc, exec, s[0:1]
	s_cbranch_vccnz .LBB142_504
; %bb.503:
	global_load_ushort v2, v[0:1], off
	s_waitcnt vmcnt(0)
	v_cvt_f32_f16_e32 v2, v2
.LBB142_504:
	s_waitcnt vmcnt(0)
	v_mov_b32_e32 v3, 0
.LBB142_505:
	s_mov_b64 s[0:1], 0
.LBB142_506:
	s_andn2_b64 vcc, exec, s[0:1]
	s_cbranch_vccnz .LBB142_527
; %bb.507:
	s_cmp_lt_i32 s34, 2
	s_cbranch_scc1 .LBB142_511
; %bb.508:
	s_cmp_lt_i32 s34, 3
	s_cbranch_scc1 .LBB142_512
; %bb.509:
	s_cmp_gt_i32 s34, 3
	s_cbranch_scc0 .LBB142_513
; %bb.510:
	global_load_dwordx2 v[2:3], v[0:1], off
	s_mov_b64 s[0:1], 0
	s_waitcnt vmcnt(0)
	v_xor_b32_e32 v6, v2, v3
	v_ffbh_i32_e32 v5, v3
	v_ashrrev_i32_e32 v6, 31, v6
	v_add_u32_e32 v5, -1, v5
	v_add_u32_e32 v6, 32, v6
	v_min_u32_e32 v5, v5, v6
	v_lshlrev_b64 v[2:3], v5, v[2:3]
	v_min_u32_e32 v2, 1, v2
	v_or_b32_e32 v2, v3, v2
	v_cvt_f32_i32_e32 v2, v2
	v_sub_u32_e32 v3, 32, v5
	v_ldexp_f32 v2, v2, v3
	s_branch .LBB142_514
.LBB142_511:
	s_mov_b64 s[0:1], -1
                                        ; implicit-def: $vgpr2
	s_branch .LBB142_520
.LBB142_512:
	s_mov_b64 s[0:1], -1
                                        ; implicit-def: $vgpr2
	s_branch .LBB142_517
.LBB142_513:
	s_mov_b64 s[0:1], -1
                                        ; implicit-def: $vgpr2
.LBB142_514:
	s_andn2_b64 vcc, exec, s[0:1]
	s_cbranch_vccnz .LBB142_516
; %bb.515:
	global_load_dword v2, v[0:1], off
	s_waitcnt vmcnt(0)
	v_cvt_f32_i32_e32 v2, v2
.LBB142_516:
	s_mov_b64 s[0:1], 0
.LBB142_517:
	s_andn2_b64 vcc, exec, s[0:1]
	s_cbranch_vccnz .LBB142_519
; %bb.518:
	global_load_sshort v2, v[0:1], off
	s_waitcnt vmcnt(0)
	v_cvt_f32_i32_e32 v2, v2
.LBB142_519:
	s_mov_b64 s[0:1], 0
.LBB142_520:
	s_andn2_b64 vcc, exec, s[0:1]
	s_cbranch_vccnz .LBB142_526
; %bb.521:
	s_cmp_gt_i32 s34, 0
	s_cbranch_scc0 .LBB142_523
; %bb.522:
	global_load_sbyte v2, v[0:1], off
	s_mov_b64 s[0:1], 0
	s_waitcnt vmcnt(0)
	v_cvt_f32_i32_e32 v2, v2
	s_branch .LBB142_524
.LBB142_523:
	s_mov_b64 s[0:1], -1
                                        ; implicit-def: $vgpr2
.LBB142_524:
	s_andn2_b64 vcc, exec, s[0:1]
	s_cbranch_vccnz .LBB142_526
; %bb.525:
	global_load_ubyte v0, v[0:1], off
	s_waitcnt vmcnt(0)
	v_cvt_f32_ubyte0_e32 v2, v0
.LBB142_526:
	s_waitcnt vmcnt(0)
	v_mov_b32_e32 v3, 0
.LBB142_527:
	s_branch .LBB142_274
.LBB142_528:
	s_mov_b64 s[30:31], 0
                                        ; implicit-def: $vgpr4
	s_mov_b64 s[0:1], s[18:19]
.LBB142_529:
	s_andn2_b64 s[26:27], s[18:19], exec
	s_and_b64 s[0:1], s[0:1], exec
	s_or_b64 s[26:27], s[26:27], s[0:1]
	s_andn2_b64 s[0:1], s[20:21], exec
	s_and_b64 s[24:25], s[24:25], exec
	s_or_b64 s[24:25], s[0:1], s[24:25]
	s_orn2_b64 s[0:1], s[30:31], exec
.LBB142_530:
	s_or_b64 exec, exec, s[28:29]
	s_mov_b64 s[30:31], 0
	s_mov_b64 s[34:35], 0
	;; [unrolled: 1-line block ×3, first 2 shown]
                                        ; implicit-def: $vgpr0_vgpr1
                                        ; implicit-def: $vgpr3
	s_and_saveexec_b64 s[28:29], s[0:1]
	s_cbranch_execz .LBB142_888
; %bb.531:
	v_cmp_gt_i32_e32 vcc, s44, v4
	s_mov_b64 s[40:41], -1
	s_mov_b64 s[0:1], s[24:25]
	s_mov_b64 s[36:37], s[26:27]
	s_and_saveexec_b64 s[30:31], vcc
	s_cbranch_execz .LBB142_799
; %bb.532:
	v_mul_lo_u32 v0, v4, s13
	v_mov_b32_e32 v1, s11
	s_and_b32 s40, 0xffff, s15
	s_cmp_lt_i32 s40, 11
	s_waitcnt vmcnt(0)
	v_ashrrev_i32_e32 v2, 31, v0
	v_add_co_u32_e32 v0, vcc, s10, v0
	v_addc_co_u32_e32 v1, vcc, v1, v2, vcc
	s_cbranch_scc1 .LBB142_539
; %bb.533:
	s_cmp_gt_i32 s40, 25
	s_cbranch_scc0 .LBB142_540
; %bb.534:
	s_cmp_gt_i32 s40, 28
	s_cbranch_scc0 .LBB142_541
	;; [unrolled: 3-line block ×4, first 2 shown]
; %bb.537:
	s_cmp_eq_u32 s40, 46
	s_mov_b64 s[36:37], 0
	s_cbranch_scc0 .LBB142_548
; %bb.538:
	global_load_dword v2, v[0:1], off
	s_mov_b64 s[0:1], -1
	s_waitcnt vmcnt(0)
	v_and_b32_e32 v3, 0xffff0000, v2
	v_lshlrev_b32_e32 v2, 16, v2
	s_branch .LBB142_549
.LBB142_539:
	s_mov_b64 s[36:37], -1
	s_mov_b64 s[0:1], 0
                                        ; implicit-def: $vgpr3
	s_mov_b64 s[34:35], s[24:25]
	s_branch .LBB142_617
.LBB142_540:
	s_mov_b64 s[36:37], -1
	s_mov_b64 s[0:1], 0
	s_mov_b64 s[34:35], s[24:25]
                                        ; implicit-def: $vgpr3
	s_branch .LBB142_580
.LBB142_541:
	s_mov_b64 s[36:37], -1
	s_mov_b64 s[0:1], 0
	s_mov_b64 s[34:35], s[24:25]
                                        ; implicit-def: $vgpr3
	s_branch .LBB142_561
.LBB142_542:
	s_mov_b64 s[36:37], -1
	s_mov_b64 s[0:1], 0
	s_mov_b64 s[34:35], s[24:25]
                                        ; implicit-def: $vgpr3
	s_branch .LBB142_555
.LBB142_543:
	s_andn2_saveexec_b64 s[36:37], s[36:37]
	s_cbranch_execz .LBB142_323
.LBB142_544:
	v_add_f32_e32 v2, 0x46000000, v3
	v_and_b32_e32 v2, 0xff, v2
	v_cmp_ne_u32_e32 vcc, 0, v2
	s_andn2_b64 s[34:35], s[34:35], exec
	s_and_b64 s[40:41], vcc, exec
	s_or_b64 s[34:35], s[34:35], s[40:41]
	s_or_b64 exec, exec, s[36:37]
	v_mov_b32_e32 v5, 0
	s_and_saveexec_b64 s[36:37], s[34:35]
	s_cbranch_execnz .LBB142_324
	s_branch .LBB142_325
.LBB142_545:
	s_mov_b64 s[36:37], -1
	s_mov_b64 s[0:1], 0
	s_mov_b64 s[34:35], s[24:25]
                                        ; implicit-def: $vgpr3
	s_branch .LBB142_549
.LBB142_546:
	s_andn2_saveexec_b64 s[36:37], s[36:37]
	s_cbranch_execz .LBB142_336
.LBB142_547:
	v_add_f32_e32 v2, 0x42800000, v3
	v_and_b32_e32 v2, 0xff, v2
	v_cmp_ne_u32_e32 vcc, 0, v2
	s_andn2_b64 s[34:35], s[34:35], exec
	s_and_b64 s[40:41], vcc, exec
	s_or_b64 s[34:35], s[34:35], s[40:41]
	s_or_b64 exec, exec, s[36:37]
	v_mov_b32_e32 v5, 0
	s_and_saveexec_b64 s[36:37], s[34:35]
	s_cbranch_execnz .LBB142_337
	s_branch .LBB142_338
.LBB142_548:
	s_mov_b64 s[34:35], -1
                                        ; implicit-def: $vgpr3
	s_mov_b64 s[0:1], 0
.LBB142_549:
	s_and_b64 vcc, exec, s[36:37]
	s_cbranch_vccz .LBB142_554
; %bb.550:
	s_cmp_eq_u32 s40, 44
	s_cbranch_scc0 .LBB142_552
; %bb.551:
	global_load_ubyte v2, v[0:1], off
	s_movk_i32 s34, 0xff
	v_mov_b32_e32 v3, 0x7f800001
	v_mov_b32_e32 v5, 0x400000
	s_mov_b64 s[0:1], -1
	s_waitcnt vmcnt(0)
	v_lshlrev_b32_e32 v6, 23, v2
	v_cmp_ne_u32_e32 vcc, s34, v2
	v_cndmask_b32_e32 v3, v3, v6, vcc
	v_cmp_ne_u32_e32 vcc, 0, v2
	v_cndmask_b32_e32 v2, v5, v3, vcc
	s_mov_b64 s[34:35], 0
	s_branch .LBB142_553
.LBB142_552:
	s_mov_b64 s[34:35], -1
                                        ; implicit-def: $vgpr2
.LBB142_553:
	v_mov_b32_e32 v3, 0
.LBB142_554:
	s_mov_b64 s[36:37], 0
.LBB142_555:
	s_and_b64 vcc, exec, s[36:37]
	s_cbranch_vccz .LBB142_560
; %bb.556:
	s_cmp_eq_u32 s40, 29
	s_cbranch_scc0 .LBB142_558
; %bb.557:
	global_load_dwordx2 v[2:3], v[0:1], off
	s_mov_b64 s[0:1], -1
	s_mov_b64 s[34:35], 0
	s_waitcnt vmcnt(0)
	v_ffbh_u32_e32 v5, v3
	v_min_u32_e32 v5, 32, v5
	v_lshlrev_b64 v[2:3], v5, v[2:3]
	v_min_u32_e32 v2, 1, v2
	v_or_b32_e32 v2, v3, v2
	v_cvt_f32_u32_e32 v2, v2
	v_sub_u32_e32 v3, 32, v5
	v_ldexp_f32 v2, v2, v3
	s_branch .LBB142_559
.LBB142_558:
	s_mov_b64 s[34:35], -1
                                        ; implicit-def: $vgpr2
.LBB142_559:
	v_mov_b32_e32 v3, 0
.LBB142_560:
	s_mov_b64 s[36:37], 0
.LBB142_561:
	s_and_b64 vcc, exec, s[36:37]
	s_cbranch_vccz .LBB142_579
; %bb.562:
	s_cmp_lt_i32 s40, 27
	s_cbranch_scc1 .LBB142_565
; %bb.563:
	s_cmp_gt_i32 s40, 27
	s_cbranch_scc0 .LBB142_566
; %bb.564:
	global_load_dword v2, v[0:1], off
	s_mov_b64 s[0:1], 0
	s_waitcnt vmcnt(0)
	v_cvt_f32_u32_e32 v2, v2
	s_branch .LBB142_567
.LBB142_565:
	s_mov_b64 s[0:1], -1
                                        ; implicit-def: $vgpr2
	s_branch .LBB142_570
.LBB142_566:
	s_mov_b64 s[0:1], -1
                                        ; implicit-def: $vgpr2
.LBB142_567:
	s_andn2_b64 vcc, exec, s[0:1]
	s_cbranch_vccnz .LBB142_569
; %bb.568:
	global_load_ushort v2, v[0:1], off
	s_waitcnt vmcnt(0)
	v_cvt_f32_u32_e32 v2, v2
.LBB142_569:
	s_mov_b64 s[0:1], 0
.LBB142_570:
	s_andn2_b64 vcc, exec, s[0:1]
	s_cbranch_vccnz .LBB142_578
; %bb.571:
	global_load_ubyte v3, v[0:1], off
	s_movk_i32 s0, 0x7f
	s_waitcnt vmcnt(0)
	v_cmp_lt_i16_e32 vcc, s0, v3
	s_mov_b64 s[0:1], 0
	s_and_saveexec_b64 s[36:37], vcc
	s_xor_b64 s[36:37], exec, s[36:37]
	s_cbranch_execz .LBB142_592
; %bb.572:
	s_movk_i32 s0, 0x80
	v_cmp_eq_u16_e32 vcc, s0, v3
	s_mov_b64 s[0:1], -1
	s_and_saveexec_b64 s[38:39], vcc
; %bb.573:
	s_xor_b64 s[0:1], exec, -1
; %bb.574:
	s_or_b64 exec, exec, s[38:39]
	s_and_b64 s[0:1], s[0:1], exec
	s_or_saveexec_b64 s[36:37], s[36:37]
	v_mov_b32_e32 v2, 0x7f800001
	s_xor_b64 exec, exec, s[36:37]
	s_cbranch_execnz .LBB142_593
.LBB142_575:
	s_or_b64 exec, exec, s[36:37]
	s_and_saveexec_b64 s[36:37], s[0:1]
	s_cbranch_execz .LBB142_577
.LBB142_576:
	v_lshlrev_b32_e32 v2, 24, v3
	v_and_b32_e32 v3, 0xffff, v3
	v_and_b32_e32 v5, 7, v3
	v_ffbh_u32_e32 v7, v5
	v_min_u32_e32 v7, 32, v7
	v_subrev_u32_e32 v8, 28, v7
	v_bfe_u32 v6, v3, 3, 4
	v_lshlrev_b32_e32 v3, v8, v3
	v_sub_u32_e32 v7, 29, v7
	v_and_b32_e32 v3, 7, v3
	v_cmp_eq_u32_e32 vcc, 0, v6
	v_cndmask_b32_e32 v6, v6, v7, vcc
	v_cndmask_b32_e32 v3, v5, v3, vcc
	v_mov_b32_e32 v5, 0x3b800000
	v_lshlrev_b32_e32 v3, 20, v3
	v_and_b32_e32 v2, 0x80000000, v2
	v_lshl_add_u32 v5, v6, 23, v5
	v_or3_b32 v2, v2, v5, v3
.LBB142_577:
	s_or_b64 exec, exec, s[36:37]
.LBB142_578:
	s_mov_b64 s[0:1], -1
	v_mov_b32_e32 v3, 0
.LBB142_579:
	s_mov_b64 s[36:37], 0
.LBB142_580:
	s_and_b64 vcc, exec, s[36:37]
	s_cbranch_vccz .LBB142_616
; %bb.581:
	s_cmp_gt_i32 s40, 22
	s_cbranch_scc0 .LBB142_591
; %bb.582:
	s_cmp_lt_i32 s40, 24
	s_cbranch_scc1 .LBB142_594
; %bb.583:
	s_cmp_gt_i32 s40, 24
	s_cbranch_scc0 .LBB142_595
; %bb.584:
	global_load_ubyte v3, v[0:1], off
	s_movk_i32 s0, 0x7f
	s_waitcnt vmcnt(0)
	v_cmp_lt_i16_e32 vcc, s0, v3
	s_mov_b64 s[0:1], 0
	s_and_saveexec_b64 s[36:37], vcc
	s_xor_b64 s[36:37], exec, s[36:37]
	s_cbranch_execz .LBB142_607
; %bb.585:
	s_movk_i32 s0, 0x80
	v_cmp_eq_u16_e32 vcc, s0, v3
	s_mov_b64 s[0:1], -1
	s_and_saveexec_b64 s[38:39], vcc
; %bb.586:
	s_xor_b64 s[0:1], exec, -1
; %bb.587:
	s_or_b64 exec, exec, s[38:39]
	s_and_b64 s[0:1], s[0:1], exec
	s_or_saveexec_b64 s[36:37], s[36:37]
	v_mov_b32_e32 v2, 0x7f800001
	s_xor_b64 exec, exec, s[36:37]
	s_cbranch_execnz .LBB142_608
.LBB142_588:
	s_or_b64 exec, exec, s[36:37]
	s_and_saveexec_b64 s[36:37], s[0:1]
	s_cbranch_execz .LBB142_590
.LBB142_589:
	v_lshlrev_b32_e32 v2, 24, v3
	v_and_b32_e32 v3, 0xffff, v3
	v_and_b32_e32 v5, 3, v3
	v_ffbh_u32_e32 v7, v5
	v_min_u32_e32 v7, 32, v7
	v_subrev_u32_e32 v8, 29, v7
	v_bfe_u32 v6, v3, 2, 5
	v_lshlrev_b32_e32 v3, v8, v3
	v_sub_u32_e32 v7, 30, v7
	v_and_b32_e32 v3, 3, v3
	v_cmp_eq_u32_e32 vcc, 0, v6
	v_cndmask_b32_e32 v6, v6, v7, vcc
	v_cndmask_b32_e32 v3, v5, v3, vcc
	v_mov_b32_e32 v5, 0x37800000
	v_lshlrev_b32_e32 v3, 21, v3
	v_and_b32_e32 v2, 0x80000000, v2
	v_lshl_add_u32 v5, v6, 23, v5
	v_or3_b32 v2, v2, v5, v3
.LBB142_590:
	s_or_b64 exec, exec, s[36:37]
	s_mov_b64 s[0:1], 0
	s_branch .LBB142_596
.LBB142_591:
	s_mov_b64 s[36:37], -1
                                        ; implicit-def: $vgpr2
	s_branch .LBB142_602
.LBB142_592:
	s_or_saveexec_b64 s[36:37], s[36:37]
	v_mov_b32_e32 v2, 0x7f800001
	s_xor_b64 exec, exec, s[36:37]
	s_cbranch_execz .LBB142_575
.LBB142_593:
	v_cmp_ne_u16_e32 vcc, 0, v3
	s_andn2_b64 s[0:1], s[0:1], exec
	s_and_b64 s[38:39], vcc, exec
	v_mov_b32_e32 v2, 0
	s_or_b64 s[0:1], s[0:1], s[38:39]
	s_or_b64 exec, exec, s[36:37]
	s_and_saveexec_b64 s[36:37], s[0:1]
	s_cbranch_execnz .LBB142_576
	s_branch .LBB142_577
.LBB142_594:
	s_mov_b64 s[0:1], -1
                                        ; implicit-def: $vgpr2
	s_branch .LBB142_599
.LBB142_595:
	s_mov_b64 s[0:1], -1
                                        ; implicit-def: $vgpr2
.LBB142_596:
	s_and_b64 vcc, exec, s[0:1]
	s_cbranch_vccz .LBB142_598
; %bb.597:
	global_load_ubyte v2, v[0:1], off
	s_mov_b32 s0, 0x7f800000
	s_waitcnt vmcnt(0)
	v_lshlrev_b32_e32 v2, 24, v2
	v_and_b32_e32 v3, 0x7f000000, v2
	v_ffbh_u32_e32 v5, v3
	v_min_u32_e32 v5, 32, v5
	v_sub_u32_e64 v5, v5, 4 clamp
	v_lshlrev_b32_e32 v7, v5, v3
	v_lshlrev_b32_e32 v5, 23, v5
	v_lshrrev_b32_e32 v7, 4, v7
	v_add_u32_e32 v6, 0x1000000, v3
	v_sub_u32_e32 v5, v7, v5
	v_ashrrev_i32_e32 v6, 8, v6
	v_add_u32_e32 v5, 0x3c000000, v5
	v_and_or_b32 v5, v6, s0, v5
	v_cmp_ne_u32_e32 vcc, 0, v3
	v_cndmask_b32_e32 v3, 0, v5, vcc
	s_brev_b32 s0, 1
	v_and_or_b32 v2, v2, s0, v3
.LBB142_598:
	s_mov_b64 s[0:1], 0
.LBB142_599:
	s_andn2_b64 vcc, exec, s[0:1]
	s_cbranch_vccnz .LBB142_601
; %bb.600:
	global_load_ubyte v2, v[0:1], off
	s_movk_i32 s0, 0x7f00
	s_brev_b32 s1, 16
	s_waitcnt vmcnt(0)
	v_lshlrev_b16_e32 v3, 8, v2
	v_lshlrev_b32_e32 v2, 25, v2
	v_lshrrev_b32_e32 v5, 4, v2
	v_and_or_b32 v6, v3, s0, 0.5
	v_or_b32_e32 v5, 0x70000000, v5
	v_add_f32_e32 v6, -0.5, v6
	v_mul_f32_e32 v5, 0x7800000, v5
	v_cmp_gt_u32_e32 vcc, s1, v2
	v_bfe_i32 v3, v3, 0, 16
	v_cndmask_b32_e32 v2, v5, v6, vcc
	s_brev_b32 s0, 1
	v_and_or_b32 v2, v3, s0, v2
.LBB142_601:
	s_mov_b64 s[36:37], 0
	s_mov_b64 s[0:1], -1
.LBB142_602:
	s_andn2_b64 vcc, exec, s[36:37]
	s_cbranch_vccnz .LBB142_615
; %bb.603:
	s_cmp_gt_i32 s40, 14
	s_cbranch_scc0 .LBB142_606
; %bb.604:
	s_cmp_eq_u32 s40, 15
	s_cbranch_scc0 .LBB142_609
; %bb.605:
	global_load_ushort v2, v[0:1], off
	s_mov_b64 s[0:1], -1
	s_mov_b64 s[34:35], 0
	s_waitcnt vmcnt(0)
	v_lshlrev_b32_e32 v2, 16, v2
	s_branch .LBB142_610
.LBB142_606:
	s_mov_b64 s[36:37], -1
                                        ; implicit-def: $vgpr2
	s_branch .LBB142_611
.LBB142_607:
	s_or_saveexec_b64 s[36:37], s[36:37]
	v_mov_b32_e32 v2, 0x7f800001
	s_xor_b64 exec, exec, s[36:37]
	s_cbranch_execz .LBB142_588
.LBB142_608:
	v_cmp_ne_u16_e32 vcc, 0, v3
	s_andn2_b64 s[0:1], s[0:1], exec
	s_and_b64 s[38:39], vcc, exec
	v_mov_b32_e32 v2, 0
	s_or_b64 s[0:1], s[0:1], s[38:39]
	s_or_b64 exec, exec, s[36:37]
	s_and_saveexec_b64 s[36:37], s[0:1]
	s_cbranch_execnz .LBB142_589
	s_branch .LBB142_590
.LBB142_609:
	s_mov_b64 s[34:35], -1
                                        ; implicit-def: $vgpr2
.LBB142_610:
	s_mov_b64 s[36:37], 0
.LBB142_611:
	s_and_b64 vcc, exec, s[36:37]
	s_cbranch_vccz .LBB142_615
; %bb.612:
	s_cmp_eq_u32 s40, 11
	s_cbranch_scc0 .LBB142_614
; %bb.613:
	global_load_ubyte v2, v[0:1], off
	s_mov_b64 s[0:1], -1
	s_mov_b64 s[34:35], 0
	v_mov_b32_e32 v3, 0
	s_waitcnt vmcnt(0)
	v_cmp_ne_u16_e32 vcc, 0, v2
	v_cndmask_b32_e64 v2, 0, 1.0, vcc
	s_branch .LBB142_616
.LBB142_614:
	s_mov_b64 s[34:35], -1
                                        ; implicit-def: $vgpr2
.LBB142_615:
	v_mov_b32_e32 v3, 0
.LBB142_616:
	s_mov_b64 s[36:37], 0
.LBB142_617:
	s_and_b64 vcc, exec, s[36:37]
	s_cbranch_vccz .LBB142_668
; %bb.618:
	s_cmp_lt_i32 s40, 5
	s_cbranch_scc1 .LBB142_623
; %bb.619:
	s_cmp_lt_i32 s40, 8
	s_cbranch_scc1 .LBB142_624
	;; [unrolled: 3-line block ×3, first 2 shown]
; %bb.621:
	s_cmp_gt_i32 s40, 9
	s_cbranch_scc0 .LBB142_626
; %bb.622:
	global_load_dwordx4 v[5:8], v[0:1], off
	s_mov_b64 s[0:1], 0
	s_waitcnt vmcnt(0)
	v_cvt_f32_f64_e32 v2, v[5:6]
	v_cvt_f32_f64_e32 v3, v[7:8]
	s_branch .LBB142_627
.LBB142_623:
	s_mov_b64 s[0:1], -1
                                        ; implicit-def: $vgpr3
	s_branch .LBB142_646
.LBB142_624:
	s_mov_b64 s[0:1], -1
                                        ; implicit-def: $vgpr3
	s_branch .LBB142_633
.LBB142_625:
	s_mov_b64 s[0:1], -1
                                        ; implicit-def: $vgpr3
	s_branch .LBB142_630
.LBB142_626:
	s_mov_b64 s[0:1], -1
                                        ; implicit-def: $vgpr3
.LBB142_627:
	s_andn2_b64 vcc, exec, s[0:1]
	s_cbranch_vccnz .LBB142_629
; %bb.628:
	global_load_dwordx2 v[2:3], v[0:1], off
.LBB142_629:
	s_mov_b64 s[0:1], 0
.LBB142_630:
	s_andn2_b64 vcc, exec, s[0:1]
	s_cbranch_vccnz .LBB142_632
; %bb.631:
	global_load_dword v3, v[0:1], off
	s_waitcnt vmcnt(0)
	v_cvt_f32_f16_e32 v2, v3
	v_cvt_f32_f16_sdwa v3, v3 dst_sel:DWORD dst_unused:UNUSED_PAD src0_sel:WORD_1
.LBB142_632:
	s_mov_b64 s[0:1], 0
.LBB142_633:
	s_andn2_b64 vcc, exec, s[0:1]
	s_cbranch_vccnz .LBB142_645
; %bb.634:
	s_cmp_lt_i32 s40, 6
	s_cbranch_scc1 .LBB142_637
; %bb.635:
	s_cmp_gt_i32 s40, 6
	s_cbranch_scc0 .LBB142_638
; %bb.636:
	global_load_dwordx2 v[2:3], v[0:1], off
	s_mov_b64 s[0:1], 0
	s_waitcnt vmcnt(0)
	v_cvt_f32_f64_e32 v2, v[2:3]
	s_branch .LBB142_639
.LBB142_637:
	s_mov_b64 s[0:1], -1
                                        ; implicit-def: $vgpr2
	s_branch .LBB142_642
.LBB142_638:
	s_mov_b64 s[0:1], -1
                                        ; implicit-def: $vgpr2
.LBB142_639:
	s_andn2_b64 vcc, exec, s[0:1]
	s_cbranch_vccnz .LBB142_641
; %bb.640:
	global_load_dword v2, v[0:1], off
.LBB142_641:
	s_mov_b64 s[0:1], 0
.LBB142_642:
	s_andn2_b64 vcc, exec, s[0:1]
	s_cbranch_vccnz .LBB142_644
; %bb.643:
	global_load_ushort v2, v[0:1], off
	s_waitcnt vmcnt(0)
	v_cvt_f32_f16_e32 v2, v2
.LBB142_644:
	s_waitcnt vmcnt(0)
	v_mov_b32_e32 v3, 0
.LBB142_645:
	s_mov_b64 s[0:1], 0
.LBB142_646:
	s_andn2_b64 vcc, exec, s[0:1]
	s_cbranch_vccnz .LBB142_667
; %bb.647:
	s_cmp_lt_i32 s40, 2
	s_cbranch_scc1 .LBB142_651
; %bb.648:
	s_cmp_lt_i32 s40, 3
	s_cbranch_scc1 .LBB142_652
; %bb.649:
	s_cmp_gt_i32 s40, 3
	s_cbranch_scc0 .LBB142_653
; %bb.650:
	global_load_dwordx2 v[2:3], v[0:1], off
	s_mov_b64 s[0:1], 0
	s_waitcnt vmcnt(0)
	v_xor_b32_e32 v6, v2, v3
	v_ffbh_i32_e32 v5, v3
	v_ashrrev_i32_e32 v6, 31, v6
	v_add_u32_e32 v5, -1, v5
	v_add_u32_e32 v6, 32, v6
	v_min_u32_e32 v5, v5, v6
	v_lshlrev_b64 v[2:3], v5, v[2:3]
	v_min_u32_e32 v2, 1, v2
	v_or_b32_e32 v2, v3, v2
	v_cvt_f32_i32_e32 v2, v2
	v_sub_u32_e32 v3, 32, v5
	v_ldexp_f32 v2, v2, v3
	s_branch .LBB142_654
.LBB142_651:
	s_mov_b64 s[0:1], -1
                                        ; implicit-def: $vgpr2
	s_branch .LBB142_660
.LBB142_652:
	s_mov_b64 s[0:1], -1
                                        ; implicit-def: $vgpr2
	s_branch .LBB142_657
.LBB142_653:
	s_mov_b64 s[0:1], -1
                                        ; implicit-def: $vgpr2
.LBB142_654:
	s_andn2_b64 vcc, exec, s[0:1]
	s_cbranch_vccnz .LBB142_656
; %bb.655:
	global_load_dword v2, v[0:1], off
	s_waitcnt vmcnt(0)
	v_cvt_f32_i32_e32 v2, v2
.LBB142_656:
	s_mov_b64 s[0:1], 0
.LBB142_657:
	s_andn2_b64 vcc, exec, s[0:1]
	s_cbranch_vccnz .LBB142_659
; %bb.658:
	global_load_sshort v2, v[0:1], off
	s_waitcnt vmcnt(0)
	v_cvt_f32_i32_e32 v2, v2
.LBB142_659:
	s_mov_b64 s[0:1], 0
.LBB142_660:
	s_andn2_b64 vcc, exec, s[0:1]
	s_cbranch_vccnz .LBB142_666
; %bb.661:
	s_cmp_gt_i32 s40, 0
	s_cbranch_scc0 .LBB142_663
; %bb.662:
	global_load_sbyte v2, v[0:1], off
	s_mov_b64 s[0:1], 0
	s_waitcnt vmcnt(0)
	v_cvt_f32_i32_e32 v2, v2
	s_branch .LBB142_664
.LBB142_663:
	s_mov_b64 s[0:1], -1
                                        ; implicit-def: $vgpr2
.LBB142_664:
	s_andn2_b64 vcc, exec, s[0:1]
	s_cbranch_vccnz .LBB142_666
; %bb.665:
	global_load_ubyte v0, v[0:1], off
	s_waitcnt vmcnt(0)
	v_cvt_f32_ubyte0_e32 v2, v0
.LBB142_666:
	s_waitcnt vmcnt(0)
	v_mov_b32_e32 v3, 0
.LBB142_667:
	s_mov_b64 s[0:1], -1
.LBB142_668:
	s_andn2_b64 vcc, exec, s[0:1]
	s_cbranch_vccnz .LBB142_671
; %bb.669:
	s_andn2_b64 vcc, exec, s[16:17]
	s_cbranch_vccnz .LBB142_672
; %bb.670:
	s_waitcnt vmcnt(0)
	v_cmp_neq_f32_e32 vcc, s2, v2
	v_cmp_neq_f32_e64 s[0:1], s3, v3
	s_or_b64 s[36:37], vcc, s[0:1]
	s_mov_b64 s[0:1], 0
	s_branch .LBB142_673
.LBB142_671:
	s_mov_b64 s[38:39], 0
                                        ; implicit-def: $vgpr4
	s_mov_b64 s[0:1], s[26:27]
	s_branch .LBB142_798
.LBB142_672:
	s_mov_b64 s[0:1], -1
                                        ; implicit-def: $sgpr36_sgpr37
.LBB142_673:
	s_andn2_b64 vcc, exec, s[0:1]
	s_cbranch_vccnz .LBB142_675
; %bb.674:
	s_waitcnt vmcnt(0)
	v_cmp_eq_f32_e32 vcc, s2, v2
	v_cmp_eq_f32_e64 s[0:1], s3, v3
	s_and_b64 s[0:1], vcc, s[0:1]
	s_andn2_b64 s[36:37], s[36:37], exec
	s_and_b64 s[0:1], s[0:1], exec
	s_or_b64 s[36:37], s[36:37], s[0:1]
.LBB142_675:
	v_mul_lo_u32 v0, v4, s12
	v_mov_b32_e32 v1, s9
	s_and_b32 s45, s33, 0xff
	s_cmp_lt_i32 s45, 11
	s_waitcnt vmcnt(0)
	v_ashrrev_i32_e32 v2, 31, v0
	v_add_co_u32_e32 v0, vcc, s8, v0
	v_addc_co_u32_e32 v1, vcc, v1, v2, vcc
	s_cbranch_scc1 .LBB142_682
; %bb.676:
	s_and_b32 s46, 0xffff, s45
	s_cmp_gt_i32 s46, 25
	s_cbranch_scc0 .LBB142_683
; %bb.677:
	s_cmp_gt_i32 s46, 28
	s_cbranch_scc0 .LBB142_684
; %bb.678:
	;; [unrolled: 3-line block ×4, first 2 shown]
	s_mov_b64 s[40:41], 0
	s_mov_b64 s[0:1], -1
	s_cmp_eq_u32 s46, 46
	s_mov_b64 s[38:39], 0
	s_cbranch_scc0 .LBB142_687
; %bb.681:
	v_cndmask_b32_e64 v2, 0, 1.0, s[36:37]
	v_bfe_u32 v3, v2, 16, 1
	s_movk_i32 s0, 0x7fff
	v_add3_u32 v2, v2, v3, s0
	v_lshrrev_b32_e32 v2, 16, v2
	global_store_dword v[0:1], v2, off
	s_mov_b64 s[38:39], -1
	s_mov_b64 s[0:1], 0
	s_branch .LBB142_687
.LBB142_682:
	s_mov_b64 s[40:41], -1
	s_mov_b64 s[38:39], 0
	s_mov_b64 s[0:1], s[26:27]
	s_branch .LBB142_756
.LBB142_683:
	s_mov_b64 s[40:41], -1
	s_mov_b64 s[38:39], 0
	s_mov_b64 s[0:1], s[26:27]
	s_branch .LBB142_714
.LBB142_684:
	s_mov_b64 s[40:41], -1
	s_mov_b64 s[38:39], 0
	s_mov_b64 s[0:1], s[26:27]
	s_branch .LBB142_697
.LBB142_685:
	s_mov_b64 s[40:41], -1
	s_mov_b64 s[38:39], 0
	s_mov_b64 s[0:1], s[26:27]
	s_branch .LBB142_693
.LBB142_686:
	s_mov_b64 s[40:41], -1
	s_mov_b64 s[38:39], 0
	s_mov_b64 s[0:1], s[26:27]
.LBB142_687:
	s_and_b64 vcc, exec, s[40:41]
	s_cbranch_vccz .LBB142_692
; %bb.688:
	s_cmp_eq_u32 s46, 44
	s_mov_b64 s[0:1], -1
	s_cbranch_scc0 .LBB142_692
; %bb.689:
	v_cndmask_b32_e64 v3, 0, 1.0, s[36:37]
	v_lshrrev_b32_e32 v2, 23, v3
	s_movk_i32 s0, 0xff
	v_cmp_ne_u32_e32 vcc, s0, v2
	v_mov_b32_e32 v5, 0xff
	s_and_saveexec_b64 s[38:39], vcc
; %bb.690:
	s_mov_b32 s0, 0x3fffff
	v_and_b32_e32 v5, 0x400000, v3
	v_and_or_b32 v3, v3, s0, v2
	v_cmp_ne_u32_e32 vcc, 0, v5
	v_cmp_ne_u32_e64 s[0:1], 0, v3
	s_and_b64 s[0:1], vcc, s[0:1]
	v_cndmask_b32_e64 v3, 0, 1, s[0:1]
	v_add_u32_e32 v5, v2, v3
; %bb.691:
	s_or_b64 exec, exec, s[38:39]
	s_mov_b64 s[38:39], -1
	s_mov_b64 s[0:1], 0
	global_store_byte v[0:1], v5, off
.LBB142_692:
	s_mov_b64 s[40:41], 0
.LBB142_693:
	s_and_b64 vcc, exec, s[40:41]
	s_cbranch_vccz .LBB142_696
; %bb.694:
	s_cmp_eq_u32 s46, 29
	s_mov_b64 s[0:1], -1
	s_cbranch_scc0 .LBB142_696
; %bb.695:
	s_mov_b32 s0, 0
	v_cndmask_b32_e64 v2, 0, 1, s[36:37]
	v_mov_b32_e32 v3, s0
	global_store_dwordx2 v[0:1], v[2:3], off
	s_mov_b64 s[38:39], -1
	s_mov_b64 s[0:1], 0
.LBB142_696:
	s_mov_b64 s[40:41], 0
.LBB142_697:
	s_and_b64 vcc, exec, s[40:41]
	s_cbranch_vccz .LBB142_713
; %bb.698:
	s_cmp_lt_i32 s46, 27
	s_mov_b64 s[38:39], -1
	s_cbranch_scc1 .LBB142_704
; %bb.699:
	s_cmp_gt_i32 s46, 27
	s_cbranch_scc0 .LBB142_701
; %bb.700:
	v_cndmask_b32_e64 v2, 0, 1, s[36:37]
	s_mov_b64 s[38:39], 0
	global_store_dword v[0:1], v2, off
.LBB142_701:
	s_andn2_b64 vcc, exec, s[38:39]
	s_cbranch_vccnz .LBB142_703
; %bb.702:
	v_cndmask_b32_e64 v2, 0, 1, s[36:37]
	global_store_short v[0:1], v2, off
.LBB142_703:
	s_mov_b64 s[38:39], 0
.LBB142_704:
	s_andn2_b64 vcc, exec, s[38:39]
	s_cbranch_vccnz .LBB142_712
; %bb.705:
	v_cndmask_b32_e64 v3, 0, 1.0, s[36:37]
	s_mov_b32 s38, 0x43800000
	v_cmp_gt_u32_e32 vcc, s38, v3
	v_mov_b32_e32 v5, 0x80
	s_and_saveexec_b64 s[38:39], vcc
	s_cbranch_execz .LBB142_711
; %bb.706:
	s_mov_b32 s40, 0x3bffffff
	v_cmp_lt_u32_e32 vcc, s40, v3
	s_mov_b64 s[40:41], 0
                                        ; implicit-def: $vgpr2
	s_and_saveexec_b64 s[42:43], vcc
	s_xor_b64 s[42:43], exec, s[42:43]
	s_cbranch_execz .LBB142_812
; %bb.707:
	v_bfe_u32 v2, v3, 20, 1
	s_mov_b32 s47, 0x487ffff
	v_add3_u32 v2, v3, v2, s47
	s_mov_b64 s[40:41], exec
	v_lshrrev_b32_e32 v2, 20, v2
                                        ; implicit-def: $vgpr3
	s_andn2_saveexec_b64 s[42:43], s[42:43]
	s_cbranch_execnz .LBB142_813
.LBB142_708:
	s_or_b64 exec, exec, s[42:43]
	v_mov_b32_e32 v5, 0
	s_and_saveexec_b64 s[42:43], s[40:41]
.LBB142_709:
	v_mov_b32_e32 v5, v2
.LBB142_710:
	s_or_b64 exec, exec, s[42:43]
.LBB142_711:
	s_or_b64 exec, exec, s[38:39]
	global_store_byte v[0:1], v5, off
.LBB142_712:
	s_mov_b64 s[38:39], -1
.LBB142_713:
	s_mov_b64 s[40:41], 0
.LBB142_714:
	s_and_b64 vcc, exec, s[40:41]
	s_cbranch_vccz .LBB142_755
; %bb.715:
	s_cmp_gt_i32 s46, 22
	s_mov_b64 s[40:41], -1
	s_cbranch_scc0 .LBB142_747
; %bb.716:
	s_cmp_lt_i32 s46, 24
	s_mov_b64 s[38:39], -1
	s_cbranch_scc1 .LBB142_736
; %bb.717:
	s_cmp_gt_i32 s46, 24
	s_cbranch_scc0 .LBB142_725
; %bb.718:
	v_cndmask_b32_e64 v3, 0, 1.0, s[36:37]
	s_mov_b32 s38, 0x47800000
	v_cmp_gt_u32_e32 vcc, s38, v3
	v_mov_b32_e32 v5, 0x80
	s_and_saveexec_b64 s[38:39], vcc
	s_cbranch_execz .LBB142_724
; %bb.719:
	s_mov_b32 s40, 0x37ffffff
	v_cmp_lt_u32_e32 vcc, s40, v3
	s_mov_b64 s[40:41], 0
                                        ; implicit-def: $vgpr2
	s_and_saveexec_b64 s[42:43], vcc
	s_xor_b64 s[42:43], exec, s[42:43]
	s_cbranch_execz .LBB142_815
; %bb.720:
	v_bfe_u32 v2, v3, 21, 1
	s_mov_b32 s47, 0x88fffff
	v_add3_u32 v2, v3, v2, s47
	s_mov_b64 s[40:41], exec
	v_lshrrev_b32_e32 v2, 21, v2
                                        ; implicit-def: $vgpr3
	s_andn2_saveexec_b64 s[42:43], s[42:43]
	s_cbranch_execnz .LBB142_816
.LBB142_721:
	s_or_b64 exec, exec, s[42:43]
	v_mov_b32_e32 v5, 0
	s_and_saveexec_b64 s[42:43], s[40:41]
.LBB142_722:
	v_mov_b32_e32 v5, v2
.LBB142_723:
	s_or_b64 exec, exec, s[42:43]
.LBB142_724:
	s_or_b64 exec, exec, s[38:39]
	s_mov_b64 s[38:39], 0
	global_store_byte v[0:1], v5, off
.LBB142_725:
	s_and_b64 vcc, exec, s[38:39]
	s_cbranch_vccz .LBB142_735
; %bb.726:
	v_cndmask_b32_e64 v2, 0, 1.0, s[36:37]
	s_mov_b32 s38, 0x43f00000
	v_cmp_gt_u32_e32 vcc, s38, v2
                                        ; implicit-def: $vgpr3
	s_and_saveexec_b64 s[38:39], vcc
	s_xor_b64 s[38:39], exec, s[38:39]
	s_cbranch_execz .LBB142_732
; %bb.727:
	s_mov_b32 s40, 0x3c7fffff
	v_cmp_lt_u32_e32 vcc, s40, v2
                                        ; implicit-def: $vgpr3
	s_and_saveexec_b64 s[40:41], vcc
	s_xor_b64 s[40:41], exec, s[40:41]
; %bb.728:
	v_bfe_u32 v3, v2, 20, 1
	s_mov_b32 s42, 0x407ffff
	v_add3_u32 v2, v2, v3, s42
	v_lshrrev_b32_e32 v3, 20, v2
	v_and_b32_e32 v2, 0xff00000, v2
	s_mov_b32 s42, 0x7f00000
	v_mov_b32_e32 v5, 0x7e
	v_cmp_ne_u32_e32 vcc, s42, v2
	v_cndmask_b32_e32 v3, v5, v3, vcc
                                        ; implicit-def: $vgpr2
; %bb.729:
	s_andn2_saveexec_b64 s[40:41], s[40:41]
; %bb.730:
	v_add_f32_e32 v3, 0x46800000, v2
; %bb.731:
	s_or_b64 exec, exec, s[40:41]
                                        ; implicit-def: $vgpr2
.LBB142_732:
	s_andn2_saveexec_b64 s[38:39], s[38:39]
; %bb.733:
	s_mov_b32 s40, 0x7f800000
	v_mov_b32_e32 v3, 0x7e
	v_mov_b32_e32 v5, 0x7f
	v_cmp_lt_u32_e32 vcc, s40, v2
	v_cndmask_b32_e32 v3, v3, v5, vcc
; %bb.734:
	s_or_b64 exec, exec, s[38:39]
	global_store_byte v[0:1], v3, off
.LBB142_735:
	s_mov_b64 s[38:39], 0
.LBB142_736:
	s_andn2_b64 vcc, exec, s[38:39]
	s_cbranch_vccnz .LBB142_746
; %bb.737:
	v_cndmask_b32_e64 v2, 0, 1.0, s[36:37]
	s_mov_b32 s38, 0x47800000
	v_cmp_gt_u32_e32 vcc, s38, v2
                                        ; implicit-def: $vgpr3
	s_and_saveexec_b64 s[38:39], vcc
	s_xor_b64 s[38:39], exec, s[38:39]
	s_cbranch_execz .LBB142_743
; %bb.738:
	s_mov_b32 s40, 0x387fffff
	v_cmp_lt_u32_e32 vcc, s40, v2
                                        ; implicit-def: $vgpr3
	s_and_saveexec_b64 s[40:41], vcc
	s_xor_b64 s[40:41], exec, s[40:41]
; %bb.739:
	v_bfe_u32 v3, v2, 21, 1
	s_mov_b32 s42, 0x80fffff
	v_add3_u32 v2, v2, v3, s42
	v_lshrrev_b32_e32 v3, 21, v2
                                        ; implicit-def: $vgpr2
; %bb.740:
	s_andn2_saveexec_b64 s[40:41], s[40:41]
; %bb.741:
	v_add_f32_e32 v3, 0x43000000, v2
; %bb.742:
	s_or_b64 exec, exec, s[40:41]
                                        ; implicit-def: $vgpr2
.LBB142_743:
	s_andn2_saveexec_b64 s[38:39], s[38:39]
; %bb.744:
	s_mov_b32 s40, 0x7f800000
	v_mov_b32_e32 v3, 0x7c
	v_mov_b32_e32 v5, 0x7f
	v_cmp_lt_u32_e32 vcc, s40, v2
	v_cndmask_b32_e32 v3, v3, v5, vcc
; %bb.745:
	s_or_b64 exec, exec, s[38:39]
	global_store_byte v[0:1], v3, off
.LBB142_746:
	s_mov_b64 s[40:41], 0
	s_mov_b64 s[38:39], -1
.LBB142_747:
	s_andn2_b64 vcc, exec, s[40:41]
	s_cbranch_vccnz .LBB142_755
; %bb.748:
	s_cmp_gt_i32 s46, 14
	s_mov_b64 s[40:41], -1
	s_cbranch_scc0 .LBB142_752
; %bb.749:
	s_cmp_eq_u32 s46, 15
	s_mov_b64 s[0:1], -1
	s_cbranch_scc0 .LBB142_751
; %bb.750:
	v_cndmask_b32_e64 v2, 0, 1.0, s[36:37]
	v_bfe_u32 v3, v2, 16, 1
	s_movk_i32 s0, 0x7fff
	v_add3_u32 v2, v2, v3, s0
	global_store_short_d16_hi v[0:1], v2, off
	s_mov_b64 s[38:39], -1
	s_mov_b64 s[0:1], 0
.LBB142_751:
	s_mov_b64 s[40:41], 0
.LBB142_752:
	s_and_b64 vcc, exec, s[40:41]
	s_cbranch_vccz .LBB142_755
; %bb.753:
	s_cmp_eq_u32 s46, 11
	s_mov_b64 s[0:1], -1
	s_cbranch_scc0 .LBB142_755
; %bb.754:
	v_cndmask_b32_e64 v2, 0, 1, s[36:37]
	s_mov_b64 s[38:39], -1
	s_mov_b64 s[0:1], 0
	global_store_byte v[0:1], v2, off
.LBB142_755:
	s_mov_b64 s[40:41], 0
.LBB142_756:
	s_and_b64 vcc, exec, s[40:41]
	s_cbranch_vccz .LBB142_795
; %bb.757:
	s_and_b32 s40, 0xffff, s45
	s_cmp_lt_i32 s40, 5
	s_mov_b64 s[38:39], -1
	s_cbranch_scc1 .LBB142_778
; %bb.758:
	s_cmp_lt_i32 s40, 8
	s_cbranch_scc1 .LBB142_768
; %bb.759:
	s_cmp_lt_i32 s40, 9
	s_cbranch_scc1 .LBB142_765
; %bb.760:
	s_cmp_gt_i32 s40, 9
	s_cbranch_scc0 .LBB142_762
; %bb.761:
	v_cndmask_b32_e64 v2, 0, 1, s[36:37]
	v_cvt_f64_u32_e32 v[5:6], v2
	v_mov_b32_e32 v7, 0
	v_mov_b32_e32 v8, v7
	s_mov_b64 s[38:39], 0
	global_store_dwordx4 v[0:1], v[5:8], off
.LBB142_762:
	s_andn2_b64 vcc, exec, s[38:39]
	s_cbranch_vccnz .LBB142_764
; %bb.763:
	v_cndmask_b32_e64 v2, 0, 1.0, s[36:37]
	v_mov_b32_e32 v3, 0
	global_store_dwordx2 v[0:1], v[2:3], off
.LBB142_764:
	s_mov_b64 s[38:39], 0
.LBB142_765:
	s_andn2_b64 vcc, exec, s[38:39]
	s_cbranch_vccnz .LBB142_767
; %bb.766:
	v_cndmask_b32_e64 v2, 0, 1.0, s[36:37]
	v_cvt_f16_f32_e32 v2, v2
	global_store_dword v[0:1], v2, off
.LBB142_767:
	s_mov_b64 s[38:39], 0
.LBB142_768:
	s_andn2_b64 vcc, exec, s[38:39]
	s_cbranch_vccnz .LBB142_777
; %bb.769:
	s_cmp_lt_i32 s40, 6
	s_mov_b64 s[38:39], -1
	s_cbranch_scc1 .LBB142_775
; %bb.770:
	s_cmp_gt_i32 s40, 6
	s_cbranch_scc0 .LBB142_772
; %bb.771:
	v_cndmask_b32_e64 v2, 0, 1, s[36:37]
	v_cvt_f64_u32_e32 v[2:3], v2
	s_mov_b64 s[38:39], 0
	global_store_dwordx2 v[0:1], v[2:3], off
.LBB142_772:
	s_andn2_b64 vcc, exec, s[38:39]
	s_cbranch_vccnz .LBB142_774
; %bb.773:
	v_cndmask_b32_e64 v2, 0, 1.0, s[36:37]
	global_store_dword v[0:1], v2, off
.LBB142_774:
	s_mov_b64 s[38:39], 0
.LBB142_775:
	s_andn2_b64 vcc, exec, s[38:39]
	s_cbranch_vccnz .LBB142_777
; %bb.776:
	v_cndmask_b32_e64 v2, 0, 1.0, s[36:37]
	v_cvt_f16_f32_e32 v2, v2
	global_store_short v[0:1], v2, off
.LBB142_777:
	s_mov_b64 s[38:39], 0
.LBB142_778:
	s_andn2_b64 vcc, exec, s[38:39]
	s_cbranch_vccnz .LBB142_794
; %bb.779:
	s_cmp_lt_i32 s40, 2
	s_mov_b64 s[38:39], -1
	s_cbranch_scc1 .LBB142_789
; %bb.780:
	s_cmp_lt_i32 s40, 3
	s_cbranch_scc1 .LBB142_786
; %bb.781:
	s_cmp_gt_i32 s40, 3
	s_cbranch_scc0 .LBB142_783
; %bb.782:
	s_mov_b32 s38, 0
	v_cndmask_b32_e64 v2, 0, 1, s[36:37]
	v_mov_b32_e32 v3, s38
	s_mov_b64 s[38:39], 0
	global_store_dwordx2 v[0:1], v[2:3], off
.LBB142_783:
	s_andn2_b64 vcc, exec, s[38:39]
	s_cbranch_vccnz .LBB142_785
; %bb.784:
	v_cndmask_b32_e64 v2, 0, 1, s[36:37]
	global_store_dword v[0:1], v2, off
.LBB142_785:
	s_mov_b64 s[38:39], 0
.LBB142_786:
	s_andn2_b64 vcc, exec, s[38:39]
	s_cbranch_vccnz .LBB142_788
; %bb.787:
	v_cndmask_b32_e64 v2, 0, 1, s[36:37]
	global_store_short v[0:1], v2, off
.LBB142_788:
	s_mov_b64 s[38:39], 0
.LBB142_789:
	s_andn2_b64 vcc, exec, s[38:39]
	s_cbranch_vccnz .LBB142_794
; %bb.790:
	s_mov_b64 s[38:39], -1
	s_cmp_gt_i32 s40, 0
	v_cndmask_b32_e64 v2, 0, 1, s[36:37]
	s_cbranch_scc0 .LBB142_792
; %bb.791:
	s_mov_b64 s[38:39], 0
	global_store_byte v[0:1], v2, off
.LBB142_792:
	s_andn2_b64 vcc, exec, s[38:39]
	s_cbranch_vccnz .LBB142_794
; %bb.793:
	global_store_byte v[0:1], v2, off
.LBB142_794:
	s_mov_b64 s[38:39], -1
.LBB142_795:
	s_andn2_b64 vcc, exec, s[38:39]
	s_cbranch_vccnz .LBB142_797
; %bb.796:
	v_add_u32_e32 v4, 0x80, v4
	s_mov_b64 s[38:39], -1
	s_branch .LBB142_798
.LBB142_797:
	s_mov_b64 s[38:39], 0
                                        ; implicit-def: $vgpr4
.LBB142_798:
	s_andn2_b64 s[36:37], s[26:27], exec
	s_and_b64 s[0:1], s[0:1], exec
	s_or_b64 s[36:37], s[36:37], s[0:1]
	s_andn2_b64 s[0:1], s[24:25], exec
	s_and_b64 s[34:35], s[34:35], exec
	s_or_b64 s[0:1], s[0:1], s[34:35]
	s_orn2_b64 s[40:41], s[38:39], exec
.LBB142_799:
	s_or_b64 exec, exec, s[30:31]
	s_mov_b64 s[38:39], 0
	s_mov_b64 s[34:35], 0
	;; [unrolled: 1-line block ×3, first 2 shown]
                                        ; implicit-def: $vgpr0_vgpr1
                                        ; implicit-def: $vgpr3
	s_and_saveexec_b64 s[30:31], s[40:41]
	s_cbranch_execz .LBB142_887
; %bb.800:
	v_cmp_gt_i32_e32 vcc, s44, v4
	s_mov_b64 s[40:41], 0
	s_mov_b64 s[44:45], s[0:1]
	;; [unrolled: 1-line block ×3, first 2 shown]
                                        ; implicit-def: $vgpr0_vgpr1
                                        ; implicit-def: $vgpr3
	s_and_saveexec_b64 s[34:35], vcc
	s_cbranch_execz .LBB142_886
; %bb.801:
	v_mul_lo_u32 v0, v4, s13
	v_mov_b32_e32 v1, s11
	s_and_b32 s48, 0xffff, s15
	s_cmp_lt_i32 s48, 11
	s_waitcnt vmcnt(0)
	v_ashrrev_i32_e32 v2, 31, v0
	v_add_co_u32_e32 v0, vcc, s10, v0
	v_addc_co_u32_e32 v1, vcc, v1, v2, vcc
	s_cbranch_scc1 .LBB142_808
; %bb.802:
	s_cmp_gt_i32 s48, 25
	s_cbranch_scc0 .LBB142_809
; %bb.803:
	s_cmp_gt_i32 s48, 28
	s_cbranch_scc0 .LBB142_810
	;; [unrolled: 3-line block ×4, first 2 shown]
; %bb.806:
	s_cmp_eq_u32 s48, 46
	s_mov_b64 s[44:45], 0
	s_cbranch_scc0 .LBB142_817
; %bb.807:
	global_load_dword v2, v[0:1], off
	s_mov_b64 s[42:43], -1
	s_waitcnt vmcnt(0)
	v_and_b32_e32 v3, 0xffff0000, v2
	v_lshlrev_b32_e32 v2, 16, v2
	s_branch .LBB142_819
.LBB142_808:
	s_mov_b64 s[44:45], -1
                                        ; implicit-def: $vgpr3
	s_mov_b64 s[38:39], s[0:1]
	s_branch .LBB142_885
.LBB142_809:
	s_mov_b64 s[44:45], -1
	s_mov_b64 s[38:39], s[0:1]
                                        ; implicit-def: $vgpr3
	s_branch .LBB142_850
.LBB142_810:
	s_mov_b64 s[44:45], -1
	s_mov_b64 s[38:39], s[0:1]
                                        ; implicit-def: $vgpr3
	s_branch .LBB142_831
.LBB142_811:
	s_mov_b64 s[44:45], -1
	s_mov_b64 s[38:39], s[0:1]
                                        ; implicit-def: $vgpr3
	s_branch .LBB142_825
.LBB142_812:
	s_andn2_saveexec_b64 s[42:43], s[42:43]
	s_cbranch_execz .LBB142_708
.LBB142_813:
	v_add_f32_e32 v2, 0x46000000, v3
	v_and_b32_e32 v2, 0xff, v2
	v_cmp_ne_u32_e32 vcc, 0, v2
	s_andn2_b64 s[40:41], s[40:41], exec
	s_and_b64 s[48:49], vcc, exec
	s_or_b64 s[40:41], s[40:41], s[48:49]
	s_or_b64 exec, exec, s[42:43]
	v_mov_b32_e32 v5, 0
	s_and_saveexec_b64 s[42:43], s[40:41]
	s_cbranch_execnz .LBB142_709
	s_branch .LBB142_710
.LBB142_814:
	s_mov_b64 s[44:45], -1
	s_mov_b64 s[38:39], s[0:1]
	s_branch .LBB142_818
.LBB142_815:
	s_andn2_saveexec_b64 s[42:43], s[42:43]
	s_cbranch_execz .LBB142_721
.LBB142_816:
	v_add_f32_e32 v2, 0x42800000, v3
	v_and_b32_e32 v2, 0xff, v2
	v_cmp_ne_u32_e32 vcc, 0, v2
	s_andn2_b64 s[40:41], s[40:41], exec
	s_and_b64 s[48:49], vcc, exec
	s_or_b64 s[40:41], s[40:41], s[48:49]
	s_or_b64 exec, exec, s[42:43]
	v_mov_b32_e32 v5, 0
	s_and_saveexec_b64 s[42:43], s[40:41]
	s_cbranch_execnz .LBB142_722
	s_branch .LBB142_723
.LBB142_817:
	s_mov_b64 s[38:39], -1
.LBB142_818:
                                        ; implicit-def: $vgpr3
.LBB142_819:
	s_and_b64 vcc, exec, s[44:45]
	s_cbranch_vccz .LBB142_824
; %bb.820:
	s_cmp_eq_u32 s48, 44
	s_cbranch_scc0 .LBB142_822
; %bb.821:
	global_load_ubyte v2, v[0:1], off
	s_movk_i32 s42, 0xff
	v_mov_b32_e32 v3, 0x7f800001
	v_mov_b32_e32 v5, 0x400000
	s_mov_b64 s[38:39], 0
	s_waitcnt vmcnt(0)
	v_lshlrev_b32_e32 v6, 23, v2
	v_cmp_ne_u32_e32 vcc, s42, v2
	v_cndmask_b32_e32 v3, v3, v6, vcc
	v_cmp_ne_u32_e32 vcc, 0, v2
	v_cndmask_b32_e32 v2, v5, v3, vcc
	s_mov_b64 s[42:43], -1
	s_branch .LBB142_823
.LBB142_822:
	s_mov_b64 s[38:39], -1
                                        ; implicit-def: $vgpr2
.LBB142_823:
	v_mov_b32_e32 v3, 0
.LBB142_824:
	s_mov_b64 s[44:45], 0
.LBB142_825:
	s_and_b64 vcc, exec, s[44:45]
	s_cbranch_vccz .LBB142_830
; %bb.826:
	s_cmp_eq_u32 s48, 29
	s_cbranch_scc0 .LBB142_828
; %bb.827:
	global_load_dwordx2 v[2:3], v[0:1], off
	s_mov_b64 s[38:39], 0
	s_mov_b64 s[42:43], -1
	s_waitcnt vmcnt(0)
	v_ffbh_u32_e32 v5, v3
	v_min_u32_e32 v5, 32, v5
	v_lshlrev_b64 v[2:3], v5, v[2:3]
	v_min_u32_e32 v2, 1, v2
	v_or_b32_e32 v2, v3, v2
	v_cvt_f32_u32_e32 v2, v2
	v_sub_u32_e32 v3, 32, v5
	v_ldexp_f32 v2, v2, v3
	s_branch .LBB142_829
.LBB142_828:
	s_mov_b64 s[38:39], -1
                                        ; implicit-def: $vgpr2
.LBB142_829:
	v_mov_b32_e32 v3, 0
.LBB142_830:
	s_mov_b64 s[44:45], 0
.LBB142_831:
	s_and_b64 vcc, exec, s[44:45]
	s_cbranch_vccz .LBB142_849
; %bb.832:
	s_cmp_lt_i32 s48, 27
	s_cbranch_scc1 .LBB142_835
; %bb.833:
	s_cmp_gt_i32 s48, 27
	s_cbranch_scc0 .LBB142_836
; %bb.834:
	global_load_dword v2, v[0:1], off
	s_mov_b64 s[42:43], 0
	s_waitcnt vmcnt(0)
	v_cvt_f32_u32_e32 v2, v2
	s_branch .LBB142_837
.LBB142_835:
	s_mov_b64 s[42:43], -1
                                        ; implicit-def: $vgpr2
	s_branch .LBB142_840
.LBB142_836:
	s_mov_b64 s[42:43], -1
                                        ; implicit-def: $vgpr2
.LBB142_837:
	s_andn2_b64 vcc, exec, s[42:43]
	s_cbranch_vccnz .LBB142_839
; %bb.838:
	global_load_ushort v2, v[0:1], off
	s_waitcnt vmcnt(0)
	v_cvt_f32_u32_e32 v2, v2
.LBB142_839:
	s_mov_b64 s[42:43], 0
.LBB142_840:
	s_andn2_b64 vcc, exec, s[42:43]
	s_cbranch_vccnz .LBB142_848
; %bb.841:
	global_load_ubyte v3, v[0:1], off
	s_movk_i32 s42, 0x7f
	s_waitcnt vmcnt(0)
	v_cmp_lt_i16_e32 vcc, s42, v3
	s_mov_b64 s[42:43], 0
	s_and_saveexec_b64 s[44:45], vcc
	s_xor_b64 s[44:45], exec, s[44:45]
	s_cbranch_execz .LBB142_862
; %bb.842:
	s_movk_i32 s42, 0x80
	v_cmp_eq_u16_e32 vcc, s42, v3
	s_mov_b64 s[42:43], -1
	s_and_saveexec_b64 s[46:47], vcc
; %bb.843:
	s_xor_b64 s[42:43], exec, -1
; %bb.844:
	s_or_b64 exec, exec, s[46:47]
	s_and_b64 s[42:43], s[42:43], exec
	s_or_saveexec_b64 s[44:45], s[44:45]
	v_mov_b32_e32 v2, 0x7f800001
	s_xor_b64 exec, exec, s[44:45]
	s_cbranch_execnz .LBB142_863
.LBB142_845:
	s_or_b64 exec, exec, s[44:45]
	s_and_saveexec_b64 s[44:45], s[42:43]
	s_cbranch_execz .LBB142_847
.LBB142_846:
	v_lshlrev_b32_e32 v2, 24, v3
	v_and_b32_e32 v3, 0xffff, v3
	v_and_b32_e32 v5, 7, v3
	v_ffbh_u32_e32 v7, v5
	v_min_u32_e32 v7, 32, v7
	v_subrev_u32_e32 v8, 28, v7
	v_bfe_u32 v6, v3, 3, 4
	v_lshlrev_b32_e32 v3, v8, v3
	v_sub_u32_e32 v7, 29, v7
	v_and_b32_e32 v3, 7, v3
	v_cmp_eq_u32_e32 vcc, 0, v6
	v_cndmask_b32_e32 v6, v6, v7, vcc
	v_cndmask_b32_e32 v3, v5, v3, vcc
	v_mov_b32_e32 v5, 0x3b800000
	v_lshlrev_b32_e32 v3, 20, v3
	v_and_b32_e32 v2, 0x80000000, v2
	v_lshl_add_u32 v5, v6, 23, v5
	v_or3_b32 v2, v2, v5, v3
.LBB142_847:
	s_or_b64 exec, exec, s[44:45]
.LBB142_848:
	s_mov_b64 s[42:43], -1
	v_mov_b32_e32 v3, 0
.LBB142_849:
	s_mov_b64 s[44:45], 0
.LBB142_850:
	s_and_b64 vcc, exec, s[44:45]
	s_cbranch_vccz .LBB142_884
; %bb.851:
	s_cmp_gt_i32 s48, 22
	s_cbranch_scc0 .LBB142_861
; %bb.852:
	s_cmp_lt_i32 s48, 24
	s_cbranch_scc1 .LBB142_864
; %bb.853:
	s_cmp_gt_i32 s48, 24
	s_cbranch_scc0 .LBB142_865
; %bb.854:
	global_load_ubyte v3, v[0:1], off
	s_movk_i32 s40, 0x7f
	s_waitcnt vmcnt(0)
	v_cmp_lt_i16_e32 vcc, s40, v3
	s_mov_b64 s[40:41], 0
	s_and_saveexec_b64 s[42:43], vcc
	s_xor_b64 s[42:43], exec, s[42:43]
	s_cbranch_execz .LBB142_877
; %bb.855:
	s_movk_i32 s40, 0x80
	v_cmp_eq_u16_e32 vcc, s40, v3
	s_mov_b64 s[40:41], -1
	s_and_saveexec_b64 s[44:45], vcc
; %bb.856:
	s_xor_b64 s[40:41], exec, -1
; %bb.857:
	s_or_b64 exec, exec, s[44:45]
	s_and_b64 s[40:41], s[40:41], exec
	s_or_saveexec_b64 s[42:43], s[42:43]
	v_mov_b32_e32 v2, 0x7f800001
	s_xor_b64 exec, exec, s[42:43]
	s_cbranch_execnz .LBB142_878
.LBB142_858:
	s_or_b64 exec, exec, s[42:43]
	s_and_saveexec_b64 s[42:43], s[40:41]
	s_cbranch_execz .LBB142_860
.LBB142_859:
	v_lshlrev_b32_e32 v2, 24, v3
	v_and_b32_e32 v3, 0xffff, v3
	v_and_b32_e32 v5, 3, v3
	v_ffbh_u32_e32 v7, v5
	v_min_u32_e32 v7, 32, v7
	v_subrev_u32_e32 v8, 29, v7
	v_bfe_u32 v6, v3, 2, 5
	v_lshlrev_b32_e32 v3, v8, v3
	v_sub_u32_e32 v7, 30, v7
	v_and_b32_e32 v3, 3, v3
	v_cmp_eq_u32_e32 vcc, 0, v6
	v_cndmask_b32_e32 v6, v6, v7, vcc
	v_cndmask_b32_e32 v3, v5, v3, vcc
	v_mov_b32_e32 v5, 0x37800000
	v_lshlrev_b32_e32 v3, 21, v3
	v_and_b32_e32 v2, 0x80000000, v2
	v_lshl_add_u32 v5, v6, 23, v5
	v_or3_b32 v2, v2, v5, v3
.LBB142_860:
	s_or_b64 exec, exec, s[42:43]
	s_mov_b64 s[40:41], 0
	s_branch .LBB142_866
.LBB142_861:
	s_mov_b64 s[40:41], -1
                                        ; implicit-def: $vgpr2
	s_branch .LBB142_872
.LBB142_862:
	s_or_saveexec_b64 s[44:45], s[44:45]
	v_mov_b32_e32 v2, 0x7f800001
	s_xor_b64 exec, exec, s[44:45]
	s_cbranch_execz .LBB142_845
.LBB142_863:
	v_cmp_ne_u16_e32 vcc, 0, v3
	s_andn2_b64 s[42:43], s[42:43], exec
	s_and_b64 s[46:47], vcc, exec
	v_mov_b32_e32 v2, 0
	s_or_b64 s[42:43], s[42:43], s[46:47]
	s_or_b64 exec, exec, s[44:45]
	s_and_saveexec_b64 s[44:45], s[42:43]
	s_cbranch_execnz .LBB142_846
	s_branch .LBB142_847
.LBB142_864:
	s_mov_b64 s[40:41], -1
                                        ; implicit-def: $vgpr2
	s_branch .LBB142_869
.LBB142_865:
	s_mov_b64 s[40:41], -1
                                        ; implicit-def: $vgpr2
.LBB142_866:
	s_and_b64 vcc, exec, s[40:41]
	s_cbranch_vccz .LBB142_868
; %bb.867:
	global_load_ubyte v2, v[0:1], off
	s_mov_b32 s40, 0x7f800000
	s_waitcnt vmcnt(0)
	v_lshlrev_b32_e32 v2, 24, v2
	v_and_b32_e32 v3, 0x7f000000, v2
	v_ffbh_u32_e32 v5, v3
	v_min_u32_e32 v5, 32, v5
	v_sub_u32_e64 v5, v5, 4 clamp
	v_lshlrev_b32_e32 v7, v5, v3
	v_lshlrev_b32_e32 v5, 23, v5
	v_lshrrev_b32_e32 v7, 4, v7
	v_add_u32_e32 v6, 0x1000000, v3
	v_sub_u32_e32 v5, v7, v5
	v_ashrrev_i32_e32 v6, 8, v6
	v_add_u32_e32 v5, 0x3c000000, v5
	v_and_or_b32 v5, v6, s40, v5
	v_cmp_ne_u32_e32 vcc, 0, v3
	v_cndmask_b32_e32 v3, 0, v5, vcc
	s_brev_b32 s40, 1
	v_and_or_b32 v2, v2, s40, v3
.LBB142_868:
	s_mov_b64 s[40:41], 0
.LBB142_869:
	s_andn2_b64 vcc, exec, s[40:41]
	s_cbranch_vccnz .LBB142_871
; %bb.870:
	global_load_ubyte v2, v[0:1], off
	s_movk_i32 s40, 0x7f00
	s_brev_b32 s41, 16
	s_waitcnt vmcnt(0)
	v_lshlrev_b16_e32 v3, 8, v2
	v_lshlrev_b32_e32 v2, 25, v2
	v_lshrrev_b32_e32 v5, 4, v2
	v_and_or_b32 v6, v3, s40, 0.5
	v_or_b32_e32 v5, 0x70000000, v5
	v_add_f32_e32 v6, -0.5, v6
	v_mul_f32_e32 v5, 0x7800000, v5
	v_cmp_gt_u32_e32 vcc, s41, v2
	v_bfe_i32 v3, v3, 0, 16
	v_cndmask_b32_e32 v2, v5, v6, vcc
	s_brev_b32 s40, 1
	v_and_or_b32 v2, v3, s40, v2
.LBB142_871:
	s_mov_b64 s[40:41], 0
	s_mov_b64 s[42:43], -1
.LBB142_872:
	s_andn2_b64 vcc, exec, s[40:41]
	s_mov_b64 s[40:41], 0
	s_cbranch_vccnz .LBB142_883
; %bb.873:
	s_cmp_gt_i32 s48, 14
	s_cbranch_scc0 .LBB142_876
; %bb.874:
	s_cmp_eq_u32 s48, 15
	s_cbranch_scc0 .LBB142_879
; %bb.875:
	global_load_ushort v2, v[0:1], off
	s_mov_b64 s[38:39], 0
	s_mov_b64 s[42:43], -1
	s_waitcnt vmcnt(0)
	v_lshlrev_b32_e32 v2, 16, v2
	s_branch .LBB142_880
.LBB142_876:
	s_mov_b64 s[44:45], -1
                                        ; implicit-def: $vgpr2
	s_branch .LBB142_881
.LBB142_877:
	s_or_saveexec_b64 s[42:43], s[42:43]
	v_mov_b32_e32 v2, 0x7f800001
	s_xor_b64 exec, exec, s[42:43]
	s_cbranch_execz .LBB142_858
.LBB142_878:
	v_cmp_ne_u16_e32 vcc, 0, v3
	s_andn2_b64 s[40:41], s[40:41], exec
	s_and_b64 s[44:45], vcc, exec
	v_mov_b32_e32 v2, 0
	s_or_b64 s[40:41], s[40:41], s[44:45]
	s_or_b64 exec, exec, s[42:43]
	s_and_saveexec_b64 s[42:43], s[40:41]
	s_cbranch_execnz .LBB142_859
	s_branch .LBB142_860
.LBB142_879:
	s_mov_b64 s[38:39], -1
                                        ; implicit-def: $vgpr2
.LBB142_880:
	s_mov_b64 s[44:45], 0
.LBB142_881:
	s_and_b64 vcc, exec, s[44:45]
	s_cbranch_vccz .LBB142_883
; %bb.882:
	s_cmp_lg_u32 s48, 11
	s_cselect_b64 s[44:45], -1, 0
	s_andn2_b64 s[38:39], s[38:39], exec
	s_and_b64 s[44:45], s[44:45], exec
	s_mov_b64 s[40:41], -1
	s_or_b64 s[38:39], s[38:39], s[44:45]
.LBB142_883:
	v_mov_b32_e32 v3, 0
.LBB142_884:
	s_mov_b64 s[44:45], 0
.LBB142_885:
	s_and_b64 s[46:47], s[44:45], exec
	s_andn2_b64 s[44:45], s[0:1], exec
	s_and_b64 s[38:39], s[38:39], exec
	s_and_b64 s[42:43], s[42:43], exec
	;; [unrolled: 1-line block ×3, first 2 shown]
	s_or_b64 s[44:45], s[44:45], s[38:39]
.LBB142_886:
	s_or_b64 exec, exec, s[34:35]
	s_and_b64 s[38:39], s[40:41], exec
	s_andn2_b64 s[0:1], s[0:1], exec
	s_and_b64 s[40:41], s[44:45], exec
	s_and_b64 s[42:43], s[42:43], exec
	;; [unrolled: 1-line block ×3, first 2 shown]
	s_or_b64 s[0:1], s[0:1], s[40:41]
.LBB142_887:
	s_or_b64 exec, exec, s[30:31]
	s_andn2_b64 s[26:27], s[26:27], exec
	s_and_b64 s[30:31], s[36:37], exec
	s_andn2_b64 s[24:25], s[24:25], exec
	s_and_b64 s[0:1], s[0:1], exec
	s_or_b64 s[26:27], s[26:27], s[30:31]
	s_and_b64 s[36:37], s[42:43], exec
	s_and_b64 s[34:35], s[34:35], exec
	;; [unrolled: 1-line block ×3, first 2 shown]
	s_or_b64 s[24:25], s[24:25], s[0:1]
.LBB142_888:
	s_or_b64 exec, exec, s[28:29]
	s_andn2_b64 s[0:1], s[18:19], exec
	s_and_b64 s[18:19], s[26:27], exec
	s_andn2_b64 s[20:21], s[20:21], exec
	s_and_b64 s[24:25], s[24:25], exec
	s_or_b64 s[18:19], s[0:1], s[18:19]
	s_and_b64 s[0:1], s[36:37], exec
	s_and_b64 s[28:29], s[34:35], exec
	;; [unrolled: 1-line block ×3, first 2 shown]
	s_or_b64 s[20:21], s[20:21], s[24:25]
	s_or_b64 exec, exec, s[22:23]
	s_mov_b64 s[22:23], 0
	s_and_saveexec_b64 s[24:25], s[20:21]
	s_cbranch_execz .LBB142_270
.LBB142_889:
	s_mov_b64 s[22:23], exec
	s_andn2_b64 s[26:27], s[26:27], exec
	s_trap 2
	s_or_b64 exec, exec, s[24:25]
	s_and_saveexec_b64 s[20:21], s[26:27]
	s_xor_b64 s[20:21], exec, s[20:21]
	s_cbranch_execnz .LBB142_271
.LBB142_890:
	s_or_b64 exec, exec, s[20:21]
	s_and_saveexec_b64 s[20:21], s[28:29]
	s_cbranch_execz .LBB142_938
.LBB142_891:
	s_sext_i32_i16 s24, s15
	s_cmp_lt_i32 s24, 5
	s_cbranch_scc1 .LBB142_896
; %bb.892:
	s_cmp_lt_i32 s24, 8
	s_cbranch_scc1 .LBB142_897
; %bb.893:
	;; [unrolled: 3-line block ×3, first 2 shown]
	s_cmp_gt_i32 s24, 9
	s_cbranch_scc0 .LBB142_899
; %bb.895:
	global_load_dwordx4 v[5:8], v[0:1], off
	s_mov_b64 s[24:25], 0
	s_waitcnt vmcnt(0)
	v_cvt_f32_f64_e32 v2, v[5:6]
	v_cvt_f32_f64_e32 v3, v[7:8]
	s_branch .LBB142_900
.LBB142_896:
                                        ; implicit-def: $vgpr3
	s_branch .LBB142_918
.LBB142_897:
                                        ; implicit-def: $vgpr3
	s_branch .LBB142_906
.LBB142_898:
	s_mov_b64 s[24:25], -1
                                        ; implicit-def: $vgpr3
	s_branch .LBB142_903
.LBB142_899:
	s_mov_b64 s[24:25], -1
                                        ; implicit-def: $vgpr3
.LBB142_900:
	s_andn2_b64 vcc, exec, s[24:25]
	s_cbranch_vccnz .LBB142_902
; %bb.901:
	global_load_dwordx2 v[2:3], v[0:1], off
.LBB142_902:
	s_mov_b64 s[24:25], 0
.LBB142_903:
	s_andn2_b64 vcc, exec, s[24:25]
	s_cbranch_vccnz .LBB142_905
; %bb.904:
	global_load_dword v3, v[0:1], off
	s_waitcnt vmcnt(0)
	v_cvt_f32_f16_e32 v2, v3
	v_cvt_f32_f16_sdwa v3, v3 dst_sel:DWORD dst_unused:UNUSED_PAD src0_sel:WORD_1
.LBB142_905:
	s_cbranch_execnz .LBB142_917
.LBB142_906:
	s_sext_i32_i16 s24, s15
	s_cmp_lt_i32 s24, 6
	s_cbranch_scc1 .LBB142_909
; %bb.907:
	s_cmp_gt_i32 s24, 6
	s_cbranch_scc0 .LBB142_910
; %bb.908:
	global_load_dwordx2 v[2:3], v[0:1], off
	s_mov_b64 s[24:25], 0
	s_waitcnt vmcnt(0)
	v_cvt_f32_f64_e32 v2, v[2:3]
	s_branch .LBB142_911
.LBB142_909:
	s_mov_b64 s[24:25], -1
                                        ; implicit-def: $vgpr2
	s_branch .LBB142_914
.LBB142_910:
	s_mov_b64 s[24:25], -1
                                        ; implicit-def: $vgpr2
.LBB142_911:
	s_andn2_b64 vcc, exec, s[24:25]
	s_cbranch_vccnz .LBB142_913
; %bb.912:
	global_load_dword v2, v[0:1], off
.LBB142_913:
	s_mov_b64 s[24:25], 0
.LBB142_914:
	s_andn2_b64 vcc, exec, s[24:25]
	s_cbranch_vccnz .LBB142_916
; %bb.915:
	global_load_ushort v2, v[0:1], off
	s_waitcnt vmcnt(0)
	v_cvt_f32_f16_e32 v2, v2
.LBB142_916:
	s_waitcnt vmcnt(0)
	v_mov_b32_e32 v3, 0
.LBB142_917:
	s_cbranch_execnz .LBB142_937
.LBB142_918:
	s_sext_i32_i16 s24, s15
	s_cmp_lt_i32 s24, 2
	s_cbranch_scc1 .LBB142_922
; %bb.919:
	s_cmp_lt_i32 s24, 3
	s_cbranch_scc1 .LBB142_923
; %bb.920:
	s_cmp_gt_i32 s24, 3
	s_cbranch_scc0 .LBB142_924
; %bb.921:
	global_load_dwordx2 v[2:3], v[0:1], off
	s_mov_b64 s[24:25], 0
	s_waitcnt vmcnt(0)
	v_xor_b32_e32 v6, v2, v3
	v_ffbh_i32_e32 v5, v3
	v_ashrrev_i32_e32 v6, 31, v6
	v_add_u32_e32 v5, -1, v5
	v_add_u32_e32 v6, 32, v6
	v_min_u32_e32 v5, v5, v6
	v_lshlrev_b64 v[2:3], v5, v[2:3]
	v_min_u32_e32 v2, 1, v2
	v_or_b32_e32 v2, v3, v2
	v_cvt_f32_i32_e32 v2, v2
	v_sub_u32_e32 v3, 32, v5
	v_ldexp_f32 v2, v2, v3
	s_branch .LBB142_925
.LBB142_922:
                                        ; implicit-def: $vgpr2
	s_branch .LBB142_931
.LBB142_923:
	s_mov_b64 s[24:25], -1
                                        ; implicit-def: $vgpr2
	s_branch .LBB142_928
.LBB142_924:
	s_mov_b64 s[24:25], -1
                                        ; implicit-def: $vgpr2
.LBB142_925:
	s_andn2_b64 vcc, exec, s[24:25]
	s_cbranch_vccnz .LBB142_927
; %bb.926:
	global_load_dword v2, v[0:1], off
	s_waitcnt vmcnt(0)
	v_cvt_f32_i32_e32 v2, v2
.LBB142_927:
	s_mov_b64 s[24:25], 0
.LBB142_928:
	s_andn2_b64 vcc, exec, s[24:25]
	s_cbranch_vccnz .LBB142_930
; %bb.929:
	global_load_sshort v2, v[0:1], off
	s_waitcnt vmcnt(0)
	v_cvt_f32_i32_e32 v2, v2
.LBB142_930:
	s_cbranch_execnz .LBB142_936
.LBB142_931:
	s_sext_i32_i16 s24, s15
	s_cmp_gt_i32 s24, 0
	s_cbranch_scc0 .LBB142_933
; %bb.932:
	global_load_sbyte v2, v[0:1], off
	s_mov_b64 s[24:25], 0
	s_waitcnt vmcnt(0)
	v_cvt_f32_i32_e32 v2, v2
	s_branch .LBB142_934
.LBB142_933:
	s_mov_b64 s[24:25], -1
                                        ; implicit-def: $vgpr2
.LBB142_934:
	s_andn2_b64 vcc, exec, s[24:25]
	s_cbranch_vccnz .LBB142_936
; %bb.935:
	global_load_ubyte v0, v[0:1], off
	s_waitcnt vmcnt(0)
	v_cvt_f32_ubyte0_e32 v2, v0
.LBB142_936:
	s_waitcnt vmcnt(0)
	v_mov_b32_e32 v3, 0
.LBB142_937:
	s_or_b64 s[0:1], s[0:1], exec
.LBB142_938:
	s_or_b64 exec, exec, s[20:21]
	s_mov_b64 s[28:29], 0
	s_mov_b64 s[26:27], 0
                                        ; implicit-def: $sgpr20_sgpr21
                                        ; implicit-def: $sgpr34
                                        ; implicit-def: $vgpr0_vgpr1
	s_and_saveexec_b64 s[24:25], s[0:1]
	s_cbranch_execz .LBB142_1016
; %bb.939:
	s_andn2_b64 vcc, exec, s[16:17]
	s_cbranch_vccnz .LBB142_1020
; %bb.940:
	s_waitcnt vmcnt(0)
	v_cmp_neq_f32_e32 vcc, s2, v2
	v_cmp_neq_f32_e64 s[0:1], s3, v3
	s_or_b64 s[20:21], vcc, s[0:1]
	s_cbranch_execnz .LBB142_942
.LBB142_941:
	s_waitcnt vmcnt(0)
	v_cmp_eq_f32_e32 vcc, s2, v2
	v_cmp_eq_f32_e64 s[0:1], s3, v3
	s_and_b64 s[0:1], vcc, s[0:1]
	s_andn2_b64 s[16:17], s[20:21], exec
	s_and_b64 s[0:1], s[0:1], exec
	s_or_b64 s[20:21], s[16:17], s[0:1]
.LBB142_942:
	v_mul_lo_u32 v0, v4, s12
	v_mov_b32_e32 v1, s9
	s_and_b32 s34, s33, 0xff
	s_cmp_lt_i32 s34, 11
	s_waitcnt vmcnt(0)
	v_ashrrev_i32_e32 v2, 31, v0
	v_add_co_u32_e32 v0, vcc, s8, v0
	v_addc_co_u32_e32 v1, vcc, v1, v2, vcc
	s_cbranch_scc1 .LBB142_1019
; %bb.943:
	s_and_b32 s35, 0xffff, s34
	s_mov_b64 s[26:27], -1
	s_cmp_gt_i32 s35, 25
	s_mov_b64 s[0:1], s[18:19]
	s_cbranch_scc0 .LBB142_976
; %bb.944:
	s_mov_b64 s[16:17], -1
	s_cmp_gt_i32 s35, 28
	s_mov_b64 s[0:1], s[18:19]
	s_cbranch_scc0 .LBB142_960
; %bb.945:
	s_cmp_gt_i32 s35, 43
	s_mov_b64 s[0:1], s[18:19]
	s_cbranch_scc0 .LBB142_956
; %bb.946:
	;; [unrolled: 4-line block ×3, first 2 shown]
	s_cmp_eq_u32 s35, 46
	s_mov_b64 s[0:1], -1
	s_cbranch_scc0 .LBB142_949
; %bb.948:
	v_cndmask_b32_e64 v2, 0, 1.0, s[20:21]
	v_bfe_u32 v3, v2, 16, 1
	s_movk_i32 s0, 0x7fff
	v_add3_u32 v2, v2, v3, s0
	v_lshrrev_b32_e32 v2, 16, v2
	global_store_dword v[0:1], v2, off
	s_mov_b64 s[0:1], 0
.LBB142_949:
	s_mov_b64 s[16:17], 0
.LBB142_950:
	s_and_b64 vcc, exec, s[16:17]
	s_cbranch_vccz .LBB142_955
; %bb.951:
	s_cmp_eq_u32 s35, 44
	s_mov_b64 s[0:1], -1
	s_cbranch_scc0 .LBB142_955
; %bb.952:
	v_cndmask_b32_e64 v3, 0, 1.0, s[20:21]
	v_lshrrev_b32_e32 v2, 23, v3
	s_movk_i32 s0, 0xff
	v_cmp_ne_u32_e32 vcc, s0, v2
	v_mov_b32_e32 v4, 0xff
	s_and_saveexec_b64 s[16:17], vcc
; %bb.953:
	s_mov_b32 s0, 0x3fffff
	v_and_b32_e32 v4, 0x400000, v3
	v_and_or_b32 v3, v3, s0, v2
	v_cmp_ne_u32_e32 vcc, 0, v4
	v_cmp_ne_u32_e64 s[0:1], 0, v3
	s_and_b64 s[0:1], vcc, s[0:1]
	v_cndmask_b32_e64 v3, 0, 1, s[0:1]
	v_add_u32_e32 v4, v2, v3
; %bb.954:
	s_or_b64 exec, exec, s[16:17]
	s_mov_b64 s[0:1], 0
	global_store_byte v[0:1], v4, off
.LBB142_955:
	s_mov_b64 s[16:17], 0
.LBB142_956:
	s_and_b64 vcc, exec, s[16:17]
	s_cbranch_vccz .LBB142_959
; %bb.957:
	s_cmp_eq_u32 s35, 29
	s_mov_b64 s[0:1], -1
	s_cbranch_scc0 .LBB142_959
; %bb.958:
	s_mov_b32 s0, 0
	v_cndmask_b32_e64 v2, 0, 1, s[20:21]
	v_mov_b32_e32 v3, s0
	global_store_dwordx2 v[0:1], v[2:3], off
	s_mov_b64 s[0:1], 0
.LBB142_959:
	s_mov_b64 s[16:17], 0
.LBB142_960:
	s_and_b64 vcc, exec, s[16:17]
	s_cbranch_vccz .LBB142_975
; %bb.961:
	s_cmp_lt_i32 s35, 27
	s_mov_b64 s[16:17], -1
	s_cbranch_scc1 .LBB142_967
; %bb.962:
	s_cmp_gt_i32 s35, 27
	v_cndmask_b32_e64 v2, 0, 1, s[20:21]
	s_cbranch_scc0 .LBB142_964
; %bb.963:
	s_mov_b64 s[16:17], 0
	global_store_dword v[0:1], v2, off
.LBB142_964:
	s_andn2_b64 vcc, exec, s[16:17]
	s_cbranch_vccnz .LBB142_966
; %bb.965:
	global_store_short v[0:1], v2, off
.LBB142_966:
	s_mov_b64 s[16:17], 0
.LBB142_967:
	s_andn2_b64 vcc, exec, s[16:17]
	s_cbranch_vccnz .LBB142_975
; %bb.968:
	v_cndmask_b32_e64 v3, 0, 1.0, s[20:21]
	s_mov_b32 s16, 0x43800000
	v_cmp_gt_u32_e32 vcc, s16, v3
	v_mov_b32_e32 v4, 0x80
	s_and_saveexec_b64 s[16:17], vcc
	s_cbranch_execz .LBB142_974
; %bb.969:
	s_mov_b32 s26, 0x3bffffff
	v_cmp_lt_u32_e32 vcc, s26, v3
	s_mov_b64 s[26:27], 0
                                        ; implicit-def: $vgpr2
	s_and_saveexec_b64 s[28:29], vcc
	s_xor_b64 s[28:29], exec, s[28:29]
	s_cbranch_execz .LBB142_1077
; %bb.970:
	v_bfe_u32 v2, v3, 20, 1
	s_mov_b32 s30, 0x487ffff
	v_add3_u32 v2, v3, v2, s30
	s_mov_b64 s[26:27], exec
	v_lshrrev_b32_e32 v2, 20, v2
                                        ; implicit-def: $vgpr3
	s_andn2_saveexec_b64 s[28:29], s[28:29]
	s_cbranch_execnz .LBB142_1078
.LBB142_971:
	s_or_b64 exec, exec, s[28:29]
	v_mov_b32_e32 v4, 0
	s_and_saveexec_b64 s[28:29], s[26:27]
.LBB142_972:
	v_mov_b32_e32 v4, v2
.LBB142_973:
	s_or_b64 exec, exec, s[28:29]
.LBB142_974:
	s_or_b64 exec, exec, s[16:17]
	global_store_byte v[0:1], v4, off
.LBB142_975:
	s_mov_b64 s[26:27], 0
.LBB142_976:
	s_mov_b64 s[16:17], 0
	s_and_b64 vcc, exec, s[26:27]
	s_cbranch_vccz .LBB142_1021
; %bb.977:
	s_cmp_gt_i32 s35, 22
	s_mov_b64 s[26:27], -1
	s_cbranch_scc0 .LBB142_1009
; %bb.978:
	s_cmp_lt_i32 s35, 24
	s_cbranch_scc1 .LBB142_998
; %bb.979:
	s_cmp_gt_i32 s35, 24
	s_cbranch_scc0 .LBB142_987
; %bb.980:
	v_cndmask_b32_e64 v3, 0, 1.0, s[20:21]
	s_mov_b32 s26, 0x47800000
	v_cmp_gt_u32_e32 vcc, s26, v3
	v_mov_b32_e32 v4, 0x80
	s_and_saveexec_b64 s[26:27], vcc
	s_cbranch_execz .LBB142_986
; %bb.981:
	s_mov_b32 s28, 0x37ffffff
	v_cmp_lt_u32_e32 vcc, s28, v3
	s_mov_b64 s[28:29], 0
                                        ; implicit-def: $vgpr2
	s_and_saveexec_b64 s[30:31], vcc
	s_xor_b64 s[30:31], exec, s[30:31]
	s_cbranch_execz .LBB142_1211
; %bb.982:
	v_bfe_u32 v2, v3, 21, 1
	s_mov_b32 s36, 0x88fffff
	v_add3_u32 v2, v3, v2, s36
	s_mov_b64 s[28:29], exec
	v_lshrrev_b32_e32 v2, 21, v2
                                        ; implicit-def: $vgpr3
	s_andn2_saveexec_b64 s[30:31], s[30:31]
	s_cbranch_execnz .LBB142_1212
.LBB142_983:
	s_or_b64 exec, exec, s[30:31]
	v_mov_b32_e32 v4, 0
	s_and_saveexec_b64 s[30:31], s[28:29]
.LBB142_984:
	v_mov_b32_e32 v4, v2
.LBB142_985:
	s_or_b64 exec, exec, s[30:31]
.LBB142_986:
	s_or_b64 exec, exec, s[26:27]
	s_mov_b64 s[26:27], 0
	global_store_byte v[0:1], v4, off
.LBB142_987:
	s_and_b64 vcc, exec, s[26:27]
	s_cbranch_vccz .LBB142_997
; %bb.988:
	v_cndmask_b32_e64 v2, 0, 1.0, s[20:21]
	s_mov_b32 s26, 0x43f00000
	v_cmp_gt_u32_e32 vcc, s26, v2
                                        ; implicit-def: $vgpr3
	s_and_saveexec_b64 s[26:27], vcc
	s_xor_b64 s[26:27], exec, s[26:27]
	s_cbranch_execz .LBB142_994
; %bb.989:
	s_mov_b32 s28, 0x3c7fffff
	v_cmp_lt_u32_e32 vcc, s28, v2
                                        ; implicit-def: $vgpr3
	s_and_saveexec_b64 s[28:29], vcc
	s_xor_b64 s[28:29], exec, s[28:29]
; %bb.990:
	v_bfe_u32 v3, v2, 20, 1
	s_mov_b32 s30, 0x407ffff
	v_add3_u32 v2, v2, v3, s30
	v_lshrrev_b32_e32 v3, 20, v2
	v_and_b32_e32 v2, 0xff00000, v2
	s_mov_b32 s30, 0x7f00000
	v_mov_b32_e32 v4, 0x7e
	v_cmp_ne_u32_e32 vcc, s30, v2
	v_cndmask_b32_e32 v3, v4, v3, vcc
                                        ; implicit-def: $vgpr2
; %bb.991:
	s_andn2_saveexec_b64 s[28:29], s[28:29]
; %bb.992:
	v_add_f32_e32 v3, 0x46800000, v2
; %bb.993:
	s_or_b64 exec, exec, s[28:29]
                                        ; implicit-def: $vgpr2
.LBB142_994:
	s_andn2_saveexec_b64 s[26:27], s[26:27]
; %bb.995:
	s_mov_b32 s28, 0x7f800000
	v_mov_b32_e32 v3, 0x7e
	v_mov_b32_e32 v4, 0x7f
	v_cmp_lt_u32_e32 vcc, s28, v2
	v_cndmask_b32_e32 v3, v3, v4, vcc
; %bb.996:
	s_or_b64 exec, exec, s[26:27]
	global_store_byte v[0:1], v3, off
.LBB142_997:
	s_mov_b64 s[26:27], 0
.LBB142_998:
	s_andn2_b64 vcc, exec, s[26:27]
	s_cbranch_vccnz .LBB142_1008
; %bb.999:
	v_cndmask_b32_e64 v2, 0, 1.0, s[20:21]
	s_mov_b32 s26, 0x47800000
	v_cmp_gt_u32_e32 vcc, s26, v2
                                        ; implicit-def: $vgpr3
	s_and_saveexec_b64 s[26:27], vcc
	s_xor_b64 s[26:27], exec, s[26:27]
	s_cbranch_execz .LBB142_1005
; %bb.1000:
	s_mov_b32 s28, 0x387fffff
	v_cmp_lt_u32_e32 vcc, s28, v2
                                        ; implicit-def: $vgpr3
	s_and_saveexec_b64 s[28:29], vcc
	s_xor_b64 s[28:29], exec, s[28:29]
; %bb.1001:
	v_bfe_u32 v3, v2, 21, 1
	s_mov_b32 s30, 0x80fffff
	v_add3_u32 v2, v2, v3, s30
	v_lshrrev_b32_e32 v3, 21, v2
                                        ; implicit-def: $vgpr2
; %bb.1002:
	s_andn2_saveexec_b64 s[28:29], s[28:29]
; %bb.1003:
	v_add_f32_e32 v3, 0x43000000, v2
; %bb.1004:
	s_or_b64 exec, exec, s[28:29]
                                        ; implicit-def: $vgpr2
.LBB142_1005:
	s_andn2_saveexec_b64 s[26:27], s[26:27]
; %bb.1006:
	s_mov_b32 s28, 0x7f800000
	v_mov_b32_e32 v3, 0x7c
	v_mov_b32_e32 v4, 0x7f
	v_cmp_lt_u32_e32 vcc, s28, v2
	v_cndmask_b32_e32 v3, v3, v4, vcc
; %bb.1007:
	s_or_b64 exec, exec, s[26:27]
	global_store_byte v[0:1], v3, off
.LBB142_1008:
	s_mov_b64 s[26:27], 0
.LBB142_1009:
	s_andn2_b64 vcc, exec, s[26:27]
	s_mov_b64 s[28:29], 0
	s_cbranch_vccnz .LBB142_1022
; %bb.1010:
	s_cmp_gt_i32 s35, 14
	s_mov_b64 s[26:27], -1
	s_cbranch_scc0 .LBB142_1014
; %bb.1011:
	s_cmp_eq_u32 s35, 15
	s_mov_b64 s[0:1], -1
	s_cbranch_scc0 .LBB142_1013
; %bb.1012:
	v_cndmask_b32_e64 v2, 0, 1.0, s[20:21]
	v_bfe_u32 v3, v2, 16, 1
	s_movk_i32 s0, 0x7fff
	v_add3_u32 v2, v2, v3, s0
	global_store_short_d16_hi v[0:1], v2, off
	s_mov_b64 s[0:1], 0
.LBB142_1013:
	s_mov_b64 s[26:27], 0
.LBB142_1014:
	s_and_b64 vcc, exec, s[26:27]
	s_cbranch_vccz .LBB142_1022
; %bb.1015:
	s_cmp_lg_u32 s35, 11
	s_cselect_b64 s[26:27], -1, 0
	s_andn2_b64 s[0:1], s[0:1], exec
	s_and_b64 s[26:27], s[26:27], exec
	s_mov_b64 s[28:29], -1
	s_or_b64 s[0:1], s[0:1], s[26:27]
	s_branch .LBB142_1022
.LBB142_1016:
	s_or_b64 exec, exec, s[24:25]
	s_and_saveexec_b64 s[0:1], s[18:19]
	s_cbranch_execnz .LBB142_1023
.LBB142_1017:
	s_or_b64 exec, exec, s[0:1]
	s_and_saveexec_b64 s[0:1], s[28:29]
	s_xor_b64 s[0:1], exec, s[0:1]
	s_cbranch_execz .LBB142_1024
.LBB142_1018:
	s_waitcnt vmcnt(0)
	v_cndmask_b32_e64 v2, 0, 1, s[20:21]
	global_store_byte v[0:1], v2, off
	s_or_b64 exec, exec, s[0:1]
	s_and_saveexec_b64 s[0:1], s[26:27]
	s_xor_b64 s[0:1], exec, s[0:1]
	s_cbranch_execz .LBB142_1062
	s_branch .LBB142_1025
.LBB142_1019:
	s_mov_b64 s[16:17], -1
	s_mov_b64 s[0:1], s[18:19]
	s_branch .LBB142_1022
.LBB142_1020:
                                        ; implicit-def: $sgpr20_sgpr21
	s_branch .LBB142_941
.LBB142_1021:
	s_mov_b64 s[28:29], 0
.LBB142_1022:
	s_and_b64 s[26:27], s[16:17], exec
	s_andn2_b64 s[16:17], s[18:19], exec
	s_and_b64 s[0:1], s[0:1], exec
	s_and_b64 s[28:29], s[28:29], exec
	s_or_b64 s[18:19], s[16:17], s[0:1]
	s_or_b64 exec, exec, s[24:25]
	s_and_saveexec_b64 s[0:1], s[18:19]
	s_cbranch_execz .LBB142_1017
.LBB142_1023:
	s_or_b64 s[22:23], s[22:23], exec
	s_andn2_b64 s[28:29], s[28:29], exec
	s_trap 2
	s_or_b64 exec, exec, s[0:1]
	s_and_saveexec_b64 s[0:1], s[28:29]
	s_xor_b64 s[0:1], exec, s[0:1]
	s_cbranch_execnz .LBB142_1018
.LBB142_1024:
	s_or_b64 exec, exec, s[0:1]
	s_and_saveexec_b64 s[0:1], s[26:27]
	s_xor_b64 s[0:1], exec, s[0:1]
	s_cbranch_execz .LBB142_1062
.LBB142_1025:
	s_sext_i32_i16 s18, s34
	s_cmp_lt_i32 s18, 5
	s_mov_b64 s[16:17], -1
	s_cbranch_scc1 .LBB142_1046
; %bb.1026:
	s_cmp_lt_i32 s18, 8
	s_cbranch_scc1 .LBB142_1036
; %bb.1027:
	s_cmp_lt_i32 s18, 9
	s_cbranch_scc1 .LBB142_1033
; %bb.1028:
	s_cmp_gt_i32 s18, 9
	s_cbranch_scc0 .LBB142_1030
; %bb.1029:
	s_waitcnt vmcnt(0)
	v_cndmask_b32_e64 v2, 0, 1, s[20:21]
	v_cvt_f64_u32_e32 v[2:3], v2
	v_mov_b32_e32 v4, 0
	v_mov_b32_e32 v5, v4
	s_mov_b64 s[16:17], 0
	global_store_dwordx4 v[0:1], v[2:5], off
.LBB142_1030:
	s_andn2_b64 vcc, exec, s[16:17]
	s_cbranch_vccnz .LBB142_1032
; %bb.1031:
	s_waitcnt vmcnt(0)
	v_cndmask_b32_e64 v2, 0, 1.0, s[20:21]
	v_mov_b32_e32 v3, 0
	global_store_dwordx2 v[0:1], v[2:3], off
.LBB142_1032:
	s_mov_b64 s[16:17], 0
.LBB142_1033:
	s_andn2_b64 vcc, exec, s[16:17]
	s_cbranch_vccnz .LBB142_1035
; %bb.1034:
	s_waitcnt vmcnt(0)
	v_cndmask_b32_e64 v2, 0, 1.0, s[20:21]
	v_cvt_f16_f32_e32 v2, v2
	global_store_dword v[0:1], v2, off
.LBB142_1035:
	s_mov_b64 s[16:17], 0
.LBB142_1036:
	s_andn2_b64 vcc, exec, s[16:17]
	s_cbranch_vccnz .LBB142_1045
; %bb.1037:
	s_sext_i32_i16 s18, s34
	s_cmp_lt_i32 s18, 6
	s_mov_b64 s[16:17], -1
	s_cbranch_scc1 .LBB142_1043
; %bb.1038:
	s_cmp_gt_i32 s18, 6
	s_cbranch_scc0 .LBB142_1040
; %bb.1039:
	s_waitcnt vmcnt(0)
	v_cndmask_b32_e64 v2, 0, 1, s[20:21]
	v_cvt_f64_u32_e32 v[2:3], v2
	s_mov_b64 s[16:17], 0
	global_store_dwordx2 v[0:1], v[2:3], off
.LBB142_1040:
	s_andn2_b64 vcc, exec, s[16:17]
	s_cbranch_vccnz .LBB142_1042
; %bb.1041:
	s_waitcnt vmcnt(0)
	v_cndmask_b32_e64 v2, 0, 1.0, s[20:21]
	global_store_dword v[0:1], v2, off
.LBB142_1042:
	s_mov_b64 s[16:17], 0
.LBB142_1043:
	s_andn2_b64 vcc, exec, s[16:17]
	s_cbranch_vccnz .LBB142_1045
; %bb.1044:
	s_waitcnt vmcnt(0)
	v_cndmask_b32_e64 v2, 0, 1.0, s[20:21]
	v_cvt_f16_f32_e32 v2, v2
	global_store_short v[0:1], v2, off
.LBB142_1045:
	s_mov_b64 s[16:17], 0
.LBB142_1046:
	s_andn2_b64 vcc, exec, s[16:17]
	s_cbranch_vccnz .LBB142_1062
; %bb.1047:
	s_sext_i32_i16 s18, s34
	s_cmp_lt_i32 s18, 2
	s_mov_b64 s[16:17], -1
	s_cbranch_scc1 .LBB142_1057
; %bb.1048:
	s_cmp_lt_i32 s18, 3
	s_cbranch_scc1 .LBB142_1054
; %bb.1049:
	s_cmp_gt_i32 s18, 3
	s_cbranch_scc0 .LBB142_1051
; %bb.1050:
	s_mov_b32 s16, 0
	s_waitcnt vmcnt(0)
	v_cndmask_b32_e64 v2, 0, 1, s[20:21]
	v_mov_b32_e32 v3, s16
	s_mov_b64 s[16:17], 0
	global_store_dwordx2 v[0:1], v[2:3], off
.LBB142_1051:
	s_andn2_b64 vcc, exec, s[16:17]
	s_cbranch_vccnz .LBB142_1053
; %bb.1052:
	s_waitcnt vmcnt(0)
	v_cndmask_b32_e64 v2, 0, 1, s[20:21]
	global_store_dword v[0:1], v2, off
.LBB142_1053:
	s_mov_b64 s[16:17], 0
.LBB142_1054:
	s_andn2_b64 vcc, exec, s[16:17]
	s_cbranch_vccnz .LBB142_1056
; %bb.1055:
	s_waitcnt vmcnt(0)
	v_cndmask_b32_e64 v2, 0, 1, s[20:21]
	global_store_short v[0:1], v2, off
.LBB142_1056:
	s_mov_b64 s[16:17], 0
.LBB142_1057:
	s_andn2_b64 vcc, exec, s[16:17]
	s_cbranch_vccnz .LBB142_1062
; %bb.1058:
	s_sext_i32_i16 s18, s34
	s_mov_b64 s[16:17], -1
	s_cmp_gt_i32 s18, 0
	s_waitcnt vmcnt(0)
	v_cndmask_b32_e64 v2, 0, 1, s[20:21]
	s_cbranch_scc0 .LBB142_1060
; %bb.1059:
	s_mov_b64 s[16:17], 0
	global_store_byte v[0:1], v2, off
.LBB142_1060:
	s_andn2_b64 vcc, exec, s[16:17]
	s_cbranch_vccnz .LBB142_1062
; %bb.1061:
	global_store_byte v[0:1], v2, off
.LBB142_1062:
	s_or_b64 exec, exec, s[0:1]
	s_and_b64 s[16:17], s[22:23], exec
                                        ; implicit-def: $vgpr4
.LBB142_1063:
	s_or_saveexec_b64 s[6:7], s[6:7]
	s_mov_b64 s[0:1], 0
                                        ; implicit-def: $sgpr20_sgpr21
                                        ; implicit-def: $sgpr28
                                        ; implicit-def: $vgpr0_vgpr1
	s_xor_b64 exec, exec, s[6:7]
	s_cbranch_execz .LBB142_1613
; %bb.1064:
	v_mul_lo_u32 v5, s13, v4
	v_mov_b32_e32 v1, s11
	s_and_b32 s30, 0xffff, s15
	s_cmp_lt_i32 s30, 11
	s_waitcnt vmcnt(0)
	v_ashrrev_i32_e32 v2, 31, v5
	v_add_co_u32_e32 v0, vcc, s10, v5
	v_addc_co_u32_e32 v1, vcc, v1, v2, vcc
	s_cbranch_scc1 .LBB142_1071
; %bb.1065:
	s_cmp_gt_i32 s30, 25
	s_cbranch_scc0 .LBB142_1073
; %bb.1066:
	s_cmp_gt_i32 s30, 28
	s_cbranch_scc0 .LBB142_1074
	;; [unrolled: 3-line block ×4, first 2 shown]
; %bb.1069:
	s_cmp_eq_u32 s30, 46
	s_mov_b64 s[18:19], 0
	s_cbranch_scc0 .LBB142_1079
; %bb.1070:
	global_load_dword v2, v[0:1], off
	s_mov_b64 s[20:21], -1
	s_waitcnt vmcnt(0)
	v_and_b32_e32 v3, 0xffff0000, v2
	v_lshlrev_b32_e32 v2, 16, v2
	s_branch .LBB142_1080
.LBB142_1071:
	s_mov_b64 s[20:21], 0
                                        ; implicit-def: $vgpr3
	s_mov_b64 s[18:19], s[16:17]
	s_cbranch_execnz .LBB142_1146
.LBB142_1072:
	s_andn2_b64 vcc, exec, s[20:21]
	s_cbranch_vccz .LBB142_1193
	s_branch .LBB142_1610
.LBB142_1073:
	s_mov_b64 s[20:21], 0
                                        ; implicit-def: $vgpr3
	s_cbranch_execnz .LBB142_1110
	s_branch .LBB142_1142
.LBB142_1074:
	s_mov_b64 s[20:21], 0
                                        ; implicit-def: $vgpr3
	s_cbranch_execnz .LBB142_1092
	s_branch .LBB142_1109
.LBB142_1075:
	s_mov_b64 s[18:19], -1
	s_mov_b64 s[20:21], 0
                                        ; implicit-def: $vgpr3
	s_branch .LBB142_1086
.LBB142_1076:
	s_mov_b64 s[18:19], -1
	s_mov_b64 s[20:21], 0
                                        ; implicit-def: $vgpr3
	s_branch .LBB142_1080
.LBB142_1077:
	s_andn2_saveexec_b64 s[28:29], s[28:29]
	s_cbranch_execz .LBB142_971
.LBB142_1078:
	v_add_f32_e32 v2, 0x46000000, v3
	v_and_b32_e32 v2, 0xff, v2
	v_cmp_ne_u32_e32 vcc, 0, v2
	s_andn2_b64 s[26:27], s[26:27], exec
	s_and_b64 s[30:31], vcc, exec
	s_or_b64 s[26:27], s[26:27], s[30:31]
	s_or_b64 exec, exec, s[28:29]
	v_mov_b32_e32 v4, 0
	s_and_saveexec_b64 s[28:29], s[26:27]
	s_cbranch_execnz .LBB142_972
	s_branch .LBB142_973
.LBB142_1079:
	s_mov_b64 s[0:1], -1
                                        ; implicit-def: $vgpr3
	s_mov_b64 s[20:21], 0
.LBB142_1080:
	s_and_b64 vcc, exec, s[18:19]
	s_cbranch_vccz .LBB142_1085
; %bb.1081:
	s_cmp_eq_u32 s30, 44
	s_cbranch_scc0 .LBB142_1083
; %bb.1082:
	global_load_ubyte v2, v[0:1], off
	s_movk_i32 s15, 0xff
	v_mov_b32_e32 v3, 0x7f800001
	v_mov_b32_e32 v6, 0x400000
	s_mov_b64 s[0:1], 0
	s_mov_b64 s[20:21], -1
	s_waitcnt vmcnt(0)
	v_lshlrev_b32_e32 v7, 23, v2
	v_cmp_ne_u32_e32 vcc, s15, v2
	v_cndmask_b32_e32 v3, v3, v7, vcc
	v_cmp_ne_u32_e32 vcc, 0, v2
	v_cndmask_b32_e32 v2, v6, v3, vcc
	s_branch .LBB142_1084
.LBB142_1083:
	s_mov_b64 s[0:1], -1
                                        ; implicit-def: $vgpr2
.LBB142_1084:
	v_mov_b32_e32 v3, 0
.LBB142_1085:
	s_mov_b64 s[18:19], 0
.LBB142_1086:
	s_and_b64 vcc, exec, s[18:19]
	s_cbranch_vccz .LBB142_1091
; %bb.1087:
	s_cmp_eq_u32 s30, 29
	s_cbranch_scc0 .LBB142_1089
; %bb.1088:
	global_load_dwordx2 v[2:3], v[0:1], off
	s_mov_b64 s[0:1], 0
	s_mov_b64 s[20:21], -1
	s_waitcnt vmcnt(0)
	v_ffbh_u32_e32 v6, v3
	v_min_u32_e32 v6, 32, v6
	v_lshlrev_b64 v[2:3], v6, v[2:3]
	v_min_u32_e32 v2, 1, v2
	v_or_b32_e32 v2, v3, v2
	v_cvt_f32_u32_e32 v2, v2
	v_sub_u32_e32 v3, 32, v6
	v_ldexp_f32 v2, v2, v3
	s_branch .LBB142_1090
.LBB142_1089:
	s_mov_b64 s[0:1], -1
                                        ; implicit-def: $vgpr2
.LBB142_1090:
	v_mov_b32_e32 v3, 0
.LBB142_1091:
	s_branch .LBB142_1109
.LBB142_1092:
	s_cmp_lt_i32 s30, 27
	s_cbranch_scc1 .LBB142_1095
; %bb.1093:
	s_cmp_gt_i32 s30, 27
	s_cbranch_scc0 .LBB142_1096
; %bb.1094:
	global_load_dword v2, v[0:1], off
	s_mov_b64 s[18:19], 0
	s_waitcnt vmcnt(0)
	v_cvt_f32_u32_e32 v2, v2
	s_branch .LBB142_1097
.LBB142_1095:
	s_mov_b64 s[18:19], -1
                                        ; implicit-def: $vgpr2
	s_branch .LBB142_1100
.LBB142_1096:
	s_mov_b64 s[18:19], -1
                                        ; implicit-def: $vgpr2
.LBB142_1097:
	s_andn2_b64 vcc, exec, s[18:19]
	s_cbranch_vccnz .LBB142_1099
; %bb.1098:
	global_load_ushort v2, v[0:1], off
	s_waitcnt vmcnt(0)
	v_cvt_f32_u32_e32 v2, v2
.LBB142_1099:
	s_mov_b64 s[18:19], 0
.LBB142_1100:
	s_andn2_b64 vcc, exec, s[18:19]
	s_cbranch_vccnz .LBB142_1108
; %bb.1101:
	global_load_ubyte v3, v[0:1], off
	s_movk_i32 s15, 0x7f
	s_mov_b64 s[18:19], 0
	s_waitcnt vmcnt(0)
	v_cmp_lt_i16_e32 vcc, s15, v3
	s_and_saveexec_b64 s[20:21], vcc
	s_xor_b64 s[20:21], exec, s[20:21]
	s_cbranch_execz .LBB142_1121
; %bb.1102:
	s_movk_i32 s15, 0x80
	v_cmp_eq_u16_e32 vcc, s15, v3
	s_mov_b64 s[18:19], -1
	s_and_saveexec_b64 s[22:23], vcc
; %bb.1103:
	s_xor_b64 s[18:19], exec, -1
; %bb.1104:
	s_or_b64 exec, exec, s[22:23]
	s_and_b64 s[18:19], s[18:19], exec
	s_or_saveexec_b64 s[20:21], s[20:21]
	v_mov_b32_e32 v2, 0x7f800001
	s_xor_b64 exec, exec, s[20:21]
	s_cbranch_execnz .LBB142_1122
.LBB142_1105:
	s_or_b64 exec, exec, s[20:21]
	s_and_saveexec_b64 s[20:21], s[18:19]
	s_cbranch_execz .LBB142_1107
.LBB142_1106:
	v_lshlrev_b32_e32 v2, 24, v3
	v_and_b32_e32 v3, 0xffff, v3
	v_and_b32_e32 v6, 7, v3
	v_ffbh_u32_e32 v8, v6
	v_min_u32_e32 v8, 32, v8
	v_subrev_u32_e32 v9, 28, v8
	v_bfe_u32 v7, v3, 3, 4
	v_lshlrev_b32_e32 v3, v9, v3
	v_sub_u32_e32 v8, 29, v8
	v_and_b32_e32 v3, 7, v3
	v_cmp_eq_u32_e32 vcc, 0, v7
	v_cndmask_b32_e32 v7, v7, v8, vcc
	v_cndmask_b32_e32 v3, v6, v3, vcc
	v_mov_b32_e32 v6, 0x3b800000
	v_lshlrev_b32_e32 v3, 20, v3
	v_and_b32_e32 v2, 0x80000000, v2
	v_lshl_add_u32 v6, v7, 23, v6
	v_or3_b32 v2, v2, v6, v3
.LBB142_1107:
	s_or_b64 exec, exec, s[20:21]
.LBB142_1108:
	s_mov_b64 s[20:21], -1
	v_mov_b32_e32 v3, 0
.LBB142_1109:
	s_branch .LBB142_1142
.LBB142_1110:
	s_cmp_gt_i32 s30, 22
	s_cbranch_scc0 .LBB142_1120
; %bb.1111:
	s_cmp_lt_i32 s30, 24
	s_cbranch_scc1 .LBB142_1123
; %bb.1112:
	s_cmp_gt_i32 s30, 24
	s_cbranch_scc0 .LBB142_1124
; %bb.1113:
	global_load_ubyte v3, v[0:1], off
	s_movk_i32 s4, 0x7f
	s_waitcnt vmcnt(0)
	v_cmp_lt_i16_e32 vcc, s4, v3
	s_mov_b64 s[4:5], 0
	s_and_saveexec_b64 s[18:19], vcc
	s_xor_b64 s[18:19], exec, s[18:19]
	s_cbranch_execz .LBB142_1135
; %bb.1114:
	s_movk_i32 s4, 0x80
	v_cmp_eq_u16_e32 vcc, s4, v3
	s_mov_b64 s[4:5], -1
	s_and_saveexec_b64 s[20:21], vcc
; %bb.1115:
	s_xor_b64 s[4:5], exec, -1
; %bb.1116:
	s_or_b64 exec, exec, s[20:21]
	s_and_b64 s[4:5], s[4:5], exec
	s_or_saveexec_b64 s[18:19], s[18:19]
	v_mov_b32_e32 v2, 0x7f800001
	s_xor_b64 exec, exec, s[18:19]
	s_cbranch_execnz .LBB142_1136
.LBB142_1117:
	s_or_b64 exec, exec, s[18:19]
	s_and_saveexec_b64 s[18:19], s[4:5]
	s_cbranch_execz .LBB142_1119
.LBB142_1118:
	v_lshlrev_b32_e32 v2, 24, v3
	v_and_b32_e32 v3, 0xffff, v3
	v_and_b32_e32 v6, 3, v3
	v_ffbh_u32_e32 v8, v6
	v_min_u32_e32 v8, 32, v8
	v_subrev_u32_e32 v9, 29, v8
	v_bfe_u32 v7, v3, 2, 5
	v_lshlrev_b32_e32 v3, v9, v3
	v_sub_u32_e32 v8, 30, v8
	v_and_b32_e32 v3, 3, v3
	v_cmp_eq_u32_e32 vcc, 0, v7
	v_cndmask_b32_e32 v7, v7, v8, vcc
	v_cndmask_b32_e32 v3, v6, v3, vcc
	v_mov_b32_e32 v6, 0x37800000
	v_lshlrev_b32_e32 v3, 21, v3
	v_and_b32_e32 v2, 0x80000000, v2
	v_lshl_add_u32 v6, v7, 23, v6
	v_or3_b32 v2, v2, v6, v3
.LBB142_1119:
	s_or_b64 exec, exec, s[18:19]
	s_mov_b64 s[4:5], 0
	s_branch .LBB142_1125
.LBB142_1120:
                                        ; implicit-def: $vgpr2
	s_mov_b64 s[4:5], 0
	s_branch .LBB142_1131
.LBB142_1121:
	s_or_saveexec_b64 s[20:21], s[20:21]
	v_mov_b32_e32 v2, 0x7f800001
	s_xor_b64 exec, exec, s[20:21]
	s_cbranch_execz .LBB142_1105
.LBB142_1122:
	v_cmp_ne_u16_e32 vcc, 0, v3
	s_andn2_b64 s[18:19], s[18:19], exec
	s_and_b64 s[22:23], vcc, exec
	v_mov_b32_e32 v2, 0
	s_or_b64 s[18:19], s[18:19], s[22:23]
	s_or_b64 exec, exec, s[20:21]
	s_and_saveexec_b64 s[20:21], s[18:19]
	s_cbranch_execnz .LBB142_1106
	s_branch .LBB142_1107
.LBB142_1123:
	s_mov_b64 s[4:5], -1
                                        ; implicit-def: $vgpr2
	s_branch .LBB142_1128
.LBB142_1124:
	s_mov_b64 s[4:5], -1
                                        ; implicit-def: $vgpr2
.LBB142_1125:
	s_and_b64 vcc, exec, s[4:5]
	s_cbranch_vccz .LBB142_1127
; %bb.1126:
	global_load_ubyte v2, v[0:1], off
	s_mov_b32 s4, 0x7f800000
	s_waitcnt vmcnt(0)
	v_lshlrev_b32_e32 v2, 24, v2
	v_and_b32_e32 v3, 0x7f000000, v2
	v_ffbh_u32_e32 v6, v3
	v_min_u32_e32 v6, 32, v6
	v_sub_u32_e64 v6, v6, 4 clamp
	v_lshlrev_b32_e32 v8, v6, v3
	v_lshlrev_b32_e32 v6, 23, v6
	v_lshrrev_b32_e32 v8, 4, v8
	v_add_u32_e32 v7, 0x1000000, v3
	v_sub_u32_e32 v6, v8, v6
	v_ashrrev_i32_e32 v7, 8, v7
	v_add_u32_e32 v6, 0x3c000000, v6
	v_and_or_b32 v6, v7, s4, v6
	v_cmp_ne_u32_e32 vcc, 0, v3
	v_cndmask_b32_e32 v3, 0, v6, vcc
	s_brev_b32 s4, 1
	v_and_or_b32 v2, v2, s4, v3
.LBB142_1127:
	s_mov_b64 s[4:5], 0
.LBB142_1128:
	s_andn2_b64 vcc, exec, s[4:5]
	s_cbranch_vccnz .LBB142_1130
; %bb.1129:
	global_load_ubyte v2, v[0:1], off
	s_movk_i32 s4, 0x7f00
	s_brev_b32 s5, 16
	s_waitcnt vmcnt(0)
	v_lshlrev_b16_e32 v3, 8, v2
	v_lshlrev_b32_e32 v2, 25, v2
	v_lshrrev_b32_e32 v6, 4, v2
	v_and_or_b32 v7, v3, s4, 0.5
	v_or_b32_e32 v6, 0x70000000, v6
	v_add_f32_e32 v7, -0.5, v7
	v_mul_f32_e32 v6, 0x7800000, v6
	v_cmp_gt_u32_e32 vcc, s5, v2
	v_bfe_i32 v3, v3, 0, 16
	v_cndmask_b32_e32 v2, v6, v7, vcc
	s_brev_b32 s4, 1
	v_and_or_b32 v2, v3, s4, v2
.LBB142_1130:
	s_mov_b64 s[20:21], -1
	s_mov_b64 s[4:5], 0
	s_cbranch_execnz .LBB142_1141
.LBB142_1131:
	s_cmp_gt_i32 s30, 14
	s_cbranch_scc0 .LBB142_1134
; %bb.1132:
	s_cmp_eq_u32 s30, 15
	s_cbranch_scc0 .LBB142_1137
; %bb.1133:
	global_load_ushort v2, v[0:1], off
	s_mov_b64 s[0:1], 0
	s_mov_b64 s[20:21], -1
	s_waitcnt vmcnt(0)
	v_lshlrev_b32_e32 v2, 16, v2
	s_branch .LBB142_1138
.LBB142_1134:
	s_mov_b64 s[18:19], -1
                                        ; implicit-def: $vgpr2
	s_branch .LBB142_1139
.LBB142_1135:
	s_or_saveexec_b64 s[18:19], s[18:19]
	v_mov_b32_e32 v2, 0x7f800001
	s_xor_b64 exec, exec, s[18:19]
	s_cbranch_execz .LBB142_1117
.LBB142_1136:
	v_cmp_ne_u16_e32 vcc, 0, v3
	s_andn2_b64 s[4:5], s[4:5], exec
	s_and_b64 s[20:21], vcc, exec
	v_mov_b32_e32 v2, 0
	s_or_b64 s[4:5], s[4:5], s[20:21]
	s_or_b64 exec, exec, s[18:19]
	s_and_saveexec_b64 s[18:19], s[4:5]
	s_cbranch_execnz .LBB142_1118
	s_branch .LBB142_1119
.LBB142_1137:
	s_mov_b64 s[0:1], -1
                                        ; implicit-def: $vgpr2
.LBB142_1138:
	s_mov_b64 s[18:19], 0
.LBB142_1139:
	s_and_b64 vcc, exec, s[18:19]
	s_cbranch_vccz .LBB142_1141
; %bb.1140:
	s_cmp_lg_u32 s30, 11
	s_mov_b64 s[4:5], -1
	s_cselect_b64 s[0:1], -1, 0
.LBB142_1141:
	v_mov_b32_e32 v3, 0
.LBB142_1142:
	s_and_b64 vcc, exec, s[0:1]
	s_mov_b64 s[18:19], s[16:17]
	s_cbranch_vccnz .LBB142_1209
; %bb.1143:
	s_andn2_b64 vcc, exec, s[4:5]
	s_cbranch_vccnz .LBB142_1145
.LBB142_1144:
	global_load_ubyte v2, v[0:1], off
	v_mov_b32_e32 v3, 0
	s_mov_b64 s[20:21], -1
	s_waitcnt vmcnt(0)
	v_cmp_ne_u16_e32 vcc, 0, v2
	v_cndmask_b32_e64 v2, 0, 1.0, vcc
.LBB142_1145:
	s_branch .LBB142_1072
.LBB142_1146:
	s_cmp_lt_i32 s30, 5
	s_cbranch_scc1 .LBB142_1151
; %bb.1147:
	s_cmp_lt_i32 s30, 8
	s_cbranch_scc1 .LBB142_1153
; %bb.1148:
	;; [unrolled: 3-line block ×3, first 2 shown]
	s_cmp_gt_i32 s30, 9
	s_cbranch_scc0 .LBB142_1155
; %bb.1150:
	global_load_dwordx4 v[6:9], v[0:1], off
	s_mov_b64 s[0:1], 0
	s_waitcnt vmcnt(0)
	v_cvt_f32_f64_e32 v2, v[6:7]
	v_cvt_f32_f64_e32 v3, v[8:9]
	s_branch .LBB142_1156
.LBB142_1151:
                                        ; implicit-def: $vgpr3
	s_branch .LBB142_1174
.LBB142_1152:
	s_branch .LBB142_1193
.LBB142_1153:
                                        ; implicit-def: $vgpr3
	s_branch .LBB142_1162
.LBB142_1154:
	s_mov_b64 s[0:1], -1
                                        ; implicit-def: $vgpr3
	s_branch .LBB142_1159
.LBB142_1155:
	s_mov_b64 s[0:1], -1
                                        ; implicit-def: $vgpr3
.LBB142_1156:
	s_andn2_b64 vcc, exec, s[0:1]
	s_cbranch_vccnz .LBB142_1158
; %bb.1157:
	global_load_dwordx2 v[2:3], v[0:1], off
.LBB142_1158:
	s_mov_b64 s[0:1], 0
.LBB142_1159:
	s_andn2_b64 vcc, exec, s[0:1]
	s_cbranch_vccnz .LBB142_1161
; %bb.1160:
	global_load_dword v3, v[0:1], off
	s_waitcnt vmcnt(0)
	v_cvt_f32_f16_e32 v2, v3
	v_cvt_f32_f16_sdwa v3, v3 dst_sel:DWORD dst_unused:UNUSED_PAD src0_sel:WORD_1
.LBB142_1161:
	s_cbranch_execnz .LBB142_1173
.LBB142_1162:
	s_cmp_lt_i32 s30, 6
	s_cbranch_scc1 .LBB142_1165
; %bb.1163:
	s_cmp_gt_i32 s30, 6
	s_cbranch_scc0 .LBB142_1166
; %bb.1164:
	global_load_dwordx2 v[2:3], v[0:1], off
	s_mov_b64 s[0:1], 0
	s_waitcnt vmcnt(0)
	v_cvt_f32_f64_e32 v2, v[2:3]
	s_branch .LBB142_1167
.LBB142_1165:
	s_mov_b64 s[0:1], -1
                                        ; implicit-def: $vgpr2
	s_branch .LBB142_1170
.LBB142_1166:
	s_mov_b64 s[0:1], -1
                                        ; implicit-def: $vgpr2
.LBB142_1167:
	s_andn2_b64 vcc, exec, s[0:1]
	s_cbranch_vccnz .LBB142_1169
; %bb.1168:
	global_load_dword v2, v[0:1], off
.LBB142_1169:
	s_mov_b64 s[0:1], 0
.LBB142_1170:
	s_andn2_b64 vcc, exec, s[0:1]
	s_cbranch_vccnz .LBB142_1172
; %bb.1171:
	global_load_ushort v2, v[0:1], off
	s_waitcnt vmcnt(0)
	v_cvt_f32_f16_e32 v2, v2
.LBB142_1172:
	s_waitcnt vmcnt(0)
	v_mov_b32_e32 v3, 0
.LBB142_1173:
	s_cbranch_execnz .LBB142_1152
.LBB142_1174:
	s_cmp_lt_i32 s30, 2
	s_cbranch_scc1 .LBB142_1178
; %bb.1175:
	s_cmp_lt_i32 s30, 3
	s_cbranch_scc1 .LBB142_1179
; %bb.1176:
	s_cmp_gt_i32 s30, 3
	s_cbranch_scc0 .LBB142_1180
; %bb.1177:
	global_load_dwordx2 v[2:3], v[0:1], off
	s_mov_b64 s[0:1], 0
	s_waitcnt vmcnt(0)
	v_xor_b32_e32 v7, v2, v3
	v_ffbh_i32_e32 v6, v3
	v_ashrrev_i32_e32 v7, 31, v7
	v_add_u32_e32 v6, -1, v6
	v_add_u32_e32 v7, 32, v7
	v_min_u32_e32 v6, v6, v7
	v_lshlrev_b64 v[2:3], v6, v[2:3]
	v_min_u32_e32 v2, 1, v2
	v_or_b32_e32 v2, v3, v2
	v_cvt_f32_i32_e32 v2, v2
	v_sub_u32_e32 v3, 32, v6
	v_ldexp_f32 v2, v2, v3
	s_branch .LBB142_1181
.LBB142_1178:
                                        ; implicit-def: $vgpr2
	s_branch .LBB142_1187
.LBB142_1179:
	s_mov_b64 s[0:1], -1
                                        ; implicit-def: $vgpr2
	s_branch .LBB142_1184
.LBB142_1180:
	s_mov_b64 s[0:1], -1
                                        ; implicit-def: $vgpr2
.LBB142_1181:
	s_andn2_b64 vcc, exec, s[0:1]
	s_cbranch_vccnz .LBB142_1183
; %bb.1182:
	global_load_dword v2, v[0:1], off
	s_waitcnt vmcnt(0)
	v_cvt_f32_i32_e32 v2, v2
.LBB142_1183:
	s_mov_b64 s[0:1], 0
.LBB142_1184:
	s_andn2_b64 vcc, exec, s[0:1]
	s_cbranch_vccnz .LBB142_1186
; %bb.1185:
	global_load_sshort v2, v[0:1], off
	s_waitcnt vmcnt(0)
	v_cvt_f32_i32_e32 v2, v2
.LBB142_1186:
	s_cbranch_execnz .LBB142_1192
.LBB142_1187:
	s_cmp_gt_i32 s30, 0
	s_cbranch_scc0 .LBB142_1189
; %bb.1188:
	global_load_sbyte v2, v[0:1], off
	s_mov_b64 s[0:1], 0
	s_waitcnt vmcnt(0)
	v_cvt_f32_i32_e32 v2, v2
	s_branch .LBB142_1190
.LBB142_1189:
	s_mov_b64 s[0:1], -1
                                        ; implicit-def: $vgpr2
.LBB142_1190:
	s_andn2_b64 vcc, exec, s[0:1]
	s_cbranch_vccnz .LBB142_1192
; %bb.1191:
	global_load_ubyte v0, v[0:1], off
	s_waitcnt vmcnt(0)
	v_cvt_f32_ubyte0_e32 v2, v0
.LBB142_1192:
	s_waitcnt vmcnt(0)
	v_mov_b32_e32 v3, 0
.LBB142_1193:
	s_cmp_lg_u32 s14, 0
	s_cselect_b64 s[20:21], -1, 0
	s_and_b64 vcc, exec, s[20:21]
	s_cbranch_vccz .LBB142_1205
; %bb.1194:
	s_waitcnt vmcnt(0)
	v_cmp_neq_f32_e32 vcc, s2, v2
	v_cmp_neq_f32_e64 s[0:1], s3, v3
	s_or_b64 s[4:5], vcc, s[0:1]
	s_cbranch_execnz .LBB142_1196
.LBB142_1195:
	s_waitcnt vmcnt(0)
	v_cmp_eq_f32_e32 vcc, s2, v2
	v_cmp_eq_f32_e64 s[0:1], s3, v3
	s_and_b64 s[0:1], vcc, s[0:1]
	s_andn2_b64 s[4:5], s[4:5], exec
	s_and_b64 s[0:1], s[0:1], exec
	s_or_b64 s[4:5], s[4:5], s[0:1]
.LBB142_1196:
	s_lshl_b32 s13, s13, 7
	v_add_u32_e32 v5, s13, v5
	v_ashrrev_i32_e32 v1, 31, v5
	s_waitcnt vmcnt(0)
	v_mov_b32_e32 v2, s11
	v_add_co_u32_e32 v0, vcc, s10, v5
	s_cmp_lt_i32 s30, 11
	v_addc_co_u32_e32 v1, vcc, v2, v1, vcc
	s_cbranch_scc1 .LBB142_1203
; %bb.1197:
	s_cmp_gt_i32 s30, 25
	s_mov_b64 s[14:15], 0
	s_cbranch_scc0 .LBB142_1206
; %bb.1198:
	s_cmp_gt_i32 s30, 28
	s_cbranch_scc0 .LBB142_1207
; %bb.1199:
	s_cmp_gt_i32 s30, 43
	s_cbranch_scc0 .LBB142_1208
; %bb.1200:
	s_cmp_gt_i32 s30, 45
	s_cbranch_scc0 .LBB142_1210
; %bb.1201:
	s_cmp_eq_u32 s30, 46
	s_mov_b64 s[24:25], 0
	s_cbranch_scc0 .LBB142_1213
; %bb.1202:
	global_load_dword v2, v[0:1], off
	s_mov_b64 s[0:1], 0
	s_mov_b64 s[22:23], -1
	s_waitcnt vmcnt(0)
	v_and_b32_e32 v3, 0xffff0000, v2
	v_lshlrev_b32_e32 v2, 16, v2
	s_branch .LBB142_1214
.LBB142_1203:
	s_mov_b64 s[22:23], 0
                                        ; implicit-def: $vgpr3
	s_cbranch_execnz .LBB142_1282
.LBB142_1204:
	s_andn2_b64 vcc, exec, s[22:23]
	s_cbranch_vccnz .LBB142_1610
	s_branch .LBB142_1331
.LBB142_1205:
                                        ; implicit-def: $sgpr4_sgpr5
	s_branch .LBB142_1195
.LBB142_1206:
	s_mov_b64 s[22:23], 0
	s_mov_b64 s[0:1], 0
                                        ; implicit-def: $vgpr3
	s_cbranch_execnz .LBB142_1245
	s_branch .LBB142_1278
.LBB142_1207:
	s_mov_b64 s[24:25], -1
	s_mov_b64 s[22:23], 0
	s_mov_b64 s[0:1], 0
                                        ; implicit-def: $vgpr3
	s_branch .LBB142_1226
.LBB142_1208:
	s_mov_b64 s[24:25], -1
	s_mov_b64 s[22:23], 0
	s_mov_b64 s[0:1], 0
                                        ; implicit-def: $vgpr3
	s_branch .LBB142_1220
.LBB142_1209:
	s_trap 2
	s_or_b64 s[18:19], s[16:17], exec
	s_cbranch_execz .LBB142_1144
	s_branch .LBB142_1145
.LBB142_1210:
	s_mov_b64 s[24:25], -1
	s_mov_b64 s[22:23], 0
	s_mov_b64 s[0:1], 0
                                        ; implicit-def: $vgpr3
	s_branch .LBB142_1214
.LBB142_1211:
	s_andn2_saveexec_b64 s[30:31], s[30:31]
	s_cbranch_execz .LBB142_983
.LBB142_1212:
	v_add_f32_e32 v2, 0x42800000, v3
	v_and_b32_e32 v2, 0xff, v2
	v_cmp_ne_u32_e32 vcc, 0, v2
	s_andn2_b64 s[28:29], s[28:29], exec
	s_and_b64 s[36:37], vcc, exec
	s_or_b64 s[28:29], s[28:29], s[36:37]
	s_or_b64 exec, exec, s[30:31]
	v_mov_b32_e32 v4, 0
	s_and_saveexec_b64 s[30:31], s[28:29]
	s_cbranch_execnz .LBB142_984
	s_branch .LBB142_985
.LBB142_1213:
	s_mov_b64 s[0:1], -1
                                        ; implicit-def: $vgpr3
	s_mov_b64 s[22:23], 0
.LBB142_1214:
	s_and_b64 vcc, exec, s[24:25]
	s_cbranch_vccz .LBB142_1219
; %bb.1215:
	s_cmp_eq_u32 s30, 44
	s_cbranch_scc0 .LBB142_1217
; %bb.1216:
	global_load_ubyte v2, v[0:1], off
	s_movk_i32 s22, 0xff
	v_mov_b32_e32 v3, 0x7f800001
	v_mov_b32_e32 v6, 0x400000
	s_mov_b64 s[0:1], 0
	s_waitcnt vmcnt(0)
	v_lshlrev_b32_e32 v7, 23, v2
	v_cmp_ne_u32_e32 vcc, s22, v2
	v_cndmask_b32_e32 v3, v3, v7, vcc
	v_cmp_ne_u32_e32 vcc, 0, v2
	v_cndmask_b32_e32 v2, v6, v3, vcc
	s_mov_b64 s[22:23], -1
	s_branch .LBB142_1218
.LBB142_1217:
	s_mov_b64 s[0:1], -1
                                        ; implicit-def: $vgpr2
.LBB142_1218:
	v_mov_b32_e32 v3, 0
.LBB142_1219:
	s_mov_b64 s[24:25], 0
.LBB142_1220:
	s_and_b64 vcc, exec, s[24:25]
	s_cbranch_vccz .LBB142_1225
; %bb.1221:
	s_cmp_eq_u32 s30, 29
	s_cbranch_scc0 .LBB142_1223
; %bb.1222:
	global_load_dwordx2 v[2:3], v[0:1], off
	s_mov_b64 s[0:1], 0
	s_mov_b64 s[22:23], -1
	s_waitcnt vmcnt(0)
	v_ffbh_u32_e32 v6, v3
	v_min_u32_e32 v6, 32, v6
	v_lshlrev_b64 v[2:3], v6, v[2:3]
	v_min_u32_e32 v2, 1, v2
	v_or_b32_e32 v2, v3, v2
	v_cvt_f32_u32_e32 v2, v2
	v_sub_u32_e32 v3, 32, v6
	v_ldexp_f32 v2, v2, v3
	s_branch .LBB142_1224
.LBB142_1223:
	s_mov_b64 s[0:1], -1
                                        ; implicit-def: $vgpr2
.LBB142_1224:
	v_mov_b32_e32 v3, 0
.LBB142_1225:
	s_mov_b64 s[24:25], 0
.LBB142_1226:
	s_and_b64 vcc, exec, s[24:25]
	s_cbranch_vccz .LBB142_1244
; %bb.1227:
	s_cmp_lt_i32 s30, 27
	s_cbranch_scc1 .LBB142_1230
; %bb.1228:
	s_cmp_gt_i32 s30, 27
	s_cbranch_scc0 .LBB142_1231
; %bb.1229:
	global_load_dword v2, v[0:1], off
	s_mov_b64 s[22:23], 0
	s_waitcnt vmcnt(0)
	v_cvt_f32_u32_e32 v2, v2
	s_branch .LBB142_1232
.LBB142_1230:
	s_mov_b64 s[22:23], -1
                                        ; implicit-def: $vgpr2
	s_branch .LBB142_1235
.LBB142_1231:
	s_mov_b64 s[22:23], -1
                                        ; implicit-def: $vgpr2
.LBB142_1232:
	s_andn2_b64 vcc, exec, s[22:23]
	s_cbranch_vccnz .LBB142_1234
; %bb.1233:
	global_load_ushort v2, v[0:1], off
	s_waitcnt vmcnt(0)
	v_cvt_f32_u32_e32 v2, v2
.LBB142_1234:
	s_mov_b64 s[22:23], 0
.LBB142_1235:
	s_andn2_b64 vcc, exec, s[22:23]
	s_cbranch_vccnz .LBB142_1243
; %bb.1236:
	global_load_ubyte v3, v[0:1], off
	s_movk_i32 s22, 0x7f
	s_waitcnt vmcnt(0)
	v_cmp_lt_i16_e32 vcc, s22, v3
	s_mov_b64 s[22:23], 0
	s_and_saveexec_b64 s[24:25], vcc
	s_xor_b64 s[24:25], exec, s[24:25]
	s_cbranch_execz .LBB142_1256
; %bb.1237:
	s_movk_i32 s22, 0x80
	v_cmp_eq_u16_e32 vcc, s22, v3
	s_mov_b64 s[22:23], -1
	s_and_saveexec_b64 s[26:27], vcc
; %bb.1238:
	s_xor_b64 s[22:23], exec, -1
; %bb.1239:
	s_or_b64 exec, exec, s[26:27]
	s_and_b64 s[22:23], s[22:23], exec
	s_or_saveexec_b64 s[24:25], s[24:25]
	v_mov_b32_e32 v2, 0x7f800001
	s_xor_b64 exec, exec, s[24:25]
	s_cbranch_execnz .LBB142_1257
.LBB142_1240:
	s_or_b64 exec, exec, s[24:25]
	s_and_saveexec_b64 s[24:25], s[22:23]
	s_cbranch_execz .LBB142_1242
.LBB142_1241:
	v_lshlrev_b32_e32 v2, 24, v3
	v_and_b32_e32 v3, 0xffff, v3
	v_and_b32_e32 v6, 7, v3
	v_ffbh_u32_e32 v8, v6
	v_min_u32_e32 v8, 32, v8
	v_subrev_u32_e32 v9, 28, v8
	v_bfe_u32 v7, v3, 3, 4
	v_lshlrev_b32_e32 v3, v9, v3
	v_sub_u32_e32 v8, 29, v8
	v_and_b32_e32 v3, 7, v3
	v_cmp_eq_u32_e32 vcc, 0, v7
	v_cndmask_b32_e32 v7, v7, v8, vcc
	v_cndmask_b32_e32 v3, v6, v3, vcc
	v_mov_b32_e32 v6, 0x3b800000
	v_lshlrev_b32_e32 v3, 20, v3
	v_and_b32_e32 v2, 0x80000000, v2
	v_lshl_add_u32 v6, v7, 23, v6
	v_or3_b32 v2, v2, v6, v3
.LBB142_1242:
	s_or_b64 exec, exec, s[24:25]
.LBB142_1243:
	s_mov_b64 s[22:23], -1
	v_mov_b32_e32 v3, 0
.LBB142_1244:
	s_branch .LBB142_1278
.LBB142_1245:
	s_cmp_gt_i32 s30, 22
	s_cbranch_scc0 .LBB142_1255
; %bb.1246:
	s_cmp_lt_i32 s30, 24
	s_cbranch_scc1 .LBB142_1258
; %bb.1247:
	s_cmp_gt_i32 s30, 24
	s_cbranch_scc0 .LBB142_1259
; %bb.1248:
	global_load_ubyte v3, v[0:1], off
	s_movk_i32 s14, 0x7f
	s_waitcnt vmcnt(0)
	v_cmp_lt_i16_e32 vcc, s14, v3
	s_mov_b64 s[14:15], 0
	s_and_saveexec_b64 s[22:23], vcc
	s_xor_b64 s[22:23], exec, s[22:23]
	s_cbranch_execz .LBB142_1271
; %bb.1249:
	s_movk_i32 s14, 0x80
	v_cmp_eq_u16_e32 vcc, s14, v3
	s_mov_b64 s[14:15], -1
	s_and_saveexec_b64 s[24:25], vcc
; %bb.1250:
	s_xor_b64 s[14:15], exec, -1
; %bb.1251:
	s_or_b64 exec, exec, s[24:25]
	s_and_b64 s[14:15], s[14:15], exec
	s_or_saveexec_b64 s[22:23], s[22:23]
	v_mov_b32_e32 v2, 0x7f800001
	s_xor_b64 exec, exec, s[22:23]
	s_cbranch_execnz .LBB142_1272
.LBB142_1252:
	s_or_b64 exec, exec, s[22:23]
	s_and_saveexec_b64 s[22:23], s[14:15]
	s_cbranch_execz .LBB142_1254
.LBB142_1253:
	v_lshlrev_b32_e32 v2, 24, v3
	v_and_b32_e32 v3, 0xffff, v3
	v_and_b32_e32 v6, 3, v3
	v_ffbh_u32_e32 v8, v6
	v_min_u32_e32 v8, 32, v8
	v_subrev_u32_e32 v9, 29, v8
	v_bfe_u32 v7, v3, 2, 5
	v_lshlrev_b32_e32 v3, v9, v3
	v_sub_u32_e32 v8, 30, v8
	v_and_b32_e32 v3, 3, v3
	v_cmp_eq_u32_e32 vcc, 0, v7
	v_cndmask_b32_e32 v7, v7, v8, vcc
	v_cndmask_b32_e32 v3, v6, v3, vcc
	v_mov_b32_e32 v6, 0x37800000
	v_lshlrev_b32_e32 v3, 21, v3
	v_and_b32_e32 v2, 0x80000000, v2
	v_lshl_add_u32 v6, v7, 23, v6
	v_or3_b32 v2, v2, v6, v3
.LBB142_1254:
	s_or_b64 exec, exec, s[22:23]
	s_mov_b64 s[14:15], 0
	s_branch .LBB142_1260
.LBB142_1255:
	s_mov_b64 s[14:15], -1
                                        ; implicit-def: $vgpr2
	s_branch .LBB142_1266
.LBB142_1256:
	s_or_saveexec_b64 s[24:25], s[24:25]
	v_mov_b32_e32 v2, 0x7f800001
	s_xor_b64 exec, exec, s[24:25]
	s_cbranch_execz .LBB142_1240
.LBB142_1257:
	v_cmp_ne_u16_e32 vcc, 0, v3
	s_andn2_b64 s[22:23], s[22:23], exec
	s_and_b64 s[26:27], vcc, exec
	v_mov_b32_e32 v2, 0
	s_or_b64 s[22:23], s[22:23], s[26:27]
	s_or_b64 exec, exec, s[24:25]
	s_and_saveexec_b64 s[24:25], s[22:23]
	s_cbranch_execnz .LBB142_1241
	s_branch .LBB142_1242
.LBB142_1258:
	s_mov_b64 s[14:15], -1
                                        ; implicit-def: $vgpr2
	s_branch .LBB142_1263
.LBB142_1259:
	s_mov_b64 s[14:15], -1
                                        ; implicit-def: $vgpr2
.LBB142_1260:
	s_and_b64 vcc, exec, s[14:15]
	s_cbranch_vccz .LBB142_1262
; %bb.1261:
	global_load_ubyte v2, v[0:1], off
	s_mov_b32 s14, 0x7f800000
	s_waitcnt vmcnt(0)
	v_lshlrev_b32_e32 v2, 24, v2
	v_and_b32_e32 v3, 0x7f000000, v2
	v_ffbh_u32_e32 v6, v3
	v_min_u32_e32 v6, 32, v6
	v_sub_u32_e64 v6, v6, 4 clamp
	v_lshlrev_b32_e32 v8, v6, v3
	v_lshlrev_b32_e32 v6, 23, v6
	v_lshrrev_b32_e32 v8, 4, v8
	v_add_u32_e32 v7, 0x1000000, v3
	v_sub_u32_e32 v6, v8, v6
	v_ashrrev_i32_e32 v7, 8, v7
	v_add_u32_e32 v6, 0x3c000000, v6
	v_and_or_b32 v6, v7, s14, v6
	v_cmp_ne_u32_e32 vcc, 0, v3
	v_cndmask_b32_e32 v3, 0, v6, vcc
	s_brev_b32 s14, 1
	v_and_or_b32 v2, v2, s14, v3
.LBB142_1262:
	s_mov_b64 s[14:15], 0
.LBB142_1263:
	s_andn2_b64 vcc, exec, s[14:15]
	s_cbranch_vccnz .LBB142_1265
; %bb.1264:
	global_load_ubyte v2, v[0:1], off
	s_movk_i32 s14, 0x7f00
	s_brev_b32 s15, 16
	s_waitcnt vmcnt(0)
	v_lshlrev_b16_e32 v3, 8, v2
	v_lshlrev_b32_e32 v2, 25, v2
	v_lshrrev_b32_e32 v6, 4, v2
	v_and_or_b32 v7, v3, s14, 0.5
	v_or_b32_e32 v6, 0x70000000, v6
	v_add_f32_e32 v7, -0.5, v7
	v_mul_f32_e32 v6, 0x7800000, v6
	v_cmp_gt_u32_e32 vcc, s15, v2
	v_bfe_i32 v3, v3, 0, 16
	v_cndmask_b32_e32 v2, v6, v7, vcc
	s_brev_b32 s14, 1
	v_and_or_b32 v2, v3, s14, v2
.LBB142_1265:
	s_mov_b64 s[14:15], 0
	s_mov_b64 s[22:23], -1
.LBB142_1266:
	s_andn2_b64 vcc, exec, s[14:15]
	s_mov_b64 s[14:15], 0
	s_cbranch_vccnz .LBB142_1277
; %bb.1267:
	s_cmp_gt_i32 s30, 14
	s_cbranch_scc0 .LBB142_1270
; %bb.1268:
	s_cmp_eq_u32 s30, 15
	s_cbranch_scc0 .LBB142_1273
; %bb.1269:
	global_load_ushort v2, v[0:1], off
	s_mov_b64 s[0:1], 0
	s_mov_b64 s[22:23], -1
	s_waitcnt vmcnt(0)
	v_lshlrev_b32_e32 v2, 16, v2
	s_branch .LBB142_1274
.LBB142_1270:
	s_mov_b64 s[24:25], -1
                                        ; implicit-def: $vgpr2
	s_branch .LBB142_1275
.LBB142_1271:
	s_or_saveexec_b64 s[22:23], s[22:23]
	v_mov_b32_e32 v2, 0x7f800001
	s_xor_b64 exec, exec, s[22:23]
	s_cbranch_execz .LBB142_1252
.LBB142_1272:
	v_cmp_ne_u16_e32 vcc, 0, v3
	s_andn2_b64 s[14:15], s[14:15], exec
	s_and_b64 s[24:25], vcc, exec
	v_mov_b32_e32 v2, 0
	s_or_b64 s[14:15], s[14:15], s[24:25]
	s_or_b64 exec, exec, s[22:23]
	s_and_saveexec_b64 s[22:23], s[14:15]
	s_cbranch_execnz .LBB142_1253
	s_branch .LBB142_1254
.LBB142_1273:
	s_mov_b64 s[0:1], -1
                                        ; implicit-def: $vgpr2
.LBB142_1274:
	s_mov_b64 s[24:25], 0
.LBB142_1275:
	s_and_b64 vcc, exec, s[24:25]
	s_cbranch_vccz .LBB142_1277
; %bb.1276:
	s_cmp_lg_u32 s30, 11
	s_mov_b64 s[14:15], -1
	s_cselect_b64 s[0:1], -1, 0
.LBB142_1277:
	v_mov_b32_e32 v3, 0
.LBB142_1278:
	s_and_b64 vcc, exec, s[0:1]
	s_cbranch_vccnz .LBB142_1359
; %bb.1279:
	s_andn2_b64 vcc, exec, s[14:15]
	s_cbranch_vccnz .LBB142_1281
.LBB142_1280:
	global_load_ubyte v2, v[0:1], off
	v_mov_b32_e32 v3, 0
	s_mov_b64 s[22:23], -1
	s_waitcnt vmcnt(0)
	v_cmp_ne_u16_e32 vcc, 0, v2
	v_cndmask_b32_e64 v2, 0, 1.0, vcc
.LBB142_1281:
	s_branch .LBB142_1204
.LBB142_1282:
	s_cmp_lt_i32 s30, 5
	s_cbranch_scc1 .LBB142_1287
; %bb.1283:
	s_cmp_lt_i32 s30, 8
	s_cbranch_scc1 .LBB142_1289
; %bb.1284:
	;; [unrolled: 3-line block ×3, first 2 shown]
	s_cmp_gt_i32 s30, 9
	s_cbranch_scc0 .LBB142_1291
; %bb.1286:
	global_load_dwordx4 v[6:9], v[0:1], off
	s_mov_b64 s[0:1], 0
	s_waitcnt vmcnt(0)
	v_cvt_f32_f64_e32 v2, v[6:7]
	v_cvt_f32_f64_e32 v3, v[8:9]
	s_branch .LBB142_1292
.LBB142_1287:
                                        ; implicit-def: $vgpr3
	s_branch .LBB142_1311
.LBB142_1288:
	s_branch .LBB142_1331
.LBB142_1289:
	s_mov_b64 s[0:1], -1
                                        ; implicit-def: $vgpr3
	s_branch .LBB142_1298
.LBB142_1290:
	s_mov_b64 s[0:1], -1
                                        ; implicit-def: $vgpr3
	s_branch .LBB142_1295
.LBB142_1291:
	s_mov_b64 s[0:1], -1
                                        ; implicit-def: $vgpr3
.LBB142_1292:
	s_andn2_b64 vcc, exec, s[0:1]
	s_cbranch_vccnz .LBB142_1294
; %bb.1293:
	global_load_dwordx2 v[2:3], v[0:1], off
.LBB142_1294:
	s_mov_b64 s[0:1], 0
.LBB142_1295:
	s_andn2_b64 vcc, exec, s[0:1]
	s_cbranch_vccnz .LBB142_1297
; %bb.1296:
	global_load_dword v3, v[0:1], off
	s_waitcnt vmcnt(0)
	v_cvt_f32_f16_e32 v2, v3
	v_cvt_f32_f16_sdwa v3, v3 dst_sel:DWORD dst_unused:UNUSED_PAD src0_sel:WORD_1
.LBB142_1297:
	s_mov_b64 s[0:1], 0
.LBB142_1298:
	s_andn2_b64 vcc, exec, s[0:1]
	s_cbranch_vccnz .LBB142_1310
; %bb.1299:
	s_cmp_lt_i32 s30, 6
	s_cbranch_scc1 .LBB142_1302
; %bb.1300:
	s_cmp_gt_i32 s30, 6
	s_cbranch_scc0 .LBB142_1303
; %bb.1301:
	global_load_dwordx2 v[2:3], v[0:1], off
	s_mov_b64 s[0:1], 0
	s_waitcnt vmcnt(0)
	v_cvt_f32_f64_e32 v2, v[2:3]
	s_branch .LBB142_1304
.LBB142_1302:
	s_mov_b64 s[0:1], -1
                                        ; implicit-def: $vgpr2
	s_branch .LBB142_1307
.LBB142_1303:
	s_mov_b64 s[0:1], -1
                                        ; implicit-def: $vgpr2
.LBB142_1304:
	s_andn2_b64 vcc, exec, s[0:1]
	s_cbranch_vccnz .LBB142_1306
; %bb.1305:
	global_load_dword v2, v[0:1], off
.LBB142_1306:
	s_mov_b64 s[0:1], 0
.LBB142_1307:
	s_andn2_b64 vcc, exec, s[0:1]
	s_cbranch_vccnz .LBB142_1309
; %bb.1308:
	global_load_ushort v2, v[0:1], off
	s_waitcnt vmcnt(0)
	v_cvt_f32_f16_e32 v2, v2
.LBB142_1309:
	s_waitcnt vmcnt(0)
	v_mov_b32_e32 v3, 0
.LBB142_1310:
	s_cbranch_execnz .LBB142_1288
.LBB142_1311:
	s_cmp_lt_i32 s30, 2
	s_cbranch_scc1 .LBB142_1315
; %bb.1312:
	s_cmp_lt_i32 s30, 3
	s_cbranch_scc1 .LBB142_1316
; %bb.1313:
	s_cmp_gt_i32 s30, 3
	s_cbranch_scc0 .LBB142_1317
; %bb.1314:
	global_load_dwordx2 v[2:3], v[0:1], off
	s_mov_b64 s[0:1], 0
	s_waitcnt vmcnt(0)
	v_xor_b32_e32 v7, v2, v3
	v_ffbh_i32_e32 v6, v3
	v_ashrrev_i32_e32 v7, 31, v7
	v_add_u32_e32 v6, -1, v6
	v_add_u32_e32 v7, 32, v7
	v_min_u32_e32 v6, v6, v7
	v_lshlrev_b64 v[2:3], v6, v[2:3]
	v_min_u32_e32 v2, 1, v2
	v_or_b32_e32 v2, v3, v2
	v_cvt_f32_i32_e32 v2, v2
	v_sub_u32_e32 v3, 32, v6
	v_ldexp_f32 v2, v2, v3
	s_branch .LBB142_1318
.LBB142_1315:
	s_mov_b64 s[0:1], -1
                                        ; implicit-def: $vgpr2
	s_branch .LBB142_1324
.LBB142_1316:
	s_mov_b64 s[0:1], -1
                                        ; implicit-def: $vgpr2
	s_branch .LBB142_1321
.LBB142_1317:
	s_mov_b64 s[0:1], -1
                                        ; implicit-def: $vgpr2
.LBB142_1318:
	s_andn2_b64 vcc, exec, s[0:1]
	s_cbranch_vccnz .LBB142_1320
; %bb.1319:
	global_load_dword v2, v[0:1], off
	s_waitcnt vmcnt(0)
	v_cvt_f32_i32_e32 v2, v2
.LBB142_1320:
	s_mov_b64 s[0:1], 0
.LBB142_1321:
	s_andn2_b64 vcc, exec, s[0:1]
	s_cbranch_vccnz .LBB142_1323
; %bb.1322:
	global_load_sshort v2, v[0:1], off
	s_waitcnt vmcnt(0)
	v_cvt_f32_i32_e32 v2, v2
.LBB142_1323:
	s_mov_b64 s[0:1], 0
.LBB142_1324:
	s_andn2_b64 vcc, exec, s[0:1]
	s_cbranch_vccnz .LBB142_1330
; %bb.1325:
	s_cmp_gt_i32 s30, 0
	s_cbranch_scc0 .LBB142_1327
; %bb.1326:
	global_load_sbyte v2, v[0:1], off
	s_mov_b64 s[0:1], 0
	s_waitcnt vmcnt(0)
	v_cvt_f32_i32_e32 v2, v2
	s_branch .LBB142_1328
.LBB142_1327:
	s_mov_b64 s[0:1], -1
                                        ; implicit-def: $vgpr2
.LBB142_1328:
	s_andn2_b64 vcc, exec, s[0:1]
	s_cbranch_vccnz .LBB142_1330
; %bb.1329:
	global_load_ubyte v0, v[0:1], off
	s_waitcnt vmcnt(0)
	v_cvt_f32_ubyte0_e32 v2, v0
.LBB142_1330:
	s_waitcnt vmcnt(0)
	v_mov_b32_e32 v3, 0
.LBB142_1331:
	s_and_b64 vcc, exec, s[20:21]
	s_cbranch_vccz .LBB142_1343
; %bb.1332:
	s_waitcnt vmcnt(0)
	v_cmp_neq_f32_e32 vcc, s2, v2
	v_cmp_neq_f32_e64 s[0:1], s3, v3
	s_or_b64 s[14:15], vcc, s[0:1]
	s_cbranch_execnz .LBB142_1334
.LBB142_1333:
	s_waitcnt vmcnt(0)
	v_cmp_eq_f32_e32 vcc, s2, v2
	v_cmp_eq_f32_e64 s[0:1], s3, v3
	s_and_b64 s[0:1], vcc, s[0:1]
	s_andn2_b64 s[14:15], s[14:15], exec
	s_and_b64 s[0:1], s[0:1], exec
	s_or_b64 s[14:15], s[14:15], s[0:1]
.LBB142_1334:
	v_add_u32_e32 v5, s13, v5
	v_ashrrev_i32_e32 v1, 31, v5
	s_waitcnt vmcnt(0)
	v_mov_b32_e32 v2, s11
	v_add_co_u32_e32 v0, vcc, s10, v5
	s_cmp_lt_i32 s30, 11
	v_addc_co_u32_e32 v1, vcc, v2, v1, vcc
	s_cbranch_scc1 .LBB142_1341
; %bb.1335:
	s_cmp_gt_i32 s30, 25
	s_mov_b64 s[22:23], 0
	s_cbranch_scc0 .LBB142_1344
; %bb.1336:
	s_cmp_gt_i32 s30, 28
	s_cbranch_scc0 .LBB142_1355
; %bb.1337:
	s_cmp_gt_i32 s30, 43
	;; [unrolled: 3-line block ×3, first 2 shown]
	s_cbranch_scc0 .LBB142_1360
; %bb.1339:
	s_cmp_eq_u32 s30, 46
	s_mov_b64 s[26:27], 0
	s_cbranch_scc0 .LBB142_1418
; %bb.1340:
	global_load_dword v2, v[0:1], off
	s_mov_b64 s[0:1], 0
	s_mov_b64 s[24:25], -1
	s_waitcnt vmcnt(0)
	v_and_b32_e32 v3, 0xffff0000, v2
	v_lshlrev_b32_e32 v2, 16, v2
	s_branch .LBB142_1419
.LBB142_1341:
	s_mov_b64 s[24:25], 0
                                        ; implicit-def: $vgpr3
	s_cbranch_execnz .LBB142_1349
.LBB142_1342:
	s_andn2_b64 vcc, exec, s[24:25]
	s_cbranch_vccnz .LBB142_1610
	s_branch .LBB142_1403
.LBB142_1343:
                                        ; implicit-def: $sgpr14_sgpr15
	s_branch .LBB142_1333
.LBB142_1344:
	s_mov_b64 s[24:25], 0
	s_mov_b64 s[0:1], 0
                                        ; implicit-def: $vgpr3
	s_cbranch_execnz .LBB142_1451
.LBB142_1345:
	s_and_b64 vcc, exec, s[0:1]
	s_cbranch_vccnz .LBB142_1484
.LBB142_1346:
	s_andn2_b64 vcc, exec, s[22:23]
	s_cbranch_vccnz .LBB142_1348
.LBB142_1347:
	global_load_ubyte v2, v[0:1], off
	v_mov_b32_e32 v3, 0
	s_mov_b64 s[24:25], -1
	s_waitcnt vmcnt(0)
	v_cmp_ne_u16_e32 vcc, 0, v2
	v_cndmask_b32_e64 v2, 0, 1.0, vcc
.LBB142_1348:
	s_branch .LBB142_1342
.LBB142_1349:
	s_cmp_lt_i32 s30, 5
	s_cbranch_scc1 .LBB142_1354
; %bb.1350:
	s_cmp_lt_i32 s30, 8
	s_cbranch_scc1 .LBB142_1356
; %bb.1351:
	;; [unrolled: 3-line block ×3, first 2 shown]
	s_cmp_gt_i32 s30, 9
	s_cbranch_scc0 .LBB142_1361
; %bb.1353:
	global_load_dwordx4 v[6:9], v[0:1], off
	s_mov_b64 s[0:1], 0
	s_waitcnt vmcnt(0)
	v_cvt_f32_f64_e32 v2, v[6:7]
	v_cvt_f32_f64_e32 v3, v[8:9]
	s_branch .LBB142_1362
.LBB142_1354:
	s_mov_b64 s[0:1], -1
                                        ; implicit-def: $vgpr3
	s_branch .LBB142_1381
.LBB142_1355:
	s_mov_b64 s[26:27], -1
	s_mov_b64 s[24:25], 0
	s_mov_b64 s[0:1], 0
                                        ; implicit-def: $vgpr3
	s_branch .LBB142_1432
.LBB142_1356:
	s_mov_b64 s[0:1], -1
                                        ; implicit-def: $vgpr3
	s_branch .LBB142_1368
.LBB142_1357:
	s_mov_b64 s[26:27], -1
	s_mov_b64 s[24:25], 0
	s_mov_b64 s[0:1], 0
                                        ; implicit-def: $vgpr3
	s_branch .LBB142_1426
.LBB142_1358:
	s_mov_b64 s[0:1], -1
                                        ; implicit-def: $vgpr3
	s_branch .LBB142_1365
.LBB142_1359:
	s_trap 2
	s_or_b64 s[18:19], s[18:19], exec
	s_cbranch_execz .LBB142_1280
	s_branch .LBB142_1281
.LBB142_1360:
	s_mov_b64 s[26:27], -1
	s_mov_b64 s[24:25], 0
	s_mov_b64 s[0:1], 0
                                        ; implicit-def: $vgpr3
	s_branch .LBB142_1419
.LBB142_1361:
	s_mov_b64 s[0:1], -1
                                        ; implicit-def: $vgpr3
.LBB142_1362:
	s_andn2_b64 vcc, exec, s[0:1]
	s_cbranch_vccnz .LBB142_1364
; %bb.1363:
	global_load_dwordx2 v[2:3], v[0:1], off
.LBB142_1364:
	s_mov_b64 s[0:1], 0
.LBB142_1365:
	s_andn2_b64 vcc, exec, s[0:1]
	s_cbranch_vccnz .LBB142_1367
; %bb.1366:
	global_load_dword v3, v[0:1], off
	s_waitcnt vmcnt(0)
	v_cvt_f32_f16_e32 v2, v3
	v_cvt_f32_f16_sdwa v3, v3 dst_sel:DWORD dst_unused:UNUSED_PAD src0_sel:WORD_1
.LBB142_1367:
	s_mov_b64 s[0:1], 0
.LBB142_1368:
	s_andn2_b64 vcc, exec, s[0:1]
	s_cbranch_vccnz .LBB142_1380
; %bb.1369:
	s_cmp_lt_i32 s30, 6
	s_cbranch_scc1 .LBB142_1372
; %bb.1370:
	s_cmp_gt_i32 s30, 6
	s_cbranch_scc0 .LBB142_1373
; %bb.1371:
	global_load_dwordx2 v[2:3], v[0:1], off
	s_mov_b64 s[0:1], 0
	s_waitcnt vmcnt(0)
	v_cvt_f32_f64_e32 v2, v[2:3]
	s_branch .LBB142_1374
.LBB142_1372:
	s_mov_b64 s[0:1], -1
                                        ; implicit-def: $vgpr2
	s_branch .LBB142_1377
.LBB142_1373:
	s_mov_b64 s[0:1], -1
                                        ; implicit-def: $vgpr2
.LBB142_1374:
	s_andn2_b64 vcc, exec, s[0:1]
	s_cbranch_vccnz .LBB142_1376
; %bb.1375:
	global_load_dword v2, v[0:1], off
.LBB142_1376:
	s_mov_b64 s[0:1], 0
.LBB142_1377:
	s_andn2_b64 vcc, exec, s[0:1]
	s_cbranch_vccnz .LBB142_1379
; %bb.1378:
	global_load_ushort v2, v[0:1], off
	s_waitcnt vmcnt(0)
	v_cvt_f32_f16_e32 v2, v2
.LBB142_1379:
	s_waitcnt vmcnt(0)
	v_mov_b32_e32 v3, 0
.LBB142_1380:
	s_mov_b64 s[0:1], 0
.LBB142_1381:
	s_andn2_b64 vcc, exec, s[0:1]
	s_cbranch_vccnz .LBB142_1402
; %bb.1382:
	s_cmp_lt_i32 s30, 2
	s_cbranch_scc1 .LBB142_1386
; %bb.1383:
	s_cmp_lt_i32 s30, 3
	s_cbranch_scc1 .LBB142_1387
; %bb.1384:
	s_cmp_gt_i32 s30, 3
	s_cbranch_scc0 .LBB142_1388
; %bb.1385:
	global_load_dwordx2 v[2:3], v[0:1], off
	s_mov_b64 s[0:1], 0
	s_waitcnt vmcnt(0)
	v_xor_b32_e32 v7, v2, v3
	v_ffbh_i32_e32 v6, v3
	v_ashrrev_i32_e32 v7, 31, v7
	v_add_u32_e32 v6, -1, v6
	v_add_u32_e32 v7, 32, v7
	v_min_u32_e32 v6, v6, v7
	v_lshlrev_b64 v[2:3], v6, v[2:3]
	v_min_u32_e32 v2, 1, v2
	v_or_b32_e32 v2, v3, v2
	v_cvt_f32_i32_e32 v2, v2
	v_sub_u32_e32 v3, 32, v6
	v_ldexp_f32 v2, v2, v3
	s_branch .LBB142_1389
.LBB142_1386:
	s_mov_b64 s[0:1], -1
                                        ; implicit-def: $vgpr2
	s_branch .LBB142_1395
.LBB142_1387:
	s_mov_b64 s[0:1], -1
                                        ; implicit-def: $vgpr2
	s_branch .LBB142_1392
.LBB142_1388:
	s_mov_b64 s[0:1], -1
                                        ; implicit-def: $vgpr2
.LBB142_1389:
	s_andn2_b64 vcc, exec, s[0:1]
	s_cbranch_vccnz .LBB142_1391
; %bb.1390:
	global_load_dword v2, v[0:1], off
	s_waitcnt vmcnt(0)
	v_cvt_f32_i32_e32 v2, v2
.LBB142_1391:
	s_mov_b64 s[0:1], 0
.LBB142_1392:
	s_andn2_b64 vcc, exec, s[0:1]
	s_cbranch_vccnz .LBB142_1394
; %bb.1393:
	global_load_sshort v2, v[0:1], off
	s_waitcnt vmcnt(0)
	v_cvt_f32_i32_e32 v2, v2
.LBB142_1394:
	s_mov_b64 s[0:1], 0
.LBB142_1395:
	s_andn2_b64 vcc, exec, s[0:1]
	s_cbranch_vccnz .LBB142_1401
; %bb.1396:
	s_cmp_gt_i32 s30, 0
	s_cbranch_scc0 .LBB142_1398
; %bb.1397:
	global_load_sbyte v2, v[0:1], off
	s_mov_b64 s[0:1], 0
	s_waitcnt vmcnt(0)
	v_cvt_f32_i32_e32 v2, v2
	s_branch .LBB142_1399
.LBB142_1398:
	s_mov_b64 s[0:1], -1
                                        ; implicit-def: $vgpr2
.LBB142_1399:
	s_andn2_b64 vcc, exec, s[0:1]
	s_cbranch_vccnz .LBB142_1401
; %bb.1400:
	global_load_ubyte v0, v[0:1], off
	s_waitcnt vmcnt(0)
	v_cvt_f32_ubyte0_e32 v2, v0
.LBB142_1401:
	s_waitcnt vmcnt(0)
	v_mov_b32_e32 v3, 0
.LBB142_1402:
.LBB142_1403:
	s_and_b64 vcc, exec, s[20:21]
	s_cbranch_vccz .LBB142_1414
; %bb.1404:
	s_waitcnt vmcnt(0)
	v_cmp_neq_f32_e32 vcc, s2, v2
	v_cmp_neq_f32_e64 s[0:1], s3, v3
	s_or_b64 s[22:23], vcc, s[0:1]
	s_cbranch_execnz .LBB142_1406
.LBB142_1405:
	s_waitcnt vmcnt(0)
	v_cmp_eq_f32_e32 vcc, s2, v2
	v_cmp_eq_f32_e64 s[0:1], s3, v3
	s_and_b64 s[0:1], vcc, s[0:1]
	s_andn2_b64 s[22:23], s[22:23], exec
	s_and_b64 s[0:1], s[0:1], exec
	s_or_b64 s[22:23], s[22:23], s[0:1]
.LBB142_1406:
	v_add_u32_e32 v0, s13, v5
	v_ashrrev_i32_e32 v1, 31, v0
	s_waitcnt vmcnt(0)
	v_mov_b32_e32 v2, s11
	v_add_co_u32_e32 v0, vcc, s10, v0
	s_cmp_lt_i32 s30, 11
	v_addc_co_u32_e32 v1, vcc, v2, v1, vcc
	s_cbranch_scc1 .LBB142_1413
; %bb.1407:
	s_cmp_gt_i32 s30, 25
	s_mov_b64 s[10:11], 0
	s_cbranch_scc0 .LBB142_1415
; %bb.1408:
	s_cmp_gt_i32 s30, 28
	s_cbranch_scc0 .LBB142_1416
; %bb.1409:
	s_cmp_gt_i32 s30, 43
	s_cbranch_scc0 .LBB142_1417
; %bb.1410:
	s_cmp_gt_i32 s30, 45
	s_cbranch_scc0 .LBB142_1422
; %bb.1411:
	s_cmp_eq_u32 s30, 46
	s_mov_b64 s[26:27], 0
	s_cbranch_scc0 .LBB142_1485
; %bb.1412:
	global_load_dword v2, v[0:1], off
	s_mov_b64 s[0:1], 0
	s_mov_b64 s[24:25], -1
	s_waitcnt vmcnt(0)
	v_and_b32_e32 v3, 0xffff0000, v2
	v_lshlrev_b32_e32 v2, 16, v2
	s_branch .LBB142_1486
.LBB142_1413:
	s_mov_b64 s[0:1], -1
	s_mov_b64 s[24:25], 0
                                        ; implicit-def: $vgpr3
	s_branch .LBB142_1532
.LBB142_1414:
                                        ; implicit-def: $sgpr22_sgpr23
	s_branch .LBB142_1405
.LBB142_1415:
	s_mov_b64 s[26:27], -1
	s_mov_b64 s[24:25], 0
	s_mov_b64 s[0:1], 0
                                        ; implicit-def: $vgpr3
	s_branch .LBB142_1517
.LBB142_1416:
	s_mov_b64 s[26:27], -1
	s_mov_b64 s[24:25], 0
	s_mov_b64 s[0:1], 0
                                        ; implicit-def: $vgpr3
	s_branch .LBB142_1498
.LBB142_1417:
	s_mov_b64 s[26:27], -1
	s_mov_b64 s[24:25], 0
	s_mov_b64 s[0:1], 0
                                        ; implicit-def: $vgpr3
	s_branch .LBB142_1492
.LBB142_1418:
	s_mov_b64 s[0:1], -1
                                        ; implicit-def: $vgpr3
	s_mov_b64 s[24:25], 0
.LBB142_1419:
	s_and_b64 vcc, exec, s[26:27]
	s_cbranch_vccz .LBB142_1425
; %bb.1420:
	s_cmp_eq_u32 s30, 44
	s_cbranch_scc0 .LBB142_1423
; %bb.1421:
	global_load_ubyte v2, v[0:1], off
	s_movk_i32 s24, 0xff
	v_mov_b32_e32 v3, 0x7f800001
	v_mov_b32_e32 v6, 0x400000
	s_mov_b64 s[0:1], 0
	s_waitcnt vmcnt(0)
	v_lshlrev_b32_e32 v7, 23, v2
	v_cmp_ne_u32_e32 vcc, s24, v2
	v_cndmask_b32_e32 v3, v3, v7, vcc
	v_cmp_ne_u32_e32 vcc, 0, v2
	v_cndmask_b32_e32 v2, v6, v3, vcc
	s_mov_b64 s[24:25], -1
	s_branch .LBB142_1424
.LBB142_1422:
	s_mov_b64 s[26:27], -1
	s_mov_b64 s[24:25], 0
	s_mov_b64 s[0:1], 0
                                        ; implicit-def: $vgpr3
	s_branch .LBB142_1486
.LBB142_1423:
	s_mov_b64 s[0:1], -1
                                        ; implicit-def: $vgpr2
.LBB142_1424:
	v_mov_b32_e32 v3, 0
.LBB142_1425:
	s_mov_b64 s[26:27], 0
.LBB142_1426:
	s_and_b64 vcc, exec, s[26:27]
	s_cbranch_vccz .LBB142_1431
; %bb.1427:
	s_cmp_eq_u32 s30, 29
	s_cbranch_scc0 .LBB142_1429
; %bb.1428:
	global_load_dwordx2 v[2:3], v[0:1], off
	s_mov_b64 s[0:1], 0
	s_mov_b64 s[24:25], -1
	s_waitcnt vmcnt(0)
	v_ffbh_u32_e32 v6, v3
	v_min_u32_e32 v6, 32, v6
	v_lshlrev_b64 v[2:3], v6, v[2:3]
	v_min_u32_e32 v2, 1, v2
	v_or_b32_e32 v2, v3, v2
	v_cvt_f32_u32_e32 v2, v2
	v_sub_u32_e32 v3, 32, v6
	v_ldexp_f32 v2, v2, v3
	s_branch .LBB142_1430
.LBB142_1429:
	s_mov_b64 s[0:1], -1
                                        ; implicit-def: $vgpr2
.LBB142_1430:
	v_mov_b32_e32 v3, 0
.LBB142_1431:
	s_mov_b64 s[26:27], 0
.LBB142_1432:
	s_and_b64 vcc, exec, s[26:27]
	s_cbranch_vccz .LBB142_1450
; %bb.1433:
	s_cmp_lt_i32 s30, 27
	s_cbranch_scc1 .LBB142_1436
; %bb.1434:
	s_cmp_gt_i32 s30, 27
	s_cbranch_scc0 .LBB142_1437
; %bb.1435:
	global_load_dword v2, v[0:1], off
	s_mov_b64 s[24:25], 0
	s_waitcnt vmcnt(0)
	v_cvt_f32_u32_e32 v2, v2
	s_branch .LBB142_1438
.LBB142_1436:
	s_mov_b64 s[24:25], -1
                                        ; implicit-def: $vgpr2
	s_branch .LBB142_1441
.LBB142_1437:
	s_mov_b64 s[24:25], -1
                                        ; implicit-def: $vgpr2
.LBB142_1438:
	s_andn2_b64 vcc, exec, s[24:25]
	s_cbranch_vccnz .LBB142_1440
; %bb.1439:
	global_load_ushort v2, v[0:1], off
	s_waitcnt vmcnt(0)
	v_cvt_f32_u32_e32 v2, v2
.LBB142_1440:
	s_mov_b64 s[24:25], 0
.LBB142_1441:
	s_andn2_b64 vcc, exec, s[24:25]
	s_cbranch_vccnz .LBB142_1449
; %bb.1442:
	global_load_ubyte v3, v[0:1], off
	s_movk_i32 s24, 0x7f
	s_waitcnt vmcnt(0)
	v_cmp_lt_i16_e32 vcc, s24, v3
	s_mov_b64 s[24:25], 0
	s_and_saveexec_b64 s[26:27], vcc
	s_xor_b64 s[26:27], exec, s[26:27]
	s_cbranch_execz .LBB142_1462
; %bb.1443:
	s_movk_i32 s24, 0x80
	v_cmp_eq_u16_e32 vcc, s24, v3
	s_mov_b64 s[24:25], -1
	s_and_saveexec_b64 s[28:29], vcc
; %bb.1444:
	s_xor_b64 s[24:25], exec, -1
; %bb.1445:
	s_or_b64 exec, exec, s[28:29]
	s_and_b64 s[24:25], s[24:25], exec
	s_or_saveexec_b64 s[26:27], s[26:27]
	v_mov_b32_e32 v2, 0x7f800001
	s_xor_b64 exec, exec, s[26:27]
	s_cbranch_execnz .LBB142_1463
.LBB142_1446:
	s_or_b64 exec, exec, s[26:27]
	s_and_saveexec_b64 s[26:27], s[24:25]
	s_cbranch_execz .LBB142_1448
.LBB142_1447:
	v_lshlrev_b32_e32 v2, 24, v3
	v_and_b32_e32 v3, 0xffff, v3
	v_and_b32_e32 v6, 7, v3
	v_ffbh_u32_e32 v8, v6
	v_min_u32_e32 v8, 32, v8
	v_subrev_u32_e32 v9, 28, v8
	v_bfe_u32 v7, v3, 3, 4
	v_lshlrev_b32_e32 v3, v9, v3
	v_sub_u32_e32 v8, 29, v8
	v_and_b32_e32 v3, 7, v3
	v_cmp_eq_u32_e32 vcc, 0, v7
	v_cndmask_b32_e32 v7, v7, v8, vcc
	v_cndmask_b32_e32 v3, v6, v3, vcc
	v_mov_b32_e32 v6, 0x3b800000
	v_lshlrev_b32_e32 v3, 20, v3
	v_and_b32_e32 v2, 0x80000000, v2
	v_lshl_add_u32 v6, v7, 23, v6
	v_or3_b32 v2, v2, v6, v3
.LBB142_1448:
	s_or_b64 exec, exec, s[26:27]
.LBB142_1449:
	s_mov_b64 s[24:25], -1
	v_mov_b32_e32 v3, 0
.LBB142_1450:
	s_branch .LBB142_1345
.LBB142_1451:
	s_cmp_gt_i32 s30, 22
	s_cbranch_scc0 .LBB142_1461
; %bb.1452:
	s_cmp_lt_i32 s30, 24
	s_cbranch_scc1 .LBB142_1464
; %bb.1453:
	s_cmp_gt_i32 s30, 24
	s_cbranch_scc0 .LBB142_1465
; %bb.1454:
	global_load_ubyte v3, v[0:1], off
	s_movk_i32 s22, 0x7f
	s_waitcnt vmcnt(0)
	v_cmp_lt_i16_e32 vcc, s22, v3
	s_mov_b64 s[22:23], 0
	s_and_saveexec_b64 s[24:25], vcc
	s_xor_b64 s[24:25], exec, s[24:25]
	s_cbranch_execz .LBB142_1477
; %bb.1455:
	s_movk_i32 s22, 0x80
	v_cmp_eq_u16_e32 vcc, s22, v3
	s_mov_b64 s[22:23], -1
	s_and_saveexec_b64 s[26:27], vcc
; %bb.1456:
	s_xor_b64 s[22:23], exec, -1
; %bb.1457:
	s_or_b64 exec, exec, s[26:27]
	s_and_b64 s[22:23], s[22:23], exec
	s_or_saveexec_b64 s[24:25], s[24:25]
	v_mov_b32_e32 v2, 0x7f800001
	s_xor_b64 exec, exec, s[24:25]
	s_cbranch_execnz .LBB142_1478
.LBB142_1458:
	s_or_b64 exec, exec, s[24:25]
	s_and_saveexec_b64 s[24:25], s[22:23]
	s_cbranch_execz .LBB142_1460
.LBB142_1459:
	v_lshlrev_b32_e32 v2, 24, v3
	v_and_b32_e32 v3, 0xffff, v3
	v_and_b32_e32 v6, 3, v3
	v_ffbh_u32_e32 v8, v6
	v_min_u32_e32 v8, 32, v8
	v_subrev_u32_e32 v9, 29, v8
	v_bfe_u32 v7, v3, 2, 5
	v_lshlrev_b32_e32 v3, v9, v3
	v_sub_u32_e32 v8, 30, v8
	v_and_b32_e32 v3, 3, v3
	v_cmp_eq_u32_e32 vcc, 0, v7
	v_cndmask_b32_e32 v7, v7, v8, vcc
	v_cndmask_b32_e32 v3, v6, v3, vcc
	v_mov_b32_e32 v6, 0x37800000
	v_lshlrev_b32_e32 v3, 21, v3
	v_and_b32_e32 v2, 0x80000000, v2
	v_lshl_add_u32 v6, v7, 23, v6
	v_or3_b32 v2, v2, v6, v3
.LBB142_1460:
	s_or_b64 exec, exec, s[24:25]
	s_mov_b64 s[22:23], 0
	s_branch .LBB142_1466
.LBB142_1461:
	s_mov_b64 s[22:23], -1
                                        ; implicit-def: $vgpr2
	s_branch .LBB142_1472
.LBB142_1462:
	s_or_saveexec_b64 s[26:27], s[26:27]
	v_mov_b32_e32 v2, 0x7f800001
	s_xor_b64 exec, exec, s[26:27]
	s_cbranch_execz .LBB142_1446
.LBB142_1463:
	v_cmp_ne_u16_e32 vcc, 0, v3
	s_andn2_b64 s[24:25], s[24:25], exec
	s_and_b64 s[28:29], vcc, exec
	v_mov_b32_e32 v2, 0
	s_or_b64 s[24:25], s[24:25], s[28:29]
	s_or_b64 exec, exec, s[26:27]
	s_and_saveexec_b64 s[26:27], s[24:25]
	s_cbranch_execnz .LBB142_1447
	s_branch .LBB142_1448
.LBB142_1464:
	s_mov_b64 s[22:23], -1
                                        ; implicit-def: $vgpr2
	s_branch .LBB142_1469
.LBB142_1465:
	s_mov_b64 s[22:23], -1
                                        ; implicit-def: $vgpr2
.LBB142_1466:
	s_and_b64 vcc, exec, s[22:23]
	s_cbranch_vccz .LBB142_1468
; %bb.1467:
	global_load_ubyte v2, v[0:1], off
	s_mov_b32 s22, 0x7f800000
	s_waitcnt vmcnt(0)
	v_lshlrev_b32_e32 v2, 24, v2
	v_and_b32_e32 v3, 0x7f000000, v2
	v_ffbh_u32_e32 v6, v3
	v_min_u32_e32 v6, 32, v6
	v_sub_u32_e64 v6, v6, 4 clamp
	v_lshlrev_b32_e32 v8, v6, v3
	v_lshlrev_b32_e32 v6, 23, v6
	v_lshrrev_b32_e32 v8, 4, v8
	v_add_u32_e32 v7, 0x1000000, v3
	v_sub_u32_e32 v6, v8, v6
	v_ashrrev_i32_e32 v7, 8, v7
	v_add_u32_e32 v6, 0x3c000000, v6
	v_and_or_b32 v6, v7, s22, v6
	v_cmp_ne_u32_e32 vcc, 0, v3
	v_cndmask_b32_e32 v3, 0, v6, vcc
	s_brev_b32 s22, 1
	v_and_or_b32 v2, v2, s22, v3
.LBB142_1468:
	s_mov_b64 s[22:23], 0
.LBB142_1469:
	s_andn2_b64 vcc, exec, s[22:23]
	s_cbranch_vccnz .LBB142_1471
; %bb.1470:
	global_load_ubyte v2, v[0:1], off
	s_movk_i32 s22, 0x7f00
	s_brev_b32 s23, 16
	s_waitcnt vmcnt(0)
	v_lshlrev_b16_e32 v3, 8, v2
	v_lshlrev_b32_e32 v2, 25, v2
	v_lshrrev_b32_e32 v6, 4, v2
	v_and_or_b32 v7, v3, s22, 0.5
	v_or_b32_e32 v6, 0x70000000, v6
	v_add_f32_e32 v7, -0.5, v7
	v_mul_f32_e32 v6, 0x7800000, v6
	v_cmp_gt_u32_e32 vcc, s23, v2
	v_bfe_i32 v3, v3, 0, 16
	v_cndmask_b32_e32 v2, v6, v7, vcc
	s_brev_b32 s22, 1
	v_and_or_b32 v2, v3, s22, v2
.LBB142_1471:
	s_mov_b64 s[22:23], 0
	s_mov_b64 s[24:25], -1
.LBB142_1472:
	s_andn2_b64 vcc, exec, s[22:23]
	s_mov_b64 s[22:23], 0
	s_cbranch_vccnz .LBB142_1483
; %bb.1473:
	s_cmp_gt_i32 s30, 14
	s_cbranch_scc0 .LBB142_1476
; %bb.1474:
	s_cmp_eq_u32 s30, 15
	s_cbranch_scc0 .LBB142_1479
; %bb.1475:
	global_load_ushort v2, v[0:1], off
	s_mov_b64 s[0:1], 0
	s_mov_b64 s[24:25], -1
	s_waitcnt vmcnt(0)
	v_lshlrev_b32_e32 v2, 16, v2
	s_branch .LBB142_1480
.LBB142_1476:
	s_mov_b64 s[26:27], -1
                                        ; implicit-def: $vgpr2
	s_branch .LBB142_1481
.LBB142_1477:
	s_or_saveexec_b64 s[24:25], s[24:25]
	v_mov_b32_e32 v2, 0x7f800001
	s_xor_b64 exec, exec, s[24:25]
	s_cbranch_execz .LBB142_1458
.LBB142_1478:
	v_cmp_ne_u16_e32 vcc, 0, v3
	s_andn2_b64 s[22:23], s[22:23], exec
	s_and_b64 s[26:27], vcc, exec
	v_mov_b32_e32 v2, 0
	s_or_b64 s[22:23], s[22:23], s[26:27]
	s_or_b64 exec, exec, s[24:25]
	s_and_saveexec_b64 s[24:25], s[22:23]
	s_cbranch_execnz .LBB142_1459
	s_branch .LBB142_1460
.LBB142_1479:
	s_mov_b64 s[0:1], -1
                                        ; implicit-def: $vgpr2
.LBB142_1480:
	s_mov_b64 s[26:27], 0
.LBB142_1481:
	s_and_b64 vcc, exec, s[26:27]
	s_cbranch_vccz .LBB142_1483
; %bb.1482:
	s_cmp_lg_u32 s30, 11
	s_mov_b64 s[22:23], -1
	s_cselect_b64 s[0:1], -1, 0
.LBB142_1483:
	v_mov_b32_e32 v3, 0
	s_and_b64 vcc, exec, s[0:1]
	s_cbranch_vccz .LBB142_1346
.LBB142_1484:
	s_trap 2
	s_or_b64 s[18:19], s[18:19], exec
	s_cbranch_execz .LBB142_1347
	s_branch .LBB142_1348
.LBB142_1485:
	s_mov_b64 s[0:1], -1
                                        ; implicit-def: $vgpr3
	s_mov_b64 s[24:25], 0
.LBB142_1486:
	s_and_b64 vcc, exec, s[26:27]
	s_cbranch_vccz .LBB142_1491
; %bb.1487:
	s_cmp_eq_u32 s30, 44
	s_cbranch_scc0 .LBB142_1489
; %bb.1488:
	global_load_ubyte v2, v[0:1], off
	s_movk_i32 s13, 0xff
	v_mov_b32_e32 v3, 0x7f800001
	v_mov_b32_e32 v5, 0x400000
	s_mov_b64 s[0:1], 0
	s_mov_b64 s[24:25], -1
	s_waitcnt vmcnt(0)
	v_lshlrev_b32_e32 v6, 23, v2
	v_cmp_ne_u32_e32 vcc, s13, v2
	v_cndmask_b32_e32 v3, v3, v6, vcc
	v_cmp_ne_u32_e32 vcc, 0, v2
	v_cndmask_b32_e32 v2, v5, v3, vcc
	s_branch .LBB142_1490
.LBB142_1489:
	s_mov_b64 s[0:1], -1
                                        ; implicit-def: $vgpr2
.LBB142_1490:
	v_mov_b32_e32 v3, 0
.LBB142_1491:
	s_mov_b64 s[26:27], 0
.LBB142_1492:
	s_and_b64 vcc, exec, s[26:27]
	s_cbranch_vccz .LBB142_1497
; %bb.1493:
	s_cmp_eq_u32 s30, 29
	s_cbranch_scc0 .LBB142_1495
; %bb.1494:
	global_load_dwordx2 v[2:3], v[0:1], off
	s_mov_b64 s[0:1], 0
	s_mov_b64 s[24:25], -1
	s_waitcnt vmcnt(0)
	v_ffbh_u32_e32 v5, v3
	v_min_u32_e32 v5, 32, v5
	v_lshlrev_b64 v[2:3], v5, v[2:3]
	v_min_u32_e32 v2, 1, v2
	v_or_b32_e32 v2, v3, v2
	v_cvt_f32_u32_e32 v2, v2
	v_sub_u32_e32 v3, 32, v5
	v_ldexp_f32 v2, v2, v3
	s_branch .LBB142_1496
.LBB142_1495:
	s_mov_b64 s[0:1], -1
                                        ; implicit-def: $vgpr2
.LBB142_1496:
	v_mov_b32_e32 v3, 0
.LBB142_1497:
	s_mov_b64 s[26:27], 0
.LBB142_1498:
	s_and_b64 vcc, exec, s[26:27]
	s_cbranch_vccz .LBB142_1516
; %bb.1499:
	s_cmp_lt_i32 s30, 27
	s_cbranch_scc1 .LBB142_1502
; %bb.1500:
	s_cmp_gt_i32 s30, 27
	s_cbranch_scc0 .LBB142_1503
; %bb.1501:
	global_load_dword v2, v[0:1], off
	s_mov_b64 s[24:25], 0
	s_waitcnt vmcnt(0)
	v_cvt_f32_u32_e32 v2, v2
	s_branch .LBB142_1504
.LBB142_1502:
	s_mov_b64 s[24:25], -1
                                        ; implicit-def: $vgpr2
	s_branch .LBB142_1507
.LBB142_1503:
	s_mov_b64 s[24:25], -1
                                        ; implicit-def: $vgpr2
.LBB142_1504:
	s_andn2_b64 vcc, exec, s[24:25]
	s_cbranch_vccnz .LBB142_1506
; %bb.1505:
	global_load_ushort v2, v[0:1], off
	s_waitcnt vmcnt(0)
	v_cvt_f32_u32_e32 v2, v2
.LBB142_1506:
	s_mov_b64 s[24:25], 0
.LBB142_1507:
	s_andn2_b64 vcc, exec, s[24:25]
	s_cbranch_vccnz .LBB142_1515
; %bb.1508:
	global_load_ubyte v3, v[0:1], off
	s_movk_i32 s13, 0x7f
	s_mov_b64 s[24:25], 0
	s_waitcnt vmcnt(0)
	v_cmp_lt_i16_e32 vcc, s13, v3
	s_and_saveexec_b64 s[26:27], vcc
	s_xor_b64 s[26:27], exec, s[26:27]
	s_cbranch_execz .LBB142_1541
; %bb.1509:
	s_movk_i32 s13, 0x80
	v_cmp_eq_u16_e32 vcc, s13, v3
	s_mov_b64 s[24:25], -1
	s_and_saveexec_b64 s[28:29], vcc
; %bb.1510:
	s_xor_b64 s[24:25], exec, -1
; %bb.1511:
	s_or_b64 exec, exec, s[28:29]
	s_and_b64 s[24:25], s[24:25], exec
	s_or_saveexec_b64 s[26:27], s[26:27]
	v_mov_b32_e32 v2, 0x7f800001
	s_xor_b64 exec, exec, s[26:27]
	s_cbranch_execnz .LBB142_1542
.LBB142_1512:
	s_or_b64 exec, exec, s[26:27]
	s_and_saveexec_b64 s[26:27], s[24:25]
	s_cbranch_execz .LBB142_1514
.LBB142_1513:
	v_lshlrev_b32_e32 v2, 24, v3
	v_and_b32_e32 v3, 0xffff, v3
	v_and_b32_e32 v5, 7, v3
	v_ffbh_u32_e32 v7, v5
	v_min_u32_e32 v7, 32, v7
	v_subrev_u32_e32 v8, 28, v7
	v_bfe_u32 v6, v3, 3, 4
	v_lshlrev_b32_e32 v3, v8, v3
	v_sub_u32_e32 v7, 29, v7
	v_and_b32_e32 v3, 7, v3
	v_cmp_eq_u32_e32 vcc, 0, v6
	v_cndmask_b32_e32 v6, v6, v7, vcc
	v_cndmask_b32_e32 v3, v5, v3, vcc
	v_mov_b32_e32 v5, 0x3b800000
	v_lshlrev_b32_e32 v3, 20, v3
	v_and_b32_e32 v2, 0x80000000, v2
	v_lshl_add_u32 v5, v6, 23, v5
	v_or3_b32 v2, v2, v5, v3
.LBB142_1514:
	s_or_b64 exec, exec, s[26:27]
.LBB142_1515:
	s_mov_b64 s[24:25], -1
	v_mov_b32_e32 v3, 0
.LBB142_1516:
	s_mov_b64 s[26:27], 0
.LBB142_1517:
	s_and_b64 vcc, exec, s[26:27]
	s_cbranch_vccz .LBB142_1528
; %bb.1518:
	s_cmp_gt_i32 s30, 22
	s_cbranch_scc0 .LBB142_1539
; %bb.1519:
	s_cmp_lt_i32 s30, 24
	s_cbranch_scc1 .LBB142_1543
; %bb.1520:
	s_cmp_gt_i32 s30, 24
	s_cbranch_scc0 .LBB142_1545
; %bb.1521:
	global_load_ubyte v3, v[0:1], off
	s_movk_i32 s10, 0x7f
	s_waitcnt vmcnt(0)
	v_cmp_lt_i16_e32 vcc, s10, v3
	s_mov_b64 s[10:11], 0
	s_and_saveexec_b64 s[24:25], vcc
	s_xor_b64 s[24:25], exec, s[24:25]
	s_cbranch_execz .LBB142_1557
; %bb.1522:
	s_movk_i32 s10, 0x80
	v_cmp_eq_u16_e32 vcc, s10, v3
	s_mov_b64 s[10:11], -1
	s_and_saveexec_b64 s[26:27], vcc
; %bb.1523:
	s_xor_b64 s[10:11], exec, -1
; %bb.1524:
	s_or_b64 exec, exec, s[26:27]
	s_and_b64 s[10:11], s[10:11], exec
	s_or_saveexec_b64 s[24:25], s[24:25]
	v_mov_b32_e32 v2, 0x7f800001
	s_xor_b64 exec, exec, s[24:25]
	s_cbranch_execnz .LBB142_1558
.LBB142_1525:
	s_or_b64 exec, exec, s[24:25]
	s_and_saveexec_b64 s[24:25], s[10:11]
	s_cbranch_execz .LBB142_1527
.LBB142_1526:
	v_lshlrev_b32_e32 v2, 24, v3
	v_and_b32_e32 v3, 0xffff, v3
	v_and_b32_e32 v5, 3, v3
	v_ffbh_u32_e32 v7, v5
	v_min_u32_e32 v7, 32, v7
	v_subrev_u32_e32 v8, 29, v7
	v_bfe_u32 v6, v3, 2, 5
	v_lshlrev_b32_e32 v3, v8, v3
	v_sub_u32_e32 v7, 30, v7
	v_and_b32_e32 v3, 3, v3
	v_cmp_eq_u32_e32 vcc, 0, v6
	v_cndmask_b32_e32 v6, v6, v7, vcc
	v_cndmask_b32_e32 v3, v5, v3, vcc
	v_mov_b32_e32 v5, 0x37800000
	v_lshlrev_b32_e32 v3, 21, v3
	v_and_b32_e32 v2, 0x80000000, v2
	v_lshl_add_u32 v5, v6, 23, v5
	v_or3_b32 v2, v2, v5, v3
.LBB142_1527:
	s_or_b64 exec, exec, s[24:25]
	s_mov_b64 s[10:11], 0
	s_branch .LBB142_1546
.LBB142_1528:
	s_and_b64 vcc, exec, s[0:1]
	s_cbranch_vccnz .LBB142_1576
.LBB142_1529:
	s_andn2_b64 vcc, exec, s[10:11]
	s_cbranch_vccnz .LBB142_1531
.LBB142_1530:
	global_load_ubyte v2, v[0:1], off
	v_mov_b32_e32 v3, 0
	s_mov_b64 s[24:25], -1
	s_waitcnt vmcnt(0)
	v_cmp_ne_u16_e32 vcc, 0, v2
	v_cndmask_b32_e64 v2, 0, 1.0, vcc
.LBB142_1531:
	s_mov_b64 s[0:1], 0
.LBB142_1532:
	s_and_b64 vcc, exec, s[0:1]
	s_cbranch_vccz .LBB142_1607
; %bb.1533:
	s_cmp_lt_i32 s30, 5
	s_cbranch_scc1 .LBB142_1538
; %bb.1534:
	s_cmp_lt_i32 s30, 8
	s_cbranch_scc1 .LBB142_1540
	;; [unrolled: 3-line block ×3, first 2 shown]
; %bb.1536:
	s_cmp_gt_i32 s30, 9
	s_cbranch_scc0 .LBB142_1559
; %bb.1537:
	global_load_dwordx4 v[5:8], v[0:1], off
	s_mov_b64 s[0:1], 0
	s_waitcnt vmcnt(0)
	v_cvt_f32_f64_e32 v2, v[5:6]
	v_cvt_f32_f64_e32 v3, v[7:8]
	s_branch .LBB142_1560
.LBB142_1538:
	s_mov_b64 s[0:1], -1
                                        ; implicit-def: $vgpr3
	s_branch .LBB142_1585
.LBB142_1539:
	s_mov_b64 s[10:11], -1
                                        ; implicit-def: $vgpr2
	s_branch .LBB142_1552
.LBB142_1540:
	s_mov_b64 s[0:1], -1
                                        ; implicit-def: $vgpr3
	s_branch .LBB142_1566
.LBB142_1541:
	s_or_saveexec_b64 s[26:27], s[26:27]
	v_mov_b32_e32 v2, 0x7f800001
	s_xor_b64 exec, exec, s[26:27]
	s_cbranch_execz .LBB142_1512
.LBB142_1542:
	v_cmp_ne_u16_e32 vcc, 0, v3
	s_andn2_b64 s[24:25], s[24:25], exec
	s_and_b64 s[28:29], vcc, exec
	v_mov_b32_e32 v2, 0
	s_or_b64 s[24:25], s[24:25], s[28:29]
	s_or_b64 exec, exec, s[26:27]
	s_and_saveexec_b64 s[26:27], s[24:25]
	s_cbranch_execnz .LBB142_1513
	s_branch .LBB142_1514
.LBB142_1543:
	s_mov_b64 s[10:11], -1
                                        ; implicit-def: $vgpr2
	s_branch .LBB142_1549
.LBB142_1544:
	s_mov_b64 s[0:1], -1
                                        ; implicit-def: $vgpr3
	s_branch .LBB142_1563
.LBB142_1545:
	s_mov_b64 s[10:11], -1
                                        ; implicit-def: $vgpr2
.LBB142_1546:
	s_and_b64 vcc, exec, s[10:11]
	s_cbranch_vccz .LBB142_1548
; %bb.1547:
	global_load_ubyte v2, v[0:1], off
	s_mov_b32 s10, 0x7f800000
	s_waitcnt vmcnt(0)
	v_lshlrev_b32_e32 v2, 24, v2
	v_and_b32_e32 v3, 0x7f000000, v2
	v_ffbh_u32_e32 v5, v3
	v_min_u32_e32 v5, 32, v5
	v_sub_u32_e64 v5, v5, 4 clamp
	v_lshlrev_b32_e32 v7, v5, v3
	v_lshlrev_b32_e32 v5, 23, v5
	v_lshrrev_b32_e32 v7, 4, v7
	v_add_u32_e32 v6, 0x1000000, v3
	v_sub_u32_e32 v5, v7, v5
	v_ashrrev_i32_e32 v6, 8, v6
	v_add_u32_e32 v5, 0x3c000000, v5
	v_and_or_b32 v5, v6, s10, v5
	v_cmp_ne_u32_e32 vcc, 0, v3
	v_cndmask_b32_e32 v3, 0, v5, vcc
	s_brev_b32 s10, 1
	v_and_or_b32 v2, v2, s10, v3
.LBB142_1548:
	s_mov_b64 s[10:11], 0
.LBB142_1549:
	s_andn2_b64 vcc, exec, s[10:11]
	s_cbranch_vccnz .LBB142_1551
; %bb.1550:
	global_load_ubyte v2, v[0:1], off
	s_movk_i32 s10, 0x7f00
	s_brev_b32 s11, 16
	s_waitcnt vmcnt(0)
	v_lshlrev_b16_e32 v3, 8, v2
	v_lshlrev_b32_e32 v2, 25, v2
	v_lshrrev_b32_e32 v5, 4, v2
	v_and_or_b32 v6, v3, s10, 0.5
	v_or_b32_e32 v5, 0x70000000, v5
	v_add_f32_e32 v6, -0.5, v6
	v_mul_f32_e32 v5, 0x7800000, v5
	v_cmp_gt_u32_e32 vcc, s11, v2
	v_bfe_i32 v3, v3, 0, 16
	v_cndmask_b32_e32 v2, v5, v6, vcc
	s_brev_b32 s10, 1
	v_and_or_b32 v2, v3, s10, v2
.LBB142_1551:
	s_mov_b64 s[10:11], 0
	s_mov_b64 s[24:25], -1
.LBB142_1552:
	s_andn2_b64 vcc, exec, s[10:11]
	s_mov_b64 s[10:11], 0
	s_cbranch_vccnz .LBB142_1575
; %bb.1553:
	s_cmp_gt_i32 s30, 14
	s_cbranch_scc0 .LBB142_1556
; %bb.1554:
	s_cmp_eq_u32 s30, 15
	s_cbranch_scc0 .LBB142_1571
; %bb.1555:
	global_load_ushort v2, v[0:1], off
	s_mov_b64 s[0:1], 0
	s_mov_b64 s[24:25], -1
	s_waitcnt vmcnt(0)
	v_lshlrev_b32_e32 v2, 16, v2
	s_branch .LBB142_1572
.LBB142_1556:
	s_mov_b64 s[26:27], -1
                                        ; implicit-def: $vgpr2
	s_branch .LBB142_1573
.LBB142_1557:
	s_or_saveexec_b64 s[24:25], s[24:25]
	v_mov_b32_e32 v2, 0x7f800001
	s_xor_b64 exec, exec, s[24:25]
	s_cbranch_execz .LBB142_1525
.LBB142_1558:
	v_cmp_ne_u16_e32 vcc, 0, v3
	s_andn2_b64 s[10:11], s[10:11], exec
	s_and_b64 s[26:27], vcc, exec
	v_mov_b32_e32 v2, 0
	s_or_b64 s[10:11], s[10:11], s[26:27]
	s_or_b64 exec, exec, s[24:25]
	s_and_saveexec_b64 s[24:25], s[10:11]
	s_cbranch_execnz .LBB142_1526
	s_branch .LBB142_1527
.LBB142_1559:
	s_mov_b64 s[0:1], -1
                                        ; implicit-def: $vgpr3
.LBB142_1560:
	s_andn2_b64 vcc, exec, s[0:1]
	s_cbranch_vccnz .LBB142_1562
; %bb.1561:
	global_load_dwordx2 v[2:3], v[0:1], off
.LBB142_1562:
	s_mov_b64 s[0:1], 0
.LBB142_1563:
	s_andn2_b64 vcc, exec, s[0:1]
	s_cbranch_vccnz .LBB142_1565
; %bb.1564:
	global_load_dword v3, v[0:1], off
	s_waitcnt vmcnt(0)
	v_cvt_f32_f16_e32 v2, v3
	v_cvt_f32_f16_sdwa v3, v3 dst_sel:DWORD dst_unused:UNUSED_PAD src0_sel:WORD_1
.LBB142_1565:
	s_mov_b64 s[0:1], 0
.LBB142_1566:
	s_andn2_b64 vcc, exec, s[0:1]
	s_cbranch_vccnz .LBB142_1584
; %bb.1567:
	s_cmp_lt_i32 s30, 6
	s_cbranch_scc1 .LBB142_1570
; %bb.1568:
	s_cmp_gt_i32 s30, 6
	s_cbranch_scc0 .LBB142_1577
; %bb.1569:
	global_load_dwordx2 v[2:3], v[0:1], off
	s_mov_b64 s[0:1], 0
	s_waitcnt vmcnt(0)
	v_cvt_f32_f64_e32 v2, v[2:3]
	s_branch .LBB142_1578
.LBB142_1570:
	s_mov_b64 s[0:1], -1
                                        ; implicit-def: $vgpr2
	s_branch .LBB142_1581
.LBB142_1571:
	s_mov_b64 s[0:1], -1
                                        ; implicit-def: $vgpr2
.LBB142_1572:
	s_mov_b64 s[26:27], 0
.LBB142_1573:
	s_and_b64 vcc, exec, s[26:27]
	s_cbranch_vccz .LBB142_1575
; %bb.1574:
	s_cmp_lg_u32 s30, 11
	s_mov_b64 s[10:11], -1
	s_cselect_b64 s[0:1], -1, 0
.LBB142_1575:
	v_mov_b32_e32 v3, 0
	s_and_b64 vcc, exec, s[0:1]
	s_cbranch_vccz .LBB142_1529
.LBB142_1576:
	s_trap 2
	s_or_b64 s[18:19], s[18:19], exec
	s_cbranch_execz .LBB142_1530
	s_branch .LBB142_1531
.LBB142_1577:
	s_mov_b64 s[0:1], -1
                                        ; implicit-def: $vgpr2
.LBB142_1578:
	s_andn2_b64 vcc, exec, s[0:1]
	s_cbranch_vccnz .LBB142_1580
; %bb.1579:
	global_load_dword v2, v[0:1], off
.LBB142_1580:
	s_mov_b64 s[0:1], 0
.LBB142_1581:
	s_andn2_b64 vcc, exec, s[0:1]
	s_cbranch_vccnz .LBB142_1583
; %bb.1582:
	global_load_ushort v2, v[0:1], off
	s_waitcnt vmcnt(0)
	v_cvt_f32_f16_e32 v2, v2
.LBB142_1583:
	s_waitcnt vmcnt(0)
	v_mov_b32_e32 v3, 0
.LBB142_1584:
	s_mov_b64 s[0:1], 0
.LBB142_1585:
	s_andn2_b64 vcc, exec, s[0:1]
	s_cbranch_vccnz .LBB142_1606
; %bb.1586:
	s_cmp_lt_i32 s30, 2
	s_cbranch_scc1 .LBB142_1590
; %bb.1587:
	s_cmp_lt_i32 s30, 3
	s_cbranch_scc1 .LBB142_1591
; %bb.1588:
	s_cmp_gt_i32 s30, 3
	s_cbranch_scc0 .LBB142_1592
; %bb.1589:
	global_load_dwordx2 v[2:3], v[0:1], off
	s_mov_b64 s[0:1], 0
	s_waitcnt vmcnt(0)
	v_xor_b32_e32 v6, v2, v3
	v_ffbh_i32_e32 v5, v3
	v_ashrrev_i32_e32 v6, 31, v6
	v_add_u32_e32 v5, -1, v5
	v_add_u32_e32 v6, 32, v6
	v_min_u32_e32 v5, v5, v6
	v_lshlrev_b64 v[2:3], v5, v[2:3]
	v_min_u32_e32 v2, 1, v2
	v_or_b32_e32 v2, v3, v2
	v_cvt_f32_i32_e32 v2, v2
	v_sub_u32_e32 v3, 32, v5
	v_ldexp_f32 v2, v2, v3
	s_branch .LBB142_1593
.LBB142_1590:
	s_mov_b64 s[0:1], -1
                                        ; implicit-def: $vgpr2
	s_branch .LBB142_1599
.LBB142_1591:
	s_mov_b64 s[0:1], -1
                                        ; implicit-def: $vgpr2
	s_branch .LBB142_1596
.LBB142_1592:
	s_mov_b64 s[0:1], -1
                                        ; implicit-def: $vgpr2
.LBB142_1593:
	s_andn2_b64 vcc, exec, s[0:1]
	s_cbranch_vccnz .LBB142_1595
; %bb.1594:
	global_load_dword v2, v[0:1], off
	s_waitcnt vmcnt(0)
	v_cvt_f32_i32_e32 v2, v2
.LBB142_1595:
	s_mov_b64 s[0:1], 0
.LBB142_1596:
	s_andn2_b64 vcc, exec, s[0:1]
	s_cbranch_vccnz .LBB142_1598
; %bb.1597:
	global_load_sshort v2, v[0:1], off
	s_waitcnt vmcnt(0)
	v_cvt_f32_i32_e32 v2, v2
.LBB142_1598:
	s_mov_b64 s[0:1], 0
.LBB142_1599:
	s_andn2_b64 vcc, exec, s[0:1]
	s_cbranch_vccnz .LBB142_1605
; %bb.1600:
	s_cmp_gt_i32 s30, 0
	s_cbranch_scc0 .LBB142_1602
; %bb.1601:
	global_load_sbyte v2, v[0:1], off
	s_mov_b64 s[0:1], 0
	s_waitcnt vmcnt(0)
	v_cvt_f32_i32_e32 v2, v2
	s_branch .LBB142_1603
.LBB142_1602:
	s_mov_b64 s[0:1], -1
                                        ; implicit-def: $vgpr2
.LBB142_1603:
	s_andn2_b64 vcc, exec, s[0:1]
	s_cbranch_vccnz .LBB142_1605
; %bb.1604:
	global_load_ubyte v0, v[0:1], off
	s_waitcnt vmcnt(0)
	v_cvt_f32_ubyte0_e32 v2, v0
.LBB142_1605:
	s_waitcnt vmcnt(0)
	v_mov_b32_e32 v3, 0
.LBB142_1606:
	s_mov_b64 s[24:25], -1
.LBB142_1607:
	s_andn2_b64 vcc, exec, s[24:25]
	s_cbranch_vccnz .LBB142_1610
; %bb.1608:
	s_and_b64 vcc, exec, s[20:21]
	s_cbranch_vccz .LBB142_1656
; %bb.1609:
	s_waitcnt vmcnt(0)
	v_cmp_neq_f32_e32 vcc, s2, v2
	v_cmp_neq_f32_e64 s[0:1], s3, v3
	s_or_b64 s[20:21], vcc, s[0:1]
	s_mov_b64 s[0:1], 0
	s_branch .LBB142_1657
.LBB142_1610:
	s_mov_b64 s[0:1], 0
                                        ; implicit-def: $sgpr20_sgpr21
.LBB142_1611:
                                        ; implicit-def: $sgpr28
                                        ; implicit-def: $vgpr0_vgpr1
	s_mov_b64 s[2:3], 0
.LBB142_1612:
	s_and_b64 s[4:5], s[2:3], exec
	s_andn2_b64 s[2:3], s[16:17], exec
	s_and_b64 s[8:9], s[18:19], exec
	s_and_b64 s[0:1], s[0:1], exec
	s_or_b64 s[16:17], s[2:3], s[8:9]
.LBB142_1613:
	s_or_b64 exec, exec, s[6:7]
	s_and_saveexec_b64 s[2:3], s[16:17]
	s_cbranch_execz .LBB142_1616
; %bb.1614:
	; divergent unreachable
	s_or_b64 exec, exec, s[2:3]
	s_and_saveexec_b64 s[2:3], s[4:5]
	s_xor_b64 s[2:3], exec, s[2:3]
	s_cbranch_execnz .LBB142_1617
.LBB142_1615:
	s_or_b64 exec, exec, s[2:3]
	s_and_saveexec_b64 s[2:3], s[0:1]
	s_cbranch_execnz .LBB142_1618
	s_branch .LBB142_1655
.LBB142_1616:
	s_or_b64 exec, exec, s[2:3]
	s_and_saveexec_b64 s[2:3], s[4:5]
	s_xor_b64 s[2:3], exec, s[2:3]
	s_cbranch_execz .LBB142_1615
.LBB142_1617:
	s_waitcnt vmcnt(0)
	v_cndmask_b32_e64 v2, 0, 1, s[20:21]
	global_store_byte v[0:1], v2, off
	s_or_b64 exec, exec, s[2:3]
	s_and_saveexec_b64 s[2:3], s[0:1]
	s_cbranch_execz .LBB142_1655
.LBB142_1618:
	s_sext_i32_i16 s2, s28
	s_cmp_lt_i32 s2, 5
	s_mov_b64 s[0:1], -1
	s_cbranch_scc1 .LBB142_1639
; %bb.1619:
	s_cmp_lt_i32 s2, 8
	s_cbranch_scc1 .LBB142_1629
; %bb.1620:
	s_cmp_lt_i32 s2, 9
	s_cbranch_scc1 .LBB142_1626
; %bb.1621:
	s_cmp_gt_i32 s2, 9
	s_cbranch_scc0 .LBB142_1623
; %bb.1622:
	s_waitcnt vmcnt(0)
	v_cndmask_b32_e64 v2, 0, 1, s[20:21]
	v_cvt_f64_u32_e32 v[2:3], v2
	v_mov_b32_e32 v4, 0
	v_mov_b32_e32 v5, v4
	s_mov_b64 s[0:1], 0
	global_store_dwordx4 v[0:1], v[2:5], off
.LBB142_1623:
	s_andn2_b64 vcc, exec, s[0:1]
	s_cbranch_vccnz .LBB142_1625
; %bb.1624:
	s_waitcnt vmcnt(0)
	v_cndmask_b32_e64 v2, 0, 1.0, s[20:21]
	v_mov_b32_e32 v3, 0
	global_store_dwordx2 v[0:1], v[2:3], off
.LBB142_1625:
	s_mov_b64 s[0:1], 0
.LBB142_1626:
	s_andn2_b64 vcc, exec, s[0:1]
	s_cbranch_vccnz .LBB142_1628
; %bb.1627:
	s_waitcnt vmcnt(0)
	v_cndmask_b32_e64 v2, 0, 1.0, s[20:21]
	v_cvt_f16_f32_e32 v2, v2
	global_store_dword v[0:1], v2, off
.LBB142_1628:
	s_mov_b64 s[0:1], 0
.LBB142_1629:
	s_andn2_b64 vcc, exec, s[0:1]
	s_cbranch_vccnz .LBB142_1638
; %bb.1630:
	s_sext_i32_i16 s2, s28
	s_cmp_lt_i32 s2, 6
	s_mov_b64 s[0:1], -1
	s_cbranch_scc1 .LBB142_1636
; %bb.1631:
	s_cmp_gt_i32 s2, 6
	s_cbranch_scc0 .LBB142_1633
; %bb.1632:
	s_waitcnt vmcnt(0)
	v_cndmask_b32_e64 v2, 0, 1, s[20:21]
	v_cvt_f64_u32_e32 v[2:3], v2
	s_mov_b64 s[0:1], 0
	global_store_dwordx2 v[0:1], v[2:3], off
.LBB142_1633:
	s_andn2_b64 vcc, exec, s[0:1]
	s_cbranch_vccnz .LBB142_1635
; %bb.1634:
	s_waitcnt vmcnt(0)
	v_cndmask_b32_e64 v2, 0, 1.0, s[20:21]
	global_store_dword v[0:1], v2, off
.LBB142_1635:
	s_mov_b64 s[0:1], 0
.LBB142_1636:
	s_andn2_b64 vcc, exec, s[0:1]
	s_cbranch_vccnz .LBB142_1638
; %bb.1637:
	s_waitcnt vmcnt(0)
	v_cndmask_b32_e64 v2, 0, 1.0, s[20:21]
	v_cvt_f16_f32_e32 v2, v2
	global_store_short v[0:1], v2, off
.LBB142_1638:
	s_mov_b64 s[0:1], 0
.LBB142_1639:
	s_andn2_b64 vcc, exec, s[0:1]
	s_cbranch_vccnz .LBB142_1655
; %bb.1640:
	s_sext_i32_i16 s2, s28
	s_cmp_lt_i32 s2, 2
	s_mov_b64 s[0:1], -1
	s_cbranch_scc1 .LBB142_1650
; %bb.1641:
	s_cmp_lt_i32 s2, 3
	s_cbranch_scc1 .LBB142_1647
; %bb.1642:
	s_cmp_gt_i32 s2, 3
	s_cbranch_scc0 .LBB142_1644
; %bb.1643:
	s_mov_b32 s0, 0
	s_waitcnt vmcnt(0)
	v_cndmask_b32_e64 v2, 0, 1, s[20:21]
	v_mov_b32_e32 v3, s0
	global_store_dwordx2 v[0:1], v[2:3], off
	s_mov_b64 s[0:1], 0
.LBB142_1644:
	s_andn2_b64 vcc, exec, s[0:1]
	s_cbranch_vccnz .LBB142_1646
; %bb.1645:
	s_waitcnt vmcnt(0)
	v_cndmask_b32_e64 v2, 0, 1, s[20:21]
	global_store_dword v[0:1], v2, off
.LBB142_1646:
	s_mov_b64 s[0:1], 0
.LBB142_1647:
	s_andn2_b64 vcc, exec, s[0:1]
	s_cbranch_vccnz .LBB142_1649
; %bb.1648:
	s_waitcnt vmcnt(0)
	v_cndmask_b32_e64 v2, 0, 1, s[20:21]
	global_store_short v[0:1], v2, off
.LBB142_1649:
	s_mov_b64 s[0:1], 0
.LBB142_1650:
	s_andn2_b64 vcc, exec, s[0:1]
	s_cbranch_vccnz .LBB142_1655
; %bb.1651:
	s_sext_i32_i16 s2, s28
	s_mov_b64 s[0:1], -1
	s_cmp_gt_i32 s2, 0
	s_waitcnt vmcnt(0)
	v_cndmask_b32_e64 v2, 0, 1, s[20:21]
	s_cbranch_scc0 .LBB142_1653
; %bb.1652:
	global_store_byte v[0:1], v2, off
	s_mov_b64 s[0:1], 0
.LBB142_1653:
	s_andn2_b64 vcc, exec, s[0:1]
	s_cbranch_vccnz .LBB142_1655
; %bb.1654:
	global_store_byte v[0:1], v2, off
	s_endpgm
.LBB142_1655:
	s_endpgm
.LBB142_1656:
	s_mov_b64 s[0:1], -1
                                        ; implicit-def: $sgpr20_sgpr21
.LBB142_1657:
	s_andn2_b64 vcc, exec, s[0:1]
	s_cbranch_vccnz .LBB142_1659
; %bb.1658:
	s_waitcnt vmcnt(0)
	v_cmp_eq_f32_e32 vcc, s2, v2
	v_cmp_eq_f32_e64 s[0:1], s3, v3
	s_and_b64 s[0:1], vcc, s[0:1]
	s_andn2_b64 s[2:3], s[20:21], exec
	s_and_b64 s[0:1], s[0:1], exec
	s_or_b64 s[20:21], s[2:3], s[0:1]
.LBB142_1659:
	s_waitcnt vmcnt(0)
	v_mul_lo_u32 v2, s12, v4
	v_mov_b32_e32 v1, s9
	s_and_b32 s28, s33, 0xff
	s_cmp_lt_i32 s28, 11
	v_ashrrev_i32_e32 v3, 31, v2
	v_add_co_u32_e32 v0, vcc, s8, v2
	v_addc_co_u32_e32 v1, vcc, v1, v3, vcc
	s_cbranch_scc1 .LBB142_1737
; %bb.1660:
	s_and_b32 s13, 0xffff, s28
	s_mov_b64 s[24:25], -1
	s_mov_b64 s[2:3], 0
	s_cmp_gt_i32 s13, 25
	s_mov_b64 s[10:11], 0
	s_mov_b64 s[0:1], 0
	s_cbranch_scc0 .LBB142_1693
; %bb.1661:
	s_cmp_gt_i32 s13, 28
	s_cbranch_scc0 .LBB142_1676
; %bb.1662:
	s_cmp_gt_i32 s13, 43
	;; [unrolled: 3-line block ×3, first 2 shown]
	s_cbranch_scc0 .LBB142_1666
; %bb.1664:
	s_mov_b64 s[0:1], -1
	s_mov_b64 s[24:25], 0
	s_cmp_eq_u32 s13, 46
	s_cbranch_scc0 .LBB142_1666
; %bb.1665:
	v_cndmask_b32_e64 v3, 0, 1.0, s[4:5]
	v_bfe_u32 v4, v3, 16, 1
	s_movk_i32 s0, 0x7fff
	v_add3_u32 v3, v3, v4, s0
	v_lshrrev_b32_e32 v3, 16, v3
	global_store_dword v[0:1], v3, off
	s_mov_b64 s[0:1], 0
	s_mov_b64 s[10:11], -1
.LBB142_1666:
	s_and_b64 vcc, exec, s[24:25]
	s_cbranch_vccz .LBB142_1671
; %bb.1667:
	s_cmp_eq_u32 s13, 44
	s_mov_b64 s[0:1], -1
	s_cbranch_scc0 .LBB142_1671
; %bb.1668:
	v_cndmask_b32_e64 v4, 0, 1.0, s[4:5]
	v_lshrrev_b32_e32 v3, 23, v4
	s_movk_i32 s0, 0xff
	v_cmp_ne_u32_e32 vcc, s0, v3
	v_mov_b32_e32 v5, 0xff
	s_and_saveexec_b64 s[10:11], vcc
; %bb.1669:
	s_mov_b32 s0, 0x3fffff
	v_and_b32_e32 v5, 0x400000, v4
	v_and_or_b32 v4, v4, s0, v3
	v_cmp_ne_u32_e32 vcc, 0, v5
	v_cmp_ne_u32_e64 s[0:1], 0, v4
	s_and_b64 s[0:1], vcc, s[0:1]
	v_cndmask_b32_e64 v4, 0, 1, s[0:1]
	v_add_u32_e32 v5, v3, v4
; %bb.1670:
	s_or_b64 exec, exec, s[10:11]
	s_mov_b64 s[0:1], 0
	s_mov_b64 s[10:11], -1
	global_store_byte v[0:1], v5, off
.LBB142_1671:
	s_mov_b64 s[24:25], 0
.LBB142_1672:
	s_and_b64 vcc, exec, s[24:25]
	s_cbranch_vccz .LBB142_1675
; %bb.1673:
	s_cmp_eq_u32 s13, 29
	s_mov_b64 s[0:1], -1
	s_cbranch_scc0 .LBB142_1675
; %bb.1674:
	s_mov_b32 s0, 0
	v_cndmask_b32_e64 v3, 0, 1, s[4:5]
	v_mov_b32_e32 v4, s0
	global_store_dwordx2 v[0:1], v[3:4], off
	s_mov_b64 s[0:1], 0
	s_mov_b64 s[10:11], -1
.LBB142_1675:
	s_mov_b64 s[24:25], 0
.LBB142_1676:
	s_and_b64 vcc, exec, s[24:25]
	s_cbranch_vccz .LBB142_1692
; %bb.1677:
	s_cmp_lt_i32 s13, 27
	s_mov_b64 s[10:11], -1
	s_cbranch_scc1 .LBB142_1683
; %bb.1678:
	s_cmp_gt_i32 s13, 27
	s_cbranch_scc0 .LBB142_1680
; %bb.1679:
	v_cndmask_b32_e64 v3, 0, 1, s[4:5]
	s_mov_b64 s[10:11], 0
	global_store_dword v[0:1], v3, off
.LBB142_1680:
	s_andn2_b64 vcc, exec, s[10:11]
	s_cbranch_vccnz .LBB142_1682
; %bb.1681:
	v_cndmask_b32_e64 v3, 0, 1, s[4:5]
	global_store_short v[0:1], v3, off
.LBB142_1682:
	s_mov_b64 s[10:11], 0
.LBB142_1683:
	s_andn2_b64 vcc, exec, s[10:11]
	s_cbranch_vccnz .LBB142_1691
; %bb.1684:
	v_cndmask_b32_e64 v4, 0, 1.0, s[4:5]
	s_mov_b32 s10, 0x43800000
	v_cmp_gt_u32_e32 vcc, s10, v4
	v_mov_b32_e32 v5, 0x80
	s_and_saveexec_b64 s[10:11], vcc
	s_cbranch_execz .LBB142_1690
; %bb.1685:
	s_mov_b32 s24, 0x3bffffff
	v_cmp_lt_u32_e32 vcc, s24, v4
	s_mov_b64 s[24:25], 0
                                        ; implicit-def: $vgpr3
	s_and_saveexec_b64 s[26:27], vcc
	s_xor_b64 s[26:27], exec, s[26:27]
	s_cbranch_execz .LBB142_2094
; %bb.1686:
	v_bfe_u32 v3, v4, 20, 1
	s_mov_b32 s29, 0x487ffff
	v_add3_u32 v3, v4, v3, s29
	s_mov_b64 s[24:25], exec
	v_lshrrev_b32_e32 v3, 20, v3
                                        ; implicit-def: $vgpr4
	s_andn2_saveexec_b64 s[26:27], s[26:27]
	s_cbranch_execnz .LBB142_2095
.LBB142_1687:
	s_or_b64 exec, exec, s[26:27]
	v_mov_b32_e32 v5, 0
	s_and_saveexec_b64 s[26:27], s[24:25]
.LBB142_1688:
	v_mov_b32_e32 v5, v3
.LBB142_1689:
	s_or_b64 exec, exec, s[26:27]
.LBB142_1690:
	s_or_b64 exec, exec, s[10:11]
	global_store_byte v[0:1], v5, off
.LBB142_1691:
	s_mov_b64 s[10:11], -1
.LBB142_1692:
	s_mov_b64 s[24:25], 0
.LBB142_1693:
	s_and_b64 vcc, exec, s[24:25]
	s_cbranch_vccz .LBB142_1733
; %bb.1694:
	s_cmp_gt_i32 s13, 22
	s_mov_b64 s[2:3], -1
	s_cbranch_scc0 .LBB142_1726
; %bb.1695:
	s_cmp_lt_i32 s13, 24
	s_cbranch_scc1 .LBB142_1715
; %bb.1696:
	s_cmp_gt_i32 s13, 24
	s_cbranch_scc0 .LBB142_1704
; %bb.1697:
	v_cndmask_b32_e64 v4, 0, 1.0, s[4:5]
	s_mov_b32 s2, 0x47800000
	v_cmp_gt_u32_e32 vcc, s2, v4
	v_mov_b32_e32 v5, 0x80
	s_and_saveexec_b64 s[2:3], vcc
	s_cbranch_execz .LBB142_1703
; %bb.1698:
	s_mov_b32 s10, 0x37ffffff
	v_cmp_lt_u32_e32 vcc, s10, v4
	s_mov_b64 s[10:11], 0
                                        ; implicit-def: $vgpr3
	s_and_saveexec_b64 s[24:25], vcc
	s_xor_b64 s[24:25], exec, s[24:25]
	s_cbranch_execz .LBB142_2097
; %bb.1699:
	v_bfe_u32 v3, v4, 21, 1
	s_mov_b32 s26, 0x88fffff
	v_add3_u32 v3, v4, v3, s26
	s_mov_b64 s[10:11], exec
	v_lshrrev_b32_e32 v3, 21, v3
                                        ; implicit-def: $vgpr4
	s_andn2_saveexec_b64 s[24:25], s[24:25]
	s_cbranch_execnz .LBB142_2098
.LBB142_1700:
	s_or_b64 exec, exec, s[24:25]
	v_mov_b32_e32 v5, 0
	s_and_saveexec_b64 s[24:25], s[10:11]
.LBB142_1701:
	v_mov_b32_e32 v5, v3
.LBB142_1702:
	s_or_b64 exec, exec, s[24:25]
.LBB142_1703:
	s_or_b64 exec, exec, s[2:3]
	s_mov_b64 s[2:3], 0
	global_store_byte v[0:1], v5, off
.LBB142_1704:
	s_and_b64 vcc, exec, s[2:3]
	s_cbranch_vccz .LBB142_1714
; %bb.1705:
	v_cndmask_b32_e64 v3, 0, 1.0, s[4:5]
	s_mov_b32 s2, 0x43f00000
	v_cmp_gt_u32_e32 vcc, s2, v3
                                        ; implicit-def: $vgpr4
	s_and_saveexec_b64 s[2:3], vcc
	s_xor_b64 s[2:3], exec, s[2:3]
	s_cbranch_execz .LBB142_1711
; %bb.1706:
	s_mov_b32 s10, 0x3c7fffff
	v_cmp_lt_u32_e32 vcc, s10, v3
                                        ; implicit-def: $vgpr4
	s_and_saveexec_b64 s[10:11], vcc
	s_xor_b64 s[10:11], exec, s[10:11]
; %bb.1707:
	v_bfe_u32 v4, v3, 20, 1
	s_mov_b32 s24, 0x407ffff
	v_add3_u32 v3, v3, v4, s24
	v_lshrrev_b32_e32 v4, 20, v3
	v_and_b32_e32 v3, 0xff00000, v3
	s_mov_b32 s24, 0x7f00000
	v_mov_b32_e32 v5, 0x7e
	v_cmp_ne_u32_e32 vcc, s24, v3
	v_cndmask_b32_e32 v4, v5, v4, vcc
                                        ; implicit-def: $vgpr3
; %bb.1708:
	s_andn2_saveexec_b64 s[10:11], s[10:11]
; %bb.1709:
	v_add_f32_e32 v4, 0x46800000, v3
; %bb.1710:
	s_or_b64 exec, exec, s[10:11]
                                        ; implicit-def: $vgpr3
.LBB142_1711:
	s_andn2_saveexec_b64 s[2:3], s[2:3]
; %bb.1712:
	s_mov_b32 s10, 0x7f800000
	v_mov_b32_e32 v4, 0x7e
	v_mov_b32_e32 v5, 0x7f
	v_cmp_lt_u32_e32 vcc, s10, v3
	v_cndmask_b32_e32 v4, v4, v5, vcc
; %bb.1713:
	s_or_b64 exec, exec, s[2:3]
	global_store_byte v[0:1], v4, off
.LBB142_1714:
	s_mov_b64 s[2:3], 0
.LBB142_1715:
	s_andn2_b64 vcc, exec, s[2:3]
	s_cbranch_vccnz .LBB142_1725
; %bb.1716:
	v_cndmask_b32_e64 v3, 0, 1.0, s[4:5]
	s_mov_b32 s2, 0x47800000
	v_cmp_gt_u32_e32 vcc, s2, v3
                                        ; implicit-def: $vgpr4
	s_and_saveexec_b64 s[2:3], vcc
	s_xor_b64 s[2:3], exec, s[2:3]
	s_cbranch_execz .LBB142_1722
; %bb.1717:
	s_mov_b32 s10, 0x387fffff
	v_cmp_lt_u32_e32 vcc, s10, v3
                                        ; implicit-def: $vgpr4
	s_and_saveexec_b64 s[10:11], vcc
	s_xor_b64 s[10:11], exec, s[10:11]
; %bb.1718:
	v_bfe_u32 v4, v3, 21, 1
	s_mov_b32 s24, 0x80fffff
	v_add3_u32 v3, v3, v4, s24
	v_lshrrev_b32_e32 v4, 21, v3
                                        ; implicit-def: $vgpr3
; %bb.1719:
	s_andn2_saveexec_b64 s[10:11], s[10:11]
; %bb.1720:
	v_add_f32_e32 v4, 0x43000000, v3
; %bb.1721:
	s_or_b64 exec, exec, s[10:11]
                                        ; implicit-def: $vgpr3
.LBB142_1722:
	s_andn2_saveexec_b64 s[2:3], s[2:3]
; %bb.1723:
	s_mov_b32 s10, 0x7f800000
	v_mov_b32_e32 v4, 0x7c
	v_mov_b32_e32 v5, 0x7f
	v_cmp_lt_u32_e32 vcc, s10, v3
	v_cndmask_b32_e32 v4, v4, v5, vcc
; %bb.1724:
	s_or_b64 exec, exec, s[2:3]
	global_store_byte v[0:1], v4, off
.LBB142_1725:
	s_mov_b64 s[2:3], 0
	s_mov_b64 s[10:11], -1
.LBB142_1726:
	s_andn2_b64 vcc, exec, s[2:3]
	s_mov_b64 s[2:3], 0
	s_cbranch_vccnz .LBB142_1733
; %bb.1727:
	s_cmp_gt_i32 s13, 14
	s_mov_b64 s[24:25], -1
	s_cbranch_scc0 .LBB142_1731
; %bb.1728:
	s_cmp_eq_u32 s13, 15
	s_mov_b64 s[0:1], -1
	s_cbranch_scc0 .LBB142_1730
; %bb.1729:
	v_cndmask_b32_e64 v3, 0, 1.0, s[4:5]
	v_bfe_u32 v4, v3, 16, 1
	s_movk_i32 s0, 0x7fff
	v_add3_u32 v3, v3, v4, s0
	global_store_short_d16_hi v[0:1], v3, off
	s_mov_b64 s[0:1], 0
	s_mov_b64 s[10:11], -1
.LBB142_1730:
	s_mov_b64 s[24:25], 0
.LBB142_1731:
	s_and_b64 vcc, exec, s[24:25]
	s_cbranch_vccz .LBB142_1733
; %bb.1732:
	s_cmp_lg_u32 s13, 11
	s_mov_b64 s[2:3], -1
	s_cselect_b64 s[0:1], -1, 0
.LBB142_1733:
	s_and_b64 vcc, exec, s[0:1]
	s_cbranch_vccnz .LBB142_2096
; %bb.1734:
	s_andn2_b64 vcc, exec, s[2:3]
	s_cbranch_vccnz .LBB142_1736
.LBB142_1735:
	v_cndmask_b32_e64 v3, 0, 1, s[4:5]
	s_mov_b64 s[10:11], -1
	global_store_byte v[0:1], v3, off
.LBB142_1736:
	s_mov_b64 s[0:1], 0
	s_branch .LBB142_1738
.LBB142_1737:
	s_mov_b64 s[0:1], -1
	s_mov_b64 s[10:11], 0
.LBB142_1738:
	s_and_b64 vcc, exec, s[0:1]
	s_cbranch_vccz .LBB142_1777
; %bb.1739:
	s_and_b32 s2, 0xffff, s28
	s_cmp_lt_i32 s2, 5
	s_mov_b64 s[0:1], -1
	s_cbranch_scc1 .LBB142_1760
; %bb.1740:
	s_cmp_lt_i32 s2, 8
	s_cbranch_scc1 .LBB142_1750
; %bb.1741:
	s_cmp_lt_i32 s2, 9
	s_cbranch_scc1 .LBB142_1747
; %bb.1742:
	s_cmp_gt_i32 s2, 9
	s_cbranch_scc0 .LBB142_1744
; %bb.1743:
	v_cndmask_b32_e64 v3, 0, 1, s[4:5]
	v_cvt_f64_u32_e32 v[3:4], v3
	v_mov_b32_e32 v5, 0
	v_mov_b32_e32 v6, v5
	s_mov_b64 s[0:1], 0
	global_store_dwordx4 v[0:1], v[3:6], off
.LBB142_1744:
	s_andn2_b64 vcc, exec, s[0:1]
	s_cbranch_vccnz .LBB142_1746
; %bb.1745:
	v_cndmask_b32_e64 v3, 0, 1.0, s[4:5]
	v_mov_b32_e32 v4, 0
	global_store_dwordx2 v[0:1], v[3:4], off
.LBB142_1746:
	s_mov_b64 s[0:1], 0
.LBB142_1747:
	s_andn2_b64 vcc, exec, s[0:1]
	s_cbranch_vccnz .LBB142_1749
; %bb.1748:
	v_cndmask_b32_e64 v3, 0, 1.0, s[4:5]
	v_cvt_f16_f32_e32 v3, v3
	global_store_dword v[0:1], v3, off
.LBB142_1749:
	s_mov_b64 s[0:1], 0
.LBB142_1750:
	s_andn2_b64 vcc, exec, s[0:1]
	s_cbranch_vccnz .LBB142_1759
; %bb.1751:
	s_cmp_lt_i32 s2, 6
	s_mov_b64 s[0:1], -1
	s_cbranch_scc1 .LBB142_1757
; %bb.1752:
	s_cmp_gt_i32 s2, 6
	s_cbranch_scc0 .LBB142_1754
; %bb.1753:
	v_cndmask_b32_e64 v3, 0, 1, s[4:5]
	v_cvt_f64_u32_e32 v[3:4], v3
	s_mov_b64 s[0:1], 0
	global_store_dwordx2 v[0:1], v[3:4], off
.LBB142_1754:
	s_andn2_b64 vcc, exec, s[0:1]
	s_cbranch_vccnz .LBB142_1756
; %bb.1755:
	v_cndmask_b32_e64 v3, 0, 1.0, s[4:5]
	global_store_dword v[0:1], v3, off
.LBB142_1756:
	s_mov_b64 s[0:1], 0
.LBB142_1757:
	s_andn2_b64 vcc, exec, s[0:1]
	s_cbranch_vccnz .LBB142_1759
; %bb.1758:
	v_cndmask_b32_e64 v3, 0, 1.0, s[4:5]
	v_cvt_f16_f32_e32 v3, v3
	global_store_short v[0:1], v3, off
.LBB142_1759:
	s_mov_b64 s[0:1], 0
.LBB142_1760:
	s_andn2_b64 vcc, exec, s[0:1]
	s_cbranch_vccnz .LBB142_1776
; %bb.1761:
	s_cmp_lt_i32 s2, 2
	s_mov_b64 s[0:1], -1
	s_cbranch_scc1 .LBB142_1771
; %bb.1762:
	s_cmp_lt_i32 s2, 3
	s_cbranch_scc1 .LBB142_1768
; %bb.1763:
	s_cmp_gt_i32 s2, 3
	s_cbranch_scc0 .LBB142_1765
; %bb.1764:
	s_mov_b32 s0, 0
	v_cndmask_b32_e64 v3, 0, 1, s[4:5]
	v_mov_b32_e32 v4, s0
	global_store_dwordx2 v[0:1], v[3:4], off
	s_mov_b64 s[0:1], 0
.LBB142_1765:
	s_andn2_b64 vcc, exec, s[0:1]
	s_cbranch_vccnz .LBB142_1767
; %bb.1766:
	v_cndmask_b32_e64 v3, 0, 1, s[4:5]
	global_store_dword v[0:1], v3, off
.LBB142_1767:
	s_mov_b64 s[0:1], 0
.LBB142_1768:
	s_andn2_b64 vcc, exec, s[0:1]
	s_cbranch_vccnz .LBB142_1770
; %bb.1769:
	v_cndmask_b32_e64 v3, 0, 1, s[4:5]
	global_store_short v[0:1], v3, off
.LBB142_1770:
	s_mov_b64 s[0:1], 0
.LBB142_1771:
	s_andn2_b64 vcc, exec, s[0:1]
	s_cbranch_vccnz .LBB142_1776
; %bb.1772:
	s_mov_b64 s[0:1], -1
	s_cmp_gt_i32 s2, 0
	v_cndmask_b32_e64 v3, 0, 1, s[4:5]
	s_cbranch_scc0 .LBB142_1774
; %bb.1773:
	global_store_byte v[0:1], v3, off
	s_mov_b64 s[0:1], 0
.LBB142_1774:
	s_andn2_b64 vcc, exec, s[0:1]
	s_cbranch_vccnz .LBB142_1776
; %bb.1775:
	global_store_byte v[0:1], v3, off
.LBB142_1776:
	s_mov_b64 s[10:11], -1
.LBB142_1777:
	s_andn2_b64 vcc, exec, s[10:11]
	s_cbranch_vccnz .LBB142_2092
; %bb.1778:
	s_lshl_b32 s24, s12, 7
	v_add_u32_e32 v2, s24, v2
	v_ashrrev_i32_e32 v1, 31, v2
	v_mov_b32_e32 v3, s9
	v_add_co_u32_e32 v0, vcc, s8, v2
	s_cmp_lt_i32 s28, 11
	v_addc_co_u32_e32 v1, vcc, v3, v1, vcc
	s_cbranch_scc1 .LBB142_1856
; %bb.1779:
	s_and_b32 s25, 0xffff, s28
	s_mov_b64 s[10:11], -1
	s_mov_b64 s[2:3], 0
	s_cmp_gt_i32 s25, 25
	s_mov_b64 s[4:5], 0
	s_mov_b64 s[0:1], 0
	s_cbranch_scc0 .LBB142_1812
; %bb.1780:
	s_cmp_gt_i32 s25, 28
	s_cbranch_scc0 .LBB142_1795
; %bb.1781:
	s_cmp_gt_i32 s25, 43
	;; [unrolled: 3-line block ×3, first 2 shown]
	s_cbranch_scc0 .LBB142_1785
; %bb.1783:
	s_mov_b64 s[0:1], -1
	s_mov_b64 s[10:11], 0
	s_cmp_eq_u32 s25, 46
	s_cbranch_scc0 .LBB142_1785
; %bb.1784:
	v_cndmask_b32_e64 v3, 0, 1.0, s[14:15]
	v_bfe_u32 v4, v3, 16, 1
	s_movk_i32 s0, 0x7fff
	v_add3_u32 v3, v3, v4, s0
	v_lshrrev_b32_e32 v3, 16, v3
	global_store_dword v[0:1], v3, off
	s_mov_b64 s[0:1], 0
	s_mov_b64 s[4:5], -1
.LBB142_1785:
	s_and_b64 vcc, exec, s[10:11]
	s_cbranch_vccz .LBB142_1790
; %bb.1786:
	s_cmp_eq_u32 s25, 44
	s_mov_b64 s[0:1], -1
	s_cbranch_scc0 .LBB142_1790
; %bb.1787:
	v_cndmask_b32_e64 v4, 0, 1.0, s[14:15]
	v_lshrrev_b32_e32 v3, 23, v4
	s_movk_i32 s0, 0xff
	v_cmp_ne_u32_e32 vcc, s0, v3
	v_mov_b32_e32 v5, 0xff
	s_and_saveexec_b64 s[4:5], vcc
; %bb.1788:
	s_mov_b32 s0, 0x3fffff
	v_and_b32_e32 v5, 0x400000, v4
	v_and_or_b32 v4, v4, s0, v3
	v_cmp_ne_u32_e32 vcc, 0, v5
	v_cmp_ne_u32_e64 s[0:1], 0, v4
	s_and_b64 s[0:1], vcc, s[0:1]
	v_cndmask_b32_e64 v4, 0, 1, s[0:1]
	v_add_u32_e32 v5, v3, v4
; %bb.1789:
	s_or_b64 exec, exec, s[4:5]
	s_mov_b64 s[0:1], 0
	s_mov_b64 s[4:5], -1
	global_store_byte v[0:1], v5, off
.LBB142_1790:
	s_mov_b64 s[10:11], 0
.LBB142_1791:
	s_and_b64 vcc, exec, s[10:11]
	s_cbranch_vccz .LBB142_1794
; %bb.1792:
	s_cmp_eq_u32 s25, 29
	s_mov_b64 s[0:1], -1
	s_cbranch_scc0 .LBB142_1794
; %bb.1793:
	s_mov_b32 s0, 0
	v_cndmask_b32_e64 v3, 0, 1, s[14:15]
	v_mov_b32_e32 v4, s0
	global_store_dwordx2 v[0:1], v[3:4], off
	s_mov_b64 s[0:1], 0
	s_mov_b64 s[4:5], -1
.LBB142_1794:
	s_mov_b64 s[10:11], 0
.LBB142_1795:
	s_and_b64 vcc, exec, s[10:11]
	s_cbranch_vccz .LBB142_1811
; %bb.1796:
	s_cmp_lt_i32 s25, 27
	s_mov_b64 s[4:5], -1
	s_cbranch_scc1 .LBB142_1802
; %bb.1797:
	s_cmp_gt_i32 s25, 27
	s_cbranch_scc0 .LBB142_1799
; %bb.1798:
	v_cndmask_b32_e64 v3, 0, 1, s[14:15]
	s_mov_b64 s[4:5], 0
	global_store_dword v[0:1], v3, off
.LBB142_1799:
	s_andn2_b64 vcc, exec, s[4:5]
	s_cbranch_vccnz .LBB142_1801
; %bb.1800:
	v_cndmask_b32_e64 v3, 0, 1, s[14:15]
	global_store_short v[0:1], v3, off
.LBB142_1801:
	s_mov_b64 s[4:5], 0
.LBB142_1802:
	s_andn2_b64 vcc, exec, s[4:5]
	s_cbranch_vccnz .LBB142_1810
; %bb.1803:
	v_cndmask_b32_e64 v4, 0, 1.0, s[14:15]
	s_mov_b32 s4, 0x43800000
	v_cmp_gt_u32_e32 vcc, s4, v4
	v_mov_b32_e32 v5, 0x80
	s_and_saveexec_b64 s[4:5], vcc
	s_cbranch_execz .LBB142_1809
; %bb.1804:
	s_mov_b32 s10, 0x3bffffff
	v_cmp_lt_u32_e32 vcc, s10, v4
	s_mov_b64 s[10:11], 0
                                        ; implicit-def: $vgpr3
	s_and_saveexec_b64 s[12:13], vcc
	s_xor_b64 s[12:13], exec, s[12:13]
	s_cbranch_execz .LBB142_2099
; %bb.1805:
	v_bfe_u32 v3, v4, 20, 1
	s_mov_b32 s26, 0x487ffff
	v_add3_u32 v3, v4, v3, s26
	s_mov_b64 s[10:11], exec
	v_lshrrev_b32_e32 v3, 20, v3
                                        ; implicit-def: $vgpr4
	s_andn2_saveexec_b64 s[12:13], s[12:13]
	s_cbranch_execnz .LBB142_2100
.LBB142_1806:
	s_or_b64 exec, exec, s[12:13]
	v_mov_b32_e32 v5, 0
	s_and_saveexec_b64 s[12:13], s[10:11]
.LBB142_1807:
	v_mov_b32_e32 v5, v3
.LBB142_1808:
	s_or_b64 exec, exec, s[12:13]
.LBB142_1809:
	s_or_b64 exec, exec, s[4:5]
	global_store_byte v[0:1], v5, off
.LBB142_1810:
	s_mov_b64 s[4:5], -1
.LBB142_1811:
	s_mov_b64 s[10:11], 0
.LBB142_1812:
	s_and_b64 vcc, exec, s[10:11]
	s_cbranch_vccz .LBB142_1852
; %bb.1813:
	s_cmp_gt_i32 s25, 22
	s_mov_b64 s[2:3], -1
	s_cbranch_scc0 .LBB142_1845
; %bb.1814:
	s_cmp_lt_i32 s25, 24
	s_cbranch_scc1 .LBB142_1834
; %bb.1815:
	s_cmp_gt_i32 s25, 24
	s_cbranch_scc0 .LBB142_1823
; %bb.1816:
	v_cndmask_b32_e64 v4, 0, 1.0, s[14:15]
	s_mov_b32 s2, 0x47800000
	v_cmp_gt_u32_e32 vcc, s2, v4
	v_mov_b32_e32 v5, 0x80
	s_and_saveexec_b64 s[2:3], vcc
	s_cbranch_execz .LBB142_1822
; %bb.1817:
	s_mov_b32 s4, 0x37ffffff
	v_cmp_lt_u32_e32 vcc, s4, v4
	s_mov_b64 s[4:5], 0
                                        ; implicit-def: $vgpr3
	s_and_saveexec_b64 s[10:11], vcc
	s_xor_b64 s[10:11], exec, s[10:11]
	s_cbranch_execz .LBB142_2102
; %bb.1818:
	v_bfe_u32 v3, v4, 21, 1
	s_mov_b32 s12, 0x88fffff
	v_add3_u32 v3, v4, v3, s12
	s_mov_b64 s[4:5], exec
	v_lshrrev_b32_e32 v3, 21, v3
                                        ; implicit-def: $vgpr4
	s_andn2_saveexec_b64 s[10:11], s[10:11]
	s_cbranch_execnz .LBB142_2103
.LBB142_1819:
	s_or_b64 exec, exec, s[10:11]
	v_mov_b32_e32 v5, 0
	s_and_saveexec_b64 s[10:11], s[4:5]
.LBB142_1820:
	v_mov_b32_e32 v5, v3
.LBB142_1821:
	s_or_b64 exec, exec, s[10:11]
.LBB142_1822:
	s_or_b64 exec, exec, s[2:3]
	s_mov_b64 s[2:3], 0
	global_store_byte v[0:1], v5, off
.LBB142_1823:
	s_and_b64 vcc, exec, s[2:3]
	s_cbranch_vccz .LBB142_1833
; %bb.1824:
	v_cndmask_b32_e64 v3, 0, 1.0, s[14:15]
	s_mov_b32 s2, 0x43f00000
	v_cmp_gt_u32_e32 vcc, s2, v3
                                        ; implicit-def: $vgpr4
	s_and_saveexec_b64 s[2:3], vcc
	s_xor_b64 s[2:3], exec, s[2:3]
	s_cbranch_execz .LBB142_1830
; %bb.1825:
	s_mov_b32 s4, 0x3c7fffff
	v_cmp_lt_u32_e32 vcc, s4, v3
                                        ; implicit-def: $vgpr4
	s_and_saveexec_b64 s[4:5], vcc
	s_xor_b64 s[4:5], exec, s[4:5]
; %bb.1826:
	v_bfe_u32 v4, v3, 20, 1
	s_mov_b32 s10, 0x407ffff
	v_add3_u32 v3, v3, v4, s10
	v_lshrrev_b32_e32 v4, 20, v3
	v_and_b32_e32 v3, 0xff00000, v3
	s_mov_b32 s10, 0x7f00000
	v_mov_b32_e32 v5, 0x7e
	v_cmp_ne_u32_e32 vcc, s10, v3
	v_cndmask_b32_e32 v4, v5, v4, vcc
                                        ; implicit-def: $vgpr3
; %bb.1827:
	s_andn2_saveexec_b64 s[4:5], s[4:5]
; %bb.1828:
	v_add_f32_e32 v4, 0x46800000, v3
; %bb.1829:
	s_or_b64 exec, exec, s[4:5]
                                        ; implicit-def: $vgpr3
.LBB142_1830:
	s_andn2_saveexec_b64 s[2:3], s[2:3]
; %bb.1831:
	s_mov_b32 s4, 0x7f800000
	v_mov_b32_e32 v4, 0x7e
	v_mov_b32_e32 v5, 0x7f
	v_cmp_lt_u32_e32 vcc, s4, v3
	v_cndmask_b32_e32 v4, v4, v5, vcc
; %bb.1832:
	s_or_b64 exec, exec, s[2:3]
	global_store_byte v[0:1], v4, off
.LBB142_1833:
	s_mov_b64 s[2:3], 0
.LBB142_1834:
	s_andn2_b64 vcc, exec, s[2:3]
	s_cbranch_vccnz .LBB142_1844
; %bb.1835:
	v_cndmask_b32_e64 v3, 0, 1.0, s[14:15]
	s_mov_b32 s2, 0x47800000
	v_cmp_gt_u32_e32 vcc, s2, v3
                                        ; implicit-def: $vgpr4
	s_and_saveexec_b64 s[2:3], vcc
	s_xor_b64 s[2:3], exec, s[2:3]
	s_cbranch_execz .LBB142_1841
; %bb.1836:
	s_mov_b32 s4, 0x387fffff
	v_cmp_lt_u32_e32 vcc, s4, v3
                                        ; implicit-def: $vgpr4
	s_and_saveexec_b64 s[4:5], vcc
	s_xor_b64 s[4:5], exec, s[4:5]
; %bb.1837:
	v_bfe_u32 v4, v3, 21, 1
	s_mov_b32 s10, 0x80fffff
	v_add3_u32 v3, v3, v4, s10
	v_lshrrev_b32_e32 v4, 21, v3
                                        ; implicit-def: $vgpr3
; %bb.1838:
	s_andn2_saveexec_b64 s[4:5], s[4:5]
; %bb.1839:
	v_add_f32_e32 v4, 0x43000000, v3
; %bb.1840:
	s_or_b64 exec, exec, s[4:5]
                                        ; implicit-def: $vgpr3
.LBB142_1841:
	s_andn2_saveexec_b64 s[2:3], s[2:3]
; %bb.1842:
	s_mov_b32 s4, 0x7f800000
	v_mov_b32_e32 v4, 0x7c
	v_mov_b32_e32 v5, 0x7f
	v_cmp_lt_u32_e32 vcc, s4, v3
	v_cndmask_b32_e32 v4, v4, v5, vcc
; %bb.1843:
	s_or_b64 exec, exec, s[2:3]
	global_store_byte v[0:1], v4, off
.LBB142_1844:
	s_mov_b64 s[2:3], 0
	s_mov_b64 s[4:5], -1
.LBB142_1845:
	s_andn2_b64 vcc, exec, s[2:3]
	s_mov_b64 s[2:3], 0
	s_cbranch_vccnz .LBB142_1852
; %bb.1846:
	s_cmp_gt_i32 s25, 14
	s_mov_b64 s[10:11], -1
	s_cbranch_scc0 .LBB142_1850
; %bb.1847:
	s_cmp_eq_u32 s25, 15
	s_mov_b64 s[0:1], -1
	s_cbranch_scc0 .LBB142_1849
; %bb.1848:
	v_cndmask_b32_e64 v3, 0, 1.0, s[14:15]
	v_bfe_u32 v4, v3, 16, 1
	s_movk_i32 s0, 0x7fff
	v_add3_u32 v3, v3, v4, s0
	global_store_short_d16_hi v[0:1], v3, off
	s_mov_b64 s[0:1], 0
	s_mov_b64 s[4:5], -1
.LBB142_1849:
	s_mov_b64 s[10:11], 0
.LBB142_1850:
	s_and_b64 vcc, exec, s[10:11]
	s_cbranch_vccz .LBB142_1852
; %bb.1851:
	s_cmp_lg_u32 s25, 11
	s_mov_b64 s[2:3], -1
	s_cselect_b64 s[0:1], -1, 0
.LBB142_1852:
	s_and_b64 vcc, exec, s[0:1]
	s_cbranch_vccnz .LBB142_2101
; %bb.1853:
	s_andn2_b64 vcc, exec, s[2:3]
	s_cbranch_vccnz .LBB142_1855
.LBB142_1854:
	v_cndmask_b32_e64 v3, 0, 1, s[14:15]
	s_mov_b64 s[4:5], -1
	global_store_byte v[0:1], v3, off
.LBB142_1855:
	s_mov_b64 s[0:1], 0
	s_branch .LBB142_1857
.LBB142_1856:
	s_mov_b64 s[0:1], -1
	s_mov_b64 s[4:5], 0
.LBB142_1857:
	s_and_b64 vcc, exec, s[0:1]
	s_cbranch_vccz .LBB142_1896
; %bb.1858:
	s_and_b32 s2, 0xffff, s28
	s_cmp_lt_i32 s2, 5
	s_mov_b64 s[0:1], -1
	s_cbranch_scc1 .LBB142_1879
; %bb.1859:
	s_cmp_lt_i32 s2, 8
	s_cbranch_scc1 .LBB142_1869
; %bb.1860:
	s_cmp_lt_i32 s2, 9
	s_cbranch_scc1 .LBB142_1866
; %bb.1861:
	s_cmp_gt_i32 s2, 9
	s_cbranch_scc0 .LBB142_1863
; %bb.1862:
	v_cndmask_b32_e64 v3, 0, 1, s[14:15]
	v_cvt_f64_u32_e32 v[3:4], v3
	v_mov_b32_e32 v5, 0
	v_mov_b32_e32 v6, v5
	s_mov_b64 s[0:1], 0
	global_store_dwordx4 v[0:1], v[3:6], off
.LBB142_1863:
	s_andn2_b64 vcc, exec, s[0:1]
	s_cbranch_vccnz .LBB142_1865
; %bb.1864:
	v_cndmask_b32_e64 v3, 0, 1.0, s[14:15]
	v_mov_b32_e32 v4, 0
	global_store_dwordx2 v[0:1], v[3:4], off
.LBB142_1865:
	s_mov_b64 s[0:1], 0
.LBB142_1866:
	s_andn2_b64 vcc, exec, s[0:1]
	s_cbranch_vccnz .LBB142_1868
; %bb.1867:
	v_cndmask_b32_e64 v3, 0, 1.0, s[14:15]
	v_cvt_f16_f32_e32 v3, v3
	global_store_dword v[0:1], v3, off
.LBB142_1868:
	s_mov_b64 s[0:1], 0
.LBB142_1869:
	s_andn2_b64 vcc, exec, s[0:1]
	s_cbranch_vccnz .LBB142_1878
; %bb.1870:
	s_cmp_lt_i32 s2, 6
	s_mov_b64 s[0:1], -1
	s_cbranch_scc1 .LBB142_1876
; %bb.1871:
	s_cmp_gt_i32 s2, 6
	s_cbranch_scc0 .LBB142_1873
; %bb.1872:
	v_cndmask_b32_e64 v3, 0, 1, s[14:15]
	v_cvt_f64_u32_e32 v[3:4], v3
	s_mov_b64 s[0:1], 0
	global_store_dwordx2 v[0:1], v[3:4], off
.LBB142_1873:
	s_andn2_b64 vcc, exec, s[0:1]
	s_cbranch_vccnz .LBB142_1875
; %bb.1874:
	v_cndmask_b32_e64 v3, 0, 1.0, s[14:15]
	global_store_dword v[0:1], v3, off
.LBB142_1875:
	s_mov_b64 s[0:1], 0
.LBB142_1876:
	s_andn2_b64 vcc, exec, s[0:1]
	s_cbranch_vccnz .LBB142_1878
; %bb.1877:
	v_cndmask_b32_e64 v3, 0, 1.0, s[14:15]
	v_cvt_f16_f32_e32 v3, v3
	global_store_short v[0:1], v3, off
.LBB142_1878:
	s_mov_b64 s[0:1], 0
.LBB142_1879:
	s_andn2_b64 vcc, exec, s[0:1]
	s_cbranch_vccnz .LBB142_1895
; %bb.1880:
	s_cmp_lt_i32 s2, 2
	s_mov_b64 s[0:1], -1
	s_cbranch_scc1 .LBB142_1890
; %bb.1881:
	s_cmp_lt_i32 s2, 3
	s_cbranch_scc1 .LBB142_1887
; %bb.1882:
	s_cmp_gt_i32 s2, 3
	s_cbranch_scc0 .LBB142_1884
; %bb.1883:
	s_mov_b32 s0, 0
	v_cndmask_b32_e64 v3, 0, 1, s[14:15]
	v_mov_b32_e32 v4, s0
	global_store_dwordx2 v[0:1], v[3:4], off
	s_mov_b64 s[0:1], 0
.LBB142_1884:
	s_andn2_b64 vcc, exec, s[0:1]
	s_cbranch_vccnz .LBB142_1886
; %bb.1885:
	v_cndmask_b32_e64 v3, 0, 1, s[14:15]
	global_store_dword v[0:1], v3, off
.LBB142_1886:
	s_mov_b64 s[0:1], 0
.LBB142_1887:
	s_andn2_b64 vcc, exec, s[0:1]
	s_cbranch_vccnz .LBB142_1889
; %bb.1888:
	v_cndmask_b32_e64 v3, 0, 1, s[14:15]
	global_store_short v[0:1], v3, off
.LBB142_1889:
	s_mov_b64 s[0:1], 0
.LBB142_1890:
	s_andn2_b64 vcc, exec, s[0:1]
	s_cbranch_vccnz .LBB142_1895
; %bb.1891:
	s_mov_b64 s[0:1], -1
	s_cmp_gt_i32 s2, 0
	v_cndmask_b32_e64 v3, 0, 1, s[14:15]
	s_cbranch_scc0 .LBB142_1893
; %bb.1892:
	global_store_byte v[0:1], v3, off
	s_mov_b64 s[0:1], 0
.LBB142_1893:
	s_andn2_b64 vcc, exec, s[0:1]
	s_cbranch_vccnz .LBB142_1895
; %bb.1894:
	global_store_byte v[0:1], v3, off
.LBB142_1895:
	s_mov_b64 s[4:5], -1
.LBB142_1896:
	s_andn2_b64 vcc, exec, s[4:5]
	s_cbranch_vccnz .LBB142_2092
; %bb.1897:
	v_add_u32_e32 v2, s24, v2
	v_ashrrev_i32_e32 v1, 31, v2
	v_mov_b32_e32 v3, s9
	v_add_co_u32_e32 v0, vcc, s8, v2
	s_cmp_lt_i32 s28, 11
	v_addc_co_u32_e32 v1, vcc, v3, v1, vcc
	s_cbranch_scc1 .LBB142_1975
; %bb.1898:
	s_and_b32 s14, 0xffff, s28
	s_mov_b64 s[10:11], -1
	s_mov_b64 s[2:3], 0
	s_cmp_gt_i32 s14, 25
	s_mov_b64 s[4:5], 0
	s_mov_b64 s[0:1], 0
	s_cbranch_scc0 .LBB142_1931
; %bb.1899:
	s_cmp_gt_i32 s14, 28
	s_cbranch_scc0 .LBB142_1914
; %bb.1900:
	s_cmp_gt_i32 s14, 43
	;; [unrolled: 3-line block ×3, first 2 shown]
	s_cbranch_scc0 .LBB142_1904
; %bb.1902:
	s_mov_b64 s[0:1], -1
	s_mov_b64 s[10:11], 0
	s_cmp_eq_u32 s14, 46
	s_cbranch_scc0 .LBB142_1904
; %bb.1903:
	v_cndmask_b32_e64 v3, 0, 1.0, s[22:23]
	v_bfe_u32 v4, v3, 16, 1
	s_movk_i32 s0, 0x7fff
	v_add3_u32 v3, v3, v4, s0
	v_lshrrev_b32_e32 v3, 16, v3
	global_store_dword v[0:1], v3, off
	s_mov_b64 s[0:1], 0
	s_mov_b64 s[4:5], -1
.LBB142_1904:
	s_and_b64 vcc, exec, s[10:11]
	s_cbranch_vccz .LBB142_1909
; %bb.1905:
	s_cmp_eq_u32 s14, 44
	s_mov_b64 s[0:1], -1
	s_cbranch_scc0 .LBB142_1909
; %bb.1906:
	v_cndmask_b32_e64 v4, 0, 1.0, s[22:23]
	v_lshrrev_b32_e32 v3, 23, v4
	s_movk_i32 s0, 0xff
	v_cmp_ne_u32_e32 vcc, s0, v3
	v_mov_b32_e32 v5, 0xff
	s_and_saveexec_b64 s[4:5], vcc
; %bb.1907:
	s_mov_b32 s0, 0x3fffff
	v_and_b32_e32 v5, 0x400000, v4
	v_and_or_b32 v4, v4, s0, v3
	v_cmp_ne_u32_e32 vcc, 0, v5
	v_cmp_ne_u32_e64 s[0:1], 0, v4
	s_and_b64 s[0:1], vcc, s[0:1]
	v_cndmask_b32_e64 v4, 0, 1, s[0:1]
	v_add_u32_e32 v5, v3, v4
; %bb.1908:
	s_or_b64 exec, exec, s[4:5]
	s_mov_b64 s[0:1], 0
	s_mov_b64 s[4:5], -1
	global_store_byte v[0:1], v5, off
.LBB142_1909:
	s_mov_b64 s[10:11], 0
.LBB142_1910:
	s_and_b64 vcc, exec, s[10:11]
	s_cbranch_vccz .LBB142_1913
; %bb.1911:
	s_cmp_eq_u32 s14, 29
	s_mov_b64 s[0:1], -1
	s_cbranch_scc0 .LBB142_1913
; %bb.1912:
	s_mov_b32 s0, 0
	v_cndmask_b32_e64 v3, 0, 1, s[22:23]
	v_mov_b32_e32 v4, s0
	global_store_dwordx2 v[0:1], v[3:4], off
	s_mov_b64 s[0:1], 0
	s_mov_b64 s[4:5], -1
.LBB142_1913:
	s_mov_b64 s[10:11], 0
.LBB142_1914:
	s_and_b64 vcc, exec, s[10:11]
	s_cbranch_vccz .LBB142_1930
; %bb.1915:
	s_cmp_lt_i32 s14, 27
	s_mov_b64 s[4:5], -1
	s_cbranch_scc1 .LBB142_1921
; %bb.1916:
	s_cmp_gt_i32 s14, 27
	s_cbranch_scc0 .LBB142_1918
; %bb.1917:
	v_cndmask_b32_e64 v3, 0, 1, s[22:23]
	s_mov_b64 s[4:5], 0
	global_store_dword v[0:1], v3, off
.LBB142_1918:
	s_andn2_b64 vcc, exec, s[4:5]
	s_cbranch_vccnz .LBB142_1920
; %bb.1919:
	v_cndmask_b32_e64 v3, 0, 1, s[22:23]
	global_store_short v[0:1], v3, off
.LBB142_1920:
	s_mov_b64 s[4:5], 0
.LBB142_1921:
	s_andn2_b64 vcc, exec, s[4:5]
	s_cbranch_vccnz .LBB142_1929
; %bb.1922:
	v_cndmask_b32_e64 v4, 0, 1.0, s[22:23]
	s_mov_b32 s4, 0x43800000
	v_cmp_gt_u32_e32 vcc, s4, v4
	v_mov_b32_e32 v5, 0x80
	s_and_saveexec_b64 s[4:5], vcc
	s_cbranch_execz .LBB142_1928
; %bb.1923:
	s_mov_b32 s10, 0x3bffffff
	v_cmp_lt_u32_e32 vcc, s10, v4
	s_mov_b64 s[10:11], 0
                                        ; implicit-def: $vgpr3
	s_and_saveexec_b64 s[12:13], vcc
	s_xor_b64 s[12:13], exec, s[12:13]
	s_cbranch_execz .LBB142_2104
; %bb.1924:
	v_bfe_u32 v3, v4, 20, 1
	s_mov_b32 s15, 0x487ffff
	v_add3_u32 v3, v4, v3, s15
	s_mov_b64 s[10:11], exec
	v_lshrrev_b32_e32 v3, 20, v3
                                        ; implicit-def: $vgpr4
	s_andn2_saveexec_b64 s[12:13], s[12:13]
	s_cbranch_execnz .LBB142_2105
.LBB142_1925:
	s_or_b64 exec, exec, s[12:13]
	v_mov_b32_e32 v5, 0
	s_and_saveexec_b64 s[12:13], s[10:11]
.LBB142_1926:
	v_mov_b32_e32 v5, v3
.LBB142_1927:
	s_or_b64 exec, exec, s[12:13]
.LBB142_1928:
	s_or_b64 exec, exec, s[4:5]
	global_store_byte v[0:1], v5, off
.LBB142_1929:
	s_mov_b64 s[4:5], -1
.LBB142_1930:
	s_mov_b64 s[10:11], 0
.LBB142_1931:
	s_and_b64 vcc, exec, s[10:11]
	s_cbranch_vccz .LBB142_1971
; %bb.1932:
	s_cmp_gt_i32 s14, 22
	s_mov_b64 s[2:3], -1
	s_cbranch_scc0 .LBB142_1964
; %bb.1933:
	s_cmp_lt_i32 s14, 24
	s_cbranch_scc1 .LBB142_1953
; %bb.1934:
	s_cmp_gt_i32 s14, 24
	s_cbranch_scc0 .LBB142_1942
; %bb.1935:
	v_cndmask_b32_e64 v4, 0, 1.0, s[22:23]
	s_mov_b32 s2, 0x47800000
	v_cmp_gt_u32_e32 vcc, s2, v4
	v_mov_b32_e32 v5, 0x80
	s_and_saveexec_b64 s[2:3], vcc
	s_cbranch_execz .LBB142_1941
; %bb.1936:
	s_mov_b32 s4, 0x37ffffff
	v_cmp_lt_u32_e32 vcc, s4, v4
	s_mov_b64 s[4:5], 0
                                        ; implicit-def: $vgpr3
	s_and_saveexec_b64 s[10:11], vcc
	s_xor_b64 s[10:11], exec, s[10:11]
	s_cbranch_execz .LBB142_2107
; %bb.1937:
	v_bfe_u32 v3, v4, 21, 1
	s_mov_b32 s12, 0x88fffff
	v_add3_u32 v3, v4, v3, s12
	s_mov_b64 s[4:5], exec
	v_lshrrev_b32_e32 v3, 21, v3
                                        ; implicit-def: $vgpr4
	s_andn2_saveexec_b64 s[10:11], s[10:11]
	s_cbranch_execnz .LBB142_2108
.LBB142_1938:
	s_or_b64 exec, exec, s[10:11]
	v_mov_b32_e32 v5, 0
	s_and_saveexec_b64 s[10:11], s[4:5]
.LBB142_1939:
	v_mov_b32_e32 v5, v3
.LBB142_1940:
	s_or_b64 exec, exec, s[10:11]
.LBB142_1941:
	s_or_b64 exec, exec, s[2:3]
	s_mov_b64 s[2:3], 0
	global_store_byte v[0:1], v5, off
.LBB142_1942:
	s_and_b64 vcc, exec, s[2:3]
	s_cbranch_vccz .LBB142_1952
; %bb.1943:
	v_cndmask_b32_e64 v3, 0, 1.0, s[22:23]
	s_mov_b32 s2, 0x43f00000
	v_cmp_gt_u32_e32 vcc, s2, v3
                                        ; implicit-def: $vgpr4
	s_and_saveexec_b64 s[2:3], vcc
	s_xor_b64 s[2:3], exec, s[2:3]
	s_cbranch_execz .LBB142_1949
; %bb.1944:
	s_mov_b32 s4, 0x3c7fffff
	v_cmp_lt_u32_e32 vcc, s4, v3
                                        ; implicit-def: $vgpr4
	s_and_saveexec_b64 s[4:5], vcc
	s_xor_b64 s[4:5], exec, s[4:5]
; %bb.1945:
	v_bfe_u32 v4, v3, 20, 1
	s_mov_b32 s10, 0x407ffff
	v_add3_u32 v3, v3, v4, s10
	v_lshrrev_b32_e32 v4, 20, v3
	v_and_b32_e32 v3, 0xff00000, v3
	s_mov_b32 s10, 0x7f00000
	v_mov_b32_e32 v5, 0x7e
	v_cmp_ne_u32_e32 vcc, s10, v3
	v_cndmask_b32_e32 v4, v5, v4, vcc
                                        ; implicit-def: $vgpr3
; %bb.1946:
	s_andn2_saveexec_b64 s[4:5], s[4:5]
; %bb.1947:
	v_add_f32_e32 v4, 0x46800000, v3
; %bb.1948:
	s_or_b64 exec, exec, s[4:5]
                                        ; implicit-def: $vgpr3
.LBB142_1949:
	s_andn2_saveexec_b64 s[2:3], s[2:3]
; %bb.1950:
	s_mov_b32 s4, 0x7f800000
	v_mov_b32_e32 v4, 0x7e
	v_mov_b32_e32 v5, 0x7f
	v_cmp_lt_u32_e32 vcc, s4, v3
	v_cndmask_b32_e32 v4, v4, v5, vcc
; %bb.1951:
	s_or_b64 exec, exec, s[2:3]
	global_store_byte v[0:1], v4, off
.LBB142_1952:
	s_mov_b64 s[2:3], 0
.LBB142_1953:
	s_andn2_b64 vcc, exec, s[2:3]
	s_cbranch_vccnz .LBB142_1963
; %bb.1954:
	v_cndmask_b32_e64 v3, 0, 1.0, s[22:23]
	s_mov_b32 s2, 0x47800000
	v_cmp_gt_u32_e32 vcc, s2, v3
                                        ; implicit-def: $vgpr4
	s_and_saveexec_b64 s[2:3], vcc
	s_xor_b64 s[2:3], exec, s[2:3]
	s_cbranch_execz .LBB142_1960
; %bb.1955:
	s_mov_b32 s4, 0x387fffff
	v_cmp_lt_u32_e32 vcc, s4, v3
                                        ; implicit-def: $vgpr4
	s_and_saveexec_b64 s[4:5], vcc
	s_xor_b64 s[4:5], exec, s[4:5]
; %bb.1956:
	v_bfe_u32 v4, v3, 21, 1
	s_mov_b32 s10, 0x80fffff
	v_add3_u32 v3, v3, v4, s10
	v_lshrrev_b32_e32 v4, 21, v3
                                        ; implicit-def: $vgpr3
; %bb.1957:
	s_andn2_saveexec_b64 s[4:5], s[4:5]
; %bb.1958:
	v_add_f32_e32 v4, 0x43000000, v3
; %bb.1959:
	s_or_b64 exec, exec, s[4:5]
                                        ; implicit-def: $vgpr3
.LBB142_1960:
	s_andn2_saveexec_b64 s[2:3], s[2:3]
; %bb.1961:
	s_mov_b32 s4, 0x7f800000
	v_mov_b32_e32 v4, 0x7c
	v_mov_b32_e32 v5, 0x7f
	v_cmp_lt_u32_e32 vcc, s4, v3
	v_cndmask_b32_e32 v4, v4, v5, vcc
; %bb.1962:
	s_or_b64 exec, exec, s[2:3]
	global_store_byte v[0:1], v4, off
.LBB142_1963:
	s_mov_b64 s[2:3], 0
	s_mov_b64 s[4:5], -1
.LBB142_1964:
	s_andn2_b64 vcc, exec, s[2:3]
	s_mov_b64 s[2:3], 0
	s_cbranch_vccnz .LBB142_1971
; %bb.1965:
	s_cmp_gt_i32 s14, 14
	s_mov_b64 s[10:11], -1
	s_cbranch_scc0 .LBB142_1969
; %bb.1966:
	s_cmp_eq_u32 s14, 15
	s_mov_b64 s[0:1], -1
	s_cbranch_scc0 .LBB142_1968
; %bb.1967:
	v_cndmask_b32_e64 v3, 0, 1.0, s[22:23]
	v_bfe_u32 v4, v3, 16, 1
	s_movk_i32 s0, 0x7fff
	v_add3_u32 v3, v3, v4, s0
	global_store_short_d16_hi v[0:1], v3, off
	s_mov_b64 s[0:1], 0
	s_mov_b64 s[4:5], -1
.LBB142_1968:
	s_mov_b64 s[10:11], 0
.LBB142_1969:
	s_and_b64 vcc, exec, s[10:11]
	s_cbranch_vccz .LBB142_1971
; %bb.1970:
	s_cmp_lg_u32 s14, 11
	s_mov_b64 s[2:3], -1
	s_cselect_b64 s[0:1], -1, 0
.LBB142_1971:
	s_and_b64 vcc, exec, s[0:1]
	s_cbranch_vccnz .LBB142_2106
; %bb.1972:
	s_andn2_b64 vcc, exec, s[2:3]
	s_cbranch_vccnz .LBB142_1974
.LBB142_1973:
	v_cndmask_b32_e64 v3, 0, 1, s[22:23]
	s_mov_b64 s[4:5], -1
	global_store_byte v[0:1], v3, off
.LBB142_1974:
	s_mov_b64 s[0:1], 0
	s_branch .LBB142_1976
.LBB142_1975:
	s_mov_b64 s[0:1], -1
	s_mov_b64 s[4:5], 0
.LBB142_1976:
	s_and_b64 vcc, exec, s[0:1]
	s_cbranch_vccz .LBB142_2015
; %bb.1977:
	s_and_b32 s2, 0xffff, s28
	s_cmp_lt_i32 s2, 5
	s_mov_b64 s[0:1], -1
	s_cbranch_scc1 .LBB142_1998
; %bb.1978:
	s_cmp_lt_i32 s2, 8
	s_cbranch_scc1 .LBB142_1988
; %bb.1979:
	s_cmp_lt_i32 s2, 9
	s_cbranch_scc1 .LBB142_1985
; %bb.1980:
	s_cmp_gt_i32 s2, 9
	s_cbranch_scc0 .LBB142_1982
; %bb.1981:
	v_cndmask_b32_e64 v3, 0, 1, s[22:23]
	v_cvt_f64_u32_e32 v[3:4], v3
	v_mov_b32_e32 v5, 0
	v_mov_b32_e32 v6, v5
	s_mov_b64 s[0:1], 0
	global_store_dwordx4 v[0:1], v[3:6], off
.LBB142_1982:
	s_andn2_b64 vcc, exec, s[0:1]
	s_cbranch_vccnz .LBB142_1984
; %bb.1983:
	v_cndmask_b32_e64 v3, 0, 1.0, s[22:23]
	v_mov_b32_e32 v4, 0
	global_store_dwordx2 v[0:1], v[3:4], off
.LBB142_1984:
	s_mov_b64 s[0:1], 0
.LBB142_1985:
	s_andn2_b64 vcc, exec, s[0:1]
	s_cbranch_vccnz .LBB142_1987
; %bb.1986:
	v_cndmask_b32_e64 v3, 0, 1.0, s[22:23]
	v_cvt_f16_f32_e32 v3, v3
	global_store_dword v[0:1], v3, off
.LBB142_1987:
	s_mov_b64 s[0:1], 0
.LBB142_1988:
	s_andn2_b64 vcc, exec, s[0:1]
	s_cbranch_vccnz .LBB142_1997
; %bb.1989:
	s_cmp_lt_i32 s2, 6
	s_mov_b64 s[0:1], -1
	s_cbranch_scc1 .LBB142_1995
; %bb.1990:
	s_cmp_gt_i32 s2, 6
	s_cbranch_scc0 .LBB142_1992
; %bb.1991:
	v_cndmask_b32_e64 v3, 0, 1, s[22:23]
	v_cvt_f64_u32_e32 v[3:4], v3
	s_mov_b64 s[0:1], 0
	global_store_dwordx2 v[0:1], v[3:4], off
.LBB142_1992:
	s_andn2_b64 vcc, exec, s[0:1]
	s_cbranch_vccnz .LBB142_1994
; %bb.1993:
	v_cndmask_b32_e64 v3, 0, 1.0, s[22:23]
	global_store_dword v[0:1], v3, off
.LBB142_1994:
	s_mov_b64 s[0:1], 0
.LBB142_1995:
	s_andn2_b64 vcc, exec, s[0:1]
	s_cbranch_vccnz .LBB142_1997
; %bb.1996:
	v_cndmask_b32_e64 v3, 0, 1.0, s[22:23]
	v_cvt_f16_f32_e32 v3, v3
	global_store_short v[0:1], v3, off
.LBB142_1997:
	s_mov_b64 s[0:1], 0
.LBB142_1998:
	s_andn2_b64 vcc, exec, s[0:1]
	s_cbranch_vccnz .LBB142_2014
; %bb.1999:
	s_cmp_lt_i32 s2, 2
	s_mov_b64 s[0:1], -1
	s_cbranch_scc1 .LBB142_2009
; %bb.2000:
	s_cmp_lt_i32 s2, 3
	s_cbranch_scc1 .LBB142_2006
; %bb.2001:
	s_cmp_gt_i32 s2, 3
	s_cbranch_scc0 .LBB142_2003
; %bb.2002:
	s_mov_b32 s0, 0
	v_cndmask_b32_e64 v3, 0, 1, s[22:23]
	v_mov_b32_e32 v4, s0
	global_store_dwordx2 v[0:1], v[3:4], off
	s_mov_b64 s[0:1], 0
.LBB142_2003:
	s_andn2_b64 vcc, exec, s[0:1]
	s_cbranch_vccnz .LBB142_2005
; %bb.2004:
	v_cndmask_b32_e64 v3, 0, 1, s[22:23]
	global_store_dword v[0:1], v3, off
.LBB142_2005:
	s_mov_b64 s[0:1], 0
.LBB142_2006:
	s_andn2_b64 vcc, exec, s[0:1]
	s_cbranch_vccnz .LBB142_2008
; %bb.2007:
	v_cndmask_b32_e64 v3, 0, 1, s[22:23]
	global_store_short v[0:1], v3, off
.LBB142_2008:
	s_mov_b64 s[0:1], 0
.LBB142_2009:
	s_andn2_b64 vcc, exec, s[0:1]
	s_cbranch_vccnz .LBB142_2014
; %bb.2010:
	s_mov_b64 s[0:1], -1
	s_cmp_gt_i32 s2, 0
	v_cndmask_b32_e64 v3, 0, 1, s[22:23]
	s_cbranch_scc0 .LBB142_2012
; %bb.2011:
	global_store_byte v[0:1], v3, off
	s_mov_b64 s[0:1], 0
.LBB142_2012:
	s_andn2_b64 vcc, exec, s[0:1]
	s_cbranch_vccnz .LBB142_2014
; %bb.2013:
	global_store_byte v[0:1], v3, off
.LBB142_2014:
	s_mov_b64 s[4:5], -1
.LBB142_2015:
	s_andn2_b64 vcc, exec, s[4:5]
	s_cbranch_vccnz .LBB142_2092
; %bb.2016:
	v_add_u32_e32 v0, s24, v2
	v_ashrrev_i32_e32 v1, 31, v0
	v_mov_b32_e32 v2, s9
	v_add_co_u32_e32 v0, vcc, s8, v0
	s_cmp_lt_i32 s28, 11
	v_addc_co_u32_e32 v1, vcc, v2, v1, vcc
	s_cbranch_scc1 .LBB142_2093
; %bb.2017:
	s_and_b32 s12, 0xffff, s28
	s_mov_b64 s[4:5], -1
	s_mov_b64 s[2:3], 0
	s_cmp_gt_i32 s12, 25
	s_mov_b64 s[0:1], 0
	s_cbranch_scc0 .LBB142_2050
; %bb.2018:
	s_cmp_gt_i32 s12, 28
	s_cbranch_scc0 .LBB142_2034
; %bb.2019:
	s_cmp_gt_i32 s12, 43
	;; [unrolled: 3-line block ×3, first 2 shown]
	s_cbranch_scc0 .LBB142_2024
; %bb.2021:
	s_cmp_eq_u32 s12, 46
	s_mov_b64 s[0:1], -1
	s_cbranch_scc0 .LBB142_2023
; %bb.2022:
	v_cndmask_b32_e64 v2, 0, 1.0, s[20:21]
	v_bfe_u32 v3, v2, 16, 1
	s_movk_i32 s0, 0x7fff
	v_add3_u32 v2, v2, v3, s0
	v_lshrrev_b32_e32 v2, 16, v2
	global_store_dword v[0:1], v2, off
	s_mov_b64 s[0:1], 0
.LBB142_2023:
	s_mov_b64 s[4:5], 0
.LBB142_2024:
	s_and_b64 vcc, exec, s[4:5]
	s_cbranch_vccz .LBB142_2029
; %bb.2025:
	s_cmp_eq_u32 s12, 44
	s_mov_b64 s[0:1], -1
	s_cbranch_scc0 .LBB142_2029
; %bb.2026:
	v_cndmask_b32_e64 v3, 0, 1.0, s[20:21]
	v_lshrrev_b32_e32 v2, 23, v3
	s_movk_i32 s0, 0xff
	v_cmp_ne_u32_e32 vcc, s0, v2
	v_mov_b32_e32 v4, 0xff
	s_and_saveexec_b64 s[4:5], vcc
; %bb.2027:
	s_mov_b32 s0, 0x3fffff
	v_and_b32_e32 v4, 0x400000, v3
	v_and_or_b32 v3, v3, s0, v2
	v_cmp_ne_u32_e32 vcc, 0, v4
	v_cmp_ne_u32_e64 s[0:1], 0, v3
	s_and_b64 s[0:1], vcc, s[0:1]
	v_cndmask_b32_e64 v3, 0, 1, s[0:1]
	v_add_u32_e32 v4, v2, v3
; %bb.2028:
	s_or_b64 exec, exec, s[4:5]
	s_mov_b64 s[0:1], 0
	global_store_byte v[0:1], v4, off
.LBB142_2029:
	s_mov_b64 s[4:5], 0
.LBB142_2030:
	s_and_b64 vcc, exec, s[4:5]
	s_cbranch_vccz .LBB142_2033
; %bb.2031:
	s_cmp_eq_u32 s12, 29
	s_mov_b64 s[0:1], -1
	s_cbranch_scc0 .LBB142_2033
; %bb.2032:
	s_mov_b32 s0, 0
	v_cndmask_b32_e64 v2, 0, 1, s[20:21]
	v_mov_b32_e32 v3, s0
	global_store_dwordx2 v[0:1], v[2:3], off
	s_mov_b64 s[0:1], 0
.LBB142_2033:
	s_mov_b64 s[4:5], 0
.LBB142_2034:
	s_and_b64 vcc, exec, s[4:5]
	s_cbranch_vccz .LBB142_2049
; %bb.2035:
	s_cmp_lt_i32 s12, 27
	s_mov_b64 s[4:5], -1
	s_cbranch_scc1 .LBB142_2041
; %bb.2036:
	s_cmp_gt_i32 s12, 27
	v_cndmask_b32_e64 v2, 0, 1, s[20:21]
	s_cbranch_scc0 .LBB142_2038
; %bb.2037:
	global_store_dword v[0:1], v2, off
	s_mov_b64 s[4:5], 0
.LBB142_2038:
	s_andn2_b64 vcc, exec, s[4:5]
	s_cbranch_vccnz .LBB142_2040
; %bb.2039:
	global_store_short v[0:1], v2, off
.LBB142_2040:
	s_mov_b64 s[4:5], 0
.LBB142_2041:
	s_andn2_b64 vcc, exec, s[4:5]
	s_cbranch_vccnz .LBB142_2049
; %bb.2042:
	v_cndmask_b32_e64 v3, 0, 1.0, s[20:21]
	s_mov_b32 s4, 0x43800000
	v_cmp_gt_u32_e32 vcc, s4, v3
	v_mov_b32_e32 v4, 0x80
	s_and_saveexec_b64 s[4:5], vcc
	s_cbranch_execz .LBB142_2048
; %bb.2043:
	s_mov_b32 s8, 0x3bffffff
	v_cmp_lt_u32_e32 vcc, s8, v3
	s_mov_b64 s[8:9], 0
                                        ; implicit-def: $vgpr2
	s_and_saveexec_b64 s[10:11], vcc
	s_xor_b64 s[10:11], exec, s[10:11]
	s_cbranch_execz .LBB142_2109
; %bb.2044:
	v_bfe_u32 v2, v3, 20, 1
	s_mov_b32 s13, 0x487ffff
	v_add3_u32 v2, v3, v2, s13
	s_mov_b64 s[8:9], exec
	v_lshrrev_b32_e32 v2, 20, v2
                                        ; implicit-def: $vgpr3
	s_andn2_saveexec_b64 s[10:11], s[10:11]
	s_cbranch_execnz .LBB142_2110
.LBB142_2045:
	s_or_b64 exec, exec, s[10:11]
	v_mov_b32_e32 v4, 0
	s_and_saveexec_b64 s[10:11], s[8:9]
.LBB142_2046:
	v_mov_b32_e32 v4, v2
.LBB142_2047:
	s_or_b64 exec, exec, s[10:11]
.LBB142_2048:
	s_or_b64 exec, exec, s[4:5]
	global_store_byte v[0:1], v4, off
.LBB142_2049:
	s_mov_b64 s[4:5], 0
.LBB142_2050:
	s_and_b64 vcc, exec, s[4:5]
	s_cbranch_vccz .LBB142_2090
; %bb.2051:
	s_cmp_gt_i32 s12, 22
	s_mov_b64 s[2:3], -1
	s_cbranch_scc0 .LBB142_2083
; %bb.2052:
	s_cmp_lt_i32 s12, 24
	s_cbranch_scc1 .LBB142_2072
; %bb.2053:
	s_cmp_gt_i32 s12, 24
	s_cbranch_scc0 .LBB142_2061
; %bb.2054:
	v_cndmask_b32_e64 v3, 0, 1.0, s[20:21]
	s_mov_b32 s2, 0x47800000
	v_cmp_gt_u32_e32 vcc, s2, v3
	v_mov_b32_e32 v4, 0x80
	s_and_saveexec_b64 s[2:3], vcc
	s_cbranch_execz .LBB142_2060
; %bb.2055:
	s_mov_b32 s4, 0x37ffffff
	v_cmp_lt_u32_e32 vcc, s4, v3
	s_mov_b64 s[4:5], 0
                                        ; implicit-def: $vgpr2
	s_and_saveexec_b64 s[8:9], vcc
	s_xor_b64 s[8:9], exec, s[8:9]
	s_cbranch_execz .LBB142_2112
; %bb.2056:
	v_bfe_u32 v2, v3, 21, 1
	s_mov_b32 s10, 0x88fffff
	v_add3_u32 v2, v3, v2, s10
	s_mov_b64 s[4:5], exec
	v_lshrrev_b32_e32 v2, 21, v2
                                        ; implicit-def: $vgpr3
	s_andn2_saveexec_b64 s[8:9], s[8:9]
	s_cbranch_execnz .LBB142_2113
.LBB142_2057:
	s_or_b64 exec, exec, s[8:9]
	v_mov_b32_e32 v4, 0
	s_and_saveexec_b64 s[8:9], s[4:5]
.LBB142_2058:
	v_mov_b32_e32 v4, v2
.LBB142_2059:
	s_or_b64 exec, exec, s[8:9]
.LBB142_2060:
	s_or_b64 exec, exec, s[2:3]
	s_mov_b64 s[2:3], 0
	global_store_byte v[0:1], v4, off
.LBB142_2061:
	s_and_b64 vcc, exec, s[2:3]
	s_cbranch_vccz .LBB142_2071
; %bb.2062:
	v_cndmask_b32_e64 v2, 0, 1.0, s[20:21]
	s_mov_b32 s2, 0x43f00000
	v_cmp_gt_u32_e32 vcc, s2, v2
                                        ; implicit-def: $vgpr3
	s_and_saveexec_b64 s[2:3], vcc
	s_xor_b64 s[2:3], exec, s[2:3]
	s_cbranch_execz .LBB142_2068
; %bb.2063:
	s_mov_b32 s4, 0x3c7fffff
	v_cmp_lt_u32_e32 vcc, s4, v2
                                        ; implicit-def: $vgpr3
	s_and_saveexec_b64 s[4:5], vcc
	s_xor_b64 s[4:5], exec, s[4:5]
; %bb.2064:
	v_bfe_u32 v3, v2, 20, 1
	s_mov_b32 s8, 0x407ffff
	v_add3_u32 v2, v2, v3, s8
	v_lshrrev_b32_e32 v3, 20, v2
	v_and_b32_e32 v2, 0xff00000, v2
	s_mov_b32 s8, 0x7f00000
	v_mov_b32_e32 v4, 0x7e
	v_cmp_ne_u32_e32 vcc, s8, v2
	v_cndmask_b32_e32 v3, v4, v3, vcc
                                        ; implicit-def: $vgpr2
; %bb.2065:
	s_andn2_saveexec_b64 s[4:5], s[4:5]
; %bb.2066:
	v_add_f32_e32 v3, 0x46800000, v2
; %bb.2067:
	s_or_b64 exec, exec, s[4:5]
                                        ; implicit-def: $vgpr2
.LBB142_2068:
	s_andn2_saveexec_b64 s[2:3], s[2:3]
; %bb.2069:
	s_mov_b32 s4, 0x7f800000
	v_mov_b32_e32 v3, 0x7e
	v_mov_b32_e32 v4, 0x7f
	v_cmp_lt_u32_e32 vcc, s4, v2
	v_cndmask_b32_e32 v3, v3, v4, vcc
; %bb.2070:
	s_or_b64 exec, exec, s[2:3]
	global_store_byte v[0:1], v3, off
.LBB142_2071:
	s_mov_b64 s[2:3], 0
.LBB142_2072:
	s_andn2_b64 vcc, exec, s[2:3]
	s_cbranch_vccnz .LBB142_2082
; %bb.2073:
	v_cndmask_b32_e64 v2, 0, 1.0, s[20:21]
	s_mov_b32 s2, 0x47800000
	v_cmp_gt_u32_e32 vcc, s2, v2
                                        ; implicit-def: $vgpr3
	s_and_saveexec_b64 s[2:3], vcc
	s_xor_b64 s[2:3], exec, s[2:3]
	s_cbranch_execz .LBB142_2079
; %bb.2074:
	s_mov_b32 s4, 0x387fffff
	v_cmp_lt_u32_e32 vcc, s4, v2
                                        ; implicit-def: $vgpr3
	s_and_saveexec_b64 s[4:5], vcc
	s_xor_b64 s[4:5], exec, s[4:5]
; %bb.2075:
	v_bfe_u32 v3, v2, 21, 1
	s_mov_b32 s8, 0x80fffff
	v_add3_u32 v2, v2, v3, s8
	v_lshrrev_b32_e32 v3, 21, v2
                                        ; implicit-def: $vgpr2
; %bb.2076:
	s_andn2_saveexec_b64 s[4:5], s[4:5]
; %bb.2077:
	v_add_f32_e32 v3, 0x43000000, v2
; %bb.2078:
	s_or_b64 exec, exec, s[4:5]
                                        ; implicit-def: $vgpr2
.LBB142_2079:
	s_andn2_saveexec_b64 s[2:3], s[2:3]
; %bb.2080:
	s_mov_b32 s4, 0x7f800000
	v_mov_b32_e32 v3, 0x7c
	v_mov_b32_e32 v4, 0x7f
	v_cmp_lt_u32_e32 vcc, s4, v2
	v_cndmask_b32_e32 v3, v3, v4, vcc
; %bb.2081:
	s_or_b64 exec, exec, s[2:3]
	global_store_byte v[0:1], v3, off
.LBB142_2082:
	s_mov_b64 s[2:3], 0
.LBB142_2083:
	s_andn2_b64 vcc, exec, s[2:3]
	s_mov_b64 s[2:3], 0
	s_cbranch_vccnz .LBB142_2090
; %bb.2084:
	s_cmp_gt_i32 s12, 14
	s_mov_b64 s[4:5], -1
	s_cbranch_scc0 .LBB142_2088
; %bb.2085:
	s_cmp_eq_u32 s12, 15
	s_mov_b64 s[0:1], -1
	s_cbranch_scc0 .LBB142_2087
; %bb.2086:
	v_cndmask_b32_e64 v2, 0, 1.0, s[20:21]
	v_bfe_u32 v3, v2, 16, 1
	s_movk_i32 s0, 0x7fff
	v_add3_u32 v2, v2, v3, s0
	global_store_short_d16_hi v[0:1], v2, off
	s_mov_b64 s[0:1], 0
.LBB142_2087:
	s_mov_b64 s[4:5], 0
.LBB142_2088:
	s_and_b64 vcc, exec, s[4:5]
	s_cbranch_vccz .LBB142_2090
; %bb.2089:
	s_cmp_lg_u32 s12, 11
	s_mov_b64 s[2:3], -1
	s_cselect_b64 s[0:1], -1, 0
.LBB142_2090:
	s_and_b64 vcc, exec, s[0:1]
	s_cbranch_vccnz .LBB142_2111
.LBB142_2091:
	s_mov_b64 s[0:1], 0
	s_branch .LBB142_1612
.LBB142_2092:
	s_mov_b64 s[0:1], 0
	s_branch .LBB142_1611
.LBB142_2093:
	s_mov_b64 s[2:3], 0
	s_mov_b64 s[0:1], -1
	s_branch .LBB142_1612
.LBB142_2094:
	s_andn2_saveexec_b64 s[26:27], s[26:27]
	s_cbranch_execz .LBB142_1687
.LBB142_2095:
	v_add_f32_e32 v3, 0x46000000, v4
	v_and_b32_e32 v3, 0xff, v3
	v_cmp_ne_u32_e32 vcc, 0, v3
	s_andn2_b64 s[24:25], s[24:25], exec
	s_and_b64 s[30:31], vcc, exec
	s_or_b64 s[24:25], s[24:25], s[30:31]
	s_or_b64 exec, exec, s[26:27]
	v_mov_b32_e32 v5, 0
	s_and_saveexec_b64 s[26:27], s[24:25]
	s_cbranch_execnz .LBB142_1688
	s_branch .LBB142_1689
.LBB142_2096:
	s_trap 2
	s_or_b64 s[18:19], s[18:19], exec
	s_cbranch_execz .LBB142_1735
	s_branch .LBB142_1736
.LBB142_2097:
	s_andn2_saveexec_b64 s[24:25], s[24:25]
	s_cbranch_execz .LBB142_1700
.LBB142_2098:
	v_add_f32_e32 v3, 0x42800000, v4
	v_and_b32_e32 v3, 0xff, v3
	v_cmp_ne_u32_e32 vcc, 0, v3
	s_andn2_b64 s[10:11], s[10:11], exec
	s_and_b64 s[26:27], vcc, exec
	s_or_b64 s[10:11], s[10:11], s[26:27]
	s_or_b64 exec, exec, s[24:25]
	v_mov_b32_e32 v5, 0
	s_and_saveexec_b64 s[24:25], s[10:11]
	s_cbranch_execnz .LBB142_1701
	s_branch .LBB142_1702
.LBB142_2099:
	s_andn2_saveexec_b64 s[12:13], s[12:13]
	s_cbranch_execz .LBB142_1806
.LBB142_2100:
	v_add_f32_e32 v3, 0x46000000, v4
	v_and_b32_e32 v3, 0xff, v3
	v_cmp_ne_u32_e32 vcc, 0, v3
	s_andn2_b64 s[10:11], s[10:11], exec
	s_and_b64 s[26:27], vcc, exec
	s_or_b64 s[10:11], s[10:11], s[26:27]
	s_or_b64 exec, exec, s[12:13]
	v_mov_b32_e32 v5, 0
	s_and_saveexec_b64 s[12:13], s[10:11]
	s_cbranch_execnz .LBB142_1807
	s_branch .LBB142_1808
.LBB142_2101:
	s_trap 2
	s_or_b64 s[18:19], s[18:19], exec
	s_cbranch_execz .LBB142_1854
	s_branch .LBB142_1855
.LBB142_2102:
	s_andn2_saveexec_b64 s[10:11], s[10:11]
	s_cbranch_execz .LBB142_1819
.LBB142_2103:
	v_add_f32_e32 v3, 0x42800000, v4
	v_and_b32_e32 v3, 0xff, v3
	v_cmp_ne_u32_e32 vcc, 0, v3
	s_andn2_b64 s[4:5], s[4:5], exec
	s_and_b64 s[12:13], vcc, exec
	s_or_b64 s[4:5], s[4:5], s[12:13]
	s_or_b64 exec, exec, s[10:11]
	v_mov_b32_e32 v5, 0
	s_and_saveexec_b64 s[10:11], s[4:5]
	s_cbranch_execnz .LBB142_1820
	s_branch .LBB142_1821
.LBB142_2104:
	s_andn2_saveexec_b64 s[12:13], s[12:13]
	s_cbranch_execz .LBB142_1925
.LBB142_2105:
	v_add_f32_e32 v3, 0x46000000, v4
	v_and_b32_e32 v3, 0xff, v3
	v_cmp_ne_u32_e32 vcc, 0, v3
	s_andn2_b64 s[10:11], s[10:11], exec
	s_and_b64 s[26:27], vcc, exec
	s_or_b64 s[10:11], s[10:11], s[26:27]
	s_or_b64 exec, exec, s[12:13]
	v_mov_b32_e32 v5, 0
	s_and_saveexec_b64 s[12:13], s[10:11]
	s_cbranch_execnz .LBB142_1926
	s_branch .LBB142_1927
.LBB142_2106:
	s_trap 2
	s_or_b64 s[18:19], s[18:19], exec
	s_cbranch_execz .LBB142_1973
	s_branch .LBB142_1974
.LBB142_2107:
	s_andn2_saveexec_b64 s[10:11], s[10:11]
	s_cbranch_execz .LBB142_1938
.LBB142_2108:
	v_add_f32_e32 v3, 0x42800000, v4
	v_and_b32_e32 v3, 0xff, v3
	v_cmp_ne_u32_e32 vcc, 0, v3
	s_andn2_b64 s[4:5], s[4:5], exec
	s_and_b64 s[12:13], vcc, exec
	s_or_b64 s[4:5], s[4:5], s[12:13]
	s_or_b64 exec, exec, s[10:11]
	v_mov_b32_e32 v5, 0
	s_and_saveexec_b64 s[10:11], s[4:5]
	s_cbranch_execnz .LBB142_1939
	s_branch .LBB142_1940
.LBB142_2109:
	s_andn2_saveexec_b64 s[10:11], s[10:11]
	s_cbranch_execz .LBB142_2045
.LBB142_2110:
	v_add_f32_e32 v2, 0x46000000, v3
	v_and_b32_e32 v2, 0xff, v2
	v_cmp_ne_u32_e32 vcc, 0, v2
	s_andn2_b64 s[8:9], s[8:9], exec
	s_and_b64 s[14:15], vcc, exec
	s_or_b64 s[8:9], s[8:9], s[14:15]
	s_or_b64 exec, exec, s[10:11]
	v_mov_b32_e32 v4, 0
	s_and_saveexec_b64 s[10:11], s[8:9]
	s_cbranch_execnz .LBB142_2046
	s_branch .LBB142_2047
.LBB142_2111:
	s_mov_b64 s[2:3], 0
	s_or_b64 s[18:19], s[18:19], exec
	s_trap 2
	s_branch .LBB142_2091
.LBB142_2112:
	s_andn2_saveexec_b64 s[8:9], s[8:9]
	s_cbranch_execz .LBB142_2057
.LBB142_2113:
	v_add_f32_e32 v2, 0x42800000, v3
	v_and_b32_e32 v2, 0xff, v2
	v_cmp_ne_u32_e32 vcc, 0, v2
	s_andn2_b64 s[4:5], s[4:5], exec
	s_and_b64 s[10:11], vcc, exec
	s_or_b64 s[4:5], s[4:5], s[10:11]
	s_or_b64 exec, exec, s[8:9]
	v_mov_b32_e32 v4, 0
	s_and_saveexec_b64 s[8:9], s[4:5]
	s_cbranch_execnz .LBB142_2058
	s_branch .LBB142_2059
	.section	.rodata,"a",@progbits
	.p2align	6, 0x0
	.amdhsa_kernel _ZN2at6native32elementwise_kernel_manual_unrollILi128ELi4EZNS0_15gpu_kernel_implINS0_13AUnaryFunctorIN3c107complexIfEES6_bNS0_12_GLOBAL__N_116CompareEqFunctorIS6_EEEEEEvRNS_18TensorIteratorBaseERKT_EUlibE_EEviT1_
		.amdhsa_group_segment_fixed_size 0
		.amdhsa_private_segment_fixed_size 0
		.amdhsa_kernarg_size 56
		.amdhsa_user_sgpr_count 6
		.amdhsa_user_sgpr_private_segment_buffer 1
		.amdhsa_user_sgpr_dispatch_ptr 0
		.amdhsa_user_sgpr_queue_ptr 0
		.amdhsa_user_sgpr_kernarg_segment_ptr 1
		.amdhsa_user_sgpr_dispatch_id 0
		.amdhsa_user_sgpr_flat_scratch_init 0
		.amdhsa_user_sgpr_private_segment_size 0
		.amdhsa_uses_dynamic_stack 0
		.amdhsa_system_sgpr_private_segment_wavefront_offset 0
		.amdhsa_system_sgpr_workgroup_id_x 1
		.amdhsa_system_sgpr_workgroup_id_y 0
		.amdhsa_system_sgpr_workgroup_id_z 0
		.amdhsa_system_sgpr_workgroup_info 0
		.amdhsa_system_vgpr_workitem_id 0
		.amdhsa_next_free_vgpr 10
		.amdhsa_next_free_sgpr 50
		.amdhsa_reserve_vcc 1
		.amdhsa_reserve_flat_scratch 0
		.amdhsa_float_round_mode_32 0
		.amdhsa_float_round_mode_16_64 0
		.amdhsa_float_denorm_mode_32 3
		.amdhsa_float_denorm_mode_16_64 3
		.amdhsa_dx10_clamp 1
		.amdhsa_ieee_mode 1
		.amdhsa_fp16_overflow 0
		.amdhsa_exception_fp_ieee_invalid_op 0
		.amdhsa_exception_fp_denorm_src 0
		.amdhsa_exception_fp_ieee_div_zero 0
		.amdhsa_exception_fp_ieee_overflow 0
		.amdhsa_exception_fp_ieee_underflow 0
		.amdhsa_exception_fp_ieee_inexact 0
		.amdhsa_exception_int_div_zero 0
	.end_amdhsa_kernel
	.section	.text._ZN2at6native32elementwise_kernel_manual_unrollILi128ELi4EZNS0_15gpu_kernel_implINS0_13AUnaryFunctorIN3c107complexIfEES6_bNS0_12_GLOBAL__N_116CompareEqFunctorIS6_EEEEEEvRNS_18TensorIteratorBaseERKT_EUlibE_EEviT1_,"axG",@progbits,_ZN2at6native32elementwise_kernel_manual_unrollILi128ELi4EZNS0_15gpu_kernel_implINS0_13AUnaryFunctorIN3c107complexIfEES6_bNS0_12_GLOBAL__N_116CompareEqFunctorIS6_EEEEEEvRNS_18TensorIteratorBaseERKT_EUlibE_EEviT1_,comdat
.Lfunc_end142:
	.size	_ZN2at6native32elementwise_kernel_manual_unrollILi128ELi4EZNS0_15gpu_kernel_implINS0_13AUnaryFunctorIN3c107complexIfEES6_bNS0_12_GLOBAL__N_116CompareEqFunctorIS6_EEEEEEvRNS_18TensorIteratorBaseERKT_EUlibE_EEviT1_, .Lfunc_end142-_ZN2at6native32elementwise_kernel_manual_unrollILi128ELi4EZNS0_15gpu_kernel_implINS0_13AUnaryFunctorIN3c107complexIfEES6_bNS0_12_GLOBAL__N_116CompareEqFunctorIS6_EEEEEEvRNS_18TensorIteratorBaseERKT_EUlibE_EEviT1_
                                        ; -- End function
	.set _ZN2at6native32elementwise_kernel_manual_unrollILi128ELi4EZNS0_15gpu_kernel_implINS0_13AUnaryFunctorIN3c107complexIfEES6_bNS0_12_GLOBAL__N_116CompareEqFunctorIS6_EEEEEEvRNS_18TensorIteratorBaseERKT_EUlibE_EEviT1_.num_vgpr, 10
	.set _ZN2at6native32elementwise_kernel_manual_unrollILi128ELi4EZNS0_15gpu_kernel_implINS0_13AUnaryFunctorIN3c107complexIfEES6_bNS0_12_GLOBAL__N_116CompareEqFunctorIS6_EEEEEEvRNS_18TensorIteratorBaseERKT_EUlibE_EEviT1_.num_agpr, 0
	.set _ZN2at6native32elementwise_kernel_manual_unrollILi128ELi4EZNS0_15gpu_kernel_implINS0_13AUnaryFunctorIN3c107complexIfEES6_bNS0_12_GLOBAL__N_116CompareEqFunctorIS6_EEEEEEvRNS_18TensorIteratorBaseERKT_EUlibE_EEviT1_.numbered_sgpr, 50
	.set _ZN2at6native32elementwise_kernel_manual_unrollILi128ELi4EZNS0_15gpu_kernel_implINS0_13AUnaryFunctorIN3c107complexIfEES6_bNS0_12_GLOBAL__N_116CompareEqFunctorIS6_EEEEEEvRNS_18TensorIteratorBaseERKT_EUlibE_EEviT1_.num_named_barrier, 0
	.set _ZN2at6native32elementwise_kernel_manual_unrollILi128ELi4EZNS0_15gpu_kernel_implINS0_13AUnaryFunctorIN3c107complexIfEES6_bNS0_12_GLOBAL__N_116CompareEqFunctorIS6_EEEEEEvRNS_18TensorIteratorBaseERKT_EUlibE_EEviT1_.private_seg_size, 0
	.set _ZN2at6native32elementwise_kernel_manual_unrollILi128ELi4EZNS0_15gpu_kernel_implINS0_13AUnaryFunctorIN3c107complexIfEES6_bNS0_12_GLOBAL__N_116CompareEqFunctorIS6_EEEEEEvRNS_18TensorIteratorBaseERKT_EUlibE_EEviT1_.uses_vcc, 1
	.set _ZN2at6native32elementwise_kernel_manual_unrollILi128ELi4EZNS0_15gpu_kernel_implINS0_13AUnaryFunctorIN3c107complexIfEES6_bNS0_12_GLOBAL__N_116CompareEqFunctorIS6_EEEEEEvRNS_18TensorIteratorBaseERKT_EUlibE_EEviT1_.uses_flat_scratch, 0
	.set _ZN2at6native32elementwise_kernel_manual_unrollILi128ELi4EZNS0_15gpu_kernel_implINS0_13AUnaryFunctorIN3c107complexIfEES6_bNS0_12_GLOBAL__N_116CompareEqFunctorIS6_EEEEEEvRNS_18TensorIteratorBaseERKT_EUlibE_EEviT1_.has_dyn_sized_stack, 0
	.set _ZN2at6native32elementwise_kernel_manual_unrollILi128ELi4EZNS0_15gpu_kernel_implINS0_13AUnaryFunctorIN3c107complexIfEES6_bNS0_12_GLOBAL__N_116CompareEqFunctorIS6_EEEEEEvRNS_18TensorIteratorBaseERKT_EUlibE_EEviT1_.has_recursion, 0
	.set _ZN2at6native32elementwise_kernel_manual_unrollILi128ELi4EZNS0_15gpu_kernel_implINS0_13AUnaryFunctorIN3c107complexIfEES6_bNS0_12_GLOBAL__N_116CompareEqFunctorIS6_EEEEEEvRNS_18TensorIteratorBaseERKT_EUlibE_EEviT1_.has_indirect_call, 0
	.section	.AMDGPU.csdata,"",@progbits
; Kernel info:
; codeLenInByte = 31832
; TotalNumSgprs: 54
; NumVgprs: 10
; ScratchSize: 0
; MemoryBound: 1
; FloatMode: 240
; IeeeMode: 1
; LDSByteSize: 0 bytes/workgroup (compile time only)
; SGPRBlocks: 6
; VGPRBlocks: 2
; NumSGPRsForWavesPerEU: 54
; NumVGPRsForWavesPerEU: 10
; Occupancy: 10
; WaveLimiterHint : 0
; COMPUTE_PGM_RSRC2:SCRATCH_EN: 0
; COMPUTE_PGM_RSRC2:USER_SGPR: 6
; COMPUTE_PGM_RSRC2:TRAP_HANDLER: 0
; COMPUTE_PGM_RSRC2:TGID_X_EN: 1
; COMPUTE_PGM_RSRC2:TGID_Y_EN: 0
; COMPUTE_PGM_RSRC2:TGID_Z_EN: 0
; COMPUTE_PGM_RSRC2:TIDIG_COMP_CNT: 0
	.section	.text._ZN2at6native32elementwise_kernel_manual_unrollILi128ELi4EZNS0_15gpu_kernel_implINS0_13AUnaryFunctorIN3c107complexIfEES6_bNS0_12_GLOBAL__N_116CompareEqFunctorIS6_EEEEEEvRNS_18TensorIteratorBaseERKT_EUlibE0_EEviT1_,"axG",@progbits,_ZN2at6native32elementwise_kernel_manual_unrollILi128ELi4EZNS0_15gpu_kernel_implINS0_13AUnaryFunctorIN3c107complexIfEES6_bNS0_12_GLOBAL__N_116CompareEqFunctorIS6_EEEEEEvRNS_18TensorIteratorBaseERKT_EUlibE0_EEviT1_,comdat
	.globl	_ZN2at6native32elementwise_kernel_manual_unrollILi128ELi4EZNS0_15gpu_kernel_implINS0_13AUnaryFunctorIN3c107complexIfEES6_bNS0_12_GLOBAL__N_116CompareEqFunctorIS6_EEEEEEvRNS_18TensorIteratorBaseERKT_EUlibE0_EEviT1_ ; -- Begin function _ZN2at6native32elementwise_kernel_manual_unrollILi128ELi4EZNS0_15gpu_kernel_implINS0_13AUnaryFunctorIN3c107complexIfEES6_bNS0_12_GLOBAL__N_116CompareEqFunctorIS6_EEEEEEvRNS_18TensorIteratorBaseERKT_EUlibE0_EEviT1_
	.p2align	8
	.type	_ZN2at6native32elementwise_kernel_manual_unrollILi128ELi4EZNS0_15gpu_kernel_implINS0_13AUnaryFunctorIN3c107complexIfEES6_bNS0_12_GLOBAL__N_116CompareEqFunctorIS6_EEEEEEvRNS_18TensorIteratorBaseERKT_EUlibE0_EEviT1_,@function
_ZN2at6native32elementwise_kernel_manual_unrollILi128ELi4EZNS0_15gpu_kernel_implINS0_13AUnaryFunctorIN3c107complexIfEES6_bNS0_12_GLOBAL__N_116CompareEqFunctorIS6_EEEEEEvRNS_18TensorIteratorBaseERKT_EUlibE0_EEviT1_: ; @_ZN2at6native32elementwise_kernel_manual_unrollILi128ELi4EZNS0_15gpu_kernel_implINS0_13AUnaryFunctorIN3c107complexIfEES6_bNS0_12_GLOBAL__N_116CompareEqFunctorIS6_EEEEEEvRNS_18TensorIteratorBaseERKT_EUlibE0_EEviT1_
; %bb.0:
	s_load_dword s74, s[4:5], 0x0
	s_load_dword s33, s[4:5], 0x8
	s_add_u32 s34, s4, 8
	s_addc_u32 s35, s5, 0
	v_lshl_or_b32 v8, s6, 9, v0
	v_or_b32_e32 v15, 0x180, v8
	s_waitcnt lgkmcnt(0)
	s_add_i32 s76, s33, -1
	s_cmp_gt_u32 s76, 1
	v_cmp_le_i32_e32 vcc, s74, v15
	s_cselect_b64 s[40:41], -1, 0
	s_mov_b64 s[6:7], 0
	s_mov_b64 s[28:29], 0
	s_and_saveexec_b64 s[0:1], vcc
	s_xor_b64 s[42:43], exec, s[0:1]
	s_cbranch_execz .LBB143_1122
; %bb.1:
	s_cmp_lg_u32 s33, 0
	s_load_dwordx4 s[28:31], s[34:35], 0x4
	s_load_dwordx2 s[48:49], s[34:35], 0x14
	s_load_dword s77, s[34:35], 0x168
	s_load_dwordx2 s[44:45], s[34:35], 0x160
	s_load_dword s0, s[34:35], 0x158
	s_cselect_b64 s[54:55], -1, 0
	s_add_u32 s52, s34, 0xc4
	s_addc_u32 s53, s35, 0
	s_min_u32 s79, s76, 15
	s_load_dwordx4 s[36:39], s[34:35], 0xc4
	s_load_dwordx4 s[24:27], s[34:35], 0x148
	s_cmp_gt_u32 s33, 1
	s_cselect_b64 s[50:51], -1, 0
	s_waitcnt lgkmcnt(0)
	s_bfe_u32 s78, s77, 0x80008
	s_cmp_lg_u32 s0, 0
	s_cselect_b64 s[46:47], -1, 0
	v_cmp_gt_i32_e32 vcc, s74, v8
	s_mov_b64 s[2:3], -1
	s_mov_b64 s[64:65], 0
	s_mov_b64 s[58:59], 0
	;; [unrolled: 1-line block ×3, first 2 shown]
	s_and_saveexec_b64 s[60:61], vcc
	s_cbranch_execz .LBB143_274
; %bb.2:
	s_andn2_b64 vcc, exec, s[40:41]
	s_cbranch_vccnz .LBB143_7
; %bb.3:
	s_andn2_b64 vcc, exec, s[54:55]
	s_cbranch_vccnz .LBB143_8
; %bb.4:
	s_add_i32 s63, s79, 1
	s_cmp_eq_u32 s76, 2
	s_cbranch_scc1 .LBB143_9
; %bb.5:
	s_and_b32 s62, s63, 28
	v_mov_b32_e32 v2, 0
	s_mov_b32 s66, 0
	s_mov_b64 s[56:57], s[34:35]
	s_mov_b64 s[58:59], s[52:53]
	v_mov_b32_e32 v0, 0
	v_mov_b32_e32 v1, v8
.LBB143_6:                              ; =>This Inner Loop Header: Depth=1
	s_load_dwordx8 s[16:23], s[56:57], 0x4
	s_load_dwordx4 s[0:3], s[56:57], 0x24
	s_load_dwordx8 s[8:15], s[58:59], 0x0
	s_add_u32 s56, s56, 48
	s_addc_u32 s57, s57, 0
	s_waitcnt lgkmcnt(0)
	v_mul_hi_u32 v3, s17, v1
	s_add_i32 s66, s66, 4
	s_add_u32 s58, s58, 32
	s_addc_u32 s59, s59, 0
	v_add_u32_e32 v3, v1, v3
	v_lshrrev_b32_e32 v3, s18, v3
	v_mul_lo_u32 v4, v3, s16
	v_mul_hi_u32 v5, s20, v3
	s_cmp_lg_u32 s62, s66
	v_sub_u32_e32 v1, v1, v4
	v_add_u32_e32 v4, v3, v5
	v_mul_lo_u32 v5, v1, s8
	v_mul_lo_u32 v6, v1, s9
	v_lshrrev_b32_e32 v1, s21, v4
	v_mul_lo_u32 v4, v1, s19
	v_mul_hi_u32 v7, s23, v1
	v_sub_u32_e32 v3, v3, v4
	v_add_u32_e32 v4, v1, v7
	v_lshrrev_b32_e32 v4, s0, v4
	v_mul_hi_u32 v9, s2, v4
	v_mul_lo_u32 v10, v4, s22
	v_mul_lo_u32 v7, v3, s10
	;; [unrolled: 1-line block ×3, first 2 shown]
	v_sub_u32_e32 v10, v1, v10
	v_add_u32_e32 v1, v4, v9
	v_lshrrev_b32_e32 v1, s3, v1
	v_mul_lo_u32 v9, v1, s1
	v_mul_lo_u32 v11, v10, s12
	v_mul_lo_u32 v10, v10, s13
	v_add3_u32 v0, v5, v0, v7
	v_sub_u32_e32 v4, v4, v9
	v_mul_lo_u32 v9, v4, s14
	v_mul_lo_u32 v4, v4, s15
	v_add3_u32 v2, v6, v2, v3
	v_add3_u32 v0, v11, v0, v9
	;; [unrolled: 1-line block ×3, first 2 shown]
	s_cbranch_scc1 .LBB143_6
	s_branch .LBB143_10
.LBB143_7:
                                        ; implicit-def: $vgpr0
                                        ; implicit-def: $vgpr2
	s_branch .LBB143_14
.LBB143_8:
	v_mov_b32_e32 v0, 0
	v_mov_b32_e32 v2, 0
	s_branch .LBB143_13
.LBB143_9:
	s_mov_b32 s62, 0
	v_mov_b32_e32 v0, 0
	v_mov_b32_e32 v2, 0
	;; [unrolled: 1-line block ×3, first 2 shown]
.LBB143_10:
	s_and_b32 s8, s63, 3
	s_cmp_eq_u32 s8, 0
	s_cbranch_scc1 .LBB143_13
; %bb.11:
	s_lshl_b32 s0, s62, 3
	s_add_u32 s0, s34, s0
	s_addc_u32 s1, s35, 0
	s_add_u32 s0, s0, 0xc4
	s_addc_u32 s1, s1, 0
	s_mul_i32 s2, s62, 12
	s_add_u32 s2, s34, s2
	s_addc_u32 s3, s35, 0
.LBB143_12:                             ; =>This Inner Loop Header: Depth=1
	s_load_dwordx2 s[10:11], s[2:3], 0x4
	s_load_dword s9, s[2:3], 0xc
	s_load_dwordx2 s[12:13], s[0:1], 0x0
	s_add_u32 s2, s2, 12
	s_addc_u32 s3, s3, 0
	s_waitcnt lgkmcnt(0)
	v_mul_hi_u32 v3, s11, v1
	s_add_u32 s0, s0, 8
	s_addc_u32 s1, s1, 0
	s_add_i32 s8, s8, -1
	v_add_u32_e32 v3, v1, v3
	v_lshrrev_b32_e32 v4, s9, v3
	v_mul_lo_u32 v3, v4, s10
	s_cmp_lg_u32 s8, 0
	v_sub_u32_e32 v3, v1, v3
	v_mad_u64_u32 v[0:1], s[10:11], v3, s12, v[0:1]
	v_mad_u64_u32 v[2:3], s[10:11], v3, s13, v[2:3]
	v_mov_b32_e32 v1, v4
	s_cbranch_scc1 .LBB143_12
.LBB143_13:
	s_cbranch_execnz .LBB143_16
.LBB143_14:
	v_mul_hi_u32 v0, s29, v8
	s_andn2_b64 vcc, exec, s[50:51]
	v_add_u32_e32 v0, v8, v0
	v_lshrrev_b32_e32 v1, s30, v0
	v_mul_lo_u32 v0, v1, s28
	v_sub_u32_e32 v2, v8, v0
	v_mul_lo_u32 v0, v2, s36
	v_mul_lo_u32 v2, v2, s37
	s_cbranch_vccnz .LBB143_16
; %bb.15:
	v_mul_hi_u32 v3, s48, v1
	v_add_u32_e32 v3, v1, v3
	v_lshrrev_b32_e32 v3, s49, v3
	v_mul_lo_u32 v3, v3, s31
	v_sub_u32_e32 v3, v1, v3
	v_mad_u64_u32 v[0:1], s[0:1], v3, s38, v[0:1]
	v_mad_u64_u32 v[2:3], s[0:1], v3, s39, v[2:3]
.LBB143_16:
	v_mov_b32_e32 v3, s27
	s_and_b32 s12, 0xffff, s78
	v_add_co_u32_e32 v1, vcc, s26, v2
	s_cmp_lt_i32 s12, 11
	v_addc_co_u32_e32 v2, vcc, 0, v3, vcc
	s_cbranch_scc1 .LBB143_23
; %bb.17:
	s_cmp_gt_i32 s12, 25
	s_cbranch_scc0 .LBB143_35
; %bb.18:
	s_cmp_gt_i32 s12, 28
	s_cbranch_scc0 .LBB143_39
	;; [unrolled: 3-line block ×4, first 2 shown]
; %bb.21:
	s_cmp_eq_u32 s12, 46
	s_mov_b64 s[8:9], 0
	s_cbranch_scc0 .LBB143_45
; %bb.22:
	global_load_dword v3, v[1:2], off
	s_mov_b64 s[0:1], -1
	s_mov_b64 s[2:3], 0
	s_waitcnt vmcnt(0)
	v_and_b32_e32 v4, 0xffff0000, v3
	v_lshlrev_b32_e32 v3, 16, v3
	s_branch .LBB143_47
.LBB143_23:
	s_mov_b64 s[2:3], 0
                                        ; implicit-def: $vgpr4
	s_mov_b64 s[0:1], 0
	s_cbranch_execnz .LBB143_222
.LBB143_24:
	s_andn2_b64 vcc, exec, s[0:1]
	s_cbranch_vccnz .LBB143_271
.LBB143_25:
	s_and_b64 vcc, exec, s[46:47]
	s_cbranch_vccz .LBB143_38
; %bb.26:
	s_waitcnt vmcnt(0)
	v_cmp_neq_f32_e32 vcc, s44, v3
	v_cmp_neq_f32_e64 s[0:1], s45, v4
	s_or_b64 s[8:9], vcc, s[0:1]
	s_cbranch_execnz .LBB143_28
.LBB143_27:
	s_waitcnt vmcnt(0)
	v_cmp_eq_f32_e32 vcc, s44, v3
	v_cmp_eq_f32_e64 s[0:1], s45, v4
	s_and_b64 s[0:1], vcc, s[0:1]
	s_andn2_b64 s[8:9], s[8:9], exec
	s_and_b64 s[0:1], s[0:1], exec
	s_or_b64 s[8:9], s[8:9], s[0:1]
.LBB143_28:
	v_mov_b32_e32 v1, s25
	s_and_b32 s16, s77, 0xff
	v_add_co_u32_e32 v0, vcc, s24, v0
	s_cmp_lt_i32 s16, 11
	v_addc_co_u32_e32 v1, vcc, 0, v1, vcc
	s_cbranch_scc1 .LBB143_36
; %bb.29:
	s_and_b32 s17, 0xffff, s16
	s_cmp_gt_i32 s17, 25
	s_cbranch_scc0 .LBB143_40
; %bb.30:
	s_cmp_gt_i32 s17, 28
	s_cbranch_scc0 .LBB143_42
; %bb.31:
	;; [unrolled: 3-line block ×4, first 2 shown]
	s_mov_b64 s[12:13], 0
	s_mov_b64 s[0:1], -1
	s_cmp_eq_u32 s17, 46
	s_mov_b64 s[10:11], 0
	s_cbranch_scc0 .LBB143_51
; %bb.34:
	v_cndmask_b32_e64 v2, 0, 1.0, s[8:9]
	s_waitcnt vmcnt(0)
	v_bfe_u32 v3, v2, 16, 1
	s_movk_i32 s0, 0x7fff
	v_add3_u32 v2, v2, v3, s0
	v_lshrrev_b32_e32 v2, 16, v2
	global_store_dword v[0:1], v2, off
	s_mov_b64 s[10:11], -1
	s_mov_b64 s[0:1], 0
	s_branch .LBB143_51
.LBB143_35:
	s_mov_b64 s[2:3], 0
	s_mov_b64 s[0:1], 0
                                        ; implicit-def: $vgpr4
	s_cbranch_execnz .LBB143_187
	s_branch .LBB143_221
.LBB143_36:
	s_mov_b64 s[0:1], 0
	s_mov_b64 s[10:11], 0
	s_cbranch_execnz .LBB143_120
.LBB143_37:
	s_andn2_b64 vcc, exec, s[10:11]
	s_cbranch_vccnz .LBB143_272
	s_branch .LBB143_158
.LBB143_38:
                                        ; implicit-def: $sgpr8_sgpr9
	s_branch .LBB143_27
.LBB143_39:
	s_mov_b64 s[8:9], -1
	s_mov_b64 s[2:3], 0
	s_mov_b64 s[0:1], 0
                                        ; implicit-def: $vgpr4
	s_branch .LBB143_168
.LBB143_40:
	s_mov_b64 s[12:13], -1
	s_mov_b64 s[0:1], 0
	s_mov_b64 s[10:11], 0
	s_branch .LBB143_78
.LBB143_41:
	s_mov_b64 s[8:9], -1
	s_mov_b64 s[2:3], 0
	s_mov_b64 s[0:1], 0
                                        ; implicit-def: $vgpr4
	s_branch .LBB143_162
.LBB143_42:
	s_mov_b64 s[12:13], -1
	s_mov_b64 s[0:1], 0
	s_mov_b64 s[10:11], 0
	s_branch .LBB143_61
.LBB143_43:
	s_mov_b64 s[8:9], -1
	s_mov_b64 s[2:3], 0
	s_branch .LBB143_46
.LBB143_44:
	s_mov_b64 s[12:13], -1
	s_mov_b64 s[0:1], 0
	s_mov_b64 s[10:11], 0
	s_branch .LBB143_57
.LBB143_45:
	s_mov_b64 s[2:3], -1
.LBB143_46:
	s_mov_b64 s[0:1], 0
                                        ; implicit-def: $vgpr4
.LBB143_47:
	s_and_b64 vcc, exec, s[8:9]
	s_cbranch_vccz .LBB143_161
; %bb.48:
	s_cmp_eq_u32 s12, 44
	s_cbranch_scc0 .LBB143_159
; %bb.49:
	global_load_ubyte v3, v[1:2], off
	s_movk_i32 s2, 0xff
	v_mov_b32_e32 v4, 0x7f800001
	v_mov_b32_e32 v5, 0x400000
	s_mov_b64 s[0:1], -1
	s_waitcnt vmcnt(0)
	v_lshlrev_b32_e32 v6, 23, v3
	v_cmp_ne_u32_e32 vcc, s2, v3
	v_cndmask_b32_e32 v4, v4, v6, vcc
	v_cmp_ne_u32_e32 vcc, 0, v3
	v_cndmask_b32_e32 v3, v5, v4, vcc
	s_mov_b64 s[2:3], 0
	s_branch .LBB143_160
.LBB143_50:
	s_mov_b64 s[12:13], -1
	s_mov_b64 s[0:1], 0
	s_mov_b64 s[10:11], 0
.LBB143_51:
	s_and_b64 vcc, exec, s[12:13]
	s_cbranch_vccz .LBB143_56
; %bb.52:
	s_cmp_eq_u32 s17, 44
	s_mov_b64 s[0:1], -1
	s_cbranch_scc0 .LBB143_56
; %bb.53:
	s_waitcnt vmcnt(0)
	v_cndmask_b32_e64 v3, 0, 1.0, s[8:9]
	v_lshrrev_b32_e32 v2, 23, v3
	s_movk_i32 s0, 0xff
	v_cmp_ne_u32_e32 vcc, s0, v2
	v_mov_b32_e32 v4, 0xff
	s_and_saveexec_b64 s[10:11], vcc
; %bb.54:
	s_mov_b32 s0, 0x3fffff
	v_and_b32_e32 v4, 0x400000, v3
	v_and_or_b32 v3, v3, s0, v2
	v_cmp_ne_u32_e32 vcc, 0, v4
	v_cmp_ne_u32_e64 s[0:1], 0, v3
	s_and_b64 s[0:1], vcc, s[0:1]
	v_cndmask_b32_e64 v3, 0, 1, s[0:1]
	v_add_u32_e32 v4, v2, v3
; %bb.55:
	s_or_b64 exec, exec, s[10:11]
	s_mov_b64 s[10:11], -1
	s_mov_b64 s[0:1], 0
	global_store_byte v[0:1], v4, off
.LBB143_56:
	s_mov_b64 s[12:13], 0
.LBB143_57:
	s_and_b64 vcc, exec, s[12:13]
	s_cbranch_vccz .LBB143_60
; %bb.58:
	s_cmp_eq_u32 s17, 29
	s_mov_b64 s[0:1], -1
	s_cbranch_scc0 .LBB143_60
; %bb.59:
	s_mov_b32 s0, 0
	v_cndmask_b32_e64 v2, 0, 1, s[8:9]
	s_waitcnt vmcnt(0)
	v_mov_b32_e32 v3, s0
	global_store_dwordx2 v[0:1], v[2:3], off
	s_mov_b64 s[10:11], -1
	s_mov_b64 s[0:1], 0
.LBB143_60:
	s_mov_b64 s[12:13], 0
.LBB143_61:
	s_and_b64 vcc, exec, s[12:13]
	s_cbranch_vccz .LBB143_77
; %bb.62:
	s_cmp_lt_i32 s17, 27
	s_mov_b64 s[10:11], -1
	s_cbranch_scc1 .LBB143_68
; %bb.63:
	s_cmp_gt_i32 s17, 27
	s_cbranch_scc0 .LBB143_65
; %bb.64:
	v_cndmask_b32_e64 v2, 0, 1, s[8:9]
	s_mov_b64 s[10:11], 0
	global_store_dword v[0:1], v2, off
.LBB143_65:
	s_andn2_b64 vcc, exec, s[10:11]
	s_cbranch_vccnz .LBB143_67
; %bb.66:
	v_cndmask_b32_e64 v2, 0, 1, s[8:9]
	global_store_short v[0:1], v2, off
.LBB143_67:
	s_mov_b64 s[10:11], 0
.LBB143_68:
	s_andn2_b64 vcc, exec, s[10:11]
	s_cbranch_vccnz .LBB143_76
; %bb.69:
	s_waitcnt vmcnt(0)
	v_cndmask_b32_e64 v3, 0, 1.0, s[8:9]
	s_mov_b32 s10, 0x43800000
	v_cmp_gt_u32_e32 vcc, s10, v3
	v_mov_b32_e32 v4, 0x80
	s_and_saveexec_b64 s[10:11], vcc
	s_cbranch_execz .LBB143_75
; %bb.70:
	s_mov_b32 s12, 0x3bffffff
	v_cmp_lt_u32_e32 vcc, s12, v3
	s_mov_b64 s[12:13], 0
                                        ; implicit-def: $vgpr2
	s_and_saveexec_b64 s[14:15], vcc
	s_xor_b64 s[14:15], exec, s[14:15]
	s_cbranch_execz .LBB143_319
; %bb.71:
	v_bfe_u32 v2, v3, 20, 1
	s_mov_b32 s18, 0x487ffff
	v_add3_u32 v2, v3, v2, s18
	s_mov_b64 s[12:13], exec
	v_lshrrev_b32_e32 v2, 20, v2
                                        ; implicit-def: $vgpr3
	s_andn2_saveexec_b64 s[14:15], s[14:15]
	s_cbranch_execnz .LBB143_320
.LBB143_72:
	s_or_b64 exec, exec, s[14:15]
	v_mov_b32_e32 v4, 0
	s_and_saveexec_b64 s[14:15], s[12:13]
.LBB143_73:
	v_mov_b32_e32 v4, v2
.LBB143_74:
	s_or_b64 exec, exec, s[14:15]
.LBB143_75:
	s_or_b64 exec, exec, s[10:11]
	global_store_byte v[0:1], v4, off
.LBB143_76:
	s_mov_b64 s[10:11], -1
.LBB143_77:
	s_mov_b64 s[12:13], 0
.LBB143_78:
	s_and_b64 vcc, exec, s[12:13]
	s_cbranch_vccz .LBB143_119
; %bb.79:
	s_cmp_gt_i32 s17, 22
	s_mov_b64 s[12:13], -1
	s_cbranch_scc0 .LBB143_111
; %bb.80:
	s_cmp_lt_i32 s17, 24
	s_mov_b64 s[10:11], -1
	s_cbranch_scc1 .LBB143_100
; %bb.81:
	s_cmp_gt_i32 s17, 24
	s_cbranch_scc0 .LBB143_89
; %bb.82:
	s_waitcnt vmcnt(0)
	v_cndmask_b32_e64 v3, 0, 1.0, s[8:9]
	s_mov_b32 s10, 0x47800000
	v_cmp_gt_u32_e32 vcc, s10, v3
	v_mov_b32_e32 v4, 0x80
	s_and_saveexec_b64 s[10:11], vcc
	s_cbranch_execz .LBB143_88
; %bb.83:
	s_mov_b32 s12, 0x37ffffff
	v_cmp_lt_u32_e32 vcc, s12, v3
	s_mov_b64 s[12:13], 0
                                        ; implicit-def: $vgpr2
	s_and_saveexec_b64 s[14:15], vcc
	s_xor_b64 s[14:15], exec, s[14:15]
	s_cbranch_execz .LBB143_323
; %bb.84:
	v_bfe_u32 v2, v3, 21, 1
	s_mov_b32 s18, 0x88fffff
	v_add3_u32 v2, v3, v2, s18
	s_mov_b64 s[12:13], exec
	v_lshrrev_b32_e32 v2, 21, v2
                                        ; implicit-def: $vgpr3
	s_andn2_saveexec_b64 s[14:15], s[14:15]
	s_cbranch_execnz .LBB143_324
.LBB143_85:
	s_or_b64 exec, exec, s[14:15]
	v_mov_b32_e32 v4, 0
	s_and_saveexec_b64 s[14:15], s[12:13]
.LBB143_86:
	v_mov_b32_e32 v4, v2
.LBB143_87:
	s_or_b64 exec, exec, s[14:15]
.LBB143_88:
	s_or_b64 exec, exec, s[10:11]
	s_mov_b64 s[10:11], 0
	global_store_byte v[0:1], v4, off
.LBB143_89:
	s_and_b64 vcc, exec, s[10:11]
	s_cbranch_vccz .LBB143_99
; %bb.90:
	v_cndmask_b32_e64 v2, 0, 1.0, s[8:9]
	s_mov_b32 s10, 0x43f00000
	v_cmp_gt_u32_e32 vcc, s10, v2
                                        ; implicit-def: $vgpr3
	s_and_saveexec_b64 s[10:11], vcc
	s_xor_b64 s[10:11], exec, s[10:11]
	s_cbranch_execz .LBB143_96
; %bb.91:
	s_mov_b32 s12, 0x3c7fffff
	v_cmp_lt_u32_e32 vcc, s12, v2
                                        ; implicit-def: $vgpr3
	s_and_saveexec_b64 s[12:13], vcc
	s_xor_b64 s[12:13], exec, s[12:13]
	s_cbranch_execz .LBB143_93
; %bb.92:
	s_waitcnt vmcnt(0)
	v_bfe_u32 v3, v2, 20, 1
	s_mov_b32 s14, 0x407ffff
	v_add3_u32 v2, v2, v3, s14
	v_lshrrev_b32_e32 v3, 20, v2
	v_and_b32_e32 v2, 0xff00000, v2
	s_mov_b32 s14, 0x7f00000
	v_mov_b32_e32 v4, 0x7e
	v_cmp_ne_u32_e32 vcc, s14, v2
	v_cndmask_b32_e32 v3, v4, v3, vcc
                                        ; implicit-def: $vgpr2
.LBB143_93:
	s_andn2_saveexec_b64 s[12:13], s[12:13]
	s_cbranch_execz .LBB143_95
; %bb.94:
	s_waitcnt vmcnt(0)
	v_add_f32_e32 v3, 0x46800000, v2
.LBB143_95:
	s_or_b64 exec, exec, s[12:13]
                                        ; implicit-def: $vgpr2
.LBB143_96:
	s_andn2_saveexec_b64 s[10:11], s[10:11]
	s_cbranch_execz .LBB143_98
; %bb.97:
	s_mov_b32 s12, 0x7f800000
	s_waitcnt vmcnt(0)
	v_mov_b32_e32 v3, 0x7e
	v_mov_b32_e32 v4, 0x7f
	v_cmp_lt_u32_e32 vcc, s12, v2
	v_cndmask_b32_e32 v3, v3, v4, vcc
.LBB143_98:
	s_or_b64 exec, exec, s[10:11]
	s_waitcnt vmcnt(0)
	global_store_byte v[0:1], v3, off
.LBB143_99:
	s_mov_b64 s[10:11], 0
.LBB143_100:
	s_andn2_b64 vcc, exec, s[10:11]
	s_cbranch_vccnz .LBB143_110
; %bb.101:
	v_cndmask_b32_e64 v2, 0, 1.0, s[8:9]
	s_mov_b32 s10, 0x47800000
	v_cmp_gt_u32_e32 vcc, s10, v2
                                        ; implicit-def: $vgpr3
	s_and_saveexec_b64 s[10:11], vcc
	s_xor_b64 s[10:11], exec, s[10:11]
	s_cbranch_execz .LBB143_107
; %bb.102:
	s_mov_b32 s12, 0x387fffff
	v_cmp_lt_u32_e32 vcc, s12, v2
                                        ; implicit-def: $vgpr3
	s_and_saveexec_b64 s[12:13], vcc
	s_xor_b64 s[12:13], exec, s[12:13]
	s_cbranch_execz .LBB143_104
; %bb.103:
	s_waitcnt vmcnt(0)
	v_bfe_u32 v3, v2, 21, 1
	s_mov_b32 s14, 0x80fffff
	v_add3_u32 v2, v2, v3, s14
	v_lshrrev_b32_e32 v3, 21, v2
                                        ; implicit-def: $vgpr2
.LBB143_104:
	s_andn2_saveexec_b64 s[12:13], s[12:13]
	s_cbranch_execz .LBB143_106
; %bb.105:
	s_waitcnt vmcnt(0)
	v_add_f32_e32 v3, 0x43000000, v2
.LBB143_106:
	s_or_b64 exec, exec, s[12:13]
                                        ; implicit-def: $vgpr2
.LBB143_107:
	s_andn2_saveexec_b64 s[10:11], s[10:11]
	s_cbranch_execz .LBB143_109
; %bb.108:
	s_mov_b32 s12, 0x7f800000
	s_waitcnt vmcnt(0)
	v_mov_b32_e32 v3, 0x7c
	v_mov_b32_e32 v4, 0x7f
	v_cmp_lt_u32_e32 vcc, s12, v2
	v_cndmask_b32_e32 v3, v3, v4, vcc
.LBB143_109:
	s_or_b64 exec, exec, s[10:11]
	s_waitcnt vmcnt(0)
	global_store_byte v[0:1], v3, off
.LBB143_110:
	s_mov_b64 s[12:13], 0
	s_mov_b64 s[10:11], -1
.LBB143_111:
	s_andn2_b64 vcc, exec, s[12:13]
	s_cbranch_vccnz .LBB143_119
; %bb.112:
	s_cmp_gt_i32 s17, 14
	s_mov_b64 s[12:13], -1
	s_cbranch_scc0 .LBB143_116
; %bb.113:
	s_cmp_eq_u32 s17, 15
	s_mov_b64 s[0:1], -1
	s_cbranch_scc0 .LBB143_115
; %bb.114:
	v_cndmask_b32_e64 v2, 0, 1.0, s[8:9]
	s_waitcnt vmcnt(0)
	v_bfe_u32 v3, v2, 16, 1
	s_movk_i32 s0, 0x7fff
	v_add3_u32 v2, v2, v3, s0
	global_store_short_d16_hi v[0:1], v2, off
	s_mov_b64 s[10:11], -1
	s_mov_b64 s[0:1], 0
.LBB143_115:
	s_mov_b64 s[12:13], 0
.LBB143_116:
	s_and_b64 vcc, exec, s[12:13]
	s_cbranch_vccz .LBB143_119
; %bb.117:
	s_cmp_eq_u32 s17, 11
	s_mov_b64 s[0:1], -1
	s_cbranch_scc0 .LBB143_119
; %bb.118:
	v_cndmask_b32_e64 v2, 0, 1, s[8:9]
	s_mov_b64 s[10:11], -1
	s_mov_b64 s[0:1], 0
	global_store_byte v[0:1], v2, off
.LBB143_119:
	s_branch .LBB143_37
.LBB143_120:
	s_and_b32 s12, 0xffff, s16
	s_cmp_lt_i32 s12, 5
	s_mov_b64 s[10:11], -1
	s_cbranch_scc1 .LBB143_141
; %bb.121:
	s_cmp_lt_i32 s12, 8
	s_cbranch_scc1 .LBB143_131
; %bb.122:
	s_cmp_lt_i32 s12, 9
	s_cbranch_scc1 .LBB143_128
; %bb.123:
	s_cmp_gt_i32 s12, 9
	s_cbranch_scc0 .LBB143_125
; %bb.124:
	v_cndmask_b32_e64 v2, 0, 1, s[8:9]
	s_waitcnt vmcnt(0)
	v_cvt_f64_u32_e32 v[2:3], v2
	v_mov_b32_e32 v4, 0
	v_mov_b32_e32 v5, v4
	s_mov_b64 s[10:11], 0
	global_store_dwordx4 v[0:1], v[2:5], off
.LBB143_125:
	s_andn2_b64 vcc, exec, s[10:11]
	s_cbranch_vccnz .LBB143_127
; %bb.126:
	v_cndmask_b32_e64 v2, 0, 1.0, s[8:9]
	s_waitcnt vmcnt(0)
	v_mov_b32_e32 v3, 0
	global_store_dwordx2 v[0:1], v[2:3], off
.LBB143_127:
	s_mov_b64 s[10:11], 0
.LBB143_128:
	s_andn2_b64 vcc, exec, s[10:11]
	s_cbranch_vccnz .LBB143_130
; %bb.129:
	v_cndmask_b32_e64 v2, 0, 1.0, s[8:9]
	v_cvt_f16_f32_e32 v2, v2
	global_store_dword v[0:1], v2, off
.LBB143_130:
	s_mov_b64 s[10:11], 0
.LBB143_131:
	s_andn2_b64 vcc, exec, s[10:11]
	s_cbranch_vccnz .LBB143_140
; %bb.132:
	s_cmp_lt_i32 s12, 6
	s_mov_b64 s[10:11], -1
	s_cbranch_scc1 .LBB143_138
; %bb.133:
	s_cmp_gt_i32 s12, 6
	s_cbranch_scc0 .LBB143_135
; %bb.134:
	v_cndmask_b32_e64 v2, 0, 1, s[8:9]
	s_waitcnt vmcnt(0)
	v_cvt_f64_u32_e32 v[2:3], v2
	s_mov_b64 s[10:11], 0
	global_store_dwordx2 v[0:1], v[2:3], off
.LBB143_135:
	s_andn2_b64 vcc, exec, s[10:11]
	s_cbranch_vccnz .LBB143_137
; %bb.136:
	v_cndmask_b32_e64 v2, 0, 1.0, s[8:9]
	global_store_dword v[0:1], v2, off
.LBB143_137:
	s_mov_b64 s[10:11], 0
.LBB143_138:
	s_andn2_b64 vcc, exec, s[10:11]
	s_cbranch_vccnz .LBB143_140
; %bb.139:
	v_cndmask_b32_e64 v2, 0, 1.0, s[8:9]
	v_cvt_f16_f32_e32 v2, v2
	global_store_short v[0:1], v2, off
.LBB143_140:
	s_mov_b64 s[10:11], 0
.LBB143_141:
	s_andn2_b64 vcc, exec, s[10:11]
	s_cbranch_vccnz .LBB143_157
; %bb.142:
	s_cmp_lt_i32 s12, 2
	s_mov_b64 s[10:11], -1
	s_cbranch_scc1 .LBB143_152
; %bb.143:
	s_cmp_lt_i32 s12, 3
	s_cbranch_scc1 .LBB143_149
; %bb.144:
	s_cmp_gt_i32 s12, 3
	s_cbranch_scc0 .LBB143_146
; %bb.145:
	s_mov_b32 s10, 0
	v_cndmask_b32_e64 v2, 0, 1, s[8:9]
	s_waitcnt vmcnt(0)
	v_mov_b32_e32 v3, s10
	global_store_dwordx2 v[0:1], v[2:3], off
	s_mov_b64 s[10:11], 0
.LBB143_146:
	s_andn2_b64 vcc, exec, s[10:11]
	s_cbranch_vccnz .LBB143_148
; %bb.147:
	v_cndmask_b32_e64 v2, 0, 1, s[8:9]
	global_store_dword v[0:1], v2, off
.LBB143_148:
	s_mov_b64 s[10:11], 0
.LBB143_149:
	s_andn2_b64 vcc, exec, s[10:11]
	s_cbranch_vccnz .LBB143_151
; %bb.150:
	v_cndmask_b32_e64 v2, 0, 1, s[8:9]
	global_store_short v[0:1], v2, off
.LBB143_151:
	s_mov_b64 s[10:11], 0
.LBB143_152:
	s_andn2_b64 vcc, exec, s[10:11]
	s_cbranch_vccnz .LBB143_157
; %bb.153:
	s_cmp_gt_i32 s12, 0
	s_mov_b64 s[10:11], -1
	s_cbranch_scc0 .LBB143_155
; %bb.154:
	v_cndmask_b32_e64 v2, 0, 1, s[8:9]
	global_store_byte v[0:1], v2, off
	s_mov_b64 s[10:11], 0
.LBB143_155:
	s_andn2_b64 vcc, exec, s[10:11]
	s_cbranch_vccnz .LBB143_157
; %bb.156:
	v_cndmask_b32_e64 v2, 0, 1, s[8:9]
	global_store_byte v[0:1], v2, off
.LBB143_157:
.LBB143_158:
	v_add_u32_e32 v8, 0x80, v8
	s_mov_b64 s[8:9], -1
	s_branch .LBB143_273
.LBB143_159:
	s_mov_b64 s[2:3], -1
                                        ; implicit-def: $vgpr3
.LBB143_160:
	v_mov_b32_e32 v4, 0
.LBB143_161:
	s_mov_b64 s[8:9], 0
.LBB143_162:
	s_and_b64 vcc, exec, s[8:9]
	s_cbranch_vccz .LBB143_167
; %bb.163:
	s_cmp_eq_u32 s12, 29
	s_cbranch_scc0 .LBB143_165
; %bb.164:
	global_load_dwordx2 v[3:4], v[1:2], off
	s_mov_b64 s[0:1], -1
	s_mov_b64 s[2:3], 0
	s_waitcnt vmcnt(0)
	v_ffbh_u32_e32 v5, v4
	v_min_u32_e32 v5, 32, v5
	v_lshlrev_b64 v[3:4], v5, v[3:4]
	v_min_u32_e32 v3, 1, v3
	v_or_b32_e32 v3, v4, v3
	v_cvt_f32_u32_e32 v3, v3
	v_sub_u32_e32 v4, 32, v5
	v_ldexp_f32 v3, v3, v4
	s_branch .LBB143_166
.LBB143_165:
	s_mov_b64 s[2:3], -1
                                        ; implicit-def: $vgpr3
.LBB143_166:
	v_mov_b32_e32 v4, 0
.LBB143_167:
	s_mov_b64 s[8:9], 0
.LBB143_168:
	s_and_b64 vcc, exec, s[8:9]
	s_cbranch_vccz .LBB143_186
; %bb.169:
	s_cmp_lt_i32 s12, 27
	s_cbranch_scc1 .LBB143_172
; %bb.170:
	s_cmp_gt_i32 s12, 27
	s_cbranch_scc0 .LBB143_173
; %bb.171:
	global_load_dword v3, v[1:2], off
	s_mov_b64 s[0:1], 0
	s_waitcnt vmcnt(0)
	v_cvt_f32_u32_e32 v3, v3
	s_branch .LBB143_174
.LBB143_172:
	s_mov_b64 s[0:1], -1
                                        ; implicit-def: $vgpr3
	s_branch .LBB143_177
.LBB143_173:
	s_mov_b64 s[0:1], -1
                                        ; implicit-def: $vgpr3
.LBB143_174:
	s_andn2_b64 vcc, exec, s[0:1]
	s_cbranch_vccnz .LBB143_176
; %bb.175:
	global_load_ushort v3, v[1:2], off
	s_waitcnt vmcnt(0)
	v_cvt_f32_u32_e32 v3, v3
.LBB143_176:
	s_mov_b64 s[0:1], 0
.LBB143_177:
	s_andn2_b64 vcc, exec, s[0:1]
	s_cbranch_vccnz .LBB143_185
; %bb.178:
	global_load_ubyte v4, v[1:2], off
	s_movk_i32 s0, 0x7f
	s_waitcnt vmcnt(0)
	v_cmp_lt_i16_e32 vcc, s0, v4
	s_mov_b64 s[0:1], 0
	s_and_saveexec_b64 s[8:9], vcc
	s_xor_b64 s[8:9], exec, s[8:9]
	s_cbranch_execz .LBB143_198
; %bb.179:
	s_movk_i32 s0, 0x80
	v_cmp_eq_u16_e32 vcc, s0, v4
	s_mov_b64 s[0:1], -1
	s_and_saveexec_b64 s[10:11], vcc
; %bb.180:
	s_xor_b64 s[0:1], exec, -1
; %bb.181:
	s_or_b64 exec, exec, s[10:11]
	s_and_b64 s[0:1], s[0:1], exec
	s_or_saveexec_b64 s[8:9], s[8:9]
	v_mov_b32_e32 v3, 0x7f800001
	s_xor_b64 exec, exec, s[8:9]
	s_cbranch_execnz .LBB143_199
.LBB143_182:
	s_or_b64 exec, exec, s[8:9]
	s_and_saveexec_b64 s[8:9], s[0:1]
	s_cbranch_execz .LBB143_184
.LBB143_183:
	v_lshlrev_b32_e32 v3, 24, v4
	v_and_b32_e32 v4, 0xffff, v4
	v_and_b32_e32 v5, 7, v4
	v_ffbh_u32_e32 v7, v5
	v_min_u32_e32 v7, 32, v7
	v_subrev_u32_e32 v9, 28, v7
	v_bfe_u32 v6, v4, 3, 4
	v_lshlrev_b32_e32 v4, v9, v4
	v_sub_u32_e32 v7, 29, v7
	v_and_b32_e32 v4, 7, v4
	v_cmp_eq_u32_e32 vcc, 0, v6
	v_cndmask_b32_e32 v6, v6, v7, vcc
	v_cndmask_b32_e32 v4, v5, v4, vcc
	v_mov_b32_e32 v5, 0x3b800000
	v_lshlrev_b32_e32 v4, 20, v4
	v_and_b32_e32 v3, 0x80000000, v3
	v_lshl_add_u32 v5, v6, 23, v5
	v_or3_b32 v3, v3, v5, v4
.LBB143_184:
	s_or_b64 exec, exec, s[8:9]
.LBB143_185:
	s_mov_b64 s[0:1], -1
	v_mov_b32_e32 v4, 0
.LBB143_186:
	s_branch .LBB143_221
.LBB143_187:
	s_cmp_gt_i32 s12, 22
	s_cbranch_scc0 .LBB143_197
; %bb.188:
	s_cmp_lt_i32 s12, 24
	s_cbranch_scc1 .LBB143_200
; %bb.189:
	s_cmp_gt_i32 s12, 24
	s_cbranch_scc0 .LBB143_201
; %bb.190:
	global_load_ubyte v4, v[1:2], off
	s_movk_i32 s0, 0x7f
	s_waitcnt vmcnt(0)
	v_cmp_lt_i16_e32 vcc, s0, v4
	s_mov_b64 s[0:1], 0
	s_and_saveexec_b64 s[8:9], vcc
	s_xor_b64 s[8:9], exec, s[8:9]
	s_cbranch_execz .LBB143_212
; %bb.191:
	s_movk_i32 s0, 0x80
	v_cmp_eq_u16_e32 vcc, s0, v4
	s_mov_b64 s[0:1], -1
	s_and_saveexec_b64 s[10:11], vcc
; %bb.192:
	s_xor_b64 s[0:1], exec, -1
; %bb.193:
	s_or_b64 exec, exec, s[10:11]
	s_and_b64 s[0:1], s[0:1], exec
	s_or_saveexec_b64 s[8:9], s[8:9]
	v_mov_b32_e32 v3, 0x7f800001
	s_xor_b64 exec, exec, s[8:9]
	s_cbranch_execnz .LBB143_213
.LBB143_194:
	s_or_b64 exec, exec, s[8:9]
	s_and_saveexec_b64 s[8:9], s[0:1]
	s_cbranch_execz .LBB143_196
.LBB143_195:
	v_lshlrev_b32_e32 v3, 24, v4
	v_and_b32_e32 v4, 0xffff, v4
	v_and_b32_e32 v5, 3, v4
	v_ffbh_u32_e32 v7, v5
	v_min_u32_e32 v7, 32, v7
	v_subrev_u32_e32 v9, 29, v7
	v_bfe_u32 v6, v4, 2, 5
	v_lshlrev_b32_e32 v4, v9, v4
	v_sub_u32_e32 v7, 30, v7
	v_and_b32_e32 v4, 3, v4
	v_cmp_eq_u32_e32 vcc, 0, v6
	v_cndmask_b32_e32 v6, v6, v7, vcc
	v_cndmask_b32_e32 v4, v5, v4, vcc
	v_mov_b32_e32 v5, 0x37800000
	v_lshlrev_b32_e32 v4, 21, v4
	v_and_b32_e32 v3, 0x80000000, v3
	v_lshl_add_u32 v5, v6, 23, v5
	v_or3_b32 v3, v3, v5, v4
.LBB143_196:
	s_or_b64 exec, exec, s[8:9]
	s_mov_b64 s[0:1], 0
	s_branch .LBB143_202
.LBB143_197:
                                        ; implicit-def: $vgpr3
	s_branch .LBB143_208
.LBB143_198:
	s_or_saveexec_b64 s[8:9], s[8:9]
	v_mov_b32_e32 v3, 0x7f800001
	s_xor_b64 exec, exec, s[8:9]
	s_cbranch_execz .LBB143_182
.LBB143_199:
	v_cmp_ne_u16_e32 vcc, 0, v4
	s_andn2_b64 s[0:1], s[0:1], exec
	s_and_b64 s[10:11], vcc, exec
	v_mov_b32_e32 v3, 0
	s_or_b64 s[0:1], s[0:1], s[10:11]
	s_or_b64 exec, exec, s[8:9]
	s_and_saveexec_b64 s[8:9], s[0:1]
	s_cbranch_execnz .LBB143_183
	s_branch .LBB143_184
.LBB143_200:
	s_mov_b64 s[0:1], -1
                                        ; implicit-def: $vgpr3
	s_branch .LBB143_205
.LBB143_201:
	s_mov_b64 s[0:1], -1
                                        ; implicit-def: $vgpr3
.LBB143_202:
	s_and_b64 vcc, exec, s[0:1]
	s_cbranch_vccz .LBB143_204
; %bb.203:
	global_load_ubyte v3, v[1:2], off
	s_mov_b32 s0, 0x7f800000
	s_waitcnt vmcnt(0)
	v_lshlrev_b32_e32 v3, 24, v3
	v_and_b32_e32 v4, 0x7f000000, v3
	v_ffbh_u32_e32 v5, v4
	v_min_u32_e32 v5, 32, v5
	v_sub_u32_e64 v5, v5, 4 clamp
	v_lshlrev_b32_e32 v7, v5, v4
	v_lshlrev_b32_e32 v5, 23, v5
	v_lshrrev_b32_e32 v7, 4, v7
	v_add_u32_e32 v6, 0x1000000, v4
	v_sub_u32_e32 v5, v7, v5
	v_ashrrev_i32_e32 v6, 8, v6
	v_add_u32_e32 v5, 0x3c000000, v5
	v_and_or_b32 v5, v6, s0, v5
	v_cmp_ne_u32_e32 vcc, 0, v4
	v_cndmask_b32_e32 v4, 0, v5, vcc
	s_brev_b32 s0, 1
	v_and_or_b32 v3, v3, s0, v4
.LBB143_204:
	s_mov_b64 s[0:1], 0
.LBB143_205:
	s_andn2_b64 vcc, exec, s[0:1]
	s_cbranch_vccnz .LBB143_207
; %bb.206:
	global_load_ubyte v3, v[1:2], off
	s_movk_i32 s0, 0x7f00
	s_brev_b32 s1, 16
	s_waitcnt vmcnt(0)
	v_lshlrev_b16_e32 v4, 8, v3
	v_lshlrev_b32_e32 v3, 25, v3
	v_lshrrev_b32_e32 v5, 4, v3
	v_and_or_b32 v6, v4, s0, 0.5
	v_or_b32_e32 v5, 0x70000000, v5
	v_add_f32_e32 v6, -0.5, v6
	v_mul_f32_e32 v5, 0x7800000, v5
	v_cmp_gt_u32_e32 vcc, s1, v3
	v_bfe_i32 v4, v4, 0, 16
	v_cndmask_b32_e32 v3, v5, v6, vcc
	s_brev_b32 s0, 1
	v_and_or_b32 v3, v4, s0, v3
.LBB143_207:
	s_mov_b64 s[0:1], -1
	s_cbranch_execnz .LBB143_220
.LBB143_208:
	s_cmp_gt_i32 s12, 14
	s_cbranch_scc0 .LBB143_211
; %bb.209:
	s_cmp_eq_u32 s12, 15
	s_cbranch_scc0 .LBB143_214
; %bb.210:
	global_load_ushort v3, v[1:2], off
	s_mov_b64 s[0:1], -1
	s_mov_b64 s[2:3], 0
	s_waitcnt vmcnt(0)
	v_lshlrev_b32_e32 v3, 16, v3
	s_branch .LBB143_215
.LBB143_211:
	s_mov_b64 s[8:9], -1
                                        ; implicit-def: $vgpr3
	s_branch .LBB143_216
.LBB143_212:
	s_or_saveexec_b64 s[8:9], s[8:9]
	v_mov_b32_e32 v3, 0x7f800001
	s_xor_b64 exec, exec, s[8:9]
	s_cbranch_execz .LBB143_194
.LBB143_213:
	v_cmp_ne_u16_e32 vcc, 0, v4
	s_andn2_b64 s[0:1], s[0:1], exec
	s_and_b64 s[10:11], vcc, exec
	v_mov_b32_e32 v3, 0
	s_or_b64 s[0:1], s[0:1], s[10:11]
	s_or_b64 exec, exec, s[8:9]
	s_and_saveexec_b64 s[8:9], s[0:1]
	s_cbranch_execnz .LBB143_195
	s_branch .LBB143_196
.LBB143_214:
	s_mov_b64 s[2:3], -1
                                        ; implicit-def: $vgpr3
.LBB143_215:
	s_mov_b64 s[8:9], 0
.LBB143_216:
	s_and_b64 vcc, exec, s[8:9]
	s_cbranch_vccz .LBB143_220
; %bb.217:
	s_cmp_eq_u32 s12, 11
	s_cbranch_scc0 .LBB143_219
; %bb.218:
	global_load_ubyte v3, v[1:2], off
	s_mov_b64 s[0:1], -1
	s_mov_b64 s[2:3], 0
	v_mov_b32_e32 v4, 0
	s_waitcnt vmcnt(0)
	v_cmp_ne_u16_e32 vcc, 0, v3
	v_cndmask_b32_e64 v3, 0, 1.0, vcc
	s_branch .LBB143_221
.LBB143_219:
	s_mov_b64 s[2:3], -1
                                        ; implicit-def: $vgpr3
.LBB143_220:
	v_mov_b32_e32 v4, 0
.LBB143_221:
	s_branch .LBB143_24
.LBB143_222:
	s_cmp_lt_i32 s12, 5
	s_cbranch_scc1 .LBB143_227
; %bb.223:
	s_cmp_lt_i32 s12, 8
	s_cbranch_scc1 .LBB143_228
; %bb.224:
	;; [unrolled: 3-line block ×3, first 2 shown]
	s_cmp_gt_i32 s12, 9
	s_cbranch_scc0 .LBB143_230
; %bb.226:
	global_load_dwordx4 v[3:6], v[1:2], off
	s_mov_b64 s[0:1], 0
	s_waitcnt vmcnt(0)
	v_cvt_f32_f64_e32 v3, v[3:4]
	v_cvt_f32_f64_e32 v4, v[5:6]
	s_branch .LBB143_231
.LBB143_227:
                                        ; implicit-def: $vgpr4
	s_branch .LBB143_250
.LBB143_228:
	s_mov_b64 s[0:1], -1
                                        ; implicit-def: $vgpr4
	s_branch .LBB143_237
.LBB143_229:
	s_mov_b64 s[0:1], -1
                                        ; implicit-def: $vgpr4
	s_branch .LBB143_234
.LBB143_230:
	s_mov_b64 s[0:1], -1
                                        ; implicit-def: $vgpr4
.LBB143_231:
	s_andn2_b64 vcc, exec, s[0:1]
	s_cbranch_vccnz .LBB143_233
; %bb.232:
	global_load_dwordx2 v[3:4], v[1:2], off
.LBB143_233:
	s_mov_b64 s[0:1], 0
.LBB143_234:
	s_andn2_b64 vcc, exec, s[0:1]
	s_cbranch_vccnz .LBB143_236
; %bb.235:
	global_load_dword v4, v[1:2], off
	s_waitcnt vmcnt(0)
	v_cvt_f32_f16_e32 v3, v4
	v_cvt_f32_f16_sdwa v4, v4 dst_sel:DWORD dst_unused:UNUSED_PAD src0_sel:WORD_1
.LBB143_236:
	s_mov_b64 s[0:1], 0
.LBB143_237:
	s_andn2_b64 vcc, exec, s[0:1]
	s_cbranch_vccnz .LBB143_249
; %bb.238:
	s_cmp_lt_i32 s12, 6
	s_cbranch_scc1 .LBB143_241
; %bb.239:
	s_cmp_gt_i32 s12, 6
	s_cbranch_scc0 .LBB143_242
; %bb.240:
	global_load_dwordx2 v[3:4], v[1:2], off
	s_mov_b64 s[0:1], 0
	s_waitcnt vmcnt(0)
	v_cvt_f32_f64_e32 v3, v[3:4]
	s_branch .LBB143_243
.LBB143_241:
	s_mov_b64 s[0:1], -1
                                        ; implicit-def: $vgpr3
	s_branch .LBB143_246
.LBB143_242:
	s_mov_b64 s[0:1], -1
                                        ; implicit-def: $vgpr3
.LBB143_243:
	s_andn2_b64 vcc, exec, s[0:1]
	s_cbranch_vccnz .LBB143_245
; %bb.244:
	global_load_dword v3, v[1:2], off
.LBB143_245:
	s_mov_b64 s[0:1], 0
.LBB143_246:
	s_andn2_b64 vcc, exec, s[0:1]
	s_cbranch_vccnz .LBB143_248
; %bb.247:
	global_load_ushort v3, v[1:2], off
	s_waitcnt vmcnt(0)
	v_cvt_f32_f16_e32 v3, v3
.LBB143_248:
	s_waitcnt vmcnt(0)
	v_mov_b32_e32 v4, 0
.LBB143_249:
	s_cbranch_execnz .LBB143_270
.LBB143_250:
	s_cmp_lt_i32 s12, 2
	s_cbranch_scc1 .LBB143_254
; %bb.251:
	s_cmp_lt_i32 s12, 3
	s_cbranch_scc1 .LBB143_255
; %bb.252:
	s_cmp_gt_i32 s12, 3
	s_cbranch_scc0 .LBB143_256
; %bb.253:
	global_load_dwordx2 v[3:4], v[1:2], off
	s_mov_b64 s[0:1], 0
	s_waitcnt vmcnt(0)
	v_xor_b32_e32 v6, v3, v4
	v_ffbh_i32_e32 v5, v4
	v_ashrrev_i32_e32 v6, 31, v6
	v_add_u32_e32 v5, -1, v5
	v_add_u32_e32 v6, 32, v6
	v_min_u32_e32 v5, v5, v6
	v_lshlrev_b64 v[3:4], v5, v[3:4]
	v_min_u32_e32 v3, 1, v3
	v_or_b32_e32 v3, v4, v3
	v_cvt_f32_i32_e32 v3, v3
	v_sub_u32_e32 v4, 32, v5
	v_ldexp_f32 v3, v3, v4
	s_branch .LBB143_257
.LBB143_254:
	s_mov_b64 s[0:1], -1
                                        ; implicit-def: $vgpr3
	s_branch .LBB143_263
.LBB143_255:
	s_mov_b64 s[0:1], -1
                                        ; implicit-def: $vgpr3
	s_branch .LBB143_260
.LBB143_256:
	s_mov_b64 s[0:1], -1
                                        ; implicit-def: $vgpr3
.LBB143_257:
	s_andn2_b64 vcc, exec, s[0:1]
	s_cbranch_vccnz .LBB143_259
; %bb.258:
	global_load_dword v3, v[1:2], off
	s_waitcnt vmcnt(0)
	v_cvt_f32_i32_e32 v3, v3
.LBB143_259:
	s_mov_b64 s[0:1], 0
.LBB143_260:
	s_andn2_b64 vcc, exec, s[0:1]
	s_cbranch_vccnz .LBB143_262
; %bb.261:
	global_load_sshort v3, v[1:2], off
	s_waitcnt vmcnt(0)
	v_cvt_f32_i32_e32 v3, v3
.LBB143_262:
	s_mov_b64 s[0:1], 0
.LBB143_263:
	s_andn2_b64 vcc, exec, s[0:1]
	s_cbranch_vccnz .LBB143_269
; %bb.264:
	s_cmp_gt_i32 s12, 0
	s_cbranch_scc0 .LBB143_266
; %bb.265:
	global_load_sbyte v3, v[1:2], off
	s_mov_b64 s[0:1], 0
	s_waitcnt vmcnt(0)
	v_cvt_f32_i32_e32 v3, v3
	s_branch .LBB143_267
.LBB143_266:
	s_mov_b64 s[0:1], -1
                                        ; implicit-def: $vgpr3
.LBB143_267:
	s_andn2_b64 vcc, exec, s[0:1]
	s_cbranch_vccnz .LBB143_269
; %bb.268:
	global_load_ubyte v1, v[1:2], off
	s_waitcnt vmcnt(0)
	v_cvt_f32_ubyte0_e32 v3, v1
.LBB143_269:
	s_waitcnt vmcnt(0)
	v_mov_b32_e32 v4, 0
.LBB143_270:
	s_branch .LBB143_25
.LBB143_271:
	s_mov_b64 s[0:1], 0
.LBB143_272:
	s_mov_b64 s[8:9], 0
                                        ; implicit-def: $vgpr8
.LBB143_273:
	s_and_b64 s[56:57], s[0:1], exec
	s_and_b64 s[58:59], s[2:3], exec
	s_orn2_b64 s[2:3], s[8:9], exec
.LBB143_274:
	s_or_b64 exec, exec, s[60:61]
	s_mov_b64 s[10:11], 0
	s_mov_b64 s[0:1], 0
                                        ; implicit-def: $vgpr1_vgpr2
                                        ; implicit-def: $vgpr0
                                        ; implicit-def: $vgpr4
	s_and_saveexec_b64 s[60:61], s[2:3]
	s_cbranch_execz .LBB143_281
; %bb.275:
	v_cmp_gt_i32_e32 vcc, s74, v8
	s_mov_b64 s[0:1], -1
	s_mov_b64 s[62:63], s[58:59]
	s_mov_b64 s[64:65], s[56:57]
	s_and_saveexec_b64 s[66:67], vcc
	s_cbranch_execz .LBB143_559
; %bb.276:
	s_andn2_b64 vcc, exec, s[40:41]
	s_cbranch_vccnz .LBB143_284
; %bb.277:
	s_andn2_b64 vcc, exec, s[54:55]
	s_cbranch_vccnz .LBB143_285
; %bb.278:
	s_add_i32 s69, s79, 1
	s_cmp_eq_u32 s76, 2
	s_cbranch_scc1 .LBB143_286
; %bb.279:
	s_and_b32 s68, s69, 28
	v_mov_b32_e32 v2, 0
	s_mov_b32 s70, 0
	s_mov_b64 s[62:63], s[34:35]
	s_mov_b64 s[64:65], s[52:53]
	v_mov_b32_e32 v0, 0
	v_mov_b32_e32 v1, v8
.LBB143_280:                            ; =>This Inner Loop Header: Depth=1
	s_load_dwordx8 s[16:23], s[62:63], 0x4
	s_load_dwordx4 s[0:3], s[62:63], 0x24
	s_load_dwordx8 s[8:15], s[64:65], 0x0
	s_add_u32 s62, s62, 48
	s_addc_u32 s63, s63, 0
	s_waitcnt vmcnt(0) lgkmcnt(0)
	v_mul_hi_u32 v3, s17, v1
	s_add_i32 s70, s70, 4
	s_add_u32 s64, s64, 32
	s_addc_u32 s65, s65, 0
	v_add_u32_e32 v3, v1, v3
	v_lshrrev_b32_e32 v3, s18, v3
	v_mul_lo_u32 v4, v3, s16
	v_mul_hi_u32 v5, s20, v3
	s_cmp_eq_u32 s68, s70
	v_sub_u32_e32 v1, v1, v4
	v_add_u32_e32 v4, v3, v5
	v_mul_lo_u32 v5, v1, s8
	v_mul_lo_u32 v6, v1, s9
	v_lshrrev_b32_e32 v1, s21, v4
	v_mul_lo_u32 v4, v1, s19
	v_mul_hi_u32 v7, s23, v1
	v_sub_u32_e32 v3, v3, v4
	v_add_u32_e32 v4, v1, v7
	v_lshrrev_b32_e32 v4, s0, v4
	v_mul_hi_u32 v9, s2, v4
	v_mul_lo_u32 v10, v4, s22
	v_mul_lo_u32 v7, v3, s10
	;; [unrolled: 1-line block ×3, first 2 shown]
	v_sub_u32_e32 v10, v1, v10
	v_add_u32_e32 v1, v4, v9
	v_lshrrev_b32_e32 v1, s3, v1
	v_mul_lo_u32 v9, v1, s1
	v_mul_lo_u32 v11, v10, s12
	;; [unrolled: 1-line block ×3, first 2 shown]
	v_add3_u32 v0, v5, v0, v7
	v_sub_u32_e32 v4, v4, v9
	v_mul_lo_u32 v9, v4, s14
	v_mul_lo_u32 v4, v4, s15
	v_add3_u32 v2, v6, v2, v3
	v_add3_u32 v0, v11, v0, v9
	;; [unrolled: 1-line block ×3, first 2 shown]
	s_cbranch_scc0 .LBB143_280
	s_branch .LBB143_287
.LBB143_281:
	s_or_b64 exec, exec, s[60:61]
	s_mov_b64 s[2:3], 0
	s_and_saveexec_b64 s[8:9], s[58:59]
	s_cbranch_execnz .LBB143_948
.LBB143_282:
	s_or_b64 exec, exec, s[8:9]
	s_and_saveexec_b64 s[8:9], s[64:65]
	s_xor_b64 s[8:9], exec, s[8:9]
	s_cbranch_execz .LBB143_949
.LBB143_283:
	global_load_ubyte v3, v[1:2], off
	s_waitcnt vmcnt(1)
	v_mov_b32_e32 v4, 0
	s_or_b64 s[0:1], s[0:1], exec
	s_waitcnt vmcnt(0)
	v_cmp_ne_u16_e32 vcc, 0, v3
	v_cndmask_b32_e64 v3, 0, 1.0, vcc
	s_or_b64 exec, exec, s[8:9]
	s_and_saveexec_b64 s[8:9], s[10:11]
	s_cbranch_execz .LBB143_997
	s_branch .LBB143_950
.LBB143_284:
                                        ; implicit-def: $vgpr0
                                        ; implicit-def: $vgpr2
	s_andn2_b64 vcc, exec, s[0:1]
	s_cbranch_vccz .LBB143_291
	s_branch .LBB143_293
.LBB143_285:
	v_mov_b32_e32 v0, 0
	v_mov_b32_e32 v2, 0
	s_branch .LBB143_290
.LBB143_286:
	s_mov_b32 s68, 0
	v_mov_b32_e32 v0, 0
	v_mov_b32_e32 v2, 0
	;; [unrolled: 1-line block ×3, first 2 shown]
.LBB143_287:
	s_and_b32 s8, s69, 3
	s_cmp_eq_u32 s8, 0
	s_cbranch_scc1 .LBB143_290
; %bb.288:
	s_lshl_b32 s0, s68, 3
	s_add_u32 s0, s34, s0
	s_addc_u32 s1, s35, 0
	s_add_u32 s0, s0, 0xc4
	s_addc_u32 s1, s1, 0
	s_mul_i32 s2, s68, 12
	s_add_u32 s2, s34, s2
	s_addc_u32 s3, s35, 0
.LBB143_289:                            ; =>This Inner Loop Header: Depth=1
	s_load_dwordx2 s[10:11], s[2:3], 0x4
	s_load_dword s9, s[2:3], 0xc
	s_load_dwordx2 s[12:13], s[0:1], 0x0
	s_add_u32 s2, s2, 12
	s_addc_u32 s3, s3, 0
	s_waitcnt vmcnt(0) lgkmcnt(0)
	v_mul_hi_u32 v3, s11, v1
	s_add_u32 s0, s0, 8
	s_addc_u32 s1, s1, 0
	s_add_i32 s8, s8, -1
	v_add_u32_e32 v3, v1, v3
	v_lshrrev_b32_e32 v4, s9, v3
	v_mul_lo_u32 v3, v4, s10
	s_cmp_lg_u32 s8, 0
	v_sub_u32_e32 v3, v1, v3
	v_mad_u64_u32 v[0:1], s[10:11], v3, s12, v[0:1]
	v_mad_u64_u32 v[2:3], s[10:11], v3, s13, v[2:3]
	v_mov_b32_e32 v1, v4
	s_cbranch_scc1 .LBB143_289
.LBB143_290:
	s_cbranch_execnz .LBB143_293
.LBB143_291:
	v_mul_hi_u32 v0, s29, v8
	s_andn2_b64 vcc, exec, s[50:51]
	v_add_u32_e32 v0, v8, v0
	v_lshrrev_b32_e32 v1, s30, v0
	v_mul_lo_u32 v0, v1, s28
	v_sub_u32_e32 v2, v8, v0
	v_mul_lo_u32 v0, v2, s36
	v_mul_lo_u32 v2, v2, s37
	s_cbranch_vccnz .LBB143_293
; %bb.292:
	s_waitcnt vmcnt(0)
	v_mul_hi_u32 v3, s48, v1
	v_add_u32_e32 v3, v1, v3
	v_lshrrev_b32_e32 v3, s49, v3
	v_mul_lo_u32 v3, v3, s31
	v_sub_u32_e32 v3, v1, v3
	v_mad_u64_u32 v[0:1], s[0:1], v3, s38, v[0:1]
	v_mad_u64_u32 v[2:3], s[0:1], v3, s39, v[2:3]
.LBB143_293:
	s_waitcnt vmcnt(0)
	v_mov_b32_e32 v3, s27
	s_and_b32 s12, 0xffff, s78
	v_add_co_u32_e32 v1, vcc, s26, v2
	s_cmp_lt_i32 s12, 11
	v_addc_co_u32_e32 v2, vcc, 0, v3, vcc
	s_cbranch_scc1 .LBB143_300
; %bb.294:
	s_cmp_gt_i32 s12, 25
	s_cbranch_scc0 .LBB143_312
; %bb.295:
	s_cmp_gt_i32 s12, 28
	s_cbranch_scc0 .LBB143_315
	;; [unrolled: 3-line block ×4, first 2 shown]
; %bb.298:
	s_cmp_eq_u32 s12, 46
	s_mov_b64 s[8:9], 0
	s_cbranch_scc0 .LBB143_325
; %bb.299:
	global_load_dword v3, v[1:2], off
	s_mov_b64 s[0:1], -1
	s_mov_b64 s[2:3], 0
	s_waitcnt vmcnt(0)
	v_and_b32_e32 v4, 0xffff0000, v3
	v_lshlrev_b32_e32 v3, 16, v3
	s_branch .LBB143_326
.LBB143_300:
	s_mov_b64 s[0:1], 0
                                        ; implicit-def: $vgpr4
	s_mov_b64 s[2:3], s[58:59]
	s_cbranch_execnz .LBB143_506
.LBB143_301:
	s_andn2_b64 vcc, exec, s[0:1]
	s_cbranch_vccnz .LBB143_556
.LBB143_302:
	s_andn2_b64 vcc, exec, s[46:47]
	s_cbranch_vccnz .LBB143_314
; %bb.303:
	s_waitcnt vmcnt(0)
	v_cmp_neq_f32_e32 vcc, s44, v3
	v_cmp_neq_f32_e64 s[0:1], s45, v4
	s_or_b64 s[8:9], vcc, s[0:1]
	s_cbranch_execnz .LBB143_305
.LBB143_304:
	s_waitcnt vmcnt(0)
	v_cmp_eq_f32_e32 vcc, s44, v3
	v_cmp_eq_f32_e64 s[0:1], s45, v4
	s_and_b64 s[0:1], vcc, s[0:1]
	s_andn2_b64 s[8:9], s[8:9], exec
	s_and_b64 s[0:1], s[0:1], exec
	s_or_b64 s[8:9], s[8:9], s[0:1]
.LBB143_305:
	v_mov_b32_e32 v1, s25
	s_and_b32 s16, s77, 0xff
	v_add_co_u32_e32 v0, vcc, s24, v0
	s_cmp_lt_i32 s16, 11
	v_addc_co_u32_e32 v1, vcc, 0, v1, vcc
	s_cbranch_scc1 .LBB143_313
; %bb.306:
	s_and_b32 s17, 0xffff, s16
	s_cmp_gt_i32 s17, 25
	s_cbranch_scc0 .LBB143_316
; %bb.307:
	s_cmp_gt_i32 s17, 28
	s_cbranch_scc0 .LBB143_318
; %bb.308:
	;; [unrolled: 3-line block ×4, first 2 shown]
	s_mov_b64 s[12:13], 0
	s_mov_b64 s[0:1], -1
	s_cmp_eq_u32 s17, 46
	s_mov_b64 s[10:11], 0
	s_cbranch_scc0 .LBB143_330
; %bb.311:
	v_cndmask_b32_e64 v2, 0, 1.0, s[8:9]
	s_waitcnt vmcnt(0)
	v_bfe_u32 v3, v2, 16, 1
	s_movk_i32 s0, 0x7fff
	v_add3_u32 v2, v2, v3, s0
	v_lshrrev_b32_e32 v2, 16, v2
	global_store_dword v[0:1], v2, off
	s_mov_b64 s[10:11], -1
	s_mov_b64 s[0:1], 0
	s_branch .LBB143_330
.LBB143_312:
	s_mov_b64 s[8:9], -1
	s_mov_b64 s[0:1], 0
	s_mov_b64 s[2:3], s[58:59]
                                        ; implicit-def: $vgpr4
	s_branch .LBB143_469
.LBB143_313:
	s_mov_b64 s[12:13], -1
	s_mov_b64 s[10:11], 0
	s_mov_b64 s[0:1], s[56:57]
	s_branch .LBB143_399
.LBB143_314:
                                        ; implicit-def: $sgpr8_sgpr9
	s_branch .LBB143_304
.LBB143_315:
	s_mov_b64 s[8:9], -1
	s_mov_b64 s[0:1], 0
	s_mov_b64 s[2:3], s[58:59]
                                        ; implicit-def: $vgpr4
	s_branch .LBB143_450
.LBB143_316:
	s_mov_b64 s[12:13], -1
	s_mov_b64 s[10:11], 0
	s_mov_b64 s[0:1], s[56:57]
	s_branch .LBB143_357
.LBB143_317:
	s_mov_b64 s[8:9], -1
	s_mov_b64 s[0:1], 0
	s_mov_b64 s[2:3], s[58:59]
                                        ; implicit-def: $vgpr4
	s_branch .LBB143_444
.LBB143_318:
	s_mov_b64 s[12:13], -1
	s_mov_b64 s[10:11], 0
	s_mov_b64 s[0:1], s[56:57]
	s_branch .LBB143_340
.LBB143_319:
	s_andn2_saveexec_b64 s[14:15], s[14:15]
	s_cbranch_execz .LBB143_72
.LBB143_320:
	v_add_f32_e32 v2, 0x46000000, v3
	v_and_b32_e32 v2, 0xff, v2
	v_cmp_ne_u32_e32 vcc, 0, v2
	s_andn2_b64 s[12:13], s[12:13], exec
	s_and_b64 s[18:19], vcc, exec
	s_or_b64 s[12:13], s[12:13], s[18:19]
	s_or_b64 exec, exec, s[14:15]
	v_mov_b32_e32 v4, 0
	s_and_saveexec_b64 s[14:15], s[12:13]
	s_cbranch_execnz .LBB143_73
	s_branch .LBB143_74
.LBB143_321:
	s_mov_b64 s[8:9], -1
	s_mov_b64 s[0:1], 0
	s_mov_b64 s[2:3], s[58:59]
                                        ; implicit-def: $vgpr4
	s_branch .LBB143_326
.LBB143_322:
	s_mov_b64 s[12:13], -1
	s_mov_b64 s[10:11], 0
	s_mov_b64 s[0:1], s[56:57]
	s_branch .LBB143_336
.LBB143_323:
	s_andn2_saveexec_b64 s[14:15], s[14:15]
	s_cbranch_execz .LBB143_85
.LBB143_324:
	v_add_f32_e32 v2, 0x42800000, v3
	v_and_b32_e32 v2, 0xff, v2
	v_cmp_ne_u32_e32 vcc, 0, v2
	s_andn2_b64 s[12:13], s[12:13], exec
	s_and_b64 s[18:19], vcc, exec
	s_or_b64 s[12:13], s[12:13], s[18:19]
	s_or_b64 exec, exec, s[14:15]
	v_mov_b32_e32 v4, 0
	s_and_saveexec_b64 s[14:15], s[12:13]
	s_cbranch_execnz .LBB143_86
	s_branch .LBB143_87
.LBB143_325:
	s_mov_b64 s[2:3], -1
                                        ; implicit-def: $vgpr4
	s_mov_b64 s[0:1], 0
.LBB143_326:
	s_and_b64 vcc, exec, s[8:9]
	s_cbranch_vccz .LBB143_443
; %bb.327:
	s_cmp_eq_u32 s12, 44
	s_cbranch_scc0 .LBB143_441
; %bb.328:
	global_load_ubyte v3, v[1:2], off
	s_movk_i32 s2, 0xff
	v_mov_b32_e32 v4, 0x7f800001
	v_mov_b32_e32 v5, 0x400000
	s_mov_b64 s[0:1], -1
	s_waitcnt vmcnt(0)
	v_lshlrev_b32_e32 v6, 23, v3
	v_cmp_ne_u32_e32 vcc, s2, v3
	v_cndmask_b32_e32 v4, v4, v6, vcc
	v_cmp_ne_u32_e32 vcc, 0, v3
	v_cndmask_b32_e32 v3, v5, v4, vcc
	s_mov_b64 s[2:3], 0
	s_branch .LBB143_442
.LBB143_329:
	s_mov_b64 s[12:13], -1
	s_mov_b64 s[10:11], 0
	s_mov_b64 s[0:1], s[56:57]
.LBB143_330:
	s_and_b64 vcc, exec, s[12:13]
	s_cbranch_vccz .LBB143_335
; %bb.331:
	s_cmp_eq_u32 s17, 44
	s_mov_b64 s[0:1], -1
	s_cbranch_scc0 .LBB143_335
; %bb.332:
	s_waitcnt vmcnt(0)
	v_cndmask_b32_e64 v3, 0, 1.0, s[8:9]
	v_lshrrev_b32_e32 v2, 23, v3
	s_movk_i32 s0, 0xff
	v_cmp_ne_u32_e32 vcc, s0, v2
	v_mov_b32_e32 v4, 0xff
	s_and_saveexec_b64 s[10:11], vcc
; %bb.333:
	s_mov_b32 s0, 0x3fffff
	v_and_b32_e32 v4, 0x400000, v3
	v_and_or_b32 v3, v3, s0, v2
	v_cmp_ne_u32_e32 vcc, 0, v4
	v_cmp_ne_u32_e64 s[0:1], 0, v3
	s_and_b64 s[0:1], vcc, s[0:1]
	v_cndmask_b32_e64 v3, 0, 1, s[0:1]
	v_add_u32_e32 v4, v2, v3
; %bb.334:
	s_or_b64 exec, exec, s[10:11]
	s_mov_b64 s[10:11], -1
	s_mov_b64 s[0:1], 0
	global_store_byte v[0:1], v4, off
.LBB143_335:
	s_mov_b64 s[12:13], 0
.LBB143_336:
	s_and_b64 vcc, exec, s[12:13]
	s_cbranch_vccz .LBB143_339
; %bb.337:
	s_cmp_eq_u32 s17, 29
	s_mov_b64 s[0:1], -1
	s_cbranch_scc0 .LBB143_339
; %bb.338:
	s_mov_b32 s0, 0
	v_cndmask_b32_e64 v2, 0, 1, s[8:9]
	s_waitcnt vmcnt(0)
	v_mov_b32_e32 v3, s0
	global_store_dwordx2 v[0:1], v[2:3], off
	s_mov_b64 s[10:11], -1
	s_mov_b64 s[0:1], 0
.LBB143_339:
	s_mov_b64 s[12:13], 0
.LBB143_340:
	s_and_b64 vcc, exec, s[12:13]
	s_cbranch_vccz .LBB143_356
; %bb.341:
	s_cmp_lt_i32 s17, 27
	s_mov_b64 s[10:11], -1
	s_cbranch_scc1 .LBB143_347
; %bb.342:
	s_cmp_gt_i32 s17, 27
	s_cbranch_scc0 .LBB143_344
; %bb.343:
	v_cndmask_b32_e64 v2, 0, 1, s[8:9]
	s_mov_b64 s[10:11], 0
	global_store_dword v[0:1], v2, off
.LBB143_344:
	s_andn2_b64 vcc, exec, s[10:11]
	s_cbranch_vccnz .LBB143_346
; %bb.345:
	v_cndmask_b32_e64 v2, 0, 1, s[8:9]
	global_store_short v[0:1], v2, off
.LBB143_346:
	s_mov_b64 s[10:11], 0
.LBB143_347:
	s_andn2_b64 vcc, exec, s[10:11]
	s_cbranch_vccnz .LBB143_355
; %bb.348:
	s_waitcnt vmcnt(0)
	v_cndmask_b32_e64 v3, 0, 1.0, s[8:9]
	s_mov_b32 s10, 0x43800000
	v_cmp_gt_u32_e32 vcc, s10, v3
	v_mov_b32_e32 v4, 0x80
	s_and_saveexec_b64 s[10:11], vcc
	s_cbranch_execz .LBB143_354
; %bb.349:
	s_mov_b32 s12, 0x3bffffff
	v_cmp_lt_u32_e32 vcc, s12, v3
	s_mov_b64 s[12:13], 0
                                        ; implicit-def: $vgpr2
	s_and_saveexec_b64 s[14:15], vcc
	s_xor_b64 s[14:15], exec, s[14:15]
	s_cbranch_execz .LBB143_587
; %bb.350:
	v_bfe_u32 v2, v3, 20, 1
	s_mov_b32 s18, 0x487ffff
	v_add3_u32 v2, v3, v2, s18
	s_mov_b64 s[12:13], exec
	v_lshrrev_b32_e32 v2, 20, v2
                                        ; implicit-def: $vgpr3
	s_andn2_saveexec_b64 s[14:15], s[14:15]
	s_cbranch_execnz .LBB143_588
.LBB143_351:
	s_or_b64 exec, exec, s[14:15]
	v_mov_b32_e32 v4, 0
	s_and_saveexec_b64 s[14:15], s[12:13]
.LBB143_352:
	v_mov_b32_e32 v4, v2
.LBB143_353:
	s_or_b64 exec, exec, s[14:15]
.LBB143_354:
	s_or_b64 exec, exec, s[10:11]
	global_store_byte v[0:1], v4, off
.LBB143_355:
	s_mov_b64 s[10:11], -1
.LBB143_356:
	s_mov_b64 s[12:13], 0
.LBB143_357:
	s_and_b64 vcc, exec, s[12:13]
	s_cbranch_vccz .LBB143_398
; %bb.358:
	s_cmp_gt_i32 s17, 22
	s_mov_b64 s[12:13], -1
	s_cbranch_scc0 .LBB143_390
; %bb.359:
	s_cmp_lt_i32 s17, 24
	s_mov_b64 s[10:11], -1
	s_cbranch_scc1 .LBB143_379
; %bb.360:
	s_cmp_gt_i32 s17, 24
	s_cbranch_scc0 .LBB143_368
; %bb.361:
	s_waitcnt vmcnt(0)
	v_cndmask_b32_e64 v3, 0, 1.0, s[8:9]
	s_mov_b32 s10, 0x47800000
	v_cmp_gt_u32_e32 vcc, s10, v3
	v_mov_b32_e32 v4, 0x80
	s_and_saveexec_b64 s[10:11], vcc
	s_cbranch_execz .LBB143_367
; %bb.362:
	s_mov_b32 s12, 0x37ffffff
	v_cmp_lt_u32_e32 vcc, s12, v3
	s_mov_b64 s[12:13], 0
                                        ; implicit-def: $vgpr2
	s_and_saveexec_b64 s[14:15], vcc
	s_xor_b64 s[14:15], exec, s[14:15]
	s_cbranch_execz .LBB143_590
; %bb.363:
	v_bfe_u32 v2, v3, 21, 1
	s_mov_b32 s18, 0x88fffff
	v_add3_u32 v2, v3, v2, s18
	s_mov_b64 s[12:13], exec
	v_lshrrev_b32_e32 v2, 21, v2
                                        ; implicit-def: $vgpr3
	s_andn2_saveexec_b64 s[14:15], s[14:15]
	s_cbranch_execnz .LBB143_591
.LBB143_364:
	s_or_b64 exec, exec, s[14:15]
	v_mov_b32_e32 v4, 0
	s_and_saveexec_b64 s[14:15], s[12:13]
.LBB143_365:
	v_mov_b32_e32 v4, v2
.LBB143_366:
	s_or_b64 exec, exec, s[14:15]
.LBB143_367:
	s_or_b64 exec, exec, s[10:11]
	s_mov_b64 s[10:11], 0
	global_store_byte v[0:1], v4, off
.LBB143_368:
	s_and_b64 vcc, exec, s[10:11]
	s_cbranch_vccz .LBB143_378
; %bb.369:
	v_cndmask_b32_e64 v2, 0, 1.0, s[8:9]
	s_mov_b32 s10, 0x43f00000
	v_cmp_gt_u32_e32 vcc, s10, v2
                                        ; implicit-def: $vgpr3
	s_and_saveexec_b64 s[10:11], vcc
	s_xor_b64 s[10:11], exec, s[10:11]
	s_cbranch_execz .LBB143_375
; %bb.370:
	s_mov_b32 s12, 0x3c7fffff
	v_cmp_lt_u32_e32 vcc, s12, v2
                                        ; implicit-def: $vgpr3
	s_and_saveexec_b64 s[12:13], vcc
	s_xor_b64 s[12:13], exec, s[12:13]
	s_cbranch_execz .LBB143_372
; %bb.371:
	s_waitcnt vmcnt(0)
	v_bfe_u32 v3, v2, 20, 1
	s_mov_b32 s14, 0x407ffff
	v_add3_u32 v2, v2, v3, s14
	v_lshrrev_b32_e32 v3, 20, v2
	v_and_b32_e32 v2, 0xff00000, v2
	s_mov_b32 s14, 0x7f00000
	v_mov_b32_e32 v4, 0x7e
	v_cmp_ne_u32_e32 vcc, s14, v2
	v_cndmask_b32_e32 v3, v4, v3, vcc
                                        ; implicit-def: $vgpr2
.LBB143_372:
	s_andn2_saveexec_b64 s[12:13], s[12:13]
	s_cbranch_execz .LBB143_374
; %bb.373:
	s_waitcnt vmcnt(0)
	v_add_f32_e32 v3, 0x46800000, v2
.LBB143_374:
	s_or_b64 exec, exec, s[12:13]
                                        ; implicit-def: $vgpr2
.LBB143_375:
	s_andn2_saveexec_b64 s[10:11], s[10:11]
	s_cbranch_execz .LBB143_377
; %bb.376:
	s_mov_b32 s12, 0x7f800000
	s_waitcnt vmcnt(0)
	v_mov_b32_e32 v3, 0x7e
	v_mov_b32_e32 v4, 0x7f
	v_cmp_lt_u32_e32 vcc, s12, v2
	v_cndmask_b32_e32 v3, v3, v4, vcc
.LBB143_377:
	s_or_b64 exec, exec, s[10:11]
	s_waitcnt vmcnt(0)
	global_store_byte v[0:1], v3, off
.LBB143_378:
	s_mov_b64 s[10:11], 0
.LBB143_379:
	s_andn2_b64 vcc, exec, s[10:11]
	s_cbranch_vccnz .LBB143_389
; %bb.380:
	v_cndmask_b32_e64 v2, 0, 1.0, s[8:9]
	s_mov_b32 s10, 0x47800000
	v_cmp_gt_u32_e32 vcc, s10, v2
                                        ; implicit-def: $vgpr3
	s_and_saveexec_b64 s[10:11], vcc
	s_xor_b64 s[10:11], exec, s[10:11]
	s_cbranch_execz .LBB143_386
; %bb.381:
	s_mov_b32 s12, 0x387fffff
	v_cmp_lt_u32_e32 vcc, s12, v2
                                        ; implicit-def: $vgpr3
	s_and_saveexec_b64 s[12:13], vcc
	s_xor_b64 s[12:13], exec, s[12:13]
	s_cbranch_execz .LBB143_383
; %bb.382:
	s_waitcnt vmcnt(0)
	v_bfe_u32 v3, v2, 21, 1
	s_mov_b32 s14, 0x80fffff
	v_add3_u32 v2, v2, v3, s14
	v_lshrrev_b32_e32 v3, 21, v2
                                        ; implicit-def: $vgpr2
.LBB143_383:
	s_andn2_saveexec_b64 s[12:13], s[12:13]
	s_cbranch_execz .LBB143_385
; %bb.384:
	s_waitcnt vmcnt(0)
	v_add_f32_e32 v3, 0x43000000, v2
.LBB143_385:
	s_or_b64 exec, exec, s[12:13]
                                        ; implicit-def: $vgpr2
.LBB143_386:
	s_andn2_saveexec_b64 s[10:11], s[10:11]
	s_cbranch_execz .LBB143_388
; %bb.387:
	s_mov_b32 s12, 0x7f800000
	s_waitcnt vmcnt(0)
	v_mov_b32_e32 v3, 0x7c
	v_mov_b32_e32 v4, 0x7f
	v_cmp_lt_u32_e32 vcc, s12, v2
	v_cndmask_b32_e32 v3, v3, v4, vcc
.LBB143_388:
	s_or_b64 exec, exec, s[10:11]
	s_waitcnt vmcnt(0)
	global_store_byte v[0:1], v3, off
.LBB143_389:
	s_mov_b64 s[12:13], 0
	s_mov_b64 s[10:11], -1
.LBB143_390:
	s_andn2_b64 vcc, exec, s[12:13]
	s_cbranch_vccnz .LBB143_398
; %bb.391:
	s_cmp_gt_i32 s17, 14
	s_mov_b64 s[12:13], -1
	s_cbranch_scc0 .LBB143_395
; %bb.392:
	s_cmp_eq_u32 s17, 15
	s_mov_b64 s[0:1], -1
	s_cbranch_scc0 .LBB143_394
; %bb.393:
	v_cndmask_b32_e64 v2, 0, 1.0, s[8:9]
	s_waitcnt vmcnt(0)
	v_bfe_u32 v3, v2, 16, 1
	s_movk_i32 s0, 0x7fff
	v_add3_u32 v2, v2, v3, s0
	global_store_short_d16_hi v[0:1], v2, off
	s_mov_b64 s[10:11], -1
	s_mov_b64 s[0:1], 0
.LBB143_394:
	s_mov_b64 s[12:13], 0
.LBB143_395:
	s_and_b64 vcc, exec, s[12:13]
	s_cbranch_vccz .LBB143_398
; %bb.396:
	s_cmp_eq_u32 s17, 11
	s_mov_b64 s[0:1], -1
	s_cbranch_scc0 .LBB143_398
; %bb.397:
	v_cndmask_b32_e64 v2, 0, 1, s[8:9]
	s_mov_b64 s[10:11], -1
	s_mov_b64 s[0:1], 0
	global_store_byte v[0:1], v2, off
.LBB143_398:
	s_mov_b64 s[12:13], 0
.LBB143_399:
	s_and_b64 vcc, exec, s[12:13]
	s_cbranch_vccz .LBB143_438
; %bb.400:
	s_and_b32 s12, 0xffff, s16
	s_cmp_lt_i32 s12, 5
	s_mov_b64 s[10:11], -1
	s_cbranch_scc1 .LBB143_421
; %bb.401:
	s_cmp_lt_i32 s12, 8
	s_cbranch_scc1 .LBB143_411
; %bb.402:
	s_cmp_lt_i32 s12, 9
	s_cbranch_scc1 .LBB143_408
; %bb.403:
	s_cmp_gt_i32 s12, 9
	s_cbranch_scc0 .LBB143_405
; %bb.404:
	v_cndmask_b32_e64 v2, 0, 1, s[8:9]
	s_waitcnt vmcnt(0)
	v_cvt_f64_u32_e32 v[2:3], v2
	v_mov_b32_e32 v4, 0
	v_mov_b32_e32 v5, v4
	s_mov_b64 s[10:11], 0
	global_store_dwordx4 v[0:1], v[2:5], off
.LBB143_405:
	s_andn2_b64 vcc, exec, s[10:11]
	s_cbranch_vccnz .LBB143_407
; %bb.406:
	v_cndmask_b32_e64 v2, 0, 1.0, s[8:9]
	s_waitcnt vmcnt(0)
	v_mov_b32_e32 v3, 0
	global_store_dwordx2 v[0:1], v[2:3], off
.LBB143_407:
	s_mov_b64 s[10:11], 0
.LBB143_408:
	s_andn2_b64 vcc, exec, s[10:11]
	s_cbranch_vccnz .LBB143_410
; %bb.409:
	v_cndmask_b32_e64 v2, 0, 1.0, s[8:9]
	v_cvt_f16_f32_e32 v2, v2
	global_store_dword v[0:1], v2, off
.LBB143_410:
	s_mov_b64 s[10:11], 0
.LBB143_411:
	s_andn2_b64 vcc, exec, s[10:11]
	s_cbranch_vccnz .LBB143_420
; %bb.412:
	s_cmp_lt_i32 s12, 6
	s_mov_b64 s[10:11], -1
	s_cbranch_scc1 .LBB143_418
; %bb.413:
	s_cmp_gt_i32 s12, 6
	s_cbranch_scc0 .LBB143_415
; %bb.414:
	v_cndmask_b32_e64 v2, 0, 1, s[8:9]
	s_waitcnt vmcnt(0)
	v_cvt_f64_u32_e32 v[2:3], v2
	s_mov_b64 s[10:11], 0
	global_store_dwordx2 v[0:1], v[2:3], off
.LBB143_415:
	s_andn2_b64 vcc, exec, s[10:11]
	s_cbranch_vccnz .LBB143_417
; %bb.416:
	v_cndmask_b32_e64 v2, 0, 1.0, s[8:9]
	global_store_dword v[0:1], v2, off
.LBB143_417:
	s_mov_b64 s[10:11], 0
.LBB143_418:
	s_andn2_b64 vcc, exec, s[10:11]
	s_cbranch_vccnz .LBB143_420
; %bb.419:
	v_cndmask_b32_e64 v2, 0, 1.0, s[8:9]
	v_cvt_f16_f32_e32 v2, v2
	global_store_short v[0:1], v2, off
.LBB143_420:
	s_mov_b64 s[10:11], 0
.LBB143_421:
	s_andn2_b64 vcc, exec, s[10:11]
	s_cbranch_vccnz .LBB143_437
; %bb.422:
	s_cmp_lt_i32 s12, 2
	s_mov_b64 s[10:11], -1
	s_cbranch_scc1 .LBB143_432
; %bb.423:
	s_cmp_lt_i32 s12, 3
	s_cbranch_scc1 .LBB143_429
; %bb.424:
	s_cmp_gt_i32 s12, 3
	s_cbranch_scc0 .LBB143_426
; %bb.425:
	s_mov_b32 s10, 0
	v_cndmask_b32_e64 v2, 0, 1, s[8:9]
	s_waitcnt vmcnt(0)
	v_mov_b32_e32 v3, s10
	s_mov_b64 s[10:11], 0
	global_store_dwordx2 v[0:1], v[2:3], off
.LBB143_426:
	s_andn2_b64 vcc, exec, s[10:11]
	s_cbranch_vccnz .LBB143_428
; %bb.427:
	v_cndmask_b32_e64 v2, 0, 1, s[8:9]
	global_store_dword v[0:1], v2, off
.LBB143_428:
	s_mov_b64 s[10:11], 0
.LBB143_429:
	s_andn2_b64 vcc, exec, s[10:11]
	s_cbranch_vccnz .LBB143_431
; %bb.430:
	v_cndmask_b32_e64 v2, 0, 1, s[8:9]
	global_store_short v[0:1], v2, off
.LBB143_431:
	s_mov_b64 s[10:11], 0
.LBB143_432:
	s_andn2_b64 vcc, exec, s[10:11]
	s_cbranch_vccnz .LBB143_437
; %bb.433:
	s_mov_b64 s[10:11], -1
	s_cmp_gt_i32 s12, 0
	v_cndmask_b32_e64 v2, 0, 1, s[8:9]
	s_cbranch_scc0 .LBB143_435
; %bb.434:
	s_mov_b64 s[10:11], 0
	global_store_byte v[0:1], v2, off
.LBB143_435:
	s_andn2_b64 vcc, exec, s[10:11]
	s_cbranch_vccnz .LBB143_437
; %bb.436:
	global_store_byte v[0:1], v2, off
.LBB143_437:
	s_mov_b64 s[10:11], -1
.LBB143_438:
	s_andn2_b64 vcc, exec, s[10:11]
	s_cbranch_vccnz .LBB143_440
; %bb.439:
	v_add_u32_e32 v8, 0x80, v8
	s_mov_b64 s[8:9], -1
	s_branch .LBB143_558
.LBB143_440:
	s_mov_b64 s[8:9], 0
	s_branch .LBB143_557
.LBB143_441:
	s_mov_b64 s[2:3], -1
                                        ; implicit-def: $vgpr3
.LBB143_442:
	v_mov_b32_e32 v4, 0
.LBB143_443:
	s_mov_b64 s[8:9], 0
.LBB143_444:
	s_and_b64 vcc, exec, s[8:9]
	s_cbranch_vccz .LBB143_449
; %bb.445:
	s_cmp_eq_u32 s12, 29
	s_cbranch_scc0 .LBB143_447
; %bb.446:
	global_load_dwordx2 v[3:4], v[1:2], off
	s_mov_b64 s[0:1], -1
	s_mov_b64 s[2:3], 0
	s_waitcnt vmcnt(0)
	v_ffbh_u32_e32 v5, v4
	v_min_u32_e32 v5, 32, v5
	v_lshlrev_b64 v[3:4], v5, v[3:4]
	v_min_u32_e32 v3, 1, v3
	v_or_b32_e32 v3, v4, v3
	v_cvt_f32_u32_e32 v3, v3
	v_sub_u32_e32 v4, 32, v5
	v_ldexp_f32 v3, v3, v4
	s_branch .LBB143_448
.LBB143_447:
	s_mov_b64 s[2:3], -1
                                        ; implicit-def: $vgpr3
.LBB143_448:
	v_mov_b32_e32 v4, 0
.LBB143_449:
	s_mov_b64 s[8:9], 0
.LBB143_450:
	s_and_b64 vcc, exec, s[8:9]
	s_cbranch_vccz .LBB143_468
; %bb.451:
	s_cmp_lt_i32 s12, 27
	s_cbranch_scc1 .LBB143_454
; %bb.452:
	s_cmp_gt_i32 s12, 27
	s_cbranch_scc0 .LBB143_455
; %bb.453:
	global_load_dword v3, v[1:2], off
	s_mov_b64 s[0:1], 0
	s_waitcnt vmcnt(0)
	v_cvt_f32_u32_e32 v3, v3
	s_branch .LBB143_456
.LBB143_454:
	s_mov_b64 s[0:1], -1
                                        ; implicit-def: $vgpr3
	s_branch .LBB143_459
.LBB143_455:
	s_mov_b64 s[0:1], -1
                                        ; implicit-def: $vgpr3
.LBB143_456:
	s_andn2_b64 vcc, exec, s[0:1]
	s_cbranch_vccnz .LBB143_458
; %bb.457:
	global_load_ushort v3, v[1:2], off
	s_waitcnt vmcnt(0)
	v_cvt_f32_u32_e32 v3, v3
.LBB143_458:
	s_mov_b64 s[0:1], 0
.LBB143_459:
	s_andn2_b64 vcc, exec, s[0:1]
	s_cbranch_vccnz .LBB143_467
; %bb.460:
	global_load_ubyte v4, v[1:2], off
	s_movk_i32 s0, 0x7f
	s_waitcnt vmcnt(0)
	v_cmp_lt_i16_e32 vcc, s0, v4
	s_mov_b64 s[0:1], 0
	s_and_saveexec_b64 s[8:9], vcc
	s_xor_b64 s[8:9], exec, s[8:9]
	s_cbranch_execz .LBB143_481
; %bb.461:
	s_movk_i32 s0, 0x80
	v_cmp_eq_u16_e32 vcc, s0, v4
	s_mov_b64 s[0:1], -1
	s_and_saveexec_b64 s[10:11], vcc
; %bb.462:
	s_xor_b64 s[0:1], exec, -1
; %bb.463:
	s_or_b64 exec, exec, s[10:11]
	s_and_b64 s[0:1], s[0:1], exec
	s_or_saveexec_b64 s[8:9], s[8:9]
	v_mov_b32_e32 v3, 0x7f800001
	s_xor_b64 exec, exec, s[8:9]
	s_cbranch_execnz .LBB143_482
.LBB143_464:
	s_or_b64 exec, exec, s[8:9]
	s_and_saveexec_b64 s[8:9], s[0:1]
	s_cbranch_execz .LBB143_466
.LBB143_465:
	v_lshlrev_b32_e32 v3, 24, v4
	v_and_b32_e32 v4, 0xffff, v4
	v_and_b32_e32 v5, 7, v4
	v_ffbh_u32_e32 v7, v5
	v_min_u32_e32 v7, 32, v7
	v_subrev_u32_e32 v9, 28, v7
	v_bfe_u32 v6, v4, 3, 4
	v_lshlrev_b32_e32 v4, v9, v4
	v_sub_u32_e32 v7, 29, v7
	v_and_b32_e32 v4, 7, v4
	v_cmp_eq_u32_e32 vcc, 0, v6
	v_cndmask_b32_e32 v6, v6, v7, vcc
	v_cndmask_b32_e32 v4, v5, v4, vcc
	v_mov_b32_e32 v5, 0x3b800000
	v_lshlrev_b32_e32 v4, 20, v4
	v_and_b32_e32 v3, 0x80000000, v3
	v_lshl_add_u32 v5, v6, 23, v5
	v_or3_b32 v3, v3, v5, v4
.LBB143_466:
	s_or_b64 exec, exec, s[8:9]
.LBB143_467:
	s_mov_b64 s[0:1], -1
	v_mov_b32_e32 v4, 0
.LBB143_468:
	s_mov_b64 s[8:9], 0
.LBB143_469:
	s_and_b64 vcc, exec, s[8:9]
	s_cbranch_vccz .LBB143_505
; %bb.470:
	s_cmp_gt_i32 s12, 22
	s_cbranch_scc0 .LBB143_480
; %bb.471:
	s_cmp_lt_i32 s12, 24
	s_cbranch_scc1 .LBB143_483
; %bb.472:
	s_cmp_gt_i32 s12, 24
	s_cbranch_scc0 .LBB143_484
; %bb.473:
	global_load_ubyte v4, v[1:2], off
	s_movk_i32 s0, 0x7f
	s_waitcnt vmcnt(0)
	v_cmp_lt_i16_e32 vcc, s0, v4
	s_mov_b64 s[0:1], 0
	s_and_saveexec_b64 s[8:9], vcc
	s_xor_b64 s[8:9], exec, s[8:9]
	s_cbranch_execz .LBB143_496
; %bb.474:
	s_movk_i32 s0, 0x80
	v_cmp_eq_u16_e32 vcc, s0, v4
	s_mov_b64 s[0:1], -1
	s_and_saveexec_b64 s[10:11], vcc
; %bb.475:
	s_xor_b64 s[0:1], exec, -1
; %bb.476:
	s_or_b64 exec, exec, s[10:11]
	s_and_b64 s[0:1], s[0:1], exec
	s_or_saveexec_b64 s[8:9], s[8:9]
	v_mov_b32_e32 v3, 0x7f800001
	s_xor_b64 exec, exec, s[8:9]
	s_cbranch_execnz .LBB143_497
.LBB143_477:
	s_or_b64 exec, exec, s[8:9]
	s_and_saveexec_b64 s[8:9], s[0:1]
	s_cbranch_execz .LBB143_479
.LBB143_478:
	v_lshlrev_b32_e32 v3, 24, v4
	v_and_b32_e32 v4, 0xffff, v4
	v_and_b32_e32 v5, 3, v4
	v_ffbh_u32_e32 v7, v5
	v_min_u32_e32 v7, 32, v7
	v_subrev_u32_e32 v9, 29, v7
	v_bfe_u32 v6, v4, 2, 5
	v_lshlrev_b32_e32 v4, v9, v4
	v_sub_u32_e32 v7, 30, v7
	v_and_b32_e32 v4, 3, v4
	v_cmp_eq_u32_e32 vcc, 0, v6
	v_cndmask_b32_e32 v6, v6, v7, vcc
	v_cndmask_b32_e32 v4, v5, v4, vcc
	v_mov_b32_e32 v5, 0x37800000
	v_lshlrev_b32_e32 v4, 21, v4
	v_and_b32_e32 v3, 0x80000000, v3
	v_lshl_add_u32 v5, v6, 23, v5
	v_or3_b32 v3, v3, v5, v4
.LBB143_479:
	s_or_b64 exec, exec, s[8:9]
	s_mov_b64 s[0:1], 0
	s_branch .LBB143_485
.LBB143_480:
	s_mov_b64 s[8:9], -1
                                        ; implicit-def: $vgpr3
	s_branch .LBB143_491
.LBB143_481:
	s_or_saveexec_b64 s[8:9], s[8:9]
	v_mov_b32_e32 v3, 0x7f800001
	s_xor_b64 exec, exec, s[8:9]
	s_cbranch_execz .LBB143_464
.LBB143_482:
	v_cmp_ne_u16_e32 vcc, 0, v4
	s_andn2_b64 s[0:1], s[0:1], exec
	s_and_b64 s[10:11], vcc, exec
	v_mov_b32_e32 v3, 0
	s_or_b64 s[0:1], s[0:1], s[10:11]
	s_or_b64 exec, exec, s[8:9]
	s_and_saveexec_b64 s[8:9], s[0:1]
	s_cbranch_execnz .LBB143_465
	s_branch .LBB143_466
.LBB143_483:
	s_mov_b64 s[0:1], -1
                                        ; implicit-def: $vgpr3
	s_branch .LBB143_488
.LBB143_484:
	s_mov_b64 s[0:1], -1
                                        ; implicit-def: $vgpr3
.LBB143_485:
	s_and_b64 vcc, exec, s[0:1]
	s_cbranch_vccz .LBB143_487
; %bb.486:
	global_load_ubyte v3, v[1:2], off
	s_mov_b32 s0, 0x7f800000
	s_waitcnt vmcnt(0)
	v_lshlrev_b32_e32 v3, 24, v3
	v_and_b32_e32 v4, 0x7f000000, v3
	v_ffbh_u32_e32 v5, v4
	v_min_u32_e32 v5, 32, v5
	v_sub_u32_e64 v5, v5, 4 clamp
	v_lshlrev_b32_e32 v7, v5, v4
	v_lshlrev_b32_e32 v5, 23, v5
	v_lshrrev_b32_e32 v7, 4, v7
	v_add_u32_e32 v6, 0x1000000, v4
	v_sub_u32_e32 v5, v7, v5
	v_ashrrev_i32_e32 v6, 8, v6
	v_add_u32_e32 v5, 0x3c000000, v5
	v_and_or_b32 v5, v6, s0, v5
	v_cmp_ne_u32_e32 vcc, 0, v4
	v_cndmask_b32_e32 v4, 0, v5, vcc
	s_brev_b32 s0, 1
	v_and_or_b32 v3, v3, s0, v4
.LBB143_487:
	s_mov_b64 s[0:1], 0
.LBB143_488:
	s_andn2_b64 vcc, exec, s[0:1]
	s_cbranch_vccnz .LBB143_490
; %bb.489:
	global_load_ubyte v3, v[1:2], off
	s_movk_i32 s0, 0x7f00
	s_brev_b32 s1, 16
	s_waitcnt vmcnt(0)
	v_lshlrev_b16_e32 v4, 8, v3
	v_lshlrev_b32_e32 v3, 25, v3
	v_lshrrev_b32_e32 v5, 4, v3
	v_and_or_b32 v6, v4, s0, 0.5
	v_or_b32_e32 v5, 0x70000000, v5
	v_add_f32_e32 v6, -0.5, v6
	v_mul_f32_e32 v5, 0x7800000, v5
	v_cmp_gt_u32_e32 vcc, s1, v3
	v_bfe_i32 v4, v4, 0, 16
	v_cndmask_b32_e32 v3, v5, v6, vcc
	s_brev_b32 s0, 1
	v_and_or_b32 v3, v4, s0, v3
.LBB143_490:
	s_mov_b64 s[8:9], 0
	s_mov_b64 s[0:1], -1
.LBB143_491:
	s_andn2_b64 vcc, exec, s[8:9]
	s_cbranch_vccnz .LBB143_504
; %bb.492:
	s_cmp_gt_i32 s12, 14
	s_cbranch_scc0 .LBB143_495
; %bb.493:
	s_cmp_eq_u32 s12, 15
	s_cbranch_scc0 .LBB143_498
; %bb.494:
	global_load_ushort v3, v[1:2], off
	s_mov_b64 s[0:1], -1
	s_mov_b64 s[2:3], 0
	s_waitcnt vmcnt(0)
	v_lshlrev_b32_e32 v3, 16, v3
	s_branch .LBB143_499
.LBB143_495:
	s_mov_b64 s[8:9], -1
                                        ; implicit-def: $vgpr3
	s_branch .LBB143_500
.LBB143_496:
	s_or_saveexec_b64 s[8:9], s[8:9]
	v_mov_b32_e32 v3, 0x7f800001
	s_xor_b64 exec, exec, s[8:9]
	s_cbranch_execz .LBB143_477
.LBB143_497:
	v_cmp_ne_u16_e32 vcc, 0, v4
	s_andn2_b64 s[0:1], s[0:1], exec
	s_and_b64 s[10:11], vcc, exec
	v_mov_b32_e32 v3, 0
	s_or_b64 s[0:1], s[0:1], s[10:11]
	s_or_b64 exec, exec, s[8:9]
	s_and_saveexec_b64 s[8:9], s[0:1]
	s_cbranch_execnz .LBB143_478
	s_branch .LBB143_479
.LBB143_498:
	s_mov_b64 s[2:3], -1
                                        ; implicit-def: $vgpr3
.LBB143_499:
	s_mov_b64 s[8:9], 0
.LBB143_500:
	s_and_b64 vcc, exec, s[8:9]
	s_cbranch_vccz .LBB143_504
; %bb.501:
	s_cmp_eq_u32 s12, 11
	s_cbranch_scc0 .LBB143_503
; %bb.502:
	global_load_ubyte v3, v[1:2], off
	s_mov_b64 s[0:1], -1
	s_mov_b64 s[2:3], 0
	v_mov_b32_e32 v4, 0
	s_waitcnt vmcnt(0)
	v_cmp_ne_u16_e32 vcc, 0, v3
	v_cndmask_b32_e64 v3, 0, 1.0, vcc
	s_branch .LBB143_505
.LBB143_503:
	s_mov_b64 s[2:3], -1
                                        ; implicit-def: $vgpr3
.LBB143_504:
	v_mov_b32_e32 v4, 0
.LBB143_505:
	s_branch .LBB143_301
.LBB143_506:
	s_cmp_lt_i32 s12, 5
	s_cbranch_scc1 .LBB143_511
; %bb.507:
	s_cmp_lt_i32 s12, 8
	s_cbranch_scc1 .LBB143_512
; %bb.508:
	;; [unrolled: 3-line block ×3, first 2 shown]
	s_cmp_gt_i32 s12, 9
	s_cbranch_scc0 .LBB143_514
; %bb.510:
	global_load_dwordx4 v[3:6], v[1:2], off
	s_mov_b64 s[0:1], 0
	s_waitcnt vmcnt(0)
	v_cvt_f32_f64_e32 v3, v[3:4]
	v_cvt_f32_f64_e32 v4, v[5:6]
	s_branch .LBB143_515
.LBB143_511:
	s_mov_b64 s[0:1], -1
                                        ; implicit-def: $vgpr4
	s_branch .LBB143_534
.LBB143_512:
	s_mov_b64 s[0:1], -1
                                        ; implicit-def: $vgpr4
	s_branch .LBB143_521
.LBB143_513:
	s_mov_b64 s[0:1], -1
                                        ; implicit-def: $vgpr4
	s_branch .LBB143_518
.LBB143_514:
	s_mov_b64 s[0:1], -1
                                        ; implicit-def: $vgpr4
.LBB143_515:
	s_andn2_b64 vcc, exec, s[0:1]
	s_cbranch_vccnz .LBB143_517
; %bb.516:
	global_load_dwordx2 v[3:4], v[1:2], off
.LBB143_517:
	s_mov_b64 s[0:1], 0
.LBB143_518:
	s_andn2_b64 vcc, exec, s[0:1]
	s_cbranch_vccnz .LBB143_520
; %bb.519:
	global_load_dword v4, v[1:2], off
	s_waitcnt vmcnt(0)
	v_cvt_f32_f16_e32 v3, v4
	v_cvt_f32_f16_sdwa v4, v4 dst_sel:DWORD dst_unused:UNUSED_PAD src0_sel:WORD_1
.LBB143_520:
	s_mov_b64 s[0:1], 0
.LBB143_521:
	s_andn2_b64 vcc, exec, s[0:1]
	s_cbranch_vccnz .LBB143_533
; %bb.522:
	s_cmp_lt_i32 s12, 6
	s_cbranch_scc1 .LBB143_525
; %bb.523:
	s_cmp_gt_i32 s12, 6
	s_cbranch_scc0 .LBB143_526
; %bb.524:
	global_load_dwordx2 v[3:4], v[1:2], off
	s_mov_b64 s[0:1], 0
	s_waitcnt vmcnt(0)
	v_cvt_f32_f64_e32 v3, v[3:4]
	s_branch .LBB143_527
.LBB143_525:
	s_mov_b64 s[0:1], -1
                                        ; implicit-def: $vgpr3
	s_branch .LBB143_530
.LBB143_526:
	s_mov_b64 s[0:1], -1
                                        ; implicit-def: $vgpr3
.LBB143_527:
	s_andn2_b64 vcc, exec, s[0:1]
	s_cbranch_vccnz .LBB143_529
; %bb.528:
	global_load_dword v3, v[1:2], off
.LBB143_529:
	s_mov_b64 s[0:1], 0
.LBB143_530:
	s_andn2_b64 vcc, exec, s[0:1]
	s_cbranch_vccnz .LBB143_532
; %bb.531:
	global_load_ushort v3, v[1:2], off
	s_waitcnt vmcnt(0)
	v_cvt_f32_f16_e32 v3, v3
.LBB143_532:
	s_waitcnt vmcnt(0)
	v_mov_b32_e32 v4, 0
.LBB143_533:
	s_mov_b64 s[0:1], 0
.LBB143_534:
	s_andn2_b64 vcc, exec, s[0:1]
	s_cbranch_vccnz .LBB143_555
; %bb.535:
	s_cmp_lt_i32 s12, 2
	s_cbranch_scc1 .LBB143_539
; %bb.536:
	s_cmp_lt_i32 s12, 3
	s_cbranch_scc1 .LBB143_540
; %bb.537:
	s_cmp_gt_i32 s12, 3
	s_cbranch_scc0 .LBB143_541
; %bb.538:
	global_load_dwordx2 v[3:4], v[1:2], off
	s_mov_b64 s[0:1], 0
	s_waitcnt vmcnt(0)
	v_xor_b32_e32 v6, v3, v4
	v_ffbh_i32_e32 v5, v4
	v_ashrrev_i32_e32 v6, 31, v6
	v_add_u32_e32 v5, -1, v5
	v_add_u32_e32 v6, 32, v6
	v_min_u32_e32 v5, v5, v6
	v_lshlrev_b64 v[3:4], v5, v[3:4]
	v_min_u32_e32 v3, 1, v3
	v_or_b32_e32 v3, v4, v3
	v_cvt_f32_i32_e32 v3, v3
	v_sub_u32_e32 v4, 32, v5
	v_ldexp_f32 v3, v3, v4
	s_branch .LBB143_542
.LBB143_539:
	s_mov_b64 s[0:1], -1
                                        ; implicit-def: $vgpr3
	s_branch .LBB143_548
.LBB143_540:
	s_mov_b64 s[0:1], -1
                                        ; implicit-def: $vgpr3
	s_branch .LBB143_545
.LBB143_541:
	s_mov_b64 s[0:1], -1
                                        ; implicit-def: $vgpr3
.LBB143_542:
	s_andn2_b64 vcc, exec, s[0:1]
	s_cbranch_vccnz .LBB143_544
; %bb.543:
	global_load_dword v3, v[1:2], off
	s_waitcnt vmcnt(0)
	v_cvt_f32_i32_e32 v3, v3
.LBB143_544:
	s_mov_b64 s[0:1], 0
.LBB143_545:
	s_andn2_b64 vcc, exec, s[0:1]
	s_cbranch_vccnz .LBB143_547
; %bb.546:
	global_load_sshort v3, v[1:2], off
	s_waitcnt vmcnt(0)
	v_cvt_f32_i32_e32 v3, v3
.LBB143_547:
	s_mov_b64 s[0:1], 0
.LBB143_548:
	s_andn2_b64 vcc, exec, s[0:1]
	s_cbranch_vccnz .LBB143_554
; %bb.549:
	s_cmp_gt_i32 s12, 0
	s_cbranch_scc0 .LBB143_551
; %bb.550:
	global_load_sbyte v3, v[1:2], off
	s_mov_b64 s[0:1], 0
	s_waitcnt vmcnt(0)
	v_cvt_f32_i32_e32 v3, v3
	s_branch .LBB143_552
.LBB143_551:
	s_mov_b64 s[0:1], -1
                                        ; implicit-def: $vgpr3
.LBB143_552:
	s_andn2_b64 vcc, exec, s[0:1]
	s_cbranch_vccnz .LBB143_554
; %bb.553:
	global_load_ubyte v1, v[1:2], off
	s_waitcnt vmcnt(0)
	v_cvt_f32_ubyte0_e32 v3, v1
.LBB143_554:
	s_waitcnt vmcnt(0)
	v_mov_b32_e32 v4, 0
.LBB143_555:
	s_branch .LBB143_302
.LBB143_556:
	s_mov_b64 s[8:9], 0
	s_mov_b64 s[0:1], s[56:57]
.LBB143_557:
                                        ; implicit-def: $vgpr8
.LBB143_558:
	s_andn2_b64 s[10:11], s[56:57], exec
	s_and_b64 s[0:1], s[0:1], exec
	s_or_b64 s[64:65], s[10:11], s[0:1]
	s_andn2_b64 s[0:1], s[58:59], exec
	s_and_b64 s[2:3], s[2:3], exec
	s_or_b64 s[62:63], s[0:1], s[2:3]
	s_orn2_b64 s[0:1], s[8:9], exec
.LBB143_559:
	s_or_b64 exec, exec, s[66:67]
	s_mov_b64 s[2:3], 0
	s_mov_b64 s[8:9], 0
	;; [unrolled: 1-line block ×3, first 2 shown]
                                        ; implicit-def: $vgpr1_vgpr2
                                        ; implicit-def: $vgpr0
                                        ; implicit-def: $vgpr4
	s_and_saveexec_b64 s[66:67], s[0:1]
	s_cbranch_execz .LBB143_947
; %bb.560:
	v_cmp_gt_i32_e32 vcc, s74, v8
	s_mov_b64 s[2:3], -1
	s_mov_b64 s[70:71], s[62:63]
	s_mov_b64 s[72:73], s[64:65]
	s_and_saveexec_b64 s[68:69], vcc
	s_cbranch_execz .LBB143_844
; %bb.561:
	s_andn2_b64 vcc, exec, s[40:41]
	s_cbranch_vccnz .LBB143_566
; %bb.562:
	s_andn2_b64 vcc, exec, s[54:55]
	s_cbranch_vccnz .LBB143_567
; %bb.563:
	s_add_i32 s80, s79, 1
	s_cmp_eq_u32 s76, 2
	s_cbranch_scc1 .LBB143_568
; %bb.564:
	s_and_b32 s75, s80, 28
	v_mov_b32_e32 v2, 0
	s_mov_b32 s81, 0
	s_mov_b64 s[70:71], s[34:35]
	s_mov_b64 s[72:73], s[52:53]
	v_mov_b32_e32 v0, 0
	v_mov_b32_e32 v1, v8
.LBB143_565:                            ; =>This Inner Loop Header: Depth=1
	s_load_dwordx8 s[16:23], s[70:71], 0x4
	s_load_dwordx4 s[0:3], s[70:71], 0x24
	s_load_dwordx8 s[8:15], s[72:73], 0x0
	s_add_u32 s70, s70, 48
	s_addc_u32 s71, s71, 0
	s_waitcnt vmcnt(0) lgkmcnt(0)
	v_mul_hi_u32 v3, s17, v1
	s_add_i32 s81, s81, 4
	s_add_u32 s72, s72, 32
	s_addc_u32 s73, s73, 0
	v_add_u32_e32 v3, v1, v3
	v_lshrrev_b32_e32 v3, s18, v3
	v_mul_lo_u32 v4, v3, s16
	v_mul_hi_u32 v5, s20, v3
	s_cmp_eq_u32 s75, s81
	v_sub_u32_e32 v1, v1, v4
	v_add_u32_e32 v4, v3, v5
	v_mul_lo_u32 v5, v1, s8
	v_mul_lo_u32 v6, v1, s9
	v_lshrrev_b32_e32 v1, s21, v4
	v_mul_lo_u32 v4, v1, s19
	v_mul_hi_u32 v7, s23, v1
	v_sub_u32_e32 v3, v3, v4
	v_add_u32_e32 v4, v1, v7
	v_lshrrev_b32_e32 v4, s0, v4
	v_mul_hi_u32 v9, s2, v4
	v_mul_lo_u32 v10, v4, s22
	v_mul_lo_u32 v7, v3, s10
	;; [unrolled: 1-line block ×3, first 2 shown]
	v_sub_u32_e32 v10, v1, v10
	v_add_u32_e32 v1, v4, v9
	v_lshrrev_b32_e32 v1, s3, v1
	v_mul_lo_u32 v9, v1, s1
	v_mul_lo_u32 v11, v10, s12
	;; [unrolled: 1-line block ×3, first 2 shown]
	v_add3_u32 v0, v5, v0, v7
	v_sub_u32_e32 v4, v4, v9
	v_mul_lo_u32 v9, v4, s14
	v_mul_lo_u32 v4, v4, s15
	v_add3_u32 v2, v6, v2, v3
	v_add3_u32 v0, v11, v0, v9
	;; [unrolled: 1-line block ×3, first 2 shown]
	s_cbranch_scc0 .LBB143_565
	s_branch .LBB143_569
.LBB143_566:
	s_mov_b64 s[0:1], -1
                                        ; implicit-def: $vgpr0
                                        ; implicit-def: $vgpr2
	s_branch .LBB143_573
.LBB143_567:
	v_mov_b32_e32 v0, 0
	v_mov_b32_e32 v2, 0
	s_branch .LBB143_572
.LBB143_568:
	s_mov_b32 s75, 0
	v_mov_b32_e32 v0, 0
	v_mov_b32_e32 v2, 0
	;; [unrolled: 1-line block ×3, first 2 shown]
.LBB143_569:
	s_and_b32 s8, s80, 3
	s_cmp_eq_u32 s8, 0
	s_cbranch_scc1 .LBB143_572
; %bb.570:
	s_lshl_b32 s0, s75, 3
	s_add_u32 s0, s34, s0
	s_addc_u32 s1, s35, 0
	s_add_u32 s0, s0, 0xc4
	s_addc_u32 s1, s1, 0
	s_mul_i32 s2, s75, 12
	s_add_u32 s2, s34, s2
	s_addc_u32 s3, s35, 0
.LBB143_571:                            ; =>This Inner Loop Header: Depth=1
	s_load_dwordx2 s[10:11], s[2:3], 0x4
	s_load_dword s9, s[2:3], 0xc
	s_load_dwordx2 s[12:13], s[0:1], 0x0
	s_add_u32 s2, s2, 12
	s_addc_u32 s3, s3, 0
	s_waitcnt vmcnt(0) lgkmcnt(0)
	v_mul_hi_u32 v3, s11, v1
	s_add_u32 s0, s0, 8
	s_addc_u32 s1, s1, 0
	s_add_i32 s8, s8, -1
	v_add_u32_e32 v3, v1, v3
	v_lshrrev_b32_e32 v4, s9, v3
	v_mul_lo_u32 v3, v4, s10
	s_cmp_lg_u32 s8, 0
	v_sub_u32_e32 v3, v1, v3
	v_mad_u64_u32 v[0:1], s[10:11], v3, s12, v[0:1]
	v_mad_u64_u32 v[2:3], s[10:11], v3, s13, v[2:3]
	v_mov_b32_e32 v1, v4
	s_cbranch_scc1 .LBB143_571
.LBB143_572:
	s_mov_b64 s[0:1], 0
.LBB143_573:
	s_andn2_b64 vcc, exec, s[0:1]
	s_cbranch_vccnz .LBB143_576
; %bb.574:
	v_mul_hi_u32 v0, s29, v8
	s_andn2_b64 vcc, exec, s[50:51]
	v_add_u32_e32 v0, v8, v0
	v_lshrrev_b32_e32 v1, s30, v0
	v_mul_lo_u32 v0, v1, s28
	v_sub_u32_e32 v2, v8, v0
	v_mul_lo_u32 v0, v2, s36
	v_mul_lo_u32 v2, v2, s37
	s_cbranch_vccnz .LBB143_576
; %bb.575:
	s_waitcnt vmcnt(0)
	v_mul_hi_u32 v3, s48, v1
	v_add_u32_e32 v3, v1, v3
	v_lshrrev_b32_e32 v3, s49, v3
	v_mul_lo_u32 v3, v3, s31
	v_sub_u32_e32 v3, v1, v3
	v_mad_u64_u32 v[0:1], s[0:1], v3, s38, v[0:1]
	v_mad_u64_u32 v[2:3], s[0:1], v3, s39, v[2:3]
.LBB143_576:
	s_waitcnt vmcnt(0)
	v_mov_b32_e32 v3, s27
	s_and_b32 s12, 0xffff, s78
	v_add_co_u32_e32 v1, vcc, s26, v2
	s_cmp_lt_i32 s12, 11
	v_addc_co_u32_e32 v2, vcc, 0, v3, vcc
	s_cbranch_scc1 .LBB143_583
; %bb.577:
	s_cmp_gt_i32 s12, 25
	s_cbranch_scc0 .LBB143_584
; %bb.578:
	s_cmp_gt_i32 s12, 28
	s_cbranch_scc0 .LBB143_585
	;; [unrolled: 3-line block ×4, first 2 shown]
; %bb.581:
	s_cmp_eq_u32 s12, 46
	s_mov_b64 s[8:9], 0
	s_cbranch_scc0 .LBB143_592
; %bb.582:
	global_load_dword v3, v[1:2], off
	s_mov_b64 s[0:1], -1
	s_mov_b64 s[2:3], 0
	s_waitcnt vmcnt(0)
	v_and_b32_e32 v4, 0xffff0000, v3
	v_lshlrev_b32_e32 v3, 16, v3
	s_branch .LBB143_593
.LBB143_583:
	s_mov_b64 s[8:9], -1
	s_mov_b64 s[0:1], 0
                                        ; implicit-def: $vgpr4
	s_mov_b64 s[2:3], s[62:63]
	s_branch .LBB143_661
.LBB143_584:
	s_mov_b64 s[8:9], -1
	s_mov_b64 s[0:1], 0
	s_mov_b64 s[2:3], s[62:63]
                                        ; implicit-def: $vgpr4
	s_branch .LBB143_624
.LBB143_585:
	s_mov_b64 s[8:9], -1
	s_mov_b64 s[0:1], 0
	s_mov_b64 s[2:3], s[62:63]
                                        ; implicit-def: $vgpr4
	s_branch .LBB143_605
.LBB143_586:
	s_mov_b64 s[8:9], -1
	s_mov_b64 s[0:1], 0
	s_mov_b64 s[2:3], s[62:63]
                                        ; implicit-def: $vgpr4
	s_branch .LBB143_599
.LBB143_587:
	s_andn2_saveexec_b64 s[14:15], s[14:15]
	s_cbranch_execz .LBB143_351
.LBB143_588:
	v_add_f32_e32 v2, 0x46000000, v3
	v_and_b32_e32 v2, 0xff, v2
	v_cmp_ne_u32_e32 vcc, 0, v2
	s_andn2_b64 s[12:13], s[12:13], exec
	s_and_b64 s[18:19], vcc, exec
	s_or_b64 s[12:13], s[12:13], s[18:19]
	s_or_b64 exec, exec, s[14:15]
	v_mov_b32_e32 v4, 0
	s_and_saveexec_b64 s[14:15], s[12:13]
	s_cbranch_execnz .LBB143_352
	s_branch .LBB143_353
.LBB143_589:
	s_mov_b64 s[8:9], -1
	s_mov_b64 s[0:1], 0
	s_mov_b64 s[2:3], s[62:63]
                                        ; implicit-def: $vgpr4
	s_branch .LBB143_593
.LBB143_590:
	s_andn2_saveexec_b64 s[14:15], s[14:15]
	s_cbranch_execz .LBB143_364
.LBB143_591:
	v_add_f32_e32 v2, 0x42800000, v3
	v_and_b32_e32 v2, 0xff, v2
	v_cmp_ne_u32_e32 vcc, 0, v2
	s_andn2_b64 s[12:13], s[12:13], exec
	s_and_b64 s[18:19], vcc, exec
	s_or_b64 s[12:13], s[12:13], s[18:19]
	s_or_b64 exec, exec, s[14:15]
	v_mov_b32_e32 v4, 0
	s_and_saveexec_b64 s[14:15], s[12:13]
	s_cbranch_execnz .LBB143_365
	s_branch .LBB143_366
.LBB143_592:
	s_mov_b64 s[2:3], -1
                                        ; implicit-def: $vgpr4
	s_mov_b64 s[0:1], 0
.LBB143_593:
	s_and_b64 vcc, exec, s[8:9]
	s_cbranch_vccz .LBB143_598
; %bb.594:
	s_cmp_eq_u32 s12, 44
	s_cbranch_scc0 .LBB143_596
; %bb.595:
	global_load_ubyte v3, v[1:2], off
	s_movk_i32 s2, 0xff
	v_mov_b32_e32 v4, 0x7f800001
	v_mov_b32_e32 v5, 0x400000
	s_mov_b64 s[0:1], -1
	s_waitcnt vmcnt(0)
	v_lshlrev_b32_e32 v6, 23, v3
	v_cmp_ne_u32_e32 vcc, s2, v3
	v_cndmask_b32_e32 v4, v4, v6, vcc
	v_cmp_ne_u32_e32 vcc, 0, v3
	v_cndmask_b32_e32 v3, v5, v4, vcc
	s_mov_b64 s[2:3], 0
	s_branch .LBB143_597
.LBB143_596:
	s_mov_b64 s[2:3], -1
                                        ; implicit-def: $vgpr3
.LBB143_597:
	v_mov_b32_e32 v4, 0
.LBB143_598:
	s_mov_b64 s[8:9], 0
.LBB143_599:
	s_and_b64 vcc, exec, s[8:9]
	s_cbranch_vccz .LBB143_604
; %bb.600:
	s_cmp_eq_u32 s12, 29
	s_cbranch_scc0 .LBB143_602
; %bb.601:
	global_load_dwordx2 v[3:4], v[1:2], off
	s_mov_b64 s[0:1], -1
	s_mov_b64 s[2:3], 0
	s_waitcnt vmcnt(0)
	v_ffbh_u32_e32 v5, v4
	v_min_u32_e32 v5, 32, v5
	v_lshlrev_b64 v[3:4], v5, v[3:4]
	v_min_u32_e32 v3, 1, v3
	v_or_b32_e32 v3, v4, v3
	v_cvt_f32_u32_e32 v3, v3
	v_sub_u32_e32 v4, 32, v5
	v_ldexp_f32 v3, v3, v4
	s_branch .LBB143_603
.LBB143_602:
	s_mov_b64 s[2:3], -1
                                        ; implicit-def: $vgpr3
.LBB143_603:
	v_mov_b32_e32 v4, 0
.LBB143_604:
	s_mov_b64 s[8:9], 0
.LBB143_605:
	s_and_b64 vcc, exec, s[8:9]
	s_cbranch_vccz .LBB143_623
; %bb.606:
	s_cmp_lt_i32 s12, 27
	s_cbranch_scc1 .LBB143_609
; %bb.607:
	s_cmp_gt_i32 s12, 27
	s_cbranch_scc0 .LBB143_610
; %bb.608:
	global_load_dword v3, v[1:2], off
	s_mov_b64 s[0:1], 0
	s_waitcnt vmcnt(0)
	v_cvt_f32_u32_e32 v3, v3
	s_branch .LBB143_611
.LBB143_609:
	s_mov_b64 s[0:1], -1
                                        ; implicit-def: $vgpr3
	s_branch .LBB143_614
.LBB143_610:
	s_mov_b64 s[0:1], -1
                                        ; implicit-def: $vgpr3
.LBB143_611:
	s_andn2_b64 vcc, exec, s[0:1]
	s_cbranch_vccnz .LBB143_613
; %bb.612:
	global_load_ushort v3, v[1:2], off
	s_waitcnt vmcnt(0)
	v_cvt_f32_u32_e32 v3, v3
.LBB143_613:
	s_mov_b64 s[0:1], 0
.LBB143_614:
	s_andn2_b64 vcc, exec, s[0:1]
	s_cbranch_vccnz .LBB143_622
; %bb.615:
	global_load_ubyte v4, v[1:2], off
	s_movk_i32 s0, 0x7f
	s_waitcnt vmcnt(0)
	v_cmp_lt_i16_e32 vcc, s0, v4
	s_mov_b64 s[0:1], 0
	s_and_saveexec_b64 s[8:9], vcc
	s_xor_b64 s[8:9], exec, s[8:9]
	s_cbranch_execz .LBB143_636
; %bb.616:
	s_movk_i32 s0, 0x80
	v_cmp_eq_u16_e32 vcc, s0, v4
	s_mov_b64 s[0:1], -1
	s_and_saveexec_b64 s[10:11], vcc
; %bb.617:
	s_xor_b64 s[0:1], exec, -1
; %bb.618:
	s_or_b64 exec, exec, s[10:11]
	s_and_b64 s[0:1], s[0:1], exec
	s_or_saveexec_b64 s[8:9], s[8:9]
	v_mov_b32_e32 v3, 0x7f800001
	s_xor_b64 exec, exec, s[8:9]
	s_cbranch_execnz .LBB143_637
.LBB143_619:
	s_or_b64 exec, exec, s[8:9]
	s_and_saveexec_b64 s[8:9], s[0:1]
	s_cbranch_execz .LBB143_621
.LBB143_620:
	v_lshlrev_b32_e32 v3, 24, v4
	v_and_b32_e32 v4, 0xffff, v4
	v_and_b32_e32 v5, 7, v4
	v_ffbh_u32_e32 v7, v5
	v_min_u32_e32 v7, 32, v7
	v_subrev_u32_e32 v9, 28, v7
	v_bfe_u32 v6, v4, 3, 4
	v_lshlrev_b32_e32 v4, v9, v4
	v_sub_u32_e32 v7, 29, v7
	v_and_b32_e32 v4, 7, v4
	v_cmp_eq_u32_e32 vcc, 0, v6
	v_cndmask_b32_e32 v6, v6, v7, vcc
	v_cndmask_b32_e32 v4, v5, v4, vcc
	v_mov_b32_e32 v5, 0x3b800000
	v_lshlrev_b32_e32 v4, 20, v4
	v_and_b32_e32 v3, 0x80000000, v3
	v_lshl_add_u32 v5, v6, 23, v5
	v_or3_b32 v3, v3, v5, v4
.LBB143_621:
	s_or_b64 exec, exec, s[8:9]
.LBB143_622:
	s_mov_b64 s[0:1], -1
	v_mov_b32_e32 v4, 0
.LBB143_623:
	s_mov_b64 s[8:9], 0
.LBB143_624:
	s_and_b64 vcc, exec, s[8:9]
	s_cbranch_vccz .LBB143_660
; %bb.625:
	s_cmp_gt_i32 s12, 22
	s_cbranch_scc0 .LBB143_635
; %bb.626:
	s_cmp_lt_i32 s12, 24
	s_cbranch_scc1 .LBB143_638
; %bb.627:
	s_cmp_gt_i32 s12, 24
	s_cbranch_scc0 .LBB143_639
; %bb.628:
	global_load_ubyte v4, v[1:2], off
	s_movk_i32 s0, 0x7f
	s_waitcnt vmcnt(0)
	v_cmp_lt_i16_e32 vcc, s0, v4
	s_mov_b64 s[0:1], 0
	s_and_saveexec_b64 s[8:9], vcc
	s_xor_b64 s[8:9], exec, s[8:9]
	s_cbranch_execz .LBB143_651
; %bb.629:
	s_movk_i32 s0, 0x80
	v_cmp_eq_u16_e32 vcc, s0, v4
	s_mov_b64 s[0:1], -1
	s_and_saveexec_b64 s[10:11], vcc
; %bb.630:
	s_xor_b64 s[0:1], exec, -1
; %bb.631:
	s_or_b64 exec, exec, s[10:11]
	s_and_b64 s[0:1], s[0:1], exec
	s_or_saveexec_b64 s[8:9], s[8:9]
	v_mov_b32_e32 v3, 0x7f800001
	s_xor_b64 exec, exec, s[8:9]
	s_cbranch_execnz .LBB143_652
.LBB143_632:
	s_or_b64 exec, exec, s[8:9]
	s_and_saveexec_b64 s[8:9], s[0:1]
	s_cbranch_execz .LBB143_634
.LBB143_633:
	v_lshlrev_b32_e32 v3, 24, v4
	v_and_b32_e32 v4, 0xffff, v4
	v_and_b32_e32 v5, 3, v4
	v_ffbh_u32_e32 v7, v5
	v_min_u32_e32 v7, 32, v7
	v_subrev_u32_e32 v9, 29, v7
	v_bfe_u32 v6, v4, 2, 5
	v_lshlrev_b32_e32 v4, v9, v4
	v_sub_u32_e32 v7, 30, v7
	v_and_b32_e32 v4, 3, v4
	v_cmp_eq_u32_e32 vcc, 0, v6
	v_cndmask_b32_e32 v6, v6, v7, vcc
	v_cndmask_b32_e32 v4, v5, v4, vcc
	v_mov_b32_e32 v5, 0x37800000
	v_lshlrev_b32_e32 v4, 21, v4
	v_and_b32_e32 v3, 0x80000000, v3
	v_lshl_add_u32 v5, v6, 23, v5
	v_or3_b32 v3, v3, v5, v4
.LBB143_634:
	s_or_b64 exec, exec, s[8:9]
	s_mov_b64 s[0:1], 0
	s_branch .LBB143_640
.LBB143_635:
	s_mov_b64 s[8:9], -1
                                        ; implicit-def: $vgpr3
	s_branch .LBB143_646
.LBB143_636:
	s_or_saveexec_b64 s[8:9], s[8:9]
	v_mov_b32_e32 v3, 0x7f800001
	s_xor_b64 exec, exec, s[8:9]
	s_cbranch_execz .LBB143_619
.LBB143_637:
	v_cmp_ne_u16_e32 vcc, 0, v4
	s_andn2_b64 s[0:1], s[0:1], exec
	s_and_b64 s[10:11], vcc, exec
	v_mov_b32_e32 v3, 0
	s_or_b64 s[0:1], s[0:1], s[10:11]
	s_or_b64 exec, exec, s[8:9]
	s_and_saveexec_b64 s[8:9], s[0:1]
	s_cbranch_execnz .LBB143_620
	s_branch .LBB143_621
.LBB143_638:
	s_mov_b64 s[0:1], -1
                                        ; implicit-def: $vgpr3
	s_branch .LBB143_643
.LBB143_639:
	s_mov_b64 s[0:1], -1
                                        ; implicit-def: $vgpr3
.LBB143_640:
	s_and_b64 vcc, exec, s[0:1]
	s_cbranch_vccz .LBB143_642
; %bb.641:
	global_load_ubyte v3, v[1:2], off
	s_mov_b32 s0, 0x7f800000
	s_waitcnt vmcnt(0)
	v_lshlrev_b32_e32 v3, 24, v3
	v_and_b32_e32 v4, 0x7f000000, v3
	v_ffbh_u32_e32 v5, v4
	v_min_u32_e32 v5, 32, v5
	v_sub_u32_e64 v5, v5, 4 clamp
	v_lshlrev_b32_e32 v7, v5, v4
	v_lshlrev_b32_e32 v5, 23, v5
	v_lshrrev_b32_e32 v7, 4, v7
	v_add_u32_e32 v6, 0x1000000, v4
	v_sub_u32_e32 v5, v7, v5
	v_ashrrev_i32_e32 v6, 8, v6
	v_add_u32_e32 v5, 0x3c000000, v5
	v_and_or_b32 v5, v6, s0, v5
	v_cmp_ne_u32_e32 vcc, 0, v4
	v_cndmask_b32_e32 v4, 0, v5, vcc
	s_brev_b32 s0, 1
	v_and_or_b32 v3, v3, s0, v4
.LBB143_642:
	s_mov_b64 s[0:1], 0
.LBB143_643:
	s_andn2_b64 vcc, exec, s[0:1]
	s_cbranch_vccnz .LBB143_645
; %bb.644:
	global_load_ubyte v3, v[1:2], off
	s_movk_i32 s0, 0x7f00
	s_brev_b32 s1, 16
	s_waitcnt vmcnt(0)
	v_lshlrev_b16_e32 v4, 8, v3
	v_lshlrev_b32_e32 v3, 25, v3
	v_lshrrev_b32_e32 v5, 4, v3
	v_and_or_b32 v6, v4, s0, 0.5
	v_or_b32_e32 v5, 0x70000000, v5
	v_add_f32_e32 v6, -0.5, v6
	v_mul_f32_e32 v5, 0x7800000, v5
	v_cmp_gt_u32_e32 vcc, s1, v3
	v_bfe_i32 v4, v4, 0, 16
	v_cndmask_b32_e32 v3, v5, v6, vcc
	s_brev_b32 s0, 1
	v_and_or_b32 v3, v4, s0, v3
.LBB143_645:
	s_mov_b64 s[8:9], 0
	s_mov_b64 s[0:1], -1
.LBB143_646:
	s_andn2_b64 vcc, exec, s[8:9]
	s_cbranch_vccnz .LBB143_659
; %bb.647:
	s_cmp_gt_i32 s12, 14
	s_cbranch_scc0 .LBB143_650
; %bb.648:
	s_cmp_eq_u32 s12, 15
	s_cbranch_scc0 .LBB143_653
; %bb.649:
	global_load_ushort v3, v[1:2], off
	s_mov_b64 s[0:1], -1
	s_mov_b64 s[2:3], 0
	s_waitcnt vmcnt(0)
	v_lshlrev_b32_e32 v3, 16, v3
	s_branch .LBB143_654
.LBB143_650:
	s_mov_b64 s[8:9], -1
                                        ; implicit-def: $vgpr3
	s_branch .LBB143_655
.LBB143_651:
	s_or_saveexec_b64 s[8:9], s[8:9]
	v_mov_b32_e32 v3, 0x7f800001
	s_xor_b64 exec, exec, s[8:9]
	s_cbranch_execz .LBB143_632
.LBB143_652:
	v_cmp_ne_u16_e32 vcc, 0, v4
	s_andn2_b64 s[0:1], s[0:1], exec
	s_and_b64 s[10:11], vcc, exec
	v_mov_b32_e32 v3, 0
	s_or_b64 s[0:1], s[0:1], s[10:11]
	s_or_b64 exec, exec, s[8:9]
	s_and_saveexec_b64 s[8:9], s[0:1]
	s_cbranch_execnz .LBB143_633
	s_branch .LBB143_634
.LBB143_653:
	s_mov_b64 s[2:3], -1
                                        ; implicit-def: $vgpr3
.LBB143_654:
	s_mov_b64 s[8:9], 0
.LBB143_655:
	s_and_b64 vcc, exec, s[8:9]
	s_cbranch_vccz .LBB143_659
; %bb.656:
	s_cmp_eq_u32 s12, 11
	s_cbranch_scc0 .LBB143_658
; %bb.657:
	global_load_ubyte v3, v[1:2], off
	s_mov_b64 s[0:1], -1
	s_mov_b64 s[2:3], 0
	v_mov_b32_e32 v4, 0
	s_waitcnt vmcnt(0)
	v_cmp_ne_u16_e32 vcc, 0, v3
	v_cndmask_b32_e64 v3, 0, 1.0, vcc
	s_branch .LBB143_660
.LBB143_658:
	s_mov_b64 s[2:3], -1
                                        ; implicit-def: $vgpr3
.LBB143_659:
	v_mov_b32_e32 v4, 0
.LBB143_660:
	s_mov_b64 s[8:9], 0
.LBB143_661:
	s_and_b64 vcc, exec, s[8:9]
	s_cbranch_vccz .LBB143_712
; %bb.662:
	s_cmp_lt_i32 s12, 5
	s_cbranch_scc1 .LBB143_667
; %bb.663:
	s_cmp_lt_i32 s12, 8
	s_cbranch_scc1 .LBB143_668
	;; [unrolled: 3-line block ×3, first 2 shown]
; %bb.665:
	s_cmp_gt_i32 s12, 9
	s_cbranch_scc0 .LBB143_670
; %bb.666:
	global_load_dwordx4 v[3:6], v[1:2], off
	s_mov_b64 s[0:1], 0
	s_waitcnt vmcnt(0)
	v_cvt_f32_f64_e32 v3, v[3:4]
	v_cvt_f32_f64_e32 v4, v[5:6]
	s_branch .LBB143_671
.LBB143_667:
	s_mov_b64 s[0:1], -1
                                        ; implicit-def: $vgpr4
	s_branch .LBB143_690
.LBB143_668:
	s_mov_b64 s[0:1], -1
                                        ; implicit-def: $vgpr4
	s_branch .LBB143_677
.LBB143_669:
	s_mov_b64 s[0:1], -1
                                        ; implicit-def: $vgpr4
	s_branch .LBB143_674
.LBB143_670:
	s_mov_b64 s[0:1], -1
                                        ; implicit-def: $vgpr4
.LBB143_671:
	s_andn2_b64 vcc, exec, s[0:1]
	s_cbranch_vccnz .LBB143_673
; %bb.672:
	global_load_dwordx2 v[3:4], v[1:2], off
.LBB143_673:
	s_mov_b64 s[0:1], 0
.LBB143_674:
	s_andn2_b64 vcc, exec, s[0:1]
	s_cbranch_vccnz .LBB143_676
; %bb.675:
	global_load_dword v4, v[1:2], off
	s_waitcnt vmcnt(0)
	v_cvt_f32_f16_e32 v3, v4
	v_cvt_f32_f16_sdwa v4, v4 dst_sel:DWORD dst_unused:UNUSED_PAD src0_sel:WORD_1
.LBB143_676:
	s_mov_b64 s[0:1], 0
.LBB143_677:
	s_andn2_b64 vcc, exec, s[0:1]
	s_cbranch_vccnz .LBB143_689
; %bb.678:
	s_cmp_lt_i32 s12, 6
	s_cbranch_scc1 .LBB143_681
; %bb.679:
	s_cmp_gt_i32 s12, 6
	s_cbranch_scc0 .LBB143_682
; %bb.680:
	global_load_dwordx2 v[3:4], v[1:2], off
	s_mov_b64 s[0:1], 0
	s_waitcnt vmcnt(0)
	v_cvt_f32_f64_e32 v3, v[3:4]
	s_branch .LBB143_683
.LBB143_681:
	s_mov_b64 s[0:1], -1
                                        ; implicit-def: $vgpr3
	s_branch .LBB143_686
.LBB143_682:
	s_mov_b64 s[0:1], -1
                                        ; implicit-def: $vgpr3
.LBB143_683:
	s_andn2_b64 vcc, exec, s[0:1]
	s_cbranch_vccnz .LBB143_685
; %bb.684:
	global_load_dword v3, v[1:2], off
.LBB143_685:
	s_mov_b64 s[0:1], 0
.LBB143_686:
	s_andn2_b64 vcc, exec, s[0:1]
	s_cbranch_vccnz .LBB143_688
; %bb.687:
	global_load_ushort v3, v[1:2], off
	s_waitcnt vmcnt(0)
	v_cvt_f32_f16_e32 v3, v3
.LBB143_688:
	s_waitcnt vmcnt(0)
	v_mov_b32_e32 v4, 0
.LBB143_689:
	s_mov_b64 s[0:1], 0
.LBB143_690:
	s_andn2_b64 vcc, exec, s[0:1]
	s_cbranch_vccnz .LBB143_711
; %bb.691:
	s_cmp_lt_i32 s12, 2
	s_cbranch_scc1 .LBB143_695
; %bb.692:
	s_cmp_lt_i32 s12, 3
	s_cbranch_scc1 .LBB143_696
; %bb.693:
	s_cmp_gt_i32 s12, 3
	s_cbranch_scc0 .LBB143_697
; %bb.694:
	global_load_dwordx2 v[3:4], v[1:2], off
	s_mov_b64 s[0:1], 0
	s_waitcnt vmcnt(0)
	v_xor_b32_e32 v6, v3, v4
	v_ffbh_i32_e32 v5, v4
	v_ashrrev_i32_e32 v6, 31, v6
	v_add_u32_e32 v5, -1, v5
	v_add_u32_e32 v6, 32, v6
	v_min_u32_e32 v5, v5, v6
	v_lshlrev_b64 v[3:4], v5, v[3:4]
	v_min_u32_e32 v3, 1, v3
	v_or_b32_e32 v3, v4, v3
	v_cvt_f32_i32_e32 v3, v3
	v_sub_u32_e32 v4, 32, v5
	v_ldexp_f32 v3, v3, v4
	s_branch .LBB143_698
.LBB143_695:
	s_mov_b64 s[0:1], -1
                                        ; implicit-def: $vgpr3
	s_branch .LBB143_704
.LBB143_696:
	s_mov_b64 s[0:1], -1
                                        ; implicit-def: $vgpr3
	s_branch .LBB143_701
.LBB143_697:
	s_mov_b64 s[0:1], -1
                                        ; implicit-def: $vgpr3
.LBB143_698:
	s_andn2_b64 vcc, exec, s[0:1]
	s_cbranch_vccnz .LBB143_700
; %bb.699:
	global_load_dword v3, v[1:2], off
	s_waitcnt vmcnt(0)
	v_cvt_f32_i32_e32 v3, v3
.LBB143_700:
	s_mov_b64 s[0:1], 0
.LBB143_701:
	s_andn2_b64 vcc, exec, s[0:1]
	s_cbranch_vccnz .LBB143_703
; %bb.702:
	global_load_sshort v3, v[1:2], off
	s_waitcnt vmcnt(0)
	v_cvt_f32_i32_e32 v3, v3
.LBB143_703:
	s_mov_b64 s[0:1], 0
.LBB143_704:
	s_andn2_b64 vcc, exec, s[0:1]
	s_cbranch_vccnz .LBB143_710
; %bb.705:
	s_cmp_gt_i32 s12, 0
	s_cbranch_scc0 .LBB143_707
; %bb.706:
	global_load_sbyte v3, v[1:2], off
	s_mov_b64 s[0:1], 0
	s_waitcnt vmcnt(0)
	v_cvt_f32_i32_e32 v3, v3
	s_branch .LBB143_708
.LBB143_707:
	s_mov_b64 s[0:1], -1
                                        ; implicit-def: $vgpr3
.LBB143_708:
	s_andn2_b64 vcc, exec, s[0:1]
	s_cbranch_vccnz .LBB143_710
; %bb.709:
	global_load_ubyte v1, v[1:2], off
	s_waitcnt vmcnt(0)
	v_cvt_f32_ubyte0_e32 v3, v1
.LBB143_710:
	s_waitcnt vmcnt(0)
	v_mov_b32_e32 v4, 0
.LBB143_711:
	s_mov_b64 s[0:1], -1
.LBB143_712:
	s_andn2_b64 vcc, exec, s[0:1]
	s_cbranch_vccnz .LBB143_715
; %bb.713:
	s_andn2_b64 vcc, exec, s[46:47]
	s_cbranch_vccnz .LBB143_716
; %bb.714:
	s_waitcnt vmcnt(0)
	v_cmp_neq_f32_e32 vcc, s44, v3
	v_cmp_neq_f32_e64 s[0:1], s45, v4
	s_or_b64 s[8:9], vcc, s[0:1]
	s_mov_b64 s[0:1], 0
	s_branch .LBB143_717
.LBB143_715:
	s_mov_b64 s[8:9], 0
	s_mov_b64 s[0:1], s[64:65]
	s_branch .LBB143_842
.LBB143_716:
	s_mov_b64 s[0:1], -1
                                        ; implicit-def: $sgpr8_sgpr9
.LBB143_717:
	s_andn2_b64 vcc, exec, s[0:1]
	s_cbranch_vccnz .LBB143_719
; %bb.718:
	s_waitcnt vmcnt(0)
	v_cmp_eq_f32_e32 vcc, s44, v3
	v_cmp_eq_f32_e64 s[0:1], s45, v4
	s_and_b64 s[0:1], vcc, s[0:1]
	s_andn2_b64 s[8:9], s[8:9], exec
	s_and_b64 s[0:1], s[0:1], exec
	s_or_b64 s[8:9], s[8:9], s[0:1]
.LBB143_719:
	v_mov_b32_e32 v1, s25
	s_and_b32 s16, s77, 0xff
	v_add_co_u32_e32 v0, vcc, s24, v0
	s_cmp_lt_i32 s16, 11
	v_addc_co_u32_e32 v1, vcc, 0, v1, vcc
	s_cbranch_scc1 .LBB143_726
; %bb.720:
	s_and_b32 s17, 0xffff, s16
	s_cmp_gt_i32 s17, 25
	s_cbranch_scc0 .LBB143_727
; %bb.721:
	s_cmp_gt_i32 s17, 28
	s_cbranch_scc0 .LBB143_728
; %bb.722:
	;; [unrolled: 3-line block ×4, first 2 shown]
	s_mov_b64 s[12:13], 0
	s_mov_b64 s[0:1], -1
	s_cmp_eq_u32 s17, 46
	s_mov_b64 s[10:11], 0
	s_cbranch_scc0 .LBB143_731
; %bb.725:
	v_cndmask_b32_e64 v2, 0, 1.0, s[8:9]
	s_waitcnt vmcnt(0)
	v_bfe_u32 v3, v2, 16, 1
	s_movk_i32 s0, 0x7fff
	v_add3_u32 v2, v2, v3, s0
	v_lshrrev_b32_e32 v2, 16, v2
	global_store_dword v[0:1], v2, off
	s_mov_b64 s[10:11], -1
	s_mov_b64 s[0:1], 0
	s_branch .LBB143_731
.LBB143_726:
	s_mov_b64 s[12:13], -1
	s_mov_b64 s[10:11], 0
	s_mov_b64 s[0:1], s[64:65]
	s_branch .LBB143_800
.LBB143_727:
	s_mov_b64 s[12:13], -1
	s_mov_b64 s[10:11], 0
	s_mov_b64 s[0:1], s[64:65]
	s_branch .LBB143_758
.LBB143_728:
	s_mov_b64 s[12:13], -1
	s_mov_b64 s[10:11], 0
	s_mov_b64 s[0:1], s[64:65]
	s_branch .LBB143_741
.LBB143_729:
	s_mov_b64 s[12:13], -1
	s_mov_b64 s[10:11], 0
	s_mov_b64 s[0:1], s[64:65]
	s_branch .LBB143_737
.LBB143_730:
	s_mov_b64 s[12:13], -1
	s_mov_b64 s[10:11], 0
	s_mov_b64 s[0:1], s[64:65]
.LBB143_731:
	s_and_b64 vcc, exec, s[12:13]
	s_cbranch_vccz .LBB143_736
; %bb.732:
	s_cmp_eq_u32 s17, 44
	s_mov_b64 s[0:1], -1
	s_cbranch_scc0 .LBB143_736
; %bb.733:
	s_waitcnt vmcnt(0)
	v_cndmask_b32_e64 v3, 0, 1.0, s[8:9]
	v_lshrrev_b32_e32 v2, 23, v3
	s_movk_i32 s0, 0xff
	v_cmp_ne_u32_e32 vcc, s0, v2
	v_mov_b32_e32 v4, 0xff
	s_and_saveexec_b64 s[10:11], vcc
; %bb.734:
	s_mov_b32 s0, 0x3fffff
	v_and_b32_e32 v4, 0x400000, v3
	v_and_or_b32 v3, v3, s0, v2
	v_cmp_ne_u32_e32 vcc, 0, v4
	v_cmp_ne_u32_e64 s[0:1], 0, v3
	s_and_b64 s[0:1], vcc, s[0:1]
	v_cndmask_b32_e64 v3, 0, 1, s[0:1]
	v_add_u32_e32 v4, v2, v3
; %bb.735:
	s_or_b64 exec, exec, s[10:11]
	s_mov_b64 s[10:11], -1
	s_mov_b64 s[0:1], 0
	global_store_byte v[0:1], v4, off
.LBB143_736:
	s_mov_b64 s[12:13], 0
.LBB143_737:
	s_and_b64 vcc, exec, s[12:13]
	s_cbranch_vccz .LBB143_740
; %bb.738:
	s_cmp_eq_u32 s17, 29
	s_mov_b64 s[0:1], -1
	s_cbranch_scc0 .LBB143_740
; %bb.739:
	s_mov_b32 s0, 0
	v_cndmask_b32_e64 v2, 0, 1, s[8:9]
	s_waitcnt vmcnt(0)
	v_mov_b32_e32 v3, s0
	global_store_dwordx2 v[0:1], v[2:3], off
	s_mov_b64 s[10:11], -1
	s_mov_b64 s[0:1], 0
.LBB143_740:
	s_mov_b64 s[12:13], 0
.LBB143_741:
	s_and_b64 vcc, exec, s[12:13]
	s_cbranch_vccz .LBB143_757
; %bb.742:
	s_cmp_lt_i32 s17, 27
	s_mov_b64 s[10:11], -1
	s_cbranch_scc1 .LBB143_748
; %bb.743:
	s_cmp_gt_i32 s17, 27
	s_cbranch_scc0 .LBB143_745
; %bb.744:
	v_cndmask_b32_e64 v2, 0, 1, s[8:9]
	s_mov_b64 s[10:11], 0
	global_store_dword v[0:1], v2, off
.LBB143_745:
	s_andn2_b64 vcc, exec, s[10:11]
	s_cbranch_vccnz .LBB143_747
; %bb.746:
	v_cndmask_b32_e64 v2, 0, 1, s[8:9]
	global_store_short v[0:1], v2, off
.LBB143_747:
	s_mov_b64 s[10:11], 0
.LBB143_748:
	s_andn2_b64 vcc, exec, s[10:11]
	s_cbranch_vccnz .LBB143_756
; %bb.749:
	s_waitcnt vmcnt(0)
	v_cndmask_b32_e64 v3, 0, 1.0, s[8:9]
	s_mov_b32 s10, 0x43800000
	v_cmp_gt_u32_e32 vcc, s10, v3
	v_mov_b32_e32 v4, 0x80
	s_and_saveexec_b64 s[10:11], vcc
	s_cbranch_execz .LBB143_755
; %bb.750:
	s_mov_b32 s12, 0x3bffffff
	v_cmp_lt_u32_e32 vcc, s12, v3
	s_mov_b64 s[12:13], 0
                                        ; implicit-def: $vgpr2
	s_and_saveexec_b64 s[14:15], vcc
	s_xor_b64 s[14:15], exec, s[14:15]
	s_cbranch_execz .LBB143_872
; %bb.751:
	v_bfe_u32 v2, v3, 20, 1
	s_mov_b32 s18, 0x487ffff
	v_add3_u32 v2, v3, v2, s18
	s_mov_b64 s[12:13], exec
	v_lshrrev_b32_e32 v2, 20, v2
                                        ; implicit-def: $vgpr3
	s_andn2_saveexec_b64 s[14:15], s[14:15]
	s_cbranch_execnz .LBB143_873
.LBB143_752:
	s_or_b64 exec, exec, s[14:15]
	v_mov_b32_e32 v4, 0
	s_and_saveexec_b64 s[14:15], s[12:13]
.LBB143_753:
	v_mov_b32_e32 v4, v2
.LBB143_754:
	s_or_b64 exec, exec, s[14:15]
.LBB143_755:
	s_or_b64 exec, exec, s[10:11]
	global_store_byte v[0:1], v4, off
.LBB143_756:
	s_mov_b64 s[10:11], -1
.LBB143_757:
	s_mov_b64 s[12:13], 0
.LBB143_758:
	s_and_b64 vcc, exec, s[12:13]
	s_cbranch_vccz .LBB143_799
; %bb.759:
	s_cmp_gt_i32 s17, 22
	s_mov_b64 s[12:13], -1
	s_cbranch_scc0 .LBB143_791
; %bb.760:
	s_cmp_lt_i32 s17, 24
	s_mov_b64 s[10:11], -1
	s_cbranch_scc1 .LBB143_780
; %bb.761:
	s_cmp_gt_i32 s17, 24
	s_cbranch_scc0 .LBB143_769
; %bb.762:
	s_waitcnt vmcnt(0)
	v_cndmask_b32_e64 v3, 0, 1.0, s[8:9]
	s_mov_b32 s10, 0x47800000
	v_cmp_gt_u32_e32 vcc, s10, v3
	v_mov_b32_e32 v4, 0x80
	s_and_saveexec_b64 s[10:11], vcc
	s_cbranch_execz .LBB143_768
; %bb.763:
	s_mov_b32 s12, 0x37ffffff
	v_cmp_lt_u32_e32 vcc, s12, v3
	s_mov_b64 s[12:13], 0
                                        ; implicit-def: $vgpr2
	s_and_saveexec_b64 s[14:15], vcc
	s_xor_b64 s[14:15], exec, s[14:15]
	s_cbranch_execz .LBB143_875
; %bb.764:
	v_bfe_u32 v2, v3, 21, 1
	s_mov_b32 s18, 0x88fffff
	v_add3_u32 v2, v3, v2, s18
	s_mov_b64 s[12:13], exec
	v_lshrrev_b32_e32 v2, 21, v2
                                        ; implicit-def: $vgpr3
	s_andn2_saveexec_b64 s[14:15], s[14:15]
	s_cbranch_execnz .LBB143_876
.LBB143_765:
	s_or_b64 exec, exec, s[14:15]
	v_mov_b32_e32 v4, 0
	s_and_saveexec_b64 s[14:15], s[12:13]
.LBB143_766:
	v_mov_b32_e32 v4, v2
.LBB143_767:
	s_or_b64 exec, exec, s[14:15]
.LBB143_768:
	s_or_b64 exec, exec, s[10:11]
	s_mov_b64 s[10:11], 0
	global_store_byte v[0:1], v4, off
.LBB143_769:
	s_and_b64 vcc, exec, s[10:11]
	s_cbranch_vccz .LBB143_779
; %bb.770:
	v_cndmask_b32_e64 v2, 0, 1.0, s[8:9]
	s_mov_b32 s10, 0x43f00000
	v_cmp_gt_u32_e32 vcc, s10, v2
                                        ; implicit-def: $vgpr3
	s_and_saveexec_b64 s[10:11], vcc
	s_xor_b64 s[10:11], exec, s[10:11]
	s_cbranch_execz .LBB143_776
; %bb.771:
	s_mov_b32 s12, 0x3c7fffff
	v_cmp_lt_u32_e32 vcc, s12, v2
                                        ; implicit-def: $vgpr3
	s_and_saveexec_b64 s[12:13], vcc
	s_xor_b64 s[12:13], exec, s[12:13]
	s_cbranch_execz .LBB143_773
; %bb.772:
	s_waitcnt vmcnt(0)
	v_bfe_u32 v3, v2, 20, 1
	s_mov_b32 s14, 0x407ffff
	v_add3_u32 v2, v2, v3, s14
	v_lshrrev_b32_e32 v3, 20, v2
	v_and_b32_e32 v2, 0xff00000, v2
	s_mov_b32 s14, 0x7f00000
	v_mov_b32_e32 v4, 0x7e
	v_cmp_ne_u32_e32 vcc, s14, v2
	v_cndmask_b32_e32 v3, v4, v3, vcc
                                        ; implicit-def: $vgpr2
.LBB143_773:
	s_andn2_saveexec_b64 s[12:13], s[12:13]
	s_cbranch_execz .LBB143_775
; %bb.774:
	s_waitcnt vmcnt(0)
	v_add_f32_e32 v3, 0x46800000, v2
.LBB143_775:
	s_or_b64 exec, exec, s[12:13]
                                        ; implicit-def: $vgpr2
.LBB143_776:
	s_andn2_saveexec_b64 s[10:11], s[10:11]
	s_cbranch_execz .LBB143_778
; %bb.777:
	s_mov_b32 s12, 0x7f800000
	s_waitcnt vmcnt(0)
	v_mov_b32_e32 v3, 0x7e
	v_mov_b32_e32 v4, 0x7f
	v_cmp_lt_u32_e32 vcc, s12, v2
	v_cndmask_b32_e32 v3, v3, v4, vcc
.LBB143_778:
	s_or_b64 exec, exec, s[10:11]
	s_waitcnt vmcnt(0)
	global_store_byte v[0:1], v3, off
.LBB143_779:
	s_mov_b64 s[10:11], 0
.LBB143_780:
	s_andn2_b64 vcc, exec, s[10:11]
	s_cbranch_vccnz .LBB143_790
; %bb.781:
	v_cndmask_b32_e64 v2, 0, 1.0, s[8:9]
	s_mov_b32 s10, 0x47800000
	v_cmp_gt_u32_e32 vcc, s10, v2
                                        ; implicit-def: $vgpr3
	s_and_saveexec_b64 s[10:11], vcc
	s_xor_b64 s[10:11], exec, s[10:11]
	s_cbranch_execz .LBB143_787
; %bb.782:
	s_mov_b32 s12, 0x387fffff
	v_cmp_lt_u32_e32 vcc, s12, v2
                                        ; implicit-def: $vgpr3
	s_and_saveexec_b64 s[12:13], vcc
	s_xor_b64 s[12:13], exec, s[12:13]
	s_cbranch_execz .LBB143_784
; %bb.783:
	s_waitcnt vmcnt(0)
	v_bfe_u32 v3, v2, 21, 1
	s_mov_b32 s14, 0x80fffff
	v_add3_u32 v2, v2, v3, s14
	v_lshrrev_b32_e32 v3, 21, v2
                                        ; implicit-def: $vgpr2
.LBB143_784:
	s_andn2_saveexec_b64 s[12:13], s[12:13]
	s_cbranch_execz .LBB143_786
; %bb.785:
	s_waitcnt vmcnt(0)
	v_add_f32_e32 v3, 0x43000000, v2
.LBB143_786:
	s_or_b64 exec, exec, s[12:13]
                                        ; implicit-def: $vgpr2
.LBB143_787:
	s_andn2_saveexec_b64 s[10:11], s[10:11]
	s_cbranch_execz .LBB143_789
; %bb.788:
	s_mov_b32 s12, 0x7f800000
	s_waitcnt vmcnt(0)
	v_mov_b32_e32 v3, 0x7c
	v_mov_b32_e32 v4, 0x7f
	v_cmp_lt_u32_e32 vcc, s12, v2
	v_cndmask_b32_e32 v3, v3, v4, vcc
.LBB143_789:
	s_or_b64 exec, exec, s[10:11]
	s_waitcnt vmcnt(0)
	global_store_byte v[0:1], v3, off
.LBB143_790:
	s_mov_b64 s[12:13], 0
	s_mov_b64 s[10:11], -1
.LBB143_791:
	s_andn2_b64 vcc, exec, s[12:13]
	s_cbranch_vccnz .LBB143_799
; %bb.792:
	s_cmp_gt_i32 s17, 14
	s_mov_b64 s[12:13], -1
	s_cbranch_scc0 .LBB143_796
; %bb.793:
	s_cmp_eq_u32 s17, 15
	s_mov_b64 s[0:1], -1
	s_cbranch_scc0 .LBB143_795
; %bb.794:
	v_cndmask_b32_e64 v2, 0, 1.0, s[8:9]
	s_waitcnt vmcnt(0)
	v_bfe_u32 v3, v2, 16, 1
	s_movk_i32 s0, 0x7fff
	v_add3_u32 v2, v2, v3, s0
	global_store_short_d16_hi v[0:1], v2, off
	s_mov_b64 s[10:11], -1
	s_mov_b64 s[0:1], 0
.LBB143_795:
	s_mov_b64 s[12:13], 0
.LBB143_796:
	s_and_b64 vcc, exec, s[12:13]
	s_cbranch_vccz .LBB143_799
; %bb.797:
	s_cmp_eq_u32 s17, 11
	s_mov_b64 s[0:1], -1
	s_cbranch_scc0 .LBB143_799
; %bb.798:
	v_cndmask_b32_e64 v2, 0, 1, s[8:9]
	s_mov_b64 s[10:11], -1
	s_mov_b64 s[0:1], 0
	global_store_byte v[0:1], v2, off
.LBB143_799:
	s_mov_b64 s[12:13], 0
.LBB143_800:
	s_and_b64 vcc, exec, s[12:13]
	s_cbranch_vccz .LBB143_839
; %bb.801:
	s_and_b32 s12, 0xffff, s16
	s_cmp_lt_i32 s12, 5
	s_mov_b64 s[10:11], -1
	s_cbranch_scc1 .LBB143_822
; %bb.802:
	s_cmp_lt_i32 s12, 8
	s_cbranch_scc1 .LBB143_812
; %bb.803:
	s_cmp_lt_i32 s12, 9
	s_cbranch_scc1 .LBB143_809
; %bb.804:
	s_cmp_gt_i32 s12, 9
	s_cbranch_scc0 .LBB143_806
; %bb.805:
	v_cndmask_b32_e64 v2, 0, 1, s[8:9]
	s_waitcnt vmcnt(0)
	v_cvt_f64_u32_e32 v[2:3], v2
	v_mov_b32_e32 v4, 0
	v_mov_b32_e32 v5, v4
	s_mov_b64 s[10:11], 0
	global_store_dwordx4 v[0:1], v[2:5], off
.LBB143_806:
	s_andn2_b64 vcc, exec, s[10:11]
	s_cbranch_vccnz .LBB143_808
; %bb.807:
	v_cndmask_b32_e64 v2, 0, 1.0, s[8:9]
	s_waitcnt vmcnt(0)
	v_mov_b32_e32 v3, 0
	global_store_dwordx2 v[0:1], v[2:3], off
.LBB143_808:
	s_mov_b64 s[10:11], 0
.LBB143_809:
	s_andn2_b64 vcc, exec, s[10:11]
	s_cbranch_vccnz .LBB143_811
; %bb.810:
	v_cndmask_b32_e64 v2, 0, 1.0, s[8:9]
	v_cvt_f16_f32_e32 v2, v2
	global_store_dword v[0:1], v2, off
.LBB143_811:
	s_mov_b64 s[10:11], 0
.LBB143_812:
	s_andn2_b64 vcc, exec, s[10:11]
	s_cbranch_vccnz .LBB143_821
; %bb.813:
	s_cmp_lt_i32 s12, 6
	s_mov_b64 s[10:11], -1
	s_cbranch_scc1 .LBB143_819
; %bb.814:
	s_cmp_gt_i32 s12, 6
	s_cbranch_scc0 .LBB143_816
; %bb.815:
	v_cndmask_b32_e64 v2, 0, 1, s[8:9]
	s_waitcnt vmcnt(0)
	v_cvt_f64_u32_e32 v[2:3], v2
	s_mov_b64 s[10:11], 0
	global_store_dwordx2 v[0:1], v[2:3], off
.LBB143_816:
	s_andn2_b64 vcc, exec, s[10:11]
	s_cbranch_vccnz .LBB143_818
; %bb.817:
	v_cndmask_b32_e64 v2, 0, 1.0, s[8:9]
	global_store_dword v[0:1], v2, off
.LBB143_818:
	s_mov_b64 s[10:11], 0
.LBB143_819:
	s_andn2_b64 vcc, exec, s[10:11]
	s_cbranch_vccnz .LBB143_821
; %bb.820:
	v_cndmask_b32_e64 v2, 0, 1.0, s[8:9]
	v_cvt_f16_f32_e32 v2, v2
	global_store_short v[0:1], v2, off
.LBB143_821:
	s_mov_b64 s[10:11], 0
.LBB143_822:
	s_andn2_b64 vcc, exec, s[10:11]
	s_cbranch_vccnz .LBB143_838
; %bb.823:
	s_cmp_lt_i32 s12, 2
	s_mov_b64 s[10:11], -1
	s_cbranch_scc1 .LBB143_833
; %bb.824:
	s_cmp_lt_i32 s12, 3
	s_cbranch_scc1 .LBB143_830
; %bb.825:
	s_cmp_gt_i32 s12, 3
	s_cbranch_scc0 .LBB143_827
; %bb.826:
	s_mov_b32 s10, 0
	v_cndmask_b32_e64 v2, 0, 1, s[8:9]
	s_waitcnt vmcnt(0)
	v_mov_b32_e32 v3, s10
	s_mov_b64 s[10:11], 0
	global_store_dwordx2 v[0:1], v[2:3], off
.LBB143_827:
	s_andn2_b64 vcc, exec, s[10:11]
	s_cbranch_vccnz .LBB143_829
; %bb.828:
	v_cndmask_b32_e64 v2, 0, 1, s[8:9]
	global_store_dword v[0:1], v2, off
.LBB143_829:
	s_mov_b64 s[10:11], 0
.LBB143_830:
	s_andn2_b64 vcc, exec, s[10:11]
	s_cbranch_vccnz .LBB143_832
; %bb.831:
	v_cndmask_b32_e64 v2, 0, 1, s[8:9]
	global_store_short v[0:1], v2, off
.LBB143_832:
	s_mov_b64 s[10:11], 0
.LBB143_833:
	s_andn2_b64 vcc, exec, s[10:11]
	s_cbranch_vccnz .LBB143_838
; %bb.834:
	s_mov_b64 s[10:11], -1
	s_cmp_gt_i32 s12, 0
	v_cndmask_b32_e64 v2, 0, 1, s[8:9]
	s_cbranch_scc0 .LBB143_836
; %bb.835:
	s_mov_b64 s[10:11], 0
	global_store_byte v[0:1], v2, off
.LBB143_836:
	s_andn2_b64 vcc, exec, s[10:11]
	s_cbranch_vccnz .LBB143_838
; %bb.837:
	global_store_byte v[0:1], v2, off
.LBB143_838:
	s_mov_b64 s[10:11], -1
.LBB143_839:
	s_andn2_b64 vcc, exec, s[10:11]
	s_cbranch_vccnz .LBB143_841
; %bb.840:
	v_add_u32_e32 v8, 0x80, v8
	s_mov_b64 s[8:9], -1
	s_branch .LBB143_843
.LBB143_841:
	s_mov_b64 s[8:9], 0
.LBB143_842:
                                        ; implicit-def: $vgpr8
.LBB143_843:
	s_andn2_b64 s[10:11], s[64:65], exec
	s_and_b64 s[0:1], s[0:1], exec
	s_or_b64 s[72:73], s[10:11], s[0:1]
	s_andn2_b64 s[0:1], s[62:63], exec
	s_and_b64 s[2:3], s[2:3], exec
	s_or_b64 s[70:71], s[0:1], s[2:3]
	s_orn2_b64 s[2:3], s[8:9], exec
.LBB143_844:
	s_or_b64 exec, exec, s[68:69]
	s_mov_b64 s[0:1], 0
	s_mov_b64 s[8:9], 0
	;; [unrolled: 1-line block ×3, first 2 shown]
                                        ; implicit-def: $vgpr1_vgpr2
                                        ; implicit-def: $vgpr0
                                        ; implicit-def: $vgpr4
	s_and_saveexec_b64 s[68:69], s[2:3]
	s_cbranch_execz .LBB143_946
; %bb.845:
	v_cmp_gt_i32_e32 vcc, s74, v8
	s_mov_b64 s[2:3], 0
	s_mov_b64 s[12:13], s[70:71]
                                        ; implicit-def: $vgpr1_vgpr2
                                        ; implicit-def: $vgpr0
                                        ; implicit-def: $vgpr4
	s_and_saveexec_b64 s[74:75], vcc
	s_cbranch_execz .LBB143_945
; %bb.846:
	s_andn2_b64 vcc, exec, s[40:41]
	s_cbranch_vccnz .LBB143_851
; %bb.847:
	s_andn2_b64 vcc, exec, s[54:55]
	s_cbranch_vccnz .LBB143_852
; %bb.848:
	s_add_i32 s80, s79, 1
	s_cmp_eq_u32 s76, 2
	s_cbranch_scc1 .LBB143_853
; %bb.849:
	s_and_b32 s79, s80, 28
	v_mov_b32_e32 v2, 0
	s_mov_b32 s81, 0
	s_mov_b64 s[54:55], s[34:35]
	v_mov_b32_e32 v0, 0
	v_mov_b32_e32 v1, v8
.LBB143_850:                            ; =>This Inner Loop Header: Depth=1
	s_load_dwordx8 s[16:23], s[54:55], 0x4
	s_load_dwordx4 s[0:3], s[54:55], 0x24
	s_load_dwordx8 s[8:15], s[52:53], 0x0
	s_add_u32 s54, s54, 48
	s_addc_u32 s55, s55, 0
	s_waitcnt vmcnt(0) lgkmcnt(0)
	v_mul_hi_u32 v3, s17, v1
	s_add_i32 s81, s81, 4
	s_add_u32 s52, s52, 32
	s_addc_u32 s53, s53, 0
	v_add_u32_e32 v3, v1, v3
	v_lshrrev_b32_e32 v3, s18, v3
	v_mul_lo_u32 v4, v3, s16
	v_mul_hi_u32 v5, s20, v3
	s_cmp_eq_u32 s79, s81
	v_sub_u32_e32 v1, v1, v4
	v_add_u32_e32 v4, v3, v5
	v_mul_lo_u32 v5, v1, s8
	v_mul_lo_u32 v6, v1, s9
	v_lshrrev_b32_e32 v1, s21, v4
	v_mul_lo_u32 v4, v1, s19
	v_mul_hi_u32 v7, s23, v1
	v_sub_u32_e32 v3, v3, v4
	v_add_u32_e32 v4, v1, v7
	v_lshrrev_b32_e32 v4, s0, v4
	v_mul_hi_u32 v9, s2, v4
	v_mul_lo_u32 v10, v4, s22
	v_mul_lo_u32 v7, v3, s10
	;; [unrolled: 1-line block ×3, first 2 shown]
	v_sub_u32_e32 v10, v1, v10
	v_add_u32_e32 v1, v4, v9
	v_lshrrev_b32_e32 v1, s3, v1
	v_mul_lo_u32 v9, v1, s1
	v_mul_lo_u32 v11, v10, s12
	v_mul_lo_u32 v10, v10, s13
	v_add3_u32 v0, v5, v0, v7
	v_sub_u32_e32 v4, v4, v9
	v_mul_lo_u32 v9, v4, s14
	v_mul_lo_u32 v4, v4, s15
	v_add3_u32 v2, v6, v2, v3
	v_add3_u32 v0, v11, v0, v9
	;; [unrolled: 1-line block ×3, first 2 shown]
	s_cbranch_scc0 .LBB143_850
	s_branch .LBB143_854
.LBB143_851:
	s_mov_b64 s[0:1], -1
                                        ; implicit-def: $vgpr0
                                        ; implicit-def: $vgpr2
	s_branch .LBB143_858
.LBB143_852:
	v_mov_b32_e32 v0, 0
	v_mov_b32_e32 v2, 0
	s_branch .LBB143_857
.LBB143_853:
	s_mov_b32 s79, 0
	v_mov_b32_e32 v0, 0
	v_mov_b32_e32 v2, 0
	;; [unrolled: 1-line block ×3, first 2 shown]
.LBB143_854:
	s_and_b32 s8, s80, 3
	s_cmp_eq_u32 s8, 0
	s_cbranch_scc1 .LBB143_857
; %bb.855:
	s_lshl_b32 s0, s79, 3
	s_add_u32 s0, s34, s0
	s_addc_u32 s1, s35, 0
	s_add_u32 s0, s0, 0xc4
	s_addc_u32 s1, s1, 0
	s_mul_i32 s2, s79, 12
	s_add_u32 s2, s34, s2
	s_addc_u32 s3, s35, 0
.LBB143_856:                            ; =>This Inner Loop Header: Depth=1
	s_load_dwordx2 s[10:11], s[2:3], 0x4
	s_load_dword s9, s[2:3], 0xc
	s_load_dwordx2 s[12:13], s[0:1], 0x0
	s_add_u32 s2, s2, 12
	s_addc_u32 s3, s3, 0
	s_waitcnt vmcnt(0) lgkmcnt(0)
	v_mul_hi_u32 v3, s11, v1
	s_add_u32 s0, s0, 8
	s_addc_u32 s1, s1, 0
	s_add_i32 s8, s8, -1
	v_add_u32_e32 v3, v1, v3
	v_lshrrev_b32_e32 v4, s9, v3
	v_mul_lo_u32 v3, v4, s10
	s_cmp_lg_u32 s8, 0
	v_sub_u32_e32 v3, v1, v3
	v_mad_u64_u32 v[0:1], s[10:11], v3, s12, v[0:1]
	v_mad_u64_u32 v[2:3], s[10:11], v3, s13, v[2:3]
	v_mov_b32_e32 v1, v4
	s_cbranch_scc1 .LBB143_856
.LBB143_857:
	s_mov_b64 s[0:1], 0
.LBB143_858:
	s_andn2_b64 vcc, exec, s[0:1]
	s_cbranch_vccnz .LBB143_861
; %bb.859:
	v_mul_hi_u32 v0, s29, v8
	s_andn2_b64 vcc, exec, s[50:51]
	v_add_u32_e32 v0, v8, v0
	v_lshrrev_b32_e32 v1, s30, v0
	v_mul_lo_u32 v0, v1, s28
	v_sub_u32_e32 v2, v8, v0
	v_mul_lo_u32 v0, v2, s36
	v_mul_lo_u32 v2, v2, s37
	s_cbranch_vccnz .LBB143_861
; %bb.860:
	s_waitcnt vmcnt(0)
	v_mul_hi_u32 v3, s48, v1
	v_add_u32_e32 v3, v1, v3
	v_lshrrev_b32_e32 v3, s49, v3
	v_mul_lo_u32 v3, v3, s31
	v_sub_u32_e32 v3, v1, v3
	v_mad_u64_u32 v[0:1], s[0:1], v3, s38, v[0:1]
	v_mad_u64_u32 v[2:3], s[0:1], v3, s39, v[2:3]
.LBB143_861:
	s_waitcnt vmcnt(0)
	v_mov_b32_e32 v3, s27
	s_and_b32 s14, 0xffff, s78
	v_add_co_u32_e32 v1, vcc, s26, v2
	s_cmp_lt_i32 s14, 11
	v_addc_co_u32_e32 v2, vcc, 0, v3, vcc
	s_cbranch_scc1 .LBB143_868
; %bb.862:
	s_cmp_gt_i32 s14, 25
	s_mov_b64 s[2:3], 0
	s_cbranch_scc0 .LBB143_869
; %bb.863:
	s_cmp_gt_i32 s14, 28
	s_cbranch_scc0 .LBB143_870
; %bb.864:
	s_cmp_gt_i32 s14, 43
	;; [unrolled: 3-line block ×3, first 2 shown]
	s_cbranch_scc0 .LBB143_874
; %bb.866:
	s_cmp_eq_u32 s14, 46
	s_mov_b64 s[10:11], 0
	s_cbranch_scc0 .LBB143_877
; %bb.867:
	global_load_dword v3, v[1:2], off
	s_mov_b64 s[0:1], 0
	s_mov_b64 s[8:9], -1
	s_waitcnt vmcnt(0)
	v_and_b32_e32 v4, 0xffff0000, v3
	v_lshlrev_b32_e32 v3, 16, v3
	s_branch .LBB143_878
.LBB143_868:
	s_mov_b64 s[12:13], -1
	s_mov_b64 s[8:9], 0
	s_mov_b64 s[2:3], 0
	;; [unrolled: 1-line block ×3, first 2 shown]
                                        ; implicit-def: $vgpr4
	s_branch .LBB143_944
.LBB143_869:
	s_mov_b64 s[10:11], -1
	s_mov_b64 s[8:9], 0
	s_mov_b64 s[0:1], s[70:71]
                                        ; implicit-def: $vgpr4
	s_branch .LBB143_909
.LBB143_870:
	s_mov_b64 s[10:11], -1
	s_mov_b64 s[8:9], 0
	s_mov_b64 s[0:1], s[70:71]
                                        ; implicit-def: $vgpr4
	s_branch .LBB143_890
.LBB143_871:
	s_mov_b64 s[10:11], -1
	s_mov_b64 s[8:9], 0
	s_mov_b64 s[0:1], s[70:71]
                                        ; implicit-def: $vgpr4
	s_branch .LBB143_884
.LBB143_872:
	s_andn2_saveexec_b64 s[14:15], s[14:15]
	s_cbranch_execz .LBB143_752
.LBB143_873:
	v_add_f32_e32 v2, 0x46000000, v3
	v_and_b32_e32 v2, 0xff, v2
	v_cmp_ne_u32_e32 vcc, 0, v2
	s_andn2_b64 s[12:13], s[12:13], exec
	s_and_b64 s[18:19], vcc, exec
	s_or_b64 s[12:13], s[12:13], s[18:19]
	s_or_b64 exec, exec, s[14:15]
	v_mov_b32_e32 v4, 0
	s_and_saveexec_b64 s[14:15], s[12:13]
	s_cbranch_execnz .LBB143_753
	s_branch .LBB143_754
.LBB143_874:
	s_mov_b64 s[10:11], -1
	s_mov_b64 s[8:9], 0
	s_mov_b64 s[0:1], s[70:71]
                                        ; implicit-def: $vgpr4
	s_branch .LBB143_878
.LBB143_875:
	s_andn2_saveexec_b64 s[14:15], s[14:15]
	s_cbranch_execz .LBB143_765
.LBB143_876:
	v_add_f32_e32 v2, 0x42800000, v3
	v_and_b32_e32 v2, 0xff, v2
	v_cmp_ne_u32_e32 vcc, 0, v2
	s_andn2_b64 s[12:13], s[12:13], exec
	s_and_b64 s[18:19], vcc, exec
	s_or_b64 s[12:13], s[12:13], s[18:19]
	s_or_b64 exec, exec, s[14:15]
	v_mov_b32_e32 v4, 0
	s_and_saveexec_b64 s[14:15], s[12:13]
	s_cbranch_execnz .LBB143_766
	s_branch .LBB143_767
.LBB143_877:
	s_mov_b64 s[0:1], -1
                                        ; implicit-def: $vgpr4
	s_mov_b64 s[8:9], 0
.LBB143_878:
	s_and_b64 vcc, exec, s[10:11]
	s_cbranch_vccz .LBB143_883
; %bb.879:
	s_cmp_eq_u32 s14, 44
	s_cbranch_scc0 .LBB143_881
; %bb.880:
	global_load_ubyte v3, v[1:2], off
	s_movk_i32 s8, 0xff
	v_mov_b32_e32 v4, 0x7f800001
	v_mov_b32_e32 v5, 0x400000
	s_mov_b64 s[0:1], 0
	s_waitcnt vmcnt(0)
	v_lshlrev_b32_e32 v6, 23, v3
	v_cmp_ne_u32_e32 vcc, s8, v3
	v_cndmask_b32_e32 v4, v4, v6, vcc
	v_cmp_ne_u32_e32 vcc, 0, v3
	v_cndmask_b32_e32 v3, v5, v4, vcc
	s_mov_b64 s[8:9], -1
	s_branch .LBB143_882
.LBB143_881:
	s_mov_b64 s[0:1], -1
                                        ; implicit-def: $vgpr3
.LBB143_882:
	v_mov_b32_e32 v4, 0
.LBB143_883:
	s_mov_b64 s[10:11], 0
.LBB143_884:
	s_and_b64 vcc, exec, s[10:11]
	s_cbranch_vccz .LBB143_889
; %bb.885:
	s_cmp_eq_u32 s14, 29
	s_cbranch_scc0 .LBB143_887
; %bb.886:
	global_load_dwordx2 v[3:4], v[1:2], off
	s_mov_b64 s[0:1], 0
	s_mov_b64 s[8:9], -1
	s_waitcnt vmcnt(0)
	v_ffbh_u32_e32 v5, v4
	v_min_u32_e32 v5, 32, v5
	v_lshlrev_b64 v[3:4], v5, v[3:4]
	v_min_u32_e32 v3, 1, v3
	v_or_b32_e32 v3, v4, v3
	v_cvt_f32_u32_e32 v3, v3
	v_sub_u32_e32 v4, 32, v5
	v_ldexp_f32 v3, v3, v4
	s_branch .LBB143_888
.LBB143_887:
	s_mov_b64 s[0:1], -1
                                        ; implicit-def: $vgpr3
.LBB143_888:
	v_mov_b32_e32 v4, 0
.LBB143_889:
	s_mov_b64 s[10:11], 0
.LBB143_890:
	s_and_b64 vcc, exec, s[10:11]
	s_cbranch_vccz .LBB143_908
; %bb.891:
	s_cmp_lt_i32 s14, 27
	s_cbranch_scc1 .LBB143_894
; %bb.892:
	s_cmp_gt_i32 s14, 27
	s_cbranch_scc0 .LBB143_895
; %bb.893:
	global_load_dword v3, v[1:2], off
	s_mov_b64 s[8:9], 0
	s_waitcnt vmcnt(0)
	v_cvt_f32_u32_e32 v3, v3
	s_branch .LBB143_896
.LBB143_894:
	s_mov_b64 s[8:9], -1
                                        ; implicit-def: $vgpr3
	s_branch .LBB143_899
.LBB143_895:
	s_mov_b64 s[8:9], -1
                                        ; implicit-def: $vgpr3
.LBB143_896:
	s_andn2_b64 vcc, exec, s[8:9]
	s_cbranch_vccnz .LBB143_898
; %bb.897:
	global_load_ushort v3, v[1:2], off
	s_waitcnt vmcnt(0)
	v_cvt_f32_u32_e32 v3, v3
.LBB143_898:
	s_mov_b64 s[8:9], 0
.LBB143_899:
	s_andn2_b64 vcc, exec, s[8:9]
	s_cbranch_vccnz .LBB143_907
; %bb.900:
	global_load_ubyte v4, v[1:2], off
	s_movk_i32 s8, 0x7f
	s_waitcnt vmcnt(0)
	v_cmp_lt_i16_e32 vcc, s8, v4
	s_mov_b64 s[8:9], 0
	s_and_saveexec_b64 s[10:11], vcc
	s_xor_b64 s[10:11], exec, s[10:11]
	s_cbranch_execz .LBB143_921
; %bb.901:
	s_movk_i32 s8, 0x80
	v_cmp_eq_u16_e32 vcc, s8, v4
	s_mov_b64 s[8:9], -1
	s_and_saveexec_b64 s[12:13], vcc
; %bb.902:
	s_xor_b64 s[8:9], exec, -1
; %bb.903:
	s_or_b64 exec, exec, s[12:13]
	s_and_b64 s[8:9], s[8:9], exec
	s_or_saveexec_b64 s[10:11], s[10:11]
	v_mov_b32_e32 v3, 0x7f800001
	s_xor_b64 exec, exec, s[10:11]
	s_cbranch_execnz .LBB143_922
.LBB143_904:
	s_or_b64 exec, exec, s[10:11]
	s_and_saveexec_b64 s[10:11], s[8:9]
	s_cbranch_execz .LBB143_906
.LBB143_905:
	v_lshlrev_b32_e32 v3, 24, v4
	v_and_b32_e32 v4, 0xffff, v4
	v_and_b32_e32 v5, 7, v4
	v_ffbh_u32_e32 v7, v5
	v_min_u32_e32 v7, 32, v7
	v_subrev_u32_e32 v8, 28, v7
	v_bfe_u32 v6, v4, 3, 4
	v_lshlrev_b32_e32 v4, v8, v4
	v_sub_u32_e32 v7, 29, v7
	v_and_b32_e32 v4, 7, v4
	v_cmp_eq_u32_e32 vcc, 0, v6
	v_cndmask_b32_e32 v6, v6, v7, vcc
	v_cndmask_b32_e32 v4, v5, v4, vcc
	v_mov_b32_e32 v5, 0x3b800000
	v_lshlrev_b32_e32 v4, 20, v4
	v_and_b32_e32 v3, 0x80000000, v3
	v_lshl_add_u32 v5, v6, 23, v5
	v_or3_b32 v3, v3, v5, v4
.LBB143_906:
	s_or_b64 exec, exec, s[10:11]
.LBB143_907:
	s_mov_b64 s[8:9], -1
	v_mov_b32_e32 v4, 0
.LBB143_908:
	s_mov_b64 s[10:11], 0
.LBB143_909:
	s_and_b64 vcc, exec, s[10:11]
	s_cbranch_vccz .LBB143_943
; %bb.910:
	s_cmp_gt_i32 s14, 22
	s_cbranch_scc0 .LBB143_920
; %bb.911:
	s_cmp_lt_i32 s14, 24
	s_cbranch_scc1 .LBB143_923
; %bb.912:
	s_cmp_gt_i32 s14, 24
	s_cbranch_scc0 .LBB143_924
; %bb.913:
	global_load_ubyte v4, v[1:2], off
	s_movk_i32 s2, 0x7f
	s_waitcnt vmcnt(0)
	v_cmp_lt_i16_e32 vcc, s2, v4
	s_mov_b64 s[2:3], 0
	s_and_saveexec_b64 s[8:9], vcc
	s_xor_b64 s[8:9], exec, s[8:9]
	s_cbranch_execz .LBB143_936
; %bb.914:
	s_movk_i32 s2, 0x80
	v_cmp_eq_u16_e32 vcc, s2, v4
	s_mov_b64 s[2:3], -1
	s_and_saveexec_b64 s[10:11], vcc
; %bb.915:
	s_xor_b64 s[2:3], exec, -1
; %bb.916:
	s_or_b64 exec, exec, s[10:11]
	s_and_b64 s[2:3], s[2:3], exec
	s_or_saveexec_b64 s[8:9], s[8:9]
	v_mov_b32_e32 v3, 0x7f800001
	s_xor_b64 exec, exec, s[8:9]
	s_cbranch_execnz .LBB143_937
.LBB143_917:
	s_or_b64 exec, exec, s[8:9]
	s_and_saveexec_b64 s[8:9], s[2:3]
	s_cbranch_execz .LBB143_919
.LBB143_918:
	v_lshlrev_b32_e32 v3, 24, v4
	v_and_b32_e32 v4, 0xffff, v4
	v_and_b32_e32 v5, 3, v4
	v_ffbh_u32_e32 v7, v5
	v_min_u32_e32 v7, 32, v7
	v_subrev_u32_e32 v8, 29, v7
	v_bfe_u32 v6, v4, 2, 5
	v_lshlrev_b32_e32 v4, v8, v4
	v_sub_u32_e32 v7, 30, v7
	v_and_b32_e32 v4, 3, v4
	v_cmp_eq_u32_e32 vcc, 0, v6
	v_cndmask_b32_e32 v6, v6, v7, vcc
	v_cndmask_b32_e32 v4, v5, v4, vcc
	v_mov_b32_e32 v5, 0x37800000
	v_lshlrev_b32_e32 v4, 21, v4
	v_and_b32_e32 v3, 0x80000000, v3
	v_lshl_add_u32 v5, v6, 23, v5
	v_or3_b32 v3, v3, v5, v4
.LBB143_919:
	s_or_b64 exec, exec, s[8:9]
	s_mov_b64 s[2:3], 0
	s_branch .LBB143_925
.LBB143_920:
	s_mov_b64 s[2:3], -1
                                        ; implicit-def: $vgpr3
	s_branch .LBB143_931
.LBB143_921:
	s_or_saveexec_b64 s[10:11], s[10:11]
	v_mov_b32_e32 v3, 0x7f800001
	s_xor_b64 exec, exec, s[10:11]
	s_cbranch_execz .LBB143_904
.LBB143_922:
	v_cmp_ne_u16_e32 vcc, 0, v4
	s_andn2_b64 s[8:9], s[8:9], exec
	s_and_b64 s[12:13], vcc, exec
	v_mov_b32_e32 v3, 0
	s_or_b64 s[8:9], s[8:9], s[12:13]
	s_or_b64 exec, exec, s[10:11]
	s_and_saveexec_b64 s[10:11], s[8:9]
	s_cbranch_execnz .LBB143_905
	s_branch .LBB143_906
.LBB143_923:
	s_mov_b64 s[2:3], -1
                                        ; implicit-def: $vgpr3
	s_branch .LBB143_928
.LBB143_924:
	s_mov_b64 s[2:3], -1
                                        ; implicit-def: $vgpr3
.LBB143_925:
	s_and_b64 vcc, exec, s[2:3]
	s_cbranch_vccz .LBB143_927
; %bb.926:
	global_load_ubyte v3, v[1:2], off
	s_mov_b32 s2, 0x7f800000
	s_waitcnt vmcnt(0)
	v_lshlrev_b32_e32 v3, 24, v3
	v_and_b32_e32 v4, 0x7f000000, v3
	v_ffbh_u32_e32 v5, v4
	v_min_u32_e32 v5, 32, v5
	v_sub_u32_e64 v5, v5, 4 clamp
	v_lshlrev_b32_e32 v7, v5, v4
	v_lshlrev_b32_e32 v5, 23, v5
	v_lshrrev_b32_e32 v7, 4, v7
	v_add_u32_e32 v6, 0x1000000, v4
	v_sub_u32_e32 v5, v7, v5
	v_ashrrev_i32_e32 v6, 8, v6
	v_add_u32_e32 v5, 0x3c000000, v5
	v_and_or_b32 v5, v6, s2, v5
	v_cmp_ne_u32_e32 vcc, 0, v4
	v_cndmask_b32_e32 v4, 0, v5, vcc
	s_brev_b32 s2, 1
	v_and_or_b32 v3, v3, s2, v4
.LBB143_927:
	s_mov_b64 s[2:3], 0
.LBB143_928:
	s_andn2_b64 vcc, exec, s[2:3]
	s_cbranch_vccnz .LBB143_930
; %bb.929:
	global_load_ubyte v3, v[1:2], off
	s_movk_i32 s2, 0x7f00
	s_brev_b32 s3, 16
	s_waitcnt vmcnt(0)
	v_lshlrev_b16_e32 v4, 8, v3
	v_lshlrev_b32_e32 v3, 25, v3
	v_lshrrev_b32_e32 v5, 4, v3
	v_and_or_b32 v6, v4, s2, 0.5
	v_or_b32_e32 v5, 0x70000000, v5
	v_add_f32_e32 v6, -0.5, v6
	v_mul_f32_e32 v5, 0x7800000, v5
	v_cmp_gt_u32_e32 vcc, s3, v3
	v_bfe_i32 v4, v4, 0, 16
	v_cndmask_b32_e32 v3, v5, v6, vcc
	s_brev_b32 s2, 1
	v_and_or_b32 v3, v4, s2, v3
.LBB143_930:
	s_mov_b64 s[2:3], 0
	s_mov_b64 s[8:9], -1
.LBB143_931:
	s_andn2_b64 vcc, exec, s[2:3]
	s_mov_b64 s[2:3], 0
	s_cbranch_vccnz .LBB143_942
; %bb.932:
	s_cmp_gt_i32 s14, 14
	s_cbranch_scc0 .LBB143_935
; %bb.933:
	s_cmp_eq_u32 s14, 15
	s_cbranch_scc0 .LBB143_938
; %bb.934:
	global_load_ushort v3, v[1:2], off
	s_mov_b64 s[0:1], 0
	s_mov_b64 s[8:9], -1
	s_waitcnt vmcnt(0)
	v_lshlrev_b32_e32 v3, 16, v3
	s_branch .LBB143_939
.LBB143_935:
	s_mov_b64 s[10:11], -1
                                        ; implicit-def: $vgpr3
	s_branch .LBB143_940
.LBB143_936:
	s_or_saveexec_b64 s[8:9], s[8:9]
	v_mov_b32_e32 v3, 0x7f800001
	s_xor_b64 exec, exec, s[8:9]
	s_cbranch_execz .LBB143_917
.LBB143_937:
	v_cmp_ne_u16_e32 vcc, 0, v4
	s_andn2_b64 s[2:3], s[2:3], exec
	s_and_b64 s[10:11], vcc, exec
	v_mov_b32_e32 v3, 0
	s_or_b64 s[2:3], s[2:3], s[10:11]
	s_or_b64 exec, exec, s[8:9]
	s_and_saveexec_b64 s[8:9], s[2:3]
	s_cbranch_execnz .LBB143_918
	s_branch .LBB143_919
.LBB143_938:
	s_mov_b64 s[0:1], -1
                                        ; implicit-def: $vgpr3
.LBB143_939:
	s_mov_b64 s[10:11], 0
.LBB143_940:
	s_and_b64 vcc, exec, s[10:11]
	s_cbranch_vccz .LBB143_942
; %bb.941:
	s_cmp_lg_u32 s14, 11
	s_cselect_b64 s[10:11], -1, 0
	s_andn2_b64 s[0:1], s[0:1], exec
	s_and_b64 s[10:11], s[10:11], exec
	s_mov_b64 s[2:3], -1
	s_or_b64 s[0:1], s[0:1], s[10:11]
.LBB143_942:
	v_mov_b32_e32 v4, 0
.LBB143_943:
	s_mov_b64 s[12:13], 0
.LBB143_944:
	s_and_b64 s[10:11], s[8:9], exec
	s_and_b64 s[8:9], s[12:13], exec
	s_andn2_b64 s[12:13], s[70:71], exec
	s_and_b64 s[0:1], s[0:1], exec
	s_and_b64 s[2:3], s[2:3], exec
	s_or_b64 s[12:13], s[12:13], s[0:1]
.LBB143_945:
	s_or_b64 exec, exec, s[74:75]
	s_and_b64 s[0:1], s[2:3], exec
	s_andn2_b64 s[2:3], s[70:71], exec
	s_and_b64 s[12:13], s[12:13], exec
	s_and_b64 s[10:11], s[10:11], exec
	;; [unrolled: 1-line block ×3, first 2 shown]
	s_or_b64 s[70:71], s[2:3], s[12:13]
.LBB143_946:
	s_or_b64 exec, exec, s[68:69]
	s_andn2_b64 s[2:3], s[64:65], exec
	s_and_b64 s[12:13], s[72:73], exec
	s_or_b64 s[64:65], s[2:3], s[12:13]
	s_and_b64 s[2:3], s[0:1], exec
	s_andn2_b64 s[0:1], s[62:63], exec
	s_and_b64 s[12:13], s[70:71], exec
	s_and_b64 s[10:11], s[10:11], exec
	;; [unrolled: 1-line block ×3, first 2 shown]
	s_or_b64 s[62:63], s[0:1], s[12:13]
.LBB143_947:
	s_or_b64 exec, exec, s[66:67]
	s_andn2_b64 s[0:1], s[56:57], exec
	s_and_b64 s[12:13], s[64:65], exec
	s_or_b64 s[56:57], s[0:1], s[12:13]
	s_and_b64 s[0:1], s[10:11], exec
	s_and_b64 s[10:11], s[8:9], exec
	;; [unrolled: 1-line block ×3, first 2 shown]
	s_andn2_b64 s[2:3], s[58:59], exec
	s_and_b64 s[8:9], s[62:63], exec
	s_or_b64 s[58:59], s[2:3], s[8:9]
	s_or_b64 exec, exec, s[60:61]
	s_mov_b64 s[2:3], 0
	s_and_saveexec_b64 s[8:9], s[58:59]
	s_cbranch_execz .LBB143_282
.LBB143_948:
	s_mov_b64 s[2:3], exec
	s_andn2_b64 s[64:65], s[64:65], exec
	s_trap 2
	s_or_b64 exec, exec, s[8:9]
	s_and_saveexec_b64 s[8:9], s[64:65]
	s_xor_b64 s[8:9], exec, s[8:9]
	s_cbranch_execnz .LBB143_283
.LBB143_949:
	s_or_b64 exec, exec, s[8:9]
	s_and_saveexec_b64 s[8:9], s[10:11]
	s_cbranch_execz .LBB143_997
.LBB143_950:
	s_sext_i32_i16 s10, s78
	s_cmp_lt_i32 s10, 5
	s_cbranch_scc1 .LBB143_955
; %bb.951:
	s_cmp_lt_i32 s10, 8
	s_cbranch_scc1 .LBB143_956
; %bb.952:
	;; [unrolled: 3-line block ×3, first 2 shown]
	s_cmp_gt_i32 s10, 9
	s_cbranch_scc0 .LBB143_958
; %bb.954:
	global_load_dwordx4 v[3:6], v[1:2], off
	s_mov_b64 s[10:11], 0
	s_waitcnt vmcnt(0)
	v_cvt_f32_f64_e32 v3, v[3:4]
	v_cvt_f32_f64_e32 v4, v[5:6]
	s_branch .LBB143_959
.LBB143_955:
                                        ; implicit-def: $vgpr4
	s_branch .LBB143_977
.LBB143_956:
                                        ; implicit-def: $vgpr4
	s_branch .LBB143_965
.LBB143_957:
	s_mov_b64 s[10:11], -1
                                        ; implicit-def: $vgpr4
	s_branch .LBB143_962
.LBB143_958:
	s_mov_b64 s[10:11], -1
                                        ; implicit-def: $vgpr4
.LBB143_959:
	s_andn2_b64 vcc, exec, s[10:11]
	s_cbranch_vccnz .LBB143_961
; %bb.960:
	global_load_dwordx2 v[3:4], v[1:2], off
.LBB143_961:
	s_mov_b64 s[10:11], 0
.LBB143_962:
	s_andn2_b64 vcc, exec, s[10:11]
	s_cbranch_vccnz .LBB143_964
; %bb.963:
	global_load_dword v4, v[1:2], off
	s_waitcnt vmcnt(0)
	v_cvt_f32_f16_e32 v3, v4
	v_cvt_f32_f16_sdwa v4, v4 dst_sel:DWORD dst_unused:UNUSED_PAD src0_sel:WORD_1
.LBB143_964:
	s_cbranch_execnz .LBB143_976
.LBB143_965:
	s_sext_i32_i16 s10, s78
	s_cmp_lt_i32 s10, 6
	s_cbranch_scc1 .LBB143_968
; %bb.966:
	s_cmp_gt_i32 s10, 6
	s_cbranch_scc0 .LBB143_969
; %bb.967:
	global_load_dwordx2 v[3:4], v[1:2], off
	s_mov_b64 s[10:11], 0
	s_waitcnt vmcnt(0)
	v_cvt_f32_f64_e32 v3, v[3:4]
	s_branch .LBB143_970
.LBB143_968:
	s_mov_b64 s[10:11], -1
                                        ; implicit-def: $vgpr3
	s_branch .LBB143_973
.LBB143_969:
	s_mov_b64 s[10:11], -1
                                        ; implicit-def: $vgpr3
.LBB143_970:
	s_andn2_b64 vcc, exec, s[10:11]
	s_cbranch_vccnz .LBB143_972
; %bb.971:
	global_load_dword v3, v[1:2], off
.LBB143_972:
	s_mov_b64 s[10:11], 0
.LBB143_973:
	s_andn2_b64 vcc, exec, s[10:11]
	s_cbranch_vccnz .LBB143_975
; %bb.974:
	global_load_ushort v3, v[1:2], off
	s_waitcnt vmcnt(0)
	v_cvt_f32_f16_e32 v3, v3
.LBB143_975:
	s_waitcnt vmcnt(0)
	v_mov_b32_e32 v4, 0
.LBB143_976:
	s_cbranch_execnz .LBB143_996
.LBB143_977:
	s_sext_i32_i16 s10, s78
	s_cmp_lt_i32 s10, 2
	s_cbranch_scc1 .LBB143_981
; %bb.978:
	s_cmp_lt_i32 s10, 3
	s_cbranch_scc1 .LBB143_982
; %bb.979:
	s_cmp_gt_i32 s10, 3
	s_cbranch_scc0 .LBB143_983
; %bb.980:
	global_load_dwordx2 v[3:4], v[1:2], off
	s_mov_b64 s[10:11], 0
	s_waitcnt vmcnt(0)
	v_xor_b32_e32 v6, v3, v4
	v_ffbh_i32_e32 v5, v4
	v_ashrrev_i32_e32 v6, 31, v6
	v_add_u32_e32 v5, -1, v5
	v_add_u32_e32 v6, 32, v6
	v_min_u32_e32 v5, v5, v6
	v_lshlrev_b64 v[3:4], v5, v[3:4]
	v_min_u32_e32 v3, 1, v3
	v_or_b32_e32 v3, v4, v3
	v_cvt_f32_i32_e32 v3, v3
	v_sub_u32_e32 v4, 32, v5
	v_ldexp_f32 v3, v3, v4
	s_branch .LBB143_984
.LBB143_981:
                                        ; implicit-def: $vgpr3
	s_branch .LBB143_990
.LBB143_982:
	s_mov_b64 s[10:11], -1
                                        ; implicit-def: $vgpr3
	s_branch .LBB143_987
.LBB143_983:
	s_mov_b64 s[10:11], -1
                                        ; implicit-def: $vgpr3
.LBB143_984:
	s_andn2_b64 vcc, exec, s[10:11]
	s_cbranch_vccnz .LBB143_986
; %bb.985:
	global_load_dword v3, v[1:2], off
	s_waitcnt vmcnt(0)
	v_cvt_f32_i32_e32 v3, v3
.LBB143_986:
	s_mov_b64 s[10:11], 0
.LBB143_987:
	s_andn2_b64 vcc, exec, s[10:11]
	s_cbranch_vccnz .LBB143_989
; %bb.988:
	global_load_sshort v3, v[1:2], off
	s_waitcnt vmcnt(0)
	v_cvt_f32_i32_e32 v3, v3
.LBB143_989:
	s_cbranch_execnz .LBB143_995
.LBB143_990:
	s_sext_i32_i16 s10, s78
	s_cmp_gt_i32 s10, 0
	s_cbranch_scc0 .LBB143_992
; %bb.991:
	global_load_sbyte v3, v[1:2], off
	s_mov_b64 s[10:11], 0
	s_waitcnt vmcnt(0)
	v_cvt_f32_i32_e32 v3, v3
	s_branch .LBB143_993
.LBB143_992:
	s_mov_b64 s[10:11], -1
                                        ; implicit-def: $vgpr3
.LBB143_993:
	s_andn2_b64 vcc, exec, s[10:11]
	s_cbranch_vccnz .LBB143_995
; %bb.994:
	global_load_ubyte v1, v[1:2], off
	s_waitcnt vmcnt(0)
	v_cvt_f32_ubyte0_e32 v3, v1
.LBB143_995:
	s_waitcnt vmcnt(0)
	v_mov_b32_e32 v4, 0
.LBB143_996:
	s_or_b64 s[0:1], s[0:1], exec
.LBB143_997:
	s_or_b64 exec, exec, s[8:9]
	s_mov_b64 s[14:15], 0
	s_mov_b64 s[12:13], 0
                                        ; implicit-def: $sgpr8_sgpr9
                                        ; implicit-def: $sgpr20
                                        ; implicit-def: $vgpr1_vgpr2
	s_and_saveexec_b64 s[10:11], s[0:1]
	s_cbranch_execz .LBB143_1075
; %bb.998:
	s_andn2_b64 vcc, exec, s[46:47]
	s_cbranch_vccnz .LBB143_1079
; %bb.999:
	s_waitcnt vmcnt(0)
	v_cmp_neq_f32_e32 vcc, s44, v3
	v_cmp_neq_f32_e64 s[0:1], s45, v4
	s_or_b64 s[8:9], vcc, s[0:1]
	s_cbranch_execnz .LBB143_1001
.LBB143_1000:
	s_waitcnt vmcnt(0)
	v_cmp_eq_f32_e32 vcc, s44, v3
	v_cmp_eq_f32_e64 s[0:1], s45, v4
	s_and_b64 s[0:1], vcc, s[0:1]
	s_andn2_b64 s[8:9], s[8:9], exec
	s_and_b64 s[0:1], s[0:1], exec
	s_or_b64 s[8:9], s[8:9], s[0:1]
.LBB143_1001:
	v_mov_b32_e32 v2, s25
	s_and_b32 s20, s77, 0xff
	v_add_co_u32_e32 v1, vcc, s24, v0
	s_cmp_lt_i32 s20, 11
	v_addc_co_u32_e32 v2, vcc, 0, v2, vcc
	s_cbranch_scc1 .LBB143_1078
; %bb.1002:
	s_and_b32 s21, 0xffff, s20
	s_mov_b64 s[14:15], -1
	s_cmp_gt_i32 s21, 25
	s_mov_b64 s[0:1], s[56:57]
	s_cbranch_scc0 .LBB143_1035
; %bb.1003:
	s_mov_b64 s[12:13], -1
	s_cmp_gt_i32 s21, 28
	s_mov_b64 s[0:1], s[56:57]
	s_cbranch_scc0 .LBB143_1019
; %bb.1004:
	s_cmp_gt_i32 s21, 43
	s_mov_b64 s[0:1], s[56:57]
	s_cbranch_scc0 .LBB143_1015
; %bb.1005:
	;; [unrolled: 4-line block ×3, first 2 shown]
	s_cmp_eq_u32 s21, 46
	s_mov_b64 s[0:1], -1
	s_cbranch_scc0 .LBB143_1008
; %bb.1007:
	v_cndmask_b32_e64 v0, 0, 1.0, s[8:9]
	s_waitcnt vmcnt(0)
	v_bfe_u32 v3, v0, 16, 1
	s_movk_i32 s0, 0x7fff
	v_add3_u32 v0, v0, v3, s0
	v_lshrrev_b32_e32 v0, 16, v0
	global_store_dword v[1:2], v0, off
	s_mov_b64 s[0:1], 0
.LBB143_1008:
	s_mov_b64 s[12:13], 0
.LBB143_1009:
	s_and_b64 vcc, exec, s[12:13]
	s_cbranch_vccz .LBB143_1014
; %bb.1010:
	s_cmp_eq_u32 s21, 44
	s_mov_b64 s[0:1], -1
	s_cbranch_scc0 .LBB143_1014
; %bb.1011:
	s_waitcnt vmcnt(0)
	v_cndmask_b32_e64 v3, 0, 1.0, s[8:9]
	v_lshrrev_b32_e32 v0, 23, v3
	s_movk_i32 s0, 0xff
	v_cmp_ne_u32_e32 vcc, s0, v0
	v_mov_b32_e32 v4, 0xff
	s_and_saveexec_b64 s[12:13], vcc
; %bb.1012:
	s_mov_b32 s0, 0x3fffff
	v_and_b32_e32 v4, 0x400000, v3
	v_and_or_b32 v3, v3, s0, v0
	v_cmp_ne_u32_e32 vcc, 0, v4
	v_cmp_ne_u32_e64 s[0:1], 0, v3
	s_and_b64 s[0:1], vcc, s[0:1]
	v_cndmask_b32_e64 v3, 0, 1, s[0:1]
	v_add_u32_e32 v4, v0, v3
; %bb.1013:
	s_or_b64 exec, exec, s[12:13]
	s_mov_b64 s[0:1], 0
	global_store_byte v[1:2], v4, off
.LBB143_1014:
	s_mov_b64 s[12:13], 0
.LBB143_1015:
	s_and_b64 vcc, exec, s[12:13]
	s_cbranch_vccz .LBB143_1018
; %bb.1016:
	s_cmp_eq_u32 s21, 29
	s_mov_b64 s[0:1], -1
	s_cbranch_scc0 .LBB143_1018
; %bb.1017:
	s_mov_b32 s0, 0
	s_waitcnt vmcnt(0)
	v_cndmask_b32_e64 v3, 0, 1, s[8:9]
	v_mov_b32_e32 v4, s0
	global_store_dwordx2 v[1:2], v[3:4], off
	s_mov_b64 s[0:1], 0
.LBB143_1018:
	s_mov_b64 s[12:13], 0
.LBB143_1019:
	s_and_b64 vcc, exec, s[12:13]
	s_cbranch_vccz .LBB143_1034
; %bb.1020:
	s_cmp_lt_i32 s21, 27
	s_mov_b64 s[12:13], -1
	s_cbranch_scc1 .LBB143_1026
; %bb.1021:
	s_cmp_gt_i32 s21, 27
	s_cbranch_scc0 .LBB143_1023
; %bb.1022:
	v_cndmask_b32_e64 v0, 0, 1, s[8:9]
	s_mov_b64 s[12:13], 0
	global_store_dword v[1:2], v0, off
.LBB143_1023:
	s_andn2_b64 vcc, exec, s[12:13]
	s_cbranch_vccnz .LBB143_1025
; %bb.1024:
	v_cndmask_b32_e64 v0, 0, 1, s[8:9]
	global_store_short v[1:2], v0, off
.LBB143_1025:
	s_mov_b64 s[12:13], 0
.LBB143_1026:
	s_andn2_b64 vcc, exec, s[12:13]
	s_cbranch_vccnz .LBB143_1034
; %bb.1027:
	s_waitcnt vmcnt(0)
	v_cndmask_b32_e64 v3, 0, 1.0, s[8:9]
	s_mov_b32 s12, 0x43800000
	v_cmp_gt_u32_e32 vcc, s12, v3
	v_mov_b32_e32 v4, 0x80
	s_and_saveexec_b64 s[12:13], vcc
	s_cbranch_execz .LBB143_1033
; %bb.1028:
	s_mov_b32 s14, 0x3bffffff
	v_cmp_lt_u32_e32 vcc, s14, v3
	s_mov_b64 s[14:15], 0
                                        ; implicit-def: $vgpr0
	s_and_saveexec_b64 s[16:17], vcc
	s_xor_b64 s[16:17], exec, s[16:17]
	s_cbranch_execz .LBB143_1192
; %bb.1029:
	v_bfe_u32 v0, v3, 20, 1
	s_mov_b32 s18, 0x487ffff
	v_add3_u32 v0, v3, v0, s18
	s_mov_b64 s[14:15], exec
	v_lshrrev_b32_e32 v0, 20, v0
                                        ; implicit-def: $vgpr3
	s_andn2_saveexec_b64 s[16:17], s[16:17]
	s_cbranch_execnz .LBB143_1193
.LBB143_1030:
	s_or_b64 exec, exec, s[16:17]
	v_mov_b32_e32 v4, 0
	s_and_saveexec_b64 s[16:17], s[14:15]
.LBB143_1031:
	v_mov_b32_e32 v4, v0
.LBB143_1032:
	s_or_b64 exec, exec, s[16:17]
.LBB143_1033:
	s_or_b64 exec, exec, s[12:13]
	global_store_byte v[1:2], v4, off
.LBB143_1034:
	s_mov_b64 s[14:15], 0
.LBB143_1035:
	s_mov_b64 s[12:13], 0
	s_and_b64 vcc, exec, s[14:15]
	s_cbranch_vccz .LBB143_1080
; %bb.1036:
	s_cmp_gt_i32 s21, 22
	s_mov_b64 s[14:15], -1
	s_cbranch_scc0 .LBB143_1068
; %bb.1037:
	s_cmp_lt_i32 s21, 24
	s_cbranch_scc1 .LBB143_1057
; %bb.1038:
	s_cmp_gt_i32 s21, 24
	s_cbranch_scc0 .LBB143_1046
; %bb.1039:
	s_waitcnt vmcnt(0)
	v_cndmask_b32_e64 v3, 0, 1.0, s[8:9]
	s_mov_b32 s14, 0x47800000
	v_cmp_gt_u32_e32 vcc, s14, v3
	v_mov_b32_e32 v4, 0x80
	s_and_saveexec_b64 s[14:15], vcc
	s_cbranch_execz .LBB143_1045
; %bb.1040:
	s_mov_b32 s16, 0x37ffffff
	v_cmp_lt_u32_e32 vcc, s16, v3
	s_mov_b64 s[16:17], 0
                                        ; implicit-def: $vgpr0
	s_and_saveexec_b64 s[18:19], vcc
	s_xor_b64 s[18:19], exec, s[18:19]
	s_cbranch_execz .LBB143_1326
; %bb.1041:
	v_bfe_u32 v0, v3, 21, 1
	s_mov_b32 s22, 0x88fffff
	v_add3_u32 v0, v3, v0, s22
	s_mov_b64 s[16:17], exec
	v_lshrrev_b32_e32 v0, 21, v0
                                        ; implicit-def: $vgpr3
	s_andn2_saveexec_b64 s[18:19], s[18:19]
	s_cbranch_execnz .LBB143_1327
.LBB143_1042:
	s_or_b64 exec, exec, s[18:19]
	v_mov_b32_e32 v4, 0
	s_and_saveexec_b64 s[18:19], s[16:17]
.LBB143_1043:
	v_mov_b32_e32 v4, v0
.LBB143_1044:
	s_or_b64 exec, exec, s[18:19]
.LBB143_1045:
	s_or_b64 exec, exec, s[14:15]
	s_mov_b64 s[14:15], 0
	global_store_byte v[1:2], v4, off
.LBB143_1046:
	s_and_b64 vcc, exec, s[14:15]
	s_cbranch_vccz .LBB143_1056
; %bb.1047:
	v_cndmask_b32_e64 v0, 0, 1.0, s[8:9]
	s_mov_b32 s14, 0x43f00000
	v_cmp_gt_u32_e32 vcc, s14, v0
                                        ; implicit-def: $vgpr3
	s_and_saveexec_b64 s[14:15], vcc
	s_xor_b64 s[14:15], exec, s[14:15]
	s_cbranch_execz .LBB143_1053
; %bb.1048:
	s_mov_b32 s16, 0x3c7fffff
	v_cmp_lt_u32_e32 vcc, s16, v0
                                        ; implicit-def: $vgpr3
	s_and_saveexec_b64 s[16:17], vcc
	s_xor_b64 s[16:17], exec, s[16:17]
	s_cbranch_execz .LBB143_1050
; %bb.1049:
	s_waitcnt vmcnt(0)
	v_bfe_u32 v3, v0, 20, 1
	s_mov_b32 s18, 0x407ffff
	v_add3_u32 v0, v0, v3, s18
	v_lshrrev_b32_e32 v3, 20, v0
	v_and_b32_e32 v0, 0xff00000, v0
	s_mov_b32 s18, 0x7f00000
	v_mov_b32_e32 v4, 0x7e
	v_cmp_ne_u32_e32 vcc, s18, v0
	v_cndmask_b32_e32 v3, v4, v3, vcc
                                        ; implicit-def: $vgpr0
.LBB143_1050:
	s_andn2_saveexec_b64 s[16:17], s[16:17]
	s_cbranch_execz .LBB143_1052
; %bb.1051:
	s_waitcnt vmcnt(0)
	v_add_f32_e32 v3, 0x46800000, v0
.LBB143_1052:
	s_or_b64 exec, exec, s[16:17]
                                        ; implicit-def: $vgpr0
.LBB143_1053:
	s_andn2_saveexec_b64 s[14:15], s[14:15]
	s_cbranch_execz .LBB143_1055
; %bb.1054:
	s_mov_b32 s16, 0x7f800000
	s_waitcnt vmcnt(0)
	v_mov_b32_e32 v3, 0x7e
	v_mov_b32_e32 v4, 0x7f
	v_cmp_lt_u32_e32 vcc, s16, v0
	v_cndmask_b32_e32 v3, v3, v4, vcc
.LBB143_1055:
	s_or_b64 exec, exec, s[14:15]
	s_waitcnt vmcnt(0)
	global_store_byte v[1:2], v3, off
.LBB143_1056:
	s_mov_b64 s[14:15], 0
.LBB143_1057:
	s_andn2_b64 vcc, exec, s[14:15]
	s_cbranch_vccnz .LBB143_1067
; %bb.1058:
	v_cndmask_b32_e64 v0, 0, 1.0, s[8:9]
	s_mov_b32 s14, 0x47800000
	v_cmp_gt_u32_e32 vcc, s14, v0
                                        ; implicit-def: $vgpr3
	s_and_saveexec_b64 s[14:15], vcc
	s_xor_b64 s[14:15], exec, s[14:15]
	s_cbranch_execz .LBB143_1064
; %bb.1059:
	s_mov_b32 s16, 0x387fffff
	v_cmp_lt_u32_e32 vcc, s16, v0
                                        ; implicit-def: $vgpr3
	s_and_saveexec_b64 s[16:17], vcc
	s_xor_b64 s[16:17], exec, s[16:17]
	s_cbranch_execz .LBB143_1061
; %bb.1060:
	s_waitcnt vmcnt(0)
	v_bfe_u32 v3, v0, 21, 1
	s_mov_b32 s18, 0x80fffff
	v_add3_u32 v0, v0, v3, s18
	v_lshrrev_b32_e32 v3, 21, v0
                                        ; implicit-def: $vgpr0
.LBB143_1061:
	s_andn2_saveexec_b64 s[16:17], s[16:17]
	s_cbranch_execz .LBB143_1063
; %bb.1062:
	s_waitcnt vmcnt(0)
	v_add_f32_e32 v3, 0x43000000, v0
.LBB143_1063:
	s_or_b64 exec, exec, s[16:17]
                                        ; implicit-def: $vgpr0
.LBB143_1064:
	s_andn2_saveexec_b64 s[14:15], s[14:15]
	s_cbranch_execz .LBB143_1066
; %bb.1065:
	s_mov_b32 s16, 0x7f800000
	s_waitcnt vmcnt(0)
	v_mov_b32_e32 v3, 0x7c
	v_mov_b32_e32 v4, 0x7f
	v_cmp_lt_u32_e32 vcc, s16, v0
	v_cndmask_b32_e32 v3, v3, v4, vcc
.LBB143_1066:
	s_or_b64 exec, exec, s[14:15]
	s_waitcnt vmcnt(0)
	global_store_byte v[1:2], v3, off
.LBB143_1067:
	s_mov_b64 s[14:15], 0
.LBB143_1068:
	s_andn2_b64 vcc, exec, s[14:15]
	s_mov_b64 s[14:15], 0
	s_cbranch_vccnz .LBB143_1081
; %bb.1069:
	s_cmp_gt_i32 s21, 14
	s_mov_b64 s[16:17], -1
	s_cbranch_scc0 .LBB143_1073
; %bb.1070:
	s_cmp_eq_u32 s21, 15
	s_mov_b64 s[0:1], -1
	s_cbranch_scc0 .LBB143_1072
; %bb.1071:
	v_cndmask_b32_e64 v0, 0, 1.0, s[8:9]
	s_waitcnt vmcnt(0)
	v_bfe_u32 v3, v0, 16, 1
	s_movk_i32 s0, 0x7fff
	v_add3_u32 v0, v0, v3, s0
	global_store_short_d16_hi v[1:2], v0, off
	s_mov_b64 s[0:1], 0
.LBB143_1072:
	s_mov_b64 s[16:17], 0
.LBB143_1073:
	s_and_b64 vcc, exec, s[16:17]
	s_cbranch_vccz .LBB143_1081
; %bb.1074:
	s_cmp_lg_u32 s21, 11
	s_cselect_b64 s[16:17], -1, 0
	s_andn2_b64 s[0:1], s[0:1], exec
	s_and_b64 s[16:17], s[16:17], exec
	s_mov_b64 s[14:15], -1
	s_or_b64 s[0:1], s[0:1], s[16:17]
	s_branch .LBB143_1081
.LBB143_1075:
	s_or_b64 exec, exec, s[10:11]
	s_and_saveexec_b64 s[0:1], s[56:57]
	s_cbranch_execnz .LBB143_1082
.LBB143_1076:
	s_or_b64 exec, exec, s[0:1]
	s_and_saveexec_b64 s[0:1], s[14:15]
	s_xor_b64 s[0:1], exec, s[0:1]
	s_cbranch_execz .LBB143_1083
.LBB143_1077:
	v_cndmask_b32_e64 v0, 0, 1, s[8:9]
	global_store_byte v[1:2], v0, off
	s_or_b64 exec, exec, s[0:1]
	s_and_saveexec_b64 s[0:1], s[12:13]
	s_xor_b64 s[0:1], exec, s[0:1]
	s_cbranch_execz .LBB143_1121
	s_branch .LBB143_1084
.LBB143_1078:
	s_mov_b64 s[12:13], -1
	s_mov_b64 s[0:1], s[56:57]
	s_branch .LBB143_1081
.LBB143_1079:
                                        ; implicit-def: $sgpr8_sgpr9
	s_branch .LBB143_1000
.LBB143_1080:
	s_mov_b64 s[14:15], 0
.LBB143_1081:
	s_andn2_b64 s[16:17], s[56:57], exec
	s_and_b64 s[0:1], s[0:1], exec
	s_and_b64 s[12:13], s[12:13], exec
	;; [unrolled: 1-line block ×3, first 2 shown]
	s_or_b64 s[56:57], s[16:17], s[0:1]
	s_or_b64 exec, exec, s[10:11]
	s_and_saveexec_b64 s[0:1], s[56:57]
	s_cbranch_execz .LBB143_1076
.LBB143_1082:
	s_or_b64 s[2:3], s[2:3], exec
	s_andn2_b64 s[14:15], s[14:15], exec
	s_trap 2
	s_or_b64 exec, exec, s[0:1]
	s_and_saveexec_b64 s[0:1], s[14:15]
	s_xor_b64 s[0:1], exec, s[0:1]
	s_cbranch_execnz .LBB143_1077
.LBB143_1083:
	s_or_b64 exec, exec, s[0:1]
	s_and_saveexec_b64 s[0:1], s[12:13]
	s_xor_b64 s[0:1], exec, s[0:1]
	s_cbranch_execz .LBB143_1121
.LBB143_1084:
	s_sext_i32_i16 s12, s20
	s_cmp_lt_i32 s12, 5
	s_mov_b64 s[10:11], -1
	s_cbranch_scc1 .LBB143_1105
; %bb.1085:
	s_cmp_lt_i32 s12, 8
	s_cbranch_scc1 .LBB143_1095
; %bb.1086:
	s_cmp_lt_i32 s12, 9
	s_cbranch_scc1 .LBB143_1092
; %bb.1087:
	s_cmp_gt_i32 s12, 9
	s_cbranch_scc0 .LBB143_1089
; %bb.1088:
	v_cndmask_b32_e64 v0, 0, 1, s[8:9]
	s_waitcnt vmcnt(0)
	v_cvt_f64_u32_e32 v[3:4], v0
	v_mov_b32_e32 v5, 0
	v_mov_b32_e32 v6, v5
	s_mov_b64 s[10:11], 0
	global_store_dwordx4 v[1:2], v[3:6], off
.LBB143_1089:
	s_andn2_b64 vcc, exec, s[10:11]
	s_cbranch_vccnz .LBB143_1091
; %bb.1090:
	s_waitcnt vmcnt(0)
	v_cndmask_b32_e64 v3, 0, 1.0, s[8:9]
	v_mov_b32_e32 v4, 0
	global_store_dwordx2 v[1:2], v[3:4], off
.LBB143_1091:
	s_mov_b64 s[10:11], 0
.LBB143_1092:
	s_andn2_b64 vcc, exec, s[10:11]
	s_cbranch_vccnz .LBB143_1094
; %bb.1093:
	v_cndmask_b32_e64 v0, 0, 1.0, s[8:9]
	v_cvt_f16_f32_e32 v0, v0
	global_store_dword v[1:2], v0, off
.LBB143_1094:
	s_mov_b64 s[10:11], 0
.LBB143_1095:
	s_andn2_b64 vcc, exec, s[10:11]
	s_cbranch_vccnz .LBB143_1104
; %bb.1096:
	s_sext_i32_i16 s12, s20
	s_cmp_lt_i32 s12, 6
	s_mov_b64 s[10:11], -1
	s_cbranch_scc1 .LBB143_1102
; %bb.1097:
	s_cmp_gt_i32 s12, 6
	s_cbranch_scc0 .LBB143_1099
; %bb.1098:
	v_cndmask_b32_e64 v0, 0, 1, s[8:9]
	s_waitcnt vmcnt(0)
	v_cvt_f64_u32_e32 v[3:4], v0
	s_mov_b64 s[10:11], 0
	global_store_dwordx2 v[1:2], v[3:4], off
.LBB143_1099:
	s_andn2_b64 vcc, exec, s[10:11]
	s_cbranch_vccnz .LBB143_1101
; %bb.1100:
	v_cndmask_b32_e64 v0, 0, 1.0, s[8:9]
	global_store_dword v[1:2], v0, off
.LBB143_1101:
	s_mov_b64 s[10:11], 0
.LBB143_1102:
	s_andn2_b64 vcc, exec, s[10:11]
	s_cbranch_vccnz .LBB143_1104
; %bb.1103:
	v_cndmask_b32_e64 v0, 0, 1.0, s[8:9]
	v_cvt_f16_f32_e32 v0, v0
	global_store_short v[1:2], v0, off
.LBB143_1104:
	s_mov_b64 s[10:11], 0
.LBB143_1105:
	s_andn2_b64 vcc, exec, s[10:11]
	s_cbranch_vccnz .LBB143_1121
; %bb.1106:
	s_sext_i32_i16 s12, s20
	s_cmp_lt_i32 s12, 2
	s_mov_b64 s[10:11], -1
	s_cbranch_scc1 .LBB143_1116
; %bb.1107:
	s_cmp_lt_i32 s12, 3
	s_cbranch_scc1 .LBB143_1113
; %bb.1108:
	s_cmp_gt_i32 s12, 3
	s_cbranch_scc0 .LBB143_1110
; %bb.1109:
	s_mov_b32 s10, 0
	s_waitcnt vmcnt(0)
	v_cndmask_b32_e64 v3, 0, 1, s[8:9]
	v_mov_b32_e32 v4, s10
	s_mov_b64 s[10:11], 0
	global_store_dwordx2 v[1:2], v[3:4], off
.LBB143_1110:
	s_andn2_b64 vcc, exec, s[10:11]
	s_cbranch_vccnz .LBB143_1112
; %bb.1111:
	v_cndmask_b32_e64 v0, 0, 1, s[8:9]
	global_store_dword v[1:2], v0, off
.LBB143_1112:
	s_mov_b64 s[10:11], 0
.LBB143_1113:
	s_andn2_b64 vcc, exec, s[10:11]
	s_cbranch_vccnz .LBB143_1115
; %bb.1114:
	v_cndmask_b32_e64 v0, 0, 1, s[8:9]
	global_store_short v[1:2], v0, off
.LBB143_1115:
	s_mov_b64 s[10:11], 0
.LBB143_1116:
	s_andn2_b64 vcc, exec, s[10:11]
	s_cbranch_vccnz .LBB143_1121
; %bb.1117:
	s_sext_i32_i16 s10, s20
	s_cmp_gt_i32 s10, 0
	s_mov_b64 s[10:11], -1
	s_cbranch_scc0 .LBB143_1119
; %bb.1118:
	v_cndmask_b32_e64 v0, 0, 1, s[8:9]
	s_mov_b64 s[10:11], 0
	global_store_byte v[1:2], v0, off
.LBB143_1119:
	s_andn2_b64 vcc, exec, s[10:11]
	s_cbranch_vccnz .LBB143_1121
; %bb.1120:
	v_cndmask_b32_e64 v0, 0, 1, s[8:9]
	global_store_byte v[1:2], v0, off
.LBB143_1121:
	s_or_b64 exec, exec, s[0:1]
	s_and_b64 s[28:29], s[2:3], exec
                                        ; implicit-def: $vgpr15
                                        ; implicit-def: $vgpr8
.LBB143_1122:
	s_or_saveexec_b64 s[30:31], s[42:43]
	s_mov_b64 s[0:1], 0
                                        ; implicit-def: $sgpr10_sgpr11
                                        ; implicit-def: $vgpr0_vgpr1
                                        ; implicit-def: $sgpr22
	s_xor_b64 exec, exec, s[30:31]
	s_cbranch_execz .LBB143_1728
; %bb.1123:
	v_cndmask_b32_e64 v0, 0, 1, s[40:41]
	v_cmp_ne_u32_e64 s[0:1], 1, v0
	s_andn2_b64 vcc, exec, s[40:41]
	s_cbranch_vccnz .LBB143_1129
; %bb.1124:
	s_cmp_lg_u32 s33, 0
	s_mov_b32 s36, 0
	s_cbranch_scc0 .LBB143_1130
; %bb.1125:
	s_min_u32 s37, s76, 15
	s_add_i32 s37, s37, 1
	s_cmp_eq_u32 s76, 2
	s_cbranch_scc1 .LBB143_1131
; %bb.1126:
	s_and_b32 s36, s37, 28
	s_add_u32 s2, s34, 0xc4
	s_addc_u32 s3, s35, 0
	v_mov_b32_e32 v13, 0
	s_mov_b32 s38, 0
	s_mov_b64 s[6:7], s[34:35]
	v_mov_b32_e32 v6, 0
	v_mov_b32_e32 v0, v8
.LBB143_1127:                           ; =>This Inner Loop Header: Depth=1
	s_load_dwordx8 s[16:23], s[6:7], 0x4
	s_load_dwordx4 s[24:27], s[6:7], 0x24
	s_load_dwordx8 s[8:15], s[2:3], 0x0
	s_add_u32 s6, s6, 48
	s_addc_u32 s7, s7, 0
	s_waitcnt lgkmcnt(0)
	v_mul_hi_u32 v1, s17, v0
	s_add_i32 s38, s38, 4
	s_add_u32 s2, s2, 32
	s_addc_u32 s3, s3, 0
	v_add_u32_e32 v1, v0, v1
	v_lshrrev_b32_e32 v1, s18, v1
	v_mul_lo_u32 v2, v1, s16
	s_waitcnt vmcnt(0)
	v_mul_hi_u32 v3, s20, v1
	s_cmp_lg_u32 s36, s38
	v_sub_u32_e32 v0, v0, v2
	v_add_u32_e32 v2, v1, v3
	v_mul_lo_u32 v3, v0, s8
	v_mul_lo_u32 v4, v0, s9
	v_lshrrev_b32_e32 v0, s21, v2
	v_mul_lo_u32 v2, v0, s19
	v_mul_hi_u32 v5, s23, v0
	v_sub_u32_e32 v1, v1, v2
	v_add_u32_e32 v2, v0, v5
	v_lshrrev_b32_e32 v2, s24, v2
	v_mul_hi_u32 v7, s26, v2
	v_mul_lo_u32 v9, v2, s22
	v_mul_lo_u32 v5, v1, s10
	;; [unrolled: 1-line block ×3, first 2 shown]
	v_sub_u32_e32 v9, v0, v9
	v_add_u32_e32 v0, v2, v7
	v_lshrrev_b32_e32 v0, s27, v0
	v_mul_lo_u32 v7, v0, s25
	v_mul_lo_u32 v10, v9, s12
	;; [unrolled: 1-line block ×3, first 2 shown]
	v_add3_u32 v3, v3, v6, v5
	v_sub_u32_e32 v2, v2, v7
	v_mul_lo_u32 v7, v2, s14
	v_mul_lo_u32 v2, v2, s15
	v_add3_u32 v1, v4, v13, v1
	v_add3_u32 v6, v10, v3, v7
	;; [unrolled: 1-line block ×3, first 2 shown]
	s_cbranch_scc1 .LBB143_1127
; %bb.1128:
	s_and_b32 s8, s37, 3
	s_cmp_eq_u32 s8, 0
	s_cbranch_scc0 .LBB143_1132
	s_branch .LBB143_1134
.LBB143_1129:
                                        ; implicit-def: $vgpr6
                                        ; implicit-def: $vgpr13
	s_branch .LBB143_1135
.LBB143_1130:
	v_mov_b32_e32 v6, 0
	v_mov_b32_e32 v13, 0
	s_branch .LBB143_1134
.LBB143_1131:
	v_mov_b32_e32 v6, 0
	v_mov_b32_e32 v13, 0
	;; [unrolled: 1-line block ×3, first 2 shown]
	s_and_b32 s8, s37, 3
	s_cmp_eq_u32 s8, 0
	s_cbranch_scc1 .LBB143_1134
.LBB143_1132:
	s_lshl_b32 s2, s36, 3
	s_add_u32 s2, s34, s2
	s_addc_u32 s3, s35, 0
	s_add_u32 s2, s2, 0xc4
	s_addc_u32 s3, s3, 0
	s_mul_i32 s6, s36, 12
	s_add_u32 s6, s34, s6
	s_addc_u32 s7, s35, 0
.LBB143_1133:                           ; =>This Inner Loop Header: Depth=1
	s_load_dwordx2 s[10:11], s[6:7], 0x4
	s_load_dword s9, s[6:7], 0xc
	s_load_dwordx2 s[12:13], s[2:3], 0x0
	s_add_u32 s6, s6, 12
	s_addc_u32 s7, s7, 0
	s_waitcnt lgkmcnt(0)
	v_mul_hi_u32 v1, s11, v0
	s_add_u32 s2, s2, 8
	s_addc_u32 s3, s3, 0
	s_add_i32 s8, s8, -1
	v_add_u32_e32 v1, v0, v1
	v_lshrrev_b32_e32 v1, s9, v1
	v_mul_lo_u32 v2, v1, s10
	s_cmp_lg_u32 s8, 0
	v_sub_u32_e32 v0, v0, v2
	v_mad_u64_u32 v[6:7], s[10:11], v0, s12, v[6:7]
	v_mad_u64_u32 v[13:14], s[10:11], v0, s13, v[13:14]
	v_mov_b32_e32 v0, v1
	s_cbranch_scc1 .LBB143_1133
.LBB143_1134:
	s_cbranch_execnz .LBB143_1137
.LBB143_1135:
	s_load_dwordx4 s[8:11], s[34:35], 0x4
	s_load_dwordx2 s[2:3], s[34:35], 0xc4
	s_cmp_lt_u32 s33, 2
	s_waitcnt lgkmcnt(0)
	v_mul_hi_u32 v0, s9, v8
	v_add_u32_e32 v0, v8, v0
	v_lshrrev_b32_e32 v0, s10, v0
	v_mul_lo_u32 v1, v0, s8
	v_sub_u32_e32 v1, v8, v1
	v_mul_lo_u32 v6, v1, s2
	v_mul_lo_u32 v13, v1, s3
	s_cbranch_scc1 .LBB143_1137
; %bb.1136:
	s_load_dwordx4 s[8:11], s[34:35], 0x10
	s_load_dwordx2 s[2:3], s[34:35], 0xcc
	s_waitcnt lgkmcnt(0)
	v_mul_hi_u32 v1, s9, v0
	v_add_u32_e32 v1, v0, v1
	v_lshrrev_b32_e32 v1, s10, v1
	v_mul_lo_u32 v1, v1, s8
	v_sub_u32_e32 v0, v0, v1
	v_mad_u64_u32 v[6:7], s[6:7], v0, s2, v[6:7]
	v_mad_u64_u32 v[13:14], s[2:3], v0, s3, v[13:14]
.LBB143_1137:
	s_and_b64 vcc, exec, s[0:1]
	v_add_u32_e32 v0, 0x80, v8
	s_cbranch_vccnz .LBB143_1143
; %bb.1138:
	s_cmp_lg_u32 s33, 0
	s_mov_b32 s36, 0
	s_cbranch_scc0 .LBB143_1144
; %bb.1139:
	s_min_u32 s37, s76, 15
	s_add_i32 s37, s37, 1
	s_cmp_eq_u32 s76, 2
	s_cbranch_scc1 .LBB143_1145
; %bb.1140:
	s_and_b32 s36, s37, 28
	s_add_u32 s2, s34, 0xc4
	s_addc_u32 s3, s35, 0
	v_mov_b32_e32 v11, 0
	s_mov_b32 s38, 0
	s_mov_b64 s[6:7], s[34:35]
	s_waitcnt vmcnt(0)
	v_mov_b32_e32 v4, 0
	v_mov_b32_e32 v1, v0
.LBB143_1141:                           ; =>This Inner Loop Header: Depth=1
	s_load_dwordx8 s[16:23], s[6:7], 0x4
	s_load_dwordx4 s[24:27], s[6:7], 0x24
	s_load_dwordx8 s[8:15], s[2:3], 0x0
	s_add_u32 s6, s6, 48
	s_addc_u32 s7, s7, 0
	s_waitcnt lgkmcnt(0)
	v_mul_hi_u32 v2, s17, v1
	s_add_i32 s38, s38, 4
	s_add_u32 s2, s2, 32
	s_addc_u32 s3, s3, 0
	v_add_u32_e32 v2, v1, v2
	v_lshrrev_b32_e32 v2, s18, v2
	v_mul_lo_u32 v3, v2, s16
	v_mul_hi_u32 v5, s20, v2
	s_cmp_lg_u32 s36, s38
	v_sub_u32_e32 v1, v1, v3
	v_add_u32_e32 v3, v2, v5
	v_mul_lo_u32 v5, v1, s8
	v_mul_lo_u32 v7, v1, s9
	v_lshrrev_b32_e32 v1, s21, v3
	v_mul_lo_u32 v3, v1, s19
	v_mul_hi_u32 v9, s23, v1
	v_sub_u32_e32 v2, v2, v3
	v_add_u32_e32 v3, v1, v9
	v_lshrrev_b32_e32 v3, s24, v3
	v_mul_hi_u32 v10, s26, v3
	v_mul_lo_u32 v12, v3, s22
	v_mul_lo_u32 v9, v2, s10
	;; [unrolled: 1-line block ×3, first 2 shown]
	v_sub_u32_e32 v12, v1, v12
	v_add_u32_e32 v1, v3, v10
	v_lshrrev_b32_e32 v1, s27, v1
	v_mul_lo_u32 v10, v1, s25
	v_mul_lo_u32 v14, v12, s12
	;; [unrolled: 1-line block ×3, first 2 shown]
	v_add3_u32 v4, v5, v4, v9
	v_sub_u32_e32 v3, v3, v10
	v_mul_lo_u32 v10, v3, s14
	v_mul_lo_u32 v3, v3, s15
	v_add3_u32 v2, v7, v11, v2
	v_add3_u32 v4, v14, v4, v10
	v_add3_u32 v11, v12, v2, v3
	s_cbranch_scc1 .LBB143_1141
; %bb.1142:
	s_and_b32 s8, s37, 3
	s_cmp_eq_u32 s8, 0
	s_cbranch_scc0 .LBB143_1146
	s_branch .LBB143_1148
.LBB143_1143:
                                        ; implicit-def: $vgpr4
                                        ; implicit-def: $vgpr11
	s_branch .LBB143_1149
.LBB143_1144:
	s_waitcnt vmcnt(0)
	v_mov_b32_e32 v4, 0
	v_mov_b32_e32 v11, 0
	s_branch .LBB143_1148
.LBB143_1145:
	s_waitcnt vmcnt(0)
	v_mov_b32_e32 v4, 0
	v_mov_b32_e32 v11, 0
	;; [unrolled: 1-line block ×3, first 2 shown]
	s_and_b32 s8, s37, 3
	s_cmp_eq_u32 s8, 0
	s_cbranch_scc1 .LBB143_1148
.LBB143_1146:
	s_lshl_b32 s2, s36, 3
	s_add_u32 s2, s34, s2
	s_addc_u32 s3, s35, 0
	s_add_u32 s2, s2, 0xc4
	s_addc_u32 s3, s3, 0
	s_mul_i32 s6, s36, 12
	s_add_u32 s6, s34, s6
	s_addc_u32 s7, s35, 0
.LBB143_1147:                           ; =>This Inner Loop Header: Depth=1
	s_load_dwordx2 s[10:11], s[6:7], 0x4
	s_load_dword s9, s[6:7], 0xc
	s_load_dwordx2 s[12:13], s[2:3], 0x0
	s_add_u32 s6, s6, 12
	s_addc_u32 s7, s7, 0
	s_waitcnt lgkmcnt(0)
	v_mul_hi_u32 v2, s11, v1
	s_add_u32 s2, s2, 8
	s_addc_u32 s3, s3, 0
	s_add_i32 s8, s8, -1
	v_add_u32_e32 v2, v1, v2
	v_lshrrev_b32_e32 v2, s9, v2
	v_mul_lo_u32 v3, v2, s10
	s_cmp_lg_u32 s8, 0
	v_sub_u32_e32 v1, v1, v3
	v_mad_u64_u32 v[4:5], s[10:11], v1, s12, v[4:5]
	v_mad_u64_u32 v[11:12], s[10:11], v1, s13, v[11:12]
	v_mov_b32_e32 v1, v2
	s_cbranch_scc1 .LBB143_1147
.LBB143_1148:
	s_cbranch_execnz .LBB143_1151
.LBB143_1149:
	s_load_dwordx4 s[8:11], s[34:35], 0x4
	s_load_dwordx2 s[2:3], s[34:35], 0xc4
	s_cmp_lt_u32 s33, 2
	s_waitcnt lgkmcnt(0)
	v_mul_hi_u32 v1, s9, v0
	v_add_u32_e32 v1, v0, v1
	v_lshrrev_b32_e32 v1, s10, v1
	v_mul_lo_u32 v2, v1, s8
	v_sub_u32_e32 v0, v0, v2
	s_waitcnt vmcnt(0)
	v_mul_lo_u32 v4, v0, s2
	v_mul_lo_u32 v11, v0, s3
	s_cbranch_scc1 .LBB143_1151
; %bb.1150:
	s_load_dwordx4 s[8:11], s[34:35], 0x10
	s_load_dwordx2 s[2:3], s[34:35], 0xcc
	s_waitcnt lgkmcnt(0)
	v_mul_hi_u32 v0, s9, v1
	v_add_u32_e32 v0, v1, v0
	v_lshrrev_b32_e32 v0, s10, v0
	v_mul_lo_u32 v0, v0, s8
	v_sub_u32_e32 v0, v1, v0
	v_mad_u64_u32 v[4:5], s[6:7], v0, s2, v[4:5]
	v_mad_u64_u32 v[11:12], s[2:3], v0, s3, v[11:12]
.LBB143_1151:
	s_and_b64 vcc, exec, s[0:1]
	v_add_u32_e32 v0, 0x100, v8
	s_cbranch_vccnz .LBB143_1157
; %bb.1152:
	s_cmp_lg_u32 s33, 0
	s_mov_b32 s36, 0
	s_cbranch_scc0 .LBB143_1158
; %bb.1153:
	s_min_u32 s37, s76, 15
	s_add_i32 s37, s37, 1
	s_cmp_eq_u32 s76, 2
	s_cbranch_scc1 .LBB143_1159
; %bb.1154:
	s_and_b32 s36, s37, 28
	s_add_u32 s2, s34, 0xc4
	s_addc_u32 s3, s35, 0
	v_mov_b32_e32 v9, 0
	s_mov_b32 s38, 0
	s_mov_b64 s[6:7], s[34:35]
	v_mov_b32_e32 v2, 0
	v_mov_b32_e32 v1, v0
.LBB143_1155:                           ; =>This Inner Loop Header: Depth=1
	s_load_dwordx8 s[16:23], s[6:7], 0x4
	s_load_dwordx4 s[24:27], s[6:7], 0x24
	s_load_dwordx8 s[8:15], s[2:3], 0x0
	s_add_u32 s6, s6, 48
	s_addc_u32 s7, s7, 0
	s_waitcnt vmcnt(0) lgkmcnt(0)
	v_mul_hi_u32 v3, s17, v1
	s_add_i32 s38, s38, 4
	s_add_u32 s2, s2, 32
	s_addc_u32 s3, s3, 0
	v_add_u32_e32 v3, v1, v3
	v_lshrrev_b32_e32 v3, s18, v3
	v_mul_lo_u32 v5, v3, s16
	v_mul_hi_u32 v7, s20, v3
	s_cmp_lg_u32 s36, s38
	v_sub_u32_e32 v1, v1, v5
	v_add_u32_e32 v5, v3, v7
	v_mul_lo_u32 v7, v1, s8
	v_mul_lo_u32 v8, v1, s9
	v_lshrrev_b32_e32 v1, s21, v5
	v_mul_lo_u32 v5, v1, s19
	v_mul_hi_u32 v10, s23, v1
	v_sub_u32_e32 v3, v3, v5
	v_add_u32_e32 v5, v1, v10
	v_lshrrev_b32_e32 v5, s24, v5
	v_mul_hi_u32 v12, s26, v5
	v_mul_lo_u32 v14, v5, s22
	v_mul_lo_u32 v10, v3, s10
	;; [unrolled: 1-line block ×3, first 2 shown]
	v_sub_u32_e32 v14, v1, v14
	v_add_u32_e32 v1, v5, v12
	v_lshrrev_b32_e32 v1, s27, v1
	v_mul_lo_u32 v12, v1, s25
	v_mul_lo_u32 v16, v14, s12
	;; [unrolled: 1-line block ×3, first 2 shown]
	v_add3_u32 v2, v7, v2, v10
	v_sub_u32_e32 v5, v5, v12
	v_mul_lo_u32 v12, v5, s14
	v_mul_lo_u32 v5, v5, s15
	v_add3_u32 v3, v8, v9, v3
	v_add3_u32 v2, v16, v2, v12
	v_add3_u32 v9, v14, v3, v5
	s_cbranch_scc1 .LBB143_1155
; %bb.1156:
	s_and_b32 s8, s37, 3
	s_cmp_eq_u32 s8, 0
	s_cbranch_scc0 .LBB143_1160
	s_branch .LBB143_1162
.LBB143_1157:
                                        ; implicit-def: $vgpr2
                                        ; implicit-def: $vgpr9
	s_branch .LBB143_1163
.LBB143_1158:
	v_mov_b32_e32 v2, 0
	v_mov_b32_e32 v9, 0
	s_branch .LBB143_1162
.LBB143_1159:
	v_mov_b32_e32 v2, 0
	v_mov_b32_e32 v9, 0
	;; [unrolled: 1-line block ×3, first 2 shown]
	s_and_b32 s8, s37, 3
	s_cmp_eq_u32 s8, 0
	s_cbranch_scc1 .LBB143_1162
.LBB143_1160:
	s_lshl_b32 s2, s36, 3
	s_add_u32 s2, s34, s2
	s_addc_u32 s3, s35, 0
	s_add_u32 s2, s2, 0xc4
	s_addc_u32 s3, s3, 0
	s_mul_i32 s6, s36, 12
	s_add_u32 s6, s34, s6
	s_addc_u32 s7, s35, 0
.LBB143_1161:                           ; =>This Inner Loop Header: Depth=1
	s_load_dwordx2 s[10:11], s[6:7], 0x4
	s_load_dword s9, s[6:7], 0xc
	s_load_dwordx2 s[12:13], s[2:3], 0x0
	s_add_u32 s6, s6, 12
	s_addc_u32 s7, s7, 0
	s_waitcnt vmcnt(0) lgkmcnt(0)
	v_mul_hi_u32 v3, s11, v1
	s_add_u32 s2, s2, 8
	s_addc_u32 s3, s3, 0
	s_add_i32 s8, s8, -1
	v_add_u32_e32 v3, v1, v3
	v_lshrrev_b32_e32 v5, s9, v3
	v_mul_lo_u32 v3, v5, s10
	s_cmp_lg_u32 s8, 0
	v_sub_u32_e32 v1, v1, v3
	v_mad_u64_u32 v[2:3], s[10:11], v1, s12, v[2:3]
	v_mad_u64_u32 v[9:10], s[10:11], v1, s13, v[9:10]
	v_mov_b32_e32 v1, v5
	s_cbranch_scc1 .LBB143_1161
.LBB143_1162:
	s_cbranch_execnz .LBB143_1165
.LBB143_1163:
	s_load_dwordx4 s[8:11], s[34:35], 0x4
	s_load_dwordx2 s[2:3], s[34:35], 0xc4
	s_cmp_lt_u32 s33, 2
	s_waitcnt lgkmcnt(0)
	v_mul_hi_u32 v1, s9, v0
	v_add_u32_e32 v1, v0, v1
	v_lshrrev_b32_e32 v1, s10, v1
	v_mul_lo_u32 v2, v1, s8
	v_sub_u32_e32 v0, v0, v2
	v_mul_lo_u32 v2, v0, s2
	v_mul_lo_u32 v9, v0, s3
	s_cbranch_scc1 .LBB143_1165
; %bb.1164:
	s_load_dwordx4 s[8:11], s[34:35], 0x10
	s_load_dwordx2 s[2:3], s[34:35], 0xcc
	s_waitcnt lgkmcnt(0)
	v_mul_hi_u32 v0, s9, v1
	v_add_u32_e32 v0, v1, v0
	v_lshrrev_b32_e32 v0, s10, v0
	v_mul_lo_u32 v0, v0, s8
	v_sub_u32_e32 v0, v1, v0
	s_waitcnt vmcnt(0)
	v_mad_u64_u32 v[2:3], s[6:7], v0, s2, v[2:3]
	v_mad_u64_u32 v[9:10], s[2:3], v0, s3, v[9:10]
.LBB143_1165:
	s_and_b64 vcc, exec, s[0:1]
	s_cbranch_vccnz .LBB143_1171
; %bb.1166:
	s_cmp_lg_u32 s33, 0
	s_mov_b32 s26, 0
	s_cbranch_scc0 .LBB143_1172
; %bb.1167:
	s_min_u32 s27, s76, 15
	s_add_i32 s27, s27, 1
	s_cmp_eq_u32 s76, 2
	s_cbranch_scc1 .LBB143_1173
; %bb.1168:
	s_and_b32 s26, s27, 28
	s_add_u32 s6, s34, 0xc4
	s_addc_u32 s7, s35, 0
	v_mov_b32_e32 v7, 0
	s_mov_b32 s36, 0
	s_mov_b64 s[24:25], s[34:35]
	v_mov_b32_e32 v0, 0
	v_mov_b32_e32 v1, v15
.LBB143_1169:                           ; =>This Inner Loop Header: Depth=1
	s_load_dwordx8 s[16:23], s[24:25], 0x4
	s_load_dwordx4 s[0:3], s[24:25], 0x24
	s_load_dwordx8 s[8:15], s[6:7], 0x0
	s_add_u32 s24, s24, 48
	s_addc_u32 s25, s25, 0
	s_waitcnt vmcnt(0) lgkmcnt(0)
	v_mul_hi_u32 v3, s17, v1
	s_add_i32 s36, s36, 4
	s_add_u32 s6, s6, 32
	s_addc_u32 s7, s7, 0
	v_add_u32_e32 v3, v1, v3
	v_lshrrev_b32_e32 v3, s18, v3
	v_mul_lo_u32 v5, v3, s16
	v_mul_hi_u32 v8, s20, v3
	s_cmp_lg_u32 s26, s36
	v_sub_u32_e32 v1, v1, v5
	v_add_u32_e32 v5, v3, v8
	v_mul_lo_u32 v8, v1, s8
	v_mul_lo_u32 v10, v1, s9
	v_lshrrev_b32_e32 v1, s21, v5
	v_mul_lo_u32 v5, v1, s19
	v_mul_hi_u32 v12, s23, v1
	v_sub_u32_e32 v3, v3, v5
	v_add_u32_e32 v5, v1, v12
	v_lshrrev_b32_e32 v5, s0, v5
	v_mul_hi_u32 v14, s2, v5
	v_mul_lo_u32 v16, v5, s22
	v_mul_lo_u32 v12, v3, s10
	;; [unrolled: 1-line block ×3, first 2 shown]
	v_sub_u32_e32 v16, v1, v16
	v_add_u32_e32 v1, v5, v14
	v_lshrrev_b32_e32 v1, s3, v1
	v_mul_lo_u32 v14, v1, s1
	v_mul_lo_u32 v17, v16, s12
	;; [unrolled: 1-line block ×3, first 2 shown]
	v_add3_u32 v0, v8, v0, v12
	v_sub_u32_e32 v5, v5, v14
	v_mul_lo_u32 v14, v5, s14
	v_mul_lo_u32 v5, v5, s15
	v_add3_u32 v3, v10, v7, v3
	v_add3_u32 v0, v17, v0, v14
	;; [unrolled: 1-line block ×3, first 2 shown]
	s_cbranch_scc1 .LBB143_1169
; %bb.1170:
	s_and_b32 s6, s27, 3
	s_cmp_eq_u32 s6, 0
	s_cbranch_scc0 .LBB143_1174
	s_branch .LBB143_1176
.LBB143_1171:
                                        ; implicit-def: $vgpr0
                                        ; implicit-def: $vgpr7
	s_branch .LBB143_1177
.LBB143_1172:
	v_mov_b32_e32 v0, 0
	v_mov_b32_e32 v7, 0
	s_branch .LBB143_1176
.LBB143_1173:
	v_mov_b32_e32 v0, 0
	v_mov_b32_e32 v7, 0
	;; [unrolled: 1-line block ×3, first 2 shown]
	s_and_b32 s6, s27, 3
	s_cmp_eq_u32 s6, 0
	s_cbranch_scc1 .LBB143_1176
.LBB143_1174:
	s_lshl_b32 s0, s26, 3
	s_add_u32 s0, s34, s0
	s_addc_u32 s1, s35, 0
	s_add_u32 s0, s0, 0xc4
	s_addc_u32 s1, s1, 0
	s_mul_i32 s2, s26, 12
	s_add_u32 s2, s34, s2
	s_addc_u32 s3, s35, 0
.LBB143_1175:                           ; =>This Inner Loop Header: Depth=1
	s_load_dwordx2 s[8:9], s[2:3], 0x4
	s_load_dword s7, s[2:3], 0xc
	s_load_dwordx2 s[10:11], s[0:1], 0x0
	s_add_u32 s2, s2, 12
	s_addc_u32 s3, s3, 0
	s_waitcnt vmcnt(0) lgkmcnt(0)
	v_mul_hi_u32 v3, s9, v1
	s_add_u32 s0, s0, 8
	s_addc_u32 s1, s1, 0
	s_add_i32 s6, s6, -1
	v_add_u32_e32 v3, v1, v3
	v_lshrrev_b32_e32 v3, s7, v3
	v_mul_lo_u32 v5, v3, s8
	s_cmp_lg_u32 s6, 0
	v_sub_u32_e32 v5, v1, v5
	v_mad_u64_u32 v[0:1], s[8:9], v5, s10, v[0:1]
	v_mad_u64_u32 v[7:8], s[8:9], v5, s11, v[7:8]
	v_mov_b32_e32 v1, v3
	s_cbranch_scc1 .LBB143_1175
.LBB143_1176:
	s_cbranch_execnz .LBB143_1179
.LBB143_1177:
	s_load_dwordx4 s[0:3], s[34:35], 0x4
	s_load_dwordx2 s[6:7], s[34:35], 0xc4
	s_cmp_lt_u32 s33, 2
	s_waitcnt lgkmcnt(0)
	v_mul_hi_u32 v0, s1, v15
	v_add_u32_e32 v0, v15, v0
	v_lshrrev_b32_e32 v1, s2, v0
	v_mul_lo_u32 v0, v1, s0
	s_waitcnt vmcnt(0)
	v_sub_u32_e32 v3, v15, v0
	v_mul_lo_u32 v0, v3, s6
	v_mul_lo_u32 v7, v3, s7
	s_cbranch_scc1 .LBB143_1179
; %bb.1178:
	s_load_dwordx4 s[0:3], s[34:35], 0x10
	s_load_dwordx2 s[6:7], s[34:35], 0xcc
	s_waitcnt lgkmcnt(0)
	v_mul_hi_u32 v3, s1, v1
	v_add_u32_e32 v3, v1, v3
	v_lshrrev_b32_e32 v3, s2, v3
	v_mul_lo_u32 v3, v3, s0
	v_sub_u32_e32 v3, v1, v3
	v_mad_u64_u32 v[0:1], s[0:1], v3, s6, v[0:1]
	v_mad_u64_u32 v[7:8], s[0:1], v3, s7, v[7:8]
.LBB143_1179:
	s_load_dwordx4 s[8:11], s[34:35], 0x148
	s_load_dword s18, s[4:5], 0x170
	s_waitcnt lgkmcnt(0)
	v_mov_b32_e32 v1, s11
	s_bfe_u32 s14, s18, 0x80008
	v_add_co_u32_e32 v12, vcc, s10, v13
	s_cmp_lt_i32 s14, 11
	v_addc_co_u32_e32 v13, vcc, 0, v1, vcc
	s_cbranch_scc1 .LBB143_1186
; %bb.1180:
	s_and_b32 s15, 0xffff, s14
	s_cmp_gt_i32 s15, 25
	s_mov_b64 s[4:5], 0
	s_cbranch_scc0 .LBB143_1188
; %bb.1181:
	s_cmp_gt_i32 s15, 28
	s_cbranch_scc0 .LBB143_1189
; %bb.1182:
	s_cmp_gt_i32 s15, 43
	;; [unrolled: 3-line block ×3, first 2 shown]
	s_cbranch_scc0 .LBB143_1191
; %bb.1184:
	s_cmp_eq_u32 s15, 46
	s_mov_b64 s[2:3], 0
	s_cbranch_scc0 .LBB143_1194
; %bb.1185:
	global_load_dword v1, v[12:13], off
	s_mov_b64 s[0:1], 0
	s_mov_b64 s[6:7], -1
	s_waitcnt vmcnt(0)
	v_and_b32_e32 v15, 0xffff0000, v1
	v_lshlrev_b32_e32 v14, 16, v1
	s_branch .LBB143_1195
.LBB143_1186:
	s_mov_b64 s[6:7], 0
                                        ; implicit-def: $vgpr15
	s_mov_b64 s[2:3], s[28:29]
	s_cbranch_execnz .LBB143_1261
.LBB143_1187:
	s_andn2_b64 vcc, exec, s[6:7]
	s_cbranch_vccz .LBB143_1308
	s_branch .LBB143_1725
.LBB143_1188:
	s_mov_b64 s[6:7], 0
	s_mov_b64 s[0:1], 0
                                        ; implicit-def: $vgpr15
	s_cbranch_execnz .LBB143_1225
	s_branch .LBB143_1257
.LBB143_1189:
	s_mov_b64 s[6:7], 0
	s_mov_b64 s[0:1], 0
                                        ; implicit-def: $vgpr15
	s_cbranch_execnz .LBB143_1207
	s_branch .LBB143_1224
.LBB143_1190:
	s_mov_b64 s[2:3], -1
	s_mov_b64 s[6:7], 0
	s_mov_b64 s[0:1], 0
                                        ; implicit-def: $vgpr15
	s_branch .LBB143_1201
.LBB143_1191:
	s_mov_b64 s[2:3], -1
	s_mov_b64 s[6:7], 0
	s_mov_b64 s[0:1], 0
                                        ; implicit-def: $vgpr15
	s_branch .LBB143_1195
.LBB143_1192:
	s_andn2_saveexec_b64 s[16:17], s[16:17]
	s_cbranch_execz .LBB143_1030
.LBB143_1193:
	v_add_f32_e32 v0, 0x46000000, v3
	v_and_b32_e32 v0, 0xff, v0
	v_cmp_ne_u32_e32 vcc, 0, v0
	s_andn2_b64 s[14:15], s[14:15], exec
	s_and_b64 s[18:19], vcc, exec
	s_or_b64 s[14:15], s[14:15], s[18:19]
	s_or_b64 exec, exec, s[16:17]
	v_mov_b32_e32 v4, 0
	s_and_saveexec_b64 s[16:17], s[14:15]
	s_cbranch_execnz .LBB143_1031
	s_branch .LBB143_1032
.LBB143_1194:
	s_mov_b64 s[0:1], -1
                                        ; implicit-def: $vgpr15
	s_mov_b64 s[6:7], 0
.LBB143_1195:
	s_and_b64 vcc, exec, s[2:3]
	s_cbranch_vccz .LBB143_1200
; %bb.1196:
	s_cmp_eq_u32 s15, 44
	s_cbranch_scc0 .LBB143_1198
; %bb.1197:
	global_load_ubyte v1, v[12:13], off
	s_movk_i32 s2, 0xff
	s_waitcnt vmcnt(1)
	v_mov_b32_e32 v3, 0x7f800001
	v_mov_b32_e32 v5, 0x400000
	s_mov_b64 s[0:1], 0
	s_mov_b64 s[6:7], -1
	s_waitcnt vmcnt(0)
	v_lshlrev_b32_e32 v8, 23, v1
	v_cmp_ne_u32_e32 vcc, s2, v1
	v_cndmask_b32_e32 v3, v3, v8, vcc
	v_cmp_ne_u32_e32 vcc, 0, v1
	v_cndmask_b32_e32 v14, v5, v3, vcc
	s_branch .LBB143_1199
.LBB143_1198:
	s_mov_b64 s[0:1], -1
                                        ; implicit-def: $vgpr14
.LBB143_1199:
	v_mov_b32_e32 v15, 0
.LBB143_1200:
	s_mov_b64 s[2:3], 0
.LBB143_1201:
	s_and_b64 vcc, exec, s[2:3]
	s_cbranch_vccz .LBB143_1206
; %bb.1202:
	s_cmp_eq_u32 s15, 29
	s_cbranch_scc0 .LBB143_1204
; %bb.1203:
	global_load_dwordx2 v[14:15], v[12:13], off
	s_mov_b64 s[0:1], 0
	s_mov_b64 s[6:7], -1
	s_waitcnt vmcnt(0)
	v_ffbh_u32_e32 v1, v15
	v_min_u32_e32 v1, 32, v1
	v_lshlrev_b64 v[14:15], v1, v[14:15]
	v_sub_u32_e32 v1, 32, v1
	v_min_u32_e32 v3, 1, v14
	v_or_b32_e32 v3, v15, v3
	v_cvt_f32_u32_e32 v3, v3
	v_ldexp_f32 v14, v3, v1
	s_branch .LBB143_1205
.LBB143_1204:
	s_mov_b64 s[0:1], -1
                                        ; implicit-def: $vgpr14
.LBB143_1205:
	v_mov_b32_e32 v15, 0
.LBB143_1206:
	s_branch .LBB143_1224
.LBB143_1207:
	s_cmp_lt_i32 s15, 27
	s_cbranch_scc1 .LBB143_1210
; %bb.1208:
	s_cmp_gt_i32 s15, 27
	s_cbranch_scc0 .LBB143_1211
; %bb.1209:
	global_load_dword v1, v[12:13], off
	s_mov_b64 s[2:3], 0
	s_waitcnt vmcnt(0)
	v_cvt_f32_u32_e32 v14, v1
	s_branch .LBB143_1212
.LBB143_1210:
	s_mov_b64 s[2:3], -1
                                        ; implicit-def: $vgpr14
	s_branch .LBB143_1215
.LBB143_1211:
	s_mov_b64 s[2:3], -1
                                        ; implicit-def: $vgpr14
.LBB143_1212:
	s_andn2_b64 vcc, exec, s[2:3]
	s_cbranch_vccnz .LBB143_1214
; %bb.1213:
	global_load_ushort v1, v[12:13], off
	s_waitcnt vmcnt(0)
	v_cvt_f32_u32_e32 v14, v1
.LBB143_1214:
	s_mov_b64 s[2:3], 0
.LBB143_1215:
	s_andn2_b64 vcc, exec, s[2:3]
	s_cbranch_vccnz .LBB143_1223
; %bb.1216:
	global_load_ubyte v1, v[12:13], off
	s_movk_i32 s2, 0x7f
	s_waitcnt vmcnt(0)
	v_cmp_lt_i16_e32 vcc, s2, v1
	s_mov_b64 s[2:3], 0
	s_and_saveexec_b64 s[6:7], vcc
	s_xor_b64 s[6:7], exec, s[6:7]
	s_cbranch_execz .LBB143_1236
; %bb.1217:
	s_movk_i32 s2, 0x80
	v_cmp_eq_u16_e32 vcc, s2, v1
	s_mov_b64 s[2:3], -1
	s_and_saveexec_b64 s[12:13], vcc
; %bb.1218:
	s_xor_b64 s[2:3], exec, -1
; %bb.1219:
	s_or_b64 exec, exec, s[12:13]
	s_and_b64 s[2:3], s[2:3], exec
	s_or_saveexec_b64 s[6:7], s[6:7]
	v_mov_b32_e32 v14, 0x7f800001
	s_xor_b64 exec, exec, s[6:7]
	s_cbranch_execnz .LBB143_1237
.LBB143_1220:
	s_or_b64 exec, exec, s[6:7]
	s_and_saveexec_b64 s[6:7], s[2:3]
	s_cbranch_execz .LBB143_1222
.LBB143_1221:
	v_lshlrev_b32_e32 v3, 24, v1
	v_and_b32_e32 v1, 0xffff, v1
	v_and_b32_e32 v5, 7, v1
	v_ffbh_u32_e32 v10, v5
	v_min_u32_e32 v10, 32, v10
	v_subrev_u32_e32 v14, 28, v10
	v_bfe_u32 v8, v1, 3, 4
	v_lshlrev_b32_e32 v1, v14, v1
	v_sub_u32_e32 v10, 29, v10
	v_and_b32_e32 v1, 7, v1
	v_cmp_eq_u32_e32 vcc, 0, v8
	v_cndmask_b32_e32 v8, v8, v10, vcc
	v_cndmask_b32_e32 v1, v5, v1, vcc
	v_mov_b32_e32 v5, 0x3b800000
	v_lshlrev_b32_e32 v1, 20, v1
	v_and_b32_e32 v3, 0x80000000, v3
	v_lshl_add_u32 v5, v8, 23, v5
	v_or3_b32 v14, v3, v5, v1
.LBB143_1222:
	s_or_b64 exec, exec, s[6:7]
.LBB143_1223:
	s_mov_b64 s[6:7], -1
	v_mov_b32_e32 v15, 0
.LBB143_1224:
	s_branch .LBB143_1257
.LBB143_1225:
	s_cmp_gt_i32 s15, 22
	s_cbranch_scc0 .LBB143_1235
; %bb.1226:
	s_cmp_lt_i32 s15, 24
	s_cbranch_scc1 .LBB143_1238
; %bb.1227:
	s_cmp_gt_i32 s15, 24
	s_cbranch_scc0 .LBB143_1239
; %bb.1228:
	global_load_ubyte v1, v[12:13], off
	s_movk_i32 s2, 0x7f
	s_waitcnt vmcnt(0)
	v_cmp_lt_i16_e32 vcc, s2, v1
	s_mov_b64 s[2:3], 0
	s_and_saveexec_b64 s[4:5], vcc
	s_xor_b64 s[4:5], exec, s[4:5]
	s_cbranch_execz .LBB143_1250
; %bb.1229:
	s_movk_i32 s2, 0x80
	v_cmp_eq_u16_e32 vcc, s2, v1
	s_mov_b64 s[2:3], -1
	s_and_saveexec_b64 s[6:7], vcc
; %bb.1230:
	s_xor_b64 s[2:3], exec, -1
; %bb.1231:
	s_or_b64 exec, exec, s[6:7]
	s_and_b64 s[2:3], s[2:3], exec
	s_or_saveexec_b64 s[4:5], s[4:5]
	v_mov_b32_e32 v14, 0x7f800001
	s_xor_b64 exec, exec, s[4:5]
	s_cbranch_execnz .LBB143_1251
.LBB143_1232:
	s_or_b64 exec, exec, s[4:5]
	s_and_saveexec_b64 s[4:5], s[2:3]
	s_cbranch_execz .LBB143_1234
.LBB143_1233:
	v_lshlrev_b32_e32 v3, 24, v1
	v_and_b32_e32 v1, 0xffff, v1
	v_and_b32_e32 v5, 3, v1
	v_ffbh_u32_e32 v10, v5
	v_min_u32_e32 v10, 32, v10
	v_subrev_u32_e32 v14, 29, v10
	v_bfe_u32 v8, v1, 2, 5
	v_lshlrev_b32_e32 v1, v14, v1
	v_sub_u32_e32 v10, 30, v10
	v_and_b32_e32 v1, 3, v1
	v_cmp_eq_u32_e32 vcc, 0, v8
	v_cndmask_b32_e32 v8, v8, v10, vcc
	v_cndmask_b32_e32 v1, v5, v1, vcc
	v_mov_b32_e32 v5, 0x37800000
	v_lshlrev_b32_e32 v1, 21, v1
	v_and_b32_e32 v3, 0x80000000, v3
	v_lshl_add_u32 v5, v8, 23, v5
	v_or3_b32 v14, v3, v5, v1
.LBB143_1234:
	s_or_b64 exec, exec, s[4:5]
	s_mov_b64 s[2:3], 0
	s_branch .LBB143_1240
.LBB143_1235:
                                        ; implicit-def: $vgpr14
	s_mov_b64 s[4:5], 0
	s_branch .LBB143_1246
.LBB143_1236:
	s_or_saveexec_b64 s[6:7], s[6:7]
	v_mov_b32_e32 v14, 0x7f800001
	s_xor_b64 exec, exec, s[6:7]
	s_cbranch_execz .LBB143_1220
.LBB143_1237:
	v_cmp_ne_u16_e32 vcc, 0, v1
	s_andn2_b64 s[2:3], s[2:3], exec
	s_and_b64 s[12:13], vcc, exec
	v_mov_b32_e32 v14, 0
	s_or_b64 s[2:3], s[2:3], s[12:13]
	s_or_b64 exec, exec, s[6:7]
	s_and_saveexec_b64 s[6:7], s[2:3]
	s_cbranch_execnz .LBB143_1221
	s_branch .LBB143_1222
.LBB143_1238:
	s_mov_b64 s[2:3], -1
                                        ; implicit-def: $vgpr14
	s_branch .LBB143_1243
.LBB143_1239:
	s_mov_b64 s[2:3], -1
                                        ; implicit-def: $vgpr14
.LBB143_1240:
	s_and_b64 vcc, exec, s[2:3]
	s_cbranch_vccz .LBB143_1242
; %bb.1241:
	global_load_ubyte v1, v[12:13], off
	s_mov_b32 s2, 0x7f800000
	s_waitcnt vmcnt(0)
	v_lshlrev_b32_e32 v1, 24, v1
	v_and_b32_e32 v3, 0x7f000000, v1
	v_ffbh_u32_e32 v5, v3
	v_min_u32_e32 v5, 32, v5
	v_sub_u32_e64 v5, v5, 4 clamp
	v_lshlrev_b32_e32 v10, v5, v3
	v_lshlrev_b32_e32 v5, 23, v5
	v_lshrrev_b32_e32 v10, 4, v10
	v_add_u32_e32 v8, 0x1000000, v3
	v_sub_u32_e32 v5, v10, v5
	v_ashrrev_i32_e32 v8, 8, v8
	v_add_u32_e32 v5, 0x3c000000, v5
	v_and_or_b32 v5, v8, s2, v5
	v_cmp_ne_u32_e32 vcc, 0, v3
	v_cndmask_b32_e32 v3, 0, v5, vcc
	s_brev_b32 s2, 1
	v_and_or_b32 v14, v1, s2, v3
.LBB143_1242:
	s_mov_b64 s[2:3], 0
.LBB143_1243:
	s_andn2_b64 vcc, exec, s[2:3]
	s_cbranch_vccnz .LBB143_1245
; %bb.1244:
	global_load_ubyte v1, v[12:13], off
	s_movk_i32 s2, 0x7f00
	s_brev_b32 s3, 16
	s_waitcnt vmcnt(0)
	v_lshlrev_b16_e32 v3, 8, v1
	v_lshlrev_b32_e32 v1, 25, v1
	v_lshrrev_b32_e32 v5, 4, v1
	v_and_or_b32 v8, v3, s2, 0.5
	v_or_b32_e32 v5, 0x70000000, v5
	v_add_f32_e32 v8, -0.5, v8
	v_mul_f32_e32 v5, 0x7800000, v5
	v_cmp_gt_u32_e32 vcc, s3, v1
	v_bfe_i32 v3, v3, 0, 16
	v_cndmask_b32_e32 v1, v5, v8, vcc
	s_brev_b32 s2, 1
	v_and_or_b32 v14, v3, s2, v1
.LBB143_1245:
	s_mov_b64 s[6:7], -1
	s_mov_b64 s[4:5], 0
	s_cbranch_execnz .LBB143_1256
.LBB143_1246:
	s_cmp_gt_i32 s15, 14
	s_cbranch_scc0 .LBB143_1249
; %bb.1247:
	s_cmp_eq_u32 s15, 15
	s_cbranch_scc0 .LBB143_1252
; %bb.1248:
	global_load_ushort v1, v[12:13], off
	s_mov_b64 s[0:1], 0
	s_mov_b64 s[6:7], -1
	s_waitcnt vmcnt(0)
	v_lshlrev_b32_e32 v14, 16, v1
	s_branch .LBB143_1253
.LBB143_1249:
	s_mov_b64 s[2:3], -1
                                        ; implicit-def: $vgpr14
	s_branch .LBB143_1254
.LBB143_1250:
	s_or_saveexec_b64 s[4:5], s[4:5]
	v_mov_b32_e32 v14, 0x7f800001
	s_xor_b64 exec, exec, s[4:5]
	s_cbranch_execz .LBB143_1232
.LBB143_1251:
	v_cmp_ne_u16_e32 vcc, 0, v1
	s_andn2_b64 s[2:3], s[2:3], exec
	s_and_b64 s[6:7], vcc, exec
	v_mov_b32_e32 v14, 0
	s_or_b64 s[2:3], s[2:3], s[6:7]
	s_or_b64 exec, exec, s[4:5]
	s_and_saveexec_b64 s[4:5], s[2:3]
	s_cbranch_execnz .LBB143_1233
	s_branch .LBB143_1234
.LBB143_1252:
	s_mov_b64 s[0:1], -1
                                        ; implicit-def: $vgpr14
.LBB143_1253:
	s_mov_b64 s[2:3], 0
.LBB143_1254:
	s_and_b64 vcc, exec, s[2:3]
	s_cbranch_vccz .LBB143_1256
; %bb.1255:
	s_cmp_lg_u32 s15, 11
	s_mov_b64 s[4:5], -1
	s_cselect_b64 s[0:1], -1, 0
.LBB143_1256:
	v_mov_b32_e32 v15, 0
.LBB143_1257:
	s_and_b64 vcc, exec, s[0:1]
	s_mov_b64 s[2:3], s[28:29]
	s_cbranch_vccnz .LBB143_1324
; %bb.1258:
	s_andn2_b64 vcc, exec, s[4:5]
	s_cbranch_vccnz .LBB143_1260
.LBB143_1259:
	global_load_ubyte v1, v[12:13], off
	v_mov_b32_e32 v15, 0
	s_mov_b64 s[6:7], -1
	s_waitcnt vmcnt(0)
	v_cmp_ne_u16_e32 vcc, 0, v1
	v_cndmask_b32_e64 v14, 0, 1.0, vcc
.LBB143_1260:
	s_branch .LBB143_1187
.LBB143_1261:
	s_and_b32 s4, 0xffff, s14
	s_cmp_lt_i32 s4, 5
	s_cbranch_scc1 .LBB143_1266
; %bb.1262:
	s_cmp_lt_i32 s4, 8
	s_cbranch_scc1 .LBB143_1268
; %bb.1263:
	;; [unrolled: 3-line block ×3, first 2 shown]
	s_cmp_gt_i32 s4, 9
	s_cbranch_scc0 .LBB143_1270
; %bb.1265:
	global_load_dwordx4 v[14:17], v[12:13], off
	s_mov_b64 s[0:1], 0
	s_waitcnt vmcnt(0)
	v_cvt_f32_f64_e32 v14, v[14:15]
	v_cvt_f32_f64_e32 v15, v[16:17]
	s_branch .LBB143_1271
.LBB143_1266:
                                        ; implicit-def: $vgpr15
	s_branch .LBB143_1289
.LBB143_1267:
	s_branch .LBB143_1308
.LBB143_1268:
                                        ; implicit-def: $vgpr15
	s_branch .LBB143_1277
.LBB143_1269:
	s_mov_b64 s[0:1], -1
                                        ; implicit-def: $vgpr15
	s_branch .LBB143_1274
.LBB143_1270:
	s_mov_b64 s[0:1], -1
                                        ; implicit-def: $vgpr15
.LBB143_1271:
	s_andn2_b64 vcc, exec, s[0:1]
	s_cbranch_vccnz .LBB143_1273
; %bb.1272:
	global_load_dwordx2 v[14:15], v[12:13], off
.LBB143_1273:
	s_mov_b64 s[0:1], 0
.LBB143_1274:
	s_andn2_b64 vcc, exec, s[0:1]
	s_cbranch_vccnz .LBB143_1276
; %bb.1275:
	global_load_dword v1, v[12:13], off
	s_waitcnt vmcnt(0)
	v_cvt_f32_f16_e32 v14, v1
	v_cvt_f32_f16_sdwa v15, v1 dst_sel:DWORD dst_unused:UNUSED_PAD src0_sel:WORD_1
.LBB143_1276:
	s_cbranch_execnz .LBB143_1288
.LBB143_1277:
	s_cmp_lt_i32 s4, 6
	s_cbranch_scc1 .LBB143_1280
; %bb.1278:
	s_cmp_gt_i32 s4, 6
	s_cbranch_scc0 .LBB143_1281
; %bb.1279:
	global_load_dwordx2 v[14:15], v[12:13], off
	s_mov_b64 s[0:1], 0
	s_waitcnt vmcnt(0)
	v_cvt_f32_f64_e32 v14, v[14:15]
	s_branch .LBB143_1282
.LBB143_1280:
	s_mov_b64 s[0:1], -1
                                        ; implicit-def: $vgpr14
	s_branch .LBB143_1285
.LBB143_1281:
	s_mov_b64 s[0:1], -1
                                        ; implicit-def: $vgpr14
.LBB143_1282:
	s_andn2_b64 vcc, exec, s[0:1]
	s_cbranch_vccnz .LBB143_1284
; %bb.1283:
	global_load_dword v14, v[12:13], off
.LBB143_1284:
	s_mov_b64 s[0:1], 0
.LBB143_1285:
	s_andn2_b64 vcc, exec, s[0:1]
	s_cbranch_vccnz .LBB143_1287
; %bb.1286:
	global_load_ushort v1, v[12:13], off
	s_waitcnt vmcnt(0)
	v_cvt_f32_f16_e32 v14, v1
.LBB143_1287:
	s_waitcnt vmcnt(0)
	v_mov_b32_e32 v15, 0
.LBB143_1288:
	s_cbranch_execnz .LBB143_1267
.LBB143_1289:
	s_cmp_lt_i32 s4, 2
	s_cbranch_scc1 .LBB143_1293
; %bb.1290:
	s_cmp_lt_i32 s4, 3
	s_cbranch_scc1 .LBB143_1294
; %bb.1291:
	s_cmp_gt_i32 s4, 3
	s_cbranch_scc0 .LBB143_1295
; %bb.1292:
	global_load_dwordx2 v[14:15], v[12:13], off
	s_mov_b64 s[0:1], 0
	s_waitcnt vmcnt(0)
	v_xor_b32_e32 v3, v14, v15
	v_ffbh_i32_e32 v1, v15
	v_ashrrev_i32_e32 v3, 31, v3
	v_add_u32_e32 v1, -1, v1
	v_add_u32_e32 v3, 32, v3
	v_min_u32_e32 v1, v1, v3
	v_lshlrev_b64 v[14:15], v1, v[14:15]
	v_sub_u32_e32 v1, 32, v1
	v_min_u32_e32 v3, 1, v14
	v_or_b32_e32 v3, v15, v3
	v_cvt_f32_i32_e32 v3, v3
	v_ldexp_f32 v14, v3, v1
	s_branch .LBB143_1296
.LBB143_1293:
                                        ; implicit-def: $vgpr14
	s_branch .LBB143_1302
.LBB143_1294:
	s_mov_b64 s[0:1], -1
                                        ; implicit-def: $vgpr14
	s_branch .LBB143_1299
.LBB143_1295:
	s_mov_b64 s[0:1], -1
                                        ; implicit-def: $vgpr14
.LBB143_1296:
	s_andn2_b64 vcc, exec, s[0:1]
	s_cbranch_vccnz .LBB143_1298
; %bb.1297:
	global_load_dword v1, v[12:13], off
	s_waitcnt vmcnt(0)
	v_cvt_f32_i32_e32 v14, v1
.LBB143_1298:
	s_mov_b64 s[0:1], 0
.LBB143_1299:
	s_andn2_b64 vcc, exec, s[0:1]
	s_cbranch_vccnz .LBB143_1301
; %bb.1300:
	global_load_sshort v1, v[12:13], off
	s_waitcnt vmcnt(0)
	v_cvt_f32_i32_e32 v14, v1
.LBB143_1301:
	s_cbranch_execnz .LBB143_1307
.LBB143_1302:
	s_cmp_gt_i32 s4, 0
	s_cbranch_scc0 .LBB143_1304
; %bb.1303:
	global_load_sbyte v1, v[12:13], off
	s_mov_b64 s[0:1], 0
	s_waitcnt vmcnt(0)
	v_cvt_f32_i32_e32 v14, v1
	s_branch .LBB143_1305
.LBB143_1304:
	s_mov_b64 s[0:1], -1
                                        ; implicit-def: $vgpr14
.LBB143_1305:
	s_andn2_b64 vcc, exec, s[0:1]
	s_cbranch_vccnz .LBB143_1307
; %bb.1306:
	global_load_ubyte v1, v[12:13], off
	s_waitcnt vmcnt(0)
	v_cvt_f32_ubyte0_e32 v14, v1
.LBB143_1307:
	s_waitcnt vmcnt(0)
	v_mov_b32_e32 v15, 0
.LBB143_1308:
	s_load_dword s0, s[34:35], 0x158
	s_load_dwordx2 s[14:15], s[34:35], 0x160
	s_waitcnt lgkmcnt(0)
	s_cmp_lg_u32 s0, 0
	s_cselect_b64 s[16:17], -1, 0
	s_and_b64 vcc, exec, s[16:17]
	s_cbranch_vccz .LBB143_1320
; %bb.1309:
	s_waitcnt vmcnt(0)
	v_cmp_neq_f32_e32 vcc, s14, v14
	v_cmp_neq_f32_e64 s[0:1], s15, v15
	s_or_b64 s[4:5], vcc, s[0:1]
	s_cbranch_execnz .LBB143_1311
.LBB143_1310:
	s_waitcnt vmcnt(0)
	v_cmp_eq_f32_e32 vcc, s14, v14
	v_cmp_eq_f32_e64 s[0:1], s15, v15
	s_and_b64 s[0:1], vcc, s[0:1]
	s_andn2_b64 s[4:5], s[4:5], exec
	s_and_b64 s[0:1], s[0:1], exec
	s_or_b64 s[4:5], s[4:5], s[0:1]
.LBB143_1311:
	s_lshr_b32 s0, s18, 8
	v_mov_b32_e32 v1, s11
	s_and_b32 s24, s0, 0xff
	v_add_co_u32_e32 v10, vcc, s10, v11
	s_cmp_lt_i32 s24, 11
	v_addc_co_u32_e32 v11, vcc, 0, v1, vcc
	s_cbranch_scc1 .LBB143_1318
; %bb.1312:
	s_and_b32 s22, 0xffff, s24
	s_cmp_gt_i32 s22, 25
	s_mov_b64 s[6:7], 0
	s_cbranch_scc0 .LBB143_1321
; %bb.1313:
	s_cmp_gt_i32 s22, 28
	s_cbranch_scc0 .LBB143_1322
; %bb.1314:
	s_cmp_gt_i32 s22, 43
	;; [unrolled: 3-line block ×3, first 2 shown]
	s_cbranch_scc0 .LBB143_1325
; %bb.1316:
	s_cmp_eq_u32 s22, 46
	s_mov_b64 s[18:19], 0
	s_cbranch_scc0 .LBB143_1328
; %bb.1317:
	global_load_dword v1, v[10:11], off
	s_mov_b64 s[0:1], 0
	s_mov_b64 s[12:13], -1
	s_waitcnt vmcnt(0)
	v_and_b32_e32 v13, 0xffff0000, v1
	v_lshlrev_b32_e32 v12, 16, v1
	s_branch .LBB143_1329
.LBB143_1318:
	s_mov_b64 s[12:13], 0
                                        ; implicit-def: $vgpr13
	s_cbranch_execnz .LBB143_1397
.LBB143_1319:
	s_andn2_b64 vcc, exec, s[12:13]
	s_cbranch_vccnz .LBB143_1725
	s_branch .LBB143_1446
.LBB143_1320:
                                        ; implicit-def: $sgpr4_sgpr5
	s_branch .LBB143_1310
.LBB143_1321:
	s_mov_b64 s[12:13], 0
	s_mov_b64 s[0:1], 0
                                        ; implicit-def: $vgpr13
	s_cbranch_execnz .LBB143_1360
	s_branch .LBB143_1393
.LBB143_1322:
	s_mov_b64 s[18:19], -1
	s_mov_b64 s[12:13], 0
	s_mov_b64 s[0:1], 0
                                        ; implicit-def: $vgpr13
	s_branch .LBB143_1341
.LBB143_1323:
	s_mov_b64 s[18:19], -1
	s_mov_b64 s[12:13], 0
	s_mov_b64 s[0:1], 0
                                        ; implicit-def: $vgpr13
	s_branch .LBB143_1335
.LBB143_1324:
	s_trap 2
	s_or_b64 s[2:3], s[28:29], exec
	s_cbranch_execz .LBB143_1259
	s_branch .LBB143_1260
.LBB143_1325:
	s_mov_b64 s[18:19], -1
	s_mov_b64 s[12:13], 0
	s_mov_b64 s[0:1], 0
                                        ; implicit-def: $vgpr13
	s_branch .LBB143_1329
.LBB143_1326:
	s_andn2_saveexec_b64 s[18:19], s[18:19]
	s_cbranch_execz .LBB143_1042
.LBB143_1327:
	v_add_f32_e32 v0, 0x42800000, v3
	v_and_b32_e32 v0, 0xff, v0
	v_cmp_ne_u32_e32 vcc, 0, v0
	s_andn2_b64 s[16:17], s[16:17], exec
	s_and_b64 s[22:23], vcc, exec
	s_or_b64 s[16:17], s[16:17], s[22:23]
	s_or_b64 exec, exec, s[18:19]
	v_mov_b32_e32 v4, 0
	s_and_saveexec_b64 s[18:19], s[16:17]
	s_cbranch_execnz .LBB143_1043
	s_branch .LBB143_1044
.LBB143_1328:
	s_mov_b64 s[0:1], -1
                                        ; implicit-def: $vgpr13
	s_mov_b64 s[12:13], 0
.LBB143_1329:
	s_and_b64 vcc, exec, s[18:19]
	s_cbranch_vccz .LBB143_1334
; %bb.1330:
	s_cmp_eq_u32 s22, 44
	s_cbranch_scc0 .LBB143_1332
; %bb.1331:
	global_load_ubyte v1, v[10:11], off
	s_movk_i32 s12, 0xff
	s_waitcnt vmcnt(1)
	v_mov_b32_e32 v3, 0x7f800001
	v_mov_b32_e32 v5, 0x400000
	s_mov_b64 s[0:1], 0
	s_waitcnt vmcnt(0)
	v_lshlrev_b32_e32 v8, 23, v1
	v_cmp_ne_u32_e32 vcc, s12, v1
	v_cndmask_b32_e32 v3, v3, v8, vcc
	v_cmp_ne_u32_e32 vcc, 0, v1
	v_cndmask_b32_e32 v12, v5, v3, vcc
	s_mov_b64 s[12:13], -1
	s_branch .LBB143_1333
.LBB143_1332:
	s_mov_b64 s[0:1], -1
                                        ; implicit-def: $vgpr12
.LBB143_1333:
	v_mov_b32_e32 v13, 0
.LBB143_1334:
	s_mov_b64 s[18:19], 0
.LBB143_1335:
	s_and_b64 vcc, exec, s[18:19]
	s_cbranch_vccz .LBB143_1340
; %bb.1336:
	s_cmp_eq_u32 s22, 29
	s_cbranch_scc0 .LBB143_1338
; %bb.1337:
	global_load_dwordx2 v[12:13], v[10:11], off
	s_mov_b64 s[0:1], 0
	s_mov_b64 s[12:13], -1
	s_waitcnt vmcnt(0)
	v_ffbh_u32_e32 v1, v13
	v_min_u32_e32 v1, 32, v1
	v_lshlrev_b64 v[12:13], v1, v[12:13]
	v_sub_u32_e32 v1, 32, v1
	v_min_u32_e32 v3, 1, v12
	v_or_b32_e32 v3, v13, v3
	v_cvt_f32_u32_e32 v3, v3
	v_ldexp_f32 v12, v3, v1
	s_branch .LBB143_1339
.LBB143_1338:
	s_mov_b64 s[0:1], -1
                                        ; implicit-def: $vgpr12
.LBB143_1339:
	v_mov_b32_e32 v13, 0
.LBB143_1340:
	s_mov_b64 s[18:19], 0
.LBB143_1341:
	s_and_b64 vcc, exec, s[18:19]
	s_cbranch_vccz .LBB143_1359
; %bb.1342:
	s_cmp_lt_i32 s22, 27
	s_cbranch_scc1 .LBB143_1345
; %bb.1343:
	s_cmp_gt_i32 s22, 27
	s_cbranch_scc0 .LBB143_1346
; %bb.1344:
	global_load_dword v1, v[10:11], off
	s_mov_b64 s[12:13], 0
	s_waitcnt vmcnt(0)
	v_cvt_f32_u32_e32 v12, v1
	s_branch .LBB143_1347
.LBB143_1345:
	s_mov_b64 s[12:13], -1
                                        ; implicit-def: $vgpr12
	s_branch .LBB143_1350
.LBB143_1346:
	s_mov_b64 s[12:13], -1
                                        ; implicit-def: $vgpr12
.LBB143_1347:
	s_andn2_b64 vcc, exec, s[12:13]
	s_cbranch_vccnz .LBB143_1349
; %bb.1348:
	global_load_ushort v1, v[10:11], off
	s_waitcnt vmcnt(0)
	v_cvt_f32_u32_e32 v12, v1
.LBB143_1349:
	s_mov_b64 s[12:13], 0
.LBB143_1350:
	s_andn2_b64 vcc, exec, s[12:13]
	s_cbranch_vccnz .LBB143_1358
; %bb.1351:
	global_load_ubyte v1, v[10:11], off
	s_movk_i32 s12, 0x7f
	s_waitcnt vmcnt(0)
	v_cmp_lt_i16_e32 vcc, s12, v1
	s_mov_b64 s[12:13], 0
	s_and_saveexec_b64 s[18:19], vcc
	s_xor_b64 s[18:19], exec, s[18:19]
	s_cbranch_execz .LBB143_1371
; %bb.1352:
	s_movk_i32 s12, 0x80
	v_cmp_eq_u16_e32 vcc, s12, v1
	s_mov_b64 s[12:13], -1
	s_and_saveexec_b64 s[20:21], vcc
; %bb.1353:
	s_xor_b64 s[12:13], exec, -1
; %bb.1354:
	s_or_b64 exec, exec, s[20:21]
	s_and_b64 s[12:13], s[12:13], exec
	s_or_saveexec_b64 s[18:19], s[18:19]
	v_mov_b32_e32 v12, 0x7f800001
	s_xor_b64 exec, exec, s[18:19]
	s_cbranch_execnz .LBB143_1372
.LBB143_1355:
	s_or_b64 exec, exec, s[18:19]
	s_and_saveexec_b64 s[18:19], s[12:13]
	s_cbranch_execz .LBB143_1357
.LBB143_1356:
	v_lshlrev_b32_e32 v3, 24, v1
	v_and_b32_e32 v1, 0xffff, v1
	v_and_b32_e32 v5, 7, v1
	v_ffbh_u32_e32 v12, v5
	v_min_u32_e32 v12, 32, v12
	v_subrev_u32_e32 v13, 28, v12
	v_bfe_u32 v8, v1, 3, 4
	v_lshlrev_b32_e32 v1, v13, v1
	v_sub_u32_e32 v12, 29, v12
	v_and_b32_e32 v1, 7, v1
	v_cmp_eq_u32_e32 vcc, 0, v8
	v_cndmask_b32_e32 v8, v8, v12, vcc
	v_cndmask_b32_e32 v1, v5, v1, vcc
	v_mov_b32_e32 v5, 0x3b800000
	v_lshlrev_b32_e32 v1, 20, v1
	v_and_b32_e32 v3, 0x80000000, v3
	v_lshl_add_u32 v5, v8, 23, v5
	v_or3_b32 v12, v3, v5, v1
.LBB143_1357:
	s_or_b64 exec, exec, s[18:19]
.LBB143_1358:
	s_mov_b64 s[12:13], -1
	v_mov_b32_e32 v13, 0
.LBB143_1359:
	s_branch .LBB143_1393
.LBB143_1360:
	s_cmp_gt_i32 s22, 22
	s_cbranch_scc0 .LBB143_1370
; %bb.1361:
	s_cmp_lt_i32 s22, 24
	s_cbranch_scc1 .LBB143_1373
; %bb.1362:
	s_cmp_gt_i32 s22, 24
	s_cbranch_scc0 .LBB143_1374
; %bb.1363:
	global_load_ubyte v1, v[10:11], off
	s_movk_i32 s6, 0x7f
	s_waitcnt vmcnt(0)
	v_cmp_lt_i16_e32 vcc, s6, v1
	s_mov_b64 s[6:7], 0
	s_and_saveexec_b64 s[12:13], vcc
	s_xor_b64 s[12:13], exec, s[12:13]
	s_cbranch_execz .LBB143_1386
; %bb.1364:
	s_movk_i32 s6, 0x80
	v_cmp_eq_u16_e32 vcc, s6, v1
	s_mov_b64 s[6:7], -1
	s_and_saveexec_b64 s[18:19], vcc
; %bb.1365:
	s_xor_b64 s[6:7], exec, -1
; %bb.1366:
	s_or_b64 exec, exec, s[18:19]
	s_and_b64 s[6:7], s[6:7], exec
	s_or_saveexec_b64 s[12:13], s[12:13]
	v_mov_b32_e32 v12, 0x7f800001
	s_xor_b64 exec, exec, s[12:13]
	s_cbranch_execnz .LBB143_1387
.LBB143_1367:
	s_or_b64 exec, exec, s[12:13]
	s_and_saveexec_b64 s[12:13], s[6:7]
	s_cbranch_execz .LBB143_1369
.LBB143_1368:
	v_lshlrev_b32_e32 v3, 24, v1
	v_and_b32_e32 v1, 0xffff, v1
	v_and_b32_e32 v5, 3, v1
	v_ffbh_u32_e32 v12, v5
	v_min_u32_e32 v12, 32, v12
	v_subrev_u32_e32 v13, 29, v12
	v_bfe_u32 v8, v1, 2, 5
	v_lshlrev_b32_e32 v1, v13, v1
	v_sub_u32_e32 v12, 30, v12
	v_and_b32_e32 v1, 3, v1
	v_cmp_eq_u32_e32 vcc, 0, v8
	v_cndmask_b32_e32 v8, v8, v12, vcc
	v_cndmask_b32_e32 v1, v5, v1, vcc
	v_mov_b32_e32 v5, 0x37800000
	v_lshlrev_b32_e32 v1, 21, v1
	v_and_b32_e32 v3, 0x80000000, v3
	v_lshl_add_u32 v5, v8, 23, v5
	v_or3_b32 v12, v3, v5, v1
.LBB143_1369:
	s_or_b64 exec, exec, s[12:13]
	s_mov_b64 s[6:7], 0
	s_branch .LBB143_1375
.LBB143_1370:
	s_mov_b64 s[6:7], -1
                                        ; implicit-def: $vgpr12
	s_branch .LBB143_1381
.LBB143_1371:
	s_or_saveexec_b64 s[18:19], s[18:19]
	v_mov_b32_e32 v12, 0x7f800001
	s_xor_b64 exec, exec, s[18:19]
	s_cbranch_execz .LBB143_1355
.LBB143_1372:
	v_cmp_ne_u16_e32 vcc, 0, v1
	s_andn2_b64 s[12:13], s[12:13], exec
	s_and_b64 s[20:21], vcc, exec
	v_mov_b32_e32 v12, 0
	s_or_b64 s[12:13], s[12:13], s[20:21]
	s_or_b64 exec, exec, s[18:19]
	s_and_saveexec_b64 s[18:19], s[12:13]
	s_cbranch_execnz .LBB143_1356
	s_branch .LBB143_1357
.LBB143_1373:
	s_mov_b64 s[6:7], -1
                                        ; implicit-def: $vgpr12
	s_branch .LBB143_1378
.LBB143_1374:
	s_mov_b64 s[6:7], -1
                                        ; implicit-def: $vgpr12
.LBB143_1375:
	s_and_b64 vcc, exec, s[6:7]
	s_cbranch_vccz .LBB143_1377
; %bb.1376:
	global_load_ubyte v1, v[10:11], off
	s_mov_b32 s6, 0x7f800000
	s_waitcnt vmcnt(0)
	v_lshlrev_b32_e32 v1, 24, v1
	v_and_b32_e32 v3, 0x7f000000, v1
	v_ffbh_u32_e32 v5, v3
	v_min_u32_e32 v5, 32, v5
	v_sub_u32_e64 v5, v5, 4 clamp
	v_lshlrev_b32_e32 v12, v5, v3
	v_lshlrev_b32_e32 v5, 23, v5
	v_lshrrev_b32_e32 v12, 4, v12
	v_add_u32_e32 v8, 0x1000000, v3
	v_sub_u32_e32 v5, v12, v5
	v_ashrrev_i32_e32 v8, 8, v8
	v_add_u32_e32 v5, 0x3c000000, v5
	v_and_or_b32 v5, v8, s6, v5
	v_cmp_ne_u32_e32 vcc, 0, v3
	v_cndmask_b32_e32 v3, 0, v5, vcc
	s_brev_b32 s6, 1
	v_and_or_b32 v12, v1, s6, v3
.LBB143_1377:
	s_mov_b64 s[6:7], 0
.LBB143_1378:
	s_andn2_b64 vcc, exec, s[6:7]
	s_cbranch_vccnz .LBB143_1380
; %bb.1379:
	global_load_ubyte v1, v[10:11], off
	s_movk_i32 s6, 0x7f00
	s_brev_b32 s7, 16
	s_waitcnt vmcnt(0)
	v_lshlrev_b16_e32 v3, 8, v1
	v_lshlrev_b32_e32 v1, 25, v1
	v_lshrrev_b32_e32 v5, 4, v1
	v_and_or_b32 v8, v3, s6, 0.5
	v_or_b32_e32 v5, 0x70000000, v5
	v_add_f32_e32 v8, -0.5, v8
	v_mul_f32_e32 v5, 0x7800000, v5
	v_cmp_gt_u32_e32 vcc, s7, v1
	v_bfe_i32 v3, v3, 0, 16
	v_cndmask_b32_e32 v1, v5, v8, vcc
	s_brev_b32 s6, 1
	v_and_or_b32 v12, v3, s6, v1
.LBB143_1380:
	s_mov_b64 s[6:7], 0
	s_mov_b64 s[12:13], -1
.LBB143_1381:
	s_andn2_b64 vcc, exec, s[6:7]
	s_mov_b64 s[6:7], 0
	s_cbranch_vccnz .LBB143_1392
; %bb.1382:
	s_cmp_gt_i32 s22, 14
	s_cbranch_scc0 .LBB143_1385
; %bb.1383:
	s_cmp_eq_u32 s22, 15
	s_cbranch_scc0 .LBB143_1388
; %bb.1384:
	global_load_ushort v1, v[10:11], off
	s_mov_b64 s[0:1], 0
	s_mov_b64 s[12:13], -1
	s_waitcnt vmcnt(0)
	v_lshlrev_b32_e32 v12, 16, v1
	s_branch .LBB143_1389
.LBB143_1385:
	s_mov_b64 s[18:19], -1
                                        ; implicit-def: $vgpr12
	s_branch .LBB143_1390
.LBB143_1386:
	s_or_saveexec_b64 s[12:13], s[12:13]
	v_mov_b32_e32 v12, 0x7f800001
	s_xor_b64 exec, exec, s[12:13]
	s_cbranch_execz .LBB143_1367
.LBB143_1387:
	v_cmp_ne_u16_e32 vcc, 0, v1
	s_andn2_b64 s[6:7], s[6:7], exec
	s_and_b64 s[18:19], vcc, exec
	v_mov_b32_e32 v12, 0
	s_or_b64 s[6:7], s[6:7], s[18:19]
	s_or_b64 exec, exec, s[12:13]
	s_and_saveexec_b64 s[12:13], s[6:7]
	s_cbranch_execnz .LBB143_1368
	s_branch .LBB143_1369
.LBB143_1388:
	s_mov_b64 s[0:1], -1
                                        ; implicit-def: $vgpr12
.LBB143_1389:
	s_mov_b64 s[18:19], 0
.LBB143_1390:
	s_and_b64 vcc, exec, s[18:19]
	s_cbranch_vccz .LBB143_1392
; %bb.1391:
	s_cmp_lg_u32 s22, 11
	s_mov_b64 s[6:7], -1
	s_cselect_b64 s[0:1], -1, 0
.LBB143_1392:
	v_mov_b32_e32 v13, 0
.LBB143_1393:
	s_and_b64 vcc, exec, s[0:1]
	s_cbranch_vccnz .LBB143_1474
; %bb.1394:
	s_andn2_b64 vcc, exec, s[6:7]
	s_cbranch_vccnz .LBB143_1396
.LBB143_1395:
	global_load_ubyte v1, v[10:11], off
	v_mov_b32_e32 v13, 0
	s_mov_b64 s[12:13], -1
	s_waitcnt vmcnt(0)
	v_cmp_ne_u16_e32 vcc, 0, v1
	v_cndmask_b32_e64 v12, 0, 1.0, vcc
.LBB143_1396:
	s_branch .LBB143_1319
.LBB143_1397:
	s_and_b32 s6, 0xffff, s24
	s_cmp_lt_i32 s6, 5
	s_cbranch_scc1 .LBB143_1402
; %bb.1398:
	s_cmp_lt_i32 s6, 8
	s_cbranch_scc1 .LBB143_1404
; %bb.1399:
	;; [unrolled: 3-line block ×3, first 2 shown]
	s_cmp_gt_i32 s6, 9
	s_cbranch_scc0 .LBB143_1406
; %bb.1401:
	global_load_dwordx4 v[12:15], v[10:11], off
	s_mov_b64 s[0:1], 0
	s_waitcnt vmcnt(0)
	v_cvt_f32_f64_e32 v12, v[12:13]
	v_cvt_f32_f64_e32 v13, v[14:15]
	s_branch .LBB143_1407
.LBB143_1402:
                                        ; implicit-def: $vgpr13
	s_branch .LBB143_1426
.LBB143_1403:
	s_branch .LBB143_1446
.LBB143_1404:
	s_mov_b64 s[0:1], -1
                                        ; implicit-def: $vgpr13
	s_branch .LBB143_1413
.LBB143_1405:
	s_mov_b64 s[0:1], -1
                                        ; implicit-def: $vgpr13
	s_branch .LBB143_1410
.LBB143_1406:
	s_mov_b64 s[0:1], -1
                                        ; implicit-def: $vgpr13
.LBB143_1407:
	s_andn2_b64 vcc, exec, s[0:1]
	s_cbranch_vccnz .LBB143_1409
; %bb.1408:
	global_load_dwordx2 v[12:13], v[10:11], off
.LBB143_1409:
	s_mov_b64 s[0:1], 0
.LBB143_1410:
	s_andn2_b64 vcc, exec, s[0:1]
	s_cbranch_vccnz .LBB143_1412
; %bb.1411:
	global_load_dword v1, v[10:11], off
	s_waitcnt vmcnt(0)
	v_cvt_f32_f16_e32 v12, v1
	v_cvt_f32_f16_sdwa v13, v1 dst_sel:DWORD dst_unused:UNUSED_PAD src0_sel:WORD_1
.LBB143_1412:
	s_mov_b64 s[0:1], 0
.LBB143_1413:
	s_andn2_b64 vcc, exec, s[0:1]
	s_cbranch_vccnz .LBB143_1425
; %bb.1414:
	s_cmp_lt_i32 s6, 6
	s_cbranch_scc1 .LBB143_1417
; %bb.1415:
	s_cmp_gt_i32 s6, 6
	s_cbranch_scc0 .LBB143_1418
; %bb.1416:
	global_load_dwordx2 v[12:13], v[10:11], off
	s_mov_b64 s[0:1], 0
	s_waitcnt vmcnt(0)
	v_cvt_f32_f64_e32 v12, v[12:13]
	s_branch .LBB143_1419
.LBB143_1417:
	s_mov_b64 s[0:1], -1
                                        ; implicit-def: $vgpr12
	s_branch .LBB143_1422
.LBB143_1418:
	s_mov_b64 s[0:1], -1
                                        ; implicit-def: $vgpr12
.LBB143_1419:
	s_andn2_b64 vcc, exec, s[0:1]
	s_cbranch_vccnz .LBB143_1421
; %bb.1420:
	global_load_dword v12, v[10:11], off
.LBB143_1421:
	s_mov_b64 s[0:1], 0
.LBB143_1422:
	s_andn2_b64 vcc, exec, s[0:1]
	s_cbranch_vccnz .LBB143_1424
; %bb.1423:
	global_load_ushort v1, v[10:11], off
	s_waitcnt vmcnt(0)
	v_cvt_f32_f16_e32 v12, v1
.LBB143_1424:
	s_waitcnt vmcnt(0)
	v_mov_b32_e32 v13, 0
.LBB143_1425:
	s_cbranch_execnz .LBB143_1403
.LBB143_1426:
	s_cmp_lt_i32 s6, 2
	s_cbranch_scc1 .LBB143_1430
; %bb.1427:
	s_cmp_lt_i32 s6, 3
	s_cbranch_scc1 .LBB143_1431
; %bb.1428:
	s_cmp_gt_i32 s6, 3
	s_cbranch_scc0 .LBB143_1432
; %bb.1429:
	global_load_dwordx2 v[12:13], v[10:11], off
	s_mov_b64 s[0:1], 0
	s_waitcnt vmcnt(0)
	v_xor_b32_e32 v3, v12, v13
	v_ffbh_i32_e32 v1, v13
	v_ashrrev_i32_e32 v3, 31, v3
	v_add_u32_e32 v1, -1, v1
	v_add_u32_e32 v3, 32, v3
	v_min_u32_e32 v1, v1, v3
	v_lshlrev_b64 v[12:13], v1, v[12:13]
	v_sub_u32_e32 v1, 32, v1
	v_min_u32_e32 v3, 1, v12
	v_or_b32_e32 v3, v13, v3
	v_cvt_f32_i32_e32 v3, v3
	v_ldexp_f32 v12, v3, v1
	s_branch .LBB143_1433
.LBB143_1430:
	s_mov_b64 s[0:1], -1
                                        ; implicit-def: $vgpr12
	s_branch .LBB143_1439
.LBB143_1431:
	s_mov_b64 s[0:1], -1
                                        ; implicit-def: $vgpr12
	s_branch .LBB143_1436
.LBB143_1432:
	s_mov_b64 s[0:1], -1
                                        ; implicit-def: $vgpr12
.LBB143_1433:
	s_andn2_b64 vcc, exec, s[0:1]
	s_cbranch_vccnz .LBB143_1435
; %bb.1434:
	global_load_dword v1, v[10:11], off
	s_waitcnt vmcnt(0)
	v_cvt_f32_i32_e32 v12, v1
.LBB143_1435:
	s_mov_b64 s[0:1], 0
.LBB143_1436:
	s_andn2_b64 vcc, exec, s[0:1]
	s_cbranch_vccnz .LBB143_1438
; %bb.1437:
	global_load_sshort v1, v[10:11], off
	s_waitcnt vmcnt(0)
	v_cvt_f32_i32_e32 v12, v1
.LBB143_1438:
	s_mov_b64 s[0:1], 0
.LBB143_1439:
	s_andn2_b64 vcc, exec, s[0:1]
	s_cbranch_vccnz .LBB143_1445
; %bb.1440:
	s_cmp_gt_i32 s6, 0
	s_cbranch_scc0 .LBB143_1442
; %bb.1441:
	global_load_sbyte v1, v[10:11], off
	s_mov_b64 s[0:1], 0
	s_waitcnt vmcnt(0)
	v_cvt_f32_i32_e32 v12, v1
	s_branch .LBB143_1443
.LBB143_1442:
	s_mov_b64 s[0:1], -1
                                        ; implicit-def: $vgpr12
.LBB143_1443:
	s_andn2_b64 vcc, exec, s[0:1]
	s_cbranch_vccnz .LBB143_1445
; %bb.1444:
	global_load_ubyte v1, v[10:11], off
	s_waitcnt vmcnt(0)
	v_cvt_f32_ubyte0_e32 v12, v1
.LBB143_1445:
	s_waitcnt vmcnt(0)
	v_mov_b32_e32 v13, 0
.LBB143_1446:
	s_and_b64 vcc, exec, s[16:17]
	s_cbranch_vccz .LBB143_1458
; %bb.1447:
	s_waitcnt vmcnt(0)
	v_cmp_neq_f32_e32 vcc, s14, v12
	v_cmp_neq_f32_e64 s[0:1], s15, v13
	s_or_b64 s[6:7], vcc, s[0:1]
	s_cbranch_execnz .LBB143_1449
.LBB143_1448:
	s_waitcnt vmcnt(0)
	v_cmp_eq_f32_e32 vcc, s14, v12
	v_cmp_eq_f32_e64 s[0:1], s15, v13
	s_and_b64 s[0:1], vcc, s[0:1]
	s_andn2_b64 s[6:7], s[6:7], exec
	s_and_b64 s[0:1], s[0:1], exec
	s_or_b64 s[6:7], s[6:7], s[0:1]
.LBB143_1449:
	v_mov_b32_e32 v1, s11
	v_add_co_u32_e32 v8, vcc, s10, v9
	s_cmp_lt_i32 s24, 11
	v_addc_co_u32_e32 v9, vcc, 0, v1, vcc
	s_cbranch_scc1 .LBB143_1456
; %bb.1450:
	s_and_b32 s25, 0xffff, s24
	s_cmp_gt_i32 s25, 25
	s_mov_b64 s[12:13], 0
	s_cbranch_scc0 .LBB143_1459
; %bb.1451:
	s_cmp_gt_i32 s25, 28
	s_cbranch_scc0 .LBB143_1470
; %bb.1452:
	s_cmp_gt_i32 s25, 43
	;; [unrolled: 3-line block ×3, first 2 shown]
	s_cbranch_scc0 .LBB143_1475
; %bb.1454:
	s_cmp_eq_u32 s25, 46
	s_mov_b64 s[20:21], 0
	s_cbranch_scc0 .LBB143_1533
; %bb.1455:
	global_load_dword v1, v[8:9], off
	s_mov_b64 s[0:1], 0
	s_mov_b64 s[18:19], -1
	s_waitcnt vmcnt(0)
	v_and_b32_e32 v11, 0xffff0000, v1
	v_lshlrev_b32_e32 v10, 16, v1
	s_branch .LBB143_1534
.LBB143_1456:
	s_mov_b64 s[18:19], 0
                                        ; implicit-def: $vgpr11
	s_cbranch_execnz .LBB143_1464
.LBB143_1457:
	s_andn2_b64 vcc, exec, s[18:19]
	s_cbranch_vccnz .LBB143_1725
	s_branch .LBB143_1518
.LBB143_1458:
                                        ; implicit-def: $sgpr6_sgpr7
	s_branch .LBB143_1448
.LBB143_1459:
	s_mov_b64 s[18:19], 0
	s_mov_b64 s[0:1], 0
                                        ; implicit-def: $vgpr11
	s_cbranch_execnz .LBB143_1566
.LBB143_1460:
	s_and_b64 vcc, exec, s[0:1]
	s_cbranch_vccnz .LBB143_1599
.LBB143_1461:
	s_andn2_b64 vcc, exec, s[12:13]
	s_cbranch_vccnz .LBB143_1463
.LBB143_1462:
	global_load_ubyte v1, v[8:9], off
	v_mov_b32_e32 v11, 0
	s_mov_b64 s[18:19], -1
	s_waitcnt vmcnt(0)
	v_cmp_ne_u16_e32 vcc, 0, v1
	v_cndmask_b32_e64 v10, 0, 1.0, vcc
.LBB143_1463:
	s_branch .LBB143_1457
.LBB143_1464:
	s_and_b32 s12, 0xffff, s24
	s_cmp_lt_i32 s12, 5
	s_cbranch_scc1 .LBB143_1469
; %bb.1465:
	s_cmp_lt_i32 s12, 8
	s_cbranch_scc1 .LBB143_1471
; %bb.1466:
	s_cmp_lt_i32 s12, 9
	s_cbranch_scc1 .LBB143_1473
; %bb.1467:
	s_cmp_gt_i32 s12, 9
	s_cbranch_scc0 .LBB143_1476
; %bb.1468:
	global_load_dwordx4 v[10:13], v[8:9], off
	s_mov_b64 s[0:1], 0
	s_waitcnt vmcnt(0)
	v_cvt_f32_f64_e32 v10, v[10:11]
	v_cvt_f32_f64_e32 v11, v[12:13]
	s_branch .LBB143_1477
.LBB143_1469:
	s_mov_b64 s[0:1], -1
                                        ; implicit-def: $vgpr11
	s_branch .LBB143_1496
.LBB143_1470:
	s_mov_b64 s[20:21], -1
	s_mov_b64 s[18:19], 0
	s_mov_b64 s[0:1], 0
                                        ; implicit-def: $vgpr11
	s_branch .LBB143_1547
.LBB143_1471:
	s_mov_b64 s[0:1], -1
                                        ; implicit-def: $vgpr11
	s_branch .LBB143_1483
.LBB143_1472:
	s_mov_b64 s[20:21], -1
	s_mov_b64 s[18:19], 0
	s_mov_b64 s[0:1], 0
                                        ; implicit-def: $vgpr11
	s_branch .LBB143_1541
.LBB143_1473:
	s_mov_b64 s[0:1], -1
                                        ; implicit-def: $vgpr11
	s_branch .LBB143_1480
.LBB143_1474:
	s_trap 2
	s_or_b64 s[2:3], s[2:3], exec
	s_cbranch_execz .LBB143_1395
	s_branch .LBB143_1396
.LBB143_1475:
	s_mov_b64 s[20:21], -1
	s_mov_b64 s[18:19], 0
	s_mov_b64 s[0:1], 0
                                        ; implicit-def: $vgpr11
	s_branch .LBB143_1534
.LBB143_1476:
	s_mov_b64 s[0:1], -1
                                        ; implicit-def: $vgpr11
.LBB143_1477:
	s_andn2_b64 vcc, exec, s[0:1]
	s_cbranch_vccnz .LBB143_1479
; %bb.1478:
	global_load_dwordx2 v[10:11], v[8:9], off
.LBB143_1479:
	s_mov_b64 s[0:1], 0
.LBB143_1480:
	s_andn2_b64 vcc, exec, s[0:1]
	s_cbranch_vccnz .LBB143_1482
; %bb.1481:
	global_load_dword v1, v[8:9], off
	s_waitcnt vmcnt(0)
	v_cvt_f32_f16_e32 v10, v1
	v_cvt_f32_f16_sdwa v11, v1 dst_sel:DWORD dst_unused:UNUSED_PAD src0_sel:WORD_1
.LBB143_1482:
	s_mov_b64 s[0:1], 0
.LBB143_1483:
	s_andn2_b64 vcc, exec, s[0:1]
	s_cbranch_vccnz .LBB143_1495
; %bb.1484:
	s_cmp_lt_i32 s12, 6
	s_cbranch_scc1 .LBB143_1487
; %bb.1485:
	s_cmp_gt_i32 s12, 6
	s_cbranch_scc0 .LBB143_1488
; %bb.1486:
	global_load_dwordx2 v[10:11], v[8:9], off
	s_mov_b64 s[0:1], 0
	s_waitcnt vmcnt(0)
	v_cvt_f32_f64_e32 v10, v[10:11]
	s_branch .LBB143_1489
.LBB143_1487:
	s_mov_b64 s[0:1], -1
                                        ; implicit-def: $vgpr10
	s_branch .LBB143_1492
.LBB143_1488:
	s_mov_b64 s[0:1], -1
                                        ; implicit-def: $vgpr10
.LBB143_1489:
	s_andn2_b64 vcc, exec, s[0:1]
	s_cbranch_vccnz .LBB143_1491
; %bb.1490:
	global_load_dword v10, v[8:9], off
.LBB143_1491:
	s_mov_b64 s[0:1], 0
.LBB143_1492:
	s_andn2_b64 vcc, exec, s[0:1]
	s_cbranch_vccnz .LBB143_1494
; %bb.1493:
	global_load_ushort v1, v[8:9], off
	s_waitcnt vmcnt(0)
	v_cvt_f32_f16_e32 v10, v1
.LBB143_1494:
	s_waitcnt vmcnt(0)
	v_mov_b32_e32 v11, 0
.LBB143_1495:
	s_mov_b64 s[0:1], 0
.LBB143_1496:
	s_andn2_b64 vcc, exec, s[0:1]
	s_cbranch_vccnz .LBB143_1517
; %bb.1497:
	s_cmp_lt_i32 s12, 2
	s_cbranch_scc1 .LBB143_1501
; %bb.1498:
	s_cmp_lt_i32 s12, 3
	s_cbranch_scc1 .LBB143_1502
; %bb.1499:
	s_cmp_gt_i32 s12, 3
	s_cbranch_scc0 .LBB143_1503
; %bb.1500:
	global_load_dwordx2 v[10:11], v[8:9], off
	s_mov_b64 s[0:1], 0
	s_waitcnt vmcnt(0)
	v_xor_b32_e32 v3, v10, v11
	v_ffbh_i32_e32 v1, v11
	v_ashrrev_i32_e32 v3, 31, v3
	v_add_u32_e32 v1, -1, v1
	v_add_u32_e32 v3, 32, v3
	v_min_u32_e32 v1, v1, v3
	v_lshlrev_b64 v[10:11], v1, v[10:11]
	v_sub_u32_e32 v1, 32, v1
	v_min_u32_e32 v3, 1, v10
	v_or_b32_e32 v3, v11, v3
	v_cvt_f32_i32_e32 v3, v3
	v_ldexp_f32 v10, v3, v1
	s_branch .LBB143_1504
.LBB143_1501:
	s_mov_b64 s[0:1], -1
                                        ; implicit-def: $vgpr10
	s_branch .LBB143_1510
.LBB143_1502:
	s_mov_b64 s[0:1], -1
                                        ; implicit-def: $vgpr10
	s_branch .LBB143_1507
.LBB143_1503:
	s_mov_b64 s[0:1], -1
                                        ; implicit-def: $vgpr10
.LBB143_1504:
	s_andn2_b64 vcc, exec, s[0:1]
	s_cbranch_vccnz .LBB143_1506
; %bb.1505:
	global_load_dword v1, v[8:9], off
	s_waitcnt vmcnt(0)
	v_cvt_f32_i32_e32 v10, v1
.LBB143_1506:
	s_mov_b64 s[0:1], 0
.LBB143_1507:
	s_andn2_b64 vcc, exec, s[0:1]
	s_cbranch_vccnz .LBB143_1509
; %bb.1508:
	global_load_sshort v1, v[8:9], off
	s_waitcnt vmcnt(0)
	v_cvt_f32_i32_e32 v10, v1
.LBB143_1509:
	s_mov_b64 s[0:1], 0
.LBB143_1510:
	s_andn2_b64 vcc, exec, s[0:1]
	s_cbranch_vccnz .LBB143_1516
; %bb.1511:
	s_cmp_gt_i32 s12, 0
	s_cbranch_scc0 .LBB143_1513
; %bb.1512:
	global_load_sbyte v1, v[8:9], off
	s_mov_b64 s[0:1], 0
	s_waitcnt vmcnt(0)
	v_cvt_f32_i32_e32 v10, v1
	s_branch .LBB143_1514
.LBB143_1513:
	s_mov_b64 s[0:1], -1
                                        ; implicit-def: $vgpr10
.LBB143_1514:
	s_andn2_b64 vcc, exec, s[0:1]
	s_cbranch_vccnz .LBB143_1516
; %bb.1515:
	global_load_ubyte v1, v[8:9], off
	s_waitcnt vmcnt(0)
	v_cvt_f32_ubyte0_e32 v10, v1
.LBB143_1516:
	s_waitcnt vmcnt(0)
	v_mov_b32_e32 v11, 0
.LBB143_1517:
.LBB143_1518:
	s_and_b64 vcc, exec, s[16:17]
	s_cbranch_vccz .LBB143_1529
; %bb.1519:
	s_waitcnt vmcnt(0)
	v_cmp_neq_f32_e32 vcc, s14, v10
	v_cmp_neq_f32_e64 s[0:1], s15, v11
	s_or_b64 s[12:13], vcc, s[0:1]
	s_cbranch_execnz .LBB143_1521
.LBB143_1520:
	s_waitcnt vmcnt(0)
	v_cmp_eq_f32_e32 vcc, s14, v10
	v_cmp_eq_f32_e64 s[0:1], s15, v11
	s_and_b64 s[0:1], vcc, s[0:1]
	s_andn2_b64 s[12:13], s[12:13], exec
	s_and_b64 s[0:1], s[0:1], exec
	s_or_b64 s[12:13], s[12:13], s[0:1]
.LBB143_1521:
	v_mov_b32_e32 v1, s11
	v_add_co_u32_e32 v7, vcc, s10, v7
	s_cmp_lt_i32 s24, 11
	v_addc_co_u32_e32 v8, vcc, 0, v1, vcc
	s_cbranch_scc1 .LBB143_1528
; %bb.1522:
	s_and_b32 s25, 0xffff, s24
	s_cmp_gt_i32 s25, 25
	s_mov_b64 s[10:11], 0
	s_cbranch_scc0 .LBB143_1530
; %bb.1523:
	s_cmp_gt_i32 s25, 28
	s_cbranch_scc0 .LBB143_1531
; %bb.1524:
	s_cmp_gt_i32 s25, 43
	;; [unrolled: 3-line block ×3, first 2 shown]
	s_cbranch_scc0 .LBB143_1537
; %bb.1526:
	s_cmp_eq_u32 s25, 46
	s_mov_b64 s[20:21], 0
	s_cbranch_scc0 .LBB143_1600
; %bb.1527:
	global_load_dword v1, v[7:8], off
	s_mov_b64 s[0:1], 0
	s_mov_b64 s[18:19], -1
	s_waitcnt vmcnt(0)
	v_and_b32_e32 v10, 0xffff0000, v1
	v_lshlrev_b32_e32 v9, 16, v1
	s_branch .LBB143_1601
.LBB143_1528:
	s_mov_b64 s[0:1], -1
	s_mov_b64 s[18:19], 0
                                        ; implicit-def: $vgpr10
	s_branch .LBB143_1647
.LBB143_1529:
                                        ; implicit-def: $sgpr12_sgpr13
	s_branch .LBB143_1520
.LBB143_1530:
	s_mov_b64 s[20:21], -1
	s_mov_b64 s[18:19], 0
	s_mov_b64 s[0:1], 0
                                        ; implicit-def: $vgpr10
	s_branch .LBB143_1632
.LBB143_1531:
	s_mov_b64 s[20:21], -1
	s_mov_b64 s[18:19], 0
	s_mov_b64 s[0:1], 0
                                        ; implicit-def: $vgpr10
	s_branch .LBB143_1613
.LBB143_1532:
	s_mov_b64 s[20:21], -1
	s_mov_b64 s[18:19], 0
	s_mov_b64 s[0:1], 0
                                        ; implicit-def: $vgpr10
	s_branch .LBB143_1607
.LBB143_1533:
	s_mov_b64 s[0:1], -1
                                        ; implicit-def: $vgpr11
	s_mov_b64 s[18:19], 0
.LBB143_1534:
	s_and_b64 vcc, exec, s[20:21]
	s_cbranch_vccz .LBB143_1540
; %bb.1535:
	s_cmp_eq_u32 s25, 44
	s_cbranch_scc0 .LBB143_1538
; %bb.1536:
	global_load_ubyte v1, v[8:9], off
	s_movk_i32 s18, 0xff
	s_waitcnt vmcnt(1)
	v_mov_b32_e32 v3, 0x7f800001
	v_mov_b32_e32 v5, 0x400000
	s_mov_b64 s[0:1], 0
	s_waitcnt vmcnt(0)
	v_lshlrev_b32_e32 v10, 23, v1
	v_cmp_ne_u32_e32 vcc, s18, v1
	v_cndmask_b32_e32 v3, v3, v10, vcc
	v_cmp_ne_u32_e32 vcc, 0, v1
	v_cndmask_b32_e32 v10, v5, v3, vcc
	s_mov_b64 s[18:19], -1
	s_branch .LBB143_1539
.LBB143_1537:
	s_mov_b64 s[20:21], -1
	s_mov_b64 s[18:19], 0
	s_mov_b64 s[0:1], 0
                                        ; implicit-def: $vgpr10
	s_branch .LBB143_1601
.LBB143_1538:
	s_mov_b64 s[0:1], -1
                                        ; implicit-def: $vgpr10
.LBB143_1539:
	v_mov_b32_e32 v11, 0
.LBB143_1540:
	s_mov_b64 s[20:21], 0
.LBB143_1541:
	s_and_b64 vcc, exec, s[20:21]
	s_cbranch_vccz .LBB143_1546
; %bb.1542:
	s_cmp_eq_u32 s25, 29
	s_cbranch_scc0 .LBB143_1544
; %bb.1543:
	global_load_dwordx2 v[10:11], v[8:9], off
	s_mov_b64 s[0:1], 0
	s_mov_b64 s[18:19], -1
	s_waitcnt vmcnt(0)
	v_ffbh_u32_e32 v1, v11
	v_min_u32_e32 v1, 32, v1
	v_lshlrev_b64 v[10:11], v1, v[10:11]
	v_sub_u32_e32 v1, 32, v1
	v_min_u32_e32 v3, 1, v10
	v_or_b32_e32 v3, v11, v3
	v_cvt_f32_u32_e32 v3, v3
	v_ldexp_f32 v10, v3, v1
	s_branch .LBB143_1545
.LBB143_1544:
	s_mov_b64 s[0:1], -1
                                        ; implicit-def: $vgpr10
.LBB143_1545:
	v_mov_b32_e32 v11, 0
.LBB143_1546:
	s_mov_b64 s[20:21], 0
.LBB143_1547:
	s_and_b64 vcc, exec, s[20:21]
	s_cbranch_vccz .LBB143_1565
; %bb.1548:
	s_cmp_lt_i32 s25, 27
	s_cbranch_scc1 .LBB143_1551
; %bb.1549:
	s_cmp_gt_i32 s25, 27
	s_cbranch_scc0 .LBB143_1552
; %bb.1550:
	global_load_dword v1, v[8:9], off
	s_mov_b64 s[18:19], 0
	s_waitcnt vmcnt(0)
	v_cvt_f32_u32_e32 v10, v1
	s_branch .LBB143_1553
.LBB143_1551:
	s_mov_b64 s[18:19], -1
                                        ; implicit-def: $vgpr10
	s_branch .LBB143_1556
.LBB143_1552:
	s_mov_b64 s[18:19], -1
                                        ; implicit-def: $vgpr10
.LBB143_1553:
	s_andn2_b64 vcc, exec, s[18:19]
	s_cbranch_vccnz .LBB143_1555
; %bb.1554:
	global_load_ushort v1, v[8:9], off
	s_waitcnt vmcnt(0)
	v_cvt_f32_u32_e32 v10, v1
.LBB143_1555:
	s_mov_b64 s[18:19], 0
.LBB143_1556:
	s_andn2_b64 vcc, exec, s[18:19]
	s_cbranch_vccnz .LBB143_1564
; %bb.1557:
	global_load_ubyte v1, v[8:9], off
	s_movk_i32 s18, 0x7f
	s_waitcnt vmcnt(0)
	v_cmp_lt_i16_e32 vcc, s18, v1
	s_mov_b64 s[18:19], 0
	s_and_saveexec_b64 s[20:21], vcc
	s_xor_b64 s[20:21], exec, s[20:21]
	s_cbranch_execz .LBB143_1577
; %bb.1558:
	s_movk_i32 s18, 0x80
	v_cmp_eq_u16_e32 vcc, s18, v1
	s_mov_b64 s[18:19], -1
	s_and_saveexec_b64 s[22:23], vcc
; %bb.1559:
	s_xor_b64 s[18:19], exec, -1
; %bb.1560:
	s_or_b64 exec, exec, s[22:23]
	s_and_b64 s[18:19], s[18:19], exec
	s_or_saveexec_b64 s[20:21], s[20:21]
	v_mov_b32_e32 v10, 0x7f800001
	s_xor_b64 exec, exec, s[20:21]
	s_cbranch_execnz .LBB143_1578
.LBB143_1561:
	s_or_b64 exec, exec, s[20:21]
	s_and_saveexec_b64 s[20:21], s[18:19]
	s_cbranch_execz .LBB143_1563
.LBB143_1562:
	v_lshlrev_b32_e32 v3, 24, v1
	v_and_b32_e32 v1, 0xffff, v1
	v_and_b32_e32 v5, 7, v1
	v_ffbh_u32_e32 v11, v5
	v_min_u32_e32 v11, 32, v11
	v_subrev_u32_e32 v12, 28, v11
	v_bfe_u32 v10, v1, 3, 4
	v_lshlrev_b32_e32 v1, v12, v1
	v_sub_u32_e32 v11, 29, v11
	v_and_b32_e32 v1, 7, v1
	v_cmp_eq_u32_e32 vcc, 0, v10
	v_cndmask_b32_e32 v10, v10, v11, vcc
	v_cndmask_b32_e32 v1, v5, v1, vcc
	v_mov_b32_e32 v5, 0x3b800000
	v_lshlrev_b32_e32 v1, 20, v1
	v_and_b32_e32 v3, 0x80000000, v3
	v_lshl_add_u32 v5, v10, 23, v5
	v_or3_b32 v10, v3, v5, v1
.LBB143_1563:
	s_or_b64 exec, exec, s[20:21]
.LBB143_1564:
	s_mov_b64 s[18:19], -1
	v_mov_b32_e32 v11, 0
.LBB143_1565:
	s_branch .LBB143_1460
.LBB143_1566:
	s_cmp_gt_i32 s25, 22
	s_cbranch_scc0 .LBB143_1576
; %bb.1567:
	s_cmp_lt_i32 s25, 24
	s_cbranch_scc1 .LBB143_1579
; %bb.1568:
	s_cmp_gt_i32 s25, 24
	s_cbranch_scc0 .LBB143_1580
; %bb.1569:
	global_load_ubyte v1, v[8:9], off
	s_movk_i32 s12, 0x7f
	s_waitcnt vmcnt(0)
	v_cmp_lt_i16_e32 vcc, s12, v1
	s_mov_b64 s[12:13], 0
	s_and_saveexec_b64 s[18:19], vcc
	s_xor_b64 s[18:19], exec, s[18:19]
	s_cbranch_execz .LBB143_1592
; %bb.1570:
	s_movk_i32 s12, 0x80
	v_cmp_eq_u16_e32 vcc, s12, v1
	s_mov_b64 s[12:13], -1
	s_and_saveexec_b64 s[20:21], vcc
; %bb.1571:
	s_xor_b64 s[12:13], exec, -1
; %bb.1572:
	s_or_b64 exec, exec, s[20:21]
	s_and_b64 s[12:13], s[12:13], exec
	s_or_saveexec_b64 s[18:19], s[18:19]
	v_mov_b32_e32 v10, 0x7f800001
	s_xor_b64 exec, exec, s[18:19]
	s_cbranch_execnz .LBB143_1593
.LBB143_1573:
	s_or_b64 exec, exec, s[18:19]
	s_and_saveexec_b64 s[18:19], s[12:13]
	s_cbranch_execz .LBB143_1575
.LBB143_1574:
	v_lshlrev_b32_e32 v3, 24, v1
	v_and_b32_e32 v1, 0xffff, v1
	v_and_b32_e32 v5, 3, v1
	v_ffbh_u32_e32 v11, v5
	v_min_u32_e32 v11, 32, v11
	v_subrev_u32_e32 v12, 29, v11
	v_bfe_u32 v10, v1, 2, 5
	v_lshlrev_b32_e32 v1, v12, v1
	v_sub_u32_e32 v11, 30, v11
	v_and_b32_e32 v1, 3, v1
	v_cmp_eq_u32_e32 vcc, 0, v10
	v_cndmask_b32_e32 v10, v10, v11, vcc
	v_cndmask_b32_e32 v1, v5, v1, vcc
	v_mov_b32_e32 v5, 0x37800000
	v_lshlrev_b32_e32 v1, 21, v1
	v_and_b32_e32 v3, 0x80000000, v3
	v_lshl_add_u32 v5, v10, 23, v5
	v_or3_b32 v10, v3, v5, v1
.LBB143_1575:
	s_or_b64 exec, exec, s[18:19]
	s_mov_b64 s[12:13], 0
	s_branch .LBB143_1581
.LBB143_1576:
	s_mov_b64 s[12:13], -1
                                        ; implicit-def: $vgpr10
	s_branch .LBB143_1587
.LBB143_1577:
	s_or_saveexec_b64 s[20:21], s[20:21]
	v_mov_b32_e32 v10, 0x7f800001
	s_xor_b64 exec, exec, s[20:21]
	s_cbranch_execz .LBB143_1561
.LBB143_1578:
	v_cmp_ne_u16_e32 vcc, 0, v1
	s_andn2_b64 s[18:19], s[18:19], exec
	s_and_b64 s[22:23], vcc, exec
	v_mov_b32_e32 v10, 0
	s_or_b64 s[18:19], s[18:19], s[22:23]
	s_or_b64 exec, exec, s[20:21]
	s_and_saveexec_b64 s[20:21], s[18:19]
	s_cbranch_execnz .LBB143_1562
	s_branch .LBB143_1563
.LBB143_1579:
	s_mov_b64 s[12:13], -1
                                        ; implicit-def: $vgpr10
	s_branch .LBB143_1584
.LBB143_1580:
	s_mov_b64 s[12:13], -1
                                        ; implicit-def: $vgpr10
.LBB143_1581:
	s_and_b64 vcc, exec, s[12:13]
	s_cbranch_vccz .LBB143_1583
; %bb.1582:
	global_load_ubyte v1, v[8:9], off
	s_mov_b32 s12, 0x7f800000
	s_waitcnt vmcnt(0)
	v_lshlrev_b32_e32 v1, 24, v1
	v_and_b32_e32 v3, 0x7f000000, v1
	v_ffbh_u32_e32 v5, v3
	v_min_u32_e32 v5, 32, v5
	v_sub_u32_e64 v5, v5, 4 clamp
	v_lshlrev_b32_e32 v11, v5, v3
	v_lshlrev_b32_e32 v5, 23, v5
	v_lshrrev_b32_e32 v11, 4, v11
	v_add_u32_e32 v10, 0x1000000, v3
	v_sub_u32_e32 v5, v11, v5
	v_ashrrev_i32_e32 v10, 8, v10
	v_add_u32_e32 v5, 0x3c000000, v5
	v_and_or_b32 v5, v10, s12, v5
	v_cmp_ne_u32_e32 vcc, 0, v3
	v_cndmask_b32_e32 v3, 0, v5, vcc
	s_brev_b32 s12, 1
	v_and_or_b32 v10, v1, s12, v3
.LBB143_1583:
	s_mov_b64 s[12:13], 0
.LBB143_1584:
	s_andn2_b64 vcc, exec, s[12:13]
	s_cbranch_vccnz .LBB143_1586
; %bb.1585:
	global_load_ubyte v1, v[8:9], off
	s_movk_i32 s12, 0x7f00
	s_brev_b32 s13, 16
	s_waitcnt vmcnt(0)
	v_lshlrev_b16_e32 v3, 8, v1
	v_lshlrev_b32_e32 v1, 25, v1
	v_lshrrev_b32_e32 v5, 4, v1
	v_and_or_b32 v10, v3, s12, 0.5
	v_or_b32_e32 v5, 0x70000000, v5
	v_add_f32_e32 v10, -0.5, v10
	v_mul_f32_e32 v5, 0x7800000, v5
	v_cmp_gt_u32_e32 vcc, s13, v1
	v_bfe_i32 v3, v3, 0, 16
	v_cndmask_b32_e32 v1, v5, v10, vcc
	s_brev_b32 s12, 1
	v_and_or_b32 v10, v3, s12, v1
.LBB143_1586:
	s_mov_b64 s[12:13], 0
	s_mov_b64 s[18:19], -1
.LBB143_1587:
	s_andn2_b64 vcc, exec, s[12:13]
	s_mov_b64 s[12:13], 0
	s_cbranch_vccnz .LBB143_1598
; %bb.1588:
	s_cmp_gt_i32 s25, 14
	s_cbranch_scc0 .LBB143_1591
; %bb.1589:
	s_cmp_eq_u32 s25, 15
	s_cbranch_scc0 .LBB143_1594
; %bb.1590:
	global_load_ushort v1, v[8:9], off
	s_mov_b64 s[0:1], 0
	s_mov_b64 s[18:19], -1
	s_waitcnt vmcnt(0)
	v_lshlrev_b32_e32 v10, 16, v1
	s_branch .LBB143_1595
.LBB143_1591:
	s_mov_b64 s[20:21], -1
                                        ; implicit-def: $vgpr10
	s_branch .LBB143_1596
.LBB143_1592:
	s_or_saveexec_b64 s[18:19], s[18:19]
	v_mov_b32_e32 v10, 0x7f800001
	s_xor_b64 exec, exec, s[18:19]
	s_cbranch_execz .LBB143_1573
.LBB143_1593:
	v_cmp_ne_u16_e32 vcc, 0, v1
	s_andn2_b64 s[12:13], s[12:13], exec
	s_and_b64 s[20:21], vcc, exec
	v_mov_b32_e32 v10, 0
	s_or_b64 s[12:13], s[12:13], s[20:21]
	s_or_b64 exec, exec, s[18:19]
	s_and_saveexec_b64 s[18:19], s[12:13]
	s_cbranch_execnz .LBB143_1574
	s_branch .LBB143_1575
.LBB143_1594:
	s_mov_b64 s[0:1], -1
                                        ; implicit-def: $vgpr10
.LBB143_1595:
	s_mov_b64 s[20:21], 0
.LBB143_1596:
	s_and_b64 vcc, exec, s[20:21]
	s_cbranch_vccz .LBB143_1598
; %bb.1597:
	s_cmp_lg_u32 s25, 11
	s_mov_b64 s[12:13], -1
	s_cselect_b64 s[0:1], -1, 0
.LBB143_1598:
	v_mov_b32_e32 v11, 0
	s_and_b64 vcc, exec, s[0:1]
	s_cbranch_vccz .LBB143_1461
.LBB143_1599:
	s_trap 2
	s_or_b64 s[2:3], s[2:3], exec
	s_cbranch_execz .LBB143_1462
	s_branch .LBB143_1463
.LBB143_1600:
	s_mov_b64 s[0:1], -1
                                        ; implicit-def: $vgpr10
	s_mov_b64 s[18:19], 0
.LBB143_1601:
	s_and_b64 vcc, exec, s[20:21]
	s_cbranch_vccz .LBB143_1606
; %bb.1602:
	s_cmp_eq_u32 s25, 44
	s_cbranch_scc0 .LBB143_1604
; %bb.1603:
	global_load_ubyte v1, v[7:8], off
	s_movk_i32 s18, 0xff
	s_waitcnt vmcnt(1)
	v_mov_b32_e32 v3, 0x7f800001
	v_mov_b32_e32 v5, 0x400000
	s_mov_b64 s[0:1], 0
	s_waitcnt vmcnt(0)
	v_lshlrev_b32_e32 v9, 23, v1
	v_cmp_ne_u32_e32 vcc, s18, v1
	v_cndmask_b32_e32 v3, v3, v9, vcc
	v_cmp_ne_u32_e32 vcc, 0, v1
	v_cndmask_b32_e32 v9, v5, v3, vcc
	s_mov_b64 s[18:19], -1
	s_branch .LBB143_1605
.LBB143_1604:
	s_mov_b64 s[0:1], -1
                                        ; implicit-def: $vgpr9
.LBB143_1605:
	s_waitcnt vmcnt(0)
	v_mov_b32_e32 v10, 0
.LBB143_1606:
	s_mov_b64 s[20:21], 0
.LBB143_1607:
	s_and_b64 vcc, exec, s[20:21]
	s_cbranch_vccz .LBB143_1612
; %bb.1608:
	s_cmp_eq_u32 s25, 29
	s_cbranch_scc0 .LBB143_1610
; %bb.1609:
	global_load_dwordx2 v[9:10], v[7:8], off
	s_mov_b64 s[0:1], 0
	s_mov_b64 s[18:19], -1
	s_waitcnt vmcnt(0)
	v_ffbh_u32_e32 v1, v10
	v_min_u32_e32 v1, 32, v1
	v_lshlrev_b64 v[9:10], v1, v[9:10]
	v_sub_u32_e32 v1, 32, v1
	v_min_u32_e32 v3, 1, v9
	v_or_b32_e32 v3, v10, v3
	v_cvt_f32_u32_e32 v3, v3
	v_ldexp_f32 v9, v3, v1
	s_branch .LBB143_1611
.LBB143_1610:
	s_mov_b64 s[0:1], -1
                                        ; implicit-def: $vgpr9
.LBB143_1611:
	s_waitcnt vmcnt(0)
	v_mov_b32_e32 v10, 0
.LBB143_1612:
	s_mov_b64 s[20:21], 0
.LBB143_1613:
	s_and_b64 vcc, exec, s[20:21]
	s_cbranch_vccz .LBB143_1631
; %bb.1614:
	s_cmp_lt_i32 s25, 27
	s_cbranch_scc1 .LBB143_1617
; %bb.1615:
	s_cmp_gt_i32 s25, 27
	s_cbranch_scc0 .LBB143_1618
; %bb.1616:
	global_load_dword v1, v[7:8], off
	s_mov_b64 s[18:19], 0
	s_waitcnt vmcnt(0)
	v_cvt_f32_u32_e32 v9, v1
	s_branch .LBB143_1619
.LBB143_1617:
	s_mov_b64 s[18:19], -1
                                        ; implicit-def: $vgpr9
	s_branch .LBB143_1622
.LBB143_1618:
	s_mov_b64 s[18:19], -1
                                        ; implicit-def: $vgpr9
.LBB143_1619:
	s_andn2_b64 vcc, exec, s[18:19]
	s_cbranch_vccnz .LBB143_1621
; %bb.1620:
	global_load_ushort v1, v[7:8], off
	s_waitcnt vmcnt(0)
	v_cvt_f32_u32_e32 v9, v1
.LBB143_1621:
	s_mov_b64 s[18:19], 0
.LBB143_1622:
	s_andn2_b64 vcc, exec, s[18:19]
	s_cbranch_vccnz .LBB143_1630
; %bb.1623:
	global_load_ubyte v1, v[7:8], off
	s_movk_i32 s18, 0x7f
	s_waitcnt vmcnt(0)
	v_cmp_lt_i16_e32 vcc, s18, v1
	s_mov_b64 s[18:19], 0
	s_and_saveexec_b64 s[20:21], vcc
	s_xor_b64 s[20:21], exec, s[20:21]
	s_cbranch_execz .LBB143_1656
; %bb.1624:
	s_movk_i32 s18, 0x80
	v_cmp_eq_u16_e32 vcc, s18, v1
	s_mov_b64 s[18:19], -1
	s_and_saveexec_b64 s[22:23], vcc
; %bb.1625:
	s_xor_b64 s[18:19], exec, -1
; %bb.1626:
	s_or_b64 exec, exec, s[22:23]
	s_and_b64 s[18:19], s[18:19], exec
	s_or_saveexec_b64 s[20:21], s[20:21]
	v_mov_b32_e32 v9, 0x7f800001
	s_xor_b64 exec, exec, s[20:21]
	s_cbranch_execnz .LBB143_1657
.LBB143_1627:
	s_or_b64 exec, exec, s[20:21]
	s_and_saveexec_b64 s[20:21], s[18:19]
	s_cbranch_execz .LBB143_1629
.LBB143_1628:
	v_lshlrev_b32_e32 v3, 24, v1
	v_and_b32_e32 v1, 0xffff, v1
	v_and_b32_e32 v5, 7, v1
	v_ffbh_u32_e32 v10, v5
	v_min_u32_e32 v10, 32, v10
	v_subrev_u32_e32 v11, 28, v10
	v_bfe_u32 v9, v1, 3, 4
	v_lshlrev_b32_e32 v1, v11, v1
	v_sub_u32_e32 v10, 29, v10
	v_and_b32_e32 v1, 7, v1
	v_cmp_eq_u32_e32 vcc, 0, v9
	v_cndmask_b32_e32 v9, v9, v10, vcc
	v_cndmask_b32_e32 v1, v5, v1, vcc
	v_mov_b32_e32 v5, 0x3b800000
	v_lshlrev_b32_e32 v1, 20, v1
	v_and_b32_e32 v3, 0x80000000, v3
	v_lshl_add_u32 v5, v9, 23, v5
	v_or3_b32 v9, v3, v5, v1
.LBB143_1629:
	s_or_b64 exec, exec, s[20:21]
.LBB143_1630:
	s_mov_b64 s[18:19], -1
	s_waitcnt vmcnt(0)
	v_mov_b32_e32 v10, 0
.LBB143_1631:
	s_mov_b64 s[20:21], 0
.LBB143_1632:
	s_and_b64 vcc, exec, s[20:21]
	s_cbranch_vccz .LBB143_1643
; %bb.1633:
	s_cmp_gt_i32 s25, 22
	s_cbranch_scc0 .LBB143_1654
; %bb.1634:
	s_cmp_lt_i32 s25, 24
	s_cbranch_scc1 .LBB143_1658
; %bb.1635:
	s_cmp_gt_i32 s25, 24
	s_cbranch_scc0 .LBB143_1660
; %bb.1636:
	global_load_ubyte v1, v[7:8], off
	s_movk_i32 s10, 0x7f
	s_waitcnt vmcnt(0)
	v_cmp_lt_i16_e32 vcc, s10, v1
	s_mov_b64 s[10:11], 0
	s_and_saveexec_b64 s[18:19], vcc
	s_xor_b64 s[18:19], exec, s[18:19]
	s_cbranch_execz .LBB143_1672
; %bb.1637:
	s_movk_i32 s10, 0x80
	v_cmp_eq_u16_e32 vcc, s10, v1
	s_mov_b64 s[10:11], -1
	s_and_saveexec_b64 s[20:21], vcc
; %bb.1638:
	s_xor_b64 s[10:11], exec, -1
; %bb.1639:
	s_or_b64 exec, exec, s[20:21]
	s_and_b64 s[10:11], s[10:11], exec
	s_or_saveexec_b64 s[18:19], s[18:19]
	v_mov_b32_e32 v9, 0x7f800001
	s_xor_b64 exec, exec, s[18:19]
	s_cbranch_execnz .LBB143_1673
.LBB143_1640:
	s_or_b64 exec, exec, s[18:19]
	s_and_saveexec_b64 s[18:19], s[10:11]
	s_cbranch_execz .LBB143_1642
.LBB143_1641:
	v_lshlrev_b32_e32 v3, 24, v1
	v_and_b32_e32 v1, 0xffff, v1
	v_and_b32_e32 v5, 3, v1
	v_ffbh_u32_e32 v10, v5
	v_min_u32_e32 v10, 32, v10
	v_subrev_u32_e32 v11, 29, v10
	v_bfe_u32 v9, v1, 2, 5
	v_lshlrev_b32_e32 v1, v11, v1
	v_sub_u32_e32 v10, 30, v10
	v_and_b32_e32 v1, 3, v1
	v_cmp_eq_u32_e32 vcc, 0, v9
	v_cndmask_b32_e32 v9, v9, v10, vcc
	v_cndmask_b32_e32 v1, v5, v1, vcc
	v_mov_b32_e32 v5, 0x37800000
	v_lshlrev_b32_e32 v1, 21, v1
	v_and_b32_e32 v3, 0x80000000, v3
	v_lshl_add_u32 v5, v9, 23, v5
	v_or3_b32 v9, v3, v5, v1
.LBB143_1642:
	s_or_b64 exec, exec, s[18:19]
	s_mov_b64 s[10:11], 0
	s_branch .LBB143_1661
.LBB143_1643:
	s_and_b64 vcc, exec, s[0:1]
	s_cbranch_vccnz .LBB143_1691
.LBB143_1644:
	s_andn2_b64 vcc, exec, s[10:11]
	s_cbranch_vccnz .LBB143_1646
.LBB143_1645:
	global_load_ubyte v1, v[7:8], off
	s_waitcnt vmcnt(1)
	v_mov_b32_e32 v10, 0
	s_mov_b64 s[18:19], -1
	s_waitcnt vmcnt(0)
	v_cmp_ne_u16_e32 vcc, 0, v1
	v_cndmask_b32_e64 v9, 0, 1.0, vcc
.LBB143_1646:
	s_mov_b64 s[0:1], 0
.LBB143_1647:
	s_and_b64 vcc, exec, s[0:1]
	s_cbranch_vccz .LBB143_1722
; %bb.1648:
	s_and_b32 s10, 0xffff, s24
	s_cmp_lt_i32 s10, 5
	s_cbranch_scc1 .LBB143_1653
; %bb.1649:
	s_cmp_lt_i32 s10, 8
	s_cbranch_scc1 .LBB143_1655
; %bb.1650:
	;; [unrolled: 3-line block ×3, first 2 shown]
	s_cmp_gt_i32 s10, 9
	s_cbranch_scc0 .LBB143_1674
; %bb.1652:
	global_load_dwordx4 v[9:12], v[7:8], off
	s_mov_b64 s[0:1], 0
	s_waitcnt vmcnt(0)
	v_cvt_f32_f64_e32 v9, v[9:10]
	v_cvt_f32_f64_e32 v10, v[11:12]
	s_branch .LBB143_1675
.LBB143_1653:
	s_mov_b64 s[0:1], -1
                                        ; implicit-def: $vgpr10
	s_branch .LBB143_1700
.LBB143_1654:
	s_mov_b64 s[10:11], -1
                                        ; implicit-def: $vgpr9
	s_branch .LBB143_1667
.LBB143_1655:
	s_mov_b64 s[0:1], -1
                                        ; implicit-def: $vgpr10
	s_branch .LBB143_1681
.LBB143_1656:
	s_or_saveexec_b64 s[20:21], s[20:21]
	v_mov_b32_e32 v9, 0x7f800001
	s_xor_b64 exec, exec, s[20:21]
	s_cbranch_execz .LBB143_1627
.LBB143_1657:
	v_cmp_ne_u16_e32 vcc, 0, v1
	s_andn2_b64 s[18:19], s[18:19], exec
	s_and_b64 s[22:23], vcc, exec
	v_mov_b32_e32 v9, 0
	s_or_b64 s[18:19], s[18:19], s[22:23]
	s_or_b64 exec, exec, s[20:21]
	s_and_saveexec_b64 s[20:21], s[18:19]
	s_cbranch_execnz .LBB143_1628
	s_branch .LBB143_1629
.LBB143_1658:
	s_mov_b64 s[10:11], -1
                                        ; implicit-def: $vgpr9
	s_branch .LBB143_1664
.LBB143_1659:
	s_mov_b64 s[0:1], -1
                                        ; implicit-def: $vgpr10
	s_branch .LBB143_1678
.LBB143_1660:
	s_mov_b64 s[10:11], -1
                                        ; implicit-def: $vgpr9
.LBB143_1661:
	s_and_b64 vcc, exec, s[10:11]
	s_cbranch_vccz .LBB143_1663
; %bb.1662:
	global_load_ubyte v1, v[7:8], off
	s_mov_b32 s10, 0x7f800000
	s_waitcnt vmcnt(0)
	v_lshlrev_b32_e32 v1, 24, v1
	v_and_b32_e32 v3, 0x7f000000, v1
	v_ffbh_u32_e32 v5, v3
	v_min_u32_e32 v5, 32, v5
	v_sub_u32_e64 v5, v5, 4 clamp
	v_lshlrev_b32_e32 v10, v5, v3
	v_lshlrev_b32_e32 v5, 23, v5
	v_lshrrev_b32_e32 v10, 4, v10
	v_add_u32_e32 v9, 0x1000000, v3
	v_sub_u32_e32 v5, v10, v5
	v_ashrrev_i32_e32 v9, 8, v9
	v_add_u32_e32 v5, 0x3c000000, v5
	v_and_or_b32 v5, v9, s10, v5
	v_cmp_ne_u32_e32 vcc, 0, v3
	v_cndmask_b32_e32 v3, 0, v5, vcc
	s_brev_b32 s10, 1
	v_and_or_b32 v9, v1, s10, v3
.LBB143_1663:
	s_mov_b64 s[10:11], 0
.LBB143_1664:
	s_andn2_b64 vcc, exec, s[10:11]
	s_cbranch_vccnz .LBB143_1666
; %bb.1665:
	global_load_ubyte v1, v[7:8], off
	s_movk_i32 s10, 0x7f00
	s_brev_b32 s11, 16
	s_waitcnt vmcnt(0)
	v_lshlrev_b16_e32 v3, 8, v1
	v_lshlrev_b32_e32 v1, 25, v1
	v_lshrrev_b32_e32 v5, 4, v1
	v_and_or_b32 v9, v3, s10, 0.5
	v_or_b32_e32 v5, 0x70000000, v5
	v_add_f32_e32 v9, -0.5, v9
	v_mul_f32_e32 v5, 0x7800000, v5
	v_cmp_gt_u32_e32 vcc, s11, v1
	v_bfe_i32 v3, v3, 0, 16
	v_cndmask_b32_e32 v1, v5, v9, vcc
	s_brev_b32 s10, 1
	v_and_or_b32 v9, v3, s10, v1
.LBB143_1666:
	s_mov_b64 s[10:11], 0
	s_mov_b64 s[18:19], -1
.LBB143_1667:
	s_andn2_b64 vcc, exec, s[10:11]
	s_mov_b64 s[10:11], 0
	s_cbranch_vccnz .LBB143_1690
; %bb.1668:
	s_cmp_gt_i32 s25, 14
	s_cbranch_scc0 .LBB143_1671
; %bb.1669:
	s_cmp_eq_u32 s25, 15
	s_cbranch_scc0 .LBB143_1686
; %bb.1670:
	global_load_ushort v1, v[7:8], off
	s_mov_b64 s[0:1], 0
	s_mov_b64 s[18:19], -1
	s_waitcnt vmcnt(0)
	v_lshlrev_b32_e32 v9, 16, v1
	s_branch .LBB143_1687
.LBB143_1671:
	s_mov_b64 s[20:21], -1
                                        ; implicit-def: $vgpr9
	s_branch .LBB143_1688
.LBB143_1672:
	s_or_saveexec_b64 s[18:19], s[18:19]
	v_mov_b32_e32 v9, 0x7f800001
	s_xor_b64 exec, exec, s[18:19]
	s_cbranch_execz .LBB143_1640
.LBB143_1673:
	v_cmp_ne_u16_e32 vcc, 0, v1
	s_andn2_b64 s[10:11], s[10:11], exec
	s_and_b64 s[20:21], vcc, exec
	v_mov_b32_e32 v9, 0
	s_or_b64 s[10:11], s[10:11], s[20:21]
	s_or_b64 exec, exec, s[18:19]
	s_and_saveexec_b64 s[18:19], s[10:11]
	s_cbranch_execnz .LBB143_1641
	s_branch .LBB143_1642
.LBB143_1674:
	s_mov_b64 s[0:1], -1
                                        ; implicit-def: $vgpr10
.LBB143_1675:
	s_andn2_b64 vcc, exec, s[0:1]
	s_cbranch_vccnz .LBB143_1677
; %bb.1676:
	global_load_dwordx2 v[9:10], v[7:8], off
.LBB143_1677:
	s_mov_b64 s[0:1], 0
.LBB143_1678:
	s_andn2_b64 vcc, exec, s[0:1]
	s_cbranch_vccnz .LBB143_1680
; %bb.1679:
	global_load_dword v1, v[7:8], off
	s_waitcnt vmcnt(0)
	v_cvt_f32_f16_e32 v9, v1
	v_cvt_f32_f16_sdwa v10, v1 dst_sel:DWORD dst_unused:UNUSED_PAD src0_sel:WORD_1
.LBB143_1680:
	s_mov_b64 s[0:1], 0
.LBB143_1681:
	s_andn2_b64 vcc, exec, s[0:1]
	s_cbranch_vccnz .LBB143_1699
; %bb.1682:
	s_cmp_lt_i32 s10, 6
	s_cbranch_scc1 .LBB143_1685
; %bb.1683:
	s_cmp_gt_i32 s10, 6
	s_cbranch_scc0 .LBB143_1692
; %bb.1684:
	global_load_dwordx2 v[9:10], v[7:8], off
	s_mov_b64 s[0:1], 0
	s_waitcnt vmcnt(0)
	v_cvt_f32_f64_e32 v9, v[9:10]
	s_branch .LBB143_1693
.LBB143_1685:
	s_mov_b64 s[0:1], -1
                                        ; implicit-def: $vgpr9
	s_branch .LBB143_1696
.LBB143_1686:
	s_mov_b64 s[0:1], -1
                                        ; implicit-def: $vgpr9
.LBB143_1687:
	s_mov_b64 s[20:21], 0
.LBB143_1688:
	s_and_b64 vcc, exec, s[20:21]
	s_cbranch_vccz .LBB143_1690
; %bb.1689:
	s_cmp_lg_u32 s25, 11
	s_mov_b64 s[10:11], -1
	s_cselect_b64 s[0:1], -1, 0
.LBB143_1690:
	s_waitcnt vmcnt(0)
	v_mov_b32_e32 v10, 0
	s_and_b64 vcc, exec, s[0:1]
	s_cbranch_vccz .LBB143_1644
.LBB143_1691:
	s_trap 2
	s_or_b64 s[2:3], s[2:3], exec
	s_cbranch_execz .LBB143_1645
	s_branch .LBB143_1646
.LBB143_1692:
	s_mov_b64 s[0:1], -1
                                        ; implicit-def: $vgpr9
.LBB143_1693:
	s_andn2_b64 vcc, exec, s[0:1]
	s_cbranch_vccnz .LBB143_1695
; %bb.1694:
	global_load_dword v9, v[7:8], off
.LBB143_1695:
	s_mov_b64 s[0:1], 0
.LBB143_1696:
	s_andn2_b64 vcc, exec, s[0:1]
	s_cbranch_vccnz .LBB143_1698
; %bb.1697:
	global_load_ushort v1, v[7:8], off
	s_waitcnt vmcnt(0)
	v_cvt_f32_f16_e32 v9, v1
.LBB143_1698:
	s_waitcnt vmcnt(0)
	v_mov_b32_e32 v10, 0
.LBB143_1699:
	s_mov_b64 s[0:1], 0
.LBB143_1700:
	s_andn2_b64 vcc, exec, s[0:1]
	s_cbranch_vccnz .LBB143_1721
; %bb.1701:
	s_cmp_lt_i32 s10, 2
	s_cbranch_scc1 .LBB143_1705
; %bb.1702:
	s_cmp_lt_i32 s10, 3
	s_cbranch_scc1 .LBB143_1706
; %bb.1703:
	s_cmp_gt_i32 s10, 3
	s_cbranch_scc0 .LBB143_1707
; %bb.1704:
	global_load_dwordx2 v[9:10], v[7:8], off
	s_mov_b64 s[0:1], 0
	s_waitcnt vmcnt(0)
	v_xor_b32_e32 v3, v9, v10
	v_ffbh_i32_e32 v1, v10
	v_ashrrev_i32_e32 v3, 31, v3
	v_add_u32_e32 v1, -1, v1
	v_add_u32_e32 v3, 32, v3
	v_min_u32_e32 v1, v1, v3
	v_lshlrev_b64 v[9:10], v1, v[9:10]
	v_sub_u32_e32 v1, 32, v1
	v_min_u32_e32 v3, 1, v9
	v_or_b32_e32 v3, v10, v3
	v_cvt_f32_i32_e32 v3, v3
	v_ldexp_f32 v9, v3, v1
	s_branch .LBB143_1708
.LBB143_1705:
	s_mov_b64 s[0:1], -1
                                        ; implicit-def: $vgpr9
	s_branch .LBB143_1714
.LBB143_1706:
	s_mov_b64 s[0:1], -1
                                        ; implicit-def: $vgpr9
	s_branch .LBB143_1711
.LBB143_1707:
	s_mov_b64 s[0:1], -1
                                        ; implicit-def: $vgpr9
.LBB143_1708:
	s_andn2_b64 vcc, exec, s[0:1]
	s_cbranch_vccnz .LBB143_1710
; %bb.1709:
	global_load_dword v1, v[7:8], off
	s_waitcnt vmcnt(0)
	v_cvt_f32_i32_e32 v9, v1
.LBB143_1710:
	s_mov_b64 s[0:1], 0
.LBB143_1711:
	s_andn2_b64 vcc, exec, s[0:1]
	s_cbranch_vccnz .LBB143_1713
; %bb.1712:
	global_load_sshort v1, v[7:8], off
	s_waitcnt vmcnt(0)
	v_cvt_f32_i32_e32 v9, v1
.LBB143_1713:
	s_mov_b64 s[0:1], 0
.LBB143_1714:
	s_andn2_b64 vcc, exec, s[0:1]
	s_cbranch_vccnz .LBB143_1720
; %bb.1715:
	s_cmp_gt_i32 s10, 0
	s_cbranch_scc0 .LBB143_1717
; %bb.1716:
	global_load_sbyte v1, v[7:8], off
	s_mov_b64 s[0:1], 0
	s_waitcnt vmcnt(0)
	v_cvt_f32_i32_e32 v9, v1
	s_branch .LBB143_1718
.LBB143_1717:
	s_mov_b64 s[0:1], -1
                                        ; implicit-def: $vgpr9
.LBB143_1718:
	s_andn2_b64 vcc, exec, s[0:1]
	s_cbranch_vccnz .LBB143_1720
; %bb.1719:
	global_load_ubyte v1, v[7:8], off
	s_waitcnt vmcnt(0)
	v_cvt_f32_ubyte0_e32 v9, v1
.LBB143_1720:
	s_waitcnt vmcnt(0)
	v_mov_b32_e32 v10, 0
.LBB143_1721:
	s_mov_b64 s[18:19], -1
.LBB143_1722:
	s_andn2_b64 vcc, exec, s[18:19]
	s_cbranch_vccnz .LBB143_1725
; %bb.1723:
	s_and_b64 vcc, exec, s[16:17]
	s_cbranch_vccz .LBB143_1771
; %bb.1724:
	s_waitcnt vmcnt(0)
	v_cmp_neq_f32_e32 vcc, s14, v9
	v_cmp_neq_f32_e64 s[0:1], s15, v10
	s_or_b64 s[10:11], vcc, s[0:1]
	s_mov_b64 s[0:1], 0
	s_branch .LBB143_1772
.LBB143_1725:
	s_mov_b64 s[0:1], 0
                                        ; implicit-def: $sgpr10_sgpr11
.LBB143_1726:
                                        ; implicit-def: $vgpr0_vgpr1
                                        ; implicit-def: $sgpr22
	s_mov_b64 s[4:5], 0
.LBB143_1727:
	s_and_b64 s[6:7], s[4:5], exec
	s_andn2_b64 s[4:5], s[28:29], exec
	s_and_b64 s[2:3], s[2:3], exec
	s_and_b64 s[0:1], s[0:1], exec
	s_or_b64 s[28:29], s[4:5], s[2:3]
.LBB143_1728:
	s_or_b64 exec, exec, s[30:31]
	s_and_saveexec_b64 s[2:3], s[28:29]
	s_cbranch_execz .LBB143_1731
; %bb.1729:
	; divergent unreachable
	s_or_b64 exec, exec, s[2:3]
	s_and_saveexec_b64 s[2:3], s[6:7]
	s_xor_b64 s[2:3], exec, s[2:3]
	s_cbranch_execnz .LBB143_1732
.LBB143_1730:
	s_or_b64 exec, exec, s[2:3]
	s_and_saveexec_b64 s[2:3], s[0:1]
	s_cbranch_execnz .LBB143_1733
	s_branch .LBB143_1770
.LBB143_1731:
	s_or_b64 exec, exec, s[2:3]
	s_and_saveexec_b64 s[2:3], s[6:7]
	s_xor_b64 s[2:3], exec, s[2:3]
	s_cbranch_execz .LBB143_1730
.LBB143_1732:
	v_cndmask_b32_e64 v2, 0, 1, s[10:11]
	global_store_byte v[0:1], v2, off
	s_or_b64 exec, exec, s[2:3]
	s_and_saveexec_b64 s[2:3], s[0:1]
	s_cbranch_execz .LBB143_1770
.LBB143_1733:
	s_sext_i32_i16 s2, s22
	s_cmp_lt_i32 s2, 5
	s_mov_b64 s[0:1], -1
	s_cbranch_scc1 .LBB143_1754
; %bb.1734:
	s_cmp_lt_i32 s2, 8
	s_cbranch_scc1 .LBB143_1744
; %bb.1735:
	s_cmp_lt_i32 s2, 9
	s_cbranch_scc1 .LBB143_1741
; %bb.1736:
	s_cmp_gt_i32 s2, 9
	s_cbranch_scc0 .LBB143_1738
; %bb.1737:
	v_cndmask_b32_e64 v2, 0, 1, s[10:11]
	s_waitcnt vmcnt(0)
	v_cvt_f64_u32_e32 v[2:3], v2
	v_mov_b32_e32 v4, 0
	v_mov_b32_e32 v5, v4
	s_mov_b64 s[0:1], 0
	global_store_dwordx4 v[0:1], v[2:5], off
.LBB143_1738:
	s_andn2_b64 vcc, exec, s[0:1]
	s_cbranch_vccnz .LBB143_1740
; %bb.1739:
	v_cndmask_b32_e64 v2, 0, 1.0, s[10:11]
	s_waitcnt vmcnt(0)
	v_mov_b32_e32 v3, 0
	global_store_dwordx2 v[0:1], v[2:3], off
.LBB143_1740:
	s_mov_b64 s[0:1], 0
.LBB143_1741:
	s_andn2_b64 vcc, exec, s[0:1]
	s_cbranch_vccnz .LBB143_1743
; %bb.1742:
	v_cndmask_b32_e64 v2, 0, 1.0, s[10:11]
	v_cvt_f16_f32_e32 v2, v2
	global_store_dword v[0:1], v2, off
.LBB143_1743:
	s_mov_b64 s[0:1], 0
.LBB143_1744:
	s_andn2_b64 vcc, exec, s[0:1]
	s_cbranch_vccnz .LBB143_1753
; %bb.1745:
	s_sext_i32_i16 s2, s22
	s_cmp_lt_i32 s2, 6
	s_mov_b64 s[0:1], -1
	s_cbranch_scc1 .LBB143_1751
; %bb.1746:
	s_cmp_gt_i32 s2, 6
	s_cbranch_scc0 .LBB143_1748
; %bb.1747:
	v_cndmask_b32_e64 v2, 0, 1, s[10:11]
	s_waitcnt vmcnt(0)
	v_cvt_f64_u32_e32 v[2:3], v2
	s_mov_b64 s[0:1], 0
	global_store_dwordx2 v[0:1], v[2:3], off
.LBB143_1748:
	s_andn2_b64 vcc, exec, s[0:1]
	s_cbranch_vccnz .LBB143_1750
; %bb.1749:
	v_cndmask_b32_e64 v2, 0, 1.0, s[10:11]
	global_store_dword v[0:1], v2, off
.LBB143_1750:
	s_mov_b64 s[0:1], 0
.LBB143_1751:
	s_andn2_b64 vcc, exec, s[0:1]
	s_cbranch_vccnz .LBB143_1753
; %bb.1752:
	v_cndmask_b32_e64 v2, 0, 1.0, s[10:11]
	v_cvt_f16_f32_e32 v2, v2
	global_store_short v[0:1], v2, off
.LBB143_1753:
	s_mov_b64 s[0:1], 0
.LBB143_1754:
	s_andn2_b64 vcc, exec, s[0:1]
	s_cbranch_vccnz .LBB143_1770
; %bb.1755:
	s_sext_i32_i16 s2, s22
	s_cmp_lt_i32 s2, 2
	s_mov_b64 s[0:1], -1
	s_cbranch_scc1 .LBB143_1765
; %bb.1756:
	s_cmp_lt_i32 s2, 3
	s_cbranch_scc1 .LBB143_1762
; %bb.1757:
	s_cmp_gt_i32 s2, 3
	s_cbranch_scc0 .LBB143_1759
; %bb.1758:
	s_mov_b32 s0, 0
	v_cndmask_b32_e64 v2, 0, 1, s[10:11]
	s_waitcnt vmcnt(0)
	v_mov_b32_e32 v3, s0
	global_store_dwordx2 v[0:1], v[2:3], off
	s_mov_b64 s[0:1], 0
.LBB143_1759:
	s_andn2_b64 vcc, exec, s[0:1]
	s_cbranch_vccnz .LBB143_1761
; %bb.1760:
	v_cndmask_b32_e64 v2, 0, 1, s[10:11]
	global_store_dword v[0:1], v2, off
.LBB143_1761:
	s_mov_b64 s[0:1], 0
.LBB143_1762:
	s_andn2_b64 vcc, exec, s[0:1]
	s_cbranch_vccnz .LBB143_1764
; %bb.1763:
	v_cndmask_b32_e64 v2, 0, 1, s[10:11]
	global_store_short v[0:1], v2, off
.LBB143_1764:
	s_mov_b64 s[0:1], 0
.LBB143_1765:
	s_andn2_b64 vcc, exec, s[0:1]
	s_cbranch_vccnz .LBB143_1770
; %bb.1766:
	s_sext_i32_i16 s0, s22
	s_cmp_gt_i32 s0, 0
	s_mov_b64 s[0:1], -1
	s_cbranch_scc0 .LBB143_1768
; %bb.1767:
	v_cndmask_b32_e64 v2, 0, 1, s[10:11]
	global_store_byte v[0:1], v2, off
	s_mov_b64 s[0:1], 0
.LBB143_1768:
	s_andn2_b64 vcc, exec, s[0:1]
	s_cbranch_vccnz .LBB143_1770
; %bb.1769:
	v_cndmask_b32_e64 v2, 0, 1, s[10:11]
	global_store_byte v[0:1], v2, off
	s_endpgm
.LBB143_1770:
	s_endpgm
.LBB143_1771:
	s_mov_b64 s[0:1], -1
                                        ; implicit-def: $sgpr10_sgpr11
.LBB143_1772:
	s_andn2_b64 vcc, exec, s[0:1]
	s_cbranch_vccnz .LBB143_1774
; %bb.1773:
	s_waitcnt vmcnt(0)
	v_cmp_eq_f32_e32 vcc, s14, v9
	v_cmp_eq_f32_e64 s[0:1], s15, v10
	s_and_b64 s[0:1], vcc, s[0:1]
	s_andn2_b64 s[10:11], s[10:11], exec
	s_and_b64 s[0:1], s[0:1], exec
	s_or_b64 s[10:11], s[10:11], s[0:1]
.LBB143_1774:
	s_load_dword s0, s[34:35], 0x168
	v_mov_b32_e32 v1, s9
	v_add_co_u32_e32 v5, vcc, s8, v6
	v_addc_co_u32_e32 v6, vcc, 0, v1, vcc
	s_waitcnt lgkmcnt(0)
	s_and_b32 s22, s0, 0xff
	s_cmp_lt_i32 s22, 11
	s_cbranch_scc1 .LBB143_1852
; %bb.1775:
	s_and_b32 s23, 0xffff, s22
	s_mov_b64 s[18:19], -1
	s_mov_b64 s[14:15], 0
	s_cmp_gt_i32 s23, 25
	s_mov_b64 s[16:17], 0
	s_mov_b64 s[0:1], 0
	s_cbranch_scc0 .LBB143_1808
; %bb.1776:
	s_cmp_gt_i32 s23, 28
	s_cbranch_scc0 .LBB143_1791
; %bb.1777:
	s_cmp_gt_i32 s23, 43
	;; [unrolled: 3-line block ×3, first 2 shown]
	s_cbranch_scc0 .LBB143_1781
; %bb.1779:
	s_mov_b64 s[0:1], -1
	s_mov_b64 s[18:19], 0
	s_cmp_eq_u32 s23, 46
	s_cbranch_scc0 .LBB143_1781
; %bb.1780:
	v_cndmask_b32_e64 v1, 0, 1.0, s[4:5]
	s_waitcnt vmcnt(0)
	v_bfe_u32 v3, v1, 16, 1
	s_movk_i32 s0, 0x7fff
	v_add3_u32 v1, v1, v3, s0
	v_lshrrev_b32_e32 v1, 16, v1
	global_store_dword v[5:6], v1, off
	s_mov_b64 s[0:1], 0
	s_mov_b64 s[16:17], -1
.LBB143_1781:
	s_and_b64 vcc, exec, s[18:19]
	s_cbranch_vccz .LBB143_1786
; %bb.1782:
	s_cmp_eq_u32 s23, 44
	s_mov_b64 s[0:1], -1
	s_cbranch_scc0 .LBB143_1786
; %bb.1783:
	s_waitcnt vmcnt(0)
	v_cndmask_b32_e64 v3, 0, 1.0, s[4:5]
	v_lshrrev_b32_e32 v1, 23, v3
	s_movk_i32 s0, 0xff
	v_cmp_ne_u32_e32 vcc, s0, v1
	v_mov_b32_e32 v7, 0xff
	s_and_saveexec_b64 s[16:17], vcc
; %bb.1784:
	s_mov_b32 s0, 0x3fffff
	v_and_b32_e32 v7, 0x400000, v3
	v_and_or_b32 v3, v3, s0, v1
	v_cmp_ne_u32_e32 vcc, 0, v7
	v_cmp_ne_u32_e64 s[0:1], 0, v3
	s_and_b64 s[0:1], vcc, s[0:1]
	v_cndmask_b32_e64 v3, 0, 1, s[0:1]
	v_add_u32_e32 v7, v1, v3
; %bb.1785:
	s_or_b64 exec, exec, s[16:17]
	s_mov_b64 s[0:1], 0
	s_mov_b64 s[16:17], -1
	global_store_byte v[5:6], v7, off
.LBB143_1786:
	s_mov_b64 s[18:19], 0
.LBB143_1787:
	s_and_b64 vcc, exec, s[18:19]
	s_cbranch_vccz .LBB143_1790
; %bb.1788:
	s_cmp_eq_u32 s23, 29
	s_mov_b64 s[0:1], -1
	s_cbranch_scc0 .LBB143_1790
; %bb.1789:
	s_mov_b32 s0, 0
	v_cndmask_b32_e64 v7, 0, 1, s[4:5]
	v_mov_b32_e32 v8, s0
	global_store_dwordx2 v[5:6], v[7:8], off
	s_mov_b64 s[0:1], 0
	s_mov_b64 s[16:17], -1
.LBB143_1790:
	s_mov_b64 s[18:19], 0
.LBB143_1791:
	s_and_b64 vcc, exec, s[18:19]
	s_cbranch_vccz .LBB143_1807
; %bb.1792:
	s_cmp_lt_i32 s23, 27
	s_mov_b64 s[16:17], -1
	s_cbranch_scc1 .LBB143_1798
; %bb.1793:
	s_cmp_gt_i32 s23, 27
	s_cbranch_scc0 .LBB143_1795
; %bb.1794:
	v_cndmask_b32_e64 v1, 0, 1, s[4:5]
	s_mov_b64 s[16:17], 0
	global_store_dword v[5:6], v1, off
.LBB143_1795:
	s_andn2_b64 vcc, exec, s[16:17]
	s_cbranch_vccnz .LBB143_1797
; %bb.1796:
	v_cndmask_b32_e64 v1, 0, 1, s[4:5]
	global_store_short v[5:6], v1, off
.LBB143_1797:
	s_mov_b64 s[16:17], 0
.LBB143_1798:
	s_andn2_b64 vcc, exec, s[16:17]
	s_cbranch_vccnz .LBB143_1806
; %bb.1799:
	s_waitcnt vmcnt(0)
	v_cndmask_b32_e64 v3, 0, 1.0, s[4:5]
	s_mov_b32 s16, 0x43800000
	v_cmp_gt_u32_e32 vcc, s16, v3
	v_mov_b32_e32 v7, 0x80
	s_and_saveexec_b64 s[16:17], vcc
	s_cbranch_execz .LBB143_1805
; %bb.1800:
	s_mov_b32 s18, 0x3bffffff
	v_cmp_lt_u32_e32 vcc, s18, v3
	s_mov_b64 s[18:19], 0
                                        ; implicit-def: $vgpr1
	s_and_saveexec_b64 s[20:21], vcc
	s_xor_b64 s[20:21], exec, s[20:21]
	s_cbranch_execz .LBB143_2209
; %bb.1801:
	v_bfe_u32 v1, v3, 20, 1
	s_mov_b32 s24, 0x487ffff
	v_add3_u32 v1, v3, v1, s24
	s_mov_b64 s[18:19], exec
	v_lshrrev_b32_e32 v1, 20, v1
                                        ; implicit-def: $vgpr3
	s_andn2_saveexec_b64 s[20:21], s[20:21]
	s_cbranch_execnz .LBB143_2210
.LBB143_1802:
	s_or_b64 exec, exec, s[20:21]
	v_mov_b32_e32 v7, 0
	s_and_saveexec_b64 s[20:21], s[18:19]
.LBB143_1803:
	v_mov_b32_e32 v7, v1
.LBB143_1804:
	s_or_b64 exec, exec, s[20:21]
.LBB143_1805:
	s_or_b64 exec, exec, s[16:17]
	global_store_byte v[5:6], v7, off
.LBB143_1806:
	s_mov_b64 s[16:17], -1
.LBB143_1807:
	s_mov_b64 s[18:19], 0
.LBB143_1808:
	s_and_b64 vcc, exec, s[18:19]
	s_cbranch_vccz .LBB143_1848
; %bb.1809:
	s_cmp_gt_i32 s23, 22
	s_mov_b64 s[14:15], -1
	s_cbranch_scc0 .LBB143_1841
; %bb.1810:
	s_cmp_lt_i32 s23, 24
	s_cbranch_scc1 .LBB143_1830
; %bb.1811:
	s_cmp_gt_i32 s23, 24
	s_cbranch_scc0 .LBB143_1819
; %bb.1812:
	s_waitcnt vmcnt(0)
	v_cndmask_b32_e64 v3, 0, 1.0, s[4:5]
	s_mov_b32 s14, 0x47800000
	v_cmp_gt_u32_e32 vcc, s14, v3
	v_mov_b32_e32 v7, 0x80
	s_and_saveexec_b64 s[14:15], vcc
	s_cbranch_execz .LBB143_1818
; %bb.1813:
	s_mov_b32 s16, 0x37ffffff
	v_cmp_lt_u32_e32 vcc, s16, v3
	s_mov_b64 s[16:17], 0
                                        ; implicit-def: $vgpr1
	s_and_saveexec_b64 s[18:19], vcc
	s_xor_b64 s[18:19], exec, s[18:19]
	s_cbranch_execz .LBB143_2212
; %bb.1814:
	v_bfe_u32 v1, v3, 21, 1
	s_mov_b32 s20, 0x88fffff
	v_add3_u32 v1, v3, v1, s20
	s_mov_b64 s[16:17], exec
	v_lshrrev_b32_e32 v1, 21, v1
                                        ; implicit-def: $vgpr3
	s_andn2_saveexec_b64 s[18:19], s[18:19]
	s_cbranch_execnz .LBB143_2213
.LBB143_1815:
	s_or_b64 exec, exec, s[18:19]
	v_mov_b32_e32 v7, 0
	s_and_saveexec_b64 s[18:19], s[16:17]
.LBB143_1816:
	v_mov_b32_e32 v7, v1
.LBB143_1817:
	s_or_b64 exec, exec, s[18:19]
.LBB143_1818:
	s_or_b64 exec, exec, s[14:15]
	s_mov_b64 s[14:15], 0
	global_store_byte v[5:6], v7, off
.LBB143_1819:
	s_and_b64 vcc, exec, s[14:15]
	s_cbranch_vccz .LBB143_1829
; %bb.1820:
	v_cndmask_b32_e64 v1, 0, 1.0, s[4:5]
	s_mov_b32 s14, 0x43f00000
	v_cmp_gt_u32_e32 vcc, s14, v1
                                        ; implicit-def: $vgpr3
	s_and_saveexec_b64 s[14:15], vcc
	s_xor_b64 s[14:15], exec, s[14:15]
	s_cbranch_execz .LBB143_1826
; %bb.1821:
	s_mov_b32 s16, 0x3c7fffff
	v_cmp_lt_u32_e32 vcc, s16, v1
                                        ; implicit-def: $vgpr3
	s_and_saveexec_b64 s[16:17], vcc
	s_xor_b64 s[16:17], exec, s[16:17]
	s_cbranch_execz .LBB143_1823
; %bb.1822:
	s_waitcnt vmcnt(0)
	v_bfe_u32 v3, v1, 20, 1
	s_mov_b32 s18, 0x407ffff
	v_add3_u32 v1, v1, v3, s18
	v_lshrrev_b32_e32 v3, 20, v1
	v_and_b32_e32 v1, 0xff00000, v1
	s_mov_b32 s18, 0x7f00000
	v_mov_b32_e32 v7, 0x7e
	v_cmp_ne_u32_e32 vcc, s18, v1
	v_cndmask_b32_e32 v3, v7, v3, vcc
                                        ; implicit-def: $vgpr1
.LBB143_1823:
	s_andn2_saveexec_b64 s[16:17], s[16:17]
	s_cbranch_execz .LBB143_1825
; %bb.1824:
	s_waitcnt vmcnt(0)
	v_add_f32_e32 v3, 0x46800000, v1
.LBB143_1825:
	s_or_b64 exec, exec, s[16:17]
                                        ; implicit-def: $vgpr1
.LBB143_1826:
	s_andn2_saveexec_b64 s[14:15], s[14:15]
	s_cbranch_execz .LBB143_1828
; %bb.1827:
	s_mov_b32 s16, 0x7f800000
	s_waitcnt vmcnt(0)
	v_mov_b32_e32 v3, 0x7e
	v_mov_b32_e32 v7, 0x7f
	v_cmp_lt_u32_e32 vcc, s16, v1
	v_cndmask_b32_e32 v3, v3, v7, vcc
.LBB143_1828:
	s_or_b64 exec, exec, s[14:15]
	s_waitcnt vmcnt(0)
	global_store_byte v[5:6], v3, off
.LBB143_1829:
	s_mov_b64 s[14:15], 0
.LBB143_1830:
	s_andn2_b64 vcc, exec, s[14:15]
	s_cbranch_vccnz .LBB143_1840
; %bb.1831:
	v_cndmask_b32_e64 v1, 0, 1.0, s[4:5]
	s_mov_b32 s14, 0x47800000
	v_cmp_gt_u32_e32 vcc, s14, v1
                                        ; implicit-def: $vgpr3
	s_and_saveexec_b64 s[14:15], vcc
	s_xor_b64 s[14:15], exec, s[14:15]
	s_cbranch_execz .LBB143_1837
; %bb.1832:
	s_mov_b32 s16, 0x387fffff
	v_cmp_lt_u32_e32 vcc, s16, v1
                                        ; implicit-def: $vgpr3
	s_and_saveexec_b64 s[16:17], vcc
	s_xor_b64 s[16:17], exec, s[16:17]
	s_cbranch_execz .LBB143_1834
; %bb.1833:
	s_waitcnt vmcnt(0)
	v_bfe_u32 v3, v1, 21, 1
	s_mov_b32 s18, 0x80fffff
	v_add3_u32 v1, v1, v3, s18
	v_lshrrev_b32_e32 v3, 21, v1
                                        ; implicit-def: $vgpr1
.LBB143_1834:
	s_andn2_saveexec_b64 s[16:17], s[16:17]
	s_cbranch_execz .LBB143_1836
; %bb.1835:
	s_waitcnt vmcnt(0)
	v_add_f32_e32 v3, 0x43000000, v1
.LBB143_1836:
	s_or_b64 exec, exec, s[16:17]
                                        ; implicit-def: $vgpr1
.LBB143_1837:
	s_andn2_saveexec_b64 s[14:15], s[14:15]
	s_cbranch_execz .LBB143_1839
; %bb.1838:
	s_mov_b32 s16, 0x7f800000
	s_waitcnt vmcnt(0)
	v_mov_b32_e32 v3, 0x7c
	v_mov_b32_e32 v7, 0x7f
	v_cmp_lt_u32_e32 vcc, s16, v1
	v_cndmask_b32_e32 v3, v3, v7, vcc
.LBB143_1839:
	s_or_b64 exec, exec, s[14:15]
	s_waitcnt vmcnt(0)
	global_store_byte v[5:6], v3, off
.LBB143_1840:
	s_mov_b64 s[14:15], 0
	s_mov_b64 s[16:17], -1
.LBB143_1841:
	s_andn2_b64 vcc, exec, s[14:15]
	s_mov_b64 s[14:15], 0
	s_cbranch_vccnz .LBB143_1848
; %bb.1842:
	s_cmp_gt_i32 s23, 14
	s_mov_b64 s[18:19], -1
	s_cbranch_scc0 .LBB143_1846
; %bb.1843:
	s_cmp_eq_u32 s23, 15
	s_mov_b64 s[0:1], -1
	s_cbranch_scc0 .LBB143_1845
; %bb.1844:
	v_cndmask_b32_e64 v1, 0, 1.0, s[4:5]
	s_waitcnt vmcnt(0)
	v_bfe_u32 v3, v1, 16, 1
	s_movk_i32 s0, 0x7fff
	v_add3_u32 v1, v1, v3, s0
	global_store_short_d16_hi v[5:6], v1, off
	s_mov_b64 s[0:1], 0
	s_mov_b64 s[16:17], -1
.LBB143_1845:
	s_mov_b64 s[18:19], 0
.LBB143_1846:
	s_and_b64 vcc, exec, s[18:19]
	s_cbranch_vccz .LBB143_1848
; %bb.1847:
	s_cmp_lg_u32 s23, 11
	s_mov_b64 s[14:15], -1
	s_cselect_b64 s[0:1], -1, 0
.LBB143_1848:
	s_and_b64 vcc, exec, s[0:1]
	s_cbranch_vccnz .LBB143_2211
; %bb.1849:
	s_andn2_b64 vcc, exec, s[14:15]
	s_cbranch_vccnz .LBB143_1851
.LBB143_1850:
	v_cndmask_b32_e64 v1, 0, 1, s[4:5]
	s_mov_b64 s[16:17], -1
	global_store_byte v[5:6], v1, off
.LBB143_1851:
	s_mov_b64 s[0:1], 0
	s_branch .LBB143_1853
.LBB143_1852:
	s_mov_b64 s[0:1], -1
	s_mov_b64 s[16:17], 0
.LBB143_1853:
	s_and_b64 vcc, exec, s[0:1]
	s_cbranch_vccz .LBB143_1892
; %bb.1854:
	s_and_b32 s14, 0xffff, s22
	s_cmp_lt_i32 s14, 5
	s_mov_b64 s[0:1], -1
	s_cbranch_scc1 .LBB143_1875
; %bb.1855:
	s_cmp_lt_i32 s14, 8
	s_cbranch_scc1 .LBB143_1865
; %bb.1856:
	s_cmp_lt_i32 s14, 9
	s_cbranch_scc1 .LBB143_1862
; %bb.1857:
	s_cmp_gt_i32 s14, 9
	s_cbranch_scc0 .LBB143_1859
; %bb.1858:
	v_cndmask_b32_e64 v1, 0, 1, s[4:5]
	v_cvt_f64_u32_e32 v[7:8], v1
	s_waitcnt vmcnt(0)
	v_mov_b32_e32 v9, 0
	v_mov_b32_e32 v10, v9
	s_mov_b64 s[0:1], 0
	global_store_dwordx4 v[5:6], v[7:10], off
.LBB143_1859:
	s_andn2_b64 vcc, exec, s[0:1]
	s_cbranch_vccnz .LBB143_1861
; %bb.1860:
	v_cndmask_b32_e64 v7, 0, 1.0, s[4:5]
	v_mov_b32_e32 v8, 0
	global_store_dwordx2 v[5:6], v[7:8], off
.LBB143_1861:
	s_mov_b64 s[0:1], 0
.LBB143_1862:
	s_andn2_b64 vcc, exec, s[0:1]
	s_cbranch_vccnz .LBB143_1864
; %bb.1863:
	v_cndmask_b32_e64 v1, 0, 1.0, s[4:5]
	v_cvt_f16_f32_e32 v1, v1
	global_store_dword v[5:6], v1, off
.LBB143_1864:
	s_mov_b64 s[0:1], 0
.LBB143_1865:
	s_andn2_b64 vcc, exec, s[0:1]
	s_cbranch_vccnz .LBB143_1874
; %bb.1866:
	s_cmp_lt_i32 s14, 6
	s_mov_b64 s[0:1], -1
	s_cbranch_scc1 .LBB143_1872
; %bb.1867:
	s_cmp_gt_i32 s14, 6
	s_cbranch_scc0 .LBB143_1869
; %bb.1868:
	v_cndmask_b32_e64 v1, 0, 1, s[4:5]
	v_cvt_f64_u32_e32 v[7:8], v1
	s_mov_b64 s[0:1], 0
	global_store_dwordx2 v[5:6], v[7:8], off
.LBB143_1869:
	s_andn2_b64 vcc, exec, s[0:1]
	s_cbranch_vccnz .LBB143_1871
; %bb.1870:
	v_cndmask_b32_e64 v1, 0, 1.0, s[4:5]
	global_store_dword v[5:6], v1, off
.LBB143_1871:
	s_mov_b64 s[0:1], 0
.LBB143_1872:
	s_andn2_b64 vcc, exec, s[0:1]
	s_cbranch_vccnz .LBB143_1874
; %bb.1873:
	v_cndmask_b32_e64 v1, 0, 1.0, s[4:5]
	v_cvt_f16_f32_e32 v1, v1
	global_store_short v[5:6], v1, off
.LBB143_1874:
	s_mov_b64 s[0:1], 0
.LBB143_1875:
	s_andn2_b64 vcc, exec, s[0:1]
	s_cbranch_vccnz .LBB143_1891
; %bb.1876:
	s_cmp_lt_i32 s14, 2
	s_mov_b64 s[0:1], -1
	s_cbranch_scc1 .LBB143_1886
; %bb.1877:
	s_cmp_lt_i32 s14, 3
	s_cbranch_scc1 .LBB143_1883
; %bb.1878:
	s_cmp_gt_i32 s14, 3
	s_cbranch_scc0 .LBB143_1880
; %bb.1879:
	s_mov_b32 s0, 0
	v_cndmask_b32_e64 v7, 0, 1, s[4:5]
	v_mov_b32_e32 v8, s0
	global_store_dwordx2 v[5:6], v[7:8], off
	s_mov_b64 s[0:1], 0
.LBB143_1880:
	s_andn2_b64 vcc, exec, s[0:1]
	s_cbranch_vccnz .LBB143_1882
; %bb.1881:
	v_cndmask_b32_e64 v1, 0, 1, s[4:5]
	global_store_dword v[5:6], v1, off
.LBB143_1882:
	s_mov_b64 s[0:1], 0
.LBB143_1883:
	s_andn2_b64 vcc, exec, s[0:1]
	s_cbranch_vccnz .LBB143_1885
; %bb.1884:
	v_cndmask_b32_e64 v1, 0, 1, s[4:5]
	global_store_short v[5:6], v1, off
.LBB143_1885:
	s_mov_b64 s[0:1], 0
.LBB143_1886:
	s_andn2_b64 vcc, exec, s[0:1]
	s_cbranch_vccnz .LBB143_1891
; %bb.1887:
	s_mov_b64 s[0:1], -1
	s_cmp_gt_i32 s14, 0
	v_cndmask_b32_e64 v1, 0, 1, s[4:5]
	s_cbranch_scc0 .LBB143_1889
; %bb.1888:
	global_store_byte v[5:6], v1, off
	s_mov_b64 s[0:1], 0
.LBB143_1889:
	s_andn2_b64 vcc, exec, s[0:1]
	s_cbranch_vccnz .LBB143_1891
; %bb.1890:
	global_store_byte v[5:6], v1, off
.LBB143_1891:
	s_mov_b64 s[16:17], -1
.LBB143_1892:
	s_andn2_b64 vcc, exec, s[16:17]
	s_cbranch_vccnz .LBB143_2207
; %bb.1893:
	v_mov_b32_e32 v1, s9
	s_and_b32 s20, 0xffff, s22
	s_waitcnt vmcnt(0)
	v_add_co_u32_e32 v3, vcc, s8, v4
	s_cmp_lt_i32 s20, 11
	v_addc_co_u32_e32 v4, vcc, 0, v1, vcc
	s_cbranch_scc1 .LBB143_1971
; %bb.1894:
	s_mov_b64 s[16:17], -1
	s_mov_b64 s[4:5], 0
	s_cmp_gt_i32 s20, 25
	s_mov_b64 s[14:15], 0
	s_mov_b64 s[0:1], 0
	s_cbranch_scc0 .LBB143_1927
; %bb.1895:
	s_cmp_gt_i32 s20, 28
	s_cbranch_scc0 .LBB143_1910
; %bb.1896:
	s_cmp_gt_i32 s20, 43
	;; [unrolled: 3-line block ×3, first 2 shown]
	s_cbranch_scc0 .LBB143_1900
; %bb.1898:
	s_mov_b64 s[0:1], -1
	s_mov_b64 s[16:17], 0
	s_cmp_eq_u32 s20, 46
	s_cbranch_scc0 .LBB143_1900
; %bb.1899:
	v_cndmask_b32_e64 v1, 0, 1.0, s[6:7]
	v_bfe_u32 v5, v1, 16, 1
	s_movk_i32 s0, 0x7fff
	v_add3_u32 v1, v1, v5, s0
	v_lshrrev_b32_e32 v1, 16, v1
	global_store_dword v[3:4], v1, off
	s_mov_b64 s[0:1], 0
	s_mov_b64 s[14:15], -1
.LBB143_1900:
	s_and_b64 vcc, exec, s[16:17]
	s_cbranch_vccz .LBB143_1905
; %bb.1901:
	s_cmp_eq_u32 s20, 44
	s_mov_b64 s[0:1], -1
	s_cbranch_scc0 .LBB143_1905
; %bb.1902:
	v_cndmask_b32_e64 v5, 0, 1.0, s[6:7]
	v_lshrrev_b32_e32 v1, 23, v5
	s_movk_i32 s0, 0xff
	v_cmp_ne_u32_e32 vcc, s0, v1
	v_mov_b32_e32 v6, 0xff
	s_and_saveexec_b64 s[14:15], vcc
; %bb.1903:
	s_mov_b32 s0, 0x3fffff
	v_and_b32_e32 v6, 0x400000, v5
	v_and_or_b32 v5, v5, s0, v1
	v_cmp_ne_u32_e32 vcc, 0, v6
	v_cmp_ne_u32_e64 s[0:1], 0, v5
	s_and_b64 s[0:1], vcc, s[0:1]
	v_cndmask_b32_e64 v5, 0, 1, s[0:1]
	v_add_u32_e32 v6, v1, v5
; %bb.1904:
	s_or_b64 exec, exec, s[14:15]
	s_mov_b64 s[0:1], 0
	s_mov_b64 s[14:15], -1
	global_store_byte v[3:4], v6, off
.LBB143_1905:
	s_mov_b64 s[16:17], 0
.LBB143_1906:
	s_and_b64 vcc, exec, s[16:17]
	s_cbranch_vccz .LBB143_1909
; %bb.1907:
	s_cmp_eq_u32 s20, 29
	s_mov_b64 s[0:1], -1
	s_cbranch_scc0 .LBB143_1909
; %bb.1908:
	s_mov_b32 s0, 0
	v_cndmask_b32_e64 v5, 0, 1, s[6:7]
	v_mov_b32_e32 v6, s0
	global_store_dwordx2 v[3:4], v[5:6], off
	s_mov_b64 s[0:1], 0
	s_mov_b64 s[14:15], -1
.LBB143_1909:
	s_mov_b64 s[16:17], 0
.LBB143_1910:
	s_and_b64 vcc, exec, s[16:17]
	s_cbranch_vccz .LBB143_1926
; %bb.1911:
	s_cmp_lt_i32 s20, 27
	s_mov_b64 s[14:15], -1
	s_cbranch_scc1 .LBB143_1917
; %bb.1912:
	s_cmp_gt_i32 s20, 27
	s_cbranch_scc0 .LBB143_1914
; %bb.1913:
	v_cndmask_b32_e64 v1, 0, 1, s[6:7]
	s_mov_b64 s[14:15], 0
	global_store_dword v[3:4], v1, off
.LBB143_1914:
	s_andn2_b64 vcc, exec, s[14:15]
	s_cbranch_vccnz .LBB143_1916
; %bb.1915:
	v_cndmask_b32_e64 v1, 0, 1, s[6:7]
	global_store_short v[3:4], v1, off
.LBB143_1916:
	s_mov_b64 s[14:15], 0
.LBB143_1917:
	s_andn2_b64 vcc, exec, s[14:15]
	s_cbranch_vccnz .LBB143_1925
; %bb.1918:
	v_cndmask_b32_e64 v5, 0, 1.0, s[6:7]
	s_mov_b32 s14, 0x43800000
	v_cmp_gt_u32_e32 vcc, s14, v5
	v_mov_b32_e32 v6, 0x80
	s_and_saveexec_b64 s[14:15], vcc
	s_cbranch_execz .LBB143_1924
; %bb.1919:
	s_mov_b32 s16, 0x3bffffff
	v_cmp_lt_u32_e32 vcc, s16, v5
	s_mov_b64 s[16:17], 0
                                        ; implicit-def: $vgpr1
	s_and_saveexec_b64 s[18:19], vcc
	s_xor_b64 s[18:19], exec, s[18:19]
	s_cbranch_execz .LBB143_2214
; %bb.1920:
	v_bfe_u32 v1, v5, 20, 1
	s_mov_b32 s21, 0x487ffff
	v_add3_u32 v1, v5, v1, s21
	s_mov_b64 s[16:17], exec
	v_lshrrev_b32_e32 v1, 20, v1
                                        ; implicit-def: $vgpr5
	s_andn2_saveexec_b64 s[18:19], s[18:19]
	s_cbranch_execnz .LBB143_2215
.LBB143_1921:
	s_or_b64 exec, exec, s[18:19]
	v_mov_b32_e32 v6, 0
	s_and_saveexec_b64 s[18:19], s[16:17]
.LBB143_1922:
	v_mov_b32_e32 v6, v1
.LBB143_1923:
	s_or_b64 exec, exec, s[18:19]
.LBB143_1924:
	s_or_b64 exec, exec, s[14:15]
	global_store_byte v[3:4], v6, off
.LBB143_1925:
	s_mov_b64 s[14:15], -1
.LBB143_1926:
	s_mov_b64 s[16:17], 0
.LBB143_1927:
	s_and_b64 vcc, exec, s[16:17]
	s_cbranch_vccz .LBB143_1967
; %bb.1928:
	s_cmp_gt_i32 s20, 22
	s_mov_b64 s[4:5], -1
	s_cbranch_scc0 .LBB143_1960
; %bb.1929:
	s_cmp_lt_i32 s20, 24
	s_cbranch_scc1 .LBB143_1949
; %bb.1930:
	s_cmp_gt_i32 s20, 24
	s_cbranch_scc0 .LBB143_1938
; %bb.1931:
	v_cndmask_b32_e64 v5, 0, 1.0, s[6:7]
	s_mov_b32 s4, 0x47800000
	v_cmp_gt_u32_e32 vcc, s4, v5
	v_mov_b32_e32 v6, 0x80
	s_and_saveexec_b64 s[4:5], vcc
	s_cbranch_execz .LBB143_1937
; %bb.1932:
	s_mov_b32 s14, 0x37ffffff
	v_cmp_lt_u32_e32 vcc, s14, v5
	s_mov_b64 s[14:15], 0
                                        ; implicit-def: $vgpr1
	s_and_saveexec_b64 s[16:17], vcc
	s_xor_b64 s[16:17], exec, s[16:17]
	s_cbranch_execz .LBB143_2217
; %bb.1933:
	v_bfe_u32 v1, v5, 21, 1
	s_mov_b32 s18, 0x88fffff
	v_add3_u32 v1, v5, v1, s18
	s_mov_b64 s[14:15], exec
	v_lshrrev_b32_e32 v1, 21, v1
                                        ; implicit-def: $vgpr5
	s_andn2_saveexec_b64 s[16:17], s[16:17]
	s_cbranch_execnz .LBB143_2218
.LBB143_1934:
	s_or_b64 exec, exec, s[16:17]
	v_mov_b32_e32 v6, 0
	s_and_saveexec_b64 s[16:17], s[14:15]
.LBB143_1935:
	v_mov_b32_e32 v6, v1
.LBB143_1936:
	s_or_b64 exec, exec, s[16:17]
.LBB143_1937:
	s_or_b64 exec, exec, s[4:5]
	s_mov_b64 s[4:5], 0
	global_store_byte v[3:4], v6, off
.LBB143_1938:
	s_and_b64 vcc, exec, s[4:5]
	s_cbranch_vccz .LBB143_1948
; %bb.1939:
	v_cndmask_b32_e64 v1, 0, 1.0, s[6:7]
	s_mov_b32 s4, 0x43f00000
	v_cmp_gt_u32_e32 vcc, s4, v1
                                        ; implicit-def: $vgpr5
	s_and_saveexec_b64 s[4:5], vcc
	s_xor_b64 s[4:5], exec, s[4:5]
	s_cbranch_execz .LBB143_1945
; %bb.1940:
	s_mov_b32 s14, 0x3c7fffff
	v_cmp_lt_u32_e32 vcc, s14, v1
                                        ; implicit-def: $vgpr5
	s_and_saveexec_b64 s[14:15], vcc
	s_xor_b64 s[14:15], exec, s[14:15]
; %bb.1941:
	v_bfe_u32 v5, v1, 20, 1
	s_mov_b32 s16, 0x407ffff
	v_add3_u32 v1, v1, v5, s16
	v_lshrrev_b32_e32 v5, 20, v1
	v_and_b32_e32 v1, 0xff00000, v1
	s_mov_b32 s16, 0x7f00000
	v_mov_b32_e32 v6, 0x7e
	v_cmp_ne_u32_e32 vcc, s16, v1
	v_cndmask_b32_e32 v5, v6, v5, vcc
                                        ; implicit-def: $vgpr1
; %bb.1942:
	s_andn2_saveexec_b64 s[14:15], s[14:15]
; %bb.1943:
	v_add_f32_e32 v5, 0x46800000, v1
; %bb.1944:
	s_or_b64 exec, exec, s[14:15]
                                        ; implicit-def: $vgpr1
.LBB143_1945:
	s_andn2_saveexec_b64 s[4:5], s[4:5]
; %bb.1946:
	s_mov_b32 s14, 0x7f800000
	v_mov_b32_e32 v5, 0x7e
	v_mov_b32_e32 v6, 0x7f
	v_cmp_lt_u32_e32 vcc, s14, v1
	v_cndmask_b32_e32 v5, v5, v6, vcc
; %bb.1947:
	s_or_b64 exec, exec, s[4:5]
	global_store_byte v[3:4], v5, off
.LBB143_1948:
	s_mov_b64 s[4:5], 0
.LBB143_1949:
	s_andn2_b64 vcc, exec, s[4:5]
	s_cbranch_vccnz .LBB143_1959
; %bb.1950:
	v_cndmask_b32_e64 v1, 0, 1.0, s[6:7]
	s_mov_b32 s4, 0x47800000
	v_cmp_gt_u32_e32 vcc, s4, v1
                                        ; implicit-def: $vgpr5
	s_and_saveexec_b64 s[4:5], vcc
	s_xor_b64 s[4:5], exec, s[4:5]
	s_cbranch_execz .LBB143_1956
; %bb.1951:
	s_mov_b32 s14, 0x387fffff
	v_cmp_lt_u32_e32 vcc, s14, v1
                                        ; implicit-def: $vgpr5
	s_and_saveexec_b64 s[14:15], vcc
	s_xor_b64 s[14:15], exec, s[14:15]
; %bb.1952:
	v_bfe_u32 v5, v1, 21, 1
	s_mov_b32 s16, 0x80fffff
	v_add3_u32 v1, v1, v5, s16
	v_lshrrev_b32_e32 v5, 21, v1
                                        ; implicit-def: $vgpr1
; %bb.1953:
	s_andn2_saveexec_b64 s[14:15], s[14:15]
; %bb.1954:
	v_add_f32_e32 v5, 0x43000000, v1
; %bb.1955:
	s_or_b64 exec, exec, s[14:15]
                                        ; implicit-def: $vgpr1
.LBB143_1956:
	s_andn2_saveexec_b64 s[4:5], s[4:5]
; %bb.1957:
	s_mov_b32 s14, 0x7f800000
	v_mov_b32_e32 v5, 0x7c
	v_mov_b32_e32 v6, 0x7f
	v_cmp_lt_u32_e32 vcc, s14, v1
	v_cndmask_b32_e32 v5, v5, v6, vcc
; %bb.1958:
	s_or_b64 exec, exec, s[4:5]
	global_store_byte v[3:4], v5, off
.LBB143_1959:
	s_mov_b64 s[4:5], 0
	s_mov_b64 s[14:15], -1
.LBB143_1960:
	s_andn2_b64 vcc, exec, s[4:5]
	s_mov_b64 s[4:5], 0
	s_cbranch_vccnz .LBB143_1967
; %bb.1961:
	s_cmp_gt_i32 s20, 14
	s_mov_b64 s[16:17], -1
	s_cbranch_scc0 .LBB143_1965
; %bb.1962:
	s_cmp_eq_u32 s20, 15
	s_mov_b64 s[0:1], -1
	s_cbranch_scc0 .LBB143_1964
; %bb.1963:
	v_cndmask_b32_e64 v1, 0, 1.0, s[6:7]
	v_bfe_u32 v5, v1, 16, 1
	s_movk_i32 s0, 0x7fff
	v_add3_u32 v1, v1, v5, s0
	global_store_short_d16_hi v[3:4], v1, off
	s_mov_b64 s[0:1], 0
	s_mov_b64 s[14:15], -1
.LBB143_1964:
	s_mov_b64 s[16:17], 0
.LBB143_1965:
	s_and_b64 vcc, exec, s[16:17]
	s_cbranch_vccz .LBB143_1967
; %bb.1966:
	s_cmp_lg_u32 s20, 11
	s_mov_b64 s[4:5], -1
	s_cselect_b64 s[0:1], -1, 0
.LBB143_1967:
	s_and_b64 vcc, exec, s[0:1]
	s_cbranch_vccnz .LBB143_2216
; %bb.1968:
	s_andn2_b64 vcc, exec, s[4:5]
	s_cbranch_vccnz .LBB143_1970
.LBB143_1969:
	v_cndmask_b32_e64 v1, 0, 1, s[6:7]
	s_mov_b64 s[14:15], -1
	global_store_byte v[3:4], v1, off
.LBB143_1970:
	s_mov_b64 s[0:1], 0
	s_branch .LBB143_1972
.LBB143_1971:
	s_mov_b64 s[0:1], -1
	s_mov_b64 s[14:15], 0
.LBB143_1972:
	s_and_b64 vcc, exec, s[0:1]
	s_cbranch_vccz .LBB143_2011
; %bb.1973:
	s_cmp_lt_i32 s20, 5
	s_mov_b64 s[0:1], -1
	s_cbranch_scc1 .LBB143_1994
; %bb.1974:
	s_cmp_lt_i32 s20, 8
	s_cbranch_scc1 .LBB143_1984
; %bb.1975:
	s_cmp_lt_i32 s20, 9
	s_cbranch_scc1 .LBB143_1981
; %bb.1976:
	s_cmp_gt_i32 s20, 9
	s_cbranch_scc0 .LBB143_1978
; %bb.1977:
	v_cndmask_b32_e64 v1, 0, 1, s[6:7]
	v_cvt_f64_u32_e32 v[5:6], v1
	v_mov_b32_e32 v7, 0
	v_mov_b32_e32 v8, v7
	s_mov_b64 s[0:1], 0
	global_store_dwordx4 v[3:4], v[5:8], off
.LBB143_1978:
	s_andn2_b64 vcc, exec, s[0:1]
	s_cbranch_vccnz .LBB143_1980
; %bb.1979:
	v_cndmask_b32_e64 v5, 0, 1.0, s[6:7]
	v_mov_b32_e32 v6, 0
	global_store_dwordx2 v[3:4], v[5:6], off
.LBB143_1980:
	s_mov_b64 s[0:1], 0
.LBB143_1981:
	s_andn2_b64 vcc, exec, s[0:1]
	s_cbranch_vccnz .LBB143_1983
; %bb.1982:
	v_cndmask_b32_e64 v1, 0, 1.0, s[6:7]
	v_cvt_f16_f32_e32 v1, v1
	global_store_dword v[3:4], v1, off
.LBB143_1983:
	s_mov_b64 s[0:1], 0
.LBB143_1984:
	s_andn2_b64 vcc, exec, s[0:1]
	s_cbranch_vccnz .LBB143_1993
; %bb.1985:
	s_cmp_lt_i32 s20, 6
	s_mov_b64 s[0:1], -1
	s_cbranch_scc1 .LBB143_1991
; %bb.1986:
	s_cmp_gt_i32 s20, 6
	s_cbranch_scc0 .LBB143_1988
; %bb.1987:
	v_cndmask_b32_e64 v1, 0, 1, s[6:7]
	v_cvt_f64_u32_e32 v[5:6], v1
	s_mov_b64 s[0:1], 0
	global_store_dwordx2 v[3:4], v[5:6], off
.LBB143_1988:
	s_andn2_b64 vcc, exec, s[0:1]
	s_cbranch_vccnz .LBB143_1990
; %bb.1989:
	v_cndmask_b32_e64 v1, 0, 1.0, s[6:7]
	global_store_dword v[3:4], v1, off
.LBB143_1990:
	s_mov_b64 s[0:1], 0
.LBB143_1991:
	s_andn2_b64 vcc, exec, s[0:1]
	s_cbranch_vccnz .LBB143_1993
; %bb.1992:
	v_cndmask_b32_e64 v1, 0, 1.0, s[6:7]
	v_cvt_f16_f32_e32 v1, v1
	global_store_short v[3:4], v1, off
.LBB143_1993:
	s_mov_b64 s[0:1], 0
.LBB143_1994:
	s_andn2_b64 vcc, exec, s[0:1]
	s_cbranch_vccnz .LBB143_2010
; %bb.1995:
	s_cmp_lt_i32 s20, 2
	s_mov_b64 s[0:1], -1
	s_cbranch_scc1 .LBB143_2005
; %bb.1996:
	s_cmp_lt_i32 s20, 3
	s_cbranch_scc1 .LBB143_2002
; %bb.1997:
	s_cmp_gt_i32 s20, 3
	s_cbranch_scc0 .LBB143_1999
; %bb.1998:
	s_mov_b32 s0, 0
	v_cndmask_b32_e64 v5, 0, 1, s[6:7]
	v_mov_b32_e32 v6, s0
	global_store_dwordx2 v[3:4], v[5:6], off
	s_mov_b64 s[0:1], 0
.LBB143_1999:
	s_andn2_b64 vcc, exec, s[0:1]
	s_cbranch_vccnz .LBB143_2001
; %bb.2000:
	v_cndmask_b32_e64 v1, 0, 1, s[6:7]
	global_store_dword v[3:4], v1, off
.LBB143_2001:
	s_mov_b64 s[0:1], 0
.LBB143_2002:
	s_andn2_b64 vcc, exec, s[0:1]
	s_cbranch_vccnz .LBB143_2004
; %bb.2003:
	v_cndmask_b32_e64 v1, 0, 1, s[6:7]
	global_store_short v[3:4], v1, off
.LBB143_2004:
	s_mov_b64 s[0:1], 0
.LBB143_2005:
	s_andn2_b64 vcc, exec, s[0:1]
	s_cbranch_vccnz .LBB143_2010
; %bb.2006:
	s_mov_b64 s[0:1], -1
	s_cmp_gt_i32 s20, 0
	v_cndmask_b32_e64 v1, 0, 1, s[6:7]
	s_cbranch_scc0 .LBB143_2008
; %bb.2007:
	global_store_byte v[3:4], v1, off
	s_mov_b64 s[0:1], 0
.LBB143_2008:
	s_andn2_b64 vcc, exec, s[0:1]
	s_cbranch_vccnz .LBB143_2010
; %bb.2009:
	global_store_byte v[3:4], v1, off
.LBB143_2010:
	s_mov_b64 s[14:15], -1
.LBB143_2011:
	s_andn2_b64 vcc, exec, s[14:15]
	s_cbranch_vccnz .LBB143_2207
; %bb.2012:
	v_mov_b32_e32 v3, s9
	v_add_co_u32_e32 v1, vcc, s8, v2
	s_cmp_lt_i32 s20, 11
	v_addc_co_u32_e32 v2, vcc, 0, v3, vcc
	s_cbranch_scc1 .LBB143_2090
; %bb.2013:
	s_mov_b64 s[14:15], -1
	s_mov_b64 s[4:5], 0
	s_cmp_gt_i32 s20, 25
	s_mov_b64 s[6:7], 0
	s_mov_b64 s[0:1], 0
	s_cbranch_scc0 .LBB143_2046
; %bb.2014:
	s_cmp_gt_i32 s20, 28
	s_cbranch_scc0 .LBB143_2029
; %bb.2015:
	s_cmp_gt_i32 s20, 43
	;; [unrolled: 3-line block ×3, first 2 shown]
	s_cbranch_scc0 .LBB143_2019
; %bb.2017:
	s_mov_b64 s[0:1], -1
	s_mov_b64 s[14:15], 0
	s_cmp_eq_u32 s20, 46
	s_cbranch_scc0 .LBB143_2019
; %bb.2018:
	v_cndmask_b32_e64 v3, 0, 1.0, s[12:13]
	v_bfe_u32 v4, v3, 16, 1
	s_movk_i32 s0, 0x7fff
	v_add3_u32 v3, v3, v4, s0
	v_lshrrev_b32_e32 v3, 16, v3
	global_store_dword v[1:2], v3, off
	s_mov_b64 s[0:1], 0
	s_mov_b64 s[6:7], -1
.LBB143_2019:
	s_and_b64 vcc, exec, s[14:15]
	s_cbranch_vccz .LBB143_2024
; %bb.2020:
	s_cmp_eq_u32 s20, 44
	s_mov_b64 s[0:1], -1
	s_cbranch_scc0 .LBB143_2024
; %bb.2021:
	v_cndmask_b32_e64 v4, 0, 1.0, s[12:13]
	v_lshrrev_b32_e32 v3, 23, v4
	s_movk_i32 s0, 0xff
	v_cmp_ne_u32_e32 vcc, s0, v3
	v_mov_b32_e32 v5, 0xff
	s_and_saveexec_b64 s[6:7], vcc
; %bb.2022:
	s_mov_b32 s0, 0x3fffff
	v_and_b32_e32 v5, 0x400000, v4
	v_and_or_b32 v4, v4, s0, v3
	v_cmp_ne_u32_e32 vcc, 0, v5
	v_cmp_ne_u32_e64 s[0:1], 0, v4
	s_and_b64 s[0:1], vcc, s[0:1]
	v_cndmask_b32_e64 v4, 0, 1, s[0:1]
	v_add_u32_e32 v5, v3, v4
; %bb.2023:
	s_or_b64 exec, exec, s[6:7]
	s_mov_b64 s[0:1], 0
	s_mov_b64 s[6:7], -1
	global_store_byte v[1:2], v5, off
.LBB143_2024:
	s_mov_b64 s[14:15], 0
.LBB143_2025:
	s_and_b64 vcc, exec, s[14:15]
	s_cbranch_vccz .LBB143_2028
; %bb.2026:
	s_cmp_eq_u32 s20, 29
	s_mov_b64 s[0:1], -1
	s_cbranch_scc0 .LBB143_2028
; %bb.2027:
	s_mov_b32 s0, 0
	v_cndmask_b32_e64 v3, 0, 1, s[12:13]
	v_mov_b32_e32 v4, s0
	global_store_dwordx2 v[1:2], v[3:4], off
	s_mov_b64 s[0:1], 0
	s_mov_b64 s[6:7], -1
.LBB143_2028:
	s_mov_b64 s[14:15], 0
.LBB143_2029:
	s_and_b64 vcc, exec, s[14:15]
	s_cbranch_vccz .LBB143_2045
; %bb.2030:
	s_cmp_lt_i32 s20, 27
	s_mov_b64 s[6:7], -1
	s_cbranch_scc1 .LBB143_2036
; %bb.2031:
	s_cmp_gt_i32 s20, 27
	s_cbranch_scc0 .LBB143_2033
; %bb.2032:
	v_cndmask_b32_e64 v3, 0, 1, s[12:13]
	s_mov_b64 s[6:7], 0
	global_store_dword v[1:2], v3, off
.LBB143_2033:
	s_andn2_b64 vcc, exec, s[6:7]
	s_cbranch_vccnz .LBB143_2035
; %bb.2034:
	v_cndmask_b32_e64 v3, 0, 1, s[12:13]
	global_store_short v[1:2], v3, off
.LBB143_2035:
	s_mov_b64 s[6:7], 0
.LBB143_2036:
	s_andn2_b64 vcc, exec, s[6:7]
	s_cbranch_vccnz .LBB143_2044
; %bb.2037:
	v_cndmask_b32_e64 v4, 0, 1.0, s[12:13]
	s_mov_b32 s6, 0x43800000
	v_cmp_gt_u32_e32 vcc, s6, v4
	v_mov_b32_e32 v5, 0x80
	s_and_saveexec_b64 s[6:7], vcc
	s_cbranch_execz .LBB143_2043
; %bb.2038:
	s_mov_b32 s14, 0x3bffffff
	v_cmp_lt_u32_e32 vcc, s14, v4
	s_mov_b64 s[14:15], 0
                                        ; implicit-def: $vgpr3
	s_and_saveexec_b64 s[16:17], vcc
	s_xor_b64 s[16:17], exec, s[16:17]
	s_cbranch_execz .LBB143_2219
; %bb.2039:
	v_bfe_u32 v3, v4, 20, 1
	s_mov_b32 s18, 0x487ffff
	v_add3_u32 v3, v4, v3, s18
	s_mov_b64 s[14:15], exec
	v_lshrrev_b32_e32 v3, 20, v3
                                        ; implicit-def: $vgpr4
	s_andn2_saveexec_b64 s[16:17], s[16:17]
	s_cbranch_execnz .LBB143_2220
.LBB143_2040:
	s_or_b64 exec, exec, s[16:17]
	v_mov_b32_e32 v5, 0
	s_and_saveexec_b64 s[16:17], s[14:15]
.LBB143_2041:
	v_mov_b32_e32 v5, v3
.LBB143_2042:
	s_or_b64 exec, exec, s[16:17]
.LBB143_2043:
	s_or_b64 exec, exec, s[6:7]
	global_store_byte v[1:2], v5, off
.LBB143_2044:
	s_mov_b64 s[6:7], -1
.LBB143_2045:
	s_mov_b64 s[14:15], 0
.LBB143_2046:
	s_and_b64 vcc, exec, s[14:15]
	s_cbranch_vccz .LBB143_2086
; %bb.2047:
	s_cmp_gt_i32 s20, 22
	s_mov_b64 s[4:5], -1
	s_cbranch_scc0 .LBB143_2079
; %bb.2048:
	s_cmp_lt_i32 s20, 24
	s_cbranch_scc1 .LBB143_2068
; %bb.2049:
	s_cmp_gt_i32 s20, 24
	s_cbranch_scc0 .LBB143_2057
; %bb.2050:
	v_cndmask_b32_e64 v4, 0, 1.0, s[12:13]
	s_mov_b32 s4, 0x47800000
	v_cmp_gt_u32_e32 vcc, s4, v4
	v_mov_b32_e32 v5, 0x80
	s_and_saveexec_b64 s[4:5], vcc
	s_cbranch_execz .LBB143_2056
; %bb.2051:
	s_mov_b32 s6, 0x37ffffff
	v_cmp_lt_u32_e32 vcc, s6, v4
	s_mov_b64 s[6:7], 0
                                        ; implicit-def: $vgpr3
	s_and_saveexec_b64 s[14:15], vcc
	s_xor_b64 s[14:15], exec, s[14:15]
	s_cbranch_execz .LBB143_2222
; %bb.2052:
	v_bfe_u32 v3, v4, 21, 1
	s_mov_b32 s16, 0x88fffff
	v_add3_u32 v3, v4, v3, s16
	s_mov_b64 s[6:7], exec
	v_lshrrev_b32_e32 v3, 21, v3
                                        ; implicit-def: $vgpr4
	s_andn2_saveexec_b64 s[14:15], s[14:15]
	s_cbranch_execnz .LBB143_2223
.LBB143_2053:
	s_or_b64 exec, exec, s[14:15]
	v_mov_b32_e32 v5, 0
	s_and_saveexec_b64 s[14:15], s[6:7]
.LBB143_2054:
	v_mov_b32_e32 v5, v3
.LBB143_2055:
	s_or_b64 exec, exec, s[14:15]
.LBB143_2056:
	s_or_b64 exec, exec, s[4:5]
	s_mov_b64 s[4:5], 0
	global_store_byte v[1:2], v5, off
.LBB143_2057:
	s_and_b64 vcc, exec, s[4:5]
	s_cbranch_vccz .LBB143_2067
; %bb.2058:
	v_cndmask_b32_e64 v3, 0, 1.0, s[12:13]
	s_mov_b32 s4, 0x43f00000
	v_cmp_gt_u32_e32 vcc, s4, v3
                                        ; implicit-def: $vgpr4
	s_and_saveexec_b64 s[4:5], vcc
	s_xor_b64 s[4:5], exec, s[4:5]
	s_cbranch_execz .LBB143_2064
; %bb.2059:
	s_mov_b32 s6, 0x3c7fffff
	v_cmp_lt_u32_e32 vcc, s6, v3
                                        ; implicit-def: $vgpr4
	s_and_saveexec_b64 s[6:7], vcc
	s_xor_b64 s[6:7], exec, s[6:7]
; %bb.2060:
	v_bfe_u32 v4, v3, 20, 1
	s_mov_b32 s14, 0x407ffff
	v_add3_u32 v3, v3, v4, s14
	v_lshrrev_b32_e32 v4, 20, v3
	v_and_b32_e32 v3, 0xff00000, v3
	s_mov_b32 s14, 0x7f00000
	v_mov_b32_e32 v5, 0x7e
	v_cmp_ne_u32_e32 vcc, s14, v3
	v_cndmask_b32_e32 v4, v5, v4, vcc
                                        ; implicit-def: $vgpr3
; %bb.2061:
	s_andn2_saveexec_b64 s[6:7], s[6:7]
; %bb.2062:
	v_add_f32_e32 v4, 0x46800000, v3
; %bb.2063:
	s_or_b64 exec, exec, s[6:7]
                                        ; implicit-def: $vgpr3
.LBB143_2064:
	s_andn2_saveexec_b64 s[4:5], s[4:5]
; %bb.2065:
	s_mov_b32 s6, 0x7f800000
	v_mov_b32_e32 v4, 0x7e
	v_mov_b32_e32 v5, 0x7f
	v_cmp_lt_u32_e32 vcc, s6, v3
	v_cndmask_b32_e32 v4, v4, v5, vcc
; %bb.2066:
	s_or_b64 exec, exec, s[4:5]
	global_store_byte v[1:2], v4, off
.LBB143_2067:
	s_mov_b64 s[4:5], 0
.LBB143_2068:
	s_andn2_b64 vcc, exec, s[4:5]
	s_cbranch_vccnz .LBB143_2078
; %bb.2069:
	v_cndmask_b32_e64 v3, 0, 1.0, s[12:13]
	s_mov_b32 s4, 0x47800000
	v_cmp_gt_u32_e32 vcc, s4, v3
                                        ; implicit-def: $vgpr4
	s_and_saveexec_b64 s[4:5], vcc
	s_xor_b64 s[4:5], exec, s[4:5]
	s_cbranch_execz .LBB143_2075
; %bb.2070:
	s_mov_b32 s6, 0x387fffff
	v_cmp_lt_u32_e32 vcc, s6, v3
                                        ; implicit-def: $vgpr4
	s_and_saveexec_b64 s[6:7], vcc
	s_xor_b64 s[6:7], exec, s[6:7]
; %bb.2071:
	v_bfe_u32 v4, v3, 21, 1
	s_mov_b32 s14, 0x80fffff
	v_add3_u32 v3, v3, v4, s14
	v_lshrrev_b32_e32 v4, 21, v3
                                        ; implicit-def: $vgpr3
; %bb.2072:
	s_andn2_saveexec_b64 s[6:7], s[6:7]
; %bb.2073:
	v_add_f32_e32 v4, 0x43000000, v3
; %bb.2074:
	s_or_b64 exec, exec, s[6:7]
                                        ; implicit-def: $vgpr3
.LBB143_2075:
	s_andn2_saveexec_b64 s[4:5], s[4:5]
; %bb.2076:
	s_mov_b32 s6, 0x7f800000
	v_mov_b32_e32 v4, 0x7c
	v_mov_b32_e32 v5, 0x7f
	v_cmp_lt_u32_e32 vcc, s6, v3
	v_cndmask_b32_e32 v4, v4, v5, vcc
; %bb.2077:
	s_or_b64 exec, exec, s[4:5]
	global_store_byte v[1:2], v4, off
.LBB143_2078:
	s_mov_b64 s[4:5], 0
	s_mov_b64 s[6:7], -1
.LBB143_2079:
	s_andn2_b64 vcc, exec, s[4:5]
	s_mov_b64 s[4:5], 0
	s_cbranch_vccnz .LBB143_2086
; %bb.2080:
	s_cmp_gt_i32 s20, 14
	s_mov_b64 s[14:15], -1
	s_cbranch_scc0 .LBB143_2084
; %bb.2081:
	s_cmp_eq_u32 s20, 15
	s_mov_b64 s[0:1], -1
	s_cbranch_scc0 .LBB143_2083
; %bb.2082:
	v_cndmask_b32_e64 v3, 0, 1.0, s[12:13]
	v_bfe_u32 v4, v3, 16, 1
	s_movk_i32 s0, 0x7fff
	v_add3_u32 v3, v3, v4, s0
	global_store_short_d16_hi v[1:2], v3, off
	s_mov_b64 s[0:1], 0
	s_mov_b64 s[6:7], -1
.LBB143_2083:
	s_mov_b64 s[14:15], 0
.LBB143_2084:
	s_and_b64 vcc, exec, s[14:15]
	s_cbranch_vccz .LBB143_2086
; %bb.2085:
	s_cmp_lg_u32 s20, 11
	s_mov_b64 s[4:5], -1
	s_cselect_b64 s[0:1], -1, 0
.LBB143_2086:
	s_and_b64 vcc, exec, s[0:1]
	s_cbranch_vccnz .LBB143_2221
; %bb.2087:
	s_andn2_b64 vcc, exec, s[4:5]
	s_cbranch_vccnz .LBB143_2089
.LBB143_2088:
	v_cndmask_b32_e64 v3, 0, 1, s[12:13]
	s_mov_b64 s[6:7], -1
	global_store_byte v[1:2], v3, off
.LBB143_2089:
	s_mov_b64 s[0:1], 0
	s_branch .LBB143_2091
.LBB143_2090:
	s_mov_b64 s[0:1], -1
	s_mov_b64 s[6:7], 0
.LBB143_2091:
	s_and_b64 vcc, exec, s[0:1]
	s_cbranch_vccz .LBB143_2130
; %bb.2092:
	s_cmp_lt_i32 s20, 5
	s_mov_b64 s[0:1], -1
	s_cbranch_scc1 .LBB143_2113
; %bb.2093:
	s_cmp_lt_i32 s20, 8
	s_cbranch_scc1 .LBB143_2103
; %bb.2094:
	s_cmp_lt_i32 s20, 9
	s_cbranch_scc1 .LBB143_2100
; %bb.2095:
	s_cmp_gt_i32 s20, 9
	s_cbranch_scc0 .LBB143_2097
; %bb.2096:
	v_cndmask_b32_e64 v3, 0, 1, s[12:13]
	v_cvt_f64_u32_e32 v[3:4], v3
	v_mov_b32_e32 v5, 0
	v_mov_b32_e32 v6, v5
	s_mov_b64 s[0:1], 0
	global_store_dwordx4 v[1:2], v[3:6], off
.LBB143_2097:
	s_andn2_b64 vcc, exec, s[0:1]
	s_cbranch_vccnz .LBB143_2099
; %bb.2098:
	v_cndmask_b32_e64 v3, 0, 1.0, s[12:13]
	v_mov_b32_e32 v4, 0
	global_store_dwordx2 v[1:2], v[3:4], off
.LBB143_2099:
	s_mov_b64 s[0:1], 0
.LBB143_2100:
	s_andn2_b64 vcc, exec, s[0:1]
	s_cbranch_vccnz .LBB143_2102
; %bb.2101:
	v_cndmask_b32_e64 v3, 0, 1.0, s[12:13]
	v_cvt_f16_f32_e32 v3, v3
	global_store_dword v[1:2], v3, off
.LBB143_2102:
	s_mov_b64 s[0:1], 0
.LBB143_2103:
	s_andn2_b64 vcc, exec, s[0:1]
	s_cbranch_vccnz .LBB143_2112
; %bb.2104:
	s_cmp_lt_i32 s20, 6
	s_mov_b64 s[0:1], -1
	s_cbranch_scc1 .LBB143_2110
; %bb.2105:
	s_cmp_gt_i32 s20, 6
	s_cbranch_scc0 .LBB143_2107
; %bb.2106:
	v_cndmask_b32_e64 v3, 0, 1, s[12:13]
	v_cvt_f64_u32_e32 v[3:4], v3
	s_mov_b64 s[0:1], 0
	global_store_dwordx2 v[1:2], v[3:4], off
.LBB143_2107:
	s_andn2_b64 vcc, exec, s[0:1]
	s_cbranch_vccnz .LBB143_2109
; %bb.2108:
	v_cndmask_b32_e64 v3, 0, 1.0, s[12:13]
	global_store_dword v[1:2], v3, off
.LBB143_2109:
	s_mov_b64 s[0:1], 0
.LBB143_2110:
	s_andn2_b64 vcc, exec, s[0:1]
	s_cbranch_vccnz .LBB143_2112
; %bb.2111:
	v_cndmask_b32_e64 v3, 0, 1.0, s[12:13]
	v_cvt_f16_f32_e32 v3, v3
	global_store_short v[1:2], v3, off
.LBB143_2112:
	s_mov_b64 s[0:1], 0
.LBB143_2113:
	s_andn2_b64 vcc, exec, s[0:1]
	s_cbranch_vccnz .LBB143_2129
; %bb.2114:
	s_cmp_lt_i32 s20, 2
	s_mov_b64 s[0:1], -1
	s_cbranch_scc1 .LBB143_2124
; %bb.2115:
	s_cmp_lt_i32 s20, 3
	s_cbranch_scc1 .LBB143_2121
; %bb.2116:
	s_cmp_gt_i32 s20, 3
	s_cbranch_scc0 .LBB143_2118
; %bb.2117:
	s_mov_b32 s0, 0
	v_cndmask_b32_e64 v3, 0, 1, s[12:13]
	v_mov_b32_e32 v4, s0
	global_store_dwordx2 v[1:2], v[3:4], off
	s_mov_b64 s[0:1], 0
.LBB143_2118:
	s_andn2_b64 vcc, exec, s[0:1]
	s_cbranch_vccnz .LBB143_2120
; %bb.2119:
	v_cndmask_b32_e64 v3, 0, 1, s[12:13]
	global_store_dword v[1:2], v3, off
.LBB143_2120:
	s_mov_b64 s[0:1], 0
.LBB143_2121:
	s_andn2_b64 vcc, exec, s[0:1]
	s_cbranch_vccnz .LBB143_2123
; %bb.2122:
	v_cndmask_b32_e64 v3, 0, 1, s[12:13]
	global_store_short v[1:2], v3, off
.LBB143_2123:
	s_mov_b64 s[0:1], 0
.LBB143_2124:
	s_andn2_b64 vcc, exec, s[0:1]
	s_cbranch_vccnz .LBB143_2129
; %bb.2125:
	s_cmp_gt_i32 s20, 0
	s_mov_b64 s[0:1], -1
	s_cbranch_scc0 .LBB143_2127
; %bb.2126:
	v_cndmask_b32_e64 v3, 0, 1, s[12:13]
	global_store_byte v[1:2], v3, off
	s_mov_b64 s[0:1], 0
.LBB143_2127:
	s_andn2_b64 vcc, exec, s[0:1]
	s_cbranch_vccnz .LBB143_2129
; %bb.2128:
	v_cndmask_b32_e64 v3, 0, 1, s[12:13]
	global_store_byte v[1:2], v3, off
.LBB143_2129:
	s_mov_b64 s[6:7], -1
.LBB143_2130:
	s_andn2_b64 vcc, exec, s[6:7]
	s_cbranch_vccnz .LBB143_2207
; %bb.2131:
	v_mov_b32_e32 v1, s9
	v_add_co_u32_e32 v0, vcc, s8, v0
	s_cmp_lt_i32 s20, 11
	v_addc_co_u32_e32 v1, vcc, 0, v1, vcc
	s_cbranch_scc1 .LBB143_2208
; %bb.2132:
	s_mov_b64 s[6:7], -1
	s_mov_b64 s[4:5], 0
	s_cmp_gt_i32 s20, 25
	s_mov_b64 s[0:1], 0
	s_cbranch_scc0 .LBB143_2165
; %bb.2133:
	s_cmp_gt_i32 s20, 28
	s_cbranch_scc0 .LBB143_2149
; %bb.2134:
	s_cmp_gt_i32 s20, 43
	;; [unrolled: 3-line block ×3, first 2 shown]
	s_cbranch_scc0 .LBB143_2139
; %bb.2136:
	s_cmp_eq_u32 s20, 46
	s_mov_b64 s[0:1], -1
	s_cbranch_scc0 .LBB143_2138
; %bb.2137:
	v_cndmask_b32_e64 v2, 0, 1.0, s[10:11]
	v_bfe_u32 v3, v2, 16, 1
	s_movk_i32 s0, 0x7fff
	v_add3_u32 v2, v2, v3, s0
	v_lshrrev_b32_e32 v2, 16, v2
	global_store_dword v[0:1], v2, off
	s_mov_b64 s[0:1], 0
.LBB143_2138:
	s_mov_b64 s[6:7], 0
.LBB143_2139:
	s_and_b64 vcc, exec, s[6:7]
	s_cbranch_vccz .LBB143_2144
; %bb.2140:
	s_cmp_eq_u32 s20, 44
	s_mov_b64 s[0:1], -1
	s_cbranch_scc0 .LBB143_2144
; %bb.2141:
	v_cndmask_b32_e64 v3, 0, 1.0, s[10:11]
	v_lshrrev_b32_e32 v2, 23, v3
	s_movk_i32 s0, 0xff
	v_cmp_ne_u32_e32 vcc, s0, v2
	v_mov_b32_e32 v4, 0xff
	s_and_saveexec_b64 s[6:7], vcc
; %bb.2142:
	s_mov_b32 s0, 0x3fffff
	v_and_b32_e32 v4, 0x400000, v3
	v_and_or_b32 v3, v3, s0, v2
	v_cmp_ne_u32_e32 vcc, 0, v4
	v_cmp_ne_u32_e64 s[0:1], 0, v3
	s_and_b64 s[0:1], vcc, s[0:1]
	v_cndmask_b32_e64 v3, 0, 1, s[0:1]
	v_add_u32_e32 v4, v2, v3
; %bb.2143:
	s_or_b64 exec, exec, s[6:7]
	s_mov_b64 s[0:1], 0
	global_store_byte v[0:1], v4, off
.LBB143_2144:
	s_mov_b64 s[6:7], 0
.LBB143_2145:
	s_and_b64 vcc, exec, s[6:7]
	s_cbranch_vccz .LBB143_2148
; %bb.2146:
	s_cmp_eq_u32 s20, 29
	s_mov_b64 s[0:1], -1
	s_cbranch_scc0 .LBB143_2148
; %bb.2147:
	s_mov_b32 s0, 0
	v_cndmask_b32_e64 v2, 0, 1, s[10:11]
	v_mov_b32_e32 v3, s0
	global_store_dwordx2 v[0:1], v[2:3], off
	s_mov_b64 s[0:1], 0
.LBB143_2148:
	s_mov_b64 s[6:7], 0
.LBB143_2149:
	s_and_b64 vcc, exec, s[6:7]
	s_cbranch_vccz .LBB143_2164
; %bb.2150:
	s_cmp_lt_i32 s20, 27
	s_mov_b64 s[6:7], -1
	s_cbranch_scc1 .LBB143_2156
; %bb.2151:
	s_cmp_gt_i32 s20, 27
	s_cbranch_scc0 .LBB143_2153
; %bb.2152:
	v_cndmask_b32_e64 v2, 0, 1, s[10:11]
	global_store_dword v[0:1], v2, off
	s_mov_b64 s[6:7], 0
.LBB143_2153:
	s_andn2_b64 vcc, exec, s[6:7]
	s_cbranch_vccnz .LBB143_2155
; %bb.2154:
	v_cndmask_b32_e64 v2, 0, 1, s[10:11]
	global_store_short v[0:1], v2, off
.LBB143_2155:
	s_mov_b64 s[6:7], 0
.LBB143_2156:
	s_andn2_b64 vcc, exec, s[6:7]
	s_cbranch_vccnz .LBB143_2164
; %bb.2157:
	v_cndmask_b32_e64 v3, 0, 1.0, s[10:11]
	s_mov_b32 s6, 0x43800000
	v_cmp_gt_u32_e32 vcc, s6, v3
	v_mov_b32_e32 v4, 0x80
	s_and_saveexec_b64 s[6:7], vcc
	s_cbranch_execz .LBB143_2163
; %bb.2158:
	s_mov_b32 s8, 0x3bffffff
	v_cmp_lt_u32_e32 vcc, s8, v3
	s_mov_b64 s[8:9], 0
                                        ; implicit-def: $vgpr2
	s_and_saveexec_b64 s[12:13], vcc
	s_xor_b64 s[12:13], exec, s[12:13]
	s_cbranch_execz .LBB143_2224
; %bb.2159:
	v_bfe_u32 v2, v3, 20, 1
	s_mov_b32 s14, 0x487ffff
	v_add3_u32 v2, v3, v2, s14
	s_mov_b64 s[8:9], exec
	v_lshrrev_b32_e32 v2, 20, v2
                                        ; implicit-def: $vgpr3
	s_andn2_saveexec_b64 s[12:13], s[12:13]
	s_cbranch_execnz .LBB143_2225
.LBB143_2160:
	s_or_b64 exec, exec, s[12:13]
	v_mov_b32_e32 v4, 0
	s_and_saveexec_b64 s[12:13], s[8:9]
.LBB143_2161:
	v_mov_b32_e32 v4, v2
.LBB143_2162:
	s_or_b64 exec, exec, s[12:13]
.LBB143_2163:
	s_or_b64 exec, exec, s[6:7]
	global_store_byte v[0:1], v4, off
.LBB143_2164:
	s_mov_b64 s[6:7], 0
.LBB143_2165:
	s_and_b64 vcc, exec, s[6:7]
	s_cbranch_vccz .LBB143_2205
; %bb.2166:
	s_cmp_gt_i32 s20, 22
	s_mov_b64 s[4:5], -1
	s_cbranch_scc0 .LBB143_2198
; %bb.2167:
	s_cmp_lt_i32 s20, 24
	s_cbranch_scc1 .LBB143_2187
; %bb.2168:
	s_cmp_gt_i32 s20, 24
	s_cbranch_scc0 .LBB143_2176
; %bb.2169:
	v_cndmask_b32_e64 v3, 0, 1.0, s[10:11]
	s_mov_b32 s4, 0x47800000
	v_cmp_gt_u32_e32 vcc, s4, v3
	v_mov_b32_e32 v4, 0x80
	s_and_saveexec_b64 s[4:5], vcc
	s_cbranch_execz .LBB143_2175
; %bb.2170:
	s_mov_b32 s6, 0x37ffffff
	v_cmp_lt_u32_e32 vcc, s6, v3
	s_mov_b64 s[6:7], 0
                                        ; implicit-def: $vgpr2
	s_and_saveexec_b64 s[8:9], vcc
	s_xor_b64 s[8:9], exec, s[8:9]
	s_cbranch_execz .LBB143_2227
; %bb.2171:
	v_bfe_u32 v2, v3, 21, 1
	s_mov_b32 s12, 0x88fffff
	v_add3_u32 v2, v3, v2, s12
	s_mov_b64 s[6:7], exec
	v_lshrrev_b32_e32 v2, 21, v2
                                        ; implicit-def: $vgpr3
	s_andn2_saveexec_b64 s[8:9], s[8:9]
	s_cbranch_execnz .LBB143_2228
.LBB143_2172:
	s_or_b64 exec, exec, s[8:9]
	v_mov_b32_e32 v4, 0
	s_and_saveexec_b64 s[8:9], s[6:7]
.LBB143_2173:
	v_mov_b32_e32 v4, v2
.LBB143_2174:
	s_or_b64 exec, exec, s[8:9]
.LBB143_2175:
	s_or_b64 exec, exec, s[4:5]
	s_mov_b64 s[4:5], 0
	global_store_byte v[0:1], v4, off
.LBB143_2176:
	s_and_b64 vcc, exec, s[4:5]
	s_cbranch_vccz .LBB143_2186
; %bb.2177:
	v_cndmask_b32_e64 v2, 0, 1.0, s[10:11]
	s_mov_b32 s4, 0x43f00000
	v_cmp_gt_u32_e32 vcc, s4, v2
                                        ; implicit-def: $vgpr3
	s_and_saveexec_b64 s[4:5], vcc
	s_xor_b64 s[4:5], exec, s[4:5]
	s_cbranch_execz .LBB143_2183
; %bb.2178:
	s_mov_b32 s6, 0x3c7fffff
	v_cmp_lt_u32_e32 vcc, s6, v2
                                        ; implicit-def: $vgpr3
	s_and_saveexec_b64 s[6:7], vcc
	s_xor_b64 s[6:7], exec, s[6:7]
; %bb.2179:
	v_bfe_u32 v3, v2, 20, 1
	s_mov_b32 s8, 0x407ffff
	v_add3_u32 v2, v2, v3, s8
	v_lshrrev_b32_e32 v3, 20, v2
	v_and_b32_e32 v2, 0xff00000, v2
	s_mov_b32 s8, 0x7f00000
	v_mov_b32_e32 v4, 0x7e
	v_cmp_ne_u32_e32 vcc, s8, v2
	v_cndmask_b32_e32 v3, v4, v3, vcc
                                        ; implicit-def: $vgpr2
; %bb.2180:
	s_andn2_saveexec_b64 s[6:7], s[6:7]
; %bb.2181:
	v_add_f32_e32 v3, 0x46800000, v2
; %bb.2182:
	s_or_b64 exec, exec, s[6:7]
                                        ; implicit-def: $vgpr2
.LBB143_2183:
	s_andn2_saveexec_b64 s[4:5], s[4:5]
; %bb.2184:
	s_mov_b32 s6, 0x7f800000
	v_mov_b32_e32 v3, 0x7e
	v_mov_b32_e32 v4, 0x7f
	v_cmp_lt_u32_e32 vcc, s6, v2
	v_cndmask_b32_e32 v3, v3, v4, vcc
; %bb.2185:
	s_or_b64 exec, exec, s[4:5]
	global_store_byte v[0:1], v3, off
.LBB143_2186:
	s_mov_b64 s[4:5], 0
.LBB143_2187:
	s_andn2_b64 vcc, exec, s[4:5]
	s_cbranch_vccnz .LBB143_2197
; %bb.2188:
	v_cndmask_b32_e64 v2, 0, 1.0, s[10:11]
	s_mov_b32 s4, 0x47800000
	v_cmp_gt_u32_e32 vcc, s4, v2
                                        ; implicit-def: $vgpr3
	s_and_saveexec_b64 s[4:5], vcc
	s_xor_b64 s[4:5], exec, s[4:5]
	s_cbranch_execz .LBB143_2194
; %bb.2189:
	s_mov_b32 s6, 0x387fffff
	v_cmp_lt_u32_e32 vcc, s6, v2
                                        ; implicit-def: $vgpr3
	s_and_saveexec_b64 s[6:7], vcc
	s_xor_b64 s[6:7], exec, s[6:7]
; %bb.2190:
	v_bfe_u32 v3, v2, 21, 1
	s_mov_b32 s8, 0x80fffff
	v_add3_u32 v2, v2, v3, s8
	v_lshrrev_b32_e32 v3, 21, v2
                                        ; implicit-def: $vgpr2
; %bb.2191:
	s_andn2_saveexec_b64 s[6:7], s[6:7]
; %bb.2192:
	v_add_f32_e32 v3, 0x43000000, v2
; %bb.2193:
	s_or_b64 exec, exec, s[6:7]
                                        ; implicit-def: $vgpr2
.LBB143_2194:
	s_andn2_saveexec_b64 s[4:5], s[4:5]
; %bb.2195:
	s_mov_b32 s6, 0x7f800000
	v_mov_b32_e32 v3, 0x7c
	v_mov_b32_e32 v4, 0x7f
	v_cmp_lt_u32_e32 vcc, s6, v2
	v_cndmask_b32_e32 v3, v3, v4, vcc
; %bb.2196:
	s_or_b64 exec, exec, s[4:5]
	global_store_byte v[0:1], v3, off
.LBB143_2197:
	s_mov_b64 s[4:5], 0
.LBB143_2198:
	s_andn2_b64 vcc, exec, s[4:5]
	s_mov_b64 s[4:5], 0
	s_cbranch_vccnz .LBB143_2205
; %bb.2199:
	s_cmp_gt_i32 s20, 14
	s_mov_b64 s[6:7], -1
	s_cbranch_scc0 .LBB143_2203
; %bb.2200:
	s_cmp_eq_u32 s20, 15
	s_mov_b64 s[0:1], -1
	s_cbranch_scc0 .LBB143_2202
; %bb.2201:
	v_cndmask_b32_e64 v2, 0, 1.0, s[10:11]
	v_bfe_u32 v3, v2, 16, 1
	s_movk_i32 s0, 0x7fff
	v_add3_u32 v2, v2, v3, s0
	global_store_short_d16_hi v[0:1], v2, off
	s_mov_b64 s[0:1], 0
.LBB143_2202:
	s_mov_b64 s[6:7], 0
.LBB143_2203:
	s_and_b64 vcc, exec, s[6:7]
	s_cbranch_vccz .LBB143_2205
; %bb.2204:
	s_cmp_lg_u32 s20, 11
	s_mov_b64 s[4:5], -1
	s_cselect_b64 s[0:1], -1, 0
.LBB143_2205:
	s_and_b64 vcc, exec, s[0:1]
	s_cbranch_vccnz .LBB143_2226
.LBB143_2206:
	s_mov_b64 s[0:1], 0
	s_branch .LBB143_1727
.LBB143_2207:
	s_mov_b64 s[0:1], 0
	s_branch .LBB143_1726
.LBB143_2208:
	s_mov_b64 s[4:5], 0
	s_mov_b64 s[0:1], -1
	s_branch .LBB143_1727
.LBB143_2209:
	s_andn2_saveexec_b64 s[20:21], s[20:21]
	s_cbranch_execz .LBB143_1802
.LBB143_2210:
	v_add_f32_e32 v1, 0x46000000, v3
	v_and_b32_e32 v1, 0xff, v1
	v_cmp_ne_u32_e32 vcc, 0, v1
	s_andn2_b64 s[18:19], s[18:19], exec
	s_and_b64 s[24:25], vcc, exec
	s_or_b64 s[18:19], s[18:19], s[24:25]
	s_or_b64 exec, exec, s[20:21]
	v_mov_b32_e32 v7, 0
	s_and_saveexec_b64 s[20:21], s[18:19]
	s_cbranch_execnz .LBB143_1803
	s_branch .LBB143_1804
.LBB143_2211:
	s_trap 2
	s_or_b64 s[2:3], s[2:3], exec
	s_cbranch_execz .LBB143_1850
	s_branch .LBB143_1851
.LBB143_2212:
	s_andn2_saveexec_b64 s[18:19], s[18:19]
	s_cbranch_execz .LBB143_1815
.LBB143_2213:
	v_add_f32_e32 v1, 0x42800000, v3
	v_and_b32_e32 v1, 0xff, v1
	v_cmp_ne_u32_e32 vcc, 0, v1
	s_andn2_b64 s[16:17], s[16:17], exec
	s_and_b64 s[20:21], vcc, exec
	s_or_b64 s[16:17], s[16:17], s[20:21]
	s_or_b64 exec, exec, s[18:19]
	v_mov_b32_e32 v7, 0
	s_and_saveexec_b64 s[18:19], s[16:17]
	s_cbranch_execnz .LBB143_1816
	s_branch .LBB143_1817
.LBB143_2214:
	s_andn2_saveexec_b64 s[18:19], s[18:19]
	s_cbranch_execz .LBB143_1921
.LBB143_2215:
	v_add_f32_e32 v1, 0x46000000, v5
	v_and_b32_e32 v1, 0xff, v1
	v_cmp_ne_u32_e32 vcc, 0, v1
	s_andn2_b64 s[16:17], s[16:17], exec
	s_and_b64 s[24:25], vcc, exec
	s_or_b64 s[16:17], s[16:17], s[24:25]
	s_or_b64 exec, exec, s[18:19]
	v_mov_b32_e32 v6, 0
	s_and_saveexec_b64 s[18:19], s[16:17]
	s_cbranch_execnz .LBB143_1922
	s_branch .LBB143_1923
.LBB143_2216:
	s_trap 2
	s_or_b64 s[2:3], s[2:3], exec
	s_cbranch_execz .LBB143_1969
	s_branch .LBB143_1970
.LBB143_2217:
	s_andn2_saveexec_b64 s[16:17], s[16:17]
	s_cbranch_execz .LBB143_1934
.LBB143_2218:
	v_add_f32_e32 v1, 0x42800000, v5
	v_and_b32_e32 v1, 0xff, v1
	v_cmp_ne_u32_e32 vcc, 0, v1
	s_andn2_b64 s[14:15], s[14:15], exec
	s_and_b64 s[18:19], vcc, exec
	s_or_b64 s[14:15], s[14:15], s[18:19]
	s_or_b64 exec, exec, s[16:17]
	v_mov_b32_e32 v6, 0
	s_and_saveexec_b64 s[16:17], s[14:15]
	s_cbranch_execnz .LBB143_1935
	s_branch .LBB143_1936
.LBB143_2219:
	s_andn2_saveexec_b64 s[16:17], s[16:17]
	s_cbranch_execz .LBB143_2040
.LBB143_2220:
	v_add_f32_e32 v3, 0x46000000, v4
	v_and_b32_e32 v3, 0xff, v3
	v_cmp_ne_u32_e32 vcc, 0, v3
	s_andn2_b64 s[14:15], s[14:15], exec
	s_and_b64 s[18:19], vcc, exec
	s_or_b64 s[14:15], s[14:15], s[18:19]
	s_or_b64 exec, exec, s[16:17]
	v_mov_b32_e32 v5, 0
	s_and_saveexec_b64 s[16:17], s[14:15]
	s_cbranch_execnz .LBB143_2041
	s_branch .LBB143_2042
.LBB143_2221:
	s_trap 2
	s_or_b64 s[2:3], s[2:3], exec
	s_cbranch_execz .LBB143_2088
	s_branch .LBB143_2089
.LBB143_2222:
	s_andn2_saveexec_b64 s[14:15], s[14:15]
	s_cbranch_execz .LBB143_2053
.LBB143_2223:
	v_add_f32_e32 v3, 0x42800000, v4
	v_and_b32_e32 v3, 0xff, v3
	v_cmp_ne_u32_e32 vcc, 0, v3
	s_andn2_b64 s[6:7], s[6:7], exec
	s_and_b64 s[16:17], vcc, exec
	s_or_b64 s[6:7], s[6:7], s[16:17]
	s_or_b64 exec, exec, s[14:15]
	v_mov_b32_e32 v5, 0
	s_and_saveexec_b64 s[14:15], s[6:7]
	s_cbranch_execnz .LBB143_2054
	s_branch .LBB143_2055
.LBB143_2224:
	s_andn2_saveexec_b64 s[12:13], s[12:13]
	s_cbranch_execz .LBB143_2160
.LBB143_2225:
	v_add_f32_e32 v2, 0x46000000, v3
	v_and_b32_e32 v2, 0xff, v2
	v_cmp_ne_u32_e32 vcc, 0, v2
	s_andn2_b64 s[8:9], s[8:9], exec
	s_and_b64 s[14:15], vcc, exec
	s_or_b64 s[8:9], s[8:9], s[14:15]
	s_or_b64 exec, exec, s[12:13]
	v_mov_b32_e32 v4, 0
	s_and_saveexec_b64 s[12:13], s[8:9]
	s_cbranch_execnz .LBB143_2161
	s_branch .LBB143_2162
.LBB143_2226:
	s_mov_b64 s[4:5], 0
	s_or_b64 s[2:3], s[2:3], exec
	s_trap 2
	s_branch .LBB143_2206
.LBB143_2227:
	s_andn2_saveexec_b64 s[8:9], s[8:9]
	s_cbranch_execz .LBB143_2172
.LBB143_2228:
	v_add_f32_e32 v2, 0x42800000, v3
	v_and_b32_e32 v2, 0xff, v2
	v_cmp_ne_u32_e32 vcc, 0, v2
	s_andn2_b64 s[6:7], s[6:7], exec
	s_and_b64 s[12:13], vcc, exec
	s_or_b64 s[6:7], s[6:7], s[12:13]
	s_or_b64 exec, exec, s[8:9]
	v_mov_b32_e32 v4, 0
	s_and_saveexec_b64 s[8:9], s[6:7]
	s_cbranch_execnz .LBB143_2173
	s_branch .LBB143_2174
	.section	.rodata,"a",@progbits
	.p2align	6, 0x0
	.amdhsa_kernel _ZN2at6native32elementwise_kernel_manual_unrollILi128ELi4EZNS0_15gpu_kernel_implINS0_13AUnaryFunctorIN3c107complexIfEES6_bNS0_12_GLOBAL__N_116CompareEqFunctorIS6_EEEEEEvRNS_18TensorIteratorBaseERKT_EUlibE0_EEviT1_
		.amdhsa_group_segment_fixed_size 0
		.amdhsa_private_segment_fixed_size 0
		.amdhsa_kernarg_size 376
		.amdhsa_user_sgpr_count 6
		.amdhsa_user_sgpr_private_segment_buffer 1
		.amdhsa_user_sgpr_dispatch_ptr 0
		.amdhsa_user_sgpr_queue_ptr 0
		.amdhsa_user_sgpr_kernarg_segment_ptr 1
		.amdhsa_user_sgpr_dispatch_id 0
		.amdhsa_user_sgpr_flat_scratch_init 0
		.amdhsa_user_sgpr_private_segment_size 0
		.amdhsa_uses_dynamic_stack 0
		.amdhsa_system_sgpr_private_segment_wavefront_offset 0
		.amdhsa_system_sgpr_workgroup_id_x 1
		.amdhsa_system_sgpr_workgroup_id_y 0
		.amdhsa_system_sgpr_workgroup_id_z 0
		.amdhsa_system_sgpr_workgroup_info 0
		.amdhsa_system_vgpr_workitem_id 0
		.amdhsa_next_free_vgpr 18
		.amdhsa_next_free_sgpr 82
		.amdhsa_reserve_vcc 1
		.amdhsa_reserve_flat_scratch 0
		.amdhsa_float_round_mode_32 0
		.amdhsa_float_round_mode_16_64 0
		.amdhsa_float_denorm_mode_32 3
		.amdhsa_float_denorm_mode_16_64 3
		.amdhsa_dx10_clamp 1
		.amdhsa_ieee_mode 1
		.amdhsa_fp16_overflow 0
		.amdhsa_exception_fp_ieee_invalid_op 0
		.amdhsa_exception_fp_denorm_src 0
		.amdhsa_exception_fp_ieee_div_zero 0
		.amdhsa_exception_fp_ieee_overflow 0
		.amdhsa_exception_fp_ieee_underflow 0
		.amdhsa_exception_fp_ieee_inexact 0
		.amdhsa_exception_int_div_zero 0
	.end_amdhsa_kernel
	.section	.text._ZN2at6native32elementwise_kernel_manual_unrollILi128ELi4EZNS0_15gpu_kernel_implINS0_13AUnaryFunctorIN3c107complexIfEES6_bNS0_12_GLOBAL__N_116CompareEqFunctorIS6_EEEEEEvRNS_18TensorIteratorBaseERKT_EUlibE0_EEviT1_,"axG",@progbits,_ZN2at6native32elementwise_kernel_manual_unrollILi128ELi4EZNS0_15gpu_kernel_implINS0_13AUnaryFunctorIN3c107complexIfEES6_bNS0_12_GLOBAL__N_116CompareEqFunctorIS6_EEEEEEvRNS_18TensorIteratorBaseERKT_EUlibE0_EEviT1_,comdat
.Lfunc_end143:
	.size	_ZN2at6native32elementwise_kernel_manual_unrollILi128ELi4EZNS0_15gpu_kernel_implINS0_13AUnaryFunctorIN3c107complexIfEES6_bNS0_12_GLOBAL__N_116CompareEqFunctorIS6_EEEEEEvRNS_18TensorIteratorBaseERKT_EUlibE0_EEviT1_, .Lfunc_end143-_ZN2at6native32elementwise_kernel_manual_unrollILi128ELi4EZNS0_15gpu_kernel_implINS0_13AUnaryFunctorIN3c107complexIfEES6_bNS0_12_GLOBAL__N_116CompareEqFunctorIS6_EEEEEEvRNS_18TensorIteratorBaseERKT_EUlibE0_EEviT1_
                                        ; -- End function
	.set _ZN2at6native32elementwise_kernel_manual_unrollILi128ELi4EZNS0_15gpu_kernel_implINS0_13AUnaryFunctorIN3c107complexIfEES6_bNS0_12_GLOBAL__N_116CompareEqFunctorIS6_EEEEEEvRNS_18TensorIteratorBaseERKT_EUlibE0_EEviT1_.num_vgpr, 18
	.set _ZN2at6native32elementwise_kernel_manual_unrollILi128ELi4EZNS0_15gpu_kernel_implINS0_13AUnaryFunctorIN3c107complexIfEES6_bNS0_12_GLOBAL__N_116CompareEqFunctorIS6_EEEEEEvRNS_18TensorIteratorBaseERKT_EUlibE0_EEviT1_.num_agpr, 0
	.set _ZN2at6native32elementwise_kernel_manual_unrollILi128ELi4EZNS0_15gpu_kernel_implINS0_13AUnaryFunctorIN3c107complexIfEES6_bNS0_12_GLOBAL__N_116CompareEqFunctorIS6_EEEEEEvRNS_18TensorIteratorBaseERKT_EUlibE0_EEviT1_.numbered_sgpr, 82
	.set _ZN2at6native32elementwise_kernel_manual_unrollILi128ELi4EZNS0_15gpu_kernel_implINS0_13AUnaryFunctorIN3c107complexIfEES6_bNS0_12_GLOBAL__N_116CompareEqFunctorIS6_EEEEEEvRNS_18TensorIteratorBaseERKT_EUlibE0_EEviT1_.num_named_barrier, 0
	.set _ZN2at6native32elementwise_kernel_manual_unrollILi128ELi4EZNS0_15gpu_kernel_implINS0_13AUnaryFunctorIN3c107complexIfEES6_bNS0_12_GLOBAL__N_116CompareEqFunctorIS6_EEEEEEvRNS_18TensorIteratorBaseERKT_EUlibE0_EEviT1_.private_seg_size, 0
	.set _ZN2at6native32elementwise_kernel_manual_unrollILi128ELi4EZNS0_15gpu_kernel_implINS0_13AUnaryFunctorIN3c107complexIfEES6_bNS0_12_GLOBAL__N_116CompareEqFunctorIS6_EEEEEEvRNS_18TensorIteratorBaseERKT_EUlibE0_EEviT1_.uses_vcc, 1
	.set _ZN2at6native32elementwise_kernel_manual_unrollILi128ELi4EZNS0_15gpu_kernel_implINS0_13AUnaryFunctorIN3c107complexIfEES6_bNS0_12_GLOBAL__N_116CompareEqFunctorIS6_EEEEEEvRNS_18TensorIteratorBaseERKT_EUlibE0_EEviT1_.uses_flat_scratch, 0
	.set _ZN2at6native32elementwise_kernel_manual_unrollILi128ELi4EZNS0_15gpu_kernel_implINS0_13AUnaryFunctorIN3c107complexIfEES6_bNS0_12_GLOBAL__N_116CompareEqFunctorIS6_EEEEEEvRNS_18TensorIteratorBaseERKT_EUlibE0_EEviT1_.has_dyn_sized_stack, 0
	.set _ZN2at6native32elementwise_kernel_manual_unrollILi128ELi4EZNS0_15gpu_kernel_implINS0_13AUnaryFunctorIN3c107complexIfEES6_bNS0_12_GLOBAL__N_116CompareEqFunctorIS6_EEEEEEvRNS_18TensorIteratorBaseERKT_EUlibE0_EEviT1_.has_recursion, 0
	.set _ZN2at6native32elementwise_kernel_manual_unrollILi128ELi4EZNS0_15gpu_kernel_implINS0_13AUnaryFunctorIN3c107complexIfEES6_bNS0_12_GLOBAL__N_116CompareEqFunctorIS6_EEEEEEvRNS_18TensorIteratorBaseERKT_EUlibE0_EEviT1_.has_indirect_call, 0
	.section	.AMDGPU.csdata,"",@progbits
; Kernel info:
; codeLenInByte = 37596
; TotalNumSgprs: 86
; NumVgprs: 18
; ScratchSize: 0
; MemoryBound: 1
; FloatMode: 240
; IeeeMode: 1
; LDSByteSize: 0 bytes/workgroup (compile time only)
; SGPRBlocks: 10
; VGPRBlocks: 4
; NumSGPRsForWavesPerEU: 86
; NumVGPRsForWavesPerEU: 18
; Occupancy: 9
; WaveLimiterHint : 1
; COMPUTE_PGM_RSRC2:SCRATCH_EN: 0
; COMPUTE_PGM_RSRC2:USER_SGPR: 6
; COMPUTE_PGM_RSRC2:TRAP_HANDLER: 0
; COMPUTE_PGM_RSRC2:TGID_X_EN: 1
; COMPUTE_PGM_RSRC2:TGID_Y_EN: 0
; COMPUTE_PGM_RSRC2:TGID_Z_EN: 0
; COMPUTE_PGM_RSRC2:TIDIG_COMP_CNT: 0
	.section	.text._ZN2at6native29vectorized_elementwise_kernelILi16ENS0_13BinaryFunctorIN3c107complexINS3_4HalfEEES6_bNS0_12_GLOBAL__N_116CompareEqFunctorIS6_EEEESt5arrayIPcLm3EEEEviT0_T1_,"axG",@progbits,_ZN2at6native29vectorized_elementwise_kernelILi16ENS0_13BinaryFunctorIN3c107complexINS3_4HalfEEES6_bNS0_12_GLOBAL__N_116CompareEqFunctorIS6_EEEESt5arrayIPcLm3EEEEviT0_T1_,comdat
	.globl	_ZN2at6native29vectorized_elementwise_kernelILi16ENS0_13BinaryFunctorIN3c107complexINS3_4HalfEEES6_bNS0_12_GLOBAL__N_116CompareEqFunctorIS6_EEEESt5arrayIPcLm3EEEEviT0_T1_ ; -- Begin function _ZN2at6native29vectorized_elementwise_kernelILi16ENS0_13BinaryFunctorIN3c107complexINS3_4HalfEEES6_bNS0_12_GLOBAL__N_116CompareEqFunctorIS6_EEEESt5arrayIPcLm3EEEEviT0_T1_
	.p2align	8
	.type	_ZN2at6native29vectorized_elementwise_kernelILi16ENS0_13BinaryFunctorIN3c107complexINS3_4HalfEEES6_bNS0_12_GLOBAL__N_116CompareEqFunctorIS6_EEEESt5arrayIPcLm3EEEEviT0_T1_,@function
_ZN2at6native29vectorized_elementwise_kernelILi16ENS0_13BinaryFunctorIN3c107complexINS3_4HalfEEES6_bNS0_12_GLOBAL__N_116CompareEqFunctorIS6_EEEESt5arrayIPcLm3EEEEviT0_T1_: ; @_ZN2at6native29vectorized_elementwise_kernelILi16ENS0_13BinaryFunctorIN3c107complexINS3_4HalfEEES6_bNS0_12_GLOBAL__N_116CompareEqFunctorIS6_EEEESt5arrayIPcLm3EEEEviT0_T1_
; %bb.0:
	s_load_dwordx2 s[2:3], s[4:5], 0x0
	s_load_dwordx4 s[8:11], s[4:5], 0x8
	s_load_dwordx2 s[12:13], s[4:5], 0x18
	s_lshl_b32 s4, s6, 12
	s_mov_b64 s[0:1], -1
	s_waitcnt lgkmcnt(0)
	s_sub_i32 s33, s2, s4
	s_cmpk_gt_i32 s33, 0xfff
	s_cbranch_scc0 .LBB144_50
; %bb.1:
	s_ashr_i32 s5, s4, 31
	s_lshl_b64 s[0:1], s[4:5], 2
	s_add_u32 s6, s10, s0
	s_addc_u32 s7, s11, s1
	s_add_u32 s0, s12, s0
	v_lshlrev_b32_e32 v33, 6, v0
	s_addc_u32 s1, s13, s1
	global_load_dwordx4 v[1:4], v33, s[6:7] offset:48
	global_load_dwordx4 v[9:12], v33, s[6:7] offset:32
	global_load_dwordx4 v[17:20], v33, s[6:7] offset:16
	global_load_dwordx4 v[25:28], v33, s[6:7]
	global_load_dwordx4 v[5:8], v33, s[0:1] offset:48
	global_load_dwordx4 v[13:16], v33, s[0:1] offset:32
	;; [unrolled: 1-line block ×3, first 2 shown]
	global_load_dwordx4 v[29:32], v33, s[0:1]
	s_cmp_lg_u32 s3, 0
	s_cselect_b64 s[14:15], -1, 0
	s_and_b64 vcc, exec, s[14:15]
	s_cbranch_vccz .LBB144_196
; %bb.2:
	s_waitcnt vmcnt(0)
	v_cmp_neq_f16_e32 vcc, v25, v29
	v_cmp_neq_f16_sdwa s[0:1], v25, v29 src0_sel:WORD_1 src1_sel:WORD_1
	s_or_b64 s[6:7], vcc, s[0:1]
	s_cbranch_execnz .LBB144_4
.LBB144_3:
	s_waitcnt vmcnt(0)
	v_cmp_eq_f16_e32 vcc, v25, v29
	v_cmp_eq_f16_sdwa s[0:1], v25, v29 src0_sel:WORD_1 src1_sel:WORD_1
	s_and_b64 s[0:1], vcc, s[0:1]
	s_andn2_b64 s[6:7], s[6:7], exec
	s_and_b64 s[0:1], s[0:1], exec
	s_or_b64 s[6:7], s[6:7], s[0:1]
.LBB144_4:
	s_waitcnt vmcnt(4)
	v_cndmask_b32_e64 v25, 0, 1, s[14:15]
	v_cmp_ne_u32_e64 s[0:1], 1, v25
	s_andn2_b64 vcc, exec, s[14:15]
	s_cbranch_vccnz .LBB144_197
; %bb.5:
	s_waitcnt vmcnt(0)
	v_cmp_neq_f16_e32 vcc, v26, v30
	v_cmp_neq_f16_sdwa s[14:15], v26, v30 src0_sel:WORD_1 src1_sel:WORD_1
	s_or_b64 s[14:15], vcc, s[14:15]
	s_cbranch_execnz .LBB144_7
.LBB144_6:
	s_waitcnt vmcnt(0)
	v_cmp_eq_f16_e32 vcc, v26, v30
	v_cmp_eq_f16_sdwa s[16:17], v26, v30 src0_sel:WORD_1 src1_sel:WORD_1
	s_and_b64 s[16:17], vcc, s[16:17]
	s_andn2_b64 s[14:15], s[14:15], exec
	s_and_b64 s[16:17], s[16:17], exec
	s_or_b64 s[14:15], s[14:15], s[16:17]
.LBB144_7:
	s_and_b64 vcc, exec, s[0:1]
	s_cbranch_vccnz .LBB144_198
; %bb.8:
	s_waitcnt vmcnt(0)
	v_cmp_neq_f16_e32 vcc, v27, v31
	v_cmp_neq_f16_sdwa s[16:17], v27, v31 src0_sel:WORD_1 src1_sel:WORD_1
	s_or_b64 s[16:17], vcc, s[16:17]
	s_cbranch_execnz .LBB144_10
.LBB144_9:
	s_waitcnt vmcnt(0)
	v_cmp_eq_f16_e32 vcc, v27, v31
	v_cmp_eq_f16_sdwa s[18:19], v27, v31 src0_sel:WORD_1 src1_sel:WORD_1
	s_and_b64 s[18:19], vcc, s[18:19]
	s_andn2_b64 s[16:17], s[16:17], exec
	s_and_b64 s[18:19], s[18:19], exec
	s_or_b64 s[16:17], s[16:17], s[18:19]
.LBB144_10:
	s_and_b64 vcc, exec, s[0:1]
	s_cbranch_vccnz .LBB144_199
; %bb.11:
	s_waitcnt vmcnt(0)
	v_cmp_neq_f16_e32 vcc, v28, v32
	v_cmp_neq_f16_sdwa s[18:19], v28, v32 src0_sel:WORD_1 src1_sel:WORD_1
	s_or_b64 s[18:19], vcc, s[18:19]
	s_cbranch_execnz .LBB144_13
.LBB144_12:
	s_waitcnt vmcnt(0)
	v_cmp_eq_f16_e32 vcc, v28, v32
	v_cmp_eq_f16_sdwa s[20:21], v28, v32 src0_sel:WORD_1 src1_sel:WORD_1
	s_and_b64 s[20:21], vcc, s[20:21]
	s_andn2_b64 s[18:19], s[18:19], exec
	s_and_b64 s[20:21], s[20:21], exec
	s_or_b64 s[18:19], s[18:19], s[20:21]
.LBB144_13:
	s_and_b64 vcc, exec, s[0:1]
	s_cbranch_vccnz .LBB144_200
; %bb.14:
	s_waitcnt vmcnt(1)
	v_cmp_neq_f16_e32 vcc, v17, v21
	v_cmp_neq_f16_sdwa s[20:21], v17, v21 src0_sel:WORD_1 src1_sel:WORD_1
	s_or_b64 s[20:21], vcc, s[20:21]
	s_cbranch_execnz .LBB144_16
.LBB144_15:
	s_waitcnt vmcnt(1)
	v_cmp_eq_f16_e32 vcc, v17, v21
	v_cmp_eq_f16_sdwa s[22:23], v17, v21 src0_sel:WORD_1 src1_sel:WORD_1
	s_and_b64 s[22:23], vcc, s[22:23]
	s_andn2_b64 s[20:21], s[20:21], exec
	s_and_b64 s[22:23], s[22:23], exec
	s_or_b64 s[20:21], s[20:21], s[22:23]
.LBB144_16:
	s_and_b64 vcc, exec, s[0:1]
	s_cbranch_vccnz .LBB144_201
; %bb.17:
	s_waitcnt vmcnt(1)
	v_cmp_neq_f16_e32 vcc, v18, v22
	v_cmp_neq_f16_sdwa s[22:23], v18, v22 src0_sel:WORD_1 src1_sel:WORD_1
	s_or_b64 s[22:23], vcc, s[22:23]
	s_cbranch_execnz .LBB144_19
.LBB144_18:
	s_waitcnt vmcnt(1)
	v_cmp_eq_f16_e32 vcc, v18, v22
	v_cmp_eq_f16_sdwa s[24:25], v18, v22 src0_sel:WORD_1 src1_sel:WORD_1
	s_and_b64 s[24:25], vcc, s[24:25]
	s_andn2_b64 s[22:23], s[22:23], exec
	s_and_b64 s[24:25], s[24:25], exec
	s_or_b64 s[22:23], s[22:23], s[24:25]
.LBB144_19:
	s_and_b64 vcc, exec, s[0:1]
	s_cbranch_vccnz .LBB144_202
; %bb.20:
	s_waitcnt vmcnt(1)
	v_cmp_neq_f16_e32 vcc, v19, v23
	v_cmp_neq_f16_sdwa s[24:25], v19, v23 src0_sel:WORD_1 src1_sel:WORD_1
	s_or_b64 s[24:25], vcc, s[24:25]
	s_cbranch_execnz .LBB144_22
.LBB144_21:
	s_waitcnt vmcnt(1)
	v_cmp_eq_f16_e32 vcc, v19, v23
	v_cmp_eq_f16_sdwa s[26:27], v19, v23 src0_sel:WORD_1 src1_sel:WORD_1
	s_and_b64 s[26:27], vcc, s[26:27]
	s_andn2_b64 s[24:25], s[24:25], exec
	s_and_b64 s[26:27], s[26:27], exec
	s_or_b64 s[24:25], s[24:25], s[26:27]
.LBB144_22:
	s_and_b64 vcc, exec, s[0:1]
	s_cbranch_vccnz .LBB144_203
; %bb.23:
	s_waitcnt vmcnt(1)
	v_cmp_neq_f16_e32 vcc, v20, v24
	v_cmp_neq_f16_sdwa s[26:27], v20, v24 src0_sel:WORD_1 src1_sel:WORD_1
	s_or_b64 s[26:27], vcc, s[26:27]
	s_cbranch_execnz .LBB144_25
.LBB144_24:
	s_waitcnt vmcnt(1)
	v_cmp_eq_f16_e32 vcc, v20, v24
	v_cmp_eq_f16_sdwa s[28:29], v20, v24 src0_sel:WORD_1 src1_sel:WORD_1
	s_and_b64 s[28:29], vcc, s[28:29]
	s_andn2_b64 s[26:27], s[26:27], exec
	s_and_b64 s[28:29], s[28:29], exec
	s_or_b64 s[26:27], s[26:27], s[28:29]
.LBB144_25:
	s_and_b64 vcc, exec, s[0:1]
	s_cbranch_vccnz .LBB144_204
; %bb.26:
	s_waitcnt vmcnt(2)
	v_cmp_neq_f16_e32 vcc, v9, v13
	v_cmp_neq_f16_sdwa s[28:29], v9, v13 src0_sel:WORD_1 src1_sel:WORD_1
	s_or_b64 s[28:29], vcc, s[28:29]
	s_cbranch_execnz .LBB144_28
.LBB144_27:
	s_waitcnt vmcnt(2)
	v_cmp_eq_f16_e32 vcc, v9, v13
	v_cmp_eq_f16_sdwa s[30:31], v9, v13 src0_sel:WORD_1 src1_sel:WORD_1
	s_and_b64 s[30:31], vcc, s[30:31]
	s_andn2_b64 s[28:29], s[28:29], exec
	s_and_b64 s[30:31], s[30:31], exec
	s_or_b64 s[28:29], s[28:29], s[30:31]
.LBB144_28:
	s_and_b64 vcc, exec, s[0:1]
	s_cbranch_vccnz .LBB144_205
; %bb.29:
	s_waitcnt vmcnt(2)
	v_cmp_neq_f16_e32 vcc, v10, v14
	v_cmp_neq_f16_sdwa s[30:31], v10, v14 src0_sel:WORD_1 src1_sel:WORD_1
	s_or_b64 s[30:31], vcc, s[30:31]
	s_cbranch_execnz .LBB144_31
.LBB144_30:
	s_waitcnt vmcnt(2)
	v_cmp_eq_f16_e32 vcc, v10, v14
	v_cmp_eq_f16_sdwa s[34:35], v10, v14 src0_sel:WORD_1 src1_sel:WORD_1
	s_and_b64 s[34:35], vcc, s[34:35]
	s_andn2_b64 s[30:31], s[30:31], exec
	s_and_b64 s[34:35], s[34:35], exec
	s_or_b64 s[30:31], s[30:31], s[34:35]
.LBB144_31:
	s_and_b64 vcc, exec, s[0:1]
	s_cbranch_vccnz .LBB144_206
; %bb.32:
	s_waitcnt vmcnt(2)
	v_cmp_neq_f16_e32 vcc, v11, v15
	v_cmp_neq_f16_sdwa s[34:35], v11, v15 src0_sel:WORD_1 src1_sel:WORD_1
	s_or_b64 s[34:35], vcc, s[34:35]
	s_cbranch_execnz .LBB144_34
.LBB144_33:
	s_waitcnt vmcnt(2)
	v_cmp_eq_f16_e32 vcc, v11, v15
	v_cmp_eq_f16_sdwa s[36:37], v11, v15 src0_sel:WORD_1 src1_sel:WORD_1
	s_and_b64 s[36:37], vcc, s[36:37]
	s_andn2_b64 s[34:35], s[34:35], exec
	s_and_b64 s[36:37], s[36:37], exec
	s_or_b64 s[34:35], s[34:35], s[36:37]
.LBB144_34:
	s_and_b64 vcc, exec, s[0:1]
	s_cbranch_vccnz .LBB144_207
; %bb.35:
	s_waitcnt vmcnt(2)
	v_cmp_neq_f16_e32 vcc, v12, v16
	v_cmp_neq_f16_sdwa s[36:37], v12, v16 src0_sel:WORD_1 src1_sel:WORD_1
	s_or_b64 s[36:37], vcc, s[36:37]
	s_cbranch_execnz .LBB144_37
.LBB144_36:
	s_waitcnt vmcnt(2)
	v_cmp_eq_f16_e32 vcc, v12, v16
	v_cmp_eq_f16_sdwa s[38:39], v12, v16 src0_sel:WORD_1 src1_sel:WORD_1
	s_and_b64 s[38:39], vcc, s[38:39]
	s_andn2_b64 s[36:37], s[36:37], exec
	s_and_b64 s[38:39], s[38:39], exec
	s_or_b64 s[36:37], s[36:37], s[38:39]
.LBB144_37:
	s_and_b64 vcc, exec, s[0:1]
	s_cbranch_vccnz .LBB144_208
; %bb.38:
	s_waitcnt vmcnt(3)
	v_cmp_neq_f16_e32 vcc, v1, v5
	v_cmp_neq_f16_sdwa s[38:39], v1, v5 src0_sel:WORD_1 src1_sel:WORD_1
	s_or_b64 s[38:39], vcc, s[38:39]
	s_cbranch_execnz .LBB144_40
.LBB144_39:
	s_waitcnt vmcnt(3)
	v_cmp_eq_f16_e32 vcc, v1, v5
	v_cmp_eq_f16_sdwa s[40:41], v1, v5 src0_sel:WORD_1 src1_sel:WORD_1
	s_and_b64 s[40:41], vcc, s[40:41]
	s_andn2_b64 s[38:39], s[38:39], exec
	s_and_b64 s[40:41], s[40:41], exec
	s_or_b64 s[38:39], s[38:39], s[40:41]
.LBB144_40:
	s_and_b64 vcc, exec, s[0:1]
	s_cbranch_vccnz .LBB144_209
; %bb.41:
	s_waitcnt vmcnt(3)
	v_cmp_neq_f16_e32 vcc, v2, v6
	v_cmp_neq_f16_sdwa s[40:41], v2, v6 src0_sel:WORD_1 src1_sel:WORD_1
	s_or_b64 s[40:41], vcc, s[40:41]
	s_cbranch_execnz .LBB144_43
.LBB144_42:
	s_waitcnt vmcnt(3)
	v_cmp_eq_f16_e32 vcc, v2, v6
	v_cmp_eq_f16_sdwa s[42:43], v2, v6 src0_sel:WORD_1 src1_sel:WORD_1
	s_and_b64 s[42:43], vcc, s[42:43]
	s_andn2_b64 s[40:41], s[40:41], exec
	s_and_b64 s[42:43], s[42:43], exec
	s_or_b64 s[40:41], s[40:41], s[42:43]
.LBB144_43:
	s_and_b64 vcc, exec, s[0:1]
	s_cbranch_vccnz .LBB144_210
; %bb.44:
	s_waitcnt vmcnt(3)
	v_cmp_neq_f16_e32 vcc, v3, v7
	v_cmp_neq_f16_sdwa s[42:43], v3, v7 src0_sel:WORD_1 src1_sel:WORD_1
	s_or_b64 s[42:43], vcc, s[42:43]
	s_cbranch_execnz .LBB144_46
.LBB144_45:
	s_waitcnt vmcnt(3)
	v_cmp_eq_f16_e32 vcc, v3, v7
	v_cmp_eq_f16_sdwa s[44:45], v3, v7 src0_sel:WORD_1 src1_sel:WORD_1
	s_and_b64 s[44:45], vcc, s[44:45]
	s_andn2_b64 s[42:43], s[42:43], exec
	s_and_b64 s[44:45], s[44:45], exec
	s_or_b64 s[42:43], s[42:43], s[44:45]
.LBB144_46:
	s_and_b64 vcc, exec, s[0:1]
	s_cbranch_vccnz .LBB144_211
; %bb.47:
	s_waitcnt vmcnt(3)
	v_cmp_neq_f16_e32 vcc, v4, v8
	v_cmp_neq_f16_sdwa s[0:1], v4, v8 src0_sel:WORD_1 src1_sel:WORD_1
	s_or_b64 s[0:1], vcc, s[0:1]
	s_cbranch_execnz .LBB144_49
.LBB144_48:
	s_waitcnt vmcnt(3)
	v_cmp_eq_f16_e32 vcc, v4, v8
	v_cmp_eq_f16_sdwa s[44:45], v4, v8 src0_sel:WORD_1 src1_sel:WORD_1
	s_and_b64 s[44:45], vcc, s[44:45]
	s_andn2_b64 s[0:1], s[0:1], exec
	s_and_b64 s[44:45], s[44:45], exec
	s_or_b64 s[0:1], s[0:1], s[44:45]
.LBB144_49:
	v_cndmask_b32_e64 v1, 0, 1, s[14:15]
	v_lshlrev_b16_e32 v1, 8, v1
	v_cndmask_b32_e64 v2, 0, 1, s[6:7]
	v_or_b32_e32 v1, v2, v1
	v_cndmask_b32_e64 v2, 0, 1, s[18:19]
	v_lshlrev_b16_e32 v2, 8, v2
	v_cndmask_b32_e64 v3, 0, 1, s[16:17]
	v_or_b32_sdwa v2, v3, v2 dst_sel:WORD_1 dst_unused:UNUSED_PAD src0_sel:DWORD src1_sel:DWORD
	v_or_b32_sdwa v1, v1, v2 dst_sel:DWORD dst_unused:UNUSED_PAD src0_sel:WORD_0 src1_sel:DWORD
	v_cndmask_b32_e64 v2, 0, 1, s[22:23]
	v_lshlrev_b16_e32 v2, 8, v2
	v_cndmask_b32_e64 v3, 0, 1, s[20:21]
	v_or_b32_e32 v2, v3, v2
	v_cndmask_b32_e64 v3, 0, 1, s[26:27]
	v_lshlrev_b16_e32 v3, 8, v3
	v_cndmask_b32_e64 v4, 0, 1, s[24:25]
	v_or_b32_sdwa v3, v4, v3 dst_sel:WORD_1 dst_unused:UNUSED_PAD src0_sel:DWORD src1_sel:DWORD
	v_or_b32_sdwa v2, v2, v3 dst_sel:DWORD dst_unused:UNUSED_PAD src0_sel:WORD_0 src1_sel:DWORD
	v_cndmask_b32_e64 v3, 0, 1, s[30:31]
	v_lshlrev_b16_e32 v3, 8, v3
	v_cndmask_b32_e64 v4, 0, 1, s[28:29]
	v_or_b32_e32 v3, v4, v3
	v_cndmask_b32_e64 v4, 0, 1, s[36:37]
	v_lshlrev_b16_e32 v4, 8, v4
	s_waitcnt vmcnt(3)
	v_cndmask_b32_e64 v6, 0, 1, s[34:35]
	v_or_b32_sdwa v4, v6, v4 dst_sel:WORD_1 dst_unused:UNUSED_PAD src0_sel:DWORD src1_sel:DWORD
	v_or_b32_sdwa v3, v3, v4 dst_sel:DWORD dst_unused:UNUSED_PAD src0_sel:WORD_0 src1_sel:DWORD
	v_cndmask_b32_e64 v4, 0, 1, s[40:41]
	v_lshlrev_b16_e32 v4, 8, v4
	v_cndmask_b32_e64 v6, 0, 1, s[38:39]
	v_or_b32_e32 v4, v6, v4
	v_cndmask_b32_e64 v6, 0, 1, s[0:1]
	v_lshlrev_b16_e32 v6, 8, v6
	v_cndmask_b32_e64 v7, 0, 1, s[42:43]
	s_add_u32 s44, s8, s4
	v_or_b32_sdwa v6, v7, v6 dst_sel:WORD_1 dst_unused:UNUSED_PAD src0_sel:DWORD src1_sel:DWORD
	s_addc_u32 s45, s9, s5
	v_lshlrev_b32_e32 v5, 4, v0
	v_or_b32_sdwa v4, v4, v6 dst_sel:DWORD dst_unused:UNUSED_PAD src0_sel:WORD_0 src1_sel:DWORD
	s_mov_b64 s[0:1], 0
	global_store_dwordx4 v5, v[1:4], s[44:45]
.LBB144_50:
	s_and_b64 vcc, exec, s[0:1]
	s_cbranch_vccz .LBB144_195
; %bb.51:
	v_cmp_gt_i32_e64 s[0:1], s33, v0
	v_mov_b32_e32 v20, 0
	v_or_b32_e32 v1, s4, v0
	v_mov_b32_e32 v3, 0
	s_waitcnt vmcnt(2)
	v_mov_b32_e32 v21, 0
	v_mov_b32_e32 v22, 0
	;; [unrolled: 1-line block ×8, first 2 shown]
	s_waitcnt vmcnt(1)
	v_mov_b32_e32 v29, 0
	v_mov_b32_e32 v30, 0
	;; [unrolled: 1-line block ×22, first 2 shown]
	s_and_saveexec_b64 s[6:7], s[0:1]
	s_cbranch_execz .LBB144_83
; %bb.52:
	v_mov_b32_e32 v2, 0
	v_lshlrev_b64 v[3:4], 2, v[1:2]
	v_mov_b32_e32 v6, s11
	v_add_co_u32_e32 v5, vcc, s10, v3
	v_addc_co_u32_e32 v6, vcc, v6, v4, vcc
	global_load_dword v36, v[5:6], off
	v_mov_b32_e32 v5, s13
	v_add_co_u32_e32 v3, vcc, s12, v3
	v_addc_co_u32_e32 v4, vcc, v5, v4, vcc
	global_load_dword v37, v[3:4], off
	v_or_b32_e32 v3, 0x100, v0
	v_cmp_gt_u32_e32 vcc, s33, v3
	v_mov_b32_e32 v35, v2
	v_mov_b32_e32 v15, v2
	;; [unrolled: 1-line block ×29, first 2 shown]
	s_and_saveexec_b64 s[14:15], vcc
	s_cbranch_execz .LBB144_82
; %bb.53:
	v_add_u32_e32 v14, s4, v0
	v_mov_b32_e32 v15, 0
	v_lshlrev_b64 v[2:3], 2, v[14:15]
	v_mov_b32_e32 v4, s11
	v_add_co_u32_e32 v16, vcc, s10, v2
	v_addc_co_u32_e32 v17, vcc, v4, v3, vcc
	v_mov_b32_e32 v4, s13
	v_add_co_u32_e32 v18, vcc, s12, v2
	v_addc_co_u32_e32 v19, vcc, v4, v3, vcc
	global_load_dword v35, v[16:17], off offset:1024
	global_load_dword v2, v[18:19], off offset:1024
	v_or_b32_e32 v3, 0x200, v0
	v_cmp_gt_u32_e32 vcc, s33, v3
	v_mov_b32_e32 v34, v15
	v_mov_b32_e32 v32, v15
	;; [unrolled: 1-line block ×27, first 2 shown]
	s_and_saveexec_b64 s[16:17], vcc
	s_cbranch_execz .LBB144_81
; %bb.54:
	global_load_dword v34, v[16:17], off offset:2048
	global_load_dword v15, v[18:19], off offset:2048
	v_or_b32_e32 v3, 0x300, v0
	v_cmp_gt_u32_e32 vcc, s33, v3
	v_mov_b32_e32 v32, 0
	v_mov_b32_e32 v33, 0
	;; [unrolled: 1-line block ×26, first 2 shown]
	s_and_saveexec_b64 s[18:19], vcc
	s_cbranch_execz .LBB144_80
; %bb.55:
	global_load_dword v33, v[16:17], off offset:3072
	global_load_dword v32, v[18:19], off offset:3072
	v_or_b32_e32 v16, 0x400, v0
	v_cmp_gt_u32_e32 vcc, s33, v16
	v_mov_b32_e32 v31, 0
	v_mov_b32_e32 v30, 0
	;; [unrolled: 1-line block ×24, first 2 shown]
	s_and_saveexec_b64 s[20:21], vcc
	s_cbranch_execz .LBB144_79
; %bb.56:
	v_or_b32_e32 v13, s4, v16
	v_mov_b32_e32 v14, 0
	v_lshlrev_b64 v[3:4], 2, v[13:14]
	v_mov_b32_e32 v6, s11
	v_add_co_u32_e32 v5, vcc, s10, v3
	v_addc_co_u32_e32 v6, vcc, v6, v4, vcc
	global_load_dword v30, v[5:6], off
	v_mov_b32_e32 v5, s13
	v_add_co_u32_e32 v3, vcc, s12, v3
	v_addc_co_u32_e32 v4, vcc, v5, v4, vcc
	global_load_dword v31, v[3:4], off
	v_or_b32_e32 v16, 0x500, v0
	v_cmp_gt_u32_e32 vcc, s33, v16
	v_mov_b32_e32 v29, v14
	v_mov_b32_e32 v13, v14
	;; [unrolled: 1-line block ×21, first 2 shown]
	s_and_saveexec_b64 s[22:23], vcc
	s_cbranch_execz .LBB144_78
; %bb.57:
	v_or_b32_e32 v12, s4, v16
	v_mov_b32_e32 v13, 0
	v_lshlrev_b64 v[3:4], 2, v[12:13]
	v_mov_b32_e32 v6, s11
	v_add_co_u32_e32 v5, vcc, s10, v3
	v_addc_co_u32_e32 v6, vcc, v6, v4, vcc
	global_load_dword v29, v[5:6], off
	v_mov_b32_e32 v5, s13
	v_add_co_u32_e32 v3, vcc, s12, v3
	v_addc_co_u32_e32 v4, vcc, v5, v4, vcc
	global_load_dword v14, v[3:4], off
	v_or_b32_e32 v16, 0x600, v0
	v_cmp_gt_u32_e32 vcc, s33, v16
	v_mov_b32_e32 v28, v13
	v_mov_b32_e32 v12, v13
	;; [unrolled: 1-line block ×19, first 2 shown]
	s_and_saveexec_b64 s[24:25], vcc
	s_cbranch_execz .LBB144_77
; %bb.58:
	v_or_b32_e32 v11, s4, v16
	v_mov_b32_e32 v12, 0
	v_lshlrev_b64 v[3:4], 2, v[11:12]
	v_mov_b32_e32 v6, s11
	v_add_co_u32_e32 v5, vcc, s10, v3
	v_addc_co_u32_e32 v6, vcc, v6, v4, vcc
	global_load_dword v28, v[5:6], off
	v_mov_b32_e32 v5, s13
	v_add_co_u32_e32 v3, vcc, s12, v3
	v_addc_co_u32_e32 v4, vcc, v5, v4, vcc
	global_load_dword v13, v[3:4], off
	v_or_b32_e32 v16, 0x700, v0
	v_cmp_gt_u32_e32 vcc, s33, v16
	v_mov_b32_e32 v27, v12
	v_mov_b32_e32 v11, v12
	;; [unrolled: 1-line block ×17, first 2 shown]
	s_and_saveexec_b64 s[26:27], vcc
	s_cbranch_execz .LBB144_76
; %bb.59:
	v_or_b32_e32 v10, s4, v16
	v_mov_b32_e32 v11, 0
	v_lshlrev_b64 v[3:4], 2, v[10:11]
	v_mov_b32_e32 v6, s11
	v_add_co_u32_e32 v5, vcc, s10, v3
	v_addc_co_u32_e32 v6, vcc, v6, v4, vcc
	global_load_dword v27, v[5:6], off
	v_mov_b32_e32 v5, s13
	v_add_co_u32_e32 v3, vcc, s12, v3
	v_addc_co_u32_e32 v4, vcc, v5, v4, vcc
	global_load_dword v12, v[3:4], off
	v_or_b32_e32 v16, 0x800, v0
	v_cmp_gt_u32_e32 vcc, s33, v16
	v_mov_b32_e32 v26, v11
	v_mov_b32_e32 v10, v11
	;; [unrolled: 1-line block ×15, first 2 shown]
	s_and_saveexec_b64 s[28:29], vcc
	s_cbranch_execz .LBB144_75
; %bb.60:
	v_or_b32_e32 v9, s4, v16
	v_mov_b32_e32 v10, 0
	v_lshlrev_b64 v[3:4], 2, v[9:10]
	v_mov_b32_e32 v6, s11
	v_add_co_u32_e32 v5, vcc, s10, v3
	v_addc_co_u32_e32 v6, vcc, v6, v4, vcc
	global_load_dword v26, v[5:6], off
	v_mov_b32_e32 v5, s13
	v_add_co_u32_e32 v3, vcc, s12, v3
	v_addc_co_u32_e32 v4, vcc, v5, v4, vcc
	global_load_dword v11, v[3:4], off
	v_or_b32_e32 v16, 0x900, v0
	v_cmp_gt_u32_e32 vcc, s33, v16
	v_mov_b32_e32 v25, v10
	v_mov_b32_e32 v9, v10
	;; [unrolled: 1-line block ×13, first 2 shown]
	s_and_saveexec_b64 s[30:31], vcc
	s_cbranch_execz .LBB144_74
; %bb.61:
	v_or_b32_e32 v8, s4, v16
	v_mov_b32_e32 v9, 0
	v_lshlrev_b64 v[3:4], 2, v[8:9]
	v_mov_b32_e32 v6, s11
	v_add_co_u32_e32 v5, vcc, s10, v3
	v_addc_co_u32_e32 v6, vcc, v6, v4, vcc
	global_load_dword v25, v[5:6], off
	v_mov_b32_e32 v5, s13
	v_add_co_u32_e32 v3, vcc, s12, v3
	v_addc_co_u32_e32 v4, vcc, v5, v4, vcc
	global_load_dword v10, v[3:4], off
	v_or_b32_e32 v16, 0xa00, v0
	v_cmp_gt_u32_e32 vcc, s33, v16
	v_mov_b32_e32 v24, v9
	v_mov_b32_e32 v8, v9
	v_mov_b32_e32 v23, v9
	v_mov_b32_e32 v7, v9
	v_mov_b32_e32 v22, v9
	v_mov_b32_e32 v6, v9
	v_mov_b32_e32 v21, v9
	v_mov_b32_e32 v5, v9
	v_mov_b32_e32 v3, v9
	v_mov_b32_e32 v4, v9
	v_mov_b32_e32 v20, v9
	s_and_saveexec_b64 s[34:35], vcc
	s_cbranch_execz .LBB144_73
; %bb.62:
	v_or_b32_e32 v7, s4, v16
	v_mov_b32_e32 v8, 0
	v_lshlrev_b64 v[3:4], 2, v[7:8]
	v_mov_b32_e32 v6, s11
	v_add_co_u32_e32 v5, vcc, s10, v3
	v_addc_co_u32_e32 v6, vcc, v6, v4, vcc
	global_load_dword v24, v[5:6], off
	v_mov_b32_e32 v5, s13
	v_add_co_u32_e32 v3, vcc, s12, v3
	v_addc_co_u32_e32 v4, vcc, v5, v4, vcc
	global_load_dword v9, v[3:4], off
	v_or_b32_e32 v16, 0xb00, v0
	v_cmp_gt_u32_e32 vcc, s33, v16
	v_mov_b32_e32 v23, v8
	v_mov_b32_e32 v7, v8
	;; [unrolled: 1-line block ×9, first 2 shown]
	s_and_saveexec_b64 s[36:37], vcc
	s_cbranch_execz .LBB144_72
; %bb.63:
	v_or_b32_e32 v6, s4, v16
	v_mov_b32_e32 v7, 0
	v_lshlrev_b64 v[3:4], 2, v[6:7]
	v_mov_b32_e32 v6, s11
	v_add_co_u32_e32 v5, vcc, s10, v3
	v_addc_co_u32_e32 v6, vcc, v6, v4, vcc
	global_load_dword v23, v[5:6], off
	v_mov_b32_e32 v5, s13
	v_add_co_u32_e32 v3, vcc, s12, v3
	v_addc_co_u32_e32 v4, vcc, v5, v4, vcc
	global_load_dword v8, v[3:4], off
	v_or_b32_e32 v16, 0xc00, v0
	v_cmp_gt_u32_e32 vcc, s33, v16
	v_mov_b32_e32 v22, v7
	v_mov_b32_e32 v6, v7
	;; [unrolled: 1-line block ×7, first 2 shown]
	s_and_saveexec_b64 s[38:39], vcc
	s_cbranch_execz .LBB144_71
; %bb.64:
	v_or_b32_e32 v5, s4, v16
	v_mov_b32_e32 v6, 0
	v_lshlrev_b64 v[3:4], 2, v[5:6]
	v_mov_b32_e32 v5, s11
	v_add_co_u32_e32 v16, vcc, s10, v3
	v_addc_co_u32_e32 v17, vcc, v5, v4, vcc
	v_mov_b32_e32 v5, s13
	v_add_co_u32_e32 v3, vcc, s12, v3
	v_addc_co_u32_e32 v4, vcc, v5, v4, vcc
	global_load_dword v22, v[16:17], off
	global_load_dword v7, v[3:4], off
	v_or_b32_e32 v16, 0xd00, v0
	v_cmp_gt_u32_e32 vcc, s33, v16
	v_mov_b32_e32 v21, v6
	v_mov_b32_e32 v5, v6
	;; [unrolled: 1-line block ×5, first 2 shown]
	s_and_saveexec_b64 s[40:41], vcc
	s_cbranch_execz .LBB144_70
; %bb.65:
	v_add_u32_e32 v4, s4, v16
	v_mov_b32_e32 v5, 0
	v_lshlrev_b64 v[3:4], 2, v[4:5]
	v_mov_b32_e32 v6, s11
	v_add_co_u32_e32 v16, vcc, s10, v3
	v_addc_co_u32_e32 v17, vcc, v6, v4, vcc
	v_mov_b32_e32 v6, s13
	v_add_co_u32_e32 v3, vcc, s12, v3
	v_addc_co_u32_e32 v4, vcc, v6, v4, vcc
	global_load_dword v21, v[16:17], off
	global_load_dword v6, v[3:4], off
	v_or_b32_e32 v16, 0xe00, v0
	v_cmp_gt_u32_e32 vcc, s33, v16
	v_mov_b32_e32 v3, v5
	v_mov_b32_e32 v4, v5
	;; [unrolled: 1-line block ×3, first 2 shown]
	s_and_saveexec_b64 s[42:43], vcc
	s_cbranch_execz .LBB144_69
; %bb.66:
	v_add_u32_e32 v3, s4, v16
	v_mov_b32_e32 v4, 0
	v_lshlrev_b64 v[16:17], 2, v[3:4]
	v_mov_b32_e32 v3, s11
	v_add_co_u32_e32 v18, vcc, s10, v16
	v_addc_co_u32_e32 v19, vcc, v3, v17, vcc
	v_mov_b32_e32 v5, s13
	v_add_co_u32_e32 v16, vcc, s12, v16
	v_addc_co_u32_e32 v17, vcc, v5, v17, vcc
	global_load_dword v3, v[18:19], off
	global_load_dword v5, v[16:17], off
	v_or_b32_e32 v16, 0xf00, v0
	v_cmp_gt_u32_e32 vcc, s33, v16
	v_mov_b32_e32 v20, v4
	s_and_saveexec_b64 s[44:45], vcc
	s_cbranch_execz .LBB144_68
; %bb.67:
	v_add_u32_e32 v16, s4, v16
	v_mov_b32_e32 v17, 0
	v_lshlrev_b64 v[16:17], 2, v[16:17]
	v_mov_b32_e32 v4, s13
	v_add_co_u32_e32 v18, vcc, s12, v16
	v_addc_co_u32_e32 v19, vcc, v4, v17, vcc
	v_mov_b32_e32 v4, s11
	v_add_co_u32_e32 v16, vcc, s10, v16
	v_addc_co_u32_e32 v17, vcc, v4, v17, vcc
	global_load_dword v20, v[16:17], off
	global_load_dword v4, v[18:19], off
.LBB144_68:
	s_or_b64 exec, exec, s[44:45]
.LBB144_69:
	s_or_b64 exec, exec, s[42:43]
.LBB144_70:
	s_or_b64 exec, exec, s[40:41]
.LBB144_71:
	s_or_b64 exec, exec, s[38:39]
.LBB144_72:
	s_or_b64 exec, exec, s[36:37]
.LBB144_73:
	s_or_b64 exec, exec, s[34:35]
.LBB144_74:
	s_or_b64 exec, exec, s[30:31]
.LBB144_75:
	s_or_b64 exec, exec, s[28:29]
.LBB144_76:
	s_or_b64 exec, exec, s[26:27]
.LBB144_77:
	s_or_b64 exec, exec, s[24:25]
.LBB144_78:
	s_or_b64 exec, exec, s[22:23]
.LBB144_79:
	s_or_b64 exec, exec, s[20:21]
.LBB144_80:
	s_or_b64 exec, exec, s[18:19]
.LBB144_81:
	s_or_b64 exec, exec, s[16:17]
.LBB144_82:
	s_or_b64 exec, exec, s[14:15]
.LBB144_83:
	s_or_b64 exec, exec, s[6:7]
	s_cmp_lg_u32 s3, 0
	s_cselect_b64 s[2:3], -1, 0
                                        ; implicit-def: $vgpr16
	s_and_saveexec_b64 s[6:7], s[0:1]
	s_cbranch_execz .LBB144_88
; %bb.84:
	s_and_b64 vcc, exec, s[2:3]
	s_cbranch_vccz .LBB144_212
; %bb.85:
	s_waitcnt vmcnt(0)
	v_cmp_neq_f16_e32 vcc, v36, v37
	v_cmp_neq_f16_sdwa s[10:11], v36, v37 src0_sel:WORD_1 src1_sel:WORD_1
	s_or_b64 s[10:11], vcc, s[10:11]
	s_cbranch_execnz .LBB144_87
.LBB144_86:
	s_waitcnt vmcnt(0)
	v_cmp_eq_f16_e32 vcc, v36, v37
	v_cmp_eq_f16_sdwa s[12:13], v36, v37 src0_sel:WORD_1 src1_sel:WORD_1
	s_and_b64 s[12:13], vcc, s[12:13]
	s_andn2_b64 s[10:11], s[10:11], exec
	s_and_b64 s[12:13], s[12:13], exec
	s_or_b64 s[10:11], s[10:11], s[12:13]
.LBB144_87:
	v_cndmask_b32_e64 v16, 0, 1, s[10:11]
.LBB144_88:
	s_or_b64 exec, exec, s[6:7]
	v_or_b32_e32 v17, 0x100, v0
	v_cndmask_b32_e64 v18, 0, 1, s[2:3]
	v_cmp_gt_i32_e32 vcc, s33, v17
	v_cmp_ne_u32_e64 s[2:3], 1, v18
                                        ; implicit-def: $vgpr18
	s_and_saveexec_b64 s[6:7], vcc
	s_cbranch_execz .LBB144_93
; %bb.89:
	s_and_b64 vcc, exec, s[2:3]
	s_cbranch_vccnz .LBB144_213
; %bb.90:
	s_waitcnt vmcnt(0)
	v_cmp_neq_f16_e32 vcc, v35, v2
	v_cmp_neq_f16_sdwa s[10:11], v35, v2 src0_sel:WORD_1 src1_sel:WORD_1
	s_or_b64 s[10:11], vcc, s[10:11]
	s_cbranch_execnz .LBB144_92
.LBB144_91:
	s_waitcnt vmcnt(0)
	v_cmp_eq_f16_e32 vcc, v35, v2
	v_cmp_eq_f16_sdwa s[12:13], v35, v2 src0_sel:WORD_1 src1_sel:WORD_1
	s_and_b64 s[12:13], vcc, s[12:13]
	s_andn2_b64 s[10:11], s[10:11], exec
	s_and_b64 s[12:13], s[12:13], exec
	s_or_b64 s[10:11], s[10:11], s[12:13]
.LBB144_92:
	v_cndmask_b32_e64 v18, 0, 1, s[10:11]
.LBB144_93:
	s_or_b64 exec, exec, s[6:7]
	s_waitcnt vmcnt(0)
	v_or_b32_e32 v2, 0x200, v0
	v_cmp_gt_i32_e32 vcc, s33, v2
                                        ; implicit-def: $vgpr2
	s_and_saveexec_b64 s[6:7], vcc
	s_cbranch_execz .LBB144_98
; %bb.94:
	s_and_b64 vcc, exec, s[2:3]
	s_cbranch_vccnz .LBB144_214
; %bb.95:
	v_cmp_neq_f16_e32 vcc, v34, v15
	v_cmp_neq_f16_sdwa s[10:11], v34, v15 src0_sel:WORD_1 src1_sel:WORD_1
	s_or_b64 s[10:11], vcc, s[10:11]
	s_cbranch_execnz .LBB144_97
.LBB144_96:
	v_cmp_eq_f16_e32 vcc, v34, v15
	v_cmp_eq_f16_sdwa s[12:13], v34, v15 src0_sel:WORD_1 src1_sel:WORD_1
	s_and_b64 s[12:13], vcc, s[12:13]
	s_andn2_b64 s[10:11], s[10:11], exec
	s_and_b64 s[12:13], s[12:13], exec
	s_or_b64 s[10:11], s[10:11], s[12:13]
.LBB144_97:
	v_cndmask_b32_e64 v2, 0, 1, s[10:11]
.LBB144_98:
	s_or_b64 exec, exec, s[6:7]
	v_or_b32_e32 v15, 0x300, v0
	v_cmp_gt_i32_e32 vcc, s33, v15
                                        ; implicit-def: $vgpr15
	s_and_saveexec_b64 s[6:7], vcc
	s_cbranch_execz .LBB144_103
; %bb.99:
	s_and_b64 vcc, exec, s[2:3]
	s_cbranch_vccnz .LBB144_215
; %bb.100:
	v_cmp_neq_f16_e32 vcc, v33, v32
	v_cmp_neq_f16_sdwa s[10:11], v33, v32 src0_sel:WORD_1 src1_sel:WORD_1
	s_or_b64 s[10:11], vcc, s[10:11]
	s_cbranch_execnz .LBB144_102
.LBB144_101:
	v_cmp_eq_f16_e32 vcc, v33, v32
	v_cmp_eq_f16_sdwa s[12:13], v33, v32 src0_sel:WORD_1 src1_sel:WORD_1
	s_and_b64 s[12:13], vcc, s[12:13]
	s_andn2_b64 s[10:11], s[10:11], exec
	s_and_b64 s[12:13], s[12:13], exec
	s_or_b64 s[10:11], s[10:11], s[12:13]
.LBB144_102:
	v_cndmask_b32_e64 v15, 0, 1, s[10:11]
.LBB144_103:
	s_or_b64 exec, exec, s[6:7]
	v_or_b32_e32 v19, 0x400, v0
	v_cmp_gt_i32_e32 vcc, s33, v19
                                        ; implicit-def: $vgpr19
	s_and_saveexec_b64 s[6:7], vcc
	s_cbranch_execz .LBB144_108
; %bb.104:
	s_and_b64 vcc, exec, s[2:3]
	s_cbranch_vccnz .LBB144_216
; %bb.105:
	v_cmp_neq_f16_e32 vcc, v30, v31
	v_cmp_neq_f16_sdwa s[10:11], v30, v31 src0_sel:WORD_1 src1_sel:WORD_1
	s_or_b64 s[10:11], vcc, s[10:11]
	s_cbranch_execnz .LBB144_107
.LBB144_106:
	v_cmp_eq_f16_e32 vcc, v30, v31
	v_cmp_eq_f16_sdwa s[12:13], v30, v31 src0_sel:WORD_1 src1_sel:WORD_1
	s_and_b64 s[12:13], vcc, s[12:13]
	s_andn2_b64 s[10:11], s[10:11], exec
	s_and_b64 s[12:13], s[12:13], exec
	s_or_b64 s[10:11], s[10:11], s[12:13]
.LBB144_107:
	v_cndmask_b32_e64 v19, 0, 1, s[10:11]
.LBB144_108:
	s_or_b64 exec, exec, s[6:7]
	v_or_b32_e32 v30, 0x500, v0
	v_cmp_gt_i32_e32 vcc, s33, v30
                                        ; implicit-def: $vgpr30
	s_and_saveexec_b64 s[6:7], vcc
	s_cbranch_execz .LBB144_113
; %bb.109:
	s_and_b64 vcc, exec, s[2:3]
	s_cbranch_vccnz .LBB144_217
; %bb.110:
	v_cmp_neq_f16_e32 vcc, v29, v14
	v_cmp_neq_f16_sdwa s[10:11], v29, v14 src0_sel:WORD_1 src1_sel:WORD_1
	s_or_b64 s[10:11], vcc, s[10:11]
	s_cbranch_execnz .LBB144_112
.LBB144_111:
	v_cmp_eq_f16_e32 vcc, v29, v14
	v_cmp_eq_f16_sdwa s[12:13], v29, v14 src0_sel:WORD_1 src1_sel:WORD_1
	s_and_b64 s[12:13], vcc, s[12:13]
	s_andn2_b64 s[10:11], s[10:11], exec
	s_and_b64 s[12:13], s[12:13], exec
	s_or_b64 s[10:11], s[10:11], s[12:13]
.LBB144_112:
	v_cndmask_b32_e64 v30, 0, 1, s[10:11]
.LBB144_113:
	s_or_b64 exec, exec, s[6:7]
	v_or_b32_e32 v14, 0x600, v0
	v_cmp_gt_i32_e32 vcc, s33, v14
                                        ; implicit-def: $vgpr14
	s_and_saveexec_b64 s[6:7], vcc
	s_cbranch_execz .LBB144_118
; %bb.114:
	s_and_b64 vcc, exec, s[2:3]
	s_cbranch_vccnz .LBB144_218
; %bb.115:
	v_cmp_neq_f16_e32 vcc, v28, v13
	v_cmp_neq_f16_sdwa s[10:11], v28, v13 src0_sel:WORD_1 src1_sel:WORD_1
	s_or_b64 s[10:11], vcc, s[10:11]
	s_cbranch_execnz .LBB144_117
.LBB144_116:
	v_cmp_eq_f16_e32 vcc, v28, v13
	v_cmp_eq_f16_sdwa s[12:13], v28, v13 src0_sel:WORD_1 src1_sel:WORD_1
	s_and_b64 s[12:13], vcc, s[12:13]
	s_andn2_b64 s[10:11], s[10:11], exec
	s_and_b64 s[12:13], s[12:13], exec
	s_or_b64 s[10:11], s[10:11], s[12:13]
.LBB144_117:
	v_cndmask_b32_e64 v14, 0, 1, s[10:11]
.LBB144_118:
	s_or_b64 exec, exec, s[6:7]
	v_or_b32_e32 v13, 0x700, v0
	v_cmp_gt_i32_e32 vcc, s33, v13
                                        ; implicit-def: $vgpr13
	s_and_saveexec_b64 s[6:7], vcc
	s_cbranch_execz .LBB144_123
; %bb.119:
	s_and_b64 vcc, exec, s[2:3]
	s_cbranch_vccnz .LBB144_219
; %bb.120:
	v_cmp_neq_f16_e32 vcc, v27, v12
	v_cmp_neq_f16_sdwa s[10:11], v27, v12 src0_sel:WORD_1 src1_sel:WORD_1
	s_or_b64 s[10:11], vcc, s[10:11]
	s_cbranch_execnz .LBB144_122
.LBB144_121:
	v_cmp_eq_f16_e32 vcc, v27, v12
	v_cmp_eq_f16_sdwa s[12:13], v27, v12 src0_sel:WORD_1 src1_sel:WORD_1
	s_and_b64 s[12:13], vcc, s[12:13]
	s_andn2_b64 s[10:11], s[10:11], exec
	s_and_b64 s[12:13], s[12:13], exec
	s_or_b64 s[10:11], s[10:11], s[12:13]
.LBB144_122:
	v_cndmask_b32_e64 v13, 0, 1, s[10:11]
.LBB144_123:
	s_or_b64 exec, exec, s[6:7]
	v_or_b32_e32 v12, 0x800, v0
	v_cmp_gt_i32_e32 vcc, s33, v12
                                        ; implicit-def: $vgpr12
	s_and_saveexec_b64 s[6:7], vcc
	s_cbranch_execz .LBB144_128
; %bb.124:
	s_and_b64 vcc, exec, s[2:3]
	s_cbranch_vccnz .LBB144_220
; %bb.125:
	v_cmp_neq_f16_e32 vcc, v26, v11
	v_cmp_neq_f16_sdwa s[10:11], v26, v11 src0_sel:WORD_1 src1_sel:WORD_1
	s_or_b64 s[10:11], vcc, s[10:11]
	s_cbranch_execnz .LBB144_127
.LBB144_126:
	v_cmp_eq_f16_e32 vcc, v26, v11
	v_cmp_eq_f16_sdwa s[12:13], v26, v11 src0_sel:WORD_1 src1_sel:WORD_1
	s_and_b64 s[12:13], vcc, s[12:13]
	s_andn2_b64 s[10:11], s[10:11], exec
	s_and_b64 s[12:13], s[12:13], exec
	s_or_b64 s[10:11], s[10:11], s[12:13]
.LBB144_127:
	v_cndmask_b32_e64 v12, 0, 1, s[10:11]
.LBB144_128:
	s_or_b64 exec, exec, s[6:7]
	v_or_b32_e32 v11, 0x900, v0
	v_cmp_gt_i32_e32 vcc, s33, v11
                                        ; implicit-def: $vgpr11
	s_and_saveexec_b64 s[6:7], vcc
	s_cbranch_execz .LBB144_133
; %bb.129:
	s_and_b64 vcc, exec, s[2:3]
	s_cbranch_vccnz .LBB144_221
; %bb.130:
	v_cmp_neq_f16_e32 vcc, v25, v10
	v_cmp_neq_f16_sdwa s[10:11], v25, v10 src0_sel:WORD_1 src1_sel:WORD_1
	s_or_b64 s[10:11], vcc, s[10:11]
	s_cbranch_execnz .LBB144_132
.LBB144_131:
	v_cmp_eq_f16_e32 vcc, v25, v10
	v_cmp_eq_f16_sdwa s[12:13], v25, v10 src0_sel:WORD_1 src1_sel:WORD_1
	s_and_b64 s[12:13], vcc, s[12:13]
	s_andn2_b64 s[10:11], s[10:11], exec
	s_and_b64 s[12:13], s[12:13], exec
	s_or_b64 s[10:11], s[10:11], s[12:13]
.LBB144_132:
	v_cndmask_b32_e64 v11, 0, 1, s[10:11]
.LBB144_133:
	s_or_b64 exec, exec, s[6:7]
	v_or_b32_e32 v10, 0xa00, v0
	v_cmp_gt_i32_e32 vcc, s33, v10
                                        ; implicit-def: $vgpr10
	s_and_saveexec_b64 s[6:7], vcc
	s_cbranch_execz .LBB144_138
; %bb.134:
	s_and_b64 vcc, exec, s[2:3]
	s_cbranch_vccnz .LBB144_222
; %bb.135:
	v_cmp_neq_f16_e32 vcc, v24, v9
	v_cmp_neq_f16_sdwa s[10:11], v24, v9 src0_sel:WORD_1 src1_sel:WORD_1
	s_or_b64 s[10:11], vcc, s[10:11]
	s_cbranch_execnz .LBB144_137
.LBB144_136:
	v_cmp_eq_f16_e32 vcc, v24, v9
	v_cmp_eq_f16_sdwa s[12:13], v24, v9 src0_sel:WORD_1 src1_sel:WORD_1
	s_and_b64 s[12:13], vcc, s[12:13]
	s_andn2_b64 s[10:11], s[10:11], exec
	s_and_b64 s[12:13], s[12:13], exec
	s_or_b64 s[10:11], s[10:11], s[12:13]
.LBB144_137:
	v_cndmask_b32_e64 v10, 0, 1, s[10:11]
.LBB144_138:
	s_or_b64 exec, exec, s[6:7]
	v_or_b32_e32 v9, 0xb00, v0
	v_cmp_gt_i32_e32 vcc, s33, v9
                                        ; implicit-def: $vgpr9
	s_and_saveexec_b64 s[6:7], vcc
	s_cbranch_execz .LBB144_143
; %bb.139:
	s_and_b64 vcc, exec, s[2:3]
	s_cbranch_vccnz .LBB144_223
; %bb.140:
	v_cmp_neq_f16_e32 vcc, v23, v8
	v_cmp_neq_f16_sdwa s[10:11], v23, v8 src0_sel:WORD_1 src1_sel:WORD_1
	s_or_b64 s[10:11], vcc, s[10:11]
	s_cbranch_execnz .LBB144_142
.LBB144_141:
	v_cmp_eq_f16_e32 vcc, v23, v8
	v_cmp_eq_f16_sdwa s[12:13], v23, v8 src0_sel:WORD_1 src1_sel:WORD_1
	s_and_b64 s[12:13], vcc, s[12:13]
	s_andn2_b64 s[10:11], s[10:11], exec
	s_and_b64 s[12:13], s[12:13], exec
	s_or_b64 s[10:11], s[10:11], s[12:13]
.LBB144_142:
	v_cndmask_b32_e64 v9, 0, 1, s[10:11]
.LBB144_143:
	s_or_b64 exec, exec, s[6:7]
	v_or_b32_e32 v8, 0xc00, v0
	v_cmp_gt_i32_e32 vcc, s33, v8
                                        ; implicit-def: $vgpr8
	s_and_saveexec_b64 s[6:7], vcc
	s_cbranch_execz .LBB144_148
; %bb.144:
	s_and_b64 vcc, exec, s[2:3]
	s_cbranch_vccnz .LBB144_224
; %bb.145:
	v_cmp_neq_f16_e32 vcc, v22, v7
	v_cmp_neq_f16_sdwa s[10:11], v22, v7 src0_sel:WORD_1 src1_sel:WORD_1
	s_or_b64 s[10:11], vcc, s[10:11]
	s_cbranch_execnz .LBB144_147
.LBB144_146:
	v_cmp_eq_f16_e32 vcc, v22, v7
	v_cmp_eq_f16_sdwa s[12:13], v22, v7 src0_sel:WORD_1 src1_sel:WORD_1
	s_and_b64 s[12:13], vcc, s[12:13]
	s_andn2_b64 s[10:11], s[10:11], exec
	s_and_b64 s[12:13], s[12:13], exec
	s_or_b64 s[10:11], s[10:11], s[12:13]
.LBB144_147:
	v_cndmask_b32_e64 v8, 0, 1, s[10:11]
.LBB144_148:
	s_or_b64 exec, exec, s[6:7]
	v_or_b32_e32 v7, 0xd00, v0
	v_cmp_gt_i32_e32 vcc, s33, v7
                                        ; implicit-def: $vgpr7
	s_and_saveexec_b64 s[6:7], vcc
	s_cbranch_execz .LBB144_153
; %bb.149:
	s_and_b64 vcc, exec, s[2:3]
	s_cbranch_vccnz .LBB144_225
; %bb.150:
	v_cmp_neq_f16_e32 vcc, v21, v6
	v_cmp_neq_f16_sdwa s[10:11], v21, v6 src0_sel:WORD_1 src1_sel:WORD_1
	s_or_b64 s[10:11], vcc, s[10:11]
	s_cbranch_execnz .LBB144_152
.LBB144_151:
	v_cmp_eq_f16_e32 vcc, v21, v6
	v_cmp_eq_f16_sdwa s[12:13], v21, v6 src0_sel:WORD_1 src1_sel:WORD_1
	s_and_b64 s[12:13], vcc, s[12:13]
	s_andn2_b64 s[10:11], s[10:11], exec
	s_and_b64 s[12:13], s[12:13], exec
	s_or_b64 s[10:11], s[10:11], s[12:13]
.LBB144_152:
	v_cndmask_b32_e64 v7, 0, 1, s[10:11]
.LBB144_153:
	s_or_b64 exec, exec, s[6:7]
	v_or_b32_e32 v6, 0xe00, v0
	v_cmp_gt_i32_e32 vcc, s33, v6
                                        ; implicit-def: $vgpr6
	s_and_saveexec_b64 s[6:7], vcc
	s_cbranch_execz .LBB144_158
; %bb.154:
	s_and_b64 vcc, exec, s[2:3]
	s_cbranch_vccnz .LBB144_226
; %bb.155:
	v_cmp_neq_f16_e32 vcc, v3, v5
	v_cmp_neq_f16_sdwa s[10:11], v3, v5 src0_sel:WORD_1 src1_sel:WORD_1
	s_or_b64 s[10:11], vcc, s[10:11]
	s_cbranch_execnz .LBB144_157
.LBB144_156:
	v_cmp_eq_f16_e32 vcc, v3, v5
	v_cmp_eq_f16_sdwa s[12:13], v3, v5 src0_sel:WORD_1 src1_sel:WORD_1
	s_and_b64 s[12:13], vcc, s[12:13]
	s_andn2_b64 s[10:11], s[10:11], exec
	s_and_b64 s[12:13], s[12:13], exec
	s_or_b64 s[10:11], s[10:11], s[12:13]
.LBB144_157:
	v_cndmask_b32_e64 v6, 0, 1, s[10:11]
.LBB144_158:
	s_or_b64 exec, exec, s[6:7]
	v_or_b32_e32 v3, 0xf00, v0
	v_cmp_gt_i32_e32 vcc, s33, v3
                                        ; implicit-def: $vgpr3
	s_and_saveexec_b64 s[6:7], vcc
	s_cbranch_execz .LBB144_163
; %bb.159:
	s_and_b64 vcc, exec, s[2:3]
	s_cbranch_vccnz .LBB144_227
; %bb.160:
	v_cmp_neq_f16_e32 vcc, v20, v4
	v_cmp_neq_f16_sdwa s[2:3], v20, v4 src0_sel:WORD_1 src1_sel:WORD_1
	s_or_b64 s[2:3], vcc, s[2:3]
	s_cbranch_execnz .LBB144_162
.LBB144_161:
	v_cmp_eq_f16_e32 vcc, v20, v4
	v_cmp_eq_f16_sdwa s[10:11], v20, v4 src0_sel:WORD_1 src1_sel:WORD_1
	s_and_b64 s[10:11], vcc, s[10:11]
	s_andn2_b64 s[2:3], s[2:3], exec
	s_and_b64 s[10:11], s[10:11], exec
	s_or_b64 s[2:3], s[2:3], s[10:11]
.LBB144_162:
	v_cndmask_b32_e64 v3, 0, 1, s[2:3]
.LBB144_163:
	s_or_b64 exec, exec, s[6:7]
	s_and_saveexec_b64 s[2:3], s[0:1]
	s_xor_b64 s[0:1], exec, s[2:3]
	s_cbranch_execz .LBB144_165
; %bb.164:
	v_mov_b32_e32 v0, v17
	global_store_byte v1, v16, s[8:9]
.LBB144_165:
	s_or_b64 exec, exec, s[0:1]
	v_cmp_gt_i32_e32 vcc, s33, v0
	s_and_saveexec_b64 s[0:1], vcc
	s_cbranch_execnz .LBB144_181
; %bb.166:
	s_or_b64 exec, exec, s[0:1]
	v_cmp_gt_i32_e32 vcc, s33, v0
	s_and_saveexec_b64 s[0:1], vcc
	s_cbranch_execnz .LBB144_182
.LBB144_167:
	s_or_b64 exec, exec, s[0:1]
	v_cmp_gt_i32_e32 vcc, s33, v0
	s_and_saveexec_b64 s[0:1], vcc
	s_cbranch_execnz .LBB144_183
.LBB144_168:
	s_or_b64 exec, exec, s[0:1]
	v_cmp_gt_i32_e32 vcc, s33, v0
	s_and_saveexec_b64 s[0:1], vcc
	s_cbranch_execnz .LBB144_184
.LBB144_169:
	s_or_b64 exec, exec, s[0:1]
	v_cmp_gt_i32_e32 vcc, s33, v0
	s_and_saveexec_b64 s[0:1], vcc
	s_cbranch_execnz .LBB144_185
.LBB144_170:
	s_or_b64 exec, exec, s[0:1]
	v_cmp_gt_i32_e32 vcc, s33, v0
	s_and_saveexec_b64 s[0:1], vcc
	s_cbranch_execnz .LBB144_186
.LBB144_171:
	s_or_b64 exec, exec, s[0:1]
	v_cmp_gt_i32_e32 vcc, s33, v0
	s_and_saveexec_b64 s[0:1], vcc
	s_cbranch_execnz .LBB144_187
.LBB144_172:
	s_or_b64 exec, exec, s[0:1]
	v_cmp_gt_i32_e32 vcc, s33, v0
	s_and_saveexec_b64 s[0:1], vcc
	s_cbranch_execnz .LBB144_188
.LBB144_173:
	s_or_b64 exec, exec, s[0:1]
	v_cmp_gt_i32_e32 vcc, s33, v0
	s_and_saveexec_b64 s[0:1], vcc
	s_cbranch_execnz .LBB144_189
.LBB144_174:
	s_or_b64 exec, exec, s[0:1]
	v_cmp_gt_i32_e32 vcc, s33, v0
	s_and_saveexec_b64 s[0:1], vcc
	s_cbranch_execnz .LBB144_190
.LBB144_175:
	s_or_b64 exec, exec, s[0:1]
	v_cmp_gt_i32_e32 vcc, s33, v0
	s_and_saveexec_b64 s[0:1], vcc
	s_cbranch_execnz .LBB144_191
.LBB144_176:
	s_or_b64 exec, exec, s[0:1]
	v_cmp_gt_i32_e32 vcc, s33, v0
	s_and_saveexec_b64 s[0:1], vcc
	s_cbranch_execnz .LBB144_192
.LBB144_177:
	s_or_b64 exec, exec, s[0:1]
	v_cmp_gt_i32_e32 vcc, s33, v0
	s_and_saveexec_b64 s[0:1], vcc
	s_cbranch_execnz .LBB144_193
.LBB144_178:
	s_or_b64 exec, exec, s[0:1]
	v_cmp_gt_i32_e32 vcc, s33, v0
	s_and_saveexec_b64 s[0:1], vcc
	s_cbranch_execnz .LBB144_194
.LBB144_179:
	s_or_b64 exec, exec, s[0:1]
	v_cmp_gt_i32_e32 vcc, s33, v0
	s_and_saveexec_b64 s[0:1], vcc
	s_cbranch_execz .LBB144_195
.LBB144_180:
	v_add_u32_e32 v0, s4, v0
	global_store_byte v0, v3, s[8:9]
	s_endpgm
.LBB144_181:
	v_add_u32_e32 v1, s4, v0
	v_add_u32_e32 v0, 0x100, v0
	global_store_byte v1, v18, s[8:9]
	s_or_b64 exec, exec, s[0:1]
	v_cmp_gt_i32_e32 vcc, s33, v0
	s_and_saveexec_b64 s[0:1], vcc
	s_cbranch_execz .LBB144_167
.LBB144_182:
	v_add_u32_e32 v1, s4, v0
	v_add_u32_e32 v0, 0x100, v0
	global_store_byte v1, v2, s[8:9]
	s_or_b64 exec, exec, s[0:1]
	v_cmp_gt_i32_e32 vcc, s33, v0
	s_and_saveexec_b64 s[0:1], vcc
	s_cbranch_execz .LBB144_168
.LBB144_183:
	v_add_u32_e32 v1, s4, v0
	v_add_u32_e32 v0, 0x100, v0
	global_store_byte v1, v15, s[8:9]
	s_or_b64 exec, exec, s[0:1]
	v_cmp_gt_i32_e32 vcc, s33, v0
	s_and_saveexec_b64 s[0:1], vcc
	s_cbranch_execz .LBB144_169
.LBB144_184:
	v_add_u32_e32 v1, s4, v0
	v_add_u32_e32 v0, 0x100, v0
	global_store_byte v1, v19, s[8:9]
	s_or_b64 exec, exec, s[0:1]
	v_cmp_gt_i32_e32 vcc, s33, v0
	s_and_saveexec_b64 s[0:1], vcc
	s_cbranch_execz .LBB144_170
.LBB144_185:
	v_add_u32_e32 v1, s4, v0
	v_add_u32_e32 v0, 0x100, v0
	global_store_byte v1, v30, s[8:9]
	s_or_b64 exec, exec, s[0:1]
	v_cmp_gt_i32_e32 vcc, s33, v0
	s_and_saveexec_b64 s[0:1], vcc
	s_cbranch_execz .LBB144_171
.LBB144_186:
	v_add_u32_e32 v1, s4, v0
	v_add_u32_e32 v0, 0x100, v0
	global_store_byte v1, v14, s[8:9]
	s_or_b64 exec, exec, s[0:1]
	v_cmp_gt_i32_e32 vcc, s33, v0
	s_and_saveexec_b64 s[0:1], vcc
	s_cbranch_execz .LBB144_172
.LBB144_187:
	v_add_u32_e32 v1, s4, v0
	v_add_u32_e32 v0, 0x100, v0
	global_store_byte v1, v13, s[8:9]
	s_or_b64 exec, exec, s[0:1]
	v_cmp_gt_i32_e32 vcc, s33, v0
	s_and_saveexec_b64 s[0:1], vcc
	s_cbranch_execz .LBB144_173
.LBB144_188:
	v_add_u32_e32 v1, s4, v0
	v_add_u32_e32 v0, 0x100, v0
	global_store_byte v1, v12, s[8:9]
	s_or_b64 exec, exec, s[0:1]
	v_cmp_gt_i32_e32 vcc, s33, v0
	s_and_saveexec_b64 s[0:1], vcc
	s_cbranch_execz .LBB144_174
.LBB144_189:
	v_add_u32_e32 v1, s4, v0
	v_add_u32_e32 v0, 0x100, v0
	global_store_byte v1, v11, s[8:9]
	s_or_b64 exec, exec, s[0:1]
	v_cmp_gt_i32_e32 vcc, s33, v0
	s_and_saveexec_b64 s[0:1], vcc
	s_cbranch_execz .LBB144_175
.LBB144_190:
	v_add_u32_e32 v1, s4, v0
	v_add_u32_e32 v0, 0x100, v0
	global_store_byte v1, v10, s[8:9]
	s_or_b64 exec, exec, s[0:1]
	v_cmp_gt_i32_e32 vcc, s33, v0
	s_and_saveexec_b64 s[0:1], vcc
	s_cbranch_execz .LBB144_176
.LBB144_191:
	v_add_u32_e32 v1, s4, v0
	v_add_u32_e32 v0, 0x100, v0
	global_store_byte v1, v9, s[8:9]
	s_or_b64 exec, exec, s[0:1]
	v_cmp_gt_i32_e32 vcc, s33, v0
	s_and_saveexec_b64 s[0:1], vcc
	s_cbranch_execz .LBB144_177
.LBB144_192:
	v_add_u32_e32 v1, s4, v0
	v_add_u32_e32 v0, 0x100, v0
	global_store_byte v1, v8, s[8:9]
	s_or_b64 exec, exec, s[0:1]
	v_cmp_gt_i32_e32 vcc, s33, v0
	s_and_saveexec_b64 s[0:1], vcc
	s_cbranch_execz .LBB144_178
.LBB144_193:
	v_add_u32_e32 v1, s4, v0
	v_add_u32_e32 v0, 0x100, v0
	global_store_byte v1, v7, s[8:9]
	s_or_b64 exec, exec, s[0:1]
	v_cmp_gt_i32_e32 vcc, s33, v0
	s_and_saveexec_b64 s[0:1], vcc
	s_cbranch_execz .LBB144_179
.LBB144_194:
	v_add_u32_e32 v1, s4, v0
	v_add_u32_e32 v0, 0x100, v0
	global_store_byte v1, v6, s[8:9]
	s_or_b64 exec, exec, s[0:1]
	v_cmp_gt_i32_e32 vcc, s33, v0
	s_and_saveexec_b64 s[0:1], vcc
	s_cbranch_execnz .LBB144_180
.LBB144_195:
	s_endpgm
.LBB144_196:
                                        ; implicit-def: $sgpr6_sgpr7
	s_branch .LBB144_3
.LBB144_197:
                                        ; implicit-def: $sgpr14_sgpr15
	s_branch .LBB144_6
.LBB144_198:
                                        ; implicit-def: $sgpr16_sgpr17
	s_branch .LBB144_9
.LBB144_199:
                                        ; implicit-def: $sgpr18_sgpr19
	s_branch .LBB144_12
.LBB144_200:
                                        ; implicit-def: $sgpr20_sgpr21
	s_branch .LBB144_15
.LBB144_201:
                                        ; implicit-def: $sgpr22_sgpr23
	s_branch .LBB144_18
.LBB144_202:
                                        ; implicit-def: $sgpr24_sgpr25
	s_branch .LBB144_21
.LBB144_203:
                                        ; implicit-def: $sgpr26_sgpr27
	s_branch .LBB144_24
.LBB144_204:
                                        ; implicit-def: $sgpr28_sgpr29
	s_branch .LBB144_27
.LBB144_205:
                                        ; implicit-def: $sgpr30_sgpr31
	s_branch .LBB144_30
.LBB144_206:
                                        ; implicit-def: $sgpr34_sgpr35
	s_branch .LBB144_33
.LBB144_207:
                                        ; implicit-def: $sgpr36_sgpr37
	s_branch .LBB144_36
.LBB144_208:
                                        ; implicit-def: $sgpr38_sgpr39
	s_branch .LBB144_39
.LBB144_209:
                                        ; implicit-def: $sgpr40_sgpr41
	s_branch .LBB144_42
.LBB144_210:
                                        ; implicit-def: $sgpr42_sgpr43
	s_branch .LBB144_45
.LBB144_211:
                                        ; implicit-def: $sgpr0_sgpr1
	s_branch .LBB144_48
.LBB144_212:
                                        ; implicit-def: $sgpr10_sgpr11
	s_branch .LBB144_86
.LBB144_213:
                                        ; implicit-def: $sgpr10_sgpr11
	s_branch .LBB144_91
.LBB144_214:
                                        ; implicit-def: $sgpr10_sgpr11
	s_branch .LBB144_96
.LBB144_215:
                                        ; implicit-def: $sgpr10_sgpr11
	s_branch .LBB144_101
.LBB144_216:
                                        ; implicit-def: $sgpr10_sgpr11
	s_branch .LBB144_106
.LBB144_217:
                                        ; implicit-def: $sgpr10_sgpr11
	s_branch .LBB144_111
.LBB144_218:
                                        ; implicit-def: $sgpr10_sgpr11
	s_branch .LBB144_116
.LBB144_219:
                                        ; implicit-def: $sgpr10_sgpr11
	s_branch .LBB144_121
.LBB144_220:
                                        ; implicit-def: $sgpr10_sgpr11
	s_branch .LBB144_126
.LBB144_221:
                                        ; implicit-def: $sgpr10_sgpr11
	s_branch .LBB144_131
.LBB144_222:
                                        ; implicit-def: $sgpr10_sgpr11
	s_branch .LBB144_136
.LBB144_223:
                                        ; implicit-def: $sgpr10_sgpr11
	s_branch .LBB144_141
.LBB144_224:
                                        ; implicit-def: $sgpr10_sgpr11
	s_branch .LBB144_146
.LBB144_225:
                                        ; implicit-def: $sgpr10_sgpr11
	s_branch .LBB144_151
.LBB144_226:
                                        ; implicit-def: $sgpr10_sgpr11
	s_branch .LBB144_156
.LBB144_227:
                                        ; implicit-def: $sgpr2_sgpr3
	s_branch .LBB144_161
	.section	.rodata,"a",@progbits
	.p2align	6, 0x0
	.amdhsa_kernel _ZN2at6native29vectorized_elementwise_kernelILi16ENS0_13BinaryFunctorIN3c107complexINS3_4HalfEEES6_bNS0_12_GLOBAL__N_116CompareEqFunctorIS6_EEEESt5arrayIPcLm3EEEEviT0_T1_
		.amdhsa_group_segment_fixed_size 0
		.amdhsa_private_segment_fixed_size 0
		.amdhsa_kernarg_size 32
		.amdhsa_user_sgpr_count 6
		.amdhsa_user_sgpr_private_segment_buffer 1
		.amdhsa_user_sgpr_dispatch_ptr 0
		.amdhsa_user_sgpr_queue_ptr 0
		.amdhsa_user_sgpr_kernarg_segment_ptr 1
		.amdhsa_user_sgpr_dispatch_id 0
		.amdhsa_user_sgpr_flat_scratch_init 0
		.amdhsa_user_sgpr_private_segment_size 0
		.amdhsa_uses_dynamic_stack 0
		.amdhsa_system_sgpr_private_segment_wavefront_offset 0
		.amdhsa_system_sgpr_workgroup_id_x 1
		.amdhsa_system_sgpr_workgroup_id_y 0
		.amdhsa_system_sgpr_workgroup_id_z 0
		.amdhsa_system_sgpr_workgroup_info 0
		.amdhsa_system_vgpr_workitem_id 0
		.amdhsa_next_free_vgpr 38
		.amdhsa_next_free_sgpr 46
		.amdhsa_reserve_vcc 1
		.amdhsa_reserve_flat_scratch 0
		.amdhsa_float_round_mode_32 0
		.amdhsa_float_round_mode_16_64 0
		.amdhsa_float_denorm_mode_32 3
		.amdhsa_float_denorm_mode_16_64 3
		.amdhsa_dx10_clamp 1
		.amdhsa_ieee_mode 1
		.amdhsa_fp16_overflow 0
		.amdhsa_exception_fp_ieee_invalid_op 0
		.amdhsa_exception_fp_denorm_src 0
		.amdhsa_exception_fp_ieee_div_zero 0
		.amdhsa_exception_fp_ieee_overflow 0
		.amdhsa_exception_fp_ieee_underflow 0
		.amdhsa_exception_fp_ieee_inexact 0
		.amdhsa_exception_int_div_zero 0
	.end_amdhsa_kernel
	.section	.text._ZN2at6native29vectorized_elementwise_kernelILi16ENS0_13BinaryFunctorIN3c107complexINS3_4HalfEEES6_bNS0_12_GLOBAL__N_116CompareEqFunctorIS6_EEEESt5arrayIPcLm3EEEEviT0_T1_,"axG",@progbits,_ZN2at6native29vectorized_elementwise_kernelILi16ENS0_13BinaryFunctorIN3c107complexINS3_4HalfEEES6_bNS0_12_GLOBAL__N_116CompareEqFunctorIS6_EEEESt5arrayIPcLm3EEEEviT0_T1_,comdat
.Lfunc_end144:
	.size	_ZN2at6native29vectorized_elementwise_kernelILi16ENS0_13BinaryFunctorIN3c107complexINS3_4HalfEEES6_bNS0_12_GLOBAL__N_116CompareEqFunctorIS6_EEEESt5arrayIPcLm3EEEEviT0_T1_, .Lfunc_end144-_ZN2at6native29vectorized_elementwise_kernelILi16ENS0_13BinaryFunctorIN3c107complexINS3_4HalfEEES6_bNS0_12_GLOBAL__N_116CompareEqFunctorIS6_EEEESt5arrayIPcLm3EEEEviT0_T1_
                                        ; -- End function
	.set _ZN2at6native29vectorized_elementwise_kernelILi16ENS0_13BinaryFunctorIN3c107complexINS3_4HalfEEES6_bNS0_12_GLOBAL__N_116CompareEqFunctorIS6_EEEESt5arrayIPcLm3EEEEviT0_T1_.num_vgpr, 38
	.set _ZN2at6native29vectorized_elementwise_kernelILi16ENS0_13BinaryFunctorIN3c107complexINS3_4HalfEEES6_bNS0_12_GLOBAL__N_116CompareEqFunctorIS6_EEEESt5arrayIPcLm3EEEEviT0_T1_.num_agpr, 0
	.set _ZN2at6native29vectorized_elementwise_kernelILi16ENS0_13BinaryFunctorIN3c107complexINS3_4HalfEEES6_bNS0_12_GLOBAL__N_116CompareEqFunctorIS6_EEEESt5arrayIPcLm3EEEEviT0_T1_.numbered_sgpr, 46
	.set _ZN2at6native29vectorized_elementwise_kernelILi16ENS0_13BinaryFunctorIN3c107complexINS3_4HalfEEES6_bNS0_12_GLOBAL__N_116CompareEqFunctorIS6_EEEESt5arrayIPcLm3EEEEviT0_T1_.num_named_barrier, 0
	.set _ZN2at6native29vectorized_elementwise_kernelILi16ENS0_13BinaryFunctorIN3c107complexINS3_4HalfEEES6_bNS0_12_GLOBAL__N_116CompareEqFunctorIS6_EEEESt5arrayIPcLm3EEEEviT0_T1_.private_seg_size, 0
	.set _ZN2at6native29vectorized_elementwise_kernelILi16ENS0_13BinaryFunctorIN3c107complexINS3_4HalfEEES6_bNS0_12_GLOBAL__N_116CompareEqFunctorIS6_EEEESt5arrayIPcLm3EEEEviT0_T1_.uses_vcc, 1
	.set _ZN2at6native29vectorized_elementwise_kernelILi16ENS0_13BinaryFunctorIN3c107complexINS3_4HalfEEES6_bNS0_12_GLOBAL__N_116CompareEqFunctorIS6_EEEESt5arrayIPcLm3EEEEviT0_T1_.uses_flat_scratch, 0
	.set _ZN2at6native29vectorized_elementwise_kernelILi16ENS0_13BinaryFunctorIN3c107complexINS3_4HalfEEES6_bNS0_12_GLOBAL__N_116CompareEqFunctorIS6_EEEESt5arrayIPcLm3EEEEviT0_T1_.has_dyn_sized_stack, 0
	.set _ZN2at6native29vectorized_elementwise_kernelILi16ENS0_13BinaryFunctorIN3c107complexINS3_4HalfEEES6_bNS0_12_GLOBAL__N_116CompareEqFunctorIS6_EEEESt5arrayIPcLm3EEEEviT0_T1_.has_recursion, 0
	.set _ZN2at6native29vectorized_elementwise_kernelILi16ENS0_13BinaryFunctorIN3c107complexINS3_4HalfEEES6_bNS0_12_GLOBAL__N_116CompareEqFunctorIS6_EEEESt5arrayIPcLm3EEEEviT0_T1_.has_indirect_call, 0
	.section	.AMDGPU.csdata,"",@progbits
; Kernel info:
; codeLenInByte = 6064
; TotalNumSgprs: 50
; NumVgprs: 38
; ScratchSize: 0
; MemoryBound: 1
; FloatMode: 240
; IeeeMode: 1
; LDSByteSize: 0 bytes/workgroup (compile time only)
; SGPRBlocks: 6
; VGPRBlocks: 9
; NumSGPRsForWavesPerEU: 50
; NumVGPRsForWavesPerEU: 38
; Occupancy: 6
; WaveLimiterHint : 0
; COMPUTE_PGM_RSRC2:SCRATCH_EN: 0
; COMPUTE_PGM_RSRC2:USER_SGPR: 6
; COMPUTE_PGM_RSRC2:TRAP_HANDLER: 0
; COMPUTE_PGM_RSRC2:TGID_X_EN: 1
; COMPUTE_PGM_RSRC2:TGID_Y_EN: 0
; COMPUTE_PGM_RSRC2:TGID_Z_EN: 0
; COMPUTE_PGM_RSRC2:TIDIG_COMP_CNT: 0
	.section	.text._ZN2at6native29vectorized_elementwise_kernelILi8ENS0_13BinaryFunctorIN3c107complexINS3_4HalfEEES6_bNS0_12_GLOBAL__N_116CompareEqFunctorIS6_EEEESt5arrayIPcLm3EEEEviT0_T1_,"axG",@progbits,_ZN2at6native29vectorized_elementwise_kernelILi8ENS0_13BinaryFunctorIN3c107complexINS3_4HalfEEES6_bNS0_12_GLOBAL__N_116CompareEqFunctorIS6_EEEESt5arrayIPcLm3EEEEviT0_T1_,comdat
	.globl	_ZN2at6native29vectorized_elementwise_kernelILi8ENS0_13BinaryFunctorIN3c107complexINS3_4HalfEEES6_bNS0_12_GLOBAL__N_116CompareEqFunctorIS6_EEEESt5arrayIPcLm3EEEEviT0_T1_ ; -- Begin function _ZN2at6native29vectorized_elementwise_kernelILi8ENS0_13BinaryFunctorIN3c107complexINS3_4HalfEEES6_bNS0_12_GLOBAL__N_116CompareEqFunctorIS6_EEEESt5arrayIPcLm3EEEEviT0_T1_
	.p2align	8
	.type	_ZN2at6native29vectorized_elementwise_kernelILi8ENS0_13BinaryFunctorIN3c107complexINS3_4HalfEEES6_bNS0_12_GLOBAL__N_116CompareEqFunctorIS6_EEEESt5arrayIPcLm3EEEEviT0_T1_,@function
_ZN2at6native29vectorized_elementwise_kernelILi8ENS0_13BinaryFunctorIN3c107complexINS3_4HalfEEES6_bNS0_12_GLOBAL__N_116CompareEqFunctorIS6_EEEESt5arrayIPcLm3EEEEviT0_T1_: ; @_ZN2at6native29vectorized_elementwise_kernelILi8ENS0_13BinaryFunctorIN3c107complexINS3_4HalfEEES6_bNS0_12_GLOBAL__N_116CompareEqFunctorIS6_EEEESt5arrayIPcLm3EEEEviT0_T1_
; %bb.0:
	s_load_dwordx2 s[2:3], s[4:5], 0x0
	s_load_dwordx4 s[8:11], s[4:5], 0x8
	s_load_dwordx2 s[12:13], s[4:5], 0x18
	s_lshl_b32 s4, s6, 12
	s_mov_b64 s[0:1], -1
	s_waitcnt lgkmcnt(0)
	s_sub_i32 s33, s2, s4
	s_cmpk_gt_i32 s33, 0xfff
	s_cbranch_scc0 .LBB145_50
; %bb.1:
	s_ashr_i32 s5, s4, 31
	s_lshl_b64 s[6:7], s[4:5], 2
	s_add_u32 s0, s10, s6
	s_addc_u32 s1, s11, s7
	v_lshlrev_b32_e32 v13, 5, v0
	v_mov_b32_e32 v1, s1
	v_add_co_u32_e32 v2, vcc, s0, v13
	v_addc_co_u32_e32 v1, vcc, 0, v1, vcc
	v_add_co_u32_e32 v5, vcc, 0x2000, v2
	global_load_dwordx4 v[17:20], v13, s[0:1] offset:16
	global_load_dwordx4 v[25:28], v13, s[0:1]
	v_addc_co_u32_e64 v6, s[0:1], 0, v1, vcc
	s_add_u32 s0, s12, s6
	v_addc_co_u32_e32 v8, vcc, 0, v1, vcc
	v_mov_b32_e32 v7, v5
	s_addc_u32 s1, s13, s7
	global_load_dwordx4 v[9:12], v[7:8], off
	global_load_dwordx4 v[1:4], v[5:6], off offset:16
	v_mov_b32_e32 v5, s1
	v_add_co_u32_e32 v6, vcc, s0, v13
	s_movk_i32 s2, 0x2000
	v_addc_co_u32_e32 v5, vcc, 0, v5, vcc
	v_add_co_u32_e32 v33, vcc, s2, v6
	v_addc_co_u32_e32 v34, vcc, 0, v5, vcc
	v_add_co_u32_e32 v35, vcc, 0x2000, v6
	v_addc_co_u32_e32 v36, vcc, 0, v5, vcc
	global_load_dwordx4 v[21:24], v13, s[0:1] offset:16
	global_load_dwordx4 v[29:32], v13, s[0:1]
	s_nop 0
	global_load_dwordx4 v[13:16], v[35:36], off
	global_load_dwordx4 v[5:8], v[33:34], off offset:16
	s_cmp_lg_u32 s3, 0
	s_cselect_b64 s[14:15], -1, 0
	s_and_b64 vcc, exec, s[14:15]
	s_cbranch_vccz .LBB145_196
; %bb.2:
	s_waitcnt vmcnt(2)
	v_cmp_neq_f16_e32 vcc, v25, v29
	v_cmp_neq_f16_sdwa s[0:1], v25, v29 src0_sel:WORD_1 src1_sel:WORD_1
	s_or_b64 s[6:7], vcc, s[0:1]
	s_cbranch_execnz .LBB145_4
.LBB145_3:
	s_waitcnt vmcnt(2)
	v_cmp_eq_f16_e32 vcc, v25, v29
	v_cmp_eq_f16_sdwa s[0:1], v25, v29 src0_sel:WORD_1 src1_sel:WORD_1
	s_and_b64 s[0:1], vcc, s[0:1]
	s_andn2_b64 s[6:7], s[6:7], exec
	s_and_b64 s[0:1], s[0:1], exec
	s_or_b64 s[6:7], s[6:7], s[0:1]
.LBB145_4:
	s_waitcnt vmcnt(6)
	v_cndmask_b32_e64 v25, 0, 1, s[14:15]
	v_cmp_ne_u32_e64 s[0:1], 1, v25
	s_andn2_b64 vcc, exec, s[14:15]
	s_cbranch_vccnz .LBB145_197
; %bb.5:
	s_waitcnt vmcnt(2)
	v_cmp_neq_f16_e32 vcc, v26, v30
	v_cmp_neq_f16_sdwa s[14:15], v26, v30 src0_sel:WORD_1 src1_sel:WORD_1
	s_or_b64 s[14:15], vcc, s[14:15]
	s_cbranch_execnz .LBB145_7
.LBB145_6:
	s_waitcnt vmcnt(2)
	v_cmp_eq_f16_e32 vcc, v26, v30
	v_cmp_eq_f16_sdwa s[16:17], v26, v30 src0_sel:WORD_1 src1_sel:WORD_1
	s_and_b64 s[16:17], vcc, s[16:17]
	s_andn2_b64 s[14:15], s[14:15], exec
	s_and_b64 s[16:17], s[16:17], exec
	s_or_b64 s[14:15], s[14:15], s[16:17]
.LBB145_7:
	s_and_b64 vcc, exec, s[0:1]
	s_cbranch_vccnz .LBB145_198
; %bb.8:
	s_waitcnt vmcnt(2)
	v_cmp_neq_f16_e32 vcc, v27, v31
	v_cmp_neq_f16_sdwa s[16:17], v27, v31 src0_sel:WORD_1 src1_sel:WORD_1
	s_or_b64 s[16:17], vcc, s[16:17]
	s_cbranch_execnz .LBB145_10
.LBB145_9:
	s_waitcnt vmcnt(2)
	v_cmp_eq_f16_e32 vcc, v27, v31
	v_cmp_eq_f16_sdwa s[18:19], v27, v31 src0_sel:WORD_1 src1_sel:WORD_1
	s_and_b64 s[18:19], vcc, s[18:19]
	s_andn2_b64 s[16:17], s[16:17], exec
	s_and_b64 s[18:19], s[18:19], exec
	s_or_b64 s[16:17], s[16:17], s[18:19]
.LBB145_10:
	s_and_b64 vcc, exec, s[0:1]
	s_cbranch_vccnz .LBB145_199
; %bb.11:
	s_waitcnt vmcnt(2)
	v_cmp_neq_f16_e32 vcc, v28, v32
	v_cmp_neq_f16_sdwa s[18:19], v28, v32 src0_sel:WORD_1 src1_sel:WORD_1
	s_or_b64 s[18:19], vcc, s[18:19]
	s_cbranch_execnz .LBB145_13
.LBB145_12:
	s_waitcnt vmcnt(2)
	v_cmp_eq_f16_e32 vcc, v28, v32
	v_cmp_eq_f16_sdwa s[20:21], v28, v32 src0_sel:WORD_1 src1_sel:WORD_1
	s_and_b64 s[20:21], vcc, s[20:21]
	s_andn2_b64 s[18:19], s[18:19], exec
	s_and_b64 s[20:21], s[20:21], exec
	s_or_b64 s[18:19], s[18:19], s[20:21]
.LBB145_13:
	s_and_b64 vcc, exec, s[0:1]
	s_cbranch_vccnz .LBB145_200
; %bb.14:
	s_waitcnt vmcnt(3)
	v_cmp_neq_f16_e32 vcc, v17, v21
	v_cmp_neq_f16_sdwa s[20:21], v17, v21 src0_sel:WORD_1 src1_sel:WORD_1
	s_or_b64 s[20:21], vcc, s[20:21]
	s_cbranch_execnz .LBB145_16
.LBB145_15:
	s_waitcnt vmcnt(3)
	v_cmp_eq_f16_e32 vcc, v17, v21
	v_cmp_eq_f16_sdwa s[22:23], v17, v21 src0_sel:WORD_1 src1_sel:WORD_1
	s_and_b64 s[22:23], vcc, s[22:23]
	s_andn2_b64 s[20:21], s[20:21], exec
	s_and_b64 s[22:23], s[22:23], exec
	s_or_b64 s[20:21], s[20:21], s[22:23]
.LBB145_16:
	s_and_b64 vcc, exec, s[0:1]
	s_cbranch_vccnz .LBB145_201
; %bb.17:
	s_waitcnt vmcnt(3)
	v_cmp_neq_f16_e32 vcc, v18, v22
	v_cmp_neq_f16_sdwa s[22:23], v18, v22 src0_sel:WORD_1 src1_sel:WORD_1
	s_or_b64 s[22:23], vcc, s[22:23]
	s_cbranch_execnz .LBB145_19
.LBB145_18:
	s_waitcnt vmcnt(3)
	v_cmp_eq_f16_e32 vcc, v18, v22
	v_cmp_eq_f16_sdwa s[24:25], v18, v22 src0_sel:WORD_1 src1_sel:WORD_1
	s_and_b64 s[24:25], vcc, s[24:25]
	s_andn2_b64 s[22:23], s[22:23], exec
	s_and_b64 s[24:25], s[24:25], exec
	s_or_b64 s[22:23], s[22:23], s[24:25]
.LBB145_19:
	s_and_b64 vcc, exec, s[0:1]
	s_cbranch_vccnz .LBB145_202
; %bb.20:
	s_waitcnt vmcnt(3)
	v_cmp_neq_f16_e32 vcc, v19, v23
	v_cmp_neq_f16_sdwa s[24:25], v19, v23 src0_sel:WORD_1 src1_sel:WORD_1
	s_or_b64 s[24:25], vcc, s[24:25]
	s_cbranch_execnz .LBB145_22
.LBB145_21:
	s_waitcnt vmcnt(3)
	v_cmp_eq_f16_e32 vcc, v19, v23
	v_cmp_eq_f16_sdwa s[26:27], v19, v23 src0_sel:WORD_1 src1_sel:WORD_1
	s_and_b64 s[26:27], vcc, s[26:27]
	s_andn2_b64 s[24:25], s[24:25], exec
	s_and_b64 s[26:27], s[26:27], exec
	s_or_b64 s[24:25], s[24:25], s[26:27]
.LBB145_22:
	s_and_b64 vcc, exec, s[0:1]
	s_cbranch_vccnz .LBB145_203
; %bb.23:
	s_waitcnt vmcnt(3)
	v_cmp_neq_f16_e32 vcc, v20, v24
	v_cmp_neq_f16_sdwa s[26:27], v20, v24 src0_sel:WORD_1 src1_sel:WORD_1
	s_or_b64 s[26:27], vcc, s[26:27]
	s_cbranch_execnz .LBB145_25
.LBB145_24:
	s_waitcnt vmcnt(3)
	v_cmp_eq_f16_e32 vcc, v20, v24
	v_cmp_eq_f16_sdwa s[28:29], v20, v24 src0_sel:WORD_1 src1_sel:WORD_1
	s_and_b64 s[28:29], vcc, s[28:29]
	s_andn2_b64 s[26:27], s[26:27], exec
	s_and_b64 s[28:29], s[28:29], exec
	s_or_b64 s[26:27], s[26:27], s[28:29]
.LBB145_25:
	s_and_b64 vcc, exec, s[0:1]
	s_cbranch_vccnz .LBB145_204
; %bb.26:
	s_waitcnt vmcnt(1)
	v_cmp_neq_f16_e32 vcc, v9, v13
	v_cmp_neq_f16_sdwa s[28:29], v9, v13 src0_sel:WORD_1 src1_sel:WORD_1
	s_or_b64 s[28:29], vcc, s[28:29]
	s_cbranch_execnz .LBB145_28
.LBB145_27:
	s_waitcnt vmcnt(1)
	v_cmp_eq_f16_e32 vcc, v9, v13
	v_cmp_eq_f16_sdwa s[30:31], v9, v13 src0_sel:WORD_1 src1_sel:WORD_1
	s_and_b64 s[30:31], vcc, s[30:31]
	s_andn2_b64 s[28:29], s[28:29], exec
	s_and_b64 s[30:31], s[30:31], exec
	s_or_b64 s[28:29], s[28:29], s[30:31]
.LBB145_28:
	s_and_b64 vcc, exec, s[0:1]
	s_cbranch_vccnz .LBB145_205
; %bb.29:
	s_waitcnt vmcnt(1)
	v_cmp_neq_f16_e32 vcc, v10, v14
	v_cmp_neq_f16_sdwa s[30:31], v10, v14 src0_sel:WORD_1 src1_sel:WORD_1
	s_or_b64 s[30:31], vcc, s[30:31]
	s_cbranch_execnz .LBB145_31
.LBB145_30:
	s_waitcnt vmcnt(1)
	v_cmp_eq_f16_e32 vcc, v10, v14
	v_cmp_eq_f16_sdwa s[34:35], v10, v14 src0_sel:WORD_1 src1_sel:WORD_1
	s_and_b64 s[34:35], vcc, s[34:35]
	s_andn2_b64 s[30:31], s[30:31], exec
	s_and_b64 s[34:35], s[34:35], exec
	s_or_b64 s[30:31], s[30:31], s[34:35]
.LBB145_31:
	s_and_b64 vcc, exec, s[0:1]
	s_cbranch_vccnz .LBB145_206
; %bb.32:
	s_waitcnt vmcnt(1)
	v_cmp_neq_f16_e32 vcc, v11, v15
	v_cmp_neq_f16_sdwa s[34:35], v11, v15 src0_sel:WORD_1 src1_sel:WORD_1
	s_or_b64 s[34:35], vcc, s[34:35]
	s_cbranch_execnz .LBB145_34
.LBB145_33:
	s_waitcnt vmcnt(1)
	v_cmp_eq_f16_e32 vcc, v11, v15
	v_cmp_eq_f16_sdwa s[36:37], v11, v15 src0_sel:WORD_1 src1_sel:WORD_1
	s_and_b64 s[36:37], vcc, s[36:37]
	s_andn2_b64 s[34:35], s[34:35], exec
	s_and_b64 s[36:37], s[36:37], exec
	s_or_b64 s[34:35], s[34:35], s[36:37]
.LBB145_34:
	s_and_b64 vcc, exec, s[0:1]
	s_cbranch_vccnz .LBB145_207
; %bb.35:
	s_waitcnt vmcnt(1)
	v_cmp_neq_f16_e32 vcc, v12, v16
	v_cmp_neq_f16_sdwa s[36:37], v12, v16 src0_sel:WORD_1 src1_sel:WORD_1
	s_or_b64 s[36:37], vcc, s[36:37]
	s_cbranch_execnz .LBB145_37
.LBB145_36:
	s_waitcnt vmcnt(1)
	v_cmp_eq_f16_e32 vcc, v12, v16
	v_cmp_eq_f16_sdwa s[38:39], v12, v16 src0_sel:WORD_1 src1_sel:WORD_1
	s_and_b64 s[38:39], vcc, s[38:39]
	s_andn2_b64 s[36:37], s[36:37], exec
	s_and_b64 s[38:39], s[38:39], exec
	s_or_b64 s[36:37], s[36:37], s[38:39]
.LBB145_37:
	s_and_b64 vcc, exec, s[0:1]
	s_cbranch_vccnz .LBB145_208
; %bb.38:
	s_waitcnt vmcnt(0)
	v_cmp_neq_f16_e32 vcc, v1, v5
	v_cmp_neq_f16_sdwa s[38:39], v1, v5 src0_sel:WORD_1 src1_sel:WORD_1
	s_or_b64 s[38:39], vcc, s[38:39]
	s_cbranch_execnz .LBB145_40
.LBB145_39:
	s_waitcnt vmcnt(0)
	v_cmp_eq_f16_e32 vcc, v1, v5
	v_cmp_eq_f16_sdwa s[40:41], v1, v5 src0_sel:WORD_1 src1_sel:WORD_1
	s_and_b64 s[40:41], vcc, s[40:41]
	s_andn2_b64 s[38:39], s[38:39], exec
	s_and_b64 s[40:41], s[40:41], exec
	s_or_b64 s[38:39], s[38:39], s[40:41]
.LBB145_40:
	s_and_b64 vcc, exec, s[0:1]
	s_cbranch_vccnz .LBB145_209
; %bb.41:
	s_waitcnt vmcnt(0)
	v_cmp_neq_f16_e32 vcc, v2, v6
	v_cmp_neq_f16_sdwa s[40:41], v2, v6 src0_sel:WORD_1 src1_sel:WORD_1
	s_or_b64 s[40:41], vcc, s[40:41]
	s_cbranch_execnz .LBB145_43
.LBB145_42:
	s_waitcnt vmcnt(0)
	v_cmp_eq_f16_e32 vcc, v2, v6
	v_cmp_eq_f16_sdwa s[42:43], v2, v6 src0_sel:WORD_1 src1_sel:WORD_1
	s_and_b64 s[42:43], vcc, s[42:43]
	s_andn2_b64 s[40:41], s[40:41], exec
	s_and_b64 s[42:43], s[42:43], exec
	s_or_b64 s[40:41], s[40:41], s[42:43]
.LBB145_43:
	s_and_b64 vcc, exec, s[0:1]
	s_cbranch_vccnz .LBB145_210
; %bb.44:
	s_waitcnt vmcnt(0)
	v_cmp_neq_f16_e32 vcc, v3, v7
	v_cmp_neq_f16_sdwa s[42:43], v3, v7 src0_sel:WORD_1 src1_sel:WORD_1
	s_or_b64 s[42:43], vcc, s[42:43]
	s_cbranch_execnz .LBB145_46
.LBB145_45:
	s_waitcnt vmcnt(0)
	v_cmp_eq_f16_e32 vcc, v3, v7
	v_cmp_eq_f16_sdwa s[44:45], v3, v7 src0_sel:WORD_1 src1_sel:WORD_1
	s_and_b64 s[44:45], vcc, s[44:45]
	s_andn2_b64 s[42:43], s[42:43], exec
	s_and_b64 s[44:45], s[44:45], exec
	s_or_b64 s[42:43], s[42:43], s[44:45]
.LBB145_46:
	s_and_b64 vcc, exec, s[0:1]
	s_cbranch_vccnz .LBB145_211
; %bb.47:
	s_waitcnt vmcnt(0)
	v_cmp_neq_f16_e32 vcc, v4, v8
	v_cmp_neq_f16_sdwa s[0:1], v4, v8 src0_sel:WORD_1 src1_sel:WORD_1
	s_or_b64 s[0:1], vcc, s[0:1]
	s_cbranch_execnz .LBB145_49
.LBB145_48:
	s_waitcnt vmcnt(0)
	v_cmp_eq_f16_e32 vcc, v4, v8
	v_cmp_eq_f16_sdwa s[44:45], v4, v8 src0_sel:WORD_1 src1_sel:WORD_1
	s_and_b64 s[44:45], vcc, s[44:45]
	s_andn2_b64 s[0:1], s[0:1], exec
	s_and_b64 s[44:45], s[44:45], exec
	s_or_b64 s[0:1], s[0:1], s[44:45]
.LBB145_49:
	s_waitcnt vmcnt(4)
	v_mov_b32_e32 v1, 0x100
	v_cndmask_b32_e64 v2, 0, v1, s[30:31]
	v_cndmask_b32_e64 v3, 0, 1, s[28:29]
	v_or_b32_e32 v2, v2, v3
	v_mov_b32_e32 v3, 0x10000
	s_waitcnt vmcnt(0)
	v_mov_b32_e32 v5, 0x1000000
	v_cndmask_b32_e64 v4, 0, v3, s[34:35]
	v_cndmask_b32_e64 v6, 0, v5, s[36:37]
	v_or3_b32 v7, 0, 0, 0
	v_or3_b32 v2, v2, v4, v6
	v_cndmask_b32_e64 v4, 0, 1, s[38:39]
	v_cndmask_b32_e64 v6, 0, v1, s[40:41]
	v_or3_b32 v4, v7, v4, v6
	v_or3_b32 v6, v2, 0, 0
	v_cndmask_b32_e64 v2, 0, v1, s[14:15]
	v_cndmask_b32_e64 v9, 0, 1, s[6:7]
	v_or_b32_e32 v2, v2, v9
	v_cndmask_b32_e64 v9, 0, v3, s[16:17]
	v_cndmask_b32_e64 v10, 0, v5, s[18:19]
	v_or3_b32 v2, v2, v9, v10
	v_cndmask_b32_e64 v9, 0, 1, s[20:21]
	v_cndmask_b32_e64 v1, 0, v1, s[22:23]
	;; [unrolled: 1-line block ×3, first 2 shown]
	v_or3_b32 v1, v7, v9, v1
	v_or3_b32 v7, v2, 0, 0
	v_cndmask_b32_e64 v2, 0, v3, s[24:25]
	v_cndmask_b32_e64 v3, 0, v5, s[26:27]
	v_or3_b32 v2, v1, v2, v3
	v_cndmask_b32_e64 v3, 0, v5, s[0:1]
	s_add_u32 s0, s8, s4
	v_or3_b32 v1, v7, 0, 0
	s_addc_u32 s1, s9, s5
	v_lshlrev_b32_e32 v5, 3, v0
	v_or3_b32 v4, v4, v8, v3
	v_or3_b32 v3, v6, 0, 0
	global_store_dwordx2 v5, v[1:2], s[0:1]
	global_store_dwordx2 v5, v[3:4], s[0:1] offset:2048
	s_mov_b64 s[0:1], 0
.LBB145_50:
	s_and_b64 vcc, exec, s[0:1]
	s_cbranch_vccz .LBB145_195
; %bb.51:
	v_cmp_gt_i32_e64 s[0:1], s33, v0
	v_mov_b32_e32 v20, 0
	v_or_b32_e32 v1, s4, v0
	v_mov_b32_e32 v3, 0
	v_mov_b32_e32 v21, 0
	;; [unrolled: 1-line block ×31, first 2 shown]
	s_and_saveexec_b64 s[6:7], s[0:1]
	s_cbranch_execz .LBB145_83
; %bb.52:
	v_mov_b32_e32 v2, 0
	v_lshlrev_b64 v[3:4], 2, v[1:2]
	v_mov_b32_e32 v6, s11
	v_add_co_u32_e32 v5, vcc, s10, v3
	v_addc_co_u32_e32 v6, vcc, v6, v4, vcc
	global_load_dword v36, v[5:6], off
	v_mov_b32_e32 v5, s13
	v_add_co_u32_e32 v3, vcc, s12, v3
	v_addc_co_u32_e32 v4, vcc, v5, v4, vcc
	global_load_dword v37, v[3:4], off
	v_or_b32_e32 v3, 0x100, v0
	v_cmp_gt_u32_e32 vcc, s33, v3
	v_mov_b32_e32 v35, v2
	v_mov_b32_e32 v15, v2
	;; [unrolled: 1-line block ×29, first 2 shown]
	s_and_saveexec_b64 s[14:15], vcc
	s_cbranch_execz .LBB145_82
; %bb.53:
	v_add_u32_e32 v14, s4, v0
	v_mov_b32_e32 v15, 0
	v_lshlrev_b64 v[2:3], 2, v[14:15]
	v_mov_b32_e32 v4, s11
	v_add_co_u32_e32 v16, vcc, s10, v2
	v_addc_co_u32_e32 v17, vcc, v4, v3, vcc
	v_mov_b32_e32 v4, s13
	v_add_co_u32_e32 v18, vcc, s12, v2
	v_addc_co_u32_e32 v19, vcc, v4, v3, vcc
	global_load_dword v35, v[16:17], off offset:1024
	global_load_dword v2, v[18:19], off offset:1024
	v_or_b32_e32 v3, 0x200, v0
	v_cmp_gt_u32_e32 vcc, s33, v3
	v_mov_b32_e32 v34, v15
	v_mov_b32_e32 v32, v15
	;; [unrolled: 1-line block ×27, first 2 shown]
	s_and_saveexec_b64 s[16:17], vcc
	s_cbranch_execz .LBB145_81
; %bb.54:
	global_load_dword v34, v[16:17], off offset:2048
	global_load_dword v15, v[18:19], off offset:2048
	v_or_b32_e32 v3, 0x300, v0
	v_cmp_gt_u32_e32 vcc, s33, v3
	v_mov_b32_e32 v32, 0
	v_mov_b32_e32 v33, 0
	;; [unrolled: 1-line block ×26, first 2 shown]
	s_and_saveexec_b64 s[18:19], vcc
	s_cbranch_execz .LBB145_80
; %bb.55:
	global_load_dword v33, v[16:17], off offset:3072
	global_load_dword v32, v[18:19], off offset:3072
	v_or_b32_e32 v16, 0x400, v0
	v_cmp_gt_u32_e32 vcc, s33, v16
	v_mov_b32_e32 v31, 0
	v_mov_b32_e32 v30, 0
	;; [unrolled: 1-line block ×24, first 2 shown]
	s_and_saveexec_b64 s[20:21], vcc
	s_cbranch_execz .LBB145_79
; %bb.56:
	v_or_b32_e32 v13, s4, v16
	v_mov_b32_e32 v14, 0
	v_lshlrev_b64 v[3:4], 2, v[13:14]
	v_mov_b32_e32 v6, s11
	v_add_co_u32_e32 v5, vcc, s10, v3
	v_addc_co_u32_e32 v6, vcc, v6, v4, vcc
	global_load_dword v30, v[5:6], off
	v_mov_b32_e32 v5, s13
	v_add_co_u32_e32 v3, vcc, s12, v3
	v_addc_co_u32_e32 v4, vcc, v5, v4, vcc
	global_load_dword v31, v[3:4], off
	v_or_b32_e32 v16, 0x500, v0
	v_cmp_gt_u32_e32 vcc, s33, v16
	v_mov_b32_e32 v29, v14
	v_mov_b32_e32 v13, v14
	v_mov_b32_e32 v28, v14
	v_mov_b32_e32 v12, v14
	v_mov_b32_e32 v27, v14
	v_mov_b32_e32 v11, v14
	v_mov_b32_e32 v26, v14
	v_mov_b32_e32 v10, v14
	v_mov_b32_e32 v25, v14
	v_mov_b32_e32 v9, v14
	v_mov_b32_e32 v24, v14
	v_mov_b32_e32 v8, v14
	v_mov_b32_e32 v23, v14
	v_mov_b32_e32 v7, v14
	v_mov_b32_e32 v22, v14
	v_mov_b32_e32 v6, v14
	v_mov_b32_e32 v21, v14
	v_mov_b32_e32 v5, v14
	v_mov_b32_e32 v3, v14
	v_mov_b32_e32 v4, v14
	v_mov_b32_e32 v20, v14
	s_and_saveexec_b64 s[22:23], vcc
	s_cbranch_execz .LBB145_78
; %bb.57:
	v_or_b32_e32 v12, s4, v16
	v_mov_b32_e32 v13, 0
	v_lshlrev_b64 v[3:4], 2, v[12:13]
	v_mov_b32_e32 v6, s11
	v_add_co_u32_e32 v5, vcc, s10, v3
	v_addc_co_u32_e32 v6, vcc, v6, v4, vcc
	global_load_dword v29, v[5:6], off
	v_mov_b32_e32 v5, s13
	v_add_co_u32_e32 v3, vcc, s12, v3
	v_addc_co_u32_e32 v4, vcc, v5, v4, vcc
	global_load_dword v14, v[3:4], off
	v_or_b32_e32 v16, 0x600, v0
	v_cmp_gt_u32_e32 vcc, s33, v16
	v_mov_b32_e32 v28, v13
	v_mov_b32_e32 v12, v13
	v_mov_b32_e32 v27, v13
	v_mov_b32_e32 v11, v13
	v_mov_b32_e32 v26, v13
	v_mov_b32_e32 v10, v13
	v_mov_b32_e32 v25, v13
	v_mov_b32_e32 v9, v13
	v_mov_b32_e32 v24, v13
	v_mov_b32_e32 v8, v13
	v_mov_b32_e32 v23, v13
	v_mov_b32_e32 v7, v13
	v_mov_b32_e32 v22, v13
	v_mov_b32_e32 v6, v13
	v_mov_b32_e32 v21, v13
	v_mov_b32_e32 v5, v13
	v_mov_b32_e32 v3, v13
	v_mov_b32_e32 v4, v13
	v_mov_b32_e32 v20, v13
	s_and_saveexec_b64 s[24:25], vcc
	s_cbranch_execz .LBB145_77
; %bb.58:
	v_or_b32_e32 v11, s4, v16
	v_mov_b32_e32 v12, 0
	v_lshlrev_b64 v[3:4], 2, v[11:12]
	v_mov_b32_e32 v6, s11
	v_add_co_u32_e32 v5, vcc, s10, v3
	v_addc_co_u32_e32 v6, vcc, v6, v4, vcc
	global_load_dword v28, v[5:6], off
	v_mov_b32_e32 v5, s13
	v_add_co_u32_e32 v3, vcc, s12, v3
	v_addc_co_u32_e32 v4, vcc, v5, v4, vcc
	global_load_dword v13, v[3:4], off
	v_or_b32_e32 v16, 0x700, v0
	v_cmp_gt_u32_e32 vcc, s33, v16
	v_mov_b32_e32 v27, v12
	v_mov_b32_e32 v11, v12
	;; [unrolled: 1-line block ×17, first 2 shown]
	s_and_saveexec_b64 s[26:27], vcc
	s_cbranch_execz .LBB145_76
; %bb.59:
	v_or_b32_e32 v10, s4, v16
	v_mov_b32_e32 v11, 0
	v_lshlrev_b64 v[3:4], 2, v[10:11]
	v_mov_b32_e32 v6, s11
	v_add_co_u32_e32 v5, vcc, s10, v3
	v_addc_co_u32_e32 v6, vcc, v6, v4, vcc
	global_load_dword v27, v[5:6], off
	v_mov_b32_e32 v5, s13
	v_add_co_u32_e32 v3, vcc, s12, v3
	v_addc_co_u32_e32 v4, vcc, v5, v4, vcc
	global_load_dword v12, v[3:4], off
	v_or_b32_e32 v16, 0x800, v0
	v_cmp_gt_u32_e32 vcc, s33, v16
	v_mov_b32_e32 v26, v11
	v_mov_b32_e32 v10, v11
	;; [unrolled: 1-line block ×15, first 2 shown]
	s_and_saveexec_b64 s[28:29], vcc
	s_cbranch_execz .LBB145_75
; %bb.60:
	v_or_b32_e32 v9, s4, v16
	v_mov_b32_e32 v10, 0
	v_lshlrev_b64 v[3:4], 2, v[9:10]
	v_mov_b32_e32 v6, s11
	v_add_co_u32_e32 v5, vcc, s10, v3
	v_addc_co_u32_e32 v6, vcc, v6, v4, vcc
	global_load_dword v26, v[5:6], off
	v_mov_b32_e32 v5, s13
	v_add_co_u32_e32 v3, vcc, s12, v3
	v_addc_co_u32_e32 v4, vcc, v5, v4, vcc
	global_load_dword v11, v[3:4], off
	v_or_b32_e32 v16, 0x900, v0
	v_cmp_gt_u32_e32 vcc, s33, v16
	v_mov_b32_e32 v25, v10
	v_mov_b32_e32 v9, v10
	;; [unrolled: 1-line block ×13, first 2 shown]
	s_and_saveexec_b64 s[30:31], vcc
	s_cbranch_execz .LBB145_74
; %bb.61:
	v_or_b32_e32 v8, s4, v16
	v_mov_b32_e32 v9, 0
	v_lshlrev_b64 v[3:4], 2, v[8:9]
	v_mov_b32_e32 v6, s11
	v_add_co_u32_e32 v5, vcc, s10, v3
	v_addc_co_u32_e32 v6, vcc, v6, v4, vcc
	global_load_dword v25, v[5:6], off
	v_mov_b32_e32 v5, s13
	v_add_co_u32_e32 v3, vcc, s12, v3
	v_addc_co_u32_e32 v4, vcc, v5, v4, vcc
	global_load_dword v10, v[3:4], off
	v_or_b32_e32 v16, 0xa00, v0
	v_cmp_gt_u32_e32 vcc, s33, v16
	v_mov_b32_e32 v24, v9
	v_mov_b32_e32 v8, v9
	;; [unrolled: 1-line block ×11, first 2 shown]
	s_and_saveexec_b64 s[34:35], vcc
	s_cbranch_execz .LBB145_73
; %bb.62:
	v_or_b32_e32 v7, s4, v16
	v_mov_b32_e32 v8, 0
	v_lshlrev_b64 v[3:4], 2, v[7:8]
	v_mov_b32_e32 v6, s11
	v_add_co_u32_e32 v5, vcc, s10, v3
	v_addc_co_u32_e32 v6, vcc, v6, v4, vcc
	global_load_dword v24, v[5:6], off
	v_mov_b32_e32 v5, s13
	v_add_co_u32_e32 v3, vcc, s12, v3
	v_addc_co_u32_e32 v4, vcc, v5, v4, vcc
	global_load_dword v9, v[3:4], off
	v_or_b32_e32 v16, 0xb00, v0
	v_cmp_gt_u32_e32 vcc, s33, v16
	v_mov_b32_e32 v23, v8
	v_mov_b32_e32 v7, v8
	;; [unrolled: 1-line block ×9, first 2 shown]
	s_and_saveexec_b64 s[36:37], vcc
	s_cbranch_execz .LBB145_72
; %bb.63:
	v_or_b32_e32 v6, s4, v16
	v_mov_b32_e32 v7, 0
	v_lshlrev_b64 v[3:4], 2, v[6:7]
	v_mov_b32_e32 v6, s11
	v_add_co_u32_e32 v5, vcc, s10, v3
	v_addc_co_u32_e32 v6, vcc, v6, v4, vcc
	global_load_dword v23, v[5:6], off
	v_mov_b32_e32 v5, s13
	v_add_co_u32_e32 v3, vcc, s12, v3
	v_addc_co_u32_e32 v4, vcc, v5, v4, vcc
	global_load_dword v8, v[3:4], off
	v_or_b32_e32 v16, 0xc00, v0
	v_cmp_gt_u32_e32 vcc, s33, v16
	v_mov_b32_e32 v22, v7
	v_mov_b32_e32 v6, v7
	v_mov_b32_e32 v21, v7
	v_mov_b32_e32 v5, v7
	v_mov_b32_e32 v3, v7
	v_mov_b32_e32 v4, v7
	v_mov_b32_e32 v20, v7
	s_and_saveexec_b64 s[38:39], vcc
	s_cbranch_execz .LBB145_71
; %bb.64:
	v_or_b32_e32 v5, s4, v16
	v_mov_b32_e32 v6, 0
	v_lshlrev_b64 v[3:4], 2, v[5:6]
	v_mov_b32_e32 v5, s11
	v_add_co_u32_e32 v16, vcc, s10, v3
	v_addc_co_u32_e32 v17, vcc, v5, v4, vcc
	v_mov_b32_e32 v5, s13
	v_add_co_u32_e32 v3, vcc, s12, v3
	v_addc_co_u32_e32 v4, vcc, v5, v4, vcc
	global_load_dword v22, v[16:17], off
	global_load_dword v7, v[3:4], off
	v_or_b32_e32 v16, 0xd00, v0
	v_cmp_gt_u32_e32 vcc, s33, v16
	v_mov_b32_e32 v21, v6
	v_mov_b32_e32 v5, v6
	;; [unrolled: 1-line block ×5, first 2 shown]
	s_and_saveexec_b64 s[40:41], vcc
	s_cbranch_execz .LBB145_70
; %bb.65:
	v_add_u32_e32 v4, s4, v16
	v_mov_b32_e32 v5, 0
	v_lshlrev_b64 v[3:4], 2, v[4:5]
	v_mov_b32_e32 v6, s11
	v_add_co_u32_e32 v16, vcc, s10, v3
	v_addc_co_u32_e32 v17, vcc, v6, v4, vcc
	v_mov_b32_e32 v6, s13
	v_add_co_u32_e32 v3, vcc, s12, v3
	v_addc_co_u32_e32 v4, vcc, v6, v4, vcc
	global_load_dword v21, v[16:17], off
	global_load_dword v6, v[3:4], off
	v_or_b32_e32 v16, 0xe00, v0
	v_cmp_gt_u32_e32 vcc, s33, v16
	v_mov_b32_e32 v3, v5
	v_mov_b32_e32 v4, v5
	;; [unrolled: 1-line block ×3, first 2 shown]
	s_and_saveexec_b64 s[42:43], vcc
	s_cbranch_execz .LBB145_69
; %bb.66:
	v_add_u32_e32 v3, s4, v16
	v_mov_b32_e32 v4, 0
	v_lshlrev_b64 v[16:17], 2, v[3:4]
	v_mov_b32_e32 v3, s11
	v_add_co_u32_e32 v18, vcc, s10, v16
	v_addc_co_u32_e32 v19, vcc, v3, v17, vcc
	v_mov_b32_e32 v5, s13
	v_add_co_u32_e32 v16, vcc, s12, v16
	v_addc_co_u32_e32 v17, vcc, v5, v17, vcc
	global_load_dword v3, v[18:19], off
	global_load_dword v5, v[16:17], off
	v_or_b32_e32 v16, 0xf00, v0
	v_cmp_gt_u32_e32 vcc, s33, v16
	v_mov_b32_e32 v20, v4
	s_and_saveexec_b64 s[44:45], vcc
	s_cbranch_execz .LBB145_68
; %bb.67:
	v_add_u32_e32 v16, s4, v16
	v_mov_b32_e32 v17, 0
	v_lshlrev_b64 v[16:17], 2, v[16:17]
	v_mov_b32_e32 v4, s13
	v_add_co_u32_e32 v18, vcc, s12, v16
	v_addc_co_u32_e32 v19, vcc, v4, v17, vcc
	v_mov_b32_e32 v4, s11
	v_add_co_u32_e32 v16, vcc, s10, v16
	v_addc_co_u32_e32 v17, vcc, v4, v17, vcc
	global_load_dword v20, v[16:17], off
	global_load_dword v4, v[18:19], off
.LBB145_68:
	s_or_b64 exec, exec, s[44:45]
.LBB145_69:
	s_or_b64 exec, exec, s[42:43]
.LBB145_70:
	s_or_b64 exec, exec, s[40:41]
.LBB145_71:
	s_or_b64 exec, exec, s[38:39]
.LBB145_72:
	s_or_b64 exec, exec, s[36:37]
.LBB145_73:
	s_or_b64 exec, exec, s[34:35]
.LBB145_74:
	s_or_b64 exec, exec, s[30:31]
.LBB145_75:
	s_or_b64 exec, exec, s[28:29]
.LBB145_76:
	s_or_b64 exec, exec, s[26:27]
.LBB145_77:
	s_or_b64 exec, exec, s[24:25]
.LBB145_78:
	s_or_b64 exec, exec, s[22:23]
.LBB145_79:
	s_or_b64 exec, exec, s[20:21]
.LBB145_80:
	s_or_b64 exec, exec, s[18:19]
.LBB145_81:
	s_or_b64 exec, exec, s[16:17]
.LBB145_82:
	s_or_b64 exec, exec, s[14:15]
.LBB145_83:
	s_or_b64 exec, exec, s[6:7]
	s_cmp_lg_u32 s3, 0
	s_cselect_b64 s[2:3], -1, 0
                                        ; implicit-def: $vgpr16
	s_and_saveexec_b64 s[6:7], s[0:1]
	s_cbranch_execz .LBB145_88
; %bb.84:
	s_and_b64 vcc, exec, s[2:3]
	s_cbranch_vccz .LBB145_212
; %bb.85:
	s_waitcnt vmcnt(0)
	v_cmp_neq_f16_e32 vcc, v36, v37
	v_cmp_neq_f16_sdwa s[10:11], v36, v37 src0_sel:WORD_1 src1_sel:WORD_1
	s_or_b64 s[10:11], vcc, s[10:11]
	s_cbranch_execnz .LBB145_87
.LBB145_86:
	s_waitcnt vmcnt(0)
	v_cmp_eq_f16_e32 vcc, v36, v37
	v_cmp_eq_f16_sdwa s[12:13], v36, v37 src0_sel:WORD_1 src1_sel:WORD_1
	s_and_b64 s[12:13], vcc, s[12:13]
	s_andn2_b64 s[10:11], s[10:11], exec
	s_and_b64 s[12:13], s[12:13], exec
	s_or_b64 s[10:11], s[10:11], s[12:13]
.LBB145_87:
	v_cndmask_b32_e64 v16, 0, 1, s[10:11]
.LBB145_88:
	s_or_b64 exec, exec, s[6:7]
	v_or_b32_e32 v17, 0x100, v0
	v_cndmask_b32_e64 v18, 0, 1, s[2:3]
	v_cmp_gt_i32_e32 vcc, s33, v17
	v_cmp_ne_u32_e64 s[2:3], 1, v18
                                        ; implicit-def: $vgpr18
	s_and_saveexec_b64 s[6:7], vcc
	s_cbranch_execz .LBB145_93
; %bb.89:
	s_and_b64 vcc, exec, s[2:3]
	s_cbranch_vccnz .LBB145_213
; %bb.90:
	s_waitcnt vmcnt(0)
	v_cmp_neq_f16_e32 vcc, v35, v2
	v_cmp_neq_f16_sdwa s[10:11], v35, v2 src0_sel:WORD_1 src1_sel:WORD_1
	s_or_b64 s[10:11], vcc, s[10:11]
	s_cbranch_execnz .LBB145_92
.LBB145_91:
	s_waitcnt vmcnt(0)
	v_cmp_eq_f16_e32 vcc, v35, v2
	v_cmp_eq_f16_sdwa s[12:13], v35, v2 src0_sel:WORD_1 src1_sel:WORD_1
	s_and_b64 s[12:13], vcc, s[12:13]
	s_andn2_b64 s[10:11], s[10:11], exec
	s_and_b64 s[12:13], s[12:13], exec
	s_or_b64 s[10:11], s[10:11], s[12:13]
.LBB145_92:
	v_cndmask_b32_e64 v18, 0, 1, s[10:11]
.LBB145_93:
	s_or_b64 exec, exec, s[6:7]
	s_waitcnt vmcnt(0)
	v_or_b32_e32 v2, 0x200, v0
	v_cmp_gt_i32_e32 vcc, s33, v2
                                        ; implicit-def: $vgpr2
	s_and_saveexec_b64 s[6:7], vcc
	s_cbranch_execz .LBB145_98
; %bb.94:
	s_and_b64 vcc, exec, s[2:3]
	s_cbranch_vccnz .LBB145_214
; %bb.95:
	v_cmp_neq_f16_e32 vcc, v34, v15
	v_cmp_neq_f16_sdwa s[10:11], v34, v15 src0_sel:WORD_1 src1_sel:WORD_1
	s_or_b64 s[10:11], vcc, s[10:11]
	s_cbranch_execnz .LBB145_97
.LBB145_96:
	v_cmp_eq_f16_e32 vcc, v34, v15
	v_cmp_eq_f16_sdwa s[12:13], v34, v15 src0_sel:WORD_1 src1_sel:WORD_1
	s_and_b64 s[12:13], vcc, s[12:13]
	s_andn2_b64 s[10:11], s[10:11], exec
	s_and_b64 s[12:13], s[12:13], exec
	s_or_b64 s[10:11], s[10:11], s[12:13]
.LBB145_97:
	v_cndmask_b32_e64 v2, 0, 1, s[10:11]
.LBB145_98:
	s_or_b64 exec, exec, s[6:7]
	v_or_b32_e32 v15, 0x300, v0
	v_cmp_gt_i32_e32 vcc, s33, v15
                                        ; implicit-def: $vgpr15
	s_and_saveexec_b64 s[6:7], vcc
	s_cbranch_execz .LBB145_103
; %bb.99:
	s_and_b64 vcc, exec, s[2:3]
	s_cbranch_vccnz .LBB145_215
; %bb.100:
	v_cmp_neq_f16_e32 vcc, v33, v32
	v_cmp_neq_f16_sdwa s[10:11], v33, v32 src0_sel:WORD_1 src1_sel:WORD_1
	s_or_b64 s[10:11], vcc, s[10:11]
	s_cbranch_execnz .LBB145_102
.LBB145_101:
	v_cmp_eq_f16_e32 vcc, v33, v32
	v_cmp_eq_f16_sdwa s[12:13], v33, v32 src0_sel:WORD_1 src1_sel:WORD_1
	s_and_b64 s[12:13], vcc, s[12:13]
	s_andn2_b64 s[10:11], s[10:11], exec
	s_and_b64 s[12:13], s[12:13], exec
	s_or_b64 s[10:11], s[10:11], s[12:13]
.LBB145_102:
	v_cndmask_b32_e64 v15, 0, 1, s[10:11]
.LBB145_103:
	s_or_b64 exec, exec, s[6:7]
	v_or_b32_e32 v19, 0x400, v0
	v_cmp_gt_i32_e32 vcc, s33, v19
                                        ; implicit-def: $vgpr19
	s_and_saveexec_b64 s[6:7], vcc
	s_cbranch_execz .LBB145_108
; %bb.104:
	s_and_b64 vcc, exec, s[2:3]
	s_cbranch_vccnz .LBB145_216
; %bb.105:
	v_cmp_neq_f16_e32 vcc, v30, v31
	v_cmp_neq_f16_sdwa s[10:11], v30, v31 src0_sel:WORD_1 src1_sel:WORD_1
	s_or_b64 s[10:11], vcc, s[10:11]
	s_cbranch_execnz .LBB145_107
.LBB145_106:
	v_cmp_eq_f16_e32 vcc, v30, v31
	v_cmp_eq_f16_sdwa s[12:13], v30, v31 src0_sel:WORD_1 src1_sel:WORD_1
	s_and_b64 s[12:13], vcc, s[12:13]
	s_andn2_b64 s[10:11], s[10:11], exec
	s_and_b64 s[12:13], s[12:13], exec
	s_or_b64 s[10:11], s[10:11], s[12:13]
.LBB145_107:
	v_cndmask_b32_e64 v19, 0, 1, s[10:11]
.LBB145_108:
	s_or_b64 exec, exec, s[6:7]
	v_or_b32_e32 v30, 0x500, v0
	v_cmp_gt_i32_e32 vcc, s33, v30
                                        ; implicit-def: $vgpr30
	s_and_saveexec_b64 s[6:7], vcc
	s_cbranch_execz .LBB145_113
; %bb.109:
	s_and_b64 vcc, exec, s[2:3]
	s_cbranch_vccnz .LBB145_217
; %bb.110:
	v_cmp_neq_f16_e32 vcc, v29, v14
	v_cmp_neq_f16_sdwa s[10:11], v29, v14 src0_sel:WORD_1 src1_sel:WORD_1
	s_or_b64 s[10:11], vcc, s[10:11]
	s_cbranch_execnz .LBB145_112
.LBB145_111:
	v_cmp_eq_f16_e32 vcc, v29, v14
	v_cmp_eq_f16_sdwa s[12:13], v29, v14 src0_sel:WORD_1 src1_sel:WORD_1
	s_and_b64 s[12:13], vcc, s[12:13]
	s_andn2_b64 s[10:11], s[10:11], exec
	s_and_b64 s[12:13], s[12:13], exec
	s_or_b64 s[10:11], s[10:11], s[12:13]
.LBB145_112:
	v_cndmask_b32_e64 v30, 0, 1, s[10:11]
.LBB145_113:
	s_or_b64 exec, exec, s[6:7]
	v_or_b32_e32 v14, 0x600, v0
	v_cmp_gt_i32_e32 vcc, s33, v14
                                        ; implicit-def: $vgpr14
	s_and_saveexec_b64 s[6:7], vcc
	s_cbranch_execz .LBB145_118
; %bb.114:
	s_and_b64 vcc, exec, s[2:3]
	s_cbranch_vccnz .LBB145_218
; %bb.115:
	v_cmp_neq_f16_e32 vcc, v28, v13
	v_cmp_neq_f16_sdwa s[10:11], v28, v13 src0_sel:WORD_1 src1_sel:WORD_1
	s_or_b64 s[10:11], vcc, s[10:11]
	s_cbranch_execnz .LBB145_117
.LBB145_116:
	v_cmp_eq_f16_e32 vcc, v28, v13
	v_cmp_eq_f16_sdwa s[12:13], v28, v13 src0_sel:WORD_1 src1_sel:WORD_1
	s_and_b64 s[12:13], vcc, s[12:13]
	s_andn2_b64 s[10:11], s[10:11], exec
	s_and_b64 s[12:13], s[12:13], exec
	s_or_b64 s[10:11], s[10:11], s[12:13]
.LBB145_117:
	v_cndmask_b32_e64 v14, 0, 1, s[10:11]
.LBB145_118:
	s_or_b64 exec, exec, s[6:7]
	v_or_b32_e32 v13, 0x700, v0
	v_cmp_gt_i32_e32 vcc, s33, v13
                                        ; implicit-def: $vgpr13
	s_and_saveexec_b64 s[6:7], vcc
	s_cbranch_execz .LBB145_123
; %bb.119:
	s_and_b64 vcc, exec, s[2:3]
	s_cbranch_vccnz .LBB145_219
; %bb.120:
	v_cmp_neq_f16_e32 vcc, v27, v12
	v_cmp_neq_f16_sdwa s[10:11], v27, v12 src0_sel:WORD_1 src1_sel:WORD_1
	s_or_b64 s[10:11], vcc, s[10:11]
	s_cbranch_execnz .LBB145_122
.LBB145_121:
	v_cmp_eq_f16_e32 vcc, v27, v12
	v_cmp_eq_f16_sdwa s[12:13], v27, v12 src0_sel:WORD_1 src1_sel:WORD_1
	s_and_b64 s[12:13], vcc, s[12:13]
	s_andn2_b64 s[10:11], s[10:11], exec
	s_and_b64 s[12:13], s[12:13], exec
	s_or_b64 s[10:11], s[10:11], s[12:13]
.LBB145_122:
	v_cndmask_b32_e64 v13, 0, 1, s[10:11]
.LBB145_123:
	s_or_b64 exec, exec, s[6:7]
	v_or_b32_e32 v12, 0x800, v0
	v_cmp_gt_i32_e32 vcc, s33, v12
                                        ; implicit-def: $vgpr12
	s_and_saveexec_b64 s[6:7], vcc
	s_cbranch_execz .LBB145_128
; %bb.124:
	s_and_b64 vcc, exec, s[2:3]
	s_cbranch_vccnz .LBB145_220
; %bb.125:
	v_cmp_neq_f16_e32 vcc, v26, v11
	v_cmp_neq_f16_sdwa s[10:11], v26, v11 src0_sel:WORD_1 src1_sel:WORD_1
	s_or_b64 s[10:11], vcc, s[10:11]
	s_cbranch_execnz .LBB145_127
.LBB145_126:
	v_cmp_eq_f16_e32 vcc, v26, v11
	v_cmp_eq_f16_sdwa s[12:13], v26, v11 src0_sel:WORD_1 src1_sel:WORD_1
	s_and_b64 s[12:13], vcc, s[12:13]
	s_andn2_b64 s[10:11], s[10:11], exec
	s_and_b64 s[12:13], s[12:13], exec
	s_or_b64 s[10:11], s[10:11], s[12:13]
.LBB145_127:
	v_cndmask_b32_e64 v12, 0, 1, s[10:11]
.LBB145_128:
	s_or_b64 exec, exec, s[6:7]
	v_or_b32_e32 v11, 0x900, v0
	v_cmp_gt_i32_e32 vcc, s33, v11
                                        ; implicit-def: $vgpr11
	s_and_saveexec_b64 s[6:7], vcc
	s_cbranch_execz .LBB145_133
; %bb.129:
	s_and_b64 vcc, exec, s[2:3]
	s_cbranch_vccnz .LBB145_221
; %bb.130:
	v_cmp_neq_f16_e32 vcc, v25, v10
	v_cmp_neq_f16_sdwa s[10:11], v25, v10 src0_sel:WORD_1 src1_sel:WORD_1
	s_or_b64 s[10:11], vcc, s[10:11]
	s_cbranch_execnz .LBB145_132
.LBB145_131:
	v_cmp_eq_f16_e32 vcc, v25, v10
	v_cmp_eq_f16_sdwa s[12:13], v25, v10 src0_sel:WORD_1 src1_sel:WORD_1
	s_and_b64 s[12:13], vcc, s[12:13]
	s_andn2_b64 s[10:11], s[10:11], exec
	s_and_b64 s[12:13], s[12:13], exec
	s_or_b64 s[10:11], s[10:11], s[12:13]
.LBB145_132:
	v_cndmask_b32_e64 v11, 0, 1, s[10:11]
.LBB145_133:
	s_or_b64 exec, exec, s[6:7]
	v_or_b32_e32 v10, 0xa00, v0
	v_cmp_gt_i32_e32 vcc, s33, v10
                                        ; implicit-def: $vgpr10
	s_and_saveexec_b64 s[6:7], vcc
	s_cbranch_execz .LBB145_138
; %bb.134:
	s_and_b64 vcc, exec, s[2:3]
	s_cbranch_vccnz .LBB145_222
; %bb.135:
	v_cmp_neq_f16_e32 vcc, v24, v9
	v_cmp_neq_f16_sdwa s[10:11], v24, v9 src0_sel:WORD_1 src1_sel:WORD_1
	s_or_b64 s[10:11], vcc, s[10:11]
	s_cbranch_execnz .LBB145_137
.LBB145_136:
	v_cmp_eq_f16_e32 vcc, v24, v9
	v_cmp_eq_f16_sdwa s[12:13], v24, v9 src0_sel:WORD_1 src1_sel:WORD_1
	s_and_b64 s[12:13], vcc, s[12:13]
	s_andn2_b64 s[10:11], s[10:11], exec
	s_and_b64 s[12:13], s[12:13], exec
	s_or_b64 s[10:11], s[10:11], s[12:13]
.LBB145_137:
	v_cndmask_b32_e64 v10, 0, 1, s[10:11]
.LBB145_138:
	s_or_b64 exec, exec, s[6:7]
	v_or_b32_e32 v9, 0xb00, v0
	v_cmp_gt_i32_e32 vcc, s33, v9
                                        ; implicit-def: $vgpr9
	s_and_saveexec_b64 s[6:7], vcc
	s_cbranch_execz .LBB145_143
; %bb.139:
	s_and_b64 vcc, exec, s[2:3]
	s_cbranch_vccnz .LBB145_223
; %bb.140:
	v_cmp_neq_f16_e32 vcc, v23, v8
	v_cmp_neq_f16_sdwa s[10:11], v23, v8 src0_sel:WORD_1 src1_sel:WORD_1
	s_or_b64 s[10:11], vcc, s[10:11]
	s_cbranch_execnz .LBB145_142
.LBB145_141:
	v_cmp_eq_f16_e32 vcc, v23, v8
	v_cmp_eq_f16_sdwa s[12:13], v23, v8 src0_sel:WORD_1 src1_sel:WORD_1
	s_and_b64 s[12:13], vcc, s[12:13]
	s_andn2_b64 s[10:11], s[10:11], exec
	s_and_b64 s[12:13], s[12:13], exec
	s_or_b64 s[10:11], s[10:11], s[12:13]
.LBB145_142:
	v_cndmask_b32_e64 v9, 0, 1, s[10:11]
.LBB145_143:
	s_or_b64 exec, exec, s[6:7]
	v_or_b32_e32 v8, 0xc00, v0
	v_cmp_gt_i32_e32 vcc, s33, v8
                                        ; implicit-def: $vgpr8
	s_and_saveexec_b64 s[6:7], vcc
	s_cbranch_execz .LBB145_148
; %bb.144:
	s_and_b64 vcc, exec, s[2:3]
	s_cbranch_vccnz .LBB145_224
; %bb.145:
	v_cmp_neq_f16_e32 vcc, v22, v7
	v_cmp_neq_f16_sdwa s[10:11], v22, v7 src0_sel:WORD_1 src1_sel:WORD_1
	s_or_b64 s[10:11], vcc, s[10:11]
	s_cbranch_execnz .LBB145_147
.LBB145_146:
	v_cmp_eq_f16_e32 vcc, v22, v7
	v_cmp_eq_f16_sdwa s[12:13], v22, v7 src0_sel:WORD_1 src1_sel:WORD_1
	s_and_b64 s[12:13], vcc, s[12:13]
	s_andn2_b64 s[10:11], s[10:11], exec
	s_and_b64 s[12:13], s[12:13], exec
	s_or_b64 s[10:11], s[10:11], s[12:13]
.LBB145_147:
	v_cndmask_b32_e64 v8, 0, 1, s[10:11]
.LBB145_148:
	s_or_b64 exec, exec, s[6:7]
	v_or_b32_e32 v7, 0xd00, v0
	v_cmp_gt_i32_e32 vcc, s33, v7
                                        ; implicit-def: $vgpr7
	s_and_saveexec_b64 s[6:7], vcc
	s_cbranch_execz .LBB145_153
; %bb.149:
	s_and_b64 vcc, exec, s[2:3]
	s_cbranch_vccnz .LBB145_225
; %bb.150:
	v_cmp_neq_f16_e32 vcc, v21, v6
	v_cmp_neq_f16_sdwa s[10:11], v21, v6 src0_sel:WORD_1 src1_sel:WORD_1
	s_or_b64 s[10:11], vcc, s[10:11]
	s_cbranch_execnz .LBB145_152
.LBB145_151:
	v_cmp_eq_f16_e32 vcc, v21, v6
	v_cmp_eq_f16_sdwa s[12:13], v21, v6 src0_sel:WORD_1 src1_sel:WORD_1
	s_and_b64 s[12:13], vcc, s[12:13]
	s_andn2_b64 s[10:11], s[10:11], exec
	s_and_b64 s[12:13], s[12:13], exec
	s_or_b64 s[10:11], s[10:11], s[12:13]
.LBB145_152:
	v_cndmask_b32_e64 v7, 0, 1, s[10:11]
.LBB145_153:
	s_or_b64 exec, exec, s[6:7]
	v_or_b32_e32 v6, 0xe00, v0
	v_cmp_gt_i32_e32 vcc, s33, v6
                                        ; implicit-def: $vgpr6
	s_and_saveexec_b64 s[6:7], vcc
	s_cbranch_execz .LBB145_158
; %bb.154:
	s_and_b64 vcc, exec, s[2:3]
	s_cbranch_vccnz .LBB145_226
; %bb.155:
	v_cmp_neq_f16_e32 vcc, v3, v5
	v_cmp_neq_f16_sdwa s[10:11], v3, v5 src0_sel:WORD_1 src1_sel:WORD_1
	s_or_b64 s[10:11], vcc, s[10:11]
	s_cbranch_execnz .LBB145_157
.LBB145_156:
	v_cmp_eq_f16_e32 vcc, v3, v5
	v_cmp_eq_f16_sdwa s[12:13], v3, v5 src0_sel:WORD_1 src1_sel:WORD_1
	s_and_b64 s[12:13], vcc, s[12:13]
	s_andn2_b64 s[10:11], s[10:11], exec
	s_and_b64 s[12:13], s[12:13], exec
	s_or_b64 s[10:11], s[10:11], s[12:13]
.LBB145_157:
	v_cndmask_b32_e64 v6, 0, 1, s[10:11]
.LBB145_158:
	s_or_b64 exec, exec, s[6:7]
	v_or_b32_e32 v3, 0xf00, v0
	v_cmp_gt_i32_e32 vcc, s33, v3
                                        ; implicit-def: $vgpr3
	s_and_saveexec_b64 s[6:7], vcc
	s_cbranch_execz .LBB145_163
; %bb.159:
	s_and_b64 vcc, exec, s[2:3]
	s_cbranch_vccnz .LBB145_227
; %bb.160:
	v_cmp_neq_f16_e32 vcc, v20, v4
	v_cmp_neq_f16_sdwa s[2:3], v20, v4 src0_sel:WORD_1 src1_sel:WORD_1
	s_or_b64 s[2:3], vcc, s[2:3]
	s_cbranch_execnz .LBB145_162
.LBB145_161:
	v_cmp_eq_f16_e32 vcc, v20, v4
	v_cmp_eq_f16_sdwa s[10:11], v20, v4 src0_sel:WORD_1 src1_sel:WORD_1
	s_and_b64 s[10:11], vcc, s[10:11]
	s_andn2_b64 s[2:3], s[2:3], exec
	s_and_b64 s[10:11], s[10:11], exec
	s_or_b64 s[2:3], s[2:3], s[10:11]
.LBB145_162:
	v_cndmask_b32_e64 v3, 0, 1, s[2:3]
.LBB145_163:
	s_or_b64 exec, exec, s[6:7]
	s_and_saveexec_b64 s[2:3], s[0:1]
	s_xor_b64 s[0:1], exec, s[2:3]
	s_cbranch_execz .LBB145_165
; %bb.164:
	v_mov_b32_e32 v0, v17
	global_store_byte v1, v16, s[8:9]
.LBB145_165:
	s_or_b64 exec, exec, s[0:1]
	v_cmp_gt_i32_e32 vcc, s33, v0
	s_and_saveexec_b64 s[0:1], vcc
	s_cbranch_execnz .LBB145_181
; %bb.166:
	s_or_b64 exec, exec, s[0:1]
	v_cmp_gt_i32_e32 vcc, s33, v0
	s_and_saveexec_b64 s[0:1], vcc
	s_cbranch_execnz .LBB145_182
.LBB145_167:
	s_or_b64 exec, exec, s[0:1]
	v_cmp_gt_i32_e32 vcc, s33, v0
	s_and_saveexec_b64 s[0:1], vcc
	s_cbranch_execnz .LBB145_183
.LBB145_168:
	s_or_b64 exec, exec, s[0:1]
	v_cmp_gt_i32_e32 vcc, s33, v0
	s_and_saveexec_b64 s[0:1], vcc
	s_cbranch_execnz .LBB145_184
.LBB145_169:
	s_or_b64 exec, exec, s[0:1]
	v_cmp_gt_i32_e32 vcc, s33, v0
	s_and_saveexec_b64 s[0:1], vcc
	s_cbranch_execnz .LBB145_185
.LBB145_170:
	s_or_b64 exec, exec, s[0:1]
	v_cmp_gt_i32_e32 vcc, s33, v0
	s_and_saveexec_b64 s[0:1], vcc
	s_cbranch_execnz .LBB145_186
.LBB145_171:
	s_or_b64 exec, exec, s[0:1]
	v_cmp_gt_i32_e32 vcc, s33, v0
	s_and_saveexec_b64 s[0:1], vcc
	s_cbranch_execnz .LBB145_187
.LBB145_172:
	s_or_b64 exec, exec, s[0:1]
	v_cmp_gt_i32_e32 vcc, s33, v0
	s_and_saveexec_b64 s[0:1], vcc
	s_cbranch_execnz .LBB145_188
.LBB145_173:
	s_or_b64 exec, exec, s[0:1]
	v_cmp_gt_i32_e32 vcc, s33, v0
	s_and_saveexec_b64 s[0:1], vcc
	s_cbranch_execnz .LBB145_189
.LBB145_174:
	s_or_b64 exec, exec, s[0:1]
	v_cmp_gt_i32_e32 vcc, s33, v0
	s_and_saveexec_b64 s[0:1], vcc
	s_cbranch_execnz .LBB145_190
.LBB145_175:
	s_or_b64 exec, exec, s[0:1]
	v_cmp_gt_i32_e32 vcc, s33, v0
	s_and_saveexec_b64 s[0:1], vcc
	s_cbranch_execnz .LBB145_191
.LBB145_176:
	s_or_b64 exec, exec, s[0:1]
	v_cmp_gt_i32_e32 vcc, s33, v0
	s_and_saveexec_b64 s[0:1], vcc
	s_cbranch_execnz .LBB145_192
.LBB145_177:
	s_or_b64 exec, exec, s[0:1]
	v_cmp_gt_i32_e32 vcc, s33, v0
	s_and_saveexec_b64 s[0:1], vcc
	s_cbranch_execnz .LBB145_193
.LBB145_178:
	s_or_b64 exec, exec, s[0:1]
	v_cmp_gt_i32_e32 vcc, s33, v0
	s_and_saveexec_b64 s[0:1], vcc
	s_cbranch_execnz .LBB145_194
.LBB145_179:
	s_or_b64 exec, exec, s[0:1]
	v_cmp_gt_i32_e32 vcc, s33, v0
	s_and_saveexec_b64 s[0:1], vcc
	s_cbranch_execz .LBB145_195
.LBB145_180:
	v_add_u32_e32 v0, s4, v0
	global_store_byte v0, v3, s[8:9]
	s_endpgm
.LBB145_181:
	v_add_u32_e32 v1, s4, v0
	v_add_u32_e32 v0, 0x100, v0
	global_store_byte v1, v18, s[8:9]
	s_or_b64 exec, exec, s[0:1]
	v_cmp_gt_i32_e32 vcc, s33, v0
	s_and_saveexec_b64 s[0:1], vcc
	s_cbranch_execz .LBB145_167
.LBB145_182:
	v_add_u32_e32 v1, s4, v0
	v_add_u32_e32 v0, 0x100, v0
	global_store_byte v1, v2, s[8:9]
	s_or_b64 exec, exec, s[0:1]
	v_cmp_gt_i32_e32 vcc, s33, v0
	s_and_saveexec_b64 s[0:1], vcc
	s_cbranch_execz .LBB145_168
.LBB145_183:
	v_add_u32_e32 v1, s4, v0
	v_add_u32_e32 v0, 0x100, v0
	global_store_byte v1, v15, s[8:9]
	s_or_b64 exec, exec, s[0:1]
	v_cmp_gt_i32_e32 vcc, s33, v0
	s_and_saveexec_b64 s[0:1], vcc
	s_cbranch_execz .LBB145_169
.LBB145_184:
	v_add_u32_e32 v1, s4, v0
	v_add_u32_e32 v0, 0x100, v0
	global_store_byte v1, v19, s[8:9]
	s_or_b64 exec, exec, s[0:1]
	v_cmp_gt_i32_e32 vcc, s33, v0
	s_and_saveexec_b64 s[0:1], vcc
	s_cbranch_execz .LBB145_170
.LBB145_185:
	v_add_u32_e32 v1, s4, v0
	v_add_u32_e32 v0, 0x100, v0
	global_store_byte v1, v30, s[8:9]
	s_or_b64 exec, exec, s[0:1]
	v_cmp_gt_i32_e32 vcc, s33, v0
	s_and_saveexec_b64 s[0:1], vcc
	s_cbranch_execz .LBB145_171
.LBB145_186:
	v_add_u32_e32 v1, s4, v0
	v_add_u32_e32 v0, 0x100, v0
	global_store_byte v1, v14, s[8:9]
	s_or_b64 exec, exec, s[0:1]
	v_cmp_gt_i32_e32 vcc, s33, v0
	s_and_saveexec_b64 s[0:1], vcc
	s_cbranch_execz .LBB145_172
.LBB145_187:
	v_add_u32_e32 v1, s4, v0
	v_add_u32_e32 v0, 0x100, v0
	global_store_byte v1, v13, s[8:9]
	s_or_b64 exec, exec, s[0:1]
	v_cmp_gt_i32_e32 vcc, s33, v0
	s_and_saveexec_b64 s[0:1], vcc
	s_cbranch_execz .LBB145_173
.LBB145_188:
	v_add_u32_e32 v1, s4, v0
	v_add_u32_e32 v0, 0x100, v0
	global_store_byte v1, v12, s[8:9]
	s_or_b64 exec, exec, s[0:1]
	v_cmp_gt_i32_e32 vcc, s33, v0
	s_and_saveexec_b64 s[0:1], vcc
	s_cbranch_execz .LBB145_174
.LBB145_189:
	v_add_u32_e32 v1, s4, v0
	v_add_u32_e32 v0, 0x100, v0
	global_store_byte v1, v11, s[8:9]
	s_or_b64 exec, exec, s[0:1]
	v_cmp_gt_i32_e32 vcc, s33, v0
	s_and_saveexec_b64 s[0:1], vcc
	s_cbranch_execz .LBB145_175
.LBB145_190:
	v_add_u32_e32 v1, s4, v0
	v_add_u32_e32 v0, 0x100, v0
	global_store_byte v1, v10, s[8:9]
	s_or_b64 exec, exec, s[0:1]
	v_cmp_gt_i32_e32 vcc, s33, v0
	s_and_saveexec_b64 s[0:1], vcc
	s_cbranch_execz .LBB145_176
.LBB145_191:
	v_add_u32_e32 v1, s4, v0
	v_add_u32_e32 v0, 0x100, v0
	global_store_byte v1, v9, s[8:9]
	s_or_b64 exec, exec, s[0:1]
	v_cmp_gt_i32_e32 vcc, s33, v0
	s_and_saveexec_b64 s[0:1], vcc
	s_cbranch_execz .LBB145_177
.LBB145_192:
	v_add_u32_e32 v1, s4, v0
	v_add_u32_e32 v0, 0x100, v0
	global_store_byte v1, v8, s[8:9]
	s_or_b64 exec, exec, s[0:1]
	v_cmp_gt_i32_e32 vcc, s33, v0
	s_and_saveexec_b64 s[0:1], vcc
	s_cbranch_execz .LBB145_178
.LBB145_193:
	v_add_u32_e32 v1, s4, v0
	v_add_u32_e32 v0, 0x100, v0
	global_store_byte v1, v7, s[8:9]
	s_or_b64 exec, exec, s[0:1]
	v_cmp_gt_i32_e32 vcc, s33, v0
	s_and_saveexec_b64 s[0:1], vcc
	s_cbranch_execz .LBB145_179
.LBB145_194:
	v_add_u32_e32 v1, s4, v0
	v_add_u32_e32 v0, 0x100, v0
	global_store_byte v1, v6, s[8:9]
	s_or_b64 exec, exec, s[0:1]
	v_cmp_gt_i32_e32 vcc, s33, v0
	s_and_saveexec_b64 s[0:1], vcc
	s_cbranch_execnz .LBB145_180
.LBB145_195:
	s_endpgm
.LBB145_196:
                                        ; implicit-def: $sgpr6_sgpr7
	s_branch .LBB145_3
.LBB145_197:
                                        ; implicit-def: $sgpr14_sgpr15
	s_branch .LBB145_6
.LBB145_198:
                                        ; implicit-def: $sgpr16_sgpr17
	s_branch .LBB145_9
.LBB145_199:
                                        ; implicit-def: $sgpr18_sgpr19
	s_branch .LBB145_12
.LBB145_200:
                                        ; implicit-def: $sgpr20_sgpr21
	s_branch .LBB145_15
.LBB145_201:
                                        ; implicit-def: $sgpr22_sgpr23
	s_branch .LBB145_18
.LBB145_202:
                                        ; implicit-def: $sgpr24_sgpr25
	s_branch .LBB145_21
.LBB145_203:
                                        ; implicit-def: $sgpr26_sgpr27
	s_branch .LBB145_24
.LBB145_204:
                                        ; implicit-def: $sgpr28_sgpr29
	s_branch .LBB145_27
.LBB145_205:
                                        ; implicit-def: $sgpr30_sgpr31
	s_branch .LBB145_30
.LBB145_206:
                                        ; implicit-def: $sgpr34_sgpr35
	s_branch .LBB145_33
.LBB145_207:
                                        ; implicit-def: $sgpr36_sgpr37
	s_branch .LBB145_36
.LBB145_208:
                                        ; implicit-def: $sgpr38_sgpr39
	s_branch .LBB145_39
.LBB145_209:
                                        ; implicit-def: $sgpr40_sgpr41
	s_branch .LBB145_42
.LBB145_210:
                                        ; implicit-def: $sgpr42_sgpr43
	s_branch .LBB145_45
.LBB145_211:
                                        ; implicit-def: $sgpr0_sgpr1
	s_branch .LBB145_48
.LBB145_212:
                                        ; implicit-def: $sgpr10_sgpr11
	s_branch .LBB145_86
.LBB145_213:
                                        ; implicit-def: $sgpr10_sgpr11
	s_branch .LBB145_91
.LBB145_214:
                                        ; implicit-def: $sgpr10_sgpr11
	s_branch .LBB145_96
.LBB145_215:
                                        ; implicit-def: $sgpr10_sgpr11
	s_branch .LBB145_101
.LBB145_216:
                                        ; implicit-def: $sgpr10_sgpr11
	s_branch .LBB145_106
.LBB145_217:
                                        ; implicit-def: $sgpr10_sgpr11
	s_branch .LBB145_111
.LBB145_218:
                                        ; implicit-def: $sgpr10_sgpr11
	s_branch .LBB145_116
.LBB145_219:
                                        ; implicit-def: $sgpr10_sgpr11
	s_branch .LBB145_121
.LBB145_220:
                                        ; implicit-def: $sgpr10_sgpr11
	s_branch .LBB145_126
.LBB145_221:
                                        ; implicit-def: $sgpr10_sgpr11
	s_branch .LBB145_131
.LBB145_222:
                                        ; implicit-def: $sgpr10_sgpr11
	s_branch .LBB145_136
.LBB145_223:
                                        ; implicit-def: $sgpr10_sgpr11
	s_branch .LBB145_141
.LBB145_224:
                                        ; implicit-def: $sgpr10_sgpr11
	s_branch .LBB145_146
.LBB145_225:
                                        ; implicit-def: $sgpr10_sgpr11
	s_branch .LBB145_151
.LBB145_226:
                                        ; implicit-def: $sgpr10_sgpr11
	s_branch .LBB145_156
.LBB145_227:
                                        ; implicit-def: $sgpr2_sgpr3
	s_branch .LBB145_161
	.section	.rodata,"a",@progbits
	.p2align	6, 0x0
	.amdhsa_kernel _ZN2at6native29vectorized_elementwise_kernelILi8ENS0_13BinaryFunctorIN3c107complexINS3_4HalfEEES6_bNS0_12_GLOBAL__N_116CompareEqFunctorIS6_EEEESt5arrayIPcLm3EEEEviT0_T1_
		.amdhsa_group_segment_fixed_size 0
		.amdhsa_private_segment_fixed_size 0
		.amdhsa_kernarg_size 32
		.amdhsa_user_sgpr_count 6
		.amdhsa_user_sgpr_private_segment_buffer 1
		.amdhsa_user_sgpr_dispatch_ptr 0
		.amdhsa_user_sgpr_queue_ptr 0
		.amdhsa_user_sgpr_kernarg_segment_ptr 1
		.amdhsa_user_sgpr_dispatch_id 0
		.amdhsa_user_sgpr_flat_scratch_init 0
		.amdhsa_user_sgpr_private_segment_size 0
		.amdhsa_uses_dynamic_stack 0
		.amdhsa_system_sgpr_private_segment_wavefront_offset 0
		.amdhsa_system_sgpr_workgroup_id_x 1
		.amdhsa_system_sgpr_workgroup_id_y 0
		.amdhsa_system_sgpr_workgroup_id_z 0
		.amdhsa_system_sgpr_workgroup_info 0
		.amdhsa_system_vgpr_workitem_id 0
		.amdhsa_next_free_vgpr 38
		.amdhsa_next_free_sgpr 46
		.amdhsa_reserve_vcc 1
		.amdhsa_reserve_flat_scratch 0
		.amdhsa_float_round_mode_32 0
		.amdhsa_float_round_mode_16_64 0
		.amdhsa_float_denorm_mode_32 3
		.amdhsa_float_denorm_mode_16_64 3
		.amdhsa_dx10_clamp 1
		.amdhsa_ieee_mode 1
		.amdhsa_fp16_overflow 0
		.amdhsa_exception_fp_ieee_invalid_op 0
		.amdhsa_exception_fp_denorm_src 0
		.amdhsa_exception_fp_ieee_div_zero 0
		.amdhsa_exception_fp_ieee_overflow 0
		.amdhsa_exception_fp_ieee_underflow 0
		.amdhsa_exception_fp_ieee_inexact 0
		.amdhsa_exception_int_div_zero 0
	.end_amdhsa_kernel
	.section	.text._ZN2at6native29vectorized_elementwise_kernelILi8ENS0_13BinaryFunctorIN3c107complexINS3_4HalfEEES6_bNS0_12_GLOBAL__N_116CompareEqFunctorIS6_EEEESt5arrayIPcLm3EEEEviT0_T1_,"axG",@progbits,_ZN2at6native29vectorized_elementwise_kernelILi8ENS0_13BinaryFunctorIN3c107complexINS3_4HalfEEES6_bNS0_12_GLOBAL__N_116CompareEqFunctorIS6_EEEESt5arrayIPcLm3EEEEviT0_T1_,comdat
.Lfunc_end145:
	.size	_ZN2at6native29vectorized_elementwise_kernelILi8ENS0_13BinaryFunctorIN3c107complexINS3_4HalfEEES6_bNS0_12_GLOBAL__N_116CompareEqFunctorIS6_EEEESt5arrayIPcLm3EEEEviT0_T1_, .Lfunc_end145-_ZN2at6native29vectorized_elementwise_kernelILi8ENS0_13BinaryFunctorIN3c107complexINS3_4HalfEEES6_bNS0_12_GLOBAL__N_116CompareEqFunctorIS6_EEEESt5arrayIPcLm3EEEEviT0_T1_
                                        ; -- End function
	.set _ZN2at6native29vectorized_elementwise_kernelILi8ENS0_13BinaryFunctorIN3c107complexINS3_4HalfEEES6_bNS0_12_GLOBAL__N_116CompareEqFunctorIS6_EEEESt5arrayIPcLm3EEEEviT0_T1_.num_vgpr, 38
	.set _ZN2at6native29vectorized_elementwise_kernelILi8ENS0_13BinaryFunctorIN3c107complexINS3_4HalfEEES6_bNS0_12_GLOBAL__N_116CompareEqFunctorIS6_EEEESt5arrayIPcLm3EEEEviT0_T1_.num_agpr, 0
	.set _ZN2at6native29vectorized_elementwise_kernelILi8ENS0_13BinaryFunctorIN3c107complexINS3_4HalfEEES6_bNS0_12_GLOBAL__N_116CompareEqFunctorIS6_EEEESt5arrayIPcLm3EEEEviT0_T1_.numbered_sgpr, 46
	.set _ZN2at6native29vectorized_elementwise_kernelILi8ENS0_13BinaryFunctorIN3c107complexINS3_4HalfEEES6_bNS0_12_GLOBAL__N_116CompareEqFunctorIS6_EEEESt5arrayIPcLm3EEEEviT0_T1_.num_named_barrier, 0
	.set _ZN2at6native29vectorized_elementwise_kernelILi8ENS0_13BinaryFunctorIN3c107complexINS3_4HalfEEES6_bNS0_12_GLOBAL__N_116CompareEqFunctorIS6_EEEESt5arrayIPcLm3EEEEviT0_T1_.private_seg_size, 0
	.set _ZN2at6native29vectorized_elementwise_kernelILi8ENS0_13BinaryFunctorIN3c107complexINS3_4HalfEEES6_bNS0_12_GLOBAL__N_116CompareEqFunctorIS6_EEEESt5arrayIPcLm3EEEEviT0_T1_.uses_vcc, 1
	.set _ZN2at6native29vectorized_elementwise_kernelILi8ENS0_13BinaryFunctorIN3c107complexINS3_4HalfEEES6_bNS0_12_GLOBAL__N_116CompareEqFunctorIS6_EEEESt5arrayIPcLm3EEEEviT0_T1_.uses_flat_scratch, 0
	.set _ZN2at6native29vectorized_elementwise_kernelILi8ENS0_13BinaryFunctorIN3c107complexINS3_4HalfEEES6_bNS0_12_GLOBAL__N_116CompareEqFunctorIS6_EEEESt5arrayIPcLm3EEEEviT0_T1_.has_dyn_sized_stack, 0
	.set _ZN2at6native29vectorized_elementwise_kernelILi8ENS0_13BinaryFunctorIN3c107complexINS3_4HalfEEES6_bNS0_12_GLOBAL__N_116CompareEqFunctorIS6_EEEESt5arrayIPcLm3EEEEviT0_T1_.has_recursion, 0
	.set _ZN2at6native29vectorized_elementwise_kernelILi8ENS0_13BinaryFunctorIN3c107complexINS3_4HalfEEES6_bNS0_12_GLOBAL__N_116CompareEqFunctorIS6_EEEESt5arrayIPcLm3EEEEviT0_T1_.has_indirect_call, 0
	.section	.AMDGPU.csdata,"",@progbits
; Kernel info:
; codeLenInByte = 6152
; TotalNumSgprs: 50
; NumVgprs: 38
; ScratchSize: 0
; MemoryBound: 1
; FloatMode: 240
; IeeeMode: 1
; LDSByteSize: 0 bytes/workgroup (compile time only)
; SGPRBlocks: 6
; VGPRBlocks: 9
; NumSGPRsForWavesPerEU: 50
; NumVGPRsForWavesPerEU: 38
; Occupancy: 6
; WaveLimiterHint : 1
; COMPUTE_PGM_RSRC2:SCRATCH_EN: 0
; COMPUTE_PGM_RSRC2:USER_SGPR: 6
; COMPUTE_PGM_RSRC2:TRAP_HANDLER: 0
; COMPUTE_PGM_RSRC2:TGID_X_EN: 1
; COMPUTE_PGM_RSRC2:TGID_Y_EN: 0
; COMPUTE_PGM_RSRC2:TGID_Z_EN: 0
; COMPUTE_PGM_RSRC2:TIDIG_COMP_CNT: 0
	.section	.text._ZN2at6native29vectorized_elementwise_kernelILi4ENS0_13BinaryFunctorIN3c107complexINS3_4HalfEEES6_bNS0_12_GLOBAL__N_116CompareEqFunctorIS6_EEEESt5arrayIPcLm3EEEEviT0_T1_,"axG",@progbits,_ZN2at6native29vectorized_elementwise_kernelILi4ENS0_13BinaryFunctorIN3c107complexINS3_4HalfEEES6_bNS0_12_GLOBAL__N_116CompareEqFunctorIS6_EEEESt5arrayIPcLm3EEEEviT0_T1_,comdat
	.globl	_ZN2at6native29vectorized_elementwise_kernelILi4ENS0_13BinaryFunctorIN3c107complexINS3_4HalfEEES6_bNS0_12_GLOBAL__N_116CompareEqFunctorIS6_EEEESt5arrayIPcLm3EEEEviT0_T1_ ; -- Begin function _ZN2at6native29vectorized_elementwise_kernelILi4ENS0_13BinaryFunctorIN3c107complexINS3_4HalfEEES6_bNS0_12_GLOBAL__N_116CompareEqFunctorIS6_EEEESt5arrayIPcLm3EEEEviT0_T1_
	.p2align	8
	.type	_ZN2at6native29vectorized_elementwise_kernelILi4ENS0_13BinaryFunctorIN3c107complexINS3_4HalfEEES6_bNS0_12_GLOBAL__N_116CompareEqFunctorIS6_EEEESt5arrayIPcLm3EEEEviT0_T1_,@function
_ZN2at6native29vectorized_elementwise_kernelILi4ENS0_13BinaryFunctorIN3c107complexINS3_4HalfEEES6_bNS0_12_GLOBAL__N_116CompareEqFunctorIS6_EEEESt5arrayIPcLm3EEEEviT0_T1_: ; @_ZN2at6native29vectorized_elementwise_kernelILi4ENS0_13BinaryFunctorIN3c107complexINS3_4HalfEEES6_bNS0_12_GLOBAL__N_116CompareEqFunctorIS6_EEEESt5arrayIPcLm3EEEEviT0_T1_
; %bb.0:
	s_load_dwordx2 s[2:3], s[4:5], 0x0
	s_load_dwordx4 s[8:11], s[4:5], 0x8
	s_load_dwordx2 s[12:13], s[4:5], 0x18
	s_lshl_b32 s4, s6, 12
	s_mov_b64 s[0:1], -1
	s_waitcnt lgkmcnt(0)
	s_sub_i32 s33, s2, s4
	s_cmpk_gt_i32 s33, 0xfff
	s_cbranch_scc0 .LBB146_50
; %bb.1:
	s_ashr_i32 s5, s4, 31
	s_lshl_b64 s[0:1], s[4:5], 2
	s_add_u32 s6, s10, s0
	s_addc_u32 s7, s11, s1
	v_lshlrev_b32_e32 v5, 4, v0
	v_mov_b32_e32 v1, s7
	v_add_co_u32_e32 v6, vcc, s6, v5
	v_addc_co_u32_e32 v7, vcc, 0, v1, vcc
	v_add_co_u32_e32 v1, vcc, 0x1000, v6
	v_addc_co_u32_e32 v2, vcc, 0, v7, vcc
	;; [unrolled: 2-line block ×3, first 2 shown]
	global_load_dwordx4 v[17:20], v[1:2], off
	global_load_dwordx4 v[9:12], v[3:4], off
	v_add_co_u32_e32 v1, vcc, 0x3000, v6
	s_add_u32 s0, s12, s0
	v_addc_co_u32_e32 v2, vcc, 0, v7, vcc
	s_addc_u32 s1, s13, s1
	v_mov_b32_e32 v6, s1
	v_add_co_u32_e32 v7, vcc, s0, v5
	s_movk_i32 s2, 0x2000
	v_addc_co_u32_e32 v6, vcc, 0, v6, vcc
	v_add_co_u32_e32 v33, vcc, s2, v7
	v_addc_co_u32_e32 v34, vcc, 0, v6, vcc
	v_add_co_u32_e32 v35, vcc, 0x3000, v7
	global_load_dwordx4 v[1:4], v[1:2], off
	s_nop 0
	global_load_dwordx4 v[25:28], v5, s[6:7]
	global_load_dwordx4 v[29:32], v5, s[0:1]
	global_load_dwordx4 v[13:16], v[33:34], off
	v_addc_co_u32_e32 v36, vcc, 0, v6, vcc
	global_load_dwordx4 v[21:24], v[33:34], off offset:-4096
	global_load_dwordx4 v[5:8], v[35:36], off
	s_cmp_lg_u32 s3, 0
	s_cselect_b64 s[14:15], -1, 0
	s_and_b64 vcc, exec, s[14:15]
	s_cbranch_vccz .LBB146_196
; %bb.2:
	s_waitcnt vmcnt(3)
	v_cmp_neq_f16_e32 vcc, v25, v29
	v_cmp_neq_f16_sdwa s[0:1], v25, v29 src0_sel:WORD_1 src1_sel:WORD_1
	s_or_b64 s[6:7], vcc, s[0:1]
	s_cbranch_execnz .LBB146_4
.LBB146_3:
	s_waitcnt vmcnt(3)
	v_cmp_eq_f16_e32 vcc, v25, v29
	v_cmp_eq_f16_sdwa s[0:1], v25, v29 src0_sel:WORD_1 src1_sel:WORD_1
	s_and_b64 s[0:1], vcc, s[0:1]
	s_andn2_b64 s[6:7], s[6:7], exec
	s_and_b64 s[0:1], s[0:1], exec
	s_or_b64 s[6:7], s[6:7], s[0:1]
.LBB146_4:
	s_waitcnt vmcnt(4)
	v_cndmask_b32_e64 v25, 0, 1, s[14:15]
	v_cmp_ne_u32_e64 s[0:1], 1, v25
	s_andn2_b64 vcc, exec, s[14:15]
	s_cbranch_vccnz .LBB146_197
; %bb.5:
	s_waitcnt vmcnt(3)
	v_cmp_neq_f16_e32 vcc, v26, v30
	v_cmp_neq_f16_sdwa s[14:15], v26, v30 src0_sel:WORD_1 src1_sel:WORD_1
	s_or_b64 s[14:15], vcc, s[14:15]
	s_cbranch_execnz .LBB146_7
.LBB146_6:
	s_waitcnt vmcnt(3)
	v_cmp_eq_f16_e32 vcc, v26, v30
	v_cmp_eq_f16_sdwa s[16:17], v26, v30 src0_sel:WORD_1 src1_sel:WORD_1
	s_and_b64 s[16:17], vcc, s[16:17]
	s_andn2_b64 s[14:15], s[14:15], exec
	s_and_b64 s[16:17], s[16:17], exec
	s_or_b64 s[14:15], s[14:15], s[16:17]
.LBB146_7:
	s_and_b64 vcc, exec, s[0:1]
	s_cbranch_vccnz .LBB146_198
; %bb.8:
	s_waitcnt vmcnt(3)
	v_cmp_neq_f16_e32 vcc, v27, v31
	v_cmp_neq_f16_sdwa s[16:17], v27, v31 src0_sel:WORD_1 src1_sel:WORD_1
	s_or_b64 s[16:17], vcc, s[16:17]
	s_cbranch_execnz .LBB146_10
.LBB146_9:
	s_waitcnt vmcnt(3)
	v_cmp_eq_f16_e32 vcc, v27, v31
	v_cmp_eq_f16_sdwa s[18:19], v27, v31 src0_sel:WORD_1 src1_sel:WORD_1
	s_and_b64 s[18:19], vcc, s[18:19]
	s_andn2_b64 s[16:17], s[16:17], exec
	s_and_b64 s[18:19], s[18:19], exec
	s_or_b64 s[16:17], s[16:17], s[18:19]
.LBB146_10:
	s_and_b64 vcc, exec, s[0:1]
	s_cbranch_vccnz .LBB146_199
; %bb.11:
	s_waitcnt vmcnt(3)
	v_cmp_neq_f16_e32 vcc, v28, v32
	v_cmp_neq_f16_sdwa s[18:19], v28, v32 src0_sel:WORD_1 src1_sel:WORD_1
	s_or_b64 s[18:19], vcc, s[18:19]
	s_cbranch_execnz .LBB146_13
.LBB146_12:
	s_waitcnt vmcnt(3)
	v_cmp_eq_f16_e32 vcc, v28, v32
	v_cmp_eq_f16_sdwa s[20:21], v28, v32 src0_sel:WORD_1 src1_sel:WORD_1
	s_and_b64 s[20:21], vcc, s[20:21]
	s_andn2_b64 s[18:19], s[18:19], exec
	s_and_b64 s[20:21], s[20:21], exec
	s_or_b64 s[18:19], s[18:19], s[20:21]
.LBB146_13:
	s_and_b64 vcc, exec, s[0:1]
	s_cbranch_vccnz .LBB146_200
; %bb.14:
	s_waitcnt vmcnt(1)
	v_cmp_neq_f16_e32 vcc, v17, v21
	v_cmp_neq_f16_sdwa s[20:21], v17, v21 src0_sel:WORD_1 src1_sel:WORD_1
	s_or_b64 s[20:21], vcc, s[20:21]
	s_cbranch_execnz .LBB146_16
.LBB146_15:
	s_waitcnt vmcnt(1)
	v_cmp_eq_f16_e32 vcc, v17, v21
	v_cmp_eq_f16_sdwa s[22:23], v17, v21 src0_sel:WORD_1 src1_sel:WORD_1
	s_and_b64 s[22:23], vcc, s[22:23]
	s_andn2_b64 s[20:21], s[20:21], exec
	s_and_b64 s[22:23], s[22:23], exec
	s_or_b64 s[20:21], s[20:21], s[22:23]
.LBB146_16:
	s_and_b64 vcc, exec, s[0:1]
	s_cbranch_vccnz .LBB146_201
; %bb.17:
	s_waitcnt vmcnt(1)
	v_cmp_neq_f16_e32 vcc, v18, v22
	v_cmp_neq_f16_sdwa s[22:23], v18, v22 src0_sel:WORD_1 src1_sel:WORD_1
	s_or_b64 s[22:23], vcc, s[22:23]
	s_cbranch_execnz .LBB146_19
.LBB146_18:
	s_waitcnt vmcnt(1)
	v_cmp_eq_f16_e32 vcc, v18, v22
	v_cmp_eq_f16_sdwa s[24:25], v18, v22 src0_sel:WORD_1 src1_sel:WORD_1
	s_and_b64 s[24:25], vcc, s[24:25]
	s_andn2_b64 s[22:23], s[22:23], exec
	s_and_b64 s[24:25], s[24:25], exec
	s_or_b64 s[22:23], s[22:23], s[24:25]
.LBB146_19:
	s_and_b64 vcc, exec, s[0:1]
	s_cbranch_vccnz .LBB146_202
; %bb.20:
	s_waitcnt vmcnt(1)
	v_cmp_neq_f16_e32 vcc, v19, v23
	v_cmp_neq_f16_sdwa s[24:25], v19, v23 src0_sel:WORD_1 src1_sel:WORD_1
	s_or_b64 s[24:25], vcc, s[24:25]
	s_cbranch_execnz .LBB146_22
.LBB146_21:
	s_waitcnt vmcnt(1)
	v_cmp_eq_f16_e32 vcc, v19, v23
	v_cmp_eq_f16_sdwa s[26:27], v19, v23 src0_sel:WORD_1 src1_sel:WORD_1
	s_and_b64 s[26:27], vcc, s[26:27]
	s_andn2_b64 s[24:25], s[24:25], exec
	s_and_b64 s[26:27], s[26:27], exec
	s_or_b64 s[24:25], s[24:25], s[26:27]
.LBB146_22:
	s_and_b64 vcc, exec, s[0:1]
	s_cbranch_vccnz .LBB146_203
; %bb.23:
	s_waitcnt vmcnt(1)
	v_cmp_neq_f16_e32 vcc, v20, v24
	v_cmp_neq_f16_sdwa s[26:27], v20, v24 src0_sel:WORD_1 src1_sel:WORD_1
	s_or_b64 s[26:27], vcc, s[26:27]
	s_cbranch_execnz .LBB146_25
.LBB146_24:
	s_waitcnt vmcnt(1)
	v_cmp_eq_f16_e32 vcc, v20, v24
	v_cmp_eq_f16_sdwa s[28:29], v20, v24 src0_sel:WORD_1 src1_sel:WORD_1
	s_and_b64 s[28:29], vcc, s[28:29]
	s_andn2_b64 s[26:27], s[26:27], exec
	s_and_b64 s[28:29], s[28:29], exec
	s_or_b64 s[26:27], s[26:27], s[28:29]
.LBB146_25:
	s_and_b64 vcc, exec, s[0:1]
	s_cbranch_vccnz .LBB146_204
; %bb.26:
	s_waitcnt vmcnt(2)
	v_cmp_neq_f16_e32 vcc, v9, v13
	v_cmp_neq_f16_sdwa s[28:29], v9, v13 src0_sel:WORD_1 src1_sel:WORD_1
	s_or_b64 s[28:29], vcc, s[28:29]
	s_cbranch_execnz .LBB146_28
.LBB146_27:
	s_waitcnt vmcnt(2)
	v_cmp_eq_f16_e32 vcc, v9, v13
	v_cmp_eq_f16_sdwa s[30:31], v9, v13 src0_sel:WORD_1 src1_sel:WORD_1
	s_and_b64 s[30:31], vcc, s[30:31]
	s_andn2_b64 s[28:29], s[28:29], exec
	s_and_b64 s[30:31], s[30:31], exec
	s_or_b64 s[28:29], s[28:29], s[30:31]
.LBB146_28:
	s_and_b64 vcc, exec, s[0:1]
	s_cbranch_vccnz .LBB146_205
; %bb.29:
	s_waitcnt vmcnt(2)
	v_cmp_neq_f16_e32 vcc, v10, v14
	v_cmp_neq_f16_sdwa s[30:31], v10, v14 src0_sel:WORD_1 src1_sel:WORD_1
	s_or_b64 s[30:31], vcc, s[30:31]
	s_cbranch_execnz .LBB146_31
.LBB146_30:
	s_waitcnt vmcnt(2)
	v_cmp_eq_f16_e32 vcc, v10, v14
	v_cmp_eq_f16_sdwa s[34:35], v10, v14 src0_sel:WORD_1 src1_sel:WORD_1
	s_and_b64 s[34:35], vcc, s[34:35]
	s_andn2_b64 s[30:31], s[30:31], exec
	s_and_b64 s[34:35], s[34:35], exec
	s_or_b64 s[30:31], s[30:31], s[34:35]
.LBB146_31:
	s_and_b64 vcc, exec, s[0:1]
	s_cbranch_vccnz .LBB146_206
; %bb.32:
	s_waitcnt vmcnt(2)
	v_cmp_neq_f16_e32 vcc, v11, v15
	v_cmp_neq_f16_sdwa s[34:35], v11, v15 src0_sel:WORD_1 src1_sel:WORD_1
	s_or_b64 s[34:35], vcc, s[34:35]
	s_cbranch_execnz .LBB146_34
.LBB146_33:
	s_waitcnt vmcnt(2)
	v_cmp_eq_f16_e32 vcc, v11, v15
	v_cmp_eq_f16_sdwa s[36:37], v11, v15 src0_sel:WORD_1 src1_sel:WORD_1
	s_and_b64 s[36:37], vcc, s[36:37]
	s_andn2_b64 s[34:35], s[34:35], exec
	s_and_b64 s[36:37], s[36:37], exec
	s_or_b64 s[34:35], s[34:35], s[36:37]
.LBB146_34:
	s_and_b64 vcc, exec, s[0:1]
	s_cbranch_vccnz .LBB146_207
; %bb.35:
	s_waitcnt vmcnt(2)
	v_cmp_neq_f16_e32 vcc, v12, v16
	v_cmp_neq_f16_sdwa s[36:37], v12, v16 src0_sel:WORD_1 src1_sel:WORD_1
	s_or_b64 s[36:37], vcc, s[36:37]
	s_cbranch_execnz .LBB146_37
.LBB146_36:
	s_waitcnt vmcnt(2)
	v_cmp_eq_f16_e32 vcc, v12, v16
	v_cmp_eq_f16_sdwa s[38:39], v12, v16 src0_sel:WORD_1 src1_sel:WORD_1
	s_and_b64 s[38:39], vcc, s[38:39]
	s_andn2_b64 s[36:37], s[36:37], exec
	s_and_b64 s[38:39], s[38:39], exec
	s_or_b64 s[36:37], s[36:37], s[38:39]
.LBB146_37:
	s_and_b64 vcc, exec, s[0:1]
	s_cbranch_vccnz .LBB146_208
; %bb.38:
	s_waitcnt vmcnt(0)
	v_cmp_neq_f16_e32 vcc, v1, v5
	v_cmp_neq_f16_sdwa s[38:39], v1, v5 src0_sel:WORD_1 src1_sel:WORD_1
	s_or_b64 s[38:39], vcc, s[38:39]
	s_cbranch_execnz .LBB146_40
.LBB146_39:
	s_waitcnt vmcnt(0)
	v_cmp_eq_f16_e32 vcc, v1, v5
	v_cmp_eq_f16_sdwa s[40:41], v1, v5 src0_sel:WORD_1 src1_sel:WORD_1
	s_and_b64 s[40:41], vcc, s[40:41]
	s_andn2_b64 s[38:39], s[38:39], exec
	s_and_b64 s[40:41], s[40:41], exec
	s_or_b64 s[38:39], s[38:39], s[40:41]
.LBB146_40:
	s_and_b64 vcc, exec, s[0:1]
	s_cbranch_vccnz .LBB146_209
; %bb.41:
	s_waitcnt vmcnt(0)
	v_cmp_neq_f16_e32 vcc, v2, v6
	v_cmp_neq_f16_sdwa s[40:41], v2, v6 src0_sel:WORD_1 src1_sel:WORD_1
	s_or_b64 s[40:41], vcc, s[40:41]
	s_cbranch_execnz .LBB146_43
.LBB146_42:
	s_waitcnt vmcnt(0)
	v_cmp_eq_f16_e32 vcc, v2, v6
	v_cmp_eq_f16_sdwa s[42:43], v2, v6 src0_sel:WORD_1 src1_sel:WORD_1
	s_and_b64 s[42:43], vcc, s[42:43]
	s_andn2_b64 s[40:41], s[40:41], exec
	s_and_b64 s[42:43], s[42:43], exec
	s_or_b64 s[40:41], s[40:41], s[42:43]
.LBB146_43:
	s_and_b64 vcc, exec, s[0:1]
	s_cbranch_vccnz .LBB146_210
; %bb.44:
	s_waitcnt vmcnt(0)
	v_cmp_neq_f16_e32 vcc, v3, v7
	v_cmp_neq_f16_sdwa s[42:43], v3, v7 src0_sel:WORD_1 src1_sel:WORD_1
	s_or_b64 s[42:43], vcc, s[42:43]
	s_cbranch_execnz .LBB146_46
.LBB146_45:
	s_waitcnt vmcnt(0)
	v_cmp_eq_f16_e32 vcc, v3, v7
	v_cmp_eq_f16_sdwa s[44:45], v3, v7 src0_sel:WORD_1 src1_sel:WORD_1
	s_and_b64 s[44:45], vcc, s[44:45]
	s_andn2_b64 s[42:43], s[42:43], exec
	s_and_b64 s[44:45], s[44:45], exec
	s_or_b64 s[42:43], s[42:43], s[44:45]
.LBB146_46:
	s_and_b64 vcc, exec, s[0:1]
	s_cbranch_vccnz .LBB146_211
; %bb.47:
	s_waitcnt vmcnt(0)
	v_cmp_neq_f16_e32 vcc, v4, v8
	v_cmp_neq_f16_sdwa s[0:1], v4, v8 src0_sel:WORD_1 src1_sel:WORD_1
	s_or_b64 s[0:1], vcc, s[0:1]
	s_cbranch_execnz .LBB146_49
.LBB146_48:
	s_waitcnt vmcnt(0)
	v_cmp_eq_f16_e32 vcc, v4, v8
	v_cmp_eq_f16_sdwa s[44:45], v4, v8 src0_sel:WORD_1 src1_sel:WORD_1
	s_and_b64 s[44:45], vcc, s[44:45]
	s_andn2_b64 s[0:1], s[0:1], exec
	s_and_b64 s[44:45], s[44:45], exec
	s_or_b64 s[0:1], s[0:1], s[44:45]
.LBB146_49:
	v_mov_b32_e32 v1, 0x100
	v_cndmask_b32_e64 v2, 0, v1, s[40:41]
	v_cndmask_b32_e64 v3, 0, 1, s[38:39]
	v_or_b32_e32 v2, v2, v3
	v_mov_b32_e32 v3, 0x10000
	s_waitcnt vmcnt(0)
	v_cndmask_b32_e64 v5, 0, v1, s[30:31]
	v_cndmask_b32_e64 v6, 0, 1, s[28:29]
	v_mov_b32_e32 v7, 0x1000000
	v_or_b32_e32 v5, v5, v6
	v_cndmask_b32_e64 v6, 0, v3, s[34:35]
	v_cndmask_b32_e64 v8, 0, v7, s[36:37]
	v_or3_b32 v5, v5, v6, v8
	v_cndmask_b32_e64 v6, 0, v1, s[22:23]
	v_cndmask_b32_e64 v8, 0, 1, s[20:21]
	v_or_b32_e32 v6, v6, v8
	v_cndmask_b32_e64 v8, 0, v3, s[24:25]
	v_cndmask_b32_e64 v9, 0, v7, s[26:27]
	v_or3_b32 v6, v6, v8, v9
	v_cndmask_b32_e64 v1, 0, v1, s[14:15]
	v_cndmask_b32_e64 v8, 0, 1, s[6:7]
	;; [unrolled: 1-line block ×3, first 2 shown]
	v_or_b32_e32 v1, v1, v8
	v_cndmask_b32_e64 v3, 0, v3, s[16:17]
	v_cndmask_b32_e64 v8, 0, v7, s[18:19]
	v_or3_b32 v1, v1, v3, v8
	v_cndmask_b32_e64 v3, 0, v7, s[0:1]
	s_add_u32 s0, s8, s4
	v_or3_b32 v2, v2, v4, v3
	s_addc_u32 s1, s9, s5
	v_lshlrev_b32_e32 v3, 2, v0
	global_store_dword v3, v1, s[0:1]
	global_store_dword v3, v6, s[0:1] offset:1024
	global_store_dword v3, v5, s[0:1] offset:2048
	;; [unrolled: 1-line block ×3, first 2 shown]
	s_mov_b64 s[0:1], 0
.LBB146_50:
	s_and_b64 vcc, exec, s[0:1]
	s_cbranch_vccz .LBB146_195
; %bb.51:
	v_cmp_gt_i32_e64 s[0:1], s33, v0
	v_mov_b32_e32 v20, 0
	v_or_b32_e32 v1, s4, v0
	v_mov_b32_e32 v3, 0
	v_mov_b32_e32 v21, 0
	;; [unrolled: 1-line block ×31, first 2 shown]
	s_and_saveexec_b64 s[6:7], s[0:1]
	s_cbranch_execz .LBB146_83
; %bb.52:
	v_mov_b32_e32 v2, 0
	v_lshlrev_b64 v[3:4], 2, v[1:2]
	v_mov_b32_e32 v6, s11
	v_add_co_u32_e32 v5, vcc, s10, v3
	v_addc_co_u32_e32 v6, vcc, v6, v4, vcc
	global_load_dword v36, v[5:6], off
	v_mov_b32_e32 v5, s13
	v_add_co_u32_e32 v3, vcc, s12, v3
	v_addc_co_u32_e32 v4, vcc, v5, v4, vcc
	global_load_dword v37, v[3:4], off
	v_or_b32_e32 v3, 0x100, v0
	v_cmp_gt_u32_e32 vcc, s33, v3
	v_mov_b32_e32 v35, v2
	v_mov_b32_e32 v15, v2
	;; [unrolled: 1-line block ×29, first 2 shown]
	s_and_saveexec_b64 s[14:15], vcc
	s_cbranch_execz .LBB146_82
; %bb.53:
	v_add_u32_e32 v14, s4, v0
	v_mov_b32_e32 v15, 0
	v_lshlrev_b64 v[2:3], 2, v[14:15]
	v_mov_b32_e32 v4, s11
	v_add_co_u32_e32 v16, vcc, s10, v2
	v_addc_co_u32_e32 v17, vcc, v4, v3, vcc
	v_mov_b32_e32 v4, s13
	v_add_co_u32_e32 v18, vcc, s12, v2
	v_addc_co_u32_e32 v19, vcc, v4, v3, vcc
	global_load_dword v35, v[16:17], off offset:1024
	global_load_dword v2, v[18:19], off offset:1024
	v_or_b32_e32 v3, 0x200, v0
	v_cmp_gt_u32_e32 vcc, s33, v3
	v_mov_b32_e32 v34, v15
	v_mov_b32_e32 v32, v15
	;; [unrolled: 1-line block ×27, first 2 shown]
	s_and_saveexec_b64 s[16:17], vcc
	s_cbranch_execz .LBB146_81
; %bb.54:
	global_load_dword v34, v[16:17], off offset:2048
	global_load_dword v15, v[18:19], off offset:2048
	v_or_b32_e32 v3, 0x300, v0
	v_cmp_gt_u32_e32 vcc, s33, v3
	v_mov_b32_e32 v32, 0
	v_mov_b32_e32 v33, 0
	v_mov_b32_e32 v31, 0
	v_mov_b32_e32 v30, 0
	v_mov_b32_e32 v14, 0
	v_mov_b32_e32 v29, 0
	v_mov_b32_e32 v13, 0
	v_mov_b32_e32 v28, 0
	v_mov_b32_e32 v12, 0
	v_mov_b32_e32 v27, 0
	v_mov_b32_e32 v11, 0
	v_mov_b32_e32 v26, 0
	v_mov_b32_e32 v10, 0
	v_mov_b32_e32 v25, 0
	v_mov_b32_e32 v9, 0
	v_mov_b32_e32 v24, 0
	v_mov_b32_e32 v8, 0
	v_mov_b32_e32 v23, 0
	v_mov_b32_e32 v22, 0
	v_mov_b32_e32 v21, 0
	v_mov_b32_e32 v3, 0
	v_mov_b32_e32 v20, 0
	v_mov_b32_e32 v7, 0
	v_mov_b32_e32 v6, 0
	v_mov_b32_e32 v5, 0
	v_mov_b32_e32 v4, 0
	s_and_saveexec_b64 s[18:19], vcc
	s_cbranch_execz .LBB146_80
; %bb.55:
	global_load_dword v33, v[16:17], off offset:3072
	global_load_dword v32, v[18:19], off offset:3072
	v_or_b32_e32 v16, 0x400, v0
	v_cmp_gt_u32_e32 vcc, s33, v16
	v_mov_b32_e32 v31, 0
	v_mov_b32_e32 v30, 0
	;; [unrolled: 1-line block ×24, first 2 shown]
	s_and_saveexec_b64 s[20:21], vcc
	s_cbranch_execz .LBB146_79
; %bb.56:
	v_or_b32_e32 v13, s4, v16
	v_mov_b32_e32 v14, 0
	v_lshlrev_b64 v[3:4], 2, v[13:14]
	v_mov_b32_e32 v6, s11
	v_add_co_u32_e32 v5, vcc, s10, v3
	v_addc_co_u32_e32 v6, vcc, v6, v4, vcc
	global_load_dword v30, v[5:6], off
	v_mov_b32_e32 v5, s13
	v_add_co_u32_e32 v3, vcc, s12, v3
	v_addc_co_u32_e32 v4, vcc, v5, v4, vcc
	global_load_dword v31, v[3:4], off
	v_or_b32_e32 v16, 0x500, v0
	v_cmp_gt_u32_e32 vcc, s33, v16
	v_mov_b32_e32 v29, v14
	v_mov_b32_e32 v13, v14
	;; [unrolled: 1-line block ×21, first 2 shown]
	s_and_saveexec_b64 s[22:23], vcc
	s_cbranch_execz .LBB146_78
; %bb.57:
	v_or_b32_e32 v12, s4, v16
	v_mov_b32_e32 v13, 0
	v_lshlrev_b64 v[3:4], 2, v[12:13]
	v_mov_b32_e32 v6, s11
	v_add_co_u32_e32 v5, vcc, s10, v3
	v_addc_co_u32_e32 v6, vcc, v6, v4, vcc
	global_load_dword v29, v[5:6], off
	v_mov_b32_e32 v5, s13
	v_add_co_u32_e32 v3, vcc, s12, v3
	v_addc_co_u32_e32 v4, vcc, v5, v4, vcc
	global_load_dword v14, v[3:4], off
	v_or_b32_e32 v16, 0x600, v0
	v_cmp_gt_u32_e32 vcc, s33, v16
	v_mov_b32_e32 v28, v13
	v_mov_b32_e32 v12, v13
	;; [unrolled: 1-line block ×19, first 2 shown]
	s_and_saveexec_b64 s[24:25], vcc
	s_cbranch_execz .LBB146_77
; %bb.58:
	v_or_b32_e32 v11, s4, v16
	v_mov_b32_e32 v12, 0
	v_lshlrev_b64 v[3:4], 2, v[11:12]
	v_mov_b32_e32 v6, s11
	v_add_co_u32_e32 v5, vcc, s10, v3
	v_addc_co_u32_e32 v6, vcc, v6, v4, vcc
	global_load_dword v28, v[5:6], off
	v_mov_b32_e32 v5, s13
	v_add_co_u32_e32 v3, vcc, s12, v3
	v_addc_co_u32_e32 v4, vcc, v5, v4, vcc
	global_load_dword v13, v[3:4], off
	v_or_b32_e32 v16, 0x700, v0
	v_cmp_gt_u32_e32 vcc, s33, v16
	v_mov_b32_e32 v27, v12
	v_mov_b32_e32 v11, v12
	;; [unrolled: 1-line block ×17, first 2 shown]
	s_and_saveexec_b64 s[26:27], vcc
	s_cbranch_execz .LBB146_76
; %bb.59:
	v_or_b32_e32 v10, s4, v16
	v_mov_b32_e32 v11, 0
	v_lshlrev_b64 v[3:4], 2, v[10:11]
	v_mov_b32_e32 v6, s11
	v_add_co_u32_e32 v5, vcc, s10, v3
	v_addc_co_u32_e32 v6, vcc, v6, v4, vcc
	global_load_dword v27, v[5:6], off
	v_mov_b32_e32 v5, s13
	v_add_co_u32_e32 v3, vcc, s12, v3
	v_addc_co_u32_e32 v4, vcc, v5, v4, vcc
	global_load_dword v12, v[3:4], off
	v_or_b32_e32 v16, 0x800, v0
	v_cmp_gt_u32_e32 vcc, s33, v16
	v_mov_b32_e32 v26, v11
	v_mov_b32_e32 v10, v11
	;; [unrolled: 1-line block ×15, first 2 shown]
	s_and_saveexec_b64 s[28:29], vcc
	s_cbranch_execz .LBB146_75
; %bb.60:
	v_or_b32_e32 v9, s4, v16
	v_mov_b32_e32 v10, 0
	v_lshlrev_b64 v[3:4], 2, v[9:10]
	v_mov_b32_e32 v6, s11
	v_add_co_u32_e32 v5, vcc, s10, v3
	v_addc_co_u32_e32 v6, vcc, v6, v4, vcc
	global_load_dword v26, v[5:6], off
	v_mov_b32_e32 v5, s13
	v_add_co_u32_e32 v3, vcc, s12, v3
	v_addc_co_u32_e32 v4, vcc, v5, v4, vcc
	global_load_dword v11, v[3:4], off
	v_or_b32_e32 v16, 0x900, v0
	v_cmp_gt_u32_e32 vcc, s33, v16
	v_mov_b32_e32 v25, v10
	v_mov_b32_e32 v9, v10
	;; [unrolled: 1-line block ×13, first 2 shown]
	s_and_saveexec_b64 s[30:31], vcc
	s_cbranch_execz .LBB146_74
; %bb.61:
	v_or_b32_e32 v8, s4, v16
	v_mov_b32_e32 v9, 0
	v_lshlrev_b64 v[3:4], 2, v[8:9]
	v_mov_b32_e32 v6, s11
	v_add_co_u32_e32 v5, vcc, s10, v3
	v_addc_co_u32_e32 v6, vcc, v6, v4, vcc
	global_load_dword v25, v[5:6], off
	v_mov_b32_e32 v5, s13
	v_add_co_u32_e32 v3, vcc, s12, v3
	v_addc_co_u32_e32 v4, vcc, v5, v4, vcc
	global_load_dword v10, v[3:4], off
	v_or_b32_e32 v16, 0xa00, v0
	v_cmp_gt_u32_e32 vcc, s33, v16
	v_mov_b32_e32 v24, v9
	v_mov_b32_e32 v8, v9
	;; [unrolled: 1-line block ×11, first 2 shown]
	s_and_saveexec_b64 s[34:35], vcc
	s_cbranch_execz .LBB146_73
; %bb.62:
	v_or_b32_e32 v7, s4, v16
	v_mov_b32_e32 v8, 0
	v_lshlrev_b64 v[3:4], 2, v[7:8]
	v_mov_b32_e32 v6, s11
	v_add_co_u32_e32 v5, vcc, s10, v3
	v_addc_co_u32_e32 v6, vcc, v6, v4, vcc
	global_load_dword v24, v[5:6], off
	v_mov_b32_e32 v5, s13
	v_add_co_u32_e32 v3, vcc, s12, v3
	v_addc_co_u32_e32 v4, vcc, v5, v4, vcc
	global_load_dword v9, v[3:4], off
	v_or_b32_e32 v16, 0xb00, v0
	v_cmp_gt_u32_e32 vcc, s33, v16
	v_mov_b32_e32 v23, v8
	v_mov_b32_e32 v7, v8
	;; [unrolled: 1-line block ×9, first 2 shown]
	s_and_saveexec_b64 s[36:37], vcc
	s_cbranch_execz .LBB146_72
; %bb.63:
	v_or_b32_e32 v6, s4, v16
	v_mov_b32_e32 v7, 0
	v_lshlrev_b64 v[3:4], 2, v[6:7]
	v_mov_b32_e32 v6, s11
	v_add_co_u32_e32 v5, vcc, s10, v3
	v_addc_co_u32_e32 v6, vcc, v6, v4, vcc
	global_load_dword v23, v[5:6], off
	v_mov_b32_e32 v5, s13
	v_add_co_u32_e32 v3, vcc, s12, v3
	v_addc_co_u32_e32 v4, vcc, v5, v4, vcc
	global_load_dword v8, v[3:4], off
	v_or_b32_e32 v16, 0xc00, v0
	v_cmp_gt_u32_e32 vcc, s33, v16
	v_mov_b32_e32 v22, v7
	v_mov_b32_e32 v6, v7
	v_mov_b32_e32 v21, v7
	v_mov_b32_e32 v5, v7
	v_mov_b32_e32 v3, v7
	v_mov_b32_e32 v4, v7
	v_mov_b32_e32 v20, v7
	s_and_saveexec_b64 s[38:39], vcc
	s_cbranch_execz .LBB146_71
; %bb.64:
	v_or_b32_e32 v5, s4, v16
	v_mov_b32_e32 v6, 0
	v_lshlrev_b64 v[3:4], 2, v[5:6]
	v_mov_b32_e32 v5, s11
	v_add_co_u32_e32 v16, vcc, s10, v3
	v_addc_co_u32_e32 v17, vcc, v5, v4, vcc
	v_mov_b32_e32 v5, s13
	v_add_co_u32_e32 v3, vcc, s12, v3
	v_addc_co_u32_e32 v4, vcc, v5, v4, vcc
	global_load_dword v22, v[16:17], off
	global_load_dword v7, v[3:4], off
	v_or_b32_e32 v16, 0xd00, v0
	v_cmp_gt_u32_e32 vcc, s33, v16
	v_mov_b32_e32 v21, v6
	v_mov_b32_e32 v5, v6
	;; [unrolled: 1-line block ×5, first 2 shown]
	s_and_saveexec_b64 s[40:41], vcc
	s_cbranch_execz .LBB146_70
; %bb.65:
	v_add_u32_e32 v4, s4, v16
	v_mov_b32_e32 v5, 0
	v_lshlrev_b64 v[3:4], 2, v[4:5]
	v_mov_b32_e32 v6, s11
	v_add_co_u32_e32 v16, vcc, s10, v3
	v_addc_co_u32_e32 v17, vcc, v6, v4, vcc
	v_mov_b32_e32 v6, s13
	v_add_co_u32_e32 v3, vcc, s12, v3
	v_addc_co_u32_e32 v4, vcc, v6, v4, vcc
	global_load_dword v21, v[16:17], off
	global_load_dword v6, v[3:4], off
	v_or_b32_e32 v16, 0xe00, v0
	v_cmp_gt_u32_e32 vcc, s33, v16
	v_mov_b32_e32 v3, v5
	v_mov_b32_e32 v4, v5
	;; [unrolled: 1-line block ×3, first 2 shown]
	s_and_saveexec_b64 s[42:43], vcc
	s_cbranch_execz .LBB146_69
; %bb.66:
	v_add_u32_e32 v3, s4, v16
	v_mov_b32_e32 v4, 0
	v_lshlrev_b64 v[16:17], 2, v[3:4]
	v_mov_b32_e32 v3, s11
	v_add_co_u32_e32 v18, vcc, s10, v16
	v_addc_co_u32_e32 v19, vcc, v3, v17, vcc
	v_mov_b32_e32 v5, s13
	v_add_co_u32_e32 v16, vcc, s12, v16
	v_addc_co_u32_e32 v17, vcc, v5, v17, vcc
	global_load_dword v3, v[18:19], off
	global_load_dword v5, v[16:17], off
	v_or_b32_e32 v16, 0xf00, v0
	v_cmp_gt_u32_e32 vcc, s33, v16
	v_mov_b32_e32 v20, v4
	s_and_saveexec_b64 s[44:45], vcc
	s_cbranch_execz .LBB146_68
; %bb.67:
	v_add_u32_e32 v16, s4, v16
	v_mov_b32_e32 v17, 0
	v_lshlrev_b64 v[16:17], 2, v[16:17]
	v_mov_b32_e32 v4, s13
	v_add_co_u32_e32 v18, vcc, s12, v16
	v_addc_co_u32_e32 v19, vcc, v4, v17, vcc
	v_mov_b32_e32 v4, s11
	v_add_co_u32_e32 v16, vcc, s10, v16
	v_addc_co_u32_e32 v17, vcc, v4, v17, vcc
	global_load_dword v20, v[16:17], off
	global_load_dword v4, v[18:19], off
.LBB146_68:
	s_or_b64 exec, exec, s[44:45]
.LBB146_69:
	s_or_b64 exec, exec, s[42:43]
.LBB146_70:
	s_or_b64 exec, exec, s[40:41]
.LBB146_71:
	s_or_b64 exec, exec, s[38:39]
.LBB146_72:
	s_or_b64 exec, exec, s[36:37]
.LBB146_73:
	s_or_b64 exec, exec, s[34:35]
.LBB146_74:
	s_or_b64 exec, exec, s[30:31]
.LBB146_75:
	s_or_b64 exec, exec, s[28:29]
.LBB146_76:
	s_or_b64 exec, exec, s[26:27]
.LBB146_77:
	s_or_b64 exec, exec, s[24:25]
.LBB146_78:
	s_or_b64 exec, exec, s[22:23]
.LBB146_79:
	s_or_b64 exec, exec, s[20:21]
.LBB146_80:
	s_or_b64 exec, exec, s[18:19]
.LBB146_81:
	s_or_b64 exec, exec, s[16:17]
.LBB146_82:
	s_or_b64 exec, exec, s[14:15]
.LBB146_83:
	s_or_b64 exec, exec, s[6:7]
	s_cmp_lg_u32 s3, 0
	s_cselect_b64 s[2:3], -1, 0
                                        ; implicit-def: $vgpr16
	s_and_saveexec_b64 s[6:7], s[0:1]
	s_cbranch_execz .LBB146_88
; %bb.84:
	s_and_b64 vcc, exec, s[2:3]
	s_cbranch_vccz .LBB146_212
; %bb.85:
	s_waitcnt vmcnt(0)
	v_cmp_neq_f16_e32 vcc, v36, v37
	v_cmp_neq_f16_sdwa s[10:11], v36, v37 src0_sel:WORD_1 src1_sel:WORD_1
	s_or_b64 s[10:11], vcc, s[10:11]
	s_cbranch_execnz .LBB146_87
.LBB146_86:
	s_waitcnt vmcnt(0)
	v_cmp_eq_f16_e32 vcc, v36, v37
	v_cmp_eq_f16_sdwa s[12:13], v36, v37 src0_sel:WORD_1 src1_sel:WORD_1
	s_and_b64 s[12:13], vcc, s[12:13]
	s_andn2_b64 s[10:11], s[10:11], exec
	s_and_b64 s[12:13], s[12:13], exec
	s_or_b64 s[10:11], s[10:11], s[12:13]
.LBB146_87:
	v_cndmask_b32_e64 v16, 0, 1, s[10:11]
.LBB146_88:
	s_or_b64 exec, exec, s[6:7]
	v_or_b32_e32 v17, 0x100, v0
	v_cndmask_b32_e64 v18, 0, 1, s[2:3]
	v_cmp_gt_i32_e32 vcc, s33, v17
	v_cmp_ne_u32_e64 s[2:3], 1, v18
                                        ; implicit-def: $vgpr18
	s_and_saveexec_b64 s[6:7], vcc
	s_cbranch_execz .LBB146_93
; %bb.89:
	s_and_b64 vcc, exec, s[2:3]
	s_cbranch_vccnz .LBB146_213
; %bb.90:
	s_waitcnt vmcnt(0)
	v_cmp_neq_f16_e32 vcc, v35, v2
	v_cmp_neq_f16_sdwa s[10:11], v35, v2 src0_sel:WORD_1 src1_sel:WORD_1
	s_or_b64 s[10:11], vcc, s[10:11]
	s_cbranch_execnz .LBB146_92
.LBB146_91:
	s_waitcnt vmcnt(0)
	v_cmp_eq_f16_e32 vcc, v35, v2
	v_cmp_eq_f16_sdwa s[12:13], v35, v2 src0_sel:WORD_1 src1_sel:WORD_1
	s_and_b64 s[12:13], vcc, s[12:13]
	s_andn2_b64 s[10:11], s[10:11], exec
	s_and_b64 s[12:13], s[12:13], exec
	s_or_b64 s[10:11], s[10:11], s[12:13]
.LBB146_92:
	v_cndmask_b32_e64 v18, 0, 1, s[10:11]
.LBB146_93:
	s_or_b64 exec, exec, s[6:7]
	s_waitcnt vmcnt(0)
	v_or_b32_e32 v2, 0x200, v0
	v_cmp_gt_i32_e32 vcc, s33, v2
                                        ; implicit-def: $vgpr2
	s_and_saveexec_b64 s[6:7], vcc
	s_cbranch_execz .LBB146_98
; %bb.94:
	s_and_b64 vcc, exec, s[2:3]
	s_cbranch_vccnz .LBB146_214
; %bb.95:
	v_cmp_neq_f16_e32 vcc, v34, v15
	v_cmp_neq_f16_sdwa s[10:11], v34, v15 src0_sel:WORD_1 src1_sel:WORD_1
	s_or_b64 s[10:11], vcc, s[10:11]
	s_cbranch_execnz .LBB146_97
.LBB146_96:
	v_cmp_eq_f16_e32 vcc, v34, v15
	v_cmp_eq_f16_sdwa s[12:13], v34, v15 src0_sel:WORD_1 src1_sel:WORD_1
	s_and_b64 s[12:13], vcc, s[12:13]
	s_andn2_b64 s[10:11], s[10:11], exec
	s_and_b64 s[12:13], s[12:13], exec
	s_or_b64 s[10:11], s[10:11], s[12:13]
.LBB146_97:
	v_cndmask_b32_e64 v2, 0, 1, s[10:11]
.LBB146_98:
	s_or_b64 exec, exec, s[6:7]
	v_or_b32_e32 v15, 0x300, v0
	v_cmp_gt_i32_e32 vcc, s33, v15
                                        ; implicit-def: $vgpr15
	s_and_saveexec_b64 s[6:7], vcc
	s_cbranch_execz .LBB146_103
; %bb.99:
	s_and_b64 vcc, exec, s[2:3]
	s_cbranch_vccnz .LBB146_215
; %bb.100:
	v_cmp_neq_f16_e32 vcc, v33, v32
	v_cmp_neq_f16_sdwa s[10:11], v33, v32 src0_sel:WORD_1 src1_sel:WORD_1
	s_or_b64 s[10:11], vcc, s[10:11]
	s_cbranch_execnz .LBB146_102
.LBB146_101:
	v_cmp_eq_f16_e32 vcc, v33, v32
	v_cmp_eq_f16_sdwa s[12:13], v33, v32 src0_sel:WORD_1 src1_sel:WORD_1
	s_and_b64 s[12:13], vcc, s[12:13]
	s_andn2_b64 s[10:11], s[10:11], exec
	s_and_b64 s[12:13], s[12:13], exec
	s_or_b64 s[10:11], s[10:11], s[12:13]
.LBB146_102:
	v_cndmask_b32_e64 v15, 0, 1, s[10:11]
.LBB146_103:
	s_or_b64 exec, exec, s[6:7]
	v_or_b32_e32 v19, 0x400, v0
	v_cmp_gt_i32_e32 vcc, s33, v19
                                        ; implicit-def: $vgpr19
	s_and_saveexec_b64 s[6:7], vcc
	s_cbranch_execz .LBB146_108
; %bb.104:
	s_and_b64 vcc, exec, s[2:3]
	s_cbranch_vccnz .LBB146_216
; %bb.105:
	v_cmp_neq_f16_e32 vcc, v30, v31
	v_cmp_neq_f16_sdwa s[10:11], v30, v31 src0_sel:WORD_1 src1_sel:WORD_1
	s_or_b64 s[10:11], vcc, s[10:11]
	s_cbranch_execnz .LBB146_107
.LBB146_106:
	v_cmp_eq_f16_e32 vcc, v30, v31
	v_cmp_eq_f16_sdwa s[12:13], v30, v31 src0_sel:WORD_1 src1_sel:WORD_1
	s_and_b64 s[12:13], vcc, s[12:13]
	s_andn2_b64 s[10:11], s[10:11], exec
	s_and_b64 s[12:13], s[12:13], exec
	s_or_b64 s[10:11], s[10:11], s[12:13]
.LBB146_107:
	v_cndmask_b32_e64 v19, 0, 1, s[10:11]
.LBB146_108:
	s_or_b64 exec, exec, s[6:7]
	v_or_b32_e32 v30, 0x500, v0
	v_cmp_gt_i32_e32 vcc, s33, v30
                                        ; implicit-def: $vgpr30
	s_and_saveexec_b64 s[6:7], vcc
	s_cbranch_execz .LBB146_113
; %bb.109:
	s_and_b64 vcc, exec, s[2:3]
	s_cbranch_vccnz .LBB146_217
; %bb.110:
	v_cmp_neq_f16_e32 vcc, v29, v14
	v_cmp_neq_f16_sdwa s[10:11], v29, v14 src0_sel:WORD_1 src1_sel:WORD_1
	s_or_b64 s[10:11], vcc, s[10:11]
	s_cbranch_execnz .LBB146_112
.LBB146_111:
	v_cmp_eq_f16_e32 vcc, v29, v14
	v_cmp_eq_f16_sdwa s[12:13], v29, v14 src0_sel:WORD_1 src1_sel:WORD_1
	s_and_b64 s[12:13], vcc, s[12:13]
	s_andn2_b64 s[10:11], s[10:11], exec
	s_and_b64 s[12:13], s[12:13], exec
	s_or_b64 s[10:11], s[10:11], s[12:13]
.LBB146_112:
	v_cndmask_b32_e64 v30, 0, 1, s[10:11]
.LBB146_113:
	s_or_b64 exec, exec, s[6:7]
	v_or_b32_e32 v14, 0x600, v0
	v_cmp_gt_i32_e32 vcc, s33, v14
                                        ; implicit-def: $vgpr14
	s_and_saveexec_b64 s[6:7], vcc
	s_cbranch_execz .LBB146_118
; %bb.114:
	s_and_b64 vcc, exec, s[2:3]
	s_cbranch_vccnz .LBB146_218
; %bb.115:
	v_cmp_neq_f16_e32 vcc, v28, v13
	v_cmp_neq_f16_sdwa s[10:11], v28, v13 src0_sel:WORD_1 src1_sel:WORD_1
	s_or_b64 s[10:11], vcc, s[10:11]
	s_cbranch_execnz .LBB146_117
.LBB146_116:
	v_cmp_eq_f16_e32 vcc, v28, v13
	v_cmp_eq_f16_sdwa s[12:13], v28, v13 src0_sel:WORD_1 src1_sel:WORD_1
	s_and_b64 s[12:13], vcc, s[12:13]
	s_andn2_b64 s[10:11], s[10:11], exec
	s_and_b64 s[12:13], s[12:13], exec
	s_or_b64 s[10:11], s[10:11], s[12:13]
.LBB146_117:
	v_cndmask_b32_e64 v14, 0, 1, s[10:11]
.LBB146_118:
	s_or_b64 exec, exec, s[6:7]
	v_or_b32_e32 v13, 0x700, v0
	v_cmp_gt_i32_e32 vcc, s33, v13
                                        ; implicit-def: $vgpr13
	s_and_saveexec_b64 s[6:7], vcc
	s_cbranch_execz .LBB146_123
; %bb.119:
	s_and_b64 vcc, exec, s[2:3]
	s_cbranch_vccnz .LBB146_219
; %bb.120:
	v_cmp_neq_f16_e32 vcc, v27, v12
	v_cmp_neq_f16_sdwa s[10:11], v27, v12 src0_sel:WORD_1 src1_sel:WORD_1
	s_or_b64 s[10:11], vcc, s[10:11]
	s_cbranch_execnz .LBB146_122
.LBB146_121:
	v_cmp_eq_f16_e32 vcc, v27, v12
	v_cmp_eq_f16_sdwa s[12:13], v27, v12 src0_sel:WORD_1 src1_sel:WORD_1
	s_and_b64 s[12:13], vcc, s[12:13]
	s_andn2_b64 s[10:11], s[10:11], exec
	s_and_b64 s[12:13], s[12:13], exec
	s_or_b64 s[10:11], s[10:11], s[12:13]
.LBB146_122:
	v_cndmask_b32_e64 v13, 0, 1, s[10:11]
.LBB146_123:
	s_or_b64 exec, exec, s[6:7]
	v_or_b32_e32 v12, 0x800, v0
	v_cmp_gt_i32_e32 vcc, s33, v12
                                        ; implicit-def: $vgpr12
	s_and_saveexec_b64 s[6:7], vcc
	s_cbranch_execz .LBB146_128
; %bb.124:
	s_and_b64 vcc, exec, s[2:3]
	s_cbranch_vccnz .LBB146_220
; %bb.125:
	v_cmp_neq_f16_e32 vcc, v26, v11
	v_cmp_neq_f16_sdwa s[10:11], v26, v11 src0_sel:WORD_1 src1_sel:WORD_1
	s_or_b64 s[10:11], vcc, s[10:11]
	s_cbranch_execnz .LBB146_127
.LBB146_126:
	v_cmp_eq_f16_e32 vcc, v26, v11
	v_cmp_eq_f16_sdwa s[12:13], v26, v11 src0_sel:WORD_1 src1_sel:WORD_1
	s_and_b64 s[12:13], vcc, s[12:13]
	s_andn2_b64 s[10:11], s[10:11], exec
	s_and_b64 s[12:13], s[12:13], exec
	s_or_b64 s[10:11], s[10:11], s[12:13]
.LBB146_127:
	v_cndmask_b32_e64 v12, 0, 1, s[10:11]
.LBB146_128:
	s_or_b64 exec, exec, s[6:7]
	v_or_b32_e32 v11, 0x900, v0
	v_cmp_gt_i32_e32 vcc, s33, v11
                                        ; implicit-def: $vgpr11
	s_and_saveexec_b64 s[6:7], vcc
	s_cbranch_execz .LBB146_133
; %bb.129:
	s_and_b64 vcc, exec, s[2:3]
	s_cbranch_vccnz .LBB146_221
; %bb.130:
	v_cmp_neq_f16_e32 vcc, v25, v10
	v_cmp_neq_f16_sdwa s[10:11], v25, v10 src0_sel:WORD_1 src1_sel:WORD_1
	s_or_b64 s[10:11], vcc, s[10:11]
	s_cbranch_execnz .LBB146_132
.LBB146_131:
	v_cmp_eq_f16_e32 vcc, v25, v10
	v_cmp_eq_f16_sdwa s[12:13], v25, v10 src0_sel:WORD_1 src1_sel:WORD_1
	s_and_b64 s[12:13], vcc, s[12:13]
	s_andn2_b64 s[10:11], s[10:11], exec
	s_and_b64 s[12:13], s[12:13], exec
	s_or_b64 s[10:11], s[10:11], s[12:13]
.LBB146_132:
	v_cndmask_b32_e64 v11, 0, 1, s[10:11]
.LBB146_133:
	s_or_b64 exec, exec, s[6:7]
	v_or_b32_e32 v10, 0xa00, v0
	v_cmp_gt_i32_e32 vcc, s33, v10
                                        ; implicit-def: $vgpr10
	s_and_saveexec_b64 s[6:7], vcc
	s_cbranch_execz .LBB146_138
; %bb.134:
	s_and_b64 vcc, exec, s[2:3]
	s_cbranch_vccnz .LBB146_222
; %bb.135:
	v_cmp_neq_f16_e32 vcc, v24, v9
	v_cmp_neq_f16_sdwa s[10:11], v24, v9 src0_sel:WORD_1 src1_sel:WORD_1
	s_or_b64 s[10:11], vcc, s[10:11]
	s_cbranch_execnz .LBB146_137
.LBB146_136:
	v_cmp_eq_f16_e32 vcc, v24, v9
	v_cmp_eq_f16_sdwa s[12:13], v24, v9 src0_sel:WORD_1 src1_sel:WORD_1
	s_and_b64 s[12:13], vcc, s[12:13]
	s_andn2_b64 s[10:11], s[10:11], exec
	s_and_b64 s[12:13], s[12:13], exec
	s_or_b64 s[10:11], s[10:11], s[12:13]
.LBB146_137:
	v_cndmask_b32_e64 v10, 0, 1, s[10:11]
.LBB146_138:
	s_or_b64 exec, exec, s[6:7]
	v_or_b32_e32 v9, 0xb00, v0
	v_cmp_gt_i32_e32 vcc, s33, v9
                                        ; implicit-def: $vgpr9
	s_and_saveexec_b64 s[6:7], vcc
	s_cbranch_execz .LBB146_143
; %bb.139:
	s_and_b64 vcc, exec, s[2:3]
	s_cbranch_vccnz .LBB146_223
; %bb.140:
	v_cmp_neq_f16_e32 vcc, v23, v8
	v_cmp_neq_f16_sdwa s[10:11], v23, v8 src0_sel:WORD_1 src1_sel:WORD_1
	s_or_b64 s[10:11], vcc, s[10:11]
	s_cbranch_execnz .LBB146_142
.LBB146_141:
	v_cmp_eq_f16_e32 vcc, v23, v8
	v_cmp_eq_f16_sdwa s[12:13], v23, v8 src0_sel:WORD_1 src1_sel:WORD_1
	s_and_b64 s[12:13], vcc, s[12:13]
	s_andn2_b64 s[10:11], s[10:11], exec
	s_and_b64 s[12:13], s[12:13], exec
	s_or_b64 s[10:11], s[10:11], s[12:13]
.LBB146_142:
	v_cndmask_b32_e64 v9, 0, 1, s[10:11]
.LBB146_143:
	s_or_b64 exec, exec, s[6:7]
	v_or_b32_e32 v8, 0xc00, v0
	v_cmp_gt_i32_e32 vcc, s33, v8
                                        ; implicit-def: $vgpr8
	s_and_saveexec_b64 s[6:7], vcc
	s_cbranch_execz .LBB146_148
; %bb.144:
	s_and_b64 vcc, exec, s[2:3]
	s_cbranch_vccnz .LBB146_224
; %bb.145:
	v_cmp_neq_f16_e32 vcc, v22, v7
	v_cmp_neq_f16_sdwa s[10:11], v22, v7 src0_sel:WORD_1 src1_sel:WORD_1
	s_or_b64 s[10:11], vcc, s[10:11]
	s_cbranch_execnz .LBB146_147
.LBB146_146:
	v_cmp_eq_f16_e32 vcc, v22, v7
	v_cmp_eq_f16_sdwa s[12:13], v22, v7 src0_sel:WORD_1 src1_sel:WORD_1
	s_and_b64 s[12:13], vcc, s[12:13]
	s_andn2_b64 s[10:11], s[10:11], exec
	s_and_b64 s[12:13], s[12:13], exec
	s_or_b64 s[10:11], s[10:11], s[12:13]
.LBB146_147:
	v_cndmask_b32_e64 v8, 0, 1, s[10:11]
.LBB146_148:
	s_or_b64 exec, exec, s[6:7]
	v_or_b32_e32 v7, 0xd00, v0
	v_cmp_gt_i32_e32 vcc, s33, v7
                                        ; implicit-def: $vgpr7
	s_and_saveexec_b64 s[6:7], vcc
	s_cbranch_execz .LBB146_153
; %bb.149:
	s_and_b64 vcc, exec, s[2:3]
	s_cbranch_vccnz .LBB146_225
; %bb.150:
	v_cmp_neq_f16_e32 vcc, v21, v6
	v_cmp_neq_f16_sdwa s[10:11], v21, v6 src0_sel:WORD_1 src1_sel:WORD_1
	s_or_b64 s[10:11], vcc, s[10:11]
	s_cbranch_execnz .LBB146_152
.LBB146_151:
	v_cmp_eq_f16_e32 vcc, v21, v6
	v_cmp_eq_f16_sdwa s[12:13], v21, v6 src0_sel:WORD_1 src1_sel:WORD_1
	s_and_b64 s[12:13], vcc, s[12:13]
	s_andn2_b64 s[10:11], s[10:11], exec
	s_and_b64 s[12:13], s[12:13], exec
	s_or_b64 s[10:11], s[10:11], s[12:13]
.LBB146_152:
	v_cndmask_b32_e64 v7, 0, 1, s[10:11]
.LBB146_153:
	s_or_b64 exec, exec, s[6:7]
	v_or_b32_e32 v6, 0xe00, v0
	v_cmp_gt_i32_e32 vcc, s33, v6
                                        ; implicit-def: $vgpr6
	s_and_saveexec_b64 s[6:7], vcc
	s_cbranch_execz .LBB146_158
; %bb.154:
	s_and_b64 vcc, exec, s[2:3]
	s_cbranch_vccnz .LBB146_226
; %bb.155:
	v_cmp_neq_f16_e32 vcc, v3, v5
	v_cmp_neq_f16_sdwa s[10:11], v3, v5 src0_sel:WORD_1 src1_sel:WORD_1
	s_or_b64 s[10:11], vcc, s[10:11]
	s_cbranch_execnz .LBB146_157
.LBB146_156:
	v_cmp_eq_f16_e32 vcc, v3, v5
	v_cmp_eq_f16_sdwa s[12:13], v3, v5 src0_sel:WORD_1 src1_sel:WORD_1
	s_and_b64 s[12:13], vcc, s[12:13]
	s_andn2_b64 s[10:11], s[10:11], exec
	s_and_b64 s[12:13], s[12:13], exec
	s_or_b64 s[10:11], s[10:11], s[12:13]
.LBB146_157:
	v_cndmask_b32_e64 v6, 0, 1, s[10:11]
.LBB146_158:
	s_or_b64 exec, exec, s[6:7]
	v_or_b32_e32 v3, 0xf00, v0
	v_cmp_gt_i32_e32 vcc, s33, v3
                                        ; implicit-def: $vgpr3
	s_and_saveexec_b64 s[6:7], vcc
	s_cbranch_execz .LBB146_163
; %bb.159:
	s_and_b64 vcc, exec, s[2:3]
	s_cbranch_vccnz .LBB146_227
; %bb.160:
	v_cmp_neq_f16_e32 vcc, v20, v4
	v_cmp_neq_f16_sdwa s[2:3], v20, v4 src0_sel:WORD_1 src1_sel:WORD_1
	s_or_b64 s[2:3], vcc, s[2:3]
	s_cbranch_execnz .LBB146_162
.LBB146_161:
	v_cmp_eq_f16_e32 vcc, v20, v4
	v_cmp_eq_f16_sdwa s[10:11], v20, v4 src0_sel:WORD_1 src1_sel:WORD_1
	s_and_b64 s[10:11], vcc, s[10:11]
	s_andn2_b64 s[2:3], s[2:3], exec
	s_and_b64 s[10:11], s[10:11], exec
	s_or_b64 s[2:3], s[2:3], s[10:11]
.LBB146_162:
	v_cndmask_b32_e64 v3, 0, 1, s[2:3]
.LBB146_163:
	s_or_b64 exec, exec, s[6:7]
	s_and_saveexec_b64 s[2:3], s[0:1]
	s_xor_b64 s[0:1], exec, s[2:3]
	s_cbranch_execz .LBB146_165
; %bb.164:
	v_mov_b32_e32 v0, v17
	global_store_byte v1, v16, s[8:9]
.LBB146_165:
	s_or_b64 exec, exec, s[0:1]
	v_cmp_gt_i32_e32 vcc, s33, v0
	s_and_saveexec_b64 s[0:1], vcc
	s_cbranch_execnz .LBB146_181
; %bb.166:
	s_or_b64 exec, exec, s[0:1]
	v_cmp_gt_i32_e32 vcc, s33, v0
	s_and_saveexec_b64 s[0:1], vcc
	s_cbranch_execnz .LBB146_182
.LBB146_167:
	s_or_b64 exec, exec, s[0:1]
	v_cmp_gt_i32_e32 vcc, s33, v0
	s_and_saveexec_b64 s[0:1], vcc
	s_cbranch_execnz .LBB146_183
.LBB146_168:
	s_or_b64 exec, exec, s[0:1]
	v_cmp_gt_i32_e32 vcc, s33, v0
	s_and_saveexec_b64 s[0:1], vcc
	s_cbranch_execnz .LBB146_184
.LBB146_169:
	s_or_b64 exec, exec, s[0:1]
	v_cmp_gt_i32_e32 vcc, s33, v0
	s_and_saveexec_b64 s[0:1], vcc
	s_cbranch_execnz .LBB146_185
.LBB146_170:
	s_or_b64 exec, exec, s[0:1]
	v_cmp_gt_i32_e32 vcc, s33, v0
	s_and_saveexec_b64 s[0:1], vcc
	s_cbranch_execnz .LBB146_186
.LBB146_171:
	s_or_b64 exec, exec, s[0:1]
	v_cmp_gt_i32_e32 vcc, s33, v0
	s_and_saveexec_b64 s[0:1], vcc
	s_cbranch_execnz .LBB146_187
.LBB146_172:
	s_or_b64 exec, exec, s[0:1]
	v_cmp_gt_i32_e32 vcc, s33, v0
	s_and_saveexec_b64 s[0:1], vcc
	s_cbranch_execnz .LBB146_188
.LBB146_173:
	s_or_b64 exec, exec, s[0:1]
	v_cmp_gt_i32_e32 vcc, s33, v0
	s_and_saveexec_b64 s[0:1], vcc
	s_cbranch_execnz .LBB146_189
.LBB146_174:
	s_or_b64 exec, exec, s[0:1]
	v_cmp_gt_i32_e32 vcc, s33, v0
	s_and_saveexec_b64 s[0:1], vcc
	s_cbranch_execnz .LBB146_190
.LBB146_175:
	s_or_b64 exec, exec, s[0:1]
	v_cmp_gt_i32_e32 vcc, s33, v0
	s_and_saveexec_b64 s[0:1], vcc
	s_cbranch_execnz .LBB146_191
.LBB146_176:
	s_or_b64 exec, exec, s[0:1]
	v_cmp_gt_i32_e32 vcc, s33, v0
	s_and_saveexec_b64 s[0:1], vcc
	s_cbranch_execnz .LBB146_192
.LBB146_177:
	s_or_b64 exec, exec, s[0:1]
	v_cmp_gt_i32_e32 vcc, s33, v0
	s_and_saveexec_b64 s[0:1], vcc
	s_cbranch_execnz .LBB146_193
.LBB146_178:
	s_or_b64 exec, exec, s[0:1]
	v_cmp_gt_i32_e32 vcc, s33, v0
	s_and_saveexec_b64 s[0:1], vcc
	s_cbranch_execnz .LBB146_194
.LBB146_179:
	s_or_b64 exec, exec, s[0:1]
	v_cmp_gt_i32_e32 vcc, s33, v0
	s_and_saveexec_b64 s[0:1], vcc
	s_cbranch_execz .LBB146_195
.LBB146_180:
	v_add_u32_e32 v0, s4, v0
	global_store_byte v0, v3, s[8:9]
	s_endpgm
.LBB146_181:
	v_add_u32_e32 v1, s4, v0
	v_add_u32_e32 v0, 0x100, v0
	global_store_byte v1, v18, s[8:9]
	s_or_b64 exec, exec, s[0:1]
	v_cmp_gt_i32_e32 vcc, s33, v0
	s_and_saveexec_b64 s[0:1], vcc
	s_cbranch_execz .LBB146_167
.LBB146_182:
	v_add_u32_e32 v1, s4, v0
	v_add_u32_e32 v0, 0x100, v0
	global_store_byte v1, v2, s[8:9]
	s_or_b64 exec, exec, s[0:1]
	v_cmp_gt_i32_e32 vcc, s33, v0
	s_and_saveexec_b64 s[0:1], vcc
	s_cbranch_execz .LBB146_168
.LBB146_183:
	v_add_u32_e32 v1, s4, v0
	v_add_u32_e32 v0, 0x100, v0
	global_store_byte v1, v15, s[8:9]
	s_or_b64 exec, exec, s[0:1]
	v_cmp_gt_i32_e32 vcc, s33, v0
	s_and_saveexec_b64 s[0:1], vcc
	s_cbranch_execz .LBB146_169
.LBB146_184:
	v_add_u32_e32 v1, s4, v0
	v_add_u32_e32 v0, 0x100, v0
	global_store_byte v1, v19, s[8:9]
	s_or_b64 exec, exec, s[0:1]
	v_cmp_gt_i32_e32 vcc, s33, v0
	s_and_saveexec_b64 s[0:1], vcc
	s_cbranch_execz .LBB146_170
.LBB146_185:
	v_add_u32_e32 v1, s4, v0
	v_add_u32_e32 v0, 0x100, v0
	global_store_byte v1, v30, s[8:9]
	s_or_b64 exec, exec, s[0:1]
	v_cmp_gt_i32_e32 vcc, s33, v0
	s_and_saveexec_b64 s[0:1], vcc
	s_cbranch_execz .LBB146_171
.LBB146_186:
	v_add_u32_e32 v1, s4, v0
	v_add_u32_e32 v0, 0x100, v0
	global_store_byte v1, v14, s[8:9]
	s_or_b64 exec, exec, s[0:1]
	v_cmp_gt_i32_e32 vcc, s33, v0
	s_and_saveexec_b64 s[0:1], vcc
	s_cbranch_execz .LBB146_172
.LBB146_187:
	v_add_u32_e32 v1, s4, v0
	v_add_u32_e32 v0, 0x100, v0
	global_store_byte v1, v13, s[8:9]
	s_or_b64 exec, exec, s[0:1]
	v_cmp_gt_i32_e32 vcc, s33, v0
	s_and_saveexec_b64 s[0:1], vcc
	s_cbranch_execz .LBB146_173
.LBB146_188:
	v_add_u32_e32 v1, s4, v0
	v_add_u32_e32 v0, 0x100, v0
	global_store_byte v1, v12, s[8:9]
	s_or_b64 exec, exec, s[0:1]
	v_cmp_gt_i32_e32 vcc, s33, v0
	s_and_saveexec_b64 s[0:1], vcc
	s_cbranch_execz .LBB146_174
.LBB146_189:
	v_add_u32_e32 v1, s4, v0
	v_add_u32_e32 v0, 0x100, v0
	global_store_byte v1, v11, s[8:9]
	s_or_b64 exec, exec, s[0:1]
	v_cmp_gt_i32_e32 vcc, s33, v0
	s_and_saveexec_b64 s[0:1], vcc
	s_cbranch_execz .LBB146_175
.LBB146_190:
	v_add_u32_e32 v1, s4, v0
	v_add_u32_e32 v0, 0x100, v0
	global_store_byte v1, v10, s[8:9]
	s_or_b64 exec, exec, s[0:1]
	v_cmp_gt_i32_e32 vcc, s33, v0
	s_and_saveexec_b64 s[0:1], vcc
	s_cbranch_execz .LBB146_176
.LBB146_191:
	v_add_u32_e32 v1, s4, v0
	v_add_u32_e32 v0, 0x100, v0
	global_store_byte v1, v9, s[8:9]
	s_or_b64 exec, exec, s[0:1]
	v_cmp_gt_i32_e32 vcc, s33, v0
	s_and_saveexec_b64 s[0:1], vcc
	s_cbranch_execz .LBB146_177
.LBB146_192:
	v_add_u32_e32 v1, s4, v0
	v_add_u32_e32 v0, 0x100, v0
	global_store_byte v1, v8, s[8:9]
	s_or_b64 exec, exec, s[0:1]
	v_cmp_gt_i32_e32 vcc, s33, v0
	s_and_saveexec_b64 s[0:1], vcc
	s_cbranch_execz .LBB146_178
.LBB146_193:
	v_add_u32_e32 v1, s4, v0
	v_add_u32_e32 v0, 0x100, v0
	global_store_byte v1, v7, s[8:9]
	s_or_b64 exec, exec, s[0:1]
	v_cmp_gt_i32_e32 vcc, s33, v0
	s_and_saveexec_b64 s[0:1], vcc
	s_cbranch_execz .LBB146_179
.LBB146_194:
	v_add_u32_e32 v1, s4, v0
	v_add_u32_e32 v0, 0x100, v0
	global_store_byte v1, v6, s[8:9]
	s_or_b64 exec, exec, s[0:1]
	v_cmp_gt_i32_e32 vcc, s33, v0
	s_and_saveexec_b64 s[0:1], vcc
	s_cbranch_execnz .LBB146_180
.LBB146_195:
	s_endpgm
.LBB146_196:
                                        ; implicit-def: $sgpr6_sgpr7
	s_branch .LBB146_3
.LBB146_197:
                                        ; implicit-def: $sgpr14_sgpr15
	s_branch .LBB146_6
.LBB146_198:
                                        ; implicit-def: $sgpr16_sgpr17
	s_branch .LBB146_9
.LBB146_199:
                                        ; implicit-def: $sgpr18_sgpr19
	s_branch .LBB146_12
.LBB146_200:
                                        ; implicit-def: $sgpr20_sgpr21
	s_branch .LBB146_15
.LBB146_201:
                                        ; implicit-def: $sgpr22_sgpr23
	s_branch .LBB146_18
.LBB146_202:
                                        ; implicit-def: $sgpr24_sgpr25
	s_branch .LBB146_21
.LBB146_203:
                                        ; implicit-def: $sgpr26_sgpr27
	s_branch .LBB146_24
.LBB146_204:
                                        ; implicit-def: $sgpr28_sgpr29
	s_branch .LBB146_27
.LBB146_205:
                                        ; implicit-def: $sgpr30_sgpr31
	s_branch .LBB146_30
.LBB146_206:
                                        ; implicit-def: $sgpr34_sgpr35
	s_branch .LBB146_33
.LBB146_207:
                                        ; implicit-def: $sgpr36_sgpr37
	s_branch .LBB146_36
.LBB146_208:
                                        ; implicit-def: $sgpr38_sgpr39
	s_branch .LBB146_39
.LBB146_209:
                                        ; implicit-def: $sgpr40_sgpr41
	s_branch .LBB146_42
.LBB146_210:
                                        ; implicit-def: $sgpr42_sgpr43
	s_branch .LBB146_45
.LBB146_211:
                                        ; implicit-def: $sgpr0_sgpr1
	s_branch .LBB146_48
.LBB146_212:
                                        ; implicit-def: $sgpr10_sgpr11
	s_branch .LBB146_86
.LBB146_213:
                                        ; implicit-def: $sgpr10_sgpr11
	s_branch .LBB146_91
.LBB146_214:
                                        ; implicit-def: $sgpr10_sgpr11
	s_branch .LBB146_96
.LBB146_215:
                                        ; implicit-def: $sgpr10_sgpr11
	s_branch .LBB146_101
.LBB146_216:
                                        ; implicit-def: $sgpr10_sgpr11
	s_branch .LBB146_106
.LBB146_217:
                                        ; implicit-def: $sgpr10_sgpr11
	s_branch .LBB146_111
.LBB146_218:
                                        ; implicit-def: $sgpr10_sgpr11
	s_branch .LBB146_116
.LBB146_219:
                                        ; implicit-def: $sgpr10_sgpr11
	s_branch .LBB146_121
.LBB146_220:
                                        ; implicit-def: $sgpr10_sgpr11
	s_branch .LBB146_126
.LBB146_221:
                                        ; implicit-def: $sgpr10_sgpr11
	s_branch .LBB146_131
.LBB146_222:
                                        ; implicit-def: $sgpr10_sgpr11
	s_branch .LBB146_136
.LBB146_223:
                                        ; implicit-def: $sgpr10_sgpr11
	s_branch .LBB146_141
.LBB146_224:
                                        ; implicit-def: $sgpr10_sgpr11
	s_branch .LBB146_146
.LBB146_225:
                                        ; implicit-def: $sgpr10_sgpr11
	s_branch .LBB146_151
.LBB146_226:
                                        ; implicit-def: $sgpr10_sgpr11
	s_branch .LBB146_156
.LBB146_227:
                                        ; implicit-def: $sgpr2_sgpr3
	s_branch .LBB146_161
	.section	.rodata,"a",@progbits
	.p2align	6, 0x0
	.amdhsa_kernel _ZN2at6native29vectorized_elementwise_kernelILi4ENS0_13BinaryFunctorIN3c107complexINS3_4HalfEEES6_bNS0_12_GLOBAL__N_116CompareEqFunctorIS6_EEEESt5arrayIPcLm3EEEEviT0_T1_
		.amdhsa_group_segment_fixed_size 0
		.amdhsa_private_segment_fixed_size 0
		.amdhsa_kernarg_size 32
		.amdhsa_user_sgpr_count 6
		.amdhsa_user_sgpr_private_segment_buffer 1
		.amdhsa_user_sgpr_dispatch_ptr 0
		.amdhsa_user_sgpr_queue_ptr 0
		.amdhsa_user_sgpr_kernarg_segment_ptr 1
		.amdhsa_user_sgpr_dispatch_id 0
		.amdhsa_user_sgpr_flat_scratch_init 0
		.amdhsa_user_sgpr_private_segment_size 0
		.amdhsa_uses_dynamic_stack 0
		.amdhsa_system_sgpr_private_segment_wavefront_offset 0
		.amdhsa_system_sgpr_workgroup_id_x 1
		.amdhsa_system_sgpr_workgroup_id_y 0
		.amdhsa_system_sgpr_workgroup_id_z 0
		.amdhsa_system_sgpr_workgroup_info 0
		.amdhsa_system_vgpr_workitem_id 0
		.amdhsa_next_free_vgpr 38
		.amdhsa_next_free_sgpr 46
		.amdhsa_reserve_vcc 1
		.amdhsa_reserve_flat_scratch 0
		.amdhsa_float_round_mode_32 0
		.amdhsa_float_round_mode_16_64 0
		.amdhsa_float_denorm_mode_32 3
		.amdhsa_float_denorm_mode_16_64 3
		.amdhsa_dx10_clamp 1
		.amdhsa_ieee_mode 1
		.amdhsa_fp16_overflow 0
		.amdhsa_exception_fp_ieee_invalid_op 0
		.amdhsa_exception_fp_denorm_src 0
		.amdhsa_exception_fp_ieee_div_zero 0
		.amdhsa_exception_fp_ieee_overflow 0
		.amdhsa_exception_fp_ieee_underflow 0
		.amdhsa_exception_fp_ieee_inexact 0
		.amdhsa_exception_int_div_zero 0
	.end_amdhsa_kernel
	.section	.text._ZN2at6native29vectorized_elementwise_kernelILi4ENS0_13BinaryFunctorIN3c107complexINS3_4HalfEEES6_bNS0_12_GLOBAL__N_116CompareEqFunctorIS6_EEEESt5arrayIPcLm3EEEEviT0_T1_,"axG",@progbits,_ZN2at6native29vectorized_elementwise_kernelILi4ENS0_13BinaryFunctorIN3c107complexINS3_4HalfEEES6_bNS0_12_GLOBAL__N_116CompareEqFunctorIS6_EEEESt5arrayIPcLm3EEEEviT0_T1_,comdat
.Lfunc_end146:
	.size	_ZN2at6native29vectorized_elementwise_kernelILi4ENS0_13BinaryFunctorIN3c107complexINS3_4HalfEEES6_bNS0_12_GLOBAL__N_116CompareEqFunctorIS6_EEEESt5arrayIPcLm3EEEEviT0_T1_, .Lfunc_end146-_ZN2at6native29vectorized_elementwise_kernelILi4ENS0_13BinaryFunctorIN3c107complexINS3_4HalfEEES6_bNS0_12_GLOBAL__N_116CompareEqFunctorIS6_EEEESt5arrayIPcLm3EEEEviT0_T1_
                                        ; -- End function
	.set _ZN2at6native29vectorized_elementwise_kernelILi4ENS0_13BinaryFunctorIN3c107complexINS3_4HalfEEES6_bNS0_12_GLOBAL__N_116CompareEqFunctorIS6_EEEESt5arrayIPcLm3EEEEviT0_T1_.num_vgpr, 38
	.set _ZN2at6native29vectorized_elementwise_kernelILi4ENS0_13BinaryFunctorIN3c107complexINS3_4HalfEEES6_bNS0_12_GLOBAL__N_116CompareEqFunctorIS6_EEEESt5arrayIPcLm3EEEEviT0_T1_.num_agpr, 0
	.set _ZN2at6native29vectorized_elementwise_kernelILi4ENS0_13BinaryFunctorIN3c107complexINS3_4HalfEEES6_bNS0_12_GLOBAL__N_116CompareEqFunctorIS6_EEEESt5arrayIPcLm3EEEEviT0_T1_.numbered_sgpr, 46
	.set _ZN2at6native29vectorized_elementwise_kernelILi4ENS0_13BinaryFunctorIN3c107complexINS3_4HalfEEES6_bNS0_12_GLOBAL__N_116CompareEqFunctorIS6_EEEESt5arrayIPcLm3EEEEviT0_T1_.num_named_barrier, 0
	.set _ZN2at6native29vectorized_elementwise_kernelILi4ENS0_13BinaryFunctorIN3c107complexINS3_4HalfEEES6_bNS0_12_GLOBAL__N_116CompareEqFunctorIS6_EEEESt5arrayIPcLm3EEEEviT0_T1_.private_seg_size, 0
	.set _ZN2at6native29vectorized_elementwise_kernelILi4ENS0_13BinaryFunctorIN3c107complexINS3_4HalfEEES6_bNS0_12_GLOBAL__N_116CompareEqFunctorIS6_EEEESt5arrayIPcLm3EEEEviT0_T1_.uses_vcc, 1
	.set _ZN2at6native29vectorized_elementwise_kernelILi4ENS0_13BinaryFunctorIN3c107complexINS3_4HalfEEES6_bNS0_12_GLOBAL__N_116CompareEqFunctorIS6_EEEESt5arrayIPcLm3EEEEviT0_T1_.uses_flat_scratch, 0
	.set _ZN2at6native29vectorized_elementwise_kernelILi4ENS0_13BinaryFunctorIN3c107complexINS3_4HalfEEES6_bNS0_12_GLOBAL__N_116CompareEqFunctorIS6_EEEESt5arrayIPcLm3EEEEviT0_T1_.has_dyn_sized_stack, 0
	.set _ZN2at6native29vectorized_elementwise_kernelILi4ENS0_13BinaryFunctorIN3c107complexINS3_4HalfEEES6_bNS0_12_GLOBAL__N_116CompareEqFunctorIS6_EEEESt5arrayIPcLm3EEEEviT0_T1_.has_recursion, 0
	.set _ZN2at6native29vectorized_elementwise_kernelILi4ENS0_13BinaryFunctorIN3c107complexINS3_4HalfEEES6_bNS0_12_GLOBAL__N_116CompareEqFunctorIS6_EEEESt5arrayIPcLm3EEEEviT0_T1_.has_indirect_call, 0
	.section	.AMDGPU.csdata,"",@progbits
; Kernel info:
; codeLenInByte = 6128
; TotalNumSgprs: 50
; NumVgprs: 38
; ScratchSize: 0
; MemoryBound: 0
; FloatMode: 240
; IeeeMode: 1
; LDSByteSize: 0 bytes/workgroup (compile time only)
; SGPRBlocks: 6
; VGPRBlocks: 9
; NumSGPRsForWavesPerEU: 50
; NumVGPRsForWavesPerEU: 38
; Occupancy: 6
; WaveLimiterHint : 1
; COMPUTE_PGM_RSRC2:SCRATCH_EN: 0
; COMPUTE_PGM_RSRC2:USER_SGPR: 6
; COMPUTE_PGM_RSRC2:TRAP_HANDLER: 0
; COMPUTE_PGM_RSRC2:TGID_X_EN: 1
; COMPUTE_PGM_RSRC2:TGID_Y_EN: 0
; COMPUTE_PGM_RSRC2:TGID_Z_EN: 0
; COMPUTE_PGM_RSRC2:TIDIG_COMP_CNT: 0
	.section	.text._ZN2at6native29vectorized_elementwise_kernelILi2ENS0_13BinaryFunctorIN3c107complexINS3_4HalfEEES6_bNS0_12_GLOBAL__N_116CompareEqFunctorIS6_EEEESt5arrayIPcLm3EEEEviT0_T1_,"axG",@progbits,_ZN2at6native29vectorized_elementwise_kernelILi2ENS0_13BinaryFunctorIN3c107complexINS3_4HalfEEES6_bNS0_12_GLOBAL__N_116CompareEqFunctorIS6_EEEESt5arrayIPcLm3EEEEviT0_T1_,comdat
	.globl	_ZN2at6native29vectorized_elementwise_kernelILi2ENS0_13BinaryFunctorIN3c107complexINS3_4HalfEEES6_bNS0_12_GLOBAL__N_116CompareEqFunctorIS6_EEEESt5arrayIPcLm3EEEEviT0_T1_ ; -- Begin function _ZN2at6native29vectorized_elementwise_kernelILi2ENS0_13BinaryFunctorIN3c107complexINS3_4HalfEEES6_bNS0_12_GLOBAL__N_116CompareEqFunctorIS6_EEEESt5arrayIPcLm3EEEEviT0_T1_
	.p2align	8
	.type	_ZN2at6native29vectorized_elementwise_kernelILi2ENS0_13BinaryFunctorIN3c107complexINS3_4HalfEEES6_bNS0_12_GLOBAL__N_116CompareEqFunctorIS6_EEEESt5arrayIPcLm3EEEEviT0_T1_,@function
_ZN2at6native29vectorized_elementwise_kernelILi2ENS0_13BinaryFunctorIN3c107complexINS3_4HalfEEES6_bNS0_12_GLOBAL__N_116CompareEqFunctorIS6_EEEESt5arrayIPcLm3EEEEviT0_T1_: ; @_ZN2at6native29vectorized_elementwise_kernelILi2ENS0_13BinaryFunctorIN3c107complexINS3_4HalfEEES6_bNS0_12_GLOBAL__N_116CompareEqFunctorIS6_EEEESt5arrayIPcLm3EEEEviT0_T1_
; %bb.0:
	s_load_dwordx2 s[2:3], s[4:5], 0x0
	s_load_dwordx4 s[8:11], s[4:5], 0x8
	s_load_dwordx2 s[12:13], s[4:5], 0x18
	s_lshl_b32 s4, s6, 12
	s_mov_b64 s[0:1], -1
	s_waitcnt lgkmcnt(0)
	s_sub_i32 s33, s2, s4
	s_cmpk_gt_i32 s33, 0xfff
	s_cbranch_scc0 .LBB147_50
; %bb.1:
	s_ashr_i32 s5, s4, 31
	s_lshl_b64 s[0:1], s[4:5], 2
	s_add_u32 s6, s10, s0
	s_addc_u32 s7, s11, s1
	v_lshlrev_b32_e32 v7, 3, v0
	v_mov_b32_e32 v1, s7
	v_add_co_u32_e32 v5, vcc, s6, v7
	v_addc_co_u32_e32 v6, vcc, 0, v1, vcc
	v_add_co_u32_e32 v1, vcc, 0x1000, v5
	v_addc_co_u32_e32 v2, vcc, 0, v6, vcc
	;; [unrolled: 2-line block ×3, first 2 shown]
	global_load_dwordx2 v[21:22], v[1:2], off
	global_load_dwordx2 v[17:18], v[1:2], off offset:2048
	global_load_dwordx2 v[13:14], v[3:4], off
	global_load_dwordx2 v[9:10], v[3:4], off offset:2048
	v_add_co_u32_e32 v3, vcc, 0x3000, v5
	s_add_u32 s0, s12, s0
	v_addc_co_u32_e32 v4, vcc, 0, v6, vcc
	s_addc_u32 s1, s13, s1
	global_load_dwordx2 v[5:6], v[3:4], off
	global_load_dwordx2 v[1:2], v[3:4], off offset:2048
	v_mov_b32_e32 v3, s1
	v_add_co_u32_e32 v4, vcc, s0, v7
	s_movk_i32 s2, 0x1000
	v_addc_co_u32_e32 v3, vcc, 0, v3, vcc
	v_add_co_u32_e32 v33, vcc, s2, v4
	s_movk_i32 s14, 0x2000
	v_addc_co_u32_e32 v34, vcc, 0, v3, vcc
	v_add_co_u32_e32 v35, vcc, s14, v4
	v_addc_co_u32_e32 v36, vcc, 0, v3, vcc
	v_add_co_u32_e32 v37, vcc, 0x3000, v4
	global_load_dwordx2 v[29:30], v7, s[6:7]
	global_load_dwordx2 v[25:26], v7, s[6:7] offset:2048
	global_load_dwordx2 v[31:32], v7, s[0:1]
	global_load_dwordx2 v[27:28], v7, s[0:1] offset:2048
	global_load_dwordx2 v[15:16], v[35:36], off
	global_load_dwordx2 v[11:12], v[35:36], off offset:2048
	v_addc_co_u32_e32 v38, vcc, 0, v3, vcc
	global_load_dwordx2 v[23:24], v[35:36], off offset:-4096
	global_load_dwordx2 v[19:20], v[33:34], off offset:2048
	global_load_dwordx2 v[7:8], v[37:38], off
	global_load_dwordx2 v[3:4], v[37:38], off offset:2048
	s_cmp_lg_u32 s3, 0
	s_cselect_b64 s[14:15], -1, 0
	s_and_b64 vcc, exec, s[14:15]
	s_cbranch_vccz .LBB147_196
; %bb.2:
	s_waitcnt vmcnt(7)
	v_cmp_neq_f16_e32 vcc, v29, v31
	v_cmp_neq_f16_sdwa s[0:1], v29, v31 src0_sel:WORD_1 src1_sel:WORD_1
	s_or_b64 s[6:7], vcc, s[0:1]
	s_cbranch_execnz .LBB147_4
.LBB147_3:
	s_waitcnt vmcnt(7)
	v_cmp_eq_f16_e32 vcc, v29, v31
	v_cmp_eq_f16_sdwa s[0:1], v29, v31 src0_sel:WORD_1 src1_sel:WORD_1
	s_and_b64 s[0:1], vcc, s[0:1]
	s_andn2_b64 s[6:7], s[6:7], exec
	s_and_b64 s[0:1], s[0:1], exec
	s_or_b64 s[6:7], s[6:7], s[0:1]
.LBB147_4:
	s_waitcnt vmcnt(9)
	v_cndmask_b32_e64 v29, 0, 1, s[14:15]
	v_cmp_ne_u32_e64 s[0:1], 1, v29
	s_andn2_b64 vcc, exec, s[14:15]
	s_cbranch_vccnz .LBB147_197
; %bb.5:
	s_waitcnt vmcnt(7)
	v_cmp_neq_f16_e32 vcc, v30, v32
	v_cmp_neq_f16_sdwa s[14:15], v30, v32 src0_sel:WORD_1 src1_sel:WORD_1
	s_or_b64 s[14:15], vcc, s[14:15]
	s_cbranch_execnz .LBB147_7
.LBB147_6:
	s_waitcnt vmcnt(7)
	v_cmp_eq_f16_e32 vcc, v30, v32
	v_cmp_eq_f16_sdwa s[16:17], v30, v32 src0_sel:WORD_1 src1_sel:WORD_1
	s_and_b64 s[16:17], vcc, s[16:17]
	s_andn2_b64 s[14:15], s[14:15], exec
	s_and_b64 s[16:17], s[16:17], exec
	s_or_b64 s[14:15], s[14:15], s[16:17]
.LBB147_7:
	s_and_b64 vcc, exec, s[0:1]
	s_cbranch_vccnz .LBB147_198
; %bb.8:
	s_waitcnt vmcnt(6)
	v_cmp_neq_f16_e32 vcc, v25, v27
	v_cmp_neq_f16_sdwa s[16:17], v25, v27 src0_sel:WORD_1 src1_sel:WORD_1
	s_or_b64 s[16:17], vcc, s[16:17]
	s_cbranch_execnz .LBB147_10
.LBB147_9:
	s_waitcnt vmcnt(6)
	v_cmp_eq_f16_e32 vcc, v25, v27
	v_cmp_eq_f16_sdwa s[18:19], v25, v27 src0_sel:WORD_1 src1_sel:WORD_1
	s_and_b64 s[18:19], vcc, s[18:19]
	s_andn2_b64 s[16:17], s[16:17], exec
	s_and_b64 s[18:19], s[18:19], exec
	s_or_b64 s[16:17], s[16:17], s[18:19]
.LBB147_10:
	s_and_b64 vcc, exec, s[0:1]
	s_cbranch_vccnz .LBB147_199
; %bb.11:
	s_waitcnt vmcnt(6)
	v_cmp_neq_f16_e32 vcc, v26, v28
	v_cmp_neq_f16_sdwa s[18:19], v26, v28 src0_sel:WORD_1 src1_sel:WORD_1
	s_or_b64 s[18:19], vcc, s[18:19]
	s_cbranch_execnz .LBB147_13
.LBB147_12:
	s_waitcnt vmcnt(6)
	v_cmp_eq_f16_e32 vcc, v26, v28
	v_cmp_eq_f16_sdwa s[20:21], v26, v28 src0_sel:WORD_1 src1_sel:WORD_1
	s_and_b64 s[20:21], vcc, s[20:21]
	s_andn2_b64 s[18:19], s[18:19], exec
	s_and_b64 s[20:21], s[20:21], exec
	s_or_b64 s[18:19], s[18:19], s[20:21]
.LBB147_13:
	s_and_b64 vcc, exec, s[0:1]
	s_cbranch_vccnz .LBB147_200
; %bb.14:
	s_waitcnt vmcnt(3)
	v_cmp_neq_f16_e32 vcc, v21, v23
	v_cmp_neq_f16_sdwa s[20:21], v21, v23 src0_sel:WORD_1 src1_sel:WORD_1
	s_or_b64 s[20:21], vcc, s[20:21]
	s_cbranch_execnz .LBB147_16
.LBB147_15:
	s_waitcnt vmcnt(3)
	v_cmp_eq_f16_e32 vcc, v21, v23
	v_cmp_eq_f16_sdwa s[22:23], v21, v23 src0_sel:WORD_1 src1_sel:WORD_1
	s_and_b64 s[22:23], vcc, s[22:23]
	s_andn2_b64 s[20:21], s[20:21], exec
	s_and_b64 s[22:23], s[22:23], exec
	s_or_b64 s[20:21], s[20:21], s[22:23]
.LBB147_16:
	s_and_b64 vcc, exec, s[0:1]
	s_cbranch_vccnz .LBB147_201
; %bb.17:
	s_waitcnt vmcnt(3)
	v_cmp_neq_f16_e32 vcc, v22, v24
	v_cmp_neq_f16_sdwa s[22:23], v22, v24 src0_sel:WORD_1 src1_sel:WORD_1
	s_or_b64 s[22:23], vcc, s[22:23]
	s_cbranch_execnz .LBB147_19
.LBB147_18:
	s_waitcnt vmcnt(3)
	v_cmp_eq_f16_e32 vcc, v22, v24
	v_cmp_eq_f16_sdwa s[24:25], v22, v24 src0_sel:WORD_1 src1_sel:WORD_1
	s_and_b64 s[24:25], vcc, s[24:25]
	s_andn2_b64 s[22:23], s[22:23], exec
	s_and_b64 s[24:25], s[24:25], exec
	s_or_b64 s[22:23], s[22:23], s[24:25]
.LBB147_19:
	s_and_b64 vcc, exec, s[0:1]
	s_cbranch_vccnz .LBB147_202
; %bb.20:
	s_waitcnt vmcnt(2)
	v_cmp_neq_f16_e32 vcc, v17, v19
	v_cmp_neq_f16_sdwa s[24:25], v17, v19 src0_sel:WORD_1 src1_sel:WORD_1
	s_or_b64 s[24:25], vcc, s[24:25]
	s_cbranch_execnz .LBB147_22
.LBB147_21:
	s_waitcnt vmcnt(2)
	v_cmp_eq_f16_e32 vcc, v17, v19
	v_cmp_eq_f16_sdwa s[26:27], v17, v19 src0_sel:WORD_1 src1_sel:WORD_1
	s_and_b64 s[26:27], vcc, s[26:27]
	s_andn2_b64 s[24:25], s[24:25], exec
	s_and_b64 s[26:27], s[26:27], exec
	s_or_b64 s[24:25], s[24:25], s[26:27]
.LBB147_22:
	s_and_b64 vcc, exec, s[0:1]
	s_cbranch_vccnz .LBB147_203
; %bb.23:
	s_waitcnt vmcnt(2)
	v_cmp_neq_f16_e32 vcc, v18, v20
	v_cmp_neq_f16_sdwa s[26:27], v18, v20 src0_sel:WORD_1 src1_sel:WORD_1
	s_or_b64 s[26:27], vcc, s[26:27]
	s_cbranch_execnz .LBB147_25
.LBB147_24:
	s_waitcnt vmcnt(2)
	v_cmp_eq_f16_e32 vcc, v18, v20
	v_cmp_eq_f16_sdwa s[28:29], v18, v20 src0_sel:WORD_1 src1_sel:WORD_1
	s_and_b64 s[28:29], vcc, s[28:29]
	s_andn2_b64 s[26:27], s[26:27], exec
	s_and_b64 s[28:29], s[28:29], exec
	s_or_b64 s[26:27], s[26:27], s[28:29]
.LBB147_25:
	s_and_b64 vcc, exec, s[0:1]
	s_cbranch_vccnz .LBB147_204
; %bb.26:
	s_waitcnt vmcnt(5)
	v_cmp_neq_f16_e32 vcc, v13, v15
	v_cmp_neq_f16_sdwa s[28:29], v13, v15 src0_sel:WORD_1 src1_sel:WORD_1
	s_or_b64 s[28:29], vcc, s[28:29]
	s_cbranch_execnz .LBB147_28
.LBB147_27:
	s_waitcnt vmcnt(5)
	v_cmp_eq_f16_e32 vcc, v13, v15
	v_cmp_eq_f16_sdwa s[30:31], v13, v15 src0_sel:WORD_1 src1_sel:WORD_1
	s_and_b64 s[30:31], vcc, s[30:31]
	s_andn2_b64 s[28:29], s[28:29], exec
	s_and_b64 s[30:31], s[30:31], exec
	s_or_b64 s[28:29], s[28:29], s[30:31]
.LBB147_28:
	s_and_b64 vcc, exec, s[0:1]
	s_cbranch_vccnz .LBB147_205
; %bb.29:
	s_waitcnt vmcnt(5)
	v_cmp_neq_f16_e32 vcc, v14, v16
	v_cmp_neq_f16_sdwa s[30:31], v14, v16 src0_sel:WORD_1 src1_sel:WORD_1
	s_or_b64 s[30:31], vcc, s[30:31]
	s_cbranch_execnz .LBB147_31
.LBB147_30:
	s_waitcnt vmcnt(5)
	v_cmp_eq_f16_e32 vcc, v14, v16
	v_cmp_eq_f16_sdwa s[34:35], v14, v16 src0_sel:WORD_1 src1_sel:WORD_1
	s_and_b64 s[34:35], vcc, s[34:35]
	s_andn2_b64 s[30:31], s[30:31], exec
	s_and_b64 s[34:35], s[34:35], exec
	s_or_b64 s[30:31], s[30:31], s[34:35]
.LBB147_31:
	s_and_b64 vcc, exec, s[0:1]
	s_cbranch_vccnz .LBB147_206
; %bb.32:
	s_waitcnt vmcnt(4)
	v_cmp_neq_f16_e32 vcc, v9, v11
	v_cmp_neq_f16_sdwa s[34:35], v9, v11 src0_sel:WORD_1 src1_sel:WORD_1
	s_or_b64 s[34:35], vcc, s[34:35]
	s_cbranch_execnz .LBB147_34
.LBB147_33:
	s_waitcnt vmcnt(4)
	v_cmp_eq_f16_e32 vcc, v9, v11
	v_cmp_eq_f16_sdwa s[36:37], v9, v11 src0_sel:WORD_1 src1_sel:WORD_1
	s_and_b64 s[36:37], vcc, s[36:37]
	s_andn2_b64 s[34:35], s[34:35], exec
	s_and_b64 s[36:37], s[36:37], exec
	s_or_b64 s[34:35], s[34:35], s[36:37]
.LBB147_34:
	s_and_b64 vcc, exec, s[0:1]
	s_cbranch_vccnz .LBB147_207
; %bb.35:
	s_waitcnt vmcnt(4)
	v_cmp_neq_f16_e32 vcc, v10, v12
	v_cmp_neq_f16_sdwa s[36:37], v10, v12 src0_sel:WORD_1 src1_sel:WORD_1
	s_or_b64 s[36:37], vcc, s[36:37]
	s_cbranch_execnz .LBB147_37
.LBB147_36:
	s_waitcnt vmcnt(4)
	v_cmp_eq_f16_e32 vcc, v10, v12
	v_cmp_eq_f16_sdwa s[38:39], v10, v12 src0_sel:WORD_1 src1_sel:WORD_1
	s_and_b64 s[38:39], vcc, s[38:39]
	s_andn2_b64 s[36:37], s[36:37], exec
	s_and_b64 s[38:39], s[38:39], exec
	s_or_b64 s[36:37], s[36:37], s[38:39]
.LBB147_37:
	s_and_b64 vcc, exec, s[0:1]
	s_cbranch_vccnz .LBB147_208
; %bb.38:
	s_waitcnt vmcnt(1)
	v_cmp_neq_f16_e32 vcc, v5, v7
	v_cmp_neq_f16_sdwa s[38:39], v5, v7 src0_sel:WORD_1 src1_sel:WORD_1
	s_or_b64 s[38:39], vcc, s[38:39]
	s_cbranch_execnz .LBB147_40
.LBB147_39:
	s_waitcnt vmcnt(1)
	v_cmp_eq_f16_e32 vcc, v5, v7
	v_cmp_eq_f16_sdwa s[40:41], v5, v7 src0_sel:WORD_1 src1_sel:WORD_1
	s_and_b64 s[40:41], vcc, s[40:41]
	s_andn2_b64 s[38:39], s[38:39], exec
	s_and_b64 s[40:41], s[40:41], exec
	s_or_b64 s[38:39], s[38:39], s[40:41]
.LBB147_40:
	s_and_b64 vcc, exec, s[0:1]
	s_cbranch_vccnz .LBB147_209
; %bb.41:
	s_waitcnt vmcnt(1)
	v_cmp_neq_f16_e32 vcc, v6, v8
	v_cmp_neq_f16_sdwa s[40:41], v6, v8 src0_sel:WORD_1 src1_sel:WORD_1
	s_or_b64 s[40:41], vcc, s[40:41]
	s_cbranch_execnz .LBB147_43
.LBB147_42:
	s_waitcnt vmcnt(1)
	v_cmp_eq_f16_e32 vcc, v6, v8
	v_cmp_eq_f16_sdwa s[42:43], v6, v8 src0_sel:WORD_1 src1_sel:WORD_1
	s_and_b64 s[42:43], vcc, s[42:43]
	s_andn2_b64 s[40:41], s[40:41], exec
	s_and_b64 s[42:43], s[42:43], exec
	s_or_b64 s[40:41], s[40:41], s[42:43]
.LBB147_43:
	s_and_b64 vcc, exec, s[0:1]
	s_cbranch_vccnz .LBB147_210
; %bb.44:
	s_waitcnt vmcnt(0)
	v_cmp_neq_f16_e32 vcc, v1, v3
	v_cmp_neq_f16_sdwa s[42:43], v1, v3 src0_sel:WORD_1 src1_sel:WORD_1
	s_or_b64 s[42:43], vcc, s[42:43]
	s_cbranch_execnz .LBB147_46
.LBB147_45:
	s_waitcnt vmcnt(0)
	v_cmp_eq_f16_e32 vcc, v1, v3
	v_cmp_eq_f16_sdwa s[44:45], v1, v3 src0_sel:WORD_1 src1_sel:WORD_1
	s_and_b64 s[44:45], vcc, s[44:45]
	s_andn2_b64 s[42:43], s[42:43], exec
	s_and_b64 s[44:45], s[44:45], exec
	s_or_b64 s[42:43], s[42:43], s[44:45]
.LBB147_46:
	s_and_b64 vcc, exec, s[0:1]
	s_cbranch_vccnz .LBB147_211
; %bb.47:
	s_waitcnt vmcnt(0)
	v_cmp_neq_f16_e32 vcc, v2, v4
	v_cmp_neq_f16_sdwa s[0:1], v2, v4 src0_sel:WORD_1 src1_sel:WORD_1
	s_or_b64 s[0:1], vcc, s[0:1]
	s_cbranch_execnz .LBB147_49
.LBB147_48:
	s_waitcnt vmcnt(0)
	v_cmp_eq_f16_e32 vcc, v2, v4
	v_cmp_eq_f16_sdwa s[44:45], v2, v4 src0_sel:WORD_1 src1_sel:WORD_1
	s_and_b64 s[44:45], vcc, s[44:45]
	s_andn2_b64 s[0:1], s[0:1], exec
	s_and_b64 s[44:45], s[44:45], exec
	s_or_b64 s[0:1], s[0:1], s[44:45]
.LBB147_49:
	s_waitcnt vmcnt(0)
	v_mov_b32_e32 v3, 0x100
	v_cndmask_b32_e64 v2, 0, 1, s[38:39]
	v_cndmask_b32_e64 v4, 0, v3, s[40:41]
	v_or_b32_e32 v2, v4, v2
	v_cndmask_b32_e64 v4, 0, 1, s[34:35]
	v_cndmask_b32_e64 v5, 0, v3, s[36:37]
	v_or_b32_e32 v4, v5, v4
	;; [unrolled: 3-line block ×5, first 2 shown]
	v_cndmask_b32_e64 v8, 0, 1, s[16:17]
	v_cndmask_b32_e64 v9, 0, v3, s[18:19]
	;; [unrolled: 1-line block ×3, first 2 shown]
	v_or_b32_e32 v8, v9, v8
	v_cndmask_b32_e64 v9, 0, 1, s[6:7]
	v_cndmask_b32_e64 v10, 0, v3, s[14:15]
	;; [unrolled: 1-line block ×3, first 2 shown]
	s_add_u32 s0, s8, s4
	v_or_b32_e32 v9, v10, v9
	v_or_b32_e32 v1, v3, v1
	s_addc_u32 s1, s9, s5
	v_lshlrev_b32_e32 v3, 1, v0
	global_store_short v3, v9, s[0:1]
	global_store_short v3, v8, s[0:1] offset:512
	global_store_short v3, v7, s[0:1] offset:1024
	;; [unrolled: 1-line block ×7, first 2 shown]
	s_mov_b64 s[0:1], 0
.LBB147_50:
	s_and_b64 vcc, exec, s[0:1]
	s_cbranch_vccz .LBB147_195
; %bb.51:
	v_cmp_gt_i32_e64 s[0:1], s33, v0
	v_mov_b32_e32 v20, 0
	v_or_b32_e32 v1, s4, v0
	v_mov_b32_e32 v3, 0
	v_mov_b32_e32 v21, 0
	;; [unrolled: 1-line block ×31, first 2 shown]
	s_and_saveexec_b64 s[6:7], s[0:1]
	s_cbranch_execz .LBB147_83
; %bb.52:
	v_mov_b32_e32 v2, 0
	v_lshlrev_b64 v[3:4], 2, v[1:2]
	v_mov_b32_e32 v6, s11
	v_add_co_u32_e32 v5, vcc, s10, v3
	v_addc_co_u32_e32 v6, vcc, v6, v4, vcc
	global_load_dword v36, v[5:6], off
	v_mov_b32_e32 v5, s13
	v_add_co_u32_e32 v3, vcc, s12, v3
	v_addc_co_u32_e32 v4, vcc, v5, v4, vcc
	global_load_dword v37, v[3:4], off
	v_or_b32_e32 v3, 0x100, v0
	v_cmp_gt_u32_e32 vcc, s33, v3
	v_mov_b32_e32 v35, v2
	v_mov_b32_e32 v15, v2
	;; [unrolled: 1-line block ×29, first 2 shown]
	s_and_saveexec_b64 s[14:15], vcc
	s_cbranch_execz .LBB147_82
; %bb.53:
	v_add_u32_e32 v14, s4, v0
	v_mov_b32_e32 v15, 0
	v_lshlrev_b64 v[2:3], 2, v[14:15]
	v_mov_b32_e32 v4, s11
	v_add_co_u32_e32 v16, vcc, s10, v2
	v_addc_co_u32_e32 v17, vcc, v4, v3, vcc
	v_mov_b32_e32 v4, s13
	v_add_co_u32_e32 v18, vcc, s12, v2
	v_addc_co_u32_e32 v19, vcc, v4, v3, vcc
	global_load_dword v35, v[16:17], off offset:1024
	global_load_dword v2, v[18:19], off offset:1024
	v_or_b32_e32 v3, 0x200, v0
	v_cmp_gt_u32_e32 vcc, s33, v3
	v_mov_b32_e32 v34, v15
	v_mov_b32_e32 v32, v15
	;; [unrolled: 1-line block ×27, first 2 shown]
	s_and_saveexec_b64 s[16:17], vcc
	s_cbranch_execz .LBB147_81
; %bb.54:
	global_load_dword v34, v[16:17], off offset:2048
	global_load_dword v15, v[18:19], off offset:2048
	v_or_b32_e32 v3, 0x300, v0
	v_cmp_gt_u32_e32 vcc, s33, v3
	v_mov_b32_e32 v32, 0
	v_mov_b32_e32 v33, 0
	v_mov_b32_e32 v31, 0
	v_mov_b32_e32 v30, 0
	v_mov_b32_e32 v14, 0
	v_mov_b32_e32 v29, 0
	v_mov_b32_e32 v13, 0
	v_mov_b32_e32 v28, 0
	v_mov_b32_e32 v12, 0
	v_mov_b32_e32 v27, 0
	v_mov_b32_e32 v11, 0
	v_mov_b32_e32 v26, 0
	v_mov_b32_e32 v10, 0
	v_mov_b32_e32 v25, 0
	v_mov_b32_e32 v9, 0
	v_mov_b32_e32 v24, 0
	v_mov_b32_e32 v8, 0
	v_mov_b32_e32 v23, 0
	v_mov_b32_e32 v22, 0
	v_mov_b32_e32 v21, 0
	v_mov_b32_e32 v3, 0
	v_mov_b32_e32 v20, 0
	v_mov_b32_e32 v7, 0
	v_mov_b32_e32 v6, 0
	v_mov_b32_e32 v5, 0
	v_mov_b32_e32 v4, 0
	s_and_saveexec_b64 s[18:19], vcc
	s_cbranch_execz .LBB147_80
; %bb.55:
	global_load_dword v33, v[16:17], off offset:3072
	global_load_dword v32, v[18:19], off offset:3072
	v_or_b32_e32 v16, 0x400, v0
	v_cmp_gt_u32_e32 vcc, s33, v16
	v_mov_b32_e32 v31, 0
	v_mov_b32_e32 v30, 0
	;; [unrolled: 1-line block ×24, first 2 shown]
	s_and_saveexec_b64 s[20:21], vcc
	s_cbranch_execz .LBB147_79
; %bb.56:
	v_or_b32_e32 v13, s4, v16
	v_mov_b32_e32 v14, 0
	v_lshlrev_b64 v[3:4], 2, v[13:14]
	v_mov_b32_e32 v6, s11
	v_add_co_u32_e32 v5, vcc, s10, v3
	v_addc_co_u32_e32 v6, vcc, v6, v4, vcc
	global_load_dword v30, v[5:6], off
	v_mov_b32_e32 v5, s13
	v_add_co_u32_e32 v3, vcc, s12, v3
	v_addc_co_u32_e32 v4, vcc, v5, v4, vcc
	global_load_dword v31, v[3:4], off
	v_or_b32_e32 v16, 0x500, v0
	v_cmp_gt_u32_e32 vcc, s33, v16
	v_mov_b32_e32 v29, v14
	v_mov_b32_e32 v13, v14
	;; [unrolled: 1-line block ×21, first 2 shown]
	s_and_saveexec_b64 s[22:23], vcc
	s_cbranch_execz .LBB147_78
; %bb.57:
	v_or_b32_e32 v12, s4, v16
	v_mov_b32_e32 v13, 0
	v_lshlrev_b64 v[3:4], 2, v[12:13]
	v_mov_b32_e32 v6, s11
	v_add_co_u32_e32 v5, vcc, s10, v3
	v_addc_co_u32_e32 v6, vcc, v6, v4, vcc
	global_load_dword v29, v[5:6], off
	v_mov_b32_e32 v5, s13
	v_add_co_u32_e32 v3, vcc, s12, v3
	v_addc_co_u32_e32 v4, vcc, v5, v4, vcc
	global_load_dword v14, v[3:4], off
	v_or_b32_e32 v16, 0x600, v0
	v_cmp_gt_u32_e32 vcc, s33, v16
	v_mov_b32_e32 v28, v13
	v_mov_b32_e32 v12, v13
	;; [unrolled: 1-line block ×19, first 2 shown]
	s_and_saveexec_b64 s[24:25], vcc
	s_cbranch_execz .LBB147_77
; %bb.58:
	v_or_b32_e32 v11, s4, v16
	v_mov_b32_e32 v12, 0
	v_lshlrev_b64 v[3:4], 2, v[11:12]
	v_mov_b32_e32 v6, s11
	v_add_co_u32_e32 v5, vcc, s10, v3
	v_addc_co_u32_e32 v6, vcc, v6, v4, vcc
	global_load_dword v28, v[5:6], off
	v_mov_b32_e32 v5, s13
	v_add_co_u32_e32 v3, vcc, s12, v3
	v_addc_co_u32_e32 v4, vcc, v5, v4, vcc
	global_load_dword v13, v[3:4], off
	v_or_b32_e32 v16, 0x700, v0
	v_cmp_gt_u32_e32 vcc, s33, v16
	v_mov_b32_e32 v27, v12
	v_mov_b32_e32 v11, v12
	;; [unrolled: 1-line block ×17, first 2 shown]
	s_and_saveexec_b64 s[26:27], vcc
	s_cbranch_execz .LBB147_76
; %bb.59:
	v_or_b32_e32 v10, s4, v16
	v_mov_b32_e32 v11, 0
	v_lshlrev_b64 v[3:4], 2, v[10:11]
	v_mov_b32_e32 v6, s11
	v_add_co_u32_e32 v5, vcc, s10, v3
	v_addc_co_u32_e32 v6, vcc, v6, v4, vcc
	global_load_dword v27, v[5:6], off
	v_mov_b32_e32 v5, s13
	v_add_co_u32_e32 v3, vcc, s12, v3
	v_addc_co_u32_e32 v4, vcc, v5, v4, vcc
	global_load_dword v12, v[3:4], off
	v_or_b32_e32 v16, 0x800, v0
	v_cmp_gt_u32_e32 vcc, s33, v16
	v_mov_b32_e32 v26, v11
	v_mov_b32_e32 v10, v11
	;; [unrolled: 1-line block ×15, first 2 shown]
	s_and_saveexec_b64 s[28:29], vcc
	s_cbranch_execz .LBB147_75
; %bb.60:
	v_or_b32_e32 v9, s4, v16
	v_mov_b32_e32 v10, 0
	v_lshlrev_b64 v[3:4], 2, v[9:10]
	v_mov_b32_e32 v6, s11
	v_add_co_u32_e32 v5, vcc, s10, v3
	v_addc_co_u32_e32 v6, vcc, v6, v4, vcc
	global_load_dword v26, v[5:6], off
	v_mov_b32_e32 v5, s13
	v_add_co_u32_e32 v3, vcc, s12, v3
	v_addc_co_u32_e32 v4, vcc, v5, v4, vcc
	global_load_dword v11, v[3:4], off
	v_or_b32_e32 v16, 0x900, v0
	v_cmp_gt_u32_e32 vcc, s33, v16
	v_mov_b32_e32 v25, v10
	v_mov_b32_e32 v9, v10
	;; [unrolled: 1-line block ×13, first 2 shown]
	s_and_saveexec_b64 s[30:31], vcc
	s_cbranch_execz .LBB147_74
; %bb.61:
	v_or_b32_e32 v8, s4, v16
	v_mov_b32_e32 v9, 0
	v_lshlrev_b64 v[3:4], 2, v[8:9]
	v_mov_b32_e32 v6, s11
	v_add_co_u32_e32 v5, vcc, s10, v3
	v_addc_co_u32_e32 v6, vcc, v6, v4, vcc
	global_load_dword v25, v[5:6], off
	v_mov_b32_e32 v5, s13
	v_add_co_u32_e32 v3, vcc, s12, v3
	v_addc_co_u32_e32 v4, vcc, v5, v4, vcc
	global_load_dword v10, v[3:4], off
	v_or_b32_e32 v16, 0xa00, v0
	v_cmp_gt_u32_e32 vcc, s33, v16
	v_mov_b32_e32 v24, v9
	v_mov_b32_e32 v8, v9
	;; [unrolled: 1-line block ×11, first 2 shown]
	s_and_saveexec_b64 s[34:35], vcc
	s_cbranch_execz .LBB147_73
; %bb.62:
	v_or_b32_e32 v7, s4, v16
	v_mov_b32_e32 v8, 0
	v_lshlrev_b64 v[3:4], 2, v[7:8]
	v_mov_b32_e32 v6, s11
	v_add_co_u32_e32 v5, vcc, s10, v3
	v_addc_co_u32_e32 v6, vcc, v6, v4, vcc
	global_load_dword v24, v[5:6], off
	v_mov_b32_e32 v5, s13
	v_add_co_u32_e32 v3, vcc, s12, v3
	v_addc_co_u32_e32 v4, vcc, v5, v4, vcc
	global_load_dword v9, v[3:4], off
	v_or_b32_e32 v16, 0xb00, v0
	v_cmp_gt_u32_e32 vcc, s33, v16
	v_mov_b32_e32 v23, v8
	v_mov_b32_e32 v7, v8
	;; [unrolled: 1-line block ×9, first 2 shown]
	s_and_saveexec_b64 s[36:37], vcc
	s_cbranch_execz .LBB147_72
; %bb.63:
	v_or_b32_e32 v6, s4, v16
	v_mov_b32_e32 v7, 0
	v_lshlrev_b64 v[3:4], 2, v[6:7]
	v_mov_b32_e32 v6, s11
	v_add_co_u32_e32 v5, vcc, s10, v3
	v_addc_co_u32_e32 v6, vcc, v6, v4, vcc
	global_load_dword v23, v[5:6], off
	v_mov_b32_e32 v5, s13
	v_add_co_u32_e32 v3, vcc, s12, v3
	v_addc_co_u32_e32 v4, vcc, v5, v4, vcc
	global_load_dword v8, v[3:4], off
	v_or_b32_e32 v16, 0xc00, v0
	v_cmp_gt_u32_e32 vcc, s33, v16
	v_mov_b32_e32 v22, v7
	v_mov_b32_e32 v6, v7
	;; [unrolled: 1-line block ×7, first 2 shown]
	s_and_saveexec_b64 s[38:39], vcc
	s_cbranch_execz .LBB147_71
; %bb.64:
	v_or_b32_e32 v5, s4, v16
	v_mov_b32_e32 v6, 0
	v_lshlrev_b64 v[3:4], 2, v[5:6]
	v_mov_b32_e32 v5, s11
	v_add_co_u32_e32 v16, vcc, s10, v3
	v_addc_co_u32_e32 v17, vcc, v5, v4, vcc
	v_mov_b32_e32 v5, s13
	v_add_co_u32_e32 v3, vcc, s12, v3
	v_addc_co_u32_e32 v4, vcc, v5, v4, vcc
	global_load_dword v22, v[16:17], off
	global_load_dword v7, v[3:4], off
	v_or_b32_e32 v16, 0xd00, v0
	v_cmp_gt_u32_e32 vcc, s33, v16
	v_mov_b32_e32 v21, v6
	v_mov_b32_e32 v5, v6
	;; [unrolled: 1-line block ×5, first 2 shown]
	s_and_saveexec_b64 s[40:41], vcc
	s_cbranch_execz .LBB147_70
; %bb.65:
	v_add_u32_e32 v4, s4, v16
	v_mov_b32_e32 v5, 0
	v_lshlrev_b64 v[3:4], 2, v[4:5]
	v_mov_b32_e32 v6, s11
	v_add_co_u32_e32 v16, vcc, s10, v3
	v_addc_co_u32_e32 v17, vcc, v6, v4, vcc
	v_mov_b32_e32 v6, s13
	v_add_co_u32_e32 v3, vcc, s12, v3
	v_addc_co_u32_e32 v4, vcc, v6, v4, vcc
	global_load_dword v21, v[16:17], off
	global_load_dword v6, v[3:4], off
	v_or_b32_e32 v16, 0xe00, v0
	v_cmp_gt_u32_e32 vcc, s33, v16
	v_mov_b32_e32 v3, v5
	v_mov_b32_e32 v4, v5
	;; [unrolled: 1-line block ×3, first 2 shown]
	s_and_saveexec_b64 s[42:43], vcc
	s_cbranch_execz .LBB147_69
; %bb.66:
	v_add_u32_e32 v3, s4, v16
	v_mov_b32_e32 v4, 0
	v_lshlrev_b64 v[16:17], 2, v[3:4]
	v_mov_b32_e32 v3, s11
	v_add_co_u32_e32 v18, vcc, s10, v16
	v_addc_co_u32_e32 v19, vcc, v3, v17, vcc
	v_mov_b32_e32 v5, s13
	v_add_co_u32_e32 v16, vcc, s12, v16
	v_addc_co_u32_e32 v17, vcc, v5, v17, vcc
	global_load_dword v3, v[18:19], off
	global_load_dword v5, v[16:17], off
	v_or_b32_e32 v16, 0xf00, v0
	v_cmp_gt_u32_e32 vcc, s33, v16
	v_mov_b32_e32 v20, v4
	s_and_saveexec_b64 s[44:45], vcc
	s_cbranch_execz .LBB147_68
; %bb.67:
	v_add_u32_e32 v16, s4, v16
	v_mov_b32_e32 v17, 0
	v_lshlrev_b64 v[16:17], 2, v[16:17]
	v_mov_b32_e32 v4, s13
	v_add_co_u32_e32 v18, vcc, s12, v16
	v_addc_co_u32_e32 v19, vcc, v4, v17, vcc
	v_mov_b32_e32 v4, s11
	v_add_co_u32_e32 v16, vcc, s10, v16
	v_addc_co_u32_e32 v17, vcc, v4, v17, vcc
	global_load_dword v20, v[16:17], off
	global_load_dword v4, v[18:19], off
.LBB147_68:
	s_or_b64 exec, exec, s[44:45]
.LBB147_69:
	s_or_b64 exec, exec, s[42:43]
.LBB147_70:
	s_or_b64 exec, exec, s[40:41]
.LBB147_71:
	s_or_b64 exec, exec, s[38:39]
.LBB147_72:
	s_or_b64 exec, exec, s[36:37]
.LBB147_73:
	s_or_b64 exec, exec, s[34:35]
.LBB147_74:
	s_or_b64 exec, exec, s[30:31]
.LBB147_75:
	s_or_b64 exec, exec, s[28:29]
.LBB147_76:
	s_or_b64 exec, exec, s[26:27]
.LBB147_77:
	s_or_b64 exec, exec, s[24:25]
.LBB147_78:
	s_or_b64 exec, exec, s[22:23]
.LBB147_79:
	s_or_b64 exec, exec, s[20:21]
.LBB147_80:
	s_or_b64 exec, exec, s[18:19]
.LBB147_81:
	s_or_b64 exec, exec, s[16:17]
.LBB147_82:
	s_or_b64 exec, exec, s[14:15]
.LBB147_83:
	s_or_b64 exec, exec, s[6:7]
	s_cmp_lg_u32 s3, 0
	s_cselect_b64 s[2:3], -1, 0
                                        ; implicit-def: $vgpr16
	s_and_saveexec_b64 s[6:7], s[0:1]
	s_cbranch_execz .LBB147_88
; %bb.84:
	s_and_b64 vcc, exec, s[2:3]
	s_cbranch_vccz .LBB147_212
; %bb.85:
	s_waitcnt vmcnt(0)
	v_cmp_neq_f16_e32 vcc, v36, v37
	v_cmp_neq_f16_sdwa s[10:11], v36, v37 src0_sel:WORD_1 src1_sel:WORD_1
	s_or_b64 s[10:11], vcc, s[10:11]
	s_cbranch_execnz .LBB147_87
.LBB147_86:
	s_waitcnt vmcnt(0)
	v_cmp_eq_f16_e32 vcc, v36, v37
	v_cmp_eq_f16_sdwa s[12:13], v36, v37 src0_sel:WORD_1 src1_sel:WORD_1
	s_and_b64 s[12:13], vcc, s[12:13]
	s_andn2_b64 s[10:11], s[10:11], exec
	s_and_b64 s[12:13], s[12:13], exec
	s_or_b64 s[10:11], s[10:11], s[12:13]
.LBB147_87:
	v_cndmask_b32_e64 v16, 0, 1, s[10:11]
.LBB147_88:
	s_or_b64 exec, exec, s[6:7]
	v_or_b32_e32 v17, 0x100, v0
	v_cndmask_b32_e64 v18, 0, 1, s[2:3]
	v_cmp_gt_i32_e32 vcc, s33, v17
	v_cmp_ne_u32_e64 s[2:3], 1, v18
                                        ; implicit-def: $vgpr18
	s_and_saveexec_b64 s[6:7], vcc
	s_cbranch_execz .LBB147_93
; %bb.89:
	s_and_b64 vcc, exec, s[2:3]
	s_cbranch_vccnz .LBB147_213
; %bb.90:
	s_waitcnt vmcnt(0)
	v_cmp_neq_f16_e32 vcc, v35, v2
	v_cmp_neq_f16_sdwa s[10:11], v35, v2 src0_sel:WORD_1 src1_sel:WORD_1
	s_or_b64 s[10:11], vcc, s[10:11]
	s_cbranch_execnz .LBB147_92
.LBB147_91:
	s_waitcnt vmcnt(0)
	v_cmp_eq_f16_e32 vcc, v35, v2
	v_cmp_eq_f16_sdwa s[12:13], v35, v2 src0_sel:WORD_1 src1_sel:WORD_1
	s_and_b64 s[12:13], vcc, s[12:13]
	s_andn2_b64 s[10:11], s[10:11], exec
	s_and_b64 s[12:13], s[12:13], exec
	s_or_b64 s[10:11], s[10:11], s[12:13]
.LBB147_92:
	v_cndmask_b32_e64 v18, 0, 1, s[10:11]
.LBB147_93:
	s_or_b64 exec, exec, s[6:7]
	s_waitcnt vmcnt(0)
	v_or_b32_e32 v2, 0x200, v0
	v_cmp_gt_i32_e32 vcc, s33, v2
                                        ; implicit-def: $vgpr2
	s_and_saveexec_b64 s[6:7], vcc
	s_cbranch_execz .LBB147_98
; %bb.94:
	s_and_b64 vcc, exec, s[2:3]
	s_cbranch_vccnz .LBB147_214
; %bb.95:
	v_cmp_neq_f16_e32 vcc, v34, v15
	v_cmp_neq_f16_sdwa s[10:11], v34, v15 src0_sel:WORD_1 src1_sel:WORD_1
	s_or_b64 s[10:11], vcc, s[10:11]
	s_cbranch_execnz .LBB147_97
.LBB147_96:
	v_cmp_eq_f16_e32 vcc, v34, v15
	v_cmp_eq_f16_sdwa s[12:13], v34, v15 src0_sel:WORD_1 src1_sel:WORD_1
	s_and_b64 s[12:13], vcc, s[12:13]
	s_andn2_b64 s[10:11], s[10:11], exec
	s_and_b64 s[12:13], s[12:13], exec
	s_or_b64 s[10:11], s[10:11], s[12:13]
.LBB147_97:
	v_cndmask_b32_e64 v2, 0, 1, s[10:11]
.LBB147_98:
	s_or_b64 exec, exec, s[6:7]
	v_or_b32_e32 v15, 0x300, v0
	v_cmp_gt_i32_e32 vcc, s33, v15
                                        ; implicit-def: $vgpr15
	s_and_saveexec_b64 s[6:7], vcc
	s_cbranch_execz .LBB147_103
; %bb.99:
	s_and_b64 vcc, exec, s[2:3]
	s_cbranch_vccnz .LBB147_215
; %bb.100:
	v_cmp_neq_f16_e32 vcc, v33, v32
	v_cmp_neq_f16_sdwa s[10:11], v33, v32 src0_sel:WORD_1 src1_sel:WORD_1
	s_or_b64 s[10:11], vcc, s[10:11]
	s_cbranch_execnz .LBB147_102
.LBB147_101:
	v_cmp_eq_f16_e32 vcc, v33, v32
	v_cmp_eq_f16_sdwa s[12:13], v33, v32 src0_sel:WORD_1 src1_sel:WORD_1
	s_and_b64 s[12:13], vcc, s[12:13]
	s_andn2_b64 s[10:11], s[10:11], exec
	s_and_b64 s[12:13], s[12:13], exec
	s_or_b64 s[10:11], s[10:11], s[12:13]
.LBB147_102:
	v_cndmask_b32_e64 v15, 0, 1, s[10:11]
.LBB147_103:
	s_or_b64 exec, exec, s[6:7]
	v_or_b32_e32 v19, 0x400, v0
	v_cmp_gt_i32_e32 vcc, s33, v19
                                        ; implicit-def: $vgpr19
	s_and_saveexec_b64 s[6:7], vcc
	s_cbranch_execz .LBB147_108
; %bb.104:
	s_and_b64 vcc, exec, s[2:3]
	s_cbranch_vccnz .LBB147_216
; %bb.105:
	v_cmp_neq_f16_e32 vcc, v30, v31
	v_cmp_neq_f16_sdwa s[10:11], v30, v31 src0_sel:WORD_1 src1_sel:WORD_1
	s_or_b64 s[10:11], vcc, s[10:11]
	s_cbranch_execnz .LBB147_107
.LBB147_106:
	v_cmp_eq_f16_e32 vcc, v30, v31
	v_cmp_eq_f16_sdwa s[12:13], v30, v31 src0_sel:WORD_1 src1_sel:WORD_1
	s_and_b64 s[12:13], vcc, s[12:13]
	s_andn2_b64 s[10:11], s[10:11], exec
	s_and_b64 s[12:13], s[12:13], exec
	s_or_b64 s[10:11], s[10:11], s[12:13]
.LBB147_107:
	v_cndmask_b32_e64 v19, 0, 1, s[10:11]
.LBB147_108:
	s_or_b64 exec, exec, s[6:7]
	v_or_b32_e32 v30, 0x500, v0
	v_cmp_gt_i32_e32 vcc, s33, v30
                                        ; implicit-def: $vgpr30
	s_and_saveexec_b64 s[6:7], vcc
	s_cbranch_execz .LBB147_113
; %bb.109:
	s_and_b64 vcc, exec, s[2:3]
	s_cbranch_vccnz .LBB147_217
; %bb.110:
	v_cmp_neq_f16_e32 vcc, v29, v14
	v_cmp_neq_f16_sdwa s[10:11], v29, v14 src0_sel:WORD_1 src1_sel:WORD_1
	s_or_b64 s[10:11], vcc, s[10:11]
	s_cbranch_execnz .LBB147_112
.LBB147_111:
	v_cmp_eq_f16_e32 vcc, v29, v14
	v_cmp_eq_f16_sdwa s[12:13], v29, v14 src0_sel:WORD_1 src1_sel:WORD_1
	s_and_b64 s[12:13], vcc, s[12:13]
	s_andn2_b64 s[10:11], s[10:11], exec
	s_and_b64 s[12:13], s[12:13], exec
	s_or_b64 s[10:11], s[10:11], s[12:13]
.LBB147_112:
	v_cndmask_b32_e64 v30, 0, 1, s[10:11]
.LBB147_113:
	s_or_b64 exec, exec, s[6:7]
	v_or_b32_e32 v14, 0x600, v0
	v_cmp_gt_i32_e32 vcc, s33, v14
                                        ; implicit-def: $vgpr14
	s_and_saveexec_b64 s[6:7], vcc
	s_cbranch_execz .LBB147_118
; %bb.114:
	s_and_b64 vcc, exec, s[2:3]
	s_cbranch_vccnz .LBB147_218
; %bb.115:
	v_cmp_neq_f16_e32 vcc, v28, v13
	v_cmp_neq_f16_sdwa s[10:11], v28, v13 src0_sel:WORD_1 src1_sel:WORD_1
	s_or_b64 s[10:11], vcc, s[10:11]
	s_cbranch_execnz .LBB147_117
.LBB147_116:
	v_cmp_eq_f16_e32 vcc, v28, v13
	v_cmp_eq_f16_sdwa s[12:13], v28, v13 src0_sel:WORD_1 src1_sel:WORD_1
	s_and_b64 s[12:13], vcc, s[12:13]
	s_andn2_b64 s[10:11], s[10:11], exec
	s_and_b64 s[12:13], s[12:13], exec
	s_or_b64 s[10:11], s[10:11], s[12:13]
.LBB147_117:
	v_cndmask_b32_e64 v14, 0, 1, s[10:11]
.LBB147_118:
	s_or_b64 exec, exec, s[6:7]
	v_or_b32_e32 v13, 0x700, v0
	v_cmp_gt_i32_e32 vcc, s33, v13
                                        ; implicit-def: $vgpr13
	s_and_saveexec_b64 s[6:7], vcc
	s_cbranch_execz .LBB147_123
; %bb.119:
	s_and_b64 vcc, exec, s[2:3]
	s_cbranch_vccnz .LBB147_219
; %bb.120:
	v_cmp_neq_f16_e32 vcc, v27, v12
	v_cmp_neq_f16_sdwa s[10:11], v27, v12 src0_sel:WORD_1 src1_sel:WORD_1
	s_or_b64 s[10:11], vcc, s[10:11]
	s_cbranch_execnz .LBB147_122
.LBB147_121:
	v_cmp_eq_f16_e32 vcc, v27, v12
	v_cmp_eq_f16_sdwa s[12:13], v27, v12 src0_sel:WORD_1 src1_sel:WORD_1
	s_and_b64 s[12:13], vcc, s[12:13]
	s_andn2_b64 s[10:11], s[10:11], exec
	s_and_b64 s[12:13], s[12:13], exec
	s_or_b64 s[10:11], s[10:11], s[12:13]
.LBB147_122:
	v_cndmask_b32_e64 v13, 0, 1, s[10:11]
.LBB147_123:
	s_or_b64 exec, exec, s[6:7]
	v_or_b32_e32 v12, 0x800, v0
	v_cmp_gt_i32_e32 vcc, s33, v12
                                        ; implicit-def: $vgpr12
	s_and_saveexec_b64 s[6:7], vcc
	s_cbranch_execz .LBB147_128
; %bb.124:
	s_and_b64 vcc, exec, s[2:3]
	s_cbranch_vccnz .LBB147_220
; %bb.125:
	v_cmp_neq_f16_e32 vcc, v26, v11
	v_cmp_neq_f16_sdwa s[10:11], v26, v11 src0_sel:WORD_1 src1_sel:WORD_1
	s_or_b64 s[10:11], vcc, s[10:11]
	s_cbranch_execnz .LBB147_127
.LBB147_126:
	v_cmp_eq_f16_e32 vcc, v26, v11
	v_cmp_eq_f16_sdwa s[12:13], v26, v11 src0_sel:WORD_1 src1_sel:WORD_1
	s_and_b64 s[12:13], vcc, s[12:13]
	s_andn2_b64 s[10:11], s[10:11], exec
	s_and_b64 s[12:13], s[12:13], exec
	s_or_b64 s[10:11], s[10:11], s[12:13]
.LBB147_127:
	v_cndmask_b32_e64 v12, 0, 1, s[10:11]
.LBB147_128:
	s_or_b64 exec, exec, s[6:7]
	v_or_b32_e32 v11, 0x900, v0
	v_cmp_gt_i32_e32 vcc, s33, v11
                                        ; implicit-def: $vgpr11
	s_and_saveexec_b64 s[6:7], vcc
	s_cbranch_execz .LBB147_133
; %bb.129:
	s_and_b64 vcc, exec, s[2:3]
	s_cbranch_vccnz .LBB147_221
; %bb.130:
	v_cmp_neq_f16_e32 vcc, v25, v10
	v_cmp_neq_f16_sdwa s[10:11], v25, v10 src0_sel:WORD_1 src1_sel:WORD_1
	s_or_b64 s[10:11], vcc, s[10:11]
	s_cbranch_execnz .LBB147_132
.LBB147_131:
	v_cmp_eq_f16_e32 vcc, v25, v10
	v_cmp_eq_f16_sdwa s[12:13], v25, v10 src0_sel:WORD_1 src1_sel:WORD_1
	s_and_b64 s[12:13], vcc, s[12:13]
	s_andn2_b64 s[10:11], s[10:11], exec
	s_and_b64 s[12:13], s[12:13], exec
	s_or_b64 s[10:11], s[10:11], s[12:13]
.LBB147_132:
	v_cndmask_b32_e64 v11, 0, 1, s[10:11]
.LBB147_133:
	s_or_b64 exec, exec, s[6:7]
	v_or_b32_e32 v10, 0xa00, v0
	v_cmp_gt_i32_e32 vcc, s33, v10
                                        ; implicit-def: $vgpr10
	s_and_saveexec_b64 s[6:7], vcc
	s_cbranch_execz .LBB147_138
; %bb.134:
	s_and_b64 vcc, exec, s[2:3]
	s_cbranch_vccnz .LBB147_222
; %bb.135:
	v_cmp_neq_f16_e32 vcc, v24, v9
	v_cmp_neq_f16_sdwa s[10:11], v24, v9 src0_sel:WORD_1 src1_sel:WORD_1
	s_or_b64 s[10:11], vcc, s[10:11]
	s_cbranch_execnz .LBB147_137
.LBB147_136:
	v_cmp_eq_f16_e32 vcc, v24, v9
	v_cmp_eq_f16_sdwa s[12:13], v24, v9 src0_sel:WORD_1 src1_sel:WORD_1
	s_and_b64 s[12:13], vcc, s[12:13]
	s_andn2_b64 s[10:11], s[10:11], exec
	s_and_b64 s[12:13], s[12:13], exec
	s_or_b64 s[10:11], s[10:11], s[12:13]
.LBB147_137:
	v_cndmask_b32_e64 v10, 0, 1, s[10:11]
.LBB147_138:
	s_or_b64 exec, exec, s[6:7]
	v_or_b32_e32 v9, 0xb00, v0
	v_cmp_gt_i32_e32 vcc, s33, v9
                                        ; implicit-def: $vgpr9
	s_and_saveexec_b64 s[6:7], vcc
	s_cbranch_execz .LBB147_143
; %bb.139:
	s_and_b64 vcc, exec, s[2:3]
	s_cbranch_vccnz .LBB147_223
; %bb.140:
	v_cmp_neq_f16_e32 vcc, v23, v8
	v_cmp_neq_f16_sdwa s[10:11], v23, v8 src0_sel:WORD_1 src1_sel:WORD_1
	s_or_b64 s[10:11], vcc, s[10:11]
	s_cbranch_execnz .LBB147_142
.LBB147_141:
	v_cmp_eq_f16_e32 vcc, v23, v8
	v_cmp_eq_f16_sdwa s[12:13], v23, v8 src0_sel:WORD_1 src1_sel:WORD_1
	s_and_b64 s[12:13], vcc, s[12:13]
	s_andn2_b64 s[10:11], s[10:11], exec
	s_and_b64 s[12:13], s[12:13], exec
	s_or_b64 s[10:11], s[10:11], s[12:13]
.LBB147_142:
	v_cndmask_b32_e64 v9, 0, 1, s[10:11]
.LBB147_143:
	s_or_b64 exec, exec, s[6:7]
	v_or_b32_e32 v8, 0xc00, v0
	v_cmp_gt_i32_e32 vcc, s33, v8
                                        ; implicit-def: $vgpr8
	s_and_saveexec_b64 s[6:7], vcc
	s_cbranch_execz .LBB147_148
; %bb.144:
	s_and_b64 vcc, exec, s[2:3]
	s_cbranch_vccnz .LBB147_224
; %bb.145:
	v_cmp_neq_f16_e32 vcc, v22, v7
	v_cmp_neq_f16_sdwa s[10:11], v22, v7 src0_sel:WORD_1 src1_sel:WORD_1
	s_or_b64 s[10:11], vcc, s[10:11]
	s_cbranch_execnz .LBB147_147
.LBB147_146:
	v_cmp_eq_f16_e32 vcc, v22, v7
	v_cmp_eq_f16_sdwa s[12:13], v22, v7 src0_sel:WORD_1 src1_sel:WORD_1
	s_and_b64 s[12:13], vcc, s[12:13]
	s_andn2_b64 s[10:11], s[10:11], exec
	s_and_b64 s[12:13], s[12:13], exec
	s_or_b64 s[10:11], s[10:11], s[12:13]
.LBB147_147:
	v_cndmask_b32_e64 v8, 0, 1, s[10:11]
.LBB147_148:
	s_or_b64 exec, exec, s[6:7]
	v_or_b32_e32 v7, 0xd00, v0
	v_cmp_gt_i32_e32 vcc, s33, v7
                                        ; implicit-def: $vgpr7
	s_and_saveexec_b64 s[6:7], vcc
	s_cbranch_execz .LBB147_153
; %bb.149:
	s_and_b64 vcc, exec, s[2:3]
	s_cbranch_vccnz .LBB147_225
; %bb.150:
	v_cmp_neq_f16_e32 vcc, v21, v6
	v_cmp_neq_f16_sdwa s[10:11], v21, v6 src0_sel:WORD_1 src1_sel:WORD_1
	s_or_b64 s[10:11], vcc, s[10:11]
	s_cbranch_execnz .LBB147_152
.LBB147_151:
	v_cmp_eq_f16_e32 vcc, v21, v6
	v_cmp_eq_f16_sdwa s[12:13], v21, v6 src0_sel:WORD_1 src1_sel:WORD_1
	s_and_b64 s[12:13], vcc, s[12:13]
	s_andn2_b64 s[10:11], s[10:11], exec
	s_and_b64 s[12:13], s[12:13], exec
	s_or_b64 s[10:11], s[10:11], s[12:13]
.LBB147_152:
	v_cndmask_b32_e64 v7, 0, 1, s[10:11]
.LBB147_153:
	s_or_b64 exec, exec, s[6:7]
	v_or_b32_e32 v6, 0xe00, v0
	v_cmp_gt_i32_e32 vcc, s33, v6
                                        ; implicit-def: $vgpr6
	s_and_saveexec_b64 s[6:7], vcc
	s_cbranch_execz .LBB147_158
; %bb.154:
	s_and_b64 vcc, exec, s[2:3]
	s_cbranch_vccnz .LBB147_226
; %bb.155:
	v_cmp_neq_f16_e32 vcc, v3, v5
	v_cmp_neq_f16_sdwa s[10:11], v3, v5 src0_sel:WORD_1 src1_sel:WORD_1
	s_or_b64 s[10:11], vcc, s[10:11]
	s_cbranch_execnz .LBB147_157
.LBB147_156:
	v_cmp_eq_f16_e32 vcc, v3, v5
	v_cmp_eq_f16_sdwa s[12:13], v3, v5 src0_sel:WORD_1 src1_sel:WORD_1
	s_and_b64 s[12:13], vcc, s[12:13]
	s_andn2_b64 s[10:11], s[10:11], exec
	s_and_b64 s[12:13], s[12:13], exec
	s_or_b64 s[10:11], s[10:11], s[12:13]
.LBB147_157:
	v_cndmask_b32_e64 v6, 0, 1, s[10:11]
.LBB147_158:
	s_or_b64 exec, exec, s[6:7]
	v_or_b32_e32 v3, 0xf00, v0
	v_cmp_gt_i32_e32 vcc, s33, v3
                                        ; implicit-def: $vgpr3
	s_and_saveexec_b64 s[6:7], vcc
	s_cbranch_execz .LBB147_163
; %bb.159:
	s_and_b64 vcc, exec, s[2:3]
	s_cbranch_vccnz .LBB147_227
; %bb.160:
	v_cmp_neq_f16_e32 vcc, v20, v4
	v_cmp_neq_f16_sdwa s[2:3], v20, v4 src0_sel:WORD_1 src1_sel:WORD_1
	s_or_b64 s[2:3], vcc, s[2:3]
	s_cbranch_execnz .LBB147_162
.LBB147_161:
	v_cmp_eq_f16_e32 vcc, v20, v4
	v_cmp_eq_f16_sdwa s[10:11], v20, v4 src0_sel:WORD_1 src1_sel:WORD_1
	s_and_b64 s[10:11], vcc, s[10:11]
	s_andn2_b64 s[2:3], s[2:3], exec
	s_and_b64 s[10:11], s[10:11], exec
	s_or_b64 s[2:3], s[2:3], s[10:11]
.LBB147_162:
	v_cndmask_b32_e64 v3, 0, 1, s[2:3]
.LBB147_163:
	s_or_b64 exec, exec, s[6:7]
	s_and_saveexec_b64 s[2:3], s[0:1]
	s_xor_b64 s[0:1], exec, s[2:3]
	s_cbranch_execz .LBB147_165
; %bb.164:
	v_mov_b32_e32 v0, v17
	global_store_byte v1, v16, s[8:9]
.LBB147_165:
	s_or_b64 exec, exec, s[0:1]
	v_cmp_gt_i32_e32 vcc, s33, v0
	s_and_saveexec_b64 s[0:1], vcc
	s_cbranch_execnz .LBB147_181
; %bb.166:
	s_or_b64 exec, exec, s[0:1]
	v_cmp_gt_i32_e32 vcc, s33, v0
	s_and_saveexec_b64 s[0:1], vcc
	s_cbranch_execnz .LBB147_182
.LBB147_167:
	s_or_b64 exec, exec, s[0:1]
	v_cmp_gt_i32_e32 vcc, s33, v0
	s_and_saveexec_b64 s[0:1], vcc
	s_cbranch_execnz .LBB147_183
.LBB147_168:
	s_or_b64 exec, exec, s[0:1]
	v_cmp_gt_i32_e32 vcc, s33, v0
	s_and_saveexec_b64 s[0:1], vcc
	s_cbranch_execnz .LBB147_184
.LBB147_169:
	s_or_b64 exec, exec, s[0:1]
	v_cmp_gt_i32_e32 vcc, s33, v0
	s_and_saveexec_b64 s[0:1], vcc
	s_cbranch_execnz .LBB147_185
.LBB147_170:
	s_or_b64 exec, exec, s[0:1]
	v_cmp_gt_i32_e32 vcc, s33, v0
	s_and_saveexec_b64 s[0:1], vcc
	s_cbranch_execnz .LBB147_186
.LBB147_171:
	s_or_b64 exec, exec, s[0:1]
	v_cmp_gt_i32_e32 vcc, s33, v0
	s_and_saveexec_b64 s[0:1], vcc
	s_cbranch_execnz .LBB147_187
.LBB147_172:
	s_or_b64 exec, exec, s[0:1]
	v_cmp_gt_i32_e32 vcc, s33, v0
	s_and_saveexec_b64 s[0:1], vcc
	s_cbranch_execnz .LBB147_188
.LBB147_173:
	s_or_b64 exec, exec, s[0:1]
	v_cmp_gt_i32_e32 vcc, s33, v0
	s_and_saveexec_b64 s[0:1], vcc
	s_cbranch_execnz .LBB147_189
.LBB147_174:
	s_or_b64 exec, exec, s[0:1]
	v_cmp_gt_i32_e32 vcc, s33, v0
	s_and_saveexec_b64 s[0:1], vcc
	s_cbranch_execnz .LBB147_190
.LBB147_175:
	s_or_b64 exec, exec, s[0:1]
	v_cmp_gt_i32_e32 vcc, s33, v0
	s_and_saveexec_b64 s[0:1], vcc
	s_cbranch_execnz .LBB147_191
.LBB147_176:
	s_or_b64 exec, exec, s[0:1]
	v_cmp_gt_i32_e32 vcc, s33, v0
	s_and_saveexec_b64 s[0:1], vcc
	s_cbranch_execnz .LBB147_192
.LBB147_177:
	s_or_b64 exec, exec, s[0:1]
	v_cmp_gt_i32_e32 vcc, s33, v0
	s_and_saveexec_b64 s[0:1], vcc
	s_cbranch_execnz .LBB147_193
.LBB147_178:
	s_or_b64 exec, exec, s[0:1]
	v_cmp_gt_i32_e32 vcc, s33, v0
	s_and_saveexec_b64 s[0:1], vcc
	s_cbranch_execnz .LBB147_194
.LBB147_179:
	s_or_b64 exec, exec, s[0:1]
	v_cmp_gt_i32_e32 vcc, s33, v0
	s_and_saveexec_b64 s[0:1], vcc
	s_cbranch_execz .LBB147_195
.LBB147_180:
	v_add_u32_e32 v0, s4, v0
	global_store_byte v0, v3, s[8:9]
	s_endpgm
.LBB147_181:
	v_add_u32_e32 v1, s4, v0
	v_add_u32_e32 v0, 0x100, v0
	global_store_byte v1, v18, s[8:9]
	s_or_b64 exec, exec, s[0:1]
	v_cmp_gt_i32_e32 vcc, s33, v0
	s_and_saveexec_b64 s[0:1], vcc
	s_cbranch_execz .LBB147_167
.LBB147_182:
	v_add_u32_e32 v1, s4, v0
	v_add_u32_e32 v0, 0x100, v0
	global_store_byte v1, v2, s[8:9]
	s_or_b64 exec, exec, s[0:1]
	v_cmp_gt_i32_e32 vcc, s33, v0
	s_and_saveexec_b64 s[0:1], vcc
	s_cbranch_execz .LBB147_168
.LBB147_183:
	v_add_u32_e32 v1, s4, v0
	v_add_u32_e32 v0, 0x100, v0
	global_store_byte v1, v15, s[8:9]
	s_or_b64 exec, exec, s[0:1]
	v_cmp_gt_i32_e32 vcc, s33, v0
	s_and_saveexec_b64 s[0:1], vcc
	s_cbranch_execz .LBB147_169
.LBB147_184:
	v_add_u32_e32 v1, s4, v0
	v_add_u32_e32 v0, 0x100, v0
	global_store_byte v1, v19, s[8:9]
	s_or_b64 exec, exec, s[0:1]
	v_cmp_gt_i32_e32 vcc, s33, v0
	s_and_saveexec_b64 s[0:1], vcc
	s_cbranch_execz .LBB147_170
.LBB147_185:
	v_add_u32_e32 v1, s4, v0
	v_add_u32_e32 v0, 0x100, v0
	global_store_byte v1, v30, s[8:9]
	s_or_b64 exec, exec, s[0:1]
	v_cmp_gt_i32_e32 vcc, s33, v0
	s_and_saveexec_b64 s[0:1], vcc
	s_cbranch_execz .LBB147_171
.LBB147_186:
	v_add_u32_e32 v1, s4, v0
	v_add_u32_e32 v0, 0x100, v0
	global_store_byte v1, v14, s[8:9]
	s_or_b64 exec, exec, s[0:1]
	v_cmp_gt_i32_e32 vcc, s33, v0
	s_and_saveexec_b64 s[0:1], vcc
	s_cbranch_execz .LBB147_172
.LBB147_187:
	v_add_u32_e32 v1, s4, v0
	v_add_u32_e32 v0, 0x100, v0
	global_store_byte v1, v13, s[8:9]
	s_or_b64 exec, exec, s[0:1]
	v_cmp_gt_i32_e32 vcc, s33, v0
	s_and_saveexec_b64 s[0:1], vcc
	s_cbranch_execz .LBB147_173
.LBB147_188:
	v_add_u32_e32 v1, s4, v0
	v_add_u32_e32 v0, 0x100, v0
	global_store_byte v1, v12, s[8:9]
	s_or_b64 exec, exec, s[0:1]
	v_cmp_gt_i32_e32 vcc, s33, v0
	s_and_saveexec_b64 s[0:1], vcc
	s_cbranch_execz .LBB147_174
.LBB147_189:
	v_add_u32_e32 v1, s4, v0
	v_add_u32_e32 v0, 0x100, v0
	global_store_byte v1, v11, s[8:9]
	s_or_b64 exec, exec, s[0:1]
	v_cmp_gt_i32_e32 vcc, s33, v0
	s_and_saveexec_b64 s[0:1], vcc
	s_cbranch_execz .LBB147_175
.LBB147_190:
	v_add_u32_e32 v1, s4, v0
	v_add_u32_e32 v0, 0x100, v0
	global_store_byte v1, v10, s[8:9]
	s_or_b64 exec, exec, s[0:1]
	v_cmp_gt_i32_e32 vcc, s33, v0
	s_and_saveexec_b64 s[0:1], vcc
	s_cbranch_execz .LBB147_176
.LBB147_191:
	v_add_u32_e32 v1, s4, v0
	v_add_u32_e32 v0, 0x100, v0
	global_store_byte v1, v9, s[8:9]
	s_or_b64 exec, exec, s[0:1]
	v_cmp_gt_i32_e32 vcc, s33, v0
	s_and_saveexec_b64 s[0:1], vcc
	s_cbranch_execz .LBB147_177
.LBB147_192:
	v_add_u32_e32 v1, s4, v0
	v_add_u32_e32 v0, 0x100, v0
	global_store_byte v1, v8, s[8:9]
	s_or_b64 exec, exec, s[0:1]
	v_cmp_gt_i32_e32 vcc, s33, v0
	s_and_saveexec_b64 s[0:1], vcc
	s_cbranch_execz .LBB147_178
.LBB147_193:
	v_add_u32_e32 v1, s4, v0
	v_add_u32_e32 v0, 0x100, v0
	global_store_byte v1, v7, s[8:9]
	s_or_b64 exec, exec, s[0:1]
	v_cmp_gt_i32_e32 vcc, s33, v0
	s_and_saveexec_b64 s[0:1], vcc
	s_cbranch_execz .LBB147_179
.LBB147_194:
	v_add_u32_e32 v1, s4, v0
	v_add_u32_e32 v0, 0x100, v0
	global_store_byte v1, v6, s[8:9]
	s_or_b64 exec, exec, s[0:1]
	v_cmp_gt_i32_e32 vcc, s33, v0
	s_and_saveexec_b64 s[0:1], vcc
	s_cbranch_execnz .LBB147_180
.LBB147_195:
	s_endpgm
.LBB147_196:
                                        ; implicit-def: $sgpr6_sgpr7
	s_branch .LBB147_3
.LBB147_197:
                                        ; implicit-def: $sgpr14_sgpr15
	s_branch .LBB147_6
.LBB147_198:
                                        ; implicit-def: $sgpr16_sgpr17
	s_branch .LBB147_9
.LBB147_199:
                                        ; implicit-def: $sgpr18_sgpr19
	s_branch .LBB147_12
.LBB147_200:
                                        ; implicit-def: $sgpr20_sgpr21
	s_branch .LBB147_15
.LBB147_201:
                                        ; implicit-def: $sgpr22_sgpr23
	s_branch .LBB147_18
.LBB147_202:
                                        ; implicit-def: $sgpr24_sgpr25
	s_branch .LBB147_21
.LBB147_203:
                                        ; implicit-def: $sgpr26_sgpr27
	s_branch .LBB147_24
.LBB147_204:
                                        ; implicit-def: $sgpr28_sgpr29
	s_branch .LBB147_27
.LBB147_205:
                                        ; implicit-def: $sgpr30_sgpr31
	s_branch .LBB147_30
.LBB147_206:
                                        ; implicit-def: $sgpr34_sgpr35
	s_branch .LBB147_33
.LBB147_207:
                                        ; implicit-def: $sgpr36_sgpr37
	s_branch .LBB147_36
.LBB147_208:
                                        ; implicit-def: $sgpr38_sgpr39
	s_branch .LBB147_39
.LBB147_209:
                                        ; implicit-def: $sgpr40_sgpr41
	s_branch .LBB147_42
.LBB147_210:
                                        ; implicit-def: $sgpr42_sgpr43
	s_branch .LBB147_45
.LBB147_211:
                                        ; implicit-def: $sgpr0_sgpr1
	s_branch .LBB147_48
.LBB147_212:
                                        ; implicit-def: $sgpr10_sgpr11
	s_branch .LBB147_86
.LBB147_213:
                                        ; implicit-def: $sgpr10_sgpr11
	s_branch .LBB147_91
.LBB147_214:
                                        ; implicit-def: $sgpr10_sgpr11
	s_branch .LBB147_96
.LBB147_215:
                                        ; implicit-def: $sgpr10_sgpr11
	s_branch .LBB147_101
.LBB147_216:
                                        ; implicit-def: $sgpr10_sgpr11
	s_branch .LBB147_106
.LBB147_217:
                                        ; implicit-def: $sgpr10_sgpr11
	s_branch .LBB147_111
.LBB147_218:
                                        ; implicit-def: $sgpr10_sgpr11
	s_branch .LBB147_116
.LBB147_219:
                                        ; implicit-def: $sgpr10_sgpr11
	s_branch .LBB147_121
.LBB147_220:
                                        ; implicit-def: $sgpr10_sgpr11
	s_branch .LBB147_126
.LBB147_221:
                                        ; implicit-def: $sgpr10_sgpr11
	s_branch .LBB147_131
.LBB147_222:
                                        ; implicit-def: $sgpr10_sgpr11
	s_branch .LBB147_136
.LBB147_223:
                                        ; implicit-def: $sgpr10_sgpr11
	s_branch .LBB147_141
.LBB147_224:
                                        ; implicit-def: $sgpr10_sgpr11
	s_branch .LBB147_146
.LBB147_225:
                                        ; implicit-def: $sgpr10_sgpr11
	s_branch .LBB147_151
.LBB147_226:
                                        ; implicit-def: $sgpr10_sgpr11
	s_branch .LBB147_156
.LBB147_227:
                                        ; implicit-def: $sgpr2_sgpr3
	s_branch .LBB147_161
	.section	.rodata,"a",@progbits
	.p2align	6, 0x0
	.amdhsa_kernel _ZN2at6native29vectorized_elementwise_kernelILi2ENS0_13BinaryFunctorIN3c107complexINS3_4HalfEEES6_bNS0_12_GLOBAL__N_116CompareEqFunctorIS6_EEEESt5arrayIPcLm3EEEEviT0_T1_
		.amdhsa_group_segment_fixed_size 0
		.amdhsa_private_segment_fixed_size 0
		.amdhsa_kernarg_size 32
		.amdhsa_user_sgpr_count 6
		.amdhsa_user_sgpr_private_segment_buffer 1
		.amdhsa_user_sgpr_dispatch_ptr 0
		.amdhsa_user_sgpr_queue_ptr 0
		.amdhsa_user_sgpr_kernarg_segment_ptr 1
		.amdhsa_user_sgpr_dispatch_id 0
		.amdhsa_user_sgpr_flat_scratch_init 0
		.amdhsa_user_sgpr_private_segment_size 0
		.amdhsa_uses_dynamic_stack 0
		.amdhsa_system_sgpr_private_segment_wavefront_offset 0
		.amdhsa_system_sgpr_workgroup_id_x 1
		.amdhsa_system_sgpr_workgroup_id_y 0
		.amdhsa_system_sgpr_workgroup_id_z 0
		.amdhsa_system_sgpr_workgroup_info 0
		.amdhsa_system_vgpr_workitem_id 0
		.amdhsa_next_free_vgpr 39
		.amdhsa_next_free_sgpr 46
		.amdhsa_reserve_vcc 1
		.amdhsa_reserve_flat_scratch 0
		.amdhsa_float_round_mode_32 0
		.amdhsa_float_round_mode_16_64 0
		.amdhsa_float_denorm_mode_32 3
		.amdhsa_float_denorm_mode_16_64 3
		.amdhsa_dx10_clamp 1
		.amdhsa_ieee_mode 1
		.amdhsa_fp16_overflow 0
		.amdhsa_exception_fp_ieee_invalid_op 0
		.amdhsa_exception_fp_denorm_src 0
		.amdhsa_exception_fp_ieee_div_zero 0
		.amdhsa_exception_fp_ieee_overflow 0
		.amdhsa_exception_fp_ieee_underflow 0
		.amdhsa_exception_fp_ieee_inexact 0
		.amdhsa_exception_int_div_zero 0
	.end_amdhsa_kernel
	.section	.text._ZN2at6native29vectorized_elementwise_kernelILi2ENS0_13BinaryFunctorIN3c107complexINS3_4HalfEEES6_bNS0_12_GLOBAL__N_116CompareEqFunctorIS6_EEEESt5arrayIPcLm3EEEEviT0_T1_,"axG",@progbits,_ZN2at6native29vectorized_elementwise_kernelILi2ENS0_13BinaryFunctorIN3c107complexINS3_4HalfEEES6_bNS0_12_GLOBAL__N_116CompareEqFunctorIS6_EEEESt5arrayIPcLm3EEEEviT0_T1_,comdat
.Lfunc_end147:
	.size	_ZN2at6native29vectorized_elementwise_kernelILi2ENS0_13BinaryFunctorIN3c107complexINS3_4HalfEEES6_bNS0_12_GLOBAL__N_116CompareEqFunctorIS6_EEEESt5arrayIPcLm3EEEEviT0_T1_, .Lfunc_end147-_ZN2at6native29vectorized_elementwise_kernelILi2ENS0_13BinaryFunctorIN3c107complexINS3_4HalfEEES6_bNS0_12_GLOBAL__N_116CompareEqFunctorIS6_EEEESt5arrayIPcLm3EEEEviT0_T1_
                                        ; -- End function
	.set _ZN2at6native29vectorized_elementwise_kernelILi2ENS0_13BinaryFunctorIN3c107complexINS3_4HalfEEES6_bNS0_12_GLOBAL__N_116CompareEqFunctorIS6_EEEESt5arrayIPcLm3EEEEviT0_T1_.num_vgpr, 39
	.set _ZN2at6native29vectorized_elementwise_kernelILi2ENS0_13BinaryFunctorIN3c107complexINS3_4HalfEEES6_bNS0_12_GLOBAL__N_116CompareEqFunctorIS6_EEEESt5arrayIPcLm3EEEEviT0_T1_.num_agpr, 0
	.set _ZN2at6native29vectorized_elementwise_kernelILi2ENS0_13BinaryFunctorIN3c107complexINS3_4HalfEEES6_bNS0_12_GLOBAL__N_116CompareEqFunctorIS6_EEEESt5arrayIPcLm3EEEEviT0_T1_.numbered_sgpr, 46
	.set _ZN2at6native29vectorized_elementwise_kernelILi2ENS0_13BinaryFunctorIN3c107complexINS3_4HalfEEES6_bNS0_12_GLOBAL__N_116CompareEqFunctorIS6_EEEESt5arrayIPcLm3EEEEviT0_T1_.num_named_barrier, 0
	.set _ZN2at6native29vectorized_elementwise_kernelILi2ENS0_13BinaryFunctorIN3c107complexINS3_4HalfEEES6_bNS0_12_GLOBAL__N_116CompareEqFunctorIS6_EEEESt5arrayIPcLm3EEEEviT0_T1_.private_seg_size, 0
	.set _ZN2at6native29vectorized_elementwise_kernelILi2ENS0_13BinaryFunctorIN3c107complexINS3_4HalfEEES6_bNS0_12_GLOBAL__N_116CompareEqFunctorIS6_EEEESt5arrayIPcLm3EEEEviT0_T1_.uses_vcc, 1
	.set _ZN2at6native29vectorized_elementwise_kernelILi2ENS0_13BinaryFunctorIN3c107complexINS3_4HalfEEES6_bNS0_12_GLOBAL__N_116CompareEqFunctorIS6_EEEESt5arrayIPcLm3EEEEviT0_T1_.uses_flat_scratch, 0
	.set _ZN2at6native29vectorized_elementwise_kernelILi2ENS0_13BinaryFunctorIN3c107complexINS3_4HalfEEES6_bNS0_12_GLOBAL__N_116CompareEqFunctorIS6_EEEESt5arrayIPcLm3EEEEviT0_T1_.has_dyn_sized_stack, 0
	.set _ZN2at6native29vectorized_elementwise_kernelILi2ENS0_13BinaryFunctorIN3c107complexINS3_4HalfEEES6_bNS0_12_GLOBAL__N_116CompareEqFunctorIS6_EEEESt5arrayIPcLm3EEEEviT0_T1_.has_recursion, 0
	.set _ZN2at6native29vectorized_elementwise_kernelILi2ENS0_13BinaryFunctorIN3c107complexINS3_4HalfEEES6_bNS0_12_GLOBAL__N_116CompareEqFunctorIS6_EEEESt5arrayIPcLm3EEEEviT0_T1_.has_indirect_call, 0
	.section	.AMDGPU.csdata,"",@progbits
; Kernel info:
; codeLenInByte = 6200
; TotalNumSgprs: 50
; NumVgprs: 39
; ScratchSize: 0
; MemoryBound: 0
; FloatMode: 240
; IeeeMode: 1
; LDSByteSize: 0 bytes/workgroup (compile time only)
; SGPRBlocks: 6
; VGPRBlocks: 9
; NumSGPRsForWavesPerEU: 50
; NumVGPRsForWavesPerEU: 39
; Occupancy: 6
; WaveLimiterHint : 1
; COMPUTE_PGM_RSRC2:SCRATCH_EN: 0
; COMPUTE_PGM_RSRC2:USER_SGPR: 6
; COMPUTE_PGM_RSRC2:TRAP_HANDLER: 0
; COMPUTE_PGM_RSRC2:TGID_X_EN: 1
; COMPUTE_PGM_RSRC2:TGID_Y_EN: 0
; COMPUTE_PGM_RSRC2:TGID_Z_EN: 0
; COMPUTE_PGM_RSRC2:TIDIG_COMP_CNT: 0
	.section	.text._ZN2at6native27unrolled_elementwise_kernelINS0_13BinaryFunctorIN3c107complexINS3_4HalfEEES6_bNS0_12_GLOBAL__N_116CompareEqFunctorIS6_EEEESt5arrayIPcLm3EELi4E23TrivialOffsetCalculatorILi2EjESE_ILi1EjENS0_6memory15LoadWithoutCastENSH_16StoreWithoutCastEEEviT_T0_T2_T3_T4_T5_,"axG",@progbits,_ZN2at6native27unrolled_elementwise_kernelINS0_13BinaryFunctorIN3c107complexINS3_4HalfEEES6_bNS0_12_GLOBAL__N_116CompareEqFunctorIS6_EEEESt5arrayIPcLm3EELi4E23TrivialOffsetCalculatorILi2EjESE_ILi1EjENS0_6memory15LoadWithoutCastENSH_16StoreWithoutCastEEEviT_T0_T2_T3_T4_T5_,comdat
	.globl	_ZN2at6native27unrolled_elementwise_kernelINS0_13BinaryFunctorIN3c107complexINS3_4HalfEEES6_bNS0_12_GLOBAL__N_116CompareEqFunctorIS6_EEEESt5arrayIPcLm3EELi4E23TrivialOffsetCalculatorILi2EjESE_ILi1EjENS0_6memory15LoadWithoutCastENSH_16StoreWithoutCastEEEviT_T0_T2_T3_T4_T5_ ; -- Begin function _ZN2at6native27unrolled_elementwise_kernelINS0_13BinaryFunctorIN3c107complexINS3_4HalfEEES6_bNS0_12_GLOBAL__N_116CompareEqFunctorIS6_EEEESt5arrayIPcLm3EELi4E23TrivialOffsetCalculatorILi2EjESE_ILi1EjENS0_6memory15LoadWithoutCastENSH_16StoreWithoutCastEEEviT_T0_T2_T3_T4_T5_
	.p2align	8
	.type	_ZN2at6native27unrolled_elementwise_kernelINS0_13BinaryFunctorIN3c107complexINS3_4HalfEEES6_bNS0_12_GLOBAL__N_116CompareEqFunctorIS6_EEEESt5arrayIPcLm3EELi4E23TrivialOffsetCalculatorILi2EjESE_ILi1EjENS0_6memory15LoadWithoutCastENSH_16StoreWithoutCastEEEviT_T0_T2_T3_T4_T5_,@function
_ZN2at6native27unrolled_elementwise_kernelINS0_13BinaryFunctorIN3c107complexINS3_4HalfEEES6_bNS0_12_GLOBAL__N_116CompareEqFunctorIS6_EEEESt5arrayIPcLm3EELi4E23TrivialOffsetCalculatorILi2EjESE_ILi1EjENS0_6memory15LoadWithoutCastENSH_16StoreWithoutCastEEEviT_T0_T2_T3_T4_T5_: ; @_ZN2at6native27unrolled_elementwise_kernelINS0_13BinaryFunctorIN3c107complexINS3_4HalfEEES6_bNS0_12_GLOBAL__N_116CompareEqFunctorIS6_EEEESt5arrayIPcLm3EELi4E23TrivialOffsetCalculatorILi2EjESE_ILi1EjENS0_6memory15LoadWithoutCastENSH_16StoreWithoutCastEEEviT_T0_T2_T3_T4_T5_
; %bb.0:
	s_load_dwordx2 s[2:3], s[4:5], 0x0
	s_load_dwordx4 s[8:11], s[4:5], 0x8
	s_load_dwordx2 s[12:13], s[4:5], 0x18
	s_lshl_b32 s18, s6, 10
	v_mov_b32_e32 v5, 0
	s_waitcnt lgkmcnt(0)
	s_sub_i32 s19, s2, s18
	v_cmp_gt_i32_e64 s[0:1], s19, v0
	v_or_b32_e32 v1, s18, v0
	v_mov_b32_e32 v6, 0
	v_mov_b32_e32 v4, 0
	;; [unrolled: 1-line block ×8, first 2 shown]
	s_and_saveexec_b64 s[4:5], s[0:1]
	s_cbranch_execz .LBB148_8
; %bb.1:
	v_mov_b32_e32 v2, 0
	v_lshlrev_b64 v[3:4], 2, v[1:2]
	v_mov_b32_e32 v7, s11
	v_add_co_u32_e32 v6, vcc, s10, v3
	v_addc_co_u32_e32 v7, vcc, v7, v4, vcc
	global_load_dword v9, v[6:7], off
	v_mov_b32_e32 v6, s13
	v_add_co_u32_e32 v3, vcc, s12, v3
	v_addc_co_u32_e32 v4, vcc, v6, v4, vcc
	global_load_dword v10, v[3:4], off
	v_or_b32_e32 v11, 0x100, v0
	v_cmp_gt_u32_e32 vcc, s19, v11
	v_mov_b32_e32 v8, v2
	v_mov_b32_e32 v3, v2
	;; [unrolled: 1-line block ×5, first 2 shown]
	s_and_saveexec_b64 s[6:7], vcc
	s_cbranch_execz .LBB148_7
; %bb.2:
	v_add_u32_e32 v2, s18, v11
	v_mov_b32_e32 v3, 0
	v_lshlrev_b64 v[6:7], 2, v[2:3]
	v_mov_b32_e32 v2, s11
	v_add_co_u32_e32 v11, vcc, s10, v6
	v_addc_co_u32_e32 v12, vcc, v2, v7, vcc
	v_mov_b32_e32 v2, s13
	v_add_co_u32_e32 v6, vcc, s12, v6
	v_addc_co_u32_e32 v7, vcc, v2, v7, vcc
	global_load_dword v8, v[11:12], off
	global_load_dword v2, v[6:7], off
	v_or_b32_e32 v11, 0x200, v0
	v_cmp_gt_u32_e32 vcc, s19, v11
	v_mov_b32_e32 v7, v3
	v_mov_b32_e32 v4, v3
	;; [unrolled: 1-line block ×3, first 2 shown]
	s_and_saveexec_b64 s[14:15], vcc
	s_cbranch_execz .LBB148_6
; %bb.3:
	v_add_u32_e32 v3, s18, v11
	v_mov_b32_e32 v4, 0
	v_lshlrev_b64 v[11:12], 2, v[3:4]
	v_mov_b32_e32 v3, s11
	v_add_co_u32_e32 v6, vcc, s10, v11
	v_addc_co_u32_e32 v7, vcc, v3, v12, vcc
	v_mov_b32_e32 v3, s13
	v_add_co_u32_e32 v11, vcc, s12, v11
	v_addc_co_u32_e32 v12, vcc, v3, v12, vcc
	global_load_dword v7, v[6:7], off
	v_mov_b32_e32 v6, v4
	global_load_dword v3, v[11:12], off
	v_or_b32_e32 v11, 0x300, v0
	v_cmp_gt_u32_e32 vcc, s19, v11
	s_and_saveexec_b64 s[16:17], vcc
	s_cbranch_execz .LBB148_5
; %bb.4:
	v_add_u32_e32 v11, s18, v11
	v_mov_b32_e32 v12, 0
	v_lshlrev_b64 v[11:12], 2, v[11:12]
	v_mov_b32_e32 v4, s11
	v_add_co_u32_e32 v13, vcc, s10, v11
	v_addc_co_u32_e32 v14, vcc, v4, v12, vcc
	v_mov_b32_e32 v4, s13
	v_add_co_u32_e32 v11, vcc, s12, v11
	v_addc_co_u32_e32 v12, vcc, v4, v12, vcc
	global_load_dword v6, v[13:14], off
	global_load_dword v4, v[11:12], off
.LBB148_5:
	s_or_b64 exec, exec, s[16:17]
.LBB148_6:
	s_or_b64 exec, exec, s[14:15]
.LBB148_7:
	s_or_b64 exec, exec, s[6:7]
.LBB148_8:
	s_or_b64 exec, exec, s[4:5]
	s_cmp_lg_u32 s3, 0
	s_cselect_b64 s[2:3], -1, 0
	s_and_saveexec_b64 s[4:5], s[0:1]
	s_cbranch_execz .LBB148_13
; %bb.9:
	s_and_b64 vcc, exec, s[2:3]
	s_cbranch_vccz .LBB148_37
; %bb.10:
	s_waitcnt vmcnt(0)
	v_cmp_neq_f16_e32 vcc, v9, v10
	v_cmp_neq_f16_sdwa s[6:7], v9, v10 src0_sel:WORD_1 src1_sel:WORD_1
	s_or_b64 s[6:7], vcc, s[6:7]
	s_cbranch_execnz .LBB148_12
.LBB148_11:
	s_waitcnt vmcnt(0)
	v_cmp_eq_f16_e32 vcc, v9, v10
	v_cmp_eq_f16_sdwa s[10:11], v9, v10 src0_sel:WORD_1 src1_sel:WORD_1
	s_and_b64 s[10:11], vcc, s[10:11]
	s_andn2_b64 s[6:7], s[6:7], exec
	s_and_b64 s[10:11], s[10:11], exec
	s_or_b64 s[6:7], s[6:7], s[10:11]
.LBB148_12:
	v_cndmask_b32_e64 v5, 0, 1, s[6:7]
.LBB148_13:
	s_or_b64 exec, exec, s[4:5]
	s_waitcnt vmcnt(1)
	v_or_b32_e32 v9, 0x100, v0
	s_waitcnt vmcnt(0)
	v_cndmask_b32_e64 v10, 0, 1, s[2:3]
	v_cmp_gt_i32_e32 vcc, s19, v9
	v_cmp_ne_u32_e64 s[2:3], 1, v10
	s_and_saveexec_b64 s[4:5], vcc
	s_cbranch_execz .LBB148_18
; %bb.14:
	s_and_b64 vcc, exec, s[2:3]
	s_cbranch_vccnz .LBB148_38
; %bb.15:
	v_cmp_neq_f16_e32 vcc, v8, v2
	v_cmp_neq_f16_sdwa s[6:7], v8, v2 src0_sel:WORD_1 src1_sel:WORD_1
	s_or_b64 s[6:7], vcc, s[6:7]
	s_cbranch_execnz .LBB148_17
.LBB148_16:
	v_cmp_eq_f16_e32 vcc, v8, v2
	v_cmp_eq_f16_sdwa s[10:11], v8, v2 src0_sel:WORD_1 src1_sel:WORD_1
	s_and_b64 s[10:11], vcc, s[10:11]
	s_andn2_b64 s[6:7], s[6:7], exec
	s_and_b64 s[10:11], s[10:11], exec
	s_or_b64 s[6:7], s[6:7], s[10:11]
.LBB148_17:
	v_cndmask_b32_e64 v2, 0, 1, s[6:7]
	v_lshlrev_b16_e32 v2, 8, v2
	v_or_b32_e32 v2, v5, v2
	v_and_b32_e32 v5, 0xffff, v2
.LBB148_18:
	s_or_b64 exec, exec, s[4:5]
	v_or_b32_e32 v2, 0x200, v0
	v_cmp_gt_i32_e32 vcc, s19, v2
	s_and_saveexec_b64 s[4:5], vcc
	s_cbranch_execz .LBB148_23
; %bb.19:
	s_and_b64 vcc, exec, s[2:3]
	s_cbranch_vccnz .LBB148_39
; %bb.20:
	v_cmp_neq_f16_e32 vcc, v7, v3
	v_cmp_neq_f16_sdwa s[6:7], v7, v3 src0_sel:WORD_1 src1_sel:WORD_1
	s_or_b64 s[6:7], vcc, s[6:7]
	s_cbranch_execnz .LBB148_22
.LBB148_21:
	v_cmp_eq_f16_e32 vcc, v7, v3
	v_cmp_eq_f16_sdwa s[10:11], v7, v3 src0_sel:WORD_1 src1_sel:WORD_1
	s_and_b64 s[10:11], vcc, s[10:11]
	s_andn2_b64 s[6:7], s[6:7], exec
	s_and_b64 s[10:11], s[10:11], exec
	s_or_b64 s[6:7], s[6:7], s[10:11]
.LBB148_22:
	v_cndmask_b32_e64 v2, 0, 1, s[6:7]
	v_lshl_or_b32 v5, v2, 16, v5
.LBB148_23:
	s_or_b64 exec, exec, s[4:5]
	v_or_b32_e32 v2, 0x300, v0
	v_cmp_gt_i32_e32 vcc, s19, v2
	s_and_saveexec_b64 s[4:5], vcc
	s_cbranch_execz .LBB148_28
; %bb.24:
	s_and_b64 vcc, exec, s[2:3]
	s_cbranch_vccnz .LBB148_40
; %bb.25:
	v_cmp_neq_f16_e32 vcc, v6, v4
	v_cmp_neq_f16_sdwa s[2:3], v6, v4 src0_sel:WORD_1 src1_sel:WORD_1
	s_or_b64 s[2:3], vcc, s[2:3]
	s_cbranch_execnz .LBB148_27
.LBB148_26:
	v_cmp_eq_f16_e32 vcc, v6, v4
	v_cmp_eq_f16_sdwa s[6:7], v6, v4 src0_sel:WORD_1 src1_sel:WORD_1
	s_and_b64 s[6:7], vcc, s[6:7]
	s_andn2_b64 s[2:3], s[2:3], exec
	s_and_b64 s[6:7], s[6:7], exec
	s_or_b64 s[2:3], s[2:3], s[6:7]
.LBB148_27:
	v_cndmask_b32_e64 v2, 0, 1, s[2:3]
	v_lshlrev_b16_e32 v2, 8, v2
	v_or_b32_sdwa v2, v5, v2 dst_sel:WORD_1 dst_unused:UNUSED_PAD src0_sel:WORD_1 src1_sel:DWORD
	s_mov_b32 s2, 0xffff
	v_and_or_b32 v5, v5, s2, v2
.LBB148_28:
	s_or_b64 exec, exec, s[4:5]
	s_and_saveexec_b64 s[2:3], s[0:1]
	s_xor_b64 s[0:1], exec, s[2:3]
	s_cbranch_execz .LBB148_30
; %bb.29:
	v_mov_b32_e32 v0, v9
	global_store_byte v1, v5, s[8:9]
.LBB148_30:
	s_or_b64 exec, exec, s[0:1]
	v_cmp_gt_i32_e32 vcc, s19, v0
	s_and_saveexec_b64 s[0:1], vcc
	s_cbranch_execnz .LBB148_34
; %bb.31:
	s_or_b64 exec, exec, s[0:1]
	v_cmp_gt_i32_e32 vcc, s19, v0
	s_and_saveexec_b64 s[0:1], vcc
	s_cbranch_execnz .LBB148_35
.LBB148_32:
	s_or_b64 exec, exec, s[0:1]
	v_cmp_gt_i32_e32 vcc, s19, v0
	s_and_saveexec_b64 s[0:1], vcc
	s_cbranch_execnz .LBB148_36
.LBB148_33:
	s_endpgm
.LBB148_34:
	v_add_u32_e32 v1, 0x100, v0
	v_add_u32_e32 v0, s18, v0
	v_lshrrev_b32_e32 v2, 8, v5
	global_store_byte v0, v2, s[8:9]
	v_mov_b32_e32 v0, v1
	s_or_b64 exec, exec, s[0:1]
	v_cmp_gt_i32_e32 vcc, s19, v0
	s_and_saveexec_b64 s[0:1], vcc
	s_cbranch_execz .LBB148_32
.LBB148_35:
	v_add_u32_e32 v1, 0x100, v0
	v_add_u32_e32 v0, s18, v0
	global_store_byte_d16_hi v0, v5, s[8:9]
	v_mov_b32_e32 v0, v1
	s_or_b64 exec, exec, s[0:1]
	v_cmp_gt_i32_e32 vcc, s19, v0
	s_and_saveexec_b64 s[0:1], vcc
	s_cbranch_execz .LBB148_33
.LBB148_36:
	v_add_u32_e32 v0, s18, v0
	v_lshrrev_b32_e32 v1, 24, v5
	global_store_byte v0, v1, s[8:9]
	s_endpgm
.LBB148_37:
                                        ; implicit-def: $sgpr6_sgpr7
	s_branch .LBB148_11
.LBB148_38:
                                        ; implicit-def: $sgpr6_sgpr7
	s_branch .LBB148_16
.LBB148_39:
                                        ; implicit-def: $sgpr6_sgpr7
	s_branch .LBB148_21
.LBB148_40:
                                        ; implicit-def: $sgpr2_sgpr3
	s_branch .LBB148_26
	.section	.rodata,"a",@progbits
	.p2align	6, 0x0
	.amdhsa_kernel _ZN2at6native27unrolled_elementwise_kernelINS0_13BinaryFunctorIN3c107complexINS3_4HalfEEES6_bNS0_12_GLOBAL__N_116CompareEqFunctorIS6_EEEESt5arrayIPcLm3EELi4E23TrivialOffsetCalculatorILi2EjESE_ILi1EjENS0_6memory15LoadWithoutCastENSH_16StoreWithoutCastEEEviT_T0_T2_T3_T4_T5_
		.amdhsa_group_segment_fixed_size 0
		.amdhsa_private_segment_fixed_size 0
		.amdhsa_kernarg_size 36
		.amdhsa_user_sgpr_count 6
		.amdhsa_user_sgpr_private_segment_buffer 1
		.amdhsa_user_sgpr_dispatch_ptr 0
		.amdhsa_user_sgpr_queue_ptr 0
		.amdhsa_user_sgpr_kernarg_segment_ptr 1
		.amdhsa_user_sgpr_dispatch_id 0
		.amdhsa_user_sgpr_flat_scratch_init 0
		.amdhsa_user_sgpr_private_segment_size 0
		.amdhsa_uses_dynamic_stack 0
		.amdhsa_system_sgpr_private_segment_wavefront_offset 0
		.amdhsa_system_sgpr_workgroup_id_x 1
		.amdhsa_system_sgpr_workgroup_id_y 0
		.amdhsa_system_sgpr_workgroup_id_z 0
		.amdhsa_system_sgpr_workgroup_info 0
		.amdhsa_system_vgpr_workitem_id 0
		.amdhsa_next_free_vgpr 15
		.amdhsa_next_free_sgpr 20
		.amdhsa_reserve_vcc 1
		.amdhsa_reserve_flat_scratch 0
		.amdhsa_float_round_mode_32 0
		.amdhsa_float_round_mode_16_64 0
		.amdhsa_float_denorm_mode_32 3
		.amdhsa_float_denorm_mode_16_64 3
		.amdhsa_dx10_clamp 1
		.amdhsa_ieee_mode 1
		.amdhsa_fp16_overflow 0
		.amdhsa_exception_fp_ieee_invalid_op 0
		.amdhsa_exception_fp_denorm_src 0
		.amdhsa_exception_fp_ieee_div_zero 0
		.amdhsa_exception_fp_ieee_overflow 0
		.amdhsa_exception_fp_ieee_underflow 0
		.amdhsa_exception_fp_ieee_inexact 0
		.amdhsa_exception_int_div_zero 0
	.end_amdhsa_kernel
	.section	.text._ZN2at6native27unrolled_elementwise_kernelINS0_13BinaryFunctorIN3c107complexINS3_4HalfEEES6_bNS0_12_GLOBAL__N_116CompareEqFunctorIS6_EEEESt5arrayIPcLm3EELi4E23TrivialOffsetCalculatorILi2EjESE_ILi1EjENS0_6memory15LoadWithoutCastENSH_16StoreWithoutCastEEEviT_T0_T2_T3_T4_T5_,"axG",@progbits,_ZN2at6native27unrolled_elementwise_kernelINS0_13BinaryFunctorIN3c107complexINS3_4HalfEEES6_bNS0_12_GLOBAL__N_116CompareEqFunctorIS6_EEEESt5arrayIPcLm3EELi4E23TrivialOffsetCalculatorILi2EjESE_ILi1EjENS0_6memory15LoadWithoutCastENSH_16StoreWithoutCastEEEviT_T0_T2_T3_T4_T5_,comdat
.Lfunc_end148:
	.size	_ZN2at6native27unrolled_elementwise_kernelINS0_13BinaryFunctorIN3c107complexINS3_4HalfEEES6_bNS0_12_GLOBAL__N_116CompareEqFunctorIS6_EEEESt5arrayIPcLm3EELi4E23TrivialOffsetCalculatorILi2EjESE_ILi1EjENS0_6memory15LoadWithoutCastENSH_16StoreWithoutCastEEEviT_T0_T2_T3_T4_T5_, .Lfunc_end148-_ZN2at6native27unrolled_elementwise_kernelINS0_13BinaryFunctorIN3c107complexINS3_4HalfEEES6_bNS0_12_GLOBAL__N_116CompareEqFunctorIS6_EEEESt5arrayIPcLm3EELi4E23TrivialOffsetCalculatorILi2EjESE_ILi1EjENS0_6memory15LoadWithoutCastENSH_16StoreWithoutCastEEEviT_T0_T2_T3_T4_T5_
                                        ; -- End function
	.set _ZN2at6native27unrolled_elementwise_kernelINS0_13BinaryFunctorIN3c107complexINS3_4HalfEEES6_bNS0_12_GLOBAL__N_116CompareEqFunctorIS6_EEEESt5arrayIPcLm3EELi4E23TrivialOffsetCalculatorILi2EjESE_ILi1EjENS0_6memory15LoadWithoutCastENSH_16StoreWithoutCastEEEviT_T0_T2_T3_T4_T5_.num_vgpr, 15
	.set _ZN2at6native27unrolled_elementwise_kernelINS0_13BinaryFunctorIN3c107complexINS3_4HalfEEES6_bNS0_12_GLOBAL__N_116CompareEqFunctorIS6_EEEESt5arrayIPcLm3EELi4E23TrivialOffsetCalculatorILi2EjESE_ILi1EjENS0_6memory15LoadWithoutCastENSH_16StoreWithoutCastEEEviT_T0_T2_T3_T4_T5_.num_agpr, 0
	.set _ZN2at6native27unrolled_elementwise_kernelINS0_13BinaryFunctorIN3c107complexINS3_4HalfEEES6_bNS0_12_GLOBAL__N_116CompareEqFunctorIS6_EEEESt5arrayIPcLm3EELi4E23TrivialOffsetCalculatorILi2EjESE_ILi1EjENS0_6memory15LoadWithoutCastENSH_16StoreWithoutCastEEEviT_T0_T2_T3_T4_T5_.numbered_sgpr, 20
	.set _ZN2at6native27unrolled_elementwise_kernelINS0_13BinaryFunctorIN3c107complexINS3_4HalfEEES6_bNS0_12_GLOBAL__N_116CompareEqFunctorIS6_EEEESt5arrayIPcLm3EELi4E23TrivialOffsetCalculatorILi2EjESE_ILi1EjENS0_6memory15LoadWithoutCastENSH_16StoreWithoutCastEEEviT_T0_T2_T3_T4_T5_.num_named_barrier, 0
	.set _ZN2at6native27unrolled_elementwise_kernelINS0_13BinaryFunctorIN3c107complexINS3_4HalfEEES6_bNS0_12_GLOBAL__N_116CompareEqFunctorIS6_EEEESt5arrayIPcLm3EELi4E23TrivialOffsetCalculatorILi2EjESE_ILi1EjENS0_6memory15LoadWithoutCastENSH_16StoreWithoutCastEEEviT_T0_T2_T3_T4_T5_.private_seg_size, 0
	.set _ZN2at6native27unrolled_elementwise_kernelINS0_13BinaryFunctorIN3c107complexINS3_4HalfEEES6_bNS0_12_GLOBAL__N_116CompareEqFunctorIS6_EEEESt5arrayIPcLm3EELi4E23TrivialOffsetCalculatorILi2EjESE_ILi1EjENS0_6memory15LoadWithoutCastENSH_16StoreWithoutCastEEEviT_T0_T2_T3_T4_T5_.uses_vcc, 1
	.set _ZN2at6native27unrolled_elementwise_kernelINS0_13BinaryFunctorIN3c107complexINS3_4HalfEEES6_bNS0_12_GLOBAL__N_116CompareEqFunctorIS6_EEEESt5arrayIPcLm3EELi4E23TrivialOffsetCalculatorILi2EjESE_ILi1EjENS0_6memory15LoadWithoutCastENSH_16StoreWithoutCastEEEviT_T0_T2_T3_T4_T5_.uses_flat_scratch, 0
	.set _ZN2at6native27unrolled_elementwise_kernelINS0_13BinaryFunctorIN3c107complexINS3_4HalfEEES6_bNS0_12_GLOBAL__N_116CompareEqFunctorIS6_EEEESt5arrayIPcLm3EELi4E23TrivialOffsetCalculatorILi2EjESE_ILi1EjENS0_6memory15LoadWithoutCastENSH_16StoreWithoutCastEEEviT_T0_T2_T3_T4_T5_.has_dyn_sized_stack, 0
	.set _ZN2at6native27unrolled_elementwise_kernelINS0_13BinaryFunctorIN3c107complexINS3_4HalfEEES6_bNS0_12_GLOBAL__N_116CompareEqFunctorIS6_EEEESt5arrayIPcLm3EELi4E23TrivialOffsetCalculatorILi2EjESE_ILi1EjENS0_6memory15LoadWithoutCastENSH_16StoreWithoutCastEEEviT_T0_T2_T3_T4_T5_.has_recursion, 0
	.set _ZN2at6native27unrolled_elementwise_kernelINS0_13BinaryFunctorIN3c107complexINS3_4HalfEEES6_bNS0_12_GLOBAL__N_116CompareEqFunctorIS6_EEEESt5arrayIPcLm3EELi4E23TrivialOffsetCalculatorILi2EjESE_ILi1EjENS0_6memory15LoadWithoutCastENSH_16StoreWithoutCastEEEviT_T0_T2_T3_T4_T5_.has_indirect_call, 0
	.section	.AMDGPU.csdata,"",@progbits
; Kernel info:
; codeLenInByte = 1052
; TotalNumSgprs: 24
; NumVgprs: 15
; ScratchSize: 0
; MemoryBound: 0
; FloatMode: 240
; IeeeMode: 1
; LDSByteSize: 0 bytes/workgroup (compile time only)
; SGPRBlocks: 2
; VGPRBlocks: 3
; NumSGPRsForWavesPerEU: 24
; NumVGPRsForWavesPerEU: 15
; Occupancy: 10
; WaveLimiterHint : 0
; COMPUTE_PGM_RSRC2:SCRATCH_EN: 0
; COMPUTE_PGM_RSRC2:USER_SGPR: 6
; COMPUTE_PGM_RSRC2:TRAP_HANDLER: 0
; COMPUTE_PGM_RSRC2:TGID_X_EN: 1
; COMPUTE_PGM_RSRC2:TGID_Y_EN: 0
; COMPUTE_PGM_RSRC2:TGID_Z_EN: 0
; COMPUTE_PGM_RSRC2:TIDIG_COMP_CNT: 0
	.section	.text._ZN2at6native32elementwise_kernel_manual_unrollILi128ELi8EZNS0_22gpu_kernel_impl_nocastINS0_13BinaryFunctorIN3c107complexINS4_4HalfEEES7_bNS0_12_GLOBAL__N_116CompareEqFunctorIS7_EEEEEEvRNS_18TensorIteratorBaseERKT_EUlibE_EEviT1_,"axG",@progbits,_ZN2at6native32elementwise_kernel_manual_unrollILi128ELi8EZNS0_22gpu_kernel_impl_nocastINS0_13BinaryFunctorIN3c107complexINS4_4HalfEEES7_bNS0_12_GLOBAL__N_116CompareEqFunctorIS7_EEEEEEvRNS_18TensorIteratorBaseERKT_EUlibE_EEviT1_,comdat
	.globl	_ZN2at6native32elementwise_kernel_manual_unrollILi128ELi8EZNS0_22gpu_kernel_impl_nocastINS0_13BinaryFunctorIN3c107complexINS4_4HalfEEES7_bNS0_12_GLOBAL__N_116CompareEqFunctorIS7_EEEEEEvRNS_18TensorIteratorBaseERKT_EUlibE_EEviT1_ ; -- Begin function _ZN2at6native32elementwise_kernel_manual_unrollILi128ELi8EZNS0_22gpu_kernel_impl_nocastINS0_13BinaryFunctorIN3c107complexINS4_4HalfEEES7_bNS0_12_GLOBAL__N_116CompareEqFunctorIS7_EEEEEEvRNS_18TensorIteratorBaseERKT_EUlibE_EEviT1_
	.p2align	8
	.type	_ZN2at6native32elementwise_kernel_manual_unrollILi128ELi8EZNS0_22gpu_kernel_impl_nocastINS0_13BinaryFunctorIN3c107complexINS4_4HalfEEES7_bNS0_12_GLOBAL__N_116CompareEqFunctorIS7_EEEEEEvRNS_18TensorIteratorBaseERKT_EUlibE_EEviT1_,@function
_ZN2at6native32elementwise_kernel_manual_unrollILi128ELi8EZNS0_22gpu_kernel_impl_nocastINS0_13BinaryFunctorIN3c107complexINS4_4HalfEEES7_bNS0_12_GLOBAL__N_116CompareEqFunctorIS7_EEEEEEvRNS_18TensorIteratorBaseERKT_EUlibE_EEviT1_: ; @_ZN2at6native32elementwise_kernel_manual_unrollILi128ELi8EZNS0_22gpu_kernel_impl_nocastINS0_13BinaryFunctorIN3c107complexINS4_4HalfEEES7_bNS0_12_GLOBAL__N_116CompareEqFunctorIS7_EEEEEEvRNS_18TensorIteratorBaseERKT_EUlibE_EEviT1_
; %bb.0:
	s_load_dword s40, s[4:5], 0x0
	s_load_dword s33, s[4:5], 0x8
	s_add_u32 s12, s4, 8
	s_addc_u32 s13, s5, 0
	v_lshl_or_b32 v30, s6, 10, v0
	v_or_b32_e32 v40, 0x380, v30
	s_waitcnt lgkmcnt(0)
	s_add_i32 s38, s33, -1
	s_cmp_gt_u32 s38, 1
	v_cmp_le_i32_e32 vcc, s40, v40
	s_cselect_b64 s[14:15], -1, 0
	s_and_saveexec_b64 s[0:1], vcc
	s_xor_b64 s[16:17], exec, s[0:1]
	s_cbranch_execz .LBB149_137
; %bb.1:
	s_load_dwordx4 s[8:11], s[12:13], 0x4
	s_load_dwordx2 s[24:25], s[12:13], 0x14
	s_load_dwordx4 s[4:7], s[12:13], 0xc4
	s_load_dwordx2 s[22:23], s[12:13], 0xd4
	s_load_dword s18, s[12:13], 0x1a0
	s_cmp_lg_u32 s33, 0
	s_load_dwordx2 s[20:21], s[12:13], 0x198
	s_load_dwordx4 s[0:3], s[12:13], 0x188
	s_cselect_b64 s[28:29], -1, 0
	s_min_u32 s39, s38, 15
	s_cmp_gt_u32 s33, 1
	s_cselect_b64 s[26:27], -1, 0
	s_waitcnt lgkmcnt(0)
	s_cmp_lg_u32 s18, 0
	s_cselect_b64 s[18:19], -1, 0
	v_cmp_gt_i32_e32 vcc, s40, v30
	s_and_saveexec_b64 s[30:31], vcc
	s_cbranch_execnz .LBB149_9
; %bb.2:
	s_or_b64 exec, exec, s[30:31]
	v_cmp_gt_i32_e32 vcc, s40, v30
	s_and_saveexec_b64 s[30:31], vcc
	s_cbranch_execnz .LBB149_24
.LBB149_3:
	s_or_b64 exec, exec, s[30:31]
	v_cmp_gt_i32_e32 vcc, s40, v30
	s_and_saveexec_b64 s[30:31], vcc
	s_cbranch_execnz .LBB149_40
.LBB149_4:
	s_or_b64 exec, exec, s[30:31]
	v_cmp_gt_i32_e32 vcc, s40, v30
	s_and_saveexec_b64 s[30:31], vcc
	s_cbranch_execnz .LBB149_56
.LBB149_5:
	s_or_b64 exec, exec, s[30:31]
	v_cmp_gt_i32_e32 vcc, s40, v30
	s_and_saveexec_b64 s[30:31], vcc
	s_cbranch_execnz .LBB149_72
.LBB149_6:
	s_or_b64 exec, exec, s[30:31]
	v_cmp_gt_i32_e32 vcc, s40, v30
	s_and_saveexec_b64 s[30:31], vcc
	s_cbranch_execnz .LBB149_88
.LBB149_7:
	s_or_b64 exec, exec, s[30:31]
	v_cmp_gt_i32_e32 vcc, s40, v30
	s_and_saveexec_b64 s[30:31], vcc
	s_cbranch_execnz .LBB149_104
.LBB149_8:
	s_or_b64 exec, exec, s[30:31]
	v_cmp_gt_i32_e32 vcc, s40, v30
	s_and_saveexec_b64 s[30:31], vcc
	s_cbranch_execnz .LBB149_120
	s_branch .LBB149_136
.LBB149_9:
	s_andn2_b64 vcc, exec, s[14:15]
	s_cbranch_vccnz .LBB149_15
; %bb.10:
	s_andn2_b64 vcc, exec, s[28:29]
	s_cbranch_vccnz .LBB149_16
; %bb.11:
	s_add_i32 s34, s39, 1
	s_and_b32 s36, s34, 30
	s_add_u32 s34, s12, 0xffffffe8
	s_addc_u32 s35, s13, -1
	v_mov_b32_e32 v2, 0
	v_mov_b32_e32 v4, 0
	;; [unrolled: 1-line block ×4, first 2 shown]
.LBB149_12:                             ; =>This Inner Loop Header: Depth=1
	s_load_dwordx4 s[44:47], s[34:35], 0x1c
	s_load_dwordx2 s[42:43], s[34:35], 0x2c
	s_load_dwordx2 s[52:53], s[34:35], 0xec
	s_load_dwordx4 s[48:51], s[34:35], 0xdc
	s_add_u32 s34, s34, 24
	s_waitcnt lgkmcnt(0)
	v_mul_hi_u32 v3, s45, v1
	s_addc_u32 s35, s35, 0
	s_add_i32 s36, s36, -2
	s_cmp_lg_u32 s36, 0
	v_add_u32_e32 v3, v1, v3
	v_lshrrev_b32_e32 v3, s46, v3
	v_mul_lo_u32 v5, v3, s44
	v_mul_hi_u32 v6, s42, v3
	v_sub_u32_e32 v5, v1, v5
	v_add_u32_e32 v1, v3, v6
	v_lshrrev_b32_e32 v1, s43, v1
	v_mul_lo_u32 v8, v1, s47
	v_mul_lo_u32 v6, v5, s48
	;; [unrolled: 1-line block ×4, first 2 shown]
	v_sub_u32_e32 v3, v3, v8
	v_mul_lo_u32 v8, v3, s51
	v_mul_lo_u32 v9, v3, s52
	;; [unrolled: 1-line block ×3, first 2 shown]
	v_add3_u32 v0, v6, v0, v8
	v_add3_u32 v4, v7, v4, v9
	v_add3_u32 v2, v5, v2, v3
	s_cbranch_scc1 .LBB149_12
; %bb.13:
	s_bitcmp1_b32 s39, 0
	s_cselect_b64 s[36:37], -1, 0
	s_and_b64 vcc, exec, s[36:37]
	s_cbranch_vccnz .LBB149_17
; %bb.14:
	s_load_dwordx2 s[36:37], s[34:35], 0x1c
	s_load_dword s41, s[34:35], 0x24
	s_load_dwordx2 s[42:43], s[34:35], 0xdc
	s_waitcnt lgkmcnt(0)
	v_mul_hi_u32 v3, s37, v1
	v_add_u32_e32 v3, v1, v3
	v_lshrrev_b32_e32 v3, s41, v3
	v_mul_lo_u32 v3, v3, s36
	s_load_dword s36, s[34:35], 0xe4
	v_sub_u32_e32 v3, v1, v3
	v_mad_u64_u32 v[0:1], s[34:35], v3, s42, v[0:1]
	v_mad_u64_u32 v[4:5], s[34:35], v3, s43, v[4:5]
	s_waitcnt lgkmcnt(0)
	v_mad_u64_u32 v[2:3], s[34:35], v3, s36, v[2:3]
	s_cbranch_execz .LBB149_18
	s_branch .LBB149_20
.LBB149_15:
                                        ; implicit-def: $vgpr0
                                        ; implicit-def: $vgpr4
                                        ; implicit-def: $vgpr2
	s_branch .LBB149_18
.LBB149_16:
	v_mov_b32_e32 v0, 0
	v_mov_b32_e32 v4, 0
	v_mov_b32_e32 v2, 0
.LBB149_17:
	s_cbranch_execnz .LBB149_20
.LBB149_18:
	v_mul_hi_u32 v0, s9, v30
	s_andn2_b64 vcc, exec, s[26:27]
	v_add_u32_e32 v0, v30, v0
	v_lshrrev_b32_e32 v1, s10, v0
	v_mul_lo_u32 v0, v1, s8
	v_sub_u32_e32 v2, v30, v0
	v_mul_lo_u32 v0, v2, s4
	v_mul_lo_u32 v4, v2, s5
	v_mul_lo_u32 v2, v2, s6
	s_cbranch_vccnz .LBB149_20
; %bb.19:
	v_mul_hi_u32 v3, s24, v1
	v_add_u32_e32 v3, v1, v3
	v_lshrrev_b32_e32 v3, s25, v3
	v_mul_lo_u32 v3, v3, s11
	v_sub_u32_e32 v3, v1, v3
	v_mad_u64_u32 v[0:1], s[34:35], v3, s7, v[0:1]
	v_mad_u64_u32 v[4:5], s[34:35], v3, s22, v[4:5]
	;; [unrolled: 1-line block ×3, first 2 shown]
.LBB149_20:
	global_load_dword v1, v4, s[2:3]
	global_load_dword v3, v2, s[20:21]
	s_and_b64 vcc, exec, s[18:19]
	s_cbranch_vccz .LBB149_31
; %bb.21:
	s_waitcnt vmcnt(0)
	v_cmp_neq_f16_e32 vcc, v1, v3
	v_cmp_neq_f16_sdwa s[34:35], v1, v3 src0_sel:WORD_1 src1_sel:WORD_1
	s_or_b64 s[34:35], vcc, s[34:35]
	s_cbranch_execnz .LBB149_23
.LBB149_22:
	s_waitcnt vmcnt(0)
	v_cmp_eq_f16_e32 vcc, v1, v3
	v_cmp_eq_f16_sdwa s[36:37], v1, v3 src0_sel:WORD_1 src1_sel:WORD_1
	s_and_b64 s[36:37], vcc, s[36:37]
	s_andn2_b64 s[34:35], s[34:35], exec
	s_and_b64 s[36:37], s[36:37], exec
	s_or_b64 s[34:35], s[34:35], s[36:37]
.LBB149_23:
	s_waitcnt vmcnt(1)
	v_cndmask_b32_e64 v1, 0, 1, s[34:35]
	v_add_u32_e32 v30, 0x80, v30
	global_store_byte v0, v1, s[0:1]
	s_or_b64 exec, exec, s[30:31]
	v_cmp_gt_i32_e32 vcc, s40, v30
	s_and_saveexec_b64 s[30:31], vcc
	s_cbranch_execz .LBB149_3
.LBB149_24:
	s_andn2_b64 vcc, exec, s[14:15]
	s_cbranch_vccnz .LBB149_30
; %bb.25:
	s_andn2_b64 vcc, exec, s[28:29]
	s_cbranch_vccnz .LBB149_32
; %bb.26:
	s_add_i32 s34, s39, 1
	s_and_b32 s36, s34, 30
	s_add_u32 s34, s12, 0xffffffe8
	s_addc_u32 s35, s13, -1
	v_mov_b32_e32 v2, 0
	v_mov_b32_e32 v4, 0
	;; [unrolled: 1-line block ×4, first 2 shown]
.LBB149_27:                             ; =>This Inner Loop Header: Depth=1
	s_load_dwordx4 s[44:47], s[34:35], 0x1c
	s_load_dwordx2 s[42:43], s[34:35], 0x2c
	s_load_dwordx2 s[52:53], s[34:35], 0xec
	s_load_dwordx4 s[48:51], s[34:35], 0xdc
	s_add_u32 s34, s34, 24
	s_waitcnt vmcnt(1) lgkmcnt(0)
	v_mul_hi_u32 v3, s45, v1
	s_addc_u32 s35, s35, 0
	s_add_i32 s36, s36, -2
	s_cmp_eq_u32 s36, 0
	v_add_u32_e32 v3, v1, v3
	v_lshrrev_b32_e32 v3, s46, v3
	v_mul_lo_u32 v5, v3, s44
	v_mul_hi_u32 v6, s42, v3
	v_sub_u32_e32 v5, v1, v5
	v_add_u32_e32 v1, v3, v6
	v_lshrrev_b32_e32 v1, s43, v1
	v_mul_lo_u32 v8, v1, s47
	v_mul_lo_u32 v6, v5, s48
	v_mul_lo_u32 v7, v5, s49
	v_mul_lo_u32 v5, v5, s50
	v_sub_u32_e32 v3, v3, v8
	v_mul_lo_u32 v8, v3, s51
	v_mul_lo_u32 v9, v3, s52
	;; [unrolled: 1-line block ×3, first 2 shown]
	v_add3_u32 v0, v6, v0, v8
	v_add3_u32 v4, v7, v4, v9
	;; [unrolled: 1-line block ×3, first 2 shown]
	s_cbranch_scc0 .LBB149_27
; %bb.28:
	s_bitcmp1_b32 s39, 0
	s_cselect_b64 s[36:37], -1, 0
	s_and_b64 vcc, exec, s[36:37]
	s_cbranch_vccnz .LBB149_33
; %bb.29:
	s_load_dwordx2 s[36:37], s[34:35], 0x1c
	s_load_dword s41, s[34:35], 0x24
	s_load_dwordx2 s[42:43], s[34:35], 0xdc
	s_waitcnt lgkmcnt(0)
	v_mul_hi_u32 v3, s37, v1
	v_add_u32_e32 v3, v1, v3
	v_lshrrev_b32_e32 v3, s41, v3
	v_mul_lo_u32 v3, v3, s36
	s_load_dword s36, s[34:35], 0xe4
	v_sub_u32_e32 v3, v1, v3
	v_mad_u64_u32 v[0:1], s[34:35], v3, s42, v[0:1]
	v_mad_u64_u32 v[4:5], s[34:35], v3, s43, v[4:5]
	s_waitcnt lgkmcnt(0)
	v_mad_u64_u32 v[2:3], s[34:35], v3, s36, v[2:3]
	s_branch .LBB149_33
.LBB149_30:
                                        ; implicit-def: $vgpr0
                                        ; implicit-def: $vgpr4
                                        ; implicit-def: $vgpr2
	s_branch .LBB149_34
.LBB149_31:
                                        ; implicit-def: $sgpr34_sgpr35
	s_branch .LBB149_22
.LBB149_32:
	v_mov_b32_e32 v0, 0
	v_mov_b32_e32 v4, 0
	;; [unrolled: 1-line block ×3, first 2 shown]
.LBB149_33:
	s_cbranch_execnz .LBB149_36
.LBB149_34:
	v_mul_hi_u32 v0, s9, v30
	s_andn2_b64 vcc, exec, s[26:27]
	v_add_u32_e32 v0, v30, v0
	v_lshrrev_b32_e32 v1, s10, v0
	v_mul_lo_u32 v0, v1, s8
	v_sub_u32_e32 v2, v30, v0
	v_mul_lo_u32 v0, v2, s4
	v_mul_lo_u32 v4, v2, s5
	;; [unrolled: 1-line block ×3, first 2 shown]
	s_cbranch_vccnz .LBB149_36
; %bb.35:
	s_waitcnt vmcnt(1)
	v_mul_hi_u32 v3, s24, v1
	v_add_u32_e32 v3, v1, v3
	v_lshrrev_b32_e32 v3, s25, v3
	v_mul_lo_u32 v3, v3, s11
	v_sub_u32_e32 v3, v1, v3
	v_mad_u64_u32 v[0:1], s[34:35], v3, s7, v[0:1]
	v_mad_u64_u32 v[4:5], s[34:35], v3, s22, v[4:5]
	;; [unrolled: 1-line block ×3, first 2 shown]
.LBB149_36:
	global_load_dword v1, v4, s[2:3]
	global_load_dword v3, v2, s[20:21]
	s_andn2_b64 vcc, exec, s[18:19]
	s_cbranch_vccnz .LBB149_47
; %bb.37:
	s_waitcnt vmcnt(0)
	v_cmp_neq_f16_e32 vcc, v1, v3
	v_cmp_neq_f16_sdwa s[34:35], v1, v3 src0_sel:WORD_1 src1_sel:WORD_1
	s_or_b64 s[34:35], vcc, s[34:35]
	s_cbranch_execnz .LBB149_39
.LBB149_38:
	s_waitcnt vmcnt(0)
	v_cmp_eq_f16_e32 vcc, v1, v3
	v_cmp_eq_f16_sdwa s[36:37], v1, v3 src0_sel:WORD_1 src1_sel:WORD_1
	s_and_b64 s[36:37], vcc, s[36:37]
	s_andn2_b64 s[34:35], s[34:35], exec
	s_and_b64 s[36:37], s[36:37], exec
	s_or_b64 s[34:35], s[34:35], s[36:37]
.LBB149_39:
	s_waitcnt vmcnt(1)
	v_cndmask_b32_e64 v1, 0, 1, s[34:35]
	v_add_u32_e32 v30, 0x80, v30
	global_store_byte v0, v1, s[0:1]
	s_or_b64 exec, exec, s[30:31]
	v_cmp_gt_i32_e32 vcc, s40, v30
	s_and_saveexec_b64 s[30:31], vcc
	s_cbranch_execz .LBB149_4
.LBB149_40:
	s_andn2_b64 vcc, exec, s[14:15]
	s_cbranch_vccnz .LBB149_46
; %bb.41:
	s_andn2_b64 vcc, exec, s[28:29]
	s_cbranch_vccnz .LBB149_48
; %bb.42:
	s_add_i32 s34, s39, 1
	s_and_b32 s36, s34, 30
	s_add_u32 s34, s12, 0xffffffe8
	s_addc_u32 s35, s13, -1
	v_mov_b32_e32 v2, 0
	v_mov_b32_e32 v4, 0
	;; [unrolled: 1-line block ×4, first 2 shown]
.LBB149_43:                             ; =>This Inner Loop Header: Depth=1
	s_load_dwordx4 s[44:47], s[34:35], 0x1c
	s_load_dwordx2 s[42:43], s[34:35], 0x2c
	s_load_dwordx2 s[52:53], s[34:35], 0xec
	s_load_dwordx4 s[48:51], s[34:35], 0xdc
	s_add_u32 s34, s34, 24
	s_waitcnt vmcnt(1) lgkmcnt(0)
	v_mul_hi_u32 v3, s45, v1
	s_addc_u32 s35, s35, 0
	s_add_i32 s36, s36, -2
	s_cmp_eq_u32 s36, 0
	v_add_u32_e32 v3, v1, v3
	v_lshrrev_b32_e32 v3, s46, v3
	v_mul_lo_u32 v5, v3, s44
	v_mul_hi_u32 v6, s42, v3
	v_sub_u32_e32 v5, v1, v5
	v_add_u32_e32 v1, v3, v6
	v_lshrrev_b32_e32 v1, s43, v1
	v_mul_lo_u32 v8, v1, s47
	v_mul_lo_u32 v6, v5, s48
	;; [unrolled: 1-line block ×4, first 2 shown]
	v_sub_u32_e32 v3, v3, v8
	v_mul_lo_u32 v8, v3, s51
	v_mul_lo_u32 v9, v3, s52
	;; [unrolled: 1-line block ×3, first 2 shown]
	v_add3_u32 v0, v6, v0, v8
	v_add3_u32 v4, v7, v4, v9
	;; [unrolled: 1-line block ×3, first 2 shown]
	s_cbranch_scc0 .LBB149_43
; %bb.44:
	s_bitcmp1_b32 s39, 0
	s_cselect_b64 s[36:37], -1, 0
	s_and_b64 vcc, exec, s[36:37]
	s_cbranch_vccnz .LBB149_49
; %bb.45:
	s_load_dwordx2 s[36:37], s[34:35], 0x1c
	s_load_dword s41, s[34:35], 0x24
	s_load_dwordx2 s[42:43], s[34:35], 0xdc
	s_waitcnt lgkmcnt(0)
	v_mul_hi_u32 v3, s37, v1
	v_add_u32_e32 v3, v1, v3
	v_lshrrev_b32_e32 v3, s41, v3
	v_mul_lo_u32 v3, v3, s36
	s_load_dword s36, s[34:35], 0xe4
	v_sub_u32_e32 v3, v1, v3
	v_mad_u64_u32 v[0:1], s[34:35], v3, s42, v[0:1]
	v_mad_u64_u32 v[4:5], s[34:35], v3, s43, v[4:5]
	s_waitcnt lgkmcnt(0)
	v_mad_u64_u32 v[2:3], s[34:35], v3, s36, v[2:3]
	s_branch .LBB149_49
.LBB149_46:
                                        ; implicit-def: $vgpr0
                                        ; implicit-def: $vgpr4
                                        ; implicit-def: $vgpr2
	s_branch .LBB149_50
.LBB149_47:
                                        ; implicit-def: $sgpr34_sgpr35
	s_branch .LBB149_38
.LBB149_48:
	v_mov_b32_e32 v0, 0
	v_mov_b32_e32 v4, 0
	;; [unrolled: 1-line block ×3, first 2 shown]
.LBB149_49:
	s_cbranch_execnz .LBB149_52
.LBB149_50:
	v_mul_hi_u32 v0, s9, v30
	s_andn2_b64 vcc, exec, s[26:27]
	v_add_u32_e32 v0, v30, v0
	v_lshrrev_b32_e32 v1, s10, v0
	v_mul_lo_u32 v0, v1, s8
	v_sub_u32_e32 v2, v30, v0
	v_mul_lo_u32 v0, v2, s4
	v_mul_lo_u32 v4, v2, s5
	;; [unrolled: 1-line block ×3, first 2 shown]
	s_cbranch_vccnz .LBB149_52
; %bb.51:
	s_waitcnt vmcnt(1)
	v_mul_hi_u32 v3, s24, v1
	v_add_u32_e32 v3, v1, v3
	v_lshrrev_b32_e32 v3, s25, v3
	v_mul_lo_u32 v3, v3, s11
	v_sub_u32_e32 v3, v1, v3
	v_mad_u64_u32 v[0:1], s[34:35], v3, s7, v[0:1]
	v_mad_u64_u32 v[4:5], s[34:35], v3, s22, v[4:5]
	;; [unrolled: 1-line block ×3, first 2 shown]
.LBB149_52:
	global_load_dword v1, v4, s[2:3]
	global_load_dword v3, v2, s[20:21]
	s_andn2_b64 vcc, exec, s[18:19]
	s_cbranch_vccnz .LBB149_63
; %bb.53:
	s_waitcnt vmcnt(0)
	v_cmp_neq_f16_e32 vcc, v1, v3
	v_cmp_neq_f16_sdwa s[34:35], v1, v3 src0_sel:WORD_1 src1_sel:WORD_1
	s_or_b64 s[34:35], vcc, s[34:35]
	s_cbranch_execnz .LBB149_55
.LBB149_54:
	s_waitcnt vmcnt(0)
	v_cmp_eq_f16_e32 vcc, v1, v3
	v_cmp_eq_f16_sdwa s[36:37], v1, v3 src0_sel:WORD_1 src1_sel:WORD_1
	s_and_b64 s[36:37], vcc, s[36:37]
	s_andn2_b64 s[34:35], s[34:35], exec
	s_and_b64 s[36:37], s[36:37], exec
	s_or_b64 s[34:35], s[34:35], s[36:37]
.LBB149_55:
	s_waitcnt vmcnt(1)
	v_cndmask_b32_e64 v1, 0, 1, s[34:35]
	v_add_u32_e32 v30, 0x80, v30
	global_store_byte v0, v1, s[0:1]
	s_or_b64 exec, exec, s[30:31]
	v_cmp_gt_i32_e32 vcc, s40, v30
	s_and_saveexec_b64 s[30:31], vcc
	s_cbranch_execz .LBB149_5
.LBB149_56:
	s_andn2_b64 vcc, exec, s[14:15]
	s_cbranch_vccnz .LBB149_62
; %bb.57:
	s_andn2_b64 vcc, exec, s[28:29]
	s_cbranch_vccnz .LBB149_64
; %bb.58:
	s_add_i32 s34, s39, 1
	s_and_b32 s36, s34, 30
	s_add_u32 s34, s12, 0xffffffe8
	s_addc_u32 s35, s13, -1
	v_mov_b32_e32 v2, 0
	v_mov_b32_e32 v4, 0
	;; [unrolled: 1-line block ×4, first 2 shown]
.LBB149_59:                             ; =>This Inner Loop Header: Depth=1
	s_load_dwordx4 s[44:47], s[34:35], 0x1c
	s_load_dwordx2 s[42:43], s[34:35], 0x2c
	s_load_dwordx2 s[52:53], s[34:35], 0xec
	s_load_dwordx4 s[48:51], s[34:35], 0xdc
	s_add_u32 s34, s34, 24
	s_waitcnt vmcnt(1) lgkmcnt(0)
	v_mul_hi_u32 v3, s45, v1
	s_addc_u32 s35, s35, 0
	s_add_i32 s36, s36, -2
	s_cmp_eq_u32 s36, 0
	v_add_u32_e32 v3, v1, v3
	v_lshrrev_b32_e32 v3, s46, v3
	v_mul_lo_u32 v5, v3, s44
	v_mul_hi_u32 v6, s42, v3
	v_sub_u32_e32 v5, v1, v5
	v_add_u32_e32 v1, v3, v6
	v_lshrrev_b32_e32 v1, s43, v1
	v_mul_lo_u32 v8, v1, s47
	v_mul_lo_u32 v6, v5, s48
	v_mul_lo_u32 v7, v5, s49
	v_mul_lo_u32 v5, v5, s50
	v_sub_u32_e32 v3, v3, v8
	v_mul_lo_u32 v8, v3, s51
	v_mul_lo_u32 v9, v3, s52
	;; [unrolled: 1-line block ×3, first 2 shown]
	v_add3_u32 v0, v6, v0, v8
	v_add3_u32 v4, v7, v4, v9
	;; [unrolled: 1-line block ×3, first 2 shown]
	s_cbranch_scc0 .LBB149_59
; %bb.60:
	s_bitcmp1_b32 s39, 0
	s_cselect_b64 s[36:37], -1, 0
	s_and_b64 vcc, exec, s[36:37]
	s_cbranch_vccnz .LBB149_65
; %bb.61:
	s_load_dwordx2 s[36:37], s[34:35], 0x1c
	s_load_dword s41, s[34:35], 0x24
	s_load_dwordx2 s[42:43], s[34:35], 0xdc
	s_waitcnt lgkmcnt(0)
	v_mul_hi_u32 v3, s37, v1
	v_add_u32_e32 v3, v1, v3
	v_lshrrev_b32_e32 v3, s41, v3
	v_mul_lo_u32 v3, v3, s36
	s_load_dword s36, s[34:35], 0xe4
	v_sub_u32_e32 v3, v1, v3
	v_mad_u64_u32 v[0:1], s[34:35], v3, s42, v[0:1]
	v_mad_u64_u32 v[4:5], s[34:35], v3, s43, v[4:5]
	s_waitcnt lgkmcnt(0)
	v_mad_u64_u32 v[2:3], s[34:35], v3, s36, v[2:3]
	s_branch .LBB149_65
.LBB149_62:
                                        ; implicit-def: $vgpr0
                                        ; implicit-def: $vgpr4
                                        ; implicit-def: $vgpr2
	s_branch .LBB149_66
.LBB149_63:
                                        ; implicit-def: $sgpr34_sgpr35
	s_branch .LBB149_54
.LBB149_64:
	v_mov_b32_e32 v0, 0
	v_mov_b32_e32 v4, 0
	;; [unrolled: 1-line block ×3, first 2 shown]
.LBB149_65:
	s_cbranch_execnz .LBB149_68
.LBB149_66:
	v_mul_hi_u32 v0, s9, v30
	s_andn2_b64 vcc, exec, s[26:27]
	v_add_u32_e32 v0, v30, v0
	v_lshrrev_b32_e32 v1, s10, v0
	v_mul_lo_u32 v0, v1, s8
	v_sub_u32_e32 v2, v30, v0
	v_mul_lo_u32 v0, v2, s4
	v_mul_lo_u32 v4, v2, s5
	;; [unrolled: 1-line block ×3, first 2 shown]
	s_cbranch_vccnz .LBB149_68
; %bb.67:
	s_waitcnt vmcnt(1)
	v_mul_hi_u32 v3, s24, v1
	v_add_u32_e32 v3, v1, v3
	v_lshrrev_b32_e32 v3, s25, v3
	v_mul_lo_u32 v3, v3, s11
	v_sub_u32_e32 v3, v1, v3
	v_mad_u64_u32 v[0:1], s[34:35], v3, s7, v[0:1]
	v_mad_u64_u32 v[4:5], s[34:35], v3, s22, v[4:5]
	;; [unrolled: 1-line block ×3, first 2 shown]
.LBB149_68:
	global_load_dword v1, v4, s[2:3]
	global_load_dword v3, v2, s[20:21]
	s_andn2_b64 vcc, exec, s[18:19]
	s_cbranch_vccnz .LBB149_79
; %bb.69:
	s_waitcnt vmcnt(0)
	v_cmp_neq_f16_e32 vcc, v1, v3
	v_cmp_neq_f16_sdwa s[34:35], v1, v3 src0_sel:WORD_1 src1_sel:WORD_1
	s_or_b64 s[34:35], vcc, s[34:35]
	s_cbranch_execnz .LBB149_71
.LBB149_70:
	s_waitcnt vmcnt(0)
	v_cmp_eq_f16_e32 vcc, v1, v3
	v_cmp_eq_f16_sdwa s[36:37], v1, v3 src0_sel:WORD_1 src1_sel:WORD_1
	s_and_b64 s[36:37], vcc, s[36:37]
	s_andn2_b64 s[34:35], s[34:35], exec
	s_and_b64 s[36:37], s[36:37], exec
	s_or_b64 s[34:35], s[34:35], s[36:37]
.LBB149_71:
	s_waitcnt vmcnt(1)
	v_cndmask_b32_e64 v1, 0, 1, s[34:35]
	v_add_u32_e32 v30, 0x80, v30
	global_store_byte v0, v1, s[0:1]
	s_or_b64 exec, exec, s[30:31]
	v_cmp_gt_i32_e32 vcc, s40, v30
	s_and_saveexec_b64 s[30:31], vcc
	s_cbranch_execz .LBB149_6
.LBB149_72:
	s_andn2_b64 vcc, exec, s[14:15]
	s_cbranch_vccnz .LBB149_78
; %bb.73:
	s_andn2_b64 vcc, exec, s[28:29]
	s_cbranch_vccnz .LBB149_80
; %bb.74:
	s_add_i32 s34, s39, 1
	s_and_b32 s36, s34, 30
	s_add_u32 s34, s12, 0xffffffe8
	s_addc_u32 s35, s13, -1
	v_mov_b32_e32 v2, 0
	v_mov_b32_e32 v4, 0
	;; [unrolled: 1-line block ×4, first 2 shown]
.LBB149_75:                             ; =>This Inner Loop Header: Depth=1
	s_load_dwordx4 s[44:47], s[34:35], 0x1c
	s_load_dwordx2 s[42:43], s[34:35], 0x2c
	s_load_dwordx2 s[52:53], s[34:35], 0xec
	s_load_dwordx4 s[48:51], s[34:35], 0xdc
	s_add_u32 s34, s34, 24
	s_waitcnt vmcnt(1) lgkmcnt(0)
	v_mul_hi_u32 v3, s45, v1
	s_addc_u32 s35, s35, 0
	s_add_i32 s36, s36, -2
	s_cmp_eq_u32 s36, 0
	v_add_u32_e32 v3, v1, v3
	v_lshrrev_b32_e32 v3, s46, v3
	v_mul_lo_u32 v5, v3, s44
	v_mul_hi_u32 v6, s42, v3
	v_sub_u32_e32 v5, v1, v5
	v_add_u32_e32 v1, v3, v6
	v_lshrrev_b32_e32 v1, s43, v1
	v_mul_lo_u32 v8, v1, s47
	v_mul_lo_u32 v6, v5, s48
	;; [unrolled: 1-line block ×4, first 2 shown]
	v_sub_u32_e32 v3, v3, v8
	v_mul_lo_u32 v8, v3, s51
	v_mul_lo_u32 v9, v3, s52
	;; [unrolled: 1-line block ×3, first 2 shown]
	v_add3_u32 v0, v6, v0, v8
	v_add3_u32 v4, v7, v4, v9
	;; [unrolled: 1-line block ×3, first 2 shown]
	s_cbranch_scc0 .LBB149_75
; %bb.76:
	s_bitcmp1_b32 s39, 0
	s_cselect_b64 s[36:37], -1, 0
	s_and_b64 vcc, exec, s[36:37]
	s_cbranch_vccnz .LBB149_81
; %bb.77:
	s_load_dwordx2 s[36:37], s[34:35], 0x1c
	s_load_dword s41, s[34:35], 0x24
	s_load_dwordx2 s[42:43], s[34:35], 0xdc
	s_waitcnt lgkmcnt(0)
	v_mul_hi_u32 v3, s37, v1
	v_add_u32_e32 v3, v1, v3
	v_lshrrev_b32_e32 v3, s41, v3
	v_mul_lo_u32 v3, v3, s36
	s_load_dword s36, s[34:35], 0xe4
	v_sub_u32_e32 v3, v1, v3
	v_mad_u64_u32 v[0:1], s[34:35], v3, s42, v[0:1]
	v_mad_u64_u32 v[4:5], s[34:35], v3, s43, v[4:5]
	s_waitcnt lgkmcnt(0)
	v_mad_u64_u32 v[2:3], s[34:35], v3, s36, v[2:3]
	s_branch .LBB149_81
.LBB149_78:
                                        ; implicit-def: $vgpr0
                                        ; implicit-def: $vgpr4
                                        ; implicit-def: $vgpr2
	s_branch .LBB149_82
.LBB149_79:
                                        ; implicit-def: $sgpr34_sgpr35
	s_branch .LBB149_70
.LBB149_80:
	v_mov_b32_e32 v0, 0
	v_mov_b32_e32 v4, 0
	;; [unrolled: 1-line block ×3, first 2 shown]
.LBB149_81:
	s_cbranch_execnz .LBB149_84
.LBB149_82:
	v_mul_hi_u32 v0, s9, v30
	s_andn2_b64 vcc, exec, s[26:27]
	v_add_u32_e32 v0, v30, v0
	v_lshrrev_b32_e32 v1, s10, v0
	v_mul_lo_u32 v0, v1, s8
	v_sub_u32_e32 v2, v30, v0
	v_mul_lo_u32 v0, v2, s4
	v_mul_lo_u32 v4, v2, s5
	;; [unrolled: 1-line block ×3, first 2 shown]
	s_cbranch_vccnz .LBB149_84
; %bb.83:
	s_waitcnt vmcnt(1)
	v_mul_hi_u32 v3, s24, v1
	v_add_u32_e32 v3, v1, v3
	v_lshrrev_b32_e32 v3, s25, v3
	v_mul_lo_u32 v3, v3, s11
	v_sub_u32_e32 v3, v1, v3
	v_mad_u64_u32 v[0:1], s[34:35], v3, s7, v[0:1]
	v_mad_u64_u32 v[4:5], s[34:35], v3, s22, v[4:5]
	;; [unrolled: 1-line block ×3, first 2 shown]
.LBB149_84:
	global_load_dword v1, v4, s[2:3]
	global_load_dword v3, v2, s[20:21]
	s_andn2_b64 vcc, exec, s[18:19]
	s_cbranch_vccnz .LBB149_95
; %bb.85:
	s_waitcnt vmcnt(0)
	v_cmp_neq_f16_e32 vcc, v1, v3
	v_cmp_neq_f16_sdwa s[34:35], v1, v3 src0_sel:WORD_1 src1_sel:WORD_1
	s_or_b64 s[34:35], vcc, s[34:35]
	s_cbranch_execnz .LBB149_87
.LBB149_86:
	s_waitcnt vmcnt(0)
	v_cmp_eq_f16_e32 vcc, v1, v3
	v_cmp_eq_f16_sdwa s[36:37], v1, v3 src0_sel:WORD_1 src1_sel:WORD_1
	s_and_b64 s[36:37], vcc, s[36:37]
	s_andn2_b64 s[34:35], s[34:35], exec
	s_and_b64 s[36:37], s[36:37], exec
	s_or_b64 s[34:35], s[34:35], s[36:37]
.LBB149_87:
	s_waitcnt vmcnt(1)
	v_cndmask_b32_e64 v1, 0, 1, s[34:35]
	v_add_u32_e32 v30, 0x80, v30
	global_store_byte v0, v1, s[0:1]
	s_or_b64 exec, exec, s[30:31]
	v_cmp_gt_i32_e32 vcc, s40, v30
	s_and_saveexec_b64 s[30:31], vcc
	s_cbranch_execz .LBB149_7
.LBB149_88:
	s_andn2_b64 vcc, exec, s[14:15]
	s_cbranch_vccnz .LBB149_94
; %bb.89:
	s_andn2_b64 vcc, exec, s[28:29]
	s_cbranch_vccnz .LBB149_96
; %bb.90:
	s_add_i32 s34, s39, 1
	s_and_b32 s36, s34, 30
	s_add_u32 s34, s12, 0xffffffe8
	s_addc_u32 s35, s13, -1
	v_mov_b32_e32 v2, 0
	v_mov_b32_e32 v4, 0
	;; [unrolled: 1-line block ×4, first 2 shown]
.LBB149_91:                             ; =>This Inner Loop Header: Depth=1
	s_load_dwordx4 s[44:47], s[34:35], 0x1c
	s_load_dwordx2 s[42:43], s[34:35], 0x2c
	s_load_dwordx2 s[52:53], s[34:35], 0xec
	s_load_dwordx4 s[48:51], s[34:35], 0xdc
	s_add_u32 s34, s34, 24
	s_waitcnt vmcnt(1) lgkmcnt(0)
	v_mul_hi_u32 v3, s45, v1
	s_addc_u32 s35, s35, 0
	s_add_i32 s36, s36, -2
	s_cmp_eq_u32 s36, 0
	v_add_u32_e32 v3, v1, v3
	v_lshrrev_b32_e32 v3, s46, v3
	v_mul_lo_u32 v5, v3, s44
	v_mul_hi_u32 v6, s42, v3
	v_sub_u32_e32 v5, v1, v5
	v_add_u32_e32 v1, v3, v6
	v_lshrrev_b32_e32 v1, s43, v1
	v_mul_lo_u32 v8, v1, s47
	v_mul_lo_u32 v6, v5, s48
	;; [unrolled: 1-line block ×4, first 2 shown]
	v_sub_u32_e32 v3, v3, v8
	v_mul_lo_u32 v8, v3, s51
	v_mul_lo_u32 v9, v3, s52
	v_mul_lo_u32 v3, v3, s53
	v_add3_u32 v0, v6, v0, v8
	v_add3_u32 v4, v7, v4, v9
	;; [unrolled: 1-line block ×3, first 2 shown]
	s_cbranch_scc0 .LBB149_91
; %bb.92:
	s_bitcmp1_b32 s39, 0
	s_cselect_b64 s[36:37], -1, 0
	s_and_b64 vcc, exec, s[36:37]
	s_cbranch_vccnz .LBB149_97
; %bb.93:
	s_load_dwordx2 s[36:37], s[34:35], 0x1c
	s_load_dword s41, s[34:35], 0x24
	s_load_dwordx2 s[42:43], s[34:35], 0xdc
	s_waitcnt lgkmcnt(0)
	v_mul_hi_u32 v3, s37, v1
	v_add_u32_e32 v3, v1, v3
	v_lshrrev_b32_e32 v3, s41, v3
	v_mul_lo_u32 v3, v3, s36
	s_load_dword s36, s[34:35], 0xe4
	v_sub_u32_e32 v3, v1, v3
	v_mad_u64_u32 v[0:1], s[34:35], v3, s42, v[0:1]
	v_mad_u64_u32 v[4:5], s[34:35], v3, s43, v[4:5]
	s_waitcnt lgkmcnt(0)
	v_mad_u64_u32 v[2:3], s[34:35], v3, s36, v[2:3]
	s_branch .LBB149_97
.LBB149_94:
                                        ; implicit-def: $vgpr0
                                        ; implicit-def: $vgpr4
                                        ; implicit-def: $vgpr2
	s_branch .LBB149_98
.LBB149_95:
                                        ; implicit-def: $sgpr34_sgpr35
	s_branch .LBB149_86
.LBB149_96:
	v_mov_b32_e32 v0, 0
	v_mov_b32_e32 v4, 0
	;; [unrolled: 1-line block ×3, first 2 shown]
.LBB149_97:
	s_cbranch_execnz .LBB149_100
.LBB149_98:
	v_mul_hi_u32 v0, s9, v30
	s_andn2_b64 vcc, exec, s[26:27]
	v_add_u32_e32 v0, v30, v0
	v_lshrrev_b32_e32 v1, s10, v0
	v_mul_lo_u32 v0, v1, s8
	v_sub_u32_e32 v2, v30, v0
	v_mul_lo_u32 v0, v2, s4
	v_mul_lo_u32 v4, v2, s5
	;; [unrolled: 1-line block ×3, first 2 shown]
	s_cbranch_vccnz .LBB149_100
; %bb.99:
	s_waitcnt vmcnt(1)
	v_mul_hi_u32 v3, s24, v1
	v_add_u32_e32 v3, v1, v3
	v_lshrrev_b32_e32 v3, s25, v3
	v_mul_lo_u32 v3, v3, s11
	v_sub_u32_e32 v3, v1, v3
	v_mad_u64_u32 v[0:1], s[34:35], v3, s7, v[0:1]
	v_mad_u64_u32 v[4:5], s[34:35], v3, s22, v[4:5]
	;; [unrolled: 1-line block ×3, first 2 shown]
.LBB149_100:
	global_load_dword v1, v4, s[2:3]
	global_load_dword v3, v2, s[20:21]
	s_andn2_b64 vcc, exec, s[18:19]
	s_cbranch_vccnz .LBB149_111
; %bb.101:
	s_waitcnt vmcnt(0)
	v_cmp_neq_f16_e32 vcc, v1, v3
	v_cmp_neq_f16_sdwa s[34:35], v1, v3 src0_sel:WORD_1 src1_sel:WORD_1
	s_or_b64 s[34:35], vcc, s[34:35]
	s_cbranch_execnz .LBB149_103
.LBB149_102:
	s_waitcnt vmcnt(0)
	v_cmp_eq_f16_e32 vcc, v1, v3
	v_cmp_eq_f16_sdwa s[36:37], v1, v3 src0_sel:WORD_1 src1_sel:WORD_1
	s_and_b64 s[36:37], vcc, s[36:37]
	s_andn2_b64 s[34:35], s[34:35], exec
	s_and_b64 s[36:37], s[36:37], exec
	s_or_b64 s[34:35], s[34:35], s[36:37]
.LBB149_103:
	s_waitcnt vmcnt(1)
	v_cndmask_b32_e64 v1, 0, 1, s[34:35]
	v_add_u32_e32 v30, 0x80, v30
	global_store_byte v0, v1, s[0:1]
	s_or_b64 exec, exec, s[30:31]
	v_cmp_gt_i32_e32 vcc, s40, v30
	s_and_saveexec_b64 s[30:31], vcc
	s_cbranch_execz .LBB149_8
.LBB149_104:
	s_andn2_b64 vcc, exec, s[14:15]
	s_cbranch_vccnz .LBB149_110
; %bb.105:
	s_andn2_b64 vcc, exec, s[28:29]
	s_cbranch_vccnz .LBB149_112
; %bb.106:
	s_add_i32 s34, s39, 1
	s_and_b32 s36, s34, 30
	s_add_u32 s34, s12, 0xffffffe8
	s_addc_u32 s35, s13, -1
	v_mov_b32_e32 v2, 0
	v_mov_b32_e32 v4, 0
	;; [unrolled: 1-line block ×4, first 2 shown]
.LBB149_107:                            ; =>This Inner Loop Header: Depth=1
	s_load_dwordx4 s[44:47], s[34:35], 0x1c
	s_load_dwordx2 s[42:43], s[34:35], 0x2c
	s_load_dwordx2 s[52:53], s[34:35], 0xec
	s_load_dwordx4 s[48:51], s[34:35], 0xdc
	s_add_u32 s34, s34, 24
	s_waitcnt vmcnt(1) lgkmcnt(0)
	v_mul_hi_u32 v3, s45, v1
	s_addc_u32 s35, s35, 0
	s_add_i32 s36, s36, -2
	s_cmp_eq_u32 s36, 0
	v_add_u32_e32 v3, v1, v3
	v_lshrrev_b32_e32 v3, s46, v3
	v_mul_lo_u32 v5, v3, s44
	v_mul_hi_u32 v6, s42, v3
	v_sub_u32_e32 v5, v1, v5
	v_add_u32_e32 v1, v3, v6
	v_lshrrev_b32_e32 v1, s43, v1
	v_mul_lo_u32 v8, v1, s47
	v_mul_lo_u32 v6, v5, s48
	v_mul_lo_u32 v7, v5, s49
	v_mul_lo_u32 v5, v5, s50
	v_sub_u32_e32 v3, v3, v8
	v_mul_lo_u32 v8, v3, s51
	v_mul_lo_u32 v9, v3, s52
	;; [unrolled: 1-line block ×3, first 2 shown]
	v_add3_u32 v0, v6, v0, v8
	v_add3_u32 v4, v7, v4, v9
	;; [unrolled: 1-line block ×3, first 2 shown]
	s_cbranch_scc0 .LBB149_107
; %bb.108:
	s_bitcmp1_b32 s39, 0
	s_cselect_b64 s[36:37], -1, 0
	s_and_b64 vcc, exec, s[36:37]
	s_cbranch_vccnz .LBB149_113
; %bb.109:
	s_load_dwordx2 s[36:37], s[34:35], 0x1c
	s_load_dword s41, s[34:35], 0x24
	s_load_dwordx2 s[42:43], s[34:35], 0xdc
	s_waitcnt lgkmcnt(0)
	v_mul_hi_u32 v3, s37, v1
	v_add_u32_e32 v3, v1, v3
	v_lshrrev_b32_e32 v3, s41, v3
	v_mul_lo_u32 v3, v3, s36
	s_load_dword s36, s[34:35], 0xe4
	v_sub_u32_e32 v3, v1, v3
	v_mad_u64_u32 v[0:1], s[34:35], v3, s42, v[0:1]
	v_mad_u64_u32 v[4:5], s[34:35], v3, s43, v[4:5]
	s_waitcnt lgkmcnt(0)
	v_mad_u64_u32 v[2:3], s[34:35], v3, s36, v[2:3]
	s_branch .LBB149_113
.LBB149_110:
                                        ; implicit-def: $vgpr0
                                        ; implicit-def: $vgpr4
                                        ; implicit-def: $vgpr2
	s_branch .LBB149_114
.LBB149_111:
                                        ; implicit-def: $sgpr34_sgpr35
	s_branch .LBB149_102
.LBB149_112:
	v_mov_b32_e32 v0, 0
	v_mov_b32_e32 v4, 0
	;; [unrolled: 1-line block ×3, first 2 shown]
.LBB149_113:
	s_cbranch_execnz .LBB149_116
.LBB149_114:
	v_mul_hi_u32 v0, s9, v30
	s_andn2_b64 vcc, exec, s[26:27]
	v_add_u32_e32 v0, v30, v0
	v_lshrrev_b32_e32 v1, s10, v0
	v_mul_lo_u32 v0, v1, s8
	v_sub_u32_e32 v2, v30, v0
	v_mul_lo_u32 v0, v2, s4
	v_mul_lo_u32 v4, v2, s5
	;; [unrolled: 1-line block ×3, first 2 shown]
	s_cbranch_vccnz .LBB149_116
; %bb.115:
	s_waitcnt vmcnt(1)
	v_mul_hi_u32 v3, s24, v1
	v_add_u32_e32 v3, v1, v3
	v_lshrrev_b32_e32 v3, s25, v3
	v_mul_lo_u32 v3, v3, s11
	v_sub_u32_e32 v3, v1, v3
	v_mad_u64_u32 v[0:1], s[34:35], v3, s7, v[0:1]
	v_mad_u64_u32 v[4:5], s[34:35], v3, s22, v[4:5]
	;; [unrolled: 1-line block ×3, first 2 shown]
.LBB149_116:
	global_load_dword v1, v4, s[2:3]
	global_load_dword v3, v2, s[20:21]
	s_andn2_b64 vcc, exec, s[18:19]
	s_cbranch_vccnz .LBB149_127
; %bb.117:
	s_waitcnt vmcnt(0)
	v_cmp_neq_f16_e32 vcc, v1, v3
	v_cmp_neq_f16_sdwa s[34:35], v1, v3 src0_sel:WORD_1 src1_sel:WORD_1
	s_or_b64 s[34:35], vcc, s[34:35]
	s_cbranch_execnz .LBB149_119
.LBB149_118:
	s_waitcnt vmcnt(0)
	v_cmp_eq_f16_e32 vcc, v1, v3
	v_cmp_eq_f16_sdwa s[36:37], v1, v3 src0_sel:WORD_1 src1_sel:WORD_1
	s_and_b64 s[36:37], vcc, s[36:37]
	s_andn2_b64 s[34:35], s[34:35], exec
	s_and_b64 s[36:37], s[36:37], exec
	s_or_b64 s[34:35], s[34:35], s[36:37]
.LBB149_119:
	s_waitcnt vmcnt(1)
	v_cndmask_b32_e64 v1, 0, 1, s[34:35]
	v_add_u32_e32 v30, 0x80, v30
	global_store_byte v0, v1, s[0:1]
	s_or_b64 exec, exec, s[30:31]
	v_cmp_gt_i32_e32 vcc, s40, v30
	s_and_saveexec_b64 s[30:31], vcc
	s_cbranch_execz .LBB149_136
.LBB149_120:
	s_andn2_b64 vcc, exec, s[14:15]
	s_cbranch_vccnz .LBB149_126
; %bb.121:
	s_andn2_b64 vcc, exec, s[28:29]
	s_cbranch_vccnz .LBB149_128
; %bb.122:
	s_add_i32 s28, s39, 1
	s_and_b32 s34, s28, 30
	s_add_u32 s28, s12, 0xffffffe8
	s_addc_u32 s29, s13, -1
	v_mov_b32_e32 v2, 0
	v_mov_b32_e32 v4, 0
	;; [unrolled: 1-line block ×4, first 2 shown]
.LBB149_123:                            ; =>This Inner Loop Header: Depth=1
	s_load_dwordx4 s[40:43], s[28:29], 0x1c
	s_load_dwordx2 s[36:37], s[28:29], 0x2c
	s_load_dwordx2 s[48:49], s[28:29], 0xec
	s_load_dwordx4 s[44:47], s[28:29], 0xdc
	s_add_u32 s28, s28, 24
	s_waitcnt vmcnt(1) lgkmcnt(0)
	v_mul_hi_u32 v3, s41, v1
	s_addc_u32 s29, s29, 0
	s_add_i32 s34, s34, -2
	s_cmp_eq_u32 s34, 0
	v_add_u32_e32 v3, v1, v3
	v_lshrrev_b32_e32 v3, s42, v3
	v_mul_lo_u32 v5, v3, s40
	v_mul_hi_u32 v6, s36, v3
	v_sub_u32_e32 v5, v1, v5
	v_add_u32_e32 v1, v3, v6
	v_lshrrev_b32_e32 v1, s37, v1
	v_mul_lo_u32 v8, v1, s43
	v_mul_lo_u32 v6, v5, s44
	;; [unrolled: 1-line block ×4, first 2 shown]
	v_sub_u32_e32 v3, v3, v8
	v_mul_lo_u32 v8, v3, s47
	v_mul_lo_u32 v9, v3, s48
	;; [unrolled: 1-line block ×3, first 2 shown]
	v_add3_u32 v0, v6, v0, v8
	v_add3_u32 v4, v7, v4, v9
	;; [unrolled: 1-line block ×3, first 2 shown]
	s_cbranch_scc0 .LBB149_123
; %bb.124:
	s_bitcmp1_b32 s39, 0
	s_cselect_b64 s[34:35], -1, 0
	s_and_b64 vcc, exec, s[34:35]
	s_cbranch_vccnz .LBB149_129
; %bb.125:
	s_load_dwordx2 s[34:35], s[28:29], 0x1c
	s_load_dword s39, s[28:29], 0x24
	s_load_dwordx2 s[36:37], s[28:29], 0xdc
	s_waitcnt lgkmcnt(0)
	v_mul_hi_u32 v3, s35, v1
	v_add_u32_e32 v3, v1, v3
	v_lshrrev_b32_e32 v3, s39, v3
	v_mul_lo_u32 v3, v3, s34
	s_load_dword s34, s[28:29], 0xe4
	v_sub_u32_e32 v3, v1, v3
	v_mad_u64_u32 v[0:1], s[28:29], v3, s36, v[0:1]
	v_mad_u64_u32 v[4:5], s[28:29], v3, s37, v[4:5]
	s_waitcnt lgkmcnt(0)
	v_mad_u64_u32 v[2:3], s[28:29], v3, s34, v[2:3]
	s_branch .LBB149_129
.LBB149_126:
                                        ; implicit-def: $vgpr0
                                        ; implicit-def: $vgpr4
                                        ; implicit-def: $vgpr2
	s_branch .LBB149_130
.LBB149_127:
                                        ; implicit-def: $sgpr34_sgpr35
	s_branch .LBB149_118
.LBB149_128:
	v_mov_b32_e32 v0, 0
	v_mov_b32_e32 v4, 0
	;; [unrolled: 1-line block ×3, first 2 shown]
.LBB149_129:
	s_cbranch_execnz .LBB149_132
.LBB149_130:
	v_mul_hi_u32 v0, s9, v30
	s_andn2_b64 vcc, exec, s[26:27]
	v_add_u32_e32 v0, v30, v0
	v_lshrrev_b32_e32 v1, s10, v0
	v_mul_lo_u32 v0, v1, s8
	v_sub_u32_e32 v2, v30, v0
	v_mul_lo_u32 v0, v2, s4
	v_mul_lo_u32 v4, v2, s5
	;; [unrolled: 1-line block ×3, first 2 shown]
	s_cbranch_vccnz .LBB149_132
; %bb.131:
	s_waitcnt vmcnt(1)
	v_mul_hi_u32 v3, s24, v1
	v_add_u32_e32 v3, v1, v3
	v_lshrrev_b32_e32 v3, s25, v3
	v_mul_lo_u32 v3, v3, s11
	v_sub_u32_e32 v3, v1, v3
	v_mad_u64_u32 v[0:1], s[4:5], v3, s7, v[0:1]
	v_mad_u64_u32 v[4:5], s[4:5], v3, s22, v[4:5]
	;; [unrolled: 1-line block ×3, first 2 shown]
.LBB149_132:
	global_load_dword v1, v4, s[2:3]
	global_load_dword v3, v2, s[20:21]
	s_andn2_b64 vcc, exec, s[18:19]
	s_cbranch_vccnz .LBB149_146
; %bb.133:
	s_waitcnt vmcnt(0)
	v_cmp_neq_f16_e32 vcc, v1, v3
	v_cmp_neq_f16_sdwa s[2:3], v1, v3 src0_sel:WORD_1 src1_sel:WORD_1
	s_or_b64 s[2:3], vcc, s[2:3]
	s_cbranch_execnz .LBB149_135
.LBB149_134:
	s_waitcnt vmcnt(0)
	v_cmp_eq_f16_e32 vcc, v1, v3
	v_cmp_eq_f16_sdwa s[4:5], v1, v3 src0_sel:WORD_1 src1_sel:WORD_1
	s_and_b64 s[4:5], vcc, s[4:5]
	s_andn2_b64 s[2:3], s[2:3], exec
	s_and_b64 s[4:5], s[4:5], exec
	s_or_b64 s[2:3], s[2:3], s[4:5]
.LBB149_135:
	s_waitcnt vmcnt(1)
	v_cndmask_b32_e64 v1, 0, 1, s[2:3]
	global_store_byte v0, v1, s[0:1]
.LBB149_136:
	s_or_b64 exec, exec, s[30:31]
                                        ; implicit-def: $vgpr40
                                        ; implicit-def: $vgpr30
.LBB149_137:
	s_andn2_saveexec_b64 s[0:1], s[16:17]
	s_cbranch_execz .LBB149_144
; %bb.138:
	v_cndmask_b32_e64 v0, 0, 1, s[14:15]
	v_cmp_ne_u32_e64 s[0:1], 1, v0
	s_andn2_b64 vcc, exec, s[14:15]
	s_cbranch_vccnz .LBB149_145
; %bb.139:
	s_cmp_lg_u32 s33, 0
	s_cbranch_scc0 .LBB149_147
; %bb.140:
	s_min_u32 s4, s38, 15
	s_add_i32 s2, s4, 1
	s_and_b32 s5, s2, 30
	s_add_u32 s2, s12, 0xffffffe8
	s_addc_u32 s3, s13, -1
	s_waitcnt vmcnt(1)
	v_mov_b32_e32 v3, 0
	v_mov_b32_e32 v5, 0
	;; [unrolled: 1-line block ×4, first 2 shown]
.LBB149_141:                            ; =>This Inner Loop Header: Depth=1
	s_load_dwordx4 s[8:11], s[2:3], 0x1c
	s_load_dwordx2 s[6:7], s[2:3], 0x2c
	s_load_dwordx2 s[14:15], s[2:3], 0xec
	s_load_dwordx4 s[16:19], s[2:3], 0xdc
	s_add_u32 s2, s2, 24
	s_waitcnt lgkmcnt(0)
	v_mul_hi_u32 v2, s9, v1
	s_addc_u32 s3, s3, 0
	s_add_i32 s5, s5, -2
	s_cmp_lg_u32 s5, 0
	v_add_u32_e32 v2, v1, v2
	v_lshrrev_b32_e32 v2, s10, v2
	v_mul_lo_u32 v4, v2, s8
	v_mul_hi_u32 v6, s6, v2
	v_sub_u32_e32 v4, v1, v4
	v_add_u32_e32 v1, v2, v6
	v_lshrrev_b32_e32 v1, s7, v1
	v_mul_lo_u32 v8, v1, s11
	v_mul_lo_u32 v6, v4, s16
	;; [unrolled: 1-line block ×4, first 2 shown]
	v_sub_u32_e32 v2, v2, v8
	v_mul_lo_u32 v8, v2, s19
	v_mul_lo_u32 v9, v2, s14
	;; [unrolled: 1-line block ×3, first 2 shown]
	v_add3_u32 v0, v6, v0, v8
	v_add3_u32 v5, v7, v5, v9
	;; [unrolled: 1-line block ×3, first 2 shown]
	s_cbranch_scc1 .LBB149_141
; %bb.142:
	s_bitcmp1_b32 s4, 0
	s_cselect_b64 s[4:5], -1, 0
	s_and_b64 vcc, exec, s[4:5]
	s_cbranch_vccnz .LBB149_148
; %bb.143:
	s_load_dwordx2 s[4:5], s[2:3], 0x1c
	s_load_dword s8, s[2:3], 0x24
	s_load_dwordx2 s[6:7], s[2:3], 0xdc
	s_waitcnt lgkmcnt(0)
	v_mul_hi_u32 v2, s5, v1
	v_add_u32_e32 v2, v1, v2
	v_lshrrev_b32_e32 v2, s8, v2
	v_mul_lo_u32 v2, v2, s4
	s_load_dword s4, s[2:3], 0xe4
	v_sub_u32_e32 v2, v1, v2
	v_mad_u64_u32 v[0:1], s[2:3], v2, s6, v[0:1]
	v_mad_u64_u32 v[5:6], s[2:3], v2, s7, v[5:6]
	s_waitcnt lgkmcnt(0)
	v_mad_u64_u32 v[3:4], s[2:3], v2, s4, v[3:4]
	s_cbranch_execz .LBB149_149
	s_branch .LBB149_151
.LBB149_144:
	s_endpgm
.LBB149_145:
                                        ; implicit-def: $vgpr0
                                        ; implicit-def: $vgpr5
                                        ; implicit-def: $vgpr3
	s_branch .LBB149_149
.LBB149_146:
                                        ; implicit-def: $sgpr2_sgpr3
	s_branch .LBB149_134
.LBB149_147:
	v_mov_b32_e32 v0, 0
	v_mov_b32_e32 v5, 0
	s_waitcnt vmcnt(1)
	v_mov_b32_e32 v3, 0
.LBB149_148:
	s_cbranch_execnz .LBB149_151
.LBB149_149:
	s_load_dwordx4 s[4:7], s[12:13], 0x4
	s_load_dwordx4 s[8:11], s[12:13], 0xc4
	s_cmp_lt_u32 s33, 2
	s_waitcnt lgkmcnt(0)
	v_mul_hi_u32 v0, s5, v30
	v_add_u32_e32 v0, v30, v0
	v_lshrrev_b32_e32 v1, s6, v0
	v_mul_lo_u32 v0, v1, s4
	v_sub_u32_e32 v2, v30, v0
	v_mul_lo_u32 v0, v2, s8
	v_mul_lo_u32 v5, v2, s9
	s_waitcnt vmcnt(1)
	v_mul_lo_u32 v3, v2, s10
	s_cbranch_scc1 .LBB149_151
; %bb.150:
	s_load_dwordx4 s[4:7], s[12:13], 0x10
	s_load_dwordx4 s[8:11], s[12:13], 0xd0
	s_waitcnt lgkmcnt(0)
	v_mul_hi_u32 v2, s5, v1
	v_add_u32_e32 v2, v1, v2
	v_lshrrev_b32_e32 v2, s6, v2
	v_mul_lo_u32 v2, v2, s4
	v_sub_u32_e32 v2, v1, v2
	v_mad_u64_u32 v[0:1], s[2:3], v2, s8, v[0:1]
	v_mad_u64_u32 v[5:6], s[2:3], v2, s9, v[5:6]
	;; [unrolled: 1-line block ×3, first 2 shown]
.LBB149_151:
	s_and_b64 vcc, exec, s[0:1]
	v_add_u32_e32 v4, 0x80, v30
	s_cbranch_vccnz .LBB149_157
; %bb.152:
	s_cmp_lg_u32 s33, 0
	s_cbranch_scc0 .LBB149_158
; %bb.153:
	s_min_u32 s4, s38, 15
	s_add_i32 s2, s4, 1
	s_and_b32 s5, s2, 30
	s_add_u32 s2, s12, 0xffffffe8
	s_addc_u32 s3, s13, -1
	v_mov_b32_e32 v8, 0
	v_mov_b32_e32 v10, 0
	v_mov_b32_e32 v1, 0
	v_mov_b32_e32 v2, v4
.LBB149_154:                            ; =>This Inner Loop Header: Depth=1
	s_load_dwordx4 s[8:11], s[2:3], 0x1c
	s_load_dwordx2 s[6:7], s[2:3], 0x2c
	s_load_dwordx2 s[14:15], s[2:3], 0xec
	s_load_dwordx4 s[16:19], s[2:3], 0xdc
	s_add_u32 s2, s2, 24
	s_waitcnt lgkmcnt(0)
	v_mul_hi_u32 v6, s9, v2
	s_addc_u32 s3, s3, 0
	s_add_i32 s5, s5, -2
	s_cmp_lg_u32 s5, 0
	v_add_u32_e32 v6, v2, v6
	v_lshrrev_b32_e32 v6, s10, v6
	v_mul_lo_u32 v7, v6, s8
	v_mul_hi_u32 v9, s6, v6
	v_sub_u32_e32 v7, v2, v7
	v_add_u32_e32 v2, v6, v9
	v_lshrrev_b32_e32 v2, s7, v2
	v_mul_lo_u32 v12, v2, s11
	v_mul_lo_u32 v9, v7, s16
	;; [unrolled: 1-line block ×4, first 2 shown]
	v_sub_u32_e32 v6, v6, v12
	v_mul_lo_u32 v12, v6, s19
	v_mul_lo_u32 v13, v6, s14
	;; [unrolled: 1-line block ×3, first 2 shown]
	v_add3_u32 v1, v9, v1, v12
	v_add3_u32 v10, v11, v10, v13
	;; [unrolled: 1-line block ×3, first 2 shown]
	s_cbranch_scc1 .LBB149_154
; %bb.155:
	s_bitcmp1_b32 s4, 0
	s_cselect_b64 s[4:5], -1, 0
	s_and_b64 vcc, exec, s[4:5]
	s_cbranch_vccnz .LBB149_159
; %bb.156:
	s_load_dwordx2 s[4:5], s[2:3], 0x1c
	s_load_dword s8, s[2:3], 0x24
	s_load_dwordx2 s[6:7], s[2:3], 0xdc
	s_waitcnt lgkmcnt(0)
	v_mul_hi_u32 v6, s5, v2
	v_add_u32_e32 v6, v2, v6
	v_lshrrev_b32_e32 v6, s8, v6
	v_mul_lo_u32 v6, v6, s4
	s_load_dword s4, s[2:3], 0xe4
	v_sub_u32_e32 v6, v2, v6
	v_mad_u64_u32 v[1:2], s[2:3], v6, s6, v[1:2]
	v_mad_u64_u32 v[10:11], s[2:3], v6, s7, v[10:11]
	s_waitcnt lgkmcnt(0)
	v_mad_u64_u32 v[8:9], s[2:3], v6, s4, v[8:9]
	s_cbranch_execz .LBB149_160
	s_branch .LBB149_162
.LBB149_157:
                                        ; implicit-def: $vgpr1
                                        ; implicit-def: $vgpr10
                                        ; implicit-def: $vgpr8
	s_branch .LBB149_160
.LBB149_158:
	v_mov_b32_e32 v1, 0
	v_mov_b32_e32 v10, 0
	;; [unrolled: 1-line block ×3, first 2 shown]
.LBB149_159:
	s_cbranch_execnz .LBB149_162
.LBB149_160:
	s_load_dwordx4 s[4:7], s[12:13], 0x4
	s_load_dwordx4 s[8:11], s[12:13], 0xc4
	s_cmp_lt_u32 s33, 2
	s_waitcnt lgkmcnt(0)
	v_mul_hi_u32 v1, s5, v4
	v_add_u32_e32 v1, v4, v1
	v_lshrrev_b32_e32 v2, s6, v1
	v_mul_lo_u32 v1, v2, s4
	v_sub_u32_e32 v4, v4, v1
	v_mul_lo_u32 v1, v4, s8
	v_mul_lo_u32 v10, v4, s9
	;; [unrolled: 1-line block ×3, first 2 shown]
	s_cbranch_scc1 .LBB149_162
; %bb.161:
	s_load_dwordx4 s[4:7], s[12:13], 0x10
	s_load_dwordx4 s[8:11], s[12:13], 0xd0
	s_waitcnt lgkmcnt(0)
	v_mul_hi_u32 v4, s5, v2
	v_add_u32_e32 v4, v2, v4
	v_lshrrev_b32_e32 v4, s6, v4
	v_mul_lo_u32 v4, v4, s4
	v_sub_u32_e32 v4, v2, v4
	v_mad_u64_u32 v[1:2], s[2:3], v4, s8, v[1:2]
	v_mad_u64_u32 v[10:11], s[2:3], v4, s9, v[10:11]
	;; [unrolled: 1-line block ×3, first 2 shown]
.LBB149_162:
	s_and_b64 vcc, exec, s[0:1]
	v_add_u32_e32 v2, 0x100, v30
	s_cbranch_vccnz .LBB149_168
; %bb.163:
	s_cmp_lg_u32 s33, 0
	s_cbranch_scc0 .LBB149_169
; %bb.164:
	s_min_u32 s4, s38, 15
	s_add_i32 s2, s4, 1
	s_and_b32 s5, s2, 30
	s_add_u32 s2, s12, 0xffffffe8
	s_addc_u32 s3, s13, -1
	v_mov_b32_e32 v13, 0
	v_mov_b32_e32 v15, 0
	;; [unrolled: 1-line block ×4, first 2 shown]
.LBB149_165:                            ; =>This Inner Loop Header: Depth=1
	s_load_dwordx4 s[8:11], s[2:3], 0x1c
	s_load_dwordx2 s[6:7], s[2:3], 0x2c
	s_load_dwordx2 s[14:15], s[2:3], 0xec
	s_load_dwordx4 s[16:19], s[2:3], 0xdc
	s_add_u32 s2, s2, 24
	s_waitcnt lgkmcnt(0)
	v_mul_hi_u32 v7, s9, v4
	s_addc_u32 s3, s3, 0
	s_add_i32 s5, s5, -2
	s_cmp_lg_u32 s5, 0
	v_add_u32_e32 v7, v4, v7
	v_lshrrev_b32_e32 v7, s10, v7
	v_mul_lo_u32 v9, v7, s8
	v_mul_hi_u32 v11, s6, v7
	v_sub_u32_e32 v9, v4, v9
	v_add_u32_e32 v4, v7, v11
	v_lshrrev_b32_e32 v4, s7, v4
	v_mul_lo_u32 v14, v4, s11
	v_mul_lo_u32 v11, v9, s16
	;; [unrolled: 1-line block ×4, first 2 shown]
	v_sub_u32_e32 v7, v7, v14
	v_mul_lo_u32 v14, v7, s19
	v_mul_lo_u32 v16, v7, s14
	;; [unrolled: 1-line block ×3, first 2 shown]
	v_add3_u32 v6, v11, v6, v14
	v_add3_u32 v15, v12, v15, v16
	;; [unrolled: 1-line block ×3, first 2 shown]
	s_cbranch_scc1 .LBB149_165
; %bb.166:
	s_bitcmp1_b32 s4, 0
	s_cselect_b64 s[4:5], -1, 0
	s_and_b64 vcc, exec, s[4:5]
	s_cbranch_vccnz .LBB149_170
; %bb.167:
	s_load_dwordx2 s[4:5], s[2:3], 0x1c
	s_load_dword s8, s[2:3], 0x24
	s_load_dwordx2 s[6:7], s[2:3], 0xdc
	s_waitcnt lgkmcnt(0)
	v_mul_hi_u32 v7, s5, v4
	v_add_u32_e32 v7, v4, v7
	v_lshrrev_b32_e32 v7, s8, v7
	v_mul_lo_u32 v7, v7, s4
	s_load_dword s4, s[2:3], 0xe4
	v_sub_u32_e32 v4, v4, v7
	v_mad_u64_u32 v[6:7], s[2:3], v4, s6, v[6:7]
	v_mad_u64_u32 v[15:16], s[2:3], v4, s7, v[15:16]
	s_waitcnt lgkmcnt(0)
	v_mad_u64_u32 v[13:14], s[2:3], v4, s4, v[13:14]
	s_cbranch_execz .LBB149_171
	s_branch .LBB149_173
.LBB149_168:
                                        ; implicit-def: $vgpr6
                                        ; implicit-def: $vgpr15
                                        ; implicit-def: $vgpr13
	s_branch .LBB149_171
.LBB149_169:
	v_mov_b32_e32 v6, 0
	v_mov_b32_e32 v15, 0
	;; [unrolled: 1-line block ×3, first 2 shown]
.LBB149_170:
	s_cbranch_execnz .LBB149_173
.LBB149_171:
	s_load_dwordx4 s[4:7], s[12:13], 0x4
	s_load_dwordx4 s[8:11], s[12:13], 0xc4
	s_cmp_lt_u32 s33, 2
	s_waitcnt lgkmcnt(0)
	v_mul_hi_u32 v4, s5, v2
	v_add_u32_e32 v4, v2, v4
	v_lshrrev_b32_e32 v4, s6, v4
	v_mul_lo_u32 v6, v4, s4
	v_sub_u32_e32 v2, v2, v6
	v_mul_lo_u32 v6, v2, s8
	v_mul_lo_u32 v15, v2, s9
	;; [unrolled: 1-line block ×3, first 2 shown]
	s_cbranch_scc1 .LBB149_173
; %bb.172:
	s_load_dwordx4 s[4:7], s[12:13], 0x10
	s_load_dwordx4 s[8:11], s[12:13], 0xd0
	s_waitcnt lgkmcnt(0)
	v_mul_hi_u32 v2, s5, v4
	v_add_u32_e32 v2, v4, v2
	v_lshrrev_b32_e32 v2, s6, v2
	v_mul_lo_u32 v2, v2, s4
	v_sub_u32_e32 v2, v4, v2
	v_mad_u64_u32 v[6:7], s[2:3], v2, s8, v[6:7]
	v_mad_u64_u32 v[15:16], s[2:3], v2, s9, v[15:16]
	;; [unrolled: 1-line block ×3, first 2 shown]
.LBB149_173:
	s_and_b64 vcc, exec, s[0:1]
	v_add_u32_e32 v2, 0x180, v30
	s_cbranch_vccnz .LBB149_179
; %bb.174:
	s_cmp_lg_u32 s33, 0
	s_cbranch_scc0 .LBB149_180
; %bb.175:
	s_min_u32 s4, s38, 15
	s_add_i32 s2, s4, 1
	s_and_b32 s5, s2, 30
	s_add_u32 s2, s12, 0xffffffe8
	s_addc_u32 s3, s13, -1
	v_mov_b32_e32 v16, 0
	v_mov_b32_e32 v18, 0
	v_mov_b32_e32 v11, 0
	v_mov_b32_e32 v4, v2
.LBB149_176:                            ; =>This Inner Loop Header: Depth=1
	s_load_dwordx4 s[8:11], s[2:3], 0x1c
	s_load_dwordx2 s[6:7], s[2:3], 0x2c
	s_load_dwordx2 s[14:15], s[2:3], 0xec
	s_load_dwordx4 s[16:19], s[2:3], 0xdc
	s_add_u32 s2, s2, 24
	s_waitcnt lgkmcnt(0)
	v_mul_hi_u32 v7, s9, v4
	s_addc_u32 s3, s3, 0
	s_add_i32 s5, s5, -2
	s_cmp_lg_u32 s5, 0
	v_add_u32_e32 v7, v4, v7
	v_lshrrev_b32_e32 v7, s10, v7
	v_mul_lo_u32 v9, v7, s8
	v_mul_hi_u32 v12, s6, v7
	v_sub_u32_e32 v9, v4, v9
	v_add_u32_e32 v4, v7, v12
	v_lshrrev_b32_e32 v4, s7, v4
	v_mul_lo_u32 v17, v4, s11
	v_mul_lo_u32 v12, v9, s16
	;; [unrolled: 1-line block ×4, first 2 shown]
	v_sub_u32_e32 v7, v7, v17
	v_mul_lo_u32 v17, v7, s19
	v_mul_lo_u32 v19, v7, s14
	v_mul_lo_u32 v7, v7, s15
	v_add3_u32 v11, v12, v11, v17
	v_add3_u32 v18, v14, v18, v19
	;; [unrolled: 1-line block ×3, first 2 shown]
	s_cbranch_scc1 .LBB149_176
; %bb.177:
	s_bitcmp1_b32 s4, 0
	s_cselect_b64 s[4:5], -1, 0
	s_and_b64 vcc, exec, s[4:5]
	s_cbranch_vccnz .LBB149_181
; %bb.178:
	s_load_dwordx2 s[4:5], s[2:3], 0x1c
	s_load_dword s8, s[2:3], 0x24
	s_load_dwordx2 s[6:7], s[2:3], 0xdc
	s_waitcnt lgkmcnt(0)
	v_mul_hi_u32 v7, s5, v4
	v_add_u32_e32 v7, v4, v7
	v_lshrrev_b32_e32 v7, s8, v7
	v_mul_lo_u32 v7, v7, s4
	s_load_dword s4, s[2:3], 0xe4
	v_sub_u32_e32 v4, v4, v7
	v_mad_u64_u32 v[11:12], s[2:3], v4, s6, v[11:12]
	v_mad_u64_u32 v[18:19], s[2:3], v4, s7, v[18:19]
	s_waitcnt lgkmcnt(0)
	v_mad_u64_u32 v[16:17], s[2:3], v4, s4, v[16:17]
	s_cbranch_execz .LBB149_182
	s_branch .LBB149_184
.LBB149_179:
                                        ; implicit-def: $vgpr11
                                        ; implicit-def: $vgpr18
                                        ; implicit-def: $vgpr16
	s_branch .LBB149_182
.LBB149_180:
	v_mov_b32_e32 v11, 0
	v_mov_b32_e32 v18, 0
	;; [unrolled: 1-line block ×3, first 2 shown]
.LBB149_181:
	s_cbranch_execnz .LBB149_184
.LBB149_182:
	s_load_dwordx4 s[4:7], s[12:13], 0x4
	s_load_dwordx4 s[8:11], s[12:13], 0xc4
	s_cmp_lt_u32 s33, 2
	s_waitcnt lgkmcnt(0)
	v_mul_hi_u32 v4, s5, v2
	v_add_u32_e32 v4, v2, v4
	v_lshrrev_b32_e32 v4, s6, v4
	v_mul_lo_u32 v7, v4, s4
	v_sub_u32_e32 v2, v2, v7
	v_mul_lo_u32 v11, v2, s8
	v_mul_lo_u32 v18, v2, s9
	;; [unrolled: 1-line block ×3, first 2 shown]
	s_cbranch_scc1 .LBB149_184
; %bb.183:
	s_load_dwordx4 s[4:7], s[12:13], 0x10
	s_load_dwordx4 s[8:11], s[12:13], 0xd0
	s_waitcnt lgkmcnt(0)
	v_mul_hi_u32 v2, s5, v4
	v_add_u32_e32 v2, v4, v2
	v_lshrrev_b32_e32 v2, s6, v2
	v_mul_lo_u32 v2, v2, s4
	v_sub_u32_e32 v2, v4, v2
	v_mad_u64_u32 v[11:12], s[2:3], v2, s8, v[11:12]
	v_mad_u64_u32 v[18:19], s[2:3], v2, s9, v[18:19]
	;; [unrolled: 1-line block ×3, first 2 shown]
.LBB149_184:
	s_and_b64 vcc, exec, s[0:1]
	v_add_u32_e32 v2, 0x200, v30
	s_cbranch_vccnz .LBB149_190
; %bb.185:
	s_cmp_lg_u32 s33, 0
	s_cbranch_scc0 .LBB149_191
; %bb.186:
	s_min_u32 s4, s38, 15
	s_add_i32 s2, s4, 1
	s_and_b32 s5, s2, 30
	s_add_u32 s2, s12, 0xffffffe8
	s_addc_u32 s3, s13, -1
	v_mov_b32_e32 v21, 0
	v_mov_b32_e32 v23, 0
	;; [unrolled: 1-line block ×4, first 2 shown]
.LBB149_187:                            ; =>This Inner Loop Header: Depth=1
	s_load_dwordx4 s[8:11], s[2:3], 0x1c
	s_load_dwordx2 s[6:7], s[2:3], 0x2c
	s_load_dwordx2 s[14:15], s[2:3], 0xec
	s_load_dwordx4 s[16:19], s[2:3], 0xdc
	s_add_u32 s2, s2, 24
	s_waitcnt lgkmcnt(0)
	v_mul_hi_u32 v7, s9, v4
	s_addc_u32 s3, s3, 0
	s_add_i32 s5, s5, -2
	s_cmp_lg_u32 s5, 0
	v_add_u32_e32 v7, v4, v7
	v_lshrrev_b32_e32 v7, s10, v7
	v_mul_lo_u32 v9, v7, s8
	v_mul_hi_u32 v12, s6, v7
	v_sub_u32_e32 v9, v4, v9
	v_add_u32_e32 v4, v7, v12
	v_lshrrev_b32_e32 v4, s7, v4
	v_mul_lo_u32 v17, v4, s11
	v_mul_lo_u32 v12, v9, s16
	;; [unrolled: 1-line block ×4, first 2 shown]
	v_sub_u32_e32 v7, v7, v17
	v_mul_lo_u32 v17, v7, s19
	v_mul_lo_u32 v20, v7, s14
	;; [unrolled: 1-line block ×3, first 2 shown]
	v_add3_u32 v19, v12, v19, v17
	v_add3_u32 v23, v14, v23, v20
	;; [unrolled: 1-line block ×3, first 2 shown]
	s_cbranch_scc1 .LBB149_187
; %bb.188:
	s_bitcmp1_b32 s4, 0
	s_cselect_b64 s[4:5], -1, 0
	s_and_b64 vcc, exec, s[4:5]
	s_cbranch_vccnz .LBB149_192
; %bb.189:
	s_load_dwordx2 s[4:5], s[2:3], 0x1c
	s_load_dword s8, s[2:3], 0x24
	s_load_dwordx2 s[6:7], s[2:3], 0xdc
	s_waitcnt lgkmcnt(0)
	v_mul_hi_u32 v7, s5, v4
	v_add_u32_e32 v7, v4, v7
	v_lshrrev_b32_e32 v7, s8, v7
	v_mul_lo_u32 v7, v7, s4
	s_load_dword s4, s[2:3], 0xe4
	v_sub_u32_e32 v4, v4, v7
	v_mad_u64_u32 v[19:20], s[2:3], v4, s6, v[19:20]
	v_mad_u64_u32 v[23:24], s[2:3], v4, s7, v[23:24]
	s_waitcnt lgkmcnt(0)
	v_mad_u64_u32 v[21:22], s[2:3], v4, s4, v[21:22]
	s_cbranch_execz .LBB149_193
	s_branch .LBB149_195
.LBB149_190:
                                        ; implicit-def: $vgpr19
                                        ; implicit-def: $vgpr23
                                        ; implicit-def: $vgpr21
	s_branch .LBB149_193
.LBB149_191:
	v_mov_b32_e32 v19, 0
	v_mov_b32_e32 v23, 0
	;; [unrolled: 1-line block ×3, first 2 shown]
.LBB149_192:
	s_cbranch_execnz .LBB149_195
.LBB149_193:
	s_load_dwordx4 s[4:7], s[12:13], 0x4
	s_load_dwordx4 s[8:11], s[12:13], 0xc4
	s_cmp_lt_u32 s33, 2
	s_waitcnt lgkmcnt(0)
	v_mul_hi_u32 v4, s5, v2
	v_add_u32_e32 v4, v2, v4
	v_lshrrev_b32_e32 v4, s6, v4
	v_mul_lo_u32 v7, v4, s4
	v_sub_u32_e32 v2, v2, v7
	v_mul_lo_u32 v19, v2, s8
	v_mul_lo_u32 v23, v2, s9
	;; [unrolled: 1-line block ×3, first 2 shown]
	s_cbranch_scc1 .LBB149_195
; %bb.194:
	s_load_dwordx4 s[4:7], s[12:13], 0x10
	s_load_dwordx4 s[8:11], s[12:13], 0xd0
	s_waitcnt lgkmcnt(0)
	v_mul_hi_u32 v2, s5, v4
	v_add_u32_e32 v2, v4, v2
	v_lshrrev_b32_e32 v2, s6, v2
	v_mul_lo_u32 v2, v2, s4
	v_sub_u32_e32 v2, v4, v2
	v_mad_u64_u32 v[19:20], s[2:3], v2, s8, v[19:20]
	v_mad_u64_u32 v[23:24], s[2:3], v2, s9, v[23:24]
	;; [unrolled: 1-line block ×3, first 2 shown]
.LBB149_195:
	s_and_b64 vcc, exec, s[0:1]
	v_add_u32_e32 v2, 0x280, v30
	s_cbranch_vccnz .LBB149_201
; %bb.196:
	s_cmp_lg_u32 s33, 0
	s_cbranch_scc0 .LBB149_202
; %bb.197:
	s_min_u32 s4, s38, 15
	s_add_i32 s2, s4, 1
	s_and_b32 s5, s2, 30
	s_add_u32 s2, s12, 0xffffffe8
	s_addc_u32 s3, s13, -1
	v_mov_b32_e32 v26, 0
	v_mov_b32_e32 v28, 0
	;; [unrolled: 1-line block ×4, first 2 shown]
.LBB149_198:                            ; =>This Inner Loop Header: Depth=1
	s_load_dwordx4 s[8:11], s[2:3], 0x1c
	s_load_dwordx2 s[6:7], s[2:3], 0x2c
	s_load_dwordx2 s[14:15], s[2:3], 0xec
	s_load_dwordx4 s[16:19], s[2:3], 0xdc
	s_add_u32 s2, s2, 24
	s_waitcnt lgkmcnt(0)
	v_mul_hi_u32 v7, s9, v4
	s_addc_u32 s3, s3, 0
	s_add_i32 s5, s5, -2
	s_cmp_lg_u32 s5, 0
	v_add_u32_e32 v7, v4, v7
	v_lshrrev_b32_e32 v7, s10, v7
	v_mul_lo_u32 v9, v7, s8
	v_mul_hi_u32 v12, s6, v7
	v_sub_u32_e32 v9, v4, v9
	v_add_u32_e32 v4, v7, v12
	v_lshrrev_b32_e32 v4, s7, v4
	v_mul_lo_u32 v17, v4, s11
	v_mul_lo_u32 v12, v9, s16
	;; [unrolled: 1-line block ×4, first 2 shown]
	v_sub_u32_e32 v7, v7, v17
	v_mul_lo_u32 v17, v7, s19
	v_mul_lo_u32 v20, v7, s14
	;; [unrolled: 1-line block ×3, first 2 shown]
	v_add3_u32 v24, v12, v24, v17
	v_add3_u32 v28, v14, v28, v20
	;; [unrolled: 1-line block ×3, first 2 shown]
	s_cbranch_scc1 .LBB149_198
; %bb.199:
	s_bitcmp1_b32 s4, 0
	s_cselect_b64 s[4:5], -1, 0
	s_and_b64 vcc, exec, s[4:5]
	s_cbranch_vccnz .LBB149_203
; %bb.200:
	s_load_dwordx2 s[4:5], s[2:3], 0x1c
	s_load_dword s8, s[2:3], 0x24
	s_load_dwordx2 s[6:7], s[2:3], 0xdc
	s_waitcnt lgkmcnt(0)
	v_mul_hi_u32 v7, s5, v4
	v_add_u32_e32 v7, v4, v7
	v_lshrrev_b32_e32 v7, s8, v7
	v_mul_lo_u32 v7, v7, s4
	s_load_dword s4, s[2:3], 0xe4
	v_sub_u32_e32 v4, v4, v7
	v_mad_u64_u32 v[24:25], s[2:3], v4, s6, v[24:25]
	v_mad_u64_u32 v[28:29], s[2:3], v4, s7, v[28:29]
	s_waitcnt lgkmcnt(0)
	v_mad_u64_u32 v[26:27], s[2:3], v4, s4, v[26:27]
	s_cbranch_execz .LBB149_204
	s_branch .LBB149_206
.LBB149_201:
                                        ; implicit-def: $vgpr24
                                        ; implicit-def: $vgpr28
                                        ; implicit-def: $vgpr26
	s_branch .LBB149_204
.LBB149_202:
	v_mov_b32_e32 v24, 0
	v_mov_b32_e32 v28, 0
	;; [unrolled: 1-line block ×3, first 2 shown]
.LBB149_203:
	s_cbranch_execnz .LBB149_206
.LBB149_204:
	s_load_dwordx4 s[4:7], s[12:13], 0x4
	s_load_dwordx4 s[8:11], s[12:13], 0xc4
	s_cmp_lt_u32 s33, 2
	s_waitcnt lgkmcnt(0)
	v_mul_hi_u32 v4, s5, v2
	v_add_u32_e32 v4, v2, v4
	v_lshrrev_b32_e32 v4, s6, v4
	v_mul_lo_u32 v7, v4, s4
	v_sub_u32_e32 v2, v2, v7
	v_mul_lo_u32 v24, v2, s8
	v_mul_lo_u32 v28, v2, s9
	;; [unrolled: 1-line block ×3, first 2 shown]
	s_cbranch_scc1 .LBB149_206
; %bb.205:
	s_load_dwordx4 s[4:7], s[12:13], 0x10
	s_load_dwordx4 s[8:11], s[12:13], 0xd0
	s_waitcnt lgkmcnt(0)
	v_mul_hi_u32 v2, s5, v4
	v_add_u32_e32 v2, v4, v2
	v_lshrrev_b32_e32 v2, s6, v2
	v_mul_lo_u32 v2, v2, s4
	v_sub_u32_e32 v2, v4, v2
	v_mad_u64_u32 v[24:25], s[2:3], v2, s8, v[24:25]
	v_mad_u64_u32 v[28:29], s[2:3], v2, s9, v[28:29]
	;; [unrolled: 1-line block ×3, first 2 shown]
.LBB149_206:
	s_and_b64 vcc, exec, s[0:1]
	v_add_u32_e32 v2, 0x300, v30
	s_cbranch_vccnz .LBB149_212
; %bb.207:
	s_cmp_lg_u32 s33, 0
	s_cbranch_scc0 .LBB149_213
; %bb.208:
	s_min_u32 s4, s38, 15
	s_add_i32 s2, s4, 1
	s_and_b32 s5, s2, 30
	s_add_u32 s2, s12, 0xffffffe8
	s_addc_u32 s3, s13, -1
	v_mov_b32_e32 v31, 0
	v_mov_b32_e32 v33, 0
	;; [unrolled: 1-line block ×4, first 2 shown]
.LBB149_209:                            ; =>This Inner Loop Header: Depth=1
	s_load_dwordx4 s[8:11], s[2:3], 0x1c
	s_load_dwordx2 s[6:7], s[2:3], 0x2c
	s_load_dwordx2 s[14:15], s[2:3], 0xec
	s_load_dwordx4 s[16:19], s[2:3], 0xdc
	s_add_u32 s2, s2, 24
	s_waitcnt lgkmcnt(0)
	v_mul_hi_u32 v7, s9, v4
	s_addc_u32 s3, s3, 0
	s_add_i32 s5, s5, -2
	s_cmp_lg_u32 s5, 0
	v_add_u32_e32 v7, v4, v7
	v_lshrrev_b32_e32 v7, s10, v7
	v_mul_lo_u32 v9, v7, s8
	v_mul_hi_u32 v12, s6, v7
	v_sub_u32_e32 v9, v4, v9
	v_add_u32_e32 v4, v7, v12
	v_lshrrev_b32_e32 v4, s7, v4
	v_mul_lo_u32 v17, v4, s11
	v_mul_lo_u32 v12, v9, s16
	;; [unrolled: 1-line block ×4, first 2 shown]
	v_sub_u32_e32 v7, v7, v17
	v_mul_lo_u32 v17, v7, s19
	v_mul_lo_u32 v20, v7, s14
	;; [unrolled: 1-line block ×3, first 2 shown]
	v_add3_u32 v29, v12, v29, v17
	v_add3_u32 v33, v14, v33, v20
	;; [unrolled: 1-line block ×3, first 2 shown]
	s_cbranch_scc1 .LBB149_209
; %bb.210:
	s_bitcmp1_b32 s4, 0
	s_cselect_b64 s[4:5], -1, 0
	s_and_b64 vcc, exec, s[4:5]
	s_cbranch_vccnz .LBB149_214
; %bb.211:
	s_load_dwordx2 s[4:5], s[2:3], 0x1c
	s_load_dword s8, s[2:3], 0x24
	s_load_dwordx2 s[6:7], s[2:3], 0xdc
	s_waitcnt lgkmcnt(0)
	v_mul_hi_u32 v7, s5, v4
	v_add_u32_e32 v7, v4, v7
	v_lshrrev_b32_e32 v7, s8, v7
	v_mul_lo_u32 v7, v7, s4
	s_load_dword s4, s[2:3], 0xe4
	v_sub_u32_e32 v4, v4, v7
	v_mad_u64_u32 v[29:30], s[2:3], v4, s6, v[29:30]
	v_mad_u64_u32 v[33:34], s[2:3], v4, s7, v[33:34]
	s_waitcnt lgkmcnt(0)
	v_mad_u64_u32 v[31:32], s[2:3], v4, s4, v[31:32]
	s_cbranch_execz .LBB149_215
	s_branch .LBB149_217
.LBB149_212:
                                        ; implicit-def: $vgpr29
                                        ; implicit-def: $vgpr33
                                        ; implicit-def: $vgpr31
	s_branch .LBB149_215
.LBB149_213:
	v_mov_b32_e32 v29, 0
	v_mov_b32_e32 v33, 0
	;; [unrolled: 1-line block ×3, first 2 shown]
.LBB149_214:
	s_cbranch_execnz .LBB149_217
.LBB149_215:
	s_load_dwordx4 s[4:7], s[12:13], 0x4
	s_load_dwordx4 s[8:11], s[12:13], 0xc4
	s_cmp_lt_u32 s33, 2
	s_waitcnt lgkmcnt(0)
	v_mul_hi_u32 v4, s5, v2
	v_add_u32_e32 v4, v2, v4
	v_lshrrev_b32_e32 v4, s6, v4
	v_mul_lo_u32 v7, v4, s4
	v_sub_u32_e32 v2, v2, v7
	v_mul_lo_u32 v29, v2, s8
	v_mul_lo_u32 v33, v2, s9
	;; [unrolled: 1-line block ×3, first 2 shown]
	s_cbranch_scc1 .LBB149_217
; %bb.216:
	s_load_dwordx4 s[4:7], s[12:13], 0x10
	s_load_dwordx4 s[8:11], s[12:13], 0xd0
	s_waitcnt lgkmcnt(0)
	v_mul_hi_u32 v2, s5, v4
	v_add_u32_e32 v2, v4, v2
	v_lshrrev_b32_e32 v2, s6, v2
	v_mul_lo_u32 v2, v2, s4
	v_sub_u32_e32 v2, v4, v2
	v_mad_u64_u32 v[29:30], s[2:3], v2, s8, v[29:30]
	v_mad_u64_u32 v[33:34], s[2:3], v2, s9, v[33:34]
	;; [unrolled: 1-line block ×3, first 2 shown]
.LBB149_217:
	s_and_b64 vcc, exec, s[0:1]
	s_cbranch_vccnz .LBB149_223
; %bb.218:
	s_cmp_lg_u32 s33, 0
	s_cbranch_scc0 .LBB149_224
; %bb.219:
	s_min_u32 s2, s38, 15
	s_add_i32 s0, s2, 1
	s_and_b32 s3, s0, 30
	s_add_u32 s0, s12, 0xffffffe8
	s_addc_u32 s1, s13, -1
	v_mov_b32_e32 v36, 0
	v_mov_b32_e32 v38, 0
	;; [unrolled: 1-line block ×4, first 2 shown]
.LBB149_220:                            ; =>This Inner Loop Header: Depth=1
	s_load_dwordx4 s[4:7], s[0:1], 0x1c
	s_load_dwordx2 s[14:15], s[0:1], 0x2c
	s_load_dwordx2 s[16:17], s[0:1], 0xec
	s_load_dwordx4 s[8:11], s[0:1], 0xdc
	s_add_u32 s0, s0, 24
	s_waitcnt lgkmcnt(0)
	v_mul_hi_u32 v4, s5, v2
	s_addc_u32 s1, s1, 0
	s_add_i32 s3, s3, -2
	s_cmp_lg_u32 s3, 0
	v_add_u32_e32 v4, v2, v4
	v_lshrrev_b32_e32 v4, s6, v4
	v_mul_lo_u32 v7, v4, s4
	v_mul_hi_u32 v9, s14, v4
	v_sub_u32_e32 v7, v2, v7
	v_add_u32_e32 v2, v4, v9
	v_lshrrev_b32_e32 v2, s15, v2
	v_mul_lo_u32 v14, v2, s7
	v_mul_lo_u32 v9, v7, s8
	;; [unrolled: 1-line block ×4, first 2 shown]
	v_sub_u32_e32 v4, v4, v14
	v_mul_lo_u32 v14, v4, s11
	v_mul_lo_u32 v17, v4, s16
	;; [unrolled: 1-line block ×3, first 2 shown]
	v_add3_u32 v34, v9, v34, v14
	v_add3_u32 v38, v12, v38, v17
	;; [unrolled: 1-line block ×3, first 2 shown]
	s_cbranch_scc1 .LBB149_220
; %bb.221:
	s_bitcmp1_b32 s2, 0
	s_cselect_b64 s[2:3], -1, 0
	s_and_b64 vcc, exec, s[2:3]
	s_cbranch_vccnz .LBB149_225
; %bb.222:
	s_load_dwordx2 s[2:3], s[0:1], 0x1c
	s_load_dword s6, s[0:1], 0x24
	s_load_dwordx2 s[4:5], s[0:1], 0xdc
	s_waitcnt lgkmcnt(0)
	v_mul_hi_u32 v4, s3, v2
	v_add_u32_e32 v4, v2, v4
	v_lshrrev_b32_e32 v4, s6, v4
	v_mul_lo_u32 v4, v4, s2
	s_load_dword s2, s[0:1], 0xe4
	v_sub_u32_e32 v2, v2, v4
	v_mad_u64_u32 v[34:35], s[0:1], v2, s4, v[34:35]
	v_mad_u64_u32 v[38:39], s[0:1], v2, s5, v[38:39]
	s_waitcnt lgkmcnt(0)
	v_mad_u64_u32 v[36:37], s[0:1], v2, s2, v[36:37]
	s_cbranch_execz .LBB149_226
	s_branch .LBB149_228
.LBB149_223:
                                        ; implicit-def: $vgpr34
                                        ; implicit-def: $vgpr38
                                        ; implicit-def: $vgpr36
	s_branch .LBB149_226
.LBB149_224:
	v_mov_b32_e32 v34, 0
	v_mov_b32_e32 v38, 0
	;; [unrolled: 1-line block ×3, first 2 shown]
.LBB149_225:
	s_cbranch_execnz .LBB149_228
.LBB149_226:
	s_load_dwordx4 s[0:3], s[12:13], 0x4
	s_load_dwordx4 s[4:7], s[12:13], 0xc4
	s_cmp_lt_u32 s33, 2
	s_waitcnt lgkmcnt(0)
	v_mul_hi_u32 v2, s1, v40
	v_add_u32_e32 v2, v40, v2
	v_lshrrev_b32_e32 v2, s2, v2
	v_mul_lo_u32 v4, v2, s0
	v_sub_u32_e32 v4, v40, v4
	v_mul_lo_u32 v34, v4, s4
	v_mul_lo_u32 v38, v4, s5
	;; [unrolled: 1-line block ×3, first 2 shown]
	s_cbranch_scc1 .LBB149_228
; %bb.227:
	s_load_dwordx4 s[0:3], s[12:13], 0x10
	s_load_dwordx4 s[4:7], s[12:13], 0xd0
	s_waitcnt lgkmcnt(0)
	v_mul_hi_u32 v4, s1, v2
	v_add_u32_e32 v4, v2, v4
	v_lshrrev_b32_e32 v4, s2, v4
	v_mul_lo_u32 v4, v4, s0
	v_sub_u32_e32 v2, v2, v4
	v_mad_u64_u32 v[34:35], s[0:1], v2, s4, v[34:35]
	v_mad_u64_u32 v[38:39], s[0:1], v2, s5, v[38:39]
	;; [unrolled: 1-line block ×3, first 2 shown]
.LBB149_228:
	s_load_dwordx4 s[0:3], s[12:13], 0x188
	s_load_dwordx2 s[6:7], s[12:13], 0x198
	s_load_dword s4, s[12:13], 0x1a0
	s_waitcnt lgkmcnt(0)
	global_load_dword v2, v5, s[2:3]
	s_waitcnt vmcnt(2)
	global_load_dword v4, v3, s[6:7]
	s_cmp_lg_u32 s4, 0
	s_cselect_b64 s[8:9], -1, 0
	s_and_b64 vcc, exec, s[8:9]
	s_cbranch_vccz .LBB149_253
; %bb.229:
	s_waitcnt vmcnt(0)
	v_cmp_neq_f16_e32 vcc, v2, v4
	v_cmp_neq_f16_sdwa s[4:5], v2, v4 src0_sel:WORD_1 src1_sel:WORD_1
	s_or_b64 s[4:5], vcc, s[4:5]
	s_cbranch_execnz .LBB149_231
.LBB149_230:
	s_waitcnt vmcnt(0)
	v_cmp_eq_f16_e32 vcc, v2, v4
	v_cmp_eq_f16_sdwa s[10:11], v2, v4 src0_sel:WORD_1 src1_sel:WORD_1
	s_and_b64 s[10:11], vcc, s[10:11]
	s_andn2_b64 s[4:5], s[4:5], exec
	s_and_b64 s[10:11], s[10:11], exec
	s_or_b64 s[4:5], s[4:5], s[10:11]
.LBB149_231:
	global_load_dword v2, v10, s[2:3]
	global_load_dword v3, v8, s[6:7]
	s_and_b64 vcc, exec, s[8:9]
	s_cbranch_vccz .LBB149_254
; %bb.232:
	s_waitcnt vmcnt(0)
	v_cmp_neq_f16_e32 vcc, v2, v3
	v_cmp_neq_f16_sdwa s[10:11], v2, v3 src0_sel:WORD_1 src1_sel:WORD_1
	s_or_b64 s[10:11], vcc, s[10:11]
	s_cbranch_execnz .LBB149_234
.LBB149_233:
	s_waitcnt vmcnt(0)
	v_cmp_eq_f16_e32 vcc, v2, v3
	v_cmp_eq_f16_sdwa s[12:13], v2, v3 src0_sel:WORD_1 src1_sel:WORD_1
	s_and_b64 s[12:13], vcc, s[12:13]
	s_andn2_b64 s[10:11], s[10:11], exec
	s_and_b64 s[12:13], s[12:13], exec
	s_or_b64 s[10:11], s[10:11], s[12:13]
.LBB149_234:
	global_load_dword v2, v15, s[2:3]
	global_load_dword v3, v13, s[6:7]
	s_and_b64 vcc, exec, s[8:9]
	s_cbranch_vccz .LBB149_255
; %bb.235:
	s_waitcnt vmcnt(0)
	v_cmp_neq_f16_e32 vcc, v2, v3
	v_cmp_neq_f16_sdwa s[12:13], v2, v3 src0_sel:WORD_1 src1_sel:WORD_1
	s_or_b64 s[12:13], vcc, s[12:13]
	s_cbranch_execnz .LBB149_237
.LBB149_236:
	s_waitcnt vmcnt(0)
	v_cmp_eq_f16_e32 vcc, v2, v3
	v_cmp_eq_f16_sdwa s[14:15], v2, v3 src0_sel:WORD_1 src1_sel:WORD_1
	s_and_b64 s[14:15], vcc, s[14:15]
	s_andn2_b64 s[12:13], s[12:13], exec
	s_and_b64 s[14:15], s[14:15], exec
	s_or_b64 s[12:13], s[12:13], s[14:15]
.LBB149_237:
	global_load_dword v2, v18, s[2:3]
	global_load_dword v3, v16, s[6:7]
	s_and_b64 vcc, exec, s[8:9]
	s_cbranch_vccz .LBB149_256
; %bb.238:
	s_waitcnt vmcnt(0)
	v_cmp_neq_f16_e32 vcc, v2, v3
	v_cmp_neq_f16_sdwa s[14:15], v2, v3 src0_sel:WORD_1 src1_sel:WORD_1
	s_or_b64 s[14:15], vcc, s[14:15]
	s_cbranch_execnz .LBB149_240
.LBB149_239:
	s_waitcnt vmcnt(0)
	v_cmp_eq_f16_e32 vcc, v2, v3
	v_cmp_eq_f16_sdwa s[16:17], v2, v3 src0_sel:WORD_1 src1_sel:WORD_1
	s_and_b64 s[16:17], vcc, s[16:17]
	s_andn2_b64 s[14:15], s[14:15], exec
	s_and_b64 s[16:17], s[16:17], exec
	s_or_b64 s[14:15], s[14:15], s[16:17]
.LBB149_240:
	global_load_dword v2, v23, s[2:3]
	global_load_dword v3, v21, s[6:7]
	s_and_b64 vcc, exec, s[8:9]
	s_cbranch_vccz .LBB149_257
; %bb.241:
	s_waitcnt vmcnt(0)
	v_cmp_neq_f16_e32 vcc, v2, v3
	v_cmp_neq_f16_sdwa s[16:17], v2, v3 src0_sel:WORD_1 src1_sel:WORD_1
	s_or_b64 s[16:17], vcc, s[16:17]
	s_cbranch_execnz .LBB149_243
.LBB149_242:
	s_waitcnt vmcnt(0)
	v_cmp_eq_f16_e32 vcc, v2, v3
	v_cmp_eq_f16_sdwa s[18:19], v2, v3 src0_sel:WORD_1 src1_sel:WORD_1
	s_and_b64 s[18:19], vcc, s[18:19]
	s_andn2_b64 s[16:17], s[16:17], exec
	s_and_b64 s[18:19], s[18:19], exec
	s_or_b64 s[16:17], s[16:17], s[18:19]
.LBB149_243:
	global_load_dword v2, v28, s[2:3]
	global_load_dword v3, v26, s[6:7]
	s_and_b64 vcc, exec, s[8:9]
	s_cbranch_vccz .LBB149_258
; %bb.244:
	s_waitcnt vmcnt(0)
	v_cmp_neq_f16_e32 vcc, v2, v3
	v_cmp_neq_f16_sdwa s[18:19], v2, v3 src0_sel:WORD_1 src1_sel:WORD_1
	s_or_b64 s[18:19], vcc, s[18:19]
	s_cbranch_execnz .LBB149_246
.LBB149_245:
	s_waitcnt vmcnt(0)
	v_cmp_eq_f16_e32 vcc, v2, v3
	v_cmp_eq_f16_sdwa s[20:21], v2, v3 src0_sel:WORD_1 src1_sel:WORD_1
	s_and_b64 s[20:21], vcc, s[20:21]
	s_andn2_b64 s[18:19], s[18:19], exec
	s_and_b64 s[20:21], s[20:21], exec
	s_or_b64 s[18:19], s[18:19], s[20:21]
.LBB149_246:
	global_load_dword v2, v33, s[2:3]
	global_load_dword v3, v31, s[6:7]
	s_and_b64 vcc, exec, s[8:9]
	s_cbranch_vccz .LBB149_259
; %bb.247:
	s_waitcnt vmcnt(0)
	v_cmp_neq_f16_e32 vcc, v2, v3
	v_cmp_neq_f16_sdwa s[20:21], v2, v3 src0_sel:WORD_1 src1_sel:WORD_1
	s_or_b64 s[20:21], vcc, s[20:21]
	s_cbranch_execnz .LBB149_249
.LBB149_248:
	s_waitcnt vmcnt(0)
	v_cmp_eq_f16_e32 vcc, v2, v3
	v_cmp_eq_f16_sdwa s[22:23], v2, v3 src0_sel:WORD_1 src1_sel:WORD_1
	s_and_b64 s[22:23], vcc, s[22:23]
	s_andn2_b64 s[20:21], s[20:21], exec
	s_and_b64 s[22:23], s[22:23], exec
	s_or_b64 s[20:21], s[20:21], s[22:23]
.LBB149_249:
	global_load_dword v2, v38, s[2:3]
	global_load_dword v3, v36, s[6:7]
	s_and_b64 vcc, exec, s[8:9]
	s_cbranch_vccz .LBB149_260
; %bb.250:
	s_waitcnt vmcnt(0)
	v_cmp_neq_f16_e32 vcc, v2, v3
	v_cmp_neq_f16_sdwa s[2:3], v2, v3 src0_sel:WORD_1 src1_sel:WORD_1
	s_or_b64 s[2:3], vcc, s[2:3]
	s_cbranch_execnz .LBB149_252
.LBB149_251:
	s_waitcnt vmcnt(0)
	v_cmp_eq_f16_e32 vcc, v2, v3
	v_cmp_eq_f16_sdwa s[6:7], v2, v3 src0_sel:WORD_1 src1_sel:WORD_1
	s_and_b64 s[6:7], vcc, s[6:7]
	s_andn2_b64 s[2:3], s[2:3], exec
	s_and_b64 s[6:7], s[6:7], exec
	s_or_b64 s[2:3], s[2:3], s[6:7]
.LBB149_252:
	v_cndmask_b32_e64 v9, 0, 1, s[4:5]
	s_waitcnt vmcnt(1)
	v_cndmask_b32_e64 v2, 0, 1, s[20:21]
	s_waitcnt vmcnt(0)
	v_cndmask_b32_e64 v3, 0, 1, s[18:19]
	v_cndmask_b32_e64 v4, 0, 1, s[16:17]
	;; [unrolled: 1-line block ×6, first 2 shown]
	global_store_byte v0, v9, s[0:1]
	global_store_byte v1, v8, s[0:1]
	;; [unrolled: 1-line block ×8, first 2 shown]
	s_endpgm
.LBB149_253:
                                        ; implicit-def: $sgpr4_sgpr5
	s_branch .LBB149_230
.LBB149_254:
                                        ; implicit-def: $sgpr10_sgpr11
	s_branch .LBB149_233
.LBB149_255:
                                        ; implicit-def: $sgpr12_sgpr13
	s_branch .LBB149_236
.LBB149_256:
                                        ; implicit-def: $sgpr14_sgpr15
	s_branch .LBB149_239
.LBB149_257:
                                        ; implicit-def: $sgpr16_sgpr17
	s_branch .LBB149_242
.LBB149_258:
                                        ; implicit-def: $sgpr18_sgpr19
	s_branch .LBB149_245
.LBB149_259:
                                        ; implicit-def: $sgpr20_sgpr21
	s_branch .LBB149_248
.LBB149_260:
                                        ; implicit-def: $sgpr2_sgpr3
	s_branch .LBB149_251
	.section	.rodata,"a",@progbits
	.p2align	6, 0x0
	.amdhsa_kernel _ZN2at6native32elementwise_kernel_manual_unrollILi128ELi8EZNS0_22gpu_kernel_impl_nocastINS0_13BinaryFunctorIN3c107complexINS4_4HalfEEES7_bNS0_12_GLOBAL__N_116CompareEqFunctorIS7_EEEEEEvRNS_18TensorIteratorBaseERKT_EUlibE_EEviT1_
		.amdhsa_group_segment_fixed_size 0
		.amdhsa_private_segment_fixed_size 0
		.amdhsa_kernarg_size 432
		.amdhsa_user_sgpr_count 6
		.amdhsa_user_sgpr_private_segment_buffer 1
		.amdhsa_user_sgpr_dispatch_ptr 0
		.amdhsa_user_sgpr_queue_ptr 0
		.amdhsa_user_sgpr_kernarg_segment_ptr 1
		.amdhsa_user_sgpr_dispatch_id 0
		.amdhsa_user_sgpr_flat_scratch_init 0
		.amdhsa_user_sgpr_private_segment_size 0
		.amdhsa_uses_dynamic_stack 0
		.amdhsa_system_sgpr_private_segment_wavefront_offset 0
		.amdhsa_system_sgpr_workgroup_id_x 1
		.amdhsa_system_sgpr_workgroup_id_y 0
		.amdhsa_system_sgpr_workgroup_id_z 0
		.amdhsa_system_sgpr_workgroup_info 0
		.amdhsa_system_vgpr_workitem_id 0
		.amdhsa_next_free_vgpr 41
		.amdhsa_next_free_sgpr 54
		.amdhsa_reserve_vcc 1
		.amdhsa_reserve_flat_scratch 0
		.amdhsa_float_round_mode_32 0
		.amdhsa_float_round_mode_16_64 0
		.amdhsa_float_denorm_mode_32 3
		.amdhsa_float_denorm_mode_16_64 3
		.amdhsa_dx10_clamp 1
		.amdhsa_ieee_mode 1
		.amdhsa_fp16_overflow 0
		.amdhsa_exception_fp_ieee_invalid_op 0
		.amdhsa_exception_fp_denorm_src 0
		.amdhsa_exception_fp_ieee_div_zero 0
		.amdhsa_exception_fp_ieee_overflow 0
		.amdhsa_exception_fp_ieee_underflow 0
		.amdhsa_exception_fp_ieee_inexact 0
		.amdhsa_exception_int_div_zero 0
	.end_amdhsa_kernel
	.section	.text._ZN2at6native32elementwise_kernel_manual_unrollILi128ELi8EZNS0_22gpu_kernel_impl_nocastINS0_13BinaryFunctorIN3c107complexINS4_4HalfEEES7_bNS0_12_GLOBAL__N_116CompareEqFunctorIS7_EEEEEEvRNS_18TensorIteratorBaseERKT_EUlibE_EEviT1_,"axG",@progbits,_ZN2at6native32elementwise_kernel_manual_unrollILi128ELi8EZNS0_22gpu_kernel_impl_nocastINS0_13BinaryFunctorIN3c107complexINS4_4HalfEEES7_bNS0_12_GLOBAL__N_116CompareEqFunctorIS7_EEEEEEvRNS_18TensorIteratorBaseERKT_EUlibE_EEviT1_,comdat
.Lfunc_end149:
	.size	_ZN2at6native32elementwise_kernel_manual_unrollILi128ELi8EZNS0_22gpu_kernel_impl_nocastINS0_13BinaryFunctorIN3c107complexINS4_4HalfEEES7_bNS0_12_GLOBAL__N_116CompareEqFunctorIS7_EEEEEEvRNS_18TensorIteratorBaseERKT_EUlibE_EEviT1_, .Lfunc_end149-_ZN2at6native32elementwise_kernel_manual_unrollILi128ELi8EZNS0_22gpu_kernel_impl_nocastINS0_13BinaryFunctorIN3c107complexINS4_4HalfEEES7_bNS0_12_GLOBAL__N_116CompareEqFunctorIS7_EEEEEEvRNS_18TensorIteratorBaseERKT_EUlibE_EEviT1_
                                        ; -- End function
	.set _ZN2at6native32elementwise_kernel_manual_unrollILi128ELi8EZNS0_22gpu_kernel_impl_nocastINS0_13BinaryFunctorIN3c107complexINS4_4HalfEEES7_bNS0_12_GLOBAL__N_116CompareEqFunctorIS7_EEEEEEvRNS_18TensorIteratorBaseERKT_EUlibE_EEviT1_.num_vgpr, 41
	.set _ZN2at6native32elementwise_kernel_manual_unrollILi128ELi8EZNS0_22gpu_kernel_impl_nocastINS0_13BinaryFunctorIN3c107complexINS4_4HalfEEES7_bNS0_12_GLOBAL__N_116CompareEqFunctorIS7_EEEEEEvRNS_18TensorIteratorBaseERKT_EUlibE_EEviT1_.num_agpr, 0
	.set _ZN2at6native32elementwise_kernel_manual_unrollILi128ELi8EZNS0_22gpu_kernel_impl_nocastINS0_13BinaryFunctorIN3c107complexINS4_4HalfEEES7_bNS0_12_GLOBAL__N_116CompareEqFunctorIS7_EEEEEEvRNS_18TensorIteratorBaseERKT_EUlibE_EEviT1_.numbered_sgpr, 54
	.set _ZN2at6native32elementwise_kernel_manual_unrollILi128ELi8EZNS0_22gpu_kernel_impl_nocastINS0_13BinaryFunctorIN3c107complexINS4_4HalfEEES7_bNS0_12_GLOBAL__N_116CompareEqFunctorIS7_EEEEEEvRNS_18TensorIteratorBaseERKT_EUlibE_EEviT1_.num_named_barrier, 0
	.set _ZN2at6native32elementwise_kernel_manual_unrollILi128ELi8EZNS0_22gpu_kernel_impl_nocastINS0_13BinaryFunctorIN3c107complexINS4_4HalfEEES7_bNS0_12_GLOBAL__N_116CompareEqFunctorIS7_EEEEEEvRNS_18TensorIteratorBaseERKT_EUlibE_EEviT1_.private_seg_size, 0
	.set _ZN2at6native32elementwise_kernel_manual_unrollILi128ELi8EZNS0_22gpu_kernel_impl_nocastINS0_13BinaryFunctorIN3c107complexINS4_4HalfEEES7_bNS0_12_GLOBAL__N_116CompareEqFunctorIS7_EEEEEEvRNS_18TensorIteratorBaseERKT_EUlibE_EEviT1_.uses_vcc, 1
	.set _ZN2at6native32elementwise_kernel_manual_unrollILi128ELi8EZNS0_22gpu_kernel_impl_nocastINS0_13BinaryFunctorIN3c107complexINS4_4HalfEEES7_bNS0_12_GLOBAL__N_116CompareEqFunctorIS7_EEEEEEvRNS_18TensorIteratorBaseERKT_EUlibE_EEviT1_.uses_flat_scratch, 0
	.set _ZN2at6native32elementwise_kernel_manual_unrollILi128ELi8EZNS0_22gpu_kernel_impl_nocastINS0_13BinaryFunctorIN3c107complexINS4_4HalfEEES7_bNS0_12_GLOBAL__N_116CompareEqFunctorIS7_EEEEEEvRNS_18TensorIteratorBaseERKT_EUlibE_EEviT1_.has_dyn_sized_stack, 0
	.set _ZN2at6native32elementwise_kernel_manual_unrollILi128ELi8EZNS0_22gpu_kernel_impl_nocastINS0_13BinaryFunctorIN3c107complexINS4_4HalfEEES7_bNS0_12_GLOBAL__N_116CompareEqFunctorIS7_EEEEEEvRNS_18TensorIteratorBaseERKT_EUlibE_EEviT1_.has_recursion, 0
	.set _ZN2at6native32elementwise_kernel_manual_unrollILi128ELi8EZNS0_22gpu_kernel_impl_nocastINS0_13BinaryFunctorIN3c107complexINS4_4HalfEEES7_bNS0_12_GLOBAL__N_116CompareEqFunctorIS7_EEEEEEvRNS_18TensorIteratorBaseERKT_EUlibE_EEviT1_.has_indirect_call, 0
	.section	.AMDGPU.csdata,"",@progbits
; Kernel info:
; codeLenInByte = 10328
; TotalNumSgprs: 58
; NumVgprs: 41
; ScratchSize: 0
; MemoryBound: 0
; FloatMode: 240
; IeeeMode: 1
; LDSByteSize: 0 bytes/workgroup (compile time only)
; SGPRBlocks: 7
; VGPRBlocks: 10
; NumSGPRsForWavesPerEU: 58
; NumVGPRsForWavesPerEU: 41
; Occupancy: 5
; WaveLimiterHint : 1
; COMPUTE_PGM_RSRC2:SCRATCH_EN: 0
; COMPUTE_PGM_RSRC2:USER_SGPR: 6
; COMPUTE_PGM_RSRC2:TRAP_HANDLER: 0
; COMPUTE_PGM_RSRC2:TGID_X_EN: 1
; COMPUTE_PGM_RSRC2:TGID_Y_EN: 0
; COMPUTE_PGM_RSRC2:TGID_Z_EN: 0
; COMPUTE_PGM_RSRC2:TIDIG_COMP_CNT: 0
	.section	.text._ZN2at6native32elementwise_kernel_manual_unrollILi128ELi4EZNS0_15gpu_kernel_implINS0_13BinaryFunctorIN3c107complexINS4_4HalfEEES7_bNS0_12_GLOBAL__N_116CompareEqFunctorIS7_EEEEEEvRNS_18TensorIteratorBaseERKT_EUlibE_EEviT1_,"axG",@progbits,_ZN2at6native32elementwise_kernel_manual_unrollILi128ELi4EZNS0_15gpu_kernel_implINS0_13BinaryFunctorIN3c107complexINS4_4HalfEEES7_bNS0_12_GLOBAL__N_116CompareEqFunctorIS7_EEEEEEvRNS_18TensorIteratorBaseERKT_EUlibE_EEviT1_,comdat
	.globl	_ZN2at6native32elementwise_kernel_manual_unrollILi128ELi4EZNS0_15gpu_kernel_implINS0_13BinaryFunctorIN3c107complexINS4_4HalfEEES7_bNS0_12_GLOBAL__N_116CompareEqFunctorIS7_EEEEEEvRNS_18TensorIteratorBaseERKT_EUlibE_EEviT1_ ; -- Begin function _ZN2at6native32elementwise_kernel_manual_unrollILi128ELi4EZNS0_15gpu_kernel_implINS0_13BinaryFunctorIN3c107complexINS4_4HalfEEES7_bNS0_12_GLOBAL__N_116CompareEqFunctorIS7_EEEEEEvRNS_18TensorIteratorBaseERKT_EUlibE_EEviT1_
	.p2align	8
	.type	_ZN2at6native32elementwise_kernel_manual_unrollILi128ELi4EZNS0_15gpu_kernel_implINS0_13BinaryFunctorIN3c107complexINS4_4HalfEEES7_bNS0_12_GLOBAL__N_116CompareEqFunctorIS7_EEEEEEvRNS_18TensorIteratorBaseERKT_EUlibE_EEviT1_,@function
_ZN2at6native32elementwise_kernel_manual_unrollILi128ELi4EZNS0_15gpu_kernel_implINS0_13BinaryFunctorIN3c107complexINS4_4HalfEEES7_bNS0_12_GLOBAL__N_116CompareEqFunctorIS7_EEEEEEvRNS_18TensorIteratorBaseERKT_EUlibE_EEviT1_: ; @_ZN2at6native32elementwise_kernel_manual_unrollILi128ELi4EZNS0_15gpu_kernel_implINS0_13BinaryFunctorIN3c107complexINS4_4HalfEEES7_bNS0_12_GLOBAL__N_116CompareEqFunctorIS7_EEEEEEvRNS_18TensorIteratorBaseERKT_EUlibE_EEviT1_
; %bb.0:
	s_load_dword s33, s[4:5], 0x30
	s_load_dword s50, s[4:5], 0x0
	s_load_dwordx4 s[8:11], s[4:5], 0x8
	s_load_dwordx2 s[2:3], s[4:5], 0x18
	s_load_dwordx4 s[12:15], s[4:5], 0x20
	v_lshl_or_b32 v2, s6, 9, v0
	v_or_b32_e32 v0, 0x180, v2
	s_waitcnt lgkmcnt(0)
	s_lshr_b32 s57, s33, 8
	s_lshr_b32 s56, s33, 16
	v_cmp_le_i32_e32 vcc, s50, v0
	s_mov_b64 s[4:5], 0
	s_mov_b64 s[16:17], 0
	s_and_saveexec_b64 s[0:1], vcc
	s_xor_b64 s[6:7], exec, s[0:1]
	s_cbranch_execz .LBB150_1601
; %bb.1:
	s_cmp_lg_u32 s15, 0
	s_cselect_b64 s[16:17], -1, 0
	v_cmp_gt_i32_e32 vcc, s50, v2
	s_mov_b64 s[0:1], -1
	s_mov_b64 s[28:29], 0
	s_mov_b64 s[22:23], 0
	;; [unrolled: 1-line block ×4, first 2 shown]
	s_and_saveexec_b64 s[24:25], vcc
	s_cbranch_execz .LBB150_396
; %bb.2:
	v_mul_lo_u32 v0, v2, s13
	v_mov_b32_e32 v1, s11
	s_and_b32 s26, s57, 0xff
	s_cmp_lt_i32 s26, 11
	v_ashrrev_i32_e32 v3, 31, v0
	v_add_co_u32_e32 v0, vcc, s10, v0
	v_addc_co_u32_e32 v1, vcc, v1, v3, vcc
	s_cbranch_scc1 .LBB150_9
; %bb.3:
	s_and_b32 s27, 0xffff, s26
	s_cmp_gt_i32 s27, 25
	s_cbranch_scc0 .LBB150_18
; %bb.4:
	s_cmp_gt_i32 s27, 28
	s_cbranch_scc0 .LBB150_31
; %bb.5:
	;; [unrolled: 3-line block ×4, first 2 shown]
	s_cmp_eq_u32 s27, 46
	s_cbranch_scc0 .LBB150_41
; %bb.8:
	global_load_dword v3, v[0:1], off
	s_waitcnt vmcnt(0)
	v_and_b32_e32 v4, 0xffff0000, v3
	v_lshlrev_b32_e32 v3, 16, v3
	v_cvt_f16_f32_e32 v3, v3
	v_cvt_f16_f32_e32 v4, v4
	s_branch .LBB150_43
.LBB150_9:
                                        ; implicit-def: $vgpr4
                                        ; implicit-def: $vgpr3
	s_mov_b64 s[0:1], 0
	s_cbranch_execnz .LBB150_111
.LBB150_10:
	s_andn2_b64 vcc, exec, s[0:1]
	s_cbranch_vccnz .LBB150_160
.LBB150_11:
	v_mul_lo_u32 v0, v2, s14
	v_mov_b32_e32 v1, s3
	s_and_b32 s30, s56, 0xff
	s_cmp_lt_i32 s30, 11
	v_ashrrev_i32_e32 v5, 31, v0
	v_add_co_u32_e32 v0, vcc, s2, v0
	v_addc_co_u32_e32 v1, vcc, v1, v5, vcc
	s_cbranch_scc1 .LBB150_19
; %bb.12:
	s_and_b32 s31, 0xffff, s30
	s_cmp_gt_i32 s31, 25
	s_cbranch_scc0 .LBB150_32
; %bb.13:
	s_cmp_gt_i32 s31, 28
	s_cbranch_scc0 .LBB150_36
; %bb.14:
	;; [unrolled: 3-line block ×4, first 2 shown]
	s_cmp_eq_u32 s31, 46
	s_mov_b64 s[18:19], 0
	s_cbranch_scc0 .LBB150_161
; %bb.17:
	global_load_dword v5, v[0:1], off
	s_mov_b64 s[0:1], -1
	s_mov_b64 s[20:21], 0
	s_waitcnt vmcnt(0)
	v_and_b32_e32 v6, 0xffff0000, v5
	v_lshlrev_b32_e32 v5, 16, v5
	v_cvt_f16_f32_e32 v5, v5
	v_cvt_f16_f32_e32 v6, v6
	s_branch .LBB150_163
.LBB150_18:
	s_mov_b64 s[0:1], 0
                                        ; implicit-def: $vgpr4
                                        ; implicit-def: $vgpr3
	s_cbranch_execnz .LBB150_76
	s_branch .LBB150_110
.LBB150_19:
	s_mov_b64 s[20:21], 0
                                        ; implicit-def: $vgpr6
                                        ; implicit-def: $vgpr5
	s_mov_b64 s[0:1], 0
	s_cbranch_execnz .LBB150_343
.LBB150_20:
	s_andn2_b64 vcc, exec, s[0:1]
	s_cbranch_vccnz .LBB150_393
.LBB150_21:
	s_and_b64 vcc, exec, s[16:17]
	s_cbranch_vccz .LBB150_34
; %bb.22:
	s_waitcnt vmcnt(0)
	v_cmp_neq_f16_e32 vcc, v3, v5
	v_cmp_neq_f16_e64 s[0:1], v4, v6
	s_or_b64 s[18:19], vcc, s[0:1]
	s_cbranch_execnz .LBB150_24
.LBB150_23:
	s_waitcnt vmcnt(0)
	v_cmp_eq_f16_e32 vcc, v3, v5
	v_cmp_eq_f16_e64 s[0:1], v4, v6
	s_and_b64 s[0:1], vcc, s[0:1]
	s_andn2_b64 s[18:19], s[18:19], exec
	s_and_b64 s[0:1], s[0:1], exec
	s_or_b64 s[18:19], s[18:19], s[0:1]
.LBB150_24:
	v_mul_lo_u32 v0, v2, s12
	v_mov_b32_e32 v1, s9
	s_and_b32 s36, s33, 0xff
	s_cmp_lt_i32 s36, 11
	s_waitcnt vmcnt(0)
	v_ashrrev_i32_e32 v3, 31, v0
	v_add_co_u32_e32 v0, vcc, s8, v0
	v_addc_co_u32_e32 v1, vcc, v1, v3, vcc
	s_cbranch_scc1 .LBB150_33
; %bb.25:
	s_and_b32 s37, 0xffff, s36
	s_cmp_gt_i32 s37, 25
	s_cbranch_scc0 .LBB150_37
; %bb.26:
	s_cmp_gt_i32 s37, 28
	s_cbranch_scc0 .LBB150_40
; %bb.27:
	;; [unrolled: 3-line block ×4, first 2 shown]
	s_mov_b64 s[30:31], 0
	s_mov_b64 s[0:1], -1
	s_cmp_eq_u32 s37, 46
	s_mov_b64 s[26:27], 0
	s_cbranch_scc0 .LBB150_167
; %bb.30:
	v_cndmask_b32_e64 v3, 0, 1.0, s[18:19]
	v_bfe_u32 v4, v3, 16, 1
	s_movk_i32 s0, 0x7fff
	v_add3_u32 v3, v3, v4, s0
	v_lshrrev_b32_e32 v3, 16, v3
	global_store_dword v[0:1], v3, off
	s_mov_b64 s[26:27], -1
	s_mov_b64 s[0:1], 0
	s_branch .LBB150_167
.LBB150_31:
	s_mov_b64 s[18:19], -1
	s_mov_b64 s[0:1], 0
                                        ; implicit-def: $vgpr4
                                        ; implicit-def: $vgpr3
	s_branch .LBB150_57
.LBB150_32:
	s_mov_b64 s[18:19], -1
	s_mov_b64 s[20:21], 0
	s_mov_b64 s[0:1], 0
                                        ; implicit-def: $vgpr6
                                        ; implicit-def: $vgpr5
	s_branch .LBB150_306
.LBB150_33:
	s_mov_b64 s[30:31], -1
	s_mov_b64 s[0:1], 0
	s_mov_b64 s[26:27], 0
	s_branch .LBB150_236
.LBB150_34:
                                        ; implicit-def: $sgpr18_sgpr19
	s_branch .LBB150_23
.LBB150_35:
	s_mov_b64 s[18:19], -1
	s_mov_b64 s[0:1], 0
                                        ; implicit-def: $vgpr4
                                        ; implicit-def: $vgpr3
	s_branch .LBB150_51
.LBB150_36:
	s_mov_b64 s[18:19], -1
	s_mov_b64 s[20:21], 0
	s_mov_b64 s[0:1], 0
                                        ; implicit-def: $vgpr6
                                        ; implicit-def: $vgpr5
	s_branch .LBB150_287
.LBB150_37:
	s_mov_b64 s[30:31], -1
	s_mov_b64 s[0:1], 0
	s_mov_b64 s[26:27], 0
	s_branch .LBB150_194
.LBB150_38:
	s_mov_b64 s[18:19], -1
	s_branch .LBB150_42
.LBB150_39:
	s_mov_b64 s[18:19], -1
	s_mov_b64 s[20:21], 0
	s_mov_b64 s[0:1], 0
                                        ; implicit-def: $vgpr6
                                        ; implicit-def: $vgpr5
	s_branch .LBB150_281
.LBB150_40:
	s_mov_b64 s[30:31], -1
	s_mov_b64 s[0:1], 0
	s_mov_b64 s[26:27], 0
	s_branch .LBB150_177
.LBB150_41:
	s_mov_b64 s[22:23], -1
.LBB150_42:
	s_mov_b64 s[0:1], 0
                                        ; implicit-def: $vgpr4
                                        ; implicit-def: $vgpr3
.LBB150_43:
	s_and_b64 vcc, exec, s[18:19]
	s_cbranch_vccz .LBB150_50
; %bb.44:
	s_cmp_eq_u32 s27, 44
	s_cbranch_scc0 .LBB150_48
; %bb.45:
	global_load_ubyte v3, v[0:1], off
	s_movk_i32 s18, 0xff
	v_mov_b32_e32 v5, 0x7e00
	s_mov_b64 s[0:1], -1
	s_mov_b64 s[22:23], 0
	s_waitcnt vmcnt(0)
	v_lshlrev_b32_e32 v4, 23, v3
	v_cvt_f16_f32_e32 v4, v4
	v_cmp_ne_u32_e32 vcc, s18, v3
	v_cndmask_b32_e32 v4, v5, v4, vcc
	v_cmp_ne_u32_e32 vcc, 0, v3
	v_cndmask_b32_e32 v3, 0, v4, vcc
	s_branch .LBB150_49
.LBB150_46:
	s_mov_b64 s[18:19], -1
	s_mov_b64 s[20:21], 0
	s_branch .LBB150_162
.LBB150_47:
	s_mov_b64 s[30:31], -1
	s_mov_b64 s[0:1], 0
	s_mov_b64 s[26:27], 0
	s_branch .LBB150_173
.LBB150_48:
	s_mov_b64 s[22:23], -1
                                        ; implicit-def: $vgpr3
.LBB150_49:
	v_mov_b32_e32 v4, 0
.LBB150_50:
	s_mov_b64 s[18:19], 0
.LBB150_51:
	s_and_b64 vcc, exec, s[18:19]
	s_cbranch_vccz .LBB150_56
; %bb.52:
	s_cmp_eq_u32 s27, 29
	s_cbranch_scc0 .LBB150_54
; %bb.53:
	global_load_dwordx2 v[3:4], v[0:1], off
	s_mov_b64 s[0:1], -1
	s_mov_b64 s[22:23], 0
	s_waitcnt vmcnt(0)
	v_ffbh_u32_e32 v5, v4
	v_min_u32_e32 v5, 32, v5
	v_lshlrev_b64 v[3:4], v5, v[3:4]
	v_min_u32_e32 v3, 1, v3
	v_or_b32_e32 v3, v4, v3
	v_cvt_f32_u32_e32 v3, v3
	v_sub_u32_e32 v4, 32, v5
	v_ldexp_f32 v3, v3, v4
	v_cvt_f16_f32_e32 v3, v3
	s_branch .LBB150_55
.LBB150_54:
	s_mov_b64 s[22:23], -1
                                        ; implicit-def: $vgpr3
.LBB150_55:
	v_mov_b32_e32 v4, 0
.LBB150_56:
	s_mov_b64 s[18:19], 0
.LBB150_57:
	s_and_b64 vcc, exec, s[18:19]
	s_cbranch_vccz .LBB150_75
; %bb.58:
	s_cmp_lt_i32 s27, 27
	s_cbranch_scc1 .LBB150_61
; %bb.59:
	s_cmp_gt_i32 s27, 27
	s_cbranch_scc0 .LBB150_62
; %bb.60:
	global_load_dword v3, v[0:1], off
	s_mov_b64 s[0:1], 0
	s_waitcnt vmcnt(0)
	v_cvt_f32_u32_e32 v3, v3
	v_cvt_f16_f32_e32 v3, v3
	s_branch .LBB150_63
.LBB150_61:
	s_mov_b64 s[0:1], -1
                                        ; implicit-def: $vgpr3
	s_branch .LBB150_66
.LBB150_62:
	s_mov_b64 s[0:1], -1
                                        ; implicit-def: $vgpr3
.LBB150_63:
	s_andn2_b64 vcc, exec, s[0:1]
	s_cbranch_vccnz .LBB150_65
; %bb.64:
	global_load_ushort v3, v[0:1], off
	s_waitcnt vmcnt(0)
	v_cvt_f16_u16_e32 v3, v3
.LBB150_65:
	s_mov_b64 s[0:1], 0
.LBB150_66:
	s_andn2_b64 vcc, exec, s[0:1]
	s_cbranch_vccnz .LBB150_74
; %bb.67:
	global_load_ubyte v4, v[0:1], off
	s_movk_i32 s0, 0x7f
	s_waitcnt vmcnt(0)
	v_cmp_lt_i16_e32 vcc, s0, v4
	s_mov_b64 s[0:1], 0
	s_and_saveexec_b64 s[18:19], vcc
	s_xor_b64 s[18:19], exec, s[18:19]
	s_cbranch_execz .LBB150_87
; %bb.68:
	s_movk_i32 s0, 0x80
	v_cmp_eq_u16_e32 vcc, s0, v4
	s_mov_b64 s[0:1], -1
	s_and_saveexec_b64 s[20:21], vcc
; %bb.69:
	s_xor_b64 s[0:1], exec, -1
; %bb.70:
	s_or_b64 exec, exec, s[20:21]
	s_and_b64 s[0:1], s[0:1], exec
	s_or_saveexec_b64 s[18:19], s[18:19]
	v_mov_b32_e32 v3, 0x7e00
	s_xor_b64 exec, exec, s[18:19]
	s_cbranch_execnz .LBB150_88
.LBB150_71:
	s_or_b64 exec, exec, s[18:19]
	s_and_saveexec_b64 s[18:19], s[0:1]
	s_cbranch_execz .LBB150_73
.LBB150_72:
	v_lshlrev_b32_e32 v3, 24, v4
	v_and_b32_e32 v4, 0xffff, v4
	v_and_b32_e32 v5, 7, v4
	v_ffbh_u32_e32 v7, v5
	v_min_u32_e32 v7, 32, v7
	v_subrev_u32_e32 v8, 28, v7
	v_bfe_u32 v6, v4, 3, 4
	v_lshlrev_b32_e32 v4, v8, v4
	v_sub_u32_e32 v7, 29, v7
	v_and_b32_e32 v4, 7, v4
	v_cmp_eq_u32_e32 vcc, 0, v6
	v_cndmask_b32_e32 v6, v6, v7, vcc
	v_cndmask_b32_e32 v4, v5, v4, vcc
	v_mov_b32_e32 v5, 0x3b800000
	v_lshlrev_b32_e32 v4, 20, v4
	v_and_b32_e32 v3, 0x80000000, v3
	v_lshl_add_u32 v5, v6, 23, v5
	v_or3_b32 v3, v3, v5, v4
	v_cvt_f16_f32_e32 v3, v3
.LBB150_73:
	s_or_b64 exec, exec, s[18:19]
.LBB150_74:
	s_mov_b64 s[0:1], -1
	v_mov_b32_e32 v4, 0
.LBB150_75:
	s_branch .LBB150_110
.LBB150_76:
	s_cmp_gt_i32 s27, 22
	s_cbranch_scc0 .LBB150_86
; %bb.77:
	s_cmp_lt_i32 s27, 24
	s_cbranch_scc1 .LBB150_89
; %bb.78:
	s_cmp_gt_i32 s27, 24
	s_cbranch_scc0 .LBB150_90
; %bb.79:
	global_load_ubyte v4, v[0:1], off
	s_movk_i32 s0, 0x7f
	s_waitcnt vmcnt(0)
	v_cmp_lt_i16_e32 vcc, s0, v4
	s_mov_b64 s[0:1], 0
	s_and_saveexec_b64 s[18:19], vcc
	s_xor_b64 s[18:19], exec, s[18:19]
	s_cbranch_execz .LBB150_101
; %bb.80:
	s_movk_i32 s0, 0x80
	v_cmp_eq_u16_e32 vcc, s0, v4
	s_mov_b64 s[0:1], -1
	s_and_saveexec_b64 s[20:21], vcc
; %bb.81:
	s_xor_b64 s[0:1], exec, -1
; %bb.82:
	s_or_b64 exec, exec, s[20:21]
	s_and_b64 s[0:1], s[0:1], exec
	s_or_saveexec_b64 s[18:19], s[18:19]
	v_mov_b32_e32 v3, 0x7e00
	s_xor_b64 exec, exec, s[18:19]
	s_cbranch_execnz .LBB150_102
.LBB150_83:
	s_or_b64 exec, exec, s[18:19]
	s_and_saveexec_b64 s[18:19], s[0:1]
	s_cbranch_execz .LBB150_85
.LBB150_84:
	v_lshlrev_b32_e32 v3, 24, v4
	v_and_b32_e32 v4, 0xffff, v4
	v_and_b32_e32 v5, 3, v4
	v_ffbh_u32_e32 v7, v5
	v_min_u32_e32 v7, 32, v7
	v_subrev_u32_e32 v8, 29, v7
	v_bfe_u32 v6, v4, 2, 5
	v_lshlrev_b32_e32 v4, v8, v4
	v_sub_u32_e32 v7, 30, v7
	v_and_b32_e32 v4, 3, v4
	v_cmp_eq_u32_e32 vcc, 0, v6
	v_cndmask_b32_e32 v6, v6, v7, vcc
	v_cndmask_b32_e32 v4, v5, v4, vcc
	v_mov_b32_e32 v5, 0x37800000
	v_lshlrev_b32_e32 v4, 21, v4
	v_and_b32_e32 v3, 0x80000000, v3
	v_lshl_add_u32 v5, v6, 23, v5
	v_or3_b32 v3, v3, v5, v4
	v_cvt_f16_f32_e32 v3, v3
.LBB150_85:
	s_or_b64 exec, exec, s[18:19]
	s_mov_b64 s[0:1], 0
	s_branch .LBB150_91
.LBB150_86:
                                        ; implicit-def: $vgpr3
	s_branch .LBB150_97
.LBB150_87:
	s_or_saveexec_b64 s[18:19], s[18:19]
	v_mov_b32_e32 v3, 0x7e00
	s_xor_b64 exec, exec, s[18:19]
	s_cbranch_execz .LBB150_71
.LBB150_88:
	v_cmp_ne_u16_e32 vcc, 0, v4
	s_andn2_b64 s[0:1], s[0:1], exec
	s_and_b64 s[20:21], vcc, exec
	s_or_b64 s[0:1], s[0:1], s[20:21]
	v_mov_b32_e32 v3, v4
	s_or_b64 exec, exec, s[18:19]
	s_and_saveexec_b64 s[18:19], s[0:1]
	s_cbranch_execnz .LBB150_72
	s_branch .LBB150_73
.LBB150_89:
	s_mov_b64 s[0:1], -1
                                        ; implicit-def: $vgpr3
	s_branch .LBB150_94
.LBB150_90:
	s_mov_b64 s[0:1], -1
                                        ; implicit-def: $vgpr3
.LBB150_91:
	s_and_b64 vcc, exec, s[0:1]
	s_cbranch_vccz .LBB150_93
; %bb.92:
	global_load_ubyte v3, v[0:1], off
	s_mov_b32 s0, 0x7f800000
	s_waitcnt vmcnt(0)
	v_lshlrev_b32_e32 v3, 24, v3
	v_and_b32_e32 v4, 0x7f000000, v3
	v_ffbh_u32_e32 v5, v4
	v_min_u32_e32 v5, 32, v5
	v_sub_u32_e64 v5, v5, 4 clamp
	v_lshlrev_b32_e32 v7, v5, v4
	v_lshlrev_b32_e32 v5, 23, v5
	v_lshrrev_b32_e32 v7, 4, v7
	v_add_u32_e32 v6, 0x1000000, v4
	v_sub_u32_e32 v5, v7, v5
	v_ashrrev_i32_e32 v6, 8, v6
	v_add_u32_e32 v5, 0x3c000000, v5
	v_and_or_b32 v5, v6, s0, v5
	v_cmp_ne_u32_e32 vcc, 0, v4
	v_cndmask_b32_e32 v4, 0, v5, vcc
	s_brev_b32 s0, 1
	v_and_or_b32 v3, v3, s0, v4
	v_cvt_f16_f32_e32 v3, v3
.LBB150_93:
	s_mov_b64 s[0:1], 0
.LBB150_94:
	s_andn2_b64 vcc, exec, s[0:1]
	s_cbranch_vccnz .LBB150_96
; %bb.95:
	global_load_ubyte v3, v[0:1], off
	s_movk_i32 s0, 0x7f00
	s_brev_b32 s1, 16
	s_waitcnt vmcnt(0)
	v_lshlrev_b16_e32 v4, 8, v3
	v_lshlrev_b32_e32 v3, 25, v3
	v_lshrrev_b32_e32 v5, 4, v3
	v_and_or_b32 v6, v4, s0, 0.5
	v_or_b32_e32 v5, 0x70000000, v5
	v_add_f32_e32 v6, -0.5, v6
	v_mul_f32_e32 v5, 0x7800000, v5
	v_cmp_gt_u32_e32 vcc, s1, v3
	v_bfe_i32 v4, v4, 0, 16
	v_cndmask_b32_e32 v3, v5, v6, vcc
	s_brev_b32 s0, 1
	v_and_or_b32 v3, v4, s0, v3
	v_cvt_f16_f32_e32 v3, v3
.LBB150_96:
	s_mov_b64 s[0:1], -1
	s_cbranch_execnz .LBB150_109
.LBB150_97:
	s_cmp_gt_i32 s27, 14
	s_cbranch_scc0 .LBB150_100
; %bb.98:
	s_cmp_eq_u32 s27, 15
	s_cbranch_scc0 .LBB150_103
; %bb.99:
	global_load_ushort v3, v[0:1], off
	s_mov_b64 s[0:1], -1
	s_mov_b64 s[22:23], 0
	s_waitcnt vmcnt(0)
	v_lshlrev_b32_e32 v3, 16, v3
	v_cvt_f16_f32_e32 v3, v3
	s_branch .LBB150_104
.LBB150_100:
	s_mov_b64 s[18:19], -1
                                        ; implicit-def: $vgpr3
	s_branch .LBB150_105
.LBB150_101:
	s_or_saveexec_b64 s[18:19], s[18:19]
	v_mov_b32_e32 v3, 0x7e00
	s_xor_b64 exec, exec, s[18:19]
	s_cbranch_execz .LBB150_83
.LBB150_102:
	v_cmp_ne_u16_e32 vcc, 0, v4
	s_andn2_b64 s[0:1], s[0:1], exec
	s_and_b64 s[20:21], vcc, exec
	s_or_b64 s[0:1], s[0:1], s[20:21]
	v_mov_b32_e32 v3, v4
	s_or_b64 exec, exec, s[18:19]
	s_and_saveexec_b64 s[18:19], s[0:1]
	s_cbranch_execnz .LBB150_84
	s_branch .LBB150_85
.LBB150_103:
	s_mov_b64 s[22:23], -1
                                        ; implicit-def: $vgpr3
.LBB150_104:
	s_mov_b64 s[18:19], 0
.LBB150_105:
	s_and_b64 vcc, exec, s[18:19]
	s_cbranch_vccz .LBB150_109
; %bb.106:
	s_cmp_eq_u32 s27, 11
	s_cbranch_scc0 .LBB150_108
; %bb.107:
	global_load_ubyte v3, v[0:1], off
	v_mov_b32_e32 v4, 0x3c00
	s_mov_b64 s[0:1], -1
	s_mov_b64 s[22:23], 0
	s_waitcnt vmcnt(0)
	v_cmp_ne_u16_e32 vcc, 0, v3
	v_cndmask_b32_e32 v3, 0, v4, vcc
	s_branch .LBB150_109
.LBB150_108:
	s_mov_b64 s[22:23], -1
                                        ; implicit-def: $vgpr3
.LBB150_109:
	v_mov_b32_e32 v4, 0
.LBB150_110:
	s_branch .LBB150_10
.LBB150_111:
	s_and_b32 s18, 0xffff, s26
	s_cmp_lt_i32 s18, 5
	s_cbranch_scc1 .LBB150_116
; %bb.112:
	s_cmp_lt_i32 s18, 8
	s_cbranch_scc1 .LBB150_117
; %bb.113:
	;; [unrolled: 3-line block ×3, first 2 shown]
	s_cmp_gt_i32 s18, 9
	s_cbranch_scc0 .LBB150_119
; %bb.115:
	global_load_dwordx4 v[3:6], v[0:1], off
	s_movk_i32 s0, 0x1ff
	s_movk_i32 s1, 0xffe
	v_mov_b32_e32 v7, 0x7c00
	v_mov_b32_e32 v8, 0x7e00
	s_movk_i32 s19, 0x40f
	s_mov_b32 s20, 0x8000
	s_waitcnt vmcnt(0)
	v_and_or_b32 v3, v4, s0, v3
	v_and_or_b32 v5, v6, s0, v5
	v_cmp_ne_u32_e32 vcc, 0, v3
	v_lshrrev_b32_e32 v9, 8, v4
	v_cndmask_b32_e64 v3, 0, 1, vcc
	v_cmp_ne_u32_e32 vcc, 0, v5
	v_bfe_u32 v10, v4, 20, 11
	v_lshrrev_b32_e32 v11, 8, v6
	v_bfe_u32 v12, v6, 20, 11
	v_cndmask_b32_e64 v5, 0, 1, vcc
	v_and_or_b32 v3, v9, s1, v3
	v_sub_u32_e32 v13, 0x3f1, v10
	v_add_u32_e32 v10, 0xfffffc10, v10
	v_sub_u32_e32 v14, 0x3f1, v12
	v_and_or_b32 v5, v11, s1, v5
	v_cmp_ne_u32_e32 vcc, 0, v3
	v_add_u32_e32 v12, 0xfffffc10, v12
	v_med3_i32 v9, v13, 0, 13
	v_med3_i32 v11, v14, 0, 13
	v_or_b32_e32 v13, 0x1000, v3
	v_lshl_or_b32 v14, v10, 12, v3
	v_cndmask_b32_e32 v3, v7, v8, vcc
	v_cmp_ne_u32_e32 vcc, 0, v5
	v_or_b32_e32 v15, 0x1000, v5
	v_lshl_or_b32 v16, v12, 12, v5
	v_cndmask_b32_e32 v5, v7, v8, vcc
	v_lshrrev_b32_e32 v8, v9, v13
	v_lshrrev_b32_e32 v17, v11, v15
	v_lshlrev_b32_e32 v9, v9, v8
	v_lshlrev_b32_e32 v11, v11, v17
	v_cmp_ne_u32_e32 vcc, v9, v13
	v_cndmask_b32_e64 v9, 0, 1, vcc
	v_cmp_ne_u32_e32 vcc, v11, v15
	v_cndmask_b32_e64 v11, 0, 1, vcc
	v_or_b32_e32 v8, v8, v9
	v_cmp_gt_i32_e32 vcc, 1, v10
	v_cndmask_b32_e32 v8, v14, v8, vcc
	v_or_b32_e32 v9, v17, v11
	v_cmp_gt_i32_e32 vcc, 1, v12
	v_and_b32_e32 v11, 7, v8
	v_cndmask_b32_e32 v9, v16, v9, vcc
	v_cmp_lt_i32_e32 vcc, 5, v11
	v_and_b32_e32 v13, 7, v9
	v_cndmask_b32_e64 v14, 0, 1, vcc
	v_cmp_eq_u32_e32 vcc, 3, v11
	v_cndmask_b32_e64 v11, 0, 1, vcc
	v_cmp_lt_i32_e32 vcc, 5, v13
	v_cndmask_b32_e64 v15, 0, 1, vcc
	v_cmp_eq_u32_e32 vcc, 3, v13
	v_lshrrev_b32_e32 v8, 2, v8
	v_cndmask_b32_e64 v13, 0, 1, vcc
	v_or_b32_e32 v11, v11, v14
	v_lshrrev_b32_e32 v9, 2, v9
	v_or_b32_e32 v13, v13, v15
	v_add_u32_e32 v8, v8, v11
	v_cmp_gt_i32_e32 vcc, 31, v10
	v_add_u32_e32 v9, v9, v13
	v_cndmask_b32_e32 v8, v7, v8, vcc
	v_cmp_gt_i32_e32 vcc, 31, v12
	v_cndmask_b32_e32 v7, v7, v9, vcc
	v_cmp_eq_u32_e32 vcc, s19, v10
	v_cndmask_b32_e32 v3, v8, v3, vcc
	v_cmp_eq_u32_e32 vcc, s19, v12
	v_lshrrev_b32_e32 v4, 16, v4
	v_lshrrev_b32_e32 v6, 16, v6
	v_cndmask_b32_e32 v5, v7, v5, vcc
	v_and_or_b32 v3, v4, s20, v3
	v_and_or_b32 v4, v6, s20, v5
	s_mov_b64 s[0:1], 0
	s_branch .LBB150_120
.LBB150_116:
                                        ; implicit-def: $vgpr4
                                        ; implicit-def: $vgpr3
	s_branch .LBB150_139
.LBB150_117:
	s_mov_b64 s[0:1], -1
                                        ; implicit-def: $vgpr4
                                        ; implicit-def: $vgpr3
	s_branch .LBB150_126
.LBB150_118:
	s_mov_b64 s[0:1], -1
                                        ; implicit-def: $vgpr4
                                        ; implicit-def: $vgpr3
	s_branch .LBB150_123
.LBB150_119:
	s_mov_b64 s[0:1], -1
                                        ; implicit-def: $vgpr4
                                        ; implicit-def: $vgpr3
.LBB150_120:
	s_andn2_b64 vcc, exec, s[0:1]
	s_cbranch_vccnz .LBB150_122
; %bb.121:
	global_load_dwordx2 v[3:4], v[0:1], off
	s_waitcnt vmcnt(0)
	v_cvt_f16_f32_e32 v3, v3
	v_cvt_f16_f32_e32 v4, v4
.LBB150_122:
	s_mov_b64 s[0:1], 0
.LBB150_123:
	s_andn2_b64 vcc, exec, s[0:1]
	s_cbranch_vccnz .LBB150_125
; %bb.124:
	global_load_dword v3, v[0:1], off
	s_waitcnt vmcnt(0)
	v_lshrrev_b32_e32 v4, 16, v3
.LBB150_125:
	s_mov_b64 s[0:1], 0
.LBB150_126:
	s_andn2_b64 vcc, exec, s[0:1]
	s_cbranch_vccnz .LBB150_138
; %bb.127:
	s_cmp_lt_i32 s18, 6
	s_cbranch_scc1 .LBB150_130
; %bb.128:
	s_cmp_gt_i32 s18, 6
	s_cbranch_scc0 .LBB150_131
; %bb.129:
	global_load_dwordx2 v[3:4], v[0:1], off
	s_movk_i32 s0, 0x1ff
	s_movk_i32 s1, 0xffe
	v_mov_b32_e32 v5, 0x7c00
	v_mov_b32_e32 v6, 0x7e00
	s_movk_i32 s19, 0x40f
	s_mov_b32 s20, 0x8000
	s_waitcnt vmcnt(0)
	v_and_or_b32 v3, v4, s0, v3
	v_cmp_ne_u32_e32 vcc, 0, v3
	v_lshrrev_b32_e32 v7, 8, v4
	v_bfe_u32 v8, v4, 20, 11
	v_cndmask_b32_e64 v3, 0, 1, vcc
	v_sub_u32_e32 v9, 0x3f1, v8
	v_and_or_b32 v3, v7, s1, v3
	v_add_u32_e32 v8, 0xfffffc10, v8
	v_med3_i32 v7, v9, 0, 13
	v_or_b32_e32 v9, 0x1000, v3
	v_cmp_ne_u32_e32 vcc, 0, v3
	v_lshl_or_b32 v10, v8, 12, v3
	v_cndmask_b32_e32 v3, v5, v6, vcc
	v_lshrrev_b32_e32 v6, v7, v9
	v_lshlrev_b32_e32 v7, v7, v6
	v_cmp_ne_u32_e32 vcc, v7, v9
	v_cndmask_b32_e64 v7, 0, 1, vcc
	v_or_b32_e32 v6, v6, v7
	v_cmp_gt_i32_e32 vcc, 1, v8
	v_cndmask_b32_e32 v6, v10, v6, vcc
	v_and_b32_e32 v7, 7, v6
	v_cmp_lt_i32_e32 vcc, 5, v7
	v_cndmask_b32_e64 v9, 0, 1, vcc
	v_cmp_eq_u32_e32 vcc, 3, v7
	v_cndmask_b32_e64 v7, 0, 1, vcc
	v_lshrrev_b32_e32 v6, 2, v6
	v_or_b32_e32 v7, v7, v9
	v_add_u32_e32 v6, v6, v7
	v_cmp_gt_i32_e32 vcc, 31, v8
	v_cndmask_b32_e32 v5, v5, v6, vcc
	v_cmp_eq_u32_e32 vcc, s19, v8
	v_lshrrev_b32_e32 v4, 16, v4
	v_cndmask_b32_e32 v3, v5, v3, vcc
	v_and_or_b32 v3, v4, s20, v3
	s_mov_b64 s[0:1], 0
	s_branch .LBB150_132
.LBB150_130:
	s_mov_b64 s[0:1], -1
                                        ; implicit-def: $vgpr3
	s_branch .LBB150_135
.LBB150_131:
	s_mov_b64 s[0:1], -1
                                        ; implicit-def: $vgpr3
.LBB150_132:
	s_andn2_b64 vcc, exec, s[0:1]
	s_cbranch_vccnz .LBB150_134
; %bb.133:
	global_load_dword v3, v[0:1], off
	s_waitcnt vmcnt(0)
	v_cvt_f16_f32_e32 v3, v3
.LBB150_134:
	s_mov_b64 s[0:1], 0
.LBB150_135:
	s_andn2_b64 vcc, exec, s[0:1]
	s_cbranch_vccnz .LBB150_137
; %bb.136:
	global_load_ushort v3, v[0:1], off
.LBB150_137:
	v_mov_b32_e32 v4, 0
.LBB150_138:
	s_cbranch_execnz .LBB150_159
.LBB150_139:
	s_cmp_lt_i32 s18, 2
	s_cbranch_scc1 .LBB150_143
; %bb.140:
	s_cmp_lt_i32 s18, 3
	s_cbranch_scc1 .LBB150_144
; %bb.141:
	s_cmp_gt_i32 s18, 3
	s_cbranch_scc0 .LBB150_145
; %bb.142:
	global_load_dwordx2 v[3:4], v[0:1], off
	s_mov_b64 s[0:1], 0
	s_waitcnt vmcnt(0)
	v_xor_b32_e32 v6, v3, v4
	v_ffbh_i32_e32 v5, v4
	v_ashrrev_i32_e32 v6, 31, v6
	v_add_u32_e32 v5, -1, v5
	v_add_u32_e32 v6, 32, v6
	v_min_u32_e32 v5, v5, v6
	v_lshlrev_b64 v[3:4], v5, v[3:4]
	v_min_u32_e32 v3, 1, v3
	v_or_b32_e32 v3, v4, v3
	v_cvt_f32_i32_e32 v3, v3
	v_sub_u32_e32 v4, 32, v5
	v_ldexp_f32 v3, v3, v4
	v_cvt_f16_f32_e32 v3, v3
	s_branch .LBB150_146
.LBB150_143:
	s_mov_b64 s[0:1], -1
                                        ; implicit-def: $vgpr3
	s_branch .LBB150_152
.LBB150_144:
	s_mov_b64 s[0:1], -1
                                        ; implicit-def: $vgpr3
	s_branch .LBB150_149
.LBB150_145:
	s_mov_b64 s[0:1], -1
                                        ; implicit-def: $vgpr3
.LBB150_146:
	s_andn2_b64 vcc, exec, s[0:1]
	s_cbranch_vccnz .LBB150_148
; %bb.147:
	global_load_dword v3, v[0:1], off
	s_waitcnt vmcnt(0)
	v_cvt_f32_i32_e32 v3, v3
	v_cvt_f16_f32_e32 v3, v3
.LBB150_148:
	s_mov_b64 s[0:1], 0
.LBB150_149:
	s_andn2_b64 vcc, exec, s[0:1]
	s_cbranch_vccnz .LBB150_151
; %bb.150:
	global_load_ushort v3, v[0:1], off
	s_waitcnt vmcnt(0)
	v_cvt_f16_i16_e32 v3, v3
.LBB150_151:
	s_mov_b64 s[0:1], 0
.LBB150_152:
	s_andn2_b64 vcc, exec, s[0:1]
	s_cbranch_vccnz .LBB150_158
; %bb.153:
	s_cmp_gt_i32 s18, 0
	s_cbranch_scc0 .LBB150_155
; %bb.154:
	global_load_sbyte v3, v[0:1], off
	s_mov_b64 s[0:1], 0
	s_waitcnt vmcnt(0)
	v_cvt_f16_i16_e32 v3, v3
	s_branch .LBB150_156
.LBB150_155:
	s_mov_b64 s[0:1], -1
                                        ; implicit-def: $vgpr3
.LBB150_156:
	s_andn2_b64 vcc, exec, s[0:1]
	s_cbranch_vccnz .LBB150_158
; %bb.157:
	global_load_ubyte v0, v[0:1], off
	s_waitcnt vmcnt(0)
	v_cvt_f16_u16_e32 v3, v0
.LBB150_158:
	v_mov_b32_e32 v4, 0
.LBB150_159:
	s_branch .LBB150_11
.LBB150_160:
	s_mov_b64 s[0:1], 0
	s_mov_b64 s[20:21], 0
	s_branch .LBB150_394
.LBB150_161:
	s_mov_b64 s[20:21], -1
.LBB150_162:
	s_mov_b64 s[0:1], 0
                                        ; implicit-def: $vgpr6
                                        ; implicit-def: $vgpr5
.LBB150_163:
	s_and_b64 vcc, exec, s[18:19]
	s_cbranch_vccz .LBB150_280
; %bb.164:
	s_cmp_eq_u32 s31, 44
	s_cbranch_scc0 .LBB150_278
; %bb.165:
	global_load_ubyte v5, v[0:1], off
	s_movk_i32 s18, 0xff
	v_mov_b32_e32 v7, 0x7e00
	s_mov_b64 s[0:1], -1
	s_mov_b64 s[20:21], 0
	s_waitcnt vmcnt(0)
	v_lshlrev_b32_e32 v6, 23, v5
	v_cvt_f16_f32_e32 v6, v6
	v_cmp_ne_u32_e32 vcc, s18, v5
	v_cndmask_b32_e32 v6, v7, v6, vcc
	v_cmp_ne_u32_e32 vcc, 0, v5
	v_cndmask_b32_e32 v5, 0, v6, vcc
	s_branch .LBB150_279
.LBB150_166:
	s_mov_b64 s[30:31], -1
	s_mov_b64 s[0:1], 0
	s_mov_b64 s[26:27], 0
.LBB150_167:
	s_and_b64 vcc, exec, s[30:31]
	s_cbranch_vccz .LBB150_172
; %bb.168:
	s_cmp_eq_u32 s37, 44
	s_mov_b64 s[0:1], -1
	s_cbranch_scc0 .LBB150_172
; %bb.169:
	v_cndmask_b32_e64 v4, 0, 1.0, s[18:19]
	v_lshrrev_b32_e32 v3, 23, v4
	s_movk_i32 s0, 0xff
	v_cmp_ne_u32_e32 vcc, s0, v3
	v_mov_b32_e32 v5, 0xff
	s_and_saveexec_b64 s[26:27], vcc
; %bb.170:
	s_mov_b32 s0, 0x3fffff
	v_and_b32_e32 v5, 0x400000, v4
	v_and_or_b32 v4, v4, s0, v3
	v_cmp_ne_u32_e32 vcc, 0, v5
	v_cmp_ne_u32_e64 s[0:1], 0, v4
	s_and_b64 s[0:1], vcc, s[0:1]
	v_cndmask_b32_e64 v4, 0, 1, s[0:1]
	v_add_u32_e32 v5, v3, v4
; %bb.171:
	s_or_b64 exec, exec, s[26:27]
	s_mov_b64 s[26:27], -1
	s_mov_b64 s[0:1], 0
	global_store_byte v[0:1], v5, off
.LBB150_172:
	s_mov_b64 s[30:31], 0
.LBB150_173:
	s_and_b64 vcc, exec, s[30:31]
	s_cbranch_vccz .LBB150_176
; %bb.174:
	s_cmp_eq_u32 s37, 29
	s_mov_b64 s[0:1], -1
	s_cbranch_scc0 .LBB150_176
; %bb.175:
	s_mov_b32 s0, 0
	v_cndmask_b32_e64 v3, 0, 1, s[18:19]
	v_mov_b32_e32 v4, s0
	global_store_dwordx2 v[0:1], v[3:4], off
	s_mov_b64 s[26:27], -1
	s_mov_b64 s[0:1], 0
.LBB150_176:
	s_mov_b64 s[30:31], 0
.LBB150_177:
	s_and_b64 vcc, exec, s[30:31]
	s_cbranch_vccz .LBB150_193
; %bb.178:
	s_cmp_lt_i32 s37, 27
	s_mov_b64 s[26:27], -1
	s_cbranch_scc1 .LBB150_184
; %bb.179:
	s_cmp_gt_i32 s37, 27
	s_cbranch_scc0 .LBB150_181
; %bb.180:
	v_cndmask_b32_e64 v3, 0, 1, s[18:19]
	s_mov_b64 s[26:27], 0
	global_store_dword v[0:1], v3, off
.LBB150_181:
	s_andn2_b64 vcc, exec, s[26:27]
	s_cbranch_vccnz .LBB150_183
; %bb.182:
	v_cndmask_b32_e64 v3, 0, 1, s[18:19]
	global_store_short v[0:1], v3, off
.LBB150_183:
	s_mov_b64 s[26:27], 0
.LBB150_184:
	s_andn2_b64 vcc, exec, s[26:27]
	s_cbranch_vccnz .LBB150_192
; %bb.185:
	v_cndmask_b32_e64 v4, 0, 1.0, s[18:19]
	s_mov_b32 s26, 0x43800000
	v_cmp_gt_u32_e32 vcc, s26, v4
	v_mov_b32_e32 v5, 0x80
	s_and_saveexec_b64 s[26:27], vcc
	s_cbranch_execz .LBB150_191
; %bb.186:
	s_mov_b32 s30, 0x3bffffff
	v_cmp_lt_u32_e32 vcc, s30, v4
	s_mov_b64 s[30:31], 0
                                        ; implicit-def: $vgpr3
	s_and_saveexec_b64 s[34:35], vcc
	s_xor_b64 s[34:35], exec, s[34:35]
	s_cbranch_execz .LBB150_425
; %bb.187:
	v_bfe_u32 v3, v4, 20, 1
	s_mov_b32 s38, 0x487ffff
	v_add3_u32 v3, v4, v3, s38
	s_mov_b64 s[30:31], exec
	v_lshrrev_b32_e32 v3, 20, v3
                                        ; implicit-def: $vgpr4
	s_andn2_saveexec_b64 s[34:35], s[34:35]
	s_cbranch_execnz .LBB150_426
.LBB150_188:
	s_or_b64 exec, exec, s[34:35]
	v_mov_b32_e32 v5, 0
	s_and_saveexec_b64 s[34:35], s[30:31]
.LBB150_189:
	v_mov_b32_e32 v5, v3
.LBB150_190:
	s_or_b64 exec, exec, s[34:35]
.LBB150_191:
	s_or_b64 exec, exec, s[26:27]
	global_store_byte v[0:1], v5, off
.LBB150_192:
	s_mov_b64 s[26:27], -1
.LBB150_193:
	s_mov_b64 s[30:31], 0
.LBB150_194:
	s_and_b64 vcc, exec, s[30:31]
	s_cbranch_vccz .LBB150_235
; %bb.195:
	s_cmp_gt_i32 s37, 22
	s_mov_b64 s[30:31], -1
	s_cbranch_scc0 .LBB150_227
; %bb.196:
	s_cmp_lt_i32 s37, 24
	s_mov_b64 s[26:27], -1
	s_cbranch_scc1 .LBB150_216
; %bb.197:
	s_cmp_gt_i32 s37, 24
	s_cbranch_scc0 .LBB150_205
; %bb.198:
	v_cndmask_b32_e64 v4, 0, 1.0, s[18:19]
	s_mov_b32 s26, 0x47800000
	v_cmp_gt_u32_e32 vcc, s26, v4
	v_mov_b32_e32 v5, 0x80
	s_and_saveexec_b64 s[26:27], vcc
	s_cbranch_execz .LBB150_204
; %bb.199:
	s_mov_b32 s30, 0x37ffffff
	v_cmp_lt_u32_e32 vcc, s30, v4
	s_mov_b64 s[30:31], 0
                                        ; implicit-def: $vgpr3
	s_and_saveexec_b64 s[34:35], vcc
	s_xor_b64 s[34:35], exec, s[34:35]
	s_cbranch_execz .LBB150_549
; %bb.200:
	v_bfe_u32 v3, v4, 21, 1
	s_mov_b32 s38, 0x88fffff
	v_add3_u32 v3, v4, v3, s38
	s_mov_b64 s[30:31], exec
	v_lshrrev_b32_e32 v3, 21, v3
                                        ; implicit-def: $vgpr4
	s_andn2_saveexec_b64 s[34:35], s[34:35]
	s_cbranch_execnz .LBB150_550
.LBB150_201:
	s_or_b64 exec, exec, s[34:35]
	v_mov_b32_e32 v5, 0
	s_and_saveexec_b64 s[34:35], s[30:31]
.LBB150_202:
	v_mov_b32_e32 v5, v3
.LBB150_203:
	s_or_b64 exec, exec, s[34:35]
.LBB150_204:
	s_or_b64 exec, exec, s[26:27]
	s_mov_b64 s[26:27], 0
	global_store_byte v[0:1], v5, off
.LBB150_205:
	s_and_b64 vcc, exec, s[26:27]
	s_cbranch_vccz .LBB150_215
; %bb.206:
	v_cndmask_b32_e64 v3, 0, 1.0, s[18:19]
	s_mov_b32 s26, 0x43f00000
	v_cmp_gt_u32_e32 vcc, s26, v3
                                        ; implicit-def: $vgpr4
	s_and_saveexec_b64 s[26:27], vcc
	s_xor_b64 s[26:27], exec, s[26:27]
	s_cbranch_execz .LBB150_212
; %bb.207:
	s_mov_b32 s30, 0x3c7fffff
	v_cmp_lt_u32_e32 vcc, s30, v3
                                        ; implicit-def: $vgpr4
	s_and_saveexec_b64 s[30:31], vcc
	s_xor_b64 s[30:31], exec, s[30:31]
; %bb.208:
	v_bfe_u32 v4, v3, 20, 1
	s_mov_b32 s34, 0x407ffff
	v_add3_u32 v3, v3, v4, s34
	v_lshrrev_b32_e32 v4, 20, v3
	v_and_b32_e32 v3, 0xff00000, v3
	s_mov_b32 s34, 0x7f00000
	v_mov_b32_e32 v5, 0x7e
	v_cmp_ne_u32_e32 vcc, s34, v3
	v_cndmask_b32_e32 v4, v5, v4, vcc
                                        ; implicit-def: $vgpr3
; %bb.209:
	s_andn2_saveexec_b64 s[30:31], s[30:31]
; %bb.210:
	v_add_f32_e32 v4, 0x46800000, v3
; %bb.211:
	s_or_b64 exec, exec, s[30:31]
                                        ; implicit-def: $vgpr3
.LBB150_212:
	s_andn2_saveexec_b64 s[26:27], s[26:27]
; %bb.213:
	s_mov_b32 s30, 0x7f800000
	v_mov_b32_e32 v4, 0x7e
	v_mov_b32_e32 v5, 0x7f
	v_cmp_lt_u32_e32 vcc, s30, v3
	v_cndmask_b32_e32 v4, v4, v5, vcc
; %bb.214:
	s_or_b64 exec, exec, s[26:27]
	global_store_byte v[0:1], v4, off
.LBB150_215:
	s_mov_b64 s[26:27], 0
.LBB150_216:
	s_andn2_b64 vcc, exec, s[26:27]
	s_cbranch_vccnz .LBB150_226
; %bb.217:
	v_cndmask_b32_e64 v3, 0, 1.0, s[18:19]
	s_mov_b32 s26, 0x47800000
	v_cmp_gt_u32_e32 vcc, s26, v3
                                        ; implicit-def: $vgpr4
	s_and_saveexec_b64 s[26:27], vcc
	s_xor_b64 s[26:27], exec, s[26:27]
	s_cbranch_execz .LBB150_223
; %bb.218:
	s_mov_b32 s30, 0x387fffff
	v_cmp_lt_u32_e32 vcc, s30, v3
                                        ; implicit-def: $vgpr4
	s_and_saveexec_b64 s[30:31], vcc
	s_xor_b64 s[30:31], exec, s[30:31]
; %bb.219:
	v_bfe_u32 v4, v3, 21, 1
	s_mov_b32 s34, 0x80fffff
	v_add3_u32 v3, v3, v4, s34
	v_lshrrev_b32_e32 v4, 21, v3
                                        ; implicit-def: $vgpr3
; %bb.220:
	s_andn2_saveexec_b64 s[30:31], s[30:31]
; %bb.221:
	v_add_f32_e32 v4, 0x43000000, v3
; %bb.222:
	s_or_b64 exec, exec, s[30:31]
                                        ; implicit-def: $vgpr3
.LBB150_223:
	s_andn2_saveexec_b64 s[26:27], s[26:27]
; %bb.224:
	s_mov_b32 s30, 0x7f800000
	v_mov_b32_e32 v4, 0x7c
	v_mov_b32_e32 v5, 0x7f
	v_cmp_lt_u32_e32 vcc, s30, v3
	v_cndmask_b32_e32 v4, v4, v5, vcc
; %bb.225:
	s_or_b64 exec, exec, s[26:27]
	global_store_byte v[0:1], v4, off
.LBB150_226:
	s_mov_b64 s[30:31], 0
	s_mov_b64 s[26:27], -1
.LBB150_227:
	s_andn2_b64 vcc, exec, s[30:31]
	s_cbranch_vccnz .LBB150_235
; %bb.228:
	s_cmp_gt_i32 s37, 14
	s_mov_b64 s[30:31], -1
	s_cbranch_scc0 .LBB150_232
; %bb.229:
	s_cmp_eq_u32 s37, 15
	s_mov_b64 s[0:1], -1
	s_cbranch_scc0 .LBB150_231
; %bb.230:
	v_cndmask_b32_e64 v3, 0, 1.0, s[18:19]
	v_bfe_u32 v4, v3, 16, 1
	s_movk_i32 s0, 0x7fff
	v_add3_u32 v3, v3, v4, s0
	global_store_short_d16_hi v[0:1], v3, off
	s_mov_b64 s[26:27], -1
	s_mov_b64 s[0:1], 0
.LBB150_231:
	s_mov_b64 s[30:31], 0
.LBB150_232:
	s_and_b64 vcc, exec, s[30:31]
	s_cbranch_vccz .LBB150_235
; %bb.233:
	s_cmp_eq_u32 s37, 11
	s_mov_b64 s[0:1], -1
	s_cbranch_scc0 .LBB150_235
; %bb.234:
	v_cndmask_b32_e64 v3, 0, 1, s[18:19]
	s_mov_b64 s[26:27], -1
	s_mov_b64 s[0:1], 0
	global_store_byte v[0:1], v3, off
.LBB150_235:
	s_mov_b64 s[30:31], 0
.LBB150_236:
	s_and_b64 vcc, exec, s[30:31]
	s_cbranch_vccz .LBB150_275
; %bb.237:
	s_and_b32 s30, 0xffff, s36
	s_cmp_lt_i32 s30, 5
	s_mov_b64 s[26:27], -1
	s_cbranch_scc1 .LBB150_258
; %bb.238:
	s_cmp_lt_i32 s30, 8
	s_cbranch_scc1 .LBB150_248
; %bb.239:
	s_cmp_lt_i32 s30, 9
	s_cbranch_scc1 .LBB150_245
; %bb.240:
	s_cmp_gt_i32 s30, 9
	s_cbranch_scc0 .LBB150_242
; %bb.241:
	v_cndmask_b32_e64 v3, 0, 1, s[18:19]
	v_cvt_f64_u32_e32 v[3:4], v3
	v_mov_b32_e32 v5, 0
	v_mov_b32_e32 v6, v5
	s_mov_b64 s[26:27], 0
	global_store_dwordx4 v[0:1], v[3:6], off
.LBB150_242:
	s_andn2_b64 vcc, exec, s[26:27]
	s_cbranch_vccnz .LBB150_244
; %bb.243:
	v_cndmask_b32_e64 v3, 0, 1.0, s[18:19]
	v_mov_b32_e32 v4, 0
	global_store_dwordx2 v[0:1], v[3:4], off
.LBB150_244:
	s_mov_b64 s[26:27], 0
.LBB150_245:
	s_andn2_b64 vcc, exec, s[26:27]
	s_cbranch_vccnz .LBB150_247
; %bb.246:
	v_cndmask_b32_e64 v3, 0, 1.0, s[18:19]
	v_cvt_f16_f32_e32 v3, v3
	global_store_dword v[0:1], v3, off
.LBB150_247:
	s_mov_b64 s[26:27], 0
.LBB150_248:
	s_andn2_b64 vcc, exec, s[26:27]
	s_cbranch_vccnz .LBB150_257
; %bb.249:
	s_cmp_lt_i32 s30, 6
	s_mov_b64 s[26:27], -1
	s_cbranch_scc1 .LBB150_255
; %bb.250:
	s_cmp_gt_i32 s30, 6
	s_cbranch_scc0 .LBB150_252
; %bb.251:
	v_cndmask_b32_e64 v3, 0, 1, s[18:19]
	v_cvt_f64_u32_e32 v[3:4], v3
	s_mov_b64 s[26:27], 0
	global_store_dwordx2 v[0:1], v[3:4], off
.LBB150_252:
	s_andn2_b64 vcc, exec, s[26:27]
	s_cbranch_vccnz .LBB150_254
; %bb.253:
	v_cndmask_b32_e64 v3, 0, 1.0, s[18:19]
	global_store_dword v[0:1], v3, off
.LBB150_254:
	s_mov_b64 s[26:27], 0
.LBB150_255:
	s_andn2_b64 vcc, exec, s[26:27]
	s_cbranch_vccnz .LBB150_257
; %bb.256:
	v_cndmask_b32_e64 v3, 0, 1.0, s[18:19]
	v_cvt_f16_f32_e32 v3, v3
	global_store_short v[0:1], v3, off
.LBB150_257:
	s_mov_b64 s[26:27], 0
.LBB150_258:
	s_andn2_b64 vcc, exec, s[26:27]
	s_cbranch_vccnz .LBB150_274
; %bb.259:
	s_cmp_lt_i32 s30, 2
	s_mov_b64 s[26:27], -1
	s_cbranch_scc1 .LBB150_269
; %bb.260:
	s_cmp_lt_i32 s30, 3
	s_cbranch_scc1 .LBB150_266
; %bb.261:
	s_cmp_gt_i32 s30, 3
	s_cbranch_scc0 .LBB150_263
; %bb.262:
	s_mov_b32 s26, 0
	v_cndmask_b32_e64 v3, 0, 1, s[18:19]
	v_mov_b32_e32 v4, s26
	global_store_dwordx2 v[0:1], v[3:4], off
	s_mov_b64 s[26:27], 0
.LBB150_263:
	s_andn2_b64 vcc, exec, s[26:27]
	s_cbranch_vccnz .LBB150_265
; %bb.264:
	v_cndmask_b32_e64 v3, 0, 1, s[18:19]
	global_store_dword v[0:1], v3, off
.LBB150_265:
	s_mov_b64 s[26:27], 0
.LBB150_266:
	s_andn2_b64 vcc, exec, s[26:27]
	s_cbranch_vccnz .LBB150_268
; %bb.267:
	v_cndmask_b32_e64 v3, 0, 1, s[18:19]
	global_store_short v[0:1], v3, off
.LBB150_268:
	s_mov_b64 s[26:27], 0
.LBB150_269:
	s_andn2_b64 vcc, exec, s[26:27]
	s_cbranch_vccnz .LBB150_274
; %bb.270:
	s_mov_b64 s[26:27], -1
	s_cmp_gt_i32 s30, 0
	v_cndmask_b32_e64 v3, 0, 1, s[18:19]
	s_cbranch_scc0 .LBB150_272
; %bb.271:
	global_store_byte v[0:1], v3, off
	s_mov_b64 s[26:27], 0
.LBB150_272:
	s_andn2_b64 vcc, exec, s[26:27]
	s_cbranch_vccnz .LBB150_274
; %bb.273:
	global_store_byte v[0:1], v3, off
.LBB150_274:
	s_mov_b64 s[26:27], -1
.LBB150_275:
	s_andn2_b64 vcc, exec, s[26:27]
	s_cbranch_vccnz .LBB150_277
; %bb.276:
	v_add_u32_e32 v2, 0x80, v2
	s_mov_b64 s[26:27], -1
	s_branch .LBB150_395
.LBB150_277:
	s_mov_b64 s[26:27], 0
                                        ; implicit-def: $vgpr2
	s_branch .LBB150_395
.LBB150_278:
	s_mov_b64 s[20:21], -1
                                        ; implicit-def: $vgpr5
.LBB150_279:
	v_mov_b32_e32 v6, 0
.LBB150_280:
	s_mov_b64 s[18:19], 0
.LBB150_281:
	s_and_b64 vcc, exec, s[18:19]
	s_cbranch_vccz .LBB150_286
; %bb.282:
	s_cmp_eq_u32 s31, 29
	s_cbranch_scc0 .LBB150_284
; %bb.283:
	global_load_dwordx2 v[5:6], v[0:1], off
	s_mov_b64 s[0:1], -1
	s_mov_b64 s[20:21], 0
	s_waitcnt vmcnt(0)
	v_ffbh_u32_e32 v7, v6
	v_min_u32_e32 v7, 32, v7
	v_lshlrev_b64 v[5:6], v7, v[5:6]
	v_min_u32_e32 v5, 1, v5
	v_or_b32_e32 v5, v6, v5
	v_cvt_f32_u32_e32 v5, v5
	v_sub_u32_e32 v6, 32, v7
	v_ldexp_f32 v5, v5, v6
	v_cvt_f16_f32_e32 v5, v5
	s_branch .LBB150_285
.LBB150_284:
	s_mov_b64 s[20:21], -1
                                        ; implicit-def: $vgpr5
.LBB150_285:
	v_mov_b32_e32 v6, 0
.LBB150_286:
	s_mov_b64 s[18:19], 0
.LBB150_287:
	s_and_b64 vcc, exec, s[18:19]
	s_cbranch_vccz .LBB150_305
; %bb.288:
	s_cmp_lt_i32 s31, 27
	s_cbranch_scc1 .LBB150_291
; %bb.289:
	s_cmp_gt_i32 s31, 27
	s_cbranch_scc0 .LBB150_292
; %bb.290:
	global_load_dword v5, v[0:1], off
	s_mov_b64 s[0:1], 0
	s_waitcnt vmcnt(0)
	v_cvt_f32_u32_e32 v5, v5
	v_cvt_f16_f32_e32 v5, v5
	s_branch .LBB150_293
.LBB150_291:
	s_mov_b64 s[0:1], -1
                                        ; implicit-def: $vgpr5
	s_branch .LBB150_296
.LBB150_292:
	s_mov_b64 s[0:1], -1
                                        ; implicit-def: $vgpr5
.LBB150_293:
	s_andn2_b64 vcc, exec, s[0:1]
	s_cbranch_vccnz .LBB150_295
; %bb.294:
	global_load_ushort v5, v[0:1], off
	s_waitcnt vmcnt(0)
	v_cvt_f16_u16_e32 v5, v5
.LBB150_295:
	s_mov_b64 s[0:1], 0
.LBB150_296:
	s_andn2_b64 vcc, exec, s[0:1]
	s_cbranch_vccnz .LBB150_304
; %bb.297:
	global_load_ubyte v6, v[0:1], off
	s_movk_i32 s0, 0x7f
	s_waitcnt vmcnt(0)
	v_cmp_lt_i16_e32 vcc, s0, v6
	s_mov_b64 s[0:1], 0
	s_and_saveexec_b64 s[18:19], vcc
	s_xor_b64 s[18:19], exec, s[18:19]
	s_cbranch_execz .LBB150_318
; %bb.298:
	s_movk_i32 s0, 0x80
	v_cmp_eq_u16_e32 vcc, s0, v6
	s_mov_b64 s[0:1], -1
	s_and_saveexec_b64 s[26:27], vcc
; %bb.299:
	s_xor_b64 s[0:1], exec, -1
; %bb.300:
	s_or_b64 exec, exec, s[26:27]
	s_and_b64 s[0:1], s[0:1], exec
	s_or_saveexec_b64 s[18:19], s[18:19]
	v_mov_b32_e32 v5, 0x7e00
	s_xor_b64 exec, exec, s[18:19]
	s_cbranch_execnz .LBB150_319
.LBB150_301:
	s_or_b64 exec, exec, s[18:19]
	s_and_saveexec_b64 s[18:19], s[0:1]
	s_cbranch_execz .LBB150_303
.LBB150_302:
	v_lshlrev_b32_e32 v5, 24, v6
	v_and_b32_e32 v6, 0xffff, v6
	v_and_b32_e32 v7, 7, v6
	v_ffbh_u32_e32 v9, v7
	v_min_u32_e32 v9, 32, v9
	v_subrev_u32_e32 v10, 28, v9
	v_bfe_u32 v8, v6, 3, 4
	v_lshlrev_b32_e32 v6, v10, v6
	v_sub_u32_e32 v9, 29, v9
	v_and_b32_e32 v6, 7, v6
	v_cmp_eq_u32_e32 vcc, 0, v8
	v_cndmask_b32_e32 v8, v8, v9, vcc
	v_cndmask_b32_e32 v6, v7, v6, vcc
	v_mov_b32_e32 v7, 0x3b800000
	v_lshlrev_b32_e32 v6, 20, v6
	v_and_b32_e32 v5, 0x80000000, v5
	v_lshl_add_u32 v7, v8, 23, v7
	v_or3_b32 v5, v5, v7, v6
	v_cvt_f16_f32_e32 v5, v5
.LBB150_303:
	s_or_b64 exec, exec, s[18:19]
.LBB150_304:
	s_mov_b64 s[0:1], -1
	v_mov_b32_e32 v6, 0
.LBB150_305:
	s_mov_b64 s[18:19], 0
.LBB150_306:
	s_and_b64 vcc, exec, s[18:19]
	s_cbranch_vccz .LBB150_342
; %bb.307:
	s_cmp_gt_i32 s31, 22
	s_cbranch_scc0 .LBB150_317
; %bb.308:
	s_cmp_lt_i32 s31, 24
	s_cbranch_scc1 .LBB150_320
; %bb.309:
	s_cmp_gt_i32 s31, 24
	s_cbranch_scc0 .LBB150_321
; %bb.310:
	global_load_ubyte v6, v[0:1], off
	s_movk_i32 s0, 0x7f
	s_waitcnt vmcnt(0)
	v_cmp_lt_i16_e32 vcc, s0, v6
	s_mov_b64 s[0:1], 0
	s_and_saveexec_b64 s[18:19], vcc
	s_xor_b64 s[18:19], exec, s[18:19]
	s_cbranch_execz .LBB150_333
; %bb.311:
	s_movk_i32 s0, 0x80
	v_cmp_eq_u16_e32 vcc, s0, v6
	s_mov_b64 s[0:1], -1
	s_and_saveexec_b64 s[26:27], vcc
; %bb.312:
	s_xor_b64 s[0:1], exec, -1
; %bb.313:
	s_or_b64 exec, exec, s[26:27]
	s_and_b64 s[0:1], s[0:1], exec
	s_or_saveexec_b64 s[18:19], s[18:19]
	v_mov_b32_e32 v5, 0x7e00
	s_xor_b64 exec, exec, s[18:19]
	s_cbranch_execnz .LBB150_334
.LBB150_314:
	s_or_b64 exec, exec, s[18:19]
	s_and_saveexec_b64 s[18:19], s[0:1]
	s_cbranch_execz .LBB150_316
.LBB150_315:
	v_lshlrev_b32_e32 v5, 24, v6
	v_and_b32_e32 v6, 0xffff, v6
	v_and_b32_e32 v7, 3, v6
	v_ffbh_u32_e32 v9, v7
	v_min_u32_e32 v9, 32, v9
	v_subrev_u32_e32 v10, 29, v9
	v_bfe_u32 v8, v6, 2, 5
	v_lshlrev_b32_e32 v6, v10, v6
	v_sub_u32_e32 v9, 30, v9
	v_and_b32_e32 v6, 3, v6
	v_cmp_eq_u32_e32 vcc, 0, v8
	v_cndmask_b32_e32 v8, v8, v9, vcc
	v_cndmask_b32_e32 v6, v7, v6, vcc
	v_mov_b32_e32 v7, 0x37800000
	v_lshlrev_b32_e32 v6, 21, v6
	v_and_b32_e32 v5, 0x80000000, v5
	v_lshl_add_u32 v7, v8, 23, v7
	v_or3_b32 v5, v5, v7, v6
	v_cvt_f16_f32_e32 v5, v5
.LBB150_316:
	s_or_b64 exec, exec, s[18:19]
	s_mov_b64 s[0:1], 0
	s_branch .LBB150_322
.LBB150_317:
	s_mov_b64 s[18:19], -1
                                        ; implicit-def: $vgpr5
	s_branch .LBB150_328
.LBB150_318:
	s_or_saveexec_b64 s[18:19], s[18:19]
	v_mov_b32_e32 v5, 0x7e00
	s_xor_b64 exec, exec, s[18:19]
	s_cbranch_execz .LBB150_301
.LBB150_319:
	v_cmp_ne_u16_e32 vcc, 0, v6
	s_andn2_b64 s[0:1], s[0:1], exec
	s_and_b64 s[26:27], vcc, exec
	s_or_b64 s[0:1], s[0:1], s[26:27]
	v_mov_b32_e32 v5, v6
	s_or_b64 exec, exec, s[18:19]
	s_and_saveexec_b64 s[18:19], s[0:1]
	s_cbranch_execnz .LBB150_302
	s_branch .LBB150_303
.LBB150_320:
	s_mov_b64 s[0:1], -1
                                        ; implicit-def: $vgpr5
	s_branch .LBB150_325
.LBB150_321:
	s_mov_b64 s[0:1], -1
                                        ; implicit-def: $vgpr5
.LBB150_322:
	s_and_b64 vcc, exec, s[0:1]
	s_cbranch_vccz .LBB150_324
; %bb.323:
	global_load_ubyte v5, v[0:1], off
	s_mov_b32 s0, 0x7f800000
	s_waitcnt vmcnt(0)
	v_lshlrev_b32_e32 v5, 24, v5
	v_and_b32_e32 v6, 0x7f000000, v5
	v_ffbh_u32_e32 v7, v6
	v_min_u32_e32 v7, 32, v7
	v_sub_u32_e64 v7, v7, 4 clamp
	v_lshlrev_b32_e32 v9, v7, v6
	v_lshlrev_b32_e32 v7, 23, v7
	v_lshrrev_b32_e32 v9, 4, v9
	v_add_u32_e32 v8, 0x1000000, v6
	v_sub_u32_e32 v7, v9, v7
	v_ashrrev_i32_e32 v8, 8, v8
	v_add_u32_e32 v7, 0x3c000000, v7
	v_and_or_b32 v7, v8, s0, v7
	v_cmp_ne_u32_e32 vcc, 0, v6
	v_cndmask_b32_e32 v6, 0, v7, vcc
	s_brev_b32 s0, 1
	v_and_or_b32 v5, v5, s0, v6
	v_cvt_f16_f32_e32 v5, v5
.LBB150_324:
	s_mov_b64 s[0:1], 0
.LBB150_325:
	s_andn2_b64 vcc, exec, s[0:1]
	s_cbranch_vccnz .LBB150_327
; %bb.326:
	global_load_ubyte v5, v[0:1], off
	s_movk_i32 s0, 0x7f00
	s_brev_b32 s1, 16
	s_waitcnt vmcnt(0)
	v_lshlrev_b16_e32 v6, 8, v5
	v_lshlrev_b32_e32 v5, 25, v5
	v_lshrrev_b32_e32 v7, 4, v5
	v_and_or_b32 v8, v6, s0, 0.5
	v_or_b32_e32 v7, 0x70000000, v7
	v_add_f32_e32 v8, -0.5, v8
	v_mul_f32_e32 v7, 0x7800000, v7
	v_cmp_gt_u32_e32 vcc, s1, v5
	v_bfe_i32 v6, v6, 0, 16
	v_cndmask_b32_e32 v5, v7, v8, vcc
	s_brev_b32 s0, 1
	v_and_or_b32 v5, v6, s0, v5
	v_cvt_f16_f32_e32 v5, v5
.LBB150_327:
	s_mov_b64 s[18:19], 0
	s_mov_b64 s[0:1], -1
.LBB150_328:
	s_andn2_b64 vcc, exec, s[18:19]
	s_cbranch_vccnz .LBB150_341
; %bb.329:
	s_cmp_gt_i32 s31, 14
	s_cbranch_scc0 .LBB150_332
; %bb.330:
	s_cmp_eq_u32 s31, 15
	s_cbranch_scc0 .LBB150_335
; %bb.331:
	global_load_ushort v5, v[0:1], off
	s_mov_b64 s[0:1], -1
	s_mov_b64 s[20:21], 0
	s_waitcnt vmcnt(0)
	v_lshlrev_b32_e32 v5, 16, v5
	v_cvt_f16_f32_e32 v5, v5
	s_branch .LBB150_336
.LBB150_332:
	s_mov_b64 s[18:19], -1
                                        ; implicit-def: $vgpr5
	s_branch .LBB150_337
.LBB150_333:
	s_or_saveexec_b64 s[18:19], s[18:19]
	v_mov_b32_e32 v5, 0x7e00
	s_xor_b64 exec, exec, s[18:19]
	s_cbranch_execz .LBB150_314
.LBB150_334:
	v_cmp_ne_u16_e32 vcc, 0, v6
	s_andn2_b64 s[0:1], s[0:1], exec
	s_and_b64 s[26:27], vcc, exec
	s_or_b64 s[0:1], s[0:1], s[26:27]
	v_mov_b32_e32 v5, v6
	s_or_b64 exec, exec, s[18:19]
	s_and_saveexec_b64 s[18:19], s[0:1]
	s_cbranch_execnz .LBB150_315
	s_branch .LBB150_316
.LBB150_335:
	s_mov_b64 s[20:21], -1
                                        ; implicit-def: $vgpr5
.LBB150_336:
	s_mov_b64 s[18:19], 0
.LBB150_337:
	s_and_b64 vcc, exec, s[18:19]
	s_cbranch_vccz .LBB150_341
; %bb.338:
	s_cmp_eq_u32 s31, 11
	s_cbranch_scc0 .LBB150_340
; %bb.339:
	global_load_ubyte v5, v[0:1], off
	v_mov_b32_e32 v6, 0x3c00
	s_mov_b64 s[0:1], -1
	s_mov_b64 s[20:21], 0
	s_waitcnt vmcnt(0)
	v_cmp_ne_u16_e32 vcc, 0, v5
	v_cndmask_b32_e32 v5, 0, v6, vcc
	s_branch .LBB150_341
.LBB150_340:
	s_mov_b64 s[20:21], -1
                                        ; implicit-def: $vgpr5
.LBB150_341:
	v_mov_b32_e32 v6, 0
.LBB150_342:
	s_branch .LBB150_20
.LBB150_343:
	s_and_b32 s18, 0xffff, s30
	s_cmp_lt_i32 s18, 5
	s_cbranch_scc1 .LBB150_348
; %bb.344:
	s_cmp_lt_i32 s18, 8
	s_cbranch_scc1 .LBB150_349
; %bb.345:
	;; [unrolled: 3-line block ×3, first 2 shown]
	s_cmp_gt_i32 s18, 9
	s_cbranch_scc0 .LBB150_351
; %bb.347:
	global_load_dwordx4 v[5:8], v[0:1], off
	s_movk_i32 s0, 0x1ff
	s_movk_i32 s1, 0xffe
	v_mov_b32_e32 v9, 0x7c00
	v_mov_b32_e32 v10, 0x7e00
	s_movk_i32 s19, 0x40f
	s_mov_b32 s26, 0x8000
	s_waitcnt vmcnt(0)
	v_and_or_b32 v5, v6, s0, v5
	v_and_or_b32 v7, v8, s0, v7
	v_cmp_ne_u32_e32 vcc, 0, v5
	v_lshrrev_b32_e32 v11, 8, v6
	v_cndmask_b32_e64 v5, 0, 1, vcc
	v_cmp_ne_u32_e32 vcc, 0, v7
	v_bfe_u32 v12, v6, 20, 11
	v_lshrrev_b32_e32 v13, 8, v8
	v_bfe_u32 v14, v8, 20, 11
	v_cndmask_b32_e64 v7, 0, 1, vcc
	v_and_or_b32 v5, v11, s1, v5
	v_sub_u32_e32 v15, 0x3f1, v12
	v_add_u32_e32 v12, 0xfffffc10, v12
	v_sub_u32_e32 v16, 0x3f1, v14
	v_and_or_b32 v7, v13, s1, v7
	v_cmp_ne_u32_e32 vcc, 0, v5
	v_add_u32_e32 v14, 0xfffffc10, v14
	v_med3_i32 v11, v15, 0, 13
	v_med3_i32 v13, v16, 0, 13
	v_or_b32_e32 v15, 0x1000, v5
	v_lshl_or_b32 v16, v12, 12, v5
	v_cndmask_b32_e32 v5, v9, v10, vcc
	v_cmp_ne_u32_e32 vcc, 0, v7
	v_or_b32_e32 v17, 0x1000, v7
	v_lshl_or_b32 v18, v14, 12, v7
	v_cndmask_b32_e32 v7, v9, v10, vcc
	v_lshrrev_b32_e32 v10, v11, v15
	v_lshrrev_b32_e32 v19, v13, v17
	v_lshlrev_b32_e32 v11, v11, v10
	v_lshlrev_b32_e32 v13, v13, v19
	v_cmp_ne_u32_e32 vcc, v11, v15
	v_cndmask_b32_e64 v11, 0, 1, vcc
	v_cmp_ne_u32_e32 vcc, v13, v17
	v_cndmask_b32_e64 v13, 0, 1, vcc
	v_or_b32_e32 v10, v10, v11
	v_cmp_gt_i32_e32 vcc, 1, v12
	v_cndmask_b32_e32 v10, v16, v10, vcc
	v_or_b32_e32 v11, v19, v13
	v_cmp_gt_i32_e32 vcc, 1, v14
	v_and_b32_e32 v13, 7, v10
	v_cndmask_b32_e32 v11, v18, v11, vcc
	v_cmp_lt_i32_e32 vcc, 5, v13
	v_and_b32_e32 v15, 7, v11
	v_cndmask_b32_e64 v16, 0, 1, vcc
	v_cmp_eq_u32_e32 vcc, 3, v13
	v_cndmask_b32_e64 v13, 0, 1, vcc
	v_cmp_lt_i32_e32 vcc, 5, v15
	v_cndmask_b32_e64 v17, 0, 1, vcc
	v_cmp_eq_u32_e32 vcc, 3, v15
	v_lshrrev_b32_e32 v10, 2, v10
	v_cndmask_b32_e64 v15, 0, 1, vcc
	v_or_b32_e32 v13, v13, v16
	v_lshrrev_b32_e32 v11, 2, v11
	v_or_b32_e32 v15, v15, v17
	v_add_u32_e32 v10, v10, v13
	v_cmp_gt_i32_e32 vcc, 31, v12
	v_add_u32_e32 v11, v11, v15
	v_cndmask_b32_e32 v10, v9, v10, vcc
	v_cmp_gt_i32_e32 vcc, 31, v14
	v_cndmask_b32_e32 v9, v9, v11, vcc
	v_cmp_eq_u32_e32 vcc, s19, v12
	v_cndmask_b32_e32 v5, v10, v5, vcc
	v_cmp_eq_u32_e32 vcc, s19, v14
	v_lshrrev_b32_e32 v6, 16, v6
	v_lshrrev_b32_e32 v8, 16, v8
	v_cndmask_b32_e32 v7, v9, v7, vcc
	v_and_or_b32 v5, v6, s26, v5
	v_and_or_b32 v6, v8, s26, v7
	s_mov_b64 s[0:1], 0
	s_branch .LBB150_352
.LBB150_348:
	s_mov_b64 s[0:1], -1
                                        ; implicit-def: $vgpr6
                                        ; implicit-def: $vgpr5
	s_branch .LBB150_371
.LBB150_349:
	s_mov_b64 s[0:1], -1
                                        ; implicit-def: $vgpr6
                                        ; implicit-def: $vgpr5
	s_branch .LBB150_358
.LBB150_350:
	s_mov_b64 s[0:1], -1
                                        ; implicit-def: $vgpr6
                                        ; implicit-def: $vgpr5
	s_branch .LBB150_355
.LBB150_351:
	s_mov_b64 s[0:1], -1
                                        ; implicit-def: $vgpr6
                                        ; implicit-def: $vgpr5
.LBB150_352:
	s_andn2_b64 vcc, exec, s[0:1]
	s_cbranch_vccnz .LBB150_354
; %bb.353:
	global_load_dwordx2 v[5:6], v[0:1], off
	s_waitcnt vmcnt(0)
	v_cvt_f16_f32_e32 v5, v5
	v_cvt_f16_f32_e32 v6, v6
.LBB150_354:
	s_mov_b64 s[0:1], 0
.LBB150_355:
	s_andn2_b64 vcc, exec, s[0:1]
	s_cbranch_vccnz .LBB150_357
; %bb.356:
	global_load_dword v5, v[0:1], off
	s_waitcnt vmcnt(0)
	v_lshrrev_b32_e32 v6, 16, v5
.LBB150_357:
	s_mov_b64 s[0:1], 0
.LBB150_358:
	s_andn2_b64 vcc, exec, s[0:1]
	s_cbranch_vccnz .LBB150_370
; %bb.359:
	s_cmp_lt_i32 s18, 6
	s_cbranch_scc1 .LBB150_362
; %bb.360:
	s_cmp_gt_i32 s18, 6
	s_cbranch_scc0 .LBB150_363
; %bb.361:
	global_load_dwordx2 v[5:6], v[0:1], off
	s_movk_i32 s0, 0x1ff
	s_movk_i32 s1, 0xffe
	v_mov_b32_e32 v7, 0x7c00
	v_mov_b32_e32 v8, 0x7e00
	s_movk_i32 s19, 0x40f
	s_mov_b32 s26, 0x8000
	s_waitcnt vmcnt(0)
	v_and_or_b32 v5, v6, s0, v5
	v_cmp_ne_u32_e32 vcc, 0, v5
	v_lshrrev_b32_e32 v9, 8, v6
	v_bfe_u32 v10, v6, 20, 11
	v_cndmask_b32_e64 v5, 0, 1, vcc
	v_sub_u32_e32 v11, 0x3f1, v10
	v_and_or_b32 v5, v9, s1, v5
	v_add_u32_e32 v10, 0xfffffc10, v10
	v_med3_i32 v9, v11, 0, 13
	v_or_b32_e32 v11, 0x1000, v5
	v_cmp_ne_u32_e32 vcc, 0, v5
	v_lshl_or_b32 v12, v10, 12, v5
	v_cndmask_b32_e32 v5, v7, v8, vcc
	v_lshrrev_b32_e32 v8, v9, v11
	v_lshlrev_b32_e32 v9, v9, v8
	v_cmp_ne_u32_e32 vcc, v9, v11
	v_cndmask_b32_e64 v9, 0, 1, vcc
	v_or_b32_e32 v8, v8, v9
	v_cmp_gt_i32_e32 vcc, 1, v10
	v_cndmask_b32_e32 v8, v12, v8, vcc
	v_and_b32_e32 v9, 7, v8
	v_cmp_lt_i32_e32 vcc, 5, v9
	v_cndmask_b32_e64 v11, 0, 1, vcc
	v_cmp_eq_u32_e32 vcc, 3, v9
	v_cndmask_b32_e64 v9, 0, 1, vcc
	v_lshrrev_b32_e32 v8, 2, v8
	v_or_b32_e32 v9, v9, v11
	v_add_u32_e32 v8, v8, v9
	v_cmp_gt_i32_e32 vcc, 31, v10
	v_cndmask_b32_e32 v7, v7, v8, vcc
	v_cmp_eq_u32_e32 vcc, s19, v10
	v_lshrrev_b32_e32 v6, 16, v6
	v_cndmask_b32_e32 v5, v7, v5, vcc
	v_and_or_b32 v5, v6, s26, v5
	s_mov_b64 s[0:1], 0
	s_branch .LBB150_364
.LBB150_362:
	s_mov_b64 s[0:1], -1
                                        ; implicit-def: $vgpr5
	s_branch .LBB150_367
.LBB150_363:
	s_mov_b64 s[0:1], -1
                                        ; implicit-def: $vgpr5
.LBB150_364:
	s_andn2_b64 vcc, exec, s[0:1]
	s_cbranch_vccnz .LBB150_366
; %bb.365:
	global_load_dword v5, v[0:1], off
	s_waitcnt vmcnt(0)
	v_cvt_f16_f32_e32 v5, v5
.LBB150_366:
	s_mov_b64 s[0:1], 0
.LBB150_367:
	s_andn2_b64 vcc, exec, s[0:1]
	s_cbranch_vccnz .LBB150_369
; %bb.368:
	global_load_ushort v5, v[0:1], off
.LBB150_369:
	v_mov_b32_e32 v6, 0
.LBB150_370:
	s_mov_b64 s[0:1], 0
.LBB150_371:
	s_andn2_b64 vcc, exec, s[0:1]
	s_cbranch_vccnz .LBB150_392
; %bb.372:
	s_cmp_lt_i32 s18, 2
	s_cbranch_scc1 .LBB150_376
; %bb.373:
	s_cmp_lt_i32 s18, 3
	s_cbranch_scc1 .LBB150_377
; %bb.374:
	s_cmp_gt_i32 s18, 3
	s_cbranch_scc0 .LBB150_378
; %bb.375:
	global_load_dwordx2 v[5:6], v[0:1], off
	s_mov_b64 s[0:1], 0
	s_waitcnt vmcnt(0)
	v_xor_b32_e32 v8, v5, v6
	v_ffbh_i32_e32 v7, v6
	v_ashrrev_i32_e32 v8, 31, v8
	v_add_u32_e32 v7, -1, v7
	v_add_u32_e32 v8, 32, v8
	v_min_u32_e32 v7, v7, v8
	v_lshlrev_b64 v[5:6], v7, v[5:6]
	v_min_u32_e32 v5, 1, v5
	v_or_b32_e32 v5, v6, v5
	v_cvt_f32_i32_e32 v5, v5
	v_sub_u32_e32 v6, 32, v7
	v_ldexp_f32 v5, v5, v6
	v_cvt_f16_f32_e32 v5, v5
	s_branch .LBB150_379
.LBB150_376:
	s_mov_b64 s[0:1], -1
                                        ; implicit-def: $vgpr5
	s_branch .LBB150_385
.LBB150_377:
	s_mov_b64 s[0:1], -1
                                        ; implicit-def: $vgpr5
	s_branch .LBB150_382
.LBB150_378:
	s_mov_b64 s[0:1], -1
                                        ; implicit-def: $vgpr5
.LBB150_379:
	s_andn2_b64 vcc, exec, s[0:1]
	s_cbranch_vccnz .LBB150_381
; %bb.380:
	global_load_dword v5, v[0:1], off
	s_waitcnt vmcnt(0)
	v_cvt_f32_i32_e32 v5, v5
	v_cvt_f16_f32_e32 v5, v5
.LBB150_381:
	s_mov_b64 s[0:1], 0
.LBB150_382:
	s_andn2_b64 vcc, exec, s[0:1]
	s_cbranch_vccnz .LBB150_384
; %bb.383:
	global_load_ushort v5, v[0:1], off
	s_waitcnt vmcnt(0)
	v_cvt_f16_i16_e32 v5, v5
.LBB150_384:
	s_mov_b64 s[0:1], 0
.LBB150_385:
	s_andn2_b64 vcc, exec, s[0:1]
	s_cbranch_vccnz .LBB150_391
; %bb.386:
	s_cmp_gt_i32 s18, 0
	s_cbranch_scc0 .LBB150_388
; %bb.387:
	global_load_sbyte v5, v[0:1], off
	s_mov_b64 s[0:1], 0
	s_waitcnt vmcnt(0)
	v_cvt_f16_i16_e32 v5, v5
	s_branch .LBB150_389
.LBB150_388:
	s_mov_b64 s[0:1], -1
                                        ; implicit-def: $vgpr5
.LBB150_389:
	s_andn2_b64 vcc, exec, s[0:1]
	s_cbranch_vccnz .LBB150_391
; %bb.390:
	global_load_ubyte v0, v[0:1], off
	s_waitcnt vmcnt(0)
	v_cvt_f16_u16_e32 v5, v0
.LBB150_391:
	v_mov_b32_e32 v6, 0
.LBB150_392:
	s_branch .LBB150_21
.LBB150_393:
	s_mov_b64 s[0:1], 0
.LBB150_394:
                                        ; implicit-def: $vgpr2
	s_mov_b64 s[26:27], 0
.LBB150_395:
	s_and_b64 s[18:19], s[0:1], exec
	s_and_b64 s[20:21], s[20:21], exec
	;; [unrolled: 1-line block ×3, first 2 shown]
	s_orn2_b64 s[0:1], s[26:27], exec
.LBB150_396:
	s_or_b64 exec, exec, s[24:25]
	s_mov_b64 s[34:35], 0
	s_mov_b64 s[30:31], 0
                                        ; implicit-def: $sgpr58
                                        ; implicit-def: $vgpr0_vgpr1
                                        ; implicit-def: $vgpr4
                                        ; implicit-def: $vgpr3
	s_and_saveexec_b64 s[24:25], s[0:1]
	s_cbranch_execz .LBB150_405
; %bb.397:
	v_cmp_gt_i32_e32 vcc, s50, v2
	s_mov_b64 s[0:1], -1
	s_mov_b64 s[26:27], s[22:23]
	s_mov_b64 s[28:29], s[20:21]
	;; [unrolled: 1-line block ×3, first 2 shown]
	s_and_saveexec_b64 s[34:35], vcc
	s_cbranch_execz .LBB150_801
; %bb.398:
	v_mul_lo_u32 v0, v2, s13
	v_mov_b32_e32 v1, s11
	s_and_b32 s36, s57, 0xff
	s_cmp_lt_i32 s36, 11
	s_waitcnt vmcnt(0)
	v_ashrrev_i32_e32 v3, 31, v0
	v_add_co_u32_e32 v0, vcc, s10, v0
	v_addc_co_u32_e32 v1, vcc, v1, v3, vcc
	s_cbranch_scc1 .LBB150_408
; %bb.399:
	s_and_b32 s37, 0xffff, s36
	s_cmp_gt_i32 s37, 25
	s_cbranch_scc0 .LBB150_417
; %bb.400:
	s_cmp_gt_i32 s37, 28
	s_cbranch_scc0 .LBB150_419
; %bb.401:
	;; [unrolled: 3-line block ×4, first 2 shown]
	s_cmp_eq_u32 s37, 46
	s_mov_b64 s[28:29], 0
	s_cbranch_scc0 .LBB150_427
; %bb.404:
	global_load_dword v3, v[0:1], off
	s_mov_b64 s[26:27], 0
	s_waitcnt vmcnt(0)
	v_and_b32_e32 v4, 0xffff0000, v3
	v_lshlrev_b32_e32 v3, 16, v3
	v_cvt_f16_f32_e32 v3, v3
	v_cvt_f16_f32_e32 v4, v4
	s_branch .LBB150_428
.LBB150_405:
	s_or_b64 exec, exec, s[24:25]
	s_mov_b64 s[24:25], 0
	s_and_saveexec_b64 s[0:1], s[22:23]
	s_cbranch_execnz .LBB150_1294
.LBB150_406:
	s_or_b64 exec, exec, s[0:1]
	s_and_saveexec_b64 s[0:1], s[28:29]
	s_xor_b64 s[0:1], exec, s[0:1]
	s_cbranch_execz .LBB150_1295
.LBB150_407:
	global_load_ubyte v3, v[0:1], off
	s_waitcnt vmcnt(1)
	v_mov_b32_e32 v5, 0x3c00
	v_mov_b32_e32 v4, 0
	s_or_b64 s[30:31], s[30:31], exec
	s_waitcnt vmcnt(0)
	v_cmp_ne_u16_e32 vcc, 0, v3
	v_cndmask_b32_e32 v3, 0, v5, vcc
	s_or_b64 exec, exec, s[0:1]
	s_and_saveexec_b64 s[0:1], s[34:35]
	s_cbranch_execz .LBB150_1343
	s_branch .LBB150_1296
.LBB150_408:
	s_mov_b64 s[0:1], 0
                                        ; implicit-def: $vgpr4
                                        ; implicit-def: $vgpr3
	s_mov_b64 s[26:27], s[22:23]
	s_cbranch_execnz .LBB150_497
.LBB150_409:
	s_andn2_b64 vcc, exec, s[0:1]
	s_cbranch_vccnz .LBB150_547
.LBB150_410:
	v_mul_lo_u32 v0, v2, s14
	v_mov_b32_e32 v1, s3
	s_and_b32 s38, s56, 0xff
	s_cmp_lt_i32 s38, 11
	v_ashrrev_i32_e32 v5, 31, v0
	v_add_co_u32_e32 v0, vcc, s2, v0
	v_addc_co_u32_e32 v1, vcc, v1, v5, vcc
	s_cbranch_scc1 .LBB150_418
; %bb.411:
	s_and_b32 s39, 0xffff, s38
	s_cmp_gt_i32 s39, 25
	s_cbranch_scc0 .LBB150_420
; %bb.412:
	s_cmp_gt_i32 s39, 28
	s_cbranch_scc0 .LBB150_422
; %bb.413:
	;; [unrolled: 3-line block ×4, first 2 shown]
	s_cmp_eq_u32 s39, 46
	s_mov_b64 s[30:31], 0
	s_cbranch_scc0 .LBB150_551
; %bb.416:
	global_load_dword v5, v[0:1], off
	s_mov_b64 s[0:1], -1
	s_mov_b64 s[28:29], 0
	s_waitcnt vmcnt(0)
	v_and_b32_e32 v6, 0xffff0000, v5
	v_lshlrev_b32_e32 v5, 16, v5
	v_cvt_f16_f32_e32 v5, v5
	v_cvt_f16_f32_e32 v6, v6
	s_branch .LBB150_552
.LBB150_417:
	s_mov_b64 s[28:29], -1
	s_mov_b64 s[0:1], 0
	s_mov_b64 s[26:27], s[22:23]
                                        ; implicit-def: $vgpr4
                                        ; implicit-def: $vgpr3
	s_branch .LBB150_460
.LBB150_418:
	s_mov_b64 s[30:31], -1
	s_mov_b64 s[0:1], 0
                                        ; implicit-def: $vgpr6
                                        ; implicit-def: $vgpr5
	s_mov_b64 s[28:29], s[20:21]
	s_branch .LBB150_620
.LBB150_419:
	s_mov_b64 s[28:29], -1
	s_mov_b64 s[0:1], 0
	s_mov_b64 s[26:27], s[22:23]
                                        ; implicit-def: $vgpr4
                                        ; implicit-def: $vgpr3
	s_branch .LBB150_441
.LBB150_420:
	s_mov_b64 s[30:31], -1
	s_mov_b64 s[0:1], 0
	s_mov_b64 s[28:29], s[20:21]
                                        ; implicit-def: $vgpr6
                                        ; implicit-def: $vgpr5
	s_branch .LBB150_583
.LBB150_421:
	s_mov_b64 s[28:29], -1
	s_mov_b64 s[0:1], 0
	s_mov_b64 s[26:27], s[22:23]
                                        ; implicit-def: $vgpr4
                                        ; implicit-def: $vgpr3
	s_branch .LBB150_435
.LBB150_422:
	s_mov_b64 s[30:31], -1
	s_mov_b64 s[0:1], 0
	s_mov_b64 s[28:29], s[20:21]
                                        ; implicit-def: $vgpr6
                                        ; implicit-def: $vgpr5
	s_branch .LBB150_564
.LBB150_423:
	s_mov_b64 s[28:29], -1
	s_mov_b64 s[0:1], 0
	s_mov_b64 s[26:27], s[22:23]
                                        ; implicit-def: $vgpr4
                                        ; implicit-def: $vgpr3
	s_branch .LBB150_428
.LBB150_424:
	s_mov_b64 s[30:31], -1
	s_mov_b64 s[0:1], 0
	s_mov_b64 s[28:29], s[20:21]
                                        ; implicit-def: $vgpr6
                                        ; implicit-def: $vgpr5
	s_branch .LBB150_558
.LBB150_425:
	s_andn2_saveexec_b64 s[34:35], s[34:35]
	s_cbranch_execz .LBB150_188
.LBB150_426:
	v_add_f32_e32 v3, 0x46000000, v4
	v_and_b32_e32 v3, 0xff, v3
	v_cmp_ne_u32_e32 vcc, 0, v3
	s_andn2_b64 s[30:31], s[30:31], exec
	s_and_b64 s[38:39], vcc, exec
	s_or_b64 s[30:31], s[30:31], s[38:39]
	s_or_b64 exec, exec, s[34:35]
	v_mov_b32_e32 v5, 0
	s_and_saveexec_b64 s[34:35], s[30:31]
	s_cbranch_execnz .LBB150_189
	s_branch .LBB150_190
.LBB150_427:
	s_mov_b64 s[26:27], -1
                                        ; implicit-def: $vgpr4
                                        ; implicit-def: $vgpr3
	s_mov_b64 s[0:1], 0
.LBB150_428:
	s_and_b64 vcc, exec, s[28:29]
	s_cbranch_vccz .LBB150_434
; %bb.429:
	s_cmp_eq_u32 s37, 44
	s_cbranch_scc0 .LBB150_432
; %bb.430:
	global_load_ubyte v3, v[0:1], off
	s_movk_i32 s26, 0xff
	v_mov_b32_e32 v5, 0x7e00
	s_mov_b64 s[0:1], -1
	s_waitcnt vmcnt(0)
	v_lshlrev_b32_e32 v4, 23, v3
	v_cvt_f16_f32_e32 v4, v4
	v_cmp_ne_u32_e32 vcc, s26, v3
	s_mov_b64 s[26:27], 0
	v_cndmask_b32_e32 v4, v5, v4, vcc
	v_cmp_ne_u32_e32 vcc, 0, v3
	v_cndmask_b32_e32 v3, 0, v4, vcc
	s_branch .LBB150_433
.LBB150_431:
	s_mov_b64 s[30:31], -1
	s_mov_b64 s[0:1], 0
	s_mov_b64 s[28:29], s[20:21]
                                        ; implicit-def: $vgpr6
                                        ; implicit-def: $vgpr5
	s_branch .LBB150_552
.LBB150_432:
	s_mov_b64 s[26:27], -1
                                        ; implicit-def: $vgpr3
.LBB150_433:
	v_mov_b32_e32 v4, 0
.LBB150_434:
	s_mov_b64 s[28:29], 0
.LBB150_435:
	s_and_b64 vcc, exec, s[28:29]
	s_cbranch_vccz .LBB150_440
; %bb.436:
	s_cmp_eq_u32 s37, 29
	s_cbranch_scc0 .LBB150_438
; %bb.437:
	global_load_dwordx2 v[3:4], v[0:1], off
	s_mov_b64 s[0:1], -1
	s_mov_b64 s[26:27], 0
	s_waitcnt vmcnt(0)
	v_ffbh_u32_e32 v5, v4
	v_min_u32_e32 v5, 32, v5
	v_lshlrev_b64 v[3:4], v5, v[3:4]
	v_min_u32_e32 v3, 1, v3
	v_or_b32_e32 v3, v4, v3
	v_cvt_f32_u32_e32 v3, v3
	v_sub_u32_e32 v4, 32, v5
	v_ldexp_f32 v3, v3, v4
	v_cvt_f16_f32_e32 v3, v3
	s_branch .LBB150_439
.LBB150_438:
	s_mov_b64 s[26:27], -1
                                        ; implicit-def: $vgpr3
.LBB150_439:
	v_mov_b32_e32 v4, 0
.LBB150_440:
	s_mov_b64 s[28:29], 0
.LBB150_441:
	s_and_b64 vcc, exec, s[28:29]
	s_cbranch_vccz .LBB150_459
; %bb.442:
	s_cmp_lt_i32 s37, 27
	s_cbranch_scc1 .LBB150_445
; %bb.443:
	s_cmp_gt_i32 s37, 27
	s_cbranch_scc0 .LBB150_446
; %bb.444:
	global_load_dword v3, v[0:1], off
	s_mov_b64 s[0:1], 0
	s_waitcnt vmcnt(0)
	v_cvt_f32_u32_e32 v3, v3
	v_cvt_f16_f32_e32 v3, v3
	s_branch .LBB150_447
.LBB150_445:
	s_mov_b64 s[0:1], -1
                                        ; implicit-def: $vgpr3
	s_branch .LBB150_450
.LBB150_446:
	s_mov_b64 s[0:1], -1
                                        ; implicit-def: $vgpr3
.LBB150_447:
	s_andn2_b64 vcc, exec, s[0:1]
	s_cbranch_vccnz .LBB150_449
; %bb.448:
	global_load_ushort v3, v[0:1], off
	s_waitcnt vmcnt(0)
	v_cvt_f16_u16_e32 v3, v3
.LBB150_449:
	s_mov_b64 s[0:1], 0
.LBB150_450:
	s_andn2_b64 vcc, exec, s[0:1]
	s_cbranch_vccnz .LBB150_458
; %bb.451:
	global_load_ubyte v4, v[0:1], off
	s_movk_i32 s0, 0x7f
	s_waitcnt vmcnt(0)
	v_cmp_lt_i16_e32 vcc, s0, v4
	s_mov_b64 s[0:1], 0
	s_and_saveexec_b64 s[28:29], vcc
	s_xor_b64 s[28:29], exec, s[28:29]
	s_cbranch_execz .LBB150_472
; %bb.452:
	s_movk_i32 s0, 0x80
	v_cmp_eq_u16_e32 vcc, s0, v4
	s_mov_b64 s[0:1], -1
	s_and_saveexec_b64 s[30:31], vcc
; %bb.453:
	s_xor_b64 s[0:1], exec, -1
; %bb.454:
	s_or_b64 exec, exec, s[30:31]
	s_and_b64 s[0:1], s[0:1], exec
	s_or_saveexec_b64 s[28:29], s[28:29]
	v_mov_b32_e32 v3, 0x7e00
	s_xor_b64 exec, exec, s[28:29]
	s_cbranch_execnz .LBB150_473
.LBB150_455:
	s_or_b64 exec, exec, s[28:29]
	s_and_saveexec_b64 s[28:29], s[0:1]
	s_cbranch_execz .LBB150_457
.LBB150_456:
	v_lshlrev_b32_e32 v3, 24, v4
	v_and_b32_e32 v4, 0xffff, v4
	v_and_b32_e32 v5, 7, v4
	v_ffbh_u32_e32 v7, v5
	v_min_u32_e32 v7, 32, v7
	v_subrev_u32_e32 v8, 28, v7
	v_bfe_u32 v6, v4, 3, 4
	v_lshlrev_b32_e32 v4, v8, v4
	v_sub_u32_e32 v7, 29, v7
	v_and_b32_e32 v4, 7, v4
	v_cmp_eq_u32_e32 vcc, 0, v6
	v_cndmask_b32_e32 v6, v6, v7, vcc
	v_cndmask_b32_e32 v4, v5, v4, vcc
	v_mov_b32_e32 v5, 0x3b800000
	v_lshlrev_b32_e32 v4, 20, v4
	v_and_b32_e32 v3, 0x80000000, v3
	v_lshl_add_u32 v5, v6, 23, v5
	v_or3_b32 v3, v3, v5, v4
	v_cvt_f16_f32_e32 v3, v3
.LBB150_457:
	s_or_b64 exec, exec, s[28:29]
.LBB150_458:
	s_mov_b64 s[0:1], -1
	v_mov_b32_e32 v4, 0
.LBB150_459:
	s_mov_b64 s[28:29], 0
.LBB150_460:
	s_and_b64 vcc, exec, s[28:29]
	s_cbranch_vccz .LBB150_496
; %bb.461:
	s_cmp_gt_i32 s37, 22
	s_cbranch_scc0 .LBB150_471
; %bb.462:
	s_cmp_lt_i32 s37, 24
	s_cbranch_scc1 .LBB150_474
; %bb.463:
	s_cmp_gt_i32 s37, 24
	s_cbranch_scc0 .LBB150_475
; %bb.464:
	global_load_ubyte v4, v[0:1], off
	s_movk_i32 s0, 0x7f
	s_waitcnt vmcnt(0)
	v_cmp_lt_i16_e32 vcc, s0, v4
	s_mov_b64 s[0:1], 0
	s_and_saveexec_b64 s[28:29], vcc
	s_xor_b64 s[28:29], exec, s[28:29]
	s_cbranch_execz .LBB150_487
; %bb.465:
	s_movk_i32 s0, 0x80
	v_cmp_eq_u16_e32 vcc, s0, v4
	s_mov_b64 s[0:1], -1
	s_and_saveexec_b64 s[30:31], vcc
; %bb.466:
	s_xor_b64 s[0:1], exec, -1
; %bb.467:
	s_or_b64 exec, exec, s[30:31]
	s_and_b64 s[0:1], s[0:1], exec
	s_or_saveexec_b64 s[28:29], s[28:29]
	v_mov_b32_e32 v3, 0x7e00
	s_xor_b64 exec, exec, s[28:29]
	s_cbranch_execnz .LBB150_488
.LBB150_468:
	s_or_b64 exec, exec, s[28:29]
	s_and_saveexec_b64 s[28:29], s[0:1]
	s_cbranch_execz .LBB150_470
.LBB150_469:
	v_lshlrev_b32_e32 v3, 24, v4
	v_and_b32_e32 v4, 0xffff, v4
	v_and_b32_e32 v5, 3, v4
	v_ffbh_u32_e32 v7, v5
	v_min_u32_e32 v7, 32, v7
	v_subrev_u32_e32 v8, 29, v7
	v_bfe_u32 v6, v4, 2, 5
	v_lshlrev_b32_e32 v4, v8, v4
	v_sub_u32_e32 v7, 30, v7
	v_and_b32_e32 v4, 3, v4
	v_cmp_eq_u32_e32 vcc, 0, v6
	v_cndmask_b32_e32 v6, v6, v7, vcc
	v_cndmask_b32_e32 v4, v5, v4, vcc
	v_mov_b32_e32 v5, 0x37800000
	v_lshlrev_b32_e32 v4, 21, v4
	v_and_b32_e32 v3, 0x80000000, v3
	v_lshl_add_u32 v5, v6, 23, v5
	v_or3_b32 v3, v3, v5, v4
	v_cvt_f16_f32_e32 v3, v3
.LBB150_470:
	s_or_b64 exec, exec, s[28:29]
	s_mov_b64 s[0:1], 0
	s_branch .LBB150_476
.LBB150_471:
	s_mov_b64 s[28:29], -1
                                        ; implicit-def: $vgpr3
	s_branch .LBB150_482
.LBB150_472:
	s_or_saveexec_b64 s[28:29], s[28:29]
	v_mov_b32_e32 v3, 0x7e00
	s_xor_b64 exec, exec, s[28:29]
	s_cbranch_execz .LBB150_455
.LBB150_473:
	v_cmp_ne_u16_e32 vcc, 0, v4
	s_andn2_b64 s[0:1], s[0:1], exec
	s_and_b64 s[30:31], vcc, exec
	s_or_b64 s[0:1], s[0:1], s[30:31]
	v_mov_b32_e32 v3, v4
	s_or_b64 exec, exec, s[28:29]
	s_and_saveexec_b64 s[28:29], s[0:1]
	s_cbranch_execnz .LBB150_456
	s_branch .LBB150_457
.LBB150_474:
	s_mov_b64 s[0:1], -1
                                        ; implicit-def: $vgpr3
	s_branch .LBB150_479
.LBB150_475:
	s_mov_b64 s[0:1], -1
                                        ; implicit-def: $vgpr3
.LBB150_476:
	s_and_b64 vcc, exec, s[0:1]
	s_cbranch_vccz .LBB150_478
; %bb.477:
	global_load_ubyte v3, v[0:1], off
	s_mov_b32 s0, 0x7f800000
	s_waitcnt vmcnt(0)
	v_lshlrev_b32_e32 v3, 24, v3
	v_and_b32_e32 v4, 0x7f000000, v3
	v_ffbh_u32_e32 v5, v4
	v_min_u32_e32 v5, 32, v5
	v_sub_u32_e64 v5, v5, 4 clamp
	v_lshlrev_b32_e32 v7, v5, v4
	v_lshlrev_b32_e32 v5, 23, v5
	v_lshrrev_b32_e32 v7, 4, v7
	v_add_u32_e32 v6, 0x1000000, v4
	v_sub_u32_e32 v5, v7, v5
	v_ashrrev_i32_e32 v6, 8, v6
	v_add_u32_e32 v5, 0x3c000000, v5
	v_and_or_b32 v5, v6, s0, v5
	v_cmp_ne_u32_e32 vcc, 0, v4
	v_cndmask_b32_e32 v4, 0, v5, vcc
	s_brev_b32 s0, 1
	v_and_or_b32 v3, v3, s0, v4
	v_cvt_f16_f32_e32 v3, v3
.LBB150_478:
	s_mov_b64 s[0:1], 0
.LBB150_479:
	s_andn2_b64 vcc, exec, s[0:1]
	s_cbranch_vccnz .LBB150_481
; %bb.480:
	global_load_ubyte v3, v[0:1], off
	s_movk_i32 s0, 0x7f00
	s_brev_b32 s1, 16
	s_waitcnt vmcnt(0)
	v_lshlrev_b16_e32 v4, 8, v3
	v_lshlrev_b32_e32 v3, 25, v3
	v_lshrrev_b32_e32 v5, 4, v3
	v_and_or_b32 v6, v4, s0, 0.5
	v_or_b32_e32 v5, 0x70000000, v5
	v_add_f32_e32 v6, -0.5, v6
	v_mul_f32_e32 v5, 0x7800000, v5
	v_cmp_gt_u32_e32 vcc, s1, v3
	v_bfe_i32 v4, v4, 0, 16
	v_cndmask_b32_e32 v3, v5, v6, vcc
	s_brev_b32 s0, 1
	v_and_or_b32 v3, v4, s0, v3
	v_cvt_f16_f32_e32 v3, v3
.LBB150_481:
	s_mov_b64 s[28:29], 0
	s_mov_b64 s[0:1], -1
.LBB150_482:
	s_andn2_b64 vcc, exec, s[28:29]
	s_cbranch_vccnz .LBB150_495
; %bb.483:
	s_cmp_gt_i32 s37, 14
	s_cbranch_scc0 .LBB150_486
; %bb.484:
	s_cmp_eq_u32 s37, 15
	s_cbranch_scc0 .LBB150_489
; %bb.485:
	global_load_ushort v3, v[0:1], off
	s_mov_b64 s[0:1], -1
	s_mov_b64 s[26:27], 0
	s_waitcnt vmcnt(0)
	v_lshlrev_b32_e32 v3, 16, v3
	v_cvt_f16_f32_e32 v3, v3
	s_branch .LBB150_490
.LBB150_486:
	s_mov_b64 s[28:29], -1
                                        ; implicit-def: $vgpr3
	s_branch .LBB150_491
.LBB150_487:
	s_or_saveexec_b64 s[28:29], s[28:29]
	v_mov_b32_e32 v3, 0x7e00
	s_xor_b64 exec, exec, s[28:29]
	s_cbranch_execz .LBB150_468
.LBB150_488:
	v_cmp_ne_u16_e32 vcc, 0, v4
	s_andn2_b64 s[0:1], s[0:1], exec
	s_and_b64 s[30:31], vcc, exec
	s_or_b64 s[0:1], s[0:1], s[30:31]
	v_mov_b32_e32 v3, v4
	s_or_b64 exec, exec, s[28:29]
	s_and_saveexec_b64 s[28:29], s[0:1]
	s_cbranch_execnz .LBB150_469
	s_branch .LBB150_470
.LBB150_489:
	s_mov_b64 s[26:27], -1
                                        ; implicit-def: $vgpr3
.LBB150_490:
	s_mov_b64 s[28:29], 0
.LBB150_491:
	s_and_b64 vcc, exec, s[28:29]
	s_cbranch_vccz .LBB150_495
; %bb.492:
	s_cmp_eq_u32 s37, 11
	s_cbranch_scc0 .LBB150_494
; %bb.493:
	global_load_ubyte v3, v[0:1], off
	v_mov_b32_e32 v4, 0x3c00
	s_mov_b64 s[0:1], -1
	s_mov_b64 s[26:27], 0
	s_waitcnt vmcnt(0)
	v_cmp_ne_u16_e32 vcc, 0, v3
	v_cndmask_b32_e32 v3, 0, v4, vcc
	s_branch .LBB150_495
.LBB150_494:
	s_mov_b64 s[26:27], -1
                                        ; implicit-def: $vgpr3
.LBB150_495:
	v_mov_b32_e32 v4, 0
.LBB150_496:
	s_branch .LBB150_409
.LBB150_497:
	s_and_b32 s28, 0xffff, s36
	s_cmp_lt_i32 s28, 5
	s_cbranch_scc1 .LBB150_502
; %bb.498:
	s_cmp_lt_i32 s28, 8
	s_cbranch_scc1 .LBB150_503
; %bb.499:
	;; [unrolled: 3-line block ×3, first 2 shown]
	s_cmp_gt_i32 s28, 9
	s_cbranch_scc0 .LBB150_505
; %bb.501:
	global_load_dwordx4 v[3:6], v[0:1], off
	s_movk_i32 s0, 0x1ff
	s_movk_i32 s1, 0xffe
	v_mov_b32_e32 v7, 0x7c00
	v_mov_b32_e32 v8, 0x7e00
	s_movk_i32 s29, 0x40f
	s_mov_b32 s30, 0x8000
	s_waitcnt vmcnt(0)
	v_and_or_b32 v3, v4, s0, v3
	v_and_or_b32 v5, v6, s0, v5
	v_cmp_ne_u32_e32 vcc, 0, v3
	v_lshrrev_b32_e32 v9, 8, v4
	v_cndmask_b32_e64 v3, 0, 1, vcc
	v_cmp_ne_u32_e32 vcc, 0, v5
	v_bfe_u32 v10, v4, 20, 11
	v_lshrrev_b32_e32 v11, 8, v6
	v_bfe_u32 v12, v6, 20, 11
	v_cndmask_b32_e64 v5, 0, 1, vcc
	v_and_or_b32 v3, v9, s1, v3
	v_sub_u32_e32 v13, 0x3f1, v10
	v_add_u32_e32 v10, 0xfffffc10, v10
	v_sub_u32_e32 v14, 0x3f1, v12
	v_and_or_b32 v5, v11, s1, v5
	v_cmp_ne_u32_e32 vcc, 0, v3
	v_add_u32_e32 v12, 0xfffffc10, v12
	v_med3_i32 v9, v13, 0, 13
	v_med3_i32 v11, v14, 0, 13
	v_or_b32_e32 v13, 0x1000, v3
	v_lshl_or_b32 v14, v10, 12, v3
	v_cndmask_b32_e32 v3, v7, v8, vcc
	v_cmp_ne_u32_e32 vcc, 0, v5
	v_or_b32_e32 v15, 0x1000, v5
	v_lshl_or_b32 v16, v12, 12, v5
	v_cndmask_b32_e32 v5, v7, v8, vcc
	v_lshrrev_b32_e32 v8, v9, v13
	v_lshrrev_b32_e32 v17, v11, v15
	v_lshlrev_b32_e32 v9, v9, v8
	v_lshlrev_b32_e32 v11, v11, v17
	v_cmp_ne_u32_e32 vcc, v9, v13
	v_cndmask_b32_e64 v9, 0, 1, vcc
	v_cmp_ne_u32_e32 vcc, v11, v15
	v_cndmask_b32_e64 v11, 0, 1, vcc
	v_or_b32_e32 v8, v8, v9
	v_cmp_gt_i32_e32 vcc, 1, v10
	v_cndmask_b32_e32 v8, v14, v8, vcc
	v_or_b32_e32 v9, v17, v11
	v_cmp_gt_i32_e32 vcc, 1, v12
	v_and_b32_e32 v11, 7, v8
	v_cndmask_b32_e32 v9, v16, v9, vcc
	v_cmp_lt_i32_e32 vcc, 5, v11
	v_and_b32_e32 v13, 7, v9
	v_cndmask_b32_e64 v14, 0, 1, vcc
	v_cmp_eq_u32_e32 vcc, 3, v11
	v_cndmask_b32_e64 v11, 0, 1, vcc
	v_cmp_lt_i32_e32 vcc, 5, v13
	v_cndmask_b32_e64 v15, 0, 1, vcc
	v_cmp_eq_u32_e32 vcc, 3, v13
	v_lshrrev_b32_e32 v8, 2, v8
	v_cndmask_b32_e64 v13, 0, 1, vcc
	v_or_b32_e32 v11, v11, v14
	v_lshrrev_b32_e32 v9, 2, v9
	v_or_b32_e32 v13, v13, v15
	v_add_u32_e32 v8, v8, v11
	v_cmp_gt_i32_e32 vcc, 31, v10
	v_add_u32_e32 v9, v9, v13
	v_cndmask_b32_e32 v8, v7, v8, vcc
	v_cmp_gt_i32_e32 vcc, 31, v12
	v_cndmask_b32_e32 v7, v7, v9, vcc
	v_cmp_eq_u32_e32 vcc, s29, v10
	v_cndmask_b32_e32 v3, v8, v3, vcc
	v_cmp_eq_u32_e32 vcc, s29, v12
	v_lshrrev_b32_e32 v4, 16, v4
	v_lshrrev_b32_e32 v6, 16, v6
	v_cndmask_b32_e32 v5, v7, v5, vcc
	v_and_or_b32 v3, v4, s30, v3
	v_and_or_b32 v4, v6, s30, v5
	s_mov_b64 s[0:1], 0
	s_branch .LBB150_506
.LBB150_502:
	s_mov_b64 s[0:1], -1
                                        ; implicit-def: $vgpr4
                                        ; implicit-def: $vgpr3
	s_branch .LBB150_525
.LBB150_503:
	s_mov_b64 s[0:1], -1
                                        ; implicit-def: $vgpr4
                                        ; implicit-def: $vgpr3
	s_branch .LBB150_512
.LBB150_504:
	s_mov_b64 s[0:1], -1
                                        ; implicit-def: $vgpr4
                                        ; implicit-def: $vgpr3
	s_branch .LBB150_509
.LBB150_505:
	s_mov_b64 s[0:1], -1
                                        ; implicit-def: $vgpr4
                                        ; implicit-def: $vgpr3
.LBB150_506:
	s_andn2_b64 vcc, exec, s[0:1]
	s_cbranch_vccnz .LBB150_508
; %bb.507:
	global_load_dwordx2 v[3:4], v[0:1], off
	s_waitcnt vmcnt(0)
	v_cvt_f16_f32_e32 v3, v3
	v_cvt_f16_f32_e32 v4, v4
.LBB150_508:
	s_mov_b64 s[0:1], 0
.LBB150_509:
	s_andn2_b64 vcc, exec, s[0:1]
	s_cbranch_vccnz .LBB150_511
; %bb.510:
	global_load_dword v3, v[0:1], off
	s_waitcnt vmcnt(0)
	v_lshrrev_b32_e32 v4, 16, v3
.LBB150_511:
	s_mov_b64 s[0:1], 0
.LBB150_512:
	s_andn2_b64 vcc, exec, s[0:1]
	s_cbranch_vccnz .LBB150_524
; %bb.513:
	s_cmp_lt_i32 s28, 6
	s_cbranch_scc1 .LBB150_516
; %bb.514:
	s_cmp_gt_i32 s28, 6
	s_cbranch_scc0 .LBB150_517
; %bb.515:
	global_load_dwordx2 v[3:4], v[0:1], off
	s_movk_i32 s0, 0x1ff
	s_movk_i32 s1, 0xffe
	v_mov_b32_e32 v5, 0x7c00
	v_mov_b32_e32 v6, 0x7e00
	s_movk_i32 s29, 0x40f
	s_mov_b32 s30, 0x8000
	s_waitcnt vmcnt(0)
	v_and_or_b32 v3, v4, s0, v3
	v_cmp_ne_u32_e32 vcc, 0, v3
	v_lshrrev_b32_e32 v7, 8, v4
	v_bfe_u32 v8, v4, 20, 11
	v_cndmask_b32_e64 v3, 0, 1, vcc
	v_sub_u32_e32 v9, 0x3f1, v8
	v_and_or_b32 v3, v7, s1, v3
	v_add_u32_e32 v8, 0xfffffc10, v8
	v_med3_i32 v7, v9, 0, 13
	v_or_b32_e32 v9, 0x1000, v3
	v_cmp_ne_u32_e32 vcc, 0, v3
	v_lshl_or_b32 v10, v8, 12, v3
	v_cndmask_b32_e32 v3, v5, v6, vcc
	v_lshrrev_b32_e32 v6, v7, v9
	v_lshlrev_b32_e32 v7, v7, v6
	v_cmp_ne_u32_e32 vcc, v7, v9
	v_cndmask_b32_e64 v7, 0, 1, vcc
	v_or_b32_e32 v6, v6, v7
	v_cmp_gt_i32_e32 vcc, 1, v8
	v_cndmask_b32_e32 v6, v10, v6, vcc
	v_and_b32_e32 v7, 7, v6
	v_cmp_lt_i32_e32 vcc, 5, v7
	v_cndmask_b32_e64 v9, 0, 1, vcc
	v_cmp_eq_u32_e32 vcc, 3, v7
	v_cndmask_b32_e64 v7, 0, 1, vcc
	v_lshrrev_b32_e32 v6, 2, v6
	v_or_b32_e32 v7, v7, v9
	v_add_u32_e32 v6, v6, v7
	v_cmp_gt_i32_e32 vcc, 31, v8
	v_cndmask_b32_e32 v5, v5, v6, vcc
	v_cmp_eq_u32_e32 vcc, s29, v8
	v_lshrrev_b32_e32 v4, 16, v4
	v_cndmask_b32_e32 v3, v5, v3, vcc
	v_and_or_b32 v3, v4, s30, v3
	s_mov_b64 s[0:1], 0
	s_branch .LBB150_518
.LBB150_516:
	s_mov_b64 s[0:1], -1
                                        ; implicit-def: $vgpr3
	s_branch .LBB150_521
.LBB150_517:
	s_mov_b64 s[0:1], -1
                                        ; implicit-def: $vgpr3
.LBB150_518:
	s_andn2_b64 vcc, exec, s[0:1]
	s_cbranch_vccnz .LBB150_520
; %bb.519:
	global_load_dword v3, v[0:1], off
	s_waitcnt vmcnt(0)
	v_cvt_f16_f32_e32 v3, v3
.LBB150_520:
	s_mov_b64 s[0:1], 0
.LBB150_521:
	s_andn2_b64 vcc, exec, s[0:1]
	s_cbranch_vccnz .LBB150_523
; %bb.522:
	global_load_ushort v3, v[0:1], off
.LBB150_523:
	v_mov_b32_e32 v4, 0
.LBB150_524:
	s_mov_b64 s[0:1], 0
.LBB150_525:
	s_andn2_b64 vcc, exec, s[0:1]
	s_cbranch_vccnz .LBB150_546
; %bb.526:
	s_cmp_lt_i32 s28, 2
	s_cbranch_scc1 .LBB150_530
; %bb.527:
	s_cmp_lt_i32 s28, 3
	s_cbranch_scc1 .LBB150_531
; %bb.528:
	s_cmp_gt_i32 s28, 3
	s_cbranch_scc0 .LBB150_532
; %bb.529:
	global_load_dwordx2 v[3:4], v[0:1], off
	s_mov_b64 s[0:1], 0
	s_waitcnt vmcnt(0)
	v_xor_b32_e32 v6, v3, v4
	v_ffbh_i32_e32 v5, v4
	v_ashrrev_i32_e32 v6, 31, v6
	v_add_u32_e32 v5, -1, v5
	v_add_u32_e32 v6, 32, v6
	v_min_u32_e32 v5, v5, v6
	v_lshlrev_b64 v[3:4], v5, v[3:4]
	v_min_u32_e32 v3, 1, v3
	v_or_b32_e32 v3, v4, v3
	v_cvt_f32_i32_e32 v3, v3
	v_sub_u32_e32 v4, 32, v5
	v_ldexp_f32 v3, v3, v4
	v_cvt_f16_f32_e32 v3, v3
	s_branch .LBB150_533
.LBB150_530:
	s_mov_b64 s[0:1], -1
                                        ; implicit-def: $vgpr3
	s_branch .LBB150_539
.LBB150_531:
	s_mov_b64 s[0:1], -1
                                        ; implicit-def: $vgpr3
	s_branch .LBB150_536
.LBB150_532:
	s_mov_b64 s[0:1], -1
                                        ; implicit-def: $vgpr3
.LBB150_533:
	s_andn2_b64 vcc, exec, s[0:1]
	s_cbranch_vccnz .LBB150_535
; %bb.534:
	global_load_dword v3, v[0:1], off
	s_waitcnt vmcnt(0)
	v_cvt_f32_i32_e32 v3, v3
	v_cvt_f16_f32_e32 v3, v3
.LBB150_535:
	s_mov_b64 s[0:1], 0
.LBB150_536:
	s_andn2_b64 vcc, exec, s[0:1]
	s_cbranch_vccnz .LBB150_538
; %bb.537:
	global_load_ushort v3, v[0:1], off
	s_waitcnt vmcnt(0)
	v_cvt_f16_i16_e32 v3, v3
.LBB150_538:
	s_mov_b64 s[0:1], 0
.LBB150_539:
	s_andn2_b64 vcc, exec, s[0:1]
	s_cbranch_vccnz .LBB150_545
; %bb.540:
	s_cmp_gt_i32 s28, 0
	s_cbranch_scc0 .LBB150_542
; %bb.541:
	global_load_sbyte v3, v[0:1], off
	s_mov_b64 s[0:1], 0
	s_waitcnt vmcnt(0)
	v_cvt_f16_i16_e32 v3, v3
	s_branch .LBB150_543
.LBB150_542:
	s_mov_b64 s[0:1], -1
                                        ; implicit-def: $vgpr3
.LBB150_543:
	s_andn2_b64 vcc, exec, s[0:1]
	s_cbranch_vccnz .LBB150_545
; %bb.544:
	global_load_ubyte v0, v[0:1], off
	s_waitcnt vmcnt(0)
	v_cvt_f16_u16_e32 v3, v0
.LBB150_545:
	v_mov_b32_e32 v4, 0
.LBB150_546:
	s_branch .LBB150_410
.LBB150_547:
	s_mov_b64 s[36:37], 0
	s_mov_b64 s[0:1], s[18:19]
	;; [unrolled: 1-line block ×3, first 2 shown]
.LBB150_548:
                                        ; implicit-def: $vgpr2
	s_branch .LBB150_800
.LBB150_549:
	s_andn2_saveexec_b64 s[34:35], s[34:35]
	s_cbranch_execz .LBB150_201
.LBB150_550:
	v_add_f32_e32 v3, 0x42800000, v4
	v_and_b32_e32 v3, 0xff, v3
	v_cmp_ne_u32_e32 vcc, 0, v3
	s_andn2_b64 s[30:31], s[30:31], exec
	s_and_b64 s[38:39], vcc, exec
	s_or_b64 s[30:31], s[30:31], s[38:39]
	s_or_b64 exec, exec, s[34:35]
	v_mov_b32_e32 v5, 0
	s_and_saveexec_b64 s[34:35], s[30:31]
	s_cbranch_execnz .LBB150_202
	s_branch .LBB150_203
.LBB150_551:
	s_mov_b64 s[28:29], -1
                                        ; implicit-def: $vgpr6
                                        ; implicit-def: $vgpr5
	s_mov_b64 s[0:1], 0
.LBB150_552:
	s_and_b64 vcc, exec, s[30:31]
	s_cbranch_vccz .LBB150_557
; %bb.553:
	s_cmp_eq_u32 s39, 44
	s_cbranch_scc0 .LBB150_555
; %bb.554:
	global_load_ubyte v5, v[0:1], off
	s_movk_i32 s28, 0xff
	v_mov_b32_e32 v7, 0x7e00
	s_mov_b64 s[0:1], -1
	s_waitcnt vmcnt(0)
	v_lshlrev_b32_e32 v6, 23, v5
	v_cvt_f16_f32_e32 v6, v6
	v_cmp_ne_u32_e32 vcc, s28, v5
	s_mov_b64 s[28:29], 0
	v_cndmask_b32_e32 v6, v7, v6, vcc
	v_cmp_ne_u32_e32 vcc, 0, v5
	v_cndmask_b32_e32 v5, 0, v6, vcc
	s_branch .LBB150_556
.LBB150_555:
	s_mov_b64 s[28:29], -1
                                        ; implicit-def: $vgpr5
.LBB150_556:
	v_mov_b32_e32 v6, 0
.LBB150_557:
	s_mov_b64 s[30:31], 0
.LBB150_558:
	s_and_b64 vcc, exec, s[30:31]
	s_cbranch_vccz .LBB150_563
; %bb.559:
	s_cmp_eq_u32 s39, 29
	s_cbranch_scc0 .LBB150_561
; %bb.560:
	global_load_dwordx2 v[5:6], v[0:1], off
	s_mov_b64 s[0:1], -1
	s_mov_b64 s[28:29], 0
	s_waitcnt vmcnt(0)
	v_ffbh_u32_e32 v7, v6
	v_min_u32_e32 v7, 32, v7
	v_lshlrev_b64 v[5:6], v7, v[5:6]
	v_min_u32_e32 v5, 1, v5
	v_or_b32_e32 v5, v6, v5
	v_cvt_f32_u32_e32 v5, v5
	v_sub_u32_e32 v6, 32, v7
	v_ldexp_f32 v5, v5, v6
	v_cvt_f16_f32_e32 v5, v5
	s_branch .LBB150_562
.LBB150_561:
	s_mov_b64 s[28:29], -1
                                        ; implicit-def: $vgpr5
.LBB150_562:
	v_mov_b32_e32 v6, 0
.LBB150_563:
	s_mov_b64 s[30:31], 0
.LBB150_564:
	s_and_b64 vcc, exec, s[30:31]
	s_cbranch_vccz .LBB150_582
; %bb.565:
	s_cmp_lt_i32 s39, 27
	s_cbranch_scc1 .LBB150_568
; %bb.566:
	s_cmp_gt_i32 s39, 27
	s_cbranch_scc0 .LBB150_569
; %bb.567:
	global_load_dword v5, v[0:1], off
	s_mov_b64 s[0:1], 0
	s_waitcnt vmcnt(0)
	v_cvt_f32_u32_e32 v5, v5
	v_cvt_f16_f32_e32 v5, v5
	s_branch .LBB150_570
.LBB150_568:
	s_mov_b64 s[0:1], -1
                                        ; implicit-def: $vgpr5
	s_branch .LBB150_573
.LBB150_569:
	s_mov_b64 s[0:1], -1
                                        ; implicit-def: $vgpr5
.LBB150_570:
	s_andn2_b64 vcc, exec, s[0:1]
	s_cbranch_vccnz .LBB150_572
; %bb.571:
	global_load_ushort v5, v[0:1], off
	s_waitcnt vmcnt(0)
	v_cvt_f16_u16_e32 v5, v5
.LBB150_572:
	s_mov_b64 s[0:1], 0
.LBB150_573:
	s_andn2_b64 vcc, exec, s[0:1]
	s_cbranch_vccnz .LBB150_581
; %bb.574:
	global_load_ubyte v6, v[0:1], off
	s_movk_i32 s0, 0x7f
	s_waitcnt vmcnt(0)
	v_cmp_lt_i16_e32 vcc, s0, v6
	s_mov_b64 s[0:1], 0
	s_and_saveexec_b64 s[30:31], vcc
	s_xor_b64 s[30:31], exec, s[30:31]
	s_cbranch_execz .LBB150_595
; %bb.575:
	s_movk_i32 s0, 0x80
	v_cmp_eq_u16_e32 vcc, s0, v6
	s_mov_b64 s[0:1], -1
	s_and_saveexec_b64 s[36:37], vcc
; %bb.576:
	s_xor_b64 s[0:1], exec, -1
; %bb.577:
	s_or_b64 exec, exec, s[36:37]
	s_and_b64 s[0:1], s[0:1], exec
	s_or_saveexec_b64 s[30:31], s[30:31]
	v_mov_b32_e32 v5, 0x7e00
	s_xor_b64 exec, exec, s[30:31]
	s_cbranch_execnz .LBB150_596
.LBB150_578:
	s_or_b64 exec, exec, s[30:31]
	s_and_saveexec_b64 s[30:31], s[0:1]
	s_cbranch_execz .LBB150_580
.LBB150_579:
	v_lshlrev_b32_e32 v5, 24, v6
	v_and_b32_e32 v6, 0xffff, v6
	v_and_b32_e32 v7, 7, v6
	v_ffbh_u32_e32 v9, v7
	v_min_u32_e32 v9, 32, v9
	v_subrev_u32_e32 v10, 28, v9
	v_bfe_u32 v8, v6, 3, 4
	v_lshlrev_b32_e32 v6, v10, v6
	v_sub_u32_e32 v9, 29, v9
	v_and_b32_e32 v6, 7, v6
	v_cmp_eq_u32_e32 vcc, 0, v8
	v_cndmask_b32_e32 v8, v8, v9, vcc
	v_cndmask_b32_e32 v6, v7, v6, vcc
	v_mov_b32_e32 v7, 0x3b800000
	v_lshlrev_b32_e32 v6, 20, v6
	v_and_b32_e32 v5, 0x80000000, v5
	v_lshl_add_u32 v7, v8, 23, v7
	v_or3_b32 v5, v5, v7, v6
	v_cvt_f16_f32_e32 v5, v5
.LBB150_580:
	s_or_b64 exec, exec, s[30:31]
.LBB150_581:
	s_mov_b64 s[0:1], -1
	v_mov_b32_e32 v6, 0
.LBB150_582:
	s_mov_b64 s[30:31], 0
.LBB150_583:
	s_and_b64 vcc, exec, s[30:31]
	s_cbranch_vccz .LBB150_619
; %bb.584:
	s_cmp_gt_i32 s39, 22
	s_cbranch_scc0 .LBB150_594
; %bb.585:
	s_cmp_lt_i32 s39, 24
	s_cbranch_scc1 .LBB150_597
; %bb.586:
	s_cmp_gt_i32 s39, 24
	s_cbranch_scc0 .LBB150_598
; %bb.587:
	global_load_ubyte v6, v[0:1], off
	s_movk_i32 s0, 0x7f
	s_waitcnt vmcnt(0)
	v_cmp_lt_i16_e32 vcc, s0, v6
	s_mov_b64 s[0:1], 0
	s_and_saveexec_b64 s[30:31], vcc
	s_xor_b64 s[30:31], exec, s[30:31]
	s_cbranch_execz .LBB150_610
; %bb.588:
	s_movk_i32 s0, 0x80
	v_cmp_eq_u16_e32 vcc, s0, v6
	s_mov_b64 s[0:1], -1
	s_and_saveexec_b64 s[36:37], vcc
; %bb.589:
	s_xor_b64 s[0:1], exec, -1
; %bb.590:
	s_or_b64 exec, exec, s[36:37]
	s_and_b64 s[0:1], s[0:1], exec
	s_or_saveexec_b64 s[30:31], s[30:31]
	v_mov_b32_e32 v5, 0x7e00
	s_xor_b64 exec, exec, s[30:31]
	s_cbranch_execnz .LBB150_611
.LBB150_591:
	s_or_b64 exec, exec, s[30:31]
	s_and_saveexec_b64 s[30:31], s[0:1]
	s_cbranch_execz .LBB150_593
.LBB150_592:
	v_lshlrev_b32_e32 v5, 24, v6
	v_and_b32_e32 v6, 0xffff, v6
	v_and_b32_e32 v7, 3, v6
	v_ffbh_u32_e32 v9, v7
	v_min_u32_e32 v9, 32, v9
	v_subrev_u32_e32 v10, 29, v9
	v_bfe_u32 v8, v6, 2, 5
	v_lshlrev_b32_e32 v6, v10, v6
	v_sub_u32_e32 v9, 30, v9
	v_and_b32_e32 v6, 3, v6
	v_cmp_eq_u32_e32 vcc, 0, v8
	v_cndmask_b32_e32 v8, v8, v9, vcc
	v_cndmask_b32_e32 v6, v7, v6, vcc
	v_mov_b32_e32 v7, 0x37800000
	v_lshlrev_b32_e32 v6, 21, v6
	v_and_b32_e32 v5, 0x80000000, v5
	v_lshl_add_u32 v7, v8, 23, v7
	v_or3_b32 v5, v5, v7, v6
	v_cvt_f16_f32_e32 v5, v5
.LBB150_593:
	s_or_b64 exec, exec, s[30:31]
	s_mov_b64 s[0:1], 0
	s_branch .LBB150_599
.LBB150_594:
	s_mov_b64 s[30:31], -1
                                        ; implicit-def: $vgpr5
	s_branch .LBB150_605
.LBB150_595:
	s_or_saveexec_b64 s[30:31], s[30:31]
	v_mov_b32_e32 v5, 0x7e00
	s_xor_b64 exec, exec, s[30:31]
	s_cbranch_execz .LBB150_578
.LBB150_596:
	v_cmp_ne_u16_e32 vcc, 0, v6
	s_andn2_b64 s[0:1], s[0:1], exec
	s_and_b64 s[36:37], vcc, exec
	s_or_b64 s[0:1], s[0:1], s[36:37]
	v_mov_b32_e32 v5, v6
	s_or_b64 exec, exec, s[30:31]
	s_and_saveexec_b64 s[30:31], s[0:1]
	s_cbranch_execnz .LBB150_579
	s_branch .LBB150_580
.LBB150_597:
	s_mov_b64 s[0:1], -1
                                        ; implicit-def: $vgpr5
	s_branch .LBB150_602
.LBB150_598:
	s_mov_b64 s[0:1], -1
                                        ; implicit-def: $vgpr5
.LBB150_599:
	s_and_b64 vcc, exec, s[0:1]
	s_cbranch_vccz .LBB150_601
; %bb.600:
	global_load_ubyte v5, v[0:1], off
	s_mov_b32 s0, 0x7f800000
	s_waitcnt vmcnt(0)
	v_lshlrev_b32_e32 v5, 24, v5
	v_and_b32_e32 v6, 0x7f000000, v5
	v_ffbh_u32_e32 v7, v6
	v_min_u32_e32 v7, 32, v7
	v_sub_u32_e64 v7, v7, 4 clamp
	v_lshlrev_b32_e32 v9, v7, v6
	v_lshlrev_b32_e32 v7, 23, v7
	v_lshrrev_b32_e32 v9, 4, v9
	v_add_u32_e32 v8, 0x1000000, v6
	v_sub_u32_e32 v7, v9, v7
	v_ashrrev_i32_e32 v8, 8, v8
	v_add_u32_e32 v7, 0x3c000000, v7
	v_and_or_b32 v7, v8, s0, v7
	v_cmp_ne_u32_e32 vcc, 0, v6
	v_cndmask_b32_e32 v6, 0, v7, vcc
	s_brev_b32 s0, 1
	v_and_or_b32 v5, v5, s0, v6
	v_cvt_f16_f32_e32 v5, v5
.LBB150_601:
	s_mov_b64 s[0:1], 0
.LBB150_602:
	s_andn2_b64 vcc, exec, s[0:1]
	s_cbranch_vccnz .LBB150_604
; %bb.603:
	global_load_ubyte v5, v[0:1], off
	s_movk_i32 s0, 0x7f00
	s_brev_b32 s1, 16
	s_waitcnt vmcnt(0)
	v_lshlrev_b16_e32 v6, 8, v5
	v_lshlrev_b32_e32 v5, 25, v5
	v_lshrrev_b32_e32 v7, 4, v5
	v_and_or_b32 v8, v6, s0, 0.5
	v_or_b32_e32 v7, 0x70000000, v7
	v_add_f32_e32 v8, -0.5, v8
	v_mul_f32_e32 v7, 0x7800000, v7
	v_cmp_gt_u32_e32 vcc, s1, v5
	v_bfe_i32 v6, v6, 0, 16
	v_cndmask_b32_e32 v5, v7, v8, vcc
	s_brev_b32 s0, 1
	v_and_or_b32 v5, v6, s0, v5
	v_cvt_f16_f32_e32 v5, v5
.LBB150_604:
	s_mov_b64 s[30:31], 0
	s_mov_b64 s[0:1], -1
.LBB150_605:
	s_andn2_b64 vcc, exec, s[30:31]
	s_cbranch_vccnz .LBB150_618
; %bb.606:
	s_cmp_gt_i32 s39, 14
	s_cbranch_scc0 .LBB150_609
; %bb.607:
	s_cmp_eq_u32 s39, 15
	s_cbranch_scc0 .LBB150_612
; %bb.608:
	global_load_ushort v5, v[0:1], off
	s_mov_b64 s[0:1], -1
	s_mov_b64 s[28:29], 0
	s_waitcnt vmcnt(0)
	v_lshlrev_b32_e32 v5, 16, v5
	v_cvt_f16_f32_e32 v5, v5
	s_branch .LBB150_613
.LBB150_609:
	s_mov_b64 s[30:31], -1
                                        ; implicit-def: $vgpr5
	s_branch .LBB150_614
.LBB150_610:
	s_or_saveexec_b64 s[30:31], s[30:31]
	v_mov_b32_e32 v5, 0x7e00
	s_xor_b64 exec, exec, s[30:31]
	s_cbranch_execz .LBB150_591
.LBB150_611:
	v_cmp_ne_u16_e32 vcc, 0, v6
	s_andn2_b64 s[0:1], s[0:1], exec
	s_and_b64 s[36:37], vcc, exec
	s_or_b64 s[0:1], s[0:1], s[36:37]
	v_mov_b32_e32 v5, v6
	s_or_b64 exec, exec, s[30:31]
	s_and_saveexec_b64 s[30:31], s[0:1]
	s_cbranch_execnz .LBB150_592
	s_branch .LBB150_593
.LBB150_612:
	s_mov_b64 s[28:29], -1
                                        ; implicit-def: $vgpr5
.LBB150_613:
	s_mov_b64 s[30:31], 0
.LBB150_614:
	s_and_b64 vcc, exec, s[30:31]
	s_cbranch_vccz .LBB150_618
; %bb.615:
	s_cmp_eq_u32 s39, 11
	s_cbranch_scc0 .LBB150_617
; %bb.616:
	global_load_ubyte v5, v[0:1], off
	v_mov_b32_e32 v6, 0x3c00
	s_mov_b64 s[0:1], -1
	s_mov_b64 s[28:29], 0
	s_waitcnt vmcnt(0)
	v_cmp_ne_u16_e32 vcc, 0, v5
	v_cndmask_b32_e32 v5, 0, v6, vcc
	s_branch .LBB150_618
.LBB150_617:
	s_mov_b64 s[28:29], -1
                                        ; implicit-def: $vgpr5
.LBB150_618:
	v_mov_b32_e32 v6, 0
.LBB150_619:
	s_mov_b64 s[30:31], 0
.LBB150_620:
	s_and_b64 vcc, exec, s[30:31]
	s_cbranch_vccz .LBB150_671
; %bb.621:
	s_and_b32 s30, 0xffff, s38
	s_cmp_lt_i32 s30, 5
	s_cbranch_scc1 .LBB150_626
; %bb.622:
	s_cmp_lt_i32 s30, 8
	s_cbranch_scc1 .LBB150_627
; %bb.623:
	;; [unrolled: 3-line block ×3, first 2 shown]
	s_cmp_gt_i32 s30, 9
	s_cbranch_scc0 .LBB150_629
; %bb.625:
	global_load_dwordx4 v[5:8], v[0:1], off
	s_movk_i32 s0, 0x1ff
	s_movk_i32 s1, 0xffe
	v_mov_b32_e32 v9, 0x7c00
	v_mov_b32_e32 v10, 0x7e00
	s_movk_i32 s31, 0x40f
	s_mov_b32 s36, 0x8000
	s_waitcnt vmcnt(0)
	v_and_or_b32 v5, v6, s0, v5
	v_and_or_b32 v7, v8, s0, v7
	v_cmp_ne_u32_e32 vcc, 0, v5
	v_lshrrev_b32_e32 v11, 8, v6
	v_cndmask_b32_e64 v5, 0, 1, vcc
	v_cmp_ne_u32_e32 vcc, 0, v7
	v_bfe_u32 v12, v6, 20, 11
	v_lshrrev_b32_e32 v13, 8, v8
	v_bfe_u32 v14, v8, 20, 11
	v_cndmask_b32_e64 v7, 0, 1, vcc
	v_and_or_b32 v5, v11, s1, v5
	v_sub_u32_e32 v15, 0x3f1, v12
	v_add_u32_e32 v12, 0xfffffc10, v12
	v_sub_u32_e32 v16, 0x3f1, v14
	v_and_or_b32 v7, v13, s1, v7
	v_cmp_ne_u32_e32 vcc, 0, v5
	v_add_u32_e32 v14, 0xfffffc10, v14
	v_med3_i32 v11, v15, 0, 13
	v_med3_i32 v13, v16, 0, 13
	v_or_b32_e32 v15, 0x1000, v5
	v_lshl_or_b32 v16, v12, 12, v5
	v_cndmask_b32_e32 v5, v9, v10, vcc
	v_cmp_ne_u32_e32 vcc, 0, v7
	v_or_b32_e32 v17, 0x1000, v7
	v_lshl_or_b32 v18, v14, 12, v7
	v_cndmask_b32_e32 v7, v9, v10, vcc
	v_lshrrev_b32_e32 v10, v11, v15
	v_lshrrev_b32_e32 v19, v13, v17
	v_lshlrev_b32_e32 v11, v11, v10
	v_lshlrev_b32_e32 v13, v13, v19
	v_cmp_ne_u32_e32 vcc, v11, v15
	v_cndmask_b32_e64 v11, 0, 1, vcc
	v_cmp_ne_u32_e32 vcc, v13, v17
	v_cndmask_b32_e64 v13, 0, 1, vcc
	v_or_b32_e32 v10, v10, v11
	v_cmp_gt_i32_e32 vcc, 1, v12
	v_cndmask_b32_e32 v10, v16, v10, vcc
	v_or_b32_e32 v11, v19, v13
	v_cmp_gt_i32_e32 vcc, 1, v14
	v_and_b32_e32 v13, 7, v10
	v_cndmask_b32_e32 v11, v18, v11, vcc
	v_cmp_lt_i32_e32 vcc, 5, v13
	v_and_b32_e32 v15, 7, v11
	v_cndmask_b32_e64 v16, 0, 1, vcc
	v_cmp_eq_u32_e32 vcc, 3, v13
	v_cndmask_b32_e64 v13, 0, 1, vcc
	v_cmp_lt_i32_e32 vcc, 5, v15
	v_cndmask_b32_e64 v17, 0, 1, vcc
	v_cmp_eq_u32_e32 vcc, 3, v15
	v_lshrrev_b32_e32 v10, 2, v10
	v_cndmask_b32_e64 v15, 0, 1, vcc
	v_or_b32_e32 v13, v13, v16
	v_lshrrev_b32_e32 v11, 2, v11
	v_or_b32_e32 v15, v15, v17
	v_add_u32_e32 v10, v10, v13
	v_cmp_gt_i32_e32 vcc, 31, v12
	v_add_u32_e32 v11, v11, v15
	v_cndmask_b32_e32 v10, v9, v10, vcc
	v_cmp_gt_i32_e32 vcc, 31, v14
	v_cndmask_b32_e32 v9, v9, v11, vcc
	v_cmp_eq_u32_e32 vcc, s31, v12
	v_cndmask_b32_e32 v5, v10, v5, vcc
	v_cmp_eq_u32_e32 vcc, s31, v14
	v_lshrrev_b32_e32 v6, 16, v6
	v_lshrrev_b32_e32 v8, 16, v8
	v_cndmask_b32_e32 v7, v9, v7, vcc
	v_and_or_b32 v5, v6, s36, v5
	v_and_or_b32 v6, v8, s36, v7
	s_mov_b64 s[0:1], 0
	s_branch .LBB150_630
.LBB150_626:
	s_mov_b64 s[0:1], -1
                                        ; implicit-def: $vgpr6
                                        ; implicit-def: $vgpr5
	s_branch .LBB150_649
.LBB150_627:
	s_mov_b64 s[0:1], -1
                                        ; implicit-def: $vgpr6
                                        ; implicit-def: $vgpr5
	s_branch .LBB150_636
.LBB150_628:
	s_mov_b64 s[0:1], -1
                                        ; implicit-def: $vgpr6
                                        ; implicit-def: $vgpr5
	s_branch .LBB150_633
.LBB150_629:
	s_mov_b64 s[0:1], -1
                                        ; implicit-def: $vgpr6
                                        ; implicit-def: $vgpr5
.LBB150_630:
	s_andn2_b64 vcc, exec, s[0:1]
	s_cbranch_vccnz .LBB150_632
; %bb.631:
	global_load_dwordx2 v[5:6], v[0:1], off
	s_waitcnt vmcnt(0)
	v_cvt_f16_f32_e32 v5, v5
	v_cvt_f16_f32_e32 v6, v6
.LBB150_632:
	s_mov_b64 s[0:1], 0
.LBB150_633:
	s_andn2_b64 vcc, exec, s[0:1]
	s_cbranch_vccnz .LBB150_635
; %bb.634:
	global_load_dword v5, v[0:1], off
	s_waitcnt vmcnt(0)
	v_lshrrev_b32_e32 v6, 16, v5
.LBB150_635:
	s_mov_b64 s[0:1], 0
.LBB150_636:
	s_andn2_b64 vcc, exec, s[0:1]
	s_cbranch_vccnz .LBB150_648
; %bb.637:
	s_cmp_lt_i32 s30, 6
	s_cbranch_scc1 .LBB150_640
; %bb.638:
	s_cmp_gt_i32 s30, 6
	s_cbranch_scc0 .LBB150_641
; %bb.639:
	global_load_dwordx2 v[5:6], v[0:1], off
	s_movk_i32 s0, 0x1ff
	s_movk_i32 s1, 0xffe
	v_mov_b32_e32 v7, 0x7c00
	v_mov_b32_e32 v8, 0x7e00
	s_movk_i32 s31, 0x40f
	s_mov_b32 s36, 0x8000
	s_waitcnt vmcnt(0)
	v_and_or_b32 v5, v6, s0, v5
	v_cmp_ne_u32_e32 vcc, 0, v5
	v_lshrrev_b32_e32 v9, 8, v6
	v_bfe_u32 v10, v6, 20, 11
	v_cndmask_b32_e64 v5, 0, 1, vcc
	v_sub_u32_e32 v11, 0x3f1, v10
	v_and_or_b32 v5, v9, s1, v5
	v_add_u32_e32 v10, 0xfffffc10, v10
	v_med3_i32 v9, v11, 0, 13
	v_or_b32_e32 v11, 0x1000, v5
	v_cmp_ne_u32_e32 vcc, 0, v5
	v_lshl_or_b32 v12, v10, 12, v5
	v_cndmask_b32_e32 v5, v7, v8, vcc
	v_lshrrev_b32_e32 v8, v9, v11
	v_lshlrev_b32_e32 v9, v9, v8
	v_cmp_ne_u32_e32 vcc, v9, v11
	v_cndmask_b32_e64 v9, 0, 1, vcc
	v_or_b32_e32 v8, v8, v9
	v_cmp_gt_i32_e32 vcc, 1, v10
	v_cndmask_b32_e32 v8, v12, v8, vcc
	v_and_b32_e32 v9, 7, v8
	v_cmp_lt_i32_e32 vcc, 5, v9
	v_cndmask_b32_e64 v11, 0, 1, vcc
	v_cmp_eq_u32_e32 vcc, 3, v9
	v_cndmask_b32_e64 v9, 0, 1, vcc
	v_lshrrev_b32_e32 v8, 2, v8
	v_or_b32_e32 v9, v9, v11
	v_add_u32_e32 v8, v8, v9
	v_cmp_gt_i32_e32 vcc, 31, v10
	v_cndmask_b32_e32 v7, v7, v8, vcc
	v_cmp_eq_u32_e32 vcc, s31, v10
	v_lshrrev_b32_e32 v6, 16, v6
	v_cndmask_b32_e32 v5, v7, v5, vcc
	v_and_or_b32 v5, v6, s36, v5
	s_mov_b64 s[0:1], 0
	s_branch .LBB150_642
.LBB150_640:
	s_mov_b64 s[0:1], -1
                                        ; implicit-def: $vgpr5
	s_branch .LBB150_645
.LBB150_641:
	s_mov_b64 s[0:1], -1
                                        ; implicit-def: $vgpr5
.LBB150_642:
	s_andn2_b64 vcc, exec, s[0:1]
	s_cbranch_vccnz .LBB150_644
; %bb.643:
	global_load_dword v5, v[0:1], off
	s_waitcnt vmcnt(0)
	v_cvt_f16_f32_e32 v5, v5
.LBB150_644:
	s_mov_b64 s[0:1], 0
.LBB150_645:
	s_andn2_b64 vcc, exec, s[0:1]
	s_cbranch_vccnz .LBB150_647
; %bb.646:
	global_load_ushort v5, v[0:1], off
.LBB150_647:
	v_mov_b32_e32 v6, 0
.LBB150_648:
	s_mov_b64 s[0:1], 0
.LBB150_649:
	s_andn2_b64 vcc, exec, s[0:1]
	s_cbranch_vccnz .LBB150_670
; %bb.650:
	s_cmp_lt_i32 s30, 2
	s_cbranch_scc1 .LBB150_654
; %bb.651:
	s_cmp_lt_i32 s30, 3
	s_cbranch_scc1 .LBB150_655
; %bb.652:
	s_cmp_gt_i32 s30, 3
	s_cbranch_scc0 .LBB150_656
; %bb.653:
	global_load_dwordx2 v[5:6], v[0:1], off
	s_mov_b64 s[0:1], 0
	s_waitcnt vmcnt(0)
	v_xor_b32_e32 v8, v5, v6
	v_ffbh_i32_e32 v7, v6
	v_ashrrev_i32_e32 v8, 31, v8
	v_add_u32_e32 v7, -1, v7
	v_add_u32_e32 v8, 32, v8
	v_min_u32_e32 v7, v7, v8
	v_lshlrev_b64 v[5:6], v7, v[5:6]
	v_min_u32_e32 v5, 1, v5
	v_or_b32_e32 v5, v6, v5
	v_cvt_f32_i32_e32 v5, v5
	v_sub_u32_e32 v6, 32, v7
	v_ldexp_f32 v5, v5, v6
	v_cvt_f16_f32_e32 v5, v5
	s_branch .LBB150_657
.LBB150_654:
	s_mov_b64 s[0:1], -1
                                        ; implicit-def: $vgpr5
	s_branch .LBB150_663
.LBB150_655:
	s_mov_b64 s[0:1], -1
                                        ; implicit-def: $vgpr5
	s_branch .LBB150_660
.LBB150_656:
	s_mov_b64 s[0:1], -1
                                        ; implicit-def: $vgpr5
.LBB150_657:
	s_andn2_b64 vcc, exec, s[0:1]
	s_cbranch_vccnz .LBB150_659
; %bb.658:
	global_load_dword v5, v[0:1], off
	s_waitcnt vmcnt(0)
	v_cvt_f32_i32_e32 v5, v5
	v_cvt_f16_f32_e32 v5, v5
.LBB150_659:
	s_mov_b64 s[0:1], 0
.LBB150_660:
	s_andn2_b64 vcc, exec, s[0:1]
	s_cbranch_vccnz .LBB150_662
; %bb.661:
	global_load_ushort v5, v[0:1], off
	s_waitcnt vmcnt(0)
	v_cvt_f16_i16_e32 v5, v5
.LBB150_662:
	s_mov_b64 s[0:1], 0
.LBB150_663:
	s_andn2_b64 vcc, exec, s[0:1]
	s_cbranch_vccnz .LBB150_669
; %bb.664:
	s_cmp_gt_i32 s30, 0
	s_cbranch_scc0 .LBB150_666
; %bb.665:
	global_load_sbyte v5, v[0:1], off
	s_mov_b64 s[0:1], 0
	s_waitcnt vmcnt(0)
	v_cvt_f16_i16_e32 v5, v5
	s_branch .LBB150_667
.LBB150_666:
	s_mov_b64 s[0:1], -1
                                        ; implicit-def: $vgpr5
.LBB150_667:
	s_andn2_b64 vcc, exec, s[0:1]
	s_cbranch_vccnz .LBB150_669
; %bb.668:
	global_load_ubyte v0, v[0:1], off
	s_waitcnt vmcnt(0)
	v_cvt_f16_u16_e32 v5, v0
.LBB150_669:
	v_mov_b32_e32 v6, 0
.LBB150_670:
	s_mov_b64 s[0:1], -1
.LBB150_671:
	s_andn2_b64 vcc, exec, s[0:1]
	s_cbranch_vccnz .LBB150_674
; %bb.672:
	s_andn2_b64 vcc, exec, s[16:17]
	s_cbranch_vccnz .LBB150_675
; %bb.673:
	s_waitcnt vmcnt(0)
	v_cmp_neq_f16_e32 vcc, v3, v5
	v_cmp_neq_f16_e64 s[0:1], v4, v6
	s_or_b64 s[30:31], vcc, s[0:1]
	s_mov_b64 s[0:1], 0
	s_branch .LBB150_676
.LBB150_674:
	s_mov_b64 s[36:37], 0
                                        ; implicit-def: $vgpr2
	s_mov_b64 s[0:1], s[18:19]
	s_branch .LBB150_800
.LBB150_675:
	s_mov_b64 s[0:1], -1
                                        ; implicit-def: $sgpr30_sgpr31
.LBB150_676:
	s_andn2_b64 vcc, exec, s[0:1]
	s_cbranch_vccnz .LBB150_678
; %bb.677:
	s_waitcnt vmcnt(0)
	v_cmp_eq_f16_e32 vcc, v3, v5
	v_cmp_eq_f16_e64 s[0:1], v4, v6
	s_and_b64 s[0:1], vcc, s[0:1]
	s_andn2_b64 s[30:31], s[30:31], exec
	s_and_b64 s[0:1], s[0:1], exec
	s_or_b64 s[30:31], s[30:31], s[0:1]
.LBB150_678:
	v_mul_lo_u32 v0, v2, s12
	v_mov_b32_e32 v1, s9
	s_and_b32 s42, s33, 0xff
	s_cmp_lt_i32 s42, 11
	s_waitcnt vmcnt(0)
	v_ashrrev_i32_e32 v3, 31, v0
	v_add_co_u32_e32 v0, vcc, s8, v0
	v_addc_co_u32_e32 v1, vcc, v1, v3, vcc
	s_cbranch_scc1 .LBB150_685
; %bb.679:
	s_and_b32 s43, 0xffff, s42
	s_cmp_gt_i32 s43, 25
	s_cbranch_scc0 .LBB150_686
; %bb.680:
	s_cmp_gt_i32 s43, 28
	s_cbranch_scc0 .LBB150_687
; %bb.681:
	;; [unrolled: 3-line block ×4, first 2 shown]
	s_mov_b64 s[38:39], 0
	s_mov_b64 s[0:1], -1
	s_cmp_eq_u32 s43, 46
	s_mov_b64 s[36:37], 0
	s_cbranch_scc0 .LBB150_690
; %bb.684:
	v_cndmask_b32_e64 v3, 0, 1.0, s[30:31]
	v_bfe_u32 v4, v3, 16, 1
	s_movk_i32 s0, 0x7fff
	v_add3_u32 v3, v3, v4, s0
	v_lshrrev_b32_e32 v3, 16, v3
	global_store_dword v[0:1], v3, off
	s_mov_b64 s[36:37], -1
	s_mov_b64 s[0:1], 0
	s_branch .LBB150_690
.LBB150_685:
	s_mov_b64 s[38:39], -1
	s_mov_b64 s[36:37], 0
	s_mov_b64 s[0:1], s[18:19]
	s_branch .LBB150_759
.LBB150_686:
	s_mov_b64 s[38:39], -1
	s_mov_b64 s[36:37], 0
	s_mov_b64 s[0:1], s[18:19]
	s_branch .LBB150_717
.LBB150_687:
	s_mov_b64 s[38:39], -1
	s_mov_b64 s[36:37], 0
	s_mov_b64 s[0:1], s[18:19]
	s_branch .LBB150_700
.LBB150_688:
	s_mov_b64 s[38:39], -1
	s_mov_b64 s[36:37], 0
	s_mov_b64 s[0:1], s[18:19]
	s_branch .LBB150_696
.LBB150_689:
	s_mov_b64 s[38:39], -1
	s_mov_b64 s[36:37], 0
	s_mov_b64 s[0:1], s[18:19]
.LBB150_690:
	s_and_b64 vcc, exec, s[38:39]
	s_cbranch_vccz .LBB150_695
; %bb.691:
	s_cmp_eq_u32 s43, 44
	s_mov_b64 s[0:1], -1
	s_cbranch_scc0 .LBB150_695
; %bb.692:
	v_cndmask_b32_e64 v4, 0, 1.0, s[30:31]
	v_lshrrev_b32_e32 v3, 23, v4
	s_movk_i32 s0, 0xff
	v_cmp_ne_u32_e32 vcc, s0, v3
	v_mov_b32_e32 v5, 0xff
	s_and_saveexec_b64 s[36:37], vcc
; %bb.693:
	s_mov_b32 s0, 0x3fffff
	v_and_b32_e32 v5, 0x400000, v4
	v_and_or_b32 v4, v4, s0, v3
	v_cmp_ne_u32_e32 vcc, 0, v5
	v_cmp_ne_u32_e64 s[0:1], 0, v4
	s_and_b64 s[0:1], vcc, s[0:1]
	v_cndmask_b32_e64 v4, 0, 1, s[0:1]
	v_add_u32_e32 v5, v3, v4
; %bb.694:
	s_or_b64 exec, exec, s[36:37]
	s_mov_b64 s[36:37], -1
	s_mov_b64 s[0:1], 0
	global_store_byte v[0:1], v5, off
.LBB150_695:
	s_mov_b64 s[38:39], 0
.LBB150_696:
	s_and_b64 vcc, exec, s[38:39]
	s_cbranch_vccz .LBB150_699
; %bb.697:
	s_cmp_eq_u32 s43, 29
	s_mov_b64 s[0:1], -1
	s_cbranch_scc0 .LBB150_699
; %bb.698:
	s_mov_b32 s0, 0
	v_cndmask_b32_e64 v3, 0, 1, s[30:31]
	v_mov_b32_e32 v4, s0
	global_store_dwordx2 v[0:1], v[3:4], off
	s_mov_b64 s[36:37], -1
	s_mov_b64 s[0:1], 0
.LBB150_699:
	s_mov_b64 s[38:39], 0
.LBB150_700:
	s_and_b64 vcc, exec, s[38:39]
	s_cbranch_vccz .LBB150_716
; %bb.701:
	s_cmp_lt_i32 s43, 27
	s_mov_b64 s[36:37], -1
	s_cbranch_scc1 .LBB150_707
; %bb.702:
	s_cmp_gt_i32 s43, 27
	s_cbranch_scc0 .LBB150_704
; %bb.703:
	v_cndmask_b32_e64 v3, 0, 1, s[30:31]
	s_mov_b64 s[36:37], 0
	global_store_dword v[0:1], v3, off
.LBB150_704:
	s_andn2_b64 vcc, exec, s[36:37]
	s_cbranch_vccnz .LBB150_706
; %bb.705:
	v_cndmask_b32_e64 v3, 0, 1, s[30:31]
	global_store_short v[0:1], v3, off
.LBB150_706:
	s_mov_b64 s[36:37], 0
.LBB150_707:
	s_andn2_b64 vcc, exec, s[36:37]
	s_cbranch_vccnz .LBB150_715
; %bb.708:
	v_cndmask_b32_e64 v4, 0, 1.0, s[30:31]
	s_mov_b32 s36, 0x43800000
	v_cmp_gt_u32_e32 vcc, s36, v4
	v_mov_b32_e32 v5, 0x80
	s_and_saveexec_b64 s[36:37], vcc
	s_cbranch_execz .LBB150_714
; %bb.709:
	s_mov_b32 s38, 0x3bffffff
	v_cmp_lt_u32_e32 vcc, s38, v4
	s_mov_b64 s[38:39], 0
                                        ; implicit-def: $vgpr3
	s_and_saveexec_b64 s[40:41], vcc
	s_xor_b64 s[40:41], exec, s[40:41]
	s_cbranch_execz .LBB150_816
; %bb.710:
	v_bfe_u32 v3, v4, 20, 1
	s_mov_b32 s44, 0x487ffff
	v_add3_u32 v3, v4, v3, s44
	s_mov_b64 s[38:39], exec
	v_lshrrev_b32_e32 v3, 20, v3
                                        ; implicit-def: $vgpr4
	s_andn2_saveexec_b64 s[40:41], s[40:41]
	s_cbranch_execnz .LBB150_817
.LBB150_711:
	s_or_b64 exec, exec, s[40:41]
	v_mov_b32_e32 v5, 0
	s_and_saveexec_b64 s[40:41], s[38:39]
.LBB150_712:
	v_mov_b32_e32 v5, v3
.LBB150_713:
	s_or_b64 exec, exec, s[40:41]
.LBB150_714:
	s_or_b64 exec, exec, s[36:37]
	global_store_byte v[0:1], v5, off
.LBB150_715:
	s_mov_b64 s[36:37], -1
.LBB150_716:
	s_mov_b64 s[38:39], 0
.LBB150_717:
	s_and_b64 vcc, exec, s[38:39]
	s_cbranch_vccz .LBB150_758
; %bb.718:
	s_cmp_gt_i32 s43, 22
	s_mov_b64 s[38:39], -1
	s_cbranch_scc0 .LBB150_750
; %bb.719:
	s_cmp_lt_i32 s43, 24
	s_mov_b64 s[36:37], -1
	s_cbranch_scc1 .LBB150_739
; %bb.720:
	s_cmp_gt_i32 s43, 24
	s_cbranch_scc0 .LBB150_728
; %bb.721:
	v_cndmask_b32_e64 v4, 0, 1.0, s[30:31]
	s_mov_b32 s36, 0x47800000
	v_cmp_gt_u32_e32 vcc, s36, v4
	v_mov_b32_e32 v5, 0x80
	s_and_saveexec_b64 s[36:37], vcc
	s_cbranch_execz .LBB150_727
; %bb.722:
	s_mov_b32 s38, 0x37ffffff
	v_cmp_lt_u32_e32 vcc, s38, v4
	s_mov_b64 s[38:39], 0
                                        ; implicit-def: $vgpr3
	s_and_saveexec_b64 s[40:41], vcc
	s_xor_b64 s[40:41], exec, s[40:41]
	s_cbranch_execz .LBB150_953
; %bb.723:
	v_bfe_u32 v3, v4, 21, 1
	s_mov_b32 s44, 0x88fffff
	v_add3_u32 v3, v4, v3, s44
	s_mov_b64 s[38:39], exec
	v_lshrrev_b32_e32 v3, 21, v3
                                        ; implicit-def: $vgpr4
	s_andn2_saveexec_b64 s[40:41], s[40:41]
	s_cbranch_execnz .LBB150_954
.LBB150_724:
	s_or_b64 exec, exec, s[40:41]
	v_mov_b32_e32 v5, 0
	s_and_saveexec_b64 s[40:41], s[38:39]
.LBB150_725:
	v_mov_b32_e32 v5, v3
.LBB150_726:
	s_or_b64 exec, exec, s[40:41]
.LBB150_727:
	s_or_b64 exec, exec, s[36:37]
	s_mov_b64 s[36:37], 0
	global_store_byte v[0:1], v5, off
.LBB150_728:
	s_and_b64 vcc, exec, s[36:37]
	s_cbranch_vccz .LBB150_738
; %bb.729:
	v_cndmask_b32_e64 v3, 0, 1.0, s[30:31]
	s_mov_b32 s36, 0x43f00000
	v_cmp_gt_u32_e32 vcc, s36, v3
                                        ; implicit-def: $vgpr4
	s_and_saveexec_b64 s[36:37], vcc
	s_xor_b64 s[36:37], exec, s[36:37]
	s_cbranch_execz .LBB150_735
; %bb.730:
	s_mov_b32 s38, 0x3c7fffff
	v_cmp_lt_u32_e32 vcc, s38, v3
                                        ; implicit-def: $vgpr4
	s_and_saveexec_b64 s[38:39], vcc
	s_xor_b64 s[38:39], exec, s[38:39]
; %bb.731:
	v_bfe_u32 v4, v3, 20, 1
	s_mov_b32 s40, 0x407ffff
	v_add3_u32 v3, v3, v4, s40
	v_lshrrev_b32_e32 v4, 20, v3
	v_and_b32_e32 v3, 0xff00000, v3
	s_mov_b32 s40, 0x7f00000
	v_mov_b32_e32 v5, 0x7e
	v_cmp_ne_u32_e32 vcc, s40, v3
	v_cndmask_b32_e32 v4, v5, v4, vcc
                                        ; implicit-def: $vgpr3
; %bb.732:
	s_andn2_saveexec_b64 s[38:39], s[38:39]
; %bb.733:
	v_add_f32_e32 v4, 0x46800000, v3
; %bb.734:
	s_or_b64 exec, exec, s[38:39]
                                        ; implicit-def: $vgpr3
.LBB150_735:
	s_andn2_saveexec_b64 s[36:37], s[36:37]
; %bb.736:
	s_mov_b32 s38, 0x7f800000
	v_mov_b32_e32 v4, 0x7e
	v_mov_b32_e32 v5, 0x7f
	v_cmp_lt_u32_e32 vcc, s38, v3
	v_cndmask_b32_e32 v4, v4, v5, vcc
; %bb.737:
	s_or_b64 exec, exec, s[36:37]
	global_store_byte v[0:1], v4, off
.LBB150_738:
	s_mov_b64 s[36:37], 0
.LBB150_739:
	s_andn2_b64 vcc, exec, s[36:37]
	s_cbranch_vccnz .LBB150_749
; %bb.740:
	v_cndmask_b32_e64 v3, 0, 1.0, s[30:31]
	s_mov_b32 s36, 0x47800000
	v_cmp_gt_u32_e32 vcc, s36, v3
                                        ; implicit-def: $vgpr4
	s_and_saveexec_b64 s[36:37], vcc
	s_xor_b64 s[36:37], exec, s[36:37]
	s_cbranch_execz .LBB150_746
; %bb.741:
	s_mov_b32 s38, 0x387fffff
	v_cmp_lt_u32_e32 vcc, s38, v3
                                        ; implicit-def: $vgpr4
	s_and_saveexec_b64 s[38:39], vcc
	s_xor_b64 s[38:39], exec, s[38:39]
; %bb.742:
	v_bfe_u32 v4, v3, 21, 1
	s_mov_b32 s40, 0x80fffff
	v_add3_u32 v3, v3, v4, s40
	v_lshrrev_b32_e32 v4, 21, v3
                                        ; implicit-def: $vgpr3
; %bb.743:
	s_andn2_saveexec_b64 s[38:39], s[38:39]
; %bb.744:
	v_add_f32_e32 v4, 0x43000000, v3
; %bb.745:
	s_or_b64 exec, exec, s[38:39]
                                        ; implicit-def: $vgpr3
.LBB150_746:
	s_andn2_saveexec_b64 s[36:37], s[36:37]
; %bb.747:
	s_mov_b32 s38, 0x7f800000
	v_mov_b32_e32 v4, 0x7c
	v_mov_b32_e32 v5, 0x7f
	v_cmp_lt_u32_e32 vcc, s38, v3
	v_cndmask_b32_e32 v4, v4, v5, vcc
; %bb.748:
	s_or_b64 exec, exec, s[36:37]
	global_store_byte v[0:1], v4, off
.LBB150_749:
	s_mov_b64 s[38:39], 0
	s_mov_b64 s[36:37], -1
.LBB150_750:
	s_andn2_b64 vcc, exec, s[38:39]
	s_cbranch_vccnz .LBB150_758
; %bb.751:
	s_cmp_gt_i32 s43, 14
	s_mov_b64 s[38:39], -1
	s_cbranch_scc0 .LBB150_755
; %bb.752:
	s_cmp_eq_u32 s43, 15
	s_mov_b64 s[0:1], -1
	s_cbranch_scc0 .LBB150_754
; %bb.753:
	v_cndmask_b32_e64 v3, 0, 1.0, s[30:31]
	v_bfe_u32 v4, v3, 16, 1
	s_movk_i32 s0, 0x7fff
	v_add3_u32 v3, v3, v4, s0
	global_store_short_d16_hi v[0:1], v3, off
	s_mov_b64 s[36:37], -1
	s_mov_b64 s[0:1], 0
.LBB150_754:
	s_mov_b64 s[38:39], 0
.LBB150_755:
	s_and_b64 vcc, exec, s[38:39]
	s_cbranch_vccz .LBB150_758
; %bb.756:
	s_cmp_eq_u32 s43, 11
	s_mov_b64 s[0:1], -1
	s_cbranch_scc0 .LBB150_758
; %bb.757:
	v_cndmask_b32_e64 v3, 0, 1, s[30:31]
	s_mov_b64 s[36:37], -1
	s_mov_b64 s[0:1], 0
	global_store_byte v[0:1], v3, off
.LBB150_758:
	s_mov_b64 s[38:39], 0
.LBB150_759:
	s_and_b64 vcc, exec, s[38:39]
	s_cbranch_vccz .LBB150_798
; %bb.760:
	s_and_b32 s38, 0xffff, s42
	s_cmp_lt_i32 s38, 5
	s_mov_b64 s[36:37], -1
	s_cbranch_scc1 .LBB150_781
; %bb.761:
	s_cmp_lt_i32 s38, 8
	s_cbranch_scc1 .LBB150_771
; %bb.762:
	s_cmp_lt_i32 s38, 9
	s_cbranch_scc1 .LBB150_768
; %bb.763:
	s_cmp_gt_i32 s38, 9
	s_cbranch_scc0 .LBB150_765
; %bb.764:
	v_cndmask_b32_e64 v3, 0, 1, s[30:31]
	v_cvt_f64_u32_e32 v[3:4], v3
	v_mov_b32_e32 v5, 0
	v_mov_b32_e32 v6, v5
	s_mov_b64 s[36:37], 0
	global_store_dwordx4 v[0:1], v[3:6], off
.LBB150_765:
	s_andn2_b64 vcc, exec, s[36:37]
	s_cbranch_vccnz .LBB150_767
; %bb.766:
	v_cndmask_b32_e64 v3, 0, 1.0, s[30:31]
	v_mov_b32_e32 v4, 0
	global_store_dwordx2 v[0:1], v[3:4], off
.LBB150_767:
	s_mov_b64 s[36:37], 0
.LBB150_768:
	s_andn2_b64 vcc, exec, s[36:37]
	s_cbranch_vccnz .LBB150_770
; %bb.769:
	v_cndmask_b32_e64 v3, 0, 1.0, s[30:31]
	v_cvt_f16_f32_e32 v3, v3
	global_store_dword v[0:1], v3, off
.LBB150_770:
	s_mov_b64 s[36:37], 0
.LBB150_771:
	s_andn2_b64 vcc, exec, s[36:37]
	s_cbranch_vccnz .LBB150_780
; %bb.772:
	s_cmp_lt_i32 s38, 6
	s_mov_b64 s[36:37], -1
	s_cbranch_scc1 .LBB150_778
; %bb.773:
	s_cmp_gt_i32 s38, 6
	s_cbranch_scc0 .LBB150_775
; %bb.774:
	v_cndmask_b32_e64 v3, 0, 1, s[30:31]
	v_cvt_f64_u32_e32 v[3:4], v3
	s_mov_b64 s[36:37], 0
	global_store_dwordx2 v[0:1], v[3:4], off
.LBB150_775:
	s_andn2_b64 vcc, exec, s[36:37]
	s_cbranch_vccnz .LBB150_777
; %bb.776:
	v_cndmask_b32_e64 v3, 0, 1.0, s[30:31]
	global_store_dword v[0:1], v3, off
.LBB150_777:
	s_mov_b64 s[36:37], 0
.LBB150_778:
	s_andn2_b64 vcc, exec, s[36:37]
	s_cbranch_vccnz .LBB150_780
; %bb.779:
	v_cndmask_b32_e64 v3, 0, 1.0, s[30:31]
	v_cvt_f16_f32_e32 v3, v3
	global_store_short v[0:1], v3, off
.LBB150_780:
	s_mov_b64 s[36:37], 0
.LBB150_781:
	s_andn2_b64 vcc, exec, s[36:37]
	s_cbranch_vccnz .LBB150_797
; %bb.782:
	s_cmp_lt_i32 s38, 2
	s_mov_b64 s[36:37], -1
	s_cbranch_scc1 .LBB150_792
; %bb.783:
	s_cmp_lt_i32 s38, 3
	s_cbranch_scc1 .LBB150_789
; %bb.784:
	s_cmp_gt_i32 s38, 3
	s_cbranch_scc0 .LBB150_786
; %bb.785:
	s_mov_b32 s36, 0
	v_cndmask_b32_e64 v3, 0, 1, s[30:31]
	v_mov_b32_e32 v4, s36
	s_mov_b64 s[36:37], 0
	global_store_dwordx2 v[0:1], v[3:4], off
.LBB150_786:
	s_andn2_b64 vcc, exec, s[36:37]
	s_cbranch_vccnz .LBB150_788
; %bb.787:
	v_cndmask_b32_e64 v3, 0, 1, s[30:31]
	global_store_dword v[0:1], v3, off
.LBB150_788:
	s_mov_b64 s[36:37], 0
.LBB150_789:
	s_andn2_b64 vcc, exec, s[36:37]
	s_cbranch_vccnz .LBB150_791
; %bb.790:
	v_cndmask_b32_e64 v3, 0, 1, s[30:31]
	global_store_short v[0:1], v3, off
.LBB150_791:
	s_mov_b64 s[36:37], 0
.LBB150_792:
	s_andn2_b64 vcc, exec, s[36:37]
	s_cbranch_vccnz .LBB150_797
; %bb.793:
	s_mov_b64 s[36:37], -1
	s_cmp_gt_i32 s38, 0
	v_cndmask_b32_e64 v3, 0, 1, s[30:31]
	s_cbranch_scc0 .LBB150_795
; %bb.794:
	s_mov_b64 s[36:37], 0
	global_store_byte v[0:1], v3, off
.LBB150_795:
	s_andn2_b64 vcc, exec, s[36:37]
	s_cbranch_vccnz .LBB150_797
; %bb.796:
	global_store_byte v[0:1], v3, off
.LBB150_797:
	s_mov_b64 s[36:37], -1
.LBB150_798:
	s_andn2_b64 vcc, exec, s[36:37]
	s_cbranch_vccnz .LBB150_811
; %bb.799:
	v_add_u32_e32 v2, 0x80, v2
	s_mov_b64 s[36:37], -1
.LBB150_800:
	s_andn2_b64 s[30:31], s[18:19], exec
	s_and_b64 s[0:1], s[0:1], exec
	s_or_b64 s[30:31], s[30:31], s[0:1]
	s_andn2_b64 s[0:1], s[20:21], exec
	s_and_b64 s[28:29], s[28:29], exec
	s_or_b64 s[28:29], s[0:1], s[28:29]
	;; [unrolled: 3-line block ×3, first 2 shown]
	s_orn2_b64 s[0:1], s[36:37], exec
.LBB150_801:
	s_or_b64 exec, exec, s[34:35]
	s_mov_b64 s[36:37], 0
	s_mov_b64 s[38:39], 0
	;; [unrolled: 1-line block ×3, first 2 shown]
                                        ; implicit-def: $sgpr58
                                        ; implicit-def: $vgpr0_vgpr1
                                        ; implicit-def: $vgpr4
                                        ; implicit-def: $vgpr3
	s_and_saveexec_b64 s[34:35], s[0:1]
	s_cbranch_execz .LBB150_1293
; %bb.802:
	v_cmp_gt_i32_e32 vcc, s50, v2
	s_mov_b64 s[48:49], -1
	s_mov_b64 s[0:1], s[26:27]
	s_mov_b64 s[40:41], s[28:29]
	;; [unrolled: 1-line block ×3, first 2 shown]
	s_and_saveexec_b64 s[36:37], vcc
	s_cbranch_execz .LBB150_1205
; %bb.803:
	v_mul_lo_u32 v0, v2, s13
	v_mov_b32_e32 v1, s11
	s_and_b32 s44, s57, 0xff
	s_cmp_lt_i32 s44, 11
	s_waitcnt vmcnt(0)
	v_ashrrev_i32_e32 v3, 31, v0
	v_add_co_u32_e32 v0, vcc, s10, v0
	v_addc_co_u32_e32 v1, vcc, v1, v3, vcc
	s_cbranch_scc1 .LBB150_810
; %bb.804:
	s_and_b32 s45, 0xffff, s44
	s_cmp_gt_i32 s45, 25
	s_cbranch_scc0 .LBB150_812
; %bb.805:
	s_cmp_gt_i32 s45, 28
	s_cbranch_scc0 .LBB150_813
; %bb.806:
	;; [unrolled: 3-line block ×4, first 2 shown]
	s_cmp_eq_u32 s45, 46
	s_mov_b64 s[40:41], 0
	s_cbranch_scc0 .LBB150_818
; %bb.809:
	global_load_dword v3, v[0:1], off
	s_mov_b64 s[0:1], -1
	s_waitcnt vmcnt(0)
	v_and_b32_e32 v4, 0xffff0000, v3
	v_lshlrev_b32_e32 v3, 16, v3
	v_cvt_f16_f32_e32 v3, v3
	v_cvt_f16_f32_e32 v4, v4
	s_branch .LBB150_819
.LBB150_810:
	s_mov_b64 s[40:41], -1
	s_mov_b64 s[0:1], 0
                                        ; implicit-def: $vgpr4
                                        ; implicit-def: $vgpr3
	s_mov_b64 s[38:39], s[26:27]
	s_branch .LBB150_887
.LBB150_811:
	s_mov_b64 s[36:37], 0
	s_branch .LBB150_548
.LBB150_812:
	s_mov_b64 s[40:41], -1
	s_mov_b64 s[0:1], 0
	s_mov_b64 s[38:39], s[26:27]
                                        ; implicit-def: $vgpr4
                                        ; implicit-def: $vgpr3
	s_branch .LBB150_850
.LBB150_813:
	s_mov_b64 s[40:41], -1
	s_mov_b64 s[0:1], 0
	s_mov_b64 s[38:39], s[26:27]
                                        ; implicit-def: $vgpr4
                                        ; implicit-def: $vgpr3
	s_branch .LBB150_831
.LBB150_814:
	s_mov_b64 s[40:41], -1
	s_mov_b64 s[0:1], 0
	s_mov_b64 s[38:39], s[26:27]
                                        ; implicit-def: $vgpr4
                                        ; implicit-def: $vgpr3
	s_branch .LBB150_825
.LBB150_815:
	s_mov_b64 s[40:41], -1
	s_mov_b64 s[0:1], 0
	s_mov_b64 s[38:39], s[26:27]
                                        ; implicit-def: $vgpr4
                                        ; implicit-def: $vgpr3
	s_branch .LBB150_819
.LBB150_816:
	s_andn2_saveexec_b64 s[40:41], s[40:41]
	s_cbranch_execz .LBB150_711
.LBB150_817:
	v_add_f32_e32 v3, 0x46000000, v4
	v_and_b32_e32 v3, 0xff, v3
	v_cmp_ne_u32_e32 vcc, 0, v3
	s_andn2_b64 s[38:39], s[38:39], exec
	s_and_b64 s[44:45], vcc, exec
	s_or_b64 s[38:39], s[38:39], s[44:45]
	s_or_b64 exec, exec, s[40:41]
	v_mov_b32_e32 v5, 0
	s_and_saveexec_b64 s[40:41], s[38:39]
	s_cbranch_execnz .LBB150_712
	s_branch .LBB150_713
.LBB150_818:
	s_mov_b64 s[38:39], -1
                                        ; implicit-def: $vgpr4
                                        ; implicit-def: $vgpr3
	s_mov_b64 s[0:1], 0
.LBB150_819:
	s_and_b64 vcc, exec, s[40:41]
	s_cbranch_vccz .LBB150_824
; %bb.820:
	s_cmp_eq_u32 s45, 44
	s_cbranch_scc0 .LBB150_822
; %bb.821:
	global_load_ubyte v3, v[0:1], off
	s_movk_i32 s38, 0xff
	v_mov_b32_e32 v5, 0x7e00
	s_mov_b64 s[0:1], -1
	s_waitcnt vmcnt(0)
	v_lshlrev_b32_e32 v4, 23, v3
	v_cvt_f16_f32_e32 v4, v4
	v_cmp_ne_u32_e32 vcc, s38, v3
	s_mov_b64 s[38:39], 0
	v_cndmask_b32_e32 v4, v5, v4, vcc
	v_cmp_ne_u32_e32 vcc, 0, v3
	v_cndmask_b32_e32 v3, 0, v4, vcc
	s_branch .LBB150_823
.LBB150_822:
	s_mov_b64 s[38:39], -1
                                        ; implicit-def: $vgpr3
.LBB150_823:
	v_mov_b32_e32 v4, 0
.LBB150_824:
	s_mov_b64 s[40:41], 0
.LBB150_825:
	s_and_b64 vcc, exec, s[40:41]
	s_cbranch_vccz .LBB150_830
; %bb.826:
	s_cmp_eq_u32 s45, 29
	s_cbranch_scc0 .LBB150_828
; %bb.827:
	global_load_dwordx2 v[3:4], v[0:1], off
	s_mov_b64 s[0:1], -1
	s_mov_b64 s[38:39], 0
	s_waitcnt vmcnt(0)
	v_ffbh_u32_e32 v5, v4
	v_min_u32_e32 v5, 32, v5
	v_lshlrev_b64 v[3:4], v5, v[3:4]
	v_min_u32_e32 v3, 1, v3
	v_or_b32_e32 v3, v4, v3
	v_cvt_f32_u32_e32 v3, v3
	v_sub_u32_e32 v4, 32, v5
	v_ldexp_f32 v3, v3, v4
	v_cvt_f16_f32_e32 v3, v3
	s_branch .LBB150_829
.LBB150_828:
	s_mov_b64 s[38:39], -1
                                        ; implicit-def: $vgpr3
.LBB150_829:
	v_mov_b32_e32 v4, 0
.LBB150_830:
	s_mov_b64 s[40:41], 0
.LBB150_831:
	s_and_b64 vcc, exec, s[40:41]
	s_cbranch_vccz .LBB150_849
; %bb.832:
	s_cmp_lt_i32 s45, 27
	s_cbranch_scc1 .LBB150_835
; %bb.833:
	s_cmp_gt_i32 s45, 27
	s_cbranch_scc0 .LBB150_836
; %bb.834:
	global_load_dword v3, v[0:1], off
	s_mov_b64 s[0:1], 0
	s_waitcnt vmcnt(0)
	v_cvt_f32_u32_e32 v3, v3
	v_cvt_f16_f32_e32 v3, v3
	s_branch .LBB150_837
.LBB150_835:
	s_mov_b64 s[0:1], -1
                                        ; implicit-def: $vgpr3
	s_branch .LBB150_840
.LBB150_836:
	s_mov_b64 s[0:1], -1
                                        ; implicit-def: $vgpr3
.LBB150_837:
	s_andn2_b64 vcc, exec, s[0:1]
	s_cbranch_vccnz .LBB150_839
; %bb.838:
	global_load_ushort v3, v[0:1], off
	s_waitcnt vmcnt(0)
	v_cvt_f16_u16_e32 v3, v3
.LBB150_839:
	s_mov_b64 s[0:1], 0
.LBB150_840:
	s_andn2_b64 vcc, exec, s[0:1]
	s_cbranch_vccnz .LBB150_848
; %bb.841:
	global_load_ubyte v4, v[0:1], off
	s_movk_i32 s0, 0x7f
	s_waitcnt vmcnt(0)
	v_cmp_lt_i16_e32 vcc, s0, v4
	s_mov_b64 s[0:1], 0
	s_and_saveexec_b64 s[40:41], vcc
	s_xor_b64 s[40:41], exec, s[40:41]
	s_cbranch_execz .LBB150_862
; %bb.842:
	s_movk_i32 s0, 0x80
	v_cmp_eq_u16_e32 vcc, s0, v4
	s_mov_b64 s[0:1], -1
	s_and_saveexec_b64 s[42:43], vcc
; %bb.843:
	s_xor_b64 s[0:1], exec, -1
; %bb.844:
	s_or_b64 exec, exec, s[42:43]
	s_and_b64 s[0:1], s[0:1], exec
	s_or_saveexec_b64 s[40:41], s[40:41]
	v_mov_b32_e32 v3, 0x7e00
	s_xor_b64 exec, exec, s[40:41]
	s_cbranch_execnz .LBB150_863
.LBB150_845:
	s_or_b64 exec, exec, s[40:41]
	s_and_saveexec_b64 s[40:41], s[0:1]
	s_cbranch_execz .LBB150_847
.LBB150_846:
	v_lshlrev_b32_e32 v3, 24, v4
	v_and_b32_e32 v4, 0xffff, v4
	v_and_b32_e32 v5, 7, v4
	v_ffbh_u32_e32 v7, v5
	v_min_u32_e32 v7, 32, v7
	v_subrev_u32_e32 v8, 28, v7
	v_bfe_u32 v6, v4, 3, 4
	v_lshlrev_b32_e32 v4, v8, v4
	v_sub_u32_e32 v7, 29, v7
	v_and_b32_e32 v4, 7, v4
	v_cmp_eq_u32_e32 vcc, 0, v6
	v_cndmask_b32_e32 v6, v6, v7, vcc
	v_cndmask_b32_e32 v4, v5, v4, vcc
	v_mov_b32_e32 v5, 0x3b800000
	v_lshlrev_b32_e32 v4, 20, v4
	v_and_b32_e32 v3, 0x80000000, v3
	v_lshl_add_u32 v5, v6, 23, v5
	v_or3_b32 v3, v3, v5, v4
	v_cvt_f16_f32_e32 v3, v3
.LBB150_847:
	s_or_b64 exec, exec, s[40:41]
.LBB150_848:
	s_mov_b64 s[0:1], -1
	v_mov_b32_e32 v4, 0
.LBB150_849:
	s_mov_b64 s[40:41], 0
.LBB150_850:
	s_and_b64 vcc, exec, s[40:41]
	s_cbranch_vccz .LBB150_886
; %bb.851:
	s_cmp_gt_i32 s45, 22
	s_cbranch_scc0 .LBB150_861
; %bb.852:
	s_cmp_lt_i32 s45, 24
	s_cbranch_scc1 .LBB150_864
; %bb.853:
	s_cmp_gt_i32 s45, 24
	s_cbranch_scc0 .LBB150_865
; %bb.854:
	global_load_ubyte v4, v[0:1], off
	s_movk_i32 s0, 0x7f
	s_waitcnt vmcnt(0)
	v_cmp_lt_i16_e32 vcc, s0, v4
	s_mov_b64 s[0:1], 0
	s_and_saveexec_b64 s[40:41], vcc
	s_xor_b64 s[40:41], exec, s[40:41]
	s_cbranch_execz .LBB150_877
; %bb.855:
	s_movk_i32 s0, 0x80
	v_cmp_eq_u16_e32 vcc, s0, v4
	s_mov_b64 s[0:1], -1
	s_and_saveexec_b64 s[42:43], vcc
; %bb.856:
	s_xor_b64 s[0:1], exec, -1
; %bb.857:
	s_or_b64 exec, exec, s[42:43]
	s_and_b64 s[0:1], s[0:1], exec
	s_or_saveexec_b64 s[40:41], s[40:41]
	v_mov_b32_e32 v3, 0x7e00
	s_xor_b64 exec, exec, s[40:41]
	s_cbranch_execnz .LBB150_878
.LBB150_858:
	s_or_b64 exec, exec, s[40:41]
	s_and_saveexec_b64 s[40:41], s[0:1]
	s_cbranch_execz .LBB150_860
.LBB150_859:
	v_lshlrev_b32_e32 v3, 24, v4
	v_and_b32_e32 v4, 0xffff, v4
	v_and_b32_e32 v5, 3, v4
	v_ffbh_u32_e32 v7, v5
	v_min_u32_e32 v7, 32, v7
	v_subrev_u32_e32 v8, 29, v7
	v_bfe_u32 v6, v4, 2, 5
	v_lshlrev_b32_e32 v4, v8, v4
	v_sub_u32_e32 v7, 30, v7
	v_and_b32_e32 v4, 3, v4
	v_cmp_eq_u32_e32 vcc, 0, v6
	v_cndmask_b32_e32 v6, v6, v7, vcc
	v_cndmask_b32_e32 v4, v5, v4, vcc
	v_mov_b32_e32 v5, 0x37800000
	v_lshlrev_b32_e32 v4, 21, v4
	v_and_b32_e32 v3, 0x80000000, v3
	v_lshl_add_u32 v5, v6, 23, v5
	v_or3_b32 v3, v3, v5, v4
	v_cvt_f16_f32_e32 v3, v3
.LBB150_860:
	s_or_b64 exec, exec, s[40:41]
	s_mov_b64 s[0:1], 0
	s_branch .LBB150_866
.LBB150_861:
	s_mov_b64 s[40:41], -1
                                        ; implicit-def: $vgpr3
	s_branch .LBB150_872
.LBB150_862:
	s_or_saveexec_b64 s[40:41], s[40:41]
	v_mov_b32_e32 v3, 0x7e00
	s_xor_b64 exec, exec, s[40:41]
	s_cbranch_execz .LBB150_845
.LBB150_863:
	v_cmp_ne_u16_e32 vcc, 0, v4
	s_andn2_b64 s[0:1], s[0:1], exec
	s_and_b64 s[42:43], vcc, exec
	s_or_b64 s[0:1], s[0:1], s[42:43]
	v_mov_b32_e32 v3, v4
	s_or_b64 exec, exec, s[40:41]
	s_and_saveexec_b64 s[40:41], s[0:1]
	s_cbranch_execnz .LBB150_846
	s_branch .LBB150_847
.LBB150_864:
	s_mov_b64 s[0:1], -1
                                        ; implicit-def: $vgpr3
	s_branch .LBB150_869
.LBB150_865:
	s_mov_b64 s[0:1], -1
                                        ; implicit-def: $vgpr3
.LBB150_866:
	s_and_b64 vcc, exec, s[0:1]
	s_cbranch_vccz .LBB150_868
; %bb.867:
	global_load_ubyte v3, v[0:1], off
	s_mov_b32 s0, 0x7f800000
	s_waitcnt vmcnt(0)
	v_lshlrev_b32_e32 v3, 24, v3
	v_and_b32_e32 v4, 0x7f000000, v3
	v_ffbh_u32_e32 v5, v4
	v_min_u32_e32 v5, 32, v5
	v_sub_u32_e64 v5, v5, 4 clamp
	v_lshlrev_b32_e32 v7, v5, v4
	v_lshlrev_b32_e32 v5, 23, v5
	v_lshrrev_b32_e32 v7, 4, v7
	v_add_u32_e32 v6, 0x1000000, v4
	v_sub_u32_e32 v5, v7, v5
	v_ashrrev_i32_e32 v6, 8, v6
	v_add_u32_e32 v5, 0x3c000000, v5
	v_and_or_b32 v5, v6, s0, v5
	v_cmp_ne_u32_e32 vcc, 0, v4
	v_cndmask_b32_e32 v4, 0, v5, vcc
	s_brev_b32 s0, 1
	v_and_or_b32 v3, v3, s0, v4
	v_cvt_f16_f32_e32 v3, v3
.LBB150_868:
	s_mov_b64 s[0:1], 0
.LBB150_869:
	s_andn2_b64 vcc, exec, s[0:1]
	s_cbranch_vccnz .LBB150_871
; %bb.870:
	global_load_ubyte v3, v[0:1], off
	s_movk_i32 s0, 0x7f00
	s_brev_b32 s1, 16
	s_waitcnt vmcnt(0)
	v_lshlrev_b16_e32 v4, 8, v3
	v_lshlrev_b32_e32 v3, 25, v3
	v_lshrrev_b32_e32 v5, 4, v3
	v_and_or_b32 v6, v4, s0, 0.5
	v_or_b32_e32 v5, 0x70000000, v5
	v_add_f32_e32 v6, -0.5, v6
	v_mul_f32_e32 v5, 0x7800000, v5
	v_cmp_gt_u32_e32 vcc, s1, v3
	v_bfe_i32 v4, v4, 0, 16
	v_cndmask_b32_e32 v3, v5, v6, vcc
	s_brev_b32 s0, 1
	v_and_or_b32 v3, v4, s0, v3
	v_cvt_f16_f32_e32 v3, v3
.LBB150_871:
	s_mov_b64 s[40:41], 0
	s_mov_b64 s[0:1], -1
.LBB150_872:
	s_andn2_b64 vcc, exec, s[40:41]
	s_cbranch_vccnz .LBB150_885
; %bb.873:
	s_cmp_gt_i32 s45, 14
	s_cbranch_scc0 .LBB150_876
; %bb.874:
	s_cmp_eq_u32 s45, 15
	s_cbranch_scc0 .LBB150_879
; %bb.875:
	global_load_ushort v3, v[0:1], off
	s_mov_b64 s[0:1], -1
	s_mov_b64 s[38:39], 0
	s_waitcnt vmcnt(0)
	v_lshlrev_b32_e32 v3, 16, v3
	v_cvt_f16_f32_e32 v3, v3
	s_branch .LBB150_880
.LBB150_876:
	s_mov_b64 s[40:41], -1
                                        ; implicit-def: $vgpr3
	s_branch .LBB150_881
.LBB150_877:
	s_or_saveexec_b64 s[40:41], s[40:41]
	v_mov_b32_e32 v3, 0x7e00
	s_xor_b64 exec, exec, s[40:41]
	s_cbranch_execz .LBB150_858
.LBB150_878:
	v_cmp_ne_u16_e32 vcc, 0, v4
	s_andn2_b64 s[0:1], s[0:1], exec
	s_and_b64 s[42:43], vcc, exec
	s_or_b64 s[0:1], s[0:1], s[42:43]
	v_mov_b32_e32 v3, v4
	s_or_b64 exec, exec, s[40:41]
	s_and_saveexec_b64 s[40:41], s[0:1]
	s_cbranch_execnz .LBB150_859
	s_branch .LBB150_860
.LBB150_879:
	s_mov_b64 s[38:39], -1
                                        ; implicit-def: $vgpr3
.LBB150_880:
	s_mov_b64 s[40:41], 0
.LBB150_881:
	s_and_b64 vcc, exec, s[40:41]
	s_cbranch_vccz .LBB150_885
; %bb.882:
	s_cmp_eq_u32 s45, 11
	s_cbranch_scc0 .LBB150_884
; %bb.883:
	global_load_ubyte v3, v[0:1], off
	v_mov_b32_e32 v4, 0x3c00
	s_mov_b64 s[0:1], -1
	s_mov_b64 s[38:39], 0
	s_waitcnt vmcnt(0)
	v_cmp_ne_u16_e32 vcc, 0, v3
	v_cndmask_b32_e32 v3, 0, v4, vcc
	s_branch .LBB150_885
.LBB150_884:
	s_mov_b64 s[38:39], -1
                                        ; implicit-def: $vgpr3
.LBB150_885:
	v_mov_b32_e32 v4, 0
.LBB150_886:
	s_mov_b64 s[40:41], 0
.LBB150_887:
	s_and_b64 vcc, exec, s[40:41]
	s_cbranch_vccz .LBB150_938
; %bb.888:
	s_and_b32 s40, 0xffff, s44
	s_cmp_lt_i32 s40, 5
	s_cbranch_scc1 .LBB150_893
; %bb.889:
	s_cmp_lt_i32 s40, 8
	s_cbranch_scc1 .LBB150_894
; %bb.890:
	;; [unrolled: 3-line block ×3, first 2 shown]
	s_cmp_gt_i32 s40, 9
	s_cbranch_scc0 .LBB150_896
; %bb.892:
	global_load_dwordx4 v[3:6], v[0:1], off
	s_movk_i32 s0, 0x1ff
	s_movk_i32 s1, 0xffe
	v_mov_b32_e32 v7, 0x7c00
	v_mov_b32_e32 v8, 0x7e00
	s_movk_i32 s41, 0x40f
	s_mov_b32 s42, 0x8000
	s_waitcnt vmcnt(0)
	v_and_or_b32 v3, v4, s0, v3
	v_and_or_b32 v5, v6, s0, v5
	v_cmp_ne_u32_e32 vcc, 0, v3
	v_lshrrev_b32_e32 v9, 8, v4
	v_cndmask_b32_e64 v3, 0, 1, vcc
	v_cmp_ne_u32_e32 vcc, 0, v5
	v_bfe_u32 v10, v4, 20, 11
	v_lshrrev_b32_e32 v11, 8, v6
	v_bfe_u32 v12, v6, 20, 11
	v_cndmask_b32_e64 v5, 0, 1, vcc
	v_and_or_b32 v3, v9, s1, v3
	v_sub_u32_e32 v13, 0x3f1, v10
	v_add_u32_e32 v10, 0xfffffc10, v10
	v_sub_u32_e32 v14, 0x3f1, v12
	v_and_or_b32 v5, v11, s1, v5
	v_cmp_ne_u32_e32 vcc, 0, v3
	v_add_u32_e32 v12, 0xfffffc10, v12
	v_med3_i32 v9, v13, 0, 13
	v_med3_i32 v11, v14, 0, 13
	v_or_b32_e32 v13, 0x1000, v3
	v_lshl_or_b32 v14, v10, 12, v3
	v_cndmask_b32_e32 v3, v7, v8, vcc
	v_cmp_ne_u32_e32 vcc, 0, v5
	v_or_b32_e32 v15, 0x1000, v5
	v_lshl_or_b32 v16, v12, 12, v5
	v_cndmask_b32_e32 v5, v7, v8, vcc
	v_lshrrev_b32_e32 v8, v9, v13
	v_lshrrev_b32_e32 v17, v11, v15
	v_lshlrev_b32_e32 v9, v9, v8
	v_lshlrev_b32_e32 v11, v11, v17
	v_cmp_ne_u32_e32 vcc, v9, v13
	v_cndmask_b32_e64 v9, 0, 1, vcc
	v_cmp_ne_u32_e32 vcc, v11, v15
	v_cndmask_b32_e64 v11, 0, 1, vcc
	v_or_b32_e32 v8, v8, v9
	v_cmp_gt_i32_e32 vcc, 1, v10
	v_cndmask_b32_e32 v8, v14, v8, vcc
	v_or_b32_e32 v9, v17, v11
	v_cmp_gt_i32_e32 vcc, 1, v12
	v_and_b32_e32 v11, 7, v8
	v_cndmask_b32_e32 v9, v16, v9, vcc
	v_cmp_lt_i32_e32 vcc, 5, v11
	v_and_b32_e32 v13, 7, v9
	v_cndmask_b32_e64 v14, 0, 1, vcc
	v_cmp_eq_u32_e32 vcc, 3, v11
	v_cndmask_b32_e64 v11, 0, 1, vcc
	v_cmp_lt_i32_e32 vcc, 5, v13
	v_cndmask_b32_e64 v15, 0, 1, vcc
	v_cmp_eq_u32_e32 vcc, 3, v13
	v_lshrrev_b32_e32 v8, 2, v8
	v_cndmask_b32_e64 v13, 0, 1, vcc
	v_or_b32_e32 v11, v11, v14
	v_lshrrev_b32_e32 v9, 2, v9
	v_or_b32_e32 v13, v13, v15
	v_add_u32_e32 v8, v8, v11
	v_cmp_gt_i32_e32 vcc, 31, v10
	v_add_u32_e32 v9, v9, v13
	v_cndmask_b32_e32 v8, v7, v8, vcc
	v_cmp_gt_i32_e32 vcc, 31, v12
	v_cndmask_b32_e32 v7, v7, v9, vcc
	v_cmp_eq_u32_e32 vcc, s41, v10
	v_cndmask_b32_e32 v3, v8, v3, vcc
	v_cmp_eq_u32_e32 vcc, s41, v12
	v_lshrrev_b32_e32 v4, 16, v4
	v_lshrrev_b32_e32 v6, 16, v6
	v_cndmask_b32_e32 v5, v7, v5, vcc
	v_and_or_b32 v3, v4, s42, v3
	v_and_or_b32 v4, v6, s42, v5
	s_mov_b64 s[0:1], 0
	s_branch .LBB150_897
.LBB150_893:
	s_mov_b64 s[0:1], -1
                                        ; implicit-def: $vgpr4
                                        ; implicit-def: $vgpr3
	s_branch .LBB150_916
.LBB150_894:
	s_mov_b64 s[0:1], -1
                                        ; implicit-def: $vgpr4
                                        ; implicit-def: $vgpr3
	s_branch .LBB150_903
.LBB150_895:
	s_mov_b64 s[0:1], -1
                                        ; implicit-def: $vgpr4
                                        ; implicit-def: $vgpr3
	s_branch .LBB150_900
.LBB150_896:
	s_mov_b64 s[0:1], -1
                                        ; implicit-def: $vgpr4
                                        ; implicit-def: $vgpr3
.LBB150_897:
	s_andn2_b64 vcc, exec, s[0:1]
	s_cbranch_vccnz .LBB150_899
; %bb.898:
	global_load_dwordx2 v[3:4], v[0:1], off
	s_waitcnt vmcnt(0)
	v_cvt_f16_f32_e32 v3, v3
	v_cvt_f16_f32_e32 v4, v4
.LBB150_899:
	s_mov_b64 s[0:1], 0
.LBB150_900:
	s_andn2_b64 vcc, exec, s[0:1]
	s_cbranch_vccnz .LBB150_902
; %bb.901:
	global_load_dword v3, v[0:1], off
	s_waitcnt vmcnt(0)
	v_lshrrev_b32_e32 v4, 16, v3
.LBB150_902:
	s_mov_b64 s[0:1], 0
.LBB150_903:
	s_andn2_b64 vcc, exec, s[0:1]
	s_cbranch_vccnz .LBB150_915
; %bb.904:
	s_cmp_lt_i32 s40, 6
	s_cbranch_scc1 .LBB150_907
; %bb.905:
	s_cmp_gt_i32 s40, 6
	s_cbranch_scc0 .LBB150_908
; %bb.906:
	global_load_dwordx2 v[3:4], v[0:1], off
	s_movk_i32 s0, 0x1ff
	s_movk_i32 s1, 0xffe
	v_mov_b32_e32 v5, 0x7c00
	v_mov_b32_e32 v6, 0x7e00
	s_movk_i32 s41, 0x40f
	s_mov_b32 s42, 0x8000
	s_waitcnt vmcnt(0)
	v_and_or_b32 v3, v4, s0, v3
	v_cmp_ne_u32_e32 vcc, 0, v3
	v_lshrrev_b32_e32 v7, 8, v4
	v_bfe_u32 v8, v4, 20, 11
	v_cndmask_b32_e64 v3, 0, 1, vcc
	v_sub_u32_e32 v9, 0x3f1, v8
	v_and_or_b32 v3, v7, s1, v3
	v_add_u32_e32 v8, 0xfffffc10, v8
	v_med3_i32 v7, v9, 0, 13
	v_or_b32_e32 v9, 0x1000, v3
	v_cmp_ne_u32_e32 vcc, 0, v3
	v_lshl_or_b32 v10, v8, 12, v3
	v_cndmask_b32_e32 v3, v5, v6, vcc
	v_lshrrev_b32_e32 v6, v7, v9
	v_lshlrev_b32_e32 v7, v7, v6
	v_cmp_ne_u32_e32 vcc, v7, v9
	v_cndmask_b32_e64 v7, 0, 1, vcc
	v_or_b32_e32 v6, v6, v7
	v_cmp_gt_i32_e32 vcc, 1, v8
	v_cndmask_b32_e32 v6, v10, v6, vcc
	v_and_b32_e32 v7, 7, v6
	v_cmp_lt_i32_e32 vcc, 5, v7
	v_cndmask_b32_e64 v9, 0, 1, vcc
	v_cmp_eq_u32_e32 vcc, 3, v7
	v_cndmask_b32_e64 v7, 0, 1, vcc
	v_lshrrev_b32_e32 v6, 2, v6
	v_or_b32_e32 v7, v7, v9
	v_add_u32_e32 v6, v6, v7
	v_cmp_gt_i32_e32 vcc, 31, v8
	v_cndmask_b32_e32 v5, v5, v6, vcc
	v_cmp_eq_u32_e32 vcc, s41, v8
	v_lshrrev_b32_e32 v4, 16, v4
	v_cndmask_b32_e32 v3, v5, v3, vcc
	v_and_or_b32 v3, v4, s42, v3
	s_mov_b64 s[0:1], 0
	s_branch .LBB150_909
.LBB150_907:
	s_mov_b64 s[0:1], -1
                                        ; implicit-def: $vgpr3
	s_branch .LBB150_912
.LBB150_908:
	s_mov_b64 s[0:1], -1
                                        ; implicit-def: $vgpr3
.LBB150_909:
	s_andn2_b64 vcc, exec, s[0:1]
	s_cbranch_vccnz .LBB150_911
; %bb.910:
	global_load_dword v3, v[0:1], off
	s_waitcnt vmcnt(0)
	v_cvt_f16_f32_e32 v3, v3
.LBB150_911:
	s_mov_b64 s[0:1], 0
.LBB150_912:
	s_andn2_b64 vcc, exec, s[0:1]
	s_cbranch_vccnz .LBB150_914
; %bb.913:
	global_load_ushort v3, v[0:1], off
.LBB150_914:
	v_mov_b32_e32 v4, 0
.LBB150_915:
	s_mov_b64 s[0:1], 0
.LBB150_916:
	s_andn2_b64 vcc, exec, s[0:1]
	s_cbranch_vccnz .LBB150_937
; %bb.917:
	s_cmp_lt_i32 s40, 2
	s_cbranch_scc1 .LBB150_921
; %bb.918:
	s_cmp_lt_i32 s40, 3
	s_cbranch_scc1 .LBB150_922
; %bb.919:
	s_cmp_gt_i32 s40, 3
	s_cbranch_scc0 .LBB150_923
; %bb.920:
	global_load_dwordx2 v[3:4], v[0:1], off
	s_mov_b64 s[0:1], 0
	s_waitcnt vmcnt(0)
	v_xor_b32_e32 v6, v3, v4
	v_ffbh_i32_e32 v5, v4
	v_ashrrev_i32_e32 v6, 31, v6
	v_add_u32_e32 v5, -1, v5
	v_add_u32_e32 v6, 32, v6
	v_min_u32_e32 v5, v5, v6
	v_lshlrev_b64 v[3:4], v5, v[3:4]
	v_min_u32_e32 v3, 1, v3
	v_or_b32_e32 v3, v4, v3
	v_cvt_f32_i32_e32 v3, v3
	v_sub_u32_e32 v4, 32, v5
	v_ldexp_f32 v3, v3, v4
	v_cvt_f16_f32_e32 v3, v3
	s_branch .LBB150_924
.LBB150_921:
	s_mov_b64 s[0:1], -1
                                        ; implicit-def: $vgpr3
	s_branch .LBB150_930
.LBB150_922:
	s_mov_b64 s[0:1], -1
                                        ; implicit-def: $vgpr3
	s_branch .LBB150_927
.LBB150_923:
	s_mov_b64 s[0:1], -1
                                        ; implicit-def: $vgpr3
.LBB150_924:
	s_andn2_b64 vcc, exec, s[0:1]
	s_cbranch_vccnz .LBB150_926
; %bb.925:
	global_load_dword v3, v[0:1], off
	s_waitcnt vmcnt(0)
	v_cvt_f32_i32_e32 v3, v3
	v_cvt_f16_f32_e32 v3, v3
.LBB150_926:
	s_mov_b64 s[0:1], 0
.LBB150_927:
	s_andn2_b64 vcc, exec, s[0:1]
	s_cbranch_vccnz .LBB150_929
; %bb.928:
	global_load_ushort v3, v[0:1], off
	s_waitcnt vmcnt(0)
	v_cvt_f16_i16_e32 v3, v3
.LBB150_929:
	s_mov_b64 s[0:1], 0
.LBB150_930:
	s_andn2_b64 vcc, exec, s[0:1]
	s_cbranch_vccnz .LBB150_936
; %bb.931:
	s_cmp_gt_i32 s40, 0
	s_cbranch_scc0 .LBB150_933
; %bb.932:
	global_load_sbyte v3, v[0:1], off
	s_mov_b64 s[0:1], 0
	s_waitcnt vmcnt(0)
	v_cvt_f16_i16_e32 v3, v3
	s_branch .LBB150_934
.LBB150_933:
	s_mov_b64 s[0:1], -1
                                        ; implicit-def: $vgpr3
.LBB150_934:
	s_andn2_b64 vcc, exec, s[0:1]
	s_cbranch_vccnz .LBB150_936
; %bb.935:
	global_load_ubyte v0, v[0:1], off
	s_waitcnt vmcnt(0)
	v_cvt_f16_u16_e32 v3, v0
.LBB150_936:
	v_mov_b32_e32 v4, 0
.LBB150_937:
	s_mov_b64 s[0:1], -1
.LBB150_938:
	s_andn2_b64 vcc, exec, s[0:1]
	s_cbranch_vccnz .LBB150_946
; %bb.939:
	v_mul_lo_u32 v0, v2, s14
	v_mov_b32_e32 v1, s3
	s_and_b32 s46, s56, 0xff
	s_cmp_lt_i32 s46, 11
	v_ashrrev_i32_e32 v5, 31, v0
	v_add_co_u32_e32 v0, vcc, s2, v0
	v_addc_co_u32_e32 v1, vcc, v1, v5, vcc
	s_cbranch_scc1 .LBB150_948
; %bb.940:
	s_and_b32 s47, 0xffff, s46
	s_cmp_gt_i32 s47, 25
	s_cbranch_scc0 .LBB150_949
; %bb.941:
	s_cmp_gt_i32 s47, 28
	s_cbranch_scc0 .LBB150_950
; %bb.942:
	s_cmp_gt_i32 s47, 43
	s_cbranch_scc0 .LBB150_951
; %bb.943:
	s_cmp_gt_i32 s47, 45
	s_cbranch_scc0 .LBB150_952
; %bb.944:
	s_cmp_eq_u32 s47, 46
	s_mov_b64 s[42:43], 0
	s_cbranch_scc0 .LBB150_955
; %bb.945:
	global_load_dword v5, v[0:1], off
	s_mov_b64 s[0:1], -1
	s_mov_b64 s[40:41], 0
	s_waitcnt vmcnt(0)
	v_and_b32_e32 v6, 0xffff0000, v5
	v_lshlrev_b32_e32 v5, 16, v5
	v_cvt_f16_f32_e32 v5, v5
	v_cvt_f16_f32_e32 v6, v6
	s_branch .LBB150_956
.LBB150_946:
	s_mov_b64 s[44:45], 0
	s_mov_b64 s[0:1], s[30:31]
	;; [unrolled: 1-line block ×3, first 2 shown]
.LBB150_947:
                                        ; implicit-def: $vgpr2
	s_branch .LBB150_1204
.LBB150_948:
	s_mov_b64 s[42:43], -1
	s_mov_b64 s[0:1], 0
                                        ; implicit-def: $vgpr6
                                        ; implicit-def: $vgpr5
	s_mov_b64 s[40:41], s[28:29]
	s_branch .LBB150_1024
.LBB150_949:
	s_mov_b64 s[42:43], -1
	s_mov_b64 s[0:1], 0
	s_mov_b64 s[40:41], s[28:29]
                                        ; implicit-def: $vgpr6
                                        ; implicit-def: $vgpr5
	s_branch .LBB150_987
.LBB150_950:
	s_mov_b64 s[42:43], -1
	s_mov_b64 s[0:1], 0
	s_mov_b64 s[40:41], s[28:29]
                                        ; implicit-def: $vgpr6
                                        ; implicit-def: $vgpr5
	s_branch .LBB150_968
.LBB150_951:
	s_mov_b64 s[42:43], -1
	s_mov_b64 s[0:1], 0
	s_mov_b64 s[40:41], s[28:29]
                                        ; implicit-def: $vgpr6
                                        ; implicit-def: $vgpr5
	s_branch .LBB150_962
.LBB150_952:
	s_mov_b64 s[42:43], -1
	s_mov_b64 s[0:1], 0
	s_mov_b64 s[40:41], s[28:29]
                                        ; implicit-def: $vgpr6
                                        ; implicit-def: $vgpr5
	s_branch .LBB150_956
.LBB150_953:
	s_andn2_saveexec_b64 s[40:41], s[40:41]
	s_cbranch_execz .LBB150_724
.LBB150_954:
	v_add_f32_e32 v3, 0x42800000, v4
	v_and_b32_e32 v3, 0xff, v3
	v_cmp_ne_u32_e32 vcc, 0, v3
	s_andn2_b64 s[38:39], s[38:39], exec
	s_and_b64 s[44:45], vcc, exec
	s_or_b64 s[38:39], s[38:39], s[44:45]
	s_or_b64 exec, exec, s[40:41]
	v_mov_b32_e32 v5, 0
	s_and_saveexec_b64 s[40:41], s[38:39]
	s_cbranch_execnz .LBB150_725
	s_branch .LBB150_726
.LBB150_955:
	s_mov_b64 s[40:41], -1
                                        ; implicit-def: $vgpr6
                                        ; implicit-def: $vgpr5
	s_mov_b64 s[0:1], 0
.LBB150_956:
	s_and_b64 vcc, exec, s[42:43]
	s_cbranch_vccz .LBB150_961
; %bb.957:
	s_cmp_eq_u32 s47, 44
	s_cbranch_scc0 .LBB150_959
; %bb.958:
	global_load_ubyte v5, v[0:1], off
	s_movk_i32 s40, 0xff
	v_mov_b32_e32 v7, 0x7e00
	s_mov_b64 s[0:1], -1
	s_waitcnt vmcnt(0)
	v_lshlrev_b32_e32 v6, 23, v5
	v_cvt_f16_f32_e32 v6, v6
	v_cmp_ne_u32_e32 vcc, s40, v5
	s_mov_b64 s[40:41], 0
	v_cndmask_b32_e32 v6, v7, v6, vcc
	v_cmp_ne_u32_e32 vcc, 0, v5
	v_cndmask_b32_e32 v5, 0, v6, vcc
	s_branch .LBB150_960
.LBB150_959:
	s_mov_b64 s[40:41], -1
                                        ; implicit-def: $vgpr5
.LBB150_960:
	v_mov_b32_e32 v6, 0
.LBB150_961:
	s_mov_b64 s[42:43], 0
.LBB150_962:
	s_and_b64 vcc, exec, s[42:43]
	s_cbranch_vccz .LBB150_967
; %bb.963:
	s_cmp_eq_u32 s47, 29
	s_cbranch_scc0 .LBB150_965
; %bb.964:
	global_load_dwordx2 v[5:6], v[0:1], off
	s_mov_b64 s[0:1], -1
	s_mov_b64 s[40:41], 0
	s_waitcnt vmcnt(0)
	v_ffbh_u32_e32 v7, v6
	v_min_u32_e32 v7, 32, v7
	v_lshlrev_b64 v[5:6], v7, v[5:6]
	v_min_u32_e32 v5, 1, v5
	v_or_b32_e32 v5, v6, v5
	v_cvt_f32_u32_e32 v5, v5
	v_sub_u32_e32 v6, 32, v7
	v_ldexp_f32 v5, v5, v6
	v_cvt_f16_f32_e32 v5, v5
	s_branch .LBB150_966
.LBB150_965:
	s_mov_b64 s[40:41], -1
                                        ; implicit-def: $vgpr5
.LBB150_966:
	v_mov_b32_e32 v6, 0
.LBB150_967:
	s_mov_b64 s[42:43], 0
.LBB150_968:
	s_and_b64 vcc, exec, s[42:43]
	s_cbranch_vccz .LBB150_986
; %bb.969:
	s_cmp_lt_i32 s47, 27
	s_cbranch_scc1 .LBB150_972
; %bb.970:
	s_cmp_gt_i32 s47, 27
	s_cbranch_scc0 .LBB150_973
; %bb.971:
	global_load_dword v5, v[0:1], off
	s_mov_b64 s[0:1], 0
	s_waitcnt vmcnt(0)
	v_cvt_f32_u32_e32 v5, v5
	v_cvt_f16_f32_e32 v5, v5
	s_branch .LBB150_974
.LBB150_972:
	s_mov_b64 s[0:1], -1
                                        ; implicit-def: $vgpr5
	s_branch .LBB150_977
.LBB150_973:
	s_mov_b64 s[0:1], -1
                                        ; implicit-def: $vgpr5
.LBB150_974:
	s_andn2_b64 vcc, exec, s[0:1]
	s_cbranch_vccnz .LBB150_976
; %bb.975:
	global_load_ushort v5, v[0:1], off
	s_waitcnt vmcnt(0)
	v_cvt_f16_u16_e32 v5, v5
.LBB150_976:
	s_mov_b64 s[0:1], 0
.LBB150_977:
	s_andn2_b64 vcc, exec, s[0:1]
	s_cbranch_vccnz .LBB150_985
; %bb.978:
	global_load_ubyte v6, v[0:1], off
	s_movk_i32 s0, 0x7f
	s_waitcnt vmcnt(0)
	v_cmp_lt_i16_e32 vcc, s0, v6
	s_mov_b64 s[0:1], 0
	s_and_saveexec_b64 s[42:43], vcc
	s_xor_b64 s[42:43], exec, s[42:43]
	s_cbranch_execz .LBB150_999
; %bb.979:
	s_movk_i32 s0, 0x80
	v_cmp_eq_u16_e32 vcc, s0, v6
	s_mov_b64 s[0:1], -1
	s_and_saveexec_b64 s[44:45], vcc
; %bb.980:
	s_xor_b64 s[0:1], exec, -1
; %bb.981:
	s_or_b64 exec, exec, s[44:45]
	s_and_b64 s[0:1], s[0:1], exec
	s_or_saveexec_b64 s[42:43], s[42:43]
	v_mov_b32_e32 v5, 0x7e00
	s_xor_b64 exec, exec, s[42:43]
	s_cbranch_execnz .LBB150_1000
.LBB150_982:
	s_or_b64 exec, exec, s[42:43]
	s_and_saveexec_b64 s[42:43], s[0:1]
	s_cbranch_execz .LBB150_984
.LBB150_983:
	v_lshlrev_b32_e32 v5, 24, v6
	v_and_b32_e32 v6, 0xffff, v6
	v_and_b32_e32 v7, 7, v6
	v_ffbh_u32_e32 v9, v7
	v_min_u32_e32 v9, 32, v9
	v_subrev_u32_e32 v10, 28, v9
	v_bfe_u32 v8, v6, 3, 4
	v_lshlrev_b32_e32 v6, v10, v6
	v_sub_u32_e32 v9, 29, v9
	v_and_b32_e32 v6, 7, v6
	v_cmp_eq_u32_e32 vcc, 0, v8
	v_cndmask_b32_e32 v8, v8, v9, vcc
	v_cndmask_b32_e32 v6, v7, v6, vcc
	v_mov_b32_e32 v7, 0x3b800000
	v_lshlrev_b32_e32 v6, 20, v6
	v_and_b32_e32 v5, 0x80000000, v5
	v_lshl_add_u32 v7, v8, 23, v7
	v_or3_b32 v5, v5, v7, v6
	v_cvt_f16_f32_e32 v5, v5
.LBB150_984:
	s_or_b64 exec, exec, s[42:43]
.LBB150_985:
	s_mov_b64 s[0:1], -1
	v_mov_b32_e32 v6, 0
.LBB150_986:
	s_mov_b64 s[42:43], 0
.LBB150_987:
	s_and_b64 vcc, exec, s[42:43]
	s_cbranch_vccz .LBB150_1023
; %bb.988:
	s_cmp_gt_i32 s47, 22
	s_cbranch_scc0 .LBB150_998
; %bb.989:
	s_cmp_lt_i32 s47, 24
	s_cbranch_scc1 .LBB150_1001
; %bb.990:
	s_cmp_gt_i32 s47, 24
	s_cbranch_scc0 .LBB150_1002
; %bb.991:
	global_load_ubyte v6, v[0:1], off
	s_movk_i32 s0, 0x7f
	s_waitcnt vmcnt(0)
	v_cmp_lt_i16_e32 vcc, s0, v6
	s_mov_b64 s[0:1], 0
	s_and_saveexec_b64 s[42:43], vcc
	s_xor_b64 s[42:43], exec, s[42:43]
	s_cbranch_execz .LBB150_1014
; %bb.992:
	s_movk_i32 s0, 0x80
	v_cmp_eq_u16_e32 vcc, s0, v6
	s_mov_b64 s[0:1], -1
	s_and_saveexec_b64 s[44:45], vcc
; %bb.993:
	s_xor_b64 s[0:1], exec, -1
; %bb.994:
	s_or_b64 exec, exec, s[44:45]
	s_and_b64 s[0:1], s[0:1], exec
	s_or_saveexec_b64 s[42:43], s[42:43]
	v_mov_b32_e32 v5, 0x7e00
	s_xor_b64 exec, exec, s[42:43]
	s_cbranch_execnz .LBB150_1015
.LBB150_995:
	s_or_b64 exec, exec, s[42:43]
	s_and_saveexec_b64 s[42:43], s[0:1]
	s_cbranch_execz .LBB150_997
.LBB150_996:
	v_lshlrev_b32_e32 v5, 24, v6
	v_and_b32_e32 v6, 0xffff, v6
	v_and_b32_e32 v7, 3, v6
	v_ffbh_u32_e32 v9, v7
	v_min_u32_e32 v9, 32, v9
	v_subrev_u32_e32 v10, 29, v9
	v_bfe_u32 v8, v6, 2, 5
	v_lshlrev_b32_e32 v6, v10, v6
	v_sub_u32_e32 v9, 30, v9
	v_and_b32_e32 v6, 3, v6
	v_cmp_eq_u32_e32 vcc, 0, v8
	v_cndmask_b32_e32 v8, v8, v9, vcc
	v_cndmask_b32_e32 v6, v7, v6, vcc
	v_mov_b32_e32 v7, 0x37800000
	v_lshlrev_b32_e32 v6, 21, v6
	v_and_b32_e32 v5, 0x80000000, v5
	v_lshl_add_u32 v7, v8, 23, v7
	v_or3_b32 v5, v5, v7, v6
	v_cvt_f16_f32_e32 v5, v5
.LBB150_997:
	s_or_b64 exec, exec, s[42:43]
	s_mov_b64 s[0:1], 0
	s_branch .LBB150_1003
.LBB150_998:
	s_mov_b64 s[42:43], -1
                                        ; implicit-def: $vgpr5
	s_branch .LBB150_1009
.LBB150_999:
	s_or_saveexec_b64 s[42:43], s[42:43]
	v_mov_b32_e32 v5, 0x7e00
	s_xor_b64 exec, exec, s[42:43]
	s_cbranch_execz .LBB150_982
.LBB150_1000:
	v_cmp_ne_u16_e32 vcc, 0, v6
	s_andn2_b64 s[0:1], s[0:1], exec
	s_and_b64 s[44:45], vcc, exec
	s_or_b64 s[0:1], s[0:1], s[44:45]
	v_mov_b32_e32 v5, v6
	s_or_b64 exec, exec, s[42:43]
	s_and_saveexec_b64 s[42:43], s[0:1]
	s_cbranch_execnz .LBB150_983
	s_branch .LBB150_984
.LBB150_1001:
	s_mov_b64 s[0:1], -1
                                        ; implicit-def: $vgpr5
	s_branch .LBB150_1006
.LBB150_1002:
	s_mov_b64 s[0:1], -1
                                        ; implicit-def: $vgpr5
.LBB150_1003:
	s_and_b64 vcc, exec, s[0:1]
	s_cbranch_vccz .LBB150_1005
; %bb.1004:
	global_load_ubyte v5, v[0:1], off
	s_mov_b32 s0, 0x7f800000
	s_waitcnt vmcnt(0)
	v_lshlrev_b32_e32 v5, 24, v5
	v_and_b32_e32 v6, 0x7f000000, v5
	v_ffbh_u32_e32 v7, v6
	v_min_u32_e32 v7, 32, v7
	v_sub_u32_e64 v7, v7, 4 clamp
	v_lshlrev_b32_e32 v9, v7, v6
	v_lshlrev_b32_e32 v7, 23, v7
	v_lshrrev_b32_e32 v9, 4, v9
	v_add_u32_e32 v8, 0x1000000, v6
	v_sub_u32_e32 v7, v9, v7
	v_ashrrev_i32_e32 v8, 8, v8
	v_add_u32_e32 v7, 0x3c000000, v7
	v_and_or_b32 v7, v8, s0, v7
	v_cmp_ne_u32_e32 vcc, 0, v6
	v_cndmask_b32_e32 v6, 0, v7, vcc
	s_brev_b32 s0, 1
	v_and_or_b32 v5, v5, s0, v6
	v_cvt_f16_f32_e32 v5, v5
.LBB150_1005:
	s_mov_b64 s[0:1], 0
.LBB150_1006:
	s_andn2_b64 vcc, exec, s[0:1]
	s_cbranch_vccnz .LBB150_1008
; %bb.1007:
	global_load_ubyte v5, v[0:1], off
	s_movk_i32 s0, 0x7f00
	s_brev_b32 s1, 16
	s_waitcnt vmcnt(0)
	v_lshlrev_b16_e32 v6, 8, v5
	v_lshlrev_b32_e32 v5, 25, v5
	v_lshrrev_b32_e32 v7, 4, v5
	v_and_or_b32 v8, v6, s0, 0.5
	v_or_b32_e32 v7, 0x70000000, v7
	v_add_f32_e32 v8, -0.5, v8
	v_mul_f32_e32 v7, 0x7800000, v7
	v_cmp_gt_u32_e32 vcc, s1, v5
	v_bfe_i32 v6, v6, 0, 16
	v_cndmask_b32_e32 v5, v7, v8, vcc
	s_brev_b32 s0, 1
	v_and_or_b32 v5, v6, s0, v5
	v_cvt_f16_f32_e32 v5, v5
.LBB150_1008:
	s_mov_b64 s[42:43], 0
	s_mov_b64 s[0:1], -1
.LBB150_1009:
	s_andn2_b64 vcc, exec, s[42:43]
	s_cbranch_vccnz .LBB150_1022
; %bb.1010:
	s_cmp_gt_i32 s47, 14
	s_cbranch_scc0 .LBB150_1013
; %bb.1011:
	s_cmp_eq_u32 s47, 15
	s_cbranch_scc0 .LBB150_1016
; %bb.1012:
	global_load_ushort v5, v[0:1], off
	s_mov_b64 s[0:1], -1
	s_mov_b64 s[40:41], 0
	s_waitcnt vmcnt(0)
	v_lshlrev_b32_e32 v5, 16, v5
	v_cvt_f16_f32_e32 v5, v5
	s_branch .LBB150_1017
.LBB150_1013:
	s_mov_b64 s[42:43], -1
                                        ; implicit-def: $vgpr5
	s_branch .LBB150_1018
.LBB150_1014:
	s_or_saveexec_b64 s[42:43], s[42:43]
	v_mov_b32_e32 v5, 0x7e00
	s_xor_b64 exec, exec, s[42:43]
	s_cbranch_execz .LBB150_995
.LBB150_1015:
	v_cmp_ne_u16_e32 vcc, 0, v6
	s_andn2_b64 s[0:1], s[0:1], exec
	s_and_b64 s[44:45], vcc, exec
	s_or_b64 s[0:1], s[0:1], s[44:45]
	v_mov_b32_e32 v5, v6
	s_or_b64 exec, exec, s[42:43]
	s_and_saveexec_b64 s[42:43], s[0:1]
	s_cbranch_execnz .LBB150_996
	s_branch .LBB150_997
.LBB150_1016:
	s_mov_b64 s[40:41], -1
                                        ; implicit-def: $vgpr5
.LBB150_1017:
	s_mov_b64 s[42:43], 0
.LBB150_1018:
	s_and_b64 vcc, exec, s[42:43]
	s_cbranch_vccz .LBB150_1022
; %bb.1019:
	s_cmp_eq_u32 s47, 11
	s_cbranch_scc0 .LBB150_1021
; %bb.1020:
	global_load_ubyte v5, v[0:1], off
	v_mov_b32_e32 v6, 0x3c00
	s_mov_b64 s[0:1], -1
	s_mov_b64 s[40:41], 0
	s_waitcnt vmcnt(0)
	v_cmp_ne_u16_e32 vcc, 0, v5
	v_cndmask_b32_e32 v5, 0, v6, vcc
	s_branch .LBB150_1022
.LBB150_1021:
	s_mov_b64 s[40:41], -1
                                        ; implicit-def: $vgpr5
.LBB150_1022:
	v_mov_b32_e32 v6, 0
.LBB150_1023:
	s_mov_b64 s[42:43], 0
.LBB150_1024:
	s_and_b64 vcc, exec, s[42:43]
	s_cbranch_vccz .LBB150_1075
; %bb.1025:
	s_and_b32 s42, 0xffff, s46
	s_cmp_lt_i32 s42, 5
	s_cbranch_scc1 .LBB150_1030
; %bb.1026:
	s_cmp_lt_i32 s42, 8
	s_cbranch_scc1 .LBB150_1031
; %bb.1027:
	;; [unrolled: 3-line block ×3, first 2 shown]
	s_cmp_gt_i32 s42, 9
	s_cbranch_scc0 .LBB150_1033
; %bb.1029:
	global_load_dwordx4 v[5:8], v[0:1], off
	s_movk_i32 s0, 0x1ff
	s_movk_i32 s1, 0xffe
	v_mov_b32_e32 v9, 0x7c00
	v_mov_b32_e32 v10, 0x7e00
	s_movk_i32 s43, 0x40f
	s_mov_b32 s44, 0x8000
	s_waitcnt vmcnt(0)
	v_and_or_b32 v5, v6, s0, v5
	v_and_or_b32 v7, v8, s0, v7
	v_cmp_ne_u32_e32 vcc, 0, v5
	v_lshrrev_b32_e32 v11, 8, v6
	v_cndmask_b32_e64 v5, 0, 1, vcc
	v_cmp_ne_u32_e32 vcc, 0, v7
	v_bfe_u32 v12, v6, 20, 11
	v_lshrrev_b32_e32 v13, 8, v8
	v_bfe_u32 v14, v8, 20, 11
	v_cndmask_b32_e64 v7, 0, 1, vcc
	v_and_or_b32 v5, v11, s1, v5
	v_sub_u32_e32 v15, 0x3f1, v12
	v_add_u32_e32 v12, 0xfffffc10, v12
	v_sub_u32_e32 v16, 0x3f1, v14
	v_and_or_b32 v7, v13, s1, v7
	v_cmp_ne_u32_e32 vcc, 0, v5
	v_add_u32_e32 v14, 0xfffffc10, v14
	v_med3_i32 v11, v15, 0, 13
	v_med3_i32 v13, v16, 0, 13
	v_or_b32_e32 v15, 0x1000, v5
	v_lshl_or_b32 v16, v12, 12, v5
	v_cndmask_b32_e32 v5, v9, v10, vcc
	v_cmp_ne_u32_e32 vcc, 0, v7
	v_or_b32_e32 v17, 0x1000, v7
	v_lshl_or_b32 v18, v14, 12, v7
	v_cndmask_b32_e32 v7, v9, v10, vcc
	v_lshrrev_b32_e32 v10, v11, v15
	v_lshrrev_b32_e32 v19, v13, v17
	v_lshlrev_b32_e32 v11, v11, v10
	v_lshlrev_b32_e32 v13, v13, v19
	v_cmp_ne_u32_e32 vcc, v11, v15
	v_cndmask_b32_e64 v11, 0, 1, vcc
	v_cmp_ne_u32_e32 vcc, v13, v17
	v_cndmask_b32_e64 v13, 0, 1, vcc
	v_or_b32_e32 v10, v10, v11
	v_cmp_gt_i32_e32 vcc, 1, v12
	v_cndmask_b32_e32 v10, v16, v10, vcc
	v_or_b32_e32 v11, v19, v13
	v_cmp_gt_i32_e32 vcc, 1, v14
	v_and_b32_e32 v13, 7, v10
	v_cndmask_b32_e32 v11, v18, v11, vcc
	v_cmp_lt_i32_e32 vcc, 5, v13
	v_and_b32_e32 v15, 7, v11
	v_cndmask_b32_e64 v16, 0, 1, vcc
	v_cmp_eq_u32_e32 vcc, 3, v13
	v_cndmask_b32_e64 v13, 0, 1, vcc
	v_cmp_lt_i32_e32 vcc, 5, v15
	v_cndmask_b32_e64 v17, 0, 1, vcc
	v_cmp_eq_u32_e32 vcc, 3, v15
	v_lshrrev_b32_e32 v10, 2, v10
	v_cndmask_b32_e64 v15, 0, 1, vcc
	v_or_b32_e32 v13, v13, v16
	v_lshrrev_b32_e32 v11, 2, v11
	v_or_b32_e32 v15, v15, v17
	v_add_u32_e32 v10, v10, v13
	v_cmp_gt_i32_e32 vcc, 31, v12
	v_add_u32_e32 v11, v11, v15
	v_cndmask_b32_e32 v10, v9, v10, vcc
	v_cmp_gt_i32_e32 vcc, 31, v14
	v_cndmask_b32_e32 v9, v9, v11, vcc
	v_cmp_eq_u32_e32 vcc, s43, v12
	v_cndmask_b32_e32 v5, v10, v5, vcc
	v_cmp_eq_u32_e32 vcc, s43, v14
	v_lshrrev_b32_e32 v6, 16, v6
	v_lshrrev_b32_e32 v8, 16, v8
	v_cndmask_b32_e32 v7, v9, v7, vcc
	v_and_or_b32 v5, v6, s44, v5
	v_and_or_b32 v6, v8, s44, v7
	s_mov_b64 s[0:1], 0
	s_branch .LBB150_1034
.LBB150_1030:
	s_mov_b64 s[0:1], -1
                                        ; implicit-def: $vgpr6
                                        ; implicit-def: $vgpr5
	s_branch .LBB150_1053
.LBB150_1031:
	s_mov_b64 s[0:1], -1
                                        ; implicit-def: $vgpr6
                                        ; implicit-def: $vgpr5
	s_branch .LBB150_1040
.LBB150_1032:
	s_mov_b64 s[0:1], -1
                                        ; implicit-def: $vgpr6
                                        ; implicit-def: $vgpr5
	s_branch .LBB150_1037
.LBB150_1033:
	s_mov_b64 s[0:1], -1
                                        ; implicit-def: $vgpr6
                                        ; implicit-def: $vgpr5
.LBB150_1034:
	s_andn2_b64 vcc, exec, s[0:1]
	s_cbranch_vccnz .LBB150_1036
; %bb.1035:
	global_load_dwordx2 v[5:6], v[0:1], off
	s_waitcnt vmcnt(0)
	v_cvt_f16_f32_e32 v5, v5
	v_cvt_f16_f32_e32 v6, v6
.LBB150_1036:
	s_mov_b64 s[0:1], 0
.LBB150_1037:
	s_andn2_b64 vcc, exec, s[0:1]
	s_cbranch_vccnz .LBB150_1039
; %bb.1038:
	global_load_dword v5, v[0:1], off
	s_waitcnt vmcnt(0)
	v_lshrrev_b32_e32 v6, 16, v5
.LBB150_1039:
	s_mov_b64 s[0:1], 0
.LBB150_1040:
	s_andn2_b64 vcc, exec, s[0:1]
	s_cbranch_vccnz .LBB150_1052
; %bb.1041:
	s_cmp_lt_i32 s42, 6
	s_cbranch_scc1 .LBB150_1044
; %bb.1042:
	s_cmp_gt_i32 s42, 6
	s_cbranch_scc0 .LBB150_1045
; %bb.1043:
	global_load_dwordx2 v[5:6], v[0:1], off
	s_movk_i32 s0, 0x1ff
	s_movk_i32 s1, 0xffe
	v_mov_b32_e32 v7, 0x7c00
	v_mov_b32_e32 v8, 0x7e00
	s_movk_i32 s43, 0x40f
	s_mov_b32 s44, 0x8000
	s_waitcnt vmcnt(0)
	v_and_or_b32 v5, v6, s0, v5
	v_cmp_ne_u32_e32 vcc, 0, v5
	v_lshrrev_b32_e32 v9, 8, v6
	v_bfe_u32 v10, v6, 20, 11
	v_cndmask_b32_e64 v5, 0, 1, vcc
	v_sub_u32_e32 v11, 0x3f1, v10
	v_and_or_b32 v5, v9, s1, v5
	v_add_u32_e32 v10, 0xfffffc10, v10
	v_med3_i32 v9, v11, 0, 13
	v_or_b32_e32 v11, 0x1000, v5
	v_cmp_ne_u32_e32 vcc, 0, v5
	v_lshl_or_b32 v12, v10, 12, v5
	v_cndmask_b32_e32 v5, v7, v8, vcc
	v_lshrrev_b32_e32 v8, v9, v11
	v_lshlrev_b32_e32 v9, v9, v8
	v_cmp_ne_u32_e32 vcc, v9, v11
	v_cndmask_b32_e64 v9, 0, 1, vcc
	v_or_b32_e32 v8, v8, v9
	v_cmp_gt_i32_e32 vcc, 1, v10
	v_cndmask_b32_e32 v8, v12, v8, vcc
	v_and_b32_e32 v9, 7, v8
	v_cmp_lt_i32_e32 vcc, 5, v9
	v_cndmask_b32_e64 v11, 0, 1, vcc
	v_cmp_eq_u32_e32 vcc, 3, v9
	v_cndmask_b32_e64 v9, 0, 1, vcc
	v_lshrrev_b32_e32 v8, 2, v8
	v_or_b32_e32 v9, v9, v11
	v_add_u32_e32 v8, v8, v9
	v_cmp_gt_i32_e32 vcc, 31, v10
	v_cndmask_b32_e32 v7, v7, v8, vcc
	v_cmp_eq_u32_e32 vcc, s43, v10
	v_lshrrev_b32_e32 v6, 16, v6
	v_cndmask_b32_e32 v5, v7, v5, vcc
	v_and_or_b32 v5, v6, s44, v5
	s_mov_b64 s[0:1], 0
	s_branch .LBB150_1046
.LBB150_1044:
	s_mov_b64 s[0:1], -1
                                        ; implicit-def: $vgpr5
	s_branch .LBB150_1049
.LBB150_1045:
	s_mov_b64 s[0:1], -1
                                        ; implicit-def: $vgpr5
.LBB150_1046:
	s_andn2_b64 vcc, exec, s[0:1]
	s_cbranch_vccnz .LBB150_1048
; %bb.1047:
	global_load_dword v5, v[0:1], off
	s_waitcnt vmcnt(0)
	v_cvt_f16_f32_e32 v5, v5
.LBB150_1048:
	s_mov_b64 s[0:1], 0
.LBB150_1049:
	s_andn2_b64 vcc, exec, s[0:1]
	s_cbranch_vccnz .LBB150_1051
; %bb.1050:
	global_load_ushort v5, v[0:1], off
.LBB150_1051:
	v_mov_b32_e32 v6, 0
.LBB150_1052:
	s_mov_b64 s[0:1], 0
.LBB150_1053:
	s_andn2_b64 vcc, exec, s[0:1]
	s_cbranch_vccnz .LBB150_1074
; %bb.1054:
	s_cmp_lt_i32 s42, 2
	s_cbranch_scc1 .LBB150_1058
; %bb.1055:
	s_cmp_lt_i32 s42, 3
	s_cbranch_scc1 .LBB150_1059
; %bb.1056:
	s_cmp_gt_i32 s42, 3
	s_cbranch_scc0 .LBB150_1060
; %bb.1057:
	global_load_dwordx2 v[5:6], v[0:1], off
	s_mov_b64 s[0:1], 0
	s_waitcnt vmcnt(0)
	v_xor_b32_e32 v8, v5, v6
	v_ffbh_i32_e32 v7, v6
	v_ashrrev_i32_e32 v8, 31, v8
	v_add_u32_e32 v7, -1, v7
	v_add_u32_e32 v8, 32, v8
	v_min_u32_e32 v7, v7, v8
	v_lshlrev_b64 v[5:6], v7, v[5:6]
	v_min_u32_e32 v5, 1, v5
	v_or_b32_e32 v5, v6, v5
	v_cvt_f32_i32_e32 v5, v5
	v_sub_u32_e32 v6, 32, v7
	v_ldexp_f32 v5, v5, v6
	v_cvt_f16_f32_e32 v5, v5
	s_branch .LBB150_1061
.LBB150_1058:
	s_mov_b64 s[0:1], -1
                                        ; implicit-def: $vgpr5
	s_branch .LBB150_1067
.LBB150_1059:
	s_mov_b64 s[0:1], -1
                                        ; implicit-def: $vgpr5
	s_branch .LBB150_1064
.LBB150_1060:
	s_mov_b64 s[0:1], -1
                                        ; implicit-def: $vgpr5
.LBB150_1061:
	s_andn2_b64 vcc, exec, s[0:1]
	s_cbranch_vccnz .LBB150_1063
; %bb.1062:
	global_load_dword v5, v[0:1], off
	s_waitcnt vmcnt(0)
	v_cvt_f32_i32_e32 v5, v5
	v_cvt_f16_f32_e32 v5, v5
.LBB150_1063:
	s_mov_b64 s[0:1], 0
.LBB150_1064:
	s_andn2_b64 vcc, exec, s[0:1]
	s_cbranch_vccnz .LBB150_1066
; %bb.1065:
	global_load_ushort v5, v[0:1], off
	s_waitcnt vmcnt(0)
	v_cvt_f16_i16_e32 v5, v5
.LBB150_1066:
	s_mov_b64 s[0:1], 0
.LBB150_1067:
	s_andn2_b64 vcc, exec, s[0:1]
	s_cbranch_vccnz .LBB150_1073
; %bb.1068:
	s_cmp_gt_i32 s42, 0
	s_cbranch_scc0 .LBB150_1070
; %bb.1069:
	global_load_sbyte v5, v[0:1], off
	s_mov_b64 s[0:1], 0
	s_waitcnt vmcnt(0)
	v_cvt_f16_i16_e32 v5, v5
	s_branch .LBB150_1071
.LBB150_1070:
	s_mov_b64 s[0:1], -1
                                        ; implicit-def: $vgpr5
.LBB150_1071:
	s_andn2_b64 vcc, exec, s[0:1]
	s_cbranch_vccnz .LBB150_1073
; %bb.1072:
	global_load_ubyte v0, v[0:1], off
	s_waitcnt vmcnt(0)
	v_cvt_f16_u16_e32 v5, v0
.LBB150_1073:
	v_mov_b32_e32 v6, 0
.LBB150_1074:
	s_mov_b64 s[0:1], -1
.LBB150_1075:
	s_andn2_b64 vcc, exec, s[0:1]
	s_cbranch_vccnz .LBB150_1078
; %bb.1076:
	s_andn2_b64 vcc, exec, s[16:17]
	s_cbranch_vccnz .LBB150_1079
; %bb.1077:
	s_waitcnt vmcnt(0)
	v_cmp_neq_f16_e32 vcc, v3, v5
	v_cmp_neq_f16_e64 s[0:1], v4, v6
	s_or_b64 s[42:43], vcc, s[0:1]
	s_mov_b64 s[0:1], 0
	s_branch .LBB150_1080
.LBB150_1078:
	s_mov_b64 s[44:45], 0
                                        ; implicit-def: $vgpr2
	s_mov_b64 s[0:1], s[30:31]
	s_branch .LBB150_1204
.LBB150_1079:
	s_mov_b64 s[0:1], -1
                                        ; implicit-def: $sgpr42_sgpr43
.LBB150_1080:
	s_andn2_b64 vcc, exec, s[0:1]
	s_cbranch_vccnz .LBB150_1082
; %bb.1081:
	s_waitcnt vmcnt(0)
	v_cmp_eq_f16_e32 vcc, v3, v5
	v_cmp_eq_f16_e64 s[0:1], v4, v6
	s_and_b64 s[0:1], vcc, s[0:1]
	s_andn2_b64 s[42:43], s[42:43], exec
	s_and_b64 s[0:1], s[0:1], exec
	s_or_b64 s[42:43], s[42:43], s[0:1]
.LBB150_1082:
	v_mul_lo_u32 v0, v2, s12
	v_mov_b32_e32 v1, s9
	s_and_b32 s51, s33, 0xff
	s_cmp_lt_i32 s51, 11
	s_waitcnt vmcnt(0)
	v_ashrrev_i32_e32 v3, 31, v0
	v_add_co_u32_e32 v0, vcc, s8, v0
	v_addc_co_u32_e32 v1, vcc, v1, v3, vcc
	s_cbranch_scc1 .LBB150_1089
; %bb.1083:
	s_and_b32 s52, 0xffff, s51
	s_cmp_gt_i32 s52, 25
	s_cbranch_scc0 .LBB150_1090
; %bb.1084:
	s_cmp_gt_i32 s52, 28
	s_cbranch_scc0 .LBB150_1091
; %bb.1085:
	;; [unrolled: 3-line block ×4, first 2 shown]
	s_mov_b64 s[46:47], 0
	s_mov_b64 s[0:1], -1
	s_cmp_eq_u32 s52, 46
	s_mov_b64 s[44:45], 0
	s_cbranch_scc0 .LBB150_1094
; %bb.1088:
	v_cndmask_b32_e64 v3, 0, 1.0, s[42:43]
	v_bfe_u32 v4, v3, 16, 1
	s_movk_i32 s0, 0x7fff
	v_add3_u32 v3, v3, v4, s0
	v_lshrrev_b32_e32 v3, 16, v3
	global_store_dword v[0:1], v3, off
	s_mov_b64 s[44:45], -1
	s_mov_b64 s[0:1], 0
	s_branch .LBB150_1094
.LBB150_1089:
	s_mov_b64 s[46:47], -1
	s_mov_b64 s[44:45], 0
	s_mov_b64 s[0:1], s[30:31]
	s_branch .LBB150_1163
.LBB150_1090:
	s_mov_b64 s[46:47], -1
	s_mov_b64 s[44:45], 0
	s_mov_b64 s[0:1], s[30:31]
	s_branch .LBB150_1121
.LBB150_1091:
	s_mov_b64 s[46:47], -1
	s_mov_b64 s[44:45], 0
	s_mov_b64 s[0:1], s[30:31]
	s_branch .LBB150_1104
.LBB150_1092:
	s_mov_b64 s[46:47], -1
	s_mov_b64 s[44:45], 0
	s_mov_b64 s[0:1], s[30:31]
	s_branch .LBB150_1100
.LBB150_1093:
	s_mov_b64 s[46:47], -1
	s_mov_b64 s[44:45], 0
	s_mov_b64 s[0:1], s[30:31]
.LBB150_1094:
	s_and_b64 vcc, exec, s[46:47]
	s_cbranch_vccz .LBB150_1099
; %bb.1095:
	s_cmp_eq_u32 s52, 44
	s_mov_b64 s[0:1], -1
	s_cbranch_scc0 .LBB150_1099
; %bb.1096:
	v_cndmask_b32_e64 v4, 0, 1.0, s[42:43]
	v_lshrrev_b32_e32 v3, 23, v4
	s_movk_i32 s0, 0xff
	v_cmp_ne_u32_e32 vcc, s0, v3
	v_mov_b32_e32 v5, 0xff
	s_and_saveexec_b64 s[44:45], vcc
; %bb.1097:
	s_mov_b32 s0, 0x3fffff
	v_and_b32_e32 v5, 0x400000, v4
	v_and_or_b32 v4, v4, s0, v3
	v_cmp_ne_u32_e32 vcc, 0, v5
	v_cmp_ne_u32_e64 s[0:1], 0, v4
	s_and_b64 s[0:1], vcc, s[0:1]
	v_cndmask_b32_e64 v4, 0, 1, s[0:1]
	v_add_u32_e32 v5, v3, v4
; %bb.1098:
	s_or_b64 exec, exec, s[44:45]
	s_mov_b64 s[44:45], -1
	s_mov_b64 s[0:1], 0
	global_store_byte v[0:1], v5, off
.LBB150_1099:
	s_mov_b64 s[46:47], 0
.LBB150_1100:
	s_and_b64 vcc, exec, s[46:47]
	s_cbranch_vccz .LBB150_1103
; %bb.1101:
	s_cmp_eq_u32 s52, 29
	s_mov_b64 s[0:1], -1
	s_cbranch_scc0 .LBB150_1103
; %bb.1102:
	s_mov_b32 s0, 0
	v_cndmask_b32_e64 v3, 0, 1, s[42:43]
	v_mov_b32_e32 v4, s0
	global_store_dwordx2 v[0:1], v[3:4], off
	s_mov_b64 s[44:45], -1
	s_mov_b64 s[0:1], 0
.LBB150_1103:
	s_mov_b64 s[46:47], 0
.LBB150_1104:
	s_and_b64 vcc, exec, s[46:47]
	s_cbranch_vccz .LBB150_1120
; %bb.1105:
	s_cmp_lt_i32 s52, 27
	s_mov_b64 s[44:45], -1
	s_cbranch_scc1 .LBB150_1111
; %bb.1106:
	s_cmp_gt_i32 s52, 27
	s_cbranch_scc0 .LBB150_1108
; %bb.1107:
	v_cndmask_b32_e64 v3, 0, 1, s[42:43]
	s_mov_b64 s[44:45], 0
	global_store_dword v[0:1], v3, off
.LBB150_1108:
	s_andn2_b64 vcc, exec, s[44:45]
	s_cbranch_vccnz .LBB150_1110
; %bb.1109:
	v_cndmask_b32_e64 v3, 0, 1, s[42:43]
	global_store_short v[0:1], v3, off
.LBB150_1110:
	s_mov_b64 s[44:45], 0
.LBB150_1111:
	s_andn2_b64 vcc, exec, s[44:45]
	s_cbranch_vccnz .LBB150_1119
; %bb.1112:
	v_cndmask_b32_e64 v4, 0, 1.0, s[42:43]
	s_mov_b32 s44, 0x43800000
	v_cmp_gt_u32_e32 vcc, s44, v4
	v_mov_b32_e32 v5, 0x80
	s_and_saveexec_b64 s[44:45], vcc
	s_cbranch_execz .LBB150_1118
; %bb.1113:
	s_mov_b32 s46, 0x3bffffff
	v_cmp_lt_u32_e32 vcc, s46, v4
	s_mov_b64 s[46:47], 0
                                        ; implicit-def: $vgpr3
	s_and_saveexec_b64 s[48:49], vcc
	s_xor_b64 s[48:49], exec, s[48:49]
	s_cbranch_execz .LBB150_1220
; %bb.1114:
	v_bfe_u32 v3, v4, 20, 1
	s_mov_b32 s53, 0x487ffff
	v_add3_u32 v3, v4, v3, s53
	s_mov_b64 s[46:47], exec
	v_lshrrev_b32_e32 v3, 20, v3
                                        ; implicit-def: $vgpr4
	s_andn2_saveexec_b64 s[48:49], s[48:49]
	s_cbranch_execnz .LBB150_1221
.LBB150_1115:
	s_or_b64 exec, exec, s[48:49]
	v_mov_b32_e32 v5, 0
	s_and_saveexec_b64 s[48:49], s[46:47]
.LBB150_1116:
	v_mov_b32_e32 v5, v3
.LBB150_1117:
	s_or_b64 exec, exec, s[48:49]
.LBB150_1118:
	s_or_b64 exec, exec, s[44:45]
	global_store_byte v[0:1], v5, off
.LBB150_1119:
	s_mov_b64 s[44:45], -1
.LBB150_1120:
	s_mov_b64 s[46:47], 0
.LBB150_1121:
	s_and_b64 vcc, exec, s[46:47]
	s_cbranch_vccz .LBB150_1162
; %bb.1122:
	s_cmp_gt_i32 s52, 22
	s_mov_b64 s[46:47], -1
	s_cbranch_scc0 .LBB150_1154
; %bb.1123:
	s_cmp_lt_i32 s52, 24
	s_mov_b64 s[44:45], -1
	s_cbranch_scc1 .LBB150_1143
; %bb.1124:
	s_cmp_gt_i32 s52, 24
	s_cbranch_scc0 .LBB150_1132
; %bb.1125:
	v_cndmask_b32_e64 v4, 0, 1.0, s[42:43]
	s_mov_b32 s44, 0x47800000
	v_cmp_gt_u32_e32 vcc, s44, v4
	v_mov_b32_e32 v5, 0x80
	s_and_saveexec_b64 s[44:45], vcc
	s_cbranch_execz .LBB150_1131
; %bb.1126:
	s_mov_b32 s46, 0x37ffffff
	v_cmp_lt_u32_e32 vcc, s46, v4
	s_mov_b64 s[46:47], 0
                                        ; implicit-def: $vgpr3
	s_and_saveexec_b64 s[48:49], vcc
	s_xor_b64 s[48:49], exec, s[48:49]
	s_cbranch_execz .LBB150_2290
; %bb.1127:
	v_bfe_u32 v3, v4, 21, 1
	s_mov_b32 s53, 0x88fffff
	v_add3_u32 v3, v4, v3, s53
	s_mov_b64 s[46:47], exec
	v_lshrrev_b32_e32 v3, 21, v3
                                        ; implicit-def: $vgpr4
	s_andn2_saveexec_b64 s[48:49], s[48:49]
	s_cbranch_execnz .LBB150_2291
.LBB150_1128:
	s_or_b64 exec, exec, s[48:49]
	v_mov_b32_e32 v5, 0
	s_and_saveexec_b64 s[48:49], s[46:47]
.LBB150_1129:
	v_mov_b32_e32 v5, v3
.LBB150_1130:
	s_or_b64 exec, exec, s[48:49]
.LBB150_1131:
	s_or_b64 exec, exec, s[44:45]
	s_mov_b64 s[44:45], 0
	global_store_byte v[0:1], v5, off
.LBB150_1132:
	s_and_b64 vcc, exec, s[44:45]
	s_cbranch_vccz .LBB150_1142
; %bb.1133:
	v_cndmask_b32_e64 v3, 0, 1.0, s[42:43]
	s_mov_b32 s44, 0x43f00000
	v_cmp_gt_u32_e32 vcc, s44, v3
                                        ; implicit-def: $vgpr4
	s_and_saveexec_b64 s[44:45], vcc
	s_xor_b64 s[44:45], exec, s[44:45]
	s_cbranch_execz .LBB150_1139
; %bb.1134:
	s_mov_b32 s46, 0x3c7fffff
	v_cmp_lt_u32_e32 vcc, s46, v3
                                        ; implicit-def: $vgpr4
	s_and_saveexec_b64 s[46:47], vcc
	s_xor_b64 s[46:47], exec, s[46:47]
; %bb.1135:
	v_bfe_u32 v4, v3, 20, 1
	s_mov_b32 s48, 0x407ffff
	v_add3_u32 v3, v3, v4, s48
	v_lshrrev_b32_e32 v4, 20, v3
	v_and_b32_e32 v3, 0xff00000, v3
	s_mov_b32 s48, 0x7f00000
	v_mov_b32_e32 v5, 0x7e
	v_cmp_ne_u32_e32 vcc, s48, v3
	v_cndmask_b32_e32 v4, v5, v4, vcc
                                        ; implicit-def: $vgpr3
; %bb.1136:
	s_andn2_saveexec_b64 s[46:47], s[46:47]
; %bb.1137:
	v_add_f32_e32 v4, 0x46800000, v3
; %bb.1138:
	s_or_b64 exec, exec, s[46:47]
                                        ; implicit-def: $vgpr3
.LBB150_1139:
	s_andn2_saveexec_b64 s[44:45], s[44:45]
; %bb.1140:
	s_mov_b32 s46, 0x7f800000
	v_mov_b32_e32 v4, 0x7e
	v_mov_b32_e32 v5, 0x7f
	v_cmp_lt_u32_e32 vcc, s46, v3
	v_cndmask_b32_e32 v4, v4, v5, vcc
; %bb.1141:
	s_or_b64 exec, exec, s[44:45]
	global_store_byte v[0:1], v4, off
.LBB150_1142:
	s_mov_b64 s[44:45], 0
.LBB150_1143:
	s_andn2_b64 vcc, exec, s[44:45]
	s_cbranch_vccnz .LBB150_1153
; %bb.1144:
	v_cndmask_b32_e64 v3, 0, 1.0, s[42:43]
	s_mov_b32 s44, 0x47800000
	v_cmp_gt_u32_e32 vcc, s44, v3
                                        ; implicit-def: $vgpr4
	s_and_saveexec_b64 s[44:45], vcc
	s_xor_b64 s[44:45], exec, s[44:45]
	s_cbranch_execz .LBB150_1150
; %bb.1145:
	s_mov_b32 s46, 0x387fffff
	v_cmp_lt_u32_e32 vcc, s46, v3
                                        ; implicit-def: $vgpr4
	s_and_saveexec_b64 s[46:47], vcc
	s_xor_b64 s[46:47], exec, s[46:47]
; %bb.1146:
	v_bfe_u32 v4, v3, 21, 1
	s_mov_b32 s48, 0x80fffff
	v_add3_u32 v3, v3, v4, s48
	v_lshrrev_b32_e32 v4, 21, v3
                                        ; implicit-def: $vgpr3
; %bb.1147:
	s_andn2_saveexec_b64 s[46:47], s[46:47]
; %bb.1148:
	v_add_f32_e32 v4, 0x43000000, v3
; %bb.1149:
	s_or_b64 exec, exec, s[46:47]
                                        ; implicit-def: $vgpr3
.LBB150_1150:
	s_andn2_saveexec_b64 s[44:45], s[44:45]
; %bb.1151:
	s_mov_b32 s46, 0x7f800000
	v_mov_b32_e32 v4, 0x7c
	v_mov_b32_e32 v5, 0x7f
	v_cmp_lt_u32_e32 vcc, s46, v3
	v_cndmask_b32_e32 v4, v4, v5, vcc
; %bb.1152:
	s_or_b64 exec, exec, s[44:45]
	global_store_byte v[0:1], v4, off
.LBB150_1153:
	s_mov_b64 s[46:47], 0
	s_mov_b64 s[44:45], -1
.LBB150_1154:
	s_andn2_b64 vcc, exec, s[46:47]
	s_cbranch_vccnz .LBB150_1162
; %bb.1155:
	s_cmp_gt_i32 s52, 14
	s_mov_b64 s[46:47], -1
	s_cbranch_scc0 .LBB150_1159
; %bb.1156:
	s_cmp_eq_u32 s52, 15
	s_mov_b64 s[0:1], -1
	s_cbranch_scc0 .LBB150_1158
; %bb.1157:
	v_cndmask_b32_e64 v3, 0, 1.0, s[42:43]
	v_bfe_u32 v4, v3, 16, 1
	s_movk_i32 s0, 0x7fff
	v_add3_u32 v3, v3, v4, s0
	global_store_short_d16_hi v[0:1], v3, off
	s_mov_b64 s[44:45], -1
	s_mov_b64 s[0:1], 0
.LBB150_1158:
	s_mov_b64 s[46:47], 0
.LBB150_1159:
	s_and_b64 vcc, exec, s[46:47]
	s_cbranch_vccz .LBB150_1162
; %bb.1160:
	s_cmp_eq_u32 s52, 11
	s_mov_b64 s[0:1], -1
	s_cbranch_scc0 .LBB150_1162
; %bb.1161:
	v_cndmask_b32_e64 v3, 0, 1, s[42:43]
	s_mov_b64 s[44:45], -1
	s_mov_b64 s[0:1], 0
	global_store_byte v[0:1], v3, off
.LBB150_1162:
	s_mov_b64 s[46:47], 0
.LBB150_1163:
	s_and_b64 vcc, exec, s[46:47]
	s_cbranch_vccz .LBB150_1202
; %bb.1164:
	s_and_b32 s46, 0xffff, s51
	s_cmp_lt_i32 s46, 5
	s_mov_b64 s[44:45], -1
	s_cbranch_scc1 .LBB150_1185
; %bb.1165:
	s_cmp_lt_i32 s46, 8
	s_cbranch_scc1 .LBB150_1175
; %bb.1166:
	s_cmp_lt_i32 s46, 9
	s_cbranch_scc1 .LBB150_1172
; %bb.1167:
	s_cmp_gt_i32 s46, 9
	s_cbranch_scc0 .LBB150_1169
; %bb.1168:
	v_cndmask_b32_e64 v3, 0, 1, s[42:43]
	v_cvt_f64_u32_e32 v[3:4], v3
	v_mov_b32_e32 v5, 0
	v_mov_b32_e32 v6, v5
	s_mov_b64 s[44:45], 0
	global_store_dwordx4 v[0:1], v[3:6], off
.LBB150_1169:
	s_andn2_b64 vcc, exec, s[44:45]
	s_cbranch_vccnz .LBB150_1171
; %bb.1170:
	v_cndmask_b32_e64 v3, 0, 1.0, s[42:43]
	v_mov_b32_e32 v4, 0
	global_store_dwordx2 v[0:1], v[3:4], off
.LBB150_1171:
	s_mov_b64 s[44:45], 0
.LBB150_1172:
	s_andn2_b64 vcc, exec, s[44:45]
	s_cbranch_vccnz .LBB150_1174
; %bb.1173:
	v_cndmask_b32_e64 v3, 0, 1.0, s[42:43]
	v_cvt_f16_f32_e32 v3, v3
	global_store_dword v[0:1], v3, off
.LBB150_1174:
	s_mov_b64 s[44:45], 0
.LBB150_1175:
	s_andn2_b64 vcc, exec, s[44:45]
	s_cbranch_vccnz .LBB150_1184
; %bb.1176:
	s_cmp_lt_i32 s46, 6
	s_mov_b64 s[44:45], -1
	s_cbranch_scc1 .LBB150_1182
; %bb.1177:
	s_cmp_gt_i32 s46, 6
	s_cbranch_scc0 .LBB150_1179
; %bb.1178:
	v_cndmask_b32_e64 v3, 0, 1, s[42:43]
	v_cvt_f64_u32_e32 v[3:4], v3
	s_mov_b64 s[44:45], 0
	global_store_dwordx2 v[0:1], v[3:4], off
.LBB150_1179:
	s_andn2_b64 vcc, exec, s[44:45]
	s_cbranch_vccnz .LBB150_1181
; %bb.1180:
	v_cndmask_b32_e64 v3, 0, 1.0, s[42:43]
	global_store_dword v[0:1], v3, off
.LBB150_1181:
	s_mov_b64 s[44:45], 0
.LBB150_1182:
	s_andn2_b64 vcc, exec, s[44:45]
	s_cbranch_vccnz .LBB150_1184
; %bb.1183:
	v_cndmask_b32_e64 v3, 0, 1.0, s[42:43]
	v_cvt_f16_f32_e32 v3, v3
	global_store_short v[0:1], v3, off
.LBB150_1184:
	s_mov_b64 s[44:45], 0
.LBB150_1185:
	s_andn2_b64 vcc, exec, s[44:45]
	s_cbranch_vccnz .LBB150_1201
; %bb.1186:
	s_cmp_lt_i32 s46, 2
	s_mov_b64 s[44:45], -1
	s_cbranch_scc1 .LBB150_1196
; %bb.1187:
	s_cmp_lt_i32 s46, 3
	s_cbranch_scc1 .LBB150_1193
; %bb.1188:
	s_cmp_gt_i32 s46, 3
	s_cbranch_scc0 .LBB150_1190
; %bb.1189:
	s_mov_b32 s44, 0
	v_cndmask_b32_e64 v3, 0, 1, s[42:43]
	v_mov_b32_e32 v4, s44
	s_mov_b64 s[44:45], 0
	global_store_dwordx2 v[0:1], v[3:4], off
.LBB150_1190:
	s_andn2_b64 vcc, exec, s[44:45]
	s_cbranch_vccnz .LBB150_1192
; %bb.1191:
	v_cndmask_b32_e64 v3, 0, 1, s[42:43]
	global_store_dword v[0:1], v3, off
.LBB150_1192:
	s_mov_b64 s[44:45], 0
.LBB150_1193:
	s_andn2_b64 vcc, exec, s[44:45]
	s_cbranch_vccnz .LBB150_1195
; %bb.1194:
	v_cndmask_b32_e64 v3, 0, 1, s[42:43]
	global_store_short v[0:1], v3, off
.LBB150_1195:
	s_mov_b64 s[44:45], 0
.LBB150_1196:
	s_andn2_b64 vcc, exec, s[44:45]
	s_cbranch_vccnz .LBB150_1201
; %bb.1197:
	s_mov_b64 s[44:45], -1
	s_cmp_gt_i32 s46, 0
	v_cndmask_b32_e64 v3, 0, 1, s[42:43]
	s_cbranch_scc0 .LBB150_1199
; %bb.1198:
	s_mov_b64 s[44:45], 0
	global_store_byte v[0:1], v3, off
.LBB150_1199:
	s_andn2_b64 vcc, exec, s[44:45]
	s_cbranch_vccnz .LBB150_1201
; %bb.1200:
	global_store_byte v[0:1], v3, off
.LBB150_1201:
	s_mov_b64 s[44:45], -1
.LBB150_1202:
	s_andn2_b64 vcc, exec, s[44:45]
	s_cbranch_vccnz .LBB150_1215
; %bb.1203:
	v_add_u32_e32 v2, 0x80, v2
	s_mov_b64 s[44:45], -1
.LBB150_1204:
	s_andn2_b64 s[42:43], s[30:31], exec
	s_and_b64 s[0:1], s[0:1], exec
	s_or_b64 s[42:43], s[42:43], s[0:1]
	s_andn2_b64 s[0:1], s[28:29], exec
	s_and_b64 s[40:41], s[40:41], exec
	s_or_b64 s[40:41], s[0:1], s[40:41]
	;; [unrolled: 3-line block ×3, first 2 shown]
	s_orn2_b64 s[48:49], s[44:45], exec
.LBB150_1205:
	s_or_b64 exec, exec, s[36:37]
	s_mov_b64 s[44:45], 0
	s_mov_b64 s[38:39], 0
	;; [unrolled: 1-line block ×3, first 2 shown]
                                        ; implicit-def: $sgpr58
                                        ; implicit-def: $vgpr0_vgpr1
                                        ; implicit-def: $vgpr4
                                        ; implicit-def: $vgpr3
	s_and_saveexec_b64 s[36:37], s[48:49]
	s_cbranch_execz .LBB150_1292
; %bb.1206:
	v_cmp_gt_i32_e32 vcc, s50, v2
	s_mov_b64 s[48:49], 0
	s_mov_b64 s[50:51], s[0:1]
	s_mov_b64 s[52:53], 0
	s_mov_b64 s[54:55], 0
                                        ; implicit-def: $sgpr58
                                        ; implicit-def: $vgpr0_vgpr1
                                        ; implicit-def: $vgpr4
                                        ; implicit-def: $vgpr3
	s_and_saveexec_b64 s[38:39], vcc
	s_cbranch_execz .LBB150_1291
; %bb.1207:
	v_mul_lo_u32 v0, v2, s13
	v_mov_b32_e32 v1, s11
	s_and_b32 s58, s57, 0xff
	s_cmp_lt_i32 s58, 11
	s_waitcnt vmcnt(0)
	v_ashrrev_i32_e32 v3, 31, v0
	v_add_co_u32_e32 v0, vcc, s10, v0
	v_addc_co_u32_e32 v1, vcc, v1, v3, vcc
	s_cbranch_scc1 .LBB150_1214
; %bb.1208:
	s_and_b32 s54, 0xffff, s58
	s_cmp_gt_i32 s54, 25
	s_cbranch_scc0 .LBB150_1216
; %bb.1209:
	s_cmp_gt_i32 s54, 28
	s_cbranch_scc0 .LBB150_1217
; %bb.1210:
	;; [unrolled: 3-line block ×4, first 2 shown]
	s_cmp_eq_u32 s54, 46
	s_mov_b64 s[50:51], 0
	s_cbranch_scc0 .LBB150_1222
; %bb.1213:
	global_load_dword v3, v[0:1], off
	s_mov_b64 s[48:49], -1
	s_waitcnt vmcnt(0)
	v_and_b32_e32 v4, 0xffff0000, v3
	v_lshlrev_b32_e32 v3, 16, v3
	v_cvt_f16_f32_e32 v3, v3
	v_cvt_f16_f32_e32 v4, v4
	s_branch .LBB150_1224
.LBB150_1214:
	s_mov_b64 s[50:51], -1
                                        ; implicit-def: $vgpr4
                                        ; implicit-def: $vgpr3
	s_mov_b64 s[44:45], s[0:1]
	s_branch .LBB150_1290
.LBB150_1215:
	s_mov_b64 s[44:45], 0
	s_branch .LBB150_947
.LBB150_1216:
	s_mov_b64 s[50:51], -1
	s_mov_b64 s[44:45], s[0:1]
                                        ; implicit-def: $vgpr4
                                        ; implicit-def: $vgpr3
	s_branch .LBB150_1255
.LBB150_1217:
	s_mov_b64 s[50:51], -1
	s_mov_b64 s[44:45], s[0:1]
                                        ; implicit-def: $vgpr4
                                        ; implicit-def: $vgpr3
	s_branch .LBB150_1236
.LBB150_1218:
	s_mov_b64 s[50:51], -1
	s_mov_b64 s[44:45], s[0:1]
                                        ; implicit-def: $vgpr4
                                        ; implicit-def: $vgpr3
	s_branch .LBB150_1230
.LBB150_1219:
	s_mov_b64 s[50:51], -1
	s_mov_b64 s[44:45], s[0:1]
	s_branch .LBB150_1223
.LBB150_1220:
	s_andn2_saveexec_b64 s[48:49], s[48:49]
	s_cbranch_execz .LBB150_1115
.LBB150_1221:
	v_add_f32_e32 v3, 0x46000000, v4
	v_and_b32_e32 v3, 0xff, v3
	v_cmp_ne_u32_e32 vcc, 0, v3
	s_andn2_b64 s[46:47], s[46:47], exec
	s_and_b64 s[54:55], vcc, exec
	s_or_b64 s[46:47], s[46:47], s[54:55]
	s_or_b64 exec, exec, s[48:49]
	v_mov_b32_e32 v5, 0
	s_and_saveexec_b64 s[48:49], s[46:47]
	s_cbranch_execnz .LBB150_1116
	s_branch .LBB150_1117
.LBB150_1222:
	s_mov_b64 s[44:45], -1
.LBB150_1223:
                                        ; implicit-def: $vgpr4
                                        ; implicit-def: $vgpr3
.LBB150_1224:
	s_and_b64 vcc, exec, s[50:51]
	s_cbranch_vccz .LBB150_1229
; %bb.1225:
	s_cmp_eq_u32 s54, 44
	s_cbranch_scc0 .LBB150_1227
; %bb.1226:
	global_load_ubyte v3, v[0:1], off
	s_movk_i32 s48, 0xff
	v_mov_b32_e32 v5, 0x7e00
	s_mov_b64 s[44:45], 0
	s_waitcnt vmcnt(0)
	v_lshlrev_b32_e32 v4, 23, v3
	v_cvt_f16_f32_e32 v4, v4
	v_cmp_ne_u32_e32 vcc, s48, v3
	s_mov_b64 s[48:49], -1
	v_cndmask_b32_e32 v4, v5, v4, vcc
	v_cmp_ne_u32_e32 vcc, 0, v3
	v_cndmask_b32_e32 v3, 0, v4, vcc
	s_branch .LBB150_1228
.LBB150_1227:
	s_mov_b64 s[44:45], -1
                                        ; implicit-def: $vgpr3
.LBB150_1228:
	v_mov_b32_e32 v4, 0
.LBB150_1229:
	s_mov_b64 s[50:51], 0
.LBB150_1230:
	s_and_b64 vcc, exec, s[50:51]
	s_cbranch_vccz .LBB150_1235
; %bb.1231:
	s_cmp_eq_u32 s54, 29
	s_cbranch_scc0 .LBB150_1233
; %bb.1232:
	global_load_dwordx2 v[3:4], v[0:1], off
	s_mov_b64 s[44:45], 0
	s_mov_b64 s[48:49], -1
	s_waitcnt vmcnt(0)
	v_ffbh_u32_e32 v5, v4
	v_min_u32_e32 v5, 32, v5
	v_lshlrev_b64 v[3:4], v5, v[3:4]
	v_min_u32_e32 v3, 1, v3
	v_or_b32_e32 v3, v4, v3
	v_cvt_f32_u32_e32 v3, v3
	v_sub_u32_e32 v4, 32, v5
	v_ldexp_f32 v3, v3, v4
	v_cvt_f16_f32_e32 v3, v3
	s_branch .LBB150_1234
.LBB150_1233:
	s_mov_b64 s[44:45], -1
                                        ; implicit-def: $vgpr3
.LBB150_1234:
	v_mov_b32_e32 v4, 0
.LBB150_1235:
	s_mov_b64 s[50:51], 0
.LBB150_1236:
	s_and_b64 vcc, exec, s[50:51]
	s_cbranch_vccz .LBB150_1254
; %bb.1237:
	s_cmp_lt_i32 s54, 27
	s_cbranch_scc1 .LBB150_1240
; %bb.1238:
	s_cmp_gt_i32 s54, 27
	s_cbranch_scc0 .LBB150_1241
; %bb.1239:
	global_load_dword v3, v[0:1], off
	s_mov_b64 s[48:49], 0
	s_waitcnt vmcnt(0)
	v_cvt_f32_u32_e32 v3, v3
	v_cvt_f16_f32_e32 v3, v3
	s_branch .LBB150_1242
.LBB150_1240:
	s_mov_b64 s[48:49], -1
                                        ; implicit-def: $vgpr3
	s_branch .LBB150_1245
.LBB150_1241:
	s_mov_b64 s[48:49], -1
                                        ; implicit-def: $vgpr3
.LBB150_1242:
	s_andn2_b64 vcc, exec, s[48:49]
	s_cbranch_vccnz .LBB150_1244
; %bb.1243:
	global_load_ushort v3, v[0:1], off
	s_waitcnt vmcnt(0)
	v_cvt_f16_u16_e32 v3, v3
.LBB150_1244:
	s_mov_b64 s[48:49], 0
.LBB150_1245:
	s_andn2_b64 vcc, exec, s[48:49]
	s_cbranch_vccnz .LBB150_1253
; %bb.1246:
	global_load_ubyte v4, v[0:1], off
	s_movk_i32 s48, 0x7f
	s_waitcnt vmcnt(0)
	v_cmp_lt_i16_e32 vcc, s48, v4
	s_mov_b64 s[48:49], 0
	s_and_saveexec_b64 s[50:51], vcc
	s_xor_b64 s[50:51], exec, s[50:51]
	s_cbranch_execz .LBB150_1267
; %bb.1247:
	s_movk_i32 s48, 0x80
	v_cmp_eq_u16_e32 vcc, s48, v4
	s_mov_b64 s[48:49], -1
	s_and_saveexec_b64 s[52:53], vcc
; %bb.1248:
	s_xor_b64 s[48:49], exec, -1
; %bb.1249:
	s_or_b64 exec, exec, s[52:53]
	s_and_b64 s[48:49], s[48:49], exec
	s_or_saveexec_b64 s[50:51], s[50:51]
	v_mov_b32_e32 v3, 0x7e00
	s_xor_b64 exec, exec, s[50:51]
	s_cbranch_execnz .LBB150_1268
.LBB150_1250:
	s_or_b64 exec, exec, s[50:51]
	s_and_saveexec_b64 s[50:51], s[48:49]
	s_cbranch_execz .LBB150_1252
.LBB150_1251:
	v_lshlrev_b32_e32 v3, 24, v4
	v_and_b32_e32 v4, 0xffff, v4
	v_and_b32_e32 v5, 7, v4
	v_ffbh_u32_e32 v7, v5
	v_min_u32_e32 v7, 32, v7
	v_subrev_u32_e32 v8, 28, v7
	v_bfe_u32 v6, v4, 3, 4
	v_lshlrev_b32_e32 v4, v8, v4
	v_sub_u32_e32 v7, 29, v7
	v_and_b32_e32 v4, 7, v4
	v_cmp_eq_u32_e32 vcc, 0, v6
	v_cndmask_b32_e32 v6, v6, v7, vcc
	v_cndmask_b32_e32 v4, v5, v4, vcc
	v_mov_b32_e32 v5, 0x3b800000
	v_lshlrev_b32_e32 v4, 20, v4
	v_and_b32_e32 v3, 0x80000000, v3
	v_lshl_add_u32 v5, v6, 23, v5
	v_or3_b32 v3, v3, v5, v4
	v_cvt_f16_f32_e32 v3, v3
.LBB150_1252:
	s_or_b64 exec, exec, s[50:51]
.LBB150_1253:
	s_mov_b64 s[48:49], -1
	v_mov_b32_e32 v4, 0
.LBB150_1254:
	s_mov_b64 s[50:51], 0
.LBB150_1255:
	s_and_b64 vcc, exec, s[50:51]
	s_cbranch_vccz .LBB150_1289
; %bb.1256:
	s_cmp_gt_i32 s54, 22
	s_cbranch_scc0 .LBB150_1266
; %bb.1257:
	s_cmp_lt_i32 s54, 24
	s_cbranch_scc1 .LBB150_1269
; %bb.1258:
	s_cmp_gt_i32 s54, 24
	s_cbranch_scc0 .LBB150_1270
; %bb.1259:
	global_load_ubyte v4, v[0:1], off
	s_movk_i32 s46, 0x7f
	s_waitcnt vmcnt(0)
	v_cmp_lt_i16_e32 vcc, s46, v4
	s_mov_b64 s[46:47], 0
	s_and_saveexec_b64 s[48:49], vcc
	s_xor_b64 s[48:49], exec, s[48:49]
	s_cbranch_execz .LBB150_1282
; %bb.1260:
	s_movk_i32 s46, 0x80
	v_cmp_eq_u16_e32 vcc, s46, v4
	s_mov_b64 s[46:47], -1
	s_and_saveexec_b64 s[50:51], vcc
; %bb.1261:
	s_xor_b64 s[46:47], exec, -1
; %bb.1262:
	s_or_b64 exec, exec, s[50:51]
	s_and_b64 s[46:47], s[46:47], exec
	s_or_saveexec_b64 s[48:49], s[48:49]
	v_mov_b32_e32 v3, 0x7e00
	s_xor_b64 exec, exec, s[48:49]
	s_cbranch_execnz .LBB150_1283
.LBB150_1263:
	s_or_b64 exec, exec, s[48:49]
	s_and_saveexec_b64 s[48:49], s[46:47]
	s_cbranch_execz .LBB150_1265
.LBB150_1264:
	v_lshlrev_b32_e32 v3, 24, v4
	v_and_b32_e32 v4, 0xffff, v4
	v_and_b32_e32 v5, 3, v4
	v_ffbh_u32_e32 v7, v5
	v_min_u32_e32 v7, 32, v7
	v_subrev_u32_e32 v8, 29, v7
	v_bfe_u32 v6, v4, 2, 5
	v_lshlrev_b32_e32 v4, v8, v4
	v_sub_u32_e32 v7, 30, v7
	v_and_b32_e32 v4, 3, v4
	v_cmp_eq_u32_e32 vcc, 0, v6
	v_cndmask_b32_e32 v6, v6, v7, vcc
	v_cndmask_b32_e32 v4, v5, v4, vcc
	v_mov_b32_e32 v5, 0x37800000
	v_lshlrev_b32_e32 v4, 21, v4
	v_and_b32_e32 v3, 0x80000000, v3
	v_lshl_add_u32 v5, v6, 23, v5
	v_or3_b32 v3, v3, v5, v4
	v_cvt_f16_f32_e32 v3, v3
.LBB150_1265:
	s_or_b64 exec, exec, s[48:49]
	s_mov_b64 s[46:47], 0
	s_branch .LBB150_1271
.LBB150_1266:
	s_mov_b64 s[46:47], -1
                                        ; implicit-def: $vgpr3
	s_branch .LBB150_1277
.LBB150_1267:
	s_or_saveexec_b64 s[50:51], s[50:51]
	v_mov_b32_e32 v3, 0x7e00
	s_xor_b64 exec, exec, s[50:51]
	s_cbranch_execz .LBB150_1250
.LBB150_1268:
	v_cmp_ne_u16_e32 vcc, 0, v4
	s_andn2_b64 s[48:49], s[48:49], exec
	s_and_b64 s[52:53], vcc, exec
	s_or_b64 s[48:49], s[48:49], s[52:53]
	v_mov_b32_e32 v3, v4
	s_or_b64 exec, exec, s[50:51]
	s_and_saveexec_b64 s[50:51], s[48:49]
	s_cbranch_execnz .LBB150_1251
	s_branch .LBB150_1252
.LBB150_1269:
	s_mov_b64 s[46:47], -1
                                        ; implicit-def: $vgpr3
	s_branch .LBB150_1274
.LBB150_1270:
	s_mov_b64 s[46:47], -1
                                        ; implicit-def: $vgpr3
.LBB150_1271:
	s_and_b64 vcc, exec, s[46:47]
	s_cbranch_vccz .LBB150_1273
; %bb.1272:
	global_load_ubyte v3, v[0:1], off
	s_mov_b32 s46, 0x7f800000
	s_waitcnt vmcnt(0)
	v_lshlrev_b32_e32 v3, 24, v3
	v_and_b32_e32 v4, 0x7f000000, v3
	v_ffbh_u32_e32 v5, v4
	v_min_u32_e32 v5, 32, v5
	v_sub_u32_e64 v5, v5, 4 clamp
	v_lshlrev_b32_e32 v7, v5, v4
	v_lshlrev_b32_e32 v5, 23, v5
	v_lshrrev_b32_e32 v7, 4, v7
	v_add_u32_e32 v6, 0x1000000, v4
	v_sub_u32_e32 v5, v7, v5
	v_ashrrev_i32_e32 v6, 8, v6
	v_add_u32_e32 v5, 0x3c000000, v5
	v_and_or_b32 v5, v6, s46, v5
	v_cmp_ne_u32_e32 vcc, 0, v4
	v_cndmask_b32_e32 v4, 0, v5, vcc
	s_brev_b32 s46, 1
	v_and_or_b32 v3, v3, s46, v4
	v_cvt_f16_f32_e32 v3, v3
.LBB150_1273:
	s_mov_b64 s[46:47], 0
.LBB150_1274:
	s_andn2_b64 vcc, exec, s[46:47]
	s_cbranch_vccnz .LBB150_1276
; %bb.1275:
	global_load_ubyte v3, v[0:1], off
	s_movk_i32 s46, 0x7f00
	s_brev_b32 s47, 16
	s_waitcnt vmcnt(0)
	v_lshlrev_b16_e32 v4, 8, v3
	v_lshlrev_b32_e32 v3, 25, v3
	v_lshrrev_b32_e32 v5, 4, v3
	v_and_or_b32 v6, v4, s46, 0.5
	v_or_b32_e32 v5, 0x70000000, v5
	v_add_f32_e32 v6, -0.5, v6
	v_mul_f32_e32 v5, 0x7800000, v5
	v_cmp_gt_u32_e32 vcc, s47, v3
	v_bfe_i32 v4, v4, 0, 16
	v_cndmask_b32_e32 v3, v5, v6, vcc
	s_brev_b32 s46, 1
	v_and_or_b32 v3, v4, s46, v3
	v_cvt_f16_f32_e32 v3, v3
.LBB150_1276:
	s_mov_b64 s[46:47], 0
	s_mov_b64 s[48:49], -1
.LBB150_1277:
	s_andn2_b64 vcc, exec, s[46:47]
	s_mov_b64 s[46:47], 0
	s_cbranch_vccnz .LBB150_1288
; %bb.1278:
	s_cmp_gt_i32 s54, 14
	s_cbranch_scc0 .LBB150_1281
; %bb.1279:
	s_cmp_eq_u32 s54, 15
	s_cbranch_scc0 .LBB150_1284
; %bb.1280:
	global_load_ushort v3, v[0:1], off
	s_mov_b64 s[44:45], 0
	s_mov_b64 s[48:49], -1
	s_waitcnt vmcnt(0)
	v_lshlrev_b32_e32 v3, 16, v3
	v_cvt_f16_f32_e32 v3, v3
	s_branch .LBB150_1285
.LBB150_1281:
	s_mov_b64 s[50:51], -1
                                        ; implicit-def: $vgpr3
	s_branch .LBB150_1286
.LBB150_1282:
	s_or_saveexec_b64 s[48:49], s[48:49]
	v_mov_b32_e32 v3, 0x7e00
	s_xor_b64 exec, exec, s[48:49]
	s_cbranch_execz .LBB150_1263
.LBB150_1283:
	v_cmp_ne_u16_e32 vcc, 0, v4
	s_andn2_b64 s[46:47], s[46:47], exec
	s_and_b64 s[50:51], vcc, exec
	s_or_b64 s[46:47], s[46:47], s[50:51]
	v_mov_b32_e32 v3, v4
	s_or_b64 exec, exec, s[48:49]
	s_and_saveexec_b64 s[48:49], s[46:47]
	s_cbranch_execnz .LBB150_1264
	s_branch .LBB150_1265
.LBB150_1284:
	s_mov_b64 s[44:45], -1
                                        ; implicit-def: $vgpr3
.LBB150_1285:
	s_mov_b64 s[50:51], 0
.LBB150_1286:
	s_and_b64 vcc, exec, s[50:51]
	s_cbranch_vccz .LBB150_1288
; %bb.1287:
	s_cmp_lg_u32 s54, 11
	s_cselect_b64 s[50:51], -1, 0
	s_andn2_b64 s[44:45], s[44:45], exec
	s_and_b64 s[50:51], s[50:51], exec
	s_mov_b64 s[46:47], -1
	s_or_b64 s[44:45], s[44:45], s[50:51]
.LBB150_1288:
	v_mov_b32_e32 v4, 0
.LBB150_1289:
	s_mov_b64 s[50:51], 0
.LBB150_1290:
	s_and_b64 s[54:55], s[48:49], exec
	s_and_b64 s[48:49], s[46:47], exec
	s_andn2_b64 s[46:47], s[0:1], exec
	s_and_b64 s[44:45], s[44:45], exec
	s_and_b64 s[52:53], s[50:51], exec
	s_or_b64 s[50:51], s[46:47], s[44:45]
.LBB150_1291:
	s_or_b64 exec, exec, s[38:39]
	s_and_b64 s[44:45], s[48:49], exec
	s_andn2_b64 s[0:1], s[0:1], exec
	s_and_b64 s[48:49], s[50:51], exec
	s_and_b64 s[46:47], s[54:55], exec
	;; [unrolled: 1-line block ×3, first 2 shown]
	s_or_b64 s[0:1], s[0:1], s[48:49]
.LBB150_1292:
	s_or_b64 exec, exec, s[36:37]
	s_andn2_b64 s[30:31], s[30:31], exec
	s_and_b64 s[36:37], s[42:43], exec
	s_or_b64 s[30:31], s[30:31], s[36:37]
	s_andn2_b64 s[28:29], s[28:29], exec
	s_and_b64 s[36:37], s[40:41], exec
	s_andn2_b64 s[26:27], s[26:27], exec
	s_and_b64 s[0:1], s[0:1], exec
	s_or_b64 s[28:29], s[28:29], s[36:37]
	s_and_b64 s[40:41], s[46:47], exec
	s_and_b64 s[38:39], s[38:39], exec
	;; [unrolled: 1-line block ×3, first 2 shown]
	s_or_b64 s[26:27], s[26:27], s[0:1]
.LBB150_1293:
	s_or_b64 exec, exec, s[34:35]
	s_andn2_b64 s[0:1], s[18:19], exec
	s_and_b64 s[18:19], s[30:31], exec
	s_or_b64 s[18:19], s[0:1], s[18:19]
	s_andn2_b64 s[0:1], s[20:21], exec
	s_and_b64 s[20:21], s[28:29], exec
	s_or_b64 s[20:21], s[0:1], s[20:21]
	s_andn2_b64 s[0:1], s[22:23], exec
	s_and_b64 s[22:23], s[26:27], exec
	s_and_b64 s[30:31], s[40:41], exec
	;; [unrolled: 1-line block ×4, first 2 shown]
	s_or_b64 s[22:23], s[0:1], s[22:23]
	s_or_b64 exec, exec, s[24:25]
	s_mov_b64 s[24:25], 0
	s_and_saveexec_b64 s[0:1], s[22:23]
	s_cbranch_execz .LBB150_406
.LBB150_1294:
	s_mov_b64 s[24:25], exec
	s_andn2_b64 s[28:29], s[28:29], exec
	s_trap 2
	s_or_b64 exec, exec, s[0:1]
	s_and_saveexec_b64 s[0:1], s[28:29]
	s_xor_b64 s[0:1], exec, s[0:1]
	s_cbranch_execnz .LBB150_407
.LBB150_1295:
	s_or_b64 exec, exec, s[0:1]
	s_and_saveexec_b64 s[0:1], s[34:35]
	s_cbranch_execz .LBB150_1343
.LBB150_1296:
	s_sext_i32_i16 s22, s58
	s_cmp_lt_i32 s22, 5
	s_cbranch_scc1 .LBB150_1301
; %bb.1297:
	s_cmp_lt_i32 s22, 8
	s_cbranch_scc1 .LBB150_1302
; %bb.1298:
	;; [unrolled: 3-line block ×3, first 2 shown]
	s_cmp_gt_i32 s22, 9
	s_cbranch_scc0 .LBB150_1304
; %bb.1300:
	global_load_dwordx4 v[3:6], v[0:1], off
	s_movk_i32 s22, 0x1ff
	s_movk_i32 s23, 0xffe
	v_mov_b32_e32 v7, 0x7c00
	v_mov_b32_e32 v8, 0x7e00
	s_movk_i32 s26, 0x40f
	s_mov_b32 s27, 0x8000
	s_waitcnt vmcnt(0)
	v_and_or_b32 v3, v4, s22, v3
	v_and_or_b32 v5, v6, s22, v5
	v_cmp_ne_u32_e32 vcc, 0, v3
	v_lshrrev_b32_e32 v9, 8, v4
	v_cndmask_b32_e64 v3, 0, 1, vcc
	v_cmp_ne_u32_e32 vcc, 0, v5
	v_bfe_u32 v10, v4, 20, 11
	v_lshrrev_b32_e32 v11, 8, v6
	v_bfe_u32 v12, v6, 20, 11
	v_cndmask_b32_e64 v5, 0, 1, vcc
	v_and_or_b32 v3, v9, s23, v3
	v_sub_u32_e32 v13, 0x3f1, v10
	v_add_u32_e32 v10, 0xfffffc10, v10
	v_sub_u32_e32 v14, 0x3f1, v12
	v_and_or_b32 v5, v11, s23, v5
	v_cmp_ne_u32_e32 vcc, 0, v3
	v_add_u32_e32 v12, 0xfffffc10, v12
	v_med3_i32 v9, v13, 0, 13
	v_med3_i32 v11, v14, 0, 13
	v_or_b32_e32 v13, 0x1000, v3
	v_lshl_or_b32 v14, v10, 12, v3
	v_cndmask_b32_e32 v3, v7, v8, vcc
	v_cmp_ne_u32_e32 vcc, 0, v5
	v_or_b32_e32 v15, 0x1000, v5
	v_lshl_or_b32 v16, v12, 12, v5
	v_cndmask_b32_e32 v5, v7, v8, vcc
	v_lshrrev_b32_e32 v8, v9, v13
	v_lshrrev_b32_e32 v17, v11, v15
	v_lshlrev_b32_e32 v9, v9, v8
	v_lshlrev_b32_e32 v11, v11, v17
	v_cmp_ne_u32_e32 vcc, v9, v13
	v_cndmask_b32_e64 v9, 0, 1, vcc
	v_cmp_ne_u32_e32 vcc, v11, v15
	v_cndmask_b32_e64 v11, 0, 1, vcc
	v_or_b32_e32 v8, v8, v9
	v_cmp_gt_i32_e32 vcc, 1, v10
	v_cndmask_b32_e32 v8, v14, v8, vcc
	v_or_b32_e32 v9, v17, v11
	v_cmp_gt_i32_e32 vcc, 1, v12
	v_and_b32_e32 v11, 7, v8
	v_cndmask_b32_e32 v9, v16, v9, vcc
	v_cmp_lt_i32_e32 vcc, 5, v11
	v_and_b32_e32 v13, 7, v9
	v_cndmask_b32_e64 v14, 0, 1, vcc
	v_cmp_eq_u32_e32 vcc, 3, v11
	v_cndmask_b32_e64 v11, 0, 1, vcc
	v_cmp_lt_i32_e32 vcc, 5, v13
	v_cndmask_b32_e64 v15, 0, 1, vcc
	v_cmp_eq_u32_e32 vcc, 3, v13
	v_lshrrev_b32_e32 v8, 2, v8
	v_cndmask_b32_e64 v13, 0, 1, vcc
	v_or_b32_e32 v11, v11, v14
	v_lshrrev_b32_e32 v9, 2, v9
	v_or_b32_e32 v13, v13, v15
	v_add_u32_e32 v8, v8, v11
	v_cmp_gt_i32_e32 vcc, 31, v10
	v_add_u32_e32 v9, v9, v13
	v_cndmask_b32_e32 v8, v7, v8, vcc
	v_cmp_gt_i32_e32 vcc, 31, v12
	v_cndmask_b32_e32 v7, v7, v9, vcc
	v_cmp_eq_u32_e32 vcc, s26, v10
	v_cndmask_b32_e32 v3, v8, v3, vcc
	v_cmp_eq_u32_e32 vcc, s26, v12
	v_lshrrev_b32_e32 v4, 16, v4
	v_lshrrev_b32_e32 v6, 16, v6
	v_cndmask_b32_e32 v5, v7, v5, vcc
	v_and_or_b32 v3, v4, s27, v3
	v_and_or_b32 v4, v6, s27, v5
	s_mov_b64 s[22:23], 0
	s_branch .LBB150_1305
.LBB150_1301:
                                        ; implicit-def: $vgpr4
                                        ; implicit-def: $vgpr3
	s_branch .LBB150_1323
.LBB150_1302:
                                        ; implicit-def: $vgpr4
                                        ; implicit-def: $vgpr3
	s_branch .LBB150_1311
.LBB150_1303:
	s_mov_b64 s[22:23], -1
                                        ; implicit-def: $vgpr4
                                        ; implicit-def: $vgpr3
	s_branch .LBB150_1308
.LBB150_1304:
	s_mov_b64 s[22:23], -1
                                        ; implicit-def: $vgpr4
                                        ; implicit-def: $vgpr3
.LBB150_1305:
	s_andn2_b64 vcc, exec, s[22:23]
	s_cbranch_vccnz .LBB150_1307
; %bb.1306:
	global_load_dwordx2 v[3:4], v[0:1], off
	s_waitcnt vmcnt(0)
	v_cvt_f16_f32_e32 v3, v3
	v_cvt_f16_f32_e32 v4, v4
.LBB150_1307:
	s_mov_b64 s[22:23], 0
.LBB150_1308:
	s_andn2_b64 vcc, exec, s[22:23]
	s_cbranch_vccnz .LBB150_1310
; %bb.1309:
	global_load_dword v3, v[0:1], off
	s_waitcnt vmcnt(0)
	v_lshrrev_b32_e32 v4, 16, v3
.LBB150_1310:
	s_cbranch_execnz .LBB150_1322
.LBB150_1311:
	s_sext_i32_i16 s22, s58
	s_cmp_lt_i32 s22, 6
	s_cbranch_scc1 .LBB150_1314
; %bb.1312:
	s_cmp_gt_i32 s22, 6
	s_cbranch_scc0 .LBB150_1315
; %bb.1313:
	global_load_dwordx2 v[3:4], v[0:1], off
	s_movk_i32 s22, 0x1ff
	s_movk_i32 s23, 0xffe
	s_waitcnt vmcnt(1)
	v_mov_b32_e32 v5, 0x7c00
	v_mov_b32_e32 v6, 0x7e00
	s_movk_i32 s26, 0x40f
	s_mov_b32 s27, 0x8000
	s_waitcnt vmcnt(0)
	v_and_or_b32 v3, v4, s22, v3
	v_cmp_ne_u32_e32 vcc, 0, v3
	v_lshrrev_b32_e32 v7, 8, v4
	v_bfe_u32 v8, v4, 20, 11
	v_cndmask_b32_e64 v3, 0, 1, vcc
	v_sub_u32_e32 v9, 0x3f1, v8
	v_and_or_b32 v3, v7, s23, v3
	v_add_u32_e32 v8, 0xfffffc10, v8
	v_med3_i32 v7, v9, 0, 13
	v_or_b32_e32 v9, 0x1000, v3
	v_cmp_ne_u32_e32 vcc, 0, v3
	v_lshl_or_b32 v10, v8, 12, v3
	v_cndmask_b32_e32 v3, v5, v6, vcc
	v_lshrrev_b32_e32 v6, v7, v9
	v_lshlrev_b32_e32 v7, v7, v6
	v_cmp_ne_u32_e32 vcc, v7, v9
	v_cndmask_b32_e64 v7, 0, 1, vcc
	v_or_b32_e32 v6, v6, v7
	v_cmp_gt_i32_e32 vcc, 1, v8
	v_cndmask_b32_e32 v6, v10, v6, vcc
	v_and_b32_e32 v7, 7, v6
	v_cmp_lt_i32_e32 vcc, 5, v7
	v_cndmask_b32_e64 v9, 0, 1, vcc
	v_cmp_eq_u32_e32 vcc, 3, v7
	v_cndmask_b32_e64 v7, 0, 1, vcc
	v_lshrrev_b32_e32 v6, 2, v6
	v_or_b32_e32 v7, v7, v9
	v_add_u32_e32 v6, v6, v7
	v_cmp_gt_i32_e32 vcc, 31, v8
	v_cndmask_b32_e32 v5, v5, v6, vcc
	v_cmp_eq_u32_e32 vcc, s26, v8
	v_lshrrev_b32_e32 v4, 16, v4
	v_cndmask_b32_e32 v3, v5, v3, vcc
	v_and_or_b32 v3, v4, s27, v3
	s_mov_b64 s[22:23], 0
	s_branch .LBB150_1316
.LBB150_1314:
	s_mov_b64 s[22:23], -1
                                        ; implicit-def: $vgpr3
	s_branch .LBB150_1319
.LBB150_1315:
	s_mov_b64 s[22:23], -1
                                        ; implicit-def: $vgpr3
.LBB150_1316:
	s_andn2_b64 vcc, exec, s[22:23]
	s_cbranch_vccnz .LBB150_1318
; %bb.1317:
	global_load_dword v3, v[0:1], off
	s_waitcnt vmcnt(0)
	v_cvt_f16_f32_e32 v3, v3
.LBB150_1318:
	s_mov_b64 s[22:23], 0
.LBB150_1319:
	s_andn2_b64 vcc, exec, s[22:23]
	s_cbranch_vccnz .LBB150_1321
; %bb.1320:
	global_load_ushort v3, v[0:1], off
.LBB150_1321:
	v_mov_b32_e32 v4, 0
.LBB150_1322:
	s_cbranch_execnz .LBB150_1342
.LBB150_1323:
	s_sext_i32_i16 s22, s58
	s_cmp_lt_i32 s22, 2
	s_cbranch_scc1 .LBB150_1327
; %bb.1324:
	s_cmp_lt_i32 s22, 3
	s_cbranch_scc1 .LBB150_1328
; %bb.1325:
	s_cmp_gt_i32 s22, 3
	s_cbranch_scc0 .LBB150_1329
; %bb.1326:
	global_load_dwordx2 v[3:4], v[0:1], off
	s_mov_b64 s[22:23], 0
	s_waitcnt vmcnt(0)
	v_xor_b32_e32 v6, v3, v4
	v_ffbh_i32_e32 v5, v4
	v_ashrrev_i32_e32 v6, 31, v6
	v_add_u32_e32 v5, -1, v5
	v_add_u32_e32 v6, 32, v6
	v_min_u32_e32 v5, v5, v6
	v_lshlrev_b64 v[3:4], v5, v[3:4]
	v_min_u32_e32 v3, 1, v3
	v_or_b32_e32 v3, v4, v3
	v_cvt_f32_i32_e32 v3, v3
	v_sub_u32_e32 v4, 32, v5
	v_ldexp_f32 v3, v3, v4
	v_cvt_f16_f32_e32 v3, v3
	s_branch .LBB150_1330
.LBB150_1327:
                                        ; implicit-def: $vgpr3
	s_branch .LBB150_1336
.LBB150_1328:
	s_mov_b64 s[22:23], -1
                                        ; implicit-def: $vgpr3
	s_branch .LBB150_1333
.LBB150_1329:
	s_mov_b64 s[22:23], -1
                                        ; implicit-def: $vgpr3
.LBB150_1330:
	s_andn2_b64 vcc, exec, s[22:23]
	s_cbranch_vccnz .LBB150_1332
; %bb.1331:
	global_load_dword v3, v[0:1], off
	s_waitcnt vmcnt(0)
	v_cvt_f32_i32_e32 v3, v3
	v_cvt_f16_f32_e32 v3, v3
.LBB150_1332:
	s_mov_b64 s[22:23], 0
.LBB150_1333:
	s_andn2_b64 vcc, exec, s[22:23]
	s_cbranch_vccnz .LBB150_1335
; %bb.1334:
	global_load_ushort v3, v[0:1], off
	s_waitcnt vmcnt(0)
	v_cvt_f16_i16_e32 v3, v3
.LBB150_1335:
	s_cbranch_execnz .LBB150_1341
.LBB150_1336:
	s_sext_i32_i16 s22, s58
	s_cmp_gt_i32 s22, 0
	s_cbranch_scc0 .LBB150_1338
; %bb.1337:
	global_load_sbyte v3, v[0:1], off
	s_mov_b64 s[22:23], 0
	s_waitcnt vmcnt(0)
	v_cvt_f16_i16_e32 v3, v3
	s_branch .LBB150_1339
.LBB150_1338:
	s_mov_b64 s[22:23], -1
                                        ; implicit-def: $vgpr3
.LBB150_1339:
	s_andn2_b64 vcc, exec, s[22:23]
	s_cbranch_vccnz .LBB150_1341
; %bb.1340:
	global_load_ubyte v0, v[0:1], off
	s_waitcnt vmcnt(0)
	v_cvt_f16_u16_e32 v3, v0
.LBB150_1341:
	v_mov_b32_e32 v4, 0
.LBB150_1342:
	s_or_b64 s[30:31], s[30:31], exec
.LBB150_1343:
	s_or_b64 exec, exec, s[0:1]
	s_mov_b64 s[28:29], 0
	s_mov_b64 s[34:35], 0
	;; [unrolled: 1-line block ×3, first 2 shown]
                                        ; implicit-def: $sgpr36
                                        ; implicit-def: $vgpr0_vgpr1
                                        ; implicit-def: $vgpr6
                                        ; implicit-def: $vgpr5
	s_and_saveexec_b64 s[0:1], s[30:31]
	s_cbranch_execz .LBB150_1351
; %bb.1344:
	v_mul_lo_u32 v0, v2, s14
	v_mov_b32_e32 v1, s3
	s_and_b32 s36, s56, 0xff
	s_cmp_lt_i32 s36, 11
	s_waitcnt vmcnt(0)
	v_ashrrev_i32_e32 v5, 31, v0
	v_add_co_u32_e32 v0, vcc, s2, v0
	v_addc_co_u32_e32 v1, vcc, v1, v5, vcc
	s_cbranch_scc1 .LBB150_1354
; %bb.1345:
	s_and_b32 s37, 0xffff, s36
	s_cmp_gt_i32 s37, 25
	s_cbranch_scc0 .LBB150_1355
; %bb.1346:
	s_cmp_gt_i32 s37, 28
	s_cbranch_scc0 .LBB150_1356
; %bb.1347:
	;; [unrolled: 3-line block ×4, first 2 shown]
	s_cmp_eq_u32 s37, 46
	s_mov_b64 s[30:31], 0
	s_cbranch_scc0 .LBB150_1359
; %bb.1350:
	global_load_dword v5, v[0:1], off
	s_mov_b64 s[22:23], 0
	s_mov_b64 s[26:27], -1
	s_waitcnt vmcnt(0)
	v_and_b32_e32 v6, 0xffff0000, v5
	v_lshlrev_b32_e32 v5, 16, v5
	v_cvt_f16_f32_e32 v5, v5
	v_cvt_f16_f32_e32 v6, v6
	s_branch .LBB150_1361
.LBB150_1351:
	s_or_b64 exec, exec, s[0:1]
	s_and_saveexec_b64 s[0:1], s[20:21]
	s_cbranch_execnz .LBB150_1427
.LBB150_1352:
	s_or_b64 exec, exec, s[0:1]
	s_and_saveexec_b64 s[0:1], s[28:29]
	s_xor_b64 s[0:1], exec, s[0:1]
	s_cbranch_execz .LBB150_1428
.LBB150_1353:
	global_load_ubyte v5, v[0:1], off
	v_mov_b32_e32 v7, 0x3c00
	v_mov_b32_e32 v6, 0
	s_or_b64 s[26:27], s[26:27], exec
	s_waitcnt vmcnt(0)
	v_cmp_ne_u16_e32 vcc, 0, v5
	v_cndmask_b32_e32 v5, 0, v7, vcc
	s_or_b64 exec, exec, s[0:1]
	s_and_saveexec_b64 s[0:1], s[34:35]
	s_cbranch_execz .LBB150_1476
	s_branch .LBB150_1429
.LBB150_1354:
	s_mov_b64 s[30:31], -1
                                        ; implicit-def: $vgpr6
                                        ; implicit-def: $vgpr5
	s_mov_b64 s[22:23], s[20:21]
	s_branch .LBB150_1426
.LBB150_1355:
	s_mov_b64 s[22:23], s[20:21]
                                        ; implicit-def: $vgpr6
                                        ; implicit-def: $vgpr5
	s_cbranch_execnz .LBB150_1392
	s_branch .LBB150_1425
.LBB150_1356:
	s_mov_b64 s[30:31], -1
	s_mov_b64 s[22:23], s[20:21]
                                        ; implicit-def: $vgpr6
                                        ; implicit-def: $vgpr5
	s_branch .LBB150_1373
.LBB150_1357:
	s_mov_b64 s[30:31], -1
	s_mov_b64 s[22:23], s[20:21]
                                        ; implicit-def: $vgpr6
                                        ; implicit-def: $vgpr5
	s_branch .LBB150_1367
.LBB150_1358:
	s_mov_b64 s[30:31], -1
	s_mov_b64 s[22:23], s[20:21]
	s_branch .LBB150_1360
.LBB150_1359:
	s_mov_b64 s[22:23], -1
.LBB150_1360:
                                        ; implicit-def: $vgpr6
                                        ; implicit-def: $vgpr5
.LBB150_1361:
	s_and_b64 vcc, exec, s[30:31]
	s_cbranch_vccz .LBB150_1366
; %bb.1362:
	s_cmp_eq_u32 s37, 44
	s_cbranch_scc0 .LBB150_1364
; %bb.1363:
	global_load_ubyte v5, v[0:1], off
	s_movk_i32 s26, 0xff
	v_mov_b32_e32 v7, 0x7e00
	s_mov_b64 s[22:23], 0
	s_waitcnt vmcnt(0)
	v_lshlrev_b32_e32 v6, 23, v5
	v_cvt_f16_f32_e32 v6, v6
	v_cmp_ne_u32_e32 vcc, s26, v5
	s_mov_b64 s[26:27], -1
	v_cndmask_b32_e32 v6, v7, v6, vcc
	v_cmp_ne_u32_e32 vcc, 0, v5
	v_cndmask_b32_e32 v5, 0, v6, vcc
	s_branch .LBB150_1365
.LBB150_1364:
	s_mov_b64 s[22:23], -1
                                        ; implicit-def: $vgpr5
.LBB150_1365:
	v_mov_b32_e32 v6, 0
.LBB150_1366:
	s_mov_b64 s[30:31], 0
.LBB150_1367:
	s_and_b64 vcc, exec, s[30:31]
	s_cbranch_vccz .LBB150_1372
; %bb.1368:
	s_cmp_eq_u32 s37, 29
	s_cbranch_scc0 .LBB150_1370
; %bb.1369:
	global_load_dwordx2 v[5:6], v[0:1], off
	s_mov_b64 s[22:23], 0
	s_mov_b64 s[26:27], -1
	s_waitcnt vmcnt(0)
	v_ffbh_u32_e32 v7, v6
	v_min_u32_e32 v7, 32, v7
	v_lshlrev_b64 v[5:6], v7, v[5:6]
	v_min_u32_e32 v5, 1, v5
	v_or_b32_e32 v5, v6, v5
	v_cvt_f32_u32_e32 v5, v5
	v_sub_u32_e32 v6, 32, v7
	v_ldexp_f32 v5, v5, v6
	v_cvt_f16_f32_e32 v5, v5
	s_branch .LBB150_1371
.LBB150_1370:
	s_mov_b64 s[22:23], -1
                                        ; implicit-def: $vgpr5
.LBB150_1371:
	v_mov_b32_e32 v6, 0
.LBB150_1372:
	s_mov_b64 s[30:31], 0
.LBB150_1373:
	s_and_b64 vcc, exec, s[30:31]
	s_cbranch_vccz .LBB150_1391
; %bb.1374:
	s_cmp_lt_i32 s37, 27
	s_cbranch_scc1 .LBB150_1377
; %bb.1375:
	s_cmp_gt_i32 s37, 27
	s_cbranch_scc0 .LBB150_1378
; %bb.1376:
	global_load_dword v5, v[0:1], off
	s_mov_b64 s[26:27], 0
	s_waitcnt vmcnt(0)
	v_cvt_f32_u32_e32 v5, v5
	v_cvt_f16_f32_e32 v5, v5
	s_branch .LBB150_1379
.LBB150_1377:
	s_mov_b64 s[26:27], -1
                                        ; implicit-def: $vgpr5
	s_branch .LBB150_1382
.LBB150_1378:
	s_mov_b64 s[26:27], -1
                                        ; implicit-def: $vgpr5
.LBB150_1379:
	s_andn2_b64 vcc, exec, s[26:27]
	s_cbranch_vccnz .LBB150_1381
; %bb.1380:
	global_load_ushort v5, v[0:1], off
	s_waitcnt vmcnt(0)
	v_cvt_f16_u16_e32 v5, v5
.LBB150_1381:
	s_mov_b64 s[26:27], 0
.LBB150_1382:
	s_andn2_b64 vcc, exec, s[26:27]
	s_cbranch_vccnz .LBB150_1390
; %bb.1383:
	global_load_ubyte v6, v[0:1], off
	s_movk_i32 s26, 0x7f
	s_waitcnt vmcnt(0)
	v_cmp_lt_i16_e32 vcc, s26, v6
	s_mov_b64 s[26:27], 0
	s_and_saveexec_b64 s[30:31], vcc
	s_xor_b64 s[30:31], exec, s[30:31]
	s_cbranch_execz .LBB150_1403
; %bb.1384:
	s_movk_i32 s26, 0x80
	v_cmp_eq_u16_e32 vcc, s26, v6
	s_mov_b64 s[26:27], -1
	s_and_saveexec_b64 s[34:35], vcc
; %bb.1385:
	s_xor_b64 s[26:27], exec, -1
; %bb.1386:
	s_or_b64 exec, exec, s[34:35]
	s_and_b64 s[26:27], s[26:27], exec
	s_or_saveexec_b64 s[30:31], s[30:31]
	v_mov_b32_e32 v5, 0x7e00
	s_xor_b64 exec, exec, s[30:31]
	s_cbranch_execnz .LBB150_1404
.LBB150_1387:
	s_or_b64 exec, exec, s[30:31]
	s_and_saveexec_b64 s[30:31], s[26:27]
	s_cbranch_execz .LBB150_1389
.LBB150_1388:
	v_lshlrev_b32_e32 v5, 24, v6
	v_and_b32_e32 v6, 0xffff, v6
	v_and_b32_e32 v7, 7, v6
	v_ffbh_u32_e32 v9, v7
	v_min_u32_e32 v9, 32, v9
	v_subrev_u32_e32 v10, 28, v9
	v_bfe_u32 v8, v6, 3, 4
	v_lshlrev_b32_e32 v6, v10, v6
	v_sub_u32_e32 v9, 29, v9
	v_and_b32_e32 v6, 7, v6
	v_cmp_eq_u32_e32 vcc, 0, v8
	v_cndmask_b32_e32 v8, v8, v9, vcc
	v_cndmask_b32_e32 v6, v7, v6, vcc
	v_mov_b32_e32 v7, 0x3b800000
	v_lshlrev_b32_e32 v6, 20, v6
	v_and_b32_e32 v5, 0x80000000, v5
	v_lshl_add_u32 v7, v8, 23, v7
	v_or3_b32 v5, v5, v7, v6
	v_cvt_f16_f32_e32 v5, v5
.LBB150_1389:
	s_or_b64 exec, exec, s[30:31]
.LBB150_1390:
	s_mov_b64 s[26:27], -1
	v_mov_b32_e32 v6, 0
.LBB150_1391:
	s_branch .LBB150_1425
.LBB150_1392:
	s_cmp_gt_i32 s37, 22
	s_cbranch_scc0 .LBB150_1402
; %bb.1393:
	s_cmp_lt_i32 s37, 24
	s_cbranch_scc1 .LBB150_1405
; %bb.1394:
	s_cmp_gt_i32 s37, 24
	s_cbranch_scc0 .LBB150_1406
; %bb.1395:
	global_load_ubyte v6, v[0:1], off
	s_movk_i32 s26, 0x7f
	s_waitcnt vmcnt(0)
	v_cmp_lt_i16_e32 vcc, s26, v6
	s_mov_b64 s[26:27], 0
	s_and_saveexec_b64 s[28:29], vcc
	s_xor_b64 s[28:29], exec, s[28:29]
	s_cbranch_execz .LBB150_1418
; %bb.1396:
	s_movk_i32 s26, 0x80
	v_cmp_eq_u16_e32 vcc, s26, v6
	s_mov_b64 s[26:27], -1
	s_and_saveexec_b64 s[30:31], vcc
; %bb.1397:
	s_xor_b64 s[26:27], exec, -1
; %bb.1398:
	s_or_b64 exec, exec, s[30:31]
	s_and_b64 s[26:27], s[26:27], exec
	s_or_saveexec_b64 s[28:29], s[28:29]
	v_mov_b32_e32 v5, 0x7e00
	s_xor_b64 exec, exec, s[28:29]
	s_cbranch_execnz .LBB150_1419
.LBB150_1399:
	s_or_b64 exec, exec, s[28:29]
	s_and_saveexec_b64 s[28:29], s[26:27]
	s_cbranch_execz .LBB150_1401
.LBB150_1400:
	v_lshlrev_b32_e32 v5, 24, v6
	v_and_b32_e32 v6, 0xffff, v6
	v_and_b32_e32 v7, 3, v6
	v_ffbh_u32_e32 v9, v7
	v_min_u32_e32 v9, 32, v9
	v_subrev_u32_e32 v10, 29, v9
	v_bfe_u32 v8, v6, 2, 5
	v_lshlrev_b32_e32 v6, v10, v6
	v_sub_u32_e32 v9, 30, v9
	v_and_b32_e32 v6, 3, v6
	v_cmp_eq_u32_e32 vcc, 0, v8
	v_cndmask_b32_e32 v8, v8, v9, vcc
	v_cndmask_b32_e32 v6, v7, v6, vcc
	v_mov_b32_e32 v7, 0x37800000
	v_lshlrev_b32_e32 v6, 21, v6
	v_and_b32_e32 v5, 0x80000000, v5
	v_lshl_add_u32 v7, v8, 23, v7
	v_or3_b32 v5, v5, v7, v6
	v_cvt_f16_f32_e32 v5, v5
.LBB150_1401:
	s_or_b64 exec, exec, s[28:29]
	s_mov_b64 s[26:27], 0
	s_branch .LBB150_1407
.LBB150_1402:
	s_mov_b64 s[28:29], -1
                                        ; implicit-def: $vgpr5
	s_branch .LBB150_1413
.LBB150_1403:
	s_or_saveexec_b64 s[30:31], s[30:31]
	v_mov_b32_e32 v5, 0x7e00
	s_xor_b64 exec, exec, s[30:31]
	s_cbranch_execz .LBB150_1387
.LBB150_1404:
	v_cmp_ne_u16_e32 vcc, 0, v6
	s_andn2_b64 s[26:27], s[26:27], exec
	s_and_b64 s[34:35], vcc, exec
	s_or_b64 s[26:27], s[26:27], s[34:35]
	v_mov_b32_e32 v5, v6
	s_or_b64 exec, exec, s[30:31]
	s_and_saveexec_b64 s[30:31], s[26:27]
	s_cbranch_execnz .LBB150_1388
	s_branch .LBB150_1389
.LBB150_1405:
	s_mov_b64 s[26:27], -1
                                        ; implicit-def: $vgpr5
	s_branch .LBB150_1410
.LBB150_1406:
	s_mov_b64 s[26:27], -1
                                        ; implicit-def: $vgpr5
.LBB150_1407:
	s_and_b64 vcc, exec, s[26:27]
	s_cbranch_vccz .LBB150_1409
; %bb.1408:
	global_load_ubyte v5, v[0:1], off
	s_mov_b32 s26, 0x7f800000
	s_waitcnt vmcnt(0)
	v_lshlrev_b32_e32 v5, 24, v5
	v_and_b32_e32 v6, 0x7f000000, v5
	v_ffbh_u32_e32 v7, v6
	v_min_u32_e32 v7, 32, v7
	v_sub_u32_e64 v7, v7, 4 clamp
	v_lshlrev_b32_e32 v9, v7, v6
	v_lshlrev_b32_e32 v7, 23, v7
	v_lshrrev_b32_e32 v9, 4, v9
	v_add_u32_e32 v8, 0x1000000, v6
	v_sub_u32_e32 v7, v9, v7
	v_ashrrev_i32_e32 v8, 8, v8
	v_add_u32_e32 v7, 0x3c000000, v7
	v_and_or_b32 v7, v8, s26, v7
	v_cmp_ne_u32_e32 vcc, 0, v6
	v_cndmask_b32_e32 v6, 0, v7, vcc
	s_brev_b32 s26, 1
	v_and_or_b32 v5, v5, s26, v6
	v_cvt_f16_f32_e32 v5, v5
.LBB150_1409:
	s_mov_b64 s[26:27], 0
.LBB150_1410:
	s_andn2_b64 vcc, exec, s[26:27]
	s_cbranch_vccnz .LBB150_1412
; %bb.1411:
	global_load_ubyte v5, v[0:1], off
	s_movk_i32 s26, 0x7f00
	s_brev_b32 s27, 16
	s_waitcnt vmcnt(0)
	v_lshlrev_b16_e32 v6, 8, v5
	v_lshlrev_b32_e32 v5, 25, v5
	v_lshrrev_b32_e32 v7, 4, v5
	v_and_or_b32 v8, v6, s26, 0.5
	v_or_b32_e32 v7, 0x70000000, v7
	v_add_f32_e32 v8, -0.5, v8
	v_mul_f32_e32 v7, 0x7800000, v7
	v_cmp_gt_u32_e32 vcc, s27, v5
	v_bfe_i32 v6, v6, 0, 16
	v_cndmask_b32_e32 v5, v7, v8, vcc
	s_brev_b32 s26, 1
	v_and_or_b32 v5, v6, s26, v5
	v_cvt_f16_f32_e32 v5, v5
.LBB150_1412:
	s_mov_b64 s[28:29], 0
	s_mov_b64 s[26:27], -1
.LBB150_1413:
	s_andn2_b64 vcc, exec, s[28:29]
	s_mov_b64 s[28:29], 0
	s_cbranch_vccnz .LBB150_1424
; %bb.1414:
	s_cmp_gt_i32 s37, 14
	s_cbranch_scc0 .LBB150_1417
; %bb.1415:
	s_cmp_eq_u32 s37, 15
	s_cbranch_scc0 .LBB150_1420
; %bb.1416:
	global_load_ushort v5, v[0:1], off
	s_mov_b64 s[22:23], 0
	s_mov_b64 s[26:27], -1
	s_waitcnt vmcnt(0)
	v_lshlrev_b32_e32 v5, 16, v5
	v_cvt_f16_f32_e32 v5, v5
	s_branch .LBB150_1421
.LBB150_1417:
	s_mov_b64 s[30:31], -1
                                        ; implicit-def: $vgpr5
	s_branch .LBB150_1422
.LBB150_1418:
	s_or_saveexec_b64 s[28:29], s[28:29]
	v_mov_b32_e32 v5, 0x7e00
	s_xor_b64 exec, exec, s[28:29]
	s_cbranch_execz .LBB150_1399
.LBB150_1419:
	v_cmp_ne_u16_e32 vcc, 0, v6
	s_andn2_b64 s[26:27], s[26:27], exec
	s_and_b64 s[30:31], vcc, exec
	s_or_b64 s[26:27], s[26:27], s[30:31]
	v_mov_b32_e32 v5, v6
	s_or_b64 exec, exec, s[28:29]
	s_and_saveexec_b64 s[28:29], s[26:27]
	s_cbranch_execnz .LBB150_1400
	s_branch .LBB150_1401
.LBB150_1420:
	s_mov_b64 s[22:23], -1
                                        ; implicit-def: $vgpr5
.LBB150_1421:
	s_mov_b64 s[30:31], 0
.LBB150_1422:
	s_and_b64 vcc, exec, s[30:31]
	s_cbranch_vccz .LBB150_1424
; %bb.1423:
	s_cmp_lg_u32 s37, 11
	s_cselect_b64 s[30:31], -1, 0
	s_andn2_b64 s[22:23], s[22:23], exec
	s_and_b64 s[30:31], s[30:31], exec
	s_mov_b64 s[28:29], -1
	s_or_b64 s[22:23], s[22:23], s[30:31]
.LBB150_1424:
	v_mov_b32_e32 v6, 0
.LBB150_1425:
	s_mov_b64 s[30:31], 0
.LBB150_1426:
	s_andn2_b64 s[20:21], s[20:21], exec
	s_and_b64 s[22:23], s[22:23], exec
	s_and_b64 s[26:27], s[26:27], exec
	;; [unrolled: 1-line block ×4, first 2 shown]
	s_or_b64 s[20:21], s[20:21], s[22:23]
	s_or_b64 exec, exec, s[0:1]
	s_and_saveexec_b64 s[0:1], s[20:21]
	s_cbranch_execz .LBB150_1352
.LBB150_1427:
	s_or_b64 s[24:25], s[24:25], exec
	s_andn2_b64 s[28:29], s[28:29], exec
	s_trap 2
	s_or_b64 exec, exec, s[0:1]
	s_and_saveexec_b64 s[0:1], s[28:29]
	s_xor_b64 s[0:1], exec, s[0:1]
	s_cbranch_execnz .LBB150_1353
.LBB150_1428:
	s_or_b64 exec, exec, s[0:1]
	s_and_saveexec_b64 s[0:1], s[34:35]
	s_cbranch_execz .LBB150_1476
.LBB150_1429:
	s_sext_i32_i16 s20, s36
	s_cmp_lt_i32 s20, 5
	s_cbranch_scc1 .LBB150_1434
; %bb.1430:
	s_cmp_lt_i32 s20, 8
	s_cbranch_scc1 .LBB150_1435
; %bb.1431:
	;; [unrolled: 3-line block ×3, first 2 shown]
	s_cmp_gt_i32 s20, 9
	s_cbranch_scc0 .LBB150_1437
; %bb.1433:
	global_load_dwordx4 v[5:8], v[0:1], off
	s_movk_i32 s20, 0x1ff
	s_movk_i32 s21, 0xffe
	v_mov_b32_e32 v9, 0x7c00
	v_mov_b32_e32 v10, 0x7e00
	s_movk_i32 s22, 0x40f
	s_mov_b32 s23, 0x8000
	s_waitcnt vmcnt(0)
	v_and_or_b32 v5, v6, s20, v5
	v_and_or_b32 v7, v8, s20, v7
	v_cmp_ne_u32_e32 vcc, 0, v5
	v_lshrrev_b32_e32 v11, 8, v6
	v_cndmask_b32_e64 v5, 0, 1, vcc
	v_cmp_ne_u32_e32 vcc, 0, v7
	v_bfe_u32 v12, v6, 20, 11
	v_lshrrev_b32_e32 v13, 8, v8
	v_bfe_u32 v14, v8, 20, 11
	v_cndmask_b32_e64 v7, 0, 1, vcc
	v_and_or_b32 v5, v11, s21, v5
	v_sub_u32_e32 v15, 0x3f1, v12
	v_add_u32_e32 v12, 0xfffffc10, v12
	v_sub_u32_e32 v16, 0x3f1, v14
	v_and_or_b32 v7, v13, s21, v7
	v_cmp_ne_u32_e32 vcc, 0, v5
	v_add_u32_e32 v14, 0xfffffc10, v14
	v_med3_i32 v11, v15, 0, 13
	v_med3_i32 v13, v16, 0, 13
	v_or_b32_e32 v15, 0x1000, v5
	v_lshl_or_b32 v16, v12, 12, v5
	v_cndmask_b32_e32 v5, v9, v10, vcc
	v_cmp_ne_u32_e32 vcc, 0, v7
	v_or_b32_e32 v17, 0x1000, v7
	v_lshl_or_b32 v18, v14, 12, v7
	v_cndmask_b32_e32 v7, v9, v10, vcc
	v_lshrrev_b32_e32 v10, v11, v15
	v_lshrrev_b32_e32 v19, v13, v17
	v_lshlrev_b32_e32 v11, v11, v10
	v_lshlrev_b32_e32 v13, v13, v19
	v_cmp_ne_u32_e32 vcc, v11, v15
	v_cndmask_b32_e64 v11, 0, 1, vcc
	v_cmp_ne_u32_e32 vcc, v13, v17
	v_cndmask_b32_e64 v13, 0, 1, vcc
	v_or_b32_e32 v10, v10, v11
	v_cmp_gt_i32_e32 vcc, 1, v12
	v_cndmask_b32_e32 v10, v16, v10, vcc
	v_or_b32_e32 v11, v19, v13
	v_cmp_gt_i32_e32 vcc, 1, v14
	v_and_b32_e32 v13, 7, v10
	v_cndmask_b32_e32 v11, v18, v11, vcc
	v_cmp_lt_i32_e32 vcc, 5, v13
	v_and_b32_e32 v15, 7, v11
	v_cndmask_b32_e64 v16, 0, 1, vcc
	v_cmp_eq_u32_e32 vcc, 3, v13
	v_cndmask_b32_e64 v13, 0, 1, vcc
	v_cmp_lt_i32_e32 vcc, 5, v15
	v_cndmask_b32_e64 v17, 0, 1, vcc
	v_cmp_eq_u32_e32 vcc, 3, v15
	v_lshrrev_b32_e32 v10, 2, v10
	v_cndmask_b32_e64 v15, 0, 1, vcc
	v_or_b32_e32 v13, v13, v16
	v_lshrrev_b32_e32 v11, 2, v11
	v_or_b32_e32 v15, v15, v17
	v_add_u32_e32 v10, v10, v13
	v_cmp_gt_i32_e32 vcc, 31, v12
	v_add_u32_e32 v11, v11, v15
	v_cndmask_b32_e32 v10, v9, v10, vcc
	v_cmp_gt_i32_e32 vcc, 31, v14
	v_cndmask_b32_e32 v9, v9, v11, vcc
	v_cmp_eq_u32_e32 vcc, s22, v12
	v_cndmask_b32_e32 v5, v10, v5, vcc
	v_cmp_eq_u32_e32 vcc, s22, v14
	v_lshrrev_b32_e32 v6, 16, v6
	v_lshrrev_b32_e32 v8, 16, v8
	v_cndmask_b32_e32 v7, v9, v7, vcc
	v_and_or_b32 v5, v6, s23, v5
	v_and_or_b32 v6, v8, s23, v7
	s_mov_b64 s[20:21], 0
	s_branch .LBB150_1438
.LBB150_1434:
                                        ; implicit-def: $vgpr6
                                        ; implicit-def: $vgpr5
	s_branch .LBB150_1456
.LBB150_1435:
                                        ; implicit-def: $vgpr6
                                        ; implicit-def: $vgpr5
	s_branch .LBB150_1444
.LBB150_1436:
	s_mov_b64 s[20:21], -1
                                        ; implicit-def: $vgpr6
                                        ; implicit-def: $vgpr5
	s_branch .LBB150_1441
.LBB150_1437:
	s_mov_b64 s[20:21], -1
                                        ; implicit-def: $vgpr6
                                        ; implicit-def: $vgpr5
.LBB150_1438:
	s_andn2_b64 vcc, exec, s[20:21]
	s_cbranch_vccnz .LBB150_1440
; %bb.1439:
	global_load_dwordx2 v[5:6], v[0:1], off
	s_waitcnt vmcnt(0)
	v_cvt_f16_f32_e32 v5, v5
	v_cvt_f16_f32_e32 v6, v6
.LBB150_1440:
	s_mov_b64 s[20:21], 0
.LBB150_1441:
	s_andn2_b64 vcc, exec, s[20:21]
	s_cbranch_vccnz .LBB150_1443
; %bb.1442:
	global_load_dword v5, v[0:1], off
	s_waitcnt vmcnt(0)
	v_lshrrev_b32_e32 v6, 16, v5
.LBB150_1443:
	s_cbranch_execnz .LBB150_1455
.LBB150_1444:
	s_sext_i32_i16 s20, s36
	s_cmp_lt_i32 s20, 6
	s_cbranch_scc1 .LBB150_1447
; %bb.1445:
	s_cmp_gt_i32 s20, 6
	s_cbranch_scc0 .LBB150_1448
; %bb.1446:
	global_load_dwordx2 v[5:6], v[0:1], off
	s_movk_i32 s20, 0x1ff
	s_movk_i32 s21, 0xffe
	v_mov_b32_e32 v7, 0x7c00
	v_mov_b32_e32 v8, 0x7e00
	s_movk_i32 s22, 0x40f
	s_mov_b32 s23, 0x8000
	s_waitcnt vmcnt(0)
	v_and_or_b32 v5, v6, s20, v5
	v_cmp_ne_u32_e32 vcc, 0, v5
	v_lshrrev_b32_e32 v9, 8, v6
	v_bfe_u32 v10, v6, 20, 11
	v_cndmask_b32_e64 v5, 0, 1, vcc
	v_sub_u32_e32 v11, 0x3f1, v10
	v_and_or_b32 v5, v9, s21, v5
	v_add_u32_e32 v10, 0xfffffc10, v10
	v_med3_i32 v9, v11, 0, 13
	v_or_b32_e32 v11, 0x1000, v5
	v_cmp_ne_u32_e32 vcc, 0, v5
	v_lshl_or_b32 v12, v10, 12, v5
	v_cndmask_b32_e32 v5, v7, v8, vcc
	v_lshrrev_b32_e32 v8, v9, v11
	v_lshlrev_b32_e32 v9, v9, v8
	v_cmp_ne_u32_e32 vcc, v9, v11
	v_cndmask_b32_e64 v9, 0, 1, vcc
	v_or_b32_e32 v8, v8, v9
	v_cmp_gt_i32_e32 vcc, 1, v10
	v_cndmask_b32_e32 v8, v12, v8, vcc
	v_and_b32_e32 v9, 7, v8
	v_cmp_lt_i32_e32 vcc, 5, v9
	v_cndmask_b32_e64 v11, 0, 1, vcc
	v_cmp_eq_u32_e32 vcc, 3, v9
	v_cndmask_b32_e64 v9, 0, 1, vcc
	v_lshrrev_b32_e32 v8, 2, v8
	v_or_b32_e32 v9, v9, v11
	v_add_u32_e32 v8, v8, v9
	v_cmp_gt_i32_e32 vcc, 31, v10
	v_cndmask_b32_e32 v7, v7, v8, vcc
	v_cmp_eq_u32_e32 vcc, s22, v10
	v_lshrrev_b32_e32 v6, 16, v6
	v_cndmask_b32_e32 v5, v7, v5, vcc
	v_and_or_b32 v5, v6, s23, v5
	s_mov_b64 s[20:21], 0
	s_branch .LBB150_1449
.LBB150_1447:
	s_mov_b64 s[20:21], -1
                                        ; implicit-def: $vgpr5
	s_branch .LBB150_1452
.LBB150_1448:
	s_mov_b64 s[20:21], -1
                                        ; implicit-def: $vgpr5
.LBB150_1449:
	s_andn2_b64 vcc, exec, s[20:21]
	s_cbranch_vccnz .LBB150_1451
; %bb.1450:
	global_load_dword v5, v[0:1], off
	s_waitcnt vmcnt(0)
	v_cvt_f16_f32_e32 v5, v5
.LBB150_1451:
	s_mov_b64 s[20:21], 0
.LBB150_1452:
	s_andn2_b64 vcc, exec, s[20:21]
	s_cbranch_vccnz .LBB150_1454
; %bb.1453:
	global_load_ushort v5, v[0:1], off
.LBB150_1454:
	v_mov_b32_e32 v6, 0
.LBB150_1455:
	s_cbranch_execnz .LBB150_1475
.LBB150_1456:
	s_sext_i32_i16 s20, s36
	s_cmp_lt_i32 s20, 2
	s_cbranch_scc1 .LBB150_1460
; %bb.1457:
	s_cmp_lt_i32 s20, 3
	s_cbranch_scc1 .LBB150_1461
; %bb.1458:
	s_cmp_gt_i32 s20, 3
	s_cbranch_scc0 .LBB150_1462
; %bb.1459:
	global_load_dwordx2 v[5:6], v[0:1], off
	s_mov_b64 s[20:21], 0
	s_waitcnt vmcnt(0)
	v_xor_b32_e32 v8, v5, v6
	v_ffbh_i32_e32 v7, v6
	v_ashrrev_i32_e32 v8, 31, v8
	v_add_u32_e32 v7, -1, v7
	v_add_u32_e32 v8, 32, v8
	v_min_u32_e32 v7, v7, v8
	v_lshlrev_b64 v[5:6], v7, v[5:6]
	v_min_u32_e32 v5, 1, v5
	v_or_b32_e32 v5, v6, v5
	v_cvt_f32_i32_e32 v5, v5
	v_sub_u32_e32 v6, 32, v7
	v_ldexp_f32 v5, v5, v6
	v_cvt_f16_f32_e32 v5, v5
	s_branch .LBB150_1463
.LBB150_1460:
                                        ; implicit-def: $vgpr5
	s_branch .LBB150_1469
.LBB150_1461:
	s_mov_b64 s[20:21], -1
                                        ; implicit-def: $vgpr5
	s_branch .LBB150_1466
.LBB150_1462:
	s_mov_b64 s[20:21], -1
                                        ; implicit-def: $vgpr5
.LBB150_1463:
	s_andn2_b64 vcc, exec, s[20:21]
	s_cbranch_vccnz .LBB150_1465
; %bb.1464:
	global_load_dword v5, v[0:1], off
	s_waitcnt vmcnt(0)
	v_cvt_f32_i32_e32 v5, v5
	v_cvt_f16_f32_e32 v5, v5
.LBB150_1465:
	s_mov_b64 s[20:21], 0
.LBB150_1466:
	s_andn2_b64 vcc, exec, s[20:21]
	s_cbranch_vccnz .LBB150_1468
; %bb.1467:
	global_load_ushort v5, v[0:1], off
	s_waitcnt vmcnt(0)
	v_cvt_f16_i16_e32 v5, v5
.LBB150_1468:
	s_cbranch_execnz .LBB150_1474
.LBB150_1469:
	s_sext_i32_i16 s20, s36
	s_cmp_gt_i32 s20, 0
	s_cbranch_scc0 .LBB150_1471
; %bb.1470:
	global_load_sbyte v5, v[0:1], off
	s_mov_b64 s[20:21], 0
	s_waitcnt vmcnt(0)
	v_cvt_f16_i16_e32 v5, v5
	s_branch .LBB150_1472
.LBB150_1471:
	s_mov_b64 s[20:21], -1
                                        ; implicit-def: $vgpr5
.LBB150_1472:
	s_andn2_b64 vcc, exec, s[20:21]
	s_cbranch_vccnz .LBB150_1474
; %bb.1473:
	global_load_ubyte v0, v[0:1], off
	s_waitcnt vmcnt(0)
	v_cvt_f16_u16_e32 v5, v0
.LBB150_1474:
	v_mov_b32_e32 v6, 0
.LBB150_1475:
	s_or_b64 s[26:27], s[26:27], exec
.LBB150_1476:
	s_or_b64 exec, exec, s[0:1]
	s_mov_b64 s[30:31], 0
	s_mov_b64 s[28:29], 0
                                        ; implicit-def: $sgpr20_sgpr21
                                        ; implicit-def: $sgpr34
                                        ; implicit-def: $vgpr0_vgpr1
	s_and_saveexec_b64 s[22:23], s[26:27]
	s_cbranch_execz .LBB150_1554
; %bb.1477:
	s_andn2_b64 vcc, exec, s[16:17]
	s_cbranch_vccnz .LBB150_1558
; %bb.1478:
	s_waitcnt vmcnt(0)
	v_cmp_neq_f16_e32 vcc, v3, v5
	v_cmp_neq_f16_e64 s[0:1], v4, v6
	s_or_b64 s[20:21], vcc, s[0:1]
	s_cbranch_execnz .LBB150_1480
.LBB150_1479:
	s_waitcnt vmcnt(0)
	v_cmp_eq_f16_e32 vcc, v3, v5
	v_cmp_eq_f16_e64 s[0:1], v4, v6
	s_and_b64 s[0:1], vcc, s[0:1]
	s_andn2_b64 s[16:17], s[20:21], exec
	s_and_b64 s[0:1], s[0:1], exec
	s_or_b64 s[20:21], s[16:17], s[0:1]
.LBB150_1480:
	v_mul_lo_u32 v0, v2, s12
	v_mov_b32_e32 v1, s9
	s_and_b32 s34, s33, 0xff
	s_cmp_lt_i32 s34, 11
	v_ashrrev_i32_e32 v2, 31, v0
	v_add_co_u32_e32 v0, vcc, s8, v0
	v_addc_co_u32_e32 v1, vcc, v1, v2, vcc
	s_cbranch_scc1 .LBB150_1557
; %bb.1481:
	s_and_b32 s35, 0xffff, s34
	s_mov_b64 s[26:27], -1
	s_cmp_gt_i32 s35, 25
	s_mov_b64 s[0:1], s[18:19]
	s_cbranch_scc0 .LBB150_1514
; %bb.1482:
	s_mov_b64 s[16:17], -1
	s_cmp_gt_i32 s35, 28
	s_mov_b64 s[0:1], s[18:19]
	s_cbranch_scc0 .LBB150_1498
; %bb.1483:
	s_cmp_gt_i32 s35, 43
	s_mov_b64 s[0:1], s[18:19]
	s_cbranch_scc0 .LBB150_1494
; %bb.1484:
	;; [unrolled: 4-line block ×3, first 2 shown]
	s_cmp_eq_u32 s35, 46
	s_mov_b64 s[0:1], -1
	s_cbranch_scc0 .LBB150_1487
; %bb.1486:
	v_cndmask_b32_e64 v2, 0, 1.0, s[20:21]
	s_waitcnt vmcnt(0)
	v_bfe_u32 v3, v2, 16, 1
	s_movk_i32 s0, 0x7fff
	v_add3_u32 v2, v2, v3, s0
	v_lshrrev_b32_e32 v2, 16, v2
	global_store_dword v[0:1], v2, off
	s_mov_b64 s[0:1], 0
.LBB150_1487:
	s_mov_b64 s[16:17], 0
.LBB150_1488:
	s_and_b64 vcc, exec, s[16:17]
	s_cbranch_vccz .LBB150_1493
; %bb.1489:
	s_cmp_eq_u32 s35, 44
	s_mov_b64 s[0:1], -1
	s_cbranch_scc0 .LBB150_1493
; %bb.1490:
	s_waitcnt vmcnt(0)
	v_cndmask_b32_e64 v3, 0, 1.0, s[20:21]
	v_lshrrev_b32_e32 v2, 23, v3
	s_movk_i32 s0, 0xff
	v_cmp_ne_u32_e32 vcc, s0, v2
	v_mov_b32_e32 v4, 0xff
	s_and_saveexec_b64 s[16:17], vcc
; %bb.1491:
	s_mov_b32 s0, 0x3fffff
	v_and_b32_e32 v4, 0x400000, v3
	v_and_or_b32 v3, v3, s0, v2
	v_cmp_ne_u32_e32 vcc, 0, v4
	v_cmp_ne_u32_e64 s[0:1], 0, v3
	s_and_b64 s[0:1], vcc, s[0:1]
	v_cndmask_b32_e64 v3, 0, 1, s[0:1]
	v_add_u32_e32 v4, v2, v3
; %bb.1492:
	s_or_b64 exec, exec, s[16:17]
	s_mov_b64 s[0:1], 0
	global_store_byte v[0:1], v4, off
.LBB150_1493:
	s_mov_b64 s[16:17], 0
.LBB150_1494:
	s_and_b64 vcc, exec, s[16:17]
	s_cbranch_vccz .LBB150_1497
; %bb.1495:
	s_cmp_eq_u32 s35, 29
	s_mov_b64 s[0:1], -1
	s_cbranch_scc0 .LBB150_1497
; %bb.1496:
	s_mov_b32 s0, 0
	v_cndmask_b32_e64 v2, 0, 1, s[20:21]
	s_waitcnt vmcnt(0)
	v_mov_b32_e32 v3, s0
	global_store_dwordx2 v[0:1], v[2:3], off
	s_mov_b64 s[0:1], 0
.LBB150_1497:
	s_mov_b64 s[16:17], 0
.LBB150_1498:
	s_and_b64 vcc, exec, s[16:17]
	s_cbranch_vccz .LBB150_1513
; %bb.1499:
	s_cmp_lt_i32 s35, 27
	s_mov_b64 s[16:17], -1
	s_cbranch_scc1 .LBB150_1505
; %bb.1500:
	s_cmp_gt_i32 s35, 27
	v_cndmask_b32_e64 v2, 0, 1, s[20:21]
	s_cbranch_scc0 .LBB150_1502
; %bb.1501:
	s_mov_b64 s[16:17], 0
	global_store_dword v[0:1], v2, off
.LBB150_1502:
	s_andn2_b64 vcc, exec, s[16:17]
	s_cbranch_vccnz .LBB150_1504
; %bb.1503:
	global_store_short v[0:1], v2, off
.LBB150_1504:
	s_mov_b64 s[16:17], 0
.LBB150_1505:
	s_andn2_b64 vcc, exec, s[16:17]
	s_cbranch_vccnz .LBB150_1513
; %bb.1506:
	s_waitcnt vmcnt(0)
	v_cndmask_b32_e64 v3, 0, 1.0, s[20:21]
	s_mov_b32 s16, 0x43800000
	v_cmp_gt_u32_e32 vcc, s16, v3
	v_mov_b32_e32 v4, 0x80
	s_and_saveexec_b64 s[16:17], vcc
	s_cbranch_execz .LBB150_1512
; %bb.1507:
	s_mov_b32 s26, 0x3bffffff
	v_cmp_lt_u32_e32 vcc, s26, v3
	s_mov_b64 s[26:27], 0
                                        ; implicit-def: $vgpr2
	s_and_saveexec_b64 s[28:29], vcc
	s_xor_b64 s[28:29], exec, s[28:29]
	s_cbranch_execz .LBB150_1615
; %bb.1508:
	v_bfe_u32 v2, v3, 20, 1
	s_mov_b32 s30, 0x487ffff
	v_add3_u32 v2, v3, v2, s30
	s_mov_b64 s[26:27], exec
	v_lshrrev_b32_e32 v2, 20, v2
                                        ; implicit-def: $vgpr3
	s_andn2_saveexec_b64 s[28:29], s[28:29]
	s_cbranch_execnz .LBB150_1616
.LBB150_1509:
	s_or_b64 exec, exec, s[28:29]
	v_mov_b32_e32 v4, 0
	s_and_saveexec_b64 s[28:29], s[26:27]
.LBB150_1510:
	v_mov_b32_e32 v4, v2
.LBB150_1511:
	s_or_b64 exec, exec, s[28:29]
.LBB150_1512:
	s_or_b64 exec, exec, s[16:17]
	global_store_byte v[0:1], v4, off
.LBB150_1513:
	s_mov_b64 s[26:27], 0
.LBB150_1514:
	s_mov_b64 s[16:17], 0
	s_and_b64 vcc, exec, s[26:27]
	s_cbranch_vccz .LBB150_1559
; %bb.1515:
	s_cmp_gt_i32 s35, 22
	s_mov_b64 s[26:27], -1
	s_cbranch_scc0 .LBB150_1547
; %bb.1516:
	s_cmp_lt_i32 s35, 24
	s_cbranch_scc1 .LBB150_1536
; %bb.1517:
	s_cmp_gt_i32 s35, 24
	s_cbranch_scc0 .LBB150_1525
; %bb.1518:
	s_waitcnt vmcnt(0)
	v_cndmask_b32_e64 v3, 0, 1.0, s[20:21]
	s_mov_b32 s26, 0x47800000
	v_cmp_gt_u32_e32 vcc, s26, v3
	v_mov_b32_e32 v4, 0x80
	s_and_saveexec_b64 s[26:27], vcc
	s_cbranch_execz .LBB150_1524
; %bb.1519:
	s_mov_b32 s28, 0x37ffffff
	v_cmp_lt_u32_e32 vcc, s28, v3
	s_mov_b64 s[28:29], 0
                                        ; implicit-def: $vgpr2
	s_and_saveexec_b64 s[30:31], vcc
	s_xor_b64 s[30:31], exec, s[30:31]
	s_cbranch_execz .LBB150_1745
; %bb.1520:
	v_bfe_u32 v2, v3, 21, 1
	s_mov_b32 s36, 0x88fffff
	v_add3_u32 v2, v3, v2, s36
	s_mov_b64 s[28:29], exec
	v_lshrrev_b32_e32 v2, 21, v2
                                        ; implicit-def: $vgpr3
	s_andn2_saveexec_b64 s[30:31], s[30:31]
	s_cbranch_execnz .LBB150_1746
.LBB150_1521:
	s_or_b64 exec, exec, s[30:31]
	v_mov_b32_e32 v4, 0
	s_and_saveexec_b64 s[30:31], s[28:29]
.LBB150_1522:
	v_mov_b32_e32 v4, v2
.LBB150_1523:
	s_or_b64 exec, exec, s[30:31]
.LBB150_1524:
	s_or_b64 exec, exec, s[26:27]
	s_mov_b64 s[26:27], 0
	global_store_byte v[0:1], v4, off
.LBB150_1525:
	s_and_b64 vcc, exec, s[26:27]
	s_cbranch_vccz .LBB150_1535
; %bb.1526:
	v_cndmask_b32_e64 v2, 0, 1.0, s[20:21]
	s_mov_b32 s26, 0x43f00000
	v_cmp_gt_u32_e32 vcc, s26, v2
                                        ; implicit-def: $vgpr3
	s_and_saveexec_b64 s[26:27], vcc
	s_xor_b64 s[26:27], exec, s[26:27]
	s_cbranch_execz .LBB150_1532
; %bb.1527:
	s_mov_b32 s28, 0x3c7fffff
	v_cmp_lt_u32_e32 vcc, s28, v2
                                        ; implicit-def: $vgpr3
	s_and_saveexec_b64 s[28:29], vcc
	s_xor_b64 s[28:29], exec, s[28:29]
	s_cbranch_execz .LBB150_1529
; %bb.1528:
	s_waitcnt vmcnt(0)
	v_bfe_u32 v3, v2, 20, 1
	s_mov_b32 s30, 0x407ffff
	v_add3_u32 v2, v2, v3, s30
	v_lshrrev_b32_e32 v3, 20, v2
	v_and_b32_e32 v2, 0xff00000, v2
	s_mov_b32 s30, 0x7f00000
	v_mov_b32_e32 v4, 0x7e
	v_cmp_ne_u32_e32 vcc, s30, v2
	v_cndmask_b32_e32 v3, v4, v3, vcc
                                        ; implicit-def: $vgpr2
.LBB150_1529:
	s_andn2_saveexec_b64 s[28:29], s[28:29]
	s_cbranch_execz .LBB150_1531
; %bb.1530:
	s_waitcnt vmcnt(0)
	v_add_f32_e32 v3, 0x46800000, v2
.LBB150_1531:
	s_or_b64 exec, exec, s[28:29]
                                        ; implicit-def: $vgpr2
.LBB150_1532:
	s_andn2_saveexec_b64 s[26:27], s[26:27]
	s_cbranch_execz .LBB150_1534
; %bb.1533:
	s_mov_b32 s28, 0x7f800000
	s_waitcnt vmcnt(0)
	v_mov_b32_e32 v3, 0x7e
	v_mov_b32_e32 v4, 0x7f
	v_cmp_lt_u32_e32 vcc, s28, v2
	v_cndmask_b32_e32 v3, v3, v4, vcc
.LBB150_1534:
	s_or_b64 exec, exec, s[26:27]
	s_waitcnt vmcnt(0)
	global_store_byte v[0:1], v3, off
.LBB150_1535:
	s_mov_b64 s[26:27], 0
.LBB150_1536:
	s_andn2_b64 vcc, exec, s[26:27]
	s_cbranch_vccnz .LBB150_1546
; %bb.1537:
	v_cndmask_b32_e64 v2, 0, 1.0, s[20:21]
	s_mov_b32 s26, 0x47800000
	v_cmp_gt_u32_e32 vcc, s26, v2
                                        ; implicit-def: $vgpr3
	s_and_saveexec_b64 s[26:27], vcc
	s_xor_b64 s[26:27], exec, s[26:27]
	s_cbranch_execz .LBB150_1543
; %bb.1538:
	s_mov_b32 s28, 0x387fffff
	v_cmp_lt_u32_e32 vcc, s28, v2
                                        ; implicit-def: $vgpr3
	s_and_saveexec_b64 s[28:29], vcc
	s_xor_b64 s[28:29], exec, s[28:29]
	s_cbranch_execz .LBB150_1540
; %bb.1539:
	s_waitcnt vmcnt(0)
	v_bfe_u32 v3, v2, 21, 1
	s_mov_b32 s30, 0x80fffff
	v_add3_u32 v2, v2, v3, s30
	v_lshrrev_b32_e32 v3, 21, v2
                                        ; implicit-def: $vgpr2
.LBB150_1540:
	s_andn2_saveexec_b64 s[28:29], s[28:29]
	s_cbranch_execz .LBB150_1542
; %bb.1541:
	s_waitcnt vmcnt(0)
	v_add_f32_e32 v3, 0x43000000, v2
.LBB150_1542:
	s_or_b64 exec, exec, s[28:29]
                                        ; implicit-def: $vgpr2
.LBB150_1543:
	s_andn2_saveexec_b64 s[26:27], s[26:27]
	s_cbranch_execz .LBB150_1545
; %bb.1544:
	s_mov_b32 s28, 0x7f800000
	s_waitcnt vmcnt(0)
	v_mov_b32_e32 v3, 0x7c
	v_mov_b32_e32 v4, 0x7f
	v_cmp_lt_u32_e32 vcc, s28, v2
	v_cndmask_b32_e32 v3, v3, v4, vcc
.LBB150_1545:
	s_or_b64 exec, exec, s[26:27]
	s_waitcnt vmcnt(0)
	global_store_byte v[0:1], v3, off
.LBB150_1546:
	s_mov_b64 s[26:27], 0
.LBB150_1547:
	s_andn2_b64 vcc, exec, s[26:27]
	s_mov_b64 s[26:27], 0
	s_cbranch_vccnz .LBB150_1560
; %bb.1548:
	s_cmp_gt_i32 s35, 14
	s_mov_b64 s[28:29], -1
	s_cbranch_scc0 .LBB150_1552
; %bb.1549:
	s_cmp_eq_u32 s35, 15
	s_mov_b64 s[0:1], -1
	s_cbranch_scc0 .LBB150_1551
; %bb.1550:
	v_cndmask_b32_e64 v2, 0, 1.0, s[20:21]
	s_waitcnt vmcnt(0)
	v_bfe_u32 v3, v2, 16, 1
	s_movk_i32 s0, 0x7fff
	v_add3_u32 v2, v2, v3, s0
	global_store_short_d16_hi v[0:1], v2, off
	s_mov_b64 s[0:1], 0
.LBB150_1551:
	s_mov_b64 s[28:29], 0
.LBB150_1552:
	s_and_b64 vcc, exec, s[28:29]
	s_cbranch_vccz .LBB150_1560
; %bb.1553:
	s_cmp_lg_u32 s35, 11
	s_cselect_b64 s[28:29], -1, 0
	s_andn2_b64 s[0:1], s[0:1], exec
	s_and_b64 s[28:29], s[28:29], exec
	s_mov_b64 s[26:27], -1
	s_or_b64 s[0:1], s[0:1], s[28:29]
	s_branch .LBB150_1560
.LBB150_1554:
	s_or_b64 exec, exec, s[22:23]
	s_and_saveexec_b64 s[0:1], s[18:19]
	s_cbranch_execnz .LBB150_1561
.LBB150_1555:
	s_or_b64 exec, exec, s[0:1]
	s_and_saveexec_b64 s[0:1], s[30:31]
	s_xor_b64 s[0:1], exec, s[0:1]
	s_cbranch_execz .LBB150_1562
.LBB150_1556:
	v_cndmask_b32_e64 v2, 0, 1, s[20:21]
	global_store_byte v[0:1], v2, off
	s_or_b64 exec, exec, s[0:1]
	s_and_saveexec_b64 s[0:1], s[28:29]
	s_xor_b64 s[0:1], exec, s[0:1]
	s_cbranch_execz .LBB150_1600
	s_branch .LBB150_1563
.LBB150_1557:
	s_mov_b64 s[26:27], 0
	s_mov_b64 s[16:17], -1
	s_mov_b64 s[0:1], s[18:19]
	s_branch .LBB150_1560
.LBB150_1558:
                                        ; implicit-def: $sgpr20_sgpr21
	s_branch .LBB150_1479
.LBB150_1559:
	s_mov_b64 s[26:27], 0
.LBB150_1560:
	s_and_b64 s[28:29], s[16:17], exec
	s_andn2_b64 s[16:17], s[18:19], exec
	s_and_b64 s[0:1], s[0:1], exec
	s_and_b64 s[30:31], s[26:27], exec
	s_or_b64 s[18:19], s[16:17], s[0:1]
	s_or_b64 exec, exec, s[22:23]
	s_and_saveexec_b64 s[0:1], s[18:19]
	s_cbranch_execz .LBB150_1555
.LBB150_1561:
	s_or_b64 s[24:25], s[24:25], exec
	s_andn2_b64 s[30:31], s[30:31], exec
	s_trap 2
	s_or_b64 exec, exec, s[0:1]
	s_and_saveexec_b64 s[0:1], s[30:31]
	s_xor_b64 s[0:1], exec, s[0:1]
	s_cbranch_execnz .LBB150_1556
.LBB150_1562:
	s_or_b64 exec, exec, s[0:1]
	s_and_saveexec_b64 s[0:1], s[28:29]
	s_xor_b64 s[0:1], exec, s[0:1]
	s_cbranch_execz .LBB150_1600
.LBB150_1563:
	s_sext_i32_i16 s18, s34
	s_cmp_lt_i32 s18, 5
	s_mov_b64 s[16:17], -1
	s_cbranch_scc1 .LBB150_1584
; %bb.1564:
	s_cmp_lt_i32 s18, 8
	s_cbranch_scc1 .LBB150_1574
; %bb.1565:
	s_cmp_lt_i32 s18, 9
	s_cbranch_scc1 .LBB150_1571
; %bb.1566:
	s_cmp_gt_i32 s18, 9
	s_cbranch_scc0 .LBB150_1568
; %bb.1567:
	v_cndmask_b32_e64 v2, 0, 1, s[20:21]
	s_waitcnt vmcnt(0)
	v_cvt_f64_u32_e32 v[2:3], v2
	v_mov_b32_e32 v4, 0
	v_mov_b32_e32 v5, v4
	s_mov_b64 s[16:17], 0
	global_store_dwordx4 v[0:1], v[2:5], off
.LBB150_1568:
	s_andn2_b64 vcc, exec, s[16:17]
	s_cbranch_vccnz .LBB150_1570
; %bb.1569:
	v_cndmask_b32_e64 v2, 0, 1.0, s[20:21]
	s_waitcnt vmcnt(0)
	v_mov_b32_e32 v3, 0
	global_store_dwordx2 v[0:1], v[2:3], off
.LBB150_1570:
	s_mov_b64 s[16:17], 0
.LBB150_1571:
	s_andn2_b64 vcc, exec, s[16:17]
	s_cbranch_vccnz .LBB150_1573
; %bb.1572:
	v_cndmask_b32_e64 v2, 0, 1.0, s[20:21]
	v_cvt_f16_f32_e32 v2, v2
	global_store_dword v[0:1], v2, off
.LBB150_1573:
	s_mov_b64 s[16:17], 0
.LBB150_1574:
	s_andn2_b64 vcc, exec, s[16:17]
	s_cbranch_vccnz .LBB150_1583
; %bb.1575:
	s_sext_i32_i16 s18, s34
	s_cmp_lt_i32 s18, 6
	s_mov_b64 s[16:17], -1
	s_cbranch_scc1 .LBB150_1581
; %bb.1576:
	s_cmp_gt_i32 s18, 6
	s_cbranch_scc0 .LBB150_1578
; %bb.1577:
	v_cndmask_b32_e64 v2, 0, 1, s[20:21]
	s_waitcnt vmcnt(0)
	v_cvt_f64_u32_e32 v[2:3], v2
	s_mov_b64 s[16:17], 0
	global_store_dwordx2 v[0:1], v[2:3], off
.LBB150_1578:
	s_andn2_b64 vcc, exec, s[16:17]
	s_cbranch_vccnz .LBB150_1580
; %bb.1579:
	v_cndmask_b32_e64 v2, 0, 1.0, s[20:21]
	global_store_dword v[0:1], v2, off
.LBB150_1580:
	s_mov_b64 s[16:17], 0
.LBB150_1581:
	s_andn2_b64 vcc, exec, s[16:17]
	s_cbranch_vccnz .LBB150_1583
; %bb.1582:
	v_cndmask_b32_e64 v2, 0, 1.0, s[20:21]
	v_cvt_f16_f32_e32 v2, v2
	global_store_short v[0:1], v2, off
.LBB150_1583:
	s_mov_b64 s[16:17], 0
.LBB150_1584:
	s_andn2_b64 vcc, exec, s[16:17]
	s_cbranch_vccnz .LBB150_1600
; %bb.1585:
	s_sext_i32_i16 s18, s34
	s_cmp_lt_i32 s18, 2
	s_mov_b64 s[16:17], -1
	s_cbranch_scc1 .LBB150_1595
; %bb.1586:
	s_cmp_lt_i32 s18, 3
	s_cbranch_scc1 .LBB150_1592
; %bb.1587:
	s_cmp_gt_i32 s18, 3
	s_cbranch_scc0 .LBB150_1589
; %bb.1588:
	s_mov_b32 s16, 0
	v_cndmask_b32_e64 v2, 0, 1, s[20:21]
	s_waitcnt vmcnt(0)
	v_mov_b32_e32 v3, s16
	s_mov_b64 s[16:17], 0
	global_store_dwordx2 v[0:1], v[2:3], off
.LBB150_1589:
	s_andn2_b64 vcc, exec, s[16:17]
	s_cbranch_vccnz .LBB150_1591
; %bb.1590:
	v_cndmask_b32_e64 v2, 0, 1, s[20:21]
	global_store_dword v[0:1], v2, off
.LBB150_1591:
	s_mov_b64 s[16:17], 0
.LBB150_1592:
	s_andn2_b64 vcc, exec, s[16:17]
	s_cbranch_vccnz .LBB150_1594
; %bb.1593:
	v_cndmask_b32_e64 v2, 0, 1, s[20:21]
	global_store_short v[0:1], v2, off
.LBB150_1594:
	s_mov_b64 s[16:17], 0
.LBB150_1595:
	s_andn2_b64 vcc, exec, s[16:17]
	s_cbranch_vccnz .LBB150_1600
; %bb.1596:
	s_sext_i32_i16 s18, s34
	s_mov_b64 s[16:17], -1
	s_cmp_gt_i32 s18, 0
	v_cndmask_b32_e64 v2, 0, 1, s[20:21]
	s_cbranch_scc0 .LBB150_1598
; %bb.1597:
	s_mov_b64 s[16:17], 0
	global_store_byte v[0:1], v2, off
.LBB150_1598:
	s_andn2_b64 vcc, exec, s[16:17]
	s_cbranch_vccnz .LBB150_1600
; %bb.1599:
	global_store_byte v[0:1], v2, off
.LBB150_1600:
	s_or_b64 exec, exec, s[0:1]
	s_and_b64 s[16:17], s[24:25], exec
                                        ; implicit-def: $vgpr2
.LBB150_1601:
	s_or_saveexec_b64 s[6:7], s[6:7]
	s_mov_b64 s[0:1], 0
                                        ; implicit-def: $sgpr20_sgpr21
                                        ; implicit-def: $sgpr28
                                        ; implicit-def: $vgpr0_vgpr1
	s_xor_b64 exec, exec, s[6:7]
	s_cbranch_execz .LBB150_2695
; %bb.1602:
	s_waitcnt vmcnt(0)
	v_mul_lo_u32 v3, s13, v2
	v_mov_b32_e32 v1, s11
	s_and_b32 s30, s57, 0xff
	s_cmp_lt_i32 s30, 11
	v_ashrrev_i32_e32 v4, 31, v3
	v_add_co_u32_e32 v0, vcc, s10, v3
	v_addc_co_u32_e32 v1, vcc, v1, v4, vcc
	s_cbranch_scc1 .LBB150_1609
; %bb.1603:
	s_and_b32 s24, 0xffff, s30
	s_cmp_gt_i32 s24, 25
	s_cbranch_scc0 .LBB150_1611
; %bb.1604:
	s_cmp_gt_i32 s24, 28
	s_cbranch_scc0 .LBB150_1612
; %bb.1605:
	s_cmp_gt_i32 s24, 43
	s_cbranch_scc0 .LBB150_1613
; %bb.1606:
	s_cmp_gt_i32 s24, 45
	s_cbranch_scc0 .LBB150_1614
; %bb.1607:
	s_cmp_eq_u32 s24, 46
	s_mov_b64 s[18:19], 0
	s_cbranch_scc0 .LBB150_1617
; %bb.1608:
	global_load_dword v4, v[0:1], off
	s_mov_b64 s[20:21], -1
	s_waitcnt vmcnt(0)
	v_and_b32_e32 v6, 0xffff0000, v4
	v_lshlrev_b32_e32 v4, 16, v4
	v_cvt_f16_f32_e32 v5, v4
	v_cvt_f16_f32_e32 v6, v6
	s_branch .LBB150_1618
.LBB150_1609:
	s_mov_b64 s[20:21], 0
                                        ; implicit-def: $vgpr6
                                        ; implicit-def: $vgpr5
	s_mov_b64 s[18:19], s[16:17]
	s_cbranch_execnz .LBB150_1684
.LBB150_1610:
	s_andn2_b64 vcc, exec, s[20:21]
	s_cbranch_vccz .LBB150_1731
	s_branch .LBB150_2692
.LBB150_1611:
	s_mov_b64 s[20:21], 0
                                        ; implicit-def: $vgpr6
                                        ; implicit-def: $vgpr5
	s_cbranch_execnz .LBB150_1648
	s_branch .LBB150_1680
.LBB150_1612:
	s_mov_b64 s[20:21], 0
                                        ; implicit-def: $vgpr6
                                        ; implicit-def: $vgpr5
	s_cbranch_execnz .LBB150_1630
	s_branch .LBB150_1647
.LBB150_1613:
	s_mov_b64 s[18:19], -1
	s_mov_b64 s[20:21], 0
                                        ; implicit-def: $vgpr6
                                        ; implicit-def: $vgpr5
	s_branch .LBB150_1624
.LBB150_1614:
	s_mov_b64 s[18:19], -1
	s_mov_b64 s[20:21], 0
                                        ; implicit-def: $vgpr6
                                        ; implicit-def: $vgpr5
	s_branch .LBB150_1618
.LBB150_1615:
	s_andn2_saveexec_b64 s[28:29], s[28:29]
	s_cbranch_execz .LBB150_1509
.LBB150_1616:
	v_add_f32_e32 v2, 0x46000000, v3
	v_and_b32_e32 v2, 0xff, v2
	v_cmp_ne_u32_e32 vcc, 0, v2
	s_andn2_b64 s[26:27], s[26:27], exec
	s_and_b64 s[30:31], vcc, exec
	s_or_b64 s[26:27], s[26:27], s[30:31]
	s_or_b64 exec, exec, s[28:29]
	v_mov_b32_e32 v4, 0
	s_and_saveexec_b64 s[28:29], s[26:27]
	s_cbranch_execnz .LBB150_1510
	s_branch .LBB150_1511
.LBB150_1617:
	s_mov_b64 s[0:1], -1
                                        ; implicit-def: $vgpr6
                                        ; implicit-def: $vgpr5
	s_mov_b64 s[20:21], 0
.LBB150_1618:
	s_and_b64 vcc, exec, s[18:19]
	s_cbranch_vccz .LBB150_1623
; %bb.1619:
	s_cmp_eq_u32 s24, 44
	s_cbranch_scc0 .LBB150_1621
; %bb.1620:
	global_load_ubyte v4, v[0:1], off
	s_movk_i32 s18, 0xff
	v_mov_b32_e32 v6, 0x7e00
	s_mov_b64 s[0:1], 0
	s_mov_b64 s[20:21], -1
	s_waitcnt vmcnt(0)
	v_lshlrev_b32_e32 v5, 23, v4
	v_cvt_f16_f32_e32 v5, v5
	v_cmp_ne_u32_e32 vcc, s18, v4
	v_cndmask_b32_e32 v5, v6, v5, vcc
	v_cmp_ne_u32_e32 vcc, 0, v4
	v_cndmask_b32_e32 v5, 0, v5, vcc
	s_branch .LBB150_1622
.LBB150_1621:
	s_mov_b64 s[0:1], -1
                                        ; implicit-def: $vgpr5
.LBB150_1622:
	v_mov_b32_e32 v6, 0
.LBB150_1623:
	s_mov_b64 s[18:19], 0
.LBB150_1624:
	s_and_b64 vcc, exec, s[18:19]
	s_cbranch_vccz .LBB150_1629
; %bb.1625:
	s_cmp_eq_u32 s24, 29
	s_cbranch_scc0 .LBB150_1627
; %bb.1626:
	global_load_dwordx2 v[4:5], v[0:1], off
	s_mov_b64 s[0:1], 0
	s_mov_b64 s[20:21], -1
	s_waitcnt vmcnt(0)
	v_ffbh_u32_e32 v6, v5
	v_min_u32_e32 v6, 32, v6
	v_lshlrev_b64 v[4:5], v6, v[4:5]
	v_min_u32_e32 v4, 1, v4
	v_or_b32_e32 v4, v5, v4
	v_cvt_f32_u32_e32 v4, v4
	v_sub_u32_e32 v5, 32, v6
	v_ldexp_f32 v4, v4, v5
	v_cvt_f16_f32_e32 v5, v4
	s_branch .LBB150_1628
.LBB150_1627:
	s_mov_b64 s[0:1], -1
                                        ; implicit-def: $vgpr5
.LBB150_1628:
	v_mov_b32_e32 v6, 0
.LBB150_1629:
	s_branch .LBB150_1647
.LBB150_1630:
	s_cmp_lt_i32 s24, 27
	s_cbranch_scc1 .LBB150_1633
; %bb.1631:
	s_cmp_gt_i32 s24, 27
	s_cbranch_scc0 .LBB150_1634
; %bb.1632:
	global_load_dword v4, v[0:1], off
	s_mov_b64 s[18:19], 0
	s_waitcnt vmcnt(0)
	v_cvt_f32_u32_e32 v4, v4
	v_cvt_f16_f32_e32 v5, v4
	s_branch .LBB150_1635
.LBB150_1633:
	s_mov_b64 s[18:19], -1
                                        ; implicit-def: $vgpr5
	s_branch .LBB150_1638
.LBB150_1634:
	s_mov_b64 s[18:19], -1
                                        ; implicit-def: $vgpr5
.LBB150_1635:
	s_andn2_b64 vcc, exec, s[18:19]
	s_cbranch_vccnz .LBB150_1637
; %bb.1636:
	global_load_ushort v4, v[0:1], off
	s_waitcnt vmcnt(0)
	v_cvt_f16_u16_e32 v5, v4
.LBB150_1637:
	s_mov_b64 s[18:19], 0
.LBB150_1638:
	s_andn2_b64 vcc, exec, s[18:19]
	s_cbranch_vccnz .LBB150_1646
; %bb.1639:
	global_load_ubyte v4, v[0:1], off
	s_movk_i32 s18, 0x7f
	s_waitcnt vmcnt(0)
	v_cmp_lt_i16_e32 vcc, s18, v4
	s_mov_b64 s[18:19], 0
	s_and_saveexec_b64 s[20:21], vcc
	s_xor_b64 s[20:21], exec, s[20:21]
	s_cbranch_execz .LBB150_1659
; %bb.1640:
	s_movk_i32 s18, 0x80
	v_cmp_eq_u16_e32 vcc, s18, v4
	s_mov_b64 s[18:19], -1
	s_and_saveexec_b64 s[22:23], vcc
; %bb.1641:
	s_xor_b64 s[18:19], exec, -1
; %bb.1642:
	s_or_b64 exec, exec, s[22:23]
	s_and_b64 s[18:19], s[18:19], exec
	s_or_saveexec_b64 s[20:21], s[20:21]
	v_mov_b32_e32 v5, 0x7e00
	s_xor_b64 exec, exec, s[20:21]
	s_cbranch_execnz .LBB150_1660
.LBB150_1643:
	s_or_b64 exec, exec, s[20:21]
	s_and_saveexec_b64 s[20:21], s[18:19]
	s_cbranch_execz .LBB150_1645
.LBB150_1644:
	v_lshlrev_b32_e32 v5, 24, v4
	v_and_b32_e32 v4, 0xffff, v4
	v_and_b32_e32 v6, 7, v4
	v_ffbh_u32_e32 v8, v6
	v_min_u32_e32 v8, 32, v8
	v_subrev_u32_e32 v9, 28, v8
	v_bfe_u32 v7, v4, 3, 4
	v_lshlrev_b32_e32 v4, v9, v4
	v_sub_u32_e32 v8, 29, v8
	v_and_b32_e32 v4, 7, v4
	v_cmp_eq_u32_e32 vcc, 0, v7
	v_cndmask_b32_e32 v7, v7, v8, vcc
	v_cndmask_b32_e32 v4, v6, v4, vcc
	v_mov_b32_e32 v6, 0x3b800000
	v_lshlrev_b32_e32 v4, 20, v4
	v_and_b32_e32 v5, 0x80000000, v5
	v_lshl_add_u32 v6, v7, 23, v6
	v_or3_b32 v4, v5, v6, v4
	v_cvt_f16_f32_e32 v5, v4
.LBB150_1645:
	s_or_b64 exec, exec, s[20:21]
.LBB150_1646:
	s_mov_b64 s[20:21], -1
	v_mov_b32_e32 v6, 0
.LBB150_1647:
	s_branch .LBB150_1680
.LBB150_1648:
	s_cmp_gt_i32 s24, 22
	s_cbranch_scc0 .LBB150_1658
; %bb.1649:
	s_cmp_lt_i32 s24, 24
	s_cbranch_scc1 .LBB150_1661
; %bb.1650:
	s_cmp_gt_i32 s24, 24
	s_cbranch_scc0 .LBB150_1662
; %bb.1651:
	global_load_ubyte v4, v[0:1], off
	s_movk_i32 s4, 0x7f
	s_waitcnt vmcnt(0)
	v_cmp_lt_i16_e32 vcc, s4, v4
	s_mov_b64 s[4:5], 0
	s_and_saveexec_b64 s[18:19], vcc
	s_xor_b64 s[18:19], exec, s[18:19]
	s_cbranch_execz .LBB150_1673
; %bb.1652:
	s_movk_i32 s4, 0x80
	v_cmp_eq_u16_e32 vcc, s4, v4
	s_mov_b64 s[4:5], -1
	s_and_saveexec_b64 s[20:21], vcc
; %bb.1653:
	s_xor_b64 s[4:5], exec, -1
; %bb.1654:
	s_or_b64 exec, exec, s[20:21]
	s_and_b64 s[4:5], s[4:5], exec
	s_or_saveexec_b64 s[18:19], s[18:19]
	v_mov_b32_e32 v5, 0x7e00
	s_xor_b64 exec, exec, s[18:19]
	s_cbranch_execnz .LBB150_1674
.LBB150_1655:
	s_or_b64 exec, exec, s[18:19]
	s_and_saveexec_b64 s[18:19], s[4:5]
	s_cbranch_execz .LBB150_1657
.LBB150_1656:
	v_lshlrev_b32_e32 v5, 24, v4
	v_and_b32_e32 v4, 0xffff, v4
	v_and_b32_e32 v6, 3, v4
	v_ffbh_u32_e32 v8, v6
	v_min_u32_e32 v8, 32, v8
	v_subrev_u32_e32 v9, 29, v8
	v_bfe_u32 v7, v4, 2, 5
	v_lshlrev_b32_e32 v4, v9, v4
	v_sub_u32_e32 v8, 30, v8
	v_and_b32_e32 v4, 3, v4
	v_cmp_eq_u32_e32 vcc, 0, v7
	v_cndmask_b32_e32 v7, v7, v8, vcc
	v_cndmask_b32_e32 v4, v6, v4, vcc
	v_mov_b32_e32 v6, 0x37800000
	v_lshlrev_b32_e32 v4, 21, v4
	v_and_b32_e32 v5, 0x80000000, v5
	v_lshl_add_u32 v6, v7, 23, v6
	v_or3_b32 v4, v5, v6, v4
	v_cvt_f16_f32_e32 v5, v4
.LBB150_1657:
	s_or_b64 exec, exec, s[18:19]
	s_mov_b64 s[4:5], 0
	s_branch .LBB150_1663
.LBB150_1658:
                                        ; implicit-def: $vgpr5
	s_mov_b64 s[4:5], 0
	s_branch .LBB150_1669
.LBB150_1659:
	s_or_saveexec_b64 s[20:21], s[20:21]
	v_mov_b32_e32 v5, 0x7e00
	s_xor_b64 exec, exec, s[20:21]
	s_cbranch_execz .LBB150_1643
.LBB150_1660:
	v_cmp_ne_u16_e32 vcc, 0, v4
	s_andn2_b64 s[18:19], s[18:19], exec
	s_and_b64 s[22:23], vcc, exec
	s_or_b64 s[18:19], s[18:19], s[22:23]
	v_mov_b32_e32 v5, v4
	s_or_b64 exec, exec, s[20:21]
	s_and_saveexec_b64 s[20:21], s[18:19]
	s_cbranch_execnz .LBB150_1644
	s_branch .LBB150_1645
.LBB150_1661:
	s_mov_b64 s[4:5], -1
                                        ; implicit-def: $vgpr5
	s_branch .LBB150_1666
.LBB150_1662:
	s_mov_b64 s[4:5], -1
                                        ; implicit-def: $vgpr5
.LBB150_1663:
	s_and_b64 vcc, exec, s[4:5]
	s_cbranch_vccz .LBB150_1665
; %bb.1664:
	global_load_ubyte v4, v[0:1], off
	s_mov_b32 s4, 0x7f800000
	s_waitcnt vmcnt(0)
	v_lshlrev_b32_e32 v4, 24, v4
	v_and_b32_e32 v5, 0x7f000000, v4
	v_ffbh_u32_e32 v6, v5
	v_min_u32_e32 v6, 32, v6
	v_sub_u32_e64 v6, v6, 4 clamp
	v_lshlrev_b32_e32 v8, v6, v5
	v_lshlrev_b32_e32 v6, 23, v6
	v_lshrrev_b32_e32 v8, 4, v8
	v_add_u32_e32 v7, 0x1000000, v5
	v_sub_u32_e32 v6, v8, v6
	v_ashrrev_i32_e32 v7, 8, v7
	v_add_u32_e32 v6, 0x3c000000, v6
	v_and_or_b32 v6, v7, s4, v6
	v_cmp_ne_u32_e32 vcc, 0, v5
	v_cndmask_b32_e32 v5, 0, v6, vcc
	s_brev_b32 s4, 1
	v_and_or_b32 v4, v4, s4, v5
	v_cvt_f16_f32_e32 v5, v4
.LBB150_1665:
	s_mov_b64 s[4:5], 0
.LBB150_1666:
	s_andn2_b64 vcc, exec, s[4:5]
	s_cbranch_vccnz .LBB150_1668
; %bb.1667:
	global_load_ubyte v4, v[0:1], off
	s_movk_i32 s4, 0x7f00
	s_brev_b32 s5, 16
	s_waitcnt vmcnt(0)
	v_lshlrev_b16_e32 v5, 8, v4
	v_lshlrev_b32_e32 v4, 25, v4
	v_lshrrev_b32_e32 v6, 4, v4
	v_and_or_b32 v7, v5, s4, 0.5
	v_or_b32_e32 v6, 0x70000000, v6
	v_add_f32_e32 v7, -0.5, v7
	v_mul_f32_e32 v6, 0x7800000, v6
	v_cmp_gt_u32_e32 vcc, s5, v4
	v_bfe_i32 v5, v5, 0, 16
	v_cndmask_b32_e32 v4, v6, v7, vcc
	s_brev_b32 s4, 1
	v_and_or_b32 v4, v5, s4, v4
	v_cvt_f16_f32_e32 v5, v4
.LBB150_1668:
	s_mov_b64 s[20:21], -1
	s_mov_b64 s[4:5], 0
	s_cbranch_execnz .LBB150_1679
.LBB150_1669:
	s_cmp_gt_i32 s24, 14
	s_cbranch_scc0 .LBB150_1672
; %bb.1670:
	s_cmp_eq_u32 s24, 15
	s_cbranch_scc0 .LBB150_1675
; %bb.1671:
	global_load_ushort v4, v[0:1], off
	s_mov_b64 s[0:1], 0
	s_mov_b64 s[20:21], -1
	s_waitcnt vmcnt(0)
	v_lshlrev_b32_e32 v4, 16, v4
	v_cvt_f16_f32_e32 v5, v4
	s_branch .LBB150_1676
.LBB150_1672:
	s_mov_b64 s[18:19], -1
                                        ; implicit-def: $vgpr5
	s_branch .LBB150_1677
.LBB150_1673:
	s_or_saveexec_b64 s[18:19], s[18:19]
	v_mov_b32_e32 v5, 0x7e00
	s_xor_b64 exec, exec, s[18:19]
	s_cbranch_execz .LBB150_1655
.LBB150_1674:
	v_cmp_ne_u16_e32 vcc, 0, v4
	s_andn2_b64 s[4:5], s[4:5], exec
	s_and_b64 s[20:21], vcc, exec
	s_or_b64 s[4:5], s[4:5], s[20:21]
	v_mov_b32_e32 v5, v4
	s_or_b64 exec, exec, s[18:19]
	s_and_saveexec_b64 s[18:19], s[4:5]
	s_cbranch_execnz .LBB150_1656
	s_branch .LBB150_1657
.LBB150_1675:
	s_mov_b64 s[0:1], -1
                                        ; implicit-def: $vgpr5
.LBB150_1676:
	s_mov_b64 s[18:19], 0
.LBB150_1677:
	s_and_b64 vcc, exec, s[18:19]
	s_cbranch_vccz .LBB150_1679
; %bb.1678:
	s_cmp_lg_u32 s24, 11
	s_mov_b64 s[4:5], -1
	s_cselect_b64 s[0:1], -1, 0
.LBB150_1679:
	v_mov_b32_e32 v6, 0
.LBB150_1680:
	s_and_b64 vcc, exec, s[0:1]
	s_mov_b64 s[18:19], s[16:17]
	s_cbranch_vccnz .LBB150_1743
; %bb.1681:
	s_andn2_b64 vcc, exec, s[4:5]
	s_cbranch_vccnz .LBB150_1683
.LBB150_1682:
	global_load_ubyte v4, v[0:1], off
	v_mov_b32_e32 v5, 0x3c00
	v_mov_b32_e32 v6, 0
	s_mov_b64 s[20:21], -1
	s_waitcnt vmcnt(0)
	v_cmp_ne_u16_e32 vcc, 0, v4
	v_cndmask_b32_e32 v5, 0, v5, vcc
.LBB150_1683:
	s_branch .LBB150_1610
.LBB150_1684:
	s_and_b32 s4, 0xffff, s30
	s_cmp_lt_i32 s4, 5
	s_cbranch_scc1 .LBB150_1689
; %bb.1685:
	s_cmp_lt_i32 s4, 8
	s_cbranch_scc1 .LBB150_1691
; %bb.1686:
	;; [unrolled: 3-line block ×3, first 2 shown]
	s_cmp_gt_i32 s4, 9
	s_cbranch_scc0 .LBB150_1693
; %bb.1688:
	global_load_dwordx4 v[4:7], v[0:1], off
	s_movk_i32 s0, 0x1ff
	s_movk_i32 s1, 0xffe
	v_mov_b32_e32 v8, 0x7c00
	v_mov_b32_e32 v9, 0x7e00
	s_movk_i32 s5, 0x40f
	s_mov_b32 s20, 0x8000
	s_waitcnt vmcnt(0)
	v_and_or_b32 v4, v5, s0, v4
	v_and_or_b32 v6, v7, s0, v6
	v_cmp_ne_u32_e32 vcc, 0, v4
	v_lshrrev_b32_e32 v10, 8, v5
	v_cndmask_b32_e64 v4, 0, 1, vcc
	v_cmp_ne_u32_e32 vcc, 0, v6
	v_bfe_u32 v11, v5, 20, 11
	v_lshrrev_b32_e32 v12, 8, v7
	v_bfe_u32 v13, v7, 20, 11
	v_cndmask_b32_e64 v6, 0, 1, vcc
	v_and_or_b32 v4, v10, s1, v4
	v_sub_u32_e32 v14, 0x3f1, v11
	v_add_u32_e32 v11, 0xfffffc10, v11
	v_sub_u32_e32 v15, 0x3f1, v13
	v_and_or_b32 v6, v12, s1, v6
	v_cmp_ne_u32_e32 vcc, 0, v4
	v_add_u32_e32 v13, 0xfffffc10, v13
	v_med3_i32 v10, v14, 0, 13
	v_med3_i32 v12, v15, 0, 13
	v_or_b32_e32 v14, 0x1000, v4
	v_lshl_or_b32 v15, v11, 12, v4
	v_cndmask_b32_e32 v4, v8, v9, vcc
	v_cmp_ne_u32_e32 vcc, 0, v6
	v_or_b32_e32 v16, 0x1000, v6
	v_lshl_or_b32 v17, v13, 12, v6
	v_cndmask_b32_e32 v6, v8, v9, vcc
	v_lshrrev_b32_e32 v9, v10, v14
	v_lshrrev_b32_e32 v18, v12, v16
	v_lshlrev_b32_e32 v10, v10, v9
	v_lshlrev_b32_e32 v12, v12, v18
	v_cmp_ne_u32_e32 vcc, v10, v14
	v_cndmask_b32_e64 v10, 0, 1, vcc
	v_cmp_ne_u32_e32 vcc, v12, v16
	v_cndmask_b32_e64 v12, 0, 1, vcc
	v_or_b32_e32 v9, v9, v10
	v_cmp_gt_i32_e32 vcc, 1, v11
	v_cndmask_b32_e32 v9, v15, v9, vcc
	v_or_b32_e32 v10, v18, v12
	v_cmp_gt_i32_e32 vcc, 1, v13
	v_and_b32_e32 v12, 7, v9
	v_cndmask_b32_e32 v10, v17, v10, vcc
	v_cmp_lt_i32_e32 vcc, 5, v12
	v_and_b32_e32 v14, 7, v10
	v_cndmask_b32_e64 v15, 0, 1, vcc
	v_cmp_eq_u32_e32 vcc, 3, v12
	v_cndmask_b32_e64 v12, 0, 1, vcc
	v_cmp_lt_i32_e32 vcc, 5, v14
	v_cndmask_b32_e64 v16, 0, 1, vcc
	v_cmp_eq_u32_e32 vcc, 3, v14
	v_lshrrev_b32_e32 v9, 2, v9
	v_cndmask_b32_e64 v14, 0, 1, vcc
	v_or_b32_e32 v12, v12, v15
	v_lshrrev_b32_e32 v10, 2, v10
	v_or_b32_e32 v14, v14, v16
	v_add_u32_e32 v9, v9, v12
	v_cmp_gt_i32_e32 vcc, 31, v11
	v_add_u32_e32 v10, v10, v14
	v_cndmask_b32_e32 v9, v8, v9, vcc
	v_cmp_gt_i32_e32 vcc, 31, v13
	v_cndmask_b32_e32 v8, v8, v10, vcc
	v_cmp_eq_u32_e32 vcc, s5, v11
	v_cndmask_b32_e32 v4, v9, v4, vcc
	v_cmp_eq_u32_e32 vcc, s5, v13
	v_lshrrev_b32_e32 v5, 16, v5
	v_lshrrev_b32_e32 v7, 16, v7
	v_cndmask_b32_e32 v6, v8, v6, vcc
	v_and_or_b32 v5, v5, s20, v4
	v_and_or_b32 v6, v7, s20, v6
	s_mov_b64 s[0:1], 0
	s_branch .LBB150_1694
.LBB150_1689:
                                        ; implicit-def: $vgpr6
                                        ; implicit-def: $vgpr5
	s_branch .LBB150_1712
.LBB150_1690:
	s_branch .LBB150_1731
.LBB150_1691:
                                        ; implicit-def: $vgpr6
                                        ; implicit-def: $vgpr5
	s_branch .LBB150_1700
.LBB150_1692:
	s_mov_b64 s[0:1], -1
                                        ; implicit-def: $vgpr6
                                        ; implicit-def: $vgpr5
	s_branch .LBB150_1697
.LBB150_1693:
	s_mov_b64 s[0:1], -1
                                        ; implicit-def: $vgpr6
                                        ; implicit-def: $vgpr5
.LBB150_1694:
	s_andn2_b64 vcc, exec, s[0:1]
	s_cbranch_vccnz .LBB150_1696
; %bb.1695:
	global_load_dwordx2 v[5:6], v[0:1], off
	s_waitcnt vmcnt(0)
	v_cvt_f16_f32_e32 v5, v5
	v_cvt_f16_f32_e32 v6, v6
.LBB150_1696:
	s_mov_b64 s[0:1], 0
.LBB150_1697:
	s_andn2_b64 vcc, exec, s[0:1]
	s_cbranch_vccnz .LBB150_1699
; %bb.1698:
	global_load_dword v5, v[0:1], off
	s_waitcnt vmcnt(0)
	v_lshrrev_b32_e32 v6, 16, v5
.LBB150_1699:
	s_cbranch_execnz .LBB150_1711
.LBB150_1700:
	s_cmp_lt_i32 s4, 6
	s_cbranch_scc1 .LBB150_1703
; %bb.1701:
	s_cmp_gt_i32 s4, 6
	s_cbranch_scc0 .LBB150_1704
; %bb.1702:
	global_load_dwordx2 v[4:5], v[0:1], off
	s_movk_i32 s0, 0x1ff
	s_movk_i32 s1, 0xffe
	v_mov_b32_e32 v6, 0x7c00
	v_mov_b32_e32 v7, 0x7e00
	s_movk_i32 s5, 0x40f
	s_mov_b32 s20, 0x8000
	s_waitcnt vmcnt(0)
	v_and_or_b32 v4, v5, s0, v4
	v_cmp_ne_u32_e32 vcc, 0, v4
	v_lshrrev_b32_e32 v8, 8, v5
	v_bfe_u32 v9, v5, 20, 11
	v_cndmask_b32_e64 v4, 0, 1, vcc
	v_sub_u32_e32 v10, 0x3f1, v9
	v_and_or_b32 v4, v8, s1, v4
	v_add_u32_e32 v9, 0xfffffc10, v9
	v_med3_i32 v8, v10, 0, 13
	v_or_b32_e32 v10, 0x1000, v4
	v_cmp_ne_u32_e32 vcc, 0, v4
	v_lshl_or_b32 v11, v9, 12, v4
	v_cndmask_b32_e32 v4, v6, v7, vcc
	v_lshrrev_b32_e32 v7, v8, v10
	v_lshlrev_b32_e32 v8, v8, v7
	v_cmp_ne_u32_e32 vcc, v8, v10
	v_cndmask_b32_e64 v8, 0, 1, vcc
	v_or_b32_e32 v7, v7, v8
	v_cmp_gt_i32_e32 vcc, 1, v9
	v_cndmask_b32_e32 v7, v11, v7, vcc
	v_and_b32_e32 v8, 7, v7
	v_cmp_lt_i32_e32 vcc, 5, v8
	v_cndmask_b32_e64 v10, 0, 1, vcc
	v_cmp_eq_u32_e32 vcc, 3, v8
	v_cndmask_b32_e64 v8, 0, 1, vcc
	v_lshrrev_b32_e32 v7, 2, v7
	v_or_b32_e32 v8, v8, v10
	v_add_u32_e32 v7, v7, v8
	v_cmp_gt_i32_e32 vcc, 31, v9
	v_cndmask_b32_e32 v6, v6, v7, vcc
	v_cmp_eq_u32_e32 vcc, s5, v9
	v_lshrrev_b32_e32 v5, 16, v5
	v_cndmask_b32_e32 v4, v6, v4, vcc
	v_and_or_b32 v5, v5, s20, v4
	s_mov_b64 s[0:1], 0
	s_branch .LBB150_1705
.LBB150_1703:
	s_mov_b64 s[0:1], -1
                                        ; implicit-def: $vgpr5
	s_branch .LBB150_1708
.LBB150_1704:
	s_mov_b64 s[0:1], -1
                                        ; implicit-def: $vgpr5
.LBB150_1705:
	s_andn2_b64 vcc, exec, s[0:1]
	s_cbranch_vccnz .LBB150_1707
; %bb.1706:
	global_load_dword v4, v[0:1], off
	s_waitcnt vmcnt(0)
	v_cvt_f16_f32_e32 v5, v4
.LBB150_1707:
	s_mov_b64 s[0:1], 0
.LBB150_1708:
	s_andn2_b64 vcc, exec, s[0:1]
	s_cbranch_vccnz .LBB150_1710
; %bb.1709:
	global_load_ushort v5, v[0:1], off
.LBB150_1710:
	v_mov_b32_e32 v6, 0
.LBB150_1711:
	s_cbranch_execnz .LBB150_1690
.LBB150_1712:
	s_cmp_lt_i32 s4, 2
	s_cbranch_scc1 .LBB150_1716
; %bb.1713:
	s_cmp_lt_i32 s4, 3
	s_cbranch_scc1 .LBB150_1717
; %bb.1714:
	s_cmp_gt_i32 s4, 3
	s_cbranch_scc0 .LBB150_1718
; %bb.1715:
	global_load_dwordx2 v[4:5], v[0:1], off
	s_mov_b64 s[0:1], 0
	s_waitcnt vmcnt(0)
	v_xor_b32_e32 v7, v4, v5
	v_ffbh_i32_e32 v6, v5
	v_ashrrev_i32_e32 v7, 31, v7
	v_add_u32_e32 v6, -1, v6
	v_add_u32_e32 v7, 32, v7
	v_min_u32_e32 v6, v6, v7
	v_lshlrev_b64 v[4:5], v6, v[4:5]
	v_min_u32_e32 v4, 1, v4
	v_or_b32_e32 v4, v5, v4
	v_cvt_f32_i32_e32 v4, v4
	v_sub_u32_e32 v5, 32, v6
	v_ldexp_f32 v4, v4, v5
	v_cvt_f16_f32_e32 v5, v4
	s_branch .LBB150_1719
.LBB150_1716:
                                        ; implicit-def: $vgpr5
	s_branch .LBB150_1725
.LBB150_1717:
	s_mov_b64 s[0:1], -1
                                        ; implicit-def: $vgpr5
	s_branch .LBB150_1722
.LBB150_1718:
	s_mov_b64 s[0:1], -1
                                        ; implicit-def: $vgpr5
.LBB150_1719:
	s_andn2_b64 vcc, exec, s[0:1]
	s_cbranch_vccnz .LBB150_1721
; %bb.1720:
	global_load_dword v4, v[0:1], off
	s_waitcnt vmcnt(0)
	v_cvt_f32_i32_e32 v4, v4
	v_cvt_f16_f32_e32 v5, v4
.LBB150_1721:
	s_mov_b64 s[0:1], 0
.LBB150_1722:
	s_andn2_b64 vcc, exec, s[0:1]
	s_cbranch_vccnz .LBB150_1724
; %bb.1723:
	global_load_ushort v4, v[0:1], off
	s_waitcnt vmcnt(0)
	v_cvt_f16_i16_e32 v5, v4
.LBB150_1724:
	s_cbranch_execnz .LBB150_1730
.LBB150_1725:
	s_cmp_gt_i32 s4, 0
	s_cbranch_scc0 .LBB150_1727
; %bb.1726:
	global_load_sbyte v4, v[0:1], off
	s_mov_b64 s[0:1], 0
	s_waitcnt vmcnt(0)
	v_cvt_f16_i16_e32 v5, v4
	s_branch .LBB150_1728
.LBB150_1727:
	s_mov_b64 s[0:1], -1
                                        ; implicit-def: $vgpr5
.LBB150_1728:
	s_andn2_b64 vcc, exec, s[0:1]
	s_cbranch_vccnz .LBB150_1730
; %bb.1729:
	global_load_ubyte v0, v[0:1], off
	s_waitcnt vmcnt(0)
	v_cvt_f16_u16_e32 v5, v0
.LBB150_1730:
	v_mov_b32_e32 v6, 0
.LBB150_1731:
	v_mul_lo_u32 v4, s14, v2
	v_mov_b32_e32 v1, s3
	s_and_b32 s31, s56, 0xff
	s_cmp_lt_i32 s31, 11
	v_ashrrev_i32_e32 v7, 31, v4
	v_add_co_u32_e32 v0, vcc, s2, v4
	v_addc_co_u32_e32 v1, vcc, v1, v7, vcc
	s_cbranch_scc1 .LBB150_1738
; %bb.1732:
	s_and_b32 s26, 0xffff, s31
	s_cmp_gt_i32 s26, 25
	s_mov_b64 s[4:5], 0
	s_cbranch_scc0 .LBB150_1740
; %bb.1733:
	s_cmp_gt_i32 s26, 28
	s_cbranch_scc0 .LBB150_1741
; %bb.1734:
	s_cmp_gt_i32 s26, 43
	;; [unrolled: 3-line block ×3, first 2 shown]
	s_cbranch_scc0 .LBB150_1744
; %bb.1736:
	s_cmp_eq_u32 s26, 46
	s_mov_b64 s[22:23], 0
	s_cbranch_scc0 .LBB150_1747
; %bb.1737:
	global_load_dword v7, v[0:1], off
	s_mov_b64 s[0:1], 0
	s_mov_b64 s[20:21], -1
	s_waitcnt vmcnt(0)
	v_and_b32_e32 v8, 0xffff0000, v7
	v_lshlrev_b32_e32 v7, 16, v7
	v_cvt_f16_f32_e32 v7, v7
	v_cvt_f16_f32_e32 v8, v8
	s_branch .LBB150_1748
.LBB150_1738:
	s_mov_b64 s[20:21], 0
                                        ; implicit-def: $vgpr8
                                        ; implicit-def: $vgpr7
	s_cbranch_execnz .LBB150_1816
.LBB150_1739:
	s_andn2_b64 vcc, exec, s[20:21]
	s_cbranch_vccnz .LBB150_2692
	s_branch .LBB150_1865
.LBB150_1740:
	s_mov_b64 s[20:21], 0
	s_mov_b64 s[0:1], 0
                                        ; implicit-def: $vgpr8
                                        ; implicit-def: $vgpr7
	s_cbranch_execnz .LBB150_1779
	s_branch .LBB150_1812
.LBB150_1741:
	s_mov_b64 s[22:23], -1
	s_mov_b64 s[20:21], 0
	s_mov_b64 s[0:1], 0
                                        ; implicit-def: $vgpr8
                                        ; implicit-def: $vgpr7
	s_branch .LBB150_1760
.LBB150_1742:
	s_mov_b64 s[22:23], -1
	s_mov_b64 s[20:21], 0
	s_mov_b64 s[0:1], 0
                                        ; implicit-def: $vgpr8
                                        ; implicit-def: $vgpr7
	s_branch .LBB150_1754
.LBB150_1743:
	s_trap 2
	s_or_b64 s[18:19], s[16:17], exec
	s_cbranch_execz .LBB150_1682
	s_branch .LBB150_1683
.LBB150_1744:
	s_mov_b64 s[22:23], -1
	s_mov_b64 s[20:21], 0
	s_mov_b64 s[0:1], 0
                                        ; implicit-def: $vgpr8
                                        ; implicit-def: $vgpr7
	s_branch .LBB150_1748
.LBB150_1745:
	s_andn2_saveexec_b64 s[30:31], s[30:31]
	s_cbranch_execz .LBB150_1521
.LBB150_1746:
	v_add_f32_e32 v2, 0x42800000, v3
	v_and_b32_e32 v2, 0xff, v2
	v_cmp_ne_u32_e32 vcc, 0, v2
	s_andn2_b64 s[28:29], s[28:29], exec
	s_and_b64 s[36:37], vcc, exec
	s_or_b64 s[28:29], s[28:29], s[36:37]
	s_or_b64 exec, exec, s[30:31]
	v_mov_b32_e32 v4, 0
	s_and_saveexec_b64 s[30:31], s[28:29]
	s_cbranch_execnz .LBB150_1522
	s_branch .LBB150_1523
.LBB150_1747:
	s_mov_b64 s[0:1], -1
                                        ; implicit-def: $vgpr8
                                        ; implicit-def: $vgpr7
	s_mov_b64 s[20:21], 0
.LBB150_1748:
	s_and_b64 vcc, exec, s[22:23]
	s_cbranch_vccz .LBB150_1753
; %bb.1749:
	s_cmp_eq_u32 s26, 44
	s_cbranch_scc0 .LBB150_1751
; %bb.1750:
	global_load_ubyte v7, v[0:1], off
	s_movk_i32 s20, 0xff
	v_mov_b32_e32 v9, 0x7e00
	s_mov_b64 s[0:1], 0
	s_waitcnt vmcnt(0)
	v_lshlrev_b32_e32 v8, 23, v7
	v_cvt_f16_f32_e32 v8, v8
	v_cmp_ne_u32_e32 vcc, s20, v7
	s_mov_b64 s[20:21], -1
	v_cndmask_b32_e32 v8, v9, v8, vcc
	v_cmp_ne_u32_e32 vcc, 0, v7
	v_cndmask_b32_e32 v7, 0, v8, vcc
	s_branch .LBB150_1752
.LBB150_1751:
	s_mov_b64 s[0:1], -1
                                        ; implicit-def: $vgpr7
.LBB150_1752:
	v_mov_b32_e32 v8, 0
.LBB150_1753:
	s_mov_b64 s[22:23], 0
.LBB150_1754:
	s_and_b64 vcc, exec, s[22:23]
	s_cbranch_vccz .LBB150_1759
; %bb.1755:
	s_cmp_eq_u32 s26, 29
	s_cbranch_scc0 .LBB150_1757
; %bb.1756:
	global_load_dwordx2 v[7:8], v[0:1], off
	s_mov_b64 s[0:1], 0
	s_mov_b64 s[20:21], -1
	s_waitcnt vmcnt(0)
	v_ffbh_u32_e32 v9, v8
	v_min_u32_e32 v9, 32, v9
	v_lshlrev_b64 v[7:8], v9, v[7:8]
	v_min_u32_e32 v7, 1, v7
	v_or_b32_e32 v7, v8, v7
	v_cvt_f32_u32_e32 v7, v7
	v_sub_u32_e32 v8, 32, v9
	v_ldexp_f32 v7, v7, v8
	v_cvt_f16_f32_e32 v7, v7
	s_branch .LBB150_1758
.LBB150_1757:
	s_mov_b64 s[0:1], -1
                                        ; implicit-def: $vgpr7
.LBB150_1758:
	v_mov_b32_e32 v8, 0
.LBB150_1759:
	s_mov_b64 s[22:23], 0
.LBB150_1760:
	s_and_b64 vcc, exec, s[22:23]
	s_cbranch_vccz .LBB150_1778
; %bb.1761:
	s_cmp_lt_i32 s26, 27
	s_cbranch_scc1 .LBB150_1764
; %bb.1762:
	s_cmp_gt_i32 s26, 27
	s_cbranch_scc0 .LBB150_1765
; %bb.1763:
	global_load_dword v7, v[0:1], off
	s_mov_b64 s[20:21], 0
	s_waitcnt vmcnt(0)
	v_cvt_f32_u32_e32 v7, v7
	v_cvt_f16_f32_e32 v7, v7
	s_branch .LBB150_1766
.LBB150_1764:
	s_mov_b64 s[20:21], -1
                                        ; implicit-def: $vgpr7
	s_branch .LBB150_1769
.LBB150_1765:
	s_mov_b64 s[20:21], -1
                                        ; implicit-def: $vgpr7
.LBB150_1766:
	s_andn2_b64 vcc, exec, s[20:21]
	s_cbranch_vccnz .LBB150_1768
; %bb.1767:
	global_load_ushort v7, v[0:1], off
	s_waitcnt vmcnt(0)
	v_cvt_f16_u16_e32 v7, v7
.LBB150_1768:
	s_mov_b64 s[20:21], 0
.LBB150_1769:
	s_andn2_b64 vcc, exec, s[20:21]
	s_cbranch_vccnz .LBB150_1777
; %bb.1770:
	global_load_ubyte v8, v[0:1], off
	s_movk_i32 s20, 0x7f
	s_waitcnt vmcnt(0)
	v_cmp_lt_i16_e32 vcc, s20, v8
	s_mov_b64 s[20:21], 0
	s_and_saveexec_b64 s[22:23], vcc
	s_xor_b64 s[22:23], exec, s[22:23]
	s_cbranch_execz .LBB150_1790
; %bb.1771:
	s_movk_i32 s20, 0x80
	v_cmp_eq_u16_e32 vcc, s20, v8
	s_mov_b64 s[20:21], -1
	s_and_saveexec_b64 s[24:25], vcc
; %bb.1772:
	s_xor_b64 s[20:21], exec, -1
; %bb.1773:
	s_or_b64 exec, exec, s[24:25]
	s_and_b64 s[20:21], s[20:21], exec
	s_or_saveexec_b64 s[22:23], s[22:23]
	v_mov_b32_e32 v7, 0x7e00
	s_xor_b64 exec, exec, s[22:23]
	s_cbranch_execnz .LBB150_1791
.LBB150_1774:
	s_or_b64 exec, exec, s[22:23]
	s_and_saveexec_b64 s[22:23], s[20:21]
	s_cbranch_execz .LBB150_1776
.LBB150_1775:
	v_lshlrev_b32_e32 v7, 24, v8
	v_and_b32_e32 v8, 0xffff, v8
	v_and_b32_e32 v9, 7, v8
	v_ffbh_u32_e32 v11, v9
	v_min_u32_e32 v11, 32, v11
	v_subrev_u32_e32 v12, 28, v11
	v_bfe_u32 v10, v8, 3, 4
	v_lshlrev_b32_e32 v8, v12, v8
	v_sub_u32_e32 v11, 29, v11
	v_and_b32_e32 v8, 7, v8
	v_cmp_eq_u32_e32 vcc, 0, v10
	v_cndmask_b32_e32 v10, v10, v11, vcc
	v_cndmask_b32_e32 v8, v9, v8, vcc
	v_mov_b32_e32 v9, 0x3b800000
	v_lshlrev_b32_e32 v8, 20, v8
	v_and_b32_e32 v7, 0x80000000, v7
	v_lshl_add_u32 v9, v10, 23, v9
	v_or3_b32 v7, v7, v9, v8
	v_cvt_f16_f32_e32 v7, v7
.LBB150_1776:
	s_or_b64 exec, exec, s[22:23]
.LBB150_1777:
	s_mov_b64 s[20:21], -1
	v_mov_b32_e32 v8, 0
.LBB150_1778:
	s_branch .LBB150_1812
.LBB150_1779:
	s_cmp_gt_i32 s26, 22
	s_cbranch_scc0 .LBB150_1789
; %bb.1780:
	s_cmp_lt_i32 s26, 24
	s_cbranch_scc1 .LBB150_1792
; %bb.1781:
	s_cmp_gt_i32 s26, 24
	s_cbranch_scc0 .LBB150_1793
; %bb.1782:
	global_load_ubyte v8, v[0:1], off
	s_movk_i32 s4, 0x7f
	s_waitcnt vmcnt(0)
	v_cmp_lt_i16_e32 vcc, s4, v8
	s_mov_b64 s[4:5], 0
	s_and_saveexec_b64 s[20:21], vcc
	s_xor_b64 s[20:21], exec, s[20:21]
	s_cbranch_execz .LBB150_1805
; %bb.1783:
	s_movk_i32 s4, 0x80
	v_cmp_eq_u16_e32 vcc, s4, v8
	s_mov_b64 s[4:5], -1
	s_and_saveexec_b64 s[22:23], vcc
; %bb.1784:
	s_xor_b64 s[4:5], exec, -1
; %bb.1785:
	s_or_b64 exec, exec, s[22:23]
	s_and_b64 s[4:5], s[4:5], exec
	s_or_saveexec_b64 s[20:21], s[20:21]
	v_mov_b32_e32 v7, 0x7e00
	s_xor_b64 exec, exec, s[20:21]
	s_cbranch_execnz .LBB150_1806
.LBB150_1786:
	s_or_b64 exec, exec, s[20:21]
	s_and_saveexec_b64 s[20:21], s[4:5]
	s_cbranch_execz .LBB150_1788
.LBB150_1787:
	v_lshlrev_b32_e32 v7, 24, v8
	v_and_b32_e32 v8, 0xffff, v8
	v_and_b32_e32 v9, 3, v8
	v_ffbh_u32_e32 v11, v9
	v_min_u32_e32 v11, 32, v11
	v_subrev_u32_e32 v12, 29, v11
	v_bfe_u32 v10, v8, 2, 5
	v_lshlrev_b32_e32 v8, v12, v8
	v_sub_u32_e32 v11, 30, v11
	v_and_b32_e32 v8, 3, v8
	v_cmp_eq_u32_e32 vcc, 0, v10
	v_cndmask_b32_e32 v10, v10, v11, vcc
	v_cndmask_b32_e32 v8, v9, v8, vcc
	v_mov_b32_e32 v9, 0x37800000
	v_lshlrev_b32_e32 v8, 21, v8
	v_and_b32_e32 v7, 0x80000000, v7
	v_lshl_add_u32 v9, v10, 23, v9
	v_or3_b32 v7, v7, v9, v8
	v_cvt_f16_f32_e32 v7, v7
.LBB150_1788:
	s_or_b64 exec, exec, s[20:21]
	s_mov_b64 s[4:5], 0
	s_branch .LBB150_1794
.LBB150_1789:
	s_mov_b64 s[4:5], -1
                                        ; implicit-def: $vgpr7
	s_branch .LBB150_1800
.LBB150_1790:
	s_or_saveexec_b64 s[22:23], s[22:23]
	v_mov_b32_e32 v7, 0x7e00
	s_xor_b64 exec, exec, s[22:23]
	s_cbranch_execz .LBB150_1774
.LBB150_1791:
	v_cmp_ne_u16_e32 vcc, 0, v8
	s_andn2_b64 s[20:21], s[20:21], exec
	s_and_b64 s[24:25], vcc, exec
	s_or_b64 s[20:21], s[20:21], s[24:25]
	v_mov_b32_e32 v7, v8
	s_or_b64 exec, exec, s[22:23]
	s_and_saveexec_b64 s[22:23], s[20:21]
	s_cbranch_execnz .LBB150_1775
	s_branch .LBB150_1776
.LBB150_1792:
	s_mov_b64 s[4:5], -1
                                        ; implicit-def: $vgpr7
	s_branch .LBB150_1797
.LBB150_1793:
	s_mov_b64 s[4:5], -1
                                        ; implicit-def: $vgpr7
.LBB150_1794:
	s_and_b64 vcc, exec, s[4:5]
	s_cbranch_vccz .LBB150_1796
; %bb.1795:
	global_load_ubyte v7, v[0:1], off
	s_mov_b32 s4, 0x7f800000
	s_waitcnt vmcnt(0)
	v_lshlrev_b32_e32 v7, 24, v7
	v_and_b32_e32 v8, 0x7f000000, v7
	v_ffbh_u32_e32 v9, v8
	v_min_u32_e32 v9, 32, v9
	v_sub_u32_e64 v9, v9, 4 clamp
	v_lshlrev_b32_e32 v11, v9, v8
	v_lshlrev_b32_e32 v9, 23, v9
	v_lshrrev_b32_e32 v11, 4, v11
	v_add_u32_e32 v10, 0x1000000, v8
	v_sub_u32_e32 v9, v11, v9
	v_ashrrev_i32_e32 v10, 8, v10
	v_add_u32_e32 v9, 0x3c000000, v9
	v_and_or_b32 v9, v10, s4, v9
	v_cmp_ne_u32_e32 vcc, 0, v8
	v_cndmask_b32_e32 v8, 0, v9, vcc
	s_brev_b32 s4, 1
	v_and_or_b32 v7, v7, s4, v8
	v_cvt_f16_f32_e32 v7, v7
.LBB150_1796:
	s_mov_b64 s[4:5], 0
.LBB150_1797:
	s_andn2_b64 vcc, exec, s[4:5]
	s_cbranch_vccnz .LBB150_1799
; %bb.1798:
	global_load_ubyte v7, v[0:1], off
	s_movk_i32 s4, 0x7f00
	s_brev_b32 s5, 16
	s_waitcnt vmcnt(0)
	v_lshlrev_b16_e32 v8, 8, v7
	v_lshlrev_b32_e32 v7, 25, v7
	v_lshrrev_b32_e32 v9, 4, v7
	v_and_or_b32 v10, v8, s4, 0.5
	v_or_b32_e32 v9, 0x70000000, v9
	v_add_f32_e32 v10, -0.5, v10
	v_mul_f32_e32 v9, 0x7800000, v9
	v_cmp_gt_u32_e32 vcc, s5, v7
	v_bfe_i32 v8, v8, 0, 16
	v_cndmask_b32_e32 v7, v9, v10, vcc
	s_brev_b32 s4, 1
	v_and_or_b32 v7, v8, s4, v7
	v_cvt_f16_f32_e32 v7, v7
.LBB150_1799:
	s_mov_b64 s[4:5], 0
	s_mov_b64 s[20:21], -1
.LBB150_1800:
	s_andn2_b64 vcc, exec, s[4:5]
	s_mov_b64 s[4:5], 0
	s_cbranch_vccnz .LBB150_1811
; %bb.1801:
	s_cmp_gt_i32 s26, 14
	s_cbranch_scc0 .LBB150_1804
; %bb.1802:
	s_cmp_eq_u32 s26, 15
	s_cbranch_scc0 .LBB150_1807
; %bb.1803:
	global_load_ushort v7, v[0:1], off
	s_mov_b64 s[0:1], 0
	s_mov_b64 s[20:21], -1
	s_waitcnt vmcnt(0)
	v_lshlrev_b32_e32 v7, 16, v7
	v_cvt_f16_f32_e32 v7, v7
	s_branch .LBB150_1808
.LBB150_1804:
	s_mov_b64 s[22:23], -1
                                        ; implicit-def: $vgpr7
	s_branch .LBB150_1809
.LBB150_1805:
	s_or_saveexec_b64 s[20:21], s[20:21]
	v_mov_b32_e32 v7, 0x7e00
	s_xor_b64 exec, exec, s[20:21]
	s_cbranch_execz .LBB150_1786
.LBB150_1806:
	v_cmp_ne_u16_e32 vcc, 0, v8
	s_andn2_b64 s[4:5], s[4:5], exec
	s_and_b64 s[22:23], vcc, exec
	s_or_b64 s[4:5], s[4:5], s[22:23]
	v_mov_b32_e32 v7, v8
	s_or_b64 exec, exec, s[20:21]
	s_and_saveexec_b64 s[20:21], s[4:5]
	s_cbranch_execnz .LBB150_1787
	s_branch .LBB150_1788
.LBB150_1807:
	s_mov_b64 s[0:1], -1
                                        ; implicit-def: $vgpr7
.LBB150_1808:
	s_mov_b64 s[22:23], 0
.LBB150_1809:
	s_and_b64 vcc, exec, s[22:23]
	s_cbranch_vccz .LBB150_1811
; %bb.1810:
	s_cmp_lg_u32 s26, 11
	s_mov_b64 s[4:5], -1
	s_cselect_b64 s[0:1], -1, 0
.LBB150_1811:
	v_mov_b32_e32 v8, 0
.LBB150_1812:
	s_and_b64 vcc, exec, s[0:1]
	s_cbranch_vccnz .LBB150_1893
; %bb.1813:
	s_andn2_b64 vcc, exec, s[4:5]
	s_cbranch_vccnz .LBB150_1815
.LBB150_1814:
	global_load_ubyte v7, v[0:1], off
	v_mov_b32_e32 v9, 0x3c00
	v_mov_b32_e32 v8, 0
	s_mov_b64 s[20:21], -1
	s_waitcnt vmcnt(0)
	v_cmp_ne_u16_e32 vcc, 0, v7
	v_cndmask_b32_e32 v7, 0, v9, vcc
.LBB150_1815:
	s_branch .LBB150_1739
.LBB150_1816:
	s_and_b32 s4, 0xffff, s31
	s_cmp_lt_i32 s4, 5
	s_cbranch_scc1 .LBB150_1821
; %bb.1817:
	s_cmp_lt_i32 s4, 8
	s_cbranch_scc1 .LBB150_1823
; %bb.1818:
	;; [unrolled: 3-line block ×3, first 2 shown]
	s_cmp_gt_i32 s4, 9
	s_cbranch_scc0 .LBB150_1825
; %bb.1820:
	global_load_dwordx4 v[7:10], v[0:1], off
	s_movk_i32 s0, 0x1ff
	s_movk_i32 s1, 0xffe
	v_mov_b32_e32 v11, 0x7c00
	v_mov_b32_e32 v12, 0x7e00
	s_movk_i32 s5, 0x40f
	s_mov_b32 s20, 0x8000
	s_waitcnt vmcnt(0)
	v_and_or_b32 v7, v8, s0, v7
	v_and_or_b32 v9, v10, s0, v9
	v_cmp_ne_u32_e32 vcc, 0, v7
	v_lshrrev_b32_e32 v13, 8, v8
	v_cndmask_b32_e64 v7, 0, 1, vcc
	v_cmp_ne_u32_e32 vcc, 0, v9
	v_bfe_u32 v14, v8, 20, 11
	v_lshrrev_b32_e32 v15, 8, v10
	v_bfe_u32 v16, v10, 20, 11
	v_cndmask_b32_e64 v9, 0, 1, vcc
	v_and_or_b32 v7, v13, s1, v7
	v_sub_u32_e32 v17, 0x3f1, v14
	v_add_u32_e32 v14, 0xfffffc10, v14
	v_sub_u32_e32 v18, 0x3f1, v16
	v_and_or_b32 v9, v15, s1, v9
	v_cmp_ne_u32_e32 vcc, 0, v7
	v_add_u32_e32 v16, 0xfffffc10, v16
	v_med3_i32 v13, v17, 0, 13
	v_med3_i32 v15, v18, 0, 13
	v_or_b32_e32 v17, 0x1000, v7
	v_lshl_or_b32 v18, v14, 12, v7
	v_cndmask_b32_e32 v7, v11, v12, vcc
	v_cmp_ne_u32_e32 vcc, 0, v9
	v_or_b32_e32 v19, 0x1000, v9
	v_lshl_or_b32 v20, v16, 12, v9
	v_cndmask_b32_e32 v9, v11, v12, vcc
	v_lshrrev_b32_e32 v12, v13, v17
	v_lshrrev_b32_e32 v21, v15, v19
	v_lshlrev_b32_e32 v13, v13, v12
	v_lshlrev_b32_e32 v15, v15, v21
	v_cmp_ne_u32_e32 vcc, v13, v17
	v_cndmask_b32_e64 v13, 0, 1, vcc
	v_cmp_ne_u32_e32 vcc, v15, v19
	v_cndmask_b32_e64 v15, 0, 1, vcc
	v_or_b32_e32 v12, v12, v13
	v_cmp_gt_i32_e32 vcc, 1, v14
	v_cndmask_b32_e32 v12, v18, v12, vcc
	v_or_b32_e32 v13, v21, v15
	v_cmp_gt_i32_e32 vcc, 1, v16
	v_and_b32_e32 v15, 7, v12
	v_cndmask_b32_e32 v13, v20, v13, vcc
	v_cmp_lt_i32_e32 vcc, 5, v15
	v_and_b32_e32 v17, 7, v13
	v_cndmask_b32_e64 v18, 0, 1, vcc
	v_cmp_eq_u32_e32 vcc, 3, v15
	v_cndmask_b32_e64 v15, 0, 1, vcc
	v_cmp_lt_i32_e32 vcc, 5, v17
	v_cndmask_b32_e64 v19, 0, 1, vcc
	v_cmp_eq_u32_e32 vcc, 3, v17
	v_lshrrev_b32_e32 v12, 2, v12
	v_cndmask_b32_e64 v17, 0, 1, vcc
	v_or_b32_e32 v15, v15, v18
	v_lshrrev_b32_e32 v13, 2, v13
	v_or_b32_e32 v17, v17, v19
	v_add_u32_e32 v12, v12, v15
	v_cmp_gt_i32_e32 vcc, 31, v14
	v_add_u32_e32 v13, v13, v17
	v_cndmask_b32_e32 v12, v11, v12, vcc
	v_cmp_gt_i32_e32 vcc, 31, v16
	v_cndmask_b32_e32 v11, v11, v13, vcc
	v_cmp_eq_u32_e32 vcc, s5, v14
	v_cndmask_b32_e32 v7, v12, v7, vcc
	v_cmp_eq_u32_e32 vcc, s5, v16
	v_lshrrev_b32_e32 v8, 16, v8
	v_lshrrev_b32_e32 v10, 16, v10
	v_cndmask_b32_e32 v9, v11, v9, vcc
	v_and_or_b32 v7, v8, s20, v7
	v_and_or_b32 v8, v10, s20, v9
	s_mov_b64 s[0:1], 0
	s_branch .LBB150_1826
.LBB150_1821:
                                        ; implicit-def: $vgpr8
                                        ; implicit-def: $vgpr7
	s_branch .LBB150_1845
.LBB150_1822:
	s_branch .LBB150_1865
.LBB150_1823:
	s_mov_b64 s[0:1], -1
                                        ; implicit-def: $vgpr8
                                        ; implicit-def: $vgpr7
	s_branch .LBB150_1832
.LBB150_1824:
	s_mov_b64 s[0:1], -1
                                        ; implicit-def: $vgpr8
                                        ; implicit-def: $vgpr7
	s_branch .LBB150_1829
.LBB150_1825:
	s_mov_b64 s[0:1], -1
                                        ; implicit-def: $vgpr8
                                        ; implicit-def: $vgpr7
.LBB150_1826:
	s_andn2_b64 vcc, exec, s[0:1]
	s_cbranch_vccnz .LBB150_1828
; %bb.1827:
	global_load_dwordx2 v[7:8], v[0:1], off
	s_waitcnt vmcnt(0)
	v_cvt_f16_f32_e32 v7, v7
	v_cvt_f16_f32_e32 v8, v8
.LBB150_1828:
	s_mov_b64 s[0:1], 0
.LBB150_1829:
	s_andn2_b64 vcc, exec, s[0:1]
	s_cbranch_vccnz .LBB150_1831
; %bb.1830:
	global_load_dword v7, v[0:1], off
	s_waitcnt vmcnt(0)
	v_lshrrev_b32_e32 v8, 16, v7
.LBB150_1831:
	s_mov_b64 s[0:1], 0
.LBB150_1832:
	s_andn2_b64 vcc, exec, s[0:1]
	s_cbranch_vccnz .LBB150_1844
; %bb.1833:
	s_cmp_lt_i32 s4, 6
	s_cbranch_scc1 .LBB150_1836
; %bb.1834:
	s_cmp_gt_i32 s4, 6
	s_cbranch_scc0 .LBB150_1837
; %bb.1835:
	global_load_dwordx2 v[7:8], v[0:1], off
	s_movk_i32 s0, 0x1ff
	s_movk_i32 s1, 0xffe
	v_mov_b32_e32 v9, 0x7c00
	v_mov_b32_e32 v10, 0x7e00
	s_movk_i32 s5, 0x40f
	s_mov_b32 s20, 0x8000
	s_waitcnt vmcnt(0)
	v_and_or_b32 v7, v8, s0, v7
	v_cmp_ne_u32_e32 vcc, 0, v7
	v_lshrrev_b32_e32 v11, 8, v8
	v_bfe_u32 v12, v8, 20, 11
	v_cndmask_b32_e64 v7, 0, 1, vcc
	v_sub_u32_e32 v13, 0x3f1, v12
	v_and_or_b32 v7, v11, s1, v7
	v_add_u32_e32 v12, 0xfffffc10, v12
	v_med3_i32 v11, v13, 0, 13
	v_or_b32_e32 v13, 0x1000, v7
	v_cmp_ne_u32_e32 vcc, 0, v7
	v_lshl_or_b32 v14, v12, 12, v7
	v_cndmask_b32_e32 v7, v9, v10, vcc
	v_lshrrev_b32_e32 v10, v11, v13
	v_lshlrev_b32_e32 v11, v11, v10
	v_cmp_ne_u32_e32 vcc, v11, v13
	v_cndmask_b32_e64 v11, 0, 1, vcc
	v_or_b32_e32 v10, v10, v11
	v_cmp_gt_i32_e32 vcc, 1, v12
	v_cndmask_b32_e32 v10, v14, v10, vcc
	v_and_b32_e32 v11, 7, v10
	v_cmp_lt_i32_e32 vcc, 5, v11
	v_cndmask_b32_e64 v13, 0, 1, vcc
	v_cmp_eq_u32_e32 vcc, 3, v11
	v_cndmask_b32_e64 v11, 0, 1, vcc
	v_lshrrev_b32_e32 v10, 2, v10
	v_or_b32_e32 v11, v11, v13
	v_add_u32_e32 v10, v10, v11
	v_cmp_gt_i32_e32 vcc, 31, v12
	v_cndmask_b32_e32 v9, v9, v10, vcc
	v_cmp_eq_u32_e32 vcc, s5, v12
	v_lshrrev_b32_e32 v8, 16, v8
	v_cndmask_b32_e32 v7, v9, v7, vcc
	v_and_or_b32 v7, v8, s20, v7
	s_mov_b64 s[0:1], 0
	s_branch .LBB150_1838
.LBB150_1836:
	s_mov_b64 s[0:1], -1
                                        ; implicit-def: $vgpr7
	s_branch .LBB150_1841
.LBB150_1837:
	s_mov_b64 s[0:1], -1
                                        ; implicit-def: $vgpr7
.LBB150_1838:
	s_andn2_b64 vcc, exec, s[0:1]
	s_cbranch_vccnz .LBB150_1840
; %bb.1839:
	global_load_dword v7, v[0:1], off
	s_waitcnt vmcnt(0)
	v_cvt_f16_f32_e32 v7, v7
.LBB150_1840:
	s_mov_b64 s[0:1], 0
.LBB150_1841:
	s_andn2_b64 vcc, exec, s[0:1]
	s_cbranch_vccnz .LBB150_1843
; %bb.1842:
	global_load_ushort v7, v[0:1], off
.LBB150_1843:
	v_mov_b32_e32 v8, 0
.LBB150_1844:
	s_cbranch_execnz .LBB150_1822
.LBB150_1845:
	s_cmp_lt_i32 s4, 2
	s_cbranch_scc1 .LBB150_1849
; %bb.1846:
	s_cmp_lt_i32 s4, 3
	s_cbranch_scc1 .LBB150_1850
; %bb.1847:
	s_cmp_gt_i32 s4, 3
	s_cbranch_scc0 .LBB150_1851
; %bb.1848:
	global_load_dwordx2 v[7:8], v[0:1], off
	s_mov_b64 s[0:1], 0
	s_waitcnt vmcnt(0)
	v_xor_b32_e32 v10, v7, v8
	v_ffbh_i32_e32 v9, v8
	v_ashrrev_i32_e32 v10, 31, v10
	v_add_u32_e32 v9, -1, v9
	v_add_u32_e32 v10, 32, v10
	v_min_u32_e32 v9, v9, v10
	v_lshlrev_b64 v[7:8], v9, v[7:8]
	v_min_u32_e32 v7, 1, v7
	v_or_b32_e32 v7, v8, v7
	v_cvt_f32_i32_e32 v7, v7
	v_sub_u32_e32 v8, 32, v9
	v_ldexp_f32 v7, v7, v8
	v_cvt_f16_f32_e32 v7, v7
	s_branch .LBB150_1852
.LBB150_1849:
	s_mov_b64 s[0:1], -1
                                        ; implicit-def: $vgpr7
	s_branch .LBB150_1858
.LBB150_1850:
	s_mov_b64 s[0:1], -1
                                        ; implicit-def: $vgpr7
	s_branch .LBB150_1855
.LBB150_1851:
	s_mov_b64 s[0:1], -1
                                        ; implicit-def: $vgpr7
.LBB150_1852:
	s_andn2_b64 vcc, exec, s[0:1]
	s_cbranch_vccnz .LBB150_1854
; %bb.1853:
	global_load_dword v7, v[0:1], off
	s_waitcnt vmcnt(0)
	v_cvt_f32_i32_e32 v7, v7
	v_cvt_f16_f32_e32 v7, v7
.LBB150_1854:
	s_mov_b64 s[0:1], 0
.LBB150_1855:
	s_andn2_b64 vcc, exec, s[0:1]
	s_cbranch_vccnz .LBB150_1857
; %bb.1856:
	global_load_ushort v7, v[0:1], off
	s_waitcnt vmcnt(0)
	v_cvt_f16_i16_e32 v7, v7
.LBB150_1857:
	s_mov_b64 s[0:1], 0
.LBB150_1858:
	s_andn2_b64 vcc, exec, s[0:1]
	s_cbranch_vccnz .LBB150_1864
; %bb.1859:
	s_cmp_gt_i32 s4, 0
	s_cbranch_scc0 .LBB150_1861
; %bb.1860:
	global_load_sbyte v7, v[0:1], off
	s_mov_b64 s[0:1], 0
	s_waitcnt vmcnt(0)
	v_cvt_f16_i16_e32 v7, v7
	s_branch .LBB150_1862
.LBB150_1861:
	s_mov_b64 s[0:1], -1
                                        ; implicit-def: $vgpr7
.LBB150_1862:
	s_andn2_b64 vcc, exec, s[0:1]
	s_cbranch_vccnz .LBB150_1864
; %bb.1863:
	global_load_ubyte v0, v[0:1], off
	s_waitcnt vmcnt(0)
	v_cvt_f16_u16_e32 v7, v0
.LBB150_1864:
	v_mov_b32_e32 v8, 0
.LBB150_1865:
	s_cmp_lg_u32 s15, 0
	s_cselect_b64 s[20:21], -1, 0
	s_and_b64 vcc, exec, s[20:21]
	s_cbranch_vccz .LBB150_1877
; %bb.1866:
	s_waitcnt vmcnt(0)
	v_cmp_neq_f16_e32 vcc, v5, v7
	v_cmp_neq_f16_e64 s[0:1], v6, v8
	s_or_b64 s[4:5], vcc, s[0:1]
	s_cbranch_execnz .LBB150_1868
.LBB150_1867:
	s_waitcnt vmcnt(0)
	v_cmp_eq_f16_e32 vcc, v5, v7
	v_cmp_eq_f16_e64 s[0:1], v6, v8
	s_and_b64 s[0:1], vcc, s[0:1]
	s_andn2_b64 s[4:5], s[4:5], exec
	s_and_b64 s[0:1], s[0:1], exec
	s_or_b64 s[4:5], s[4:5], s[0:1]
.LBB150_1868:
	s_lshl_b32 s13, s13, 7
	v_add_u32_e32 v3, s13, v3
	v_ashrrev_i32_e32 v1, 31, v3
	s_waitcnt vmcnt(0)
	v_mov_b32_e32 v5, s11
	v_add_co_u32_e32 v0, vcc, s10, v3
	s_cmp_lt_i32 s30, 11
	v_addc_co_u32_e32 v1, vcc, v5, v1, vcc
	s_cbranch_scc1 .LBB150_1875
; %bb.1869:
	s_and_b32 s15, 0xffff, s30
	s_cmp_gt_i32 s15, 25
	s_mov_b64 s[22:23], 0
	s_cbranch_scc0 .LBB150_1878
; %bb.1870:
	s_cmp_gt_i32 s15, 28
	s_cbranch_scc0 .LBB150_1889
; %bb.1871:
	s_cmp_gt_i32 s15, 43
	;; [unrolled: 3-line block ×3, first 2 shown]
	s_cbranch_scc0 .LBB150_1894
; %bb.1873:
	s_cmp_eq_u32 s15, 46
	s_mov_b64 s[26:27], 0
	s_cbranch_scc0 .LBB150_1948
; %bb.1874:
	global_load_dword v5, v[0:1], off
	s_mov_b64 s[0:1], 0
	s_mov_b64 s[24:25], -1
	s_waitcnt vmcnt(0)
	v_and_b32_e32 v6, 0xffff0000, v5
	v_lshlrev_b32_e32 v5, 16, v5
	v_cvt_f16_f32_e32 v5, v5
	v_cvt_f16_f32_e32 v6, v6
	s_branch .LBB150_1949
.LBB150_1875:
	s_mov_b64 s[24:25], 0
                                        ; implicit-def: $vgpr6
                                        ; implicit-def: $vgpr5
	s_cbranch_execnz .LBB150_1883
.LBB150_1876:
	s_andn2_b64 vcc, exec, s[24:25]
	s_cbranch_vccnz .LBB150_2692
	s_branch .LBB150_1937
.LBB150_1877:
                                        ; implicit-def: $sgpr4_sgpr5
	s_branch .LBB150_1867
.LBB150_1878:
	s_mov_b64 s[24:25], 0
	s_mov_b64 s[0:1], 0
                                        ; implicit-def: $vgpr6
                                        ; implicit-def: $vgpr5
	s_cbranch_execnz .LBB150_1981
.LBB150_1879:
	s_and_b64 vcc, exec, s[0:1]
	s_cbranch_vccnz .LBB150_2014
.LBB150_1880:
	s_andn2_b64 vcc, exec, s[22:23]
	s_cbranch_vccnz .LBB150_1882
.LBB150_1881:
	global_load_ubyte v5, v[0:1], off
	v_mov_b32_e32 v7, 0x3c00
	v_mov_b32_e32 v6, 0
	s_mov_b64 s[24:25], -1
	s_waitcnt vmcnt(0)
	v_cmp_ne_u16_e32 vcc, 0, v5
	v_cndmask_b32_e32 v5, 0, v7, vcc
.LBB150_1882:
	s_branch .LBB150_1876
.LBB150_1883:
	s_and_b32 s15, 0xffff, s30
	s_cmp_lt_i32 s15, 5
	s_cbranch_scc1 .LBB150_1888
; %bb.1884:
	s_cmp_lt_i32 s15, 8
	s_cbranch_scc1 .LBB150_1890
; %bb.1885:
	;; [unrolled: 3-line block ×3, first 2 shown]
	s_cmp_gt_i32 s15, 9
	s_cbranch_scc0 .LBB150_1895
; %bb.1887:
	global_load_dwordx4 v[5:8], v[0:1], off
	s_movk_i32 s0, 0x1ff
	s_movk_i32 s1, 0xffe
	v_mov_b32_e32 v9, 0x7c00
	v_mov_b32_e32 v10, 0x7e00
	s_movk_i32 s22, 0x40f
	s_mov_b32 s23, 0x8000
	s_waitcnt vmcnt(0)
	v_and_or_b32 v5, v6, s0, v5
	v_and_or_b32 v7, v8, s0, v7
	v_cmp_ne_u32_e32 vcc, 0, v5
	v_lshrrev_b32_e32 v11, 8, v6
	v_cndmask_b32_e64 v5, 0, 1, vcc
	v_cmp_ne_u32_e32 vcc, 0, v7
	v_bfe_u32 v12, v6, 20, 11
	v_lshrrev_b32_e32 v13, 8, v8
	v_bfe_u32 v14, v8, 20, 11
	v_cndmask_b32_e64 v7, 0, 1, vcc
	v_and_or_b32 v5, v11, s1, v5
	v_sub_u32_e32 v15, 0x3f1, v12
	v_add_u32_e32 v12, 0xfffffc10, v12
	v_sub_u32_e32 v16, 0x3f1, v14
	v_and_or_b32 v7, v13, s1, v7
	v_cmp_ne_u32_e32 vcc, 0, v5
	v_add_u32_e32 v14, 0xfffffc10, v14
	v_med3_i32 v11, v15, 0, 13
	v_med3_i32 v13, v16, 0, 13
	v_or_b32_e32 v15, 0x1000, v5
	v_lshl_or_b32 v16, v12, 12, v5
	v_cndmask_b32_e32 v5, v9, v10, vcc
	v_cmp_ne_u32_e32 vcc, 0, v7
	v_or_b32_e32 v17, 0x1000, v7
	v_lshl_or_b32 v18, v14, 12, v7
	v_cndmask_b32_e32 v7, v9, v10, vcc
	v_lshrrev_b32_e32 v10, v11, v15
	v_lshrrev_b32_e32 v19, v13, v17
	v_lshlrev_b32_e32 v11, v11, v10
	v_lshlrev_b32_e32 v13, v13, v19
	v_cmp_ne_u32_e32 vcc, v11, v15
	v_cndmask_b32_e64 v11, 0, 1, vcc
	v_cmp_ne_u32_e32 vcc, v13, v17
	v_cndmask_b32_e64 v13, 0, 1, vcc
	v_or_b32_e32 v10, v10, v11
	v_cmp_gt_i32_e32 vcc, 1, v12
	v_cndmask_b32_e32 v10, v16, v10, vcc
	v_or_b32_e32 v11, v19, v13
	v_cmp_gt_i32_e32 vcc, 1, v14
	v_and_b32_e32 v13, 7, v10
	v_cndmask_b32_e32 v11, v18, v11, vcc
	v_cmp_lt_i32_e32 vcc, 5, v13
	v_and_b32_e32 v15, 7, v11
	v_cndmask_b32_e64 v16, 0, 1, vcc
	v_cmp_eq_u32_e32 vcc, 3, v13
	v_cndmask_b32_e64 v13, 0, 1, vcc
	v_cmp_lt_i32_e32 vcc, 5, v15
	v_cndmask_b32_e64 v17, 0, 1, vcc
	v_cmp_eq_u32_e32 vcc, 3, v15
	v_lshrrev_b32_e32 v10, 2, v10
	v_cndmask_b32_e64 v15, 0, 1, vcc
	v_or_b32_e32 v13, v13, v16
	v_lshrrev_b32_e32 v11, 2, v11
	v_or_b32_e32 v15, v15, v17
	v_add_u32_e32 v10, v10, v13
	v_cmp_gt_i32_e32 vcc, 31, v12
	v_add_u32_e32 v11, v11, v15
	v_cndmask_b32_e32 v10, v9, v10, vcc
	v_cmp_gt_i32_e32 vcc, 31, v14
	v_cndmask_b32_e32 v9, v9, v11, vcc
	v_cmp_eq_u32_e32 vcc, s22, v12
	v_cndmask_b32_e32 v5, v10, v5, vcc
	v_cmp_eq_u32_e32 vcc, s22, v14
	v_lshrrev_b32_e32 v6, 16, v6
	v_lshrrev_b32_e32 v8, 16, v8
	v_cndmask_b32_e32 v7, v9, v7, vcc
	v_and_or_b32 v5, v6, s23, v5
	v_and_or_b32 v6, v8, s23, v7
	s_mov_b64 s[0:1], 0
	s_branch .LBB150_1896
.LBB150_1888:
	s_mov_b64 s[0:1], -1
                                        ; implicit-def: $vgpr6
                                        ; implicit-def: $vgpr5
	s_branch .LBB150_1915
.LBB150_1889:
	s_mov_b64 s[26:27], -1
	s_mov_b64 s[24:25], 0
	s_mov_b64 s[0:1], 0
                                        ; implicit-def: $vgpr6
                                        ; implicit-def: $vgpr5
	s_branch .LBB150_1962
.LBB150_1890:
	s_mov_b64 s[0:1], -1
                                        ; implicit-def: $vgpr6
                                        ; implicit-def: $vgpr5
	s_branch .LBB150_1902
.LBB150_1891:
	s_mov_b64 s[26:27], -1
	s_mov_b64 s[24:25], 0
	s_mov_b64 s[0:1], 0
                                        ; implicit-def: $vgpr6
                                        ; implicit-def: $vgpr5
	s_branch .LBB150_1956
.LBB150_1892:
	s_mov_b64 s[0:1], -1
                                        ; implicit-def: $vgpr6
                                        ; implicit-def: $vgpr5
	s_branch .LBB150_1899
.LBB150_1893:
	s_trap 2
	s_or_b64 s[18:19], s[18:19], exec
	s_cbranch_execz .LBB150_1814
	s_branch .LBB150_1815
.LBB150_1894:
	s_mov_b64 s[26:27], -1
	s_mov_b64 s[24:25], 0
	s_mov_b64 s[0:1], 0
                                        ; implicit-def: $vgpr6
                                        ; implicit-def: $vgpr5
	s_branch .LBB150_1949
.LBB150_1895:
	s_mov_b64 s[0:1], -1
                                        ; implicit-def: $vgpr6
                                        ; implicit-def: $vgpr5
.LBB150_1896:
	s_andn2_b64 vcc, exec, s[0:1]
	s_cbranch_vccnz .LBB150_1898
; %bb.1897:
	global_load_dwordx2 v[5:6], v[0:1], off
	s_waitcnt vmcnt(0)
	v_cvt_f16_f32_e32 v5, v5
	v_cvt_f16_f32_e32 v6, v6
.LBB150_1898:
	s_mov_b64 s[0:1], 0
.LBB150_1899:
	s_andn2_b64 vcc, exec, s[0:1]
	s_cbranch_vccnz .LBB150_1901
; %bb.1900:
	global_load_dword v5, v[0:1], off
	s_waitcnt vmcnt(0)
	v_lshrrev_b32_e32 v6, 16, v5
.LBB150_1901:
	s_mov_b64 s[0:1], 0
.LBB150_1902:
	s_andn2_b64 vcc, exec, s[0:1]
	s_cbranch_vccnz .LBB150_1914
; %bb.1903:
	s_cmp_lt_i32 s15, 6
	s_cbranch_scc1 .LBB150_1906
; %bb.1904:
	s_cmp_gt_i32 s15, 6
	s_cbranch_scc0 .LBB150_1907
; %bb.1905:
	global_load_dwordx2 v[5:6], v[0:1], off
	s_movk_i32 s0, 0x1ff
	s_movk_i32 s1, 0xffe
	v_mov_b32_e32 v7, 0x7c00
	v_mov_b32_e32 v8, 0x7e00
	s_movk_i32 s22, 0x40f
	s_mov_b32 s23, 0x8000
	s_waitcnt vmcnt(0)
	v_and_or_b32 v5, v6, s0, v5
	v_cmp_ne_u32_e32 vcc, 0, v5
	v_lshrrev_b32_e32 v9, 8, v6
	v_bfe_u32 v10, v6, 20, 11
	v_cndmask_b32_e64 v5, 0, 1, vcc
	v_sub_u32_e32 v11, 0x3f1, v10
	v_and_or_b32 v5, v9, s1, v5
	v_add_u32_e32 v10, 0xfffffc10, v10
	v_med3_i32 v9, v11, 0, 13
	v_or_b32_e32 v11, 0x1000, v5
	v_cmp_ne_u32_e32 vcc, 0, v5
	v_lshl_or_b32 v12, v10, 12, v5
	v_cndmask_b32_e32 v5, v7, v8, vcc
	v_lshrrev_b32_e32 v8, v9, v11
	v_lshlrev_b32_e32 v9, v9, v8
	v_cmp_ne_u32_e32 vcc, v9, v11
	v_cndmask_b32_e64 v9, 0, 1, vcc
	v_or_b32_e32 v8, v8, v9
	v_cmp_gt_i32_e32 vcc, 1, v10
	v_cndmask_b32_e32 v8, v12, v8, vcc
	v_and_b32_e32 v9, 7, v8
	v_cmp_lt_i32_e32 vcc, 5, v9
	v_cndmask_b32_e64 v11, 0, 1, vcc
	v_cmp_eq_u32_e32 vcc, 3, v9
	v_cndmask_b32_e64 v9, 0, 1, vcc
	v_lshrrev_b32_e32 v8, 2, v8
	v_or_b32_e32 v9, v9, v11
	v_add_u32_e32 v8, v8, v9
	v_cmp_gt_i32_e32 vcc, 31, v10
	v_cndmask_b32_e32 v7, v7, v8, vcc
	v_cmp_eq_u32_e32 vcc, s22, v10
	v_lshrrev_b32_e32 v6, 16, v6
	v_cndmask_b32_e32 v5, v7, v5, vcc
	v_and_or_b32 v5, v6, s23, v5
	s_mov_b64 s[0:1], 0
	s_branch .LBB150_1908
.LBB150_1906:
	s_mov_b64 s[0:1], -1
                                        ; implicit-def: $vgpr5
	s_branch .LBB150_1911
.LBB150_1907:
	s_mov_b64 s[0:1], -1
                                        ; implicit-def: $vgpr5
.LBB150_1908:
	s_andn2_b64 vcc, exec, s[0:1]
	s_cbranch_vccnz .LBB150_1910
; %bb.1909:
	global_load_dword v5, v[0:1], off
	s_waitcnt vmcnt(0)
	v_cvt_f16_f32_e32 v5, v5
.LBB150_1910:
	s_mov_b64 s[0:1], 0
.LBB150_1911:
	s_andn2_b64 vcc, exec, s[0:1]
	s_cbranch_vccnz .LBB150_1913
; %bb.1912:
	global_load_ushort v5, v[0:1], off
.LBB150_1913:
	v_mov_b32_e32 v6, 0
.LBB150_1914:
	s_mov_b64 s[0:1], 0
.LBB150_1915:
	s_andn2_b64 vcc, exec, s[0:1]
	s_cbranch_vccnz .LBB150_1936
; %bb.1916:
	s_cmp_lt_i32 s15, 2
	s_cbranch_scc1 .LBB150_1920
; %bb.1917:
	s_cmp_lt_i32 s15, 3
	s_cbranch_scc1 .LBB150_1921
; %bb.1918:
	s_cmp_gt_i32 s15, 3
	s_cbranch_scc0 .LBB150_1922
; %bb.1919:
	global_load_dwordx2 v[5:6], v[0:1], off
	s_mov_b64 s[0:1], 0
	s_waitcnt vmcnt(0)
	v_xor_b32_e32 v8, v5, v6
	v_ffbh_i32_e32 v7, v6
	v_ashrrev_i32_e32 v8, 31, v8
	v_add_u32_e32 v7, -1, v7
	v_add_u32_e32 v8, 32, v8
	v_min_u32_e32 v7, v7, v8
	v_lshlrev_b64 v[5:6], v7, v[5:6]
	v_min_u32_e32 v5, 1, v5
	v_or_b32_e32 v5, v6, v5
	v_cvt_f32_i32_e32 v5, v5
	v_sub_u32_e32 v6, 32, v7
	v_ldexp_f32 v5, v5, v6
	v_cvt_f16_f32_e32 v5, v5
	s_branch .LBB150_1923
.LBB150_1920:
	s_mov_b64 s[0:1], -1
                                        ; implicit-def: $vgpr5
	s_branch .LBB150_1929
.LBB150_1921:
	s_mov_b64 s[0:1], -1
                                        ; implicit-def: $vgpr5
	s_branch .LBB150_1926
.LBB150_1922:
	s_mov_b64 s[0:1], -1
                                        ; implicit-def: $vgpr5
.LBB150_1923:
	s_andn2_b64 vcc, exec, s[0:1]
	s_cbranch_vccnz .LBB150_1925
; %bb.1924:
	global_load_dword v5, v[0:1], off
	s_waitcnt vmcnt(0)
	v_cvt_f32_i32_e32 v5, v5
	v_cvt_f16_f32_e32 v5, v5
.LBB150_1925:
	s_mov_b64 s[0:1], 0
.LBB150_1926:
	s_andn2_b64 vcc, exec, s[0:1]
	s_cbranch_vccnz .LBB150_1928
; %bb.1927:
	global_load_ushort v5, v[0:1], off
	s_waitcnt vmcnt(0)
	v_cvt_f16_i16_e32 v5, v5
.LBB150_1928:
	s_mov_b64 s[0:1], 0
.LBB150_1929:
	s_andn2_b64 vcc, exec, s[0:1]
	s_cbranch_vccnz .LBB150_1935
; %bb.1930:
	s_cmp_gt_i32 s15, 0
	s_cbranch_scc0 .LBB150_1932
; %bb.1931:
	global_load_sbyte v5, v[0:1], off
	s_mov_b64 s[0:1], 0
	s_waitcnt vmcnt(0)
	v_cvt_f16_i16_e32 v5, v5
	s_branch .LBB150_1933
.LBB150_1932:
	s_mov_b64 s[0:1], -1
                                        ; implicit-def: $vgpr5
.LBB150_1933:
	s_andn2_b64 vcc, exec, s[0:1]
	s_cbranch_vccnz .LBB150_1935
; %bb.1934:
	global_load_ubyte v0, v[0:1], off
	s_waitcnt vmcnt(0)
	v_cvt_f16_u16_e32 v5, v0
.LBB150_1935:
	v_mov_b32_e32 v6, 0
.LBB150_1936:
.LBB150_1937:
	s_lshl_b32 s34, s14, 7
	v_add_u32_e32 v4, s34, v4
	v_ashrrev_i32_e32 v1, 31, v4
	v_mov_b32_e32 v7, s3
	v_add_co_u32_e32 v0, vcc, s2, v4
	s_cmp_lt_i32 s31, 11
	v_addc_co_u32_e32 v1, vcc, v7, v1, vcc
	s_cbranch_scc1 .LBB150_1944
; %bb.1938:
	s_and_b32 s28, 0xffff, s31
	s_cmp_gt_i32 s28, 25
	s_mov_b64 s[14:15], 0
	s_cbranch_scc0 .LBB150_1945
; %bb.1939:
	s_cmp_gt_i32 s28, 28
	s_cbranch_scc0 .LBB150_1946
; %bb.1940:
	s_cmp_gt_i32 s28, 43
	;; [unrolled: 3-line block ×3, first 2 shown]
	s_cbranch_scc0 .LBB150_1952
; %bb.1942:
	s_cmp_eq_u32 s28, 46
	s_mov_b64 s[24:25], 0
	s_cbranch_scc0 .LBB150_2015
; %bb.1943:
	global_load_dword v7, v[0:1], off
	s_mov_b64 s[0:1], 0
	s_mov_b64 s[22:23], -1
	s_waitcnt vmcnt(0)
	v_and_b32_e32 v8, 0xffff0000, v7
	v_lshlrev_b32_e32 v7, 16, v7
	v_cvt_f16_f32_e32 v7, v7
	v_cvt_f16_f32_e32 v8, v8
	s_branch .LBB150_2016
.LBB150_1944:
	s_mov_b64 s[0:1], -1
	s_mov_b64 s[22:23], 0
                                        ; implicit-def: $vgpr8
                                        ; implicit-def: $vgpr7
	s_branch .LBB150_2062
.LBB150_1945:
	s_mov_b64 s[24:25], -1
	s_mov_b64 s[22:23], 0
	s_mov_b64 s[0:1], 0
                                        ; implicit-def: $vgpr8
                                        ; implicit-def: $vgpr7
	s_branch .LBB150_2047
.LBB150_1946:
	s_mov_b64 s[24:25], -1
	s_mov_b64 s[22:23], 0
	s_mov_b64 s[0:1], 0
                                        ; implicit-def: $vgpr8
                                        ; implicit-def: $vgpr7
	s_branch .LBB150_2028
.LBB150_1947:
	s_mov_b64 s[24:25], -1
	s_mov_b64 s[22:23], 0
	s_mov_b64 s[0:1], 0
                                        ; implicit-def: $vgpr8
                                        ; implicit-def: $vgpr7
	s_branch .LBB150_2022
.LBB150_1948:
	s_mov_b64 s[0:1], -1
                                        ; implicit-def: $vgpr6
                                        ; implicit-def: $vgpr5
	s_mov_b64 s[24:25], 0
.LBB150_1949:
	s_and_b64 vcc, exec, s[26:27]
	s_cbranch_vccz .LBB150_1955
; %bb.1950:
	s_cmp_eq_u32 s15, 44
	s_cbranch_scc0 .LBB150_1953
; %bb.1951:
	global_load_ubyte v5, v[0:1], off
	s_movk_i32 s24, 0xff
	v_mov_b32_e32 v7, 0x7e00
	s_mov_b64 s[0:1], 0
	s_waitcnt vmcnt(0)
	v_lshlrev_b32_e32 v6, 23, v5
	v_cvt_f16_f32_e32 v6, v6
	v_cmp_ne_u32_e32 vcc, s24, v5
	s_mov_b64 s[24:25], -1
	v_cndmask_b32_e32 v6, v7, v6, vcc
	v_cmp_ne_u32_e32 vcc, 0, v5
	v_cndmask_b32_e32 v5, 0, v6, vcc
	s_branch .LBB150_1954
.LBB150_1952:
	s_mov_b64 s[24:25], -1
	s_mov_b64 s[22:23], 0
	s_mov_b64 s[0:1], 0
                                        ; implicit-def: $vgpr8
                                        ; implicit-def: $vgpr7
	s_branch .LBB150_2016
.LBB150_1953:
	s_mov_b64 s[0:1], -1
                                        ; implicit-def: $vgpr5
.LBB150_1954:
	v_mov_b32_e32 v6, 0
.LBB150_1955:
	s_mov_b64 s[26:27], 0
.LBB150_1956:
	s_and_b64 vcc, exec, s[26:27]
	s_cbranch_vccz .LBB150_1961
; %bb.1957:
	s_cmp_eq_u32 s15, 29
	s_cbranch_scc0 .LBB150_1959
; %bb.1958:
	global_load_dwordx2 v[5:6], v[0:1], off
	s_mov_b64 s[0:1], 0
	s_mov_b64 s[24:25], -1
	s_waitcnt vmcnt(0)
	v_ffbh_u32_e32 v7, v6
	v_min_u32_e32 v7, 32, v7
	v_lshlrev_b64 v[5:6], v7, v[5:6]
	v_min_u32_e32 v5, 1, v5
	v_or_b32_e32 v5, v6, v5
	v_cvt_f32_u32_e32 v5, v5
	v_sub_u32_e32 v6, 32, v7
	v_ldexp_f32 v5, v5, v6
	v_cvt_f16_f32_e32 v5, v5
	s_branch .LBB150_1960
.LBB150_1959:
	s_mov_b64 s[0:1], -1
                                        ; implicit-def: $vgpr5
.LBB150_1960:
	v_mov_b32_e32 v6, 0
.LBB150_1961:
	s_mov_b64 s[26:27], 0
.LBB150_1962:
	s_and_b64 vcc, exec, s[26:27]
	s_cbranch_vccz .LBB150_1980
; %bb.1963:
	s_cmp_lt_i32 s15, 27
	s_cbranch_scc1 .LBB150_1966
; %bb.1964:
	s_cmp_gt_i32 s15, 27
	s_cbranch_scc0 .LBB150_1967
; %bb.1965:
	global_load_dword v5, v[0:1], off
	s_mov_b64 s[24:25], 0
	s_waitcnt vmcnt(0)
	v_cvt_f32_u32_e32 v5, v5
	v_cvt_f16_f32_e32 v5, v5
	s_branch .LBB150_1968
.LBB150_1966:
	s_mov_b64 s[24:25], -1
                                        ; implicit-def: $vgpr5
	s_branch .LBB150_1971
.LBB150_1967:
	s_mov_b64 s[24:25], -1
                                        ; implicit-def: $vgpr5
.LBB150_1968:
	s_andn2_b64 vcc, exec, s[24:25]
	s_cbranch_vccnz .LBB150_1970
; %bb.1969:
	global_load_ushort v5, v[0:1], off
	s_waitcnt vmcnt(0)
	v_cvt_f16_u16_e32 v5, v5
.LBB150_1970:
	s_mov_b64 s[24:25], 0
.LBB150_1971:
	s_andn2_b64 vcc, exec, s[24:25]
	s_cbranch_vccnz .LBB150_1979
; %bb.1972:
	global_load_ubyte v6, v[0:1], off
	s_movk_i32 s24, 0x7f
	s_waitcnt vmcnt(0)
	v_cmp_lt_i16_e32 vcc, s24, v6
	s_mov_b64 s[24:25], 0
	s_and_saveexec_b64 s[26:27], vcc
	s_xor_b64 s[26:27], exec, s[26:27]
	s_cbranch_execz .LBB150_1992
; %bb.1973:
	s_movk_i32 s24, 0x80
	v_cmp_eq_u16_e32 vcc, s24, v6
	s_mov_b64 s[24:25], -1
	s_and_saveexec_b64 s[28:29], vcc
; %bb.1974:
	s_xor_b64 s[24:25], exec, -1
; %bb.1975:
	s_or_b64 exec, exec, s[28:29]
	s_and_b64 s[24:25], s[24:25], exec
	s_or_saveexec_b64 s[26:27], s[26:27]
	v_mov_b32_e32 v5, 0x7e00
	s_xor_b64 exec, exec, s[26:27]
	s_cbranch_execnz .LBB150_1993
.LBB150_1976:
	s_or_b64 exec, exec, s[26:27]
	s_and_saveexec_b64 s[26:27], s[24:25]
	s_cbranch_execz .LBB150_1978
.LBB150_1977:
	v_lshlrev_b32_e32 v5, 24, v6
	v_and_b32_e32 v6, 0xffff, v6
	v_and_b32_e32 v7, 7, v6
	v_ffbh_u32_e32 v9, v7
	v_min_u32_e32 v9, 32, v9
	v_subrev_u32_e32 v10, 28, v9
	v_bfe_u32 v8, v6, 3, 4
	v_lshlrev_b32_e32 v6, v10, v6
	v_sub_u32_e32 v9, 29, v9
	v_and_b32_e32 v6, 7, v6
	v_cmp_eq_u32_e32 vcc, 0, v8
	v_cndmask_b32_e32 v8, v8, v9, vcc
	v_cndmask_b32_e32 v6, v7, v6, vcc
	v_mov_b32_e32 v7, 0x3b800000
	v_lshlrev_b32_e32 v6, 20, v6
	v_and_b32_e32 v5, 0x80000000, v5
	v_lshl_add_u32 v7, v8, 23, v7
	v_or3_b32 v5, v5, v7, v6
	v_cvt_f16_f32_e32 v5, v5
.LBB150_1978:
	s_or_b64 exec, exec, s[26:27]
.LBB150_1979:
	s_mov_b64 s[24:25], -1
	v_mov_b32_e32 v6, 0
.LBB150_1980:
	s_branch .LBB150_1879
.LBB150_1981:
	s_cmp_gt_i32 s15, 22
	s_cbranch_scc0 .LBB150_1991
; %bb.1982:
	s_cmp_lt_i32 s15, 24
	s_cbranch_scc1 .LBB150_1994
; %bb.1983:
	s_cmp_gt_i32 s15, 24
	s_cbranch_scc0 .LBB150_1995
; %bb.1984:
	global_load_ubyte v6, v[0:1], off
	s_movk_i32 s22, 0x7f
	s_waitcnt vmcnt(0)
	v_cmp_lt_i16_e32 vcc, s22, v6
	s_mov_b64 s[22:23], 0
	s_and_saveexec_b64 s[24:25], vcc
	s_xor_b64 s[24:25], exec, s[24:25]
	s_cbranch_execz .LBB150_2007
; %bb.1985:
	s_movk_i32 s22, 0x80
	v_cmp_eq_u16_e32 vcc, s22, v6
	s_mov_b64 s[22:23], -1
	s_and_saveexec_b64 s[26:27], vcc
; %bb.1986:
	s_xor_b64 s[22:23], exec, -1
; %bb.1987:
	s_or_b64 exec, exec, s[26:27]
	s_and_b64 s[22:23], s[22:23], exec
	s_or_saveexec_b64 s[24:25], s[24:25]
	v_mov_b32_e32 v5, 0x7e00
	s_xor_b64 exec, exec, s[24:25]
	s_cbranch_execnz .LBB150_2008
.LBB150_1988:
	s_or_b64 exec, exec, s[24:25]
	s_and_saveexec_b64 s[24:25], s[22:23]
	s_cbranch_execz .LBB150_1990
.LBB150_1989:
	v_lshlrev_b32_e32 v5, 24, v6
	v_and_b32_e32 v6, 0xffff, v6
	v_and_b32_e32 v7, 3, v6
	v_ffbh_u32_e32 v9, v7
	v_min_u32_e32 v9, 32, v9
	v_subrev_u32_e32 v10, 29, v9
	v_bfe_u32 v8, v6, 2, 5
	v_lshlrev_b32_e32 v6, v10, v6
	v_sub_u32_e32 v9, 30, v9
	v_and_b32_e32 v6, 3, v6
	v_cmp_eq_u32_e32 vcc, 0, v8
	v_cndmask_b32_e32 v8, v8, v9, vcc
	v_cndmask_b32_e32 v6, v7, v6, vcc
	v_mov_b32_e32 v7, 0x37800000
	v_lshlrev_b32_e32 v6, 21, v6
	v_and_b32_e32 v5, 0x80000000, v5
	v_lshl_add_u32 v7, v8, 23, v7
	v_or3_b32 v5, v5, v7, v6
	v_cvt_f16_f32_e32 v5, v5
.LBB150_1990:
	s_or_b64 exec, exec, s[24:25]
	s_mov_b64 s[22:23], 0
	s_branch .LBB150_1996
.LBB150_1991:
	s_mov_b64 s[22:23], -1
                                        ; implicit-def: $vgpr5
	s_branch .LBB150_2002
.LBB150_1992:
	s_or_saveexec_b64 s[26:27], s[26:27]
	v_mov_b32_e32 v5, 0x7e00
	s_xor_b64 exec, exec, s[26:27]
	s_cbranch_execz .LBB150_1976
.LBB150_1993:
	v_cmp_ne_u16_e32 vcc, 0, v6
	s_andn2_b64 s[24:25], s[24:25], exec
	s_and_b64 s[28:29], vcc, exec
	s_or_b64 s[24:25], s[24:25], s[28:29]
	v_mov_b32_e32 v5, v6
	s_or_b64 exec, exec, s[26:27]
	s_and_saveexec_b64 s[26:27], s[24:25]
	s_cbranch_execnz .LBB150_1977
	s_branch .LBB150_1978
.LBB150_1994:
	s_mov_b64 s[22:23], -1
                                        ; implicit-def: $vgpr5
	s_branch .LBB150_1999
.LBB150_1995:
	s_mov_b64 s[22:23], -1
                                        ; implicit-def: $vgpr5
.LBB150_1996:
	s_and_b64 vcc, exec, s[22:23]
	s_cbranch_vccz .LBB150_1998
; %bb.1997:
	global_load_ubyte v5, v[0:1], off
	s_mov_b32 s22, 0x7f800000
	s_waitcnt vmcnt(0)
	v_lshlrev_b32_e32 v5, 24, v5
	v_and_b32_e32 v6, 0x7f000000, v5
	v_ffbh_u32_e32 v7, v6
	v_min_u32_e32 v7, 32, v7
	v_sub_u32_e64 v7, v7, 4 clamp
	v_lshlrev_b32_e32 v9, v7, v6
	v_lshlrev_b32_e32 v7, 23, v7
	v_lshrrev_b32_e32 v9, 4, v9
	v_add_u32_e32 v8, 0x1000000, v6
	v_sub_u32_e32 v7, v9, v7
	v_ashrrev_i32_e32 v8, 8, v8
	v_add_u32_e32 v7, 0x3c000000, v7
	v_and_or_b32 v7, v8, s22, v7
	v_cmp_ne_u32_e32 vcc, 0, v6
	v_cndmask_b32_e32 v6, 0, v7, vcc
	s_brev_b32 s22, 1
	v_and_or_b32 v5, v5, s22, v6
	v_cvt_f16_f32_e32 v5, v5
.LBB150_1998:
	s_mov_b64 s[22:23], 0
.LBB150_1999:
	s_andn2_b64 vcc, exec, s[22:23]
	s_cbranch_vccnz .LBB150_2001
; %bb.2000:
	global_load_ubyte v5, v[0:1], off
	s_movk_i32 s22, 0x7f00
	s_brev_b32 s23, 16
	s_waitcnt vmcnt(0)
	v_lshlrev_b16_e32 v6, 8, v5
	v_lshlrev_b32_e32 v5, 25, v5
	v_lshrrev_b32_e32 v7, 4, v5
	v_and_or_b32 v8, v6, s22, 0.5
	v_or_b32_e32 v7, 0x70000000, v7
	v_add_f32_e32 v8, -0.5, v8
	v_mul_f32_e32 v7, 0x7800000, v7
	v_cmp_gt_u32_e32 vcc, s23, v5
	v_bfe_i32 v6, v6, 0, 16
	v_cndmask_b32_e32 v5, v7, v8, vcc
	s_brev_b32 s22, 1
	v_and_or_b32 v5, v6, s22, v5
	v_cvt_f16_f32_e32 v5, v5
.LBB150_2001:
	s_mov_b64 s[22:23], 0
	s_mov_b64 s[24:25], -1
.LBB150_2002:
	s_andn2_b64 vcc, exec, s[22:23]
	s_mov_b64 s[22:23], 0
	s_cbranch_vccnz .LBB150_2013
; %bb.2003:
	s_cmp_gt_i32 s15, 14
	s_cbranch_scc0 .LBB150_2006
; %bb.2004:
	s_cmp_eq_u32 s15, 15
	s_cbranch_scc0 .LBB150_2009
; %bb.2005:
	global_load_ushort v5, v[0:1], off
	s_mov_b64 s[0:1], 0
	s_mov_b64 s[24:25], -1
	s_waitcnt vmcnt(0)
	v_lshlrev_b32_e32 v5, 16, v5
	v_cvt_f16_f32_e32 v5, v5
	s_branch .LBB150_2010
.LBB150_2006:
	s_mov_b64 s[26:27], -1
                                        ; implicit-def: $vgpr5
	s_branch .LBB150_2011
.LBB150_2007:
	s_or_saveexec_b64 s[24:25], s[24:25]
	v_mov_b32_e32 v5, 0x7e00
	s_xor_b64 exec, exec, s[24:25]
	s_cbranch_execz .LBB150_1988
.LBB150_2008:
	v_cmp_ne_u16_e32 vcc, 0, v6
	s_andn2_b64 s[22:23], s[22:23], exec
	s_and_b64 s[26:27], vcc, exec
	s_or_b64 s[22:23], s[22:23], s[26:27]
	v_mov_b32_e32 v5, v6
	s_or_b64 exec, exec, s[24:25]
	s_and_saveexec_b64 s[24:25], s[22:23]
	s_cbranch_execnz .LBB150_1989
	s_branch .LBB150_1990
.LBB150_2009:
	s_mov_b64 s[0:1], -1
                                        ; implicit-def: $vgpr5
.LBB150_2010:
	s_mov_b64 s[26:27], 0
.LBB150_2011:
	s_and_b64 vcc, exec, s[26:27]
	s_cbranch_vccz .LBB150_2013
; %bb.2012:
	s_cmp_lg_u32 s15, 11
	s_mov_b64 s[22:23], -1
	s_cselect_b64 s[0:1], -1, 0
.LBB150_2013:
	v_mov_b32_e32 v6, 0
	s_and_b64 vcc, exec, s[0:1]
	s_cbranch_vccz .LBB150_1880
.LBB150_2014:
	s_trap 2
	s_or_b64 s[18:19], s[18:19], exec
	s_cbranch_execz .LBB150_1881
	s_branch .LBB150_1882
.LBB150_2015:
	s_mov_b64 s[0:1], -1
                                        ; implicit-def: $vgpr8
                                        ; implicit-def: $vgpr7
	s_mov_b64 s[22:23], 0
.LBB150_2016:
	s_and_b64 vcc, exec, s[24:25]
	s_cbranch_vccz .LBB150_2021
; %bb.2017:
	s_cmp_eq_u32 s28, 44
	s_cbranch_scc0 .LBB150_2019
; %bb.2018:
	global_load_ubyte v7, v[0:1], off
	s_movk_i32 s22, 0xff
	v_mov_b32_e32 v9, 0x7e00
	s_mov_b64 s[0:1], 0
	s_waitcnt vmcnt(0)
	v_lshlrev_b32_e32 v8, 23, v7
	v_cvt_f16_f32_e32 v8, v8
	v_cmp_ne_u32_e32 vcc, s22, v7
	s_mov_b64 s[22:23], -1
	v_cndmask_b32_e32 v8, v9, v8, vcc
	v_cmp_ne_u32_e32 vcc, 0, v7
	v_cndmask_b32_e32 v7, 0, v8, vcc
	s_branch .LBB150_2020
.LBB150_2019:
	s_mov_b64 s[0:1], -1
                                        ; implicit-def: $vgpr7
.LBB150_2020:
	v_mov_b32_e32 v8, 0
.LBB150_2021:
	s_mov_b64 s[24:25], 0
.LBB150_2022:
	s_and_b64 vcc, exec, s[24:25]
	s_cbranch_vccz .LBB150_2027
; %bb.2023:
	s_cmp_eq_u32 s28, 29
	s_cbranch_scc0 .LBB150_2025
; %bb.2024:
	global_load_dwordx2 v[7:8], v[0:1], off
	s_mov_b64 s[0:1], 0
	s_mov_b64 s[22:23], -1
	s_waitcnt vmcnt(0)
	v_ffbh_u32_e32 v9, v8
	v_min_u32_e32 v9, 32, v9
	v_lshlrev_b64 v[7:8], v9, v[7:8]
	v_min_u32_e32 v7, 1, v7
	v_or_b32_e32 v7, v8, v7
	v_cvt_f32_u32_e32 v7, v7
	v_sub_u32_e32 v8, 32, v9
	v_ldexp_f32 v7, v7, v8
	v_cvt_f16_f32_e32 v7, v7
	s_branch .LBB150_2026
.LBB150_2025:
	s_mov_b64 s[0:1], -1
                                        ; implicit-def: $vgpr7
.LBB150_2026:
	v_mov_b32_e32 v8, 0
.LBB150_2027:
	s_mov_b64 s[24:25], 0
.LBB150_2028:
	s_and_b64 vcc, exec, s[24:25]
	s_cbranch_vccz .LBB150_2046
; %bb.2029:
	s_cmp_lt_i32 s28, 27
	s_cbranch_scc1 .LBB150_2032
; %bb.2030:
	s_cmp_gt_i32 s28, 27
	s_cbranch_scc0 .LBB150_2033
; %bb.2031:
	global_load_dword v7, v[0:1], off
	s_mov_b64 s[22:23], 0
	s_waitcnt vmcnt(0)
	v_cvt_f32_u32_e32 v7, v7
	v_cvt_f16_f32_e32 v7, v7
	s_branch .LBB150_2034
.LBB150_2032:
	s_mov_b64 s[22:23], -1
                                        ; implicit-def: $vgpr7
	s_branch .LBB150_2037
.LBB150_2033:
	s_mov_b64 s[22:23], -1
                                        ; implicit-def: $vgpr7
.LBB150_2034:
	s_andn2_b64 vcc, exec, s[22:23]
	s_cbranch_vccnz .LBB150_2036
; %bb.2035:
	global_load_ushort v7, v[0:1], off
	s_waitcnt vmcnt(0)
	v_cvt_f16_u16_e32 v7, v7
.LBB150_2036:
	s_mov_b64 s[22:23], 0
.LBB150_2037:
	s_andn2_b64 vcc, exec, s[22:23]
	s_cbranch_vccnz .LBB150_2045
; %bb.2038:
	global_load_ubyte v8, v[0:1], off
	s_movk_i32 s22, 0x7f
	s_waitcnt vmcnt(0)
	v_cmp_lt_i16_e32 vcc, s22, v8
	s_mov_b64 s[22:23], 0
	s_and_saveexec_b64 s[24:25], vcc
	s_xor_b64 s[24:25], exec, s[24:25]
	s_cbranch_execz .LBB150_2071
; %bb.2039:
	s_movk_i32 s22, 0x80
	v_cmp_eq_u16_e32 vcc, s22, v8
	s_mov_b64 s[22:23], -1
	s_and_saveexec_b64 s[26:27], vcc
; %bb.2040:
	s_xor_b64 s[22:23], exec, -1
; %bb.2041:
	s_or_b64 exec, exec, s[26:27]
	s_and_b64 s[22:23], s[22:23], exec
	s_or_saveexec_b64 s[24:25], s[24:25]
	v_mov_b32_e32 v7, 0x7e00
	s_xor_b64 exec, exec, s[24:25]
	s_cbranch_execnz .LBB150_2072
.LBB150_2042:
	s_or_b64 exec, exec, s[24:25]
	s_and_saveexec_b64 s[24:25], s[22:23]
	s_cbranch_execz .LBB150_2044
.LBB150_2043:
	v_lshlrev_b32_e32 v7, 24, v8
	v_and_b32_e32 v8, 0xffff, v8
	v_and_b32_e32 v9, 7, v8
	v_ffbh_u32_e32 v11, v9
	v_min_u32_e32 v11, 32, v11
	v_subrev_u32_e32 v12, 28, v11
	v_bfe_u32 v10, v8, 3, 4
	v_lshlrev_b32_e32 v8, v12, v8
	v_sub_u32_e32 v11, 29, v11
	v_and_b32_e32 v8, 7, v8
	v_cmp_eq_u32_e32 vcc, 0, v10
	v_cndmask_b32_e32 v10, v10, v11, vcc
	v_cndmask_b32_e32 v8, v9, v8, vcc
	v_mov_b32_e32 v9, 0x3b800000
	v_lshlrev_b32_e32 v8, 20, v8
	v_and_b32_e32 v7, 0x80000000, v7
	v_lshl_add_u32 v9, v10, 23, v9
	v_or3_b32 v7, v7, v9, v8
	v_cvt_f16_f32_e32 v7, v7
.LBB150_2044:
	s_or_b64 exec, exec, s[24:25]
.LBB150_2045:
	s_mov_b64 s[22:23], -1
	v_mov_b32_e32 v8, 0
.LBB150_2046:
	s_mov_b64 s[24:25], 0
.LBB150_2047:
	s_and_b64 vcc, exec, s[24:25]
	s_cbranch_vccz .LBB150_2058
; %bb.2048:
	s_cmp_gt_i32 s28, 22
	s_cbranch_scc0 .LBB150_2069
; %bb.2049:
	s_cmp_lt_i32 s28, 24
	s_cbranch_scc1 .LBB150_2073
; %bb.2050:
	s_cmp_gt_i32 s28, 24
	s_cbranch_scc0 .LBB150_2075
; %bb.2051:
	global_load_ubyte v8, v[0:1], off
	s_movk_i32 s14, 0x7f
	s_waitcnt vmcnt(0)
	v_cmp_lt_i16_e32 vcc, s14, v8
	s_mov_b64 s[14:15], 0
	s_and_saveexec_b64 s[22:23], vcc
	s_xor_b64 s[22:23], exec, s[22:23]
	s_cbranch_execz .LBB150_2087
; %bb.2052:
	s_movk_i32 s14, 0x80
	v_cmp_eq_u16_e32 vcc, s14, v8
	s_mov_b64 s[14:15], -1
	s_and_saveexec_b64 s[24:25], vcc
; %bb.2053:
	s_xor_b64 s[14:15], exec, -1
; %bb.2054:
	s_or_b64 exec, exec, s[24:25]
	s_and_b64 s[14:15], s[14:15], exec
	s_or_saveexec_b64 s[22:23], s[22:23]
	v_mov_b32_e32 v7, 0x7e00
	s_xor_b64 exec, exec, s[22:23]
	s_cbranch_execnz .LBB150_2088
.LBB150_2055:
	s_or_b64 exec, exec, s[22:23]
	s_and_saveexec_b64 s[22:23], s[14:15]
	s_cbranch_execz .LBB150_2057
.LBB150_2056:
	v_lshlrev_b32_e32 v7, 24, v8
	v_and_b32_e32 v8, 0xffff, v8
	v_and_b32_e32 v9, 3, v8
	v_ffbh_u32_e32 v11, v9
	v_min_u32_e32 v11, 32, v11
	v_subrev_u32_e32 v12, 29, v11
	v_bfe_u32 v10, v8, 2, 5
	v_lshlrev_b32_e32 v8, v12, v8
	v_sub_u32_e32 v11, 30, v11
	v_and_b32_e32 v8, 3, v8
	v_cmp_eq_u32_e32 vcc, 0, v10
	v_cndmask_b32_e32 v10, v10, v11, vcc
	v_cndmask_b32_e32 v8, v9, v8, vcc
	v_mov_b32_e32 v9, 0x37800000
	v_lshlrev_b32_e32 v8, 21, v8
	v_and_b32_e32 v7, 0x80000000, v7
	v_lshl_add_u32 v9, v10, 23, v9
	v_or3_b32 v7, v7, v9, v8
	v_cvt_f16_f32_e32 v7, v7
.LBB150_2057:
	s_or_b64 exec, exec, s[22:23]
	s_mov_b64 s[14:15], 0
	s_branch .LBB150_2076
.LBB150_2058:
	s_and_b64 vcc, exec, s[0:1]
	s_cbranch_vccnz .LBB150_2106
.LBB150_2059:
	s_andn2_b64 vcc, exec, s[14:15]
	s_cbranch_vccnz .LBB150_2061
.LBB150_2060:
	global_load_ubyte v7, v[0:1], off
	v_mov_b32_e32 v9, 0x3c00
	v_mov_b32_e32 v8, 0
	s_mov_b64 s[22:23], -1
	s_waitcnt vmcnt(0)
	v_cmp_ne_u16_e32 vcc, 0, v7
	v_cndmask_b32_e32 v7, 0, v9, vcc
.LBB150_2061:
	s_mov_b64 s[0:1], 0
.LBB150_2062:
	s_and_b64 vcc, exec, s[0:1]
	s_cbranch_vccz .LBB150_2137
; %bb.2063:
	s_and_b32 s14, 0xffff, s31
	s_cmp_lt_i32 s14, 5
	s_cbranch_scc1 .LBB150_2068
; %bb.2064:
	s_cmp_lt_i32 s14, 8
	s_cbranch_scc1 .LBB150_2070
; %bb.2065:
	;; [unrolled: 3-line block ×3, first 2 shown]
	s_cmp_gt_i32 s14, 9
	s_cbranch_scc0 .LBB150_2089
; %bb.2067:
	global_load_dwordx4 v[7:10], v[0:1], off
	s_movk_i32 s0, 0x1ff
	s_movk_i32 s1, 0xffe
	v_mov_b32_e32 v11, 0x7c00
	v_mov_b32_e32 v12, 0x7e00
	s_movk_i32 s15, 0x40f
	s_mov_b32 s22, 0x8000
	s_waitcnt vmcnt(0)
	v_and_or_b32 v7, v8, s0, v7
	v_and_or_b32 v9, v10, s0, v9
	v_cmp_ne_u32_e32 vcc, 0, v7
	v_lshrrev_b32_e32 v13, 8, v8
	v_cndmask_b32_e64 v7, 0, 1, vcc
	v_cmp_ne_u32_e32 vcc, 0, v9
	v_bfe_u32 v14, v8, 20, 11
	v_lshrrev_b32_e32 v15, 8, v10
	v_bfe_u32 v16, v10, 20, 11
	v_cndmask_b32_e64 v9, 0, 1, vcc
	v_and_or_b32 v7, v13, s1, v7
	v_sub_u32_e32 v17, 0x3f1, v14
	v_add_u32_e32 v14, 0xfffffc10, v14
	v_sub_u32_e32 v18, 0x3f1, v16
	v_and_or_b32 v9, v15, s1, v9
	v_cmp_ne_u32_e32 vcc, 0, v7
	v_add_u32_e32 v16, 0xfffffc10, v16
	v_med3_i32 v13, v17, 0, 13
	v_med3_i32 v15, v18, 0, 13
	v_or_b32_e32 v17, 0x1000, v7
	v_lshl_or_b32 v18, v14, 12, v7
	v_cndmask_b32_e32 v7, v11, v12, vcc
	v_cmp_ne_u32_e32 vcc, 0, v9
	v_or_b32_e32 v19, 0x1000, v9
	v_lshl_or_b32 v20, v16, 12, v9
	v_cndmask_b32_e32 v9, v11, v12, vcc
	v_lshrrev_b32_e32 v12, v13, v17
	v_lshrrev_b32_e32 v21, v15, v19
	v_lshlrev_b32_e32 v13, v13, v12
	v_lshlrev_b32_e32 v15, v15, v21
	v_cmp_ne_u32_e32 vcc, v13, v17
	v_cndmask_b32_e64 v13, 0, 1, vcc
	v_cmp_ne_u32_e32 vcc, v15, v19
	v_cndmask_b32_e64 v15, 0, 1, vcc
	v_or_b32_e32 v12, v12, v13
	v_cmp_gt_i32_e32 vcc, 1, v14
	v_cndmask_b32_e32 v12, v18, v12, vcc
	v_or_b32_e32 v13, v21, v15
	v_cmp_gt_i32_e32 vcc, 1, v16
	v_and_b32_e32 v15, 7, v12
	v_cndmask_b32_e32 v13, v20, v13, vcc
	v_cmp_lt_i32_e32 vcc, 5, v15
	v_and_b32_e32 v17, 7, v13
	v_cndmask_b32_e64 v18, 0, 1, vcc
	v_cmp_eq_u32_e32 vcc, 3, v15
	v_cndmask_b32_e64 v15, 0, 1, vcc
	v_cmp_lt_i32_e32 vcc, 5, v17
	v_cndmask_b32_e64 v19, 0, 1, vcc
	v_cmp_eq_u32_e32 vcc, 3, v17
	v_lshrrev_b32_e32 v12, 2, v12
	v_cndmask_b32_e64 v17, 0, 1, vcc
	v_or_b32_e32 v15, v15, v18
	v_lshrrev_b32_e32 v13, 2, v13
	v_or_b32_e32 v17, v17, v19
	v_add_u32_e32 v12, v12, v15
	v_cmp_gt_i32_e32 vcc, 31, v14
	v_add_u32_e32 v13, v13, v17
	v_cndmask_b32_e32 v12, v11, v12, vcc
	v_cmp_gt_i32_e32 vcc, 31, v16
	v_cndmask_b32_e32 v11, v11, v13, vcc
	v_cmp_eq_u32_e32 vcc, s15, v14
	v_cndmask_b32_e32 v7, v12, v7, vcc
	v_cmp_eq_u32_e32 vcc, s15, v16
	v_lshrrev_b32_e32 v8, 16, v8
	v_lshrrev_b32_e32 v10, 16, v10
	v_cndmask_b32_e32 v9, v11, v9, vcc
	v_and_or_b32 v7, v8, s22, v7
	v_and_or_b32 v8, v10, s22, v9
	s_mov_b64 s[0:1], 0
	s_branch .LBB150_2090
.LBB150_2068:
	s_mov_b64 s[0:1], -1
                                        ; implicit-def: $vgpr8
                                        ; implicit-def: $vgpr7
	s_branch .LBB150_2115
.LBB150_2069:
	s_mov_b64 s[14:15], -1
                                        ; implicit-def: $vgpr7
	s_branch .LBB150_2082
.LBB150_2070:
	s_mov_b64 s[0:1], -1
                                        ; implicit-def: $vgpr8
                                        ; implicit-def: $vgpr7
	s_branch .LBB150_2096
.LBB150_2071:
	s_or_saveexec_b64 s[24:25], s[24:25]
	v_mov_b32_e32 v7, 0x7e00
	s_xor_b64 exec, exec, s[24:25]
	s_cbranch_execz .LBB150_2042
.LBB150_2072:
	v_cmp_ne_u16_e32 vcc, 0, v8
	s_andn2_b64 s[22:23], s[22:23], exec
	s_and_b64 s[26:27], vcc, exec
	s_or_b64 s[22:23], s[22:23], s[26:27]
	v_mov_b32_e32 v7, v8
	s_or_b64 exec, exec, s[24:25]
	s_and_saveexec_b64 s[24:25], s[22:23]
	s_cbranch_execnz .LBB150_2043
	s_branch .LBB150_2044
.LBB150_2073:
	s_mov_b64 s[14:15], -1
                                        ; implicit-def: $vgpr7
	s_branch .LBB150_2079
.LBB150_2074:
	s_mov_b64 s[0:1], -1
                                        ; implicit-def: $vgpr8
                                        ; implicit-def: $vgpr7
	s_branch .LBB150_2093
.LBB150_2075:
	s_mov_b64 s[14:15], -1
                                        ; implicit-def: $vgpr7
.LBB150_2076:
	s_and_b64 vcc, exec, s[14:15]
	s_cbranch_vccz .LBB150_2078
; %bb.2077:
	global_load_ubyte v7, v[0:1], off
	s_mov_b32 s14, 0x7f800000
	s_waitcnt vmcnt(0)
	v_lshlrev_b32_e32 v7, 24, v7
	v_and_b32_e32 v8, 0x7f000000, v7
	v_ffbh_u32_e32 v9, v8
	v_min_u32_e32 v9, 32, v9
	v_sub_u32_e64 v9, v9, 4 clamp
	v_lshlrev_b32_e32 v11, v9, v8
	v_lshlrev_b32_e32 v9, 23, v9
	v_lshrrev_b32_e32 v11, 4, v11
	v_add_u32_e32 v10, 0x1000000, v8
	v_sub_u32_e32 v9, v11, v9
	v_ashrrev_i32_e32 v10, 8, v10
	v_add_u32_e32 v9, 0x3c000000, v9
	v_and_or_b32 v9, v10, s14, v9
	v_cmp_ne_u32_e32 vcc, 0, v8
	v_cndmask_b32_e32 v8, 0, v9, vcc
	s_brev_b32 s14, 1
	v_and_or_b32 v7, v7, s14, v8
	v_cvt_f16_f32_e32 v7, v7
.LBB150_2078:
	s_mov_b64 s[14:15], 0
.LBB150_2079:
	s_andn2_b64 vcc, exec, s[14:15]
	s_cbranch_vccnz .LBB150_2081
; %bb.2080:
	global_load_ubyte v7, v[0:1], off
	s_movk_i32 s14, 0x7f00
	s_brev_b32 s15, 16
	s_waitcnt vmcnt(0)
	v_lshlrev_b16_e32 v8, 8, v7
	v_lshlrev_b32_e32 v7, 25, v7
	v_lshrrev_b32_e32 v9, 4, v7
	v_and_or_b32 v10, v8, s14, 0.5
	v_or_b32_e32 v9, 0x70000000, v9
	v_add_f32_e32 v10, -0.5, v10
	v_mul_f32_e32 v9, 0x7800000, v9
	v_cmp_gt_u32_e32 vcc, s15, v7
	v_bfe_i32 v8, v8, 0, 16
	v_cndmask_b32_e32 v7, v9, v10, vcc
	s_brev_b32 s14, 1
	v_and_or_b32 v7, v8, s14, v7
	v_cvt_f16_f32_e32 v7, v7
.LBB150_2081:
	s_mov_b64 s[14:15], 0
	s_mov_b64 s[22:23], -1
.LBB150_2082:
	s_andn2_b64 vcc, exec, s[14:15]
	s_mov_b64 s[14:15], 0
	s_cbranch_vccnz .LBB150_2105
; %bb.2083:
	s_cmp_gt_i32 s28, 14
	s_cbranch_scc0 .LBB150_2086
; %bb.2084:
	s_cmp_eq_u32 s28, 15
	s_cbranch_scc0 .LBB150_2101
; %bb.2085:
	global_load_ushort v7, v[0:1], off
	s_mov_b64 s[0:1], 0
	s_mov_b64 s[22:23], -1
	s_waitcnt vmcnt(0)
	v_lshlrev_b32_e32 v7, 16, v7
	v_cvt_f16_f32_e32 v7, v7
	s_branch .LBB150_2102
.LBB150_2086:
	s_mov_b64 s[24:25], -1
                                        ; implicit-def: $vgpr7
	s_branch .LBB150_2103
.LBB150_2087:
	s_or_saveexec_b64 s[22:23], s[22:23]
	v_mov_b32_e32 v7, 0x7e00
	s_xor_b64 exec, exec, s[22:23]
	s_cbranch_execz .LBB150_2055
.LBB150_2088:
	v_cmp_ne_u16_e32 vcc, 0, v8
	s_andn2_b64 s[14:15], s[14:15], exec
	s_and_b64 s[24:25], vcc, exec
	s_or_b64 s[14:15], s[14:15], s[24:25]
	v_mov_b32_e32 v7, v8
	s_or_b64 exec, exec, s[22:23]
	s_and_saveexec_b64 s[22:23], s[14:15]
	s_cbranch_execnz .LBB150_2056
	s_branch .LBB150_2057
.LBB150_2089:
	s_mov_b64 s[0:1], -1
                                        ; implicit-def: $vgpr8
                                        ; implicit-def: $vgpr7
.LBB150_2090:
	s_andn2_b64 vcc, exec, s[0:1]
	s_cbranch_vccnz .LBB150_2092
; %bb.2091:
	global_load_dwordx2 v[7:8], v[0:1], off
	s_waitcnt vmcnt(0)
	v_cvt_f16_f32_e32 v7, v7
	v_cvt_f16_f32_e32 v8, v8
.LBB150_2092:
	s_mov_b64 s[0:1], 0
.LBB150_2093:
	s_andn2_b64 vcc, exec, s[0:1]
	s_cbranch_vccnz .LBB150_2095
; %bb.2094:
	global_load_dword v7, v[0:1], off
	s_waitcnt vmcnt(0)
	v_lshrrev_b32_e32 v8, 16, v7
.LBB150_2095:
	s_mov_b64 s[0:1], 0
.LBB150_2096:
	s_andn2_b64 vcc, exec, s[0:1]
	s_cbranch_vccnz .LBB150_2114
; %bb.2097:
	s_cmp_lt_i32 s14, 6
	s_cbranch_scc1 .LBB150_2100
; %bb.2098:
	s_cmp_gt_i32 s14, 6
	s_cbranch_scc0 .LBB150_2107
; %bb.2099:
	global_load_dwordx2 v[7:8], v[0:1], off
	s_movk_i32 s0, 0x1ff
	s_movk_i32 s1, 0xffe
	v_mov_b32_e32 v9, 0x7c00
	v_mov_b32_e32 v10, 0x7e00
	s_movk_i32 s15, 0x40f
	s_mov_b32 s22, 0x8000
	s_waitcnt vmcnt(0)
	v_and_or_b32 v7, v8, s0, v7
	v_cmp_ne_u32_e32 vcc, 0, v7
	v_lshrrev_b32_e32 v11, 8, v8
	v_bfe_u32 v12, v8, 20, 11
	v_cndmask_b32_e64 v7, 0, 1, vcc
	v_sub_u32_e32 v13, 0x3f1, v12
	v_and_or_b32 v7, v11, s1, v7
	v_add_u32_e32 v12, 0xfffffc10, v12
	v_med3_i32 v11, v13, 0, 13
	v_or_b32_e32 v13, 0x1000, v7
	v_cmp_ne_u32_e32 vcc, 0, v7
	v_lshl_or_b32 v14, v12, 12, v7
	v_cndmask_b32_e32 v7, v9, v10, vcc
	v_lshrrev_b32_e32 v10, v11, v13
	v_lshlrev_b32_e32 v11, v11, v10
	v_cmp_ne_u32_e32 vcc, v11, v13
	v_cndmask_b32_e64 v11, 0, 1, vcc
	v_or_b32_e32 v10, v10, v11
	v_cmp_gt_i32_e32 vcc, 1, v12
	v_cndmask_b32_e32 v10, v14, v10, vcc
	v_and_b32_e32 v11, 7, v10
	v_cmp_lt_i32_e32 vcc, 5, v11
	v_cndmask_b32_e64 v13, 0, 1, vcc
	v_cmp_eq_u32_e32 vcc, 3, v11
	v_cndmask_b32_e64 v11, 0, 1, vcc
	v_lshrrev_b32_e32 v10, 2, v10
	v_or_b32_e32 v11, v11, v13
	v_add_u32_e32 v10, v10, v11
	v_cmp_gt_i32_e32 vcc, 31, v12
	v_cndmask_b32_e32 v9, v9, v10, vcc
	v_cmp_eq_u32_e32 vcc, s15, v12
	v_lshrrev_b32_e32 v8, 16, v8
	v_cndmask_b32_e32 v7, v9, v7, vcc
	v_and_or_b32 v7, v8, s22, v7
	s_mov_b64 s[0:1], 0
	s_branch .LBB150_2108
.LBB150_2100:
	s_mov_b64 s[0:1], -1
                                        ; implicit-def: $vgpr7
	s_branch .LBB150_2111
.LBB150_2101:
	s_mov_b64 s[0:1], -1
                                        ; implicit-def: $vgpr7
.LBB150_2102:
	s_mov_b64 s[24:25], 0
.LBB150_2103:
	s_and_b64 vcc, exec, s[24:25]
	s_cbranch_vccz .LBB150_2105
; %bb.2104:
	s_cmp_lg_u32 s28, 11
	s_mov_b64 s[14:15], -1
	s_cselect_b64 s[0:1], -1, 0
.LBB150_2105:
	v_mov_b32_e32 v8, 0
	s_and_b64 vcc, exec, s[0:1]
	s_cbranch_vccz .LBB150_2059
.LBB150_2106:
	s_trap 2
	s_or_b64 s[18:19], s[18:19], exec
	s_cbranch_execz .LBB150_2060
	s_branch .LBB150_2061
.LBB150_2107:
	s_mov_b64 s[0:1], -1
                                        ; implicit-def: $vgpr7
.LBB150_2108:
	s_andn2_b64 vcc, exec, s[0:1]
	s_cbranch_vccnz .LBB150_2110
; %bb.2109:
	global_load_dword v7, v[0:1], off
	s_waitcnt vmcnt(0)
	v_cvt_f16_f32_e32 v7, v7
.LBB150_2110:
	s_mov_b64 s[0:1], 0
.LBB150_2111:
	s_andn2_b64 vcc, exec, s[0:1]
	s_cbranch_vccnz .LBB150_2113
; %bb.2112:
	global_load_ushort v7, v[0:1], off
.LBB150_2113:
	v_mov_b32_e32 v8, 0
.LBB150_2114:
	s_mov_b64 s[0:1], 0
.LBB150_2115:
	s_andn2_b64 vcc, exec, s[0:1]
	s_cbranch_vccnz .LBB150_2136
; %bb.2116:
	s_cmp_lt_i32 s14, 2
	s_cbranch_scc1 .LBB150_2120
; %bb.2117:
	s_cmp_lt_i32 s14, 3
	s_cbranch_scc1 .LBB150_2121
; %bb.2118:
	s_cmp_gt_i32 s14, 3
	s_cbranch_scc0 .LBB150_2122
; %bb.2119:
	global_load_dwordx2 v[7:8], v[0:1], off
	s_mov_b64 s[0:1], 0
	s_waitcnt vmcnt(0)
	v_xor_b32_e32 v10, v7, v8
	v_ffbh_i32_e32 v9, v8
	v_ashrrev_i32_e32 v10, 31, v10
	v_add_u32_e32 v9, -1, v9
	v_add_u32_e32 v10, 32, v10
	v_min_u32_e32 v9, v9, v10
	v_lshlrev_b64 v[7:8], v9, v[7:8]
	v_min_u32_e32 v7, 1, v7
	v_or_b32_e32 v7, v8, v7
	v_cvt_f32_i32_e32 v7, v7
	v_sub_u32_e32 v8, 32, v9
	v_ldexp_f32 v7, v7, v8
	v_cvt_f16_f32_e32 v7, v7
	s_branch .LBB150_2123
.LBB150_2120:
	s_mov_b64 s[0:1], -1
                                        ; implicit-def: $vgpr7
	s_branch .LBB150_2129
.LBB150_2121:
	s_mov_b64 s[0:1], -1
                                        ; implicit-def: $vgpr7
	s_branch .LBB150_2126
.LBB150_2122:
	s_mov_b64 s[0:1], -1
                                        ; implicit-def: $vgpr7
.LBB150_2123:
	s_andn2_b64 vcc, exec, s[0:1]
	s_cbranch_vccnz .LBB150_2125
; %bb.2124:
	global_load_dword v7, v[0:1], off
	s_waitcnt vmcnt(0)
	v_cvt_f32_i32_e32 v7, v7
	v_cvt_f16_f32_e32 v7, v7
.LBB150_2125:
	s_mov_b64 s[0:1], 0
.LBB150_2126:
	s_andn2_b64 vcc, exec, s[0:1]
	s_cbranch_vccnz .LBB150_2128
; %bb.2127:
	global_load_ushort v7, v[0:1], off
	s_waitcnt vmcnt(0)
	v_cvt_f16_i16_e32 v7, v7
.LBB150_2128:
	s_mov_b64 s[0:1], 0
.LBB150_2129:
	s_andn2_b64 vcc, exec, s[0:1]
	s_cbranch_vccnz .LBB150_2135
; %bb.2130:
	s_cmp_gt_i32 s14, 0
	s_cbranch_scc0 .LBB150_2132
; %bb.2131:
	global_load_sbyte v7, v[0:1], off
	s_mov_b64 s[0:1], 0
	s_waitcnt vmcnt(0)
	v_cvt_f16_i16_e32 v7, v7
	s_branch .LBB150_2133
.LBB150_2132:
	s_mov_b64 s[0:1], -1
                                        ; implicit-def: $vgpr7
.LBB150_2133:
	s_andn2_b64 vcc, exec, s[0:1]
	s_cbranch_vccnz .LBB150_2135
; %bb.2134:
	global_load_ubyte v0, v[0:1], off
	s_waitcnt vmcnt(0)
	v_cvt_f16_u16_e32 v7, v0
.LBB150_2135:
	v_mov_b32_e32 v8, 0
.LBB150_2136:
	s_mov_b64 s[22:23], -1
.LBB150_2137:
	s_andn2_b64 vcc, exec, s[22:23]
	s_cbranch_vccnz .LBB150_2692
; %bb.2138:
	s_and_b64 vcc, exec, s[20:21]
	s_cbranch_vccz .LBB150_2140
; %bb.2139:
	s_waitcnt vmcnt(0)
	v_cmp_neq_f16_e32 vcc, v5, v7
	v_cmp_neq_f16_e64 s[0:1], v6, v8
	s_or_b64 s[14:15], vcc, s[0:1]
	s_mov_b64 s[0:1], 0
	s_branch .LBB150_2141
.LBB150_2140:
	s_mov_b64 s[0:1], -1
                                        ; implicit-def: $sgpr14_sgpr15
.LBB150_2141:
	s_andn2_b64 vcc, exec, s[0:1]
	s_cbranch_vccnz .LBB150_2143
; %bb.2142:
	s_waitcnt vmcnt(0)
	v_cmp_eq_f16_e32 vcc, v5, v7
	v_cmp_eq_f16_e64 s[0:1], v6, v8
	s_and_b64 s[0:1], vcc, s[0:1]
	s_andn2_b64 s[14:15], s[14:15], exec
	s_and_b64 s[0:1], s[0:1], exec
	s_or_b64 s[14:15], s[14:15], s[0:1]
.LBB150_2143:
	v_add_u32_e32 v3, s13, v3
	v_ashrrev_i32_e32 v1, 31, v3
	s_waitcnt vmcnt(0)
	v_mov_b32_e32 v5, s11
	v_add_co_u32_e32 v0, vcc, s10, v3
	s_cmp_lt_i32 s30, 11
	v_addc_co_u32_e32 v1, vcc, v5, v1, vcc
	s_cbranch_scc1 .LBB150_2150
; %bb.2144:
	s_and_b32 s35, 0xffff, s30
	s_cmp_gt_i32 s35, 25
	s_mov_b64 s[22:23], 0
	s_cbranch_scc0 .LBB150_2151
; %bb.2145:
	s_cmp_gt_i32 s35, 28
	s_cbranch_scc0 .LBB150_2152
; %bb.2146:
	s_cmp_gt_i32 s35, 43
	;; [unrolled: 3-line block ×3, first 2 shown]
	s_cbranch_scc0 .LBB150_2154
; %bb.2148:
	s_cmp_eq_u32 s35, 46
	s_mov_b64 s[26:27], 0
	s_cbranch_scc0 .LBB150_2155
; %bb.2149:
	global_load_dword v5, v[0:1], off
	s_mov_b64 s[0:1], 0
	s_mov_b64 s[24:25], -1
	s_waitcnt vmcnt(0)
	v_and_b32_e32 v6, 0xffff0000, v5
	v_lshlrev_b32_e32 v5, 16, v5
	v_cvt_f16_f32_e32 v5, v5
	v_cvt_f16_f32_e32 v6, v6
	s_branch .LBB150_2156
.LBB150_2150:
	s_mov_b64 s[0:1], -1
	s_mov_b64 s[24:25], 0
                                        ; implicit-def: $vgpr6
                                        ; implicit-def: $vgpr5
	s_branch .LBB150_2202
.LBB150_2151:
	s_mov_b64 s[26:27], -1
	s_mov_b64 s[24:25], 0
	s_mov_b64 s[0:1], 0
                                        ; implicit-def: $vgpr6
                                        ; implicit-def: $vgpr5
	s_branch .LBB150_2187
.LBB150_2152:
	s_mov_b64 s[26:27], -1
	s_mov_b64 s[24:25], 0
	s_mov_b64 s[0:1], 0
                                        ; implicit-def: $vgpr6
                                        ; implicit-def: $vgpr5
	s_branch .LBB150_2168
.LBB150_2153:
	s_mov_b64 s[26:27], -1
	s_mov_b64 s[24:25], 0
	s_mov_b64 s[0:1], 0
                                        ; implicit-def: $vgpr6
                                        ; implicit-def: $vgpr5
	s_branch .LBB150_2162
.LBB150_2154:
	s_mov_b64 s[26:27], -1
	s_mov_b64 s[24:25], 0
	s_mov_b64 s[0:1], 0
                                        ; implicit-def: $vgpr6
                                        ; implicit-def: $vgpr5
	s_branch .LBB150_2156
.LBB150_2155:
	s_mov_b64 s[0:1], -1
                                        ; implicit-def: $vgpr6
                                        ; implicit-def: $vgpr5
	s_mov_b64 s[24:25], 0
.LBB150_2156:
	s_and_b64 vcc, exec, s[26:27]
	s_cbranch_vccz .LBB150_2161
; %bb.2157:
	s_cmp_eq_u32 s35, 44
	s_cbranch_scc0 .LBB150_2159
; %bb.2158:
	global_load_ubyte v5, v[0:1], off
	s_movk_i32 s24, 0xff
	v_mov_b32_e32 v7, 0x7e00
	s_mov_b64 s[0:1], 0
	s_waitcnt vmcnt(0)
	v_lshlrev_b32_e32 v6, 23, v5
	v_cvt_f16_f32_e32 v6, v6
	v_cmp_ne_u32_e32 vcc, s24, v5
	s_mov_b64 s[24:25], -1
	v_cndmask_b32_e32 v6, v7, v6, vcc
	v_cmp_ne_u32_e32 vcc, 0, v5
	v_cndmask_b32_e32 v5, 0, v6, vcc
	s_branch .LBB150_2160
.LBB150_2159:
	s_mov_b64 s[0:1], -1
                                        ; implicit-def: $vgpr5
.LBB150_2160:
	v_mov_b32_e32 v6, 0
.LBB150_2161:
	s_mov_b64 s[26:27], 0
.LBB150_2162:
	s_and_b64 vcc, exec, s[26:27]
	s_cbranch_vccz .LBB150_2167
; %bb.2163:
	s_cmp_eq_u32 s35, 29
	s_cbranch_scc0 .LBB150_2165
; %bb.2164:
	global_load_dwordx2 v[5:6], v[0:1], off
	s_mov_b64 s[0:1], 0
	s_mov_b64 s[24:25], -1
	s_waitcnt vmcnt(0)
	v_ffbh_u32_e32 v7, v6
	v_min_u32_e32 v7, 32, v7
	v_lshlrev_b64 v[5:6], v7, v[5:6]
	v_min_u32_e32 v5, 1, v5
	v_or_b32_e32 v5, v6, v5
	v_cvt_f32_u32_e32 v5, v5
	v_sub_u32_e32 v6, 32, v7
	v_ldexp_f32 v5, v5, v6
	v_cvt_f16_f32_e32 v5, v5
	s_branch .LBB150_2166
.LBB150_2165:
	s_mov_b64 s[0:1], -1
                                        ; implicit-def: $vgpr5
.LBB150_2166:
	v_mov_b32_e32 v6, 0
.LBB150_2167:
	s_mov_b64 s[26:27], 0
.LBB150_2168:
	s_and_b64 vcc, exec, s[26:27]
	s_cbranch_vccz .LBB150_2186
; %bb.2169:
	s_cmp_lt_i32 s35, 27
	s_cbranch_scc1 .LBB150_2172
; %bb.2170:
	s_cmp_gt_i32 s35, 27
	s_cbranch_scc0 .LBB150_2173
; %bb.2171:
	global_load_dword v5, v[0:1], off
	s_mov_b64 s[24:25], 0
	s_waitcnt vmcnt(0)
	v_cvt_f32_u32_e32 v5, v5
	v_cvt_f16_f32_e32 v5, v5
	s_branch .LBB150_2174
.LBB150_2172:
	s_mov_b64 s[24:25], -1
                                        ; implicit-def: $vgpr5
	s_branch .LBB150_2177
.LBB150_2173:
	s_mov_b64 s[24:25], -1
                                        ; implicit-def: $vgpr5
.LBB150_2174:
	s_andn2_b64 vcc, exec, s[24:25]
	s_cbranch_vccnz .LBB150_2176
; %bb.2175:
	global_load_ushort v5, v[0:1], off
	s_waitcnt vmcnt(0)
	v_cvt_f16_u16_e32 v5, v5
.LBB150_2176:
	s_mov_b64 s[24:25], 0
.LBB150_2177:
	s_andn2_b64 vcc, exec, s[24:25]
	s_cbranch_vccnz .LBB150_2185
; %bb.2178:
	global_load_ubyte v6, v[0:1], off
	s_movk_i32 s24, 0x7f
	s_waitcnt vmcnt(0)
	v_cmp_lt_i16_e32 vcc, s24, v6
	s_mov_b64 s[24:25], 0
	s_and_saveexec_b64 s[26:27], vcc
	s_xor_b64 s[26:27], exec, s[26:27]
	s_cbranch_execz .LBB150_2211
; %bb.2179:
	s_movk_i32 s24, 0x80
	v_cmp_eq_u16_e32 vcc, s24, v6
	s_mov_b64 s[24:25], -1
	s_and_saveexec_b64 s[28:29], vcc
; %bb.2180:
	s_xor_b64 s[24:25], exec, -1
; %bb.2181:
	s_or_b64 exec, exec, s[28:29]
	s_and_b64 s[24:25], s[24:25], exec
	s_or_saveexec_b64 s[26:27], s[26:27]
	v_mov_b32_e32 v5, 0x7e00
	s_xor_b64 exec, exec, s[26:27]
	s_cbranch_execnz .LBB150_2212
.LBB150_2182:
	s_or_b64 exec, exec, s[26:27]
	s_and_saveexec_b64 s[26:27], s[24:25]
	s_cbranch_execz .LBB150_2184
.LBB150_2183:
	v_lshlrev_b32_e32 v5, 24, v6
	v_and_b32_e32 v6, 0xffff, v6
	v_and_b32_e32 v7, 7, v6
	v_ffbh_u32_e32 v9, v7
	v_min_u32_e32 v9, 32, v9
	v_subrev_u32_e32 v10, 28, v9
	v_bfe_u32 v8, v6, 3, 4
	v_lshlrev_b32_e32 v6, v10, v6
	v_sub_u32_e32 v9, 29, v9
	v_and_b32_e32 v6, 7, v6
	v_cmp_eq_u32_e32 vcc, 0, v8
	v_cndmask_b32_e32 v8, v8, v9, vcc
	v_cndmask_b32_e32 v6, v7, v6, vcc
	v_mov_b32_e32 v7, 0x3b800000
	v_lshlrev_b32_e32 v6, 20, v6
	v_and_b32_e32 v5, 0x80000000, v5
	v_lshl_add_u32 v7, v8, 23, v7
	v_or3_b32 v5, v5, v7, v6
	v_cvt_f16_f32_e32 v5, v5
.LBB150_2184:
	s_or_b64 exec, exec, s[26:27]
.LBB150_2185:
	s_mov_b64 s[24:25], -1
	v_mov_b32_e32 v6, 0
.LBB150_2186:
	s_mov_b64 s[26:27], 0
.LBB150_2187:
	s_and_b64 vcc, exec, s[26:27]
	s_cbranch_vccz .LBB150_2198
; %bb.2188:
	s_cmp_gt_i32 s35, 22
	s_cbranch_scc0 .LBB150_2209
; %bb.2189:
	s_cmp_lt_i32 s35, 24
	s_cbranch_scc1 .LBB150_2213
; %bb.2190:
	s_cmp_gt_i32 s35, 24
	s_cbranch_scc0 .LBB150_2215
; %bb.2191:
	global_load_ubyte v6, v[0:1], off
	s_movk_i32 s22, 0x7f
	s_waitcnt vmcnt(0)
	v_cmp_lt_i16_e32 vcc, s22, v6
	s_mov_b64 s[22:23], 0
	s_and_saveexec_b64 s[24:25], vcc
	s_xor_b64 s[24:25], exec, s[24:25]
	s_cbranch_execz .LBB150_2227
; %bb.2192:
	s_movk_i32 s22, 0x80
	v_cmp_eq_u16_e32 vcc, s22, v6
	s_mov_b64 s[22:23], -1
	s_and_saveexec_b64 s[26:27], vcc
; %bb.2193:
	s_xor_b64 s[22:23], exec, -1
; %bb.2194:
	s_or_b64 exec, exec, s[26:27]
	s_and_b64 s[22:23], s[22:23], exec
	s_or_saveexec_b64 s[24:25], s[24:25]
	v_mov_b32_e32 v5, 0x7e00
	s_xor_b64 exec, exec, s[24:25]
	s_cbranch_execnz .LBB150_2228
.LBB150_2195:
	s_or_b64 exec, exec, s[24:25]
	s_and_saveexec_b64 s[24:25], s[22:23]
	s_cbranch_execz .LBB150_2197
.LBB150_2196:
	v_lshlrev_b32_e32 v5, 24, v6
	v_and_b32_e32 v6, 0xffff, v6
	v_and_b32_e32 v7, 3, v6
	v_ffbh_u32_e32 v9, v7
	v_min_u32_e32 v9, 32, v9
	v_subrev_u32_e32 v10, 29, v9
	v_bfe_u32 v8, v6, 2, 5
	v_lshlrev_b32_e32 v6, v10, v6
	v_sub_u32_e32 v9, 30, v9
	v_and_b32_e32 v6, 3, v6
	v_cmp_eq_u32_e32 vcc, 0, v8
	v_cndmask_b32_e32 v8, v8, v9, vcc
	v_cndmask_b32_e32 v6, v7, v6, vcc
	v_mov_b32_e32 v7, 0x37800000
	v_lshlrev_b32_e32 v6, 21, v6
	v_and_b32_e32 v5, 0x80000000, v5
	v_lshl_add_u32 v7, v8, 23, v7
	v_or3_b32 v5, v5, v7, v6
	v_cvt_f16_f32_e32 v5, v5
.LBB150_2197:
	s_or_b64 exec, exec, s[24:25]
	s_mov_b64 s[22:23], 0
	s_branch .LBB150_2216
.LBB150_2198:
	s_and_b64 vcc, exec, s[0:1]
	s_cbranch_vccnz .LBB150_2246
.LBB150_2199:
	s_andn2_b64 vcc, exec, s[22:23]
	s_cbranch_vccnz .LBB150_2201
.LBB150_2200:
	global_load_ubyte v5, v[0:1], off
	v_mov_b32_e32 v7, 0x3c00
	v_mov_b32_e32 v6, 0
	s_mov_b64 s[24:25], -1
	s_waitcnt vmcnt(0)
	v_cmp_ne_u16_e32 vcc, 0, v5
	v_cndmask_b32_e32 v5, 0, v7, vcc
.LBB150_2201:
	s_mov_b64 s[0:1], 0
.LBB150_2202:
	s_and_b64 vcc, exec, s[0:1]
	s_cbranch_vccz .LBB150_2277
; %bb.2203:
	s_and_b32 s22, 0xffff, s30
	s_cmp_lt_i32 s22, 5
	s_cbranch_scc1 .LBB150_2208
; %bb.2204:
	s_cmp_lt_i32 s22, 8
	s_cbranch_scc1 .LBB150_2210
; %bb.2205:
	;; [unrolled: 3-line block ×3, first 2 shown]
	s_cmp_gt_i32 s22, 9
	s_cbranch_scc0 .LBB150_2229
; %bb.2207:
	global_load_dwordx4 v[5:8], v[0:1], off
	s_movk_i32 s0, 0x1ff
	s_movk_i32 s1, 0xffe
	v_mov_b32_e32 v9, 0x7c00
	v_mov_b32_e32 v10, 0x7e00
	s_movk_i32 s23, 0x40f
	s_mov_b32 s24, 0x8000
	s_waitcnt vmcnt(0)
	v_and_or_b32 v5, v6, s0, v5
	v_and_or_b32 v7, v8, s0, v7
	v_cmp_ne_u32_e32 vcc, 0, v5
	v_lshrrev_b32_e32 v11, 8, v6
	v_cndmask_b32_e64 v5, 0, 1, vcc
	v_cmp_ne_u32_e32 vcc, 0, v7
	v_bfe_u32 v12, v6, 20, 11
	v_lshrrev_b32_e32 v13, 8, v8
	v_bfe_u32 v14, v8, 20, 11
	v_cndmask_b32_e64 v7, 0, 1, vcc
	v_and_or_b32 v5, v11, s1, v5
	v_sub_u32_e32 v15, 0x3f1, v12
	v_add_u32_e32 v12, 0xfffffc10, v12
	v_sub_u32_e32 v16, 0x3f1, v14
	v_and_or_b32 v7, v13, s1, v7
	v_cmp_ne_u32_e32 vcc, 0, v5
	v_add_u32_e32 v14, 0xfffffc10, v14
	v_med3_i32 v11, v15, 0, 13
	v_med3_i32 v13, v16, 0, 13
	v_or_b32_e32 v15, 0x1000, v5
	v_lshl_or_b32 v16, v12, 12, v5
	v_cndmask_b32_e32 v5, v9, v10, vcc
	v_cmp_ne_u32_e32 vcc, 0, v7
	v_or_b32_e32 v17, 0x1000, v7
	v_lshl_or_b32 v18, v14, 12, v7
	v_cndmask_b32_e32 v7, v9, v10, vcc
	v_lshrrev_b32_e32 v10, v11, v15
	v_lshrrev_b32_e32 v19, v13, v17
	v_lshlrev_b32_e32 v11, v11, v10
	v_lshlrev_b32_e32 v13, v13, v19
	v_cmp_ne_u32_e32 vcc, v11, v15
	v_cndmask_b32_e64 v11, 0, 1, vcc
	v_cmp_ne_u32_e32 vcc, v13, v17
	v_cndmask_b32_e64 v13, 0, 1, vcc
	v_or_b32_e32 v10, v10, v11
	v_cmp_gt_i32_e32 vcc, 1, v12
	v_cndmask_b32_e32 v10, v16, v10, vcc
	v_or_b32_e32 v11, v19, v13
	v_cmp_gt_i32_e32 vcc, 1, v14
	v_and_b32_e32 v13, 7, v10
	v_cndmask_b32_e32 v11, v18, v11, vcc
	v_cmp_lt_i32_e32 vcc, 5, v13
	v_and_b32_e32 v15, 7, v11
	v_cndmask_b32_e64 v16, 0, 1, vcc
	v_cmp_eq_u32_e32 vcc, 3, v13
	v_cndmask_b32_e64 v13, 0, 1, vcc
	v_cmp_lt_i32_e32 vcc, 5, v15
	v_cndmask_b32_e64 v17, 0, 1, vcc
	v_cmp_eq_u32_e32 vcc, 3, v15
	v_lshrrev_b32_e32 v10, 2, v10
	v_cndmask_b32_e64 v15, 0, 1, vcc
	v_or_b32_e32 v13, v13, v16
	v_lshrrev_b32_e32 v11, 2, v11
	v_or_b32_e32 v15, v15, v17
	v_add_u32_e32 v10, v10, v13
	v_cmp_gt_i32_e32 vcc, 31, v12
	v_add_u32_e32 v11, v11, v15
	v_cndmask_b32_e32 v10, v9, v10, vcc
	v_cmp_gt_i32_e32 vcc, 31, v14
	v_cndmask_b32_e32 v9, v9, v11, vcc
	v_cmp_eq_u32_e32 vcc, s23, v12
	v_cndmask_b32_e32 v5, v10, v5, vcc
	v_cmp_eq_u32_e32 vcc, s23, v14
	v_lshrrev_b32_e32 v6, 16, v6
	v_lshrrev_b32_e32 v8, 16, v8
	v_cndmask_b32_e32 v7, v9, v7, vcc
	v_and_or_b32 v5, v6, s24, v5
	v_and_or_b32 v6, v8, s24, v7
	s_mov_b64 s[0:1], 0
	s_branch .LBB150_2230
.LBB150_2208:
	s_mov_b64 s[0:1], -1
                                        ; implicit-def: $vgpr6
                                        ; implicit-def: $vgpr5
	s_branch .LBB150_2255
.LBB150_2209:
	s_mov_b64 s[22:23], -1
                                        ; implicit-def: $vgpr5
	s_branch .LBB150_2222
.LBB150_2210:
	s_mov_b64 s[0:1], -1
                                        ; implicit-def: $vgpr6
                                        ; implicit-def: $vgpr5
	s_branch .LBB150_2236
.LBB150_2211:
	s_or_saveexec_b64 s[26:27], s[26:27]
	v_mov_b32_e32 v5, 0x7e00
	s_xor_b64 exec, exec, s[26:27]
	s_cbranch_execz .LBB150_2182
.LBB150_2212:
	v_cmp_ne_u16_e32 vcc, 0, v6
	s_andn2_b64 s[24:25], s[24:25], exec
	s_and_b64 s[28:29], vcc, exec
	s_or_b64 s[24:25], s[24:25], s[28:29]
	v_mov_b32_e32 v5, v6
	s_or_b64 exec, exec, s[26:27]
	s_and_saveexec_b64 s[26:27], s[24:25]
	s_cbranch_execnz .LBB150_2183
	s_branch .LBB150_2184
.LBB150_2213:
	s_mov_b64 s[22:23], -1
                                        ; implicit-def: $vgpr5
	s_branch .LBB150_2219
.LBB150_2214:
	s_mov_b64 s[0:1], -1
                                        ; implicit-def: $vgpr6
                                        ; implicit-def: $vgpr5
	s_branch .LBB150_2233
.LBB150_2215:
	s_mov_b64 s[22:23], -1
                                        ; implicit-def: $vgpr5
.LBB150_2216:
	s_and_b64 vcc, exec, s[22:23]
	s_cbranch_vccz .LBB150_2218
; %bb.2217:
	global_load_ubyte v5, v[0:1], off
	s_mov_b32 s22, 0x7f800000
	s_waitcnt vmcnt(0)
	v_lshlrev_b32_e32 v5, 24, v5
	v_and_b32_e32 v6, 0x7f000000, v5
	v_ffbh_u32_e32 v7, v6
	v_min_u32_e32 v7, 32, v7
	v_sub_u32_e64 v7, v7, 4 clamp
	v_lshlrev_b32_e32 v9, v7, v6
	v_lshlrev_b32_e32 v7, 23, v7
	v_lshrrev_b32_e32 v9, 4, v9
	v_add_u32_e32 v8, 0x1000000, v6
	v_sub_u32_e32 v7, v9, v7
	v_ashrrev_i32_e32 v8, 8, v8
	v_add_u32_e32 v7, 0x3c000000, v7
	v_and_or_b32 v7, v8, s22, v7
	v_cmp_ne_u32_e32 vcc, 0, v6
	v_cndmask_b32_e32 v6, 0, v7, vcc
	s_brev_b32 s22, 1
	v_and_or_b32 v5, v5, s22, v6
	v_cvt_f16_f32_e32 v5, v5
.LBB150_2218:
	s_mov_b64 s[22:23], 0
.LBB150_2219:
	s_andn2_b64 vcc, exec, s[22:23]
	s_cbranch_vccnz .LBB150_2221
; %bb.2220:
	global_load_ubyte v5, v[0:1], off
	s_movk_i32 s22, 0x7f00
	s_brev_b32 s23, 16
	s_waitcnt vmcnt(0)
	v_lshlrev_b16_e32 v6, 8, v5
	v_lshlrev_b32_e32 v5, 25, v5
	v_lshrrev_b32_e32 v7, 4, v5
	v_and_or_b32 v8, v6, s22, 0.5
	v_or_b32_e32 v7, 0x70000000, v7
	v_add_f32_e32 v8, -0.5, v8
	v_mul_f32_e32 v7, 0x7800000, v7
	v_cmp_gt_u32_e32 vcc, s23, v5
	v_bfe_i32 v6, v6, 0, 16
	v_cndmask_b32_e32 v5, v7, v8, vcc
	s_brev_b32 s22, 1
	v_and_or_b32 v5, v6, s22, v5
	v_cvt_f16_f32_e32 v5, v5
.LBB150_2221:
	s_mov_b64 s[22:23], 0
	s_mov_b64 s[24:25], -1
.LBB150_2222:
	s_andn2_b64 vcc, exec, s[22:23]
	s_mov_b64 s[22:23], 0
	s_cbranch_vccnz .LBB150_2245
; %bb.2223:
	s_cmp_gt_i32 s35, 14
	s_cbranch_scc0 .LBB150_2226
; %bb.2224:
	s_cmp_eq_u32 s35, 15
	s_cbranch_scc0 .LBB150_2241
; %bb.2225:
	global_load_ushort v5, v[0:1], off
	s_mov_b64 s[0:1], 0
	s_mov_b64 s[24:25], -1
	s_waitcnt vmcnt(0)
	v_lshlrev_b32_e32 v5, 16, v5
	v_cvt_f16_f32_e32 v5, v5
	s_branch .LBB150_2242
.LBB150_2226:
	s_mov_b64 s[26:27], -1
                                        ; implicit-def: $vgpr5
	s_branch .LBB150_2243
.LBB150_2227:
	s_or_saveexec_b64 s[24:25], s[24:25]
	v_mov_b32_e32 v5, 0x7e00
	s_xor_b64 exec, exec, s[24:25]
	s_cbranch_execz .LBB150_2195
.LBB150_2228:
	v_cmp_ne_u16_e32 vcc, 0, v6
	s_andn2_b64 s[22:23], s[22:23], exec
	s_and_b64 s[26:27], vcc, exec
	s_or_b64 s[22:23], s[22:23], s[26:27]
	v_mov_b32_e32 v5, v6
	s_or_b64 exec, exec, s[24:25]
	s_and_saveexec_b64 s[24:25], s[22:23]
	s_cbranch_execnz .LBB150_2196
	s_branch .LBB150_2197
.LBB150_2229:
	s_mov_b64 s[0:1], -1
                                        ; implicit-def: $vgpr6
                                        ; implicit-def: $vgpr5
.LBB150_2230:
	s_andn2_b64 vcc, exec, s[0:1]
	s_cbranch_vccnz .LBB150_2232
; %bb.2231:
	global_load_dwordx2 v[5:6], v[0:1], off
	s_waitcnt vmcnt(0)
	v_cvt_f16_f32_e32 v5, v5
	v_cvt_f16_f32_e32 v6, v6
.LBB150_2232:
	s_mov_b64 s[0:1], 0
.LBB150_2233:
	s_andn2_b64 vcc, exec, s[0:1]
	s_cbranch_vccnz .LBB150_2235
; %bb.2234:
	global_load_dword v5, v[0:1], off
	s_waitcnt vmcnt(0)
	v_lshrrev_b32_e32 v6, 16, v5
.LBB150_2235:
	s_mov_b64 s[0:1], 0
.LBB150_2236:
	s_andn2_b64 vcc, exec, s[0:1]
	s_cbranch_vccnz .LBB150_2254
; %bb.2237:
	s_cmp_lt_i32 s22, 6
	s_cbranch_scc1 .LBB150_2240
; %bb.2238:
	s_cmp_gt_i32 s22, 6
	s_cbranch_scc0 .LBB150_2247
; %bb.2239:
	global_load_dwordx2 v[5:6], v[0:1], off
	s_movk_i32 s0, 0x1ff
	s_movk_i32 s1, 0xffe
	v_mov_b32_e32 v7, 0x7c00
	v_mov_b32_e32 v8, 0x7e00
	s_movk_i32 s23, 0x40f
	s_mov_b32 s24, 0x8000
	s_waitcnt vmcnt(0)
	v_and_or_b32 v5, v6, s0, v5
	v_cmp_ne_u32_e32 vcc, 0, v5
	v_lshrrev_b32_e32 v9, 8, v6
	v_bfe_u32 v10, v6, 20, 11
	v_cndmask_b32_e64 v5, 0, 1, vcc
	v_sub_u32_e32 v11, 0x3f1, v10
	v_and_or_b32 v5, v9, s1, v5
	v_add_u32_e32 v10, 0xfffffc10, v10
	v_med3_i32 v9, v11, 0, 13
	v_or_b32_e32 v11, 0x1000, v5
	v_cmp_ne_u32_e32 vcc, 0, v5
	v_lshl_or_b32 v12, v10, 12, v5
	v_cndmask_b32_e32 v5, v7, v8, vcc
	v_lshrrev_b32_e32 v8, v9, v11
	v_lshlrev_b32_e32 v9, v9, v8
	v_cmp_ne_u32_e32 vcc, v9, v11
	v_cndmask_b32_e64 v9, 0, 1, vcc
	v_or_b32_e32 v8, v8, v9
	v_cmp_gt_i32_e32 vcc, 1, v10
	v_cndmask_b32_e32 v8, v12, v8, vcc
	v_and_b32_e32 v9, 7, v8
	v_cmp_lt_i32_e32 vcc, 5, v9
	v_cndmask_b32_e64 v11, 0, 1, vcc
	v_cmp_eq_u32_e32 vcc, 3, v9
	v_cndmask_b32_e64 v9, 0, 1, vcc
	v_lshrrev_b32_e32 v8, 2, v8
	v_or_b32_e32 v9, v9, v11
	v_add_u32_e32 v8, v8, v9
	v_cmp_gt_i32_e32 vcc, 31, v10
	v_cndmask_b32_e32 v7, v7, v8, vcc
	v_cmp_eq_u32_e32 vcc, s23, v10
	v_lshrrev_b32_e32 v6, 16, v6
	v_cndmask_b32_e32 v5, v7, v5, vcc
	v_and_or_b32 v5, v6, s24, v5
	s_mov_b64 s[0:1], 0
	s_branch .LBB150_2248
.LBB150_2240:
	s_mov_b64 s[0:1], -1
                                        ; implicit-def: $vgpr5
	s_branch .LBB150_2251
.LBB150_2241:
	s_mov_b64 s[0:1], -1
                                        ; implicit-def: $vgpr5
.LBB150_2242:
	s_mov_b64 s[26:27], 0
.LBB150_2243:
	s_and_b64 vcc, exec, s[26:27]
	s_cbranch_vccz .LBB150_2245
; %bb.2244:
	s_cmp_lg_u32 s35, 11
	s_mov_b64 s[22:23], -1
	s_cselect_b64 s[0:1], -1, 0
.LBB150_2245:
	v_mov_b32_e32 v6, 0
	s_and_b64 vcc, exec, s[0:1]
	s_cbranch_vccz .LBB150_2199
.LBB150_2246:
	s_trap 2
	s_or_b64 s[18:19], s[18:19], exec
	s_cbranch_execz .LBB150_2200
	s_branch .LBB150_2201
.LBB150_2247:
	s_mov_b64 s[0:1], -1
                                        ; implicit-def: $vgpr5
.LBB150_2248:
	s_andn2_b64 vcc, exec, s[0:1]
	s_cbranch_vccnz .LBB150_2250
; %bb.2249:
	global_load_dword v5, v[0:1], off
	s_waitcnt vmcnt(0)
	v_cvt_f16_f32_e32 v5, v5
.LBB150_2250:
	s_mov_b64 s[0:1], 0
.LBB150_2251:
	s_andn2_b64 vcc, exec, s[0:1]
	s_cbranch_vccnz .LBB150_2253
; %bb.2252:
	global_load_ushort v5, v[0:1], off
.LBB150_2253:
	v_mov_b32_e32 v6, 0
.LBB150_2254:
	s_mov_b64 s[0:1], 0
.LBB150_2255:
	s_andn2_b64 vcc, exec, s[0:1]
	s_cbranch_vccnz .LBB150_2276
; %bb.2256:
	s_cmp_lt_i32 s22, 2
	s_cbranch_scc1 .LBB150_2260
; %bb.2257:
	s_cmp_lt_i32 s22, 3
	s_cbranch_scc1 .LBB150_2261
; %bb.2258:
	s_cmp_gt_i32 s22, 3
	s_cbranch_scc0 .LBB150_2262
; %bb.2259:
	global_load_dwordx2 v[5:6], v[0:1], off
	s_mov_b64 s[0:1], 0
	s_waitcnt vmcnt(0)
	v_xor_b32_e32 v8, v5, v6
	v_ffbh_i32_e32 v7, v6
	v_ashrrev_i32_e32 v8, 31, v8
	v_add_u32_e32 v7, -1, v7
	v_add_u32_e32 v8, 32, v8
	v_min_u32_e32 v7, v7, v8
	v_lshlrev_b64 v[5:6], v7, v[5:6]
	v_min_u32_e32 v5, 1, v5
	v_or_b32_e32 v5, v6, v5
	v_cvt_f32_i32_e32 v5, v5
	v_sub_u32_e32 v6, 32, v7
	v_ldexp_f32 v5, v5, v6
	v_cvt_f16_f32_e32 v5, v5
	s_branch .LBB150_2263
.LBB150_2260:
	s_mov_b64 s[0:1], -1
                                        ; implicit-def: $vgpr5
	s_branch .LBB150_2269
.LBB150_2261:
	s_mov_b64 s[0:1], -1
                                        ; implicit-def: $vgpr5
	s_branch .LBB150_2266
.LBB150_2262:
	s_mov_b64 s[0:1], -1
                                        ; implicit-def: $vgpr5
.LBB150_2263:
	s_andn2_b64 vcc, exec, s[0:1]
	s_cbranch_vccnz .LBB150_2265
; %bb.2264:
	global_load_dword v5, v[0:1], off
	s_waitcnt vmcnt(0)
	v_cvt_f32_i32_e32 v5, v5
	v_cvt_f16_f32_e32 v5, v5
.LBB150_2265:
	s_mov_b64 s[0:1], 0
.LBB150_2266:
	s_andn2_b64 vcc, exec, s[0:1]
	s_cbranch_vccnz .LBB150_2268
; %bb.2267:
	global_load_ushort v5, v[0:1], off
	s_waitcnt vmcnt(0)
	v_cvt_f16_i16_e32 v5, v5
.LBB150_2268:
	s_mov_b64 s[0:1], 0
.LBB150_2269:
	s_andn2_b64 vcc, exec, s[0:1]
	s_cbranch_vccnz .LBB150_2275
; %bb.2270:
	s_cmp_gt_i32 s22, 0
	s_cbranch_scc0 .LBB150_2272
; %bb.2271:
	global_load_sbyte v5, v[0:1], off
	s_mov_b64 s[0:1], 0
	s_waitcnt vmcnt(0)
	v_cvt_f16_i16_e32 v5, v5
	s_branch .LBB150_2273
.LBB150_2272:
	s_mov_b64 s[0:1], -1
                                        ; implicit-def: $vgpr5
.LBB150_2273:
	s_andn2_b64 vcc, exec, s[0:1]
	s_cbranch_vccnz .LBB150_2275
; %bb.2274:
	global_load_ubyte v0, v[0:1], off
	s_waitcnt vmcnt(0)
	v_cvt_f16_u16_e32 v5, v0
.LBB150_2275:
	v_mov_b32_e32 v6, 0
.LBB150_2276:
	s_mov_b64 s[24:25], -1
.LBB150_2277:
	s_andn2_b64 vcc, exec, s[24:25]
	s_cbranch_vccnz .LBB150_2692
; %bb.2278:
	v_add_u32_e32 v4, s34, v4
	v_ashrrev_i32_e32 v1, 31, v4
	v_mov_b32_e32 v7, s3
	v_add_co_u32_e32 v0, vcc, s2, v4
	s_cmp_lt_i32 s31, 11
	v_addc_co_u32_e32 v1, vcc, v7, v1, vcc
	s_cbranch_scc1 .LBB150_2285
; %bb.2279:
	s_and_b32 s35, 0xffff, s31
	s_cmp_gt_i32 s35, 25
	s_mov_b64 s[22:23], 0
	s_cbranch_scc0 .LBB150_2286
; %bb.2280:
	s_cmp_gt_i32 s35, 28
	s_cbranch_scc0 .LBB150_2287
; %bb.2281:
	s_cmp_gt_i32 s35, 43
	;; [unrolled: 3-line block ×3, first 2 shown]
	s_cbranch_scc0 .LBB150_2289
; %bb.2283:
	s_cmp_eq_u32 s35, 46
	s_mov_b64 s[26:27], 0
	s_cbranch_scc0 .LBB150_2292
; %bb.2284:
	global_load_dword v7, v[0:1], off
	s_mov_b64 s[0:1], 0
	s_mov_b64 s[24:25], -1
	s_waitcnt vmcnt(0)
	v_and_b32_e32 v8, 0xffff0000, v7
	v_lshlrev_b32_e32 v7, 16, v7
	v_cvt_f16_f32_e32 v7, v7
	v_cvt_f16_f32_e32 v8, v8
	s_branch .LBB150_2293
.LBB150_2285:
	s_mov_b64 s[0:1], -1
	s_mov_b64 s[24:25], 0
                                        ; implicit-def: $vgpr8
                                        ; implicit-def: $vgpr7
	s_branch .LBB150_2339
.LBB150_2286:
	s_mov_b64 s[26:27], -1
	s_mov_b64 s[24:25], 0
	s_mov_b64 s[0:1], 0
                                        ; implicit-def: $vgpr8
                                        ; implicit-def: $vgpr7
	s_branch .LBB150_2324
.LBB150_2287:
	s_mov_b64 s[26:27], -1
	s_mov_b64 s[24:25], 0
	s_mov_b64 s[0:1], 0
                                        ; implicit-def: $vgpr8
                                        ; implicit-def: $vgpr7
	s_branch .LBB150_2305
.LBB150_2288:
	s_mov_b64 s[26:27], -1
	s_mov_b64 s[24:25], 0
	s_mov_b64 s[0:1], 0
                                        ; implicit-def: $vgpr8
                                        ; implicit-def: $vgpr7
	s_branch .LBB150_2299
.LBB150_2289:
	s_mov_b64 s[26:27], -1
	s_mov_b64 s[24:25], 0
	s_mov_b64 s[0:1], 0
                                        ; implicit-def: $vgpr8
                                        ; implicit-def: $vgpr7
	s_branch .LBB150_2293
.LBB150_2290:
	s_andn2_saveexec_b64 s[48:49], s[48:49]
	s_cbranch_execz .LBB150_1128
.LBB150_2291:
	v_add_f32_e32 v3, 0x42800000, v4
	v_and_b32_e32 v3, 0xff, v3
	v_cmp_ne_u32_e32 vcc, 0, v3
	s_andn2_b64 s[46:47], s[46:47], exec
	s_and_b64 s[54:55], vcc, exec
	s_or_b64 s[46:47], s[46:47], s[54:55]
	s_or_b64 exec, exec, s[48:49]
	v_mov_b32_e32 v5, 0
	s_and_saveexec_b64 s[48:49], s[46:47]
	s_cbranch_execnz .LBB150_1129
	s_branch .LBB150_1130
.LBB150_2292:
	s_mov_b64 s[0:1], -1
                                        ; implicit-def: $vgpr8
                                        ; implicit-def: $vgpr7
	s_mov_b64 s[24:25], 0
.LBB150_2293:
	s_and_b64 vcc, exec, s[26:27]
	s_cbranch_vccz .LBB150_2298
; %bb.2294:
	s_cmp_eq_u32 s35, 44
	s_cbranch_scc0 .LBB150_2296
; %bb.2295:
	global_load_ubyte v7, v[0:1], off
	s_movk_i32 s24, 0xff
	v_mov_b32_e32 v9, 0x7e00
	s_mov_b64 s[0:1], 0
	s_waitcnt vmcnt(0)
	v_lshlrev_b32_e32 v8, 23, v7
	v_cvt_f16_f32_e32 v8, v8
	v_cmp_ne_u32_e32 vcc, s24, v7
	s_mov_b64 s[24:25], -1
	v_cndmask_b32_e32 v8, v9, v8, vcc
	v_cmp_ne_u32_e32 vcc, 0, v7
	v_cndmask_b32_e32 v7, 0, v8, vcc
	s_branch .LBB150_2297
.LBB150_2296:
	s_mov_b64 s[0:1], -1
                                        ; implicit-def: $vgpr7
.LBB150_2297:
	v_mov_b32_e32 v8, 0
.LBB150_2298:
	s_mov_b64 s[26:27], 0
.LBB150_2299:
	s_and_b64 vcc, exec, s[26:27]
	s_cbranch_vccz .LBB150_2304
; %bb.2300:
	s_cmp_eq_u32 s35, 29
	s_cbranch_scc0 .LBB150_2302
; %bb.2301:
	global_load_dwordx2 v[7:8], v[0:1], off
	s_mov_b64 s[0:1], 0
	s_mov_b64 s[24:25], -1
	s_waitcnt vmcnt(0)
	v_ffbh_u32_e32 v9, v8
	v_min_u32_e32 v9, 32, v9
	v_lshlrev_b64 v[7:8], v9, v[7:8]
	v_min_u32_e32 v7, 1, v7
	v_or_b32_e32 v7, v8, v7
	v_cvt_f32_u32_e32 v7, v7
	v_sub_u32_e32 v8, 32, v9
	v_ldexp_f32 v7, v7, v8
	v_cvt_f16_f32_e32 v7, v7
	s_branch .LBB150_2303
.LBB150_2302:
	s_mov_b64 s[0:1], -1
                                        ; implicit-def: $vgpr7
.LBB150_2303:
	v_mov_b32_e32 v8, 0
.LBB150_2304:
	s_mov_b64 s[26:27], 0
.LBB150_2305:
	s_and_b64 vcc, exec, s[26:27]
	s_cbranch_vccz .LBB150_2323
; %bb.2306:
	s_cmp_lt_i32 s35, 27
	s_cbranch_scc1 .LBB150_2309
; %bb.2307:
	s_cmp_gt_i32 s35, 27
	s_cbranch_scc0 .LBB150_2310
; %bb.2308:
	global_load_dword v7, v[0:1], off
	s_mov_b64 s[24:25], 0
	s_waitcnt vmcnt(0)
	v_cvt_f32_u32_e32 v7, v7
	v_cvt_f16_f32_e32 v7, v7
	s_branch .LBB150_2311
.LBB150_2309:
	s_mov_b64 s[24:25], -1
                                        ; implicit-def: $vgpr7
	s_branch .LBB150_2314
.LBB150_2310:
	s_mov_b64 s[24:25], -1
                                        ; implicit-def: $vgpr7
.LBB150_2311:
	s_andn2_b64 vcc, exec, s[24:25]
	s_cbranch_vccnz .LBB150_2313
; %bb.2312:
	global_load_ushort v7, v[0:1], off
	s_waitcnt vmcnt(0)
	v_cvt_f16_u16_e32 v7, v7
.LBB150_2313:
	s_mov_b64 s[24:25], 0
.LBB150_2314:
	s_andn2_b64 vcc, exec, s[24:25]
	s_cbranch_vccnz .LBB150_2322
; %bb.2315:
	global_load_ubyte v8, v[0:1], off
	s_movk_i32 s24, 0x7f
	s_waitcnt vmcnt(0)
	v_cmp_lt_i16_e32 vcc, s24, v8
	s_mov_b64 s[24:25], 0
	s_and_saveexec_b64 s[26:27], vcc
	s_xor_b64 s[26:27], exec, s[26:27]
	s_cbranch_execz .LBB150_2348
; %bb.2316:
	s_movk_i32 s24, 0x80
	v_cmp_eq_u16_e32 vcc, s24, v8
	s_mov_b64 s[24:25], -1
	s_and_saveexec_b64 s[28:29], vcc
; %bb.2317:
	s_xor_b64 s[24:25], exec, -1
; %bb.2318:
	s_or_b64 exec, exec, s[28:29]
	s_and_b64 s[24:25], s[24:25], exec
	s_or_saveexec_b64 s[26:27], s[26:27]
	v_mov_b32_e32 v7, 0x7e00
	s_xor_b64 exec, exec, s[26:27]
	s_cbranch_execnz .LBB150_2349
.LBB150_2319:
	s_or_b64 exec, exec, s[26:27]
	s_and_saveexec_b64 s[26:27], s[24:25]
	s_cbranch_execz .LBB150_2321
.LBB150_2320:
	v_lshlrev_b32_e32 v7, 24, v8
	v_and_b32_e32 v8, 0xffff, v8
	v_and_b32_e32 v9, 7, v8
	v_ffbh_u32_e32 v11, v9
	v_min_u32_e32 v11, 32, v11
	v_subrev_u32_e32 v12, 28, v11
	v_bfe_u32 v10, v8, 3, 4
	v_lshlrev_b32_e32 v8, v12, v8
	v_sub_u32_e32 v11, 29, v11
	v_and_b32_e32 v8, 7, v8
	v_cmp_eq_u32_e32 vcc, 0, v10
	v_cndmask_b32_e32 v10, v10, v11, vcc
	v_cndmask_b32_e32 v8, v9, v8, vcc
	v_mov_b32_e32 v9, 0x3b800000
	v_lshlrev_b32_e32 v8, 20, v8
	v_and_b32_e32 v7, 0x80000000, v7
	v_lshl_add_u32 v9, v10, 23, v9
	v_or3_b32 v7, v7, v9, v8
	v_cvt_f16_f32_e32 v7, v7
.LBB150_2321:
	s_or_b64 exec, exec, s[26:27]
.LBB150_2322:
	s_mov_b64 s[24:25], -1
	v_mov_b32_e32 v8, 0
.LBB150_2323:
	s_mov_b64 s[26:27], 0
.LBB150_2324:
	s_and_b64 vcc, exec, s[26:27]
	s_cbranch_vccz .LBB150_2335
; %bb.2325:
	s_cmp_gt_i32 s35, 22
	s_cbranch_scc0 .LBB150_2346
; %bb.2326:
	s_cmp_lt_i32 s35, 24
	s_cbranch_scc1 .LBB150_2350
; %bb.2327:
	s_cmp_gt_i32 s35, 24
	s_cbranch_scc0 .LBB150_2352
; %bb.2328:
	global_load_ubyte v8, v[0:1], off
	s_movk_i32 s22, 0x7f
	s_waitcnt vmcnt(0)
	v_cmp_lt_i16_e32 vcc, s22, v8
	s_mov_b64 s[22:23], 0
	s_and_saveexec_b64 s[24:25], vcc
	s_xor_b64 s[24:25], exec, s[24:25]
	s_cbranch_execz .LBB150_2364
; %bb.2329:
	s_movk_i32 s22, 0x80
	v_cmp_eq_u16_e32 vcc, s22, v8
	s_mov_b64 s[22:23], -1
	s_and_saveexec_b64 s[26:27], vcc
; %bb.2330:
	s_xor_b64 s[22:23], exec, -1
; %bb.2331:
	s_or_b64 exec, exec, s[26:27]
	s_and_b64 s[22:23], s[22:23], exec
	s_or_saveexec_b64 s[24:25], s[24:25]
	v_mov_b32_e32 v7, 0x7e00
	s_xor_b64 exec, exec, s[24:25]
	s_cbranch_execnz .LBB150_2365
.LBB150_2332:
	s_or_b64 exec, exec, s[24:25]
	s_and_saveexec_b64 s[24:25], s[22:23]
	s_cbranch_execz .LBB150_2334
.LBB150_2333:
	v_lshlrev_b32_e32 v7, 24, v8
	v_and_b32_e32 v8, 0xffff, v8
	v_and_b32_e32 v9, 3, v8
	v_ffbh_u32_e32 v11, v9
	v_min_u32_e32 v11, 32, v11
	v_subrev_u32_e32 v12, 29, v11
	v_bfe_u32 v10, v8, 2, 5
	v_lshlrev_b32_e32 v8, v12, v8
	v_sub_u32_e32 v11, 30, v11
	v_and_b32_e32 v8, 3, v8
	v_cmp_eq_u32_e32 vcc, 0, v10
	v_cndmask_b32_e32 v10, v10, v11, vcc
	v_cndmask_b32_e32 v8, v9, v8, vcc
	v_mov_b32_e32 v9, 0x37800000
	v_lshlrev_b32_e32 v8, 21, v8
	v_and_b32_e32 v7, 0x80000000, v7
	v_lshl_add_u32 v9, v10, 23, v9
	v_or3_b32 v7, v7, v9, v8
	v_cvt_f16_f32_e32 v7, v7
.LBB150_2334:
	s_or_b64 exec, exec, s[24:25]
	s_mov_b64 s[22:23], 0
	s_branch .LBB150_2353
.LBB150_2335:
	s_and_b64 vcc, exec, s[0:1]
	s_cbranch_vccnz .LBB150_2383
.LBB150_2336:
	s_andn2_b64 vcc, exec, s[22:23]
	s_cbranch_vccnz .LBB150_2338
.LBB150_2337:
	global_load_ubyte v7, v[0:1], off
	v_mov_b32_e32 v9, 0x3c00
	v_mov_b32_e32 v8, 0
	s_mov_b64 s[24:25], -1
	s_waitcnt vmcnt(0)
	v_cmp_ne_u16_e32 vcc, 0, v7
	v_cndmask_b32_e32 v7, 0, v9, vcc
.LBB150_2338:
	s_mov_b64 s[0:1], 0
.LBB150_2339:
	s_and_b64 vcc, exec, s[0:1]
	s_cbranch_vccz .LBB150_2414
; %bb.2340:
	s_and_b32 s22, 0xffff, s31
	s_cmp_lt_i32 s22, 5
	s_cbranch_scc1 .LBB150_2345
; %bb.2341:
	s_cmp_lt_i32 s22, 8
	s_cbranch_scc1 .LBB150_2347
; %bb.2342:
	;; [unrolled: 3-line block ×3, first 2 shown]
	s_cmp_gt_i32 s22, 9
	s_cbranch_scc0 .LBB150_2366
; %bb.2344:
	global_load_dwordx4 v[7:10], v[0:1], off
	s_movk_i32 s0, 0x1ff
	s_movk_i32 s1, 0xffe
	v_mov_b32_e32 v11, 0x7c00
	v_mov_b32_e32 v12, 0x7e00
	s_movk_i32 s23, 0x40f
	s_mov_b32 s24, 0x8000
	s_waitcnt vmcnt(0)
	v_and_or_b32 v7, v8, s0, v7
	v_and_or_b32 v9, v10, s0, v9
	v_cmp_ne_u32_e32 vcc, 0, v7
	v_lshrrev_b32_e32 v13, 8, v8
	v_cndmask_b32_e64 v7, 0, 1, vcc
	v_cmp_ne_u32_e32 vcc, 0, v9
	v_bfe_u32 v14, v8, 20, 11
	v_lshrrev_b32_e32 v15, 8, v10
	v_bfe_u32 v16, v10, 20, 11
	v_cndmask_b32_e64 v9, 0, 1, vcc
	v_and_or_b32 v7, v13, s1, v7
	v_sub_u32_e32 v17, 0x3f1, v14
	v_add_u32_e32 v14, 0xfffffc10, v14
	v_sub_u32_e32 v18, 0x3f1, v16
	v_and_or_b32 v9, v15, s1, v9
	v_cmp_ne_u32_e32 vcc, 0, v7
	v_add_u32_e32 v16, 0xfffffc10, v16
	v_med3_i32 v13, v17, 0, 13
	v_med3_i32 v15, v18, 0, 13
	v_or_b32_e32 v17, 0x1000, v7
	v_lshl_or_b32 v18, v14, 12, v7
	v_cndmask_b32_e32 v7, v11, v12, vcc
	v_cmp_ne_u32_e32 vcc, 0, v9
	v_or_b32_e32 v19, 0x1000, v9
	v_lshl_or_b32 v20, v16, 12, v9
	v_cndmask_b32_e32 v9, v11, v12, vcc
	v_lshrrev_b32_e32 v12, v13, v17
	v_lshrrev_b32_e32 v21, v15, v19
	v_lshlrev_b32_e32 v13, v13, v12
	v_lshlrev_b32_e32 v15, v15, v21
	v_cmp_ne_u32_e32 vcc, v13, v17
	v_cndmask_b32_e64 v13, 0, 1, vcc
	v_cmp_ne_u32_e32 vcc, v15, v19
	v_cndmask_b32_e64 v15, 0, 1, vcc
	v_or_b32_e32 v12, v12, v13
	v_cmp_gt_i32_e32 vcc, 1, v14
	v_cndmask_b32_e32 v12, v18, v12, vcc
	v_or_b32_e32 v13, v21, v15
	v_cmp_gt_i32_e32 vcc, 1, v16
	v_and_b32_e32 v15, 7, v12
	v_cndmask_b32_e32 v13, v20, v13, vcc
	v_cmp_lt_i32_e32 vcc, 5, v15
	v_and_b32_e32 v17, 7, v13
	v_cndmask_b32_e64 v18, 0, 1, vcc
	v_cmp_eq_u32_e32 vcc, 3, v15
	v_cndmask_b32_e64 v15, 0, 1, vcc
	v_cmp_lt_i32_e32 vcc, 5, v17
	v_cndmask_b32_e64 v19, 0, 1, vcc
	v_cmp_eq_u32_e32 vcc, 3, v17
	v_lshrrev_b32_e32 v12, 2, v12
	v_cndmask_b32_e64 v17, 0, 1, vcc
	v_or_b32_e32 v15, v15, v18
	v_lshrrev_b32_e32 v13, 2, v13
	v_or_b32_e32 v17, v17, v19
	v_add_u32_e32 v12, v12, v15
	v_cmp_gt_i32_e32 vcc, 31, v14
	v_add_u32_e32 v13, v13, v17
	v_cndmask_b32_e32 v12, v11, v12, vcc
	v_cmp_gt_i32_e32 vcc, 31, v16
	v_cndmask_b32_e32 v11, v11, v13, vcc
	v_cmp_eq_u32_e32 vcc, s23, v14
	v_cndmask_b32_e32 v7, v12, v7, vcc
	v_cmp_eq_u32_e32 vcc, s23, v16
	v_lshrrev_b32_e32 v8, 16, v8
	v_lshrrev_b32_e32 v10, 16, v10
	v_cndmask_b32_e32 v9, v11, v9, vcc
	v_and_or_b32 v7, v8, s24, v7
	v_and_or_b32 v8, v10, s24, v9
	s_mov_b64 s[0:1], 0
	s_branch .LBB150_2367
.LBB150_2345:
	s_mov_b64 s[0:1], -1
                                        ; implicit-def: $vgpr8
                                        ; implicit-def: $vgpr7
	s_branch .LBB150_2392
.LBB150_2346:
	s_mov_b64 s[22:23], -1
                                        ; implicit-def: $vgpr7
	s_branch .LBB150_2359
.LBB150_2347:
	s_mov_b64 s[0:1], -1
                                        ; implicit-def: $vgpr8
                                        ; implicit-def: $vgpr7
	s_branch .LBB150_2373
.LBB150_2348:
	s_or_saveexec_b64 s[26:27], s[26:27]
	v_mov_b32_e32 v7, 0x7e00
	s_xor_b64 exec, exec, s[26:27]
	s_cbranch_execz .LBB150_2319
.LBB150_2349:
	v_cmp_ne_u16_e32 vcc, 0, v8
	s_andn2_b64 s[24:25], s[24:25], exec
	s_and_b64 s[28:29], vcc, exec
	s_or_b64 s[24:25], s[24:25], s[28:29]
	v_mov_b32_e32 v7, v8
	s_or_b64 exec, exec, s[26:27]
	s_and_saveexec_b64 s[26:27], s[24:25]
	s_cbranch_execnz .LBB150_2320
	s_branch .LBB150_2321
.LBB150_2350:
	s_mov_b64 s[22:23], -1
                                        ; implicit-def: $vgpr7
	s_branch .LBB150_2356
.LBB150_2351:
	s_mov_b64 s[0:1], -1
                                        ; implicit-def: $vgpr8
                                        ; implicit-def: $vgpr7
	s_branch .LBB150_2370
.LBB150_2352:
	s_mov_b64 s[22:23], -1
                                        ; implicit-def: $vgpr7
.LBB150_2353:
	s_and_b64 vcc, exec, s[22:23]
	s_cbranch_vccz .LBB150_2355
; %bb.2354:
	global_load_ubyte v7, v[0:1], off
	s_mov_b32 s22, 0x7f800000
	s_waitcnt vmcnt(0)
	v_lshlrev_b32_e32 v7, 24, v7
	v_and_b32_e32 v8, 0x7f000000, v7
	v_ffbh_u32_e32 v9, v8
	v_min_u32_e32 v9, 32, v9
	v_sub_u32_e64 v9, v9, 4 clamp
	v_lshlrev_b32_e32 v11, v9, v8
	v_lshlrev_b32_e32 v9, 23, v9
	v_lshrrev_b32_e32 v11, 4, v11
	v_add_u32_e32 v10, 0x1000000, v8
	v_sub_u32_e32 v9, v11, v9
	v_ashrrev_i32_e32 v10, 8, v10
	v_add_u32_e32 v9, 0x3c000000, v9
	v_and_or_b32 v9, v10, s22, v9
	v_cmp_ne_u32_e32 vcc, 0, v8
	v_cndmask_b32_e32 v8, 0, v9, vcc
	s_brev_b32 s22, 1
	v_and_or_b32 v7, v7, s22, v8
	v_cvt_f16_f32_e32 v7, v7
.LBB150_2355:
	s_mov_b64 s[22:23], 0
.LBB150_2356:
	s_andn2_b64 vcc, exec, s[22:23]
	s_cbranch_vccnz .LBB150_2358
; %bb.2357:
	global_load_ubyte v7, v[0:1], off
	s_movk_i32 s22, 0x7f00
	s_brev_b32 s23, 16
	s_waitcnt vmcnt(0)
	v_lshlrev_b16_e32 v8, 8, v7
	v_lshlrev_b32_e32 v7, 25, v7
	v_lshrrev_b32_e32 v9, 4, v7
	v_and_or_b32 v10, v8, s22, 0.5
	v_or_b32_e32 v9, 0x70000000, v9
	v_add_f32_e32 v10, -0.5, v10
	v_mul_f32_e32 v9, 0x7800000, v9
	v_cmp_gt_u32_e32 vcc, s23, v7
	v_bfe_i32 v8, v8, 0, 16
	v_cndmask_b32_e32 v7, v9, v10, vcc
	s_brev_b32 s22, 1
	v_and_or_b32 v7, v8, s22, v7
	v_cvt_f16_f32_e32 v7, v7
.LBB150_2358:
	s_mov_b64 s[22:23], 0
	s_mov_b64 s[24:25], -1
.LBB150_2359:
	s_andn2_b64 vcc, exec, s[22:23]
	s_mov_b64 s[22:23], 0
	s_cbranch_vccnz .LBB150_2382
; %bb.2360:
	s_cmp_gt_i32 s35, 14
	s_cbranch_scc0 .LBB150_2363
; %bb.2361:
	s_cmp_eq_u32 s35, 15
	s_cbranch_scc0 .LBB150_2378
; %bb.2362:
	global_load_ushort v7, v[0:1], off
	s_mov_b64 s[0:1], 0
	s_mov_b64 s[24:25], -1
	s_waitcnt vmcnt(0)
	v_lshlrev_b32_e32 v7, 16, v7
	v_cvt_f16_f32_e32 v7, v7
	s_branch .LBB150_2379
.LBB150_2363:
	s_mov_b64 s[26:27], -1
                                        ; implicit-def: $vgpr7
	s_branch .LBB150_2380
.LBB150_2364:
	s_or_saveexec_b64 s[24:25], s[24:25]
	v_mov_b32_e32 v7, 0x7e00
	s_xor_b64 exec, exec, s[24:25]
	s_cbranch_execz .LBB150_2332
.LBB150_2365:
	v_cmp_ne_u16_e32 vcc, 0, v8
	s_andn2_b64 s[22:23], s[22:23], exec
	s_and_b64 s[26:27], vcc, exec
	s_or_b64 s[22:23], s[22:23], s[26:27]
	v_mov_b32_e32 v7, v8
	s_or_b64 exec, exec, s[24:25]
	s_and_saveexec_b64 s[24:25], s[22:23]
	s_cbranch_execnz .LBB150_2333
	s_branch .LBB150_2334
.LBB150_2366:
	s_mov_b64 s[0:1], -1
                                        ; implicit-def: $vgpr8
                                        ; implicit-def: $vgpr7
.LBB150_2367:
	s_andn2_b64 vcc, exec, s[0:1]
	s_cbranch_vccnz .LBB150_2369
; %bb.2368:
	global_load_dwordx2 v[7:8], v[0:1], off
	s_waitcnt vmcnt(0)
	v_cvt_f16_f32_e32 v7, v7
	v_cvt_f16_f32_e32 v8, v8
.LBB150_2369:
	s_mov_b64 s[0:1], 0
.LBB150_2370:
	s_andn2_b64 vcc, exec, s[0:1]
	s_cbranch_vccnz .LBB150_2372
; %bb.2371:
	global_load_dword v7, v[0:1], off
	s_waitcnt vmcnt(0)
	v_lshrrev_b32_e32 v8, 16, v7
.LBB150_2372:
	s_mov_b64 s[0:1], 0
.LBB150_2373:
	s_andn2_b64 vcc, exec, s[0:1]
	s_cbranch_vccnz .LBB150_2391
; %bb.2374:
	s_cmp_lt_i32 s22, 6
	s_cbranch_scc1 .LBB150_2377
; %bb.2375:
	s_cmp_gt_i32 s22, 6
	s_cbranch_scc0 .LBB150_2384
; %bb.2376:
	global_load_dwordx2 v[7:8], v[0:1], off
	s_movk_i32 s0, 0x1ff
	s_movk_i32 s1, 0xffe
	v_mov_b32_e32 v9, 0x7c00
	v_mov_b32_e32 v10, 0x7e00
	s_movk_i32 s23, 0x40f
	s_mov_b32 s24, 0x8000
	s_waitcnt vmcnt(0)
	v_and_or_b32 v7, v8, s0, v7
	v_cmp_ne_u32_e32 vcc, 0, v7
	v_lshrrev_b32_e32 v11, 8, v8
	v_bfe_u32 v12, v8, 20, 11
	v_cndmask_b32_e64 v7, 0, 1, vcc
	v_sub_u32_e32 v13, 0x3f1, v12
	v_and_or_b32 v7, v11, s1, v7
	v_add_u32_e32 v12, 0xfffffc10, v12
	v_med3_i32 v11, v13, 0, 13
	v_or_b32_e32 v13, 0x1000, v7
	v_cmp_ne_u32_e32 vcc, 0, v7
	v_lshl_or_b32 v14, v12, 12, v7
	v_cndmask_b32_e32 v7, v9, v10, vcc
	v_lshrrev_b32_e32 v10, v11, v13
	v_lshlrev_b32_e32 v11, v11, v10
	v_cmp_ne_u32_e32 vcc, v11, v13
	v_cndmask_b32_e64 v11, 0, 1, vcc
	v_or_b32_e32 v10, v10, v11
	v_cmp_gt_i32_e32 vcc, 1, v12
	v_cndmask_b32_e32 v10, v14, v10, vcc
	v_and_b32_e32 v11, 7, v10
	v_cmp_lt_i32_e32 vcc, 5, v11
	v_cndmask_b32_e64 v13, 0, 1, vcc
	v_cmp_eq_u32_e32 vcc, 3, v11
	v_cndmask_b32_e64 v11, 0, 1, vcc
	v_lshrrev_b32_e32 v10, 2, v10
	v_or_b32_e32 v11, v11, v13
	v_add_u32_e32 v10, v10, v11
	v_cmp_gt_i32_e32 vcc, 31, v12
	v_cndmask_b32_e32 v9, v9, v10, vcc
	v_cmp_eq_u32_e32 vcc, s23, v12
	v_lshrrev_b32_e32 v8, 16, v8
	v_cndmask_b32_e32 v7, v9, v7, vcc
	v_and_or_b32 v7, v8, s24, v7
	s_mov_b64 s[0:1], 0
	s_branch .LBB150_2385
.LBB150_2377:
	s_mov_b64 s[0:1], -1
                                        ; implicit-def: $vgpr7
	s_branch .LBB150_2388
.LBB150_2378:
	s_mov_b64 s[0:1], -1
                                        ; implicit-def: $vgpr7
.LBB150_2379:
	s_mov_b64 s[26:27], 0
.LBB150_2380:
	s_and_b64 vcc, exec, s[26:27]
	s_cbranch_vccz .LBB150_2382
; %bb.2381:
	s_cmp_lg_u32 s35, 11
	s_mov_b64 s[22:23], -1
	s_cselect_b64 s[0:1], -1, 0
.LBB150_2382:
	v_mov_b32_e32 v8, 0
	s_and_b64 vcc, exec, s[0:1]
	s_cbranch_vccz .LBB150_2336
.LBB150_2383:
	s_trap 2
	s_or_b64 s[18:19], s[18:19], exec
	s_cbranch_execz .LBB150_2337
	s_branch .LBB150_2338
.LBB150_2384:
	s_mov_b64 s[0:1], -1
                                        ; implicit-def: $vgpr7
.LBB150_2385:
	s_andn2_b64 vcc, exec, s[0:1]
	s_cbranch_vccnz .LBB150_2387
; %bb.2386:
	global_load_dword v7, v[0:1], off
	s_waitcnt vmcnt(0)
	v_cvt_f16_f32_e32 v7, v7
.LBB150_2387:
	s_mov_b64 s[0:1], 0
.LBB150_2388:
	s_andn2_b64 vcc, exec, s[0:1]
	s_cbranch_vccnz .LBB150_2390
; %bb.2389:
	global_load_ushort v7, v[0:1], off
.LBB150_2390:
	v_mov_b32_e32 v8, 0
.LBB150_2391:
	s_mov_b64 s[0:1], 0
.LBB150_2392:
	s_andn2_b64 vcc, exec, s[0:1]
	s_cbranch_vccnz .LBB150_2413
; %bb.2393:
	s_cmp_lt_i32 s22, 2
	s_cbranch_scc1 .LBB150_2397
; %bb.2394:
	s_cmp_lt_i32 s22, 3
	s_cbranch_scc1 .LBB150_2398
; %bb.2395:
	s_cmp_gt_i32 s22, 3
	s_cbranch_scc0 .LBB150_2399
; %bb.2396:
	global_load_dwordx2 v[7:8], v[0:1], off
	s_mov_b64 s[0:1], 0
	s_waitcnt vmcnt(0)
	v_xor_b32_e32 v10, v7, v8
	v_ffbh_i32_e32 v9, v8
	v_ashrrev_i32_e32 v10, 31, v10
	v_add_u32_e32 v9, -1, v9
	v_add_u32_e32 v10, 32, v10
	v_min_u32_e32 v9, v9, v10
	v_lshlrev_b64 v[7:8], v9, v[7:8]
	v_min_u32_e32 v7, 1, v7
	v_or_b32_e32 v7, v8, v7
	v_cvt_f32_i32_e32 v7, v7
	v_sub_u32_e32 v8, 32, v9
	v_ldexp_f32 v7, v7, v8
	v_cvt_f16_f32_e32 v7, v7
	s_branch .LBB150_2400
.LBB150_2397:
	s_mov_b64 s[0:1], -1
                                        ; implicit-def: $vgpr7
	s_branch .LBB150_2406
.LBB150_2398:
	s_mov_b64 s[0:1], -1
                                        ; implicit-def: $vgpr7
	s_branch .LBB150_2403
.LBB150_2399:
	s_mov_b64 s[0:1], -1
                                        ; implicit-def: $vgpr7
.LBB150_2400:
	s_andn2_b64 vcc, exec, s[0:1]
	s_cbranch_vccnz .LBB150_2402
; %bb.2401:
	global_load_dword v7, v[0:1], off
	s_waitcnt vmcnt(0)
	v_cvt_f32_i32_e32 v7, v7
	v_cvt_f16_f32_e32 v7, v7
.LBB150_2402:
	s_mov_b64 s[0:1], 0
.LBB150_2403:
	s_andn2_b64 vcc, exec, s[0:1]
	s_cbranch_vccnz .LBB150_2405
; %bb.2404:
	global_load_ushort v7, v[0:1], off
	s_waitcnt vmcnt(0)
	v_cvt_f16_i16_e32 v7, v7
.LBB150_2405:
	s_mov_b64 s[0:1], 0
.LBB150_2406:
	s_andn2_b64 vcc, exec, s[0:1]
	s_cbranch_vccnz .LBB150_2412
; %bb.2407:
	s_cmp_gt_i32 s22, 0
	s_cbranch_scc0 .LBB150_2409
; %bb.2408:
	global_load_sbyte v7, v[0:1], off
	s_mov_b64 s[0:1], 0
	s_waitcnt vmcnt(0)
	v_cvt_f16_i16_e32 v7, v7
	s_branch .LBB150_2410
.LBB150_2409:
	s_mov_b64 s[0:1], -1
                                        ; implicit-def: $vgpr7
.LBB150_2410:
	s_andn2_b64 vcc, exec, s[0:1]
	s_cbranch_vccnz .LBB150_2412
; %bb.2411:
	global_load_ubyte v0, v[0:1], off
	s_waitcnt vmcnt(0)
	v_cvt_f16_u16_e32 v7, v0
.LBB150_2412:
	v_mov_b32_e32 v8, 0
.LBB150_2413:
	s_mov_b64 s[24:25], -1
.LBB150_2414:
	s_andn2_b64 vcc, exec, s[24:25]
	s_cbranch_vccnz .LBB150_2692
; %bb.2415:
	s_and_b64 vcc, exec, s[20:21]
	s_cbranch_vccz .LBB150_2417
; %bb.2416:
	s_waitcnt vmcnt(0)
	v_cmp_neq_f16_e32 vcc, v5, v7
	v_cmp_neq_f16_e64 s[0:1], v6, v8
	s_or_b64 s[22:23], vcc, s[0:1]
	s_mov_b64 s[0:1], 0
	s_branch .LBB150_2418
.LBB150_2417:
	s_mov_b64 s[0:1], -1
                                        ; implicit-def: $sgpr22_sgpr23
.LBB150_2418:
	s_andn2_b64 vcc, exec, s[0:1]
	s_cbranch_vccnz .LBB150_2420
; %bb.2419:
	s_waitcnt vmcnt(0)
	v_cmp_eq_f16_e32 vcc, v5, v7
	v_cmp_eq_f16_e64 s[0:1], v6, v8
	s_and_b64 s[0:1], vcc, s[0:1]
	s_andn2_b64 s[22:23], s[22:23], exec
	s_and_b64 s[0:1], s[0:1], exec
	s_or_b64 s[22:23], s[22:23], s[0:1]
.LBB150_2420:
	v_add_u32_e32 v0, s13, v3
	v_ashrrev_i32_e32 v1, 31, v0
	v_mov_b32_e32 v3, s11
	v_add_co_u32_e32 v0, vcc, s10, v0
	s_cmp_lt_i32 s30, 11
	v_addc_co_u32_e32 v1, vcc, v3, v1, vcc
	s_cbranch_scc1 .LBB150_2427
; %bb.2421:
	s_and_b32 s13, 0xffff, s30
	s_cmp_gt_i32 s13, 25
	s_mov_b64 s[10:11], 0
	s_cbranch_scc0 .LBB150_2428
; %bb.2422:
	s_cmp_gt_i32 s13, 28
	s_cbranch_scc0 .LBB150_2429
; %bb.2423:
	s_cmp_gt_i32 s13, 43
	;; [unrolled: 3-line block ×3, first 2 shown]
	s_cbranch_scc0 .LBB150_2431
; %bb.2425:
	s_cmp_eq_u32 s13, 46
	s_mov_b64 s[26:27], 0
	s_cbranch_scc0 .LBB150_2432
; %bb.2426:
	global_load_dword v3, v[0:1], off
	s_mov_b64 s[0:1], 0
	s_mov_b64 s[24:25], -1
	s_waitcnt vmcnt(0)
	v_and_b32_e32 v5, 0xffff0000, v3
	v_lshlrev_b32_e32 v3, 16, v3
	v_cvt_f16_f32_e32 v3, v3
	v_cvt_f16_f32_e32 v5, v5
	s_branch .LBB150_2433
.LBB150_2427:
	s_mov_b64 s[0:1], -1
	s_mov_b64 s[24:25], 0
                                        ; implicit-def: $vgpr5
                                        ; implicit-def: $vgpr3
	s_branch .LBB150_2479
.LBB150_2428:
	s_mov_b64 s[26:27], -1
	s_mov_b64 s[24:25], 0
	s_mov_b64 s[0:1], 0
                                        ; implicit-def: $vgpr5
                                        ; implicit-def: $vgpr3
	s_branch .LBB150_2464
.LBB150_2429:
	s_mov_b64 s[26:27], -1
	s_mov_b64 s[24:25], 0
	s_mov_b64 s[0:1], 0
                                        ; implicit-def: $vgpr5
                                        ; implicit-def: $vgpr3
	s_branch .LBB150_2445
.LBB150_2430:
	s_mov_b64 s[26:27], -1
	s_mov_b64 s[24:25], 0
	s_mov_b64 s[0:1], 0
                                        ; implicit-def: $vgpr5
                                        ; implicit-def: $vgpr3
	s_branch .LBB150_2439
.LBB150_2431:
	s_mov_b64 s[26:27], -1
	s_mov_b64 s[24:25], 0
	s_mov_b64 s[0:1], 0
                                        ; implicit-def: $vgpr5
                                        ; implicit-def: $vgpr3
	s_branch .LBB150_2433
.LBB150_2432:
	s_mov_b64 s[0:1], -1
                                        ; implicit-def: $vgpr5
                                        ; implicit-def: $vgpr3
	s_mov_b64 s[24:25], 0
.LBB150_2433:
	s_and_b64 vcc, exec, s[26:27]
	s_cbranch_vccz .LBB150_2438
; %bb.2434:
	s_cmp_eq_u32 s13, 44
	s_cbranch_scc0 .LBB150_2436
; %bb.2435:
	global_load_ubyte v3, v[0:1], off
	s_movk_i32 s24, 0xff
	v_mov_b32_e32 v6, 0x7e00
	s_mov_b64 s[0:1], 0
	s_waitcnt vmcnt(0)
	v_lshlrev_b32_e32 v5, 23, v3
	v_cvt_f16_f32_e32 v5, v5
	v_cmp_ne_u32_e32 vcc, s24, v3
	s_mov_b64 s[24:25], -1
	v_cndmask_b32_e32 v5, v6, v5, vcc
	v_cmp_ne_u32_e32 vcc, 0, v3
	v_cndmask_b32_e32 v3, 0, v5, vcc
	s_branch .LBB150_2437
.LBB150_2436:
	s_mov_b64 s[0:1], -1
                                        ; implicit-def: $vgpr3
.LBB150_2437:
	s_waitcnt vmcnt(0)
	v_mov_b32_e32 v5, 0
.LBB150_2438:
	s_mov_b64 s[26:27], 0
.LBB150_2439:
	s_and_b64 vcc, exec, s[26:27]
	s_cbranch_vccz .LBB150_2444
; %bb.2440:
	s_cmp_eq_u32 s13, 29
	s_cbranch_scc0 .LBB150_2442
; %bb.2441:
	global_load_dwordx2 v[5:6], v[0:1], off
	s_mov_b64 s[0:1], 0
	s_mov_b64 s[24:25], -1
	s_waitcnt vmcnt(0)
	v_ffbh_u32_e32 v3, v6
	v_min_u32_e32 v3, 32, v3
	v_lshlrev_b64 v[5:6], v3, v[5:6]
	v_sub_u32_e32 v3, 32, v3
	v_min_u32_e32 v5, 1, v5
	v_or_b32_e32 v5, v6, v5
	v_cvt_f32_u32_e32 v5, v5
	v_ldexp_f32 v3, v5, v3
	v_cvt_f16_f32_e32 v3, v3
	s_branch .LBB150_2443
.LBB150_2442:
	s_mov_b64 s[0:1], -1
                                        ; implicit-def: $vgpr3
.LBB150_2443:
	s_waitcnt vmcnt(0)
	v_mov_b32_e32 v5, 0
.LBB150_2444:
	s_mov_b64 s[26:27], 0
.LBB150_2445:
	s_and_b64 vcc, exec, s[26:27]
	s_cbranch_vccz .LBB150_2463
; %bb.2446:
	s_cmp_lt_i32 s13, 27
	s_cbranch_scc1 .LBB150_2449
; %bb.2447:
	s_cmp_gt_i32 s13, 27
	s_cbranch_scc0 .LBB150_2450
; %bb.2448:
	global_load_dword v3, v[0:1], off
	s_mov_b64 s[24:25], 0
	s_waitcnt vmcnt(0)
	v_cvt_f32_u32_e32 v3, v3
	v_cvt_f16_f32_e32 v3, v3
	s_branch .LBB150_2451
.LBB150_2449:
	s_mov_b64 s[24:25], -1
                                        ; implicit-def: $vgpr3
	s_branch .LBB150_2454
.LBB150_2450:
	s_mov_b64 s[24:25], -1
                                        ; implicit-def: $vgpr3
.LBB150_2451:
	s_andn2_b64 vcc, exec, s[24:25]
	s_cbranch_vccnz .LBB150_2453
; %bb.2452:
	global_load_ushort v3, v[0:1], off
	s_waitcnt vmcnt(0)
	v_cvt_f16_u16_e32 v3, v3
.LBB150_2453:
	s_mov_b64 s[24:25], 0
.LBB150_2454:
	s_andn2_b64 vcc, exec, s[24:25]
	s_cbranch_vccnz .LBB150_2462
; %bb.2455:
	global_load_ubyte v5, v[0:1], off
	s_movk_i32 s24, 0x7f
	s_waitcnt vmcnt(0)
	v_cmp_lt_i16_e32 vcc, s24, v5
	s_mov_b64 s[24:25], 0
	s_and_saveexec_b64 s[26:27], vcc
	s_xor_b64 s[26:27], exec, s[26:27]
	s_cbranch_execz .LBB150_2488
; %bb.2456:
	s_movk_i32 s24, 0x80
	v_cmp_eq_u16_e32 vcc, s24, v5
	s_mov_b64 s[24:25], -1
	s_and_saveexec_b64 s[28:29], vcc
; %bb.2457:
	s_xor_b64 s[24:25], exec, -1
; %bb.2458:
	s_or_b64 exec, exec, s[28:29]
	s_and_b64 s[24:25], s[24:25], exec
	s_or_saveexec_b64 s[26:27], s[26:27]
	v_mov_b32_e32 v3, 0x7e00
	s_xor_b64 exec, exec, s[26:27]
	s_cbranch_execnz .LBB150_2489
.LBB150_2459:
	s_or_b64 exec, exec, s[26:27]
	s_and_saveexec_b64 s[26:27], s[24:25]
	s_cbranch_execz .LBB150_2461
.LBB150_2460:
	v_lshlrev_b32_e32 v3, 24, v5
	v_and_b32_e32 v5, 0xffff, v5
	v_and_b32_e32 v6, 7, v5
	v_ffbh_u32_e32 v8, v6
	v_min_u32_e32 v8, 32, v8
	v_subrev_u32_e32 v9, 28, v8
	v_bfe_u32 v7, v5, 3, 4
	v_lshlrev_b32_e32 v5, v9, v5
	v_sub_u32_e32 v8, 29, v8
	v_and_b32_e32 v5, 7, v5
	v_cmp_eq_u32_e32 vcc, 0, v7
	v_cndmask_b32_e32 v7, v7, v8, vcc
	v_cndmask_b32_e32 v5, v6, v5, vcc
	v_mov_b32_e32 v6, 0x3b800000
	v_lshlrev_b32_e32 v5, 20, v5
	v_and_b32_e32 v3, 0x80000000, v3
	v_lshl_add_u32 v6, v7, 23, v6
	v_or3_b32 v3, v3, v6, v5
	v_cvt_f16_f32_e32 v3, v3
.LBB150_2461:
	s_or_b64 exec, exec, s[26:27]
.LBB150_2462:
	s_mov_b64 s[24:25], -1
	s_waitcnt vmcnt(0)
	v_mov_b32_e32 v5, 0
.LBB150_2463:
	s_mov_b64 s[26:27], 0
.LBB150_2464:
	s_and_b64 vcc, exec, s[26:27]
	s_cbranch_vccz .LBB150_2475
; %bb.2465:
	s_cmp_gt_i32 s13, 22
	s_cbranch_scc0 .LBB150_2486
; %bb.2466:
	s_cmp_lt_i32 s13, 24
	s_cbranch_scc1 .LBB150_2490
; %bb.2467:
	s_cmp_gt_i32 s13, 24
	s_cbranch_scc0 .LBB150_2492
; %bb.2468:
	global_load_ubyte v5, v[0:1], off
	s_movk_i32 s10, 0x7f
	s_waitcnt vmcnt(0)
	v_cmp_lt_i16_e32 vcc, s10, v5
	s_mov_b64 s[10:11], 0
	s_and_saveexec_b64 s[24:25], vcc
	s_xor_b64 s[24:25], exec, s[24:25]
	s_cbranch_execz .LBB150_2504
; %bb.2469:
	s_movk_i32 s10, 0x80
	v_cmp_eq_u16_e32 vcc, s10, v5
	s_mov_b64 s[10:11], -1
	s_and_saveexec_b64 s[26:27], vcc
; %bb.2470:
	s_xor_b64 s[10:11], exec, -1
; %bb.2471:
	s_or_b64 exec, exec, s[26:27]
	s_and_b64 s[10:11], s[10:11], exec
	s_or_saveexec_b64 s[24:25], s[24:25]
	v_mov_b32_e32 v3, 0x7e00
	s_xor_b64 exec, exec, s[24:25]
	s_cbranch_execnz .LBB150_2505
.LBB150_2472:
	s_or_b64 exec, exec, s[24:25]
	s_and_saveexec_b64 s[24:25], s[10:11]
	s_cbranch_execz .LBB150_2474
.LBB150_2473:
	v_lshlrev_b32_e32 v3, 24, v5
	v_and_b32_e32 v5, 0xffff, v5
	v_and_b32_e32 v6, 3, v5
	v_ffbh_u32_e32 v8, v6
	v_min_u32_e32 v8, 32, v8
	v_subrev_u32_e32 v9, 29, v8
	v_bfe_u32 v7, v5, 2, 5
	v_lshlrev_b32_e32 v5, v9, v5
	v_sub_u32_e32 v8, 30, v8
	v_and_b32_e32 v5, 3, v5
	v_cmp_eq_u32_e32 vcc, 0, v7
	v_cndmask_b32_e32 v7, v7, v8, vcc
	v_cndmask_b32_e32 v5, v6, v5, vcc
	v_mov_b32_e32 v6, 0x37800000
	v_lshlrev_b32_e32 v5, 21, v5
	v_and_b32_e32 v3, 0x80000000, v3
	v_lshl_add_u32 v6, v7, 23, v6
	v_or3_b32 v3, v3, v6, v5
	v_cvt_f16_f32_e32 v3, v3
.LBB150_2474:
	s_or_b64 exec, exec, s[24:25]
	s_mov_b64 s[10:11], 0
	s_branch .LBB150_2493
.LBB150_2475:
	s_and_b64 vcc, exec, s[0:1]
	s_cbranch_vccnz .LBB150_2523
.LBB150_2476:
	s_andn2_b64 vcc, exec, s[10:11]
	s_cbranch_vccnz .LBB150_2478
.LBB150_2477:
	global_load_ubyte v3, v[0:1], off
	v_mov_b32_e32 v6, 0x3c00
	s_waitcnt vmcnt(1)
	v_mov_b32_e32 v5, 0
	s_mov_b64 s[24:25], -1
	s_waitcnt vmcnt(0)
	v_cmp_ne_u16_e32 vcc, 0, v3
	v_cndmask_b32_e32 v3, 0, v6, vcc
.LBB150_2478:
	s_mov_b64 s[0:1], 0
.LBB150_2479:
	s_and_b64 vcc, exec, s[0:1]
	s_cbranch_vccz .LBB150_2554
; %bb.2480:
	s_and_b32 s10, 0xffff, s30
	s_cmp_lt_i32 s10, 5
	s_cbranch_scc1 .LBB150_2485
; %bb.2481:
	s_cmp_lt_i32 s10, 8
	s_cbranch_scc1 .LBB150_2487
; %bb.2482:
	;; [unrolled: 3-line block ×3, first 2 shown]
	s_cmp_gt_i32 s10, 9
	s_cbranch_scc0 .LBB150_2506
; %bb.2484:
	global_load_dwordx4 v[5:8], v[0:1], off
	s_movk_i32 s0, 0x1ff
	s_movk_i32 s1, 0xffe
	v_mov_b32_e32 v3, 0x7c00
	v_mov_b32_e32 v9, 0x7e00
	s_movk_i32 s11, 0x40f
	s_mov_b32 s13, 0x8000
	s_waitcnt vmcnt(0)
	v_and_or_b32 v5, v6, s0, v5
	v_and_or_b32 v7, v8, s0, v7
	v_cmp_ne_u32_e32 vcc, 0, v5
	v_lshrrev_b32_e32 v10, 8, v6
	v_cndmask_b32_e64 v5, 0, 1, vcc
	v_cmp_ne_u32_e32 vcc, 0, v7
	v_bfe_u32 v11, v6, 20, 11
	v_lshrrev_b32_e32 v12, 8, v8
	v_bfe_u32 v13, v8, 20, 11
	v_cndmask_b32_e64 v7, 0, 1, vcc
	v_and_or_b32 v5, v10, s1, v5
	v_sub_u32_e32 v14, 0x3f1, v11
	v_add_u32_e32 v11, 0xfffffc10, v11
	v_sub_u32_e32 v15, 0x3f1, v13
	v_and_or_b32 v7, v12, s1, v7
	v_cmp_ne_u32_e32 vcc, 0, v5
	v_add_u32_e32 v13, 0xfffffc10, v13
	v_med3_i32 v10, v14, 0, 13
	v_med3_i32 v12, v15, 0, 13
	v_or_b32_e32 v14, 0x1000, v5
	v_lshl_or_b32 v15, v11, 12, v5
	v_cndmask_b32_e32 v5, v3, v9, vcc
	v_cmp_ne_u32_e32 vcc, 0, v7
	v_or_b32_e32 v16, 0x1000, v7
	v_lshl_or_b32 v17, v13, 12, v7
	v_cndmask_b32_e32 v7, v3, v9, vcc
	v_lshrrev_b32_e32 v9, v10, v14
	v_lshrrev_b32_e32 v18, v12, v16
	v_lshlrev_b32_e32 v10, v10, v9
	v_lshlrev_b32_e32 v12, v12, v18
	v_cmp_ne_u32_e32 vcc, v10, v14
	v_cndmask_b32_e64 v10, 0, 1, vcc
	v_cmp_ne_u32_e32 vcc, v12, v16
	v_cndmask_b32_e64 v12, 0, 1, vcc
	v_or_b32_e32 v9, v9, v10
	v_cmp_gt_i32_e32 vcc, 1, v11
	v_cndmask_b32_e32 v9, v15, v9, vcc
	v_or_b32_e32 v10, v18, v12
	v_cmp_gt_i32_e32 vcc, 1, v13
	v_and_b32_e32 v12, 7, v9
	v_cndmask_b32_e32 v10, v17, v10, vcc
	v_cmp_lt_i32_e32 vcc, 5, v12
	v_and_b32_e32 v14, 7, v10
	v_cndmask_b32_e64 v15, 0, 1, vcc
	v_cmp_eq_u32_e32 vcc, 3, v12
	v_cndmask_b32_e64 v12, 0, 1, vcc
	v_cmp_lt_i32_e32 vcc, 5, v14
	v_cndmask_b32_e64 v16, 0, 1, vcc
	v_cmp_eq_u32_e32 vcc, 3, v14
	v_lshrrev_b32_e32 v9, 2, v9
	v_cndmask_b32_e64 v14, 0, 1, vcc
	v_or_b32_e32 v12, v12, v15
	v_lshrrev_b32_e32 v10, 2, v10
	v_or_b32_e32 v14, v14, v16
	v_add_u32_e32 v9, v9, v12
	v_cmp_gt_i32_e32 vcc, 31, v11
	v_add_u32_e32 v10, v10, v14
	v_cndmask_b32_e32 v9, v3, v9, vcc
	v_cmp_gt_i32_e32 vcc, 31, v13
	v_cndmask_b32_e32 v3, v3, v10, vcc
	v_cmp_eq_u32_e32 vcc, s11, v11
	v_cndmask_b32_e32 v5, v9, v5, vcc
	v_cmp_eq_u32_e32 vcc, s11, v13
	v_lshrrev_b32_e32 v6, 16, v6
	v_lshrrev_b32_e32 v8, 16, v8
	v_cndmask_b32_e32 v7, v3, v7, vcc
	v_and_or_b32 v3, v6, s13, v5
	v_and_or_b32 v5, v8, s13, v7
	s_mov_b64 s[0:1], 0
	s_branch .LBB150_2507
.LBB150_2485:
	s_mov_b64 s[0:1], -1
                                        ; implicit-def: $vgpr5
                                        ; implicit-def: $vgpr3
	s_branch .LBB150_2532
.LBB150_2486:
	s_mov_b64 s[10:11], -1
                                        ; implicit-def: $vgpr3
	s_branch .LBB150_2499
.LBB150_2487:
	s_mov_b64 s[0:1], -1
                                        ; implicit-def: $vgpr5
                                        ; implicit-def: $vgpr3
	s_branch .LBB150_2513
.LBB150_2488:
	s_or_saveexec_b64 s[26:27], s[26:27]
	v_mov_b32_e32 v3, 0x7e00
	s_xor_b64 exec, exec, s[26:27]
	s_cbranch_execz .LBB150_2459
.LBB150_2489:
	v_cmp_ne_u16_e32 vcc, 0, v5
	s_andn2_b64 s[24:25], s[24:25], exec
	s_and_b64 s[28:29], vcc, exec
	s_or_b64 s[24:25], s[24:25], s[28:29]
	v_mov_b32_e32 v3, v5
	s_or_b64 exec, exec, s[26:27]
	s_and_saveexec_b64 s[26:27], s[24:25]
	s_cbranch_execnz .LBB150_2460
	s_branch .LBB150_2461
.LBB150_2490:
	s_mov_b64 s[10:11], -1
                                        ; implicit-def: $vgpr3
	s_branch .LBB150_2496
.LBB150_2491:
	s_mov_b64 s[0:1], -1
                                        ; implicit-def: $vgpr5
                                        ; implicit-def: $vgpr3
	s_branch .LBB150_2510
.LBB150_2492:
	s_mov_b64 s[10:11], -1
                                        ; implicit-def: $vgpr3
.LBB150_2493:
	s_and_b64 vcc, exec, s[10:11]
	s_cbranch_vccz .LBB150_2495
; %bb.2494:
	global_load_ubyte v3, v[0:1], off
	s_mov_b32 s10, 0x7f800000
	s_waitcnt vmcnt(0)
	v_lshlrev_b32_e32 v3, 24, v3
	v_and_b32_e32 v5, 0x7f000000, v3
	v_ffbh_u32_e32 v6, v5
	v_min_u32_e32 v6, 32, v6
	v_sub_u32_e64 v6, v6, 4 clamp
	v_lshlrev_b32_e32 v8, v6, v5
	v_lshlrev_b32_e32 v6, 23, v6
	v_lshrrev_b32_e32 v8, 4, v8
	v_add_u32_e32 v7, 0x1000000, v5
	v_sub_u32_e32 v6, v8, v6
	v_ashrrev_i32_e32 v7, 8, v7
	v_add_u32_e32 v6, 0x3c000000, v6
	v_and_or_b32 v6, v7, s10, v6
	v_cmp_ne_u32_e32 vcc, 0, v5
	v_cndmask_b32_e32 v5, 0, v6, vcc
	s_brev_b32 s10, 1
	v_and_or_b32 v3, v3, s10, v5
	v_cvt_f16_f32_e32 v3, v3
.LBB150_2495:
	s_mov_b64 s[10:11], 0
.LBB150_2496:
	s_andn2_b64 vcc, exec, s[10:11]
	s_cbranch_vccnz .LBB150_2498
; %bb.2497:
	global_load_ubyte v3, v[0:1], off
	s_movk_i32 s10, 0x7f00
	s_brev_b32 s11, 16
	s_waitcnt vmcnt(0)
	v_lshlrev_b16_e32 v5, 8, v3
	v_lshlrev_b32_e32 v3, 25, v3
	v_lshrrev_b32_e32 v6, 4, v3
	v_and_or_b32 v7, v5, s10, 0.5
	v_or_b32_e32 v6, 0x70000000, v6
	v_add_f32_e32 v7, -0.5, v7
	v_mul_f32_e32 v6, 0x7800000, v6
	v_cmp_gt_u32_e32 vcc, s11, v3
	v_bfe_i32 v5, v5, 0, 16
	v_cndmask_b32_e32 v3, v6, v7, vcc
	s_brev_b32 s10, 1
	v_and_or_b32 v3, v5, s10, v3
	v_cvt_f16_f32_e32 v3, v3
.LBB150_2498:
	s_mov_b64 s[10:11], 0
	s_mov_b64 s[24:25], -1
.LBB150_2499:
	s_andn2_b64 vcc, exec, s[10:11]
	s_mov_b64 s[10:11], 0
	s_cbranch_vccnz .LBB150_2522
; %bb.2500:
	s_cmp_gt_i32 s13, 14
	s_cbranch_scc0 .LBB150_2503
; %bb.2501:
	s_cmp_eq_u32 s13, 15
	s_cbranch_scc0 .LBB150_2518
; %bb.2502:
	global_load_ushort v3, v[0:1], off
	s_mov_b64 s[0:1], 0
	s_mov_b64 s[24:25], -1
	s_waitcnt vmcnt(0)
	v_lshlrev_b32_e32 v3, 16, v3
	v_cvt_f16_f32_e32 v3, v3
	s_branch .LBB150_2519
.LBB150_2503:
	s_mov_b64 s[26:27], -1
                                        ; implicit-def: $vgpr3
	s_branch .LBB150_2520
.LBB150_2504:
	s_or_saveexec_b64 s[24:25], s[24:25]
	v_mov_b32_e32 v3, 0x7e00
	s_xor_b64 exec, exec, s[24:25]
	s_cbranch_execz .LBB150_2472
.LBB150_2505:
	v_cmp_ne_u16_e32 vcc, 0, v5
	s_andn2_b64 s[10:11], s[10:11], exec
	s_and_b64 s[26:27], vcc, exec
	s_or_b64 s[10:11], s[10:11], s[26:27]
	v_mov_b32_e32 v3, v5
	s_or_b64 exec, exec, s[24:25]
	s_and_saveexec_b64 s[24:25], s[10:11]
	s_cbranch_execnz .LBB150_2473
	s_branch .LBB150_2474
.LBB150_2506:
	s_mov_b64 s[0:1], -1
                                        ; implicit-def: $vgpr5
                                        ; implicit-def: $vgpr3
.LBB150_2507:
	s_andn2_b64 vcc, exec, s[0:1]
	s_cbranch_vccnz .LBB150_2509
; %bb.2508:
	global_load_dwordx2 v[5:6], v[0:1], off
	s_waitcnt vmcnt(0)
	v_cvt_f16_f32_e32 v3, v5
	v_cvt_f16_f32_e32 v5, v6
.LBB150_2509:
	s_mov_b64 s[0:1], 0
.LBB150_2510:
	s_andn2_b64 vcc, exec, s[0:1]
	s_cbranch_vccnz .LBB150_2512
; %bb.2511:
	global_load_dword v3, v[0:1], off
	s_waitcnt vmcnt(0)
	v_lshrrev_b32_e32 v5, 16, v3
.LBB150_2512:
	s_mov_b64 s[0:1], 0
.LBB150_2513:
	s_andn2_b64 vcc, exec, s[0:1]
	s_cbranch_vccnz .LBB150_2531
; %bb.2514:
	s_cmp_lt_i32 s10, 6
	s_cbranch_scc1 .LBB150_2517
; %bb.2515:
	s_cmp_gt_i32 s10, 6
	s_cbranch_scc0 .LBB150_2524
; %bb.2516:
	global_load_dwordx2 v[5:6], v[0:1], off
	s_movk_i32 s0, 0x1ff
	s_movk_i32 s1, 0xffe
	v_mov_b32_e32 v3, 0x7c00
	s_waitcnt vmcnt(1)
	v_mov_b32_e32 v7, 0x7e00
	s_movk_i32 s11, 0x40f
	s_mov_b32 s13, 0x8000
	s_waitcnt vmcnt(0)
	v_and_or_b32 v5, v6, s0, v5
	v_cmp_ne_u32_e32 vcc, 0, v5
	v_lshrrev_b32_e32 v8, 8, v6
	v_bfe_u32 v9, v6, 20, 11
	v_cndmask_b32_e64 v5, 0, 1, vcc
	v_sub_u32_e32 v10, 0x3f1, v9
	v_and_or_b32 v5, v8, s1, v5
	v_add_u32_e32 v9, 0xfffffc10, v9
	v_med3_i32 v8, v10, 0, 13
	v_or_b32_e32 v10, 0x1000, v5
	v_cmp_ne_u32_e32 vcc, 0, v5
	v_lshl_or_b32 v11, v9, 12, v5
	v_cndmask_b32_e32 v5, v3, v7, vcc
	v_lshrrev_b32_e32 v7, v8, v10
	v_lshlrev_b32_e32 v8, v8, v7
	v_cmp_ne_u32_e32 vcc, v8, v10
	v_cndmask_b32_e64 v8, 0, 1, vcc
	v_or_b32_e32 v7, v7, v8
	v_cmp_gt_i32_e32 vcc, 1, v9
	v_cndmask_b32_e32 v7, v11, v7, vcc
	v_and_b32_e32 v8, 7, v7
	v_cmp_lt_i32_e32 vcc, 5, v8
	v_cndmask_b32_e64 v10, 0, 1, vcc
	v_cmp_eq_u32_e32 vcc, 3, v8
	v_cndmask_b32_e64 v8, 0, 1, vcc
	v_lshrrev_b32_e32 v7, 2, v7
	v_or_b32_e32 v8, v8, v10
	v_add_u32_e32 v7, v7, v8
	v_cmp_gt_i32_e32 vcc, 31, v9
	v_cndmask_b32_e32 v3, v3, v7, vcc
	v_cmp_eq_u32_e32 vcc, s11, v9
	v_lshrrev_b32_e32 v6, 16, v6
	v_cndmask_b32_e32 v3, v3, v5, vcc
	v_and_or_b32 v3, v6, s13, v3
	s_mov_b64 s[0:1], 0
	s_branch .LBB150_2525
.LBB150_2517:
	s_mov_b64 s[0:1], -1
                                        ; implicit-def: $vgpr3
	s_branch .LBB150_2528
.LBB150_2518:
	s_mov_b64 s[0:1], -1
                                        ; implicit-def: $vgpr3
.LBB150_2519:
	s_mov_b64 s[26:27], 0
.LBB150_2520:
	s_and_b64 vcc, exec, s[26:27]
	s_cbranch_vccz .LBB150_2522
; %bb.2521:
	s_cmp_lg_u32 s13, 11
	s_mov_b64 s[10:11], -1
	s_cselect_b64 s[0:1], -1, 0
.LBB150_2522:
	s_waitcnt vmcnt(0)
	v_mov_b32_e32 v5, 0
	s_and_b64 vcc, exec, s[0:1]
	s_cbranch_vccz .LBB150_2476
.LBB150_2523:
	s_trap 2
	s_or_b64 s[18:19], s[18:19], exec
	s_cbranch_execz .LBB150_2477
	s_branch .LBB150_2478
.LBB150_2524:
	s_mov_b64 s[0:1], -1
                                        ; implicit-def: $vgpr3
.LBB150_2525:
	s_andn2_b64 vcc, exec, s[0:1]
	s_cbranch_vccnz .LBB150_2527
; %bb.2526:
	global_load_dword v3, v[0:1], off
	s_waitcnt vmcnt(0)
	v_cvt_f16_f32_e32 v3, v3
.LBB150_2527:
	s_mov_b64 s[0:1], 0
.LBB150_2528:
	s_andn2_b64 vcc, exec, s[0:1]
	s_cbranch_vccnz .LBB150_2530
; %bb.2529:
	global_load_ushort v3, v[0:1], off
.LBB150_2530:
	s_waitcnt vmcnt(0)
	v_mov_b32_e32 v5, 0
.LBB150_2531:
	s_mov_b64 s[0:1], 0
.LBB150_2532:
	s_andn2_b64 vcc, exec, s[0:1]
	s_cbranch_vccnz .LBB150_2553
; %bb.2533:
	s_cmp_lt_i32 s10, 2
	s_cbranch_scc1 .LBB150_2537
; %bb.2534:
	s_cmp_lt_i32 s10, 3
	s_cbranch_scc1 .LBB150_2538
; %bb.2535:
	s_cmp_gt_i32 s10, 3
	s_cbranch_scc0 .LBB150_2539
; %bb.2536:
	global_load_dwordx2 v[5:6], v[0:1], off
	s_mov_b64 s[0:1], 0
	s_waitcnt vmcnt(0)
	v_xor_b32_e32 v7, v5, v6
	v_ffbh_i32_e32 v3, v6
	v_ashrrev_i32_e32 v7, 31, v7
	v_add_u32_e32 v3, -1, v3
	v_add_u32_e32 v7, 32, v7
	v_min_u32_e32 v3, v3, v7
	v_lshlrev_b64 v[5:6], v3, v[5:6]
	v_sub_u32_e32 v3, 32, v3
	v_min_u32_e32 v5, 1, v5
	v_or_b32_e32 v5, v6, v5
	v_cvt_f32_i32_e32 v5, v5
	v_ldexp_f32 v3, v5, v3
	v_cvt_f16_f32_e32 v3, v3
	s_branch .LBB150_2540
.LBB150_2537:
	s_mov_b64 s[0:1], -1
                                        ; implicit-def: $vgpr3
	s_branch .LBB150_2546
.LBB150_2538:
	s_mov_b64 s[0:1], -1
                                        ; implicit-def: $vgpr3
	s_branch .LBB150_2543
.LBB150_2539:
	s_mov_b64 s[0:1], -1
                                        ; implicit-def: $vgpr3
.LBB150_2540:
	s_andn2_b64 vcc, exec, s[0:1]
	s_cbranch_vccnz .LBB150_2542
; %bb.2541:
	global_load_dword v3, v[0:1], off
	s_waitcnt vmcnt(0)
	v_cvt_f32_i32_e32 v3, v3
	v_cvt_f16_f32_e32 v3, v3
.LBB150_2542:
	s_mov_b64 s[0:1], 0
.LBB150_2543:
	s_andn2_b64 vcc, exec, s[0:1]
	s_cbranch_vccnz .LBB150_2545
; %bb.2544:
	global_load_ushort v3, v[0:1], off
	s_waitcnt vmcnt(0)
	v_cvt_f16_i16_e32 v3, v3
.LBB150_2545:
	s_mov_b64 s[0:1], 0
.LBB150_2546:
	s_andn2_b64 vcc, exec, s[0:1]
	s_cbranch_vccnz .LBB150_2552
; %bb.2547:
	s_cmp_gt_i32 s10, 0
	s_cbranch_scc0 .LBB150_2549
; %bb.2548:
	global_load_sbyte v3, v[0:1], off
	s_mov_b64 s[0:1], 0
	s_waitcnt vmcnt(0)
	v_cvt_f16_i16_e32 v3, v3
	s_branch .LBB150_2550
.LBB150_2549:
	s_mov_b64 s[0:1], -1
                                        ; implicit-def: $vgpr3
.LBB150_2550:
	s_andn2_b64 vcc, exec, s[0:1]
	s_cbranch_vccnz .LBB150_2552
; %bb.2551:
	global_load_ubyte v0, v[0:1], off
	s_waitcnt vmcnt(0)
	v_cvt_f16_u16_e32 v3, v0
.LBB150_2552:
	s_waitcnt vmcnt(0)
	v_mov_b32_e32 v5, 0
.LBB150_2553:
	s_mov_b64 s[24:25], -1
.LBB150_2554:
	s_andn2_b64 vcc, exec, s[24:25]
	s_cbranch_vccnz .LBB150_2692
; %bb.2555:
	v_add_u32_e32 v0, s34, v4
	v_ashrrev_i32_e32 v1, 31, v0
	v_mov_b32_e32 v4, s3
	v_add_co_u32_e32 v0, vcc, s2, v0
	s_cmp_lt_i32 s31, 11
	v_addc_co_u32_e32 v1, vcc, v4, v1, vcc
	s_cbranch_scc1 .LBB150_2562
; %bb.2556:
	s_and_b32 s13, 0xffff, s31
	s_cmp_gt_i32 s13, 25
	s_mov_b64 s[2:3], 0
	s_cbranch_scc0 .LBB150_2563
; %bb.2557:
	s_cmp_gt_i32 s13, 28
	s_cbranch_scc0 .LBB150_2564
; %bb.2558:
	s_cmp_gt_i32 s13, 43
	;; [unrolled: 3-line block ×3, first 2 shown]
	s_cbranch_scc0 .LBB150_2566
; %bb.2560:
	s_cmp_eq_u32 s13, 46
	s_mov_b64 s[24:25], 0
	s_cbranch_scc0 .LBB150_2567
; %bb.2561:
	global_load_dword v4, v[0:1], off
	s_mov_b64 s[0:1], 0
	s_mov_b64 s[10:11], -1
	s_waitcnt vmcnt(0)
	v_and_b32_e32 v6, 0xffff0000, v4
	v_lshlrev_b32_e32 v4, 16, v4
	v_cvt_f16_f32_e32 v4, v4
	v_cvt_f16_f32_e32 v6, v6
	s_branch .LBB150_2568
.LBB150_2562:
	s_mov_b64 s[0:1], -1
	s_mov_b64 s[10:11], 0
                                        ; implicit-def: $vgpr6
                                        ; implicit-def: $vgpr4
	s_branch .LBB150_2614
.LBB150_2563:
	s_mov_b64 s[24:25], -1
	s_mov_b64 s[10:11], 0
	s_mov_b64 s[0:1], 0
                                        ; implicit-def: $vgpr6
                                        ; implicit-def: $vgpr4
	s_branch .LBB150_2599
.LBB150_2564:
	s_mov_b64 s[24:25], -1
	s_mov_b64 s[10:11], 0
	s_mov_b64 s[0:1], 0
                                        ; implicit-def: $vgpr6
                                        ; implicit-def: $vgpr4
	s_branch .LBB150_2580
.LBB150_2565:
	s_mov_b64 s[24:25], -1
	s_mov_b64 s[10:11], 0
	s_mov_b64 s[0:1], 0
                                        ; implicit-def: $vgpr6
                                        ; implicit-def: $vgpr4
	s_branch .LBB150_2574
.LBB150_2566:
	s_mov_b64 s[24:25], -1
	s_mov_b64 s[10:11], 0
	s_mov_b64 s[0:1], 0
                                        ; implicit-def: $vgpr6
                                        ; implicit-def: $vgpr4
	s_branch .LBB150_2568
.LBB150_2567:
	s_mov_b64 s[0:1], -1
                                        ; implicit-def: $vgpr6
                                        ; implicit-def: $vgpr4
	s_mov_b64 s[10:11], 0
.LBB150_2568:
	s_and_b64 vcc, exec, s[24:25]
	s_cbranch_vccz .LBB150_2573
; %bb.2569:
	s_cmp_eq_u32 s13, 44
	s_cbranch_scc0 .LBB150_2571
; %bb.2570:
	global_load_ubyte v4, v[0:1], off
	s_movk_i32 s10, 0xff
	s_waitcnt vmcnt(1)
	v_mov_b32_e32 v7, 0x7e00
	s_mov_b64 s[0:1], 0
	s_waitcnt vmcnt(0)
	v_lshlrev_b32_e32 v6, 23, v4
	v_cvt_f16_f32_e32 v6, v6
	v_cmp_ne_u32_e32 vcc, s10, v4
	s_mov_b64 s[10:11], -1
	v_cndmask_b32_e32 v6, v7, v6, vcc
	v_cmp_ne_u32_e32 vcc, 0, v4
	v_cndmask_b32_e32 v4, 0, v6, vcc
	s_branch .LBB150_2572
.LBB150_2571:
	s_mov_b64 s[0:1], -1
                                        ; implicit-def: $vgpr4
.LBB150_2572:
	v_mov_b32_e32 v6, 0
.LBB150_2573:
	s_mov_b64 s[24:25], 0
.LBB150_2574:
	s_and_b64 vcc, exec, s[24:25]
	s_cbranch_vccz .LBB150_2579
; %bb.2575:
	s_cmp_eq_u32 s13, 29
	s_cbranch_scc0 .LBB150_2577
; %bb.2576:
	global_load_dwordx2 v[6:7], v[0:1], off
	s_mov_b64 s[0:1], 0
	s_mov_b64 s[10:11], -1
	s_waitcnt vmcnt(0)
	v_ffbh_u32_e32 v4, v7
	v_min_u32_e32 v4, 32, v4
	v_lshlrev_b64 v[6:7], v4, v[6:7]
	v_sub_u32_e32 v4, 32, v4
	v_min_u32_e32 v6, 1, v6
	v_or_b32_e32 v6, v7, v6
	v_cvt_f32_u32_e32 v6, v6
	v_ldexp_f32 v4, v6, v4
	v_cvt_f16_f32_e32 v4, v4
	s_branch .LBB150_2578
.LBB150_2577:
	s_mov_b64 s[0:1], -1
                                        ; implicit-def: $vgpr4
.LBB150_2578:
	v_mov_b32_e32 v6, 0
.LBB150_2579:
	s_mov_b64 s[24:25], 0
.LBB150_2580:
	s_and_b64 vcc, exec, s[24:25]
	s_cbranch_vccz .LBB150_2598
; %bb.2581:
	s_cmp_lt_i32 s13, 27
	s_cbranch_scc1 .LBB150_2584
; %bb.2582:
	s_cmp_gt_i32 s13, 27
	s_cbranch_scc0 .LBB150_2585
; %bb.2583:
	global_load_dword v4, v[0:1], off
	s_mov_b64 s[10:11], 0
	s_waitcnt vmcnt(0)
	v_cvt_f32_u32_e32 v4, v4
	v_cvt_f16_f32_e32 v4, v4
	s_branch .LBB150_2586
.LBB150_2584:
	s_mov_b64 s[10:11], -1
                                        ; implicit-def: $vgpr4
	s_branch .LBB150_2589
.LBB150_2585:
	s_mov_b64 s[10:11], -1
                                        ; implicit-def: $vgpr4
.LBB150_2586:
	s_andn2_b64 vcc, exec, s[10:11]
	s_cbranch_vccnz .LBB150_2588
; %bb.2587:
	global_load_ushort v4, v[0:1], off
	s_waitcnt vmcnt(0)
	v_cvt_f16_u16_e32 v4, v4
.LBB150_2588:
	s_mov_b64 s[10:11], 0
.LBB150_2589:
	s_andn2_b64 vcc, exec, s[10:11]
	s_cbranch_vccnz .LBB150_2597
; %bb.2590:
	global_load_ubyte v6, v[0:1], off
	s_movk_i32 s10, 0x7f
	s_waitcnt vmcnt(0)
	v_cmp_lt_i16_e32 vcc, s10, v6
	s_mov_b64 s[10:11], 0
	s_and_saveexec_b64 s[24:25], vcc
	s_xor_b64 s[24:25], exec, s[24:25]
	s_cbranch_execz .LBB150_2623
; %bb.2591:
	s_movk_i32 s10, 0x80
	v_cmp_eq_u16_e32 vcc, s10, v6
	s_mov_b64 s[10:11], -1
	s_and_saveexec_b64 s[26:27], vcc
; %bb.2592:
	s_xor_b64 s[10:11], exec, -1
; %bb.2593:
	s_or_b64 exec, exec, s[26:27]
	s_and_b64 s[10:11], s[10:11], exec
	s_or_saveexec_b64 s[24:25], s[24:25]
	v_mov_b32_e32 v4, 0x7e00
	s_xor_b64 exec, exec, s[24:25]
	s_cbranch_execnz .LBB150_2624
.LBB150_2594:
	s_or_b64 exec, exec, s[24:25]
	s_and_saveexec_b64 s[24:25], s[10:11]
	s_cbranch_execz .LBB150_2596
.LBB150_2595:
	v_lshlrev_b32_e32 v4, 24, v6
	v_and_b32_e32 v6, 0xffff, v6
	v_and_b32_e32 v7, 7, v6
	v_ffbh_u32_e32 v9, v7
	v_min_u32_e32 v9, 32, v9
	v_subrev_u32_e32 v10, 28, v9
	v_bfe_u32 v8, v6, 3, 4
	v_lshlrev_b32_e32 v6, v10, v6
	v_sub_u32_e32 v9, 29, v9
	v_and_b32_e32 v6, 7, v6
	v_cmp_eq_u32_e32 vcc, 0, v8
	v_cndmask_b32_e32 v8, v8, v9, vcc
	v_cndmask_b32_e32 v6, v7, v6, vcc
	v_mov_b32_e32 v7, 0x3b800000
	v_lshlrev_b32_e32 v6, 20, v6
	v_and_b32_e32 v4, 0x80000000, v4
	v_lshl_add_u32 v7, v8, 23, v7
	v_or3_b32 v4, v4, v7, v6
	v_cvt_f16_f32_e32 v4, v4
.LBB150_2596:
	s_or_b64 exec, exec, s[24:25]
.LBB150_2597:
	s_mov_b64 s[10:11], -1
	v_mov_b32_e32 v6, 0
.LBB150_2598:
	s_mov_b64 s[24:25], 0
.LBB150_2599:
	s_and_b64 vcc, exec, s[24:25]
	s_cbranch_vccz .LBB150_2610
; %bb.2600:
	s_cmp_gt_i32 s13, 22
	s_cbranch_scc0 .LBB150_2621
; %bb.2601:
	s_cmp_lt_i32 s13, 24
	s_cbranch_scc1 .LBB150_2625
; %bb.2602:
	s_cmp_gt_i32 s13, 24
	s_cbranch_scc0 .LBB150_2627
; %bb.2603:
	global_load_ubyte v6, v[0:1], off
	s_movk_i32 s2, 0x7f
	s_waitcnt vmcnt(0)
	v_cmp_lt_i16_e32 vcc, s2, v6
	s_mov_b64 s[2:3], 0
	s_and_saveexec_b64 s[10:11], vcc
	s_xor_b64 s[10:11], exec, s[10:11]
	s_cbranch_execz .LBB150_2639
; %bb.2604:
	s_movk_i32 s2, 0x80
	v_cmp_eq_u16_e32 vcc, s2, v6
	s_mov_b64 s[2:3], -1
	s_and_saveexec_b64 s[24:25], vcc
; %bb.2605:
	s_xor_b64 s[2:3], exec, -1
; %bb.2606:
	s_or_b64 exec, exec, s[24:25]
	s_and_b64 s[2:3], s[2:3], exec
	s_or_saveexec_b64 s[10:11], s[10:11]
	v_mov_b32_e32 v4, 0x7e00
	s_xor_b64 exec, exec, s[10:11]
	s_cbranch_execnz .LBB150_2640
.LBB150_2607:
	s_or_b64 exec, exec, s[10:11]
	s_and_saveexec_b64 s[10:11], s[2:3]
	s_cbranch_execz .LBB150_2609
.LBB150_2608:
	v_lshlrev_b32_e32 v4, 24, v6
	v_and_b32_e32 v6, 0xffff, v6
	v_and_b32_e32 v7, 3, v6
	v_ffbh_u32_e32 v9, v7
	v_min_u32_e32 v9, 32, v9
	v_subrev_u32_e32 v10, 29, v9
	v_bfe_u32 v8, v6, 2, 5
	v_lshlrev_b32_e32 v6, v10, v6
	v_sub_u32_e32 v9, 30, v9
	v_and_b32_e32 v6, 3, v6
	v_cmp_eq_u32_e32 vcc, 0, v8
	v_cndmask_b32_e32 v8, v8, v9, vcc
	v_cndmask_b32_e32 v6, v7, v6, vcc
	v_mov_b32_e32 v7, 0x37800000
	v_lshlrev_b32_e32 v6, 21, v6
	v_and_b32_e32 v4, 0x80000000, v4
	v_lshl_add_u32 v7, v8, 23, v7
	v_or3_b32 v4, v4, v7, v6
	v_cvt_f16_f32_e32 v4, v4
.LBB150_2609:
	s_or_b64 exec, exec, s[10:11]
	s_mov_b64 s[2:3], 0
	s_branch .LBB150_2628
.LBB150_2610:
	s_and_b64 vcc, exec, s[0:1]
	s_cbranch_vccnz .LBB150_2658
.LBB150_2611:
	s_andn2_b64 vcc, exec, s[2:3]
	s_cbranch_vccnz .LBB150_2613
.LBB150_2612:
	global_load_ubyte v4, v[0:1], off
	s_waitcnt vmcnt(1)
	v_mov_b32_e32 v7, 0x3c00
	v_mov_b32_e32 v6, 0
	s_mov_b64 s[10:11], -1
	s_waitcnt vmcnt(0)
	v_cmp_ne_u16_e32 vcc, 0, v4
	v_cndmask_b32_e32 v4, 0, v7, vcc
.LBB150_2613:
	s_mov_b64 s[0:1], 0
.LBB150_2614:
	s_and_b64 vcc, exec, s[0:1]
	s_cbranch_vccz .LBB150_2689
; %bb.2615:
	s_and_b32 s2, 0xffff, s31
	s_cmp_lt_i32 s2, 5
	s_cbranch_scc1 .LBB150_2620
; %bb.2616:
	s_cmp_lt_i32 s2, 8
	s_cbranch_scc1 .LBB150_2622
; %bb.2617:
	;; [unrolled: 3-line block ×3, first 2 shown]
	s_cmp_gt_i32 s2, 9
	s_cbranch_scc0 .LBB150_2641
; %bb.2619:
	global_load_dwordx4 v[6:9], v[0:1], off
	s_movk_i32 s0, 0x1ff
	s_movk_i32 s1, 0xffe
	v_mov_b32_e32 v4, 0x7c00
	v_mov_b32_e32 v10, 0x7e00
	s_movk_i32 s3, 0x40f
	s_mov_b32 s10, 0x8000
	s_waitcnt vmcnt(0)
	v_and_or_b32 v6, v7, s0, v6
	v_and_or_b32 v8, v9, s0, v8
	v_cmp_ne_u32_e32 vcc, 0, v6
	v_lshrrev_b32_e32 v11, 8, v7
	v_cndmask_b32_e64 v6, 0, 1, vcc
	v_cmp_ne_u32_e32 vcc, 0, v8
	v_bfe_u32 v12, v7, 20, 11
	v_lshrrev_b32_e32 v13, 8, v9
	v_bfe_u32 v14, v9, 20, 11
	v_cndmask_b32_e64 v8, 0, 1, vcc
	v_and_or_b32 v6, v11, s1, v6
	v_sub_u32_e32 v15, 0x3f1, v12
	v_add_u32_e32 v12, 0xfffffc10, v12
	v_sub_u32_e32 v16, 0x3f1, v14
	v_and_or_b32 v8, v13, s1, v8
	v_cmp_ne_u32_e32 vcc, 0, v6
	v_add_u32_e32 v14, 0xfffffc10, v14
	v_med3_i32 v11, v15, 0, 13
	v_med3_i32 v13, v16, 0, 13
	v_or_b32_e32 v15, 0x1000, v6
	v_lshl_or_b32 v16, v12, 12, v6
	v_cndmask_b32_e32 v6, v4, v10, vcc
	v_cmp_ne_u32_e32 vcc, 0, v8
	v_or_b32_e32 v17, 0x1000, v8
	v_lshl_or_b32 v18, v14, 12, v8
	v_cndmask_b32_e32 v8, v4, v10, vcc
	v_lshrrev_b32_e32 v10, v11, v15
	v_lshrrev_b32_e32 v19, v13, v17
	v_lshlrev_b32_e32 v11, v11, v10
	v_lshlrev_b32_e32 v13, v13, v19
	v_cmp_ne_u32_e32 vcc, v11, v15
	v_cndmask_b32_e64 v11, 0, 1, vcc
	v_cmp_ne_u32_e32 vcc, v13, v17
	v_cndmask_b32_e64 v13, 0, 1, vcc
	v_or_b32_e32 v10, v10, v11
	v_cmp_gt_i32_e32 vcc, 1, v12
	v_cndmask_b32_e32 v10, v16, v10, vcc
	v_or_b32_e32 v11, v19, v13
	v_cmp_gt_i32_e32 vcc, 1, v14
	v_and_b32_e32 v13, 7, v10
	v_cndmask_b32_e32 v11, v18, v11, vcc
	v_cmp_lt_i32_e32 vcc, 5, v13
	v_and_b32_e32 v15, 7, v11
	v_cndmask_b32_e64 v16, 0, 1, vcc
	v_cmp_eq_u32_e32 vcc, 3, v13
	v_cndmask_b32_e64 v13, 0, 1, vcc
	v_cmp_lt_i32_e32 vcc, 5, v15
	v_cndmask_b32_e64 v17, 0, 1, vcc
	v_cmp_eq_u32_e32 vcc, 3, v15
	v_lshrrev_b32_e32 v10, 2, v10
	v_cndmask_b32_e64 v15, 0, 1, vcc
	v_or_b32_e32 v13, v13, v16
	v_lshrrev_b32_e32 v11, 2, v11
	v_or_b32_e32 v15, v15, v17
	v_add_u32_e32 v10, v10, v13
	v_cmp_gt_i32_e32 vcc, 31, v12
	v_add_u32_e32 v11, v11, v15
	v_cndmask_b32_e32 v10, v4, v10, vcc
	v_cmp_gt_i32_e32 vcc, 31, v14
	v_cndmask_b32_e32 v4, v4, v11, vcc
	v_cmp_eq_u32_e32 vcc, s3, v12
	v_cndmask_b32_e32 v6, v10, v6, vcc
	v_cmp_eq_u32_e32 vcc, s3, v14
	v_lshrrev_b32_e32 v7, 16, v7
	v_lshrrev_b32_e32 v9, 16, v9
	v_cndmask_b32_e32 v8, v4, v8, vcc
	v_and_or_b32 v4, v7, s10, v6
	v_and_or_b32 v6, v9, s10, v8
	s_mov_b64 s[0:1], 0
	s_branch .LBB150_2642
.LBB150_2620:
	s_mov_b64 s[0:1], -1
                                        ; implicit-def: $vgpr6
                                        ; implicit-def: $vgpr4
	s_branch .LBB150_2667
.LBB150_2621:
	s_mov_b64 s[2:3], -1
                                        ; implicit-def: $vgpr4
	s_branch .LBB150_2634
.LBB150_2622:
	s_mov_b64 s[0:1], -1
                                        ; implicit-def: $vgpr6
                                        ; implicit-def: $vgpr4
	s_branch .LBB150_2648
.LBB150_2623:
	s_or_saveexec_b64 s[24:25], s[24:25]
	v_mov_b32_e32 v4, 0x7e00
	s_xor_b64 exec, exec, s[24:25]
	s_cbranch_execz .LBB150_2594
.LBB150_2624:
	v_cmp_ne_u16_e32 vcc, 0, v6
	s_andn2_b64 s[10:11], s[10:11], exec
	s_and_b64 s[26:27], vcc, exec
	s_or_b64 s[10:11], s[10:11], s[26:27]
	v_mov_b32_e32 v4, v6
	s_or_b64 exec, exec, s[24:25]
	s_and_saveexec_b64 s[24:25], s[10:11]
	s_cbranch_execnz .LBB150_2595
	s_branch .LBB150_2596
.LBB150_2625:
	s_mov_b64 s[2:3], -1
                                        ; implicit-def: $vgpr4
	s_branch .LBB150_2631
.LBB150_2626:
	s_mov_b64 s[0:1], -1
                                        ; implicit-def: $vgpr6
                                        ; implicit-def: $vgpr4
	s_branch .LBB150_2645
.LBB150_2627:
	s_mov_b64 s[2:3], -1
                                        ; implicit-def: $vgpr4
.LBB150_2628:
	s_and_b64 vcc, exec, s[2:3]
	s_cbranch_vccz .LBB150_2630
; %bb.2629:
	global_load_ubyte v4, v[0:1], off
	s_mov_b32 s2, 0x7f800000
	s_waitcnt vmcnt(0)
	v_lshlrev_b32_e32 v4, 24, v4
	v_and_b32_e32 v6, 0x7f000000, v4
	v_ffbh_u32_e32 v7, v6
	v_min_u32_e32 v7, 32, v7
	v_sub_u32_e64 v7, v7, 4 clamp
	v_lshlrev_b32_e32 v9, v7, v6
	v_lshlrev_b32_e32 v7, 23, v7
	v_lshrrev_b32_e32 v9, 4, v9
	v_add_u32_e32 v8, 0x1000000, v6
	v_sub_u32_e32 v7, v9, v7
	v_ashrrev_i32_e32 v8, 8, v8
	v_add_u32_e32 v7, 0x3c000000, v7
	v_and_or_b32 v7, v8, s2, v7
	v_cmp_ne_u32_e32 vcc, 0, v6
	v_cndmask_b32_e32 v6, 0, v7, vcc
	s_brev_b32 s2, 1
	v_and_or_b32 v4, v4, s2, v6
	v_cvt_f16_f32_e32 v4, v4
.LBB150_2630:
	s_mov_b64 s[2:3], 0
.LBB150_2631:
	s_andn2_b64 vcc, exec, s[2:3]
	s_cbranch_vccnz .LBB150_2633
; %bb.2632:
	global_load_ubyte v4, v[0:1], off
	s_movk_i32 s2, 0x7f00
	s_brev_b32 s3, 16
	s_waitcnt vmcnt(0)
	v_lshlrev_b16_e32 v6, 8, v4
	v_lshlrev_b32_e32 v4, 25, v4
	v_lshrrev_b32_e32 v7, 4, v4
	v_and_or_b32 v8, v6, s2, 0.5
	v_or_b32_e32 v7, 0x70000000, v7
	v_add_f32_e32 v8, -0.5, v8
	v_mul_f32_e32 v7, 0x7800000, v7
	v_cmp_gt_u32_e32 vcc, s3, v4
	v_bfe_i32 v6, v6, 0, 16
	v_cndmask_b32_e32 v4, v7, v8, vcc
	s_brev_b32 s2, 1
	v_and_or_b32 v4, v6, s2, v4
	v_cvt_f16_f32_e32 v4, v4
.LBB150_2633:
	s_mov_b64 s[2:3], 0
	s_mov_b64 s[10:11], -1
.LBB150_2634:
	s_andn2_b64 vcc, exec, s[2:3]
	s_mov_b64 s[2:3], 0
	s_cbranch_vccnz .LBB150_2657
; %bb.2635:
	s_cmp_gt_i32 s13, 14
	s_cbranch_scc0 .LBB150_2638
; %bb.2636:
	s_cmp_eq_u32 s13, 15
	s_cbranch_scc0 .LBB150_2653
; %bb.2637:
	global_load_ushort v4, v[0:1], off
	s_mov_b64 s[0:1], 0
	s_mov_b64 s[10:11], -1
	s_waitcnt vmcnt(0)
	v_lshlrev_b32_e32 v4, 16, v4
	v_cvt_f16_f32_e32 v4, v4
	s_branch .LBB150_2654
.LBB150_2638:
	s_mov_b64 s[24:25], -1
                                        ; implicit-def: $vgpr4
	s_branch .LBB150_2655
.LBB150_2639:
	s_or_saveexec_b64 s[10:11], s[10:11]
	v_mov_b32_e32 v4, 0x7e00
	s_xor_b64 exec, exec, s[10:11]
	s_cbranch_execz .LBB150_2607
.LBB150_2640:
	v_cmp_ne_u16_e32 vcc, 0, v6
	s_andn2_b64 s[2:3], s[2:3], exec
	s_and_b64 s[24:25], vcc, exec
	s_or_b64 s[2:3], s[2:3], s[24:25]
	v_mov_b32_e32 v4, v6
	s_or_b64 exec, exec, s[10:11]
	s_and_saveexec_b64 s[10:11], s[2:3]
	s_cbranch_execnz .LBB150_2608
	s_branch .LBB150_2609
.LBB150_2641:
	s_mov_b64 s[0:1], -1
                                        ; implicit-def: $vgpr6
                                        ; implicit-def: $vgpr4
.LBB150_2642:
	s_andn2_b64 vcc, exec, s[0:1]
	s_cbranch_vccnz .LBB150_2644
; %bb.2643:
	global_load_dwordx2 v[6:7], v[0:1], off
	s_waitcnt vmcnt(0)
	v_cvt_f16_f32_e32 v4, v6
	v_cvt_f16_f32_e32 v6, v7
.LBB150_2644:
	s_mov_b64 s[0:1], 0
.LBB150_2645:
	s_andn2_b64 vcc, exec, s[0:1]
	s_cbranch_vccnz .LBB150_2647
; %bb.2646:
	global_load_dword v4, v[0:1], off
	s_waitcnt vmcnt(0)
	v_lshrrev_b32_e32 v6, 16, v4
.LBB150_2647:
	s_mov_b64 s[0:1], 0
.LBB150_2648:
	s_andn2_b64 vcc, exec, s[0:1]
	s_cbranch_vccnz .LBB150_2666
; %bb.2649:
	s_cmp_lt_i32 s2, 6
	s_cbranch_scc1 .LBB150_2652
; %bb.2650:
	s_cmp_gt_i32 s2, 6
	s_cbranch_scc0 .LBB150_2659
; %bb.2651:
	global_load_dwordx2 v[6:7], v[0:1], off
	s_movk_i32 s0, 0x1ff
	s_movk_i32 s1, 0xffe
	v_mov_b32_e32 v4, 0x7c00
	v_mov_b32_e32 v8, 0x7e00
	s_movk_i32 s3, 0x40f
	s_mov_b32 s10, 0x8000
	s_waitcnt vmcnt(0)
	v_and_or_b32 v6, v7, s0, v6
	v_cmp_ne_u32_e32 vcc, 0, v6
	v_lshrrev_b32_e32 v9, 8, v7
	v_bfe_u32 v10, v7, 20, 11
	v_cndmask_b32_e64 v6, 0, 1, vcc
	v_sub_u32_e32 v11, 0x3f1, v10
	v_and_or_b32 v6, v9, s1, v6
	v_add_u32_e32 v10, 0xfffffc10, v10
	v_med3_i32 v9, v11, 0, 13
	v_or_b32_e32 v11, 0x1000, v6
	v_cmp_ne_u32_e32 vcc, 0, v6
	v_lshl_or_b32 v12, v10, 12, v6
	v_cndmask_b32_e32 v6, v4, v8, vcc
	v_lshrrev_b32_e32 v8, v9, v11
	v_lshlrev_b32_e32 v9, v9, v8
	v_cmp_ne_u32_e32 vcc, v9, v11
	v_cndmask_b32_e64 v9, 0, 1, vcc
	v_or_b32_e32 v8, v8, v9
	v_cmp_gt_i32_e32 vcc, 1, v10
	v_cndmask_b32_e32 v8, v12, v8, vcc
	v_and_b32_e32 v9, 7, v8
	v_cmp_lt_i32_e32 vcc, 5, v9
	v_cndmask_b32_e64 v11, 0, 1, vcc
	v_cmp_eq_u32_e32 vcc, 3, v9
	v_cndmask_b32_e64 v9, 0, 1, vcc
	v_lshrrev_b32_e32 v8, 2, v8
	v_or_b32_e32 v9, v9, v11
	v_add_u32_e32 v8, v8, v9
	v_cmp_gt_i32_e32 vcc, 31, v10
	v_cndmask_b32_e32 v4, v4, v8, vcc
	v_cmp_eq_u32_e32 vcc, s3, v10
	v_lshrrev_b32_e32 v7, 16, v7
	v_cndmask_b32_e32 v4, v4, v6, vcc
	v_and_or_b32 v4, v7, s10, v4
	s_mov_b64 s[0:1], 0
	s_branch .LBB150_2660
.LBB150_2652:
	s_mov_b64 s[0:1], -1
                                        ; implicit-def: $vgpr4
	s_branch .LBB150_2663
.LBB150_2653:
	s_mov_b64 s[0:1], -1
                                        ; implicit-def: $vgpr4
.LBB150_2654:
	s_mov_b64 s[24:25], 0
.LBB150_2655:
	s_and_b64 vcc, exec, s[24:25]
	s_cbranch_vccz .LBB150_2657
; %bb.2656:
	s_cmp_lg_u32 s13, 11
	s_mov_b64 s[2:3], -1
	s_cselect_b64 s[0:1], -1, 0
.LBB150_2657:
	v_mov_b32_e32 v6, 0
	s_and_b64 vcc, exec, s[0:1]
	s_cbranch_vccz .LBB150_2611
.LBB150_2658:
	s_trap 2
	s_or_b64 s[18:19], s[18:19], exec
	s_cbranch_execz .LBB150_2612
	s_branch .LBB150_2613
.LBB150_2659:
	s_mov_b64 s[0:1], -1
                                        ; implicit-def: $vgpr4
.LBB150_2660:
	s_andn2_b64 vcc, exec, s[0:1]
	s_cbranch_vccnz .LBB150_2662
; %bb.2661:
	global_load_dword v4, v[0:1], off
	s_waitcnt vmcnt(0)
	v_cvt_f16_f32_e32 v4, v4
.LBB150_2662:
	s_mov_b64 s[0:1], 0
.LBB150_2663:
	s_andn2_b64 vcc, exec, s[0:1]
	s_cbranch_vccnz .LBB150_2665
; %bb.2664:
	global_load_ushort v4, v[0:1], off
.LBB150_2665:
	v_mov_b32_e32 v6, 0
.LBB150_2666:
	s_mov_b64 s[0:1], 0
.LBB150_2667:
	s_andn2_b64 vcc, exec, s[0:1]
	s_cbranch_vccnz .LBB150_2688
; %bb.2668:
	s_cmp_lt_i32 s2, 2
	s_cbranch_scc1 .LBB150_2672
; %bb.2669:
	s_cmp_lt_i32 s2, 3
	s_cbranch_scc1 .LBB150_2673
; %bb.2670:
	s_cmp_gt_i32 s2, 3
	s_cbranch_scc0 .LBB150_2674
; %bb.2671:
	global_load_dwordx2 v[6:7], v[0:1], off
	s_mov_b64 s[0:1], 0
	s_waitcnt vmcnt(0)
	v_xor_b32_e32 v8, v6, v7
	v_ffbh_i32_e32 v4, v7
	v_ashrrev_i32_e32 v8, 31, v8
	v_add_u32_e32 v4, -1, v4
	v_add_u32_e32 v8, 32, v8
	v_min_u32_e32 v4, v4, v8
	v_lshlrev_b64 v[6:7], v4, v[6:7]
	v_sub_u32_e32 v4, 32, v4
	v_min_u32_e32 v6, 1, v6
	v_or_b32_e32 v6, v7, v6
	v_cvt_f32_i32_e32 v6, v6
	v_ldexp_f32 v4, v6, v4
	v_cvt_f16_f32_e32 v4, v4
	s_branch .LBB150_2675
.LBB150_2672:
	s_mov_b64 s[0:1], -1
                                        ; implicit-def: $vgpr4
	s_branch .LBB150_2681
.LBB150_2673:
	s_mov_b64 s[0:1], -1
                                        ; implicit-def: $vgpr4
	s_branch .LBB150_2678
.LBB150_2674:
	s_mov_b64 s[0:1], -1
                                        ; implicit-def: $vgpr4
.LBB150_2675:
	s_andn2_b64 vcc, exec, s[0:1]
	s_cbranch_vccnz .LBB150_2677
; %bb.2676:
	global_load_dword v4, v[0:1], off
	s_waitcnt vmcnt(0)
	v_cvt_f32_i32_e32 v4, v4
	v_cvt_f16_f32_e32 v4, v4
.LBB150_2677:
	s_mov_b64 s[0:1], 0
.LBB150_2678:
	s_andn2_b64 vcc, exec, s[0:1]
	s_cbranch_vccnz .LBB150_2680
; %bb.2679:
	global_load_ushort v4, v[0:1], off
	s_waitcnt vmcnt(0)
	v_cvt_f16_i16_e32 v4, v4
.LBB150_2680:
	s_mov_b64 s[0:1], 0
.LBB150_2681:
	s_andn2_b64 vcc, exec, s[0:1]
	s_cbranch_vccnz .LBB150_2687
; %bb.2682:
	s_cmp_gt_i32 s2, 0
	s_cbranch_scc0 .LBB150_2684
; %bb.2683:
	global_load_sbyte v4, v[0:1], off
	s_mov_b64 s[0:1], 0
	s_waitcnt vmcnt(0)
	v_cvt_f16_i16_e32 v4, v4
	s_branch .LBB150_2685
.LBB150_2684:
	s_mov_b64 s[0:1], -1
                                        ; implicit-def: $vgpr4
.LBB150_2685:
	s_andn2_b64 vcc, exec, s[0:1]
	s_cbranch_vccnz .LBB150_2687
; %bb.2686:
	global_load_ubyte v0, v[0:1], off
	s_waitcnt vmcnt(0)
	v_cvt_f16_u16_e32 v4, v0
.LBB150_2687:
	v_mov_b32_e32 v6, 0
.LBB150_2688:
	s_mov_b64 s[10:11], -1
.LBB150_2689:
	s_andn2_b64 vcc, exec, s[10:11]
	s_cbranch_vccnz .LBB150_2692
; %bb.2690:
	s_and_b64 vcc, exec, s[20:21]
	s_cbranch_vccz .LBB150_2738
; %bb.2691:
	s_waitcnt vmcnt(0)
	v_cmp_neq_f16_e32 vcc, v3, v4
	v_cmp_neq_f16_e64 s[0:1], v5, v6
	s_or_b64 s[20:21], vcc, s[0:1]
	s_mov_b64 s[0:1], 0
	s_branch .LBB150_2739
.LBB150_2692:
	s_mov_b64 s[0:1], 0
                                        ; implicit-def: $sgpr20_sgpr21
.LBB150_2693:
                                        ; implicit-def: $sgpr28
                                        ; implicit-def: $vgpr0_vgpr1
	s_mov_b64 s[2:3], 0
.LBB150_2694:
	s_and_b64 s[4:5], s[2:3], exec
	s_andn2_b64 s[2:3], s[16:17], exec
	s_and_b64 s[8:9], s[18:19], exec
	s_and_b64 s[0:1], s[0:1], exec
	s_or_b64 s[16:17], s[2:3], s[8:9]
.LBB150_2695:
	s_or_b64 exec, exec, s[6:7]
	s_and_saveexec_b64 s[2:3], s[16:17]
	s_cbranch_execz .LBB150_2698
; %bb.2696:
	; divergent unreachable
	s_or_b64 exec, exec, s[2:3]
	s_and_saveexec_b64 s[2:3], s[4:5]
	s_xor_b64 s[2:3], exec, s[2:3]
	s_cbranch_execnz .LBB150_2699
.LBB150_2697:
	s_or_b64 exec, exec, s[2:3]
	s_and_saveexec_b64 s[2:3], s[0:1]
	s_cbranch_execnz .LBB150_2700
	s_branch .LBB150_2737
.LBB150_2698:
	s_or_b64 exec, exec, s[2:3]
	s_and_saveexec_b64 s[2:3], s[4:5]
	s_xor_b64 s[2:3], exec, s[2:3]
	s_cbranch_execz .LBB150_2697
.LBB150_2699:
	v_cndmask_b32_e64 v2, 0, 1, s[20:21]
	global_store_byte v[0:1], v2, off
	s_or_b64 exec, exec, s[2:3]
	s_and_saveexec_b64 s[2:3], s[0:1]
	s_cbranch_execz .LBB150_2737
.LBB150_2700:
	s_sext_i32_i16 s2, s28
	s_cmp_lt_i32 s2, 5
	s_mov_b64 s[0:1], -1
	s_cbranch_scc1 .LBB150_2721
; %bb.2701:
	s_cmp_lt_i32 s2, 8
	s_cbranch_scc1 .LBB150_2711
; %bb.2702:
	s_cmp_lt_i32 s2, 9
	s_cbranch_scc1 .LBB150_2708
; %bb.2703:
	s_cmp_gt_i32 s2, 9
	s_cbranch_scc0 .LBB150_2705
; %bb.2704:
	v_cndmask_b32_e64 v2, 0, 1, s[20:21]
	s_waitcnt vmcnt(0)
	v_cvt_f64_u32_e32 v[2:3], v2
	v_mov_b32_e32 v4, 0
	v_mov_b32_e32 v5, v4
	s_mov_b64 s[0:1], 0
	global_store_dwordx4 v[0:1], v[2:5], off
.LBB150_2705:
	s_andn2_b64 vcc, exec, s[0:1]
	s_cbranch_vccnz .LBB150_2707
; %bb.2706:
	v_cndmask_b32_e64 v2, 0, 1.0, s[20:21]
	s_waitcnt vmcnt(0)
	v_mov_b32_e32 v3, 0
	global_store_dwordx2 v[0:1], v[2:3], off
.LBB150_2707:
	s_mov_b64 s[0:1], 0
.LBB150_2708:
	s_andn2_b64 vcc, exec, s[0:1]
	s_cbranch_vccnz .LBB150_2710
; %bb.2709:
	v_cndmask_b32_e64 v2, 0, 1.0, s[20:21]
	v_cvt_f16_f32_e32 v2, v2
	global_store_dword v[0:1], v2, off
.LBB150_2710:
	s_mov_b64 s[0:1], 0
.LBB150_2711:
	s_andn2_b64 vcc, exec, s[0:1]
	s_cbranch_vccnz .LBB150_2720
; %bb.2712:
	s_sext_i32_i16 s2, s28
	s_cmp_lt_i32 s2, 6
	s_mov_b64 s[0:1], -1
	s_cbranch_scc1 .LBB150_2718
; %bb.2713:
	s_cmp_gt_i32 s2, 6
	s_cbranch_scc0 .LBB150_2715
; %bb.2714:
	v_cndmask_b32_e64 v2, 0, 1, s[20:21]
	s_waitcnt vmcnt(0)
	v_cvt_f64_u32_e32 v[2:3], v2
	s_mov_b64 s[0:1], 0
	global_store_dwordx2 v[0:1], v[2:3], off
.LBB150_2715:
	s_andn2_b64 vcc, exec, s[0:1]
	s_cbranch_vccnz .LBB150_2717
; %bb.2716:
	v_cndmask_b32_e64 v2, 0, 1.0, s[20:21]
	global_store_dword v[0:1], v2, off
.LBB150_2717:
	s_mov_b64 s[0:1], 0
.LBB150_2718:
	s_andn2_b64 vcc, exec, s[0:1]
	s_cbranch_vccnz .LBB150_2720
; %bb.2719:
	v_cndmask_b32_e64 v2, 0, 1.0, s[20:21]
	v_cvt_f16_f32_e32 v2, v2
	global_store_short v[0:1], v2, off
.LBB150_2720:
	s_mov_b64 s[0:1], 0
.LBB150_2721:
	s_andn2_b64 vcc, exec, s[0:1]
	s_cbranch_vccnz .LBB150_2737
; %bb.2722:
	s_sext_i32_i16 s2, s28
	s_cmp_lt_i32 s2, 2
	s_mov_b64 s[0:1], -1
	s_cbranch_scc1 .LBB150_2732
; %bb.2723:
	s_cmp_lt_i32 s2, 3
	s_cbranch_scc1 .LBB150_2729
; %bb.2724:
	s_cmp_gt_i32 s2, 3
	s_cbranch_scc0 .LBB150_2726
; %bb.2725:
	s_mov_b32 s0, 0
	v_cndmask_b32_e64 v2, 0, 1, s[20:21]
	s_waitcnt vmcnt(0)
	v_mov_b32_e32 v3, s0
	global_store_dwordx2 v[0:1], v[2:3], off
	s_mov_b64 s[0:1], 0
.LBB150_2726:
	s_andn2_b64 vcc, exec, s[0:1]
	s_cbranch_vccnz .LBB150_2728
; %bb.2727:
	v_cndmask_b32_e64 v2, 0, 1, s[20:21]
	global_store_dword v[0:1], v2, off
.LBB150_2728:
	s_mov_b64 s[0:1], 0
.LBB150_2729:
	s_andn2_b64 vcc, exec, s[0:1]
	s_cbranch_vccnz .LBB150_2731
; %bb.2730:
	v_cndmask_b32_e64 v2, 0, 1, s[20:21]
	global_store_short v[0:1], v2, off
.LBB150_2731:
	s_mov_b64 s[0:1], 0
.LBB150_2732:
	s_andn2_b64 vcc, exec, s[0:1]
	s_cbranch_vccnz .LBB150_2737
; %bb.2733:
	s_sext_i32_i16 s2, s28
	s_mov_b64 s[0:1], -1
	s_cmp_gt_i32 s2, 0
	v_cndmask_b32_e64 v2, 0, 1, s[20:21]
	s_cbranch_scc0 .LBB150_2735
; %bb.2734:
	global_store_byte v[0:1], v2, off
	s_mov_b64 s[0:1], 0
.LBB150_2735:
	s_andn2_b64 vcc, exec, s[0:1]
	s_cbranch_vccnz .LBB150_2737
; %bb.2736:
	global_store_byte v[0:1], v2, off
	s_endpgm
.LBB150_2737:
	s_endpgm
.LBB150_2738:
	s_mov_b64 s[0:1], -1
                                        ; implicit-def: $sgpr20_sgpr21
.LBB150_2739:
	s_andn2_b64 vcc, exec, s[0:1]
	s_cbranch_vccnz .LBB150_2741
; %bb.2740:
	s_waitcnt vmcnt(0)
	v_cmp_eq_f16_e32 vcc, v3, v4
	v_cmp_eq_f16_e64 s[0:1], v5, v6
	s_and_b64 s[0:1], vcc, s[0:1]
	s_andn2_b64 s[2:3], s[20:21], exec
	s_and_b64 s[0:1], s[0:1], exec
	s_or_b64 s[20:21], s[2:3], s[0:1]
.LBB150_2741:
	v_mul_lo_u32 v2, s12, v2
	v_mov_b32_e32 v1, s9
	s_and_b32 s28, s33, 0xff
	s_cmp_lt_i32 s28, 11
	v_ashrrev_i32_e32 v3, 31, v2
	v_add_co_u32_e32 v0, vcc, s8, v2
	v_addc_co_u32_e32 v1, vcc, v1, v3, vcc
	s_cbranch_scc1 .LBB150_2819
; %bb.2742:
	s_and_b32 s13, 0xffff, s28
	s_mov_b64 s[24:25], -1
	s_mov_b64 s[2:3], 0
	s_cmp_gt_i32 s13, 25
	s_mov_b64 s[10:11], 0
	s_mov_b64 s[0:1], 0
	s_cbranch_scc0 .LBB150_2775
; %bb.2743:
	s_cmp_gt_i32 s13, 28
	s_cbranch_scc0 .LBB150_2758
; %bb.2744:
	s_cmp_gt_i32 s13, 43
	;; [unrolled: 3-line block ×3, first 2 shown]
	s_cbranch_scc0 .LBB150_2748
; %bb.2746:
	s_mov_b64 s[0:1], -1
	s_mov_b64 s[24:25], 0
	s_cmp_eq_u32 s13, 46
	s_cbranch_scc0 .LBB150_2748
; %bb.2747:
	v_cndmask_b32_e64 v3, 0, 1.0, s[4:5]
	s_waitcnt vmcnt(0)
	v_bfe_u32 v4, v3, 16, 1
	s_movk_i32 s0, 0x7fff
	v_add3_u32 v3, v3, v4, s0
	v_lshrrev_b32_e32 v3, 16, v3
	global_store_dword v[0:1], v3, off
	s_mov_b64 s[0:1], 0
	s_mov_b64 s[10:11], -1
.LBB150_2748:
	s_and_b64 vcc, exec, s[24:25]
	s_cbranch_vccz .LBB150_2753
; %bb.2749:
	s_cmp_eq_u32 s13, 44
	s_mov_b64 s[0:1], -1
	s_cbranch_scc0 .LBB150_2753
; %bb.2750:
	s_waitcnt vmcnt(0)
	v_cndmask_b32_e64 v4, 0, 1.0, s[4:5]
	v_lshrrev_b32_e32 v3, 23, v4
	s_movk_i32 s0, 0xff
	v_cmp_ne_u32_e32 vcc, s0, v3
	v_mov_b32_e32 v5, 0xff
	s_and_saveexec_b64 s[10:11], vcc
; %bb.2751:
	s_mov_b32 s0, 0x3fffff
	v_and_b32_e32 v5, 0x400000, v4
	v_and_or_b32 v4, v4, s0, v3
	v_cmp_ne_u32_e32 vcc, 0, v5
	v_cmp_ne_u32_e64 s[0:1], 0, v4
	s_and_b64 s[0:1], vcc, s[0:1]
	v_cndmask_b32_e64 v4, 0, 1, s[0:1]
	v_add_u32_e32 v5, v3, v4
; %bb.2752:
	s_or_b64 exec, exec, s[10:11]
	s_mov_b64 s[0:1], 0
	s_mov_b64 s[10:11], -1
	global_store_byte v[0:1], v5, off
.LBB150_2753:
	s_mov_b64 s[24:25], 0
.LBB150_2754:
	s_and_b64 vcc, exec, s[24:25]
	s_cbranch_vccz .LBB150_2757
; %bb.2755:
	s_cmp_eq_u32 s13, 29
	s_mov_b64 s[0:1], -1
	s_cbranch_scc0 .LBB150_2757
; %bb.2756:
	s_mov_b32 s0, 0
	v_cndmask_b32_e64 v3, 0, 1, s[4:5]
	s_waitcnt vmcnt(0)
	v_mov_b32_e32 v4, s0
	global_store_dwordx2 v[0:1], v[3:4], off
	s_mov_b64 s[0:1], 0
	s_mov_b64 s[10:11], -1
.LBB150_2757:
	s_mov_b64 s[24:25], 0
.LBB150_2758:
	s_and_b64 vcc, exec, s[24:25]
	s_cbranch_vccz .LBB150_2774
; %bb.2759:
	s_cmp_lt_i32 s13, 27
	s_mov_b64 s[10:11], -1
	s_cbranch_scc1 .LBB150_2765
; %bb.2760:
	s_cmp_gt_i32 s13, 27
	s_cbranch_scc0 .LBB150_2762
; %bb.2761:
	v_cndmask_b32_e64 v3, 0, 1, s[4:5]
	s_mov_b64 s[10:11], 0
	global_store_dword v[0:1], v3, off
.LBB150_2762:
	s_andn2_b64 vcc, exec, s[10:11]
	s_cbranch_vccnz .LBB150_2764
; %bb.2763:
	v_cndmask_b32_e64 v3, 0, 1, s[4:5]
	global_store_short v[0:1], v3, off
.LBB150_2764:
	s_mov_b64 s[10:11], 0
.LBB150_2765:
	s_andn2_b64 vcc, exec, s[10:11]
	s_cbranch_vccnz .LBB150_2773
; %bb.2766:
	s_waitcnt vmcnt(0)
	v_cndmask_b32_e64 v4, 0, 1.0, s[4:5]
	s_mov_b32 s10, 0x43800000
	v_cmp_gt_u32_e32 vcc, s10, v4
	v_mov_b32_e32 v5, 0x80
	s_and_saveexec_b64 s[10:11], vcc
	s_cbranch_execz .LBB150_2772
; %bb.2767:
	s_mov_b32 s24, 0x3bffffff
	v_cmp_lt_u32_e32 vcc, s24, v4
	s_mov_b64 s[24:25], 0
                                        ; implicit-def: $vgpr3
	s_and_saveexec_b64 s[26:27], vcc
	s_xor_b64 s[26:27], exec, s[26:27]
	s_cbranch_execz .LBB150_3176
; %bb.2768:
	v_bfe_u32 v3, v4, 20, 1
	s_mov_b32 s29, 0x487ffff
	v_add3_u32 v3, v4, v3, s29
	s_mov_b64 s[24:25], exec
	v_lshrrev_b32_e32 v3, 20, v3
                                        ; implicit-def: $vgpr4
	s_andn2_saveexec_b64 s[26:27], s[26:27]
	s_cbranch_execnz .LBB150_3177
.LBB150_2769:
	s_or_b64 exec, exec, s[26:27]
	v_mov_b32_e32 v5, 0
	s_and_saveexec_b64 s[26:27], s[24:25]
.LBB150_2770:
	v_mov_b32_e32 v5, v3
.LBB150_2771:
	s_or_b64 exec, exec, s[26:27]
.LBB150_2772:
	s_or_b64 exec, exec, s[10:11]
	global_store_byte v[0:1], v5, off
.LBB150_2773:
	s_mov_b64 s[10:11], -1
.LBB150_2774:
	s_mov_b64 s[24:25], 0
.LBB150_2775:
	s_and_b64 vcc, exec, s[24:25]
	s_cbranch_vccz .LBB150_2815
; %bb.2776:
	s_cmp_gt_i32 s13, 22
	s_mov_b64 s[2:3], -1
	s_cbranch_scc0 .LBB150_2808
; %bb.2777:
	s_cmp_lt_i32 s13, 24
	s_cbranch_scc1 .LBB150_2797
; %bb.2778:
	s_cmp_gt_i32 s13, 24
	s_cbranch_scc0 .LBB150_2786
; %bb.2779:
	s_waitcnt vmcnt(0)
	v_cndmask_b32_e64 v4, 0, 1.0, s[4:5]
	s_mov_b32 s2, 0x47800000
	v_cmp_gt_u32_e32 vcc, s2, v4
	v_mov_b32_e32 v5, 0x80
	s_and_saveexec_b64 s[2:3], vcc
	s_cbranch_execz .LBB150_2785
; %bb.2780:
	s_mov_b32 s10, 0x37ffffff
	v_cmp_lt_u32_e32 vcc, s10, v4
	s_mov_b64 s[10:11], 0
                                        ; implicit-def: $vgpr3
	s_and_saveexec_b64 s[24:25], vcc
	s_xor_b64 s[24:25], exec, s[24:25]
	s_cbranch_execz .LBB150_3179
; %bb.2781:
	v_bfe_u32 v3, v4, 21, 1
	s_mov_b32 s26, 0x88fffff
	v_add3_u32 v3, v4, v3, s26
	s_mov_b64 s[10:11], exec
	v_lshrrev_b32_e32 v3, 21, v3
                                        ; implicit-def: $vgpr4
	s_andn2_saveexec_b64 s[24:25], s[24:25]
	s_cbranch_execnz .LBB150_3180
.LBB150_2782:
	s_or_b64 exec, exec, s[24:25]
	v_mov_b32_e32 v5, 0
	s_and_saveexec_b64 s[24:25], s[10:11]
.LBB150_2783:
	v_mov_b32_e32 v5, v3
.LBB150_2784:
	s_or_b64 exec, exec, s[24:25]
.LBB150_2785:
	s_or_b64 exec, exec, s[2:3]
	s_mov_b64 s[2:3], 0
	global_store_byte v[0:1], v5, off
.LBB150_2786:
	s_and_b64 vcc, exec, s[2:3]
	s_cbranch_vccz .LBB150_2796
; %bb.2787:
	v_cndmask_b32_e64 v3, 0, 1.0, s[4:5]
	s_mov_b32 s2, 0x43f00000
	v_cmp_gt_u32_e32 vcc, s2, v3
                                        ; implicit-def: $vgpr4
	s_and_saveexec_b64 s[2:3], vcc
	s_xor_b64 s[2:3], exec, s[2:3]
	s_cbranch_execz .LBB150_2793
; %bb.2788:
	s_mov_b32 s10, 0x3c7fffff
	v_cmp_lt_u32_e32 vcc, s10, v3
                                        ; implicit-def: $vgpr4
	s_and_saveexec_b64 s[10:11], vcc
	s_xor_b64 s[10:11], exec, s[10:11]
	s_cbranch_execz .LBB150_2790
; %bb.2789:
	s_waitcnt vmcnt(0)
	v_bfe_u32 v4, v3, 20, 1
	s_mov_b32 s24, 0x407ffff
	v_add3_u32 v3, v3, v4, s24
	v_lshrrev_b32_e32 v4, 20, v3
	v_and_b32_e32 v3, 0xff00000, v3
	s_mov_b32 s24, 0x7f00000
	v_mov_b32_e32 v5, 0x7e
	v_cmp_ne_u32_e32 vcc, s24, v3
	v_cndmask_b32_e32 v4, v5, v4, vcc
                                        ; implicit-def: $vgpr3
.LBB150_2790:
	s_andn2_saveexec_b64 s[10:11], s[10:11]
	s_cbranch_execz .LBB150_2792
; %bb.2791:
	s_waitcnt vmcnt(0)
	v_add_f32_e32 v4, 0x46800000, v3
.LBB150_2792:
	s_or_b64 exec, exec, s[10:11]
                                        ; implicit-def: $vgpr3
.LBB150_2793:
	s_andn2_saveexec_b64 s[2:3], s[2:3]
	s_cbranch_execz .LBB150_2795
; %bb.2794:
	s_mov_b32 s10, 0x7f800000
	s_waitcnt vmcnt(0)
	v_mov_b32_e32 v4, 0x7e
	v_mov_b32_e32 v5, 0x7f
	v_cmp_lt_u32_e32 vcc, s10, v3
	v_cndmask_b32_e32 v4, v4, v5, vcc
.LBB150_2795:
	s_or_b64 exec, exec, s[2:3]
	s_waitcnt vmcnt(0)
	global_store_byte v[0:1], v4, off
.LBB150_2796:
	s_mov_b64 s[2:3], 0
.LBB150_2797:
	s_andn2_b64 vcc, exec, s[2:3]
	s_cbranch_vccnz .LBB150_2807
; %bb.2798:
	v_cndmask_b32_e64 v3, 0, 1.0, s[4:5]
	s_mov_b32 s2, 0x47800000
	v_cmp_gt_u32_e32 vcc, s2, v3
                                        ; implicit-def: $vgpr4
	s_and_saveexec_b64 s[2:3], vcc
	s_xor_b64 s[2:3], exec, s[2:3]
	s_cbranch_execz .LBB150_2804
; %bb.2799:
	s_mov_b32 s10, 0x387fffff
	v_cmp_lt_u32_e32 vcc, s10, v3
                                        ; implicit-def: $vgpr4
	s_and_saveexec_b64 s[10:11], vcc
	s_xor_b64 s[10:11], exec, s[10:11]
	s_cbranch_execz .LBB150_2801
; %bb.2800:
	s_waitcnt vmcnt(0)
	v_bfe_u32 v4, v3, 21, 1
	s_mov_b32 s24, 0x80fffff
	v_add3_u32 v3, v3, v4, s24
	v_lshrrev_b32_e32 v4, 21, v3
                                        ; implicit-def: $vgpr3
.LBB150_2801:
	s_andn2_saveexec_b64 s[10:11], s[10:11]
	s_cbranch_execz .LBB150_2803
; %bb.2802:
	s_waitcnt vmcnt(0)
	v_add_f32_e32 v4, 0x43000000, v3
.LBB150_2803:
	s_or_b64 exec, exec, s[10:11]
                                        ; implicit-def: $vgpr3
.LBB150_2804:
	s_andn2_saveexec_b64 s[2:3], s[2:3]
	s_cbranch_execz .LBB150_2806
; %bb.2805:
	s_mov_b32 s10, 0x7f800000
	s_waitcnt vmcnt(0)
	v_mov_b32_e32 v4, 0x7c
	v_mov_b32_e32 v5, 0x7f
	v_cmp_lt_u32_e32 vcc, s10, v3
	v_cndmask_b32_e32 v4, v4, v5, vcc
.LBB150_2806:
	s_or_b64 exec, exec, s[2:3]
	s_waitcnt vmcnt(0)
	global_store_byte v[0:1], v4, off
.LBB150_2807:
	s_mov_b64 s[2:3], 0
	s_mov_b64 s[10:11], -1
.LBB150_2808:
	s_andn2_b64 vcc, exec, s[2:3]
	s_mov_b64 s[2:3], 0
	s_cbranch_vccnz .LBB150_2815
; %bb.2809:
	s_cmp_gt_i32 s13, 14
	s_mov_b64 s[24:25], -1
	s_cbranch_scc0 .LBB150_2813
; %bb.2810:
	s_cmp_eq_u32 s13, 15
	s_mov_b64 s[0:1], -1
	s_cbranch_scc0 .LBB150_2812
; %bb.2811:
	v_cndmask_b32_e64 v3, 0, 1.0, s[4:5]
	s_waitcnt vmcnt(0)
	v_bfe_u32 v4, v3, 16, 1
	s_movk_i32 s0, 0x7fff
	v_add3_u32 v3, v3, v4, s0
	global_store_short_d16_hi v[0:1], v3, off
	s_mov_b64 s[0:1], 0
	s_mov_b64 s[10:11], -1
.LBB150_2812:
	s_mov_b64 s[24:25], 0
.LBB150_2813:
	s_and_b64 vcc, exec, s[24:25]
	s_cbranch_vccz .LBB150_2815
; %bb.2814:
	s_cmp_lg_u32 s13, 11
	s_mov_b64 s[2:3], -1
	s_cselect_b64 s[0:1], -1, 0
.LBB150_2815:
	s_and_b64 vcc, exec, s[0:1]
	s_cbranch_vccnz .LBB150_3178
; %bb.2816:
	s_andn2_b64 vcc, exec, s[2:3]
	s_cbranch_vccnz .LBB150_2818
.LBB150_2817:
	v_cndmask_b32_e64 v3, 0, 1, s[4:5]
	s_mov_b64 s[10:11], -1
	global_store_byte v[0:1], v3, off
.LBB150_2818:
	s_mov_b64 s[0:1], 0
	s_branch .LBB150_2820
.LBB150_2819:
	s_mov_b64 s[0:1], -1
	s_mov_b64 s[10:11], 0
.LBB150_2820:
	s_and_b64 vcc, exec, s[0:1]
	s_cbranch_vccz .LBB150_2859
; %bb.2821:
	s_and_b32 s2, 0xffff, s28
	s_cmp_lt_i32 s2, 5
	s_mov_b64 s[0:1], -1
	s_cbranch_scc1 .LBB150_2842
; %bb.2822:
	s_cmp_lt_i32 s2, 8
	s_cbranch_scc1 .LBB150_2832
; %bb.2823:
	s_cmp_lt_i32 s2, 9
	s_cbranch_scc1 .LBB150_2829
; %bb.2824:
	s_cmp_gt_i32 s2, 9
	s_cbranch_scc0 .LBB150_2826
; %bb.2825:
	v_cndmask_b32_e64 v3, 0, 1, s[4:5]
	s_waitcnt vmcnt(0)
	v_cvt_f64_u32_e32 v[3:4], v3
	v_mov_b32_e32 v5, 0
	v_mov_b32_e32 v6, v5
	s_mov_b64 s[0:1], 0
	global_store_dwordx4 v[0:1], v[3:6], off
.LBB150_2826:
	s_andn2_b64 vcc, exec, s[0:1]
	s_cbranch_vccnz .LBB150_2828
; %bb.2827:
	v_cndmask_b32_e64 v3, 0, 1.0, s[4:5]
	s_waitcnt vmcnt(0)
	v_mov_b32_e32 v4, 0
	global_store_dwordx2 v[0:1], v[3:4], off
.LBB150_2828:
	s_mov_b64 s[0:1], 0
.LBB150_2829:
	s_andn2_b64 vcc, exec, s[0:1]
	s_cbranch_vccnz .LBB150_2831
; %bb.2830:
	v_cndmask_b32_e64 v3, 0, 1.0, s[4:5]
	v_cvt_f16_f32_e32 v3, v3
	global_store_dword v[0:1], v3, off
.LBB150_2831:
	s_mov_b64 s[0:1], 0
.LBB150_2832:
	s_andn2_b64 vcc, exec, s[0:1]
	s_cbranch_vccnz .LBB150_2841
; %bb.2833:
	s_cmp_lt_i32 s2, 6
	s_mov_b64 s[0:1], -1
	s_cbranch_scc1 .LBB150_2839
; %bb.2834:
	s_cmp_gt_i32 s2, 6
	s_cbranch_scc0 .LBB150_2836
; %bb.2835:
	v_cndmask_b32_e64 v3, 0, 1, s[4:5]
	s_waitcnt vmcnt(0)
	v_cvt_f64_u32_e32 v[3:4], v3
	s_mov_b64 s[0:1], 0
	global_store_dwordx2 v[0:1], v[3:4], off
.LBB150_2836:
	s_andn2_b64 vcc, exec, s[0:1]
	s_cbranch_vccnz .LBB150_2838
; %bb.2837:
	v_cndmask_b32_e64 v3, 0, 1.0, s[4:5]
	global_store_dword v[0:1], v3, off
.LBB150_2838:
	s_mov_b64 s[0:1], 0
.LBB150_2839:
	s_andn2_b64 vcc, exec, s[0:1]
	s_cbranch_vccnz .LBB150_2841
; %bb.2840:
	v_cndmask_b32_e64 v3, 0, 1.0, s[4:5]
	v_cvt_f16_f32_e32 v3, v3
	global_store_short v[0:1], v3, off
.LBB150_2841:
	s_mov_b64 s[0:1], 0
.LBB150_2842:
	s_andn2_b64 vcc, exec, s[0:1]
	s_cbranch_vccnz .LBB150_2858
; %bb.2843:
	s_cmp_lt_i32 s2, 2
	s_mov_b64 s[0:1], -1
	s_cbranch_scc1 .LBB150_2853
; %bb.2844:
	s_cmp_lt_i32 s2, 3
	s_cbranch_scc1 .LBB150_2850
; %bb.2845:
	s_cmp_gt_i32 s2, 3
	s_cbranch_scc0 .LBB150_2847
; %bb.2846:
	s_mov_b32 s0, 0
	v_cndmask_b32_e64 v3, 0, 1, s[4:5]
	s_waitcnt vmcnt(0)
	v_mov_b32_e32 v4, s0
	global_store_dwordx2 v[0:1], v[3:4], off
	s_mov_b64 s[0:1], 0
.LBB150_2847:
	s_andn2_b64 vcc, exec, s[0:1]
	s_cbranch_vccnz .LBB150_2849
; %bb.2848:
	v_cndmask_b32_e64 v3, 0, 1, s[4:5]
	global_store_dword v[0:1], v3, off
.LBB150_2849:
	s_mov_b64 s[0:1], 0
.LBB150_2850:
	s_andn2_b64 vcc, exec, s[0:1]
	s_cbranch_vccnz .LBB150_2852
; %bb.2851:
	v_cndmask_b32_e64 v3, 0, 1, s[4:5]
	global_store_short v[0:1], v3, off
.LBB150_2852:
	s_mov_b64 s[0:1], 0
.LBB150_2853:
	s_andn2_b64 vcc, exec, s[0:1]
	s_cbranch_vccnz .LBB150_2858
; %bb.2854:
	s_mov_b64 s[0:1], -1
	s_cmp_gt_i32 s2, 0
	v_cndmask_b32_e64 v3, 0, 1, s[4:5]
	s_cbranch_scc0 .LBB150_2856
; %bb.2855:
	global_store_byte v[0:1], v3, off
	s_mov_b64 s[0:1], 0
.LBB150_2856:
	s_andn2_b64 vcc, exec, s[0:1]
	s_cbranch_vccnz .LBB150_2858
; %bb.2857:
	global_store_byte v[0:1], v3, off
.LBB150_2858:
	s_mov_b64 s[10:11], -1
.LBB150_2859:
	s_andn2_b64 vcc, exec, s[10:11]
	s_cbranch_vccnz .LBB150_3174
; %bb.2860:
	s_lshl_b32 s24, s12, 7
	v_add_u32_e32 v2, s24, v2
	v_ashrrev_i32_e32 v1, 31, v2
	v_mov_b32_e32 v3, s9
	v_add_co_u32_e32 v0, vcc, s8, v2
	s_cmp_lt_i32 s28, 11
	v_addc_co_u32_e32 v1, vcc, v3, v1, vcc
	s_cbranch_scc1 .LBB150_2938
; %bb.2861:
	s_and_b32 s25, 0xffff, s28
	s_mov_b64 s[10:11], -1
	s_mov_b64 s[2:3], 0
	s_cmp_gt_i32 s25, 25
	s_mov_b64 s[4:5], 0
	s_mov_b64 s[0:1], 0
	s_cbranch_scc0 .LBB150_2894
; %bb.2862:
	s_cmp_gt_i32 s25, 28
	s_cbranch_scc0 .LBB150_2877
; %bb.2863:
	s_cmp_gt_i32 s25, 43
	;; [unrolled: 3-line block ×3, first 2 shown]
	s_cbranch_scc0 .LBB150_2867
; %bb.2865:
	s_mov_b64 s[0:1], -1
	s_mov_b64 s[10:11], 0
	s_cmp_eq_u32 s25, 46
	s_cbranch_scc0 .LBB150_2867
; %bb.2866:
	v_cndmask_b32_e64 v3, 0, 1.0, s[14:15]
	s_waitcnt vmcnt(0)
	v_bfe_u32 v4, v3, 16, 1
	s_movk_i32 s0, 0x7fff
	v_add3_u32 v3, v3, v4, s0
	v_lshrrev_b32_e32 v3, 16, v3
	global_store_dword v[0:1], v3, off
	s_mov_b64 s[0:1], 0
	s_mov_b64 s[4:5], -1
.LBB150_2867:
	s_and_b64 vcc, exec, s[10:11]
	s_cbranch_vccz .LBB150_2872
; %bb.2868:
	s_cmp_eq_u32 s25, 44
	s_mov_b64 s[0:1], -1
	s_cbranch_scc0 .LBB150_2872
; %bb.2869:
	s_waitcnt vmcnt(0)
	v_cndmask_b32_e64 v4, 0, 1.0, s[14:15]
	v_lshrrev_b32_e32 v3, 23, v4
	s_movk_i32 s0, 0xff
	v_cmp_ne_u32_e32 vcc, s0, v3
	v_mov_b32_e32 v5, 0xff
	s_and_saveexec_b64 s[4:5], vcc
; %bb.2870:
	s_mov_b32 s0, 0x3fffff
	v_and_b32_e32 v5, 0x400000, v4
	v_and_or_b32 v4, v4, s0, v3
	v_cmp_ne_u32_e32 vcc, 0, v5
	v_cmp_ne_u32_e64 s[0:1], 0, v4
	s_and_b64 s[0:1], vcc, s[0:1]
	v_cndmask_b32_e64 v4, 0, 1, s[0:1]
	v_add_u32_e32 v5, v3, v4
; %bb.2871:
	s_or_b64 exec, exec, s[4:5]
	s_mov_b64 s[0:1], 0
	s_mov_b64 s[4:5], -1
	global_store_byte v[0:1], v5, off
.LBB150_2872:
	s_mov_b64 s[10:11], 0
.LBB150_2873:
	s_and_b64 vcc, exec, s[10:11]
	s_cbranch_vccz .LBB150_2876
; %bb.2874:
	s_cmp_eq_u32 s25, 29
	s_mov_b64 s[0:1], -1
	s_cbranch_scc0 .LBB150_2876
; %bb.2875:
	s_mov_b32 s0, 0
	v_cndmask_b32_e64 v3, 0, 1, s[14:15]
	s_waitcnt vmcnt(0)
	v_mov_b32_e32 v4, s0
	global_store_dwordx2 v[0:1], v[3:4], off
	s_mov_b64 s[0:1], 0
	s_mov_b64 s[4:5], -1
.LBB150_2876:
	s_mov_b64 s[10:11], 0
.LBB150_2877:
	s_and_b64 vcc, exec, s[10:11]
	s_cbranch_vccz .LBB150_2893
; %bb.2878:
	s_cmp_lt_i32 s25, 27
	s_mov_b64 s[4:5], -1
	s_cbranch_scc1 .LBB150_2884
; %bb.2879:
	s_cmp_gt_i32 s25, 27
	s_cbranch_scc0 .LBB150_2881
; %bb.2880:
	v_cndmask_b32_e64 v3, 0, 1, s[14:15]
	s_mov_b64 s[4:5], 0
	global_store_dword v[0:1], v3, off
.LBB150_2881:
	s_andn2_b64 vcc, exec, s[4:5]
	s_cbranch_vccnz .LBB150_2883
; %bb.2882:
	v_cndmask_b32_e64 v3, 0, 1, s[14:15]
	global_store_short v[0:1], v3, off
.LBB150_2883:
	s_mov_b64 s[4:5], 0
.LBB150_2884:
	s_andn2_b64 vcc, exec, s[4:5]
	s_cbranch_vccnz .LBB150_2892
; %bb.2885:
	s_waitcnt vmcnt(0)
	v_cndmask_b32_e64 v4, 0, 1.0, s[14:15]
	s_mov_b32 s4, 0x43800000
	v_cmp_gt_u32_e32 vcc, s4, v4
	v_mov_b32_e32 v5, 0x80
	s_and_saveexec_b64 s[4:5], vcc
	s_cbranch_execz .LBB150_2891
; %bb.2886:
	s_mov_b32 s10, 0x3bffffff
	v_cmp_lt_u32_e32 vcc, s10, v4
	s_mov_b64 s[10:11], 0
                                        ; implicit-def: $vgpr3
	s_and_saveexec_b64 s[12:13], vcc
	s_xor_b64 s[12:13], exec, s[12:13]
	s_cbranch_execz .LBB150_3181
; %bb.2887:
	v_bfe_u32 v3, v4, 20, 1
	s_mov_b32 s26, 0x487ffff
	v_add3_u32 v3, v4, v3, s26
	s_mov_b64 s[10:11], exec
	v_lshrrev_b32_e32 v3, 20, v3
                                        ; implicit-def: $vgpr4
	s_andn2_saveexec_b64 s[12:13], s[12:13]
	s_cbranch_execnz .LBB150_3182
.LBB150_2888:
	s_or_b64 exec, exec, s[12:13]
	v_mov_b32_e32 v5, 0
	s_and_saveexec_b64 s[12:13], s[10:11]
.LBB150_2889:
	v_mov_b32_e32 v5, v3
.LBB150_2890:
	s_or_b64 exec, exec, s[12:13]
.LBB150_2891:
	s_or_b64 exec, exec, s[4:5]
	global_store_byte v[0:1], v5, off
.LBB150_2892:
	s_mov_b64 s[4:5], -1
.LBB150_2893:
	s_mov_b64 s[10:11], 0
.LBB150_2894:
	s_and_b64 vcc, exec, s[10:11]
	s_cbranch_vccz .LBB150_2934
; %bb.2895:
	s_cmp_gt_i32 s25, 22
	s_mov_b64 s[2:3], -1
	s_cbranch_scc0 .LBB150_2927
; %bb.2896:
	s_cmp_lt_i32 s25, 24
	s_cbranch_scc1 .LBB150_2916
; %bb.2897:
	s_cmp_gt_i32 s25, 24
	s_cbranch_scc0 .LBB150_2905
; %bb.2898:
	s_waitcnt vmcnt(0)
	v_cndmask_b32_e64 v4, 0, 1.0, s[14:15]
	s_mov_b32 s2, 0x47800000
	v_cmp_gt_u32_e32 vcc, s2, v4
	v_mov_b32_e32 v5, 0x80
	s_and_saveexec_b64 s[2:3], vcc
	s_cbranch_execz .LBB150_2904
; %bb.2899:
	s_mov_b32 s4, 0x37ffffff
	v_cmp_lt_u32_e32 vcc, s4, v4
	s_mov_b64 s[4:5], 0
                                        ; implicit-def: $vgpr3
	s_and_saveexec_b64 s[10:11], vcc
	s_xor_b64 s[10:11], exec, s[10:11]
	s_cbranch_execz .LBB150_3184
; %bb.2900:
	v_bfe_u32 v3, v4, 21, 1
	s_mov_b32 s12, 0x88fffff
	v_add3_u32 v3, v4, v3, s12
	s_mov_b64 s[4:5], exec
	v_lshrrev_b32_e32 v3, 21, v3
                                        ; implicit-def: $vgpr4
	s_andn2_saveexec_b64 s[10:11], s[10:11]
	s_cbranch_execnz .LBB150_3185
.LBB150_2901:
	s_or_b64 exec, exec, s[10:11]
	v_mov_b32_e32 v5, 0
	s_and_saveexec_b64 s[10:11], s[4:5]
.LBB150_2902:
	v_mov_b32_e32 v5, v3
.LBB150_2903:
	s_or_b64 exec, exec, s[10:11]
.LBB150_2904:
	s_or_b64 exec, exec, s[2:3]
	s_mov_b64 s[2:3], 0
	global_store_byte v[0:1], v5, off
.LBB150_2905:
	s_and_b64 vcc, exec, s[2:3]
	s_cbranch_vccz .LBB150_2915
; %bb.2906:
	v_cndmask_b32_e64 v3, 0, 1.0, s[14:15]
	s_mov_b32 s2, 0x43f00000
	v_cmp_gt_u32_e32 vcc, s2, v3
                                        ; implicit-def: $vgpr4
	s_and_saveexec_b64 s[2:3], vcc
	s_xor_b64 s[2:3], exec, s[2:3]
	s_cbranch_execz .LBB150_2912
; %bb.2907:
	s_mov_b32 s4, 0x3c7fffff
	v_cmp_lt_u32_e32 vcc, s4, v3
                                        ; implicit-def: $vgpr4
	s_and_saveexec_b64 s[4:5], vcc
	s_xor_b64 s[4:5], exec, s[4:5]
	s_cbranch_execz .LBB150_2909
; %bb.2908:
	s_waitcnt vmcnt(0)
	v_bfe_u32 v4, v3, 20, 1
	s_mov_b32 s10, 0x407ffff
	v_add3_u32 v3, v3, v4, s10
	v_lshrrev_b32_e32 v4, 20, v3
	v_and_b32_e32 v3, 0xff00000, v3
	s_mov_b32 s10, 0x7f00000
	v_mov_b32_e32 v5, 0x7e
	v_cmp_ne_u32_e32 vcc, s10, v3
	v_cndmask_b32_e32 v4, v5, v4, vcc
                                        ; implicit-def: $vgpr3
.LBB150_2909:
	s_andn2_saveexec_b64 s[4:5], s[4:5]
	s_cbranch_execz .LBB150_2911
; %bb.2910:
	s_waitcnt vmcnt(0)
	v_add_f32_e32 v4, 0x46800000, v3
.LBB150_2911:
	s_or_b64 exec, exec, s[4:5]
                                        ; implicit-def: $vgpr3
.LBB150_2912:
	s_andn2_saveexec_b64 s[2:3], s[2:3]
	s_cbranch_execz .LBB150_2914
; %bb.2913:
	s_mov_b32 s4, 0x7f800000
	s_waitcnt vmcnt(0)
	v_mov_b32_e32 v4, 0x7e
	v_mov_b32_e32 v5, 0x7f
	v_cmp_lt_u32_e32 vcc, s4, v3
	v_cndmask_b32_e32 v4, v4, v5, vcc
.LBB150_2914:
	s_or_b64 exec, exec, s[2:3]
	s_waitcnt vmcnt(0)
	global_store_byte v[0:1], v4, off
.LBB150_2915:
	s_mov_b64 s[2:3], 0
.LBB150_2916:
	s_andn2_b64 vcc, exec, s[2:3]
	s_cbranch_vccnz .LBB150_2926
; %bb.2917:
	v_cndmask_b32_e64 v3, 0, 1.0, s[14:15]
	s_mov_b32 s2, 0x47800000
	v_cmp_gt_u32_e32 vcc, s2, v3
                                        ; implicit-def: $vgpr4
	s_and_saveexec_b64 s[2:3], vcc
	s_xor_b64 s[2:3], exec, s[2:3]
	s_cbranch_execz .LBB150_2923
; %bb.2918:
	s_mov_b32 s4, 0x387fffff
	v_cmp_lt_u32_e32 vcc, s4, v3
                                        ; implicit-def: $vgpr4
	s_and_saveexec_b64 s[4:5], vcc
	s_xor_b64 s[4:5], exec, s[4:5]
	s_cbranch_execz .LBB150_2920
; %bb.2919:
	s_waitcnt vmcnt(0)
	v_bfe_u32 v4, v3, 21, 1
	s_mov_b32 s10, 0x80fffff
	v_add3_u32 v3, v3, v4, s10
	v_lshrrev_b32_e32 v4, 21, v3
                                        ; implicit-def: $vgpr3
.LBB150_2920:
	s_andn2_saveexec_b64 s[4:5], s[4:5]
	s_cbranch_execz .LBB150_2922
; %bb.2921:
	s_waitcnt vmcnt(0)
	v_add_f32_e32 v4, 0x43000000, v3
.LBB150_2922:
	s_or_b64 exec, exec, s[4:5]
                                        ; implicit-def: $vgpr3
.LBB150_2923:
	s_andn2_saveexec_b64 s[2:3], s[2:3]
	s_cbranch_execz .LBB150_2925
; %bb.2924:
	s_mov_b32 s4, 0x7f800000
	s_waitcnt vmcnt(0)
	v_mov_b32_e32 v4, 0x7c
	v_mov_b32_e32 v5, 0x7f
	v_cmp_lt_u32_e32 vcc, s4, v3
	v_cndmask_b32_e32 v4, v4, v5, vcc
.LBB150_2925:
	s_or_b64 exec, exec, s[2:3]
	s_waitcnt vmcnt(0)
	global_store_byte v[0:1], v4, off
.LBB150_2926:
	s_mov_b64 s[2:3], 0
	s_mov_b64 s[4:5], -1
.LBB150_2927:
	s_andn2_b64 vcc, exec, s[2:3]
	s_mov_b64 s[2:3], 0
	s_cbranch_vccnz .LBB150_2934
; %bb.2928:
	s_cmp_gt_i32 s25, 14
	s_mov_b64 s[10:11], -1
	s_cbranch_scc0 .LBB150_2932
; %bb.2929:
	s_cmp_eq_u32 s25, 15
	s_mov_b64 s[0:1], -1
	s_cbranch_scc0 .LBB150_2931
; %bb.2930:
	v_cndmask_b32_e64 v3, 0, 1.0, s[14:15]
	s_waitcnt vmcnt(0)
	v_bfe_u32 v4, v3, 16, 1
	s_movk_i32 s0, 0x7fff
	v_add3_u32 v3, v3, v4, s0
	global_store_short_d16_hi v[0:1], v3, off
	s_mov_b64 s[0:1], 0
	s_mov_b64 s[4:5], -1
.LBB150_2931:
	s_mov_b64 s[10:11], 0
.LBB150_2932:
	s_and_b64 vcc, exec, s[10:11]
	s_cbranch_vccz .LBB150_2934
; %bb.2933:
	s_cmp_lg_u32 s25, 11
	s_mov_b64 s[2:3], -1
	s_cselect_b64 s[0:1], -1, 0
.LBB150_2934:
	s_and_b64 vcc, exec, s[0:1]
	s_cbranch_vccnz .LBB150_3183
; %bb.2935:
	s_andn2_b64 vcc, exec, s[2:3]
	s_cbranch_vccnz .LBB150_2937
.LBB150_2936:
	v_cndmask_b32_e64 v3, 0, 1, s[14:15]
	s_mov_b64 s[4:5], -1
	global_store_byte v[0:1], v3, off
.LBB150_2937:
	s_mov_b64 s[0:1], 0
	s_branch .LBB150_2939
.LBB150_2938:
	s_mov_b64 s[0:1], -1
	s_mov_b64 s[4:5], 0
.LBB150_2939:
	s_and_b64 vcc, exec, s[0:1]
	s_cbranch_vccz .LBB150_2978
; %bb.2940:
	s_and_b32 s2, 0xffff, s28
	s_cmp_lt_i32 s2, 5
	s_mov_b64 s[0:1], -1
	s_cbranch_scc1 .LBB150_2961
; %bb.2941:
	s_cmp_lt_i32 s2, 8
	s_cbranch_scc1 .LBB150_2951
; %bb.2942:
	s_cmp_lt_i32 s2, 9
	s_cbranch_scc1 .LBB150_2948
; %bb.2943:
	s_cmp_gt_i32 s2, 9
	s_cbranch_scc0 .LBB150_2945
; %bb.2944:
	v_cndmask_b32_e64 v3, 0, 1, s[14:15]
	s_waitcnt vmcnt(0)
	v_cvt_f64_u32_e32 v[3:4], v3
	v_mov_b32_e32 v5, 0
	v_mov_b32_e32 v6, v5
	s_mov_b64 s[0:1], 0
	global_store_dwordx4 v[0:1], v[3:6], off
.LBB150_2945:
	s_andn2_b64 vcc, exec, s[0:1]
	s_cbranch_vccnz .LBB150_2947
; %bb.2946:
	v_cndmask_b32_e64 v3, 0, 1.0, s[14:15]
	s_waitcnt vmcnt(0)
	v_mov_b32_e32 v4, 0
	global_store_dwordx2 v[0:1], v[3:4], off
.LBB150_2947:
	s_mov_b64 s[0:1], 0
.LBB150_2948:
	s_andn2_b64 vcc, exec, s[0:1]
	s_cbranch_vccnz .LBB150_2950
; %bb.2949:
	v_cndmask_b32_e64 v3, 0, 1.0, s[14:15]
	v_cvt_f16_f32_e32 v3, v3
	global_store_dword v[0:1], v3, off
.LBB150_2950:
	s_mov_b64 s[0:1], 0
.LBB150_2951:
	s_andn2_b64 vcc, exec, s[0:1]
	s_cbranch_vccnz .LBB150_2960
; %bb.2952:
	s_cmp_lt_i32 s2, 6
	s_mov_b64 s[0:1], -1
	s_cbranch_scc1 .LBB150_2958
; %bb.2953:
	s_cmp_gt_i32 s2, 6
	s_cbranch_scc0 .LBB150_2955
; %bb.2954:
	v_cndmask_b32_e64 v3, 0, 1, s[14:15]
	s_waitcnt vmcnt(0)
	v_cvt_f64_u32_e32 v[3:4], v3
	s_mov_b64 s[0:1], 0
	global_store_dwordx2 v[0:1], v[3:4], off
.LBB150_2955:
	s_andn2_b64 vcc, exec, s[0:1]
	s_cbranch_vccnz .LBB150_2957
; %bb.2956:
	v_cndmask_b32_e64 v3, 0, 1.0, s[14:15]
	global_store_dword v[0:1], v3, off
.LBB150_2957:
	s_mov_b64 s[0:1], 0
.LBB150_2958:
	s_andn2_b64 vcc, exec, s[0:1]
	s_cbranch_vccnz .LBB150_2960
; %bb.2959:
	v_cndmask_b32_e64 v3, 0, 1.0, s[14:15]
	v_cvt_f16_f32_e32 v3, v3
	global_store_short v[0:1], v3, off
.LBB150_2960:
	s_mov_b64 s[0:1], 0
.LBB150_2961:
	s_andn2_b64 vcc, exec, s[0:1]
	s_cbranch_vccnz .LBB150_2977
; %bb.2962:
	s_cmp_lt_i32 s2, 2
	s_mov_b64 s[0:1], -1
	s_cbranch_scc1 .LBB150_2972
; %bb.2963:
	s_cmp_lt_i32 s2, 3
	s_cbranch_scc1 .LBB150_2969
; %bb.2964:
	s_cmp_gt_i32 s2, 3
	s_cbranch_scc0 .LBB150_2966
; %bb.2965:
	s_mov_b32 s0, 0
	v_cndmask_b32_e64 v3, 0, 1, s[14:15]
	s_waitcnt vmcnt(0)
	v_mov_b32_e32 v4, s0
	global_store_dwordx2 v[0:1], v[3:4], off
	s_mov_b64 s[0:1], 0
.LBB150_2966:
	s_andn2_b64 vcc, exec, s[0:1]
	s_cbranch_vccnz .LBB150_2968
; %bb.2967:
	v_cndmask_b32_e64 v3, 0, 1, s[14:15]
	global_store_dword v[0:1], v3, off
.LBB150_2968:
	s_mov_b64 s[0:1], 0
.LBB150_2969:
	s_andn2_b64 vcc, exec, s[0:1]
	s_cbranch_vccnz .LBB150_2971
; %bb.2970:
	v_cndmask_b32_e64 v3, 0, 1, s[14:15]
	global_store_short v[0:1], v3, off
.LBB150_2971:
	s_mov_b64 s[0:1], 0
.LBB150_2972:
	s_andn2_b64 vcc, exec, s[0:1]
	s_cbranch_vccnz .LBB150_2977
; %bb.2973:
	s_mov_b64 s[0:1], -1
	s_cmp_gt_i32 s2, 0
	v_cndmask_b32_e64 v3, 0, 1, s[14:15]
	s_cbranch_scc0 .LBB150_2975
; %bb.2974:
	global_store_byte v[0:1], v3, off
	s_mov_b64 s[0:1], 0
.LBB150_2975:
	s_andn2_b64 vcc, exec, s[0:1]
	s_cbranch_vccnz .LBB150_2977
; %bb.2976:
	global_store_byte v[0:1], v3, off
.LBB150_2977:
	s_mov_b64 s[4:5], -1
.LBB150_2978:
	s_andn2_b64 vcc, exec, s[4:5]
	s_cbranch_vccnz .LBB150_3174
; %bb.2979:
	v_add_u32_e32 v2, s24, v2
	v_ashrrev_i32_e32 v1, 31, v2
	v_mov_b32_e32 v3, s9
	v_add_co_u32_e32 v0, vcc, s8, v2
	s_cmp_lt_i32 s28, 11
	v_addc_co_u32_e32 v1, vcc, v3, v1, vcc
	s_cbranch_scc1 .LBB150_3057
; %bb.2980:
	s_and_b32 s14, 0xffff, s28
	s_mov_b64 s[10:11], -1
	s_mov_b64 s[2:3], 0
	s_cmp_gt_i32 s14, 25
	s_mov_b64 s[4:5], 0
	s_mov_b64 s[0:1], 0
	s_cbranch_scc0 .LBB150_3013
; %bb.2981:
	s_cmp_gt_i32 s14, 28
	s_cbranch_scc0 .LBB150_2996
; %bb.2982:
	s_cmp_gt_i32 s14, 43
	;; [unrolled: 3-line block ×3, first 2 shown]
	s_cbranch_scc0 .LBB150_2986
; %bb.2984:
	s_mov_b64 s[0:1], -1
	s_mov_b64 s[10:11], 0
	s_cmp_eq_u32 s14, 46
	s_cbranch_scc0 .LBB150_2986
; %bb.2985:
	v_cndmask_b32_e64 v3, 0, 1.0, s[22:23]
	s_waitcnt vmcnt(0)
	v_bfe_u32 v4, v3, 16, 1
	s_movk_i32 s0, 0x7fff
	v_add3_u32 v3, v3, v4, s0
	v_lshrrev_b32_e32 v3, 16, v3
	global_store_dword v[0:1], v3, off
	s_mov_b64 s[0:1], 0
	s_mov_b64 s[4:5], -1
.LBB150_2986:
	s_and_b64 vcc, exec, s[10:11]
	s_cbranch_vccz .LBB150_2991
; %bb.2987:
	s_cmp_eq_u32 s14, 44
	s_mov_b64 s[0:1], -1
	s_cbranch_scc0 .LBB150_2991
; %bb.2988:
	s_waitcnt vmcnt(0)
	v_cndmask_b32_e64 v4, 0, 1.0, s[22:23]
	v_lshrrev_b32_e32 v3, 23, v4
	s_movk_i32 s0, 0xff
	v_cmp_ne_u32_e32 vcc, s0, v3
	v_mov_b32_e32 v5, 0xff
	s_and_saveexec_b64 s[4:5], vcc
; %bb.2989:
	s_mov_b32 s0, 0x3fffff
	v_and_b32_e32 v5, 0x400000, v4
	v_and_or_b32 v4, v4, s0, v3
	v_cmp_ne_u32_e32 vcc, 0, v5
	v_cmp_ne_u32_e64 s[0:1], 0, v4
	s_and_b64 s[0:1], vcc, s[0:1]
	v_cndmask_b32_e64 v4, 0, 1, s[0:1]
	v_add_u32_e32 v5, v3, v4
; %bb.2990:
	s_or_b64 exec, exec, s[4:5]
	s_mov_b64 s[0:1], 0
	s_mov_b64 s[4:5], -1
	global_store_byte v[0:1], v5, off
.LBB150_2991:
	s_mov_b64 s[10:11], 0
.LBB150_2992:
	s_and_b64 vcc, exec, s[10:11]
	s_cbranch_vccz .LBB150_2995
; %bb.2993:
	s_cmp_eq_u32 s14, 29
	s_mov_b64 s[0:1], -1
	s_cbranch_scc0 .LBB150_2995
; %bb.2994:
	s_mov_b32 s0, 0
	v_cndmask_b32_e64 v3, 0, 1, s[22:23]
	s_waitcnt vmcnt(0)
	v_mov_b32_e32 v4, s0
	global_store_dwordx2 v[0:1], v[3:4], off
	s_mov_b64 s[0:1], 0
	s_mov_b64 s[4:5], -1
.LBB150_2995:
	s_mov_b64 s[10:11], 0
.LBB150_2996:
	s_and_b64 vcc, exec, s[10:11]
	s_cbranch_vccz .LBB150_3012
; %bb.2997:
	s_cmp_lt_i32 s14, 27
	s_mov_b64 s[4:5], -1
	s_cbranch_scc1 .LBB150_3003
; %bb.2998:
	s_cmp_gt_i32 s14, 27
	s_cbranch_scc0 .LBB150_3000
; %bb.2999:
	v_cndmask_b32_e64 v3, 0, 1, s[22:23]
	s_mov_b64 s[4:5], 0
	global_store_dword v[0:1], v3, off
.LBB150_3000:
	s_andn2_b64 vcc, exec, s[4:5]
	s_cbranch_vccnz .LBB150_3002
; %bb.3001:
	v_cndmask_b32_e64 v3, 0, 1, s[22:23]
	global_store_short v[0:1], v3, off
.LBB150_3002:
	s_mov_b64 s[4:5], 0
.LBB150_3003:
	s_andn2_b64 vcc, exec, s[4:5]
	s_cbranch_vccnz .LBB150_3011
; %bb.3004:
	s_waitcnt vmcnt(0)
	v_cndmask_b32_e64 v4, 0, 1.0, s[22:23]
	s_mov_b32 s4, 0x43800000
	v_cmp_gt_u32_e32 vcc, s4, v4
	v_mov_b32_e32 v5, 0x80
	s_and_saveexec_b64 s[4:5], vcc
	s_cbranch_execz .LBB150_3010
; %bb.3005:
	s_mov_b32 s10, 0x3bffffff
	v_cmp_lt_u32_e32 vcc, s10, v4
	s_mov_b64 s[10:11], 0
                                        ; implicit-def: $vgpr3
	s_and_saveexec_b64 s[12:13], vcc
	s_xor_b64 s[12:13], exec, s[12:13]
	s_cbranch_execz .LBB150_3186
; %bb.3006:
	v_bfe_u32 v3, v4, 20, 1
	s_mov_b32 s15, 0x487ffff
	v_add3_u32 v3, v4, v3, s15
	s_mov_b64 s[10:11], exec
	v_lshrrev_b32_e32 v3, 20, v3
                                        ; implicit-def: $vgpr4
	s_andn2_saveexec_b64 s[12:13], s[12:13]
	s_cbranch_execnz .LBB150_3187
.LBB150_3007:
	s_or_b64 exec, exec, s[12:13]
	v_mov_b32_e32 v5, 0
	s_and_saveexec_b64 s[12:13], s[10:11]
.LBB150_3008:
	v_mov_b32_e32 v5, v3
.LBB150_3009:
	s_or_b64 exec, exec, s[12:13]
.LBB150_3010:
	s_or_b64 exec, exec, s[4:5]
	global_store_byte v[0:1], v5, off
.LBB150_3011:
	s_mov_b64 s[4:5], -1
.LBB150_3012:
	s_mov_b64 s[10:11], 0
.LBB150_3013:
	s_and_b64 vcc, exec, s[10:11]
	s_cbranch_vccz .LBB150_3053
; %bb.3014:
	s_cmp_gt_i32 s14, 22
	s_mov_b64 s[2:3], -1
	s_cbranch_scc0 .LBB150_3046
; %bb.3015:
	s_cmp_lt_i32 s14, 24
	s_cbranch_scc1 .LBB150_3035
; %bb.3016:
	s_cmp_gt_i32 s14, 24
	s_cbranch_scc0 .LBB150_3024
; %bb.3017:
	s_waitcnt vmcnt(0)
	v_cndmask_b32_e64 v4, 0, 1.0, s[22:23]
	s_mov_b32 s2, 0x47800000
	v_cmp_gt_u32_e32 vcc, s2, v4
	v_mov_b32_e32 v5, 0x80
	s_and_saveexec_b64 s[2:3], vcc
	s_cbranch_execz .LBB150_3023
; %bb.3018:
	s_mov_b32 s4, 0x37ffffff
	v_cmp_lt_u32_e32 vcc, s4, v4
	s_mov_b64 s[4:5], 0
                                        ; implicit-def: $vgpr3
	s_and_saveexec_b64 s[10:11], vcc
	s_xor_b64 s[10:11], exec, s[10:11]
	s_cbranch_execz .LBB150_3189
; %bb.3019:
	v_bfe_u32 v3, v4, 21, 1
	s_mov_b32 s12, 0x88fffff
	v_add3_u32 v3, v4, v3, s12
	s_mov_b64 s[4:5], exec
	v_lshrrev_b32_e32 v3, 21, v3
                                        ; implicit-def: $vgpr4
	s_andn2_saveexec_b64 s[10:11], s[10:11]
	s_cbranch_execnz .LBB150_3190
.LBB150_3020:
	s_or_b64 exec, exec, s[10:11]
	v_mov_b32_e32 v5, 0
	s_and_saveexec_b64 s[10:11], s[4:5]
.LBB150_3021:
	v_mov_b32_e32 v5, v3
.LBB150_3022:
	s_or_b64 exec, exec, s[10:11]
.LBB150_3023:
	s_or_b64 exec, exec, s[2:3]
	s_mov_b64 s[2:3], 0
	global_store_byte v[0:1], v5, off
.LBB150_3024:
	s_and_b64 vcc, exec, s[2:3]
	s_cbranch_vccz .LBB150_3034
; %bb.3025:
	v_cndmask_b32_e64 v3, 0, 1.0, s[22:23]
	s_mov_b32 s2, 0x43f00000
	v_cmp_gt_u32_e32 vcc, s2, v3
                                        ; implicit-def: $vgpr4
	s_and_saveexec_b64 s[2:3], vcc
	s_xor_b64 s[2:3], exec, s[2:3]
	s_cbranch_execz .LBB150_3031
; %bb.3026:
	s_mov_b32 s4, 0x3c7fffff
	v_cmp_lt_u32_e32 vcc, s4, v3
                                        ; implicit-def: $vgpr4
	s_and_saveexec_b64 s[4:5], vcc
	s_xor_b64 s[4:5], exec, s[4:5]
	s_cbranch_execz .LBB150_3028
; %bb.3027:
	s_waitcnt vmcnt(0)
	v_bfe_u32 v4, v3, 20, 1
	s_mov_b32 s10, 0x407ffff
	v_add3_u32 v3, v3, v4, s10
	v_lshrrev_b32_e32 v4, 20, v3
	v_and_b32_e32 v3, 0xff00000, v3
	s_mov_b32 s10, 0x7f00000
	v_mov_b32_e32 v5, 0x7e
	v_cmp_ne_u32_e32 vcc, s10, v3
	v_cndmask_b32_e32 v4, v5, v4, vcc
                                        ; implicit-def: $vgpr3
.LBB150_3028:
	s_andn2_saveexec_b64 s[4:5], s[4:5]
	s_cbranch_execz .LBB150_3030
; %bb.3029:
	s_waitcnt vmcnt(0)
	v_add_f32_e32 v4, 0x46800000, v3
.LBB150_3030:
	s_or_b64 exec, exec, s[4:5]
                                        ; implicit-def: $vgpr3
.LBB150_3031:
	s_andn2_saveexec_b64 s[2:3], s[2:3]
	s_cbranch_execz .LBB150_3033
; %bb.3032:
	s_mov_b32 s4, 0x7f800000
	s_waitcnt vmcnt(0)
	v_mov_b32_e32 v4, 0x7e
	v_mov_b32_e32 v5, 0x7f
	v_cmp_lt_u32_e32 vcc, s4, v3
	v_cndmask_b32_e32 v4, v4, v5, vcc
.LBB150_3033:
	s_or_b64 exec, exec, s[2:3]
	s_waitcnt vmcnt(0)
	global_store_byte v[0:1], v4, off
.LBB150_3034:
	s_mov_b64 s[2:3], 0
.LBB150_3035:
	s_andn2_b64 vcc, exec, s[2:3]
	s_cbranch_vccnz .LBB150_3045
; %bb.3036:
	v_cndmask_b32_e64 v3, 0, 1.0, s[22:23]
	s_mov_b32 s2, 0x47800000
	v_cmp_gt_u32_e32 vcc, s2, v3
                                        ; implicit-def: $vgpr4
	s_and_saveexec_b64 s[2:3], vcc
	s_xor_b64 s[2:3], exec, s[2:3]
	s_cbranch_execz .LBB150_3042
; %bb.3037:
	s_mov_b32 s4, 0x387fffff
	v_cmp_lt_u32_e32 vcc, s4, v3
                                        ; implicit-def: $vgpr4
	s_and_saveexec_b64 s[4:5], vcc
	s_xor_b64 s[4:5], exec, s[4:5]
	s_cbranch_execz .LBB150_3039
; %bb.3038:
	s_waitcnt vmcnt(0)
	v_bfe_u32 v4, v3, 21, 1
	s_mov_b32 s10, 0x80fffff
	v_add3_u32 v3, v3, v4, s10
	v_lshrrev_b32_e32 v4, 21, v3
                                        ; implicit-def: $vgpr3
.LBB150_3039:
	s_andn2_saveexec_b64 s[4:5], s[4:5]
	s_cbranch_execz .LBB150_3041
; %bb.3040:
	s_waitcnt vmcnt(0)
	v_add_f32_e32 v4, 0x43000000, v3
.LBB150_3041:
	s_or_b64 exec, exec, s[4:5]
                                        ; implicit-def: $vgpr3
.LBB150_3042:
	s_andn2_saveexec_b64 s[2:3], s[2:3]
	s_cbranch_execz .LBB150_3044
; %bb.3043:
	s_mov_b32 s4, 0x7f800000
	s_waitcnt vmcnt(0)
	v_mov_b32_e32 v4, 0x7c
	v_mov_b32_e32 v5, 0x7f
	v_cmp_lt_u32_e32 vcc, s4, v3
	v_cndmask_b32_e32 v4, v4, v5, vcc
.LBB150_3044:
	s_or_b64 exec, exec, s[2:3]
	s_waitcnt vmcnt(0)
	global_store_byte v[0:1], v4, off
.LBB150_3045:
	s_mov_b64 s[2:3], 0
	s_mov_b64 s[4:5], -1
.LBB150_3046:
	s_andn2_b64 vcc, exec, s[2:3]
	s_mov_b64 s[2:3], 0
	s_cbranch_vccnz .LBB150_3053
; %bb.3047:
	s_cmp_gt_i32 s14, 14
	s_mov_b64 s[10:11], -1
	s_cbranch_scc0 .LBB150_3051
; %bb.3048:
	s_cmp_eq_u32 s14, 15
	s_mov_b64 s[0:1], -1
	s_cbranch_scc0 .LBB150_3050
; %bb.3049:
	v_cndmask_b32_e64 v3, 0, 1.0, s[22:23]
	s_waitcnt vmcnt(0)
	v_bfe_u32 v4, v3, 16, 1
	s_movk_i32 s0, 0x7fff
	v_add3_u32 v3, v3, v4, s0
	global_store_short_d16_hi v[0:1], v3, off
	s_mov_b64 s[0:1], 0
	s_mov_b64 s[4:5], -1
.LBB150_3050:
	s_mov_b64 s[10:11], 0
.LBB150_3051:
	s_and_b64 vcc, exec, s[10:11]
	s_cbranch_vccz .LBB150_3053
; %bb.3052:
	s_cmp_lg_u32 s14, 11
	s_mov_b64 s[2:3], -1
	s_cselect_b64 s[0:1], -1, 0
.LBB150_3053:
	s_and_b64 vcc, exec, s[0:1]
	s_cbranch_vccnz .LBB150_3188
; %bb.3054:
	s_andn2_b64 vcc, exec, s[2:3]
	s_cbranch_vccnz .LBB150_3056
.LBB150_3055:
	v_cndmask_b32_e64 v3, 0, 1, s[22:23]
	s_mov_b64 s[4:5], -1
	global_store_byte v[0:1], v3, off
.LBB150_3056:
	s_mov_b64 s[0:1], 0
	s_branch .LBB150_3058
.LBB150_3057:
	s_mov_b64 s[0:1], -1
	s_mov_b64 s[4:5], 0
.LBB150_3058:
	s_and_b64 vcc, exec, s[0:1]
	s_cbranch_vccz .LBB150_3097
; %bb.3059:
	s_and_b32 s2, 0xffff, s28
	s_cmp_lt_i32 s2, 5
	s_mov_b64 s[0:1], -1
	s_cbranch_scc1 .LBB150_3080
; %bb.3060:
	s_cmp_lt_i32 s2, 8
	s_cbranch_scc1 .LBB150_3070
; %bb.3061:
	s_cmp_lt_i32 s2, 9
	s_cbranch_scc1 .LBB150_3067
; %bb.3062:
	s_cmp_gt_i32 s2, 9
	s_cbranch_scc0 .LBB150_3064
; %bb.3063:
	v_cndmask_b32_e64 v3, 0, 1, s[22:23]
	s_waitcnt vmcnt(0)
	v_cvt_f64_u32_e32 v[3:4], v3
	v_mov_b32_e32 v5, 0
	v_mov_b32_e32 v6, v5
	s_mov_b64 s[0:1], 0
	global_store_dwordx4 v[0:1], v[3:6], off
.LBB150_3064:
	s_andn2_b64 vcc, exec, s[0:1]
	s_cbranch_vccnz .LBB150_3066
; %bb.3065:
	v_cndmask_b32_e64 v3, 0, 1.0, s[22:23]
	s_waitcnt vmcnt(0)
	v_mov_b32_e32 v4, 0
	global_store_dwordx2 v[0:1], v[3:4], off
.LBB150_3066:
	s_mov_b64 s[0:1], 0
.LBB150_3067:
	s_andn2_b64 vcc, exec, s[0:1]
	s_cbranch_vccnz .LBB150_3069
; %bb.3068:
	v_cndmask_b32_e64 v3, 0, 1.0, s[22:23]
	v_cvt_f16_f32_e32 v3, v3
	global_store_dword v[0:1], v3, off
.LBB150_3069:
	s_mov_b64 s[0:1], 0
.LBB150_3070:
	s_andn2_b64 vcc, exec, s[0:1]
	s_cbranch_vccnz .LBB150_3079
; %bb.3071:
	s_cmp_lt_i32 s2, 6
	s_mov_b64 s[0:1], -1
	s_cbranch_scc1 .LBB150_3077
; %bb.3072:
	s_cmp_gt_i32 s2, 6
	s_cbranch_scc0 .LBB150_3074
; %bb.3073:
	v_cndmask_b32_e64 v3, 0, 1, s[22:23]
	s_waitcnt vmcnt(0)
	v_cvt_f64_u32_e32 v[3:4], v3
	s_mov_b64 s[0:1], 0
	global_store_dwordx2 v[0:1], v[3:4], off
.LBB150_3074:
	s_andn2_b64 vcc, exec, s[0:1]
	s_cbranch_vccnz .LBB150_3076
; %bb.3075:
	v_cndmask_b32_e64 v3, 0, 1.0, s[22:23]
	global_store_dword v[0:1], v3, off
.LBB150_3076:
	s_mov_b64 s[0:1], 0
.LBB150_3077:
	s_andn2_b64 vcc, exec, s[0:1]
	s_cbranch_vccnz .LBB150_3079
; %bb.3078:
	v_cndmask_b32_e64 v3, 0, 1.0, s[22:23]
	v_cvt_f16_f32_e32 v3, v3
	global_store_short v[0:1], v3, off
.LBB150_3079:
	s_mov_b64 s[0:1], 0
.LBB150_3080:
	s_andn2_b64 vcc, exec, s[0:1]
	s_cbranch_vccnz .LBB150_3096
; %bb.3081:
	s_cmp_lt_i32 s2, 2
	s_mov_b64 s[0:1], -1
	s_cbranch_scc1 .LBB150_3091
; %bb.3082:
	s_cmp_lt_i32 s2, 3
	s_cbranch_scc1 .LBB150_3088
; %bb.3083:
	s_cmp_gt_i32 s2, 3
	s_cbranch_scc0 .LBB150_3085
; %bb.3084:
	s_mov_b32 s0, 0
	v_cndmask_b32_e64 v3, 0, 1, s[22:23]
	s_waitcnt vmcnt(0)
	v_mov_b32_e32 v4, s0
	global_store_dwordx2 v[0:1], v[3:4], off
	s_mov_b64 s[0:1], 0
.LBB150_3085:
	s_andn2_b64 vcc, exec, s[0:1]
	s_cbranch_vccnz .LBB150_3087
; %bb.3086:
	v_cndmask_b32_e64 v3, 0, 1, s[22:23]
	global_store_dword v[0:1], v3, off
.LBB150_3087:
	s_mov_b64 s[0:1], 0
.LBB150_3088:
	s_andn2_b64 vcc, exec, s[0:1]
	s_cbranch_vccnz .LBB150_3090
; %bb.3089:
	v_cndmask_b32_e64 v3, 0, 1, s[22:23]
	global_store_short v[0:1], v3, off
.LBB150_3090:
	s_mov_b64 s[0:1], 0
.LBB150_3091:
	s_andn2_b64 vcc, exec, s[0:1]
	s_cbranch_vccnz .LBB150_3096
; %bb.3092:
	s_mov_b64 s[0:1], -1
	s_cmp_gt_i32 s2, 0
	v_cndmask_b32_e64 v3, 0, 1, s[22:23]
	s_cbranch_scc0 .LBB150_3094
; %bb.3093:
	global_store_byte v[0:1], v3, off
	s_mov_b64 s[0:1], 0
.LBB150_3094:
	s_andn2_b64 vcc, exec, s[0:1]
	s_cbranch_vccnz .LBB150_3096
; %bb.3095:
	global_store_byte v[0:1], v3, off
.LBB150_3096:
	s_mov_b64 s[4:5], -1
.LBB150_3097:
	s_andn2_b64 vcc, exec, s[4:5]
	s_cbranch_vccnz .LBB150_3174
; %bb.3098:
	v_add_u32_e32 v0, s24, v2
	v_ashrrev_i32_e32 v1, 31, v0
	v_mov_b32_e32 v2, s9
	v_add_co_u32_e32 v0, vcc, s8, v0
	s_cmp_lt_i32 s28, 11
	v_addc_co_u32_e32 v1, vcc, v2, v1, vcc
	s_cbranch_scc1 .LBB150_3175
; %bb.3099:
	s_and_b32 s12, 0xffff, s28
	s_mov_b64 s[4:5], -1
	s_mov_b64 s[2:3], 0
	s_cmp_gt_i32 s12, 25
	s_mov_b64 s[0:1], 0
	s_cbranch_scc0 .LBB150_3132
; %bb.3100:
	s_cmp_gt_i32 s12, 28
	s_cbranch_scc0 .LBB150_3116
; %bb.3101:
	s_cmp_gt_i32 s12, 43
	;; [unrolled: 3-line block ×3, first 2 shown]
	s_cbranch_scc0 .LBB150_3106
; %bb.3103:
	s_cmp_eq_u32 s12, 46
	s_mov_b64 s[0:1], -1
	s_cbranch_scc0 .LBB150_3105
; %bb.3104:
	v_cndmask_b32_e64 v2, 0, 1.0, s[20:21]
	v_bfe_u32 v3, v2, 16, 1
	s_movk_i32 s0, 0x7fff
	v_add3_u32 v2, v2, v3, s0
	v_lshrrev_b32_e32 v2, 16, v2
	global_store_dword v[0:1], v2, off
	s_mov_b64 s[0:1], 0
.LBB150_3105:
	s_mov_b64 s[4:5], 0
.LBB150_3106:
	s_and_b64 vcc, exec, s[4:5]
	s_cbranch_vccz .LBB150_3111
; %bb.3107:
	s_cmp_eq_u32 s12, 44
	s_mov_b64 s[0:1], -1
	s_cbranch_scc0 .LBB150_3111
; %bb.3108:
	v_cndmask_b32_e64 v3, 0, 1.0, s[20:21]
	v_lshrrev_b32_e32 v2, 23, v3
	s_movk_i32 s0, 0xff
	v_cmp_ne_u32_e32 vcc, s0, v2
	s_waitcnt vmcnt(0)
	v_mov_b32_e32 v4, 0xff
	s_and_saveexec_b64 s[4:5], vcc
; %bb.3109:
	s_mov_b32 s0, 0x3fffff
	v_and_b32_e32 v4, 0x400000, v3
	v_and_or_b32 v3, v3, s0, v2
	v_cmp_ne_u32_e32 vcc, 0, v4
	v_cmp_ne_u32_e64 s[0:1], 0, v3
	s_and_b64 s[0:1], vcc, s[0:1]
	v_cndmask_b32_e64 v3, 0, 1, s[0:1]
	v_add_u32_e32 v4, v2, v3
; %bb.3110:
	s_or_b64 exec, exec, s[4:5]
	s_mov_b64 s[0:1], 0
	global_store_byte v[0:1], v4, off
.LBB150_3111:
	s_mov_b64 s[4:5], 0
.LBB150_3112:
	s_and_b64 vcc, exec, s[4:5]
	s_cbranch_vccz .LBB150_3115
; %bb.3113:
	s_cmp_eq_u32 s12, 29
	s_mov_b64 s[0:1], -1
	s_cbranch_scc0 .LBB150_3115
; %bb.3114:
	s_mov_b32 s0, 0
	v_cndmask_b32_e64 v2, 0, 1, s[20:21]
	v_mov_b32_e32 v3, s0
	global_store_dwordx2 v[0:1], v[2:3], off
	s_mov_b64 s[0:1], 0
.LBB150_3115:
	s_mov_b64 s[4:5], 0
.LBB150_3116:
	s_and_b64 vcc, exec, s[4:5]
	s_cbranch_vccz .LBB150_3131
; %bb.3117:
	s_cmp_lt_i32 s12, 27
	s_mov_b64 s[4:5], -1
	s_cbranch_scc1 .LBB150_3123
; %bb.3118:
	s_cmp_gt_i32 s12, 27
	v_cndmask_b32_e64 v2, 0, 1, s[20:21]
	s_cbranch_scc0 .LBB150_3120
; %bb.3119:
	global_store_dword v[0:1], v2, off
	s_mov_b64 s[4:5], 0
.LBB150_3120:
	s_andn2_b64 vcc, exec, s[4:5]
	s_cbranch_vccnz .LBB150_3122
; %bb.3121:
	global_store_short v[0:1], v2, off
.LBB150_3122:
	s_mov_b64 s[4:5], 0
.LBB150_3123:
	s_andn2_b64 vcc, exec, s[4:5]
	s_cbranch_vccnz .LBB150_3131
; %bb.3124:
	v_cndmask_b32_e64 v3, 0, 1.0, s[20:21]
	s_mov_b32 s4, 0x43800000
	v_cmp_gt_u32_e32 vcc, s4, v3
	s_waitcnt vmcnt(0)
	v_mov_b32_e32 v4, 0x80
	s_and_saveexec_b64 s[4:5], vcc
	s_cbranch_execz .LBB150_3130
; %bb.3125:
	s_mov_b32 s8, 0x3bffffff
	v_cmp_lt_u32_e32 vcc, s8, v3
	s_mov_b64 s[8:9], 0
                                        ; implicit-def: $vgpr2
	s_and_saveexec_b64 s[10:11], vcc
	s_xor_b64 s[10:11], exec, s[10:11]
	s_cbranch_execz .LBB150_3191
; %bb.3126:
	v_bfe_u32 v2, v3, 20, 1
	s_mov_b32 s13, 0x487ffff
	v_add3_u32 v2, v3, v2, s13
	s_mov_b64 s[8:9], exec
	v_lshrrev_b32_e32 v2, 20, v2
                                        ; implicit-def: $vgpr3
	s_andn2_saveexec_b64 s[10:11], s[10:11]
	s_cbranch_execnz .LBB150_3192
.LBB150_3127:
	s_or_b64 exec, exec, s[10:11]
	v_mov_b32_e32 v4, 0
	s_and_saveexec_b64 s[10:11], s[8:9]
.LBB150_3128:
	v_mov_b32_e32 v4, v2
.LBB150_3129:
	s_or_b64 exec, exec, s[10:11]
.LBB150_3130:
	s_or_b64 exec, exec, s[4:5]
	global_store_byte v[0:1], v4, off
.LBB150_3131:
	s_mov_b64 s[4:5], 0
.LBB150_3132:
	s_and_b64 vcc, exec, s[4:5]
	s_cbranch_vccz .LBB150_3172
; %bb.3133:
	s_cmp_gt_i32 s12, 22
	s_mov_b64 s[2:3], -1
	s_cbranch_scc0 .LBB150_3165
; %bb.3134:
	s_cmp_lt_i32 s12, 24
	s_cbranch_scc1 .LBB150_3154
; %bb.3135:
	s_cmp_gt_i32 s12, 24
	s_cbranch_scc0 .LBB150_3143
; %bb.3136:
	v_cndmask_b32_e64 v3, 0, 1.0, s[20:21]
	s_mov_b32 s2, 0x47800000
	v_cmp_gt_u32_e32 vcc, s2, v3
	s_waitcnt vmcnt(0)
	v_mov_b32_e32 v4, 0x80
	s_and_saveexec_b64 s[2:3], vcc
	s_cbranch_execz .LBB150_3142
; %bb.3137:
	s_mov_b32 s4, 0x37ffffff
	v_cmp_lt_u32_e32 vcc, s4, v3
	s_mov_b64 s[4:5], 0
                                        ; implicit-def: $vgpr2
	s_and_saveexec_b64 s[8:9], vcc
	s_xor_b64 s[8:9], exec, s[8:9]
	s_cbranch_execz .LBB150_3194
; %bb.3138:
	v_bfe_u32 v2, v3, 21, 1
	s_mov_b32 s10, 0x88fffff
	v_add3_u32 v2, v3, v2, s10
	s_mov_b64 s[4:5], exec
	v_lshrrev_b32_e32 v2, 21, v2
                                        ; implicit-def: $vgpr3
	s_andn2_saveexec_b64 s[8:9], s[8:9]
	s_cbranch_execnz .LBB150_3195
.LBB150_3139:
	s_or_b64 exec, exec, s[8:9]
	v_mov_b32_e32 v4, 0
	s_and_saveexec_b64 s[8:9], s[4:5]
.LBB150_3140:
	v_mov_b32_e32 v4, v2
.LBB150_3141:
	s_or_b64 exec, exec, s[8:9]
.LBB150_3142:
	s_or_b64 exec, exec, s[2:3]
	s_mov_b64 s[2:3], 0
	global_store_byte v[0:1], v4, off
.LBB150_3143:
	s_and_b64 vcc, exec, s[2:3]
	s_cbranch_vccz .LBB150_3153
; %bb.3144:
	v_cndmask_b32_e64 v2, 0, 1.0, s[20:21]
	s_mov_b32 s2, 0x43f00000
	v_cmp_gt_u32_e32 vcc, s2, v2
                                        ; implicit-def: $vgpr3
	s_and_saveexec_b64 s[2:3], vcc
	s_xor_b64 s[2:3], exec, s[2:3]
	s_cbranch_execz .LBB150_3150
; %bb.3145:
	s_mov_b32 s4, 0x3c7fffff
	v_cmp_lt_u32_e32 vcc, s4, v2
                                        ; implicit-def: $vgpr3
	s_and_saveexec_b64 s[4:5], vcc
	s_xor_b64 s[4:5], exec, s[4:5]
	s_cbranch_execz .LBB150_3147
; %bb.3146:
	v_bfe_u32 v3, v2, 20, 1
	s_mov_b32 s8, 0x407ffff
	v_add3_u32 v2, v2, v3, s8
	v_lshrrev_b32_e32 v3, 20, v2
	v_and_b32_e32 v2, 0xff00000, v2
	s_mov_b32 s8, 0x7f00000
	s_waitcnt vmcnt(0)
	v_mov_b32_e32 v4, 0x7e
	v_cmp_ne_u32_e32 vcc, s8, v2
	v_cndmask_b32_e32 v3, v4, v3, vcc
                                        ; implicit-def: $vgpr2
.LBB150_3147:
	s_andn2_saveexec_b64 s[4:5], s[4:5]
; %bb.3148:
	v_add_f32_e32 v3, 0x46800000, v2
; %bb.3149:
	s_or_b64 exec, exec, s[4:5]
                                        ; implicit-def: $vgpr2
.LBB150_3150:
	s_andn2_saveexec_b64 s[2:3], s[2:3]
	s_cbranch_execz .LBB150_3152
; %bb.3151:
	s_mov_b32 s4, 0x7f800000
	v_mov_b32_e32 v3, 0x7e
	s_waitcnt vmcnt(0)
	v_mov_b32_e32 v4, 0x7f
	v_cmp_lt_u32_e32 vcc, s4, v2
	v_cndmask_b32_e32 v3, v3, v4, vcc
.LBB150_3152:
	s_or_b64 exec, exec, s[2:3]
	global_store_byte v[0:1], v3, off
.LBB150_3153:
	s_mov_b64 s[2:3], 0
.LBB150_3154:
	s_andn2_b64 vcc, exec, s[2:3]
	s_cbranch_vccnz .LBB150_3164
; %bb.3155:
	v_cndmask_b32_e64 v2, 0, 1.0, s[20:21]
	s_mov_b32 s2, 0x47800000
	v_cmp_gt_u32_e32 vcc, s2, v2
                                        ; implicit-def: $vgpr3
	s_and_saveexec_b64 s[2:3], vcc
	s_xor_b64 s[2:3], exec, s[2:3]
	s_cbranch_execz .LBB150_3161
; %bb.3156:
	s_mov_b32 s4, 0x387fffff
	v_cmp_lt_u32_e32 vcc, s4, v2
                                        ; implicit-def: $vgpr3
	s_and_saveexec_b64 s[4:5], vcc
	s_xor_b64 s[4:5], exec, s[4:5]
; %bb.3157:
	v_bfe_u32 v3, v2, 21, 1
	s_mov_b32 s8, 0x80fffff
	v_add3_u32 v2, v2, v3, s8
	v_lshrrev_b32_e32 v3, 21, v2
                                        ; implicit-def: $vgpr2
; %bb.3158:
	s_andn2_saveexec_b64 s[4:5], s[4:5]
; %bb.3159:
	v_add_f32_e32 v3, 0x43000000, v2
; %bb.3160:
	s_or_b64 exec, exec, s[4:5]
                                        ; implicit-def: $vgpr2
.LBB150_3161:
	s_andn2_saveexec_b64 s[2:3], s[2:3]
	s_cbranch_execz .LBB150_3163
; %bb.3162:
	s_mov_b32 s4, 0x7f800000
	v_mov_b32_e32 v3, 0x7c
	s_waitcnt vmcnt(0)
	v_mov_b32_e32 v4, 0x7f
	v_cmp_lt_u32_e32 vcc, s4, v2
	v_cndmask_b32_e32 v3, v3, v4, vcc
.LBB150_3163:
	s_or_b64 exec, exec, s[2:3]
	global_store_byte v[0:1], v3, off
.LBB150_3164:
	s_mov_b64 s[2:3], 0
.LBB150_3165:
	s_andn2_b64 vcc, exec, s[2:3]
	s_mov_b64 s[2:3], 0
	s_cbranch_vccnz .LBB150_3172
; %bb.3166:
	s_cmp_gt_i32 s12, 14
	s_mov_b64 s[4:5], -1
	s_cbranch_scc0 .LBB150_3170
; %bb.3167:
	s_cmp_eq_u32 s12, 15
	s_mov_b64 s[0:1], -1
	s_cbranch_scc0 .LBB150_3169
; %bb.3168:
	v_cndmask_b32_e64 v2, 0, 1.0, s[20:21]
	v_bfe_u32 v3, v2, 16, 1
	s_movk_i32 s0, 0x7fff
	v_add3_u32 v2, v2, v3, s0
	global_store_short_d16_hi v[0:1], v2, off
	s_mov_b64 s[0:1], 0
.LBB150_3169:
	s_mov_b64 s[4:5], 0
.LBB150_3170:
	s_and_b64 vcc, exec, s[4:5]
	s_cbranch_vccz .LBB150_3172
; %bb.3171:
	s_cmp_lg_u32 s12, 11
	s_mov_b64 s[2:3], -1
	s_cselect_b64 s[0:1], -1, 0
.LBB150_3172:
	s_and_b64 vcc, exec, s[0:1]
	s_cbranch_vccnz .LBB150_3193
.LBB150_3173:
	s_mov_b64 s[0:1], 0
	s_branch .LBB150_2694
.LBB150_3174:
	s_mov_b64 s[0:1], 0
	s_branch .LBB150_2693
.LBB150_3175:
	s_mov_b64 s[2:3], 0
	s_mov_b64 s[0:1], -1
	s_branch .LBB150_2694
.LBB150_3176:
	s_andn2_saveexec_b64 s[26:27], s[26:27]
	s_cbranch_execz .LBB150_2769
.LBB150_3177:
	v_add_f32_e32 v3, 0x46000000, v4
	v_and_b32_e32 v3, 0xff, v3
	v_cmp_ne_u32_e32 vcc, 0, v3
	s_andn2_b64 s[24:25], s[24:25], exec
	s_and_b64 s[30:31], vcc, exec
	s_or_b64 s[24:25], s[24:25], s[30:31]
	s_or_b64 exec, exec, s[26:27]
	v_mov_b32_e32 v5, 0
	s_and_saveexec_b64 s[26:27], s[24:25]
	s_cbranch_execnz .LBB150_2770
	s_branch .LBB150_2771
.LBB150_3178:
	s_trap 2
	s_or_b64 s[18:19], s[18:19], exec
	s_cbranch_execz .LBB150_2817
	s_branch .LBB150_2818
.LBB150_3179:
	s_andn2_saveexec_b64 s[24:25], s[24:25]
	s_cbranch_execz .LBB150_2782
.LBB150_3180:
	v_add_f32_e32 v3, 0x42800000, v4
	v_and_b32_e32 v3, 0xff, v3
	v_cmp_ne_u32_e32 vcc, 0, v3
	s_andn2_b64 s[10:11], s[10:11], exec
	s_and_b64 s[26:27], vcc, exec
	s_or_b64 s[10:11], s[10:11], s[26:27]
	s_or_b64 exec, exec, s[24:25]
	v_mov_b32_e32 v5, 0
	s_and_saveexec_b64 s[24:25], s[10:11]
	s_cbranch_execnz .LBB150_2783
	s_branch .LBB150_2784
.LBB150_3181:
	s_andn2_saveexec_b64 s[12:13], s[12:13]
	s_cbranch_execz .LBB150_2888
.LBB150_3182:
	v_add_f32_e32 v3, 0x46000000, v4
	v_and_b32_e32 v3, 0xff, v3
	v_cmp_ne_u32_e32 vcc, 0, v3
	s_andn2_b64 s[10:11], s[10:11], exec
	s_and_b64 s[26:27], vcc, exec
	s_or_b64 s[10:11], s[10:11], s[26:27]
	s_or_b64 exec, exec, s[12:13]
	v_mov_b32_e32 v5, 0
	s_and_saveexec_b64 s[12:13], s[10:11]
	s_cbranch_execnz .LBB150_2889
	s_branch .LBB150_2890
.LBB150_3183:
	s_trap 2
	s_or_b64 s[18:19], s[18:19], exec
	s_cbranch_execz .LBB150_2936
	s_branch .LBB150_2937
.LBB150_3184:
	s_andn2_saveexec_b64 s[10:11], s[10:11]
	s_cbranch_execz .LBB150_2901
.LBB150_3185:
	v_add_f32_e32 v3, 0x42800000, v4
	v_and_b32_e32 v3, 0xff, v3
	v_cmp_ne_u32_e32 vcc, 0, v3
	s_andn2_b64 s[4:5], s[4:5], exec
	s_and_b64 s[12:13], vcc, exec
	s_or_b64 s[4:5], s[4:5], s[12:13]
	s_or_b64 exec, exec, s[10:11]
	v_mov_b32_e32 v5, 0
	s_and_saveexec_b64 s[10:11], s[4:5]
	s_cbranch_execnz .LBB150_2902
	s_branch .LBB150_2903
.LBB150_3186:
	s_andn2_saveexec_b64 s[12:13], s[12:13]
	s_cbranch_execz .LBB150_3007
.LBB150_3187:
	v_add_f32_e32 v3, 0x46000000, v4
	v_and_b32_e32 v3, 0xff, v3
	v_cmp_ne_u32_e32 vcc, 0, v3
	s_andn2_b64 s[10:11], s[10:11], exec
	s_and_b64 s[26:27], vcc, exec
	s_or_b64 s[10:11], s[10:11], s[26:27]
	s_or_b64 exec, exec, s[12:13]
	v_mov_b32_e32 v5, 0
	s_and_saveexec_b64 s[12:13], s[10:11]
	s_cbranch_execnz .LBB150_3008
	s_branch .LBB150_3009
.LBB150_3188:
	s_trap 2
	s_or_b64 s[18:19], s[18:19], exec
	s_cbranch_execz .LBB150_3055
	s_branch .LBB150_3056
.LBB150_3189:
	s_andn2_saveexec_b64 s[10:11], s[10:11]
	s_cbranch_execz .LBB150_3020
.LBB150_3190:
	v_add_f32_e32 v3, 0x42800000, v4
	v_and_b32_e32 v3, 0xff, v3
	v_cmp_ne_u32_e32 vcc, 0, v3
	s_andn2_b64 s[4:5], s[4:5], exec
	s_and_b64 s[12:13], vcc, exec
	s_or_b64 s[4:5], s[4:5], s[12:13]
	s_or_b64 exec, exec, s[10:11]
	v_mov_b32_e32 v5, 0
	s_and_saveexec_b64 s[10:11], s[4:5]
	s_cbranch_execnz .LBB150_3021
	s_branch .LBB150_3022
.LBB150_3191:
	s_andn2_saveexec_b64 s[10:11], s[10:11]
	s_cbranch_execz .LBB150_3127
.LBB150_3192:
	v_add_f32_e32 v2, 0x46000000, v3
	v_and_b32_e32 v2, 0xff, v2
	v_cmp_ne_u32_e32 vcc, 0, v2
	s_andn2_b64 s[8:9], s[8:9], exec
	s_and_b64 s[14:15], vcc, exec
	s_or_b64 s[8:9], s[8:9], s[14:15]
	s_or_b64 exec, exec, s[10:11]
	v_mov_b32_e32 v4, 0
	s_and_saveexec_b64 s[10:11], s[8:9]
	s_cbranch_execnz .LBB150_3128
	s_branch .LBB150_3129
.LBB150_3193:
	s_mov_b64 s[2:3], 0
	s_or_b64 s[18:19], s[18:19], exec
	s_trap 2
	s_branch .LBB150_3173
.LBB150_3194:
	s_andn2_saveexec_b64 s[8:9], s[8:9]
	s_cbranch_execz .LBB150_3139
.LBB150_3195:
	v_add_f32_e32 v2, 0x42800000, v3
	v_and_b32_e32 v2, 0xff, v2
	v_cmp_ne_u32_e32 vcc, 0, v2
	s_andn2_b64 s[4:5], s[4:5], exec
	s_and_b64 s[10:11], vcc, exec
	s_or_b64 s[4:5], s[4:5], s[10:11]
	s_or_b64 exec, exec, s[8:9]
	v_mov_b32_e32 v4, 0
	s_and_saveexec_b64 s[8:9], s[4:5]
	s_cbranch_execnz .LBB150_3140
	s_branch .LBB150_3141
	.section	.rodata,"a",@progbits
	.p2align	6, 0x0
	.amdhsa_kernel _ZN2at6native32elementwise_kernel_manual_unrollILi128ELi4EZNS0_15gpu_kernel_implINS0_13BinaryFunctorIN3c107complexINS4_4HalfEEES7_bNS0_12_GLOBAL__N_116CompareEqFunctorIS7_EEEEEEvRNS_18TensorIteratorBaseERKT_EUlibE_EEviT1_
		.amdhsa_group_segment_fixed_size 0
		.amdhsa_private_segment_fixed_size 0
		.amdhsa_kernarg_size 56
		.amdhsa_user_sgpr_count 6
		.amdhsa_user_sgpr_private_segment_buffer 1
		.amdhsa_user_sgpr_dispatch_ptr 0
		.amdhsa_user_sgpr_queue_ptr 0
		.amdhsa_user_sgpr_kernarg_segment_ptr 1
		.amdhsa_user_sgpr_dispatch_id 0
		.amdhsa_user_sgpr_flat_scratch_init 0
		.amdhsa_user_sgpr_private_segment_size 0
		.amdhsa_uses_dynamic_stack 0
		.amdhsa_system_sgpr_private_segment_wavefront_offset 0
		.amdhsa_system_sgpr_workgroup_id_x 1
		.amdhsa_system_sgpr_workgroup_id_y 0
		.amdhsa_system_sgpr_workgroup_id_z 0
		.amdhsa_system_sgpr_workgroup_info 0
		.amdhsa_system_vgpr_workitem_id 0
		.amdhsa_next_free_vgpr 22
		.amdhsa_next_free_sgpr 59
		.amdhsa_reserve_vcc 1
		.amdhsa_reserve_flat_scratch 0
		.amdhsa_float_round_mode_32 0
		.amdhsa_float_round_mode_16_64 0
		.amdhsa_float_denorm_mode_32 3
		.amdhsa_float_denorm_mode_16_64 3
		.amdhsa_dx10_clamp 1
		.amdhsa_ieee_mode 1
		.amdhsa_fp16_overflow 0
		.amdhsa_exception_fp_ieee_invalid_op 0
		.amdhsa_exception_fp_denorm_src 0
		.amdhsa_exception_fp_ieee_div_zero 0
		.amdhsa_exception_fp_ieee_overflow 0
		.amdhsa_exception_fp_ieee_underflow 0
		.amdhsa_exception_fp_ieee_inexact 0
		.amdhsa_exception_int_div_zero 0
	.end_amdhsa_kernel
	.section	.text._ZN2at6native32elementwise_kernel_manual_unrollILi128ELi4EZNS0_15gpu_kernel_implINS0_13BinaryFunctorIN3c107complexINS4_4HalfEEES7_bNS0_12_GLOBAL__N_116CompareEqFunctorIS7_EEEEEEvRNS_18TensorIteratorBaseERKT_EUlibE_EEviT1_,"axG",@progbits,_ZN2at6native32elementwise_kernel_manual_unrollILi128ELi4EZNS0_15gpu_kernel_implINS0_13BinaryFunctorIN3c107complexINS4_4HalfEEES7_bNS0_12_GLOBAL__N_116CompareEqFunctorIS7_EEEEEEvRNS_18TensorIteratorBaseERKT_EUlibE_EEviT1_,comdat
.Lfunc_end150:
	.size	_ZN2at6native32elementwise_kernel_manual_unrollILi128ELi4EZNS0_15gpu_kernel_implINS0_13BinaryFunctorIN3c107complexINS4_4HalfEEES7_bNS0_12_GLOBAL__N_116CompareEqFunctorIS7_EEEEEEvRNS_18TensorIteratorBaseERKT_EUlibE_EEviT1_, .Lfunc_end150-_ZN2at6native32elementwise_kernel_manual_unrollILi128ELi4EZNS0_15gpu_kernel_implINS0_13BinaryFunctorIN3c107complexINS4_4HalfEEES7_bNS0_12_GLOBAL__N_116CompareEqFunctorIS7_EEEEEEvRNS_18TensorIteratorBaseERKT_EUlibE_EEviT1_
                                        ; -- End function
	.set _ZN2at6native32elementwise_kernel_manual_unrollILi128ELi4EZNS0_15gpu_kernel_implINS0_13BinaryFunctorIN3c107complexINS4_4HalfEEES7_bNS0_12_GLOBAL__N_116CompareEqFunctorIS7_EEEEEEvRNS_18TensorIteratorBaseERKT_EUlibE_EEviT1_.num_vgpr, 22
	.set _ZN2at6native32elementwise_kernel_manual_unrollILi128ELi4EZNS0_15gpu_kernel_implINS0_13BinaryFunctorIN3c107complexINS4_4HalfEEES7_bNS0_12_GLOBAL__N_116CompareEqFunctorIS7_EEEEEEvRNS_18TensorIteratorBaseERKT_EUlibE_EEviT1_.num_agpr, 0
	.set _ZN2at6native32elementwise_kernel_manual_unrollILi128ELi4EZNS0_15gpu_kernel_implINS0_13BinaryFunctorIN3c107complexINS4_4HalfEEES7_bNS0_12_GLOBAL__N_116CompareEqFunctorIS7_EEEEEEvRNS_18TensorIteratorBaseERKT_EUlibE_EEviT1_.numbered_sgpr, 59
	.set _ZN2at6native32elementwise_kernel_manual_unrollILi128ELi4EZNS0_15gpu_kernel_implINS0_13BinaryFunctorIN3c107complexINS4_4HalfEEES7_bNS0_12_GLOBAL__N_116CompareEqFunctorIS7_EEEEEEvRNS_18TensorIteratorBaseERKT_EUlibE_EEviT1_.num_named_barrier, 0
	.set _ZN2at6native32elementwise_kernel_manual_unrollILi128ELi4EZNS0_15gpu_kernel_implINS0_13BinaryFunctorIN3c107complexINS4_4HalfEEES7_bNS0_12_GLOBAL__N_116CompareEqFunctorIS7_EEEEEEvRNS_18TensorIteratorBaseERKT_EUlibE_EEviT1_.private_seg_size, 0
	.set _ZN2at6native32elementwise_kernel_manual_unrollILi128ELi4EZNS0_15gpu_kernel_implINS0_13BinaryFunctorIN3c107complexINS4_4HalfEEES7_bNS0_12_GLOBAL__N_116CompareEqFunctorIS7_EEEEEEvRNS_18TensorIteratorBaseERKT_EUlibE_EEviT1_.uses_vcc, 1
	.set _ZN2at6native32elementwise_kernel_manual_unrollILi128ELi4EZNS0_15gpu_kernel_implINS0_13BinaryFunctorIN3c107complexINS4_4HalfEEES7_bNS0_12_GLOBAL__N_116CompareEqFunctorIS7_EEEEEEvRNS_18TensorIteratorBaseERKT_EUlibE_EEviT1_.uses_flat_scratch, 0
	.set _ZN2at6native32elementwise_kernel_manual_unrollILi128ELi4EZNS0_15gpu_kernel_implINS0_13BinaryFunctorIN3c107complexINS4_4HalfEEES7_bNS0_12_GLOBAL__N_116CompareEqFunctorIS7_EEEEEEvRNS_18TensorIteratorBaseERKT_EUlibE_EEviT1_.has_dyn_sized_stack, 0
	.set _ZN2at6native32elementwise_kernel_manual_unrollILi128ELi4EZNS0_15gpu_kernel_implINS0_13BinaryFunctorIN3c107complexINS4_4HalfEEES7_bNS0_12_GLOBAL__N_116CompareEqFunctorIS7_EEEEEEvRNS_18TensorIteratorBaseERKT_EUlibE_EEviT1_.has_recursion, 0
	.set _ZN2at6native32elementwise_kernel_manual_unrollILi128ELi4EZNS0_15gpu_kernel_implINS0_13BinaryFunctorIN3c107complexINS4_4HalfEEES7_bNS0_12_GLOBAL__N_116CompareEqFunctorIS7_EEEEEEvRNS_18TensorIteratorBaseERKT_EUlibE_EEviT1_.has_indirect_call, 0
	.section	.AMDGPU.csdata,"",@progbits
; Kernel info:
; codeLenInByte = 59148
; TotalNumSgprs: 63
; NumVgprs: 22
; ScratchSize: 0
; MemoryBound: 0
; FloatMode: 240
; IeeeMode: 1
; LDSByteSize: 0 bytes/workgroup (compile time only)
; SGPRBlocks: 7
; VGPRBlocks: 5
; NumSGPRsForWavesPerEU: 63
; NumVGPRsForWavesPerEU: 22
; Occupancy: 10
; WaveLimiterHint : 0
; COMPUTE_PGM_RSRC2:SCRATCH_EN: 0
; COMPUTE_PGM_RSRC2:USER_SGPR: 6
; COMPUTE_PGM_RSRC2:TRAP_HANDLER: 0
; COMPUTE_PGM_RSRC2:TGID_X_EN: 1
; COMPUTE_PGM_RSRC2:TGID_Y_EN: 0
; COMPUTE_PGM_RSRC2:TGID_Z_EN: 0
; COMPUTE_PGM_RSRC2:TIDIG_COMP_CNT: 0
	.section	.text._ZN2at6native32elementwise_kernel_manual_unrollILi128ELi4EZNS0_15gpu_kernel_implINS0_13BinaryFunctorIN3c107complexINS4_4HalfEEES7_bNS0_12_GLOBAL__N_116CompareEqFunctorIS7_EEEEEEvRNS_18TensorIteratorBaseERKT_EUlibE0_EEviT1_,"axG",@progbits,_ZN2at6native32elementwise_kernel_manual_unrollILi128ELi4EZNS0_15gpu_kernel_implINS0_13BinaryFunctorIN3c107complexINS4_4HalfEEES7_bNS0_12_GLOBAL__N_116CompareEqFunctorIS7_EEEEEEvRNS_18TensorIteratorBaseERKT_EUlibE0_EEviT1_,comdat
	.globl	_ZN2at6native32elementwise_kernel_manual_unrollILi128ELi4EZNS0_15gpu_kernel_implINS0_13BinaryFunctorIN3c107complexINS4_4HalfEEES7_bNS0_12_GLOBAL__N_116CompareEqFunctorIS7_EEEEEEvRNS_18TensorIteratorBaseERKT_EUlibE0_EEviT1_ ; -- Begin function _ZN2at6native32elementwise_kernel_manual_unrollILi128ELi4EZNS0_15gpu_kernel_implINS0_13BinaryFunctorIN3c107complexINS4_4HalfEEES7_bNS0_12_GLOBAL__N_116CompareEqFunctorIS7_EEEEEEvRNS_18TensorIteratorBaseERKT_EUlibE0_EEviT1_
	.p2align	8
	.type	_ZN2at6native32elementwise_kernel_manual_unrollILi128ELi4EZNS0_15gpu_kernel_implINS0_13BinaryFunctorIN3c107complexINS4_4HalfEEES7_bNS0_12_GLOBAL__N_116CompareEqFunctorIS7_EEEEEEvRNS_18TensorIteratorBaseERKT_EUlibE0_EEviT1_,@function
_ZN2at6native32elementwise_kernel_manual_unrollILi128ELi4EZNS0_15gpu_kernel_implINS0_13BinaryFunctorIN3c107complexINS4_4HalfEEES7_bNS0_12_GLOBAL__N_116CompareEqFunctorIS7_EEEEEEvRNS_18TensorIteratorBaseERKT_EUlibE0_EEviT1_: ; @_ZN2at6native32elementwise_kernel_manual_unrollILi128ELi4EZNS0_15gpu_kernel_implINS0_13BinaryFunctorIN3c107complexINS4_4HalfEEES7_bNS0_12_GLOBAL__N_116CompareEqFunctorIS7_EEEEEEvRNS_18TensorIteratorBaseERKT_EUlibE0_EEviT1_
; %bb.0:
	s_load_dword s70, s[4:5], 0x0
	s_load_dword s33, s[4:5], 0x8
	s_add_u32 s2, s4, 8
	s_addc_u32 s3, s5, 0
	v_lshl_or_b32 v8, s6, 9, v0
	v_or_b32_e32 v23, 0x180, v8
	s_waitcnt lgkmcnt(0)
	s_add_i32 s72, s33, -1
	s_cmp_gt_u32 s72, 1
	v_cmp_le_i32_e32 vcc, s70, v23
	s_cselect_b64 s[24:25], -1, 0
	s_mov_b64 s[6:7], 0
	s_mov_b64 s[12:13], 0
	s_and_saveexec_b64 s[0:1], vcc
	s_xor_b64 s[26:27], exec, s[0:1]
	s_cbranch_execz .LBB151_1646
; %bb.1:
	s_cmp_lg_u32 s33, 0
	s_load_dwordx4 s[16:19], s[2:3], 0x4
	s_load_dwordx2 s[34:35], s[2:3], 0x14
	s_load_dwordx8 s[8:15], s[2:3], 0x188
	s_load_dwordx4 s[20:23], s[2:3], 0xc4
	s_load_dwordx2 s[30:31], s[2:3], 0xd4
	s_cselect_b64 s[38:39], -1, 0
	s_min_u32 s75, s72, 15
	s_cmp_gt_u32 s33, 1
	s_cselect_b64 s[36:37], -1, 0
	s_waitcnt lgkmcnt(0)
	s_lshr_b32 s74, s15, 8
	s_lshr_b32 s73, s15, 16
	s_cmp_lg_u32 s14, 0
	s_cselect_b64 s[28:29], -1, 0
	v_cmp_gt_i32_e32 vcc, s70, v8
	s_mov_b64 s[0:1], -1
	s_mov_b64 s[50:51], 0
	s_mov_b64 s[44:45], 0
	;; [unrolled: 1-line block ×4, first 2 shown]
	s_and_saveexec_b64 s[46:47], vcc
	s_cbranch_execz .LBB151_407
; %bb.2:
	s_andn2_b64 vcc, exec, s[24:25]
	s_cbranch_vccnz .LBB151_8
; %bb.3:
	s_andn2_b64 vcc, exec, s[38:39]
	s_cbranch_vccnz .LBB151_9
; %bb.4:
	s_add_i32 s0, s75, 1
	s_and_b32 s14, s0, 30
	s_add_u32 s0, s2, 0xffffffe8
	s_addc_u32 s1, s3, -1
	v_mov_b32_e32 v2, 0
	v_mov_b32_e32 v4, 0
	;; [unrolled: 1-line block ×4, first 2 shown]
.LBB151_5:                              ; =>This Inner Loop Header: Depth=1
	s_load_dwordx4 s[40:43], s[0:1], 0x1c
	s_load_dwordx2 s[44:45], s[0:1], 0x2c
	s_load_dwordx2 s[48:49], s[0:1], 0xec
	s_load_dwordx4 s[52:55], s[0:1], 0xdc
	s_add_u32 s0, s0, 24
	s_waitcnt lgkmcnt(0)
	v_mul_hi_u32 v3, s41, v1
	s_addc_u32 s1, s1, 0
	s_add_i32 s14, s14, -2
	s_cmp_lg_u32 s14, 0
	v_add_u32_e32 v3, v1, v3
	v_lshrrev_b32_e32 v3, s42, v3
	v_mul_lo_u32 v5, v3, s40
	v_mul_hi_u32 v6, s44, v3
	v_sub_u32_e32 v5, v1, v5
	v_add_u32_e32 v1, v3, v6
	v_lshrrev_b32_e32 v1, s45, v1
	v_mul_lo_u32 v9, v1, s43
	v_mul_lo_u32 v6, v5, s52
	;; [unrolled: 1-line block ×4, first 2 shown]
	v_sub_u32_e32 v3, v3, v9
	v_mul_lo_u32 v9, v3, s55
	v_mul_lo_u32 v10, v3, s48
	;; [unrolled: 1-line block ×3, first 2 shown]
	v_add3_u32 v0, v6, v0, v9
	v_add3_u32 v4, v7, v4, v10
	;; [unrolled: 1-line block ×3, first 2 shown]
	s_cbranch_scc1 .LBB151_5
; %bb.6:
	s_bitcmp1_b32 s75, 0
	s_cselect_b64 s[40:41], -1, 0
	s_and_b64 vcc, exec, s[40:41]
	s_cbranch_vccnz .LBB151_10
; %bb.7:
	s_load_dwordx2 s[40:41], s[0:1], 0x1c
	s_load_dword s14, s[0:1], 0x24
	s_load_dwordx2 s[42:43], s[0:1], 0xdc
	s_waitcnt lgkmcnt(0)
	v_mul_hi_u32 v3, s41, v1
	v_add_u32_e32 v3, v1, v3
	v_lshrrev_b32_e32 v3, s14, v3
	v_mul_lo_u32 v3, v3, s40
	s_load_dword s14, s[0:1], 0xe4
	v_sub_u32_e32 v3, v1, v3
	v_mad_u64_u32 v[0:1], s[0:1], v3, s42, v[0:1]
	v_mad_u64_u32 v[4:5], s[0:1], v3, s43, v[4:5]
	s_waitcnt lgkmcnt(0)
	v_mad_u64_u32 v[2:3], s[0:1], v3, s14, v[2:3]
	s_cbranch_execz .LBB151_11
	s_branch .LBB151_13
.LBB151_8:
                                        ; implicit-def: $vgpr0
                                        ; implicit-def: $vgpr4
                                        ; implicit-def: $vgpr2
	s_andn2_b64 vcc, exec, s[0:1]
	s_cbranch_vccz .LBB151_11
	s_branch .LBB151_13
.LBB151_9:
	v_mov_b32_e32 v0, 0
	v_mov_b32_e32 v4, 0
	;; [unrolled: 1-line block ×3, first 2 shown]
.LBB151_10:
	s_cbranch_execnz .LBB151_13
.LBB151_11:
	v_mul_hi_u32 v0, s17, v8
	s_andn2_b64 vcc, exec, s[36:37]
	v_add_u32_e32 v0, v8, v0
	v_lshrrev_b32_e32 v1, s18, v0
	v_mul_lo_u32 v0, v1, s16
	v_sub_u32_e32 v2, v8, v0
	v_mul_lo_u32 v0, v2, s20
	v_mul_lo_u32 v4, v2, s21
	;; [unrolled: 1-line block ×3, first 2 shown]
	s_cbranch_vccnz .LBB151_13
; %bb.12:
	v_mul_hi_u32 v3, s34, v1
	v_add_u32_e32 v3, v1, v3
	v_lshrrev_b32_e32 v3, s35, v3
	v_mul_lo_u32 v3, v3, s19
	v_sub_u32_e32 v3, v1, v3
	v_mad_u64_u32 v[0:1], s[0:1], v3, s23, v[0:1]
	v_mad_u64_u32 v[4:5], s[0:1], v3, s30, v[4:5]
	;; [unrolled: 1-line block ×3, first 2 shown]
.LBB151_13:
	v_mov_b32_e32 v1, s11
	s_and_b32 s14, s74, 0xff
	v_add_co_u32_e32 v3, vcc, s10, v4
	s_cmp_lt_i32 s14, 11
	v_addc_co_u32_e32 v4, vcc, 0, v1, vcc
	s_cbranch_scc1 .LBB151_20
; %bb.14:
	s_and_b32 s48, 0xffff, s14
	s_cmp_gt_i32 s48, 25
	s_cbranch_scc0 .LBB151_29
; %bb.15:
	s_cmp_gt_i32 s48, 28
	s_cbranch_scc0 .LBB151_42
; %bb.16:
	;; [unrolled: 3-line block ×4, first 2 shown]
	s_cmp_eq_u32 s48, 46
	s_mov_b64 s[40:41], 0
	s_cbranch_scc0 .LBB151_52
; %bb.19:
	global_load_dword v1, v[3:4], off
	s_mov_b64 s[0:1], -1
	s_mov_b64 s[44:45], 0
	s_waitcnt vmcnt(0)
	v_and_b32_e32 v6, 0xffff0000, v1
	v_lshlrev_b32_e32 v1, 16, v1
	v_cvt_f16_f32_e32 v5, v1
	v_cvt_f16_f32_e32 v6, v6
	s_branch .LBB151_54
.LBB151_20:
	s_mov_b64 s[44:45], 0
                                        ; implicit-def: $vgpr6
                                        ; implicit-def: $vgpr5
	s_mov_b64 s[0:1], 0
	s_cbranch_execnz .LBB151_122
.LBB151_21:
	s_andn2_b64 vcc, exec, s[0:1]
	s_cbranch_vccnz .LBB151_171
.LBB151_22:
	v_mov_b32_e32 v3, s13
	s_and_b32 s14, s73, 0xff
	v_add_co_u32_e32 v1, vcc, s12, v2
	s_cmp_lt_i32 s14, 11
	v_addc_co_u32_e32 v2, vcc, 0, v3, vcc
	s_cbranch_scc1 .LBB151_30
; %bb.23:
	s_and_b32 s52, 0xffff, s14
	s_cmp_gt_i32 s52, 25
	s_cbranch_scc0 .LBB151_43
; %bb.24:
	s_cmp_gt_i32 s52, 28
	s_cbranch_scc0 .LBB151_47
; %bb.25:
	;; [unrolled: 3-line block ×4, first 2 shown]
	s_cmp_eq_u32 s52, 46
	s_mov_b64 s[40:41], 0
	s_cbranch_scc0 .LBB151_172
; %bb.28:
	global_load_dword v3, v[1:2], off
	s_mov_b64 s[0:1], -1
	s_mov_b64 s[42:43], 0
	s_waitcnt vmcnt(0)
	v_and_b32_e32 v4, 0xffff0000, v3
	v_lshlrev_b32_e32 v3, 16, v3
	v_cvt_f16_f32_e32 v3, v3
	v_cvt_f16_f32_e32 v4, v4
	s_branch .LBB151_174
.LBB151_29:
	s_mov_b64 s[44:45], 0
	s_mov_b64 s[0:1], 0
                                        ; implicit-def: $vgpr6
                                        ; implicit-def: $vgpr5
	s_cbranch_execnz .LBB151_87
	s_branch .LBB151_121
.LBB151_30:
	s_mov_b64 s[42:43], 0
                                        ; implicit-def: $vgpr4
                                        ; implicit-def: $vgpr3
	s_mov_b64 s[0:1], 0
	s_cbranch_execnz .LBB151_354
.LBB151_31:
	s_andn2_b64 vcc, exec, s[0:1]
	s_cbranch_vccnz .LBB151_404
.LBB151_32:
	s_and_b64 vcc, exec, s[28:29]
	s_cbranch_vccz .LBB151_45
; %bb.33:
	s_waitcnt vmcnt(0)
	v_cmp_neq_f16_e32 vcc, v5, v3
	v_cmp_neq_f16_e64 s[0:1], v6, v4
	s_or_b64 s[40:41], vcc, s[0:1]
	s_cbranch_execnz .LBB151_35
.LBB151_34:
	s_waitcnt vmcnt(0)
	v_cmp_eq_f16_e32 vcc, v5, v3
	v_cmp_eq_f16_e64 s[0:1], v6, v4
	s_and_b64 s[0:1], vcc, s[0:1]
	s_andn2_b64 s[40:41], s[40:41], exec
	s_and_b64 s[0:1], s[0:1], exec
	s_or_b64 s[40:41], s[40:41], s[0:1]
.LBB151_35:
	v_mov_b32_e32 v1, s9
	s_and_b32 s14, s15, 0xff
	v_add_co_u32_e32 v0, vcc, s8, v0
	s_cmp_lt_i32 s14, 11
	v_addc_co_u32_e32 v1, vcc, 0, v1, vcc
	s_cbranch_scc1 .LBB151_44
; %bb.36:
	s_and_b32 s56, 0xffff, s14
	s_cmp_gt_i32 s56, 25
	s_cbranch_scc0 .LBB151_48
; %bb.37:
	s_cmp_gt_i32 s56, 28
	s_cbranch_scc0 .LBB151_51
; %bb.38:
	;; [unrolled: 3-line block ×4, first 2 shown]
	s_mov_b64 s[52:53], 0
	s_mov_b64 s[0:1], -1
	s_cmp_eq_u32 s56, 46
	s_mov_b64 s[48:49], 0
	s_cbranch_scc0 .LBB151_178
; %bb.41:
	v_cndmask_b32_e64 v2, 0, 1.0, s[40:41]
	s_waitcnt vmcnt(0)
	v_bfe_u32 v3, v2, 16, 1
	s_movk_i32 s0, 0x7fff
	v_add3_u32 v2, v2, v3, s0
	v_lshrrev_b32_e32 v2, 16, v2
	global_store_dword v[0:1], v2, off
	s_mov_b64 s[48:49], -1
	s_mov_b64 s[0:1], 0
	s_branch .LBB151_178
.LBB151_42:
	s_mov_b64 s[40:41], -1
	s_mov_b64 s[44:45], 0
	s_mov_b64 s[0:1], 0
                                        ; implicit-def: $vgpr6
                                        ; implicit-def: $vgpr5
	s_branch .LBB151_68
.LBB151_43:
	s_mov_b64 s[40:41], -1
	s_mov_b64 s[42:43], 0
	s_mov_b64 s[0:1], 0
                                        ; implicit-def: $vgpr4
                                        ; implicit-def: $vgpr3
	s_branch .LBB151_317
.LBB151_44:
	s_mov_b64 s[52:53], -1
	s_mov_b64 s[0:1], 0
	s_mov_b64 s[48:49], 0
	s_branch .LBB151_247
.LBB151_45:
                                        ; implicit-def: $sgpr40_sgpr41
	s_branch .LBB151_34
.LBB151_46:
	s_mov_b64 s[40:41], -1
	s_mov_b64 s[44:45], 0
	s_mov_b64 s[0:1], 0
                                        ; implicit-def: $vgpr6
                                        ; implicit-def: $vgpr5
	s_branch .LBB151_62
.LBB151_47:
	s_mov_b64 s[40:41], -1
	s_mov_b64 s[42:43], 0
	s_mov_b64 s[0:1], 0
                                        ; implicit-def: $vgpr4
                                        ; implicit-def: $vgpr3
	s_branch .LBB151_298
.LBB151_48:
	s_mov_b64 s[52:53], -1
	s_mov_b64 s[0:1], 0
	s_mov_b64 s[48:49], 0
	s_branch .LBB151_205
.LBB151_49:
	s_mov_b64 s[40:41], -1
	s_mov_b64 s[44:45], 0
	s_branch .LBB151_53
.LBB151_50:
	s_mov_b64 s[40:41], -1
	s_mov_b64 s[42:43], 0
	s_mov_b64 s[0:1], 0
                                        ; implicit-def: $vgpr4
                                        ; implicit-def: $vgpr3
	s_branch .LBB151_292
.LBB151_51:
	s_mov_b64 s[52:53], -1
	s_mov_b64 s[0:1], 0
	s_mov_b64 s[48:49], 0
	s_branch .LBB151_188
.LBB151_52:
	s_mov_b64 s[44:45], -1
.LBB151_53:
	s_mov_b64 s[0:1], 0
                                        ; implicit-def: $vgpr6
                                        ; implicit-def: $vgpr5
.LBB151_54:
	s_and_b64 vcc, exec, s[40:41]
	s_cbranch_vccz .LBB151_61
; %bb.55:
	s_cmp_eq_u32 s48, 44
	s_cbranch_scc0 .LBB151_59
; %bb.56:
	global_load_ubyte v1, v[3:4], off
	s_movk_i32 s40, 0xff
	v_mov_b32_e32 v6, 0x7e00
	s_mov_b64 s[0:1], -1
	s_mov_b64 s[44:45], 0
	s_waitcnt vmcnt(0)
	v_lshlrev_b32_e32 v5, 23, v1
	v_cvt_f16_f32_e32 v5, v5
	v_cmp_ne_u32_e32 vcc, s40, v1
	v_cndmask_b32_e32 v5, v6, v5, vcc
	v_cmp_ne_u32_e32 vcc, 0, v1
	v_cndmask_b32_e32 v5, 0, v5, vcc
	s_branch .LBB151_60
.LBB151_57:
	s_mov_b64 s[40:41], -1
	s_mov_b64 s[42:43], 0
	s_branch .LBB151_173
.LBB151_58:
	s_mov_b64 s[52:53], -1
	s_mov_b64 s[0:1], 0
	s_mov_b64 s[48:49], 0
	s_branch .LBB151_184
.LBB151_59:
	s_mov_b64 s[44:45], -1
                                        ; implicit-def: $vgpr5
.LBB151_60:
	v_mov_b32_e32 v6, 0
.LBB151_61:
	s_mov_b64 s[40:41], 0
.LBB151_62:
	s_and_b64 vcc, exec, s[40:41]
	s_cbranch_vccz .LBB151_67
; %bb.63:
	s_cmp_eq_u32 s48, 29
	s_cbranch_scc0 .LBB151_65
; %bb.64:
	global_load_dwordx2 v[5:6], v[3:4], off
	s_mov_b64 s[0:1], -1
	s_mov_b64 s[44:45], 0
	s_waitcnt vmcnt(0)
	v_ffbh_u32_e32 v1, v6
	v_min_u32_e32 v1, 32, v1
	v_lshlrev_b64 v[5:6], v1, v[5:6]
	v_sub_u32_e32 v1, 32, v1
	v_min_u32_e32 v5, 1, v5
	v_or_b32_e32 v5, v6, v5
	v_cvt_f32_u32_e32 v5, v5
	v_ldexp_f32 v1, v5, v1
	v_cvt_f16_f32_e32 v5, v1
	s_branch .LBB151_66
.LBB151_65:
	s_mov_b64 s[44:45], -1
                                        ; implicit-def: $vgpr5
.LBB151_66:
	v_mov_b32_e32 v6, 0
.LBB151_67:
	s_mov_b64 s[40:41], 0
.LBB151_68:
	s_and_b64 vcc, exec, s[40:41]
	s_cbranch_vccz .LBB151_86
; %bb.69:
	s_cmp_lt_i32 s48, 27
	s_cbranch_scc1 .LBB151_72
; %bb.70:
	s_cmp_gt_i32 s48, 27
	s_cbranch_scc0 .LBB151_73
; %bb.71:
	global_load_dword v1, v[3:4], off
	s_mov_b64 s[0:1], 0
	s_waitcnt vmcnt(0)
	v_cvt_f32_u32_e32 v1, v1
	v_cvt_f16_f32_e32 v5, v1
	s_branch .LBB151_74
.LBB151_72:
	s_mov_b64 s[0:1], -1
                                        ; implicit-def: $vgpr5
	s_branch .LBB151_77
.LBB151_73:
	s_mov_b64 s[0:1], -1
                                        ; implicit-def: $vgpr5
.LBB151_74:
	s_andn2_b64 vcc, exec, s[0:1]
	s_cbranch_vccnz .LBB151_76
; %bb.75:
	global_load_ushort v1, v[3:4], off
	s_waitcnt vmcnt(0)
	v_cvt_f16_u16_e32 v5, v1
.LBB151_76:
	s_mov_b64 s[0:1], 0
.LBB151_77:
	s_andn2_b64 vcc, exec, s[0:1]
	s_cbranch_vccnz .LBB151_85
; %bb.78:
	global_load_ubyte v1, v[3:4], off
	s_movk_i32 s0, 0x7f
	s_waitcnt vmcnt(0)
	v_cmp_lt_i16_e32 vcc, s0, v1
	s_mov_b64 s[0:1], 0
	s_and_saveexec_b64 s[40:41], vcc
	s_xor_b64 s[40:41], exec, s[40:41]
	s_cbranch_execz .LBB151_98
; %bb.79:
	s_movk_i32 s0, 0x80
	v_cmp_eq_u16_e32 vcc, s0, v1
	s_mov_b64 s[0:1], -1
	s_and_saveexec_b64 s[42:43], vcc
; %bb.80:
	s_xor_b64 s[0:1], exec, -1
; %bb.81:
	s_or_b64 exec, exec, s[42:43]
	s_and_b64 s[0:1], s[0:1], exec
	s_or_saveexec_b64 s[40:41], s[40:41]
	v_mov_b32_e32 v5, 0x7e00
	s_xor_b64 exec, exec, s[40:41]
	s_cbranch_execnz .LBB151_99
.LBB151_82:
	s_or_b64 exec, exec, s[40:41]
	s_and_saveexec_b64 s[40:41], s[0:1]
	s_cbranch_execz .LBB151_84
.LBB151_83:
	v_lshlrev_b32_e32 v5, 24, v1
	v_and_b32_e32 v1, 0xffff, v1
	v_and_b32_e32 v6, 7, v1
	v_ffbh_u32_e32 v9, v6
	v_min_u32_e32 v9, 32, v9
	v_subrev_u32_e32 v10, 28, v9
	v_bfe_u32 v7, v1, 3, 4
	v_lshlrev_b32_e32 v1, v10, v1
	v_sub_u32_e32 v9, 29, v9
	v_and_b32_e32 v1, 7, v1
	v_cmp_eq_u32_e32 vcc, 0, v7
	v_cndmask_b32_e32 v7, v7, v9, vcc
	v_cndmask_b32_e32 v1, v6, v1, vcc
	v_mov_b32_e32 v6, 0x3b800000
	v_lshlrev_b32_e32 v1, 20, v1
	v_and_b32_e32 v5, 0x80000000, v5
	v_lshl_add_u32 v6, v7, 23, v6
	v_or3_b32 v1, v5, v6, v1
	v_cvt_f16_f32_e32 v5, v1
.LBB151_84:
	s_or_b64 exec, exec, s[40:41]
.LBB151_85:
	s_mov_b64 s[0:1], -1
	v_mov_b32_e32 v6, 0
.LBB151_86:
	s_branch .LBB151_121
.LBB151_87:
	s_cmp_gt_i32 s48, 22
	s_cbranch_scc0 .LBB151_97
; %bb.88:
	s_cmp_lt_i32 s48, 24
	s_cbranch_scc1 .LBB151_100
; %bb.89:
	s_cmp_gt_i32 s48, 24
	s_cbranch_scc0 .LBB151_101
; %bb.90:
	global_load_ubyte v1, v[3:4], off
	s_movk_i32 s0, 0x7f
	s_waitcnt vmcnt(0)
	v_cmp_lt_i16_e32 vcc, s0, v1
	s_mov_b64 s[0:1], 0
	s_and_saveexec_b64 s[40:41], vcc
	s_xor_b64 s[40:41], exec, s[40:41]
	s_cbranch_execz .LBB151_112
; %bb.91:
	s_movk_i32 s0, 0x80
	v_cmp_eq_u16_e32 vcc, s0, v1
	s_mov_b64 s[0:1], -1
	s_and_saveexec_b64 s[42:43], vcc
; %bb.92:
	s_xor_b64 s[0:1], exec, -1
; %bb.93:
	s_or_b64 exec, exec, s[42:43]
	s_and_b64 s[0:1], s[0:1], exec
	s_or_saveexec_b64 s[40:41], s[40:41]
	v_mov_b32_e32 v5, 0x7e00
	s_xor_b64 exec, exec, s[40:41]
	s_cbranch_execnz .LBB151_113
.LBB151_94:
	s_or_b64 exec, exec, s[40:41]
	s_and_saveexec_b64 s[40:41], s[0:1]
	s_cbranch_execz .LBB151_96
.LBB151_95:
	v_lshlrev_b32_e32 v5, 24, v1
	v_and_b32_e32 v1, 0xffff, v1
	v_and_b32_e32 v6, 3, v1
	v_ffbh_u32_e32 v9, v6
	v_min_u32_e32 v9, 32, v9
	v_subrev_u32_e32 v10, 29, v9
	v_bfe_u32 v7, v1, 2, 5
	v_lshlrev_b32_e32 v1, v10, v1
	v_sub_u32_e32 v9, 30, v9
	v_and_b32_e32 v1, 3, v1
	v_cmp_eq_u32_e32 vcc, 0, v7
	v_cndmask_b32_e32 v7, v7, v9, vcc
	v_cndmask_b32_e32 v1, v6, v1, vcc
	v_mov_b32_e32 v6, 0x37800000
	v_lshlrev_b32_e32 v1, 21, v1
	v_and_b32_e32 v5, 0x80000000, v5
	v_lshl_add_u32 v6, v7, 23, v6
	v_or3_b32 v1, v5, v6, v1
	v_cvt_f16_f32_e32 v5, v1
.LBB151_96:
	s_or_b64 exec, exec, s[40:41]
	s_mov_b64 s[0:1], 0
	s_branch .LBB151_102
.LBB151_97:
                                        ; implicit-def: $vgpr5
	s_branch .LBB151_108
.LBB151_98:
	s_or_saveexec_b64 s[40:41], s[40:41]
	v_mov_b32_e32 v5, 0x7e00
	s_xor_b64 exec, exec, s[40:41]
	s_cbranch_execz .LBB151_82
.LBB151_99:
	v_cmp_ne_u16_e32 vcc, 0, v1
	s_andn2_b64 s[0:1], s[0:1], exec
	s_and_b64 s[42:43], vcc, exec
	s_or_b64 s[0:1], s[0:1], s[42:43]
	v_mov_b32_e32 v5, v1
	s_or_b64 exec, exec, s[40:41]
	s_and_saveexec_b64 s[40:41], s[0:1]
	s_cbranch_execnz .LBB151_83
	s_branch .LBB151_84
.LBB151_100:
	s_mov_b64 s[0:1], -1
                                        ; implicit-def: $vgpr5
	s_branch .LBB151_105
.LBB151_101:
	s_mov_b64 s[0:1], -1
                                        ; implicit-def: $vgpr5
.LBB151_102:
	s_and_b64 vcc, exec, s[0:1]
	s_cbranch_vccz .LBB151_104
; %bb.103:
	global_load_ubyte v1, v[3:4], off
	s_mov_b32 s0, 0x7f800000
	s_waitcnt vmcnt(0)
	v_lshlrev_b32_e32 v1, 24, v1
	v_and_b32_e32 v5, 0x7f000000, v1
	v_ffbh_u32_e32 v6, v5
	v_min_u32_e32 v6, 32, v6
	v_sub_u32_e64 v6, v6, 4 clamp
	v_lshlrev_b32_e32 v9, v6, v5
	v_lshlrev_b32_e32 v6, 23, v6
	v_lshrrev_b32_e32 v9, 4, v9
	v_add_u32_e32 v7, 0x1000000, v5
	v_sub_u32_e32 v6, v9, v6
	v_ashrrev_i32_e32 v7, 8, v7
	v_add_u32_e32 v6, 0x3c000000, v6
	v_and_or_b32 v6, v7, s0, v6
	v_cmp_ne_u32_e32 vcc, 0, v5
	v_cndmask_b32_e32 v5, 0, v6, vcc
	s_brev_b32 s0, 1
	v_and_or_b32 v1, v1, s0, v5
	v_cvt_f16_f32_e32 v5, v1
.LBB151_104:
	s_mov_b64 s[0:1], 0
.LBB151_105:
	s_andn2_b64 vcc, exec, s[0:1]
	s_cbranch_vccnz .LBB151_107
; %bb.106:
	global_load_ubyte v1, v[3:4], off
	s_movk_i32 s0, 0x7f00
	s_brev_b32 s1, 16
	s_waitcnt vmcnt(0)
	v_lshlrev_b16_e32 v5, 8, v1
	v_lshlrev_b32_e32 v1, 25, v1
	v_lshrrev_b32_e32 v6, 4, v1
	v_and_or_b32 v7, v5, s0, 0.5
	v_or_b32_e32 v6, 0x70000000, v6
	v_add_f32_e32 v7, -0.5, v7
	v_mul_f32_e32 v6, 0x7800000, v6
	v_cmp_gt_u32_e32 vcc, s1, v1
	v_bfe_i32 v5, v5, 0, 16
	v_cndmask_b32_e32 v1, v6, v7, vcc
	s_brev_b32 s0, 1
	v_and_or_b32 v1, v5, s0, v1
	v_cvt_f16_f32_e32 v5, v1
.LBB151_107:
	s_mov_b64 s[0:1], -1
	s_cbranch_execnz .LBB151_120
.LBB151_108:
	s_cmp_gt_i32 s48, 14
	s_cbranch_scc0 .LBB151_111
; %bb.109:
	s_cmp_eq_u32 s48, 15
	s_cbranch_scc0 .LBB151_114
; %bb.110:
	global_load_ushort v1, v[3:4], off
	s_mov_b64 s[0:1], -1
	s_mov_b64 s[44:45], 0
	s_waitcnt vmcnt(0)
	v_lshlrev_b32_e32 v1, 16, v1
	v_cvt_f16_f32_e32 v5, v1
	s_branch .LBB151_115
.LBB151_111:
	s_mov_b64 s[40:41], -1
                                        ; implicit-def: $vgpr5
	s_branch .LBB151_116
.LBB151_112:
	s_or_saveexec_b64 s[40:41], s[40:41]
	v_mov_b32_e32 v5, 0x7e00
	s_xor_b64 exec, exec, s[40:41]
	s_cbranch_execz .LBB151_94
.LBB151_113:
	v_cmp_ne_u16_e32 vcc, 0, v1
	s_andn2_b64 s[0:1], s[0:1], exec
	s_and_b64 s[42:43], vcc, exec
	s_or_b64 s[0:1], s[0:1], s[42:43]
	v_mov_b32_e32 v5, v1
	s_or_b64 exec, exec, s[40:41]
	s_and_saveexec_b64 s[40:41], s[0:1]
	s_cbranch_execnz .LBB151_95
	s_branch .LBB151_96
.LBB151_114:
	s_mov_b64 s[44:45], -1
                                        ; implicit-def: $vgpr5
.LBB151_115:
	s_mov_b64 s[40:41], 0
.LBB151_116:
	s_and_b64 vcc, exec, s[40:41]
	s_cbranch_vccz .LBB151_120
; %bb.117:
	s_cmp_eq_u32 s48, 11
	s_cbranch_scc0 .LBB151_119
; %bb.118:
	global_load_ubyte v1, v[3:4], off
	v_mov_b32_e32 v5, 0x3c00
	s_mov_b64 s[0:1], -1
	s_mov_b64 s[44:45], 0
	v_mov_b32_e32 v6, 0
	s_waitcnt vmcnt(0)
	v_cmp_ne_u16_e32 vcc, 0, v1
	v_cndmask_b32_e32 v5, 0, v5, vcc
	s_branch .LBB151_121
.LBB151_119:
	s_mov_b64 s[44:45], -1
                                        ; implicit-def: $vgpr5
.LBB151_120:
	v_mov_b32_e32 v6, 0
.LBB151_121:
	s_branch .LBB151_21
.LBB151_122:
	s_and_b32 s14, 0xffff, s14
	s_cmp_lt_i32 s14, 5
	s_cbranch_scc1 .LBB151_127
; %bb.123:
	s_cmp_lt_i32 s14, 8
	s_cbranch_scc1 .LBB151_128
; %bb.124:
	;; [unrolled: 3-line block ×3, first 2 shown]
	s_cmp_gt_i32 s14, 9
	s_cbranch_scc0 .LBB151_130
; %bb.126:
	global_load_dwordx4 v[9:12], v[3:4], off
	s_movk_i32 s0, 0x1ff
	s_movk_i32 s1, 0xffe
	v_mov_b32_e32 v1, 0x7c00
	v_mov_b32_e32 v5, 0x7e00
	s_movk_i32 s40, 0x40f
	s_mov_b32 s41, 0x8000
	s_waitcnt vmcnt(0)
	v_and_or_b32 v6, v10, s0, v9
	v_and_or_b32 v11, v12, s0, v11
	v_cmp_ne_u32_e32 vcc, 0, v6
	v_lshrrev_b32_e32 v7, 8, v10
	v_bfe_u32 v9, v10, 20, 11
	v_cndmask_b32_e64 v6, 0, 1, vcc
	v_cmp_ne_u32_e32 vcc, 0, v11
	v_lshrrev_b32_e32 v13, 8, v12
	v_bfe_u32 v14, v12, 20, 11
	v_sub_u32_e32 v15, 0x3f1, v9
	v_cndmask_b32_e64 v11, 0, 1, vcc
	v_and_or_b32 v6, v7, s1, v6
	v_add_u32_e32 v9, 0xfffffc10, v9
	v_sub_u32_e32 v16, 0x3f1, v14
	v_add_u32_e32 v14, 0xfffffc10, v14
	v_med3_i32 v7, v15, 0, 13
	v_and_or_b32 v11, v13, s1, v11
	v_or_b32_e32 v15, 0x1000, v6
	v_cmp_ne_u32_e32 vcc, 0, v6
	v_med3_i32 v13, v16, 0, 13
	v_lshl_or_b32 v16, v9, 12, v6
	v_cndmask_b32_e32 v6, v1, v5, vcc
	v_or_b32_e32 v17, 0x1000, v11
	v_lshl_or_b32 v18, v14, 12, v11
	v_cmp_ne_u32_e32 vcc, 0, v11
	v_lshrrev_b32_e32 v11, v7, v15
	v_lshrrev_b32_e32 v19, v13, v17
	v_lshlrev_b32_e32 v7, v7, v11
	v_cndmask_b32_e32 v5, v1, v5, vcc
	v_lshlrev_b32_e32 v13, v13, v19
	v_cmp_ne_u32_e32 vcc, v7, v15
	v_cndmask_b32_e64 v7, 0, 1, vcc
	v_cmp_ne_u32_e32 vcc, v13, v17
	v_cndmask_b32_e64 v13, 0, 1, vcc
	v_or_b32_e32 v7, v11, v7
	v_cmp_gt_i32_e32 vcc, 1, v9
	v_cndmask_b32_e32 v7, v16, v7, vcc
	v_or_b32_e32 v11, v19, v13
	v_cmp_gt_i32_e32 vcc, 1, v14
	v_and_b32_e32 v13, 7, v7
	v_cndmask_b32_e32 v11, v18, v11, vcc
	v_cmp_lt_i32_e32 vcc, 5, v13
	v_and_b32_e32 v15, 7, v11
	v_cndmask_b32_e64 v16, 0, 1, vcc
	v_cmp_eq_u32_e32 vcc, 3, v13
	v_cndmask_b32_e64 v13, 0, 1, vcc
	v_cmp_lt_i32_e32 vcc, 5, v15
	v_cndmask_b32_e64 v17, 0, 1, vcc
	v_cmp_eq_u32_e32 vcc, 3, v15
	v_lshrrev_b32_e32 v7, 2, v7
	v_cndmask_b32_e64 v15, 0, 1, vcc
	v_or_b32_e32 v13, v13, v16
	v_lshrrev_b32_e32 v11, 2, v11
	v_or_b32_e32 v15, v15, v17
	v_add_u32_e32 v7, v7, v13
	v_cmp_gt_i32_e32 vcc, 31, v9
	v_add_u32_e32 v11, v11, v15
	v_cndmask_b32_e32 v7, v1, v7, vcc
	v_cmp_gt_i32_e32 vcc, 31, v14
	v_cndmask_b32_e32 v1, v1, v11, vcc
	v_cmp_eq_u32_e32 vcc, s40, v9
	v_cndmask_b32_e32 v6, v7, v6, vcc
	v_cmp_eq_u32_e32 vcc, s40, v14
	v_lshrrev_b32_e32 v10, 16, v10
	v_lshrrev_b32_e32 v12, 16, v12
	v_cndmask_b32_e32 v1, v1, v5, vcc
	v_and_or_b32 v5, v10, s41, v6
	v_and_or_b32 v6, v12, s41, v1
	s_mov_b64 s[0:1], 0
	s_branch .LBB151_131
.LBB151_127:
                                        ; implicit-def: $vgpr6
                                        ; implicit-def: $vgpr5
	s_branch .LBB151_150
.LBB151_128:
	s_mov_b64 s[0:1], -1
                                        ; implicit-def: $vgpr6
                                        ; implicit-def: $vgpr5
	s_branch .LBB151_137
.LBB151_129:
	s_mov_b64 s[0:1], -1
                                        ; implicit-def: $vgpr6
                                        ; implicit-def: $vgpr5
	s_branch .LBB151_134
.LBB151_130:
	s_mov_b64 s[0:1], -1
                                        ; implicit-def: $vgpr6
                                        ; implicit-def: $vgpr5
.LBB151_131:
	s_andn2_b64 vcc, exec, s[0:1]
	s_cbranch_vccnz .LBB151_133
; %bb.132:
	global_load_dwordx2 v[5:6], v[3:4], off
	s_waitcnt vmcnt(0)
	v_cvt_f16_f32_e32 v5, v5
	v_cvt_f16_f32_e32 v6, v6
.LBB151_133:
	s_mov_b64 s[0:1], 0
.LBB151_134:
	s_andn2_b64 vcc, exec, s[0:1]
	s_cbranch_vccnz .LBB151_136
; %bb.135:
	global_load_dword v5, v[3:4], off
	s_waitcnt vmcnt(0)
	v_lshrrev_b32_e32 v6, 16, v5
.LBB151_136:
	s_mov_b64 s[0:1], 0
.LBB151_137:
	s_andn2_b64 vcc, exec, s[0:1]
	s_cbranch_vccnz .LBB151_149
; %bb.138:
	s_cmp_lt_i32 s14, 6
	s_cbranch_scc1 .LBB151_141
; %bb.139:
	s_cmp_gt_i32 s14, 6
	s_cbranch_scc0 .LBB151_142
; %bb.140:
	global_load_dwordx2 v[5:6], v[3:4], off
	s_movk_i32 s0, 0x1ff
	s_movk_i32 s1, 0xffe
	v_mov_b32_e32 v1, 0x7c00
	v_mov_b32_e32 v7, 0x7e00
	s_movk_i32 s40, 0x40f
	s_mov_b32 s41, 0x8000
	s_waitcnt vmcnt(0)
	v_and_or_b32 v5, v6, s0, v5
	v_cmp_ne_u32_e32 vcc, 0, v5
	v_lshrrev_b32_e32 v9, 8, v6
	v_bfe_u32 v10, v6, 20, 11
	v_cndmask_b32_e64 v5, 0, 1, vcc
	v_sub_u32_e32 v11, 0x3f1, v10
	v_and_or_b32 v5, v9, s1, v5
	v_add_u32_e32 v10, 0xfffffc10, v10
	v_med3_i32 v9, v11, 0, 13
	v_or_b32_e32 v11, 0x1000, v5
	v_cmp_ne_u32_e32 vcc, 0, v5
	v_lshl_or_b32 v12, v10, 12, v5
	v_cndmask_b32_e32 v5, v1, v7, vcc
	v_lshrrev_b32_e32 v7, v9, v11
	v_lshlrev_b32_e32 v9, v9, v7
	v_cmp_ne_u32_e32 vcc, v9, v11
	v_cndmask_b32_e64 v9, 0, 1, vcc
	v_or_b32_e32 v7, v7, v9
	v_cmp_gt_i32_e32 vcc, 1, v10
	v_cndmask_b32_e32 v7, v12, v7, vcc
	v_and_b32_e32 v9, 7, v7
	v_cmp_lt_i32_e32 vcc, 5, v9
	v_cndmask_b32_e64 v11, 0, 1, vcc
	v_cmp_eq_u32_e32 vcc, 3, v9
	v_cndmask_b32_e64 v9, 0, 1, vcc
	v_lshrrev_b32_e32 v7, 2, v7
	v_or_b32_e32 v9, v9, v11
	v_add_u32_e32 v7, v7, v9
	v_cmp_gt_i32_e32 vcc, 31, v10
	v_cndmask_b32_e32 v1, v1, v7, vcc
	v_cmp_eq_u32_e32 vcc, s40, v10
	v_lshrrev_b32_e32 v6, 16, v6
	v_cndmask_b32_e32 v1, v1, v5, vcc
	v_and_or_b32 v5, v6, s41, v1
	s_mov_b64 s[0:1], 0
	s_branch .LBB151_143
.LBB151_141:
	s_mov_b64 s[0:1], -1
                                        ; implicit-def: $vgpr5
	s_branch .LBB151_146
.LBB151_142:
	s_mov_b64 s[0:1], -1
                                        ; implicit-def: $vgpr5
.LBB151_143:
	s_andn2_b64 vcc, exec, s[0:1]
	s_cbranch_vccnz .LBB151_145
; %bb.144:
	global_load_dword v1, v[3:4], off
	s_waitcnt vmcnt(0)
	v_cvt_f16_f32_e32 v5, v1
.LBB151_145:
	s_mov_b64 s[0:1], 0
.LBB151_146:
	s_andn2_b64 vcc, exec, s[0:1]
	s_cbranch_vccnz .LBB151_148
; %bb.147:
	global_load_ushort v5, v[3:4], off
.LBB151_148:
	v_mov_b32_e32 v6, 0
.LBB151_149:
	s_cbranch_execnz .LBB151_170
.LBB151_150:
	s_cmp_lt_i32 s14, 2
	s_cbranch_scc1 .LBB151_154
; %bb.151:
	s_cmp_lt_i32 s14, 3
	s_cbranch_scc1 .LBB151_155
; %bb.152:
	s_cmp_gt_i32 s14, 3
	s_cbranch_scc0 .LBB151_156
; %bb.153:
	global_load_dwordx2 v[5:6], v[3:4], off
	s_mov_b64 s[0:1], 0
	s_waitcnt vmcnt(0)
	v_xor_b32_e32 v7, v5, v6
	v_ffbh_i32_e32 v1, v6
	v_ashrrev_i32_e32 v7, 31, v7
	v_add_u32_e32 v1, -1, v1
	v_add_u32_e32 v7, 32, v7
	v_min_u32_e32 v1, v1, v7
	v_lshlrev_b64 v[5:6], v1, v[5:6]
	v_sub_u32_e32 v1, 32, v1
	v_min_u32_e32 v5, 1, v5
	v_or_b32_e32 v5, v6, v5
	v_cvt_f32_i32_e32 v5, v5
	v_ldexp_f32 v1, v5, v1
	v_cvt_f16_f32_e32 v5, v1
	s_branch .LBB151_157
.LBB151_154:
	s_mov_b64 s[0:1], -1
                                        ; implicit-def: $vgpr5
	s_branch .LBB151_163
.LBB151_155:
	s_mov_b64 s[0:1], -1
                                        ; implicit-def: $vgpr5
	s_branch .LBB151_160
.LBB151_156:
	s_mov_b64 s[0:1], -1
                                        ; implicit-def: $vgpr5
.LBB151_157:
	s_andn2_b64 vcc, exec, s[0:1]
	s_cbranch_vccnz .LBB151_159
; %bb.158:
	global_load_dword v1, v[3:4], off
	s_waitcnt vmcnt(0)
	v_cvt_f32_i32_e32 v1, v1
	v_cvt_f16_f32_e32 v5, v1
.LBB151_159:
	s_mov_b64 s[0:1], 0
.LBB151_160:
	s_andn2_b64 vcc, exec, s[0:1]
	s_cbranch_vccnz .LBB151_162
; %bb.161:
	global_load_ushort v1, v[3:4], off
	s_waitcnt vmcnt(0)
	v_cvt_f16_i16_e32 v5, v1
.LBB151_162:
	s_mov_b64 s[0:1], 0
.LBB151_163:
	s_andn2_b64 vcc, exec, s[0:1]
	s_cbranch_vccnz .LBB151_169
; %bb.164:
	s_cmp_gt_i32 s14, 0
	s_cbranch_scc0 .LBB151_166
; %bb.165:
	global_load_sbyte v1, v[3:4], off
	s_mov_b64 s[0:1], 0
	s_waitcnt vmcnt(0)
	v_cvt_f16_i16_e32 v5, v1
	s_branch .LBB151_167
.LBB151_166:
	s_mov_b64 s[0:1], -1
                                        ; implicit-def: $vgpr5
.LBB151_167:
	s_andn2_b64 vcc, exec, s[0:1]
	s_cbranch_vccnz .LBB151_169
; %bb.168:
	global_load_ubyte v1, v[3:4], off
	s_waitcnt vmcnt(0)
	v_cvt_f16_u16_e32 v5, v1
.LBB151_169:
	v_mov_b32_e32 v6, 0
.LBB151_170:
	s_branch .LBB151_22
.LBB151_171:
	s_mov_b64 s[0:1], 0
	s_mov_b64 s[42:43], 0
	s_branch .LBB151_405
.LBB151_172:
	s_mov_b64 s[42:43], -1
.LBB151_173:
	s_mov_b64 s[0:1], 0
                                        ; implicit-def: $vgpr4
                                        ; implicit-def: $vgpr3
.LBB151_174:
	s_and_b64 vcc, exec, s[40:41]
	s_cbranch_vccz .LBB151_291
; %bb.175:
	s_cmp_eq_u32 s52, 44
	s_cbranch_scc0 .LBB151_289
; %bb.176:
	global_load_ubyte v3, v[1:2], off
	s_movk_i32 s40, 0xff
	v_mov_b32_e32 v7, 0x7e00
	s_mov_b64 s[0:1], -1
	s_mov_b64 s[42:43], 0
	s_waitcnt vmcnt(0)
	v_lshlrev_b32_e32 v4, 23, v3
	v_cvt_f16_f32_e32 v4, v4
	v_cmp_ne_u32_e32 vcc, s40, v3
	v_cndmask_b32_e32 v4, v7, v4, vcc
	v_cmp_ne_u32_e32 vcc, 0, v3
	v_cndmask_b32_e32 v3, 0, v4, vcc
	s_branch .LBB151_290
.LBB151_177:
	s_mov_b64 s[52:53], -1
	s_mov_b64 s[0:1], 0
	s_mov_b64 s[48:49], 0
.LBB151_178:
	s_and_b64 vcc, exec, s[52:53]
	s_cbranch_vccz .LBB151_183
; %bb.179:
	s_cmp_eq_u32 s56, 44
	s_mov_b64 s[0:1], -1
	s_cbranch_scc0 .LBB151_183
; %bb.180:
	s_waitcnt vmcnt(0)
	v_cndmask_b32_e64 v3, 0, 1.0, s[40:41]
	v_lshrrev_b32_e32 v2, 23, v3
	s_movk_i32 s0, 0xff
	v_cmp_ne_u32_e32 vcc, s0, v2
	v_mov_b32_e32 v4, 0xff
	s_and_saveexec_b64 s[48:49], vcc
; %bb.181:
	s_mov_b32 s0, 0x3fffff
	v_and_b32_e32 v4, 0x400000, v3
	v_and_or_b32 v3, v3, s0, v2
	v_cmp_ne_u32_e32 vcc, 0, v4
	v_cmp_ne_u32_e64 s[0:1], 0, v3
	s_and_b64 s[0:1], vcc, s[0:1]
	v_cndmask_b32_e64 v3, 0, 1, s[0:1]
	v_add_u32_e32 v4, v2, v3
; %bb.182:
	s_or_b64 exec, exec, s[48:49]
	s_mov_b64 s[48:49], -1
	s_mov_b64 s[0:1], 0
	global_store_byte v[0:1], v4, off
.LBB151_183:
	s_mov_b64 s[52:53], 0
.LBB151_184:
	s_and_b64 vcc, exec, s[52:53]
	s_cbranch_vccz .LBB151_187
; %bb.185:
	s_cmp_eq_u32 s56, 29
	s_mov_b64 s[0:1], -1
	s_cbranch_scc0 .LBB151_187
; %bb.186:
	s_mov_b32 s0, 0
	v_cndmask_b32_e64 v2, 0, 1, s[40:41]
	s_waitcnt vmcnt(0)
	v_mov_b32_e32 v3, s0
	global_store_dwordx2 v[0:1], v[2:3], off
	s_mov_b64 s[48:49], -1
	s_mov_b64 s[0:1], 0
.LBB151_187:
	s_mov_b64 s[52:53], 0
.LBB151_188:
	s_and_b64 vcc, exec, s[52:53]
	s_cbranch_vccz .LBB151_204
; %bb.189:
	s_cmp_lt_i32 s56, 27
	s_mov_b64 s[48:49], -1
	s_cbranch_scc1 .LBB151_195
; %bb.190:
	s_cmp_gt_i32 s56, 27
	s_cbranch_scc0 .LBB151_192
; %bb.191:
	v_cndmask_b32_e64 v2, 0, 1, s[40:41]
	s_mov_b64 s[48:49], 0
	global_store_dword v[0:1], v2, off
.LBB151_192:
	s_andn2_b64 vcc, exec, s[48:49]
	s_cbranch_vccnz .LBB151_194
; %bb.193:
	v_cndmask_b32_e64 v2, 0, 1, s[40:41]
	global_store_short v[0:1], v2, off
.LBB151_194:
	s_mov_b64 s[48:49], 0
.LBB151_195:
	s_andn2_b64 vcc, exec, s[48:49]
	s_cbranch_vccnz .LBB151_203
; %bb.196:
	s_waitcnt vmcnt(0)
	v_cndmask_b32_e64 v3, 0, 1.0, s[40:41]
	s_mov_b32 s48, 0x43800000
	v_cmp_gt_u32_e32 vcc, s48, v3
	v_mov_b32_e32 v4, 0x80
	s_and_saveexec_b64 s[48:49], vcc
	s_cbranch_execz .LBB151_202
; %bb.197:
	s_mov_b32 s52, 0x3bffffff
	v_cmp_lt_u32_e32 vcc, s52, v3
	s_mov_b64 s[52:53], 0
                                        ; implicit-def: $vgpr2
	s_and_saveexec_b64 s[54:55], vcc
	s_xor_b64 s[54:55], exec, s[54:55]
	s_cbranch_execz .LBB151_447
; %bb.198:
	v_bfe_u32 v2, v3, 20, 1
	s_mov_b32 s57, 0x487ffff
	v_add3_u32 v2, v3, v2, s57
	s_mov_b64 s[52:53], exec
	v_lshrrev_b32_e32 v2, 20, v2
                                        ; implicit-def: $vgpr3
	s_andn2_saveexec_b64 s[54:55], s[54:55]
	s_cbranch_execnz .LBB151_448
.LBB151_199:
	s_or_b64 exec, exec, s[54:55]
	v_mov_b32_e32 v4, 0
	s_and_saveexec_b64 s[54:55], s[52:53]
.LBB151_200:
	v_mov_b32_e32 v4, v2
.LBB151_201:
	s_or_b64 exec, exec, s[54:55]
.LBB151_202:
	s_or_b64 exec, exec, s[48:49]
	global_store_byte v[0:1], v4, off
.LBB151_203:
	s_mov_b64 s[48:49], -1
.LBB151_204:
	s_mov_b64 s[52:53], 0
.LBB151_205:
	s_and_b64 vcc, exec, s[52:53]
	s_cbranch_vccz .LBB151_246
; %bb.206:
	s_cmp_gt_i32 s56, 22
	s_mov_b64 s[52:53], -1
	s_cbranch_scc0 .LBB151_238
; %bb.207:
	s_cmp_lt_i32 s56, 24
	s_mov_b64 s[48:49], -1
	s_cbranch_scc1 .LBB151_227
; %bb.208:
	s_cmp_gt_i32 s56, 24
	s_cbranch_scc0 .LBB151_216
; %bb.209:
	s_waitcnt vmcnt(0)
	v_cndmask_b32_e64 v3, 0, 1.0, s[40:41]
	s_mov_b32 s48, 0x47800000
	v_cmp_gt_u32_e32 vcc, s48, v3
	v_mov_b32_e32 v4, 0x80
	s_and_saveexec_b64 s[48:49], vcc
	s_cbranch_execz .LBB151_215
; %bb.210:
	s_mov_b32 s52, 0x37ffffff
	v_cmp_lt_u32_e32 vcc, s52, v3
	s_mov_b64 s[52:53], 0
                                        ; implicit-def: $vgpr2
	s_and_saveexec_b64 s[54:55], vcc
	s_xor_b64 s[54:55], exec, s[54:55]
	s_cbranch_execz .LBB151_571
; %bb.211:
	v_bfe_u32 v2, v3, 21, 1
	s_mov_b32 s57, 0x88fffff
	v_add3_u32 v2, v3, v2, s57
	s_mov_b64 s[52:53], exec
	v_lshrrev_b32_e32 v2, 21, v2
                                        ; implicit-def: $vgpr3
	s_andn2_saveexec_b64 s[54:55], s[54:55]
	s_cbranch_execnz .LBB151_572
.LBB151_212:
	s_or_b64 exec, exec, s[54:55]
	v_mov_b32_e32 v4, 0
	s_and_saveexec_b64 s[54:55], s[52:53]
.LBB151_213:
	v_mov_b32_e32 v4, v2
.LBB151_214:
	s_or_b64 exec, exec, s[54:55]
.LBB151_215:
	s_or_b64 exec, exec, s[48:49]
	s_mov_b64 s[48:49], 0
	global_store_byte v[0:1], v4, off
.LBB151_216:
	s_and_b64 vcc, exec, s[48:49]
	s_cbranch_vccz .LBB151_226
; %bb.217:
	v_cndmask_b32_e64 v2, 0, 1.0, s[40:41]
	s_mov_b32 s48, 0x43f00000
	v_cmp_gt_u32_e32 vcc, s48, v2
                                        ; implicit-def: $vgpr3
	s_and_saveexec_b64 s[48:49], vcc
	s_xor_b64 s[48:49], exec, s[48:49]
	s_cbranch_execz .LBB151_223
; %bb.218:
	s_mov_b32 s52, 0x3c7fffff
	v_cmp_lt_u32_e32 vcc, s52, v2
                                        ; implicit-def: $vgpr3
	s_and_saveexec_b64 s[52:53], vcc
	s_xor_b64 s[52:53], exec, s[52:53]
	s_cbranch_execz .LBB151_220
; %bb.219:
	s_waitcnt vmcnt(0)
	v_bfe_u32 v3, v2, 20, 1
	s_mov_b32 s54, 0x407ffff
	v_add3_u32 v2, v2, v3, s54
	v_lshrrev_b32_e32 v3, 20, v2
	v_and_b32_e32 v2, 0xff00000, v2
	s_mov_b32 s54, 0x7f00000
	v_mov_b32_e32 v4, 0x7e
	v_cmp_ne_u32_e32 vcc, s54, v2
	v_cndmask_b32_e32 v3, v4, v3, vcc
                                        ; implicit-def: $vgpr2
.LBB151_220:
	s_andn2_saveexec_b64 s[52:53], s[52:53]
	s_cbranch_execz .LBB151_222
; %bb.221:
	s_waitcnt vmcnt(0)
	v_add_f32_e32 v3, 0x46800000, v2
.LBB151_222:
	s_or_b64 exec, exec, s[52:53]
                                        ; implicit-def: $vgpr2
.LBB151_223:
	s_andn2_saveexec_b64 s[48:49], s[48:49]
	s_cbranch_execz .LBB151_225
; %bb.224:
	s_mov_b32 s52, 0x7f800000
	s_waitcnt vmcnt(0)
	v_mov_b32_e32 v3, 0x7e
	v_mov_b32_e32 v4, 0x7f
	v_cmp_lt_u32_e32 vcc, s52, v2
	v_cndmask_b32_e32 v3, v3, v4, vcc
.LBB151_225:
	s_or_b64 exec, exec, s[48:49]
	s_waitcnt vmcnt(0)
	global_store_byte v[0:1], v3, off
.LBB151_226:
	s_mov_b64 s[48:49], 0
.LBB151_227:
	s_andn2_b64 vcc, exec, s[48:49]
	s_cbranch_vccnz .LBB151_237
; %bb.228:
	v_cndmask_b32_e64 v2, 0, 1.0, s[40:41]
	s_mov_b32 s48, 0x47800000
	v_cmp_gt_u32_e32 vcc, s48, v2
                                        ; implicit-def: $vgpr3
	s_and_saveexec_b64 s[48:49], vcc
	s_xor_b64 s[48:49], exec, s[48:49]
	s_cbranch_execz .LBB151_234
; %bb.229:
	s_mov_b32 s52, 0x387fffff
	v_cmp_lt_u32_e32 vcc, s52, v2
                                        ; implicit-def: $vgpr3
	s_and_saveexec_b64 s[52:53], vcc
	s_xor_b64 s[52:53], exec, s[52:53]
	s_cbranch_execz .LBB151_231
; %bb.230:
	s_waitcnt vmcnt(0)
	v_bfe_u32 v3, v2, 21, 1
	s_mov_b32 s54, 0x80fffff
	v_add3_u32 v2, v2, v3, s54
	v_lshrrev_b32_e32 v3, 21, v2
                                        ; implicit-def: $vgpr2
.LBB151_231:
	s_andn2_saveexec_b64 s[52:53], s[52:53]
	s_cbranch_execz .LBB151_233
; %bb.232:
	s_waitcnt vmcnt(0)
	v_add_f32_e32 v3, 0x43000000, v2
.LBB151_233:
	s_or_b64 exec, exec, s[52:53]
                                        ; implicit-def: $vgpr2
.LBB151_234:
	s_andn2_saveexec_b64 s[48:49], s[48:49]
	s_cbranch_execz .LBB151_236
; %bb.235:
	s_mov_b32 s52, 0x7f800000
	s_waitcnt vmcnt(0)
	v_mov_b32_e32 v3, 0x7c
	v_mov_b32_e32 v4, 0x7f
	v_cmp_lt_u32_e32 vcc, s52, v2
	v_cndmask_b32_e32 v3, v3, v4, vcc
.LBB151_236:
	s_or_b64 exec, exec, s[48:49]
	s_waitcnt vmcnt(0)
	global_store_byte v[0:1], v3, off
.LBB151_237:
	s_mov_b64 s[52:53], 0
	s_mov_b64 s[48:49], -1
.LBB151_238:
	s_andn2_b64 vcc, exec, s[52:53]
	s_cbranch_vccnz .LBB151_246
; %bb.239:
	s_cmp_gt_i32 s56, 14
	s_mov_b64 s[52:53], -1
	s_cbranch_scc0 .LBB151_243
; %bb.240:
	s_cmp_eq_u32 s56, 15
	s_mov_b64 s[0:1], -1
	s_cbranch_scc0 .LBB151_242
; %bb.241:
	v_cndmask_b32_e64 v2, 0, 1.0, s[40:41]
	s_waitcnt vmcnt(0)
	v_bfe_u32 v3, v2, 16, 1
	s_movk_i32 s0, 0x7fff
	v_add3_u32 v2, v2, v3, s0
	global_store_short_d16_hi v[0:1], v2, off
	s_mov_b64 s[48:49], -1
	s_mov_b64 s[0:1], 0
.LBB151_242:
	s_mov_b64 s[52:53], 0
.LBB151_243:
	s_and_b64 vcc, exec, s[52:53]
	s_cbranch_vccz .LBB151_246
; %bb.244:
	s_cmp_eq_u32 s56, 11
	s_mov_b64 s[0:1], -1
	s_cbranch_scc0 .LBB151_246
; %bb.245:
	v_cndmask_b32_e64 v2, 0, 1, s[40:41]
	s_mov_b64 s[48:49], -1
	s_mov_b64 s[0:1], 0
	global_store_byte v[0:1], v2, off
.LBB151_246:
	s_mov_b64 s[52:53], 0
.LBB151_247:
	s_and_b64 vcc, exec, s[52:53]
	s_cbranch_vccz .LBB151_286
; %bb.248:
	s_and_b32 s14, 0xffff, s14
	s_cmp_lt_i32 s14, 5
	s_mov_b64 s[48:49], -1
	s_cbranch_scc1 .LBB151_269
; %bb.249:
	s_cmp_lt_i32 s14, 8
	s_cbranch_scc1 .LBB151_259
; %bb.250:
	s_cmp_lt_i32 s14, 9
	s_cbranch_scc1 .LBB151_256
; %bb.251:
	s_cmp_gt_i32 s14, 9
	s_cbranch_scc0 .LBB151_253
; %bb.252:
	v_cndmask_b32_e64 v2, 0, 1, s[40:41]
	s_waitcnt vmcnt(0)
	v_cvt_f64_u32_e32 v[2:3], v2
	v_mov_b32_e32 v4, 0
	v_mov_b32_e32 v5, v4
	s_mov_b64 s[48:49], 0
	global_store_dwordx4 v[0:1], v[2:5], off
.LBB151_253:
	s_andn2_b64 vcc, exec, s[48:49]
	s_cbranch_vccnz .LBB151_255
; %bb.254:
	v_cndmask_b32_e64 v2, 0, 1.0, s[40:41]
	s_waitcnt vmcnt(0)
	v_mov_b32_e32 v3, 0
	global_store_dwordx2 v[0:1], v[2:3], off
.LBB151_255:
	s_mov_b64 s[48:49], 0
.LBB151_256:
	s_andn2_b64 vcc, exec, s[48:49]
	s_cbranch_vccnz .LBB151_258
; %bb.257:
	v_cndmask_b32_e64 v2, 0, 1.0, s[40:41]
	v_cvt_f16_f32_e32 v2, v2
	global_store_dword v[0:1], v2, off
.LBB151_258:
	s_mov_b64 s[48:49], 0
.LBB151_259:
	s_andn2_b64 vcc, exec, s[48:49]
	s_cbranch_vccnz .LBB151_268
; %bb.260:
	s_cmp_lt_i32 s14, 6
	s_mov_b64 s[48:49], -1
	s_cbranch_scc1 .LBB151_266
; %bb.261:
	s_cmp_gt_i32 s14, 6
	s_cbranch_scc0 .LBB151_263
; %bb.262:
	v_cndmask_b32_e64 v2, 0, 1, s[40:41]
	s_waitcnt vmcnt(0)
	v_cvt_f64_u32_e32 v[2:3], v2
	s_mov_b64 s[48:49], 0
	global_store_dwordx2 v[0:1], v[2:3], off
.LBB151_263:
	s_andn2_b64 vcc, exec, s[48:49]
	s_cbranch_vccnz .LBB151_265
; %bb.264:
	v_cndmask_b32_e64 v2, 0, 1.0, s[40:41]
	global_store_dword v[0:1], v2, off
.LBB151_265:
	s_mov_b64 s[48:49], 0
.LBB151_266:
	s_andn2_b64 vcc, exec, s[48:49]
	s_cbranch_vccnz .LBB151_268
; %bb.267:
	v_cndmask_b32_e64 v2, 0, 1.0, s[40:41]
	v_cvt_f16_f32_e32 v2, v2
	global_store_short v[0:1], v2, off
.LBB151_268:
	s_mov_b64 s[48:49], 0
.LBB151_269:
	s_andn2_b64 vcc, exec, s[48:49]
	s_cbranch_vccnz .LBB151_285
; %bb.270:
	s_cmp_lt_i32 s14, 2
	s_mov_b64 s[48:49], -1
	s_cbranch_scc1 .LBB151_280
; %bb.271:
	s_cmp_lt_i32 s14, 3
	s_cbranch_scc1 .LBB151_277
; %bb.272:
	s_cmp_gt_i32 s14, 3
	s_cbranch_scc0 .LBB151_274
; %bb.273:
	s_mov_b32 s48, 0
	v_cndmask_b32_e64 v2, 0, 1, s[40:41]
	s_waitcnt vmcnt(0)
	v_mov_b32_e32 v3, s48
	global_store_dwordx2 v[0:1], v[2:3], off
	s_mov_b64 s[48:49], 0
.LBB151_274:
	s_andn2_b64 vcc, exec, s[48:49]
	s_cbranch_vccnz .LBB151_276
; %bb.275:
	v_cndmask_b32_e64 v2, 0, 1, s[40:41]
	global_store_dword v[0:1], v2, off
.LBB151_276:
	s_mov_b64 s[48:49], 0
.LBB151_277:
	s_andn2_b64 vcc, exec, s[48:49]
	s_cbranch_vccnz .LBB151_279
; %bb.278:
	v_cndmask_b32_e64 v2, 0, 1, s[40:41]
	global_store_short v[0:1], v2, off
.LBB151_279:
	s_mov_b64 s[48:49], 0
.LBB151_280:
	s_andn2_b64 vcc, exec, s[48:49]
	s_cbranch_vccnz .LBB151_285
; %bb.281:
	s_cmp_gt_i32 s14, 0
	s_mov_b64 s[48:49], -1
	s_cbranch_scc0 .LBB151_283
; %bb.282:
	v_cndmask_b32_e64 v2, 0, 1, s[40:41]
	global_store_byte v[0:1], v2, off
	s_mov_b64 s[48:49], 0
.LBB151_283:
	s_andn2_b64 vcc, exec, s[48:49]
	s_cbranch_vccnz .LBB151_285
; %bb.284:
	v_cndmask_b32_e64 v2, 0, 1, s[40:41]
	global_store_byte v[0:1], v2, off
.LBB151_285:
	s_mov_b64 s[48:49], -1
.LBB151_286:
	s_andn2_b64 vcc, exec, s[48:49]
	s_cbranch_vccnz .LBB151_288
; %bb.287:
	v_add_u32_e32 v8, 0x80, v8
	s_mov_b64 s[48:49], -1
	s_branch .LBB151_406
.LBB151_288:
	s_mov_b64 s[48:49], 0
                                        ; implicit-def: $vgpr8
	s_branch .LBB151_406
.LBB151_289:
	s_mov_b64 s[42:43], -1
                                        ; implicit-def: $vgpr3
.LBB151_290:
	v_mov_b32_e32 v4, 0
.LBB151_291:
	s_mov_b64 s[40:41], 0
.LBB151_292:
	s_and_b64 vcc, exec, s[40:41]
	s_cbranch_vccz .LBB151_297
; %bb.293:
	s_cmp_eq_u32 s52, 29
	s_cbranch_scc0 .LBB151_295
; %bb.294:
	global_load_dwordx2 v[3:4], v[1:2], off
	s_mov_b64 s[0:1], -1
	s_mov_b64 s[42:43], 0
	s_waitcnt vmcnt(0)
	v_ffbh_u32_e32 v7, v4
	v_min_u32_e32 v7, 32, v7
	v_lshlrev_b64 v[3:4], v7, v[3:4]
	v_min_u32_e32 v3, 1, v3
	v_or_b32_e32 v3, v4, v3
	v_cvt_f32_u32_e32 v3, v3
	v_sub_u32_e32 v4, 32, v7
	v_ldexp_f32 v3, v3, v4
	v_cvt_f16_f32_e32 v3, v3
	s_branch .LBB151_296
.LBB151_295:
	s_mov_b64 s[42:43], -1
                                        ; implicit-def: $vgpr3
.LBB151_296:
	v_mov_b32_e32 v4, 0
.LBB151_297:
	s_mov_b64 s[40:41], 0
.LBB151_298:
	s_and_b64 vcc, exec, s[40:41]
	s_cbranch_vccz .LBB151_316
; %bb.299:
	s_cmp_lt_i32 s52, 27
	s_cbranch_scc1 .LBB151_302
; %bb.300:
	s_cmp_gt_i32 s52, 27
	s_cbranch_scc0 .LBB151_303
; %bb.301:
	global_load_dword v3, v[1:2], off
	s_mov_b64 s[0:1], 0
	s_waitcnt vmcnt(0)
	v_cvt_f32_u32_e32 v3, v3
	v_cvt_f16_f32_e32 v3, v3
	s_branch .LBB151_304
.LBB151_302:
	s_mov_b64 s[0:1], -1
                                        ; implicit-def: $vgpr3
	s_branch .LBB151_307
.LBB151_303:
	s_mov_b64 s[0:1], -1
                                        ; implicit-def: $vgpr3
.LBB151_304:
	s_andn2_b64 vcc, exec, s[0:1]
	s_cbranch_vccnz .LBB151_306
; %bb.305:
	global_load_ushort v3, v[1:2], off
	s_waitcnt vmcnt(0)
	v_cvt_f16_u16_e32 v3, v3
.LBB151_306:
	s_mov_b64 s[0:1], 0
.LBB151_307:
	s_andn2_b64 vcc, exec, s[0:1]
	s_cbranch_vccnz .LBB151_315
; %bb.308:
	global_load_ubyte v4, v[1:2], off
	s_movk_i32 s0, 0x7f
	s_waitcnt vmcnt(0)
	v_cmp_lt_i16_e32 vcc, s0, v4
	s_mov_b64 s[0:1], 0
	s_and_saveexec_b64 s[40:41], vcc
	s_xor_b64 s[40:41], exec, s[40:41]
	s_cbranch_execz .LBB151_329
; %bb.309:
	s_movk_i32 s0, 0x80
	v_cmp_eq_u16_e32 vcc, s0, v4
	s_mov_b64 s[0:1], -1
	s_and_saveexec_b64 s[48:49], vcc
; %bb.310:
	s_xor_b64 s[0:1], exec, -1
; %bb.311:
	s_or_b64 exec, exec, s[48:49]
	s_and_b64 s[0:1], s[0:1], exec
	s_or_saveexec_b64 s[40:41], s[40:41]
	v_mov_b32_e32 v3, 0x7e00
	s_xor_b64 exec, exec, s[40:41]
	s_cbranch_execnz .LBB151_330
.LBB151_312:
	s_or_b64 exec, exec, s[40:41]
	s_and_saveexec_b64 s[40:41], s[0:1]
	s_cbranch_execz .LBB151_314
.LBB151_313:
	v_lshlrev_b32_e32 v3, 24, v4
	v_and_b32_e32 v4, 0xffff, v4
	v_and_b32_e32 v7, 7, v4
	v_ffbh_u32_e32 v10, v7
	v_min_u32_e32 v10, 32, v10
	v_subrev_u32_e32 v11, 28, v10
	v_bfe_u32 v9, v4, 3, 4
	v_lshlrev_b32_e32 v4, v11, v4
	v_sub_u32_e32 v10, 29, v10
	v_and_b32_e32 v4, 7, v4
	v_cmp_eq_u32_e32 vcc, 0, v9
	v_cndmask_b32_e32 v9, v9, v10, vcc
	v_cndmask_b32_e32 v4, v7, v4, vcc
	v_mov_b32_e32 v7, 0x3b800000
	v_lshlrev_b32_e32 v4, 20, v4
	v_and_b32_e32 v3, 0x80000000, v3
	v_lshl_add_u32 v7, v9, 23, v7
	v_or3_b32 v3, v3, v7, v4
	v_cvt_f16_f32_e32 v3, v3
.LBB151_314:
	s_or_b64 exec, exec, s[40:41]
.LBB151_315:
	s_mov_b64 s[0:1], -1
	v_mov_b32_e32 v4, 0
.LBB151_316:
	s_mov_b64 s[40:41], 0
.LBB151_317:
	s_and_b64 vcc, exec, s[40:41]
	s_cbranch_vccz .LBB151_353
; %bb.318:
	s_cmp_gt_i32 s52, 22
	s_cbranch_scc0 .LBB151_328
; %bb.319:
	s_cmp_lt_i32 s52, 24
	s_cbranch_scc1 .LBB151_331
; %bb.320:
	s_cmp_gt_i32 s52, 24
	s_cbranch_scc0 .LBB151_332
; %bb.321:
	global_load_ubyte v4, v[1:2], off
	s_movk_i32 s0, 0x7f
	s_waitcnt vmcnt(0)
	v_cmp_lt_i16_e32 vcc, s0, v4
	s_mov_b64 s[0:1], 0
	s_and_saveexec_b64 s[40:41], vcc
	s_xor_b64 s[40:41], exec, s[40:41]
	s_cbranch_execz .LBB151_344
; %bb.322:
	s_movk_i32 s0, 0x80
	v_cmp_eq_u16_e32 vcc, s0, v4
	s_mov_b64 s[0:1], -1
	s_and_saveexec_b64 s[48:49], vcc
; %bb.323:
	s_xor_b64 s[0:1], exec, -1
; %bb.324:
	s_or_b64 exec, exec, s[48:49]
	s_and_b64 s[0:1], s[0:1], exec
	s_or_saveexec_b64 s[40:41], s[40:41]
	v_mov_b32_e32 v3, 0x7e00
	s_xor_b64 exec, exec, s[40:41]
	s_cbranch_execnz .LBB151_345
.LBB151_325:
	s_or_b64 exec, exec, s[40:41]
	s_and_saveexec_b64 s[40:41], s[0:1]
	s_cbranch_execz .LBB151_327
.LBB151_326:
	v_lshlrev_b32_e32 v3, 24, v4
	v_and_b32_e32 v4, 0xffff, v4
	v_and_b32_e32 v7, 3, v4
	v_ffbh_u32_e32 v10, v7
	v_min_u32_e32 v10, 32, v10
	v_subrev_u32_e32 v11, 29, v10
	v_bfe_u32 v9, v4, 2, 5
	v_lshlrev_b32_e32 v4, v11, v4
	v_sub_u32_e32 v10, 30, v10
	v_and_b32_e32 v4, 3, v4
	v_cmp_eq_u32_e32 vcc, 0, v9
	v_cndmask_b32_e32 v9, v9, v10, vcc
	v_cndmask_b32_e32 v4, v7, v4, vcc
	v_mov_b32_e32 v7, 0x37800000
	v_lshlrev_b32_e32 v4, 21, v4
	v_and_b32_e32 v3, 0x80000000, v3
	v_lshl_add_u32 v7, v9, 23, v7
	v_or3_b32 v3, v3, v7, v4
	v_cvt_f16_f32_e32 v3, v3
.LBB151_327:
	s_or_b64 exec, exec, s[40:41]
	s_mov_b64 s[0:1], 0
	s_branch .LBB151_333
.LBB151_328:
	s_mov_b64 s[40:41], -1
                                        ; implicit-def: $vgpr3
	s_branch .LBB151_339
.LBB151_329:
	s_or_saveexec_b64 s[40:41], s[40:41]
	v_mov_b32_e32 v3, 0x7e00
	s_xor_b64 exec, exec, s[40:41]
	s_cbranch_execz .LBB151_312
.LBB151_330:
	v_cmp_ne_u16_e32 vcc, 0, v4
	s_andn2_b64 s[0:1], s[0:1], exec
	s_and_b64 s[48:49], vcc, exec
	s_or_b64 s[0:1], s[0:1], s[48:49]
	v_mov_b32_e32 v3, v4
	s_or_b64 exec, exec, s[40:41]
	s_and_saveexec_b64 s[40:41], s[0:1]
	s_cbranch_execnz .LBB151_313
	s_branch .LBB151_314
.LBB151_331:
	s_mov_b64 s[0:1], -1
                                        ; implicit-def: $vgpr3
	s_branch .LBB151_336
.LBB151_332:
	s_mov_b64 s[0:1], -1
                                        ; implicit-def: $vgpr3
.LBB151_333:
	s_and_b64 vcc, exec, s[0:1]
	s_cbranch_vccz .LBB151_335
; %bb.334:
	global_load_ubyte v3, v[1:2], off
	s_mov_b32 s0, 0x7f800000
	s_waitcnt vmcnt(0)
	v_lshlrev_b32_e32 v3, 24, v3
	v_and_b32_e32 v4, 0x7f000000, v3
	v_ffbh_u32_e32 v7, v4
	v_min_u32_e32 v7, 32, v7
	v_sub_u32_e64 v7, v7, 4 clamp
	v_lshlrev_b32_e32 v10, v7, v4
	v_lshlrev_b32_e32 v7, 23, v7
	v_lshrrev_b32_e32 v10, 4, v10
	v_add_u32_e32 v9, 0x1000000, v4
	v_sub_u32_e32 v7, v10, v7
	v_ashrrev_i32_e32 v9, 8, v9
	v_add_u32_e32 v7, 0x3c000000, v7
	v_and_or_b32 v7, v9, s0, v7
	v_cmp_ne_u32_e32 vcc, 0, v4
	v_cndmask_b32_e32 v4, 0, v7, vcc
	s_brev_b32 s0, 1
	v_and_or_b32 v3, v3, s0, v4
	v_cvt_f16_f32_e32 v3, v3
.LBB151_335:
	s_mov_b64 s[0:1], 0
.LBB151_336:
	s_andn2_b64 vcc, exec, s[0:1]
	s_cbranch_vccnz .LBB151_338
; %bb.337:
	global_load_ubyte v3, v[1:2], off
	s_movk_i32 s0, 0x7f00
	s_brev_b32 s1, 16
	s_waitcnt vmcnt(0)
	v_lshlrev_b16_e32 v4, 8, v3
	v_lshlrev_b32_e32 v3, 25, v3
	v_lshrrev_b32_e32 v7, 4, v3
	v_and_or_b32 v9, v4, s0, 0.5
	v_or_b32_e32 v7, 0x70000000, v7
	v_add_f32_e32 v9, -0.5, v9
	v_mul_f32_e32 v7, 0x7800000, v7
	v_cmp_gt_u32_e32 vcc, s1, v3
	v_bfe_i32 v4, v4, 0, 16
	v_cndmask_b32_e32 v3, v7, v9, vcc
	s_brev_b32 s0, 1
	v_and_or_b32 v3, v4, s0, v3
	v_cvt_f16_f32_e32 v3, v3
.LBB151_338:
	s_mov_b64 s[40:41], 0
	s_mov_b64 s[0:1], -1
.LBB151_339:
	s_andn2_b64 vcc, exec, s[40:41]
	s_cbranch_vccnz .LBB151_352
; %bb.340:
	s_cmp_gt_i32 s52, 14
	s_cbranch_scc0 .LBB151_343
; %bb.341:
	s_cmp_eq_u32 s52, 15
	s_cbranch_scc0 .LBB151_346
; %bb.342:
	global_load_ushort v3, v[1:2], off
	s_mov_b64 s[0:1], -1
	s_mov_b64 s[42:43], 0
	s_waitcnt vmcnt(0)
	v_lshlrev_b32_e32 v3, 16, v3
	v_cvt_f16_f32_e32 v3, v3
	s_branch .LBB151_347
.LBB151_343:
	s_mov_b64 s[40:41], -1
                                        ; implicit-def: $vgpr3
	s_branch .LBB151_348
.LBB151_344:
	s_or_saveexec_b64 s[40:41], s[40:41]
	v_mov_b32_e32 v3, 0x7e00
	s_xor_b64 exec, exec, s[40:41]
	s_cbranch_execz .LBB151_325
.LBB151_345:
	v_cmp_ne_u16_e32 vcc, 0, v4
	s_andn2_b64 s[0:1], s[0:1], exec
	s_and_b64 s[48:49], vcc, exec
	s_or_b64 s[0:1], s[0:1], s[48:49]
	v_mov_b32_e32 v3, v4
	s_or_b64 exec, exec, s[40:41]
	s_and_saveexec_b64 s[40:41], s[0:1]
	s_cbranch_execnz .LBB151_326
	s_branch .LBB151_327
.LBB151_346:
	s_mov_b64 s[42:43], -1
                                        ; implicit-def: $vgpr3
.LBB151_347:
	s_mov_b64 s[40:41], 0
.LBB151_348:
	s_and_b64 vcc, exec, s[40:41]
	s_cbranch_vccz .LBB151_352
; %bb.349:
	s_cmp_eq_u32 s52, 11
	s_cbranch_scc0 .LBB151_351
; %bb.350:
	global_load_ubyte v3, v[1:2], off
	v_mov_b32_e32 v4, 0x3c00
	s_mov_b64 s[0:1], -1
	s_mov_b64 s[42:43], 0
	s_waitcnt vmcnt(0)
	v_cmp_ne_u16_e32 vcc, 0, v3
	v_cndmask_b32_e32 v3, 0, v4, vcc
	s_branch .LBB151_352
.LBB151_351:
	s_mov_b64 s[42:43], -1
                                        ; implicit-def: $vgpr3
.LBB151_352:
	v_mov_b32_e32 v4, 0
.LBB151_353:
	s_branch .LBB151_31
.LBB151_354:
	s_and_b32 s14, 0xffff, s14
	s_cmp_lt_i32 s14, 5
	s_cbranch_scc1 .LBB151_359
; %bb.355:
	s_cmp_lt_i32 s14, 8
	s_cbranch_scc1 .LBB151_360
; %bb.356:
	;; [unrolled: 3-line block ×3, first 2 shown]
	s_cmp_gt_i32 s14, 9
	s_cbranch_scc0 .LBB151_362
; %bb.358:
	global_load_dwordx4 v[9:12], v[1:2], off
	s_movk_i32 s0, 0x1ff
	s_movk_i32 s1, 0xffe
	v_mov_b32_e32 v3, 0x7c00
	v_mov_b32_e32 v4, 0x7e00
	s_movk_i32 s40, 0x40f
	s_mov_b32 s41, 0x8000
	s_waitcnt vmcnt(0)
	v_and_or_b32 v7, v10, s0, v9
	v_and_or_b32 v11, v12, s0, v11
	v_cmp_ne_u32_e32 vcc, 0, v7
	v_lshrrev_b32_e32 v9, 8, v10
	v_bfe_u32 v13, v10, 20, 11
	v_cndmask_b32_e64 v7, 0, 1, vcc
	v_cmp_ne_u32_e32 vcc, 0, v11
	v_lshrrev_b32_e32 v14, 8, v12
	v_bfe_u32 v15, v12, 20, 11
	v_sub_u32_e32 v16, 0x3f1, v13
	v_cndmask_b32_e64 v11, 0, 1, vcc
	v_and_or_b32 v7, v9, s1, v7
	v_add_u32_e32 v13, 0xfffffc10, v13
	v_sub_u32_e32 v17, 0x3f1, v15
	v_add_u32_e32 v15, 0xfffffc10, v15
	v_med3_i32 v9, v16, 0, 13
	v_and_or_b32 v11, v14, s1, v11
	v_or_b32_e32 v16, 0x1000, v7
	v_cmp_ne_u32_e32 vcc, 0, v7
	v_med3_i32 v14, v17, 0, 13
	v_lshl_or_b32 v17, v13, 12, v7
	v_cndmask_b32_e32 v7, v3, v4, vcc
	v_or_b32_e32 v18, 0x1000, v11
	v_lshl_or_b32 v19, v15, 12, v11
	v_cmp_ne_u32_e32 vcc, 0, v11
	v_lshrrev_b32_e32 v11, v9, v16
	v_lshrrev_b32_e32 v20, v14, v18
	v_lshlrev_b32_e32 v9, v9, v11
	v_cndmask_b32_e32 v4, v3, v4, vcc
	v_lshlrev_b32_e32 v14, v14, v20
	v_cmp_ne_u32_e32 vcc, v9, v16
	v_cndmask_b32_e64 v9, 0, 1, vcc
	v_cmp_ne_u32_e32 vcc, v14, v18
	v_cndmask_b32_e64 v14, 0, 1, vcc
	v_or_b32_e32 v9, v11, v9
	v_cmp_gt_i32_e32 vcc, 1, v13
	v_cndmask_b32_e32 v9, v17, v9, vcc
	v_or_b32_e32 v11, v20, v14
	v_cmp_gt_i32_e32 vcc, 1, v15
	v_and_b32_e32 v14, 7, v9
	v_cndmask_b32_e32 v11, v19, v11, vcc
	v_cmp_lt_i32_e32 vcc, 5, v14
	v_and_b32_e32 v16, 7, v11
	v_cndmask_b32_e64 v17, 0, 1, vcc
	v_cmp_eq_u32_e32 vcc, 3, v14
	v_cndmask_b32_e64 v14, 0, 1, vcc
	v_cmp_lt_i32_e32 vcc, 5, v16
	v_cndmask_b32_e64 v18, 0, 1, vcc
	v_cmp_eq_u32_e32 vcc, 3, v16
	v_lshrrev_b32_e32 v9, 2, v9
	v_cndmask_b32_e64 v16, 0, 1, vcc
	v_or_b32_e32 v14, v14, v17
	v_lshrrev_b32_e32 v11, 2, v11
	v_or_b32_e32 v16, v16, v18
	v_add_u32_e32 v9, v9, v14
	v_cmp_gt_i32_e32 vcc, 31, v13
	v_add_u32_e32 v11, v11, v16
	v_cndmask_b32_e32 v9, v3, v9, vcc
	v_cmp_gt_i32_e32 vcc, 31, v15
	v_cndmask_b32_e32 v3, v3, v11, vcc
	v_cmp_eq_u32_e32 vcc, s40, v13
	v_cndmask_b32_e32 v7, v9, v7, vcc
	v_cmp_eq_u32_e32 vcc, s40, v15
	v_lshrrev_b32_e32 v10, 16, v10
	v_lshrrev_b32_e32 v12, 16, v12
	v_cndmask_b32_e32 v4, v3, v4, vcc
	v_and_or_b32 v3, v10, s41, v7
	v_and_or_b32 v4, v12, s41, v4
	s_mov_b64 s[0:1], 0
	s_branch .LBB151_363
.LBB151_359:
	s_mov_b64 s[0:1], -1
                                        ; implicit-def: $vgpr4
                                        ; implicit-def: $vgpr3
	s_branch .LBB151_382
.LBB151_360:
	s_mov_b64 s[0:1], -1
                                        ; implicit-def: $vgpr4
                                        ; implicit-def: $vgpr3
	s_branch .LBB151_369
.LBB151_361:
	s_mov_b64 s[0:1], -1
                                        ; implicit-def: $vgpr4
                                        ; implicit-def: $vgpr3
	s_branch .LBB151_366
.LBB151_362:
	s_mov_b64 s[0:1], -1
                                        ; implicit-def: $vgpr4
                                        ; implicit-def: $vgpr3
.LBB151_363:
	s_andn2_b64 vcc, exec, s[0:1]
	s_cbranch_vccnz .LBB151_365
; %bb.364:
	global_load_dwordx2 v[3:4], v[1:2], off
	s_waitcnt vmcnt(0)
	v_cvt_f16_f32_e32 v3, v3
	v_cvt_f16_f32_e32 v4, v4
.LBB151_365:
	s_mov_b64 s[0:1], 0
.LBB151_366:
	s_andn2_b64 vcc, exec, s[0:1]
	s_cbranch_vccnz .LBB151_368
; %bb.367:
	global_load_dword v3, v[1:2], off
	s_waitcnt vmcnt(0)
	v_lshrrev_b32_e32 v4, 16, v3
.LBB151_368:
	s_mov_b64 s[0:1], 0
.LBB151_369:
	s_andn2_b64 vcc, exec, s[0:1]
	s_cbranch_vccnz .LBB151_381
; %bb.370:
	s_cmp_lt_i32 s14, 6
	s_cbranch_scc1 .LBB151_373
; %bb.371:
	s_cmp_gt_i32 s14, 6
	s_cbranch_scc0 .LBB151_374
; %bb.372:
	global_load_dwordx2 v[3:4], v[1:2], off
	s_movk_i32 s0, 0x1ff
	s_movk_i32 s1, 0xffe
	v_mov_b32_e32 v7, 0x7c00
	v_mov_b32_e32 v9, 0x7e00
	s_movk_i32 s40, 0x40f
	s_mov_b32 s41, 0x8000
	s_waitcnt vmcnt(0)
	v_and_or_b32 v3, v4, s0, v3
	v_cmp_ne_u32_e32 vcc, 0, v3
	v_lshrrev_b32_e32 v10, 8, v4
	v_bfe_u32 v11, v4, 20, 11
	v_cndmask_b32_e64 v3, 0, 1, vcc
	v_sub_u32_e32 v12, 0x3f1, v11
	v_and_or_b32 v3, v10, s1, v3
	v_add_u32_e32 v11, 0xfffffc10, v11
	v_med3_i32 v10, v12, 0, 13
	v_or_b32_e32 v12, 0x1000, v3
	v_cmp_ne_u32_e32 vcc, 0, v3
	v_lshl_or_b32 v13, v11, 12, v3
	v_cndmask_b32_e32 v3, v7, v9, vcc
	v_lshrrev_b32_e32 v9, v10, v12
	v_lshlrev_b32_e32 v10, v10, v9
	v_cmp_ne_u32_e32 vcc, v10, v12
	v_cndmask_b32_e64 v10, 0, 1, vcc
	v_or_b32_e32 v9, v9, v10
	v_cmp_gt_i32_e32 vcc, 1, v11
	v_cndmask_b32_e32 v9, v13, v9, vcc
	v_and_b32_e32 v10, 7, v9
	v_cmp_lt_i32_e32 vcc, 5, v10
	v_cndmask_b32_e64 v12, 0, 1, vcc
	v_cmp_eq_u32_e32 vcc, 3, v10
	v_cndmask_b32_e64 v10, 0, 1, vcc
	v_lshrrev_b32_e32 v9, 2, v9
	v_or_b32_e32 v10, v10, v12
	v_add_u32_e32 v9, v9, v10
	v_cmp_gt_i32_e32 vcc, 31, v11
	v_cndmask_b32_e32 v7, v7, v9, vcc
	v_cmp_eq_u32_e32 vcc, s40, v11
	v_lshrrev_b32_e32 v4, 16, v4
	v_cndmask_b32_e32 v3, v7, v3, vcc
	v_and_or_b32 v3, v4, s41, v3
	s_mov_b64 s[0:1], 0
	s_branch .LBB151_375
.LBB151_373:
	s_mov_b64 s[0:1], -1
                                        ; implicit-def: $vgpr3
	s_branch .LBB151_378
.LBB151_374:
	s_mov_b64 s[0:1], -1
                                        ; implicit-def: $vgpr3
.LBB151_375:
	s_andn2_b64 vcc, exec, s[0:1]
	s_cbranch_vccnz .LBB151_377
; %bb.376:
	global_load_dword v3, v[1:2], off
	s_waitcnt vmcnt(0)
	v_cvt_f16_f32_e32 v3, v3
.LBB151_377:
	s_mov_b64 s[0:1], 0
.LBB151_378:
	s_andn2_b64 vcc, exec, s[0:1]
	s_cbranch_vccnz .LBB151_380
; %bb.379:
	global_load_ushort v3, v[1:2], off
.LBB151_380:
	v_mov_b32_e32 v4, 0
.LBB151_381:
	s_mov_b64 s[0:1], 0
.LBB151_382:
	s_andn2_b64 vcc, exec, s[0:1]
	s_cbranch_vccnz .LBB151_403
; %bb.383:
	s_cmp_lt_i32 s14, 2
	s_cbranch_scc1 .LBB151_387
; %bb.384:
	s_cmp_lt_i32 s14, 3
	s_cbranch_scc1 .LBB151_388
; %bb.385:
	s_cmp_gt_i32 s14, 3
	s_cbranch_scc0 .LBB151_389
; %bb.386:
	global_load_dwordx2 v[3:4], v[1:2], off
	s_mov_b64 s[0:1], 0
	s_waitcnt vmcnt(0)
	v_xor_b32_e32 v9, v3, v4
	v_ffbh_i32_e32 v7, v4
	v_ashrrev_i32_e32 v9, 31, v9
	v_add_u32_e32 v7, -1, v7
	v_add_u32_e32 v9, 32, v9
	v_min_u32_e32 v7, v7, v9
	v_lshlrev_b64 v[3:4], v7, v[3:4]
	v_min_u32_e32 v3, 1, v3
	v_or_b32_e32 v3, v4, v3
	v_cvt_f32_i32_e32 v3, v3
	v_sub_u32_e32 v4, 32, v7
	v_ldexp_f32 v3, v3, v4
	v_cvt_f16_f32_e32 v3, v3
	s_branch .LBB151_390
.LBB151_387:
	s_mov_b64 s[0:1], -1
                                        ; implicit-def: $vgpr3
	s_branch .LBB151_396
.LBB151_388:
	s_mov_b64 s[0:1], -1
                                        ; implicit-def: $vgpr3
	s_branch .LBB151_393
.LBB151_389:
	s_mov_b64 s[0:1], -1
                                        ; implicit-def: $vgpr3
.LBB151_390:
	s_andn2_b64 vcc, exec, s[0:1]
	s_cbranch_vccnz .LBB151_392
; %bb.391:
	global_load_dword v3, v[1:2], off
	s_waitcnt vmcnt(0)
	v_cvt_f32_i32_e32 v3, v3
	v_cvt_f16_f32_e32 v3, v3
.LBB151_392:
	s_mov_b64 s[0:1], 0
.LBB151_393:
	s_andn2_b64 vcc, exec, s[0:1]
	s_cbranch_vccnz .LBB151_395
; %bb.394:
	global_load_ushort v3, v[1:2], off
	s_waitcnt vmcnt(0)
	v_cvt_f16_i16_e32 v3, v3
.LBB151_395:
	s_mov_b64 s[0:1], 0
.LBB151_396:
	s_andn2_b64 vcc, exec, s[0:1]
	s_cbranch_vccnz .LBB151_402
; %bb.397:
	s_cmp_gt_i32 s14, 0
	s_cbranch_scc0 .LBB151_399
; %bb.398:
	global_load_sbyte v3, v[1:2], off
	s_mov_b64 s[0:1], 0
	s_waitcnt vmcnt(0)
	v_cvt_f16_i16_e32 v3, v3
	s_branch .LBB151_400
.LBB151_399:
	s_mov_b64 s[0:1], -1
                                        ; implicit-def: $vgpr3
.LBB151_400:
	s_andn2_b64 vcc, exec, s[0:1]
	s_cbranch_vccnz .LBB151_402
; %bb.401:
	global_load_ubyte v1, v[1:2], off
	s_waitcnt vmcnt(0)
	v_cvt_f16_u16_e32 v3, v1
.LBB151_402:
	v_mov_b32_e32 v4, 0
.LBB151_403:
	s_branch .LBB151_32
.LBB151_404:
	s_mov_b64 s[0:1], 0
.LBB151_405:
                                        ; implicit-def: $vgpr8
	s_mov_b64 s[48:49], 0
.LBB151_406:
	s_and_b64 s[40:41], s[0:1], exec
	s_and_b64 s[42:43], s[42:43], exec
	;; [unrolled: 1-line block ×3, first 2 shown]
	s_orn2_b64 s[0:1], s[48:49], exec
.LBB151_407:
	s_or_b64 exec, exec, s[46:47]
	s_mov_b64 s[54:55], 0
	s_mov_b64 s[52:53], 0
                                        ; implicit-def: $sgpr14
                                        ; implicit-def: $vgpr3_vgpr4
                                        ; implicit-def: $vgpr0
                                        ; implicit-def: $vgpr2
                                        ; implicit-def: $vgpr6
                                        ; implicit-def: $vgpr5
	s_and_saveexec_b64 s[46:47], s[0:1]
	s_cbranch_execz .LBB151_415
; %bb.408:
	v_cmp_gt_i32_e32 vcc, s70, v8
	s_mov_b64 s[0:1], -1
	s_mov_b64 s[48:49], s[44:45]
	s_mov_b64 s[50:51], s[42:43]
	;; [unrolled: 1-line block ×3, first 2 shown]
	s_and_saveexec_b64 s[54:55], vcc
	s_cbranch_execz .LBB151_823
; %bb.409:
	s_andn2_b64 vcc, exec, s[24:25]
	s_cbranch_vccnz .LBB151_418
; %bb.410:
	s_andn2_b64 vcc, exec, s[38:39]
	s_cbranch_vccnz .LBB151_419
; %bb.411:
	s_add_i32 s0, s75, 1
	s_and_b32 s14, s0, 30
	s_add_u32 s0, s2, 0xffffffe8
	s_addc_u32 s1, s3, -1
	v_mov_b32_e32 v2, 0
	v_mov_b32_e32 v4, 0
	;; [unrolled: 1-line block ×4, first 2 shown]
.LBB151_412:                            ; =>This Inner Loop Header: Depth=1
	s_load_dwordx4 s[48:51], s[0:1], 0x1c
	s_load_dwordx2 s[52:53], s[0:1], 0x2c
	s_load_dwordx2 s[60:61], s[0:1], 0xec
	s_load_dwordx4 s[56:59], s[0:1], 0xdc
	s_add_u32 s0, s0, 24
	s_waitcnt vmcnt(0) lgkmcnt(0)
	v_mul_hi_u32 v3, s49, v1
	s_addc_u32 s1, s1, 0
	s_add_i32 s14, s14, -2
	s_cmp_eq_u32 s14, 0
	v_add_u32_e32 v3, v1, v3
	v_lshrrev_b32_e32 v3, s50, v3
	v_mul_lo_u32 v5, v3, s48
	v_mul_hi_u32 v6, s52, v3
	v_sub_u32_e32 v5, v1, v5
	v_add_u32_e32 v1, v3, v6
	v_lshrrev_b32_e32 v1, s53, v1
	v_mul_lo_u32 v9, v1, s51
	v_mul_lo_u32 v6, v5, s56
	;; [unrolled: 1-line block ×4, first 2 shown]
	v_sub_u32_e32 v3, v3, v9
	v_mul_lo_u32 v9, v3, s59
	v_mul_lo_u32 v10, v3, s60
	;; [unrolled: 1-line block ×3, first 2 shown]
	v_add3_u32 v0, v6, v0, v9
	v_add3_u32 v4, v7, v4, v10
	v_add3_u32 v2, v5, v2, v3
	s_cbranch_scc0 .LBB151_412
; %bb.413:
	s_bitcmp1_b32 s75, 0
	s_cselect_b64 s[48:49], -1, 0
	s_and_b64 vcc, exec, s[48:49]
	s_cbranch_vccnz .LBB151_420
; %bb.414:
	s_load_dwordx2 s[48:49], s[0:1], 0x1c
	s_load_dword s14, s[0:1], 0x24
	s_load_dwordx2 s[50:51], s[0:1], 0xdc
	s_waitcnt lgkmcnt(0)
	v_mul_hi_u32 v3, s49, v1
	v_add_u32_e32 v3, v1, v3
	v_lshrrev_b32_e32 v3, s14, v3
	v_mul_lo_u32 v3, v3, s48
	s_load_dword s14, s[0:1], 0xe4
	v_sub_u32_e32 v3, v1, v3
	v_mad_u64_u32 v[0:1], s[0:1], v3, s50, v[0:1]
	v_mad_u64_u32 v[4:5], s[0:1], v3, s51, v[4:5]
	s_waitcnt lgkmcnt(0)
	v_mad_u64_u32 v[2:3], s[0:1], v3, s14, v[2:3]
	s_branch .LBB151_420
.LBB151_415:
	s_or_b64 exec, exec, s[46:47]
	s_mov_b64 s[10:11], 0
	s_and_saveexec_b64 s[0:1], s[44:45]
	s_cbranch_execnz .LBB151_1339
.LBB151_416:
	s_or_b64 exec, exec, s[0:1]
	s_and_saveexec_b64 s[0:1], s[50:51]
	s_xor_b64 s[0:1], exec, s[0:1]
	s_cbranch_execz .LBB151_1340
.LBB151_417:
	s_waitcnt vmcnt(0)
	global_load_ubyte v1, v[3:4], off
	v_mov_b32_e32 v5, 0x3c00
	v_mov_b32_e32 v6, 0
	s_or_b64 s[52:53], s[52:53], exec
	s_waitcnt vmcnt(0)
	v_cmp_ne_u16_e32 vcc, 0, v1
	v_cndmask_b32_e32 v5, 0, v5, vcc
	s_or_b64 exec, exec, s[0:1]
	s_and_saveexec_b64 s[0:1], s[54:55]
	s_cbranch_execz .LBB151_1388
	s_branch .LBB151_1341
.LBB151_418:
                                        ; implicit-def: $vgpr0
                                        ; implicit-def: $vgpr4
                                        ; implicit-def: $vgpr2
	s_andn2_b64 vcc, exec, s[0:1]
	s_cbranch_vccz .LBB151_421
	s_branch .LBB151_423
.LBB151_419:
	v_mov_b32_e32 v0, 0
	v_mov_b32_e32 v4, 0
	;; [unrolled: 1-line block ×3, first 2 shown]
.LBB151_420:
	s_cbranch_execnz .LBB151_423
.LBB151_421:
	v_mul_hi_u32 v0, s17, v8
	s_andn2_b64 vcc, exec, s[36:37]
	v_add_u32_e32 v0, v8, v0
	v_lshrrev_b32_e32 v1, s18, v0
	v_mul_lo_u32 v0, v1, s16
	v_sub_u32_e32 v2, v8, v0
	v_mul_lo_u32 v0, v2, s20
	v_mul_lo_u32 v4, v2, s21
	v_mul_lo_u32 v2, v2, s22
	s_cbranch_vccnz .LBB151_423
; %bb.422:
	s_waitcnt vmcnt(0)
	v_mul_hi_u32 v3, s34, v1
	v_add_u32_e32 v3, v1, v3
	v_lshrrev_b32_e32 v3, s35, v3
	v_mul_lo_u32 v3, v3, s19
	v_sub_u32_e32 v3, v1, v3
	v_mad_u64_u32 v[0:1], s[0:1], v3, s23, v[0:1]
	v_mad_u64_u32 v[4:5], s[0:1], v3, s30, v[4:5]
	;; [unrolled: 1-line block ×3, first 2 shown]
.LBB151_423:
	v_mov_b32_e32 v1, s11
	s_and_b32 s14, s74, 0xff
	s_waitcnt vmcnt(0)
	v_add_co_u32_e32 v3, vcc, s10, v4
	s_cmp_lt_i32 s14, 11
	v_addc_co_u32_e32 v4, vcc, 0, v1, vcc
	s_cbranch_scc1 .LBB151_430
; %bb.424:
	s_and_b32 s56, 0xffff, s14
	s_cmp_gt_i32 s56, 25
	s_cbranch_scc0 .LBB151_439
; %bb.425:
	s_cmp_gt_i32 s56, 28
	s_cbranch_scc0 .LBB151_441
; %bb.426:
	;; [unrolled: 3-line block ×4, first 2 shown]
	s_cmp_eq_u32 s56, 46
	s_mov_b64 s[50:51], 0
	s_cbranch_scc0 .LBB151_449
; %bb.429:
	global_load_dword v1, v[3:4], off
	s_mov_b64 s[0:1], -1
	s_mov_b64 s[48:49], 0
	s_waitcnt vmcnt(0)
	v_and_b32_e32 v6, 0xffff0000, v1
	v_lshlrev_b32_e32 v1, 16, v1
	v_cvt_f16_f32_e32 v5, v1
	v_cvt_f16_f32_e32 v6, v6
	s_branch .LBB151_450
.LBB151_430:
	s_mov_b64 s[0:1], 0
                                        ; implicit-def: $vgpr6
                                        ; implicit-def: $vgpr5
	s_mov_b64 s[48:49], s[44:45]
	s_cbranch_execnz .LBB151_519
.LBB151_431:
	s_andn2_b64 vcc, exec, s[0:1]
	s_cbranch_vccnz .LBB151_569
.LBB151_432:
	v_mov_b32_e32 v3, s13
	s_and_b32 s14, s73, 0xff
	v_add_co_u32_e32 v1, vcc, s12, v2
	s_cmp_lt_i32 s14, 11
	v_addc_co_u32_e32 v2, vcc, 0, v3, vcc
	s_cbranch_scc1 .LBB151_440
; %bb.433:
	s_and_b32 s58, 0xffff, s14
	s_cmp_gt_i32 s58, 25
	s_cbranch_scc0 .LBB151_442
; %bb.434:
	s_cmp_gt_i32 s58, 28
	s_cbranch_scc0 .LBB151_444
; %bb.435:
	s_cmp_gt_i32 s58, 43
	s_cbranch_scc0 .LBB151_446
; %bb.436:
	s_cmp_gt_i32 s58, 45
	s_cbranch_scc0 .LBB151_453
; %bb.437:
	s_cmp_eq_u32 s58, 46
	s_mov_b64 s[52:53], 0
	s_cbranch_scc0 .LBB151_573
; %bb.438:
	global_load_dword v3, v[1:2], off
	s_mov_b64 s[0:1], -1
	s_mov_b64 s[50:51], 0
	s_waitcnt vmcnt(0)
	v_and_b32_e32 v4, 0xffff0000, v3
	v_lshlrev_b32_e32 v3, 16, v3
	v_cvt_f16_f32_e32 v3, v3
	v_cvt_f16_f32_e32 v4, v4
	s_branch .LBB151_574
.LBB151_439:
	s_mov_b64 s[50:51], -1
	s_mov_b64 s[0:1], 0
	s_mov_b64 s[48:49], s[44:45]
                                        ; implicit-def: $vgpr6
                                        ; implicit-def: $vgpr5
	s_branch .LBB151_482
.LBB151_440:
	s_mov_b64 s[52:53], -1
	s_mov_b64 s[0:1], 0
                                        ; implicit-def: $vgpr4
                                        ; implicit-def: $vgpr3
	s_mov_b64 s[50:51], s[42:43]
	s_branch .LBB151_642
.LBB151_441:
	s_mov_b64 s[50:51], -1
	s_mov_b64 s[0:1], 0
	s_mov_b64 s[48:49], s[44:45]
                                        ; implicit-def: $vgpr6
                                        ; implicit-def: $vgpr5
	s_branch .LBB151_463
.LBB151_442:
	s_mov_b64 s[52:53], -1
	s_mov_b64 s[0:1], 0
	s_mov_b64 s[50:51], s[42:43]
                                        ; implicit-def: $vgpr4
                                        ; implicit-def: $vgpr3
	s_branch .LBB151_605
.LBB151_443:
	s_mov_b64 s[50:51], -1
	s_mov_b64 s[0:1], 0
	s_mov_b64 s[48:49], s[44:45]
                                        ; implicit-def: $vgpr6
                                        ; implicit-def: $vgpr5
	s_branch .LBB151_457
.LBB151_444:
	s_mov_b64 s[52:53], -1
	s_mov_b64 s[0:1], 0
	s_mov_b64 s[50:51], s[42:43]
                                        ; implicit-def: $vgpr4
                                        ; implicit-def: $vgpr3
	s_branch .LBB151_586
.LBB151_445:
	s_mov_b64 s[50:51], -1
	s_mov_b64 s[0:1], 0
	s_mov_b64 s[48:49], s[44:45]
                                        ; implicit-def: $vgpr6
                                        ; implicit-def: $vgpr5
	s_branch .LBB151_450
.LBB151_446:
	s_mov_b64 s[52:53], -1
	s_mov_b64 s[0:1], 0
	s_mov_b64 s[50:51], s[42:43]
                                        ; implicit-def: $vgpr4
                                        ; implicit-def: $vgpr3
	s_branch .LBB151_580
.LBB151_447:
	s_andn2_saveexec_b64 s[54:55], s[54:55]
	s_cbranch_execz .LBB151_199
.LBB151_448:
	v_add_f32_e32 v2, 0x46000000, v3
	v_and_b32_e32 v2, 0xff, v2
	v_cmp_ne_u32_e32 vcc, 0, v2
	s_andn2_b64 s[52:53], s[52:53], exec
	s_and_b64 s[58:59], vcc, exec
	s_or_b64 s[52:53], s[52:53], s[58:59]
	s_or_b64 exec, exec, s[54:55]
	v_mov_b32_e32 v4, 0
	s_and_saveexec_b64 s[54:55], s[52:53]
	s_cbranch_execnz .LBB151_200
	s_branch .LBB151_201
.LBB151_449:
	s_mov_b64 s[48:49], -1
                                        ; implicit-def: $vgpr6
                                        ; implicit-def: $vgpr5
	s_mov_b64 s[0:1], 0
.LBB151_450:
	s_and_b64 vcc, exec, s[50:51]
	s_cbranch_vccz .LBB151_456
; %bb.451:
	s_cmp_eq_u32 s56, 44
	s_cbranch_scc0 .LBB151_454
; %bb.452:
	global_load_ubyte v1, v[3:4], off
	s_movk_i32 s48, 0xff
	v_mov_b32_e32 v6, 0x7e00
	s_mov_b64 s[0:1], -1
	s_waitcnt vmcnt(0)
	v_lshlrev_b32_e32 v5, 23, v1
	v_cvt_f16_f32_e32 v5, v5
	v_cmp_ne_u32_e32 vcc, s48, v1
	s_mov_b64 s[48:49], 0
	v_cndmask_b32_e32 v5, v6, v5, vcc
	v_cmp_ne_u32_e32 vcc, 0, v1
	v_cndmask_b32_e32 v5, 0, v5, vcc
	s_branch .LBB151_455
.LBB151_453:
	s_mov_b64 s[52:53], -1
	s_mov_b64 s[0:1], 0
	s_mov_b64 s[50:51], s[42:43]
                                        ; implicit-def: $vgpr4
                                        ; implicit-def: $vgpr3
	s_branch .LBB151_574
.LBB151_454:
	s_mov_b64 s[48:49], -1
                                        ; implicit-def: $vgpr5
.LBB151_455:
	v_mov_b32_e32 v6, 0
.LBB151_456:
	s_mov_b64 s[50:51], 0
.LBB151_457:
	s_and_b64 vcc, exec, s[50:51]
	s_cbranch_vccz .LBB151_462
; %bb.458:
	s_cmp_eq_u32 s56, 29
	s_cbranch_scc0 .LBB151_460
; %bb.459:
	global_load_dwordx2 v[5:6], v[3:4], off
	s_mov_b64 s[0:1], -1
	s_mov_b64 s[48:49], 0
	s_waitcnt vmcnt(0)
	v_ffbh_u32_e32 v1, v6
	v_min_u32_e32 v1, 32, v1
	v_lshlrev_b64 v[5:6], v1, v[5:6]
	v_sub_u32_e32 v1, 32, v1
	v_min_u32_e32 v5, 1, v5
	v_or_b32_e32 v5, v6, v5
	v_cvt_f32_u32_e32 v5, v5
	v_ldexp_f32 v1, v5, v1
	v_cvt_f16_f32_e32 v5, v1
	s_branch .LBB151_461
.LBB151_460:
	s_mov_b64 s[48:49], -1
                                        ; implicit-def: $vgpr5
.LBB151_461:
	v_mov_b32_e32 v6, 0
.LBB151_462:
	s_mov_b64 s[50:51], 0
.LBB151_463:
	s_and_b64 vcc, exec, s[50:51]
	s_cbranch_vccz .LBB151_481
; %bb.464:
	s_cmp_lt_i32 s56, 27
	s_cbranch_scc1 .LBB151_467
; %bb.465:
	s_cmp_gt_i32 s56, 27
	s_cbranch_scc0 .LBB151_468
; %bb.466:
	global_load_dword v1, v[3:4], off
	s_mov_b64 s[0:1], 0
	s_waitcnt vmcnt(0)
	v_cvt_f32_u32_e32 v1, v1
	v_cvt_f16_f32_e32 v5, v1
	s_branch .LBB151_469
.LBB151_467:
	s_mov_b64 s[0:1], -1
                                        ; implicit-def: $vgpr5
	s_branch .LBB151_472
.LBB151_468:
	s_mov_b64 s[0:1], -1
                                        ; implicit-def: $vgpr5
.LBB151_469:
	s_andn2_b64 vcc, exec, s[0:1]
	s_cbranch_vccnz .LBB151_471
; %bb.470:
	global_load_ushort v1, v[3:4], off
	s_waitcnt vmcnt(0)
	v_cvt_f16_u16_e32 v5, v1
.LBB151_471:
	s_mov_b64 s[0:1], 0
.LBB151_472:
	s_andn2_b64 vcc, exec, s[0:1]
	s_cbranch_vccnz .LBB151_480
; %bb.473:
	global_load_ubyte v1, v[3:4], off
	s_movk_i32 s0, 0x7f
	s_waitcnt vmcnt(0)
	v_cmp_lt_i16_e32 vcc, s0, v1
	s_mov_b64 s[0:1], 0
	s_and_saveexec_b64 s[50:51], vcc
	s_xor_b64 s[50:51], exec, s[50:51]
	s_cbranch_execz .LBB151_494
; %bb.474:
	s_movk_i32 s0, 0x80
	v_cmp_eq_u16_e32 vcc, s0, v1
	s_mov_b64 s[0:1], -1
	s_and_saveexec_b64 s[52:53], vcc
; %bb.475:
	s_xor_b64 s[0:1], exec, -1
; %bb.476:
	s_or_b64 exec, exec, s[52:53]
	s_and_b64 s[0:1], s[0:1], exec
	s_or_saveexec_b64 s[50:51], s[50:51]
	v_mov_b32_e32 v5, 0x7e00
	s_xor_b64 exec, exec, s[50:51]
	s_cbranch_execnz .LBB151_495
.LBB151_477:
	s_or_b64 exec, exec, s[50:51]
	s_and_saveexec_b64 s[50:51], s[0:1]
	s_cbranch_execz .LBB151_479
.LBB151_478:
	v_lshlrev_b32_e32 v5, 24, v1
	v_and_b32_e32 v1, 0xffff, v1
	v_and_b32_e32 v6, 7, v1
	v_ffbh_u32_e32 v9, v6
	v_min_u32_e32 v9, 32, v9
	v_subrev_u32_e32 v10, 28, v9
	v_bfe_u32 v7, v1, 3, 4
	v_lshlrev_b32_e32 v1, v10, v1
	v_sub_u32_e32 v9, 29, v9
	v_and_b32_e32 v1, 7, v1
	v_cmp_eq_u32_e32 vcc, 0, v7
	v_cndmask_b32_e32 v7, v7, v9, vcc
	v_cndmask_b32_e32 v1, v6, v1, vcc
	v_mov_b32_e32 v6, 0x3b800000
	v_lshlrev_b32_e32 v1, 20, v1
	v_and_b32_e32 v5, 0x80000000, v5
	v_lshl_add_u32 v6, v7, 23, v6
	v_or3_b32 v1, v5, v6, v1
	v_cvt_f16_f32_e32 v5, v1
.LBB151_479:
	s_or_b64 exec, exec, s[50:51]
.LBB151_480:
	s_mov_b64 s[0:1], -1
	v_mov_b32_e32 v6, 0
.LBB151_481:
	s_mov_b64 s[50:51], 0
.LBB151_482:
	s_and_b64 vcc, exec, s[50:51]
	s_cbranch_vccz .LBB151_518
; %bb.483:
	s_cmp_gt_i32 s56, 22
	s_cbranch_scc0 .LBB151_493
; %bb.484:
	s_cmp_lt_i32 s56, 24
	s_cbranch_scc1 .LBB151_496
; %bb.485:
	s_cmp_gt_i32 s56, 24
	s_cbranch_scc0 .LBB151_497
; %bb.486:
	global_load_ubyte v1, v[3:4], off
	s_movk_i32 s0, 0x7f
	s_waitcnt vmcnt(0)
	v_cmp_lt_i16_e32 vcc, s0, v1
	s_mov_b64 s[0:1], 0
	s_and_saveexec_b64 s[50:51], vcc
	s_xor_b64 s[50:51], exec, s[50:51]
	s_cbranch_execz .LBB151_509
; %bb.487:
	s_movk_i32 s0, 0x80
	v_cmp_eq_u16_e32 vcc, s0, v1
	s_mov_b64 s[0:1], -1
	s_and_saveexec_b64 s[52:53], vcc
; %bb.488:
	s_xor_b64 s[0:1], exec, -1
; %bb.489:
	s_or_b64 exec, exec, s[52:53]
	s_and_b64 s[0:1], s[0:1], exec
	s_or_saveexec_b64 s[50:51], s[50:51]
	v_mov_b32_e32 v5, 0x7e00
	s_xor_b64 exec, exec, s[50:51]
	s_cbranch_execnz .LBB151_510
.LBB151_490:
	s_or_b64 exec, exec, s[50:51]
	s_and_saveexec_b64 s[50:51], s[0:1]
	s_cbranch_execz .LBB151_492
.LBB151_491:
	v_lshlrev_b32_e32 v5, 24, v1
	v_and_b32_e32 v1, 0xffff, v1
	v_and_b32_e32 v6, 3, v1
	v_ffbh_u32_e32 v9, v6
	v_min_u32_e32 v9, 32, v9
	v_subrev_u32_e32 v10, 29, v9
	v_bfe_u32 v7, v1, 2, 5
	v_lshlrev_b32_e32 v1, v10, v1
	v_sub_u32_e32 v9, 30, v9
	v_and_b32_e32 v1, 3, v1
	v_cmp_eq_u32_e32 vcc, 0, v7
	v_cndmask_b32_e32 v7, v7, v9, vcc
	v_cndmask_b32_e32 v1, v6, v1, vcc
	v_mov_b32_e32 v6, 0x37800000
	v_lshlrev_b32_e32 v1, 21, v1
	v_and_b32_e32 v5, 0x80000000, v5
	v_lshl_add_u32 v6, v7, 23, v6
	v_or3_b32 v1, v5, v6, v1
	v_cvt_f16_f32_e32 v5, v1
.LBB151_492:
	s_or_b64 exec, exec, s[50:51]
	s_mov_b64 s[0:1], 0
	s_branch .LBB151_498
.LBB151_493:
	s_mov_b64 s[50:51], -1
                                        ; implicit-def: $vgpr5
	s_branch .LBB151_504
.LBB151_494:
	s_or_saveexec_b64 s[50:51], s[50:51]
	v_mov_b32_e32 v5, 0x7e00
	s_xor_b64 exec, exec, s[50:51]
	s_cbranch_execz .LBB151_477
.LBB151_495:
	v_cmp_ne_u16_e32 vcc, 0, v1
	s_andn2_b64 s[0:1], s[0:1], exec
	s_and_b64 s[52:53], vcc, exec
	s_or_b64 s[0:1], s[0:1], s[52:53]
	v_mov_b32_e32 v5, v1
	s_or_b64 exec, exec, s[50:51]
	s_and_saveexec_b64 s[50:51], s[0:1]
	s_cbranch_execnz .LBB151_478
	s_branch .LBB151_479
.LBB151_496:
	s_mov_b64 s[0:1], -1
                                        ; implicit-def: $vgpr5
	s_branch .LBB151_501
.LBB151_497:
	s_mov_b64 s[0:1], -1
                                        ; implicit-def: $vgpr5
.LBB151_498:
	s_and_b64 vcc, exec, s[0:1]
	s_cbranch_vccz .LBB151_500
; %bb.499:
	global_load_ubyte v1, v[3:4], off
	s_mov_b32 s0, 0x7f800000
	s_waitcnt vmcnt(0)
	v_lshlrev_b32_e32 v1, 24, v1
	v_and_b32_e32 v5, 0x7f000000, v1
	v_ffbh_u32_e32 v6, v5
	v_min_u32_e32 v6, 32, v6
	v_sub_u32_e64 v6, v6, 4 clamp
	v_lshlrev_b32_e32 v9, v6, v5
	v_lshlrev_b32_e32 v6, 23, v6
	v_lshrrev_b32_e32 v9, 4, v9
	v_add_u32_e32 v7, 0x1000000, v5
	v_sub_u32_e32 v6, v9, v6
	v_ashrrev_i32_e32 v7, 8, v7
	v_add_u32_e32 v6, 0x3c000000, v6
	v_and_or_b32 v6, v7, s0, v6
	v_cmp_ne_u32_e32 vcc, 0, v5
	v_cndmask_b32_e32 v5, 0, v6, vcc
	s_brev_b32 s0, 1
	v_and_or_b32 v1, v1, s0, v5
	v_cvt_f16_f32_e32 v5, v1
.LBB151_500:
	s_mov_b64 s[0:1], 0
.LBB151_501:
	s_andn2_b64 vcc, exec, s[0:1]
	s_cbranch_vccnz .LBB151_503
; %bb.502:
	global_load_ubyte v1, v[3:4], off
	s_movk_i32 s0, 0x7f00
	s_brev_b32 s1, 16
	s_waitcnt vmcnt(0)
	v_lshlrev_b16_e32 v5, 8, v1
	v_lshlrev_b32_e32 v1, 25, v1
	v_lshrrev_b32_e32 v6, 4, v1
	v_and_or_b32 v7, v5, s0, 0.5
	v_or_b32_e32 v6, 0x70000000, v6
	v_add_f32_e32 v7, -0.5, v7
	v_mul_f32_e32 v6, 0x7800000, v6
	v_cmp_gt_u32_e32 vcc, s1, v1
	v_bfe_i32 v5, v5, 0, 16
	v_cndmask_b32_e32 v1, v6, v7, vcc
	s_brev_b32 s0, 1
	v_and_or_b32 v1, v5, s0, v1
	v_cvt_f16_f32_e32 v5, v1
.LBB151_503:
	s_mov_b64 s[50:51], 0
	s_mov_b64 s[0:1], -1
.LBB151_504:
	s_andn2_b64 vcc, exec, s[50:51]
	s_cbranch_vccnz .LBB151_517
; %bb.505:
	s_cmp_gt_i32 s56, 14
	s_cbranch_scc0 .LBB151_508
; %bb.506:
	s_cmp_eq_u32 s56, 15
	s_cbranch_scc0 .LBB151_511
; %bb.507:
	global_load_ushort v1, v[3:4], off
	s_mov_b64 s[0:1], -1
	s_mov_b64 s[48:49], 0
	s_waitcnt vmcnt(0)
	v_lshlrev_b32_e32 v1, 16, v1
	v_cvt_f16_f32_e32 v5, v1
	s_branch .LBB151_512
.LBB151_508:
	s_mov_b64 s[50:51], -1
                                        ; implicit-def: $vgpr5
	s_branch .LBB151_513
.LBB151_509:
	s_or_saveexec_b64 s[50:51], s[50:51]
	v_mov_b32_e32 v5, 0x7e00
	s_xor_b64 exec, exec, s[50:51]
	s_cbranch_execz .LBB151_490
.LBB151_510:
	v_cmp_ne_u16_e32 vcc, 0, v1
	s_andn2_b64 s[0:1], s[0:1], exec
	s_and_b64 s[52:53], vcc, exec
	s_or_b64 s[0:1], s[0:1], s[52:53]
	v_mov_b32_e32 v5, v1
	s_or_b64 exec, exec, s[50:51]
	s_and_saveexec_b64 s[50:51], s[0:1]
	s_cbranch_execnz .LBB151_491
	s_branch .LBB151_492
.LBB151_511:
	s_mov_b64 s[48:49], -1
                                        ; implicit-def: $vgpr5
.LBB151_512:
	s_mov_b64 s[50:51], 0
.LBB151_513:
	s_and_b64 vcc, exec, s[50:51]
	s_cbranch_vccz .LBB151_517
; %bb.514:
	s_cmp_eq_u32 s56, 11
	s_cbranch_scc0 .LBB151_516
; %bb.515:
	global_load_ubyte v1, v[3:4], off
	v_mov_b32_e32 v5, 0x3c00
	s_mov_b64 s[0:1], -1
	s_mov_b64 s[48:49], 0
	v_mov_b32_e32 v6, 0
	s_waitcnt vmcnt(0)
	v_cmp_ne_u16_e32 vcc, 0, v1
	v_cndmask_b32_e32 v5, 0, v5, vcc
	s_branch .LBB151_518
.LBB151_516:
	s_mov_b64 s[48:49], -1
                                        ; implicit-def: $vgpr5
.LBB151_517:
	v_mov_b32_e32 v6, 0
.LBB151_518:
	s_branch .LBB151_431
.LBB151_519:
	s_and_b32 s14, 0xffff, s14
	s_cmp_lt_i32 s14, 5
	s_cbranch_scc1 .LBB151_524
; %bb.520:
	s_cmp_lt_i32 s14, 8
	s_cbranch_scc1 .LBB151_525
; %bb.521:
	;; [unrolled: 3-line block ×3, first 2 shown]
	s_cmp_gt_i32 s14, 9
	s_cbranch_scc0 .LBB151_527
; %bb.523:
	global_load_dwordx4 v[9:12], v[3:4], off
	s_movk_i32 s0, 0x1ff
	s_movk_i32 s1, 0xffe
	v_mov_b32_e32 v1, 0x7c00
	v_mov_b32_e32 v5, 0x7e00
	s_movk_i32 s50, 0x40f
	s_mov_b32 s51, 0x8000
	s_waitcnt vmcnt(0)
	v_and_or_b32 v6, v10, s0, v9
	v_and_or_b32 v11, v12, s0, v11
	v_cmp_ne_u32_e32 vcc, 0, v6
	v_lshrrev_b32_e32 v7, 8, v10
	v_bfe_u32 v9, v10, 20, 11
	v_cndmask_b32_e64 v6, 0, 1, vcc
	v_cmp_ne_u32_e32 vcc, 0, v11
	v_lshrrev_b32_e32 v13, 8, v12
	v_bfe_u32 v14, v12, 20, 11
	v_sub_u32_e32 v15, 0x3f1, v9
	v_cndmask_b32_e64 v11, 0, 1, vcc
	v_and_or_b32 v6, v7, s1, v6
	v_add_u32_e32 v9, 0xfffffc10, v9
	v_sub_u32_e32 v16, 0x3f1, v14
	v_add_u32_e32 v14, 0xfffffc10, v14
	v_med3_i32 v7, v15, 0, 13
	v_and_or_b32 v11, v13, s1, v11
	v_or_b32_e32 v15, 0x1000, v6
	v_cmp_ne_u32_e32 vcc, 0, v6
	v_med3_i32 v13, v16, 0, 13
	v_lshl_or_b32 v16, v9, 12, v6
	v_cndmask_b32_e32 v6, v1, v5, vcc
	v_or_b32_e32 v17, 0x1000, v11
	v_lshl_or_b32 v18, v14, 12, v11
	v_cmp_ne_u32_e32 vcc, 0, v11
	v_lshrrev_b32_e32 v11, v7, v15
	v_lshrrev_b32_e32 v19, v13, v17
	v_lshlrev_b32_e32 v7, v7, v11
	v_cndmask_b32_e32 v5, v1, v5, vcc
	v_lshlrev_b32_e32 v13, v13, v19
	v_cmp_ne_u32_e32 vcc, v7, v15
	v_cndmask_b32_e64 v7, 0, 1, vcc
	v_cmp_ne_u32_e32 vcc, v13, v17
	v_cndmask_b32_e64 v13, 0, 1, vcc
	v_or_b32_e32 v7, v11, v7
	v_cmp_gt_i32_e32 vcc, 1, v9
	v_cndmask_b32_e32 v7, v16, v7, vcc
	v_or_b32_e32 v11, v19, v13
	v_cmp_gt_i32_e32 vcc, 1, v14
	v_and_b32_e32 v13, 7, v7
	v_cndmask_b32_e32 v11, v18, v11, vcc
	v_cmp_lt_i32_e32 vcc, 5, v13
	v_and_b32_e32 v15, 7, v11
	v_cndmask_b32_e64 v16, 0, 1, vcc
	v_cmp_eq_u32_e32 vcc, 3, v13
	v_cndmask_b32_e64 v13, 0, 1, vcc
	v_cmp_lt_i32_e32 vcc, 5, v15
	v_cndmask_b32_e64 v17, 0, 1, vcc
	v_cmp_eq_u32_e32 vcc, 3, v15
	v_lshrrev_b32_e32 v7, 2, v7
	v_cndmask_b32_e64 v15, 0, 1, vcc
	v_or_b32_e32 v13, v13, v16
	v_lshrrev_b32_e32 v11, 2, v11
	v_or_b32_e32 v15, v15, v17
	v_add_u32_e32 v7, v7, v13
	v_cmp_gt_i32_e32 vcc, 31, v9
	v_add_u32_e32 v11, v11, v15
	v_cndmask_b32_e32 v7, v1, v7, vcc
	v_cmp_gt_i32_e32 vcc, 31, v14
	v_cndmask_b32_e32 v1, v1, v11, vcc
	v_cmp_eq_u32_e32 vcc, s50, v9
	v_cndmask_b32_e32 v6, v7, v6, vcc
	v_cmp_eq_u32_e32 vcc, s50, v14
	v_lshrrev_b32_e32 v10, 16, v10
	v_lshrrev_b32_e32 v12, 16, v12
	v_cndmask_b32_e32 v1, v1, v5, vcc
	v_and_or_b32 v5, v10, s51, v6
	v_and_or_b32 v6, v12, s51, v1
	s_mov_b64 s[0:1], 0
	s_branch .LBB151_528
.LBB151_524:
	s_mov_b64 s[0:1], -1
                                        ; implicit-def: $vgpr6
                                        ; implicit-def: $vgpr5
	s_branch .LBB151_547
.LBB151_525:
	s_mov_b64 s[0:1], -1
                                        ; implicit-def: $vgpr6
                                        ; implicit-def: $vgpr5
	s_branch .LBB151_534
.LBB151_526:
	s_mov_b64 s[0:1], -1
                                        ; implicit-def: $vgpr6
                                        ; implicit-def: $vgpr5
	s_branch .LBB151_531
.LBB151_527:
	s_mov_b64 s[0:1], -1
                                        ; implicit-def: $vgpr6
                                        ; implicit-def: $vgpr5
.LBB151_528:
	s_andn2_b64 vcc, exec, s[0:1]
	s_cbranch_vccnz .LBB151_530
; %bb.529:
	global_load_dwordx2 v[5:6], v[3:4], off
	s_waitcnt vmcnt(0)
	v_cvt_f16_f32_e32 v5, v5
	v_cvt_f16_f32_e32 v6, v6
.LBB151_530:
	s_mov_b64 s[0:1], 0
.LBB151_531:
	s_andn2_b64 vcc, exec, s[0:1]
	s_cbranch_vccnz .LBB151_533
; %bb.532:
	global_load_dword v5, v[3:4], off
	s_waitcnt vmcnt(0)
	v_lshrrev_b32_e32 v6, 16, v5
.LBB151_533:
	s_mov_b64 s[0:1], 0
.LBB151_534:
	s_andn2_b64 vcc, exec, s[0:1]
	s_cbranch_vccnz .LBB151_546
; %bb.535:
	s_cmp_lt_i32 s14, 6
	s_cbranch_scc1 .LBB151_538
; %bb.536:
	s_cmp_gt_i32 s14, 6
	s_cbranch_scc0 .LBB151_539
; %bb.537:
	global_load_dwordx2 v[5:6], v[3:4], off
	s_movk_i32 s0, 0x1ff
	s_movk_i32 s1, 0xffe
	v_mov_b32_e32 v1, 0x7c00
	v_mov_b32_e32 v7, 0x7e00
	s_movk_i32 s50, 0x40f
	s_mov_b32 s51, 0x8000
	s_waitcnt vmcnt(0)
	v_and_or_b32 v5, v6, s0, v5
	v_cmp_ne_u32_e32 vcc, 0, v5
	v_lshrrev_b32_e32 v9, 8, v6
	v_bfe_u32 v10, v6, 20, 11
	v_cndmask_b32_e64 v5, 0, 1, vcc
	v_sub_u32_e32 v11, 0x3f1, v10
	v_and_or_b32 v5, v9, s1, v5
	v_add_u32_e32 v10, 0xfffffc10, v10
	v_med3_i32 v9, v11, 0, 13
	v_or_b32_e32 v11, 0x1000, v5
	v_cmp_ne_u32_e32 vcc, 0, v5
	v_lshl_or_b32 v12, v10, 12, v5
	v_cndmask_b32_e32 v5, v1, v7, vcc
	v_lshrrev_b32_e32 v7, v9, v11
	v_lshlrev_b32_e32 v9, v9, v7
	v_cmp_ne_u32_e32 vcc, v9, v11
	v_cndmask_b32_e64 v9, 0, 1, vcc
	v_or_b32_e32 v7, v7, v9
	v_cmp_gt_i32_e32 vcc, 1, v10
	v_cndmask_b32_e32 v7, v12, v7, vcc
	v_and_b32_e32 v9, 7, v7
	v_cmp_lt_i32_e32 vcc, 5, v9
	v_cndmask_b32_e64 v11, 0, 1, vcc
	v_cmp_eq_u32_e32 vcc, 3, v9
	v_cndmask_b32_e64 v9, 0, 1, vcc
	v_lshrrev_b32_e32 v7, 2, v7
	v_or_b32_e32 v9, v9, v11
	v_add_u32_e32 v7, v7, v9
	v_cmp_gt_i32_e32 vcc, 31, v10
	v_cndmask_b32_e32 v1, v1, v7, vcc
	v_cmp_eq_u32_e32 vcc, s50, v10
	v_lshrrev_b32_e32 v6, 16, v6
	v_cndmask_b32_e32 v1, v1, v5, vcc
	v_and_or_b32 v5, v6, s51, v1
	s_mov_b64 s[0:1], 0
	s_branch .LBB151_540
.LBB151_538:
	s_mov_b64 s[0:1], -1
                                        ; implicit-def: $vgpr5
	s_branch .LBB151_543
.LBB151_539:
	s_mov_b64 s[0:1], -1
                                        ; implicit-def: $vgpr5
.LBB151_540:
	s_andn2_b64 vcc, exec, s[0:1]
	s_cbranch_vccnz .LBB151_542
; %bb.541:
	global_load_dword v1, v[3:4], off
	s_waitcnt vmcnt(0)
	v_cvt_f16_f32_e32 v5, v1
.LBB151_542:
	s_mov_b64 s[0:1], 0
.LBB151_543:
	s_andn2_b64 vcc, exec, s[0:1]
	s_cbranch_vccnz .LBB151_545
; %bb.544:
	global_load_ushort v5, v[3:4], off
.LBB151_545:
	v_mov_b32_e32 v6, 0
.LBB151_546:
	s_mov_b64 s[0:1], 0
.LBB151_547:
	s_andn2_b64 vcc, exec, s[0:1]
	s_cbranch_vccnz .LBB151_568
; %bb.548:
	s_cmp_lt_i32 s14, 2
	s_cbranch_scc1 .LBB151_552
; %bb.549:
	s_cmp_lt_i32 s14, 3
	s_cbranch_scc1 .LBB151_553
; %bb.550:
	s_cmp_gt_i32 s14, 3
	s_cbranch_scc0 .LBB151_554
; %bb.551:
	global_load_dwordx2 v[5:6], v[3:4], off
	s_mov_b64 s[0:1], 0
	s_waitcnt vmcnt(0)
	v_xor_b32_e32 v7, v5, v6
	v_ffbh_i32_e32 v1, v6
	v_ashrrev_i32_e32 v7, 31, v7
	v_add_u32_e32 v1, -1, v1
	v_add_u32_e32 v7, 32, v7
	v_min_u32_e32 v1, v1, v7
	v_lshlrev_b64 v[5:6], v1, v[5:6]
	v_sub_u32_e32 v1, 32, v1
	v_min_u32_e32 v5, 1, v5
	v_or_b32_e32 v5, v6, v5
	v_cvt_f32_i32_e32 v5, v5
	v_ldexp_f32 v1, v5, v1
	v_cvt_f16_f32_e32 v5, v1
	s_branch .LBB151_555
.LBB151_552:
	s_mov_b64 s[0:1], -1
                                        ; implicit-def: $vgpr5
	s_branch .LBB151_561
.LBB151_553:
	s_mov_b64 s[0:1], -1
                                        ; implicit-def: $vgpr5
	s_branch .LBB151_558
.LBB151_554:
	s_mov_b64 s[0:1], -1
                                        ; implicit-def: $vgpr5
.LBB151_555:
	s_andn2_b64 vcc, exec, s[0:1]
	s_cbranch_vccnz .LBB151_557
; %bb.556:
	global_load_dword v1, v[3:4], off
	s_waitcnt vmcnt(0)
	v_cvt_f32_i32_e32 v1, v1
	v_cvt_f16_f32_e32 v5, v1
.LBB151_557:
	s_mov_b64 s[0:1], 0
.LBB151_558:
	s_andn2_b64 vcc, exec, s[0:1]
	s_cbranch_vccnz .LBB151_560
; %bb.559:
	global_load_ushort v1, v[3:4], off
	s_waitcnt vmcnt(0)
	v_cvt_f16_i16_e32 v5, v1
.LBB151_560:
	s_mov_b64 s[0:1], 0
.LBB151_561:
	s_andn2_b64 vcc, exec, s[0:1]
	s_cbranch_vccnz .LBB151_567
; %bb.562:
	s_cmp_gt_i32 s14, 0
	s_cbranch_scc0 .LBB151_564
; %bb.563:
	global_load_sbyte v1, v[3:4], off
	s_mov_b64 s[0:1], 0
	s_waitcnt vmcnt(0)
	v_cvt_f16_i16_e32 v5, v1
	s_branch .LBB151_565
.LBB151_564:
	s_mov_b64 s[0:1], -1
                                        ; implicit-def: $vgpr5
.LBB151_565:
	s_andn2_b64 vcc, exec, s[0:1]
	s_cbranch_vccnz .LBB151_567
; %bb.566:
	global_load_ubyte v1, v[3:4], off
	s_waitcnt vmcnt(0)
	v_cvt_f16_u16_e32 v5, v1
.LBB151_567:
	v_mov_b32_e32 v6, 0
.LBB151_568:
	s_branch .LBB151_432
.LBB151_569:
	s_mov_b64 s[56:57], 0
	s_mov_b64 s[0:1], s[40:41]
	;; [unrolled: 1-line block ×3, first 2 shown]
.LBB151_570:
                                        ; implicit-def: $vgpr8
	s_branch .LBB151_822
.LBB151_571:
	s_andn2_saveexec_b64 s[54:55], s[54:55]
	s_cbranch_execz .LBB151_212
.LBB151_572:
	v_add_f32_e32 v2, 0x42800000, v3
	v_and_b32_e32 v2, 0xff, v2
	v_cmp_ne_u32_e32 vcc, 0, v2
	s_andn2_b64 s[52:53], s[52:53], exec
	s_and_b64 s[58:59], vcc, exec
	s_or_b64 s[52:53], s[52:53], s[58:59]
	s_or_b64 exec, exec, s[54:55]
	v_mov_b32_e32 v4, 0
	s_and_saveexec_b64 s[54:55], s[52:53]
	s_cbranch_execnz .LBB151_213
	s_branch .LBB151_214
.LBB151_573:
	s_mov_b64 s[50:51], -1
                                        ; implicit-def: $vgpr4
                                        ; implicit-def: $vgpr3
	s_mov_b64 s[0:1], 0
.LBB151_574:
	s_and_b64 vcc, exec, s[52:53]
	s_cbranch_vccz .LBB151_579
; %bb.575:
	s_cmp_eq_u32 s58, 44
	s_cbranch_scc0 .LBB151_577
; %bb.576:
	global_load_ubyte v3, v[1:2], off
	s_movk_i32 s50, 0xff
	v_mov_b32_e32 v7, 0x7e00
	s_mov_b64 s[0:1], -1
	s_waitcnt vmcnt(0)
	v_lshlrev_b32_e32 v4, 23, v3
	v_cvt_f16_f32_e32 v4, v4
	v_cmp_ne_u32_e32 vcc, s50, v3
	s_mov_b64 s[50:51], 0
	v_cndmask_b32_e32 v4, v7, v4, vcc
	v_cmp_ne_u32_e32 vcc, 0, v3
	v_cndmask_b32_e32 v3, 0, v4, vcc
	s_branch .LBB151_578
.LBB151_577:
	s_mov_b64 s[50:51], -1
                                        ; implicit-def: $vgpr3
.LBB151_578:
	v_mov_b32_e32 v4, 0
.LBB151_579:
	s_mov_b64 s[52:53], 0
.LBB151_580:
	s_and_b64 vcc, exec, s[52:53]
	s_cbranch_vccz .LBB151_585
; %bb.581:
	s_cmp_eq_u32 s58, 29
	s_cbranch_scc0 .LBB151_583
; %bb.582:
	global_load_dwordx2 v[3:4], v[1:2], off
	s_mov_b64 s[0:1], -1
	s_mov_b64 s[50:51], 0
	s_waitcnt vmcnt(0)
	v_ffbh_u32_e32 v7, v4
	v_min_u32_e32 v7, 32, v7
	v_lshlrev_b64 v[3:4], v7, v[3:4]
	v_min_u32_e32 v3, 1, v3
	v_or_b32_e32 v3, v4, v3
	v_cvt_f32_u32_e32 v3, v3
	v_sub_u32_e32 v4, 32, v7
	v_ldexp_f32 v3, v3, v4
	v_cvt_f16_f32_e32 v3, v3
	s_branch .LBB151_584
.LBB151_583:
	s_mov_b64 s[50:51], -1
                                        ; implicit-def: $vgpr3
.LBB151_584:
	v_mov_b32_e32 v4, 0
.LBB151_585:
	s_mov_b64 s[52:53], 0
.LBB151_586:
	s_and_b64 vcc, exec, s[52:53]
	s_cbranch_vccz .LBB151_604
; %bb.587:
	s_cmp_lt_i32 s58, 27
	s_cbranch_scc1 .LBB151_590
; %bb.588:
	s_cmp_gt_i32 s58, 27
	s_cbranch_scc0 .LBB151_591
; %bb.589:
	global_load_dword v3, v[1:2], off
	s_mov_b64 s[0:1], 0
	s_waitcnt vmcnt(0)
	v_cvt_f32_u32_e32 v3, v3
	v_cvt_f16_f32_e32 v3, v3
	s_branch .LBB151_592
.LBB151_590:
	s_mov_b64 s[0:1], -1
                                        ; implicit-def: $vgpr3
	s_branch .LBB151_595
.LBB151_591:
	s_mov_b64 s[0:1], -1
                                        ; implicit-def: $vgpr3
.LBB151_592:
	s_andn2_b64 vcc, exec, s[0:1]
	s_cbranch_vccnz .LBB151_594
; %bb.593:
	global_load_ushort v3, v[1:2], off
	s_waitcnt vmcnt(0)
	v_cvt_f16_u16_e32 v3, v3
.LBB151_594:
	s_mov_b64 s[0:1], 0
.LBB151_595:
	s_andn2_b64 vcc, exec, s[0:1]
	s_cbranch_vccnz .LBB151_603
; %bb.596:
	global_load_ubyte v4, v[1:2], off
	s_movk_i32 s0, 0x7f
	s_waitcnt vmcnt(0)
	v_cmp_lt_i16_e32 vcc, s0, v4
	s_mov_b64 s[0:1], 0
	s_and_saveexec_b64 s[52:53], vcc
	s_xor_b64 s[52:53], exec, s[52:53]
	s_cbranch_execz .LBB151_617
; %bb.597:
	s_movk_i32 s0, 0x80
	v_cmp_eq_u16_e32 vcc, s0, v4
	s_mov_b64 s[0:1], -1
	s_and_saveexec_b64 s[56:57], vcc
; %bb.598:
	s_xor_b64 s[0:1], exec, -1
; %bb.599:
	s_or_b64 exec, exec, s[56:57]
	s_and_b64 s[0:1], s[0:1], exec
	s_or_saveexec_b64 s[52:53], s[52:53]
	v_mov_b32_e32 v3, 0x7e00
	s_xor_b64 exec, exec, s[52:53]
	s_cbranch_execnz .LBB151_618
.LBB151_600:
	s_or_b64 exec, exec, s[52:53]
	s_and_saveexec_b64 s[52:53], s[0:1]
	s_cbranch_execz .LBB151_602
.LBB151_601:
	v_lshlrev_b32_e32 v3, 24, v4
	v_and_b32_e32 v4, 0xffff, v4
	v_and_b32_e32 v7, 7, v4
	v_ffbh_u32_e32 v10, v7
	v_min_u32_e32 v10, 32, v10
	v_subrev_u32_e32 v11, 28, v10
	v_bfe_u32 v9, v4, 3, 4
	v_lshlrev_b32_e32 v4, v11, v4
	v_sub_u32_e32 v10, 29, v10
	v_and_b32_e32 v4, 7, v4
	v_cmp_eq_u32_e32 vcc, 0, v9
	v_cndmask_b32_e32 v9, v9, v10, vcc
	v_cndmask_b32_e32 v4, v7, v4, vcc
	v_mov_b32_e32 v7, 0x3b800000
	v_lshlrev_b32_e32 v4, 20, v4
	v_and_b32_e32 v3, 0x80000000, v3
	v_lshl_add_u32 v7, v9, 23, v7
	v_or3_b32 v3, v3, v7, v4
	v_cvt_f16_f32_e32 v3, v3
.LBB151_602:
	s_or_b64 exec, exec, s[52:53]
.LBB151_603:
	s_mov_b64 s[0:1], -1
	v_mov_b32_e32 v4, 0
.LBB151_604:
	s_mov_b64 s[52:53], 0
.LBB151_605:
	s_and_b64 vcc, exec, s[52:53]
	s_cbranch_vccz .LBB151_641
; %bb.606:
	s_cmp_gt_i32 s58, 22
	s_cbranch_scc0 .LBB151_616
; %bb.607:
	s_cmp_lt_i32 s58, 24
	s_cbranch_scc1 .LBB151_619
; %bb.608:
	s_cmp_gt_i32 s58, 24
	s_cbranch_scc0 .LBB151_620
; %bb.609:
	global_load_ubyte v4, v[1:2], off
	s_movk_i32 s0, 0x7f
	s_waitcnt vmcnt(0)
	v_cmp_lt_i16_e32 vcc, s0, v4
	s_mov_b64 s[0:1], 0
	s_and_saveexec_b64 s[52:53], vcc
	s_xor_b64 s[52:53], exec, s[52:53]
	s_cbranch_execz .LBB151_632
; %bb.610:
	s_movk_i32 s0, 0x80
	v_cmp_eq_u16_e32 vcc, s0, v4
	s_mov_b64 s[0:1], -1
	s_and_saveexec_b64 s[56:57], vcc
; %bb.611:
	s_xor_b64 s[0:1], exec, -1
; %bb.612:
	s_or_b64 exec, exec, s[56:57]
	s_and_b64 s[0:1], s[0:1], exec
	s_or_saveexec_b64 s[52:53], s[52:53]
	v_mov_b32_e32 v3, 0x7e00
	s_xor_b64 exec, exec, s[52:53]
	s_cbranch_execnz .LBB151_633
.LBB151_613:
	s_or_b64 exec, exec, s[52:53]
	s_and_saveexec_b64 s[52:53], s[0:1]
	s_cbranch_execz .LBB151_615
.LBB151_614:
	v_lshlrev_b32_e32 v3, 24, v4
	v_and_b32_e32 v4, 0xffff, v4
	v_and_b32_e32 v7, 3, v4
	v_ffbh_u32_e32 v10, v7
	v_min_u32_e32 v10, 32, v10
	v_subrev_u32_e32 v11, 29, v10
	v_bfe_u32 v9, v4, 2, 5
	v_lshlrev_b32_e32 v4, v11, v4
	v_sub_u32_e32 v10, 30, v10
	v_and_b32_e32 v4, 3, v4
	v_cmp_eq_u32_e32 vcc, 0, v9
	v_cndmask_b32_e32 v9, v9, v10, vcc
	v_cndmask_b32_e32 v4, v7, v4, vcc
	v_mov_b32_e32 v7, 0x37800000
	v_lshlrev_b32_e32 v4, 21, v4
	v_and_b32_e32 v3, 0x80000000, v3
	v_lshl_add_u32 v7, v9, 23, v7
	v_or3_b32 v3, v3, v7, v4
	v_cvt_f16_f32_e32 v3, v3
.LBB151_615:
	s_or_b64 exec, exec, s[52:53]
	s_mov_b64 s[0:1], 0
	s_branch .LBB151_621
.LBB151_616:
	s_mov_b64 s[52:53], -1
                                        ; implicit-def: $vgpr3
	s_branch .LBB151_627
.LBB151_617:
	s_or_saveexec_b64 s[52:53], s[52:53]
	v_mov_b32_e32 v3, 0x7e00
	s_xor_b64 exec, exec, s[52:53]
	s_cbranch_execz .LBB151_600
.LBB151_618:
	v_cmp_ne_u16_e32 vcc, 0, v4
	s_andn2_b64 s[0:1], s[0:1], exec
	s_and_b64 s[56:57], vcc, exec
	s_or_b64 s[0:1], s[0:1], s[56:57]
	v_mov_b32_e32 v3, v4
	s_or_b64 exec, exec, s[52:53]
	s_and_saveexec_b64 s[52:53], s[0:1]
	s_cbranch_execnz .LBB151_601
	s_branch .LBB151_602
.LBB151_619:
	s_mov_b64 s[0:1], -1
                                        ; implicit-def: $vgpr3
	s_branch .LBB151_624
.LBB151_620:
	s_mov_b64 s[0:1], -1
                                        ; implicit-def: $vgpr3
.LBB151_621:
	s_and_b64 vcc, exec, s[0:1]
	s_cbranch_vccz .LBB151_623
; %bb.622:
	global_load_ubyte v3, v[1:2], off
	s_mov_b32 s0, 0x7f800000
	s_waitcnt vmcnt(0)
	v_lshlrev_b32_e32 v3, 24, v3
	v_and_b32_e32 v4, 0x7f000000, v3
	v_ffbh_u32_e32 v7, v4
	v_min_u32_e32 v7, 32, v7
	v_sub_u32_e64 v7, v7, 4 clamp
	v_lshlrev_b32_e32 v10, v7, v4
	v_lshlrev_b32_e32 v7, 23, v7
	v_lshrrev_b32_e32 v10, 4, v10
	v_add_u32_e32 v9, 0x1000000, v4
	v_sub_u32_e32 v7, v10, v7
	v_ashrrev_i32_e32 v9, 8, v9
	v_add_u32_e32 v7, 0x3c000000, v7
	v_and_or_b32 v7, v9, s0, v7
	v_cmp_ne_u32_e32 vcc, 0, v4
	v_cndmask_b32_e32 v4, 0, v7, vcc
	s_brev_b32 s0, 1
	v_and_or_b32 v3, v3, s0, v4
	v_cvt_f16_f32_e32 v3, v3
.LBB151_623:
	s_mov_b64 s[0:1], 0
.LBB151_624:
	s_andn2_b64 vcc, exec, s[0:1]
	s_cbranch_vccnz .LBB151_626
; %bb.625:
	global_load_ubyte v3, v[1:2], off
	s_movk_i32 s0, 0x7f00
	s_brev_b32 s1, 16
	s_waitcnt vmcnt(0)
	v_lshlrev_b16_e32 v4, 8, v3
	v_lshlrev_b32_e32 v3, 25, v3
	v_lshrrev_b32_e32 v7, 4, v3
	v_and_or_b32 v9, v4, s0, 0.5
	v_or_b32_e32 v7, 0x70000000, v7
	v_add_f32_e32 v9, -0.5, v9
	v_mul_f32_e32 v7, 0x7800000, v7
	v_cmp_gt_u32_e32 vcc, s1, v3
	v_bfe_i32 v4, v4, 0, 16
	v_cndmask_b32_e32 v3, v7, v9, vcc
	s_brev_b32 s0, 1
	v_and_or_b32 v3, v4, s0, v3
	v_cvt_f16_f32_e32 v3, v3
.LBB151_626:
	s_mov_b64 s[52:53], 0
	s_mov_b64 s[0:1], -1
.LBB151_627:
	s_andn2_b64 vcc, exec, s[52:53]
	s_cbranch_vccnz .LBB151_640
; %bb.628:
	s_cmp_gt_i32 s58, 14
	s_cbranch_scc0 .LBB151_631
; %bb.629:
	s_cmp_eq_u32 s58, 15
	s_cbranch_scc0 .LBB151_634
; %bb.630:
	global_load_ushort v3, v[1:2], off
	s_mov_b64 s[0:1], -1
	s_mov_b64 s[50:51], 0
	s_waitcnt vmcnt(0)
	v_lshlrev_b32_e32 v3, 16, v3
	v_cvt_f16_f32_e32 v3, v3
	s_branch .LBB151_635
.LBB151_631:
	s_mov_b64 s[52:53], -1
                                        ; implicit-def: $vgpr3
	s_branch .LBB151_636
.LBB151_632:
	s_or_saveexec_b64 s[52:53], s[52:53]
	v_mov_b32_e32 v3, 0x7e00
	s_xor_b64 exec, exec, s[52:53]
	s_cbranch_execz .LBB151_613
.LBB151_633:
	v_cmp_ne_u16_e32 vcc, 0, v4
	s_andn2_b64 s[0:1], s[0:1], exec
	s_and_b64 s[56:57], vcc, exec
	s_or_b64 s[0:1], s[0:1], s[56:57]
	v_mov_b32_e32 v3, v4
	s_or_b64 exec, exec, s[52:53]
	s_and_saveexec_b64 s[52:53], s[0:1]
	s_cbranch_execnz .LBB151_614
	s_branch .LBB151_615
.LBB151_634:
	s_mov_b64 s[50:51], -1
                                        ; implicit-def: $vgpr3
.LBB151_635:
	s_mov_b64 s[52:53], 0
.LBB151_636:
	s_and_b64 vcc, exec, s[52:53]
	s_cbranch_vccz .LBB151_640
; %bb.637:
	s_cmp_eq_u32 s58, 11
	s_cbranch_scc0 .LBB151_639
; %bb.638:
	global_load_ubyte v3, v[1:2], off
	v_mov_b32_e32 v4, 0x3c00
	s_mov_b64 s[0:1], -1
	s_mov_b64 s[50:51], 0
	s_waitcnt vmcnt(0)
	v_cmp_ne_u16_e32 vcc, 0, v3
	v_cndmask_b32_e32 v3, 0, v4, vcc
	s_branch .LBB151_640
.LBB151_639:
	s_mov_b64 s[50:51], -1
                                        ; implicit-def: $vgpr3
.LBB151_640:
	v_mov_b32_e32 v4, 0
.LBB151_641:
	s_mov_b64 s[52:53], 0
.LBB151_642:
	s_and_b64 vcc, exec, s[52:53]
	s_cbranch_vccz .LBB151_693
; %bb.643:
	s_and_b32 s14, 0xffff, s14
	s_cmp_lt_i32 s14, 5
	s_cbranch_scc1 .LBB151_648
; %bb.644:
	s_cmp_lt_i32 s14, 8
	s_cbranch_scc1 .LBB151_649
; %bb.645:
	;; [unrolled: 3-line block ×3, first 2 shown]
	s_cmp_gt_i32 s14, 9
	s_cbranch_scc0 .LBB151_651
; %bb.647:
	global_load_dwordx4 v[9:12], v[1:2], off
	s_movk_i32 s0, 0x1ff
	s_movk_i32 s1, 0xffe
	v_mov_b32_e32 v3, 0x7c00
	v_mov_b32_e32 v4, 0x7e00
	s_movk_i32 s52, 0x40f
	s_mov_b32 s53, 0x8000
	s_waitcnt vmcnt(0)
	v_and_or_b32 v7, v10, s0, v9
	v_and_or_b32 v11, v12, s0, v11
	v_cmp_ne_u32_e32 vcc, 0, v7
	v_lshrrev_b32_e32 v9, 8, v10
	v_bfe_u32 v13, v10, 20, 11
	v_cndmask_b32_e64 v7, 0, 1, vcc
	v_cmp_ne_u32_e32 vcc, 0, v11
	v_lshrrev_b32_e32 v14, 8, v12
	v_bfe_u32 v15, v12, 20, 11
	v_sub_u32_e32 v16, 0x3f1, v13
	v_cndmask_b32_e64 v11, 0, 1, vcc
	v_and_or_b32 v7, v9, s1, v7
	v_add_u32_e32 v13, 0xfffffc10, v13
	v_sub_u32_e32 v17, 0x3f1, v15
	v_add_u32_e32 v15, 0xfffffc10, v15
	v_med3_i32 v9, v16, 0, 13
	v_and_or_b32 v11, v14, s1, v11
	v_or_b32_e32 v16, 0x1000, v7
	v_cmp_ne_u32_e32 vcc, 0, v7
	v_med3_i32 v14, v17, 0, 13
	v_lshl_or_b32 v17, v13, 12, v7
	v_cndmask_b32_e32 v7, v3, v4, vcc
	v_or_b32_e32 v18, 0x1000, v11
	v_lshl_or_b32 v19, v15, 12, v11
	v_cmp_ne_u32_e32 vcc, 0, v11
	v_lshrrev_b32_e32 v11, v9, v16
	v_lshrrev_b32_e32 v20, v14, v18
	v_lshlrev_b32_e32 v9, v9, v11
	v_cndmask_b32_e32 v4, v3, v4, vcc
	v_lshlrev_b32_e32 v14, v14, v20
	v_cmp_ne_u32_e32 vcc, v9, v16
	v_cndmask_b32_e64 v9, 0, 1, vcc
	v_cmp_ne_u32_e32 vcc, v14, v18
	v_cndmask_b32_e64 v14, 0, 1, vcc
	v_or_b32_e32 v9, v11, v9
	v_cmp_gt_i32_e32 vcc, 1, v13
	v_cndmask_b32_e32 v9, v17, v9, vcc
	v_or_b32_e32 v11, v20, v14
	v_cmp_gt_i32_e32 vcc, 1, v15
	v_and_b32_e32 v14, 7, v9
	v_cndmask_b32_e32 v11, v19, v11, vcc
	v_cmp_lt_i32_e32 vcc, 5, v14
	v_and_b32_e32 v16, 7, v11
	v_cndmask_b32_e64 v17, 0, 1, vcc
	v_cmp_eq_u32_e32 vcc, 3, v14
	v_cndmask_b32_e64 v14, 0, 1, vcc
	v_cmp_lt_i32_e32 vcc, 5, v16
	v_cndmask_b32_e64 v18, 0, 1, vcc
	v_cmp_eq_u32_e32 vcc, 3, v16
	v_lshrrev_b32_e32 v9, 2, v9
	v_cndmask_b32_e64 v16, 0, 1, vcc
	v_or_b32_e32 v14, v14, v17
	v_lshrrev_b32_e32 v11, 2, v11
	v_or_b32_e32 v16, v16, v18
	v_add_u32_e32 v9, v9, v14
	v_cmp_gt_i32_e32 vcc, 31, v13
	v_add_u32_e32 v11, v11, v16
	v_cndmask_b32_e32 v9, v3, v9, vcc
	v_cmp_gt_i32_e32 vcc, 31, v15
	v_cndmask_b32_e32 v3, v3, v11, vcc
	v_cmp_eq_u32_e32 vcc, s52, v13
	v_cndmask_b32_e32 v7, v9, v7, vcc
	v_cmp_eq_u32_e32 vcc, s52, v15
	v_lshrrev_b32_e32 v10, 16, v10
	v_lshrrev_b32_e32 v12, 16, v12
	v_cndmask_b32_e32 v4, v3, v4, vcc
	v_and_or_b32 v3, v10, s53, v7
	v_and_or_b32 v4, v12, s53, v4
	s_mov_b64 s[0:1], 0
	s_branch .LBB151_652
.LBB151_648:
	s_mov_b64 s[0:1], -1
                                        ; implicit-def: $vgpr4
                                        ; implicit-def: $vgpr3
	s_branch .LBB151_671
.LBB151_649:
	s_mov_b64 s[0:1], -1
                                        ; implicit-def: $vgpr4
                                        ; implicit-def: $vgpr3
	s_branch .LBB151_658
.LBB151_650:
	s_mov_b64 s[0:1], -1
                                        ; implicit-def: $vgpr4
                                        ; implicit-def: $vgpr3
	s_branch .LBB151_655
.LBB151_651:
	s_mov_b64 s[0:1], -1
                                        ; implicit-def: $vgpr4
                                        ; implicit-def: $vgpr3
.LBB151_652:
	s_andn2_b64 vcc, exec, s[0:1]
	s_cbranch_vccnz .LBB151_654
; %bb.653:
	global_load_dwordx2 v[3:4], v[1:2], off
	s_waitcnt vmcnt(0)
	v_cvt_f16_f32_e32 v3, v3
	v_cvt_f16_f32_e32 v4, v4
.LBB151_654:
	s_mov_b64 s[0:1], 0
.LBB151_655:
	s_andn2_b64 vcc, exec, s[0:1]
	s_cbranch_vccnz .LBB151_657
; %bb.656:
	global_load_dword v3, v[1:2], off
	s_waitcnt vmcnt(0)
	v_lshrrev_b32_e32 v4, 16, v3
.LBB151_657:
	s_mov_b64 s[0:1], 0
.LBB151_658:
	s_andn2_b64 vcc, exec, s[0:1]
	s_cbranch_vccnz .LBB151_670
; %bb.659:
	s_cmp_lt_i32 s14, 6
	s_cbranch_scc1 .LBB151_662
; %bb.660:
	s_cmp_gt_i32 s14, 6
	s_cbranch_scc0 .LBB151_663
; %bb.661:
	global_load_dwordx2 v[3:4], v[1:2], off
	s_movk_i32 s0, 0x1ff
	s_movk_i32 s1, 0xffe
	v_mov_b32_e32 v7, 0x7c00
	v_mov_b32_e32 v9, 0x7e00
	s_movk_i32 s52, 0x40f
	s_mov_b32 s53, 0x8000
	s_waitcnt vmcnt(0)
	v_and_or_b32 v3, v4, s0, v3
	v_cmp_ne_u32_e32 vcc, 0, v3
	v_lshrrev_b32_e32 v10, 8, v4
	v_bfe_u32 v11, v4, 20, 11
	v_cndmask_b32_e64 v3, 0, 1, vcc
	v_sub_u32_e32 v12, 0x3f1, v11
	v_and_or_b32 v3, v10, s1, v3
	v_add_u32_e32 v11, 0xfffffc10, v11
	v_med3_i32 v10, v12, 0, 13
	v_or_b32_e32 v12, 0x1000, v3
	v_cmp_ne_u32_e32 vcc, 0, v3
	v_lshl_or_b32 v13, v11, 12, v3
	v_cndmask_b32_e32 v3, v7, v9, vcc
	v_lshrrev_b32_e32 v9, v10, v12
	v_lshlrev_b32_e32 v10, v10, v9
	v_cmp_ne_u32_e32 vcc, v10, v12
	v_cndmask_b32_e64 v10, 0, 1, vcc
	v_or_b32_e32 v9, v9, v10
	v_cmp_gt_i32_e32 vcc, 1, v11
	v_cndmask_b32_e32 v9, v13, v9, vcc
	v_and_b32_e32 v10, 7, v9
	v_cmp_lt_i32_e32 vcc, 5, v10
	v_cndmask_b32_e64 v12, 0, 1, vcc
	v_cmp_eq_u32_e32 vcc, 3, v10
	v_cndmask_b32_e64 v10, 0, 1, vcc
	v_lshrrev_b32_e32 v9, 2, v9
	v_or_b32_e32 v10, v10, v12
	v_add_u32_e32 v9, v9, v10
	v_cmp_gt_i32_e32 vcc, 31, v11
	v_cndmask_b32_e32 v7, v7, v9, vcc
	v_cmp_eq_u32_e32 vcc, s52, v11
	v_lshrrev_b32_e32 v4, 16, v4
	v_cndmask_b32_e32 v3, v7, v3, vcc
	v_and_or_b32 v3, v4, s53, v3
	s_mov_b64 s[0:1], 0
	s_branch .LBB151_664
.LBB151_662:
	s_mov_b64 s[0:1], -1
                                        ; implicit-def: $vgpr3
	s_branch .LBB151_667
.LBB151_663:
	s_mov_b64 s[0:1], -1
                                        ; implicit-def: $vgpr3
.LBB151_664:
	s_andn2_b64 vcc, exec, s[0:1]
	s_cbranch_vccnz .LBB151_666
; %bb.665:
	global_load_dword v3, v[1:2], off
	s_waitcnt vmcnt(0)
	v_cvt_f16_f32_e32 v3, v3
.LBB151_666:
	s_mov_b64 s[0:1], 0
.LBB151_667:
	s_andn2_b64 vcc, exec, s[0:1]
	s_cbranch_vccnz .LBB151_669
; %bb.668:
	global_load_ushort v3, v[1:2], off
.LBB151_669:
	v_mov_b32_e32 v4, 0
.LBB151_670:
	s_mov_b64 s[0:1], 0
.LBB151_671:
	s_andn2_b64 vcc, exec, s[0:1]
	s_cbranch_vccnz .LBB151_692
; %bb.672:
	s_cmp_lt_i32 s14, 2
	s_cbranch_scc1 .LBB151_676
; %bb.673:
	s_cmp_lt_i32 s14, 3
	s_cbranch_scc1 .LBB151_677
; %bb.674:
	s_cmp_gt_i32 s14, 3
	s_cbranch_scc0 .LBB151_678
; %bb.675:
	global_load_dwordx2 v[3:4], v[1:2], off
	s_mov_b64 s[0:1], 0
	s_waitcnt vmcnt(0)
	v_xor_b32_e32 v9, v3, v4
	v_ffbh_i32_e32 v7, v4
	v_ashrrev_i32_e32 v9, 31, v9
	v_add_u32_e32 v7, -1, v7
	v_add_u32_e32 v9, 32, v9
	v_min_u32_e32 v7, v7, v9
	v_lshlrev_b64 v[3:4], v7, v[3:4]
	v_min_u32_e32 v3, 1, v3
	v_or_b32_e32 v3, v4, v3
	v_cvt_f32_i32_e32 v3, v3
	v_sub_u32_e32 v4, 32, v7
	v_ldexp_f32 v3, v3, v4
	v_cvt_f16_f32_e32 v3, v3
	s_branch .LBB151_679
.LBB151_676:
	s_mov_b64 s[0:1], -1
                                        ; implicit-def: $vgpr3
	s_branch .LBB151_685
.LBB151_677:
	s_mov_b64 s[0:1], -1
                                        ; implicit-def: $vgpr3
	s_branch .LBB151_682
.LBB151_678:
	s_mov_b64 s[0:1], -1
                                        ; implicit-def: $vgpr3
.LBB151_679:
	s_andn2_b64 vcc, exec, s[0:1]
	s_cbranch_vccnz .LBB151_681
; %bb.680:
	global_load_dword v3, v[1:2], off
	s_waitcnt vmcnt(0)
	v_cvt_f32_i32_e32 v3, v3
	v_cvt_f16_f32_e32 v3, v3
.LBB151_681:
	s_mov_b64 s[0:1], 0
.LBB151_682:
	s_andn2_b64 vcc, exec, s[0:1]
	s_cbranch_vccnz .LBB151_684
; %bb.683:
	global_load_ushort v3, v[1:2], off
	s_waitcnt vmcnt(0)
	v_cvt_f16_i16_e32 v3, v3
.LBB151_684:
	s_mov_b64 s[0:1], 0
.LBB151_685:
	s_andn2_b64 vcc, exec, s[0:1]
	s_cbranch_vccnz .LBB151_691
; %bb.686:
	s_cmp_gt_i32 s14, 0
	s_cbranch_scc0 .LBB151_688
; %bb.687:
	global_load_sbyte v3, v[1:2], off
	s_mov_b64 s[0:1], 0
	s_waitcnt vmcnt(0)
	v_cvt_f16_i16_e32 v3, v3
	s_branch .LBB151_689
.LBB151_688:
	s_mov_b64 s[0:1], -1
                                        ; implicit-def: $vgpr3
.LBB151_689:
	s_andn2_b64 vcc, exec, s[0:1]
	s_cbranch_vccnz .LBB151_691
; %bb.690:
	global_load_ubyte v1, v[1:2], off
	s_waitcnt vmcnt(0)
	v_cvt_f16_u16_e32 v3, v1
.LBB151_691:
	v_mov_b32_e32 v4, 0
.LBB151_692:
	s_mov_b64 s[0:1], -1
.LBB151_693:
	s_andn2_b64 vcc, exec, s[0:1]
	s_cbranch_vccnz .LBB151_696
; %bb.694:
	s_andn2_b64 vcc, exec, s[28:29]
	s_cbranch_vccnz .LBB151_697
; %bb.695:
	s_waitcnt vmcnt(0)
	v_cmp_neq_f16_e32 vcc, v5, v3
	v_cmp_neq_f16_e64 s[0:1], v6, v4
	s_or_b64 s[52:53], vcc, s[0:1]
	s_mov_b64 s[0:1], 0
	s_branch .LBB151_698
.LBB151_696:
	s_mov_b64 s[56:57], 0
                                        ; implicit-def: $vgpr8
	s_mov_b64 s[0:1], s[40:41]
	s_branch .LBB151_822
.LBB151_697:
	s_mov_b64 s[0:1], -1
                                        ; implicit-def: $sgpr52_sgpr53
.LBB151_698:
	s_andn2_b64 vcc, exec, s[0:1]
	s_cbranch_vccnz .LBB151_700
; %bb.699:
	s_waitcnt vmcnt(0)
	v_cmp_eq_f16_e32 vcc, v5, v3
	v_cmp_eq_f16_e64 s[0:1], v6, v4
	s_and_b64 s[0:1], vcc, s[0:1]
	s_andn2_b64 s[52:53], s[52:53], exec
	s_and_b64 s[0:1], s[0:1], exec
	s_or_b64 s[52:53], s[52:53], s[0:1]
.LBB151_700:
	v_mov_b32_e32 v1, s9
	s_and_b32 s14, s15, 0xff
	v_add_co_u32_e32 v0, vcc, s8, v0
	s_cmp_lt_i32 s14, 11
	v_addc_co_u32_e32 v1, vcc, 0, v1, vcc
	s_cbranch_scc1 .LBB151_707
; %bb.701:
	s_and_b32 s62, 0xffff, s14
	s_cmp_gt_i32 s62, 25
	s_cbranch_scc0 .LBB151_708
; %bb.702:
	s_cmp_gt_i32 s62, 28
	s_cbranch_scc0 .LBB151_709
; %bb.703:
	;; [unrolled: 3-line block ×4, first 2 shown]
	s_mov_b64 s[58:59], 0
	s_mov_b64 s[0:1], -1
	s_cmp_eq_u32 s62, 46
	s_mov_b64 s[56:57], 0
	s_cbranch_scc0 .LBB151_712
; %bb.706:
	v_cndmask_b32_e64 v2, 0, 1.0, s[52:53]
	s_waitcnt vmcnt(0)
	v_bfe_u32 v3, v2, 16, 1
	s_movk_i32 s0, 0x7fff
	v_add3_u32 v2, v2, v3, s0
	v_lshrrev_b32_e32 v2, 16, v2
	global_store_dword v[0:1], v2, off
	s_mov_b64 s[56:57], -1
	s_mov_b64 s[0:1], 0
	s_branch .LBB151_712
.LBB151_707:
	s_mov_b64 s[58:59], -1
	s_mov_b64 s[56:57], 0
	s_mov_b64 s[0:1], s[40:41]
	s_branch .LBB151_781
.LBB151_708:
	s_mov_b64 s[58:59], -1
	s_mov_b64 s[56:57], 0
	s_mov_b64 s[0:1], s[40:41]
	s_branch .LBB151_739
.LBB151_709:
	s_mov_b64 s[58:59], -1
	s_mov_b64 s[56:57], 0
	s_mov_b64 s[0:1], s[40:41]
	s_branch .LBB151_722
.LBB151_710:
	s_mov_b64 s[58:59], -1
	s_mov_b64 s[56:57], 0
	s_mov_b64 s[0:1], s[40:41]
	s_branch .LBB151_718
.LBB151_711:
	s_mov_b64 s[58:59], -1
	s_mov_b64 s[56:57], 0
	s_mov_b64 s[0:1], s[40:41]
.LBB151_712:
	s_and_b64 vcc, exec, s[58:59]
	s_cbranch_vccz .LBB151_717
; %bb.713:
	s_cmp_eq_u32 s62, 44
	s_mov_b64 s[0:1], -1
	s_cbranch_scc0 .LBB151_717
; %bb.714:
	s_waitcnt vmcnt(0)
	v_cndmask_b32_e64 v3, 0, 1.0, s[52:53]
	v_lshrrev_b32_e32 v2, 23, v3
	s_movk_i32 s0, 0xff
	v_cmp_ne_u32_e32 vcc, s0, v2
	v_mov_b32_e32 v4, 0xff
	s_and_saveexec_b64 s[56:57], vcc
; %bb.715:
	s_mov_b32 s0, 0x3fffff
	v_and_b32_e32 v4, 0x400000, v3
	v_and_or_b32 v3, v3, s0, v2
	v_cmp_ne_u32_e32 vcc, 0, v4
	v_cmp_ne_u32_e64 s[0:1], 0, v3
	s_and_b64 s[0:1], vcc, s[0:1]
	v_cndmask_b32_e64 v3, 0, 1, s[0:1]
	v_add_u32_e32 v4, v2, v3
; %bb.716:
	s_or_b64 exec, exec, s[56:57]
	s_mov_b64 s[56:57], -1
	s_mov_b64 s[0:1], 0
	global_store_byte v[0:1], v4, off
.LBB151_717:
	s_mov_b64 s[58:59], 0
.LBB151_718:
	s_and_b64 vcc, exec, s[58:59]
	s_cbranch_vccz .LBB151_721
; %bb.719:
	s_cmp_eq_u32 s62, 29
	s_mov_b64 s[0:1], -1
	s_cbranch_scc0 .LBB151_721
; %bb.720:
	s_mov_b32 s0, 0
	v_cndmask_b32_e64 v2, 0, 1, s[52:53]
	s_waitcnt vmcnt(0)
	v_mov_b32_e32 v3, s0
	global_store_dwordx2 v[0:1], v[2:3], off
	s_mov_b64 s[56:57], -1
	s_mov_b64 s[0:1], 0
.LBB151_721:
	s_mov_b64 s[58:59], 0
.LBB151_722:
	s_and_b64 vcc, exec, s[58:59]
	s_cbranch_vccz .LBB151_738
; %bb.723:
	s_cmp_lt_i32 s62, 27
	s_mov_b64 s[56:57], -1
	s_cbranch_scc1 .LBB151_729
; %bb.724:
	s_cmp_gt_i32 s62, 27
	s_cbranch_scc0 .LBB151_726
; %bb.725:
	v_cndmask_b32_e64 v2, 0, 1, s[52:53]
	s_mov_b64 s[56:57], 0
	global_store_dword v[0:1], v2, off
.LBB151_726:
	s_andn2_b64 vcc, exec, s[56:57]
	s_cbranch_vccnz .LBB151_728
; %bb.727:
	v_cndmask_b32_e64 v2, 0, 1, s[52:53]
	global_store_short v[0:1], v2, off
.LBB151_728:
	s_mov_b64 s[56:57], 0
.LBB151_729:
	s_andn2_b64 vcc, exec, s[56:57]
	s_cbranch_vccnz .LBB151_737
; %bb.730:
	s_waitcnt vmcnt(0)
	v_cndmask_b32_e64 v3, 0, 1.0, s[52:53]
	s_mov_b32 s56, 0x43800000
	v_cmp_gt_u32_e32 vcc, s56, v3
	v_mov_b32_e32 v4, 0x80
	s_and_saveexec_b64 s[56:57], vcc
	s_cbranch_execz .LBB151_736
; %bb.731:
	s_mov_b32 s58, 0x3bffffff
	v_cmp_lt_u32_e32 vcc, s58, v3
	s_mov_b64 s[58:59], 0
                                        ; implicit-def: $vgpr2
	s_and_saveexec_b64 s[60:61], vcc
	s_xor_b64 s[60:61], exec, s[60:61]
	s_cbranch_execz .LBB151_850
; %bb.732:
	v_bfe_u32 v2, v3, 20, 1
	s_mov_b32 s63, 0x487ffff
	v_add3_u32 v2, v3, v2, s63
	s_mov_b64 s[58:59], exec
	v_lshrrev_b32_e32 v2, 20, v2
                                        ; implicit-def: $vgpr3
	s_andn2_saveexec_b64 s[60:61], s[60:61]
	s_cbranch_execnz .LBB151_851
.LBB151_733:
	s_or_b64 exec, exec, s[60:61]
	v_mov_b32_e32 v4, 0
	s_and_saveexec_b64 s[60:61], s[58:59]
.LBB151_734:
	v_mov_b32_e32 v4, v2
.LBB151_735:
	s_or_b64 exec, exec, s[60:61]
.LBB151_736:
	s_or_b64 exec, exec, s[56:57]
	global_store_byte v[0:1], v4, off
.LBB151_737:
	s_mov_b64 s[56:57], -1
.LBB151_738:
	s_mov_b64 s[58:59], 0
.LBB151_739:
	s_and_b64 vcc, exec, s[58:59]
	s_cbranch_vccz .LBB151_780
; %bb.740:
	s_cmp_gt_i32 s62, 22
	s_mov_b64 s[58:59], -1
	s_cbranch_scc0 .LBB151_772
; %bb.741:
	s_cmp_lt_i32 s62, 24
	s_mov_b64 s[56:57], -1
	s_cbranch_scc1 .LBB151_761
; %bb.742:
	s_cmp_gt_i32 s62, 24
	s_cbranch_scc0 .LBB151_750
; %bb.743:
	s_waitcnt vmcnt(0)
	v_cndmask_b32_e64 v3, 0, 1.0, s[52:53]
	s_mov_b32 s56, 0x47800000
	v_cmp_gt_u32_e32 vcc, s56, v3
	v_mov_b32_e32 v4, 0x80
	s_and_saveexec_b64 s[56:57], vcc
	s_cbranch_execz .LBB151_749
; %bb.744:
	s_mov_b32 s58, 0x37ffffff
	v_cmp_lt_u32_e32 vcc, s58, v3
	s_mov_b64 s[58:59], 0
                                        ; implicit-def: $vgpr2
	s_and_saveexec_b64 s[60:61], vcc
	s_xor_b64 s[60:61], exec, s[60:61]
	s_cbranch_execz .LBB151_987
; %bb.745:
	v_bfe_u32 v2, v3, 21, 1
	s_mov_b32 s63, 0x88fffff
	v_add3_u32 v2, v3, v2, s63
	s_mov_b64 s[58:59], exec
	v_lshrrev_b32_e32 v2, 21, v2
                                        ; implicit-def: $vgpr3
	s_andn2_saveexec_b64 s[60:61], s[60:61]
	s_cbranch_execnz .LBB151_988
.LBB151_746:
	s_or_b64 exec, exec, s[60:61]
	v_mov_b32_e32 v4, 0
	s_and_saveexec_b64 s[60:61], s[58:59]
.LBB151_747:
	v_mov_b32_e32 v4, v2
.LBB151_748:
	s_or_b64 exec, exec, s[60:61]
.LBB151_749:
	s_or_b64 exec, exec, s[56:57]
	s_mov_b64 s[56:57], 0
	global_store_byte v[0:1], v4, off
.LBB151_750:
	s_and_b64 vcc, exec, s[56:57]
	s_cbranch_vccz .LBB151_760
; %bb.751:
	v_cndmask_b32_e64 v2, 0, 1.0, s[52:53]
	s_mov_b32 s56, 0x43f00000
	v_cmp_gt_u32_e32 vcc, s56, v2
                                        ; implicit-def: $vgpr3
	s_and_saveexec_b64 s[56:57], vcc
	s_xor_b64 s[56:57], exec, s[56:57]
	s_cbranch_execz .LBB151_757
; %bb.752:
	s_mov_b32 s58, 0x3c7fffff
	v_cmp_lt_u32_e32 vcc, s58, v2
                                        ; implicit-def: $vgpr3
	s_and_saveexec_b64 s[58:59], vcc
	s_xor_b64 s[58:59], exec, s[58:59]
	s_cbranch_execz .LBB151_754
; %bb.753:
	s_waitcnt vmcnt(0)
	v_bfe_u32 v3, v2, 20, 1
	s_mov_b32 s60, 0x407ffff
	v_add3_u32 v2, v2, v3, s60
	v_lshrrev_b32_e32 v3, 20, v2
	v_and_b32_e32 v2, 0xff00000, v2
	s_mov_b32 s60, 0x7f00000
	v_mov_b32_e32 v4, 0x7e
	v_cmp_ne_u32_e32 vcc, s60, v2
	v_cndmask_b32_e32 v3, v4, v3, vcc
                                        ; implicit-def: $vgpr2
.LBB151_754:
	s_andn2_saveexec_b64 s[58:59], s[58:59]
	s_cbranch_execz .LBB151_756
; %bb.755:
	s_waitcnt vmcnt(0)
	v_add_f32_e32 v3, 0x46800000, v2
.LBB151_756:
	s_or_b64 exec, exec, s[58:59]
                                        ; implicit-def: $vgpr2
.LBB151_757:
	s_andn2_saveexec_b64 s[56:57], s[56:57]
	s_cbranch_execz .LBB151_759
; %bb.758:
	s_mov_b32 s58, 0x7f800000
	s_waitcnt vmcnt(0)
	v_mov_b32_e32 v3, 0x7e
	v_mov_b32_e32 v4, 0x7f
	v_cmp_lt_u32_e32 vcc, s58, v2
	v_cndmask_b32_e32 v3, v3, v4, vcc
.LBB151_759:
	s_or_b64 exec, exec, s[56:57]
	s_waitcnt vmcnt(0)
	global_store_byte v[0:1], v3, off
.LBB151_760:
	s_mov_b64 s[56:57], 0
.LBB151_761:
	s_andn2_b64 vcc, exec, s[56:57]
	s_cbranch_vccnz .LBB151_771
; %bb.762:
	v_cndmask_b32_e64 v2, 0, 1.0, s[52:53]
	s_mov_b32 s56, 0x47800000
	v_cmp_gt_u32_e32 vcc, s56, v2
                                        ; implicit-def: $vgpr3
	s_and_saveexec_b64 s[56:57], vcc
	s_xor_b64 s[56:57], exec, s[56:57]
	s_cbranch_execz .LBB151_768
; %bb.763:
	s_mov_b32 s58, 0x387fffff
	v_cmp_lt_u32_e32 vcc, s58, v2
                                        ; implicit-def: $vgpr3
	s_and_saveexec_b64 s[58:59], vcc
	s_xor_b64 s[58:59], exec, s[58:59]
	s_cbranch_execz .LBB151_765
; %bb.764:
	s_waitcnt vmcnt(0)
	v_bfe_u32 v3, v2, 21, 1
	s_mov_b32 s60, 0x80fffff
	v_add3_u32 v2, v2, v3, s60
	v_lshrrev_b32_e32 v3, 21, v2
                                        ; implicit-def: $vgpr2
.LBB151_765:
	s_andn2_saveexec_b64 s[58:59], s[58:59]
	s_cbranch_execz .LBB151_767
; %bb.766:
	s_waitcnt vmcnt(0)
	v_add_f32_e32 v3, 0x43000000, v2
.LBB151_767:
	s_or_b64 exec, exec, s[58:59]
                                        ; implicit-def: $vgpr2
.LBB151_768:
	s_andn2_saveexec_b64 s[56:57], s[56:57]
	s_cbranch_execz .LBB151_770
; %bb.769:
	s_mov_b32 s58, 0x7f800000
	s_waitcnt vmcnt(0)
	v_mov_b32_e32 v3, 0x7c
	v_mov_b32_e32 v4, 0x7f
	v_cmp_lt_u32_e32 vcc, s58, v2
	v_cndmask_b32_e32 v3, v3, v4, vcc
.LBB151_770:
	s_or_b64 exec, exec, s[56:57]
	s_waitcnt vmcnt(0)
	global_store_byte v[0:1], v3, off
.LBB151_771:
	s_mov_b64 s[58:59], 0
	s_mov_b64 s[56:57], -1
.LBB151_772:
	s_andn2_b64 vcc, exec, s[58:59]
	s_cbranch_vccnz .LBB151_780
; %bb.773:
	s_cmp_gt_i32 s62, 14
	s_mov_b64 s[58:59], -1
	s_cbranch_scc0 .LBB151_777
; %bb.774:
	s_cmp_eq_u32 s62, 15
	s_mov_b64 s[0:1], -1
	s_cbranch_scc0 .LBB151_776
; %bb.775:
	v_cndmask_b32_e64 v2, 0, 1.0, s[52:53]
	s_waitcnt vmcnt(0)
	v_bfe_u32 v3, v2, 16, 1
	s_movk_i32 s0, 0x7fff
	v_add3_u32 v2, v2, v3, s0
	global_store_short_d16_hi v[0:1], v2, off
	s_mov_b64 s[56:57], -1
	s_mov_b64 s[0:1], 0
.LBB151_776:
	s_mov_b64 s[58:59], 0
.LBB151_777:
	s_and_b64 vcc, exec, s[58:59]
	s_cbranch_vccz .LBB151_780
; %bb.778:
	s_cmp_eq_u32 s62, 11
	s_mov_b64 s[0:1], -1
	s_cbranch_scc0 .LBB151_780
; %bb.779:
	v_cndmask_b32_e64 v2, 0, 1, s[52:53]
	s_mov_b64 s[56:57], -1
	s_mov_b64 s[0:1], 0
	global_store_byte v[0:1], v2, off
.LBB151_780:
	s_mov_b64 s[58:59], 0
.LBB151_781:
	s_and_b64 vcc, exec, s[58:59]
	s_cbranch_vccz .LBB151_820
; %bb.782:
	s_and_b32 s14, 0xffff, s14
	s_cmp_lt_i32 s14, 5
	s_mov_b64 s[56:57], -1
	s_cbranch_scc1 .LBB151_803
; %bb.783:
	s_cmp_lt_i32 s14, 8
	s_cbranch_scc1 .LBB151_793
; %bb.784:
	s_cmp_lt_i32 s14, 9
	s_cbranch_scc1 .LBB151_790
; %bb.785:
	s_cmp_gt_i32 s14, 9
	s_cbranch_scc0 .LBB151_787
; %bb.786:
	v_cndmask_b32_e64 v2, 0, 1, s[52:53]
	s_waitcnt vmcnt(0)
	v_cvt_f64_u32_e32 v[2:3], v2
	v_mov_b32_e32 v4, 0
	v_mov_b32_e32 v5, v4
	s_mov_b64 s[56:57], 0
	global_store_dwordx4 v[0:1], v[2:5], off
.LBB151_787:
	s_andn2_b64 vcc, exec, s[56:57]
	s_cbranch_vccnz .LBB151_789
; %bb.788:
	v_cndmask_b32_e64 v2, 0, 1.0, s[52:53]
	s_waitcnt vmcnt(0)
	v_mov_b32_e32 v3, 0
	global_store_dwordx2 v[0:1], v[2:3], off
.LBB151_789:
	s_mov_b64 s[56:57], 0
.LBB151_790:
	s_andn2_b64 vcc, exec, s[56:57]
	s_cbranch_vccnz .LBB151_792
; %bb.791:
	v_cndmask_b32_e64 v2, 0, 1.0, s[52:53]
	v_cvt_f16_f32_e32 v2, v2
	global_store_dword v[0:1], v2, off
.LBB151_792:
	s_mov_b64 s[56:57], 0
.LBB151_793:
	s_andn2_b64 vcc, exec, s[56:57]
	s_cbranch_vccnz .LBB151_802
; %bb.794:
	s_cmp_lt_i32 s14, 6
	s_mov_b64 s[56:57], -1
	s_cbranch_scc1 .LBB151_800
; %bb.795:
	s_cmp_gt_i32 s14, 6
	s_cbranch_scc0 .LBB151_797
; %bb.796:
	v_cndmask_b32_e64 v2, 0, 1, s[52:53]
	s_waitcnt vmcnt(0)
	v_cvt_f64_u32_e32 v[2:3], v2
	s_mov_b64 s[56:57], 0
	global_store_dwordx2 v[0:1], v[2:3], off
.LBB151_797:
	s_andn2_b64 vcc, exec, s[56:57]
	s_cbranch_vccnz .LBB151_799
; %bb.798:
	v_cndmask_b32_e64 v2, 0, 1.0, s[52:53]
	global_store_dword v[0:1], v2, off
.LBB151_799:
	s_mov_b64 s[56:57], 0
.LBB151_800:
	s_andn2_b64 vcc, exec, s[56:57]
	s_cbranch_vccnz .LBB151_802
; %bb.801:
	v_cndmask_b32_e64 v2, 0, 1.0, s[52:53]
	v_cvt_f16_f32_e32 v2, v2
	global_store_short v[0:1], v2, off
.LBB151_802:
	s_mov_b64 s[56:57], 0
.LBB151_803:
	s_andn2_b64 vcc, exec, s[56:57]
	s_cbranch_vccnz .LBB151_819
; %bb.804:
	s_cmp_lt_i32 s14, 2
	s_mov_b64 s[56:57], -1
	s_cbranch_scc1 .LBB151_814
; %bb.805:
	s_cmp_lt_i32 s14, 3
	s_cbranch_scc1 .LBB151_811
; %bb.806:
	s_cmp_gt_i32 s14, 3
	s_cbranch_scc0 .LBB151_808
; %bb.807:
	s_mov_b32 s56, 0
	v_cndmask_b32_e64 v2, 0, 1, s[52:53]
	s_waitcnt vmcnt(0)
	v_mov_b32_e32 v3, s56
	s_mov_b64 s[56:57], 0
	global_store_dwordx2 v[0:1], v[2:3], off
.LBB151_808:
	s_andn2_b64 vcc, exec, s[56:57]
	s_cbranch_vccnz .LBB151_810
; %bb.809:
	v_cndmask_b32_e64 v2, 0, 1, s[52:53]
	global_store_dword v[0:1], v2, off
.LBB151_810:
	s_mov_b64 s[56:57], 0
.LBB151_811:
	s_andn2_b64 vcc, exec, s[56:57]
	s_cbranch_vccnz .LBB151_813
; %bb.812:
	v_cndmask_b32_e64 v2, 0, 1, s[52:53]
	global_store_short v[0:1], v2, off
.LBB151_813:
	s_mov_b64 s[56:57], 0
.LBB151_814:
	s_andn2_b64 vcc, exec, s[56:57]
	s_cbranch_vccnz .LBB151_819
; %bb.815:
	s_mov_b64 s[56:57], -1
	s_cmp_gt_i32 s14, 0
	v_cndmask_b32_e64 v2, 0, 1, s[52:53]
	s_cbranch_scc0 .LBB151_817
; %bb.816:
	s_mov_b64 s[56:57], 0
	global_store_byte v[0:1], v2, off
.LBB151_817:
	s_andn2_b64 vcc, exec, s[56:57]
	s_cbranch_vccnz .LBB151_819
; %bb.818:
	global_store_byte v[0:1], v2, off
.LBB151_819:
	s_mov_b64 s[56:57], -1
.LBB151_820:
	s_andn2_b64 vcc, exec, s[56:57]
	s_cbranch_vccnz .LBB151_832
; %bb.821:
	v_add_u32_e32 v8, 0x80, v8
	s_mov_b64 s[56:57], -1
.LBB151_822:
	s_andn2_b64 s[52:53], s[40:41], exec
	s_and_b64 s[0:1], s[0:1], exec
	s_or_b64 s[52:53], s[52:53], s[0:1]
	s_andn2_b64 s[0:1], s[42:43], exec
	s_and_b64 s[50:51], s[50:51], exec
	s_or_b64 s[50:51], s[0:1], s[50:51]
	s_andn2_b64 s[0:1], s[44:45], exec
	s_and_b64 s[48:49], s[48:49], exec
	s_or_b64 s[48:49], s[0:1], s[48:49]
	s_orn2_b64 s[0:1], s[56:57], exec
.LBB151_823:
	s_or_b64 exec, exec, s[54:55]
	s_mov_b64 s[56:57], 0
	s_mov_b64 s[58:59], 0
	;; [unrolled: 1-line block ×3, first 2 shown]
                                        ; implicit-def: $sgpr14
                                        ; implicit-def: $vgpr3_vgpr4
                                        ; implicit-def: $vgpr0
                                        ; implicit-def: $vgpr2
                                        ; implicit-def: $vgpr6
                                        ; implicit-def: $vgpr5
	s_and_saveexec_b64 s[54:55], s[0:1]
	s_cbranch_execz .LBB151_1338
; %bb.824:
	v_cmp_gt_i32_e32 vcc, s70, v8
	s_mov_b64 s[68:69], -1
	s_mov_b64 s[0:1], s[48:49]
	s_mov_b64 s[60:61], s[50:51]
	;; [unrolled: 1-line block ×3, first 2 shown]
	s_and_saveexec_b64 s[56:57], vcc
	s_cbranch_execz .LBB151_1239
; %bb.825:
	s_andn2_b64 vcc, exec, s[24:25]
	s_cbranch_vccnz .LBB151_831
; %bb.826:
	s_andn2_b64 vcc, exec, s[38:39]
	s_cbranch_vccnz .LBB151_833
; %bb.827:
	s_add_i32 s0, s75, 1
	s_and_b32 s14, s0, 30
	s_add_u32 s0, s2, 0xffffffe8
	s_addc_u32 s1, s3, -1
	v_mov_b32_e32 v2, 0
	v_mov_b32_e32 v4, 0
	;; [unrolled: 1-line block ×4, first 2 shown]
.LBB151_828:                            ; =>This Inner Loop Header: Depth=1
	s_load_dwordx4 s[60:63], s[0:1], 0x1c
	s_load_dwordx2 s[58:59], s[0:1], 0x2c
	s_load_dwordx2 s[68:69], s[0:1], 0xec
	s_load_dwordx4 s[64:67], s[0:1], 0xdc
	s_add_u32 s0, s0, 24
	s_waitcnt vmcnt(0) lgkmcnt(0)
	v_mul_hi_u32 v3, s61, v1
	s_addc_u32 s1, s1, 0
	s_add_i32 s14, s14, -2
	s_cmp_eq_u32 s14, 0
	v_add_u32_e32 v3, v1, v3
	v_lshrrev_b32_e32 v3, s62, v3
	v_mul_lo_u32 v5, v3, s60
	v_mul_hi_u32 v6, s58, v3
	v_sub_u32_e32 v5, v1, v5
	v_add_u32_e32 v1, v3, v6
	v_lshrrev_b32_e32 v1, s59, v1
	v_mul_lo_u32 v9, v1, s63
	v_mul_lo_u32 v6, v5, s64
	;; [unrolled: 1-line block ×4, first 2 shown]
	v_sub_u32_e32 v3, v3, v9
	v_mul_lo_u32 v9, v3, s67
	v_mul_lo_u32 v10, v3, s68
	;; [unrolled: 1-line block ×3, first 2 shown]
	v_add3_u32 v0, v6, v0, v9
	v_add3_u32 v4, v7, v4, v10
	;; [unrolled: 1-line block ×3, first 2 shown]
	s_cbranch_scc0 .LBB151_828
; %bb.829:
	s_bitcmp1_b32 s75, 0
	s_cselect_b64 s[58:59], -1, 0
	s_and_b64 vcc, exec, s[58:59]
	s_cbranch_vccnz .LBB151_834
; %bb.830:
	s_load_dwordx2 s[58:59], s[0:1], 0x1c
	s_load_dword s14, s[0:1], 0x24
	s_load_dwordx2 s[60:61], s[0:1], 0xdc
	s_waitcnt lgkmcnt(0)
	v_mul_hi_u32 v3, s59, v1
	v_add_u32_e32 v3, v1, v3
	v_lshrrev_b32_e32 v3, s14, v3
	v_mul_lo_u32 v3, v3, s58
	s_load_dword s14, s[0:1], 0xe4
	v_sub_u32_e32 v3, v1, v3
	v_mad_u64_u32 v[0:1], s[0:1], v3, s60, v[0:1]
	v_mad_u64_u32 v[4:5], s[0:1], v3, s61, v[4:5]
	s_waitcnt lgkmcnt(0)
	v_mad_u64_u32 v[2:3], s[0:1], v3, s14, v[2:3]
	s_branch .LBB151_834
.LBB151_831:
	s_mov_b64 s[0:1], -1
                                        ; implicit-def: $vgpr0
                                        ; implicit-def: $vgpr4
                                        ; implicit-def: $vgpr2
	s_branch .LBB151_835
.LBB151_832:
	s_mov_b64 s[56:57], 0
	s_branch .LBB151_570
.LBB151_833:
	v_mov_b32_e32 v0, 0
	v_mov_b32_e32 v4, 0
	;; [unrolled: 1-line block ×3, first 2 shown]
.LBB151_834:
	s_mov_b64 s[0:1], 0
.LBB151_835:
	s_andn2_b64 vcc, exec, s[0:1]
	s_cbranch_vccnz .LBB151_838
; %bb.836:
	v_mul_hi_u32 v0, s17, v8
	s_andn2_b64 vcc, exec, s[36:37]
	v_add_u32_e32 v0, v8, v0
	v_lshrrev_b32_e32 v1, s18, v0
	v_mul_lo_u32 v0, v1, s16
	v_sub_u32_e32 v2, v8, v0
	v_mul_lo_u32 v0, v2, s20
	v_mul_lo_u32 v4, v2, s21
	;; [unrolled: 1-line block ×3, first 2 shown]
	s_cbranch_vccnz .LBB151_838
; %bb.837:
	s_waitcnt vmcnt(0)
	v_mul_hi_u32 v3, s34, v1
	v_add_u32_e32 v3, v1, v3
	v_lshrrev_b32_e32 v3, s35, v3
	v_mul_lo_u32 v3, v3, s19
	v_sub_u32_e32 v3, v1, v3
	v_mad_u64_u32 v[0:1], s[0:1], v3, s23, v[0:1]
	v_mad_u64_u32 v[4:5], s[0:1], v3, s30, v[4:5]
	;; [unrolled: 1-line block ×3, first 2 shown]
.LBB151_838:
	v_mov_b32_e32 v1, s11
	s_and_b32 s14, s74, 0xff
	s_waitcnt vmcnt(0)
	v_add_co_u32_e32 v3, vcc, s10, v4
	s_cmp_lt_i32 s14, 11
	v_addc_co_u32_e32 v4, vcc, 0, v1, vcc
	s_cbranch_scc1 .LBB151_845
; %bb.839:
	s_and_b32 s64, 0xffff, s14
	s_cmp_gt_i32 s64, 25
	s_cbranch_scc0 .LBB151_846
; %bb.840:
	s_cmp_gt_i32 s64, 28
	s_cbranch_scc0 .LBB151_847
; %bb.841:
	;; [unrolled: 3-line block ×4, first 2 shown]
	s_cmp_eq_u32 s64, 46
	s_mov_b64 s[60:61], 0
	s_cbranch_scc0 .LBB151_852
; %bb.844:
	global_load_dword v1, v[3:4], off
	s_mov_b64 s[0:1], -1
	s_mov_b64 s[58:59], 0
	s_waitcnt vmcnt(0)
	v_and_b32_e32 v6, 0xffff0000, v1
	v_lshlrev_b32_e32 v1, 16, v1
	v_cvt_f16_f32_e32 v5, v1
	v_cvt_f16_f32_e32 v6, v6
	s_branch .LBB151_853
.LBB151_845:
	s_mov_b64 s[60:61], -1
	s_mov_b64 s[0:1], 0
                                        ; implicit-def: $vgpr6
                                        ; implicit-def: $vgpr5
	s_mov_b64 s[58:59], s[48:49]
	s_branch .LBB151_921
.LBB151_846:
	s_mov_b64 s[60:61], -1
	s_mov_b64 s[0:1], 0
	s_mov_b64 s[58:59], s[48:49]
                                        ; implicit-def: $vgpr6
                                        ; implicit-def: $vgpr5
	s_branch .LBB151_884
.LBB151_847:
	s_mov_b64 s[60:61], -1
	s_mov_b64 s[0:1], 0
	s_mov_b64 s[58:59], s[48:49]
                                        ; implicit-def: $vgpr6
                                        ; implicit-def: $vgpr5
	s_branch .LBB151_865
.LBB151_848:
	s_mov_b64 s[60:61], -1
	s_mov_b64 s[0:1], 0
	s_mov_b64 s[58:59], s[48:49]
                                        ; implicit-def: $vgpr6
                                        ; implicit-def: $vgpr5
	s_branch .LBB151_859
.LBB151_849:
	s_mov_b64 s[60:61], -1
	s_mov_b64 s[0:1], 0
	s_mov_b64 s[58:59], s[48:49]
                                        ; implicit-def: $vgpr6
                                        ; implicit-def: $vgpr5
	s_branch .LBB151_853
.LBB151_850:
	s_andn2_saveexec_b64 s[60:61], s[60:61]
	s_cbranch_execz .LBB151_733
.LBB151_851:
	v_add_f32_e32 v2, 0x46000000, v3
	v_and_b32_e32 v2, 0xff, v2
	v_cmp_ne_u32_e32 vcc, 0, v2
	s_andn2_b64 s[58:59], s[58:59], exec
	s_and_b64 s[64:65], vcc, exec
	s_or_b64 s[58:59], s[58:59], s[64:65]
	s_or_b64 exec, exec, s[60:61]
	v_mov_b32_e32 v4, 0
	s_and_saveexec_b64 s[60:61], s[58:59]
	s_cbranch_execnz .LBB151_734
	s_branch .LBB151_735
.LBB151_852:
	s_mov_b64 s[58:59], -1
                                        ; implicit-def: $vgpr6
                                        ; implicit-def: $vgpr5
	s_mov_b64 s[0:1], 0
.LBB151_853:
	s_and_b64 vcc, exec, s[60:61]
	s_cbranch_vccz .LBB151_858
; %bb.854:
	s_cmp_eq_u32 s64, 44
	s_cbranch_scc0 .LBB151_856
; %bb.855:
	global_load_ubyte v1, v[3:4], off
	s_movk_i32 s58, 0xff
	v_mov_b32_e32 v6, 0x7e00
	s_mov_b64 s[0:1], -1
	s_waitcnt vmcnt(0)
	v_lshlrev_b32_e32 v5, 23, v1
	v_cvt_f16_f32_e32 v5, v5
	v_cmp_ne_u32_e32 vcc, s58, v1
	s_mov_b64 s[58:59], 0
	v_cndmask_b32_e32 v5, v6, v5, vcc
	v_cmp_ne_u32_e32 vcc, 0, v1
	v_cndmask_b32_e32 v5, 0, v5, vcc
	s_branch .LBB151_857
.LBB151_856:
	s_mov_b64 s[58:59], -1
                                        ; implicit-def: $vgpr5
.LBB151_857:
	v_mov_b32_e32 v6, 0
.LBB151_858:
	s_mov_b64 s[60:61], 0
.LBB151_859:
	s_and_b64 vcc, exec, s[60:61]
	s_cbranch_vccz .LBB151_864
; %bb.860:
	s_cmp_eq_u32 s64, 29
	s_cbranch_scc0 .LBB151_862
; %bb.861:
	global_load_dwordx2 v[5:6], v[3:4], off
	s_mov_b64 s[0:1], -1
	s_mov_b64 s[58:59], 0
	s_waitcnt vmcnt(0)
	v_ffbh_u32_e32 v1, v6
	v_min_u32_e32 v1, 32, v1
	v_lshlrev_b64 v[5:6], v1, v[5:6]
	v_sub_u32_e32 v1, 32, v1
	v_min_u32_e32 v5, 1, v5
	v_or_b32_e32 v5, v6, v5
	v_cvt_f32_u32_e32 v5, v5
	v_ldexp_f32 v1, v5, v1
	v_cvt_f16_f32_e32 v5, v1
	s_branch .LBB151_863
.LBB151_862:
	s_mov_b64 s[58:59], -1
                                        ; implicit-def: $vgpr5
.LBB151_863:
	v_mov_b32_e32 v6, 0
.LBB151_864:
	s_mov_b64 s[60:61], 0
.LBB151_865:
	s_and_b64 vcc, exec, s[60:61]
	s_cbranch_vccz .LBB151_883
; %bb.866:
	s_cmp_lt_i32 s64, 27
	s_cbranch_scc1 .LBB151_869
; %bb.867:
	s_cmp_gt_i32 s64, 27
	s_cbranch_scc0 .LBB151_870
; %bb.868:
	global_load_dword v1, v[3:4], off
	s_mov_b64 s[0:1], 0
	s_waitcnt vmcnt(0)
	v_cvt_f32_u32_e32 v1, v1
	v_cvt_f16_f32_e32 v5, v1
	s_branch .LBB151_871
.LBB151_869:
	s_mov_b64 s[0:1], -1
                                        ; implicit-def: $vgpr5
	s_branch .LBB151_874
.LBB151_870:
	s_mov_b64 s[0:1], -1
                                        ; implicit-def: $vgpr5
.LBB151_871:
	s_andn2_b64 vcc, exec, s[0:1]
	s_cbranch_vccnz .LBB151_873
; %bb.872:
	global_load_ushort v1, v[3:4], off
	s_waitcnt vmcnt(0)
	v_cvt_f16_u16_e32 v5, v1
.LBB151_873:
	s_mov_b64 s[0:1], 0
.LBB151_874:
	s_andn2_b64 vcc, exec, s[0:1]
	s_cbranch_vccnz .LBB151_882
; %bb.875:
	global_load_ubyte v1, v[3:4], off
	s_movk_i32 s0, 0x7f
	s_waitcnt vmcnt(0)
	v_cmp_lt_i16_e32 vcc, s0, v1
	s_mov_b64 s[0:1], 0
	s_and_saveexec_b64 s[60:61], vcc
	s_xor_b64 s[60:61], exec, s[60:61]
	s_cbranch_execz .LBB151_896
; %bb.876:
	s_movk_i32 s0, 0x80
	v_cmp_eq_u16_e32 vcc, s0, v1
	s_mov_b64 s[0:1], -1
	s_and_saveexec_b64 s[62:63], vcc
; %bb.877:
	s_xor_b64 s[0:1], exec, -1
; %bb.878:
	s_or_b64 exec, exec, s[62:63]
	s_and_b64 s[0:1], s[0:1], exec
	s_or_saveexec_b64 s[60:61], s[60:61]
	v_mov_b32_e32 v5, 0x7e00
	s_xor_b64 exec, exec, s[60:61]
	s_cbranch_execnz .LBB151_897
.LBB151_879:
	s_or_b64 exec, exec, s[60:61]
	s_and_saveexec_b64 s[60:61], s[0:1]
	s_cbranch_execz .LBB151_881
.LBB151_880:
	v_lshlrev_b32_e32 v5, 24, v1
	v_and_b32_e32 v1, 0xffff, v1
	v_and_b32_e32 v6, 7, v1
	v_ffbh_u32_e32 v9, v6
	v_min_u32_e32 v9, 32, v9
	v_subrev_u32_e32 v10, 28, v9
	v_bfe_u32 v7, v1, 3, 4
	v_lshlrev_b32_e32 v1, v10, v1
	v_sub_u32_e32 v9, 29, v9
	v_and_b32_e32 v1, 7, v1
	v_cmp_eq_u32_e32 vcc, 0, v7
	v_cndmask_b32_e32 v7, v7, v9, vcc
	v_cndmask_b32_e32 v1, v6, v1, vcc
	v_mov_b32_e32 v6, 0x3b800000
	v_lshlrev_b32_e32 v1, 20, v1
	v_and_b32_e32 v5, 0x80000000, v5
	v_lshl_add_u32 v6, v7, 23, v6
	v_or3_b32 v1, v5, v6, v1
	v_cvt_f16_f32_e32 v5, v1
.LBB151_881:
	s_or_b64 exec, exec, s[60:61]
.LBB151_882:
	s_mov_b64 s[0:1], -1
	v_mov_b32_e32 v6, 0
.LBB151_883:
	s_mov_b64 s[60:61], 0
.LBB151_884:
	s_and_b64 vcc, exec, s[60:61]
	s_cbranch_vccz .LBB151_920
; %bb.885:
	s_cmp_gt_i32 s64, 22
	s_cbranch_scc0 .LBB151_895
; %bb.886:
	s_cmp_lt_i32 s64, 24
	s_cbranch_scc1 .LBB151_898
; %bb.887:
	s_cmp_gt_i32 s64, 24
	s_cbranch_scc0 .LBB151_899
; %bb.888:
	global_load_ubyte v1, v[3:4], off
	s_movk_i32 s0, 0x7f
	s_waitcnt vmcnt(0)
	v_cmp_lt_i16_e32 vcc, s0, v1
	s_mov_b64 s[0:1], 0
	s_and_saveexec_b64 s[60:61], vcc
	s_xor_b64 s[60:61], exec, s[60:61]
	s_cbranch_execz .LBB151_911
; %bb.889:
	s_movk_i32 s0, 0x80
	v_cmp_eq_u16_e32 vcc, s0, v1
	s_mov_b64 s[0:1], -1
	s_and_saveexec_b64 s[62:63], vcc
; %bb.890:
	s_xor_b64 s[0:1], exec, -1
; %bb.891:
	s_or_b64 exec, exec, s[62:63]
	s_and_b64 s[0:1], s[0:1], exec
	s_or_saveexec_b64 s[60:61], s[60:61]
	v_mov_b32_e32 v5, 0x7e00
	s_xor_b64 exec, exec, s[60:61]
	s_cbranch_execnz .LBB151_912
.LBB151_892:
	s_or_b64 exec, exec, s[60:61]
	s_and_saveexec_b64 s[60:61], s[0:1]
	s_cbranch_execz .LBB151_894
.LBB151_893:
	v_lshlrev_b32_e32 v5, 24, v1
	v_and_b32_e32 v1, 0xffff, v1
	v_and_b32_e32 v6, 3, v1
	v_ffbh_u32_e32 v9, v6
	v_min_u32_e32 v9, 32, v9
	v_subrev_u32_e32 v10, 29, v9
	v_bfe_u32 v7, v1, 2, 5
	v_lshlrev_b32_e32 v1, v10, v1
	v_sub_u32_e32 v9, 30, v9
	v_and_b32_e32 v1, 3, v1
	v_cmp_eq_u32_e32 vcc, 0, v7
	v_cndmask_b32_e32 v7, v7, v9, vcc
	v_cndmask_b32_e32 v1, v6, v1, vcc
	v_mov_b32_e32 v6, 0x37800000
	v_lshlrev_b32_e32 v1, 21, v1
	v_and_b32_e32 v5, 0x80000000, v5
	v_lshl_add_u32 v6, v7, 23, v6
	v_or3_b32 v1, v5, v6, v1
	v_cvt_f16_f32_e32 v5, v1
.LBB151_894:
	s_or_b64 exec, exec, s[60:61]
	s_mov_b64 s[0:1], 0
	s_branch .LBB151_900
.LBB151_895:
	s_mov_b64 s[60:61], -1
                                        ; implicit-def: $vgpr5
	s_branch .LBB151_906
.LBB151_896:
	s_or_saveexec_b64 s[60:61], s[60:61]
	v_mov_b32_e32 v5, 0x7e00
	s_xor_b64 exec, exec, s[60:61]
	s_cbranch_execz .LBB151_879
.LBB151_897:
	v_cmp_ne_u16_e32 vcc, 0, v1
	s_andn2_b64 s[0:1], s[0:1], exec
	s_and_b64 s[62:63], vcc, exec
	s_or_b64 s[0:1], s[0:1], s[62:63]
	v_mov_b32_e32 v5, v1
	s_or_b64 exec, exec, s[60:61]
	s_and_saveexec_b64 s[60:61], s[0:1]
	s_cbranch_execnz .LBB151_880
	s_branch .LBB151_881
.LBB151_898:
	s_mov_b64 s[0:1], -1
                                        ; implicit-def: $vgpr5
	s_branch .LBB151_903
.LBB151_899:
	s_mov_b64 s[0:1], -1
                                        ; implicit-def: $vgpr5
.LBB151_900:
	s_and_b64 vcc, exec, s[0:1]
	s_cbranch_vccz .LBB151_902
; %bb.901:
	global_load_ubyte v1, v[3:4], off
	s_mov_b32 s0, 0x7f800000
	s_waitcnt vmcnt(0)
	v_lshlrev_b32_e32 v1, 24, v1
	v_and_b32_e32 v5, 0x7f000000, v1
	v_ffbh_u32_e32 v6, v5
	v_min_u32_e32 v6, 32, v6
	v_sub_u32_e64 v6, v6, 4 clamp
	v_lshlrev_b32_e32 v9, v6, v5
	v_lshlrev_b32_e32 v6, 23, v6
	v_lshrrev_b32_e32 v9, 4, v9
	v_add_u32_e32 v7, 0x1000000, v5
	v_sub_u32_e32 v6, v9, v6
	v_ashrrev_i32_e32 v7, 8, v7
	v_add_u32_e32 v6, 0x3c000000, v6
	v_and_or_b32 v6, v7, s0, v6
	v_cmp_ne_u32_e32 vcc, 0, v5
	v_cndmask_b32_e32 v5, 0, v6, vcc
	s_brev_b32 s0, 1
	v_and_or_b32 v1, v1, s0, v5
	v_cvt_f16_f32_e32 v5, v1
.LBB151_902:
	s_mov_b64 s[0:1], 0
.LBB151_903:
	s_andn2_b64 vcc, exec, s[0:1]
	s_cbranch_vccnz .LBB151_905
; %bb.904:
	global_load_ubyte v1, v[3:4], off
	s_movk_i32 s0, 0x7f00
	s_brev_b32 s1, 16
	s_waitcnt vmcnt(0)
	v_lshlrev_b16_e32 v5, 8, v1
	v_lshlrev_b32_e32 v1, 25, v1
	v_lshrrev_b32_e32 v6, 4, v1
	v_and_or_b32 v7, v5, s0, 0.5
	v_or_b32_e32 v6, 0x70000000, v6
	v_add_f32_e32 v7, -0.5, v7
	v_mul_f32_e32 v6, 0x7800000, v6
	v_cmp_gt_u32_e32 vcc, s1, v1
	v_bfe_i32 v5, v5, 0, 16
	v_cndmask_b32_e32 v1, v6, v7, vcc
	s_brev_b32 s0, 1
	v_and_or_b32 v1, v5, s0, v1
	v_cvt_f16_f32_e32 v5, v1
.LBB151_905:
	s_mov_b64 s[60:61], 0
	s_mov_b64 s[0:1], -1
.LBB151_906:
	s_andn2_b64 vcc, exec, s[60:61]
	s_cbranch_vccnz .LBB151_919
; %bb.907:
	s_cmp_gt_i32 s64, 14
	s_cbranch_scc0 .LBB151_910
; %bb.908:
	s_cmp_eq_u32 s64, 15
	s_cbranch_scc0 .LBB151_913
; %bb.909:
	global_load_ushort v1, v[3:4], off
	s_mov_b64 s[0:1], -1
	s_mov_b64 s[58:59], 0
	s_waitcnt vmcnt(0)
	v_lshlrev_b32_e32 v1, 16, v1
	v_cvt_f16_f32_e32 v5, v1
	s_branch .LBB151_914
.LBB151_910:
	s_mov_b64 s[60:61], -1
                                        ; implicit-def: $vgpr5
	s_branch .LBB151_915
.LBB151_911:
	s_or_saveexec_b64 s[60:61], s[60:61]
	v_mov_b32_e32 v5, 0x7e00
	s_xor_b64 exec, exec, s[60:61]
	s_cbranch_execz .LBB151_892
.LBB151_912:
	v_cmp_ne_u16_e32 vcc, 0, v1
	s_andn2_b64 s[0:1], s[0:1], exec
	s_and_b64 s[62:63], vcc, exec
	s_or_b64 s[0:1], s[0:1], s[62:63]
	v_mov_b32_e32 v5, v1
	s_or_b64 exec, exec, s[60:61]
	s_and_saveexec_b64 s[60:61], s[0:1]
	s_cbranch_execnz .LBB151_893
	s_branch .LBB151_894
.LBB151_913:
	s_mov_b64 s[58:59], -1
                                        ; implicit-def: $vgpr5
.LBB151_914:
	s_mov_b64 s[60:61], 0
.LBB151_915:
	s_and_b64 vcc, exec, s[60:61]
	s_cbranch_vccz .LBB151_919
; %bb.916:
	s_cmp_eq_u32 s64, 11
	s_cbranch_scc0 .LBB151_918
; %bb.917:
	global_load_ubyte v1, v[3:4], off
	v_mov_b32_e32 v5, 0x3c00
	s_mov_b64 s[0:1], -1
	s_mov_b64 s[58:59], 0
	v_mov_b32_e32 v6, 0
	s_waitcnt vmcnt(0)
	v_cmp_ne_u16_e32 vcc, 0, v1
	v_cndmask_b32_e32 v5, 0, v5, vcc
	s_branch .LBB151_920
.LBB151_918:
	s_mov_b64 s[58:59], -1
                                        ; implicit-def: $vgpr5
.LBB151_919:
	v_mov_b32_e32 v6, 0
.LBB151_920:
	s_mov_b64 s[60:61], 0
.LBB151_921:
	s_and_b64 vcc, exec, s[60:61]
	s_cbranch_vccz .LBB151_972
; %bb.922:
	s_and_b32 s14, 0xffff, s14
	s_cmp_lt_i32 s14, 5
	s_cbranch_scc1 .LBB151_927
; %bb.923:
	s_cmp_lt_i32 s14, 8
	s_cbranch_scc1 .LBB151_928
; %bb.924:
	;; [unrolled: 3-line block ×3, first 2 shown]
	s_cmp_gt_i32 s14, 9
	s_cbranch_scc0 .LBB151_930
; %bb.926:
	global_load_dwordx4 v[9:12], v[3:4], off
	s_movk_i32 s0, 0x1ff
	s_movk_i32 s1, 0xffe
	v_mov_b32_e32 v1, 0x7c00
	v_mov_b32_e32 v5, 0x7e00
	s_movk_i32 s60, 0x40f
	s_mov_b32 s61, 0x8000
	s_waitcnt vmcnt(0)
	v_and_or_b32 v6, v10, s0, v9
	v_and_or_b32 v11, v12, s0, v11
	v_cmp_ne_u32_e32 vcc, 0, v6
	v_lshrrev_b32_e32 v7, 8, v10
	v_bfe_u32 v9, v10, 20, 11
	v_cndmask_b32_e64 v6, 0, 1, vcc
	v_cmp_ne_u32_e32 vcc, 0, v11
	v_lshrrev_b32_e32 v13, 8, v12
	v_bfe_u32 v14, v12, 20, 11
	v_sub_u32_e32 v15, 0x3f1, v9
	v_cndmask_b32_e64 v11, 0, 1, vcc
	v_and_or_b32 v6, v7, s1, v6
	v_add_u32_e32 v9, 0xfffffc10, v9
	v_sub_u32_e32 v16, 0x3f1, v14
	v_add_u32_e32 v14, 0xfffffc10, v14
	v_med3_i32 v7, v15, 0, 13
	v_and_or_b32 v11, v13, s1, v11
	v_or_b32_e32 v15, 0x1000, v6
	v_cmp_ne_u32_e32 vcc, 0, v6
	v_med3_i32 v13, v16, 0, 13
	v_lshl_or_b32 v16, v9, 12, v6
	v_cndmask_b32_e32 v6, v1, v5, vcc
	v_or_b32_e32 v17, 0x1000, v11
	v_lshl_or_b32 v18, v14, 12, v11
	v_cmp_ne_u32_e32 vcc, 0, v11
	v_lshrrev_b32_e32 v11, v7, v15
	v_lshrrev_b32_e32 v19, v13, v17
	v_lshlrev_b32_e32 v7, v7, v11
	v_cndmask_b32_e32 v5, v1, v5, vcc
	v_lshlrev_b32_e32 v13, v13, v19
	v_cmp_ne_u32_e32 vcc, v7, v15
	v_cndmask_b32_e64 v7, 0, 1, vcc
	v_cmp_ne_u32_e32 vcc, v13, v17
	v_cndmask_b32_e64 v13, 0, 1, vcc
	v_or_b32_e32 v7, v11, v7
	v_cmp_gt_i32_e32 vcc, 1, v9
	v_cndmask_b32_e32 v7, v16, v7, vcc
	v_or_b32_e32 v11, v19, v13
	v_cmp_gt_i32_e32 vcc, 1, v14
	v_and_b32_e32 v13, 7, v7
	v_cndmask_b32_e32 v11, v18, v11, vcc
	v_cmp_lt_i32_e32 vcc, 5, v13
	v_and_b32_e32 v15, 7, v11
	v_cndmask_b32_e64 v16, 0, 1, vcc
	v_cmp_eq_u32_e32 vcc, 3, v13
	v_cndmask_b32_e64 v13, 0, 1, vcc
	v_cmp_lt_i32_e32 vcc, 5, v15
	v_cndmask_b32_e64 v17, 0, 1, vcc
	v_cmp_eq_u32_e32 vcc, 3, v15
	v_lshrrev_b32_e32 v7, 2, v7
	v_cndmask_b32_e64 v15, 0, 1, vcc
	v_or_b32_e32 v13, v13, v16
	v_lshrrev_b32_e32 v11, 2, v11
	v_or_b32_e32 v15, v15, v17
	v_add_u32_e32 v7, v7, v13
	v_cmp_gt_i32_e32 vcc, 31, v9
	v_add_u32_e32 v11, v11, v15
	v_cndmask_b32_e32 v7, v1, v7, vcc
	v_cmp_gt_i32_e32 vcc, 31, v14
	v_cndmask_b32_e32 v1, v1, v11, vcc
	v_cmp_eq_u32_e32 vcc, s60, v9
	v_cndmask_b32_e32 v6, v7, v6, vcc
	v_cmp_eq_u32_e32 vcc, s60, v14
	v_lshrrev_b32_e32 v10, 16, v10
	v_lshrrev_b32_e32 v12, 16, v12
	v_cndmask_b32_e32 v1, v1, v5, vcc
	v_and_or_b32 v5, v10, s61, v6
	v_and_or_b32 v6, v12, s61, v1
	s_mov_b64 s[0:1], 0
	s_branch .LBB151_931
.LBB151_927:
	s_mov_b64 s[0:1], -1
                                        ; implicit-def: $vgpr6
                                        ; implicit-def: $vgpr5
	s_branch .LBB151_950
.LBB151_928:
	s_mov_b64 s[0:1], -1
                                        ; implicit-def: $vgpr6
                                        ; implicit-def: $vgpr5
	s_branch .LBB151_937
.LBB151_929:
	s_mov_b64 s[0:1], -1
                                        ; implicit-def: $vgpr6
                                        ; implicit-def: $vgpr5
	s_branch .LBB151_934
.LBB151_930:
	s_mov_b64 s[0:1], -1
                                        ; implicit-def: $vgpr6
                                        ; implicit-def: $vgpr5
.LBB151_931:
	s_andn2_b64 vcc, exec, s[0:1]
	s_cbranch_vccnz .LBB151_933
; %bb.932:
	global_load_dwordx2 v[5:6], v[3:4], off
	s_waitcnt vmcnt(0)
	v_cvt_f16_f32_e32 v5, v5
	v_cvt_f16_f32_e32 v6, v6
.LBB151_933:
	s_mov_b64 s[0:1], 0
.LBB151_934:
	s_andn2_b64 vcc, exec, s[0:1]
	s_cbranch_vccnz .LBB151_936
; %bb.935:
	global_load_dword v5, v[3:4], off
	s_waitcnt vmcnt(0)
	v_lshrrev_b32_e32 v6, 16, v5
.LBB151_936:
	s_mov_b64 s[0:1], 0
.LBB151_937:
	s_andn2_b64 vcc, exec, s[0:1]
	s_cbranch_vccnz .LBB151_949
; %bb.938:
	s_cmp_lt_i32 s14, 6
	s_cbranch_scc1 .LBB151_941
; %bb.939:
	s_cmp_gt_i32 s14, 6
	s_cbranch_scc0 .LBB151_942
; %bb.940:
	global_load_dwordx2 v[5:6], v[3:4], off
	s_movk_i32 s0, 0x1ff
	s_movk_i32 s1, 0xffe
	v_mov_b32_e32 v1, 0x7c00
	v_mov_b32_e32 v7, 0x7e00
	s_movk_i32 s60, 0x40f
	s_mov_b32 s61, 0x8000
	s_waitcnt vmcnt(0)
	v_and_or_b32 v5, v6, s0, v5
	v_cmp_ne_u32_e32 vcc, 0, v5
	v_lshrrev_b32_e32 v9, 8, v6
	v_bfe_u32 v10, v6, 20, 11
	v_cndmask_b32_e64 v5, 0, 1, vcc
	v_sub_u32_e32 v11, 0x3f1, v10
	v_and_or_b32 v5, v9, s1, v5
	v_add_u32_e32 v10, 0xfffffc10, v10
	v_med3_i32 v9, v11, 0, 13
	v_or_b32_e32 v11, 0x1000, v5
	v_cmp_ne_u32_e32 vcc, 0, v5
	v_lshl_or_b32 v12, v10, 12, v5
	v_cndmask_b32_e32 v5, v1, v7, vcc
	v_lshrrev_b32_e32 v7, v9, v11
	v_lshlrev_b32_e32 v9, v9, v7
	v_cmp_ne_u32_e32 vcc, v9, v11
	v_cndmask_b32_e64 v9, 0, 1, vcc
	v_or_b32_e32 v7, v7, v9
	v_cmp_gt_i32_e32 vcc, 1, v10
	v_cndmask_b32_e32 v7, v12, v7, vcc
	v_and_b32_e32 v9, 7, v7
	v_cmp_lt_i32_e32 vcc, 5, v9
	v_cndmask_b32_e64 v11, 0, 1, vcc
	v_cmp_eq_u32_e32 vcc, 3, v9
	v_cndmask_b32_e64 v9, 0, 1, vcc
	v_lshrrev_b32_e32 v7, 2, v7
	v_or_b32_e32 v9, v9, v11
	v_add_u32_e32 v7, v7, v9
	v_cmp_gt_i32_e32 vcc, 31, v10
	v_cndmask_b32_e32 v1, v1, v7, vcc
	v_cmp_eq_u32_e32 vcc, s60, v10
	v_lshrrev_b32_e32 v6, 16, v6
	v_cndmask_b32_e32 v1, v1, v5, vcc
	v_and_or_b32 v5, v6, s61, v1
	s_mov_b64 s[0:1], 0
	s_branch .LBB151_943
.LBB151_941:
	s_mov_b64 s[0:1], -1
                                        ; implicit-def: $vgpr5
	s_branch .LBB151_946
.LBB151_942:
	s_mov_b64 s[0:1], -1
                                        ; implicit-def: $vgpr5
.LBB151_943:
	s_andn2_b64 vcc, exec, s[0:1]
	s_cbranch_vccnz .LBB151_945
; %bb.944:
	global_load_dword v1, v[3:4], off
	s_waitcnt vmcnt(0)
	v_cvt_f16_f32_e32 v5, v1
.LBB151_945:
	s_mov_b64 s[0:1], 0
.LBB151_946:
	s_andn2_b64 vcc, exec, s[0:1]
	s_cbranch_vccnz .LBB151_948
; %bb.947:
	global_load_ushort v5, v[3:4], off
.LBB151_948:
	v_mov_b32_e32 v6, 0
.LBB151_949:
	s_mov_b64 s[0:1], 0
.LBB151_950:
	s_andn2_b64 vcc, exec, s[0:1]
	s_cbranch_vccnz .LBB151_971
; %bb.951:
	s_cmp_lt_i32 s14, 2
	s_cbranch_scc1 .LBB151_955
; %bb.952:
	s_cmp_lt_i32 s14, 3
	s_cbranch_scc1 .LBB151_956
; %bb.953:
	s_cmp_gt_i32 s14, 3
	s_cbranch_scc0 .LBB151_957
; %bb.954:
	global_load_dwordx2 v[5:6], v[3:4], off
	s_mov_b64 s[0:1], 0
	s_waitcnt vmcnt(0)
	v_xor_b32_e32 v7, v5, v6
	v_ffbh_i32_e32 v1, v6
	v_ashrrev_i32_e32 v7, 31, v7
	v_add_u32_e32 v1, -1, v1
	v_add_u32_e32 v7, 32, v7
	v_min_u32_e32 v1, v1, v7
	v_lshlrev_b64 v[5:6], v1, v[5:6]
	v_sub_u32_e32 v1, 32, v1
	v_min_u32_e32 v5, 1, v5
	v_or_b32_e32 v5, v6, v5
	v_cvt_f32_i32_e32 v5, v5
	v_ldexp_f32 v1, v5, v1
	v_cvt_f16_f32_e32 v5, v1
	s_branch .LBB151_958
.LBB151_955:
	s_mov_b64 s[0:1], -1
                                        ; implicit-def: $vgpr5
	s_branch .LBB151_964
.LBB151_956:
	s_mov_b64 s[0:1], -1
                                        ; implicit-def: $vgpr5
	s_branch .LBB151_961
.LBB151_957:
	s_mov_b64 s[0:1], -1
                                        ; implicit-def: $vgpr5
.LBB151_958:
	s_andn2_b64 vcc, exec, s[0:1]
	s_cbranch_vccnz .LBB151_960
; %bb.959:
	global_load_dword v1, v[3:4], off
	s_waitcnt vmcnt(0)
	v_cvt_f32_i32_e32 v1, v1
	v_cvt_f16_f32_e32 v5, v1
.LBB151_960:
	s_mov_b64 s[0:1], 0
.LBB151_961:
	s_andn2_b64 vcc, exec, s[0:1]
	s_cbranch_vccnz .LBB151_963
; %bb.962:
	global_load_ushort v1, v[3:4], off
	s_waitcnt vmcnt(0)
	v_cvt_f16_i16_e32 v5, v1
.LBB151_963:
	s_mov_b64 s[0:1], 0
.LBB151_964:
	s_andn2_b64 vcc, exec, s[0:1]
	s_cbranch_vccnz .LBB151_970
; %bb.965:
	s_cmp_gt_i32 s14, 0
	s_cbranch_scc0 .LBB151_967
; %bb.966:
	global_load_sbyte v1, v[3:4], off
	s_mov_b64 s[0:1], 0
	s_waitcnt vmcnt(0)
	v_cvt_f16_i16_e32 v5, v1
	s_branch .LBB151_968
.LBB151_967:
	s_mov_b64 s[0:1], -1
                                        ; implicit-def: $vgpr5
.LBB151_968:
	s_andn2_b64 vcc, exec, s[0:1]
	s_cbranch_vccnz .LBB151_970
; %bb.969:
	global_load_ubyte v1, v[3:4], off
	s_waitcnt vmcnt(0)
	v_cvt_f16_u16_e32 v5, v1
.LBB151_970:
	v_mov_b32_e32 v6, 0
.LBB151_971:
	s_mov_b64 s[0:1], -1
.LBB151_972:
	s_andn2_b64 vcc, exec, s[0:1]
	s_cbranch_vccnz .LBB151_980
; %bb.973:
	v_mov_b32_e32 v3, s13
	s_and_b32 s14, s73, 0xff
	v_add_co_u32_e32 v1, vcc, s12, v2
	s_cmp_lt_i32 s14, 11
	v_addc_co_u32_e32 v2, vcc, 0, v3, vcc
	s_cbranch_scc1 .LBB151_982
; %bb.974:
	s_and_b32 s66, 0xffff, s14
	s_cmp_gt_i32 s66, 25
	s_cbranch_scc0 .LBB151_983
; %bb.975:
	s_cmp_gt_i32 s66, 28
	s_cbranch_scc0 .LBB151_984
; %bb.976:
	;; [unrolled: 3-line block ×4, first 2 shown]
	s_cmp_eq_u32 s66, 46
	s_mov_b64 s[62:63], 0
	s_cbranch_scc0 .LBB151_989
; %bb.979:
	global_load_dword v3, v[1:2], off
	s_mov_b64 s[0:1], -1
	s_mov_b64 s[60:61], 0
	s_waitcnt vmcnt(0)
	v_and_b32_e32 v4, 0xffff0000, v3
	v_lshlrev_b32_e32 v3, 16, v3
	v_cvt_f16_f32_e32 v3, v3
	v_cvt_f16_f32_e32 v4, v4
	s_branch .LBB151_990
.LBB151_980:
	s_mov_b64 s[64:65], 0
	s_mov_b64 s[0:1], s[52:53]
	;; [unrolled: 1-line block ×3, first 2 shown]
.LBB151_981:
                                        ; implicit-def: $vgpr8
	s_branch .LBB151_1238
.LBB151_982:
	s_mov_b64 s[62:63], -1
	s_mov_b64 s[0:1], 0
                                        ; implicit-def: $vgpr4
                                        ; implicit-def: $vgpr3
	s_mov_b64 s[60:61], s[50:51]
	s_branch .LBB151_1058
.LBB151_983:
	s_mov_b64 s[62:63], -1
	s_mov_b64 s[0:1], 0
	s_mov_b64 s[60:61], s[50:51]
                                        ; implicit-def: $vgpr4
                                        ; implicit-def: $vgpr3
	s_branch .LBB151_1021
.LBB151_984:
	s_mov_b64 s[62:63], -1
	s_mov_b64 s[0:1], 0
	s_mov_b64 s[60:61], s[50:51]
                                        ; implicit-def: $vgpr4
                                        ; implicit-def: $vgpr3
	s_branch .LBB151_1002
.LBB151_985:
	s_mov_b64 s[62:63], -1
	s_mov_b64 s[0:1], 0
	s_mov_b64 s[60:61], s[50:51]
                                        ; implicit-def: $vgpr4
                                        ; implicit-def: $vgpr3
	s_branch .LBB151_996
.LBB151_986:
	s_mov_b64 s[62:63], -1
	s_mov_b64 s[0:1], 0
	s_mov_b64 s[60:61], s[50:51]
                                        ; implicit-def: $vgpr4
                                        ; implicit-def: $vgpr3
	s_branch .LBB151_990
.LBB151_987:
	s_andn2_saveexec_b64 s[60:61], s[60:61]
	s_cbranch_execz .LBB151_746
.LBB151_988:
	v_add_f32_e32 v2, 0x42800000, v3
	v_and_b32_e32 v2, 0xff, v2
	v_cmp_ne_u32_e32 vcc, 0, v2
	s_andn2_b64 s[58:59], s[58:59], exec
	s_and_b64 s[64:65], vcc, exec
	s_or_b64 s[58:59], s[58:59], s[64:65]
	s_or_b64 exec, exec, s[60:61]
	v_mov_b32_e32 v4, 0
	s_and_saveexec_b64 s[60:61], s[58:59]
	s_cbranch_execnz .LBB151_747
	s_branch .LBB151_748
.LBB151_989:
	s_mov_b64 s[60:61], -1
                                        ; implicit-def: $vgpr4
                                        ; implicit-def: $vgpr3
	s_mov_b64 s[0:1], 0
.LBB151_990:
	s_and_b64 vcc, exec, s[62:63]
	s_cbranch_vccz .LBB151_995
; %bb.991:
	s_cmp_eq_u32 s66, 44
	s_cbranch_scc0 .LBB151_993
; %bb.992:
	global_load_ubyte v3, v[1:2], off
	s_movk_i32 s60, 0xff
	v_mov_b32_e32 v7, 0x7e00
	s_mov_b64 s[0:1], -1
	s_waitcnt vmcnt(0)
	v_lshlrev_b32_e32 v4, 23, v3
	v_cvt_f16_f32_e32 v4, v4
	v_cmp_ne_u32_e32 vcc, s60, v3
	s_mov_b64 s[60:61], 0
	v_cndmask_b32_e32 v4, v7, v4, vcc
	v_cmp_ne_u32_e32 vcc, 0, v3
	v_cndmask_b32_e32 v3, 0, v4, vcc
	s_branch .LBB151_994
.LBB151_993:
	s_mov_b64 s[60:61], -1
                                        ; implicit-def: $vgpr3
.LBB151_994:
	v_mov_b32_e32 v4, 0
.LBB151_995:
	s_mov_b64 s[62:63], 0
.LBB151_996:
	s_and_b64 vcc, exec, s[62:63]
	s_cbranch_vccz .LBB151_1001
; %bb.997:
	s_cmp_eq_u32 s66, 29
	s_cbranch_scc0 .LBB151_999
; %bb.998:
	global_load_dwordx2 v[3:4], v[1:2], off
	s_mov_b64 s[0:1], -1
	s_mov_b64 s[60:61], 0
	s_waitcnt vmcnt(0)
	v_ffbh_u32_e32 v7, v4
	v_min_u32_e32 v7, 32, v7
	v_lshlrev_b64 v[3:4], v7, v[3:4]
	v_min_u32_e32 v3, 1, v3
	v_or_b32_e32 v3, v4, v3
	v_cvt_f32_u32_e32 v3, v3
	v_sub_u32_e32 v4, 32, v7
	v_ldexp_f32 v3, v3, v4
	v_cvt_f16_f32_e32 v3, v3
	s_branch .LBB151_1000
.LBB151_999:
	s_mov_b64 s[60:61], -1
                                        ; implicit-def: $vgpr3
.LBB151_1000:
	v_mov_b32_e32 v4, 0
.LBB151_1001:
	s_mov_b64 s[62:63], 0
.LBB151_1002:
	s_and_b64 vcc, exec, s[62:63]
	s_cbranch_vccz .LBB151_1020
; %bb.1003:
	s_cmp_lt_i32 s66, 27
	s_cbranch_scc1 .LBB151_1006
; %bb.1004:
	s_cmp_gt_i32 s66, 27
	s_cbranch_scc0 .LBB151_1007
; %bb.1005:
	global_load_dword v3, v[1:2], off
	s_mov_b64 s[0:1], 0
	s_waitcnt vmcnt(0)
	v_cvt_f32_u32_e32 v3, v3
	v_cvt_f16_f32_e32 v3, v3
	s_branch .LBB151_1008
.LBB151_1006:
	s_mov_b64 s[0:1], -1
                                        ; implicit-def: $vgpr3
	s_branch .LBB151_1011
.LBB151_1007:
	s_mov_b64 s[0:1], -1
                                        ; implicit-def: $vgpr3
.LBB151_1008:
	s_andn2_b64 vcc, exec, s[0:1]
	s_cbranch_vccnz .LBB151_1010
; %bb.1009:
	global_load_ushort v3, v[1:2], off
	s_waitcnt vmcnt(0)
	v_cvt_f16_u16_e32 v3, v3
.LBB151_1010:
	s_mov_b64 s[0:1], 0
.LBB151_1011:
	s_andn2_b64 vcc, exec, s[0:1]
	s_cbranch_vccnz .LBB151_1019
; %bb.1012:
	global_load_ubyte v4, v[1:2], off
	s_movk_i32 s0, 0x7f
	s_waitcnt vmcnt(0)
	v_cmp_lt_i16_e32 vcc, s0, v4
	s_mov_b64 s[0:1], 0
	s_and_saveexec_b64 s[62:63], vcc
	s_xor_b64 s[62:63], exec, s[62:63]
	s_cbranch_execz .LBB151_1033
; %bb.1013:
	s_movk_i32 s0, 0x80
	v_cmp_eq_u16_e32 vcc, s0, v4
	s_mov_b64 s[0:1], -1
	s_and_saveexec_b64 s[64:65], vcc
; %bb.1014:
	s_xor_b64 s[0:1], exec, -1
; %bb.1015:
	s_or_b64 exec, exec, s[64:65]
	s_and_b64 s[0:1], s[0:1], exec
	s_or_saveexec_b64 s[62:63], s[62:63]
	v_mov_b32_e32 v3, 0x7e00
	s_xor_b64 exec, exec, s[62:63]
	s_cbranch_execnz .LBB151_1034
.LBB151_1016:
	s_or_b64 exec, exec, s[62:63]
	s_and_saveexec_b64 s[62:63], s[0:1]
	s_cbranch_execz .LBB151_1018
.LBB151_1017:
	v_lshlrev_b32_e32 v3, 24, v4
	v_and_b32_e32 v4, 0xffff, v4
	v_and_b32_e32 v7, 7, v4
	v_ffbh_u32_e32 v10, v7
	v_min_u32_e32 v10, 32, v10
	v_subrev_u32_e32 v11, 28, v10
	v_bfe_u32 v9, v4, 3, 4
	v_lshlrev_b32_e32 v4, v11, v4
	v_sub_u32_e32 v10, 29, v10
	v_and_b32_e32 v4, 7, v4
	v_cmp_eq_u32_e32 vcc, 0, v9
	v_cndmask_b32_e32 v9, v9, v10, vcc
	v_cndmask_b32_e32 v4, v7, v4, vcc
	v_mov_b32_e32 v7, 0x3b800000
	v_lshlrev_b32_e32 v4, 20, v4
	v_and_b32_e32 v3, 0x80000000, v3
	v_lshl_add_u32 v7, v9, 23, v7
	v_or3_b32 v3, v3, v7, v4
	v_cvt_f16_f32_e32 v3, v3
.LBB151_1018:
	s_or_b64 exec, exec, s[62:63]
.LBB151_1019:
	s_mov_b64 s[0:1], -1
	v_mov_b32_e32 v4, 0
.LBB151_1020:
	s_mov_b64 s[62:63], 0
.LBB151_1021:
	s_and_b64 vcc, exec, s[62:63]
	s_cbranch_vccz .LBB151_1057
; %bb.1022:
	s_cmp_gt_i32 s66, 22
	s_cbranch_scc0 .LBB151_1032
; %bb.1023:
	s_cmp_lt_i32 s66, 24
	s_cbranch_scc1 .LBB151_1035
; %bb.1024:
	s_cmp_gt_i32 s66, 24
	s_cbranch_scc0 .LBB151_1036
; %bb.1025:
	global_load_ubyte v4, v[1:2], off
	s_movk_i32 s0, 0x7f
	s_waitcnt vmcnt(0)
	v_cmp_lt_i16_e32 vcc, s0, v4
	s_mov_b64 s[0:1], 0
	s_and_saveexec_b64 s[62:63], vcc
	s_xor_b64 s[62:63], exec, s[62:63]
	s_cbranch_execz .LBB151_1048
; %bb.1026:
	s_movk_i32 s0, 0x80
	v_cmp_eq_u16_e32 vcc, s0, v4
	s_mov_b64 s[0:1], -1
	s_and_saveexec_b64 s[64:65], vcc
; %bb.1027:
	s_xor_b64 s[0:1], exec, -1
; %bb.1028:
	s_or_b64 exec, exec, s[64:65]
	s_and_b64 s[0:1], s[0:1], exec
	s_or_saveexec_b64 s[62:63], s[62:63]
	v_mov_b32_e32 v3, 0x7e00
	s_xor_b64 exec, exec, s[62:63]
	s_cbranch_execnz .LBB151_1049
.LBB151_1029:
	s_or_b64 exec, exec, s[62:63]
	s_and_saveexec_b64 s[62:63], s[0:1]
	s_cbranch_execz .LBB151_1031
.LBB151_1030:
	v_lshlrev_b32_e32 v3, 24, v4
	v_and_b32_e32 v4, 0xffff, v4
	v_and_b32_e32 v7, 3, v4
	v_ffbh_u32_e32 v10, v7
	v_min_u32_e32 v10, 32, v10
	v_subrev_u32_e32 v11, 29, v10
	v_bfe_u32 v9, v4, 2, 5
	v_lshlrev_b32_e32 v4, v11, v4
	v_sub_u32_e32 v10, 30, v10
	v_and_b32_e32 v4, 3, v4
	v_cmp_eq_u32_e32 vcc, 0, v9
	v_cndmask_b32_e32 v9, v9, v10, vcc
	v_cndmask_b32_e32 v4, v7, v4, vcc
	v_mov_b32_e32 v7, 0x37800000
	v_lshlrev_b32_e32 v4, 21, v4
	v_and_b32_e32 v3, 0x80000000, v3
	v_lshl_add_u32 v7, v9, 23, v7
	v_or3_b32 v3, v3, v7, v4
	v_cvt_f16_f32_e32 v3, v3
.LBB151_1031:
	s_or_b64 exec, exec, s[62:63]
	s_mov_b64 s[0:1], 0
	s_branch .LBB151_1037
.LBB151_1032:
	s_mov_b64 s[62:63], -1
                                        ; implicit-def: $vgpr3
	s_branch .LBB151_1043
.LBB151_1033:
	s_or_saveexec_b64 s[62:63], s[62:63]
	v_mov_b32_e32 v3, 0x7e00
	s_xor_b64 exec, exec, s[62:63]
	s_cbranch_execz .LBB151_1016
.LBB151_1034:
	v_cmp_ne_u16_e32 vcc, 0, v4
	s_andn2_b64 s[0:1], s[0:1], exec
	s_and_b64 s[64:65], vcc, exec
	s_or_b64 s[0:1], s[0:1], s[64:65]
	v_mov_b32_e32 v3, v4
	s_or_b64 exec, exec, s[62:63]
	s_and_saveexec_b64 s[62:63], s[0:1]
	s_cbranch_execnz .LBB151_1017
	s_branch .LBB151_1018
.LBB151_1035:
	s_mov_b64 s[0:1], -1
                                        ; implicit-def: $vgpr3
	s_branch .LBB151_1040
.LBB151_1036:
	s_mov_b64 s[0:1], -1
                                        ; implicit-def: $vgpr3
.LBB151_1037:
	s_and_b64 vcc, exec, s[0:1]
	s_cbranch_vccz .LBB151_1039
; %bb.1038:
	global_load_ubyte v3, v[1:2], off
	s_mov_b32 s0, 0x7f800000
	s_waitcnt vmcnt(0)
	v_lshlrev_b32_e32 v3, 24, v3
	v_and_b32_e32 v4, 0x7f000000, v3
	v_ffbh_u32_e32 v7, v4
	v_min_u32_e32 v7, 32, v7
	v_sub_u32_e64 v7, v7, 4 clamp
	v_lshlrev_b32_e32 v10, v7, v4
	v_lshlrev_b32_e32 v7, 23, v7
	v_lshrrev_b32_e32 v10, 4, v10
	v_add_u32_e32 v9, 0x1000000, v4
	v_sub_u32_e32 v7, v10, v7
	v_ashrrev_i32_e32 v9, 8, v9
	v_add_u32_e32 v7, 0x3c000000, v7
	v_and_or_b32 v7, v9, s0, v7
	v_cmp_ne_u32_e32 vcc, 0, v4
	v_cndmask_b32_e32 v4, 0, v7, vcc
	s_brev_b32 s0, 1
	v_and_or_b32 v3, v3, s0, v4
	v_cvt_f16_f32_e32 v3, v3
.LBB151_1039:
	s_mov_b64 s[0:1], 0
.LBB151_1040:
	s_andn2_b64 vcc, exec, s[0:1]
	s_cbranch_vccnz .LBB151_1042
; %bb.1041:
	global_load_ubyte v3, v[1:2], off
	s_movk_i32 s0, 0x7f00
	s_brev_b32 s1, 16
	s_waitcnt vmcnt(0)
	v_lshlrev_b16_e32 v4, 8, v3
	v_lshlrev_b32_e32 v3, 25, v3
	v_lshrrev_b32_e32 v7, 4, v3
	v_and_or_b32 v9, v4, s0, 0.5
	v_or_b32_e32 v7, 0x70000000, v7
	v_add_f32_e32 v9, -0.5, v9
	v_mul_f32_e32 v7, 0x7800000, v7
	v_cmp_gt_u32_e32 vcc, s1, v3
	v_bfe_i32 v4, v4, 0, 16
	v_cndmask_b32_e32 v3, v7, v9, vcc
	s_brev_b32 s0, 1
	v_and_or_b32 v3, v4, s0, v3
	v_cvt_f16_f32_e32 v3, v3
.LBB151_1042:
	s_mov_b64 s[62:63], 0
	s_mov_b64 s[0:1], -1
.LBB151_1043:
	s_andn2_b64 vcc, exec, s[62:63]
	s_cbranch_vccnz .LBB151_1056
; %bb.1044:
	s_cmp_gt_i32 s66, 14
	s_cbranch_scc0 .LBB151_1047
; %bb.1045:
	s_cmp_eq_u32 s66, 15
	s_cbranch_scc0 .LBB151_1050
; %bb.1046:
	global_load_ushort v3, v[1:2], off
	s_mov_b64 s[0:1], -1
	s_mov_b64 s[60:61], 0
	s_waitcnt vmcnt(0)
	v_lshlrev_b32_e32 v3, 16, v3
	v_cvt_f16_f32_e32 v3, v3
	s_branch .LBB151_1051
.LBB151_1047:
	s_mov_b64 s[62:63], -1
                                        ; implicit-def: $vgpr3
	s_branch .LBB151_1052
.LBB151_1048:
	s_or_saveexec_b64 s[62:63], s[62:63]
	v_mov_b32_e32 v3, 0x7e00
	s_xor_b64 exec, exec, s[62:63]
	s_cbranch_execz .LBB151_1029
.LBB151_1049:
	v_cmp_ne_u16_e32 vcc, 0, v4
	s_andn2_b64 s[0:1], s[0:1], exec
	s_and_b64 s[64:65], vcc, exec
	s_or_b64 s[0:1], s[0:1], s[64:65]
	v_mov_b32_e32 v3, v4
	s_or_b64 exec, exec, s[62:63]
	s_and_saveexec_b64 s[62:63], s[0:1]
	s_cbranch_execnz .LBB151_1030
	s_branch .LBB151_1031
.LBB151_1050:
	s_mov_b64 s[60:61], -1
                                        ; implicit-def: $vgpr3
.LBB151_1051:
	s_mov_b64 s[62:63], 0
.LBB151_1052:
	s_and_b64 vcc, exec, s[62:63]
	s_cbranch_vccz .LBB151_1056
; %bb.1053:
	s_cmp_eq_u32 s66, 11
	s_cbranch_scc0 .LBB151_1055
; %bb.1054:
	global_load_ubyte v3, v[1:2], off
	v_mov_b32_e32 v4, 0x3c00
	s_mov_b64 s[0:1], -1
	s_mov_b64 s[60:61], 0
	s_waitcnt vmcnt(0)
	v_cmp_ne_u16_e32 vcc, 0, v3
	v_cndmask_b32_e32 v3, 0, v4, vcc
	s_branch .LBB151_1056
.LBB151_1055:
	s_mov_b64 s[60:61], -1
                                        ; implicit-def: $vgpr3
.LBB151_1056:
	v_mov_b32_e32 v4, 0
.LBB151_1057:
	s_mov_b64 s[62:63], 0
.LBB151_1058:
	s_and_b64 vcc, exec, s[62:63]
	s_cbranch_vccz .LBB151_1109
; %bb.1059:
	s_and_b32 s14, 0xffff, s14
	s_cmp_lt_i32 s14, 5
	s_cbranch_scc1 .LBB151_1064
; %bb.1060:
	s_cmp_lt_i32 s14, 8
	s_cbranch_scc1 .LBB151_1065
; %bb.1061:
	;; [unrolled: 3-line block ×3, first 2 shown]
	s_cmp_gt_i32 s14, 9
	s_cbranch_scc0 .LBB151_1067
; %bb.1063:
	global_load_dwordx4 v[9:12], v[1:2], off
	s_movk_i32 s0, 0x1ff
	s_movk_i32 s1, 0xffe
	v_mov_b32_e32 v3, 0x7c00
	v_mov_b32_e32 v4, 0x7e00
	s_movk_i32 s62, 0x40f
	s_mov_b32 s63, 0x8000
	s_waitcnt vmcnt(0)
	v_and_or_b32 v7, v10, s0, v9
	v_and_or_b32 v11, v12, s0, v11
	v_cmp_ne_u32_e32 vcc, 0, v7
	v_lshrrev_b32_e32 v9, 8, v10
	v_bfe_u32 v13, v10, 20, 11
	v_cndmask_b32_e64 v7, 0, 1, vcc
	v_cmp_ne_u32_e32 vcc, 0, v11
	v_lshrrev_b32_e32 v14, 8, v12
	v_bfe_u32 v15, v12, 20, 11
	v_sub_u32_e32 v16, 0x3f1, v13
	v_cndmask_b32_e64 v11, 0, 1, vcc
	v_and_or_b32 v7, v9, s1, v7
	v_add_u32_e32 v13, 0xfffffc10, v13
	v_sub_u32_e32 v17, 0x3f1, v15
	v_add_u32_e32 v15, 0xfffffc10, v15
	v_med3_i32 v9, v16, 0, 13
	v_and_or_b32 v11, v14, s1, v11
	v_or_b32_e32 v16, 0x1000, v7
	v_cmp_ne_u32_e32 vcc, 0, v7
	v_med3_i32 v14, v17, 0, 13
	v_lshl_or_b32 v17, v13, 12, v7
	v_cndmask_b32_e32 v7, v3, v4, vcc
	v_or_b32_e32 v18, 0x1000, v11
	v_lshl_or_b32 v19, v15, 12, v11
	v_cmp_ne_u32_e32 vcc, 0, v11
	v_lshrrev_b32_e32 v11, v9, v16
	v_lshrrev_b32_e32 v20, v14, v18
	v_lshlrev_b32_e32 v9, v9, v11
	v_cndmask_b32_e32 v4, v3, v4, vcc
	v_lshlrev_b32_e32 v14, v14, v20
	v_cmp_ne_u32_e32 vcc, v9, v16
	v_cndmask_b32_e64 v9, 0, 1, vcc
	v_cmp_ne_u32_e32 vcc, v14, v18
	v_cndmask_b32_e64 v14, 0, 1, vcc
	v_or_b32_e32 v9, v11, v9
	v_cmp_gt_i32_e32 vcc, 1, v13
	v_cndmask_b32_e32 v9, v17, v9, vcc
	v_or_b32_e32 v11, v20, v14
	v_cmp_gt_i32_e32 vcc, 1, v15
	v_and_b32_e32 v14, 7, v9
	v_cndmask_b32_e32 v11, v19, v11, vcc
	v_cmp_lt_i32_e32 vcc, 5, v14
	v_and_b32_e32 v16, 7, v11
	v_cndmask_b32_e64 v17, 0, 1, vcc
	v_cmp_eq_u32_e32 vcc, 3, v14
	v_cndmask_b32_e64 v14, 0, 1, vcc
	v_cmp_lt_i32_e32 vcc, 5, v16
	v_cndmask_b32_e64 v18, 0, 1, vcc
	v_cmp_eq_u32_e32 vcc, 3, v16
	v_lshrrev_b32_e32 v9, 2, v9
	v_cndmask_b32_e64 v16, 0, 1, vcc
	v_or_b32_e32 v14, v14, v17
	v_lshrrev_b32_e32 v11, 2, v11
	v_or_b32_e32 v16, v16, v18
	v_add_u32_e32 v9, v9, v14
	v_cmp_gt_i32_e32 vcc, 31, v13
	v_add_u32_e32 v11, v11, v16
	v_cndmask_b32_e32 v9, v3, v9, vcc
	v_cmp_gt_i32_e32 vcc, 31, v15
	v_cndmask_b32_e32 v3, v3, v11, vcc
	v_cmp_eq_u32_e32 vcc, s62, v13
	v_cndmask_b32_e32 v7, v9, v7, vcc
	v_cmp_eq_u32_e32 vcc, s62, v15
	v_lshrrev_b32_e32 v10, 16, v10
	v_lshrrev_b32_e32 v12, 16, v12
	v_cndmask_b32_e32 v4, v3, v4, vcc
	v_and_or_b32 v3, v10, s63, v7
	v_and_or_b32 v4, v12, s63, v4
	s_mov_b64 s[0:1], 0
	s_branch .LBB151_1068
.LBB151_1064:
	s_mov_b64 s[0:1], -1
                                        ; implicit-def: $vgpr4
                                        ; implicit-def: $vgpr3
	s_branch .LBB151_1087
.LBB151_1065:
	s_mov_b64 s[0:1], -1
                                        ; implicit-def: $vgpr4
                                        ; implicit-def: $vgpr3
	s_branch .LBB151_1074
.LBB151_1066:
	s_mov_b64 s[0:1], -1
                                        ; implicit-def: $vgpr4
                                        ; implicit-def: $vgpr3
	s_branch .LBB151_1071
.LBB151_1067:
	s_mov_b64 s[0:1], -1
                                        ; implicit-def: $vgpr4
                                        ; implicit-def: $vgpr3
.LBB151_1068:
	s_andn2_b64 vcc, exec, s[0:1]
	s_cbranch_vccnz .LBB151_1070
; %bb.1069:
	global_load_dwordx2 v[3:4], v[1:2], off
	s_waitcnt vmcnt(0)
	v_cvt_f16_f32_e32 v3, v3
	v_cvt_f16_f32_e32 v4, v4
.LBB151_1070:
	s_mov_b64 s[0:1], 0
.LBB151_1071:
	s_andn2_b64 vcc, exec, s[0:1]
	s_cbranch_vccnz .LBB151_1073
; %bb.1072:
	global_load_dword v3, v[1:2], off
	s_waitcnt vmcnt(0)
	v_lshrrev_b32_e32 v4, 16, v3
.LBB151_1073:
	s_mov_b64 s[0:1], 0
.LBB151_1074:
	s_andn2_b64 vcc, exec, s[0:1]
	s_cbranch_vccnz .LBB151_1086
; %bb.1075:
	s_cmp_lt_i32 s14, 6
	s_cbranch_scc1 .LBB151_1078
; %bb.1076:
	s_cmp_gt_i32 s14, 6
	s_cbranch_scc0 .LBB151_1079
; %bb.1077:
	global_load_dwordx2 v[3:4], v[1:2], off
	s_movk_i32 s0, 0x1ff
	s_movk_i32 s1, 0xffe
	v_mov_b32_e32 v7, 0x7c00
	v_mov_b32_e32 v9, 0x7e00
	s_movk_i32 s62, 0x40f
	s_mov_b32 s63, 0x8000
	s_waitcnt vmcnt(0)
	v_and_or_b32 v3, v4, s0, v3
	v_cmp_ne_u32_e32 vcc, 0, v3
	v_lshrrev_b32_e32 v10, 8, v4
	v_bfe_u32 v11, v4, 20, 11
	v_cndmask_b32_e64 v3, 0, 1, vcc
	v_sub_u32_e32 v12, 0x3f1, v11
	v_and_or_b32 v3, v10, s1, v3
	v_add_u32_e32 v11, 0xfffffc10, v11
	v_med3_i32 v10, v12, 0, 13
	v_or_b32_e32 v12, 0x1000, v3
	v_cmp_ne_u32_e32 vcc, 0, v3
	v_lshl_or_b32 v13, v11, 12, v3
	v_cndmask_b32_e32 v3, v7, v9, vcc
	v_lshrrev_b32_e32 v9, v10, v12
	v_lshlrev_b32_e32 v10, v10, v9
	v_cmp_ne_u32_e32 vcc, v10, v12
	v_cndmask_b32_e64 v10, 0, 1, vcc
	v_or_b32_e32 v9, v9, v10
	v_cmp_gt_i32_e32 vcc, 1, v11
	v_cndmask_b32_e32 v9, v13, v9, vcc
	v_and_b32_e32 v10, 7, v9
	v_cmp_lt_i32_e32 vcc, 5, v10
	v_cndmask_b32_e64 v12, 0, 1, vcc
	v_cmp_eq_u32_e32 vcc, 3, v10
	v_cndmask_b32_e64 v10, 0, 1, vcc
	v_lshrrev_b32_e32 v9, 2, v9
	v_or_b32_e32 v10, v10, v12
	v_add_u32_e32 v9, v9, v10
	v_cmp_gt_i32_e32 vcc, 31, v11
	v_cndmask_b32_e32 v7, v7, v9, vcc
	v_cmp_eq_u32_e32 vcc, s62, v11
	v_lshrrev_b32_e32 v4, 16, v4
	v_cndmask_b32_e32 v3, v7, v3, vcc
	v_and_or_b32 v3, v4, s63, v3
	s_mov_b64 s[0:1], 0
	s_branch .LBB151_1080
.LBB151_1078:
	s_mov_b64 s[0:1], -1
                                        ; implicit-def: $vgpr3
	s_branch .LBB151_1083
.LBB151_1079:
	s_mov_b64 s[0:1], -1
                                        ; implicit-def: $vgpr3
.LBB151_1080:
	s_andn2_b64 vcc, exec, s[0:1]
	s_cbranch_vccnz .LBB151_1082
; %bb.1081:
	global_load_dword v3, v[1:2], off
	s_waitcnt vmcnt(0)
	v_cvt_f16_f32_e32 v3, v3
.LBB151_1082:
	s_mov_b64 s[0:1], 0
.LBB151_1083:
	s_andn2_b64 vcc, exec, s[0:1]
	s_cbranch_vccnz .LBB151_1085
; %bb.1084:
	global_load_ushort v3, v[1:2], off
.LBB151_1085:
	v_mov_b32_e32 v4, 0
.LBB151_1086:
	s_mov_b64 s[0:1], 0
.LBB151_1087:
	s_andn2_b64 vcc, exec, s[0:1]
	s_cbranch_vccnz .LBB151_1108
; %bb.1088:
	s_cmp_lt_i32 s14, 2
	s_cbranch_scc1 .LBB151_1092
; %bb.1089:
	s_cmp_lt_i32 s14, 3
	s_cbranch_scc1 .LBB151_1093
; %bb.1090:
	s_cmp_gt_i32 s14, 3
	s_cbranch_scc0 .LBB151_1094
; %bb.1091:
	global_load_dwordx2 v[3:4], v[1:2], off
	s_mov_b64 s[0:1], 0
	s_waitcnt vmcnt(0)
	v_xor_b32_e32 v9, v3, v4
	v_ffbh_i32_e32 v7, v4
	v_ashrrev_i32_e32 v9, 31, v9
	v_add_u32_e32 v7, -1, v7
	v_add_u32_e32 v9, 32, v9
	v_min_u32_e32 v7, v7, v9
	v_lshlrev_b64 v[3:4], v7, v[3:4]
	v_min_u32_e32 v3, 1, v3
	v_or_b32_e32 v3, v4, v3
	v_cvt_f32_i32_e32 v3, v3
	v_sub_u32_e32 v4, 32, v7
	v_ldexp_f32 v3, v3, v4
	v_cvt_f16_f32_e32 v3, v3
	s_branch .LBB151_1095
.LBB151_1092:
	s_mov_b64 s[0:1], -1
                                        ; implicit-def: $vgpr3
	s_branch .LBB151_1101
.LBB151_1093:
	s_mov_b64 s[0:1], -1
                                        ; implicit-def: $vgpr3
	s_branch .LBB151_1098
.LBB151_1094:
	s_mov_b64 s[0:1], -1
                                        ; implicit-def: $vgpr3
.LBB151_1095:
	s_andn2_b64 vcc, exec, s[0:1]
	s_cbranch_vccnz .LBB151_1097
; %bb.1096:
	global_load_dword v3, v[1:2], off
	s_waitcnt vmcnt(0)
	v_cvt_f32_i32_e32 v3, v3
	v_cvt_f16_f32_e32 v3, v3
.LBB151_1097:
	s_mov_b64 s[0:1], 0
.LBB151_1098:
	s_andn2_b64 vcc, exec, s[0:1]
	s_cbranch_vccnz .LBB151_1100
; %bb.1099:
	global_load_ushort v3, v[1:2], off
	s_waitcnt vmcnt(0)
	v_cvt_f16_i16_e32 v3, v3
.LBB151_1100:
	s_mov_b64 s[0:1], 0
.LBB151_1101:
	s_andn2_b64 vcc, exec, s[0:1]
	s_cbranch_vccnz .LBB151_1107
; %bb.1102:
	s_cmp_gt_i32 s14, 0
	s_cbranch_scc0 .LBB151_1104
; %bb.1103:
	global_load_sbyte v3, v[1:2], off
	s_mov_b64 s[0:1], 0
	s_waitcnt vmcnt(0)
	v_cvt_f16_i16_e32 v3, v3
	s_branch .LBB151_1105
.LBB151_1104:
	s_mov_b64 s[0:1], -1
                                        ; implicit-def: $vgpr3
.LBB151_1105:
	s_andn2_b64 vcc, exec, s[0:1]
	s_cbranch_vccnz .LBB151_1107
; %bb.1106:
	global_load_ubyte v1, v[1:2], off
	s_waitcnt vmcnt(0)
	v_cvt_f16_u16_e32 v3, v1
.LBB151_1107:
	v_mov_b32_e32 v4, 0
.LBB151_1108:
	s_mov_b64 s[0:1], -1
.LBB151_1109:
	s_andn2_b64 vcc, exec, s[0:1]
	s_cbranch_vccnz .LBB151_1112
; %bb.1110:
	s_andn2_b64 vcc, exec, s[28:29]
	s_cbranch_vccnz .LBB151_1113
; %bb.1111:
	s_waitcnt vmcnt(0)
	v_cmp_neq_f16_e32 vcc, v5, v3
	v_cmp_neq_f16_e64 s[0:1], v6, v4
	s_or_b64 s[62:63], vcc, s[0:1]
	s_mov_b64 s[0:1], 0
	s_branch .LBB151_1114
.LBB151_1112:
	s_mov_b64 s[64:65], 0
                                        ; implicit-def: $vgpr8
	s_mov_b64 s[0:1], s[52:53]
	s_branch .LBB151_1238
.LBB151_1113:
	s_mov_b64 s[0:1], -1
                                        ; implicit-def: $sgpr62_sgpr63
.LBB151_1114:
	s_andn2_b64 vcc, exec, s[0:1]
	s_cbranch_vccnz .LBB151_1116
; %bb.1115:
	s_waitcnt vmcnt(0)
	v_cmp_eq_f16_e32 vcc, v5, v3
	v_cmp_eq_f16_e64 s[0:1], v6, v4
	s_and_b64 s[0:1], vcc, s[0:1]
	s_andn2_b64 s[62:63], s[62:63], exec
	s_and_b64 s[0:1], s[0:1], exec
	s_or_b64 s[62:63], s[62:63], s[0:1]
.LBB151_1116:
	v_mov_b32_e32 v1, s9
	s_and_b32 s14, s15, 0xff
	v_add_co_u32_e32 v0, vcc, s8, v0
	s_cmp_lt_i32 s14, 11
	v_addc_co_u32_e32 v1, vcc, 0, v1, vcc
	s_cbranch_scc1 .LBB151_1123
; %bb.1117:
	s_and_b32 s71, 0xffff, s14
	s_cmp_gt_i32 s71, 25
	s_cbranch_scc0 .LBB151_1124
; %bb.1118:
	s_cmp_gt_i32 s71, 28
	s_cbranch_scc0 .LBB151_1125
; %bb.1119:
	;; [unrolled: 3-line block ×4, first 2 shown]
	s_mov_b64 s[66:67], 0
	s_mov_b64 s[0:1], -1
	s_cmp_eq_u32 s71, 46
	s_mov_b64 s[64:65], 0
	s_cbranch_scc0 .LBB151_1128
; %bb.1122:
	v_cndmask_b32_e64 v2, 0, 1.0, s[62:63]
	s_waitcnt vmcnt(0)
	v_bfe_u32 v3, v2, 16, 1
	s_movk_i32 s0, 0x7fff
	v_add3_u32 v2, v2, v3, s0
	v_lshrrev_b32_e32 v2, 16, v2
	global_store_dword v[0:1], v2, off
	s_mov_b64 s[64:65], -1
	s_mov_b64 s[0:1], 0
	s_branch .LBB151_1128
.LBB151_1123:
	s_mov_b64 s[66:67], -1
	s_mov_b64 s[64:65], 0
	s_mov_b64 s[0:1], s[52:53]
	s_branch .LBB151_1197
.LBB151_1124:
	s_mov_b64 s[66:67], -1
	s_mov_b64 s[64:65], 0
	s_mov_b64 s[0:1], s[52:53]
	s_branch .LBB151_1155
.LBB151_1125:
	s_mov_b64 s[66:67], -1
	s_mov_b64 s[64:65], 0
	s_mov_b64 s[0:1], s[52:53]
	s_branch .LBB151_1138
.LBB151_1126:
	s_mov_b64 s[66:67], -1
	s_mov_b64 s[64:65], 0
	s_mov_b64 s[0:1], s[52:53]
	s_branch .LBB151_1134
.LBB151_1127:
	s_mov_b64 s[66:67], -1
	s_mov_b64 s[64:65], 0
	s_mov_b64 s[0:1], s[52:53]
.LBB151_1128:
	s_and_b64 vcc, exec, s[66:67]
	s_cbranch_vccz .LBB151_1133
; %bb.1129:
	s_cmp_eq_u32 s71, 44
	s_mov_b64 s[0:1], -1
	s_cbranch_scc0 .LBB151_1133
; %bb.1130:
	s_waitcnt vmcnt(0)
	v_cndmask_b32_e64 v3, 0, 1.0, s[62:63]
	v_lshrrev_b32_e32 v2, 23, v3
	s_movk_i32 s0, 0xff
	v_cmp_ne_u32_e32 vcc, s0, v2
	v_mov_b32_e32 v4, 0xff
	s_and_saveexec_b64 s[64:65], vcc
; %bb.1131:
	s_mov_b32 s0, 0x3fffff
	v_and_b32_e32 v4, 0x400000, v3
	v_and_or_b32 v3, v3, s0, v2
	v_cmp_ne_u32_e32 vcc, 0, v4
	v_cmp_ne_u32_e64 s[0:1], 0, v3
	s_and_b64 s[0:1], vcc, s[0:1]
	v_cndmask_b32_e64 v3, 0, 1, s[0:1]
	v_add_u32_e32 v4, v2, v3
; %bb.1132:
	s_or_b64 exec, exec, s[64:65]
	s_mov_b64 s[64:65], -1
	s_mov_b64 s[0:1], 0
	global_store_byte v[0:1], v4, off
.LBB151_1133:
	s_mov_b64 s[66:67], 0
.LBB151_1134:
	s_and_b64 vcc, exec, s[66:67]
	s_cbranch_vccz .LBB151_1137
; %bb.1135:
	s_cmp_eq_u32 s71, 29
	s_mov_b64 s[0:1], -1
	s_cbranch_scc0 .LBB151_1137
; %bb.1136:
	s_mov_b32 s0, 0
	v_cndmask_b32_e64 v2, 0, 1, s[62:63]
	s_waitcnt vmcnt(0)
	v_mov_b32_e32 v3, s0
	global_store_dwordx2 v[0:1], v[2:3], off
	s_mov_b64 s[64:65], -1
	s_mov_b64 s[0:1], 0
.LBB151_1137:
	s_mov_b64 s[66:67], 0
.LBB151_1138:
	s_and_b64 vcc, exec, s[66:67]
	s_cbranch_vccz .LBB151_1154
; %bb.1139:
	s_cmp_lt_i32 s71, 27
	s_mov_b64 s[64:65], -1
	s_cbranch_scc1 .LBB151_1145
; %bb.1140:
	s_cmp_gt_i32 s71, 27
	s_cbranch_scc0 .LBB151_1142
; %bb.1141:
	v_cndmask_b32_e64 v2, 0, 1, s[62:63]
	s_mov_b64 s[64:65], 0
	global_store_dword v[0:1], v2, off
.LBB151_1142:
	s_andn2_b64 vcc, exec, s[64:65]
	s_cbranch_vccnz .LBB151_1144
; %bb.1143:
	v_cndmask_b32_e64 v2, 0, 1, s[62:63]
	global_store_short v[0:1], v2, off
.LBB151_1144:
	s_mov_b64 s[64:65], 0
.LBB151_1145:
	s_andn2_b64 vcc, exec, s[64:65]
	s_cbranch_vccnz .LBB151_1153
; %bb.1146:
	s_waitcnt vmcnt(0)
	v_cndmask_b32_e64 v3, 0, 1.0, s[62:63]
	s_mov_b32 s64, 0x43800000
	v_cmp_gt_u32_e32 vcc, s64, v3
	v_mov_b32_e32 v4, 0x80
	s_and_saveexec_b64 s[64:65], vcc
	s_cbranch_execz .LBB151_1152
; %bb.1147:
	s_mov_b32 s66, 0x3bffffff
	v_cmp_lt_u32_e32 vcc, s66, v3
	s_mov_b64 s[66:67], 0
                                        ; implicit-def: $vgpr2
	s_and_saveexec_b64 s[68:69], vcc
	s_xor_b64 s[68:69], exec, s[68:69]
	s_cbranch_execz .LBB151_1266
; %bb.1148:
	v_bfe_u32 v2, v3, 20, 1
	s_mov_b32 s76, 0x487ffff
	v_add3_u32 v2, v3, v2, s76
	s_mov_b64 s[66:67], exec
	v_lshrrev_b32_e32 v2, 20, v2
                                        ; implicit-def: $vgpr3
	s_andn2_saveexec_b64 s[68:69], s[68:69]
	s_cbranch_execnz .LBB151_1267
.LBB151_1149:
	s_or_b64 exec, exec, s[68:69]
	v_mov_b32_e32 v4, 0
	s_and_saveexec_b64 s[68:69], s[66:67]
.LBB151_1150:
	v_mov_b32_e32 v4, v2
.LBB151_1151:
	s_or_b64 exec, exec, s[68:69]
.LBB151_1152:
	s_or_b64 exec, exec, s[64:65]
	global_store_byte v[0:1], v4, off
.LBB151_1153:
	s_mov_b64 s[64:65], -1
.LBB151_1154:
	s_mov_b64 s[66:67], 0
.LBB151_1155:
	s_and_b64 vcc, exec, s[66:67]
	s_cbranch_vccz .LBB151_1196
; %bb.1156:
	s_cmp_gt_i32 s71, 22
	s_mov_b64 s[66:67], -1
	s_cbranch_scc0 .LBB151_1188
; %bb.1157:
	s_cmp_lt_i32 s71, 24
	s_mov_b64 s[64:65], -1
	s_cbranch_scc1 .LBB151_1177
; %bb.1158:
	s_cmp_gt_i32 s71, 24
	s_cbranch_scc0 .LBB151_1166
; %bb.1159:
	s_waitcnt vmcnt(0)
	v_cndmask_b32_e64 v3, 0, 1.0, s[62:63]
	s_mov_b32 s64, 0x47800000
	v_cmp_gt_u32_e32 vcc, s64, v3
	v_mov_b32_e32 v4, 0x80
	s_and_saveexec_b64 s[64:65], vcc
	s_cbranch_execz .LBB151_1165
; %bb.1160:
	s_mov_b32 s66, 0x37ffffff
	v_cmp_lt_u32_e32 vcc, s66, v3
	s_mov_b64 s[66:67], 0
                                        ; implicit-def: $vgpr2
	s_and_saveexec_b64 s[68:69], vcc
	s_xor_b64 s[68:69], exec, s[68:69]
	s_cbranch_execz .LBB151_2379
; %bb.1161:
	v_bfe_u32 v2, v3, 21, 1
	s_mov_b32 s76, 0x88fffff
	v_add3_u32 v2, v3, v2, s76
	s_mov_b64 s[66:67], exec
	v_lshrrev_b32_e32 v2, 21, v2
                                        ; implicit-def: $vgpr3
	s_andn2_saveexec_b64 s[68:69], s[68:69]
	s_cbranch_execnz .LBB151_2380
.LBB151_1162:
	s_or_b64 exec, exec, s[68:69]
	v_mov_b32_e32 v4, 0
	s_and_saveexec_b64 s[68:69], s[66:67]
.LBB151_1163:
	v_mov_b32_e32 v4, v2
.LBB151_1164:
	s_or_b64 exec, exec, s[68:69]
.LBB151_1165:
	s_or_b64 exec, exec, s[64:65]
	s_mov_b64 s[64:65], 0
	global_store_byte v[0:1], v4, off
.LBB151_1166:
	s_and_b64 vcc, exec, s[64:65]
	s_cbranch_vccz .LBB151_1176
; %bb.1167:
	v_cndmask_b32_e64 v2, 0, 1.0, s[62:63]
	s_mov_b32 s64, 0x43f00000
	v_cmp_gt_u32_e32 vcc, s64, v2
                                        ; implicit-def: $vgpr3
	s_and_saveexec_b64 s[64:65], vcc
	s_xor_b64 s[64:65], exec, s[64:65]
	s_cbranch_execz .LBB151_1173
; %bb.1168:
	s_mov_b32 s66, 0x3c7fffff
	v_cmp_lt_u32_e32 vcc, s66, v2
                                        ; implicit-def: $vgpr3
	s_and_saveexec_b64 s[66:67], vcc
	s_xor_b64 s[66:67], exec, s[66:67]
	s_cbranch_execz .LBB151_1170
; %bb.1169:
	s_waitcnt vmcnt(0)
	v_bfe_u32 v3, v2, 20, 1
	s_mov_b32 s68, 0x407ffff
	v_add3_u32 v2, v2, v3, s68
	v_lshrrev_b32_e32 v3, 20, v2
	v_and_b32_e32 v2, 0xff00000, v2
	s_mov_b32 s68, 0x7f00000
	v_mov_b32_e32 v4, 0x7e
	v_cmp_ne_u32_e32 vcc, s68, v2
	v_cndmask_b32_e32 v3, v4, v3, vcc
                                        ; implicit-def: $vgpr2
.LBB151_1170:
	s_andn2_saveexec_b64 s[66:67], s[66:67]
	s_cbranch_execz .LBB151_1172
; %bb.1171:
	s_waitcnt vmcnt(0)
	v_add_f32_e32 v3, 0x46800000, v2
.LBB151_1172:
	s_or_b64 exec, exec, s[66:67]
                                        ; implicit-def: $vgpr2
.LBB151_1173:
	s_andn2_saveexec_b64 s[64:65], s[64:65]
	s_cbranch_execz .LBB151_1175
; %bb.1174:
	s_mov_b32 s66, 0x7f800000
	s_waitcnt vmcnt(0)
	v_mov_b32_e32 v3, 0x7e
	v_mov_b32_e32 v4, 0x7f
	v_cmp_lt_u32_e32 vcc, s66, v2
	v_cndmask_b32_e32 v3, v3, v4, vcc
.LBB151_1175:
	s_or_b64 exec, exec, s[64:65]
	s_waitcnt vmcnt(0)
	global_store_byte v[0:1], v3, off
.LBB151_1176:
	s_mov_b64 s[64:65], 0
.LBB151_1177:
	s_andn2_b64 vcc, exec, s[64:65]
	s_cbranch_vccnz .LBB151_1187
; %bb.1178:
	v_cndmask_b32_e64 v2, 0, 1.0, s[62:63]
	s_mov_b32 s64, 0x47800000
	v_cmp_gt_u32_e32 vcc, s64, v2
                                        ; implicit-def: $vgpr3
	s_and_saveexec_b64 s[64:65], vcc
	s_xor_b64 s[64:65], exec, s[64:65]
	s_cbranch_execz .LBB151_1184
; %bb.1179:
	s_mov_b32 s66, 0x387fffff
	v_cmp_lt_u32_e32 vcc, s66, v2
                                        ; implicit-def: $vgpr3
	s_and_saveexec_b64 s[66:67], vcc
	s_xor_b64 s[66:67], exec, s[66:67]
	s_cbranch_execz .LBB151_1181
; %bb.1180:
	s_waitcnt vmcnt(0)
	v_bfe_u32 v3, v2, 21, 1
	s_mov_b32 s68, 0x80fffff
	v_add3_u32 v2, v2, v3, s68
	v_lshrrev_b32_e32 v3, 21, v2
                                        ; implicit-def: $vgpr2
.LBB151_1181:
	s_andn2_saveexec_b64 s[66:67], s[66:67]
	s_cbranch_execz .LBB151_1183
; %bb.1182:
	s_waitcnt vmcnt(0)
	v_add_f32_e32 v3, 0x43000000, v2
.LBB151_1183:
	s_or_b64 exec, exec, s[66:67]
                                        ; implicit-def: $vgpr2
.LBB151_1184:
	s_andn2_saveexec_b64 s[64:65], s[64:65]
	s_cbranch_execz .LBB151_1186
; %bb.1185:
	s_mov_b32 s66, 0x7f800000
	s_waitcnt vmcnt(0)
	v_mov_b32_e32 v3, 0x7c
	v_mov_b32_e32 v4, 0x7f
	v_cmp_lt_u32_e32 vcc, s66, v2
	v_cndmask_b32_e32 v3, v3, v4, vcc
.LBB151_1186:
	s_or_b64 exec, exec, s[64:65]
	s_waitcnt vmcnt(0)
	global_store_byte v[0:1], v3, off
.LBB151_1187:
	s_mov_b64 s[66:67], 0
	s_mov_b64 s[64:65], -1
.LBB151_1188:
	s_andn2_b64 vcc, exec, s[66:67]
	s_cbranch_vccnz .LBB151_1196
; %bb.1189:
	s_cmp_gt_i32 s71, 14
	s_mov_b64 s[66:67], -1
	s_cbranch_scc0 .LBB151_1193
; %bb.1190:
	s_cmp_eq_u32 s71, 15
	s_mov_b64 s[0:1], -1
	s_cbranch_scc0 .LBB151_1192
; %bb.1191:
	v_cndmask_b32_e64 v2, 0, 1.0, s[62:63]
	s_waitcnt vmcnt(0)
	v_bfe_u32 v3, v2, 16, 1
	s_movk_i32 s0, 0x7fff
	v_add3_u32 v2, v2, v3, s0
	global_store_short_d16_hi v[0:1], v2, off
	s_mov_b64 s[64:65], -1
	s_mov_b64 s[0:1], 0
.LBB151_1192:
	s_mov_b64 s[66:67], 0
.LBB151_1193:
	s_and_b64 vcc, exec, s[66:67]
	s_cbranch_vccz .LBB151_1196
; %bb.1194:
	s_cmp_eq_u32 s71, 11
	s_mov_b64 s[0:1], -1
	s_cbranch_scc0 .LBB151_1196
; %bb.1195:
	v_cndmask_b32_e64 v2, 0, 1, s[62:63]
	s_mov_b64 s[64:65], -1
	s_mov_b64 s[0:1], 0
	global_store_byte v[0:1], v2, off
.LBB151_1196:
	s_mov_b64 s[66:67], 0
.LBB151_1197:
	s_and_b64 vcc, exec, s[66:67]
	s_cbranch_vccz .LBB151_1236
; %bb.1198:
	s_and_b32 s14, 0xffff, s14
	s_cmp_lt_i32 s14, 5
	s_mov_b64 s[64:65], -1
	s_cbranch_scc1 .LBB151_1219
; %bb.1199:
	s_cmp_lt_i32 s14, 8
	s_cbranch_scc1 .LBB151_1209
; %bb.1200:
	s_cmp_lt_i32 s14, 9
	s_cbranch_scc1 .LBB151_1206
; %bb.1201:
	s_cmp_gt_i32 s14, 9
	s_cbranch_scc0 .LBB151_1203
; %bb.1202:
	v_cndmask_b32_e64 v2, 0, 1, s[62:63]
	s_waitcnt vmcnt(0)
	v_cvt_f64_u32_e32 v[2:3], v2
	v_mov_b32_e32 v4, 0
	v_mov_b32_e32 v5, v4
	s_mov_b64 s[64:65], 0
	global_store_dwordx4 v[0:1], v[2:5], off
.LBB151_1203:
	s_andn2_b64 vcc, exec, s[64:65]
	s_cbranch_vccnz .LBB151_1205
; %bb.1204:
	v_cndmask_b32_e64 v2, 0, 1.0, s[62:63]
	s_waitcnt vmcnt(0)
	v_mov_b32_e32 v3, 0
	global_store_dwordx2 v[0:1], v[2:3], off
.LBB151_1205:
	s_mov_b64 s[64:65], 0
.LBB151_1206:
	s_andn2_b64 vcc, exec, s[64:65]
	s_cbranch_vccnz .LBB151_1208
; %bb.1207:
	v_cndmask_b32_e64 v2, 0, 1.0, s[62:63]
	v_cvt_f16_f32_e32 v2, v2
	global_store_dword v[0:1], v2, off
.LBB151_1208:
	s_mov_b64 s[64:65], 0
.LBB151_1209:
	s_andn2_b64 vcc, exec, s[64:65]
	s_cbranch_vccnz .LBB151_1218
; %bb.1210:
	s_cmp_lt_i32 s14, 6
	s_mov_b64 s[64:65], -1
	s_cbranch_scc1 .LBB151_1216
; %bb.1211:
	s_cmp_gt_i32 s14, 6
	s_cbranch_scc0 .LBB151_1213
; %bb.1212:
	v_cndmask_b32_e64 v2, 0, 1, s[62:63]
	s_waitcnt vmcnt(0)
	v_cvt_f64_u32_e32 v[2:3], v2
	s_mov_b64 s[64:65], 0
	global_store_dwordx2 v[0:1], v[2:3], off
.LBB151_1213:
	s_andn2_b64 vcc, exec, s[64:65]
	s_cbranch_vccnz .LBB151_1215
; %bb.1214:
	v_cndmask_b32_e64 v2, 0, 1.0, s[62:63]
	global_store_dword v[0:1], v2, off
.LBB151_1215:
	s_mov_b64 s[64:65], 0
.LBB151_1216:
	s_andn2_b64 vcc, exec, s[64:65]
	s_cbranch_vccnz .LBB151_1218
; %bb.1217:
	v_cndmask_b32_e64 v2, 0, 1.0, s[62:63]
	v_cvt_f16_f32_e32 v2, v2
	global_store_short v[0:1], v2, off
.LBB151_1218:
	s_mov_b64 s[64:65], 0
.LBB151_1219:
	s_andn2_b64 vcc, exec, s[64:65]
	s_cbranch_vccnz .LBB151_1235
; %bb.1220:
	s_cmp_lt_i32 s14, 2
	s_mov_b64 s[64:65], -1
	s_cbranch_scc1 .LBB151_1230
; %bb.1221:
	s_cmp_lt_i32 s14, 3
	s_cbranch_scc1 .LBB151_1227
; %bb.1222:
	s_cmp_gt_i32 s14, 3
	s_cbranch_scc0 .LBB151_1224
; %bb.1223:
	s_mov_b32 s64, 0
	v_cndmask_b32_e64 v2, 0, 1, s[62:63]
	s_waitcnt vmcnt(0)
	v_mov_b32_e32 v3, s64
	s_mov_b64 s[64:65], 0
	global_store_dwordx2 v[0:1], v[2:3], off
.LBB151_1224:
	s_andn2_b64 vcc, exec, s[64:65]
	s_cbranch_vccnz .LBB151_1226
; %bb.1225:
	v_cndmask_b32_e64 v2, 0, 1, s[62:63]
	global_store_dword v[0:1], v2, off
.LBB151_1226:
	s_mov_b64 s[64:65], 0
.LBB151_1227:
	s_andn2_b64 vcc, exec, s[64:65]
	s_cbranch_vccnz .LBB151_1229
; %bb.1228:
	v_cndmask_b32_e64 v2, 0, 1, s[62:63]
	global_store_short v[0:1], v2, off
.LBB151_1229:
	s_mov_b64 s[64:65], 0
.LBB151_1230:
	s_andn2_b64 vcc, exec, s[64:65]
	s_cbranch_vccnz .LBB151_1235
; %bb.1231:
	s_mov_b64 s[64:65], -1
	s_cmp_gt_i32 s14, 0
	v_cndmask_b32_e64 v2, 0, 1, s[62:63]
	s_cbranch_scc0 .LBB151_1233
; %bb.1232:
	s_mov_b64 s[64:65], 0
	global_store_byte v[0:1], v2, off
.LBB151_1233:
	s_andn2_b64 vcc, exec, s[64:65]
	s_cbranch_vccnz .LBB151_1235
; %bb.1234:
	global_store_byte v[0:1], v2, off
.LBB151_1235:
	s_mov_b64 s[64:65], -1
.LBB151_1236:
	s_andn2_b64 vcc, exec, s[64:65]
	s_cbranch_vccnz .LBB151_1248
; %bb.1237:
	v_add_u32_e32 v8, 0x80, v8
	s_mov_b64 s[64:65], -1
.LBB151_1238:
	s_andn2_b64 s[62:63], s[52:53], exec
	s_and_b64 s[0:1], s[0:1], exec
	s_or_b64 s[62:63], s[62:63], s[0:1]
	s_andn2_b64 s[0:1], s[50:51], exec
	s_and_b64 s[60:61], s[60:61], exec
	s_or_b64 s[60:61], s[0:1], s[60:61]
	;; [unrolled: 3-line block ×3, first 2 shown]
	s_orn2_b64 s[68:69], s[64:65], exec
.LBB151_1239:
	s_or_b64 exec, exec, s[56:57]
	s_mov_b64 s[64:65], 0
	s_mov_b64 s[58:59], 0
	;; [unrolled: 1-line block ×3, first 2 shown]
                                        ; implicit-def: $sgpr14
                                        ; implicit-def: $vgpr3_vgpr4
                                        ; implicit-def: $vgpr0
                                        ; implicit-def: $vgpr2
                                        ; implicit-def: $vgpr6
                                        ; implicit-def: $vgpr5
	s_and_saveexec_b64 s[56:57], s[68:69]
	s_cbranch_execz .LBB151_1337
; %bb.1240:
	v_cmp_gt_i32_e32 vcc, s70, v8
	s_mov_b64 s[68:69], s[0:1]
	s_mov_b64 s[70:71], 0
                                        ; implicit-def: $sgpr14
                                        ; implicit-def: $vgpr3_vgpr4
                                        ; implicit-def: $vgpr0
                                        ; implicit-def: $vgpr2
                                        ; implicit-def: $vgpr6
                                        ; implicit-def: $vgpr5
	s_and_saveexec_b64 s[58:59], vcc
	s_cbranch_execz .LBB151_1336
; %bb.1241:
	s_andn2_b64 vcc, exec, s[24:25]
	s_cbranch_vccnz .LBB151_1247
; %bb.1242:
	s_andn2_b64 vcc, exec, s[38:39]
	s_cbranch_vccnz .LBB151_1249
; %bb.1243:
	s_add_i32 s14, s75, 1
	s_and_b32 s14, s14, 30
	s_add_u32 s38, s2, 0xffffffe8
	s_addc_u32 s39, s3, -1
	v_mov_b32_e32 v2, 0
	v_mov_b32_e32 v4, 0
	;; [unrolled: 1-line block ×4, first 2 shown]
.LBB151_1244:                           ; =>This Inner Loop Header: Depth=1
	s_load_dwordx4 s[64:67], s[38:39], 0x1c
	s_load_dwordx2 s[76:77], s[38:39], 0x2c
	s_load_dwordx2 s[78:79], s[38:39], 0xec
	s_load_dwordx4 s[68:71], s[38:39], 0xdc
	s_add_u32 s38, s38, 24
	s_waitcnt vmcnt(0) lgkmcnt(0)
	v_mul_hi_u32 v3, s65, v1
	s_addc_u32 s39, s39, 0
	s_add_i32 s14, s14, -2
	s_cmp_eq_u32 s14, 0
	v_add_u32_e32 v3, v1, v3
	v_lshrrev_b32_e32 v3, s66, v3
	v_mul_lo_u32 v5, v3, s64
	v_mul_hi_u32 v6, s76, v3
	v_sub_u32_e32 v5, v1, v5
	v_add_u32_e32 v1, v3, v6
	v_lshrrev_b32_e32 v1, s77, v1
	v_mul_lo_u32 v9, v1, s67
	v_mul_lo_u32 v6, v5, s68
	;; [unrolled: 1-line block ×4, first 2 shown]
	v_sub_u32_e32 v3, v3, v9
	v_mul_lo_u32 v9, v3, s71
	v_mul_lo_u32 v10, v3, s78
	;; [unrolled: 1-line block ×3, first 2 shown]
	v_add3_u32 v0, v6, v0, v9
	v_add3_u32 v4, v7, v4, v10
	;; [unrolled: 1-line block ×3, first 2 shown]
	s_cbranch_scc0 .LBB151_1244
; %bb.1245:
	s_bitcmp1_b32 s75, 0
	s_cselect_b64 s[64:65], -1, 0
	s_and_b64 vcc, exec, s[64:65]
	s_cbranch_vccnz .LBB151_1250
; %bb.1246:
	s_load_dwordx2 s[64:65], s[38:39], 0x1c
	s_load_dword s14, s[38:39], 0x24
	s_load_dwordx2 s[66:67], s[38:39], 0xdc
	s_waitcnt lgkmcnt(0)
	v_mul_hi_u32 v3, s65, v1
	v_add_u32_e32 v3, v1, v3
	v_lshrrev_b32_e32 v3, s14, v3
	v_mul_lo_u32 v3, v3, s64
	s_load_dword s14, s[38:39], 0xe4
	v_sub_u32_e32 v3, v1, v3
	v_mad_u64_u32 v[0:1], s[38:39], v3, s66, v[0:1]
	v_mad_u64_u32 v[4:5], s[38:39], v3, s67, v[4:5]
	s_waitcnt lgkmcnt(0)
	v_mad_u64_u32 v[2:3], s[38:39], v3, s14, v[2:3]
	s_branch .LBB151_1250
.LBB151_1247:
	s_mov_b64 s[38:39], -1
                                        ; implicit-def: $vgpr0
                                        ; implicit-def: $vgpr4
                                        ; implicit-def: $vgpr2
	s_branch .LBB151_1251
.LBB151_1248:
	s_mov_b64 s[64:65], 0
	s_branch .LBB151_981
.LBB151_1249:
	v_mov_b32_e32 v0, 0
	v_mov_b32_e32 v4, 0
	;; [unrolled: 1-line block ×3, first 2 shown]
.LBB151_1250:
	s_mov_b64 s[38:39], 0
.LBB151_1251:
	s_andn2_b64 vcc, exec, s[38:39]
	s_cbranch_vccnz .LBB151_1254
; %bb.1252:
	v_mul_hi_u32 v0, s17, v8
	s_andn2_b64 vcc, exec, s[36:37]
	v_add_u32_e32 v0, v8, v0
	v_lshrrev_b32_e32 v1, s18, v0
	v_mul_lo_u32 v0, v1, s16
	v_sub_u32_e32 v2, v8, v0
	v_mul_lo_u32 v0, v2, s20
	v_mul_lo_u32 v4, v2, s21
	v_mul_lo_u32 v2, v2, s22
	s_cbranch_vccnz .LBB151_1254
; %bb.1253:
	s_waitcnt vmcnt(0)
	v_mul_hi_u32 v3, s34, v1
	v_add_u32_e32 v3, v1, v3
	v_lshrrev_b32_e32 v3, s35, v3
	v_mul_lo_u32 v3, v3, s19
	v_sub_u32_e32 v3, v1, v3
	v_mad_u64_u32 v[0:1], s[16:17], v3, s23, v[0:1]
	v_mad_u64_u32 v[4:5], s[16:17], v3, s30, v[4:5]
	;; [unrolled: 1-line block ×3, first 2 shown]
.LBB151_1254:
	v_mov_b32_e32 v1, s11
	s_and_b32 s14, s74, 0xff
	s_waitcnt vmcnt(0)
	v_add_co_u32_e32 v3, vcc, s10, v4
	s_cmp_lt_i32 s14, 11
	v_addc_co_u32_e32 v4, vcc, 0, v1, vcc
	s_cbranch_scc1 .LBB151_1261
; %bb.1255:
	s_and_b32 s30, 0xffff, s14
	s_cmp_gt_i32 s30, 25
	s_mov_b64 s[16:17], 0
	s_cbranch_scc0 .LBB151_1262
; %bb.1256:
	s_cmp_gt_i32 s30, 28
	s_cbranch_scc0 .LBB151_1263
; %bb.1257:
	s_cmp_gt_i32 s30, 43
	;; [unrolled: 3-line block ×3, first 2 shown]
	s_cbranch_scc0 .LBB151_1265
; %bb.1259:
	s_cmp_eq_u32 s30, 46
	s_mov_b64 s[20:21], 0
	s_cbranch_scc0 .LBB151_1268
; %bb.1260:
	global_load_dword v1, v[3:4], off
	s_mov_b64 s[10:11], 0
	s_mov_b64 s[18:19], -1
	s_waitcnt vmcnt(0)
	v_and_b32_e32 v6, 0xffff0000, v1
	v_lshlrev_b32_e32 v1, 16, v1
	v_cvt_f16_f32_e32 v5, v1
	v_cvt_f16_f32_e32 v6, v6
	s_branch .LBB151_1269
.LBB151_1261:
	s_mov_b64 s[20:21], -1
	s_mov_b64 s[18:19], 0
	s_mov_b64 s[16:17], 0
	;; [unrolled: 1-line block ×3, first 2 shown]
                                        ; implicit-def: $vgpr6
                                        ; implicit-def: $vgpr5
	s_branch .LBB151_1335
.LBB151_1262:
	s_mov_b64 s[20:21], -1
	s_mov_b64 s[18:19], 0
	s_mov_b64 s[10:11], s[0:1]
                                        ; implicit-def: $vgpr6
                                        ; implicit-def: $vgpr5
	s_branch .LBB151_1300
.LBB151_1263:
	s_mov_b64 s[20:21], -1
	s_mov_b64 s[18:19], 0
	s_mov_b64 s[10:11], s[0:1]
                                        ; implicit-def: $vgpr6
                                        ; implicit-def: $vgpr5
	s_branch .LBB151_1281
.LBB151_1264:
	s_mov_b64 s[20:21], -1
	s_mov_b64 s[18:19], 0
	s_mov_b64 s[10:11], s[0:1]
                                        ; implicit-def: $vgpr6
                                        ; implicit-def: $vgpr5
	s_branch .LBB151_1275
.LBB151_1265:
	s_mov_b64 s[20:21], -1
	s_mov_b64 s[18:19], 0
	s_mov_b64 s[10:11], s[0:1]
                                        ; implicit-def: $vgpr6
                                        ; implicit-def: $vgpr5
	s_branch .LBB151_1269
.LBB151_1266:
	s_andn2_saveexec_b64 s[68:69], s[68:69]
	s_cbranch_execz .LBB151_1149
.LBB151_1267:
	v_add_f32_e32 v2, 0x46000000, v3
	v_and_b32_e32 v2, 0xff, v2
	v_cmp_ne_u32_e32 vcc, 0, v2
	s_andn2_b64 s[66:67], s[66:67], exec
	s_and_b64 s[76:77], vcc, exec
	s_or_b64 s[66:67], s[66:67], s[76:77]
	s_or_b64 exec, exec, s[68:69]
	v_mov_b32_e32 v4, 0
	s_and_saveexec_b64 s[68:69], s[66:67]
	s_cbranch_execnz .LBB151_1150
	s_branch .LBB151_1151
.LBB151_1268:
	s_mov_b64 s[10:11], -1
                                        ; implicit-def: $vgpr6
                                        ; implicit-def: $vgpr5
	s_mov_b64 s[18:19], 0
.LBB151_1269:
	s_and_b64 vcc, exec, s[20:21]
	s_cbranch_vccz .LBB151_1274
; %bb.1270:
	s_cmp_eq_u32 s30, 44
	s_cbranch_scc0 .LBB151_1272
; %bb.1271:
	global_load_ubyte v1, v[3:4], off
	s_movk_i32 s18, 0xff
	v_mov_b32_e32 v6, 0x7e00
	s_mov_b64 s[10:11], 0
	s_waitcnt vmcnt(0)
	v_lshlrev_b32_e32 v5, 23, v1
	v_cvt_f16_f32_e32 v5, v5
	v_cmp_ne_u32_e32 vcc, s18, v1
	s_mov_b64 s[18:19], -1
	v_cndmask_b32_e32 v5, v6, v5, vcc
	v_cmp_ne_u32_e32 vcc, 0, v1
	v_cndmask_b32_e32 v5, 0, v5, vcc
	s_branch .LBB151_1273
.LBB151_1272:
	s_mov_b64 s[10:11], -1
                                        ; implicit-def: $vgpr5
.LBB151_1273:
	v_mov_b32_e32 v6, 0
.LBB151_1274:
	s_mov_b64 s[20:21], 0
.LBB151_1275:
	s_and_b64 vcc, exec, s[20:21]
	s_cbranch_vccz .LBB151_1280
; %bb.1276:
	s_cmp_eq_u32 s30, 29
	s_cbranch_scc0 .LBB151_1278
; %bb.1277:
	global_load_dwordx2 v[5:6], v[3:4], off
	s_mov_b64 s[10:11], 0
	s_mov_b64 s[18:19], -1
	s_waitcnt vmcnt(0)
	v_ffbh_u32_e32 v1, v6
	v_min_u32_e32 v1, 32, v1
	v_lshlrev_b64 v[5:6], v1, v[5:6]
	v_sub_u32_e32 v1, 32, v1
	v_min_u32_e32 v5, 1, v5
	v_or_b32_e32 v5, v6, v5
	v_cvt_f32_u32_e32 v5, v5
	v_ldexp_f32 v1, v5, v1
	v_cvt_f16_f32_e32 v5, v1
	s_branch .LBB151_1279
.LBB151_1278:
	s_mov_b64 s[10:11], -1
                                        ; implicit-def: $vgpr5
.LBB151_1279:
	v_mov_b32_e32 v6, 0
.LBB151_1280:
	s_mov_b64 s[20:21], 0
.LBB151_1281:
	s_and_b64 vcc, exec, s[20:21]
	s_cbranch_vccz .LBB151_1299
; %bb.1282:
	s_cmp_lt_i32 s30, 27
	s_cbranch_scc1 .LBB151_1285
; %bb.1283:
	s_cmp_gt_i32 s30, 27
	s_cbranch_scc0 .LBB151_1286
; %bb.1284:
	global_load_dword v1, v[3:4], off
	s_mov_b64 s[18:19], 0
	s_waitcnt vmcnt(0)
	v_cvt_f32_u32_e32 v1, v1
	v_cvt_f16_f32_e32 v5, v1
	s_branch .LBB151_1287
.LBB151_1285:
	s_mov_b64 s[18:19], -1
                                        ; implicit-def: $vgpr5
	s_branch .LBB151_1290
.LBB151_1286:
	s_mov_b64 s[18:19], -1
                                        ; implicit-def: $vgpr5
.LBB151_1287:
	s_andn2_b64 vcc, exec, s[18:19]
	s_cbranch_vccnz .LBB151_1289
; %bb.1288:
	global_load_ushort v1, v[3:4], off
	s_waitcnt vmcnt(0)
	v_cvt_f16_u16_e32 v5, v1
.LBB151_1289:
	s_mov_b64 s[18:19], 0
.LBB151_1290:
	s_andn2_b64 vcc, exec, s[18:19]
	s_cbranch_vccnz .LBB151_1298
; %bb.1291:
	global_load_ubyte v1, v[3:4], off
	s_movk_i32 s18, 0x7f
	s_waitcnt vmcnt(0)
	v_cmp_lt_i16_e32 vcc, s18, v1
	s_mov_b64 s[18:19], 0
	s_and_saveexec_b64 s[20:21], vcc
	s_xor_b64 s[20:21], exec, s[20:21]
	s_cbranch_execz .LBB151_1312
; %bb.1292:
	s_movk_i32 s18, 0x80
	v_cmp_eq_u16_e32 vcc, s18, v1
	s_mov_b64 s[18:19], -1
	s_and_saveexec_b64 s[22:23], vcc
; %bb.1293:
	s_xor_b64 s[18:19], exec, -1
; %bb.1294:
	s_or_b64 exec, exec, s[22:23]
	s_and_b64 s[18:19], s[18:19], exec
	s_or_saveexec_b64 s[20:21], s[20:21]
	v_mov_b32_e32 v5, 0x7e00
	s_xor_b64 exec, exec, s[20:21]
	s_cbranch_execnz .LBB151_1313
.LBB151_1295:
	s_or_b64 exec, exec, s[20:21]
	s_and_saveexec_b64 s[20:21], s[18:19]
	s_cbranch_execz .LBB151_1297
.LBB151_1296:
	v_lshlrev_b32_e32 v5, 24, v1
	v_and_b32_e32 v1, 0xffff, v1
	v_and_b32_e32 v6, 7, v1
	v_ffbh_u32_e32 v8, v6
	v_min_u32_e32 v8, 32, v8
	v_subrev_u32_e32 v9, 28, v8
	v_bfe_u32 v7, v1, 3, 4
	v_lshlrev_b32_e32 v1, v9, v1
	v_sub_u32_e32 v8, 29, v8
	v_and_b32_e32 v1, 7, v1
	v_cmp_eq_u32_e32 vcc, 0, v7
	v_cndmask_b32_e32 v7, v7, v8, vcc
	v_cndmask_b32_e32 v1, v6, v1, vcc
	v_mov_b32_e32 v6, 0x3b800000
	v_lshlrev_b32_e32 v1, 20, v1
	v_and_b32_e32 v5, 0x80000000, v5
	v_lshl_add_u32 v6, v7, 23, v6
	v_or3_b32 v1, v5, v6, v1
	v_cvt_f16_f32_e32 v5, v1
.LBB151_1297:
	s_or_b64 exec, exec, s[20:21]
.LBB151_1298:
	s_mov_b64 s[18:19], -1
	v_mov_b32_e32 v6, 0
.LBB151_1299:
	s_mov_b64 s[20:21], 0
.LBB151_1300:
	s_and_b64 vcc, exec, s[20:21]
	s_cbranch_vccz .LBB151_1334
; %bb.1301:
	s_cmp_gt_i32 s30, 22
	s_cbranch_scc0 .LBB151_1311
; %bb.1302:
	s_cmp_lt_i32 s30, 24
	s_cbranch_scc1 .LBB151_1314
; %bb.1303:
	s_cmp_gt_i32 s30, 24
	s_cbranch_scc0 .LBB151_1315
; %bb.1304:
	global_load_ubyte v1, v[3:4], off
	s_movk_i32 s16, 0x7f
	s_waitcnt vmcnt(0)
	v_cmp_lt_i16_e32 vcc, s16, v1
	s_mov_b64 s[16:17], 0
	s_and_saveexec_b64 s[18:19], vcc
	s_xor_b64 s[18:19], exec, s[18:19]
	s_cbranch_execz .LBB151_1327
; %bb.1305:
	s_movk_i32 s16, 0x80
	v_cmp_eq_u16_e32 vcc, s16, v1
	s_mov_b64 s[16:17], -1
	s_and_saveexec_b64 s[20:21], vcc
; %bb.1306:
	s_xor_b64 s[16:17], exec, -1
; %bb.1307:
	s_or_b64 exec, exec, s[20:21]
	s_and_b64 s[16:17], s[16:17], exec
	s_or_saveexec_b64 s[18:19], s[18:19]
	v_mov_b32_e32 v5, 0x7e00
	s_xor_b64 exec, exec, s[18:19]
	s_cbranch_execnz .LBB151_1328
.LBB151_1308:
	s_or_b64 exec, exec, s[18:19]
	s_and_saveexec_b64 s[18:19], s[16:17]
	s_cbranch_execz .LBB151_1310
.LBB151_1309:
	v_lshlrev_b32_e32 v5, 24, v1
	v_and_b32_e32 v1, 0xffff, v1
	v_and_b32_e32 v6, 3, v1
	v_ffbh_u32_e32 v8, v6
	v_min_u32_e32 v8, 32, v8
	v_subrev_u32_e32 v9, 29, v8
	v_bfe_u32 v7, v1, 2, 5
	v_lshlrev_b32_e32 v1, v9, v1
	v_sub_u32_e32 v8, 30, v8
	v_and_b32_e32 v1, 3, v1
	v_cmp_eq_u32_e32 vcc, 0, v7
	v_cndmask_b32_e32 v7, v7, v8, vcc
	v_cndmask_b32_e32 v1, v6, v1, vcc
	v_mov_b32_e32 v6, 0x37800000
	v_lshlrev_b32_e32 v1, 21, v1
	v_and_b32_e32 v5, 0x80000000, v5
	v_lshl_add_u32 v6, v7, 23, v6
	v_or3_b32 v1, v5, v6, v1
	v_cvt_f16_f32_e32 v5, v1
.LBB151_1310:
	s_or_b64 exec, exec, s[18:19]
	s_mov_b64 s[16:17], 0
	s_branch .LBB151_1316
.LBB151_1311:
	s_mov_b64 s[16:17], -1
                                        ; implicit-def: $vgpr5
	s_branch .LBB151_1322
.LBB151_1312:
	s_or_saveexec_b64 s[20:21], s[20:21]
	v_mov_b32_e32 v5, 0x7e00
	s_xor_b64 exec, exec, s[20:21]
	s_cbranch_execz .LBB151_1295
.LBB151_1313:
	v_cmp_ne_u16_e32 vcc, 0, v1
	s_andn2_b64 s[18:19], s[18:19], exec
	s_and_b64 s[22:23], vcc, exec
	s_or_b64 s[18:19], s[18:19], s[22:23]
	v_mov_b32_e32 v5, v1
	s_or_b64 exec, exec, s[20:21]
	s_and_saveexec_b64 s[20:21], s[18:19]
	s_cbranch_execnz .LBB151_1296
	s_branch .LBB151_1297
.LBB151_1314:
	s_mov_b64 s[16:17], -1
                                        ; implicit-def: $vgpr5
	s_branch .LBB151_1319
.LBB151_1315:
	s_mov_b64 s[16:17], -1
                                        ; implicit-def: $vgpr5
.LBB151_1316:
	s_and_b64 vcc, exec, s[16:17]
	s_cbranch_vccz .LBB151_1318
; %bb.1317:
	global_load_ubyte v1, v[3:4], off
	s_mov_b32 s16, 0x7f800000
	s_waitcnt vmcnt(0)
	v_lshlrev_b32_e32 v1, 24, v1
	v_and_b32_e32 v5, 0x7f000000, v1
	v_ffbh_u32_e32 v6, v5
	v_min_u32_e32 v6, 32, v6
	v_sub_u32_e64 v6, v6, 4 clamp
	v_lshlrev_b32_e32 v8, v6, v5
	v_lshlrev_b32_e32 v6, 23, v6
	v_lshrrev_b32_e32 v8, 4, v8
	v_add_u32_e32 v7, 0x1000000, v5
	v_sub_u32_e32 v6, v8, v6
	v_ashrrev_i32_e32 v7, 8, v7
	v_add_u32_e32 v6, 0x3c000000, v6
	v_and_or_b32 v6, v7, s16, v6
	v_cmp_ne_u32_e32 vcc, 0, v5
	v_cndmask_b32_e32 v5, 0, v6, vcc
	s_brev_b32 s16, 1
	v_and_or_b32 v1, v1, s16, v5
	v_cvt_f16_f32_e32 v5, v1
.LBB151_1318:
	s_mov_b64 s[16:17], 0
.LBB151_1319:
	s_andn2_b64 vcc, exec, s[16:17]
	s_cbranch_vccnz .LBB151_1321
; %bb.1320:
	global_load_ubyte v1, v[3:4], off
	s_movk_i32 s16, 0x7f00
	s_brev_b32 s17, 16
	s_waitcnt vmcnt(0)
	v_lshlrev_b16_e32 v5, 8, v1
	v_lshlrev_b32_e32 v1, 25, v1
	v_lshrrev_b32_e32 v6, 4, v1
	v_and_or_b32 v7, v5, s16, 0.5
	v_or_b32_e32 v6, 0x70000000, v6
	v_add_f32_e32 v7, -0.5, v7
	v_mul_f32_e32 v6, 0x7800000, v6
	v_cmp_gt_u32_e32 vcc, s17, v1
	v_bfe_i32 v5, v5, 0, 16
	v_cndmask_b32_e32 v1, v6, v7, vcc
	s_brev_b32 s16, 1
	v_and_or_b32 v1, v5, s16, v1
	v_cvt_f16_f32_e32 v5, v1
.LBB151_1321:
	s_mov_b64 s[16:17], 0
	s_mov_b64 s[18:19], -1
.LBB151_1322:
	s_andn2_b64 vcc, exec, s[16:17]
	s_mov_b64 s[16:17], 0
	s_cbranch_vccnz .LBB151_1333
; %bb.1323:
	s_cmp_gt_i32 s30, 14
	s_cbranch_scc0 .LBB151_1326
; %bb.1324:
	s_cmp_eq_u32 s30, 15
	s_cbranch_scc0 .LBB151_1329
; %bb.1325:
	global_load_ushort v1, v[3:4], off
	s_mov_b64 s[10:11], 0
	s_mov_b64 s[18:19], -1
	s_waitcnt vmcnt(0)
	v_lshlrev_b32_e32 v1, 16, v1
	v_cvt_f16_f32_e32 v5, v1
	s_branch .LBB151_1330
.LBB151_1326:
	s_mov_b64 s[20:21], -1
                                        ; implicit-def: $vgpr5
	s_branch .LBB151_1331
.LBB151_1327:
	s_or_saveexec_b64 s[18:19], s[18:19]
	v_mov_b32_e32 v5, 0x7e00
	s_xor_b64 exec, exec, s[18:19]
	s_cbranch_execz .LBB151_1308
.LBB151_1328:
	v_cmp_ne_u16_e32 vcc, 0, v1
	s_andn2_b64 s[16:17], s[16:17], exec
	s_and_b64 s[20:21], vcc, exec
	s_or_b64 s[16:17], s[16:17], s[20:21]
	v_mov_b32_e32 v5, v1
	s_or_b64 exec, exec, s[18:19]
	s_and_saveexec_b64 s[18:19], s[16:17]
	s_cbranch_execnz .LBB151_1309
	s_branch .LBB151_1310
.LBB151_1329:
	s_mov_b64 s[10:11], -1
                                        ; implicit-def: $vgpr5
.LBB151_1330:
	s_mov_b64 s[20:21], 0
.LBB151_1331:
	s_and_b64 vcc, exec, s[20:21]
	s_cbranch_vccz .LBB151_1333
; %bb.1332:
	s_cmp_lg_u32 s30, 11
	s_cselect_b64 s[20:21], -1, 0
	s_andn2_b64 s[10:11], s[10:11], exec
	s_and_b64 s[20:21], s[20:21], exec
	s_mov_b64 s[16:17], -1
	s_or_b64 s[10:11], s[10:11], s[20:21]
.LBB151_1333:
	v_mov_b32_e32 v6, 0
.LBB151_1334:
	s_mov_b64 s[20:21], 0
.LBB151_1335:
	s_and_b64 s[64:65], s[16:17], exec
	s_andn2_b64 s[16:17], s[0:1], exec
	s_and_b64 s[10:11], s[10:11], exec
	s_and_b64 s[66:67], s[18:19], exec
	;; [unrolled: 1-line block ×3, first 2 shown]
	s_or_b64 s[68:69], s[16:17], s[10:11]
.LBB151_1336:
	s_or_b64 exec, exec, s[58:59]
	s_andn2_b64 s[0:1], s[0:1], exec
	s_and_b64 s[10:11], s[68:69], exec
	s_and_b64 s[66:67], s[66:67], exec
	;; [unrolled: 1-line block ×4, first 2 shown]
	s_or_b64 s[0:1], s[0:1], s[10:11]
.LBB151_1337:
	s_or_b64 exec, exec, s[56:57]
	s_andn2_b64 s[10:11], s[52:53], exec
	s_and_b64 s[16:17], s[62:63], exec
	s_or_b64 s[52:53], s[10:11], s[16:17]
	s_andn2_b64 s[10:11], s[50:51], exec
	s_and_b64 s[16:17], s[60:61], exec
	s_or_b64 s[50:51], s[10:11], s[16:17]
	s_andn2_b64 s[10:11], s[48:49], exec
	s_and_b64 s[0:1], s[0:1], exec
	s_and_b64 s[60:61], s[66:67], exec
	;; [unrolled: 1-line block ×4, first 2 shown]
	s_or_b64 s[48:49], s[10:11], s[0:1]
.LBB151_1338:
	s_or_b64 exec, exec, s[54:55]
	s_andn2_b64 s[0:1], s[40:41], exec
	s_and_b64 s[10:11], s[52:53], exec
	s_or_b64 s[40:41], s[0:1], s[10:11]
	s_andn2_b64 s[0:1], s[42:43], exec
	s_and_b64 s[10:11], s[50:51], exec
	s_or_b64 s[42:43], s[0:1], s[10:11]
	s_andn2_b64 s[0:1], s[44:45], exec
	s_and_b64 s[10:11], s[48:49], exec
	s_and_b64 s[52:53], s[60:61], exec
	;; [unrolled: 1-line block ×4, first 2 shown]
	s_or_b64 s[44:45], s[0:1], s[10:11]
	s_or_b64 exec, exec, s[46:47]
	s_mov_b64 s[10:11], 0
	s_and_saveexec_b64 s[0:1], s[44:45]
	s_cbranch_execz .LBB151_416
.LBB151_1339:
	s_mov_b64 s[10:11], exec
	s_andn2_b64 s[50:51], s[50:51], exec
	s_trap 2
	s_or_b64 exec, exec, s[0:1]
	s_and_saveexec_b64 s[0:1], s[50:51]
	s_xor_b64 s[0:1], exec, s[0:1]
	s_cbranch_execnz .LBB151_417
.LBB151_1340:
	s_or_b64 exec, exec, s[0:1]
	s_and_saveexec_b64 s[0:1], s[54:55]
	s_cbranch_execz .LBB151_1388
.LBB151_1341:
	s_sext_i32_i16 s16, s14
	s_cmp_lt_i32 s16, 5
	s_cbranch_scc1 .LBB151_1346
; %bb.1342:
	s_cmp_lt_i32 s16, 8
	s_cbranch_scc1 .LBB151_1347
; %bb.1343:
	;; [unrolled: 3-line block ×3, first 2 shown]
	s_cmp_gt_i32 s16, 9
	s_cbranch_scc0 .LBB151_1349
; %bb.1345:
	s_waitcnt vmcnt(0)
	global_load_dwordx4 v[5:8], v[3:4], off
	s_movk_i32 s16, 0x1ff
	s_movk_i32 s17, 0xffe
	v_mov_b32_e32 v1, 0x7c00
	v_mov_b32_e32 v9, 0x7e00
	s_movk_i32 s18, 0x40f
	s_mov_b32 s19, 0x8000
	s_waitcnt vmcnt(0)
	v_and_or_b32 v5, v6, s16, v5
	v_and_or_b32 v7, v8, s16, v7
	v_cmp_ne_u32_e32 vcc, 0, v5
	v_lshrrev_b32_e32 v10, 8, v6
	v_cndmask_b32_e64 v5, 0, 1, vcc
	v_cmp_ne_u32_e32 vcc, 0, v7
	v_bfe_u32 v11, v6, 20, 11
	v_lshrrev_b32_e32 v12, 8, v8
	v_bfe_u32 v13, v8, 20, 11
	v_cndmask_b32_e64 v7, 0, 1, vcc
	v_and_or_b32 v5, v10, s17, v5
	v_sub_u32_e32 v14, 0x3f1, v11
	v_add_u32_e32 v11, 0xfffffc10, v11
	v_sub_u32_e32 v15, 0x3f1, v13
	v_and_or_b32 v7, v12, s17, v7
	v_cmp_ne_u32_e32 vcc, 0, v5
	v_add_u32_e32 v13, 0xfffffc10, v13
	v_med3_i32 v10, v14, 0, 13
	v_med3_i32 v12, v15, 0, 13
	v_or_b32_e32 v14, 0x1000, v5
	v_lshl_or_b32 v15, v11, 12, v5
	v_cndmask_b32_e32 v5, v1, v9, vcc
	v_cmp_ne_u32_e32 vcc, 0, v7
	v_or_b32_e32 v16, 0x1000, v7
	v_lshl_or_b32 v17, v13, 12, v7
	v_cndmask_b32_e32 v7, v1, v9, vcc
	v_lshrrev_b32_e32 v9, v10, v14
	v_lshrrev_b32_e32 v18, v12, v16
	v_lshlrev_b32_e32 v10, v10, v9
	v_lshlrev_b32_e32 v12, v12, v18
	v_cmp_ne_u32_e32 vcc, v10, v14
	v_cndmask_b32_e64 v10, 0, 1, vcc
	v_cmp_ne_u32_e32 vcc, v12, v16
	v_cndmask_b32_e64 v12, 0, 1, vcc
	v_or_b32_e32 v9, v9, v10
	v_cmp_gt_i32_e32 vcc, 1, v11
	v_cndmask_b32_e32 v9, v15, v9, vcc
	v_or_b32_e32 v10, v18, v12
	v_cmp_gt_i32_e32 vcc, 1, v13
	v_and_b32_e32 v12, 7, v9
	v_cndmask_b32_e32 v10, v17, v10, vcc
	v_cmp_lt_i32_e32 vcc, 5, v12
	v_and_b32_e32 v14, 7, v10
	v_cndmask_b32_e64 v15, 0, 1, vcc
	v_cmp_eq_u32_e32 vcc, 3, v12
	v_cndmask_b32_e64 v12, 0, 1, vcc
	v_cmp_lt_i32_e32 vcc, 5, v14
	v_cndmask_b32_e64 v16, 0, 1, vcc
	v_cmp_eq_u32_e32 vcc, 3, v14
	v_lshrrev_b32_e32 v9, 2, v9
	v_cndmask_b32_e64 v14, 0, 1, vcc
	v_or_b32_e32 v12, v12, v15
	v_lshrrev_b32_e32 v10, 2, v10
	v_or_b32_e32 v14, v14, v16
	v_add_u32_e32 v9, v9, v12
	v_cmp_gt_i32_e32 vcc, 31, v11
	v_add_u32_e32 v10, v10, v14
	v_cndmask_b32_e32 v9, v1, v9, vcc
	v_cmp_gt_i32_e32 vcc, 31, v13
	v_cndmask_b32_e32 v1, v1, v10, vcc
	v_cmp_eq_u32_e32 vcc, s18, v11
	v_cndmask_b32_e32 v5, v9, v5, vcc
	v_cmp_eq_u32_e32 vcc, s18, v13
	v_lshrrev_b32_e32 v6, 16, v6
	v_lshrrev_b32_e32 v8, 16, v8
	v_cndmask_b32_e32 v1, v1, v7, vcc
	v_and_or_b32 v5, v6, s19, v5
	v_and_or_b32 v6, v8, s19, v1
	s_mov_b64 s[16:17], 0
	s_branch .LBB151_1350
.LBB151_1346:
                                        ; implicit-def: $vgpr6
                                        ; implicit-def: $vgpr5
	s_branch .LBB151_1368
.LBB151_1347:
                                        ; implicit-def: $vgpr6
                                        ; implicit-def: $vgpr5
	s_branch .LBB151_1356
.LBB151_1348:
	s_mov_b64 s[16:17], -1
                                        ; implicit-def: $vgpr6
                                        ; implicit-def: $vgpr5
	s_branch .LBB151_1353
.LBB151_1349:
	s_mov_b64 s[16:17], -1
                                        ; implicit-def: $vgpr6
                                        ; implicit-def: $vgpr5
.LBB151_1350:
	s_andn2_b64 vcc, exec, s[16:17]
	s_cbranch_vccnz .LBB151_1352
; %bb.1351:
	s_waitcnt vmcnt(0)
	global_load_dwordx2 v[5:6], v[3:4], off
	s_waitcnt vmcnt(0)
	v_cvt_f16_f32_e32 v5, v5
	v_cvt_f16_f32_e32 v6, v6
.LBB151_1352:
	s_mov_b64 s[16:17], 0
.LBB151_1353:
	s_andn2_b64 vcc, exec, s[16:17]
	s_cbranch_vccnz .LBB151_1355
; %bb.1354:
	s_waitcnt vmcnt(0)
	global_load_dword v5, v[3:4], off
	s_waitcnt vmcnt(0)
	v_lshrrev_b32_e32 v6, 16, v5
.LBB151_1355:
	s_cbranch_execnz .LBB151_1367
.LBB151_1356:
	s_sext_i32_i16 s16, s14
	s_cmp_lt_i32 s16, 6
	s_cbranch_scc1 .LBB151_1359
; %bb.1357:
	s_cmp_gt_i32 s16, 6
	s_cbranch_scc0 .LBB151_1360
; %bb.1358:
	s_waitcnt vmcnt(0)
	global_load_dwordx2 v[5:6], v[3:4], off
	s_movk_i32 s16, 0x1ff
	s_movk_i32 s17, 0xffe
	v_mov_b32_e32 v1, 0x7c00
	v_mov_b32_e32 v7, 0x7e00
	s_movk_i32 s18, 0x40f
	s_mov_b32 s19, 0x8000
	s_waitcnt vmcnt(0)
	v_and_or_b32 v5, v6, s16, v5
	v_cmp_ne_u32_e32 vcc, 0, v5
	v_lshrrev_b32_e32 v8, 8, v6
	v_bfe_u32 v9, v6, 20, 11
	v_cndmask_b32_e64 v5, 0, 1, vcc
	v_sub_u32_e32 v10, 0x3f1, v9
	v_and_or_b32 v5, v8, s17, v5
	v_add_u32_e32 v9, 0xfffffc10, v9
	v_med3_i32 v8, v10, 0, 13
	v_or_b32_e32 v10, 0x1000, v5
	v_cmp_ne_u32_e32 vcc, 0, v5
	v_lshl_or_b32 v11, v9, 12, v5
	v_cndmask_b32_e32 v5, v1, v7, vcc
	v_lshrrev_b32_e32 v7, v8, v10
	v_lshlrev_b32_e32 v8, v8, v7
	v_cmp_ne_u32_e32 vcc, v8, v10
	v_cndmask_b32_e64 v8, 0, 1, vcc
	v_or_b32_e32 v7, v7, v8
	v_cmp_gt_i32_e32 vcc, 1, v9
	v_cndmask_b32_e32 v7, v11, v7, vcc
	v_and_b32_e32 v8, 7, v7
	v_cmp_lt_i32_e32 vcc, 5, v8
	v_cndmask_b32_e64 v10, 0, 1, vcc
	v_cmp_eq_u32_e32 vcc, 3, v8
	v_cndmask_b32_e64 v8, 0, 1, vcc
	v_lshrrev_b32_e32 v7, 2, v7
	v_or_b32_e32 v8, v8, v10
	v_add_u32_e32 v7, v7, v8
	v_cmp_gt_i32_e32 vcc, 31, v9
	v_cndmask_b32_e32 v1, v1, v7, vcc
	v_cmp_eq_u32_e32 vcc, s18, v9
	v_lshrrev_b32_e32 v6, 16, v6
	v_cndmask_b32_e32 v1, v1, v5, vcc
	v_and_or_b32 v5, v6, s19, v1
	s_mov_b64 s[16:17], 0
	s_branch .LBB151_1361
.LBB151_1359:
	s_mov_b64 s[16:17], -1
                                        ; implicit-def: $vgpr5
	s_branch .LBB151_1364
.LBB151_1360:
	s_mov_b64 s[16:17], -1
                                        ; implicit-def: $vgpr5
.LBB151_1361:
	s_andn2_b64 vcc, exec, s[16:17]
	s_cbranch_vccnz .LBB151_1363
; %bb.1362:
	s_waitcnt vmcnt(0)
	global_load_dword v1, v[3:4], off
	s_waitcnt vmcnt(0)
	v_cvt_f16_f32_e32 v5, v1
.LBB151_1363:
	s_mov_b64 s[16:17], 0
.LBB151_1364:
	s_andn2_b64 vcc, exec, s[16:17]
	s_cbranch_vccnz .LBB151_1366
; %bb.1365:
	s_waitcnt vmcnt(0)
	global_load_ushort v5, v[3:4], off
.LBB151_1366:
	v_mov_b32_e32 v6, 0
.LBB151_1367:
	s_cbranch_execnz .LBB151_1387
.LBB151_1368:
	s_sext_i32_i16 s16, s14
	s_cmp_lt_i32 s16, 2
	s_cbranch_scc1 .LBB151_1372
; %bb.1369:
	s_cmp_lt_i32 s16, 3
	s_cbranch_scc1 .LBB151_1373
; %bb.1370:
	s_cmp_gt_i32 s16, 3
	s_cbranch_scc0 .LBB151_1374
; %bb.1371:
	s_waitcnt vmcnt(0)
	global_load_dwordx2 v[5:6], v[3:4], off
	s_mov_b64 s[16:17], 0
	s_waitcnt vmcnt(0)
	v_xor_b32_e32 v7, v5, v6
	v_ffbh_i32_e32 v1, v6
	v_ashrrev_i32_e32 v7, 31, v7
	v_add_u32_e32 v1, -1, v1
	v_add_u32_e32 v7, 32, v7
	v_min_u32_e32 v1, v1, v7
	v_lshlrev_b64 v[5:6], v1, v[5:6]
	v_sub_u32_e32 v1, 32, v1
	v_min_u32_e32 v5, 1, v5
	v_or_b32_e32 v5, v6, v5
	v_cvt_f32_i32_e32 v5, v5
	v_ldexp_f32 v1, v5, v1
	v_cvt_f16_f32_e32 v5, v1
	s_branch .LBB151_1375
.LBB151_1372:
                                        ; implicit-def: $vgpr5
	s_branch .LBB151_1381
.LBB151_1373:
	s_mov_b64 s[16:17], -1
                                        ; implicit-def: $vgpr5
	s_branch .LBB151_1378
.LBB151_1374:
	s_mov_b64 s[16:17], -1
                                        ; implicit-def: $vgpr5
.LBB151_1375:
	s_andn2_b64 vcc, exec, s[16:17]
	s_cbranch_vccnz .LBB151_1377
; %bb.1376:
	s_waitcnt vmcnt(0)
	global_load_dword v1, v[3:4], off
	s_waitcnt vmcnt(0)
	v_cvt_f32_i32_e32 v1, v1
	v_cvt_f16_f32_e32 v5, v1
.LBB151_1377:
	s_mov_b64 s[16:17], 0
.LBB151_1378:
	s_andn2_b64 vcc, exec, s[16:17]
	s_cbranch_vccnz .LBB151_1380
; %bb.1379:
	s_waitcnt vmcnt(0)
	global_load_ushort v1, v[3:4], off
	s_waitcnt vmcnt(0)
	v_cvt_f16_i16_e32 v5, v1
.LBB151_1380:
	s_cbranch_execnz .LBB151_1386
.LBB151_1381:
	s_sext_i32_i16 s14, s14
	s_cmp_gt_i32 s14, 0
	s_cbranch_scc0 .LBB151_1383
; %bb.1382:
	s_waitcnt vmcnt(0)
	global_load_sbyte v1, v[3:4], off
	s_mov_b64 s[16:17], 0
	s_waitcnt vmcnt(0)
	v_cvt_f16_i16_e32 v5, v1
	s_branch .LBB151_1384
.LBB151_1383:
	s_mov_b64 s[16:17], -1
                                        ; implicit-def: $vgpr5
.LBB151_1384:
	s_andn2_b64 vcc, exec, s[16:17]
	s_cbranch_vccnz .LBB151_1386
; %bb.1385:
	s_waitcnt vmcnt(0)
	global_load_ubyte v1, v[3:4], off
	s_waitcnt vmcnt(0)
	v_cvt_f16_u16_e32 v5, v1
.LBB151_1386:
	v_mov_b32_e32 v6, 0
.LBB151_1387:
	s_or_b64 s[52:53], s[52:53], exec
.LBB151_1388:
	s_or_b64 exec, exec, s[0:1]
	s_mov_b64 s[16:17], 0
	s_mov_b64 s[20:21], 0
	;; [unrolled: 1-line block ×3, first 2 shown]
                                        ; implicit-def: $sgpr14
                                        ; implicit-def: $vgpr3_vgpr4
                                        ; implicit-def: $vgpr8
                                        ; implicit-def: $vgpr7
	s_and_saveexec_b64 s[0:1], s[52:53]
	s_cbranch_execz .LBB151_1396
; %bb.1389:
	v_mov_b32_e32 v1, s13
	s_and_b32 s14, s73, 0xff
	s_waitcnt vmcnt(0)
	v_add_co_u32_e32 v3, vcc, s12, v2
	s_cmp_lt_i32 s14, 11
	v_addc_co_u32_e32 v4, vcc, 0, v1, vcc
	s_cbranch_scc1 .LBB151_1399
; %bb.1390:
	s_and_b32 s30, 0xffff, s14
	s_cmp_gt_i32 s30, 25
	s_cbranch_scc0 .LBB151_1400
; %bb.1391:
	s_cmp_gt_i32 s30, 28
	s_cbranch_scc0 .LBB151_1401
; %bb.1392:
	;; [unrolled: 3-line block ×4, first 2 shown]
	s_cmp_eq_u32 s30, 46
	s_cbranch_scc0 .LBB151_1404
; %bb.1395:
	global_load_dword v1, v[3:4], off
	s_mov_b64 s[12:13], 0
	s_mov_b64 s[18:19], -1
	s_waitcnt vmcnt(0)
	v_and_b32_e32 v2, 0xffff0000, v1
	v_lshlrev_b32_e32 v1, 16, v1
	v_cvt_f16_f32_e32 v7, v1
	v_cvt_f16_f32_e32 v8, v2
	s_branch .LBB151_1406
.LBB151_1396:
	s_or_b64 exec, exec, s[0:1]
	s_and_saveexec_b64 s[0:1], s[42:43]
	s_cbranch_execnz .LBB151_1472
.LBB151_1397:
	s_or_b64 exec, exec, s[0:1]
	s_and_saveexec_b64 s[0:1], s[16:17]
	s_xor_b64 s[0:1], exec, s[0:1]
	s_cbranch_execz .LBB151_1473
.LBB151_1398:
	s_waitcnt vmcnt(0)
	global_load_ubyte v1, v[3:4], off
	v_mov_b32_e32 v2, 0x3c00
	v_mov_b32_e32 v8, 0
	s_or_b64 s[18:19], s[18:19], exec
	s_waitcnt vmcnt(0)
	v_cmp_ne_u16_e32 vcc, 0, v1
	v_cndmask_b32_e32 v7, 0, v2, vcc
	s_or_b64 exec, exec, s[0:1]
	s_and_saveexec_b64 s[0:1], s[20:21]
	s_cbranch_execz .LBB151_1521
	s_branch .LBB151_1474
.LBB151_1399:
	s_mov_b64 s[20:21], -1
                                        ; implicit-def: $vgpr8
                                        ; implicit-def: $vgpr7
	s_mov_b64 s[12:13], s[42:43]
	s_branch .LBB151_1471
.LBB151_1400:
	s_mov_b64 s[12:13], s[42:43]
                                        ; implicit-def: $vgpr8
                                        ; implicit-def: $vgpr7
	s_cbranch_execnz .LBB151_1437
	s_branch .LBB151_1470
.LBB151_1401:
	s_mov_b64 s[20:21], -1
	s_mov_b64 s[12:13], s[42:43]
                                        ; implicit-def: $vgpr8
                                        ; implicit-def: $vgpr7
	s_branch .LBB151_1418
.LBB151_1402:
	s_mov_b64 s[20:21], -1
	s_mov_b64 s[12:13], s[42:43]
                                        ; implicit-def: $vgpr8
                                        ; implicit-def: $vgpr7
	s_branch .LBB151_1412
.LBB151_1403:
	s_mov_b64 s[20:21], -1
	s_mov_b64 s[12:13], s[42:43]
	s_branch .LBB151_1405
.LBB151_1404:
	s_mov_b64 s[12:13], -1
.LBB151_1405:
                                        ; implicit-def: $vgpr8
                                        ; implicit-def: $vgpr7
.LBB151_1406:
	s_and_b64 vcc, exec, s[20:21]
	s_cbranch_vccz .LBB151_1411
; %bb.1407:
	s_cmp_eq_u32 s30, 44
	s_cbranch_scc0 .LBB151_1409
; %bb.1408:
	global_load_ubyte v1, v[3:4], off
	s_movk_i32 s18, 0xff
	v_mov_b32_e32 v7, 0x7e00
	s_mov_b64 s[12:13], 0
	s_waitcnt vmcnt(0)
	v_lshlrev_b32_e32 v2, 23, v1
	v_cvt_f16_f32_e32 v2, v2
	v_cmp_ne_u32_e32 vcc, s18, v1
	s_mov_b64 s[18:19], -1
	v_cndmask_b32_e32 v2, v7, v2, vcc
	v_cmp_ne_u32_e32 vcc, 0, v1
	v_cndmask_b32_e32 v7, 0, v2, vcc
	s_branch .LBB151_1410
.LBB151_1409:
	s_mov_b64 s[12:13], -1
                                        ; implicit-def: $vgpr7
.LBB151_1410:
	v_mov_b32_e32 v8, 0
.LBB151_1411:
	s_mov_b64 s[20:21], 0
.LBB151_1412:
	s_and_b64 vcc, exec, s[20:21]
	s_cbranch_vccz .LBB151_1417
; %bb.1413:
	s_cmp_eq_u32 s30, 29
	s_cbranch_scc0 .LBB151_1415
; %bb.1414:
	global_load_dwordx2 v[1:2], v[3:4], off
	s_mov_b64 s[12:13], 0
	s_mov_b64 s[18:19], -1
	s_waitcnt vmcnt(0)
	v_ffbh_u32_e32 v7, v2
	v_min_u32_e32 v7, 32, v7
	v_lshlrev_b64 v[1:2], v7, v[1:2]
	v_min_u32_e32 v1, 1, v1
	v_or_b32_e32 v1, v2, v1
	v_cvt_f32_u32_e32 v1, v1
	v_sub_u32_e32 v2, 32, v7
	v_ldexp_f32 v1, v1, v2
	v_cvt_f16_f32_e32 v7, v1
	s_branch .LBB151_1416
.LBB151_1415:
	s_mov_b64 s[12:13], -1
                                        ; implicit-def: $vgpr7
.LBB151_1416:
	v_mov_b32_e32 v8, 0
.LBB151_1417:
	s_mov_b64 s[20:21], 0
.LBB151_1418:
	s_and_b64 vcc, exec, s[20:21]
	s_cbranch_vccz .LBB151_1436
; %bb.1419:
	s_cmp_lt_i32 s30, 27
	s_cbranch_scc1 .LBB151_1422
; %bb.1420:
	s_cmp_gt_i32 s30, 27
	s_cbranch_scc0 .LBB151_1423
; %bb.1421:
	global_load_dword v1, v[3:4], off
	s_mov_b64 s[18:19], 0
	s_waitcnt vmcnt(0)
	v_cvt_f32_u32_e32 v1, v1
	v_cvt_f16_f32_e32 v7, v1
	s_branch .LBB151_1424
.LBB151_1422:
	s_mov_b64 s[18:19], -1
                                        ; implicit-def: $vgpr7
	s_branch .LBB151_1427
.LBB151_1423:
	s_mov_b64 s[18:19], -1
                                        ; implicit-def: $vgpr7
.LBB151_1424:
	s_andn2_b64 vcc, exec, s[18:19]
	s_cbranch_vccnz .LBB151_1426
; %bb.1425:
	global_load_ushort v1, v[3:4], off
	s_waitcnt vmcnt(0)
	v_cvt_f16_u16_e32 v7, v1
.LBB151_1426:
	s_mov_b64 s[18:19], 0
.LBB151_1427:
	s_andn2_b64 vcc, exec, s[18:19]
	s_cbranch_vccnz .LBB151_1435
; %bb.1428:
	global_load_ubyte v1, v[3:4], off
	s_movk_i32 s18, 0x7f
	s_waitcnt vmcnt(0)
	v_cmp_lt_i16_e32 vcc, s18, v1
	s_mov_b64 s[18:19], 0
	s_and_saveexec_b64 s[20:21], vcc
	s_xor_b64 s[20:21], exec, s[20:21]
	s_cbranch_execz .LBB151_1448
; %bb.1429:
	s_movk_i32 s18, 0x80
	v_cmp_eq_u16_e32 vcc, s18, v1
	s_mov_b64 s[18:19], -1
	s_and_saveexec_b64 s[22:23], vcc
; %bb.1430:
	s_xor_b64 s[18:19], exec, -1
; %bb.1431:
	s_or_b64 exec, exec, s[22:23]
	s_and_b64 s[18:19], s[18:19], exec
	s_or_saveexec_b64 s[20:21], s[20:21]
	v_mov_b32_e32 v7, 0x7e00
	s_xor_b64 exec, exec, s[20:21]
	s_cbranch_execnz .LBB151_1449
.LBB151_1432:
	s_or_b64 exec, exec, s[20:21]
	s_and_saveexec_b64 s[20:21], s[18:19]
	s_cbranch_execz .LBB151_1434
.LBB151_1433:
	v_lshlrev_b32_e32 v2, 24, v1
	v_and_b32_e32 v1, 0xffff, v1
	v_and_b32_e32 v7, 7, v1
	v_ffbh_u32_e32 v9, v7
	v_min_u32_e32 v9, 32, v9
	v_subrev_u32_e32 v10, 28, v9
	v_bfe_u32 v8, v1, 3, 4
	v_lshlrev_b32_e32 v1, v10, v1
	v_sub_u32_e32 v9, 29, v9
	v_and_b32_e32 v1, 7, v1
	v_cmp_eq_u32_e32 vcc, 0, v8
	v_cndmask_b32_e32 v8, v8, v9, vcc
	v_cndmask_b32_e32 v1, v7, v1, vcc
	v_mov_b32_e32 v7, 0x3b800000
	v_lshlrev_b32_e32 v1, 20, v1
	v_and_b32_e32 v2, 0x80000000, v2
	v_lshl_add_u32 v7, v8, 23, v7
	v_or3_b32 v1, v2, v7, v1
	v_cvt_f16_f32_e32 v7, v1
.LBB151_1434:
	s_or_b64 exec, exec, s[20:21]
.LBB151_1435:
	s_mov_b64 s[18:19], -1
	v_mov_b32_e32 v8, 0
.LBB151_1436:
	s_branch .LBB151_1470
.LBB151_1437:
	s_cmp_gt_i32 s30, 22
	s_cbranch_scc0 .LBB151_1447
; %bb.1438:
	s_cmp_lt_i32 s30, 24
	s_cbranch_scc1 .LBB151_1450
; %bb.1439:
	s_cmp_gt_i32 s30, 24
	s_cbranch_scc0 .LBB151_1451
; %bb.1440:
	global_load_ubyte v1, v[3:4], off
	s_movk_i32 s16, 0x7f
	s_waitcnt vmcnt(0)
	v_cmp_lt_i16_e32 vcc, s16, v1
	s_mov_b64 s[16:17], 0
	s_and_saveexec_b64 s[18:19], vcc
	s_xor_b64 s[18:19], exec, s[18:19]
	s_cbranch_execz .LBB151_1463
; %bb.1441:
	s_movk_i32 s16, 0x80
	v_cmp_eq_u16_e32 vcc, s16, v1
	s_mov_b64 s[16:17], -1
	s_and_saveexec_b64 s[20:21], vcc
; %bb.1442:
	s_xor_b64 s[16:17], exec, -1
; %bb.1443:
	s_or_b64 exec, exec, s[20:21]
	s_and_b64 s[16:17], s[16:17], exec
	s_or_saveexec_b64 s[18:19], s[18:19]
	v_mov_b32_e32 v7, 0x7e00
	s_xor_b64 exec, exec, s[18:19]
	s_cbranch_execnz .LBB151_1464
.LBB151_1444:
	s_or_b64 exec, exec, s[18:19]
	s_and_saveexec_b64 s[18:19], s[16:17]
	s_cbranch_execz .LBB151_1446
.LBB151_1445:
	v_lshlrev_b32_e32 v2, 24, v1
	v_and_b32_e32 v1, 0xffff, v1
	v_and_b32_e32 v7, 3, v1
	v_ffbh_u32_e32 v9, v7
	v_min_u32_e32 v9, 32, v9
	v_subrev_u32_e32 v10, 29, v9
	v_bfe_u32 v8, v1, 2, 5
	v_lshlrev_b32_e32 v1, v10, v1
	v_sub_u32_e32 v9, 30, v9
	v_and_b32_e32 v1, 3, v1
	v_cmp_eq_u32_e32 vcc, 0, v8
	v_cndmask_b32_e32 v8, v8, v9, vcc
	v_cndmask_b32_e32 v1, v7, v1, vcc
	v_mov_b32_e32 v7, 0x37800000
	v_lshlrev_b32_e32 v1, 21, v1
	v_and_b32_e32 v2, 0x80000000, v2
	v_lshl_add_u32 v7, v8, 23, v7
	v_or3_b32 v1, v2, v7, v1
	v_cvt_f16_f32_e32 v7, v1
.LBB151_1446:
	s_or_b64 exec, exec, s[18:19]
	s_mov_b64 s[16:17], 0
	s_branch .LBB151_1452
.LBB151_1447:
	s_mov_b64 s[16:17], -1
                                        ; implicit-def: $vgpr7
	s_branch .LBB151_1458
.LBB151_1448:
	s_or_saveexec_b64 s[20:21], s[20:21]
	v_mov_b32_e32 v7, 0x7e00
	s_xor_b64 exec, exec, s[20:21]
	s_cbranch_execz .LBB151_1432
.LBB151_1449:
	v_cmp_ne_u16_e32 vcc, 0, v1
	s_andn2_b64 s[18:19], s[18:19], exec
	s_and_b64 s[22:23], vcc, exec
	s_or_b64 s[18:19], s[18:19], s[22:23]
	v_mov_b32_e32 v7, v1
	s_or_b64 exec, exec, s[20:21]
	s_and_saveexec_b64 s[20:21], s[18:19]
	s_cbranch_execnz .LBB151_1433
	s_branch .LBB151_1434
.LBB151_1450:
	s_mov_b64 s[16:17], -1
                                        ; implicit-def: $vgpr7
	s_branch .LBB151_1455
.LBB151_1451:
	s_mov_b64 s[16:17], -1
                                        ; implicit-def: $vgpr7
.LBB151_1452:
	s_and_b64 vcc, exec, s[16:17]
	s_cbranch_vccz .LBB151_1454
; %bb.1453:
	global_load_ubyte v1, v[3:4], off
	s_mov_b32 s16, 0x7f800000
	s_waitcnt vmcnt(0)
	v_lshlrev_b32_e32 v1, 24, v1
	v_and_b32_e32 v2, 0x7f000000, v1
	v_ffbh_u32_e32 v7, v2
	v_min_u32_e32 v7, 32, v7
	v_sub_u32_e64 v7, v7, 4 clamp
	v_lshlrev_b32_e32 v9, v7, v2
	v_lshlrev_b32_e32 v7, 23, v7
	v_lshrrev_b32_e32 v9, 4, v9
	v_add_u32_e32 v8, 0x1000000, v2
	v_sub_u32_e32 v7, v9, v7
	v_ashrrev_i32_e32 v8, 8, v8
	v_add_u32_e32 v7, 0x3c000000, v7
	v_and_or_b32 v7, v8, s16, v7
	v_cmp_ne_u32_e32 vcc, 0, v2
	v_cndmask_b32_e32 v2, 0, v7, vcc
	s_brev_b32 s16, 1
	v_and_or_b32 v1, v1, s16, v2
	v_cvt_f16_f32_e32 v7, v1
.LBB151_1454:
	s_mov_b64 s[16:17], 0
.LBB151_1455:
	s_andn2_b64 vcc, exec, s[16:17]
	s_cbranch_vccnz .LBB151_1457
; %bb.1456:
	global_load_ubyte v1, v[3:4], off
	s_movk_i32 s16, 0x7f00
	s_brev_b32 s17, 16
	s_waitcnt vmcnt(0)
	v_lshlrev_b16_e32 v2, 8, v1
	v_lshlrev_b32_e32 v1, 25, v1
	v_lshrrev_b32_e32 v7, 4, v1
	v_and_or_b32 v8, v2, s16, 0.5
	v_or_b32_e32 v7, 0x70000000, v7
	v_add_f32_e32 v8, -0.5, v8
	v_mul_f32_e32 v7, 0x7800000, v7
	v_cmp_gt_u32_e32 vcc, s17, v1
	v_bfe_i32 v2, v2, 0, 16
	v_cndmask_b32_e32 v1, v7, v8, vcc
	s_brev_b32 s16, 1
	v_and_or_b32 v1, v2, s16, v1
	v_cvt_f16_f32_e32 v7, v1
.LBB151_1457:
	s_mov_b64 s[16:17], 0
	s_mov_b64 s[18:19], -1
.LBB151_1458:
	s_andn2_b64 vcc, exec, s[16:17]
	s_mov_b64 s[16:17], 0
	s_cbranch_vccnz .LBB151_1469
; %bb.1459:
	s_cmp_gt_i32 s30, 14
	s_cbranch_scc0 .LBB151_1462
; %bb.1460:
	s_cmp_eq_u32 s30, 15
	s_cbranch_scc0 .LBB151_1465
; %bb.1461:
	global_load_ushort v1, v[3:4], off
	s_mov_b64 s[12:13], 0
	s_mov_b64 s[18:19], -1
	s_waitcnt vmcnt(0)
	v_lshlrev_b32_e32 v1, 16, v1
	v_cvt_f16_f32_e32 v7, v1
	s_branch .LBB151_1466
.LBB151_1462:
	s_mov_b64 s[20:21], -1
                                        ; implicit-def: $vgpr7
	s_branch .LBB151_1467
.LBB151_1463:
	s_or_saveexec_b64 s[18:19], s[18:19]
	v_mov_b32_e32 v7, 0x7e00
	s_xor_b64 exec, exec, s[18:19]
	s_cbranch_execz .LBB151_1444
.LBB151_1464:
	v_cmp_ne_u16_e32 vcc, 0, v1
	s_andn2_b64 s[16:17], s[16:17], exec
	s_and_b64 s[20:21], vcc, exec
	s_or_b64 s[16:17], s[16:17], s[20:21]
	v_mov_b32_e32 v7, v1
	s_or_b64 exec, exec, s[18:19]
	s_and_saveexec_b64 s[18:19], s[16:17]
	s_cbranch_execnz .LBB151_1445
	s_branch .LBB151_1446
.LBB151_1465:
	s_mov_b64 s[12:13], -1
                                        ; implicit-def: $vgpr7
.LBB151_1466:
	s_mov_b64 s[20:21], 0
.LBB151_1467:
	s_and_b64 vcc, exec, s[20:21]
	s_cbranch_vccz .LBB151_1469
; %bb.1468:
	s_cmp_lg_u32 s30, 11
	s_cselect_b64 s[20:21], -1, 0
	s_andn2_b64 s[12:13], s[12:13], exec
	s_and_b64 s[20:21], s[20:21], exec
	s_mov_b64 s[16:17], -1
	s_or_b64 s[12:13], s[12:13], s[20:21]
.LBB151_1469:
	v_mov_b32_e32 v8, 0
.LBB151_1470:
	s_mov_b64 s[20:21], 0
.LBB151_1471:
	s_andn2_b64 s[22:23], s[42:43], exec
	s_and_b64 s[12:13], s[12:13], exec
	s_and_b64 s[18:19], s[18:19], exec
	;; [unrolled: 1-line block ×4, first 2 shown]
	s_or_b64 s[42:43], s[22:23], s[12:13]
	s_or_b64 exec, exec, s[0:1]
	s_and_saveexec_b64 s[0:1], s[42:43]
	s_cbranch_execz .LBB151_1397
.LBB151_1472:
	s_or_b64 s[10:11], s[10:11], exec
	s_andn2_b64 s[16:17], s[16:17], exec
	s_trap 2
	s_or_b64 exec, exec, s[0:1]
	s_and_saveexec_b64 s[0:1], s[16:17]
	s_xor_b64 s[0:1], exec, s[0:1]
	s_cbranch_execnz .LBB151_1398
.LBB151_1473:
	s_or_b64 exec, exec, s[0:1]
	s_and_saveexec_b64 s[0:1], s[20:21]
	s_cbranch_execz .LBB151_1521
.LBB151_1474:
	s_sext_i32_i16 s12, s14
	s_cmp_lt_i32 s12, 5
	s_cbranch_scc1 .LBB151_1479
; %bb.1475:
	s_cmp_lt_i32 s12, 8
	s_cbranch_scc1 .LBB151_1480
; %bb.1476:
	;; [unrolled: 3-line block ×3, first 2 shown]
	s_cmp_gt_i32 s12, 9
	s_cbranch_scc0 .LBB151_1482
; %bb.1478:
	s_waitcnt vmcnt(0)
	global_load_dwordx4 v[7:10], v[3:4], off
	s_movk_i32 s12, 0x1ff
	s_movk_i32 s13, 0xffe
	v_mov_b32_e32 v1, 0x7c00
	v_mov_b32_e32 v2, 0x7e00
	s_movk_i32 s16, 0x40f
	s_mov_b32 s17, 0x8000
	s_waitcnt vmcnt(0)
	v_and_or_b32 v7, v8, s12, v7
	v_and_or_b32 v9, v10, s12, v9
	v_cmp_ne_u32_e32 vcc, 0, v7
	v_lshrrev_b32_e32 v11, 8, v8
	v_bfe_u32 v12, v8, 20, 11
	v_cndmask_b32_e64 v7, 0, 1, vcc
	v_cmp_ne_u32_e32 vcc, 0, v9
	v_lshrrev_b32_e32 v13, 8, v10
	v_bfe_u32 v14, v10, 20, 11
	v_sub_u32_e32 v15, 0x3f1, v12
	v_cndmask_b32_e64 v9, 0, 1, vcc
	v_and_or_b32 v7, v11, s13, v7
	v_add_u32_e32 v12, 0xfffffc10, v12
	v_sub_u32_e32 v16, 0x3f1, v14
	v_add_u32_e32 v14, 0xfffffc10, v14
	v_med3_i32 v11, v15, 0, 13
	v_and_or_b32 v9, v13, s13, v9
	v_or_b32_e32 v15, 0x1000, v7
	v_cmp_ne_u32_e32 vcc, 0, v7
	v_med3_i32 v13, v16, 0, 13
	v_lshl_or_b32 v16, v12, 12, v7
	v_cndmask_b32_e32 v7, v1, v2, vcc
	v_or_b32_e32 v17, 0x1000, v9
	v_lshl_or_b32 v18, v14, 12, v9
	v_cmp_ne_u32_e32 vcc, 0, v9
	v_lshrrev_b32_e32 v9, v11, v15
	v_lshrrev_b32_e32 v19, v13, v17
	v_lshlrev_b32_e32 v11, v11, v9
	v_cndmask_b32_e32 v2, v1, v2, vcc
	v_lshlrev_b32_e32 v13, v13, v19
	v_cmp_ne_u32_e32 vcc, v11, v15
	v_cndmask_b32_e64 v11, 0, 1, vcc
	v_cmp_ne_u32_e32 vcc, v13, v17
	v_cndmask_b32_e64 v13, 0, 1, vcc
	v_or_b32_e32 v9, v9, v11
	v_cmp_gt_i32_e32 vcc, 1, v12
	v_cndmask_b32_e32 v9, v16, v9, vcc
	v_or_b32_e32 v11, v19, v13
	v_cmp_gt_i32_e32 vcc, 1, v14
	v_and_b32_e32 v13, 7, v9
	v_cndmask_b32_e32 v11, v18, v11, vcc
	v_cmp_lt_i32_e32 vcc, 5, v13
	v_and_b32_e32 v15, 7, v11
	v_cndmask_b32_e64 v16, 0, 1, vcc
	v_cmp_eq_u32_e32 vcc, 3, v13
	v_cndmask_b32_e64 v13, 0, 1, vcc
	v_cmp_lt_i32_e32 vcc, 5, v15
	v_cndmask_b32_e64 v17, 0, 1, vcc
	v_cmp_eq_u32_e32 vcc, 3, v15
	v_lshrrev_b32_e32 v9, 2, v9
	v_cndmask_b32_e64 v15, 0, 1, vcc
	v_or_b32_e32 v13, v13, v16
	v_lshrrev_b32_e32 v11, 2, v11
	v_or_b32_e32 v15, v15, v17
	v_add_u32_e32 v9, v9, v13
	v_cmp_gt_i32_e32 vcc, 31, v12
	v_add_u32_e32 v11, v11, v15
	v_cndmask_b32_e32 v9, v1, v9, vcc
	v_cmp_gt_i32_e32 vcc, 31, v14
	v_cndmask_b32_e32 v1, v1, v11, vcc
	v_cmp_eq_u32_e32 vcc, s16, v12
	v_cndmask_b32_e32 v7, v9, v7, vcc
	v_cmp_eq_u32_e32 vcc, s16, v14
	v_lshrrev_b32_e32 v8, 16, v8
	v_lshrrev_b32_e32 v10, 16, v10
	v_cndmask_b32_e32 v1, v1, v2, vcc
	v_and_or_b32 v7, v8, s17, v7
	v_and_or_b32 v8, v10, s17, v1
	s_mov_b64 s[12:13], 0
	s_branch .LBB151_1483
.LBB151_1479:
                                        ; implicit-def: $vgpr8
                                        ; implicit-def: $vgpr7
	s_branch .LBB151_1501
.LBB151_1480:
                                        ; implicit-def: $vgpr8
                                        ; implicit-def: $vgpr7
	s_branch .LBB151_1489
.LBB151_1481:
	s_mov_b64 s[12:13], -1
                                        ; implicit-def: $vgpr8
                                        ; implicit-def: $vgpr7
	s_branch .LBB151_1486
.LBB151_1482:
	s_mov_b64 s[12:13], -1
                                        ; implicit-def: $vgpr8
                                        ; implicit-def: $vgpr7
.LBB151_1483:
	s_andn2_b64 vcc, exec, s[12:13]
	s_cbranch_vccnz .LBB151_1485
; %bb.1484:
	s_waitcnt vmcnt(0)
	global_load_dwordx2 v[1:2], v[3:4], off
	s_waitcnt vmcnt(0)
	v_cvt_f16_f32_e32 v7, v1
	v_cvt_f16_f32_e32 v8, v2
.LBB151_1485:
	s_mov_b64 s[12:13], 0
.LBB151_1486:
	s_andn2_b64 vcc, exec, s[12:13]
	s_cbranch_vccnz .LBB151_1488
; %bb.1487:
	s_waitcnt vmcnt(0)
	global_load_dword v7, v[3:4], off
	s_waitcnt vmcnt(0)
	v_lshrrev_b32_e32 v8, 16, v7
.LBB151_1488:
	s_cbranch_execnz .LBB151_1500
.LBB151_1489:
	s_sext_i32_i16 s12, s14
	s_cmp_lt_i32 s12, 6
	s_cbranch_scc1 .LBB151_1492
; %bb.1490:
	s_cmp_gt_i32 s12, 6
	s_cbranch_scc0 .LBB151_1493
; %bb.1491:
	s_waitcnt vmcnt(0)
	global_load_dwordx2 v[1:2], v[3:4], off
	s_movk_i32 s12, 0x1ff
	s_movk_i32 s13, 0xffe
	v_mov_b32_e32 v7, 0x7c00
	v_mov_b32_e32 v8, 0x7e00
	s_movk_i32 s16, 0x40f
	s_mov_b32 s17, 0x8000
	s_waitcnt vmcnt(0)
	v_and_or_b32 v1, v2, s12, v1
	v_cmp_ne_u32_e32 vcc, 0, v1
	v_lshrrev_b32_e32 v9, 8, v2
	v_bfe_u32 v10, v2, 20, 11
	v_cndmask_b32_e64 v1, 0, 1, vcc
	v_sub_u32_e32 v11, 0x3f1, v10
	v_and_or_b32 v1, v9, s13, v1
	v_add_u32_e32 v10, 0xfffffc10, v10
	v_med3_i32 v9, v11, 0, 13
	v_or_b32_e32 v11, 0x1000, v1
	v_cmp_ne_u32_e32 vcc, 0, v1
	v_lshl_or_b32 v12, v10, 12, v1
	v_cndmask_b32_e32 v1, v7, v8, vcc
	v_lshrrev_b32_e32 v8, v9, v11
	v_lshlrev_b32_e32 v9, v9, v8
	v_cmp_ne_u32_e32 vcc, v9, v11
	v_cndmask_b32_e64 v9, 0, 1, vcc
	v_or_b32_e32 v8, v8, v9
	v_cmp_gt_i32_e32 vcc, 1, v10
	v_cndmask_b32_e32 v8, v12, v8, vcc
	v_and_b32_e32 v9, 7, v8
	v_cmp_lt_i32_e32 vcc, 5, v9
	v_cndmask_b32_e64 v11, 0, 1, vcc
	v_cmp_eq_u32_e32 vcc, 3, v9
	v_cndmask_b32_e64 v9, 0, 1, vcc
	v_lshrrev_b32_e32 v8, 2, v8
	v_or_b32_e32 v9, v9, v11
	v_add_u32_e32 v8, v8, v9
	v_cmp_gt_i32_e32 vcc, 31, v10
	v_cndmask_b32_e32 v7, v7, v8, vcc
	v_cmp_eq_u32_e32 vcc, s16, v10
	v_lshrrev_b32_e32 v2, 16, v2
	v_cndmask_b32_e32 v1, v7, v1, vcc
	v_and_or_b32 v7, v2, s17, v1
	s_mov_b64 s[12:13], 0
	s_branch .LBB151_1494
.LBB151_1492:
	s_mov_b64 s[12:13], -1
                                        ; implicit-def: $vgpr7
	s_branch .LBB151_1497
.LBB151_1493:
	s_mov_b64 s[12:13], -1
                                        ; implicit-def: $vgpr7
.LBB151_1494:
	s_andn2_b64 vcc, exec, s[12:13]
	s_cbranch_vccnz .LBB151_1496
; %bb.1495:
	s_waitcnt vmcnt(0)
	global_load_dword v1, v[3:4], off
	s_waitcnt vmcnt(0)
	v_cvt_f16_f32_e32 v7, v1
.LBB151_1496:
	s_mov_b64 s[12:13], 0
.LBB151_1497:
	s_andn2_b64 vcc, exec, s[12:13]
	s_cbranch_vccnz .LBB151_1499
; %bb.1498:
	s_waitcnt vmcnt(0)
	global_load_ushort v7, v[3:4], off
.LBB151_1499:
	v_mov_b32_e32 v8, 0
.LBB151_1500:
	s_cbranch_execnz .LBB151_1520
.LBB151_1501:
	s_sext_i32_i16 s12, s14
	s_cmp_lt_i32 s12, 2
	s_cbranch_scc1 .LBB151_1505
; %bb.1502:
	s_cmp_lt_i32 s12, 3
	s_cbranch_scc1 .LBB151_1506
; %bb.1503:
	s_cmp_gt_i32 s12, 3
	s_cbranch_scc0 .LBB151_1507
; %bb.1504:
	s_waitcnt vmcnt(0)
	global_load_dwordx2 v[1:2], v[3:4], off
	s_mov_b64 s[12:13], 0
	s_waitcnt vmcnt(0)
	v_xor_b32_e32 v8, v1, v2
	v_ffbh_i32_e32 v7, v2
	v_ashrrev_i32_e32 v8, 31, v8
	v_add_u32_e32 v7, -1, v7
	v_add_u32_e32 v8, 32, v8
	v_min_u32_e32 v7, v7, v8
	v_lshlrev_b64 v[1:2], v7, v[1:2]
	v_min_u32_e32 v1, 1, v1
	v_or_b32_e32 v1, v2, v1
	v_cvt_f32_i32_e32 v1, v1
	v_sub_u32_e32 v2, 32, v7
	v_ldexp_f32 v1, v1, v2
	v_cvt_f16_f32_e32 v7, v1
	s_branch .LBB151_1508
.LBB151_1505:
                                        ; implicit-def: $vgpr7
	s_branch .LBB151_1514
.LBB151_1506:
	s_mov_b64 s[12:13], -1
                                        ; implicit-def: $vgpr7
	s_branch .LBB151_1511
.LBB151_1507:
	s_mov_b64 s[12:13], -1
                                        ; implicit-def: $vgpr7
.LBB151_1508:
	s_andn2_b64 vcc, exec, s[12:13]
	s_cbranch_vccnz .LBB151_1510
; %bb.1509:
	s_waitcnt vmcnt(0)
	global_load_dword v1, v[3:4], off
	s_waitcnt vmcnt(0)
	v_cvt_f32_i32_e32 v1, v1
	v_cvt_f16_f32_e32 v7, v1
.LBB151_1510:
	s_mov_b64 s[12:13], 0
.LBB151_1511:
	s_andn2_b64 vcc, exec, s[12:13]
	s_cbranch_vccnz .LBB151_1513
; %bb.1512:
	s_waitcnt vmcnt(0)
	global_load_ushort v1, v[3:4], off
	s_waitcnt vmcnt(0)
	v_cvt_f16_i16_e32 v7, v1
.LBB151_1513:
	s_cbranch_execnz .LBB151_1519
.LBB151_1514:
	s_sext_i32_i16 s12, s14
	s_cmp_gt_i32 s12, 0
	s_cbranch_scc0 .LBB151_1516
; %bb.1515:
	s_waitcnt vmcnt(0)
	global_load_sbyte v1, v[3:4], off
	s_mov_b64 s[12:13], 0
	s_waitcnt vmcnt(0)
	v_cvt_f16_i16_e32 v7, v1
	s_branch .LBB151_1517
.LBB151_1516:
	s_mov_b64 s[12:13], -1
                                        ; implicit-def: $vgpr7
.LBB151_1517:
	s_andn2_b64 vcc, exec, s[12:13]
	s_cbranch_vccnz .LBB151_1519
; %bb.1518:
	s_waitcnt vmcnt(0)
	global_load_ubyte v1, v[3:4], off
	s_waitcnt vmcnt(0)
	v_cvt_f16_u16_e32 v7, v1
.LBB151_1519:
	v_mov_b32_e32 v8, 0
.LBB151_1520:
	s_or_b64 s[18:19], s[18:19], exec
.LBB151_1521:
	s_or_b64 exec, exec, s[0:1]
	s_mov_b64 s[22:23], 0
	s_mov_b64 s[20:21], 0
                                        ; implicit-def: $sgpr12_sgpr13
                                        ; implicit-def: $sgpr30
                                        ; implicit-def: $vgpr1_vgpr2
	s_and_saveexec_b64 s[16:17], s[18:19]
	s_cbranch_execz .LBB151_1599
; %bb.1522:
	s_andn2_b64 vcc, exec, s[28:29]
	s_cbranch_vccnz .LBB151_1603
; %bb.1523:
	s_waitcnt vmcnt(0)
	v_cmp_neq_f16_e32 vcc, v5, v7
	v_cmp_neq_f16_e64 s[0:1], v6, v8
	s_or_b64 s[12:13], vcc, s[0:1]
	s_cbranch_execnz .LBB151_1525
.LBB151_1524:
	s_waitcnt vmcnt(0)
	v_cmp_eq_f16_e32 vcc, v5, v7
	v_cmp_eq_f16_e64 s[0:1], v6, v8
	s_and_b64 s[0:1], vcc, s[0:1]
	s_andn2_b64 s[12:13], s[12:13], exec
	s_and_b64 s[0:1], s[0:1], exec
	s_or_b64 s[12:13], s[12:13], s[0:1]
.LBB151_1525:
	v_mov_b32_e32 v2, s9
	s_and_b32 s30, s15, 0xff
	v_add_co_u32_e32 v1, vcc, s8, v0
	s_cmp_lt_i32 s30, 11
	v_addc_co_u32_e32 v2, vcc, 0, v2, vcc
	s_cbranch_scc1 .LBB151_1602
; %bb.1526:
	s_and_b32 s22, 0xffff, s30
	s_mov_b64 s[14:15], -1
	s_cmp_gt_i32 s22, 25
	s_mov_b64 s[0:1], s[40:41]
	s_cbranch_scc0 .LBB151_1559
; %bb.1527:
	s_mov_b64 s[8:9], -1
	s_cmp_gt_i32 s22, 28
	s_mov_b64 s[0:1], s[40:41]
	s_cbranch_scc0 .LBB151_1543
; %bb.1528:
	s_cmp_gt_i32 s22, 43
	s_mov_b64 s[0:1], s[40:41]
	s_cbranch_scc0 .LBB151_1539
; %bb.1529:
	;; [unrolled: 4-line block ×3, first 2 shown]
	s_cmp_eq_u32 s22, 46
	s_mov_b64 s[0:1], -1
	s_cbranch_scc0 .LBB151_1532
; %bb.1531:
	v_cndmask_b32_e64 v0, 0, 1.0, s[12:13]
	s_waitcnt vmcnt(0)
	v_bfe_u32 v3, v0, 16, 1
	s_movk_i32 s0, 0x7fff
	v_add3_u32 v0, v0, v3, s0
	v_lshrrev_b32_e32 v0, 16, v0
	global_store_dword v[1:2], v0, off
	s_mov_b64 s[0:1], 0
.LBB151_1532:
	s_mov_b64 s[8:9], 0
.LBB151_1533:
	s_and_b64 vcc, exec, s[8:9]
	s_cbranch_vccz .LBB151_1538
; %bb.1534:
	s_cmp_eq_u32 s22, 44
	s_mov_b64 s[0:1], -1
	s_cbranch_scc0 .LBB151_1538
; %bb.1535:
	s_waitcnt vmcnt(0)
	v_cndmask_b32_e64 v3, 0, 1.0, s[12:13]
	v_lshrrev_b32_e32 v0, 23, v3
	s_movk_i32 s0, 0xff
	v_cmp_ne_u32_e32 vcc, s0, v0
	v_mov_b32_e32 v4, 0xff
	s_and_saveexec_b64 s[8:9], vcc
; %bb.1536:
	s_mov_b32 s0, 0x3fffff
	v_and_b32_e32 v4, 0x400000, v3
	v_and_or_b32 v3, v3, s0, v0
	v_cmp_ne_u32_e32 vcc, 0, v4
	v_cmp_ne_u32_e64 s[0:1], 0, v3
	s_and_b64 s[0:1], vcc, s[0:1]
	v_cndmask_b32_e64 v3, 0, 1, s[0:1]
	v_add_u32_e32 v4, v0, v3
; %bb.1537:
	s_or_b64 exec, exec, s[8:9]
	s_mov_b64 s[0:1], 0
	global_store_byte v[1:2], v4, off
.LBB151_1538:
	s_mov_b64 s[8:9], 0
.LBB151_1539:
	s_and_b64 vcc, exec, s[8:9]
	s_cbranch_vccz .LBB151_1542
; %bb.1540:
	s_cmp_eq_u32 s22, 29
	s_mov_b64 s[0:1], -1
	s_cbranch_scc0 .LBB151_1542
; %bb.1541:
	s_mov_b32 s0, 0
	s_waitcnt vmcnt(0)
	v_cndmask_b32_e64 v3, 0, 1, s[12:13]
	v_mov_b32_e32 v4, s0
	global_store_dwordx2 v[1:2], v[3:4], off
	s_mov_b64 s[0:1], 0
.LBB151_1542:
	s_mov_b64 s[8:9], 0
.LBB151_1543:
	s_and_b64 vcc, exec, s[8:9]
	s_cbranch_vccz .LBB151_1558
; %bb.1544:
	s_cmp_lt_i32 s22, 27
	s_mov_b64 s[8:9], -1
	s_cbranch_scc1 .LBB151_1550
; %bb.1545:
	s_cmp_gt_i32 s22, 27
	s_cbranch_scc0 .LBB151_1547
; %bb.1546:
	v_cndmask_b32_e64 v0, 0, 1, s[12:13]
	s_mov_b64 s[8:9], 0
	global_store_dword v[1:2], v0, off
.LBB151_1547:
	s_andn2_b64 vcc, exec, s[8:9]
	s_cbranch_vccnz .LBB151_1549
; %bb.1548:
	v_cndmask_b32_e64 v0, 0, 1, s[12:13]
	global_store_short v[1:2], v0, off
.LBB151_1549:
	s_mov_b64 s[8:9], 0
.LBB151_1550:
	s_andn2_b64 vcc, exec, s[8:9]
	s_cbranch_vccnz .LBB151_1558
; %bb.1551:
	s_waitcnt vmcnt(0)
	v_cndmask_b32_e64 v3, 0, 1.0, s[12:13]
	s_mov_b32 s8, 0x43800000
	v_cmp_gt_u32_e32 vcc, s8, v3
	v_mov_b32_e32 v4, 0x80
	s_and_saveexec_b64 s[8:9], vcc
	s_cbranch_execz .LBB151_1557
; %bb.1552:
	s_mov_b32 s14, 0x3bffffff
	v_cmp_lt_u32_e32 vcc, s14, v3
	s_mov_b64 s[14:15], 0
                                        ; implicit-def: $vgpr0
	s_and_saveexec_b64 s[18:19], vcc
	s_xor_b64 s[18:19], exec, s[18:19]
	s_cbranch_execz .LBB151_1704
; %bb.1553:
	v_bfe_u32 v0, v3, 20, 1
	s_mov_b32 s20, 0x487ffff
	v_add3_u32 v0, v3, v0, s20
	s_mov_b64 s[14:15], exec
	v_lshrrev_b32_e32 v0, 20, v0
                                        ; implicit-def: $vgpr3
	s_andn2_saveexec_b64 s[18:19], s[18:19]
	s_cbranch_execnz .LBB151_1705
.LBB151_1554:
	s_or_b64 exec, exec, s[18:19]
	v_mov_b32_e32 v4, 0
	s_and_saveexec_b64 s[18:19], s[14:15]
.LBB151_1555:
	v_mov_b32_e32 v4, v0
.LBB151_1556:
	s_or_b64 exec, exec, s[18:19]
.LBB151_1557:
	s_or_b64 exec, exec, s[8:9]
	global_store_byte v[1:2], v4, off
.LBB151_1558:
	s_mov_b64 s[14:15], 0
.LBB151_1559:
	s_mov_b64 s[8:9], 0
	s_and_b64 vcc, exec, s[14:15]
	s_cbranch_vccz .LBB151_1604
; %bb.1560:
	s_cmp_gt_i32 s22, 22
	s_mov_b64 s[14:15], -1
	s_cbranch_scc0 .LBB151_1592
; %bb.1561:
	s_cmp_lt_i32 s22, 24
	s_cbranch_scc1 .LBB151_1581
; %bb.1562:
	s_cmp_gt_i32 s22, 24
	s_cbranch_scc0 .LBB151_1570
; %bb.1563:
	s_waitcnt vmcnt(0)
	v_cndmask_b32_e64 v3, 0, 1.0, s[12:13]
	s_mov_b32 s14, 0x47800000
	v_cmp_gt_u32_e32 vcc, s14, v3
	v_mov_b32_e32 v4, 0x80
	s_and_saveexec_b64 s[14:15], vcc
	s_cbranch_execz .LBB151_1569
; %bb.1564:
	s_mov_b32 s18, 0x37ffffff
	v_cmp_lt_u32_e32 vcc, s18, v3
	s_mov_b64 s[18:19], 0
                                        ; implicit-def: $vgpr0
	s_and_saveexec_b64 s[20:21], vcc
	s_xor_b64 s[20:21], exec, s[20:21]
	s_cbranch_execz .LBB151_1834
; %bb.1565:
	v_bfe_u32 v0, v3, 21, 1
	s_mov_b32 s23, 0x88fffff
	v_add3_u32 v0, v3, v0, s23
	s_mov_b64 s[18:19], exec
	v_lshrrev_b32_e32 v0, 21, v0
                                        ; implicit-def: $vgpr3
	s_andn2_saveexec_b64 s[20:21], s[20:21]
	s_cbranch_execnz .LBB151_1835
.LBB151_1566:
	s_or_b64 exec, exec, s[20:21]
	v_mov_b32_e32 v4, 0
	s_and_saveexec_b64 s[20:21], s[18:19]
.LBB151_1567:
	v_mov_b32_e32 v4, v0
.LBB151_1568:
	s_or_b64 exec, exec, s[20:21]
.LBB151_1569:
	s_or_b64 exec, exec, s[14:15]
	s_mov_b64 s[14:15], 0
	global_store_byte v[1:2], v4, off
.LBB151_1570:
	s_and_b64 vcc, exec, s[14:15]
	s_cbranch_vccz .LBB151_1580
; %bb.1571:
	v_cndmask_b32_e64 v0, 0, 1.0, s[12:13]
	s_mov_b32 s14, 0x43f00000
	v_cmp_gt_u32_e32 vcc, s14, v0
                                        ; implicit-def: $vgpr3
	s_and_saveexec_b64 s[14:15], vcc
	s_xor_b64 s[14:15], exec, s[14:15]
	s_cbranch_execz .LBB151_1577
; %bb.1572:
	s_mov_b32 s18, 0x3c7fffff
	v_cmp_lt_u32_e32 vcc, s18, v0
                                        ; implicit-def: $vgpr3
	s_and_saveexec_b64 s[18:19], vcc
	s_xor_b64 s[18:19], exec, s[18:19]
	s_cbranch_execz .LBB151_1574
; %bb.1573:
	s_waitcnt vmcnt(0)
	v_bfe_u32 v3, v0, 20, 1
	s_mov_b32 s20, 0x407ffff
	v_add3_u32 v0, v0, v3, s20
	v_lshrrev_b32_e32 v3, 20, v0
	v_and_b32_e32 v0, 0xff00000, v0
	s_mov_b32 s20, 0x7f00000
	v_mov_b32_e32 v4, 0x7e
	v_cmp_ne_u32_e32 vcc, s20, v0
	v_cndmask_b32_e32 v3, v4, v3, vcc
                                        ; implicit-def: $vgpr0
.LBB151_1574:
	s_andn2_saveexec_b64 s[18:19], s[18:19]
	s_cbranch_execz .LBB151_1576
; %bb.1575:
	s_waitcnt vmcnt(0)
	v_add_f32_e32 v3, 0x46800000, v0
.LBB151_1576:
	s_or_b64 exec, exec, s[18:19]
                                        ; implicit-def: $vgpr0
.LBB151_1577:
	s_andn2_saveexec_b64 s[14:15], s[14:15]
	s_cbranch_execz .LBB151_1579
; %bb.1578:
	s_mov_b32 s18, 0x7f800000
	s_waitcnt vmcnt(0)
	v_mov_b32_e32 v3, 0x7e
	v_mov_b32_e32 v4, 0x7f
	v_cmp_lt_u32_e32 vcc, s18, v0
	v_cndmask_b32_e32 v3, v3, v4, vcc
.LBB151_1579:
	s_or_b64 exec, exec, s[14:15]
	s_waitcnt vmcnt(0)
	global_store_byte v[1:2], v3, off
.LBB151_1580:
	s_mov_b64 s[14:15], 0
.LBB151_1581:
	s_andn2_b64 vcc, exec, s[14:15]
	s_cbranch_vccnz .LBB151_1591
; %bb.1582:
	v_cndmask_b32_e64 v0, 0, 1.0, s[12:13]
	s_mov_b32 s14, 0x47800000
	v_cmp_gt_u32_e32 vcc, s14, v0
                                        ; implicit-def: $vgpr3
	s_and_saveexec_b64 s[14:15], vcc
	s_xor_b64 s[14:15], exec, s[14:15]
	s_cbranch_execz .LBB151_1588
; %bb.1583:
	s_mov_b32 s18, 0x387fffff
	v_cmp_lt_u32_e32 vcc, s18, v0
                                        ; implicit-def: $vgpr3
	s_and_saveexec_b64 s[18:19], vcc
	s_xor_b64 s[18:19], exec, s[18:19]
	s_cbranch_execz .LBB151_1585
; %bb.1584:
	s_waitcnt vmcnt(0)
	v_bfe_u32 v3, v0, 21, 1
	s_mov_b32 s20, 0x80fffff
	v_add3_u32 v0, v0, v3, s20
	v_lshrrev_b32_e32 v3, 21, v0
                                        ; implicit-def: $vgpr0
.LBB151_1585:
	s_andn2_saveexec_b64 s[18:19], s[18:19]
	s_cbranch_execz .LBB151_1587
; %bb.1586:
	s_waitcnt vmcnt(0)
	v_add_f32_e32 v3, 0x43000000, v0
.LBB151_1587:
	s_or_b64 exec, exec, s[18:19]
                                        ; implicit-def: $vgpr0
.LBB151_1588:
	s_andn2_saveexec_b64 s[14:15], s[14:15]
	s_cbranch_execz .LBB151_1590
; %bb.1589:
	s_mov_b32 s18, 0x7f800000
	s_waitcnt vmcnt(0)
	v_mov_b32_e32 v3, 0x7c
	v_mov_b32_e32 v4, 0x7f
	v_cmp_lt_u32_e32 vcc, s18, v0
	v_cndmask_b32_e32 v3, v3, v4, vcc
.LBB151_1590:
	s_or_b64 exec, exec, s[14:15]
	s_waitcnt vmcnt(0)
	global_store_byte v[1:2], v3, off
.LBB151_1591:
	s_mov_b64 s[14:15], 0
.LBB151_1592:
	s_andn2_b64 vcc, exec, s[14:15]
	s_mov_b64 s[14:15], 0
	s_cbranch_vccnz .LBB151_1605
; %bb.1593:
	s_cmp_gt_i32 s22, 14
	s_mov_b64 s[18:19], -1
	s_cbranch_scc0 .LBB151_1597
; %bb.1594:
	s_cmp_eq_u32 s22, 15
	s_mov_b64 s[0:1], -1
	s_cbranch_scc0 .LBB151_1596
; %bb.1595:
	v_cndmask_b32_e64 v0, 0, 1.0, s[12:13]
	s_waitcnt vmcnt(0)
	v_bfe_u32 v3, v0, 16, 1
	s_movk_i32 s0, 0x7fff
	v_add3_u32 v0, v0, v3, s0
	global_store_short_d16_hi v[1:2], v0, off
	s_mov_b64 s[0:1], 0
.LBB151_1596:
	s_mov_b64 s[18:19], 0
.LBB151_1597:
	s_and_b64 vcc, exec, s[18:19]
	s_cbranch_vccz .LBB151_1605
; %bb.1598:
	s_cmp_lg_u32 s22, 11
	s_cselect_b64 s[18:19], -1, 0
	s_andn2_b64 s[0:1], s[0:1], exec
	s_and_b64 s[18:19], s[18:19], exec
	s_mov_b64 s[14:15], -1
	s_or_b64 s[0:1], s[0:1], s[18:19]
	s_branch .LBB151_1605
.LBB151_1599:
	s_or_b64 exec, exec, s[16:17]
	s_and_saveexec_b64 s[0:1], s[40:41]
	s_cbranch_execnz .LBB151_1606
.LBB151_1600:
	s_or_b64 exec, exec, s[0:1]
	s_and_saveexec_b64 s[0:1], s[22:23]
	s_xor_b64 s[0:1], exec, s[0:1]
	s_cbranch_execz .LBB151_1607
.LBB151_1601:
	v_cndmask_b32_e64 v0, 0, 1, s[12:13]
	global_store_byte v[1:2], v0, off
	s_or_b64 exec, exec, s[0:1]
	s_and_saveexec_b64 s[0:1], s[20:21]
	s_xor_b64 s[0:1], exec, s[0:1]
	s_cbranch_execz .LBB151_1645
	s_branch .LBB151_1608
.LBB151_1602:
	s_mov_b64 s[14:15], 0
	s_mov_b64 s[8:9], -1
	s_mov_b64 s[0:1], s[40:41]
	s_branch .LBB151_1605
.LBB151_1603:
                                        ; implicit-def: $sgpr12_sgpr13
	s_branch .LBB151_1524
.LBB151_1604:
	s_mov_b64 s[14:15], 0
.LBB151_1605:
	s_and_b64 s[20:21], s[8:9], exec
	s_andn2_b64 s[8:9], s[40:41], exec
	s_and_b64 s[0:1], s[0:1], exec
	s_and_b64 s[22:23], s[14:15], exec
	s_or_b64 s[40:41], s[8:9], s[0:1]
	s_or_b64 exec, exec, s[16:17]
	s_and_saveexec_b64 s[0:1], s[40:41]
	s_cbranch_execz .LBB151_1600
.LBB151_1606:
	s_or_b64 s[10:11], s[10:11], exec
	s_andn2_b64 s[22:23], s[22:23], exec
	s_trap 2
	s_or_b64 exec, exec, s[0:1]
	s_and_saveexec_b64 s[0:1], s[22:23]
	s_xor_b64 s[0:1], exec, s[0:1]
	s_cbranch_execnz .LBB151_1601
.LBB151_1607:
	s_or_b64 exec, exec, s[0:1]
	s_and_saveexec_b64 s[0:1], s[20:21]
	s_xor_b64 s[0:1], exec, s[0:1]
	s_cbranch_execz .LBB151_1645
.LBB151_1608:
	s_sext_i32_i16 s14, s30
	s_cmp_lt_i32 s14, 5
	s_mov_b64 s[8:9], -1
	s_cbranch_scc1 .LBB151_1629
; %bb.1609:
	s_cmp_lt_i32 s14, 8
	s_cbranch_scc1 .LBB151_1619
; %bb.1610:
	s_cmp_lt_i32 s14, 9
	s_cbranch_scc1 .LBB151_1616
; %bb.1611:
	s_cmp_gt_i32 s14, 9
	s_cbranch_scc0 .LBB151_1613
; %bb.1612:
	v_cndmask_b32_e64 v0, 0, 1, s[12:13]
	s_waitcnt vmcnt(0)
	v_cvt_f64_u32_e32 v[3:4], v0
	v_mov_b32_e32 v5, 0
	v_mov_b32_e32 v6, v5
	s_mov_b64 s[8:9], 0
	global_store_dwordx4 v[1:2], v[3:6], off
.LBB151_1613:
	s_andn2_b64 vcc, exec, s[8:9]
	s_cbranch_vccnz .LBB151_1615
; %bb.1614:
	s_waitcnt vmcnt(0)
	v_cndmask_b32_e64 v3, 0, 1.0, s[12:13]
	v_mov_b32_e32 v4, 0
	global_store_dwordx2 v[1:2], v[3:4], off
.LBB151_1615:
	s_mov_b64 s[8:9], 0
.LBB151_1616:
	s_andn2_b64 vcc, exec, s[8:9]
	s_cbranch_vccnz .LBB151_1618
; %bb.1617:
	v_cndmask_b32_e64 v0, 0, 1.0, s[12:13]
	v_cvt_f16_f32_e32 v0, v0
	global_store_dword v[1:2], v0, off
.LBB151_1618:
	s_mov_b64 s[8:9], 0
.LBB151_1619:
	s_andn2_b64 vcc, exec, s[8:9]
	s_cbranch_vccnz .LBB151_1628
; %bb.1620:
	s_sext_i32_i16 s14, s30
	s_cmp_lt_i32 s14, 6
	s_mov_b64 s[8:9], -1
	s_cbranch_scc1 .LBB151_1626
; %bb.1621:
	s_cmp_gt_i32 s14, 6
	s_cbranch_scc0 .LBB151_1623
; %bb.1622:
	v_cndmask_b32_e64 v0, 0, 1, s[12:13]
	s_waitcnt vmcnt(0)
	v_cvt_f64_u32_e32 v[3:4], v0
	s_mov_b64 s[8:9], 0
	global_store_dwordx2 v[1:2], v[3:4], off
.LBB151_1623:
	s_andn2_b64 vcc, exec, s[8:9]
	s_cbranch_vccnz .LBB151_1625
; %bb.1624:
	v_cndmask_b32_e64 v0, 0, 1.0, s[12:13]
	global_store_dword v[1:2], v0, off
.LBB151_1625:
	s_mov_b64 s[8:9], 0
.LBB151_1626:
	s_andn2_b64 vcc, exec, s[8:9]
	s_cbranch_vccnz .LBB151_1628
; %bb.1627:
	v_cndmask_b32_e64 v0, 0, 1.0, s[12:13]
	v_cvt_f16_f32_e32 v0, v0
	global_store_short v[1:2], v0, off
.LBB151_1628:
	s_mov_b64 s[8:9], 0
.LBB151_1629:
	s_andn2_b64 vcc, exec, s[8:9]
	s_cbranch_vccnz .LBB151_1645
; %bb.1630:
	s_sext_i32_i16 s14, s30
	s_cmp_lt_i32 s14, 2
	s_mov_b64 s[8:9], -1
	s_cbranch_scc1 .LBB151_1640
; %bb.1631:
	s_cmp_lt_i32 s14, 3
	s_cbranch_scc1 .LBB151_1637
; %bb.1632:
	s_cmp_gt_i32 s14, 3
	s_cbranch_scc0 .LBB151_1634
; %bb.1633:
	s_mov_b32 s8, 0
	s_waitcnt vmcnt(0)
	v_cndmask_b32_e64 v3, 0, 1, s[12:13]
	v_mov_b32_e32 v4, s8
	s_mov_b64 s[8:9], 0
	global_store_dwordx2 v[1:2], v[3:4], off
.LBB151_1634:
	s_andn2_b64 vcc, exec, s[8:9]
	s_cbranch_vccnz .LBB151_1636
; %bb.1635:
	v_cndmask_b32_e64 v0, 0, 1, s[12:13]
	global_store_dword v[1:2], v0, off
.LBB151_1636:
	s_mov_b64 s[8:9], 0
.LBB151_1637:
	s_andn2_b64 vcc, exec, s[8:9]
	s_cbranch_vccnz .LBB151_1639
; %bb.1638:
	v_cndmask_b32_e64 v0, 0, 1, s[12:13]
	global_store_short v[1:2], v0, off
.LBB151_1639:
	s_mov_b64 s[8:9], 0
.LBB151_1640:
	s_andn2_b64 vcc, exec, s[8:9]
	s_cbranch_vccnz .LBB151_1645
; %bb.1641:
	s_sext_i32_i16 s14, s30
	s_mov_b64 s[8:9], -1
	s_cmp_gt_i32 s14, 0
	v_cndmask_b32_e64 v0, 0, 1, s[12:13]
	s_cbranch_scc0 .LBB151_1643
; %bb.1642:
	s_mov_b64 s[8:9], 0
	global_store_byte v[1:2], v0, off
.LBB151_1643:
	s_andn2_b64 vcc, exec, s[8:9]
	s_cbranch_vccnz .LBB151_1645
; %bb.1644:
	global_store_byte v[1:2], v0, off
.LBB151_1645:
	s_or_b64 exec, exec, s[0:1]
	s_and_b64 s[12:13], s[10:11], exec
                                        ; implicit-def: $vgpr23
                                        ; implicit-def: $vgpr8
.LBB151_1646:
	s_or_saveexec_b64 s[14:15], s[26:27]
	s_mov_b64 s[0:1], 0
                                        ; implicit-def: $sgpr10_sgpr11
                                        ; implicit-def: $vgpr0_vgpr1
                                        ; implicit-def: $sgpr26
	s_xor_b64 exec, exec, s[14:15]
	s_cbranch_execz .LBB151_2784
; %bb.1647:
	v_cndmask_b32_e64 v0, 0, 1, s[24:25]
	v_cmp_ne_u32_e64 s[0:1], 1, v0
	s_andn2_b64 vcc, exec, s[24:25]
	s_cbranch_vccnz .LBB151_1653
; %bb.1648:
	s_cmp_lg_u32 s33, 0
	s_cbranch_scc0 .LBB151_1654
; %bb.1649:
	s_min_u32 s8, s72, 15
	s_add_i32 s6, s8, 1
	s_and_b32 s9, s6, 30
	s_add_u32 s6, s2, 0xffffffe8
	s_addc_u32 s7, s3, -1
	v_mov_b32_e32 v19, 0
	v_mov_b32_e32 v21, 0
	;; [unrolled: 1-line block ×4, first 2 shown]
.LBB151_1650:                           ; =>This Inner Loop Header: Depth=1
	s_load_dwordx4 s[16:19], s[6:7], 0x1c
	s_load_dwordx2 s[10:11], s[6:7], 0x2c
	s_load_dwordx2 s[24:25], s[6:7], 0xec
	s_load_dwordx4 s[20:23], s[6:7], 0xdc
	s_add_u32 s6, s6, 24
	s_waitcnt lgkmcnt(0)
	v_mul_hi_u32 v1, s17, v0
	s_addc_u32 s7, s7, 0
	s_add_i32 s9, s9, -2
	s_cmp_lg_u32 s9, 0
	v_add_u32_e32 v1, v0, v1
	v_lshrrev_b32_e32 v1, s18, v1
	v_mul_lo_u32 v2, v1, s16
	s_waitcnt vmcnt(0)
	v_mul_hi_u32 v3, s10, v1
	v_sub_u32_e32 v2, v0, v2
	v_add_u32_e32 v0, v1, v3
	v_lshrrev_b32_e32 v0, s11, v0
	v_mul_lo_u32 v5, v0, s19
	v_mul_lo_u32 v3, v2, s20
	;; [unrolled: 1-line block ×4, first 2 shown]
	v_sub_u32_e32 v1, v1, v5
	v_mul_lo_u32 v5, v1, s23
	v_mul_lo_u32 v7, v1, s24
	;; [unrolled: 1-line block ×3, first 2 shown]
	v_add3_u32 v6, v3, v6, v5
	v_add3_u32 v21, v4, v21, v7
	;; [unrolled: 1-line block ×3, first 2 shown]
	s_cbranch_scc1 .LBB151_1650
; %bb.1651:
	s_bitcmp1_b32 s8, 0
	s_cselect_b64 s[8:9], -1, 0
	s_and_b64 vcc, exec, s[8:9]
	s_cbranch_vccnz .LBB151_1655
; %bb.1652:
	s_load_dwordx2 s[8:9], s[6:7], 0x1c
	s_load_dword s16, s[6:7], 0x24
	s_load_dwordx2 s[10:11], s[6:7], 0xdc
	s_waitcnt lgkmcnt(0)
	v_mul_hi_u32 v1, s9, v0
	v_add_u32_e32 v1, v0, v1
	v_lshrrev_b32_e32 v1, s16, v1
	v_mul_lo_u32 v1, v1, s8
	s_load_dword s8, s[6:7], 0xe4
	v_sub_u32_e32 v0, v0, v1
	v_mad_u64_u32 v[6:7], s[6:7], v0, s10, v[6:7]
	v_mad_u64_u32 v[21:22], s[6:7], v0, s11, v[21:22]
	s_waitcnt lgkmcnt(0)
	v_mad_u64_u32 v[19:20], s[6:7], v0, s8, v[19:20]
	s_cbranch_execz .LBB151_1656
	s_branch .LBB151_1658
.LBB151_1653:
                                        ; implicit-def: $vgpr6
                                        ; implicit-def: $vgpr21
                                        ; implicit-def: $vgpr19
	s_branch .LBB151_1656
.LBB151_1654:
	v_mov_b32_e32 v6, 0
	v_mov_b32_e32 v21, 0
	;; [unrolled: 1-line block ×3, first 2 shown]
.LBB151_1655:
	s_cbranch_execnz .LBB151_1658
.LBB151_1656:
	s_load_dwordx4 s[8:11], s[2:3], 0x4
	s_load_dwordx4 s[16:19], s[2:3], 0xc4
	s_cmp_lt_u32 s33, 2
	s_waitcnt lgkmcnt(0)
	v_mul_hi_u32 v0, s9, v8
	v_add_u32_e32 v0, v8, v0
	v_lshrrev_b32_e32 v0, s10, v0
	v_mul_lo_u32 v1, v0, s8
	v_sub_u32_e32 v1, v8, v1
	v_mul_lo_u32 v6, v1, s16
	v_mul_lo_u32 v21, v1, s17
	;; [unrolled: 1-line block ×3, first 2 shown]
	s_cbranch_scc1 .LBB151_1658
; %bb.1657:
	s_load_dwordx4 s[8:11], s[2:3], 0x10
	s_load_dwordx4 s[16:19], s[2:3], 0xd0
	s_waitcnt lgkmcnt(0)
	v_mul_hi_u32 v1, s9, v0
	v_add_u32_e32 v1, v0, v1
	v_lshrrev_b32_e32 v1, s10, v1
	v_mul_lo_u32 v1, v1, s8
	v_sub_u32_e32 v0, v0, v1
	s_waitcnt vmcnt(0)
	v_mad_u64_u32 v[6:7], s[6:7], v0, s16, v[6:7]
	v_mad_u64_u32 v[21:22], s[6:7], v0, s17, v[21:22]
	;; [unrolled: 1-line block ×3, first 2 shown]
.LBB151_1658:
	s_and_b64 vcc, exec, s[0:1]
	v_add_u32_e32 v0, 0x80, v8
	s_cbranch_vccnz .LBB151_1664
; %bb.1659:
	s_cmp_lg_u32 s33, 0
	s_cbranch_scc0 .LBB151_1665
; %bb.1660:
	s_min_u32 s8, s72, 15
	s_add_i32 s6, s8, 1
	s_and_b32 s9, s6, 30
	s_add_u32 s6, s2, 0xffffffe8
	s_addc_u32 s7, s3, -1
	v_mov_b32_e32 v15, 0
	v_mov_b32_e32 v17, 0
	;; [unrolled: 1-line block ×4, first 2 shown]
.LBB151_1661:                           ; =>This Inner Loop Header: Depth=1
	s_load_dwordx4 s[16:19], s[6:7], 0x1c
	s_load_dwordx2 s[10:11], s[6:7], 0x2c
	s_load_dwordx2 s[24:25], s[6:7], 0xec
	s_load_dwordx4 s[20:23], s[6:7], 0xdc
	s_add_u32 s6, s6, 24
	s_waitcnt lgkmcnt(0)
	v_mul_hi_u32 v2, s17, v1
	s_addc_u32 s7, s7, 0
	s_add_i32 s9, s9, -2
	s_cmp_lg_u32 s9, 0
	v_add_u32_e32 v2, v1, v2
	v_lshrrev_b32_e32 v2, s18, v2
	s_waitcnt vmcnt(0)
	v_mul_lo_u32 v3, v2, s16
	v_mul_hi_u32 v5, s10, v2
	v_sub_u32_e32 v3, v1, v3
	v_add_u32_e32 v1, v2, v5
	v_lshrrev_b32_e32 v1, s11, v1
	v_mul_lo_u32 v9, v1, s19
	v_mul_lo_u32 v5, v3, s20
	;; [unrolled: 1-line block ×4, first 2 shown]
	v_sub_u32_e32 v2, v2, v9
	v_mul_lo_u32 v9, v2, s23
	v_mul_lo_u32 v10, v2, s24
	;; [unrolled: 1-line block ×3, first 2 shown]
	v_add3_u32 v4, v5, v4, v9
	v_add3_u32 v17, v7, v17, v10
	;; [unrolled: 1-line block ×3, first 2 shown]
	s_cbranch_scc1 .LBB151_1661
; %bb.1662:
	s_bitcmp1_b32 s8, 0
	s_cselect_b64 s[8:9], -1, 0
	s_and_b64 vcc, exec, s[8:9]
	s_cbranch_vccnz .LBB151_1666
; %bb.1663:
	s_load_dwordx2 s[8:9], s[6:7], 0x1c
	s_load_dword s16, s[6:7], 0x24
	s_load_dwordx2 s[10:11], s[6:7], 0xdc
	s_waitcnt lgkmcnt(0)
	v_mul_hi_u32 v2, s9, v1
	v_add_u32_e32 v2, v1, v2
	v_lshrrev_b32_e32 v2, s16, v2
	v_mul_lo_u32 v2, v2, s8
	s_load_dword s8, s[6:7], 0xe4
	v_sub_u32_e32 v1, v1, v2
	v_mad_u64_u32 v[4:5], s[6:7], v1, s10, v[4:5]
	v_mad_u64_u32 v[17:18], s[6:7], v1, s11, v[17:18]
	s_waitcnt lgkmcnt(0)
	v_mad_u64_u32 v[15:16], s[6:7], v1, s8, v[15:16]
	s_cbranch_execz .LBB151_1667
	s_branch .LBB151_1669
.LBB151_1664:
                                        ; implicit-def: $vgpr4
                                        ; implicit-def: $vgpr17
                                        ; implicit-def: $vgpr15
	s_branch .LBB151_1667
.LBB151_1665:
	v_mov_b32_e32 v4, 0
	v_mov_b32_e32 v17, 0
	;; [unrolled: 1-line block ×3, first 2 shown]
.LBB151_1666:
	s_cbranch_execnz .LBB151_1669
.LBB151_1667:
	s_load_dwordx4 s[8:11], s[2:3], 0x4
	s_load_dwordx4 s[16:19], s[2:3], 0xc4
	s_cmp_lt_u32 s33, 2
	s_waitcnt lgkmcnt(0)
	v_mul_hi_u32 v1, s9, v0
	v_add_u32_e32 v1, v0, v1
	v_lshrrev_b32_e32 v1, s10, v1
	v_mul_lo_u32 v2, v1, s8
	v_sub_u32_e32 v0, v0, v2
	v_mul_lo_u32 v4, v0, s16
	v_mul_lo_u32 v17, v0, s17
	;; [unrolled: 1-line block ×3, first 2 shown]
	s_cbranch_scc1 .LBB151_1669
; %bb.1668:
	s_load_dwordx4 s[8:11], s[2:3], 0x10
	s_load_dwordx4 s[16:19], s[2:3], 0xd0
	s_waitcnt lgkmcnt(0)
	v_mul_hi_u32 v0, s9, v1
	v_add_u32_e32 v0, v1, v0
	v_lshrrev_b32_e32 v0, s10, v0
	v_mul_lo_u32 v0, v0, s8
	v_sub_u32_e32 v0, v1, v0
	s_waitcnt vmcnt(0)
	v_mad_u64_u32 v[4:5], s[6:7], v0, s16, v[4:5]
	v_mad_u64_u32 v[17:18], s[6:7], v0, s17, v[17:18]
	;; [unrolled: 1-line block ×3, first 2 shown]
.LBB151_1669:
	s_and_b64 vcc, exec, s[0:1]
	v_add_u32_e32 v0, 0x100, v8
	s_cbranch_vccnz .LBB151_1675
; %bb.1670:
	s_cmp_lg_u32 s33, 0
	s_cbranch_scc0 .LBB151_1676
; %bb.1671:
	s_min_u32 s8, s72, 15
	s_add_i32 s6, s8, 1
	s_and_b32 s9, s6, 30
	s_add_u32 s6, s2, 0xffffffe8
	s_addc_u32 s7, s3, -1
	v_mov_b32_e32 v11, 0
	v_mov_b32_e32 v13, 0
	v_mov_b32_e32 v2, 0
	v_mov_b32_e32 v1, v0
.LBB151_1672:                           ; =>This Inner Loop Header: Depth=1
	s_load_dwordx4 s[16:19], s[6:7], 0x1c
	s_load_dwordx2 s[10:11], s[6:7], 0x2c
	s_load_dwordx2 s[24:25], s[6:7], 0xec
	s_load_dwordx4 s[20:23], s[6:7], 0xdc
	s_add_u32 s6, s6, 24
	s_waitcnt vmcnt(0) lgkmcnt(0)
	v_mul_hi_u32 v3, s17, v1
	s_addc_u32 s7, s7, 0
	s_add_i32 s9, s9, -2
	s_cmp_lg_u32 s9, 0
	v_add_u32_e32 v3, v1, v3
	v_lshrrev_b32_e32 v3, s18, v3
	v_mul_lo_u32 v5, v3, s16
	v_mul_hi_u32 v7, s10, v3
	v_sub_u32_e32 v5, v1, v5
	v_add_u32_e32 v1, v3, v7
	v_lshrrev_b32_e32 v1, s11, v1
	v_mul_lo_u32 v9, v1, s19
	v_mul_lo_u32 v7, v5, s20
	;; [unrolled: 1-line block ×4, first 2 shown]
	v_sub_u32_e32 v3, v3, v9
	v_mul_lo_u32 v9, v3, s23
	v_mul_lo_u32 v10, v3, s24
	;; [unrolled: 1-line block ×3, first 2 shown]
	v_add3_u32 v2, v7, v2, v9
	v_add3_u32 v13, v8, v13, v10
	;; [unrolled: 1-line block ×3, first 2 shown]
	s_cbranch_scc1 .LBB151_1672
; %bb.1673:
	s_bitcmp1_b32 s8, 0
	s_cselect_b64 s[8:9], -1, 0
	s_and_b64 vcc, exec, s[8:9]
	s_cbranch_vccnz .LBB151_1677
; %bb.1674:
	s_load_dwordx2 s[8:9], s[6:7], 0x1c
	s_load_dword s16, s[6:7], 0x24
	s_load_dwordx2 s[10:11], s[6:7], 0xdc
	s_waitcnt lgkmcnt(0)
	v_mul_hi_u32 v3, s9, v1
	v_add_u32_e32 v3, v1, v3
	v_lshrrev_b32_e32 v3, s16, v3
	v_mul_lo_u32 v3, v3, s8
	s_load_dword s8, s[6:7], 0xe4
	v_sub_u32_e32 v1, v1, v3
	v_mad_u64_u32 v[2:3], s[6:7], v1, s10, v[2:3]
	v_mad_u64_u32 v[13:14], s[6:7], v1, s11, v[13:14]
	s_waitcnt lgkmcnt(0)
	v_mad_u64_u32 v[11:12], s[6:7], v1, s8, v[11:12]
	s_cbranch_execz .LBB151_1678
	s_branch .LBB151_1680
.LBB151_1675:
                                        ; implicit-def: $vgpr2
                                        ; implicit-def: $vgpr13
                                        ; implicit-def: $vgpr11
	s_branch .LBB151_1678
.LBB151_1676:
	v_mov_b32_e32 v2, 0
	v_mov_b32_e32 v13, 0
	;; [unrolled: 1-line block ×3, first 2 shown]
.LBB151_1677:
	s_cbranch_execnz .LBB151_1680
.LBB151_1678:
	s_load_dwordx4 s[8:11], s[2:3], 0x4
	s_load_dwordx4 s[16:19], s[2:3], 0xc4
	s_cmp_lt_u32 s33, 2
	s_waitcnt lgkmcnt(0)
	v_mul_hi_u32 v1, s9, v0
	v_add_u32_e32 v1, v0, v1
	v_lshrrev_b32_e32 v1, s10, v1
	v_mul_lo_u32 v2, v1, s8
	v_sub_u32_e32 v0, v0, v2
	v_mul_lo_u32 v2, v0, s16
	v_mul_lo_u32 v13, v0, s17
	v_mul_lo_u32 v11, v0, s18
	s_cbranch_scc1 .LBB151_1680
; %bb.1679:
	s_load_dwordx4 s[8:11], s[2:3], 0x10
	s_load_dwordx4 s[16:19], s[2:3], 0xd0
	s_waitcnt lgkmcnt(0)
	v_mul_hi_u32 v0, s9, v1
	v_add_u32_e32 v0, v1, v0
	v_lshrrev_b32_e32 v0, s10, v0
	v_mul_lo_u32 v0, v0, s8
	v_sub_u32_e32 v0, v1, v0
	s_waitcnt vmcnt(0)
	v_mad_u64_u32 v[2:3], s[6:7], v0, s16, v[2:3]
	v_mad_u64_u32 v[13:14], s[6:7], v0, s17, v[13:14]
	;; [unrolled: 1-line block ×3, first 2 shown]
.LBB151_1680:
	s_and_b64 vcc, exec, s[0:1]
	s_cbranch_vccnz .LBB151_1686
; %bb.1681:
	s_cmp_lg_u32 s33, 0
	s_cbranch_scc0 .LBB151_1687
; %bb.1682:
	s_min_u32 s6, s72, 15
	s_add_i32 s0, s6, 1
	s_and_b32 s7, s0, 30
	s_add_u32 s0, s2, 0xffffffe8
	s_addc_u32 s1, s3, -1
	s_waitcnt vmcnt(0)
	v_mov_b32_e32 v7, 0
	v_mov_b32_e32 v9, 0
	;; [unrolled: 1-line block ×4, first 2 shown]
.LBB151_1683:                           ; =>This Inner Loop Header: Depth=1
	s_load_dwordx4 s[8:11], s[0:1], 0x1c
	s_load_dwordx2 s[20:21], s[0:1], 0x2c
	s_load_dwordx2 s[22:23], s[0:1], 0xec
	s_load_dwordx4 s[16:19], s[0:1], 0xdc
	s_add_u32 s0, s0, 24
	s_waitcnt lgkmcnt(0)
	v_mul_hi_u32 v3, s9, v1
	s_addc_u32 s1, s1, 0
	s_add_i32 s7, s7, -2
	s_cmp_lg_u32 s7, 0
	v_add_u32_e32 v3, v1, v3
	v_lshrrev_b32_e32 v3, s10, v3
	v_mul_lo_u32 v5, v3, s8
	v_mul_hi_u32 v8, s20, v3
	v_sub_u32_e32 v5, v1, v5
	v_add_u32_e32 v1, v3, v8
	v_lshrrev_b32_e32 v1, s21, v1
	v_mul_lo_u32 v12, v1, s11
	v_mul_lo_u32 v8, v5, s16
	;; [unrolled: 1-line block ×4, first 2 shown]
	v_sub_u32_e32 v3, v3, v12
	v_mul_lo_u32 v12, v3, s19
	v_mul_lo_u32 v14, v3, s22
	v_mul_lo_u32 v3, v3, s23
	v_add3_u32 v0, v8, v0, v12
	v_add3_u32 v9, v10, v9, v14
	;; [unrolled: 1-line block ×3, first 2 shown]
	s_cbranch_scc1 .LBB151_1683
; %bb.1684:
	s_bitcmp1_b32 s6, 0
	s_cselect_b64 s[6:7], -1, 0
	s_and_b64 vcc, exec, s[6:7]
	s_cbranch_vccnz .LBB151_1688
; %bb.1685:
	s_load_dwordx2 s[6:7], s[0:1], 0x1c
	s_load_dword s10, s[0:1], 0x24
	s_load_dwordx2 s[8:9], s[0:1], 0xdc
	s_waitcnt lgkmcnt(0)
	v_mul_hi_u32 v3, s7, v1
	v_add_u32_e32 v3, v1, v3
	v_lshrrev_b32_e32 v3, s10, v3
	v_mul_lo_u32 v3, v3, s6
	s_load_dword s6, s[0:1], 0xe4
	v_sub_u32_e32 v3, v1, v3
	v_mad_u64_u32 v[0:1], s[0:1], v3, s8, v[0:1]
	v_mad_u64_u32 v[9:10], s[0:1], v3, s9, v[9:10]
	s_waitcnt lgkmcnt(0)
	v_mad_u64_u32 v[7:8], s[0:1], v3, s6, v[7:8]
	s_cbranch_execz .LBB151_1689
	s_branch .LBB151_1691
.LBB151_1686:
                                        ; implicit-def: $vgpr0
                                        ; implicit-def: $vgpr9
                                        ; implicit-def: $vgpr7
	s_branch .LBB151_1689
.LBB151_1687:
	v_mov_b32_e32 v0, 0
	v_mov_b32_e32 v9, 0
	s_waitcnt vmcnt(0)
	v_mov_b32_e32 v7, 0
.LBB151_1688:
	s_cbranch_execnz .LBB151_1691
.LBB151_1689:
	s_load_dwordx4 s[8:11], s[2:3], 0x4
	s_load_dwordx4 s[16:19], s[2:3], 0xc4
	s_cmp_lt_u32 s33, 2
	s_waitcnt lgkmcnt(0)
	v_mul_hi_u32 v0, s9, v23
	v_add_u32_e32 v0, v23, v0
	v_lshrrev_b32_e32 v1, s10, v0
	v_mul_lo_u32 v0, v1, s8
	s_waitcnt vmcnt(0)
	v_sub_u32_e32 v3, v23, v0
	v_mul_lo_u32 v0, v3, s16
	v_mul_lo_u32 v9, v3, s17
	;; [unrolled: 1-line block ×3, first 2 shown]
	s_cbranch_scc1 .LBB151_1691
; %bb.1690:
	s_load_dwordx4 s[8:11], s[2:3], 0x10
	s_load_dwordx4 s[16:19], s[2:3], 0xd0
	s_waitcnt lgkmcnt(0)
	v_mul_hi_u32 v3, s9, v1
	v_add_u32_e32 v3, v1, v3
	v_lshrrev_b32_e32 v3, s10, v3
	v_mul_lo_u32 v3, v3, s8
	v_sub_u32_e32 v3, v1, v3
	v_mad_u64_u32 v[0:1], s[0:1], v3, s16, v[0:1]
	v_mad_u64_u32 v[9:10], s[0:1], v3, s17, v[9:10]
	v_mad_u64_u32 v[7:8], s[0:1], v3, s18, v[7:8]
.LBB151_1691:
	s_load_dwordx4 s[8:11], s[2:3], 0x188
	s_load_dword s24, s[4:5], 0x1ac
	s_waitcnt lgkmcnt(0)
	v_mov_b32_e32 v1, s11
	s_bfe_u32 s20, s24, 0x80008
	v_add_co_u32_e32 v20, vcc, s10, v21
	s_cmp_lt_i32 s20, 11
	v_addc_co_u32_e32 v21, vcc, 0, v1, vcc
	s_cbranch_scc1 .LBB151_1698
; %bb.1692:
	s_and_b32 s21, 0xffff, s20
	s_cmp_gt_i32 s21, 25
	s_mov_b64 s[6:7], 0
	s_cbranch_scc0 .LBB151_1700
; %bb.1693:
	s_cmp_gt_i32 s21, 28
	s_cbranch_scc0 .LBB151_1701
; %bb.1694:
	s_cmp_gt_i32 s21, 43
	;; [unrolled: 3-line block ×3, first 2 shown]
	s_cbranch_scc0 .LBB151_1703
; %bb.1696:
	s_cmp_eq_u32 s21, 46
	s_mov_b64 s[4:5], 0
	s_cbranch_scc0 .LBB151_1706
; %bb.1697:
	global_load_dword v1, v[20:21], off
	s_mov_b64 s[0:1], 0
	s_mov_b64 s[16:17], -1
	s_waitcnt vmcnt(0)
	v_and_b32_e32 v3, 0xffff0000, v1
	v_lshlrev_b32_e32 v1, 16, v1
	v_cvt_f16_f32_e32 v1, v1
	v_cvt_f16_f32_e32 v3, v3
	s_branch .LBB151_1707
.LBB151_1698:
	s_mov_b64 s[16:17], 0
                                        ; implicit-def: $vgpr3
                                        ; implicit-def: $vgpr1
	s_mov_b64 s[4:5], s[12:13]
	s_cbranch_execnz .LBB151_1773
.LBB151_1699:
	s_andn2_b64 vcc, exec, s[16:17]
	s_cbranch_vccz .LBB151_1820
	s_branch .LBB151_2781
.LBB151_1700:
	s_mov_b64 s[16:17], 0
	s_mov_b64 s[0:1], 0
                                        ; implicit-def: $vgpr3
                                        ; implicit-def: $vgpr1
	s_cbranch_execnz .LBB151_1737
	s_branch .LBB151_1769
.LBB151_1701:
	s_mov_b64 s[16:17], 0
	s_mov_b64 s[0:1], 0
                                        ; implicit-def: $vgpr3
                                        ; implicit-def: $vgpr1
	s_cbranch_execnz .LBB151_1719
	s_branch .LBB151_1736
.LBB151_1702:
	s_mov_b64 s[4:5], -1
	s_mov_b64 s[16:17], 0
	s_mov_b64 s[0:1], 0
                                        ; implicit-def: $vgpr3
                                        ; implicit-def: $vgpr1
	s_branch .LBB151_1713
.LBB151_1703:
	s_mov_b64 s[4:5], -1
	s_mov_b64 s[16:17], 0
	s_mov_b64 s[0:1], 0
                                        ; implicit-def: $vgpr3
                                        ; implicit-def: $vgpr1
	s_branch .LBB151_1707
.LBB151_1704:
	s_andn2_saveexec_b64 s[18:19], s[18:19]
	s_cbranch_execz .LBB151_1554
.LBB151_1705:
	v_add_f32_e32 v0, 0x46000000, v3
	v_and_b32_e32 v0, 0xff, v0
	v_cmp_ne_u32_e32 vcc, 0, v0
	s_andn2_b64 s[14:15], s[14:15], exec
	s_and_b64 s[20:21], vcc, exec
	s_or_b64 s[14:15], s[14:15], s[20:21]
	s_or_b64 exec, exec, s[18:19]
	v_mov_b32_e32 v4, 0
	s_and_saveexec_b64 s[18:19], s[14:15]
	s_cbranch_execnz .LBB151_1555
	s_branch .LBB151_1556
.LBB151_1706:
	s_mov_b64 s[0:1], -1
                                        ; implicit-def: $vgpr3
                                        ; implicit-def: $vgpr1
	s_mov_b64 s[16:17], 0
.LBB151_1707:
	s_and_b64 vcc, exec, s[4:5]
	s_cbranch_vccz .LBB151_1712
; %bb.1708:
	s_cmp_eq_u32 s21, 44
	s_cbranch_scc0 .LBB151_1710
; %bb.1709:
	global_load_ubyte v1, v[20:21], off
	s_movk_i32 s4, 0xff
	s_waitcnt vmcnt(1)
	v_mov_b32_e32 v5, 0x7e00
	s_mov_b64 s[0:1], 0
	s_mov_b64 s[16:17], -1
	s_waitcnt vmcnt(0)
	v_lshlrev_b32_e32 v3, 23, v1
	v_cvt_f16_f32_e32 v3, v3
	v_cmp_ne_u32_e32 vcc, s4, v1
	v_cndmask_b32_e32 v3, v5, v3, vcc
	v_cmp_ne_u32_e32 vcc, 0, v1
	v_cndmask_b32_e32 v1, 0, v3, vcc
	s_branch .LBB151_1711
.LBB151_1710:
	s_mov_b64 s[0:1], -1
                                        ; implicit-def: $vgpr1
.LBB151_1711:
	s_waitcnt vmcnt(0)
	v_mov_b32_e32 v3, 0
.LBB151_1712:
	s_mov_b64 s[4:5], 0
.LBB151_1713:
	s_and_b64 vcc, exec, s[4:5]
	s_cbranch_vccz .LBB151_1718
; %bb.1714:
	s_cmp_eq_u32 s21, 29
	s_cbranch_scc0 .LBB151_1716
; %bb.1715:
	global_load_dwordx2 v[22:23], v[20:21], off
	s_mov_b64 s[0:1], 0
	s_mov_b64 s[16:17], -1
	s_waitcnt vmcnt(0)
	v_ffbh_u32_e32 v1, v23
	v_min_u32_e32 v1, 32, v1
	v_lshlrev_b64 v[22:23], v1, v[22:23]
	v_sub_u32_e32 v1, 32, v1
	v_min_u32_e32 v3, 1, v22
	v_or_b32_e32 v3, v23, v3
	v_cvt_f32_u32_e32 v3, v3
	v_ldexp_f32 v1, v3, v1
	v_cvt_f16_f32_e32 v1, v1
	s_branch .LBB151_1717
.LBB151_1716:
	s_mov_b64 s[0:1], -1
                                        ; implicit-def: $vgpr1
.LBB151_1717:
	s_waitcnt vmcnt(0)
	v_mov_b32_e32 v3, 0
.LBB151_1718:
	s_branch .LBB151_1736
.LBB151_1719:
	s_cmp_lt_i32 s21, 27
	s_cbranch_scc1 .LBB151_1722
; %bb.1720:
	s_cmp_gt_i32 s21, 27
	s_cbranch_scc0 .LBB151_1723
; %bb.1721:
	global_load_dword v1, v[20:21], off
	s_mov_b64 s[4:5], 0
	s_waitcnt vmcnt(0)
	v_cvt_f32_u32_e32 v1, v1
	v_cvt_f16_f32_e32 v1, v1
	s_branch .LBB151_1724
.LBB151_1722:
	s_mov_b64 s[4:5], -1
                                        ; implicit-def: $vgpr1
	s_branch .LBB151_1727
.LBB151_1723:
	s_mov_b64 s[4:5], -1
                                        ; implicit-def: $vgpr1
.LBB151_1724:
	s_andn2_b64 vcc, exec, s[4:5]
	s_cbranch_vccnz .LBB151_1726
; %bb.1725:
	global_load_ushort v1, v[20:21], off
	s_waitcnt vmcnt(0)
	v_cvt_f16_u16_e32 v1, v1
.LBB151_1726:
	s_mov_b64 s[4:5], 0
.LBB151_1727:
	s_andn2_b64 vcc, exec, s[4:5]
	s_cbranch_vccnz .LBB151_1735
; %bb.1728:
	global_load_ubyte v3, v[20:21], off
	s_movk_i32 s4, 0x7f
	s_waitcnt vmcnt(0)
	v_cmp_lt_i16_e32 vcc, s4, v3
	s_mov_b64 s[4:5], 0
	s_and_saveexec_b64 s[16:17], vcc
	s_xor_b64 s[16:17], exec, s[16:17]
	s_cbranch_execz .LBB151_1748
; %bb.1729:
	s_movk_i32 s4, 0x80
	v_cmp_eq_u16_e32 vcc, s4, v3
	s_mov_b64 s[4:5], -1
	s_and_saveexec_b64 s[18:19], vcc
; %bb.1730:
	s_xor_b64 s[4:5], exec, -1
; %bb.1731:
	s_or_b64 exec, exec, s[18:19]
	s_and_b64 s[4:5], s[4:5], exec
	s_or_saveexec_b64 s[16:17], s[16:17]
	v_mov_b32_e32 v1, 0x7e00
	s_xor_b64 exec, exec, s[16:17]
	s_cbranch_execnz .LBB151_1749
.LBB151_1732:
	s_or_b64 exec, exec, s[16:17]
	s_and_saveexec_b64 s[16:17], s[4:5]
	s_cbranch_execz .LBB151_1734
.LBB151_1733:
	v_lshlrev_b32_e32 v1, 24, v3
	v_and_b32_e32 v3, 0xffff, v3
	v_and_b32_e32 v5, 7, v3
	v_ffbh_u32_e32 v10, v5
	v_min_u32_e32 v10, 32, v10
	v_subrev_u32_e32 v12, 28, v10
	v_bfe_u32 v8, v3, 3, 4
	v_lshlrev_b32_e32 v3, v12, v3
	v_sub_u32_e32 v10, 29, v10
	v_and_b32_e32 v3, 7, v3
	v_cmp_eq_u32_e32 vcc, 0, v8
	v_cndmask_b32_e32 v8, v8, v10, vcc
	v_cndmask_b32_e32 v3, v5, v3, vcc
	v_mov_b32_e32 v5, 0x3b800000
	v_lshlrev_b32_e32 v3, 20, v3
	v_and_b32_e32 v1, 0x80000000, v1
	v_lshl_add_u32 v5, v8, 23, v5
	v_or3_b32 v1, v1, v5, v3
	v_cvt_f16_f32_e32 v1, v1
.LBB151_1734:
	s_or_b64 exec, exec, s[16:17]
.LBB151_1735:
	s_mov_b64 s[16:17], -1
	s_waitcnt vmcnt(0)
	v_mov_b32_e32 v3, 0
.LBB151_1736:
	s_branch .LBB151_1769
.LBB151_1737:
	s_cmp_gt_i32 s21, 22
	s_cbranch_scc0 .LBB151_1747
; %bb.1738:
	s_cmp_lt_i32 s21, 24
	s_cbranch_scc1 .LBB151_1750
; %bb.1739:
	s_cmp_gt_i32 s21, 24
	s_cbranch_scc0 .LBB151_1751
; %bb.1740:
	global_load_ubyte v3, v[20:21], off
	s_movk_i32 s4, 0x7f
	s_waitcnt vmcnt(0)
	v_cmp_lt_i16_e32 vcc, s4, v3
	s_mov_b64 s[4:5], 0
	s_and_saveexec_b64 s[6:7], vcc
	s_xor_b64 s[6:7], exec, s[6:7]
	s_cbranch_execz .LBB151_1762
; %bb.1741:
	s_movk_i32 s4, 0x80
	v_cmp_eq_u16_e32 vcc, s4, v3
	s_mov_b64 s[4:5], -1
	s_and_saveexec_b64 s[16:17], vcc
; %bb.1742:
	s_xor_b64 s[4:5], exec, -1
; %bb.1743:
	s_or_b64 exec, exec, s[16:17]
	s_and_b64 s[4:5], s[4:5], exec
	s_or_saveexec_b64 s[6:7], s[6:7]
	v_mov_b32_e32 v1, 0x7e00
	s_xor_b64 exec, exec, s[6:7]
	s_cbranch_execnz .LBB151_1763
.LBB151_1744:
	s_or_b64 exec, exec, s[6:7]
	s_and_saveexec_b64 s[6:7], s[4:5]
	s_cbranch_execz .LBB151_1746
.LBB151_1745:
	v_lshlrev_b32_e32 v1, 24, v3
	v_and_b32_e32 v3, 0xffff, v3
	v_and_b32_e32 v5, 3, v3
	v_ffbh_u32_e32 v10, v5
	v_min_u32_e32 v10, 32, v10
	v_subrev_u32_e32 v12, 29, v10
	v_bfe_u32 v8, v3, 2, 5
	v_lshlrev_b32_e32 v3, v12, v3
	v_sub_u32_e32 v10, 30, v10
	v_and_b32_e32 v3, 3, v3
	v_cmp_eq_u32_e32 vcc, 0, v8
	v_cndmask_b32_e32 v8, v8, v10, vcc
	v_cndmask_b32_e32 v3, v5, v3, vcc
	v_mov_b32_e32 v5, 0x37800000
	v_lshlrev_b32_e32 v3, 21, v3
	v_and_b32_e32 v1, 0x80000000, v1
	v_lshl_add_u32 v5, v8, 23, v5
	v_or3_b32 v1, v1, v5, v3
	v_cvt_f16_f32_e32 v1, v1
.LBB151_1746:
	s_or_b64 exec, exec, s[6:7]
	s_mov_b64 s[4:5], 0
	s_branch .LBB151_1752
.LBB151_1747:
                                        ; implicit-def: $vgpr1
	s_mov_b64 s[6:7], 0
	s_branch .LBB151_1758
.LBB151_1748:
	s_or_saveexec_b64 s[16:17], s[16:17]
	v_mov_b32_e32 v1, 0x7e00
	s_xor_b64 exec, exec, s[16:17]
	s_cbranch_execz .LBB151_1732
.LBB151_1749:
	v_cmp_ne_u16_e32 vcc, 0, v3
	s_andn2_b64 s[4:5], s[4:5], exec
	s_and_b64 s[18:19], vcc, exec
	s_or_b64 s[4:5], s[4:5], s[18:19]
	v_mov_b32_e32 v1, v3
	s_or_b64 exec, exec, s[16:17]
	s_and_saveexec_b64 s[16:17], s[4:5]
	s_cbranch_execnz .LBB151_1733
	s_branch .LBB151_1734
.LBB151_1750:
	s_mov_b64 s[4:5], -1
                                        ; implicit-def: $vgpr1
	s_branch .LBB151_1755
.LBB151_1751:
	s_mov_b64 s[4:5], -1
                                        ; implicit-def: $vgpr1
.LBB151_1752:
	s_and_b64 vcc, exec, s[4:5]
	s_cbranch_vccz .LBB151_1754
; %bb.1753:
	global_load_ubyte v1, v[20:21], off
	s_mov_b32 s4, 0x7f800000
	s_waitcnt vmcnt(0)
	v_lshlrev_b32_e32 v1, 24, v1
	v_and_b32_e32 v3, 0x7f000000, v1
	v_ffbh_u32_e32 v5, v3
	v_min_u32_e32 v5, 32, v5
	v_sub_u32_e64 v5, v5, 4 clamp
	v_lshlrev_b32_e32 v10, v5, v3
	v_lshlrev_b32_e32 v5, 23, v5
	v_lshrrev_b32_e32 v10, 4, v10
	v_add_u32_e32 v8, 0x1000000, v3
	v_sub_u32_e32 v5, v10, v5
	v_ashrrev_i32_e32 v8, 8, v8
	v_add_u32_e32 v5, 0x3c000000, v5
	v_and_or_b32 v5, v8, s4, v5
	v_cmp_ne_u32_e32 vcc, 0, v3
	v_cndmask_b32_e32 v3, 0, v5, vcc
	s_brev_b32 s4, 1
	v_and_or_b32 v1, v1, s4, v3
	v_cvt_f16_f32_e32 v1, v1
.LBB151_1754:
	s_mov_b64 s[4:5], 0
.LBB151_1755:
	s_andn2_b64 vcc, exec, s[4:5]
	s_cbranch_vccnz .LBB151_1757
; %bb.1756:
	global_load_ubyte v1, v[20:21], off
	s_movk_i32 s4, 0x7f00
	s_brev_b32 s5, 16
	s_waitcnt vmcnt(0)
	v_lshlrev_b16_e32 v3, 8, v1
	v_lshlrev_b32_e32 v1, 25, v1
	v_lshrrev_b32_e32 v5, 4, v1
	v_and_or_b32 v8, v3, s4, 0.5
	v_or_b32_e32 v5, 0x70000000, v5
	v_add_f32_e32 v8, -0.5, v8
	v_mul_f32_e32 v5, 0x7800000, v5
	v_cmp_gt_u32_e32 vcc, s5, v1
	v_bfe_i32 v3, v3, 0, 16
	v_cndmask_b32_e32 v1, v5, v8, vcc
	s_brev_b32 s4, 1
	v_and_or_b32 v1, v3, s4, v1
	v_cvt_f16_f32_e32 v1, v1
.LBB151_1757:
	s_mov_b64 s[16:17], -1
	s_mov_b64 s[6:7], 0
	s_cbranch_execnz .LBB151_1768
.LBB151_1758:
	s_cmp_gt_i32 s21, 14
	s_cbranch_scc0 .LBB151_1761
; %bb.1759:
	s_cmp_eq_u32 s21, 15
	s_cbranch_scc0 .LBB151_1764
; %bb.1760:
	global_load_ushort v1, v[20:21], off
	s_mov_b64 s[0:1], 0
	s_mov_b64 s[16:17], -1
	s_waitcnt vmcnt(0)
	v_lshlrev_b32_e32 v1, 16, v1
	v_cvt_f16_f32_e32 v1, v1
	s_branch .LBB151_1765
.LBB151_1761:
	s_mov_b64 s[4:5], -1
                                        ; implicit-def: $vgpr1
	s_branch .LBB151_1766
.LBB151_1762:
	s_or_saveexec_b64 s[6:7], s[6:7]
	v_mov_b32_e32 v1, 0x7e00
	s_xor_b64 exec, exec, s[6:7]
	s_cbranch_execz .LBB151_1744
.LBB151_1763:
	v_cmp_ne_u16_e32 vcc, 0, v3
	s_andn2_b64 s[4:5], s[4:5], exec
	s_and_b64 s[16:17], vcc, exec
	s_or_b64 s[4:5], s[4:5], s[16:17]
	v_mov_b32_e32 v1, v3
	s_or_b64 exec, exec, s[6:7]
	s_and_saveexec_b64 s[6:7], s[4:5]
	s_cbranch_execnz .LBB151_1745
	s_branch .LBB151_1746
.LBB151_1764:
	s_mov_b64 s[0:1], -1
                                        ; implicit-def: $vgpr1
.LBB151_1765:
	s_mov_b64 s[4:5], 0
.LBB151_1766:
	s_and_b64 vcc, exec, s[4:5]
	s_cbranch_vccz .LBB151_1768
; %bb.1767:
	s_cmp_lg_u32 s21, 11
	s_mov_b64 s[6:7], -1
	s_cselect_b64 s[0:1], -1, 0
.LBB151_1768:
	s_waitcnt vmcnt(0)
	v_mov_b32_e32 v3, 0
.LBB151_1769:
	s_and_b64 vcc, exec, s[0:1]
	s_mov_b64 s[4:5], s[12:13]
	s_cbranch_vccnz .LBB151_1832
; %bb.1770:
	s_andn2_b64 vcc, exec, s[6:7]
	s_cbranch_vccnz .LBB151_1772
.LBB151_1771:
	global_load_ubyte v1, v[20:21], off
	s_waitcnt vmcnt(1)
	v_mov_b32_e32 v5, 0x3c00
	v_mov_b32_e32 v3, 0
	s_mov_b64 s[16:17], -1
	s_waitcnt vmcnt(0)
	v_cmp_ne_u16_e32 vcc, 0, v1
	v_cndmask_b32_e32 v1, 0, v5, vcc
.LBB151_1772:
	s_branch .LBB151_1699
.LBB151_1773:
	s_and_b32 s6, 0xffff, s20
	s_cmp_lt_i32 s6, 5
	s_cbranch_scc1 .LBB151_1778
; %bb.1774:
	s_cmp_lt_i32 s6, 8
	s_cbranch_scc1 .LBB151_1780
; %bb.1775:
	;; [unrolled: 3-line block ×3, first 2 shown]
	s_cmp_gt_i32 s6, 9
	s_cbranch_scc0 .LBB151_1782
; %bb.1777:
	global_load_dwordx4 v[22:25], v[20:21], off
	s_movk_i32 s0, 0x1ff
	s_movk_i32 s1, 0xffe
	v_mov_b32_e32 v1, 0x7c00
	s_waitcnt vmcnt(1)
	v_mov_b32_e32 v3, 0x7e00
	s_movk_i32 s7, 0x40f
	s_mov_b32 s16, 0x8000
	s_waitcnt vmcnt(0)
	v_and_or_b32 v5, v23, s0, v22
	v_and_or_b32 v14, v25, s0, v24
	v_cmp_ne_u32_e32 vcc, 0, v5
	v_lshrrev_b32_e32 v8, 8, v23
	v_bfe_u32 v10, v23, 20, 11
	v_cndmask_b32_e64 v5, 0, 1, vcc
	v_cmp_ne_u32_e32 vcc, 0, v14
	v_lshrrev_b32_e32 v12, 16, v23
	v_lshrrev_b32_e32 v16, 8, v25
	v_bfe_u32 v18, v25, 20, 11
	v_sub_u32_e32 v23, 0x3f1, v10
	v_cndmask_b32_e64 v14, 0, 1, vcc
	v_and_or_b32 v5, v8, s1, v5
	v_add_u32_e32 v10, 0xfffffc10, v10
	v_sub_u32_e32 v24, 0x3f1, v18
	v_add_u32_e32 v18, 0xfffffc10, v18
	v_med3_i32 v8, v23, 0, 13
	v_and_or_b32 v14, v16, s1, v14
	v_or_b32_e32 v23, 0x1000, v5
	v_cmp_ne_u32_e32 vcc, 0, v5
	v_lshrrev_b32_e32 v22, 16, v25
	v_med3_i32 v16, v24, 0, 13
	v_lshl_or_b32 v24, v10, 12, v5
	v_cndmask_b32_e32 v5, v1, v3, vcc
	v_or_b32_e32 v25, 0x1000, v14
	v_lshl_or_b32 v26, v18, 12, v14
	v_cmp_ne_u32_e32 vcc, 0, v14
	v_lshrrev_b32_e32 v14, v8, v23
	v_lshrrev_b32_e32 v27, v16, v25
	v_lshlrev_b32_e32 v8, v8, v14
	v_cndmask_b32_e32 v3, v1, v3, vcc
	v_lshlrev_b32_e32 v16, v16, v27
	v_cmp_ne_u32_e32 vcc, v8, v23
	v_cndmask_b32_e64 v8, 0, 1, vcc
	v_cmp_ne_u32_e32 vcc, v16, v25
	v_cndmask_b32_e64 v16, 0, 1, vcc
	v_or_b32_e32 v8, v14, v8
	v_cmp_gt_i32_e32 vcc, 1, v10
	v_cndmask_b32_e32 v8, v24, v8, vcc
	v_or_b32_e32 v14, v27, v16
	v_cmp_gt_i32_e32 vcc, 1, v18
	v_and_b32_e32 v16, 7, v8
	v_cndmask_b32_e32 v14, v26, v14, vcc
	v_cmp_lt_i32_e32 vcc, 5, v16
	v_and_b32_e32 v23, 7, v14
	v_cndmask_b32_e64 v24, 0, 1, vcc
	v_cmp_eq_u32_e32 vcc, 3, v16
	v_cndmask_b32_e64 v16, 0, 1, vcc
	v_cmp_lt_i32_e32 vcc, 5, v23
	v_cndmask_b32_e64 v25, 0, 1, vcc
	v_cmp_eq_u32_e32 vcc, 3, v23
	v_lshrrev_b32_e32 v8, 2, v8
	v_cndmask_b32_e64 v23, 0, 1, vcc
	v_or_b32_e32 v16, v16, v24
	v_lshrrev_b32_e32 v14, 2, v14
	v_or_b32_e32 v23, v23, v25
	v_add_u32_e32 v8, v8, v16
	v_cmp_gt_i32_e32 vcc, 31, v10
	v_add_u32_e32 v14, v14, v23
	v_cndmask_b32_e32 v8, v1, v8, vcc
	v_cmp_gt_i32_e32 vcc, 31, v18
	v_cndmask_b32_e32 v1, v1, v14, vcc
	v_cmp_eq_u32_e32 vcc, s7, v10
	v_cndmask_b32_e32 v5, v8, v5, vcc
	v_cmp_eq_u32_e32 vcc, s7, v18
	v_cndmask_b32_e32 v3, v1, v3, vcc
	v_and_or_b32 v1, v12, s16, v5
	v_and_or_b32 v3, v22, s16, v3
	s_mov_b64 s[0:1], 0
	s_branch .LBB151_1783
.LBB151_1778:
                                        ; implicit-def: $vgpr3
                                        ; implicit-def: $vgpr1
	s_branch .LBB151_1801
.LBB151_1779:
	s_branch .LBB151_1820
.LBB151_1780:
                                        ; implicit-def: $vgpr3
                                        ; implicit-def: $vgpr1
	s_branch .LBB151_1789
.LBB151_1781:
	s_mov_b64 s[0:1], -1
                                        ; implicit-def: $vgpr3
                                        ; implicit-def: $vgpr1
	s_branch .LBB151_1786
.LBB151_1782:
	s_mov_b64 s[0:1], -1
                                        ; implicit-def: $vgpr3
                                        ; implicit-def: $vgpr1
.LBB151_1783:
	s_andn2_b64 vcc, exec, s[0:1]
	s_cbranch_vccnz .LBB151_1785
; %bb.1784:
	global_load_dwordx2 v[22:23], v[20:21], off
	s_waitcnt vmcnt(0)
	v_cvt_f16_f32_e32 v1, v22
	v_cvt_f16_f32_e32 v3, v23
.LBB151_1785:
	s_mov_b64 s[0:1], 0
.LBB151_1786:
	s_andn2_b64 vcc, exec, s[0:1]
	s_cbranch_vccnz .LBB151_1788
; %bb.1787:
	global_load_dword v1, v[20:21], off
	s_waitcnt vmcnt(0)
	v_lshrrev_b32_e32 v3, 16, v1
.LBB151_1788:
	s_cbranch_execnz .LBB151_1800
.LBB151_1789:
	s_cmp_lt_i32 s6, 6
	s_cbranch_scc1 .LBB151_1792
; %bb.1790:
	s_cmp_gt_i32 s6, 6
	s_cbranch_scc0 .LBB151_1793
; %bb.1791:
	global_load_dwordx2 v[22:23], v[20:21], off
	s_movk_i32 s0, 0x1ff
	s_movk_i32 s1, 0xffe
	v_mov_b32_e32 v1, 0x7c00
	s_waitcnt vmcnt(1)
	v_mov_b32_e32 v3, 0x7e00
	s_movk_i32 s7, 0x40f
	s_mov_b32 s16, 0x8000
	s_waitcnt vmcnt(0)
	v_and_or_b32 v5, v23, s0, v22
	v_cmp_ne_u32_e32 vcc, 0, v5
	v_lshrrev_b32_e32 v8, 8, v23
	v_bfe_u32 v10, v23, 20, 11
	v_cndmask_b32_e64 v5, 0, 1, vcc
	v_sub_u32_e32 v14, 0x3f1, v10
	v_and_or_b32 v5, v8, s1, v5
	v_add_u32_e32 v10, 0xfffffc10, v10
	v_med3_i32 v8, v14, 0, 13
	v_or_b32_e32 v14, 0x1000, v5
	v_lshl_or_b32 v16, v10, 12, v5
	v_cmp_ne_u32_e32 vcc, 0, v5
	v_lshrrev_b32_e32 v5, v8, v14
	v_lshlrev_b32_e32 v8, v8, v5
	v_cndmask_b32_e32 v3, v1, v3, vcc
	v_cmp_ne_u32_e32 vcc, v8, v14
	v_cndmask_b32_e64 v8, 0, 1, vcc
	v_or_b32_e32 v5, v5, v8
	v_cmp_gt_i32_e32 vcc, 1, v10
	v_cndmask_b32_e32 v5, v16, v5, vcc
	v_and_b32_e32 v8, 7, v5
	v_cmp_lt_i32_e32 vcc, 5, v8
	v_cndmask_b32_e64 v14, 0, 1, vcc
	v_cmp_eq_u32_e32 vcc, 3, v8
	v_cndmask_b32_e64 v8, 0, 1, vcc
	v_lshrrev_b32_e32 v5, 2, v5
	v_or_b32_e32 v8, v8, v14
	v_add_u32_e32 v5, v5, v8
	v_cmp_gt_i32_e32 vcc, 31, v10
	v_cndmask_b32_e32 v1, v1, v5, vcc
	v_cmp_eq_u32_e32 vcc, s7, v10
	v_lshrrev_b32_e32 v12, 16, v23
	v_cndmask_b32_e32 v1, v1, v3, vcc
	v_and_or_b32 v1, v12, s16, v1
	s_mov_b64 s[0:1], 0
	s_branch .LBB151_1794
.LBB151_1792:
	s_mov_b64 s[0:1], -1
                                        ; implicit-def: $vgpr1
	s_branch .LBB151_1797
.LBB151_1793:
	s_mov_b64 s[0:1], -1
                                        ; implicit-def: $vgpr1
.LBB151_1794:
	s_andn2_b64 vcc, exec, s[0:1]
	s_cbranch_vccnz .LBB151_1796
; %bb.1795:
	global_load_dword v1, v[20:21], off
	s_waitcnt vmcnt(0)
	v_cvt_f16_f32_e32 v1, v1
.LBB151_1796:
	s_mov_b64 s[0:1], 0
.LBB151_1797:
	s_andn2_b64 vcc, exec, s[0:1]
	s_cbranch_vccnz .LBB151_1799
; %bb.1798:
	global_load_ushort v1, v[20:21], off
.LBB151_1799:
	s_waitcnt vmcnt(0)
	v_mov_b32_e32 v3, 0
.LBB151_1800:
	s_cbranch_execnz .LBB151_1779
.LBB151_1801:
	s_cmp_lt_i32 s6, 2
	s_cbranch_scc1 .LBB151_1805
; %bb.1802:
	s_cmp_lt_i32 s6, 3
	s_cbranch_scc1 .LBB151_1806
; %bb.1803:
	s_cmp_gt_i32 s6, 3
	s_cbranch_scc0 .LBB151_1807
; %bb.1804:
	global_load_dwordx2 v[22:23], v[20:21], off
	s_mov_b64 s[0:1], 0
	s_waitcnt vmcnt(0)
	v_xor_b32_e32 v3, v22, v23
	v_ffbh_i32_e32 v1, v23
	v_ashrrev_i32_e32 v3, 31, v3
	v_add_u32_e32 v1, -1, v1
	v_add_u32_e32 v3, 32, v3
	v_min_u32_e32 v1, v1, v3
	v_lshlrev_b64 v[22:23], v1, v[22:23]
	v_sub_u32_e32 v1, 32, v1
	v_min_u32_e32 v3, 1, v22
	v_or_b32_e32 v3, v23, v3
	v_cvt_f32_i32_e32 v3, v3
	v_ldexp_f32 v1, v3, v1
	v_cvt_f16_f32_e32 v1, v1
	s_branch .LBB151_1808
.LBB151_1805:
                                        ; implicit-def: $vgpr1
	s_branch .LBB151_1814
.LBB151_1806:
	s_mov_b64 s[0:1], -1
                                        ; implicit-def: $vgpr1
	s_branch .LBB151_1811
.LBB151_1807:
	s_mov_b64 s[0:1], -1
                                        ; implicit-def: $vgpr1
.LBB151_1808:
	s_andn2_b64 vcc, exec, s[0:1]
	s_cbranch_vccnz .LBB151_1810
; %bb.1809:
	global_load_dword v1, v[20:21], off
	s_waitcnt vmcnt(0)
	v_cvt_f32_i32_e32 v1, v1
	v_cvt_f16_f32_e32 v1, v1
.LBB151_1810:
	s_mov_b64 s[0:1], 0
.LBB151_1811:
	s_andn2_b64 vcc, exec, s[0:1]
	s_cbranch_vccnz .LBB151_1813
; %bb.1812:
	global_load_ushort v1, v[20:21], off
	s_waitcnt vmcnt(0)
	v_cvt_f16_i16_e32 v1, v1
.LBB151_1813:
	s_cbranch_execnz .LBB151_1819
.LBB151_1814:
	s_cmp_gt_i32 s6, 0
	s_cbranch_scc0 .LBB151_1816
; %bb.1815:
	global_load_sbyte v1, v[20:21], off
	s_mov_b64 s[0:1], 0
	s_waitcnt vmcnt(0)
	v_cvt_f16_i16_e32 v1, v1
	s_branch .LBB151_1817
.LBB151_1816:
	s_mov_b64 s[0:1], -1
                                        ; implicit-def: $vgpr1
.LBB151_1817:
	s_andn2_b64 vcc, exec, s[0:1]
	s_cbranch_vccnz .LBB151_1819
; %bb.1818:
	global_load_ubyte v1, v[20:21], off
	s_waitcnt vmcnt(0)
	v_cvt_f16_u16_e32 v1, v1
.LBB151_1819:
	s_waitcnt vmcnt(0)
	v_mov_b32_e32 v3, 0
.LBB151_1820:
	s_load_dwordx2 s[16:17], s[2:3], 0x198
	s_bfe_u32 s25, s24, 0x80010
	s_cmp_lt_i32 s25, 11
	s_waitcnt vmcnt(0) lgkmcnt(0)
	v_mov_b32_e32 v5, s17
	v_add_co_u32_e32 v18, vcc, s16, v19
	v_addc_co_u32_e32 v19, vcc, 0, v5, vcc
	s_cbranch_scc1 .LBB151_1827
; %bb.1821:
	s_and_b32 s26, 0xffff, s25
	s_cmp_gt_i32 s26, 25
	s_mov_b64 s[6:7], 0
	s_cbranch_scc0 .LBB151_1829
; %bb.1822:
	s_cmp_gt_i32 s26, 28
	s_cbranch_scc0 .LBB151_1830
; %bb.1823:
	s_cmp_gt_i32 s26, 43
	;; [unrolled: 3-line block ×3, first 2 shown]
	s_cbranch_scc0 .LBB151_1833
; %bb.1825:
	s_cmp_eq_u32 s26, 46
	s_mov_b64 s[20:21], 0
	s_cbranch_scc0 .LBB151_1836
; %bb.1826:
	global_load_dword v5, v[18:19], off
	s_mov_b64 s[0:1], 0
	s_mov_b64 s[18:19], -1
	s_waitcnt vmcnt(0)
	v_and_b32_e32 v8, 0xffff0000, v5
	v_lshlrev_b32_e32 v5, 16, v5
	v_cvt_f16_f32_e32 v5, v5
	v_cvt_f16_f32_e32 v8, v8
	s_branch .LBB151_1837
.LBB151_1827:
	s_mov_b64 s[18:19], 0
                                        ; implicit-def: $vgpr8
                                        ; implicit-def: $vgpr5
	s_cbranch_execnz .LBB151_1905
.LBB151_1828:
	s_andn2_b64 vcc, exec, s[18:19]
	s_cbranch_vccnz .LBB151_2781
	s_branch .LBB151_1954
.LBB151_1829:
	s_mov_b64 s[18:19], 0
	s_mov_b64 s[0:1], 0
                                        ; implicit-def: $vgpr8
                                        ; implicit-def: $vgpr5
	s_cbranch_execnz .LBB151_1868
	s_branch .LBB151_1901
.LBB151_1830:
	s_mov_b64 s[20:21], -1
	s_mov_b64 s[18:19], 0
	s_mov_b64 s[0:1], 0
                                        ; implicit-def: $vgpr8
                                        ; implicit-def: $vgpr5
	s_branch .LBB151_1849
.LBB151_1831:
	s_mov_b64 s[20:21], -1
	s_mov_b64 s[18:19], 0
	s_mov_b64 s[0:1], 0
                                        ; implicit-def: $vgpr8
                                        ; implicit-def: $vgpr5
	s_branch .LBB151_1843
.LBB151_1832:
	s_trap 2
	s_or_b64 s[4:5], s[12:13], exec
	s_cbranch_execz .LBB151_1771
	s_branch .LBB151_1772
.LBB151_1833:
	s_mov_b64 s[20:21], -1
	s_mov_b64 s[18:19], 0
	s_mov_b64 s[0:1], 0
                                        ; implicit-def: $vgpr8
                                        ; implicit-def: $vgpr5
	s_branch .LBB151_1837
.LBB151_1834:
	s_andn2_saveexec_b64 s[20:21], s[20:21]
	s_cbranch_execz .LBB151_1566
.LBB151_1835:
	v_add_f32_e32 v0, 0x42800000, v3
	v_and_b32_e32 v0, 0xff, v0
	v_cmp_ne_u32_e32 vcc, 0, v0
	s_andn2_b64 s[18:19], s[18:19], exec
	s_and_b64 s[28:29], vcc, exec
	s_or_b64 s[18:19], s[18:19], s[28:29]
	s_or_b64 exec, exec, s[20:21]
	v_mov_b32_e32 v4, 0
	s_and_saveexec_b64 s[20:21], s[18:19]
	s_cbranch_execnz .LBB151_1567
	s_branch .LBB151_1568
.LBB151_1836:
	s_mov_b64 s[0:1], -1
                                        ; implicit-def: $vgpr8
                                        ; implicit-def: $vgpr5
	s_mov_b64 s[18:19], 0
.LBB151_1837:
	s_and_b64 vcc, exec, s[20:21]
	s_cbranch_vccz .LBB151_1842
; %bb.1838:
	s_cmp_eq_u32 s26, 44
	s_cbranch_scc0 .LBB151_1840
; %bb.1839:
	global_load_ubyte v5, v[18:19], off
	s_movk_i32 s18, 0xff
	v_mov_b32_e32 v10, 0x7e00
	s_mov_b64 s[0:1], 0
	s_waitcnt vmcnt(0)
	v_lshlrev_b32_e32 v8, 23, v5
	v_cvt_f16_f32_e32 v8, v8
	v_cmp_ne_u32_e32 vcc, s18, v5
	s_mov_b64 s[18:19], -1
	v_cndmask_b32_e32 v8, v10, v8, vcc
	v_cmp_ne_u32_e32 vcc, 0, v5
	v_cndmask_b32_e32 v5, 0, v8, vcc
	s_branch .LBB151_1841
.LBB151_1840:
	s_mov_b64 s[0:1], -1
                                        ; implicit-def: $vgpr5
.LBB151_1841:
	v_mov_b32_e32 v8, 0
.LBB151_1842:
	s_mov_b64 s[20:21], 0
.LBB151_1843:
	s_and_b64 vcc, exec, s[20:21]
	s_cbranch_vccz .LBB151_1848
; %bb.1844:
	s_cmp_eq_u32 s26, 29
	s_cbranch_scc0 .LBB151_1846
; %bb.1845:
	global_load_dwordx2 v[20:21], v[18:19], off
	s_mov_b64 s[0:1], 0
	s_mov_b64 s[18:19], -1
	s_waitcnt vmcnt(0)
	v_ffbh_u32_e32 v5, v21
	v_min_u32_e32 v5, 32, v5
	v_lshlrev_b64 v[20:21], v5, v[20:21]
	v_sub_u32_e32 v5, 32, v5
	v_min_u32_e32 v8, 1, v20
	v_or_b32_e32 v8, v21, v8
	v_cvt_f32_u32_e32 v8, v8
	v_ldexp_f32 v5, v8, v5
	v_cvt_f16_f32_e32 v5, v5
	s_branch .LBB151_1847
.LBB151_1846:
	s_mov_b64 s[0:1], -1
                                        ; implicit-def: $vgpr5
.LBB151_1847:
	v_mov_b32_e32 v8, 0
.LBB151_1848:
	s_mov_b64 s[20:21], 0
.LBB151_1849:
	s_and_b64 vcc, exec, s[20:21]
	s_cbranch_vccz .LBB151_1867
; %bb.1850:
	s_cmp_lt_i32 s26, 27
	s_cbranch_scc1 .LBB151_1853
; %bb.1851:
	s_cmp_gt_i32 s26, 27
	s_cbranch_scc0 .LBB151_1854
; %bb.1852:
	global_load_dword v5, v[18:19], off
	s_mov_b64 s[18:19], 0
	s_waitcnt vmcnt(0)
	v_cvt_f32_u32_e32 v5, v5
	v_cvt_f16_f32_e32 v5, v5
	s_branch .LBB151_1855
.LBB151_1853:
	s_mov_b64 s[18:19], -1
                                        ; implicit-def: $vgpr5
	s_branch .LBB151_1858
.LBB151_1854:
	s_mov_b64 s[18:19], -1
                                        ; implicit-def: $vgpr5
.LBB151_1855:
	s_andn2_b64 vcc, exec, s[18:19]
	s_cbranch_vccnz .LBB151_1857
; %bb.1856:
	global_load_ushort v5, v[18:19], off
	s_waitcnt vmcnt(0)
	v_cvt_f16_u16_e32 v5, v5
.LBB151_1857:
	s_mov_b64 s[18:19], 0
.LBB151_1858:
	s_andn2_b64 vcc, exec, s[18:19]
	s_cbranch_vccnz .LBB151_1866
; %bb.1859:
	global_load_ubyte v8, v[18:19], off
	s_movk_i32 s18, 0x7f
	s_waitcnt vmcnt(0)
	v_cmp_lt_i16_e32 vcc, s18, v8
	s_mov_b64 s[18:19], 0
	s_and_saveexec_b64 s[20:21], vcc
	s_xor_b64 s[20:21], exec, s[20:21]
	s_cbranch_execz .LBB151_1879
; %bb.1860:
	s_movk_i32 s18, 0x80
	v_cmp_eq_u16_e32 vcc, s18, v8
	s_mov_b64 s[18:19], -1
	s_and_saveexec_b64 s[22:23], vcc
; %bb.1861:
	s_xor_b64 s[18:19], exec, -1
; %bb.1862:
	s_or_b64 exec, exec, s[22:23]
	s_and_b64 s[18:19], s[18:19], exec
	s_or_saveexec_b64 s[20:21], s[20:21]
	v_mov_b32_e32 v5, 0x7e00
	s_xor_b64 exec, exec, s[20:21]
	s_cbranch_execnz .LBB151_1880
.LBB151_1863:
	s_or_b64 exec, exec, s[20:21]
	s_and_saveexec_b64 s[20:21], s[18:19]
	s_cbranch_execz .LBB151_1865
.LBB151_1864:
	v_lshlrev_b32_e32 v5, 24, v8
	v_and_b32_e32 v8, 0xffff, v8
	v_and_b32_e32 v10, 7, v8
	v_ffbh_u32_e32 v14, v10
	v_min_u32_e32 v14, 32, v14
	v_subrev_u32_e32 v16, 28, v14
	v_bfe_u32 v12, v8, 3, 4
	v_lshlrev_b32_e32 v8, v16, v8
	v_sub_u32_e32 v14, 29, v14
	v_and_b32_e32 v8, 7, v8
	v_cmp_eq_u32_e32 vcc, 0, v12
	v_cndmask_b32_e32 v12, v12, v14, vcc
	v_cndmask_b32_e32 v8, v10, v8, vcc
	v_mov_b32_e32 v10, 0x3b800000
	v_lshlrev_b32_e32 v8, 20, v8
	v_and_b32_e32 v5, 0x80000000, v5
	v_lshl_add_u32 v10, v12, 23, v10
	v_or3_b32 v5, v5, v10, v8
	v_cvt_f16_f32_e32 v5, v5
.LBB151_1865:
	s_or_b64 exec, exec, s[20:21]
.LBB151_1866:
	s_mov_b64 s[18:19], -1
	v_mov_b32_e32 v8, 0
.LBB151_1867:
	s_branch .LBB151_1901
.LBB151_1868:
	s_cmp_gt_i32 s26, 22
	s_cbranch_scc0 .LBB151_1878
; %bb.1869:
	s_cmp_lt_i32 s26, 24
	s_cbranch_scc1 .LBB151_1881
; %bb.1870:
	s_cmp_gt_i32 s26, 24
	s_cbranch_scc0 .LBB151_1882
; %bb.1871:
	global_load_ubyte v8, v[18:19], off
	s_movk_i32 s6, 0x7f
	s_waitcnt vmcnt(0)
	v_cmp_lt_i16_e32 vcc, s6, v8
	s_mov_b64 s[6:7], 0
	s_and_saveexec_b64 s[18:19], vcc
	s_xor_b64 s[18:19], exec, s[18:19]
	s_cbranch_execz .LBB151_1894
; %bb.1872:
	s_movk_i32 s6, 0x80
	v_cmp_eq_u16_e32 vcc, s6, v8
	s_mov_b64 s[6:7], -1
	s_and_saveexec_b64 s[20:21], vcc
; %bb.1873:
	s_xor_b64 s[6:7], exec, -1
; %bb.1874:
	s_or_b64 exec, exec, s[20:21]
	s_and_b64 s[6:7], s[6:7], exec
	s_or_saveexec_b64 s[18:19], s[18:19]
	v_mov_b32_e32 v5, 0x7e00
	s_xor_b64 exec, exec, s[18:19]
	s_cbranch_execnz .LBB151_1895
.LBB151_1875:
	s_or_b64 exec, exec, s[18:19]
	s_and_saveexec_b64 s[18:19], s[6:7]
	s_cbranch_execz .LBB151_1877
.LBB151_1876:
	v_lshlrev_b32_e32 v5, 24, v8
	v_and_b32_e32 v8, 0xffff, v8
	v_and_b32_e32 v10, 3, v8
	v_ffbh_u32_e32 v14, v10
	v_min_u32_e32 v14, 32, v14
	v_subrev_u32_e32 v16, 29, v14
	v_bfe_u32 v12, v8, 2, 5
	v_lshlrev_b32_e32 v8, v16, v8
	v_sub_u32_e32 v14, 30, v14
	v_and_b32_e32 v8, 3, v8
	v_cmp_eq_u32_e32 vcc, 0, v12
	v_cndmask_b32_e32 v12, v12, v14, vcc
	v_cndmask_b32_e32 v8, v10, v8, vcc
	v_mov_b32_e32 v10, 0x37800000
	v_lshlrev_b32_e32 v8, 21, v8
	v_and_b32_e32 v5, 0x80000000, v5
	v_lshl_add_u32 v10, v12, 23, v10
	v_or3_b32 v5, v5, v10, v8
	v_cvt_f16_f32_e32 v5, v5
.LBB151_1877:
	s_or_b64 exec, exec, s[18:19]
	s_mov_b64 s[6:7], 0
	s_branch .LBB151_1883
.LBB151_1878:
	s_mov_b64 s[6:7], -1
                                        ; implicit-def: $vgpr5
	s_branch .LBB151_1889
.LBB151_1879:
	s_or_saveexec_b64 s[20:21], s[20:21]
	v_mov_b32_e32 v5, 0x7e00
	s_xor_b64 exec, exec, s[20:21]
	s_cbranch_execz .LBB151_1863
.LBB151_1880:
	v_cmp_ne_u16_e32 vcc, 0, v8
	s_andn2_b64 s[18:19], s[18:19], exec
	s_and_b64 s[22:23], vcc, exec
	s_or_b64 s[18:19], s[18:19], s[22:23]
	v_mov_b32_e32 v5, v8
	s_or_b64 exec, exec, s[20:21]
	s_and_saveexec_b64 s[20:21], s[18:19]
	s_cbranch_execnz .LBB151_1864
	s_branch .LBB151_1865
.LBB151_1881:
	s_mov_b64 s[6:7], -1
                                        ; implicit-def: $vgpr5
	s_branch .LBB151_1886
.LBB151_1882:
	s_mov_b64 s[6:7], -1
                                        ; implicit-def: $vgpr5
.LBB151_1883:
	s_and_b64 vcc, exec, s[6:7]
	s_cbranch_vccz .LBB151_1885
; %bb.1884:
	global_load_ubyte v5, v[18:19], off
	s_mov_b32 s6, 0x7f800000
	s_waitcnt vmcnt(0)
	v_lshlrev_b32_e32 v5, 24, v5
	v_and_b32_e32 v8, 0x7f000000, v5
	v_ffbh_u32_e32 v10, v8
	v_min_u32_e32 v10, 32, v10
	v_sub_u32_e64 v10, v10, 4 clamp
	v_lshlrev_b32_e32 v14, v10, v8
	v_lshlrev_b32_e32 v10, 23, v10
	v_lshrrev_b32_e32 v14, 4, v14
	v_add_u32_e32 v12, 0x1000000, v8
	v_sub_u32_e32 v10, v14, v10
	v_ashrrev_i32_e32 v12, 8, v12
	v_add_u32_e32 v10, 0x3c000000, v10
	v_and_or_b32 v10, v12, s6, v10
	v_cmp_ne_u32_e32 vcc, 0, v8
	v_cndmask_b32_e32 v8, 0, v10, vcc
	s_brev_b32 s6, 1
	v_and_or_b32 v5, v5, s6, v8
	v_cvt_f16_f32_e32 v5, v5
.LBB151_1885:
	s_mov_b64 s[6:7], 0
.LBB151_1886:
	s_andn2_b64 vcc, exec, s[6:7]
	s_cbranch_vccnz .LBB151_1888
; %bb.1887:
	global_load_ubyte v5, v[18:19], off
	s_movk_i32 s6, 0x7f00
	s_brev_b32 s7, 16
	s_waitcnt vmcnt(0)
	v_lshlrev_b16_e32 v8, 8, v5
	v_lshlrev_b32_e32 v5, 25, v5
	v_lshrrev_b32_e32 v10, 4, v5
	v_and_or_b32 v12, v8, s6, 0.5
	v_or_b32_e32 v10, 0x70000000, v10
	v_add_f32_e32 v12, -0.5, v12
	v_mul_f32_e32 v10, 0x7800000, v10
	v_cmp_gt_u32_e32 vcc, s7, v5
	v_bfe_i32 v8, v8, 0, 16
	v_cndmask_b32_e32 v5, v10, v12, vcc
	s_brev_b32 s6, 1
	v_and_or_b32 v5, v8, s6, v5
	v_cvt_f16_f32_e32 v5, v5
.LBB151_1888:
	s_mov_b64 s[6:7], 0
	s_mov_b64 s[18:19], -1
.LBB151_1889:
	s_andn2_b64 vcc, exec, s[6:7]
	s_mov_b64 s[6:7], 0
	s_cbranch_vccnz .LBB151_1900
; %bb.1890:
	s_cmp_gt_i32 s26, 14
	s_cbranch_scc0 .LBB151_1893
; %bb.1891:
	s_cmp_eq_u32 s26, 15
	s_cbranch_scc0 .LBB151_1896
; %bb.1892:
	global_load_ushort v5, v[18:19], off
	s_mov_b64 s[0:1], 0
	s_mov_b64 s[18:19], -1
	s_waitcnt vmcnt(0)
	v_lshlrev_b32_e32 v5, 16, v5
	v_cvt_f16_f32_e32 v5, v5
	s_branch .LBB151_1897
.LBB151_1893:
	s_mov_b64 s[20:21], -1
                                        ; implicit-def: $vgpr5
	s_branch .LBB151_1898
.LBB151_1894:
	s_or_saveexec_b64 s[18:19], s[18:19]
	v_mov_b32_e32 v5, 0x7e00
	s_xor_b64 exec, exec, s[18:19]
	s_cbranch_execz .LBB151_1875
.LBB151_1895:
	v_cmp_ne_u16_e32 vcc, 0, v8
	s_andn2_b64 s[6:7], s[6:7], exec
	s_and_b64 s[20:21], vcc, exec
	s_or_b64 s[6:7], s[6:7], s[20:21]
	v_mov_b32_e32 v5, v8
	s_or_b64 exec, exec, s[18:19]
	s_and_saveexec_b64 s[18:19], s[6:7]
	s_cbranch_execnz .LBB151_1876
	s_branch .LBB151_1877
.LBB151_1896:
	s_mov_b64 s[0:1], -1
                                        ; implicit-def: $vgpr5
.LBB151_1897:
	s_mov_b64 s[20:21], 0
.LBB151_1898:
	s_and_b64 vcc, exec, s[20:21]
	s_cbranch_vccz .LBB151_1900
; %bb.1899:
	s_cmp_lg_u32 s26, 11
	s_mov_b64 s[6:7], -1
	s_cselect_b64 s[0:1], -1, 0
.LBB151_1900:
	v_mov_b32_e32 v8, 0
.LBB151_1901:
	s_and_b64 vcc, exec, s[0:1]
	s_cbranch_vccnz .LBB151_1982
; %bb.1902:
	s_andn2_b64 vcc, exec, s[6:7]
	s_cbranch_vccnz .LBB151_1904
.LBB151_1903:
	global_load_ubyte v5, v[18:19], off
	v_mov_b32_e32 v10, 0x3c00
	v_mov_b32_e32 v8, 0
	s_mov_b64 s[18:19], -1
	s_waitcnt vmcnt(0)
	v_cmp_ne_u16_e32 vcc, 0, v5
	v_cndmask_b32_e32 v5, 0, v10, vcc
.LBB151_1904:
	s_branch .LBB151_1828
.LBB151_1905:
	s_and_b32 s6, 0xffff, s25
	s_cmp_lt_i32 s6, 5
	s_cbranch_scc1 .LBB151_1910
; %bb.1906:
	s_cmp_lt_i32 s6, 8
	s_cbranch_scc1 .LBB151_1912
; %bb.1907:
	;; [unrolled: 3-line block ×3, first 2 shown]
	s_cmp_gt_i32 s6, 9
	s_cbranch_scc0 .LBB151_1914
; %bb.1909:
	global_load_dwordx4 v[20:23], v[18:19], off
	s_movk_i32 s0, 0x1ff
	s_movk_i32 s1, 0xffe
	v_mov_b32_e32 v5, 0x7c00
	v_mov_b32_e32 v8, 0x7e00
	s_movk_i32 s7, 0x40f
	s_mov_b32 s18, 0x8000
	s_waitcnt vmcnt(0)
	v_and_or_b32 v10, v21, s0, v20
	v_and_or_b32 v20, v23, s0, v22
	v_cmp_ne_u32_e32 vcc, 0, v10
	v_lshrrev_b32_e32 v12, 8, v21
	v_bfe_u32 v14, v21, 20, 11
	v_cndmask_b32_e64 v10, 0, 1, vcc
	v_cmp_ne_u32_e32 vcc, 0, v20
	v_lshrrev_b32_e32 v16, 16, v21
	v_lshrrev_b32_e32 v21, 8, v23
	v_bfe_u32 v22, v23, 20, 11
	v_sub_u32_e32 v24, 0x3f1, v14
	v_cndmask_b32_e64 v20, 0, 1, vcc
	v_and_or_b32 v10, v12, s1, v10
	v_add_u32_e32 v14, 0xfffffc10, v14
	v_sub_u32_e32 v25, 0x3f1, v22
	v_add_u32_e32 v22, 0xfffffc10, v22
	v_med3_i32 v12, v24, 0, 13
	v_and_or_b32 v20, v21, s1, v20
	v_or_b32_e32 v24, 0x1000, v10
	v_cmp_ne_u32_e32 vcc, 0, v10
	v_med3_i32 v21, v25, 0, 13
	v_lshl_or_b32 v25, v14, 12, v10
	v_cndmask_b32_e32 v10, v5, v8, vcc
	v_or_b32_e32 v26, 0x1000, v20
	v_lshl_or_b32 v27, v22, 12, v20
	v_cmp_ne_u32_e32 vcc, 0, v20
	v_lshrrev_b32_e32 v20, v12, v24
	v_lshrrev_b32_e32 v28, v21, v26
	v_lshlrev_b32_e32 v12, v12, v20
	v_cndmask_b32_e32 v8, v5, v8, vcc
	v_lshlrev_b32_e32 v21, v21, v28
	v_cmp_ne_u32_e32 vcc, v12, v24
	v_cndmask_b32_e64 v12, 0, 1, vcc
	v_cmp_ne_u32_e32 vcc, v21, v26
	v_cndmask_b32_e64 v21, 0, 1, vcc
	v_or_b32_e32 v12, v20, v12
	v_cmp_gt_i32_e32 vcc, 1, v14
	v_cndmask_b32_e32 v12, v25, v12, vcc
	v_or_b32_e32 v20, v28, v21
	v_cmp_gt_i32_e32 vcc, 1, v22
	v_and_b32_e32 v21, 7, v12
	v_cndmask_b32_e32 v20, v27, v20, vcc
	v_cmp_lt_i32_e32 vcc, 5, v21
	v_and_b32_e32 v24, 7, v20
	v_cndmask_b32_e64 v25, 0, 1, vcc
	v_cmp_eq_u32_e32 vcc, 3, v21
	v_cndmask_b32_e64 v21, 0, 1, vcc
	v_cmp_lt_i32_e32 vcc, 5, v24
	v_cndmask_b32_e64 v26, 0, 1, vcc
	v_cmp_eq_u32_e32 vcc, 3, v24
	v_lshrrev_b32_e32 v12, 2, v12
	v_cndmask_b32_e64 v24, 0, 1, vcc
	v_or_b32_e32 v21, v21, v25
	v_lshrrev_b32_e32 v20, 2, v20
	v_or_b32_e32 v24, v24, v26
	v_add_u32_e32 v12, v12, v21
	v_cmp_gt_i32_e32 vcc, 31, v14
	v_add_u32_e32 v20, v20, v24
	v_cndmask_b32_e32 v12, v5, v12, vcc
	v_cmp_gt_i32_e32 vcc, 31, v22
	v_cndmask_b32_e32 v5, v5, v20, vcc
	v_cmp_eq_u32_e32 vcc, s7, v14
	v_cndmask_b32_e32 v10, v12, v10, vcc
	v_cmp_eq_u32_e32 vcc, s7, v22
	v_lshrrev_b32_e32 v23, 16, v23
	v_cndmask_b32_e32 v8, v5, v8, vcc
	v_and_or_b32 v5, v16, s18, v10
	v_and_or_b32 v8, v23, s18, v8
	s_mov_b64 s[0:1], 0
	s_branch .LBB151_1915
.LBB151_1910:
                                        ; implicit-def: $vgpr8
                                        ; implicit-def: $vgpr5
	s_branch .LBB151_1934
.LBB151_1911:
	s_branch .LBB151_1954
.LBB151_1912:
	s_mov_b64 s[0:1], -1
                                        ; implicit-def: $vgpr8
                                        ; implicit-def: $vgpr5
	s_branch .LBB151_1921
.LBB151_1913:
	s_mov_b64 s[0:1], -1
                                        ; implicit-def: $vgpr8
                                        ; implicit-def: $vgpr5
	s_branch .LBB151_1918
.LBB151_1914:
	s_mov_b64 s[0:1], -1
                                        ; implicit-def: $vgpr8
                                        ; implicit-def: $vgpr5
.LBB151_1915:
	s_andn2_b64 vcc, exec, s[0:1]
	s_cbranch_vccnz .LBB151_1917
; %bb.1916:
	global_load_dwordx2 v[20:21], v[18:19], off
	s_waitcnt vmcnt(0)
	v_cvt_f16_f32_e32 v5, v20
	v_cvt_f16_f32_e32 v8, v21
.LBB151_1917:
	s_mov_b64 s[0:1], 0
.LBB151_1918:
	s_andn2_b64 vcc, exec, s[0:1]
	s_cbranch_vccnz .LBB151_1920
; %bb.1919:
	global_load_dword v5, v[18:19], off
	s_waitcnt vmcnt(0)
	v_lshrrev_b32_e32 v8, 16, v5
.LBB151_1920:
	s_mov_b64 s[0:1], 0
.LBB151_1921:
	s_andn2_b64 vcc, exec, s[0:1]
	s_cbranch_vccnz .LBB151_1933
; %bb.1922:
	s_cmp_lt_i32 s6, 6
	s_cbranch_scc1 .LBB151_1925
; %bb.1923:
	s_cmp_gt_i32 s6, 6
	s_cbranch_scc0 .LBB151_1926
; %bb.1924:
	global_load_dwordx2 v[20:21], v[18:19], off
	s_movk_i32 s0, 0x1ff
	s_movk_i32 s1, 0xffe
	v_mov_b32_e32 v5, 0x7c00
	v_mov_b32_e32 v8, 0x7e00
	s_movk_i32 s7, 0x40f
	s_mov_b32 s18, 0x8000
	s_waitcnt vmcnt(0)
	v_and_or_b32 v10, v21, s0, v20
	v_cmp_ne_u32_e32 vcc, 0, v10
	v_lshrrev_b32_e32 v12, 8, v21
	v_bfe_u32 v14, v21, 20, 11
	v_cndmask_b32_e64 v10, 0, 1, vcc
	v_sub_u32_e32 v20, 0x3f1, v14
	v_and_or_b32 v10, v12, s1, v10
	v_add_u32_e32 v14, 0xfffffc10, v14
	v_med3_i32 v12, v20, 0, 13
	v_or_b32_e32 v20, 0x1000, v10
	v_lshrrev_b32_e32 v16, 16, v21
	v_lshl_or_b32 v21, v14, 12, v10
	v_cmp_ne_u32_e32 vcc, 0, v10
	v_lshrrev_b32_e32 v10, v12, v20
	v_lshlrev_b32_e32 v12, v12, v10
	v_cndmask_b32_e32 v8, v5, v8, vcc
	v_cmp_ne_u32_e32 vcc, v12, v20
	v_cndmask_b32_e64 v12, 0, 1, vcc
	v_or_b32_e32 v10, v10, v12
	v_cmp_gt_i32_e32 vcc, 1, v14
	v_cndmask_b32_e32 v10, v21, v10, vcc
	v_and_b32_e32 v12, 7, v10
	v_cmp_lt_i32_e32 vcc, 5, v12
	v_cndmask_b32_e64 v20, 0, 1, vcc
	v_cmp_eq_u32_e32 vcc, 3, v12
	v_cndmask_b32_e64 v12, 0, 1, vcc
	v_lshrrev_b32_e32 v10, 2, v10
	v_or_b32_e32 v12, v12, v20
	v_add_u32_e32 v10, v10, v12
	v_cmp_gt_i32_e32 vcc, 31, v14
	v_cndmask_b32_e32 v5, v5, v10, vcc
	v_cmp_eq_u32_e32 vcc, s7, v14
	v_cndmask_b32_e32 v5, v5, v8, vcc
	v_and_or_b32 v5, v16, s18, v5
	s_mov_b64 s[0:1], 0
	s_branch .LBB151_1927
.LBB151_1925:
	s_mov_b64 s[0:1], -1
                                        ; implicit-def: $vgpr5
	s_branch .LBB151_1930
.LBB151_1926:
	s_mov_b64 s[0:1], -1
                                        ; implicit-def: $vgpr5
.LBB151_1927:
	s_andn2_b64 vcc, exec, s[0:1]
	s_cbranch_vccnz .LBB151_1929
; %bb.1928:
	global_load_dword v5, v[18:19], off
	s_waitcnt vmcnt(0)
	v_cvt_f16_f32_e32 v5, v5
.LBB151_1929:
	s_mov_b64 s[0:1], 0
.LBB151_1930:
	s_andn2_b64 vcc, exec, s[0:1]
	s_cbranch_vccnz .LBB151_1932
; %bb.1931:
	global_load_ushort v5, v[18:19], off
.LBB151_1932:
	v_mov_b32_e32 v8, 0
.LBB151_1933:
	s_cbranch_execnz .LBB151_1911
.LBB151_1934:
	s_cmp_lt_i32 s6, 2
	s_cbranch_scc1 .LBB151_1938
; %bb.1935:
	s_cmp_lt_i32 s6, 3
	s_cbranch_scc1 .LBB151_1939
; %bb.1936:
	s_cmp_gt_i32 s6, 3
	s_cbranch_scc0 .LBB151_1940
; %bb.1937:
	global_load_dwordx2 v[20:21], v[18:19], off
	s_mov_b64 s[0:1], 0
	s_waitcnt vmcnt(0)
	v_xor_b32_e32 v8, v20, v21
	v_ffbh_i32_e32 v5, v21
	v_ashrrev_i32_e32 v8, 31, v8
	v_add_u32_e32 v5, -1, v5
	v_add_u32_e32 v8, 32, v8
	v_min_u32_e32 v5, v5, v8
	v_lshlrev_b64 v[20:21], v5, v[20:21]
	v_sub_u32_e32 v5, 32, v5
	v_min_u32_e32 v8, 1, v20
	v_or_b32_e32 v8, v21, v8
	v_cvt_f32_i32_e32 v8, v8
	v_ldexp_f32 v5, v8, v5
	v_cvt_f16_f32_e32 v5, v5
	s_branch .LBB151_1941
.LBB151_1938:
	s_mov_b64 s[0:1], -1
                                        ; implicit-def: $vgpr5
	s_branch .LBB151_1947
.LBB151_1939:
	s_mov_b64 s[0:1], -1
                                        ; implicit-def: $vgpr5
	s_branch .LBB151_1944
.LBB151_1940:
	s_mov_b64 s[0:1], -1
                                        ; implicit-def: $vgpr5
.LBB151_1941:
	s_andn2_b64 vcc, exec, s[0:1]
	s_cbranch_vccnz .LBB151_1943
; %bb.1942:
	global_load_dword v5, v[18:19], off
	s_waitcnt vmcnt(0)
	v_cvt_f32_i32_e32 v5, v5
	v_cvt_f16_f32_e32 v5, v5
.LBB151_1943:
	s_mov_b64 s[0:1], 0
.LBB151_1944:
	s_andn2_b64 vcc, exec, s[0:1]
	s_cbranch_vccnz .LBB151_1946
; %bb.1945:
	global_load_ushort v5, v[18:19], off
	s_waitcnt vmcnt(0)
	v_cvt_f16_i16_e32 v5, v5
.LBB151_1946:
	s_mov_b64 s[0:1], 0
.LBB151_1947:
	s_andn2_b64 vcc, exec, s[0:1]
	s_cbranch_vccnz .LBB151_1953
; %bb.1948:
	s_cmp_gt_i32 s6, 0
	s_cbranch_scc0 .LBB151_1950
; %bb.1949:
	global_load_sbyte v5, v[18:19], off
	s_mov_b64 s[0:1], 0
	s_waitcnt vmcnt(0)
	v_cvt_f16_i16_e32 v5, v5
	s_branch .LBB151_1951
.LBB151_1950:
	s_mov_b64 s[0:1], -1
                                        ; implicit-def: $vgpr5
.LBB151_1951:
	s_andn2_b64 vcc, exec, s[0:1]
	s_cbranch_vccnz .LBB151_1953
; %bb.1952:
	global_load_ubyte v5, v[18:19], off
	s_waitcnt vmcnt(0)
	v_cvt_f16_u16_e32 v5, v5
.LBB151_1953:
	v_mov_b32_e32 v8, 0
.LBB151_1954:
	s_load_dword s0, s[2:3], 0x1a0
	s_waitcnt lgkmcnt(0)
	s_cmp_lg_u32 s0, 0
	s_cselect_b64 s[18:19], -1, 0
	s_and_b64 vcc, exec, s[18:19]
	s_cbranch_vccz .LBB151_1966
; %bb.1955:
	s_waitcnt vmcnt(0)
	v_cmp_neq_f16_e32 vcc, v1, v5
	v_cmp_neq_f16_e64 s[0:1], v3, v8
	s_or_b64 s[6:7], vcc, s[0:1]
	s_cbranch_execnz .LBB151_1957
.LBB151_1956:
	s_waitcnt vmcnt(0)
	v_cmp_eq_f16_e32 vcc, v1, v5
	v_cmp_eq_f16_e64 s[0:1], v3, v8
	s_and_b64 s[0:1], vcc, s[0:1]
	s_andn2_b64 s[6:7], s[6:7], exec
	s_and_b64 s[0:1], s[0:1], exec
	s_or_b64 s[6:7], s[6:7], s[0:1]
.LBB151_1957:
	s_lshr_b32 s0, s24, 8
	s_lshr_b32 s28, s24, 16
	v_mov_b32_e32 v1, s11
	s_and_b32 s30, s0, 0xff
	v_add_co_u32_e32 v16, vcc, s10, v17
	s_cmp_lt_i32 s30, 11
	v_addc_co_u32_e32 v17, vcc, 0, v1, vcc
	s_cbranch_scc1 .LBB151_1964
; %bb.1958:
	s_and_b32 s29, 0xffff, s30
	s_cmp_gt_i32 s29, 25
	s_mov_b64 s[20:21], 0
	s_cbranch_scc0 .LBB151_1967
; %bb.1959:
	s_cmp_gt_i32 s29, 28
	s_cbranch_scc0 .LBB151_1978
; %bb.1960:
	s_cmp_gt_i32 s29, 43
	;; [unrolled: 3-line block ×3, first 2 shown]
	s_cbranch_scc0 .LBB151_1983
; %bb.1962:
	s_cmp_eq_u32 s29, 46
	s_mov_b64 s[24:25], 0
	s_cbranch_scc0 .LBB151_2037
; %bb.1963:
	global_load_dword v1, v[16:17], off
	s_mov_b64 s[0:1], 0
	s_mov_b64 s[22:23], -1
	s_waitcnt vmcnt(0)
	v_and_b32_e32 v3, 0xffff0000, v1
	v_lshlrev_b32_e32 v1, 16, v1
	v_cvt_f16_f32_e32 v1, v1
	v_cvt_f16_f32_e32 v3, v3
	s_branch .LBB151_2038
.LBB151_1964:
	s_mov_b64 s[22:23], 0
                                        ; implicit-def: $vgpr3
                                        ; implicit-def: $vgpr1
	s_cbranch_execnz .LBB151_1972
.LBB151_1965:
	s_andn2_b64 vcc, exec, s[22:23]
	s_cbranch_vccnz .LBB151_2781
	s_branch .LBB151_2026
.LBB151_1966:
                                        ; implicit-def: $sgpr6_sgpr7
	s_branch .LBB151_1956
.LBB151_1967:
	s_mov_b64 s[22:23], 0
	s_mov_b64 s[0:1], 0
                                        ; implicit-def: $vgpr3
                                        ; implicit-def: $vgpr1
	s_cbranch_execnz .LBB151_2070
.LBB151_1968:
	s_and_b64 vcc, exec, s[0:1]
	s_cbranch_vccnz .LBB151_2103
.LBB151_1969:
	s_andn2_b64 vcc, exec, s[20:21]
	s_cbranch_vccnz .LBB151_1971
.LBB151_1970:
	global_load_ubyte v1, v[16:17], off
	s_waitcnt vmcnt(1)
	v_mov_b32_e32 v5, 0x3c00
	v_mov_b32_e32 v3, 0
	s_mov_b64 s[22:23], -1
	s_waitcnt vmcnt(0)
	v_cmp_ne_u16_e32 vcc, 0, v1
	v_cndmask_b32_e32 v1, 0, v5, vcc
.LBB151_1971:
	s_branch .LBB151_1965
.LBB151_1972:
	s_and_b32 s20, 0xffff, s30
	s_cmp_lt_i32 s20, 5
	s_cbranch_scc1 .LBB151_1977
; %bb.1973:
	s_cmp_lt_i32 s20, 8
	s_cbranch_scc1 .LBB151_1979
; %bb.1974:
	;; [unrolled: 3-line block ×3, first 2 shown]
	s_cmp_gt_i32 s20, 9
	s_cbranch_scc0 .LBB151_1984
; %bb.1976:
	global_load_dwordx4 v[18:21], v[16:17], off
	s_movk_i32 s0, 0x1ff
	s_movk_i32 s1, 0xffe
	v_mov_b32_e32 v1, 0x7c00
	v_mov_b32_e32 v3, 0x7e00
	s_movk_i32 s21, 0x40f
	s_mov_b32 s22, 0x8000
	s_waitcnt vmcnt(0)
	v_and_or_b32 v5, v19, s0, v18
	v_and_or_b32 v14, v21, s0, v20
	v_cmp_ne_u32_e32 vcc, 0, v5
	v_lshrrev_b32_e32 v8, 8, v19
	v_bfe_u32 v10, v19, 20, 11
	v_cndmask_b32_e64 v5, 0, 1, vcc
	v_cmp_ne_u32_e32 vcc, 0, v14
	v_lshrrev_b32_e32 v12, 16, v19
	v_lshrrev_b32_e32 v18, 8, v21
	v_bfe_u32 v19, v21, 20, 11
	v_lshrrev_b32_e32 v20, 16, v21
	v_sub_u32_e32 v21, 0x3f1, v10
	v_cndmask_b32_e64 v14, 0, 1, vcc
	v_and_or_b32 v5, v8, s1, v5
	v_add_u32_e32 v10, 0xfffffc10, v10
	v_sub_u32_e32 v22, 0x3f1, v19
	v_add_u32_e32 v19, 0xfffffc10, v19
	v_med3_i32 v8, v21, 0, 13
	v_and_or_b32 v14, v18, s1, v14
	v_or_b32_e32 v21, 0x1000, v5
	v_cmp_ne_u32_e32 vcc, 0, v5
	v_med3_i32 v18, v22, 0, 13
	v_lshl_or_b32 v22, v10, 12, v5
	v_cndmask_b32_e32 v5, v1, v3, vcc
	v_or_b32_e32 v23, 0x1000, v14
	v_lshl_or_b32 v24, v19, 12, v14
	v_cmp_ne_u32_e32 vcc, 0, v14
	v_lshrrev_b32_e32 v14, v8, v21
	v_lshrrev_b32_e32 v25, v18, v23
	v_lshlrev_b32_e32 v8, v8, v14
	v_cndmask_b32_e32 v3, v1, v3, vcc
	v_lshlrev_b32_e32 v18, v18, v25
	v_cmp_ne_u32_e32 vcc, v8, v21
	v_cndmask_b32_e64 v8, 0, 1, vcc
	v_cmp_ne_u32_e32 vcc, v18, v23
	v_cndmask_b32_e64 v18, 0, 1, vcc
	v_or_b32_e32 v8, v14, v8
	v_cmp_gt_i32_e32 vcc, 1, v10
	v_cndmask_b32_e32 v8, v22, v8, vcc
	v_or_b32_e32 v14, v25, v18
	v_cmp_gt_i32_e32 vcc, 1, v19
	v_and_b32_e32 v18, 7, v8
	v_cndmask_b32_e32 v14, v24, v14, vcc
	v_cmp_lt_i32_e32 vcc, 5, v18
	v_and_b32_e32 v21, 7, v14
	v_cndmask_b32_e64 v22, 0, 1, vcc
	v_cmp_eq_u32_e32 vcc, 3, v18
	v_cndmask_b32_e64 v18, 0, 1, vcc
	v_cmp_lt_i32_e32 vcc, 5, v21
	v_cndmask_b32_e64 v23, 0, 1, vcc
	v_cmp_eq_u32_e32 vcc, 3, v21
	v_lshrrev_b32_e32 v8, 2, v8
	v_cndmask_b32_e64 v21, 0, 1, vcc
	v_or_b32_e32 v18, v18, v22
	v_lshrrev_b32_e32 v14, 2, v14
	v_or_b32_e32 v21, v21, v23
	v_add_u32_e32 v8, v8, v18
	v_cmp_gt_i32_e32 vcc, 31, v10
	v_add_u32_e32 v14, v14, v21
	v_cndmask_b32_e32 v8, v1, v8, vcc
	v_cmp_gt_i32_e32 vcc, 31, v19
	v_cndmask_b32_e32 v1, v1, v14, vcc
	v_cmp_eq_u32_e32 vcc, s21, v10
	v_cndmask_b32_e32 v5, v8, v5, vcc
	v_cmp_eq_u32_e32 vcc, s21, v19
	v_cndmask_b32_e32 v3, v1, v3, vcc
	v_and_or_b32 v1, v12, s22, v5
	v_and_or_b32 v3, v20, s22, v3
	s_mov_b64 s[0:1], 0
	s_branch .LBB151_1985
.LBB151_1977:
	s_mov_b64 s[0:1], -1
                                        ; implicit-def: $vgpr3
                                        ; implicit-def: $vgpr1
	s_branch .LBB151_2004
.LBB151_1978:
	s_mov_b64 s[24:25], -1
	s_mov_b64 s[22:23], 0
	s_mov_b64 s[0:1], 0
                                        ; implicit-def: $vgpr3
                                        ; implicit-def: $vgpr1
	s_branch .LBB151_2051
.LBB151_1979:
	s_mov_b64 s[0:1], -1
                                        ; implicit-def: $vgpr3
                                        ; implicit-def: $vgpr1
	s_branch .LBB151_1991
.LBB151_1980:
	s_mov_b64 s[24:25], -1
	s_mov_b64 s[22:23], 0
	s_mov_b64 s[0:1], 0
                                        ; implicit-def: $vgpr3
                                        ; implicit-def: $vgpr1
	s_branch .LBB151_2045
.LBB151_1981:
	s_mov_b64 s[0:1], -1
                                        ; implicit-def: $vgpr3
                                        ; implicit-def: $vgpr1
	s_branch .LBB151_1988
.LBB151_1982:
	s_trap 2
	s_or_b64 s[4:5], s[4:5], exec
	s_cbranch_execz .LBB151_1903
	s_branch .LBB151_1904
.LBB151_1983:
	s_mov_b64 s[24:25], -1
	s_mov_b64 s[22:23], 0
	s_mov_b64 s[0:1], 0
                                        ; implicit-def: $vgpr3
                                        ; implicit-def: $vgpr1
	s_branch .LBB151_2038
.LBB151_1984:
	s_mov_b64 s[0:1], -1
                                        ; implicit-def: $vgpr3
                                        ; implicit-def: $vgpr1
.LBB151_1985:
	s_andn2_b64 vcc, exec, s[0:1]
	s_cbranch_vccnz .LBB151_1987
; %bb.1986:
	global_load_dwordx2 v[18:19], v[16:17], off
	s_waitcnt vmcnt(0)
	v_cvt_f16_f32_e32 v1, v18
	v_cvt_f16_f32_e32 v3, v19
.LBB151_1987:
	s_mov_b64 s[0:1], 0
.LBB151_1988:
	s_andn2_b64 vcc, exec, s[0:1]
	s_cbranch_vccnz .LBB151_1990
; %bb.1989:
	global_load_dword v1, v[16:17], off
	s_waitcnt vmcnt(0)
	v_lshrrev_b32_e32 v3, 16, v1
.LBB151_1990:
	s_mov_b64 s[0:1], 0
.LBB151_1991:
	s_andn2_b64 vcc, exec, s[0:1]
	s_cbranch_vccnz .LBB151_2003
; %bb.1992:
	s_cmp_lt_i32 s20, 6
	s_cbranch_scc1 .LBB151_1995
; %bb.1993:
	s_cmp_gt_i32 s20, 6
	s_cbranch_scc0 .LBB151_1996
; %bb.1994:
	global_load_dwordx2 v[18:19], v[16:17], off
	s_movk_i32 s0, 0x1ff
	s_movk_i32 s1, 0xffe
	v_mov_b32_e32 v1, 0x7c00
	v_mov_b32_e32 v3, 0x7e00
	s_movk_i32 s21, 0x40f
	s_mov_b32 s22, 0x8000
	s_waitcnt vmcnt(0)
	v_and_or_b32 v5, v19, s0, v18
	v_cmp_ne_u32_e32 vcc, 0, v5
	v_lshrrev_b32_e32 v8, 8, v19
	v_bfe_u32 v10, v19, 20, 11
	v_cndmask_b32_e64 v5, 0, 1, vcc
	v_sub_u32_e32 v14, 0x3f1, v10
	v_and_or_b32 v5, v8, s1, v5
	v_add_u32_e32 v10, 0xfffffc10, v10
	v_med3_i32 v8, v14, 0, 13
	v_or_b32_e32 v14, 0x1000, v5
	v_lshl_or_b32 v18, v10, 12, v5
	v_cmp_ne_u32_e32 vcc, 0, v5
	v_lshrrev_b32_e32 v5, v8, v14
	v_lshlrev_b32_e32 v8, v8, v5
	v_cndmask_b32_e32 v3, v1, v3, vcc
	v_cmp_ne_u32_e32 vcc, v8, v14
	v_cndmask_b32_e64 v8, 0, 1, vcc
	v_or_b32_e32 v5, v5, v8
	v_cmp_gt_i32_e32 vcc, 1, v10
	v_cndmask_b32_e32 v5, v18, v5, vcc
	v_and_b32_e32 v8, 7, v5
	v_cmp_lt_i32_e32 vcc, 5, v8
	v_cndmask_b32_e64 v14, 0, 1, vcc
	v_cmp_eq_u32_e32 vcc, 3, v8
	v_cndmask_b32_e64 v8, 0, 1, vcc
	v_lshrrev_b32_e32 v5, 2, v5
	v_or_b32_e32 v8, v8, v14
	v_add_u32_e32 v5, v5, v8
	v_cmp_gt_i32_e32 vcc, 31, v10
	v_cndmask_b32_e32 v1, v1, v5, vcc
	v_cmp_eq_u32_e32 vcc, s21, v10
	v_lshrrev_b32_e32 v12, 16, v19
	v_cndmask_b32_e32 v1, v1, v3, vcc
	v_and_or_b32 v1, v12, s22, v1
	s_mov_b64 s[0:1], 0
	s_branch .LBB151_1997
.LBB151_1995:
	s_mov_b64 s[0:1], -1
                                        ; implicit-def: $vgpr1
	s_branch .LBB151_2000
.LBB151_1996:
	s_mov_b64 s[0:1], -1
                                        ; implicit-def: $vgpr1
.LBB151_1997:
	s_andn2_b64 vcc, exec, s[0:1]
	s_cbranch_vccnz .LBB151_1999
; %bb.1998:
	global_load_dword v1, v[16:17], off
	s_waitcnt vmcnt(0)
	v_cvt_f16_f32_e32 v1, v1
.LBB151_1999:
	s_mov_b64 s[0:1], 0
.LBB151_2000:
	s_andn2_b64 vcc, exec, s[0:1]
	s_cbranch_vccnz .LBB151_2002
; %bb.2001:
	global_load_ushort v1, v[16:17], off
.LBB151_2002:
	v_mov_b32_e32 v3, 0
.LBB151_2003:
	s_mov_b64 s[0:1], 0
.LBB151_2004:
	s_andn2_b64 vcc, exec, s[0:1]
	s_cbranch_vccnz .LBB151_2025
; %bb.2005:
	s_cmp_lt_i32 s20, 2
	s_cbranch_scc1 .LBB151_2009
; %bb.2006:
	s_cmp_lt_i32 s20, 3
	s_cbranch_scc1 .LBB151_2010
; %bb.2007:
	s_cmp_gt_i32 s20, 3
	s_cbranch_scc0 .LBB151_2011
; %bb.2008:
	global_load_dwordx2 v[18:19], v[16:17], off
	s_mov_b64 s[0:1], 0
	s_waitcnt vmcnt(0)
	v_xor_b32_e32 v3, v18, v19
	v_ffbh_i32_e32 v1, v19
	v_ashrrev_i32_e32 v3, 31, v3
	v_add_u32_e32 v1, -1, v1
	v_add_u32_e32 v3, 32, v3
	v_min_u32_e32 v1, v1, v3
	v_lshlrev_b64 v[18:19], v1, v[18:19]
	v_sub_u32_e32 v1, 32, v1
	v_min_u32_e32 v3, 1, v18
	v_or_b32_e32 v3, v19, v3
	v_cvt_f32_i32_e32 v3, v3
	v_ldexp_f32 v1, v3, v1
	v_cvt_f16_f32_e32 v1, v1
	s_branch .LBB151_2012
.LBB151_2009:
	s_mov_b64 s[0:1], -1
                                        ; implicit-def: $vgpr1
	s_branch .LBB151_2018
.LBB151_2010:
	s_mov_b64 s[0:1], -1
                                        ; implicit-def: $vgpr1
	s_branch .LBB151_2015
.LBB151_2011:
	s_mov_b64 s[0:1], -1
                                        ; implicit-def: $vgpr1
.LBB151_2012:
	s_andn2_b64 vcc, exec, s[0:1]
	s_cbranch_vccnz .LBB151_2014
; %bb.2013:
	global_load_dword v1, v[16:17], off
	s_waitcnt vmcnt(0)
	v_cvt_f32_i32_e32 v1, v1
	v_cvt_f16_f32_e32 v1, v1
.LBB151_2014:
	s_mov_b64 s[0:1], 0
.LBB151_2015:
	s_andn2_b64 vcc, exec, s[0:1]
	s_cbranch_vccnz .LBB151_2017
; %bb.2016:
	global_load_ushort v1, v[16:17], off
	s_waitcnt vmcnt(0)
	v_cvt_f16_i16_e32 v1, v1
.LBB151_2017:
	s_mov_b64 s[0:1], 0
.LBB151_2018:
	s_andn2_b64 vcc, exec, s[0:1]
	s_cbranch_vccnz .LBB151_2024
; %bb.2019:
	s_cmp_gt_i32 s20, 0
	s_cbranch_scc0 .LBB151_2021
; %bb.2020:
	global_load_sbyte v1, v[16:17], off
	s_mov_b64 s[0:1], 0
	s_waitcnt vmcnt(0)
	v_cvt_f16_i16_e32 v1, v1
	s_branch .LBB151_2022
.LBB151_2021:
	s_mov_b64 s[0:1], -1
                                        ; implicit-def: $vgpr1
.LBB151_2022:
	s_andn2_b64 vcc, exec, s[0:1]
	s_cbranch_vccnz .LBB151_2024
; %bb.2023:
	global_load_ubyte v1, v[16:17], off
	s_waitcnt vmcnt(0)
	v_cvt_f16_u16_e32 v1, v1
.LBB151_2024:
	v_mov_b32_e32 v3, 0
.LBB151_2025:
.LBB151_2026:
	s_waitcnt vmcnt(0)
	v_mov_b32_e32 v5, s17
	s_and_b32 s31, s28, 0xff
	v_add_co_u32_e32 v14, vcc, s16, v15
	s_cmp_lt_i32 s31, 11
	v_addc_co_u32_e32 v15, vcc, 0, v5, vcc
	s_cbranch_scc1 .LBB151_2033
; %bb.2027:
	s_and_b32 s28, 0xffff, s31
	s_cmp_gt_i32 s28, 25
	s_mov_b64 s[20:21], 0
	s_cbranch_scc0 .LBB151_2034
; %bb.2028:
	s_cmp_gt_i32 s28, 28
	s_cbranch_scc0 .LBB151_2035
; %bb.2029:
	s_cmp_gt_i32 s28, 43
	s_cbranch_scc0 .LBB151_2036
; %bb.2030:
	s_cmp_gt_i32 s28, 45
	s_cbranch_scc0 .LBB151_2041
; %bb.2031:
	s_cmp_eq_u32 s28, 46
	s_mov_b64 s[24:25], 0
	s_cbranch_scc0 .LBB151_2104
; %bb.2032:
	global_load_dword v5, v[14:15], off
	s_mov_b64 s[0:1], 0
	s_mov_b64 s[22:23], -1
	s_waitcnt vmcnt(0)
	v_and_b32_e32 v8, 0xffff0000, v5
	v_lshlrev_b32_e32 v5, 16, v5
	v_cvt_f16_f32_e32 v5, v5
	v_cvt_f16_f32_e32 v8, v8
	s_branch .LBB151_2105
.LBB151_2033:
	s_mov_b64 s[0:1], -1
	s_mov_b64 s[22:23], 0
                                        ; implicit-def: $vgpr8
                                        ; implicit-def: $vgpr5
	s_branch .LBB151_2151
.LBB151_2034:
	s_mov_b64 s[24:25], -1
	s_mov_b64 s[22:23], 0
	s_mov_b64 s[0:1], 0
                                        ; implicit-def: $vgpr8
                                        ; implicit-def: $vgpr5
	s_branch .LBB151_2136
.LBB151_2035:
	s_mov_b64 s[24:25], -1
	s_mov_b64 s[22:23], 0
	s_mov_b64 s[0:1], 0
                                        ; implicit-def: $vgpr8
                                        ; implicit-def: $vgpr5
	s_branch .LBB151_2117
.LBB151_2036:
	s_mov_b64 s[24:25], -1
	s_mov_b64 s[22:23], 0
	s_mov_b64 s[0:1], 0
                                        ; implicit-def: $vgpr8
                                        ; implicit-def: $vgpr5
	s_branch .LBB151_2111
.LBB151_2037:
	s_mov_b64 s[0:1], -1
                                        ; implicit-def: $vgpr3
                                        ; implicit-def: $vgpr1
	s_mov_b64 s[22:23], 0
.LBB151_2038:
	s_and_b64 vcc, exec, s[24:25]
	s_cbranch_vccz .LBB151_2044
; %bb.2039:
	s_cmp_eq_u32 s29, 44
	s_cbranch_scc0 .LBB151_2042
; %bb.2040:
	global_load_ubyte v1, v[16:17], off
	s_movk_i32 s22, 0xff
	s_waitcnt vmcnt(1)
	v_mov_b32_e32 v5, 0x7e00
	s_mov_b64 s[0:1], 0
	s_waitcnt vmcnt(0)
	v_lshlrev_b32_e32 v3, 23, v1
	v_cvt_f16_f32_e32 v3, v3
	v_cmp_ne_u32_e32 vcc, s22, v1
	s_mov_b64 s[22:23], -1
	v_cndmask_b32_e32 v3, v5, v3, vcc
	v_cmp_ne_u32_e32 vcc, 0, v1
	v_cndmask_b32_e32 v1, 0, v3, vcc
	s_branch .LBB151_2043
.LBB151_2041:
	s_mov_b64 s[24:25], -1
	s_mov_b64 s[22:23], 0
	s_mov_b64 s[0:1], 0
                                        ; implicit-def: $vgpr8
                                        ; implicit-def: $vgpr5
	s_branch .LBB151_2105
.LBB151_2042:
	s_mov_b64 s[0:1], -1
                                        ; implicit-def: $vgpr1
.LBB151_2043:
	v_mov_b32_e32 v3, 0
.LBB151_2044:
	s_mov_b64 s[24:25], 0
.LBB151_2045:
	s_and_b64 vcc, exec, s[24:25]
	s_cbranch_vccz .LBB151_2050
; %bb.2046:
	s_cmp_eq_u32 s29, 29
	s_cbranch_scc0 .LBB151_2048
; %bb.2047:
	global_load_dwordx2 v[18:19], v[16:17], off
	s_mov_b64 s[0:1], 0
	s_mov_b64 s[22:23], -1
	s_waitcnt vmcnt(0)
	v_ffbh_u32_e32 v1, v19
	v_min_u32_e32 v1, 32, v1
	v_lshlrev_b64 v[18:19], v1, v[18:19]
	v_sub_u32_e32 v1, 32, v1
	v_min_u32_e32 v3, 1, v18
	v_or_b32_e32 v3, v19, v3
	v_cvt_f32_u32_e32 v3, v3
	v_ldexp_f32 v1, v3, v1
	v_cvt_f16_f32_e32 v1, v1
	s_branch .LBB151_2049
.LBB151_2048:
	s_mov_b64 s[0:1], -1
                                        ; implicit-def: $vgpr1
.LBB151_2049:
	v_mov_b32_e32 v3, 0
.LBB151_2050:
	s_mov_b64 s[24:25], 0
.LBB151_2051:
	s_and_b64 vcc, exec, s[24:25]
	s_cbranch_vccz .LBB151_2069
; %bb.2052:
	s_cmp_lt_i32 s29, 27
	s_cbranch_scc1 .LBB151_2055
; %bb.2053:
	s_cmp_gt_i32 s29, 27
	s_cbranch_scc0 .LBB151_2056
; %bb.2054:
	global_load_dword v1, v[16:17], off
	s_mov_b64 s[22:23], 0
	s_waitcnt vmcnt(0)
	v_cvt_f32_u32_e32 v1, v1
	v_cvt_f16_f32_e32 v1, v1
	s_branch .LBB151_2057
.LBB151_2055:
	s_mov_b64 s[22:23], -1
                                        ; implicit-def: $vgpr1
	s_branch .LBB151_2060
.LBB151_2056:
	s_mov_b64 s[22:23], -1
                                        ; implicit-def: $vgpr1
.LBB151_2057:
	s_andn2_b64 vcc, exec, s[22:23]
	s_cbranch_vccnz .LBB151_2059
; %bb.2058:
	global_load_ushort v1, v[16:17], off
	s_waitcnt vmcnt(0)
	v_cvt_f16_u16_e32 v1, v1
.LBB151_2059:
	s_mov_b64 s[22:23], 0
.LBB151_2060:
	s_andn2_b64 vcc, exec, s[22:23]
	s_cbranch_vccnz .LBB151_2068
; %bb.2061:
	global_load_ubyte v3, v[16:17], off
	s_movk_i32 s22, 0x7f
	s_waitcnt vmcnt(0)
	v_cmp_lt_i16_e32 vcc, s22, v3
	s_mov_b64 s[22:23], 0
	s_and_saveexec_b64 s[24:25], vcc
	s_xor_b64 s[24:25], exec, s[24:25]
	s_cbranch_execz .LBB151_2081
; %bb.2062:
	s_movk_i32 s22, 0x80
	v_cmp_eq_u16_e32 vcc, s22, v3
	s_mov_b64 s[22:23], -1
	s_and_saveexec_b64 s[26:27], vcc
; %bb.2063:
	s_xor_b64 s[22:23], exec, -1
; %bb.2064:
	s_or_b64 exec, exec, s[26:27]
	s_and_b64 s[22:23], s[22:23], exec
	s_or_saveexec_b64 s[24:25], s[24:25]
	v_mov_b32_e32 v1, 0x7e00
	s_xor_b64 exec, exec, s[24:25]
	s_cbranch_execnz .LBB151_2082
.LBB151_2065:
	s_or_b64 exec, exec, s[24:25]
	s_and_saveexec_b64 s[24:25], s[22:23]
	s_cbranch_execz .LBB151_2067
.LBB151_2066:
	v_lshlrev_b32_e32 v1, 24, v3
	v_and_b32_e32 v3, 0xffff, v3
	v_and_b32_e32 v5, 7, v3
	v_ffbh_u32_e32 v10, v5
	v_min_u32_e32 v10, 32, v10
	v_subrev_u32_e32 v12, 28, v10
	v_bfe_u32 v8, v3, 3, 4
	v_lshlrev_b32_e32 v3, v12, v3
	v_sub_u32_e32 v10, 29, v10
	v_and_b32_e32 v3, 7, v3
	v_cmp_eq_u32_e32 vcc, 0, v8
	v_cndmask_b32_e32 v8, v8, v10, vcc
	v_cndmask_b32_e32 v3, v5, v3, vcc
	v_mov_b32_e32 v5, 0x3b800000
	v_lshlrev_b32_e32 v3, 20, v3
	v_and_b32_e32 v1, 0x80000000, v1
	v_lshl_add_u32 v5, v8, 23, v5
	v_or3_b32 v1, v1, v5, v3
	v_cvt_f16_f32_e32 v1, v1
.LBB151_2067:
	s_or_b64 exec, exec, s[24:25]
.LBB151_2068:
	s_mov_b64 s[22:23], -1
	v_mov_b32_e32 v3, 0
.LBB151_2069:
	s_branch .LBB151_1968
.LBB151_2070:
	s_cmp_gt_i32 s29, 22
	s_cbranch_scc0 .LBB151_2080
; %bb.2071:
	s_cmp_lt_i32 s29, 24
	s_cbranch_scc1 .LBB151_2083
; %bb.2072:
	s_cmp_gt_i32 s29, 24
	s_cbranch_scc0 .LBB151_2084
; %bb.2073:
	global_load_ubyte v3, v[16:17], off
	s_movk_i32 s20, 0x7f
	s_waitcnt vmcnt(0)
	v_cmp_lt_i16_e32 vcc, s20, v3
	s_mov_b64 s[20:21], 0
	s_and_saveexec_b64 s[22:23], vcc
	s_xor_b64 s[22:23], exec, s[22:23]
	s_cbranch_execz .LBB151_2096
; %bb.2074:
	s_movk_i32 s20, 0x80
	v_cmp_eq_u16_e32 vcc, s20, v3
	s_mov_b64 s[20:21], -1
	s_and_saveexec_b64 s[24:25], vcc
; %bb.2075:
	s_xor_b64 s[20:21], exec, -1
; %bb.2076:
	s_or_b64 exec, exec, s[24:25]
	s_and_b64 s[20:21], s[20:21], exec
	s_or_saveexec_b64 s[22:23], s[22:23]
	v_mov_b32_e32 v1, 0x7e00
	s_xor_b64 exec, exec, s[22:23]
	s_cbranch_execnz .LBB151_2097
.LBB151_2077:
	s_or_b64 exec, exec, s[22:23]
	s_and_saveexec_b64 s[22:23], s[20:21]
	s_cbranch_execz .LBB151_2079
.LBB151_2078:
	v_lshlrev_b32_e32 v1, 24, v3
	v_and_b32_e32 v3, 0xffff, v3
	v_and_b32_e32 v5, 3, v3
	v_ffbh_u32_e32 v10, v5
	v_min_u32_e32 v10, 32, v10
	v_subrev_u32_e32 v12, 29, v10
	v_bfe_u32 v8, v3, 2, 5
	v_lshlrev_b32_e32 v3, v12, v3
	v_sub_u32_e32 v10, 30, v10
	v_and_b32_e32 v3, 3, v3
	v_cmp_eq_u32_e32 vcc, 0, v8
	v_cndmask_b32_e32 v8, v8, v10, vcc
	v_cndmask_b32_e32 v3, v5, v3, vcc
	v_mov_b32_e32 v5, 0x37800000
	v_lshlrev_b32_e32 v3, 21, v3
	v_and_b32_e32 v1, 0x80000000, v1
	v_lshl_add_u32 v5, v8, 23, v5
	v_or3_b32 v1, v1, v5, v3
	v_cvt_f16_f32_e32 v1, v1
.LBB151_2079:
	s_or_b64 exec, exec, s[22:23]
	s_mov_b64 s[20:21], 0
	s_branch .LBB151_2085
.LBB151_2080:
	s_mov_b64 s[20:21], -1
                                        ; implicit-def: $vgpr1
	s_branch .LBB151_2091
.LBB151_2081:
	s_or_saveexec_b64 s[24:25], s[24:25]
	v_mov_b32_e32 v1, 0x7e00
	s_xor_b64 exec, exec, s[24:25]
	s_cbranch_execz .LBB151_2065
.LBB151_2082:
	v_cmp_ne_u16_e32 vcc, 0, v3
	s_andn2_b64 s[22:23], s[22:23], exec
	s_and_b64 s[26:27], vcc, exec
	s_or_b64 s[22:23], s[22:23], s[26:27]
	v_mov_b32_e32 v1, v3
	s_or_b64 exec, exec, s[24:25]
	s_and_saveexec_b64 s[24:25], s[22:23]
	s_cbranch_execnz .LBB151_2066
	s_branch .LBB151_2067
.LBB151_2083:
	s_mov_b64 s[20:21], -1
                                        ; implicit-def: $vgpr1
	s_branch .LBB151_2088
.LBB151_2084:
	s_mov_b64 s[20:21], -1
                                        ; implicit-def: $vgpr1
.LBB151_2085:
	s_and_b64 vcc, exec, s[20:21]
	s_cbranch_vccz .LBB151_2087
; %bb.2086:
	global_load_ubyte v1, v[16:17], off
	s_mov_b32 s20, 0x7f800000
	s_waitcnt vmcnt(0)
	v_lshlrev_b32_e32 v1, 24, v1
	v_and_b32_e32 v3, 0x7f000000, v1
	v_ffbh_u32_e32 v5, v3
	v_min_u32_e32 v5, 32, v5
	v_sub_u32_e64 v5, v5, 4 clamp
	v_lshlrev_b32_e32 v10, v5, v3
	v_lshlrev_b32_e32 v5, 23, v5
	v_lshrrev_b32_e32 v10, 4, v10
	v_add_u32_e32 v8, 0x1000000, v3
	v_sub_u32_e32 v5, v10, v5
	v_ashrrev_i32_e32 v8, 8, v8
	v_add_u32_e32 v5, 0x3c000000, v5
	v_and_or_b32 v5, v8, s20, v5
	v_cmp_ne_u32_e32 vcc, 0, v3
	v_cndmask_b32_e32 v3, 0, v5, vcc
	s_brev_b32 s20, 1
	v_and_or_b32 v1, v1, s20, v3
	v_cvt_f16_f32_e32 v1, v1
.LBB151_2087:
	s_mov_b64 s[20:21], 0
.LBB151_2088:
	s_andn2_b64 vcc, exec, s[20:21]
	s_cbranch_vccnz .LBB151_2090
; %bb.2089:
	global_load_ubyte v1, v[16:17], off
	s_movk_i32 s20, 0x7f00
	s_brev_b32 s21, 16
	s_waitcnt vmcnt(0)
	v_lshlrev_b16_e32 v3, 8, v1
	v_lshlrev_b32_e32 v1, 25, v1
	v_lshrrev_b32_e32 v5, 4, v1
	v_and_or_b32 v8, v3, s20, 0.5
	v_or_b32_e32 v5, 0x70000000, v5
	v_add_f32_e32 v8, -0.5, v8
	v_mul_f32_e32 v5, 0x7800000, v5
	v_cmp_gt_u32_e32 vcc, s21, v1
	v_bfe_i32 v3, v3, 0, 16
	v_cndmask_b32_e32 v1, v5, v8, vcc
	s_brev_b32 s20, 1
	v_and_or_b32 v1, v3, s20, v1
	v_cvt_f16_f32_e32 v1, v1
.LBB151_2090:
	s_mov_b64 s[20:21], 0
	s_mov_b64 s[22:23], -1
.LBB151_2091:
	s_andn2_b64 vcc, exec, s[20:21]
	s_mov_b64 s[20:21], 0
	s_cbranch_vccnz .LBB151_2102
; %bb.2092:
	s_cmp_gt_i32 s29, 14
	s_cbranch_scc0 .LBB151_2095
; %bb.2093:
	s_cmp_eq_u32 s29, 15
	s_cbranch_scc0 .LBB151_2098
; %bb.2094:
	global_load_ushort v1, v[16:17], off
	s_mov_b64 s[0:1], 0
	s_mov_b64 s[22:23], -1
	s_waitcnt vmcnt(0)
	v_lshlrev_b32_e32 v1, 16, v1
	v_cvt_f16_f32_e32 v1, v1
	s_branch .LBB151_2099
.LBB151_2095:
	s_mov_b64 s[24:25], -1
                                        ; implicit-def: $vgpr1
	s_branch .LBB151_2100
.LBB151_2096:
	s_or_saveexec_b64 s[22:23], s[22:23]
	v_mov_b32_e32 v1, 0x7e00
	s_xor_b64 exec, exec, s[22:23]
	s_cbranch_execz .LBB151_2077
.LBB151_2097:
	v_cmp_ne_u16_e32 vcc, 0, v3
	s_andn2_b64 s[20:21], s[20:21], exec
	s_and_b64 s[24:25], vcc, exec
	s_or_b64 s[20:21], s[20:21], s[24:25]
	v_mov_b32_e32 v1, v3
	s_or_b64 exec, exec, s[22:23]
	s_and_saveexec_b64 s[22:23], s[20:21]
	s_cbranch_execnz .LBB151_2078
	s_branch .LBB151_2079
.LBB151_2098:
	s_mov_b64 s[0:1], -1
                                        ; implicit-def: $vgpr1
.LBB151_2099:
	s_mov_b64 s[24:25], 0
.LBB151_2100:
	s_and_b64 vcc, exec, s[24:25]
	s_cbranch_vccz .LBB151_2102
; %bb.2101:
	s_cmp_lg_u32 s29, 11
	s_mov_b64 s[20:21], -1
	s_cselect_b64 s[0:1], -1, 0
.LBB151_2102:
	v_mov_b32_e32 v3, 0
	s_and_b64 vcc, exec, s[0:1]
	s_cbranch_vccz .LBB151_1969
.LBB151_2103:
	s_trap 2
	s_or_b64 s[4:5], s[4:5], exec
	s_cbranch_execz .LBB151_1970
	s_branch .LBB151_1971
.LBB151_2104:
	s_mov_b64 s[0:1], -1
                                        ; implicit-def: $vgpr8
                                        ; implicit-def: $vgpr5
	s_mov_b64 s[22:23], 0
.LBB151_2105:
	s_and_b64 vcc, exec, s[24:25]
	s_cbranch_vccz .LBB151_2110
; %bb.2106:
	s_cmp_eq_u32 s28, 44
	s_cbranch_scc0 .LBB151_2108
; %bb.2107:
	global_load_ubyte v5, v[14:15], off
	s_movk_i32 s22, 0xff
	v_mov_b32_e32 v10, 0x7e00
	s_mov_b64 s[0:1], 0
	s_waitcnt vmcnt(0)
	v_lshlrev_b32_e32 v8, 23, v5
	v_cvt_f16_f32_e32 v8, v8
	v_cmp_ne_u32_e32 vcc, s22, v5
	s_mov_b64 s[22:23], -1
	v_cndmask_b32_e32 v8, v10, v8, vcc
	v_cmp_ne_u32_e32 vcc, 0, v5
	v_cndmask_b32_e32 v5, 0, v8, vcc
	s_branch .LBB151_2109
.LBB151_2108:
	s_mov_b64 s[0:1], -1
                                        ; implicit-def: $vgpr5
.LBB151_2109:
	v_mov_b32_e32 v8, 0
.LBB151_2110:
	s_mov_b64 s[24:25], 0
.LBB151_2111:
	s_and_b64 vcc, exec, s[24:25]
	s_cbranch_vccz .LBB151_2116
; %bb.2112:
	s_cmp_eq_u32 s28, 29
	s_cbranch_scc0 .LBB151_2114
; %bb.2113:
	global_load_dwordx2 v[16:17], v[14:15], off
	s_mov_b64 s[0:1], 0
	s_mov_b64 s[22:23], -1
	s_waitcnt vmcnt(0)
	v_ffbh_u32_e32 v5, v17
	v_min_u32_e32 v5, 32, v5
	v_lshlrev_b64 v[16:17], v5, v[16:17]
	v_sub_u32_e32 v5, 32, v5
	v_min_u32_e32 v8, 1, v16
	v_or_b32_e32 v8, v17, v8
	v_cvt_f32_u32_e32 v8, v8
	v_ldexp_f32 v5, v8, v5
	v_cvt_f16_f32_e32 v5, v5
	s_branch .LBB151_2115
.LBB151_2114:
	s_mov_b64 s[0:1], -1
                                        ; implicit-def: $vgpr5
.LBB151_2115:
	v_mov_b32_e32 v8, 0
.LBB151_2116:
	s_mov_b64 s[24:25], 0
.LBB151_2117:
	s_and_b64 vcc, exec, s[24:25]
	s_cbranch_vccz .LBB151_2135
; %bb.2118:
	s_cmp_lt_i32 s28, 27
	s_cbranch_scc1 .LBB151_2121
; %bb.2119:
	s_cmp_gt_i32 s28, 27
	s_cbranch_scc0 .LBB151_2122
; %bb.2120:
	global_load_dword v5, v[14:15], off
	s_mov_b64 s[22:23], 0
	s_waitcnt vmcnt(0)
	v_cvt_f32_u32_e32 v5, v5
	v_cvt_f16_f32_e32 v5, v5
	s_branch .LBB151_2123
.LBB151_2121:
	s_mov_b64 s[22:23], -1
                                        ; implicit-def: $vgpr5
	s_branch .LBB151_2126
.LBB151_2122:
	s_mov_b64 s[22:23], -1
                                        ; implicit-def: $vgpr5
.LBB151_2123:
	s_andn2_b64 vcc, exec, s[22:23]
	s_cbranch_vccnz .LBB151_2125
; %bb.2124:
	global_load_ushort v5, v[14:15], off
	s_waitcnt vmcnt(0)
	v_cvt_f16_u16_e32 v5, v5
.LBB151_2125:
	s_mov_b64 s[22:23], 0
.LBB151_2126:
	s_andn2_b64 vcc, exec, s[22:23]
	s_cbranch_vccnz .LBB151_2134
; %bb.2127:
	global_load_ubyte v8, v[14:15], off
	s_movk_i32 s22, 0x7f
	s_waitcnt vmcnt(0)
	v_cmp_lt_i16_e32 vcc, s22, v8
	s_mov_b64 s[22:23], 0
	s_and_saveexec_b64 s[24:25], vcc
	s_xor_b64 s[24:25], exec, s[24:25]
	s_cbranch_execz .LBB151_2160
; %bb.2128:
	s_movk_i32 s22, 0x80
	v_cmp_eq_u16_e32 vcc, s22, v8
	s_mov_b64 s[22:23], -1
	s_and_saveexec_b64 s[26:27], vcc
; %bb.2129:
	s_xor_b64 s[22:23], exec, -1
; %bb.2130:
	s_or_b64 exec, exec, s[26:27]
	s_and_b64 s[22:23], s[22:23], exec
	s_or_saveexec_b64 s[24:25], s[24:25]
	v_mov_b32_e32 v5, 0x7e00
	s_xor_b64 exec, exec, s[24:25]
	s_cbranch_execnz .LBB151_2161
.LBB151_2131:
	s_or_b64 exec, exec, s[24:25]
	s_and_saveexec_b64 s[24:25], s[22:23]
	s_cbranch_execz .LBB151_2133
.LBB151_2132:
	v_lshlrev_b32_e32 v5, 24, v8
	v_and_b32_e32 v8, 0xffff, v8
	v_and_b32_e32 v10, 7, v8
	v_ffbh_u32_e32 v16, v10
	v_min_u32_e32 v16, 32, v16
	v_subrev_u32_e32 v17, 28, v16
	v_bfe_u32 v12, v8, 3, 4
	v_lshlrev_b32_e32 v8, v17, v8
	v_sub_u32_e32 v16, 29, v16
	v_and_b32_e32 v8, 7, v8
	v_cmp_eq_u32_e32 vcc, 0, v12
	v_cndmask_b32_e32 v12, v12, v16, vcc
	v_cndmask_b32_e32 v8, v10, v8, vcc
	v_mov_b32_e32 v10, 0x3b800000
	v_lshlrev_b32_e32 v8, 20, v8
	v_and_b32_e32 v5, 0x80000000, v5
	v_lshl_add_u32 v10, v12, 23, v10
	v_or3_b32 v5, v5, v10, v8
	v_cvt_f16_f32_e32 v5, v5
.LBB151_2133:
	s_or_b64 exec, exec, s[24:25]
.LBB151_2134:
	s_mov_b64 s[22:23], -1
	v_mov_b32_e32 v8, 0
.LBB151_2135:
	s_mov_b64 s[24:25], 0
.LBB151_2136:
	s_and_b64 vcc, exec, s[24:25]
	s_cbranch_vccz .LBB151_2147
; %bb.2137:
	s_cmp_gt_i32 s28, 22
	s_cbranch_scc0 .LBB151_2158
; %bb.2138:
	s_cmp_lt_i32 s28, 24
	s_cbranch_scc1 .LBB151_2162
; %bb.2139:
	s_cmp_gt_i32 s28, 24
	s_cbranch_scc0 .LBB151_2164
; %bb.2140:
	global_load_ubyte v8, v[14:15], off
	s_movk_i32 s20, 0x7f
	s_waitcnt vmcnt(0)
	v_cmp_lt_i16_e32 vcc, s20, v8
	s_mov_b64 s[20:21], 0
	s_and_saveexec_b64 s[22:23], vcc
	s_xor_b64 s[22:23], exec, s[22:23]
	s_cbranch_execz .LBB151_2176
; %bb.2141:
	s_movk_i32 s20, 0x80
	v_cmp_eq_u16_e32 vcc, s20, v8
	s_mov_b64 s[20:21], -1
	s_and_saveexec_b64 s[24:25], vcc
; %bb.2142:
	s_xor_b64 s[20:21], exec, -1
; %bb.2143:
	s_or_b64 exec, exec, s[24:25]
	s_and_b64 s[20:21], s[20:21], exec
	s_or_saveexec_b64 s[22:23], s[22:23]
	v_mov_b32_e32 v5, 0x7e00
	s_xor_b64 exec, exec, s[22:23]
	s_cbranch_execnz .LBB151_2177
.LBB151_2144:
	s_or_b64 exec, exec, s[22:23]
	s_and_saveexec_b64 s[22:23], s[20:21]
	s_cbranch_execz .LBB151_2146
.LBB151_2145:
	v_lshlrev_b32_e32 v5, 24, v8
	v_and_b32_e32 v8, 0xffff, v8
	v_and_b32_e32 v10, 3, v8
	v_ffbh_u32_e32 v16, v10
	v_min_u32_e32 v16, 32, v16
	v_subrev_u32_e32 v17, 29, v16
	v_bfe_u32 v12, v8, 2, 5
	v_lshlrev_b32_e32 v8, v17, v8
	v_sub_u32_e32 v16, 30, v16
	v_and_b32_e32 v8, 3, v8
	v_cmp_eq_u32_e32 vcc, 0, v12
	v_cndmask_b32_e32 v12, v12, v16, vcc
	v_cndmask_b32_e32 v8, v10, v8, vcc
	v_mov_b32_e32 v10, 0x37800000
	v_lshlrev_b32_e32 v8, 21, v8
	v_and_b32_e32 v5, 0x80000000, v5
	v_lshl_add_u32 v10, v12, 23, v10
	v_or3_b32 v5, v5, v10, v8
	v_cvt_f16_f32_e32 v5, v5
.LBB151_2146:
	s_or_b64 exec, exec, s[22:23]
	s_mov_b64 s[20:21], 0
	s_branch .LBB151_2165
.LBB151_2147:
	s_and_b64 vcc, exec, s[0:1]
	s_cbranch_vccnz .LBB151_2195
.LBB151_2148:
	s_andn2_b64 vcc, exec, s[20:21]
	s_cbranch_vccnz .LBB151_2150
.LBB151_2149:
	global_load_ubyte v5, v[14:15], off
	v_mov_b32_e32 v10, 0x3c00
	v_mov_b32_e32 v8, 0
	s_mov_b64 s[22:23], -1
	s_waitcnt vmcnt(0)
	v_cmp_ne_u16_e32 vcc, 0, v5
	v_cndmask_b32_e32 v5, 0, v10, vcc
.LBB151_2150:
	s_mov_b64 s[0:1], 0
.LBB151_2151:
	s_and_b64 vcc, exec, s[0:1]
	s_cbranch_vccz .LBB151_2226
; %bb.2152:
	s_and_b32 s20, 0xffff, s31
	s_cmp_lt_i32 s20, 5
	s_cbranch_scc1 .LBB151_2157
; %bb.2153:
	s_cmp_lt_i32 s20, 8
	s_cbranch_scc1 .LBB151_2159
; %bb.2154:
	;; [unrolled: 3-line block ×3, first 2 shown]
	s_cmp_gt_i32 s20, 9
	s_cbranch_scc0 .LBB151_2178
; %bb.2156:
	global_load_dwordx4 v[16:19], v[14:15], off
	s_movk_i32 s0, 0x1ff
	s_movk_i32 s1, 0xffe
	v_mov_b32_e32 v5, 0x7c00
	v_mov_b32_e32 v8, 0x7e00
	s_movk_i32 s21, 0x40f
	s_mov_b32 s22, 0x8000
	s_waitcnt vmcnt(0)
	v_and_or_b32 v10, v17, s0, v16
	v_and_or_b32 v18, v19, s0, v18
	v_cmp_ne_u32_e32 vcc, 0, v10
	v_lshrrev_b32_e32 v12, 8, v17
	v_bfe_u32 v16, v17, 20, 11
	v_cndmask_b32_e64 v10, 0, 1, vcc
	v_cmp_ne_u32_e32 vcc, 0, v18
	v_lshrrev_b32_e32 v20, 8, v19
	v_bfe_u32 v21, v19, 20, 11
	v_sub_u32_e32 v22, 0x3f1, v16
	v_cndmask_b32_e64 v18, 0, 1, vcc
	v_and_or_b32 v10, v12, s1, v10
	v_add_u32_e32 v16, 0xfffffc10, v16
	v_sub_u32_e32 v23, 0x3f1, v21
	v_add_u32_e32 v21, 0xfffffc10, v21
	v_med3_i32 v12, v22, 0, 13
	v_and_or_b32 v18, v20, s1, v18
	v_or_b32_e32 v22, 0x1000, v10
	v_cmp_ne_u32_e32 vcc, 0, v10
	v_med3_i32 v20, v23, 0, 13
	v_lshl_or_b32 v23, v16, 12, v10
	v_cndmask_b32_e32 v10, v5, v8, vcc
	v_or_b32_e32 v24, 0x1000, v18
	v_lshl_or_b32 v25, v21, 12, v18
	v_cmp_ne_u32_e32 vcc, 0, v18
	v_lshrrev_b32_e32 v18, v12, v22
	v_lshrrev_b32_e32 v26, v20, v24
	v_lshlrev_b32_e32 v12, v12, v18
	v_cndmask_b32_e32 v8, v5, v8, vcc
	v_lshlrev_b32_e32 v20, v20, v26
	v_cmp_ne_u32_e32 vcc, v12, v22
	v_cndmask_b32_e64 v12, 0, 1, vcc
	v_cmp_ne_u32_e32 vcc, v20, v24
	v_cndmask_b32_e64 v20, 0, 1, vcc
	v_or_b32_e32 v12, v18, v12
	v_cmp_gt_i32_e32 vcc, 1, v16
	v_cndmask_b32_e32 v12, v23, v12, vcc
	v_or_b32_e32 v18, v26, v20
	v_cmp_gt_i32_e32 vcc, 1, v21
	v_and_b32_e32 v20, 7, v12
	v_cndmask_b32_e32 v18, v25, v18, vcc
	v_cmp_lt_i32_e32 vcc, 5, v20
	v_and_b32_e32 v22, 7, v18
	v_cndmask_b32_e64 v23, 0, 1, vcc
	v_cmp_eq_u32_e32 vcc, 3, v20
	v_cndmask_b32_e64 v20, 0, 1, vcc
	v_cmp_lt_i32_e32 vcc, 5, v22
	v_cndmask_b32_e64 v24, 0, 1, vcc
	v_cmp_eq_u32_e32 vcc, 3, v22
	v_lshrrev_b32_e32 v12, 2, v12
	v_cndmask_b32_e64 v22, 0, 1, vcc
	v_or_b32_e32 v20, v20, v23
	v_lshrrev_b32_e32 v18, 2, v18
	v_or_b32_e32 v22, v22, v24
	v_add_u32_e32 v12, v12, v20
	v_cmp_gt_i32_e32 vcc, 31, v16
	v_add_u32_e32 v18, v18, v22
	v_cndmask_b32_e32 v12, v5, v12, vcc
	v_cmp_gt_i32_e32 vcc, 31, v21
	v_cndmask_b32_e32 v5, v5, v18, vcc
	v_cmp_eq_u32_e32 vcc, s21, v16
	v_cndmask_b32_e32 v10, v12, v10, vcc
	v_cmp_eq_u32_e32 vcc, s21, v21
	v_lshrrev_b32_e32 v17, 16, v17
	v_lshrrev_b32_e32 v19, 16, v19
	v_cndmask_b32_e32 v8, v5, v8, vcc
	v_and_or_b32 v5, v17, s22, v10
	v_and_or_b32 v8, v19, s22, v8
	s_mov_b64 s[0:1], 0
	s_branch .LBB151_2179
.LBB151_2157:
	s_mov_b64 s[0:1], -1
                                        ; implicit-def: $vgpr8
                                        ; implicit-def: $vgpr5
	s_branch .LBB151_2204
.LBB151_2158:
	s_mov_b64 s[20:21], -1
                                        ; implicit-def: $vgpr5
	s_branch .LBB151_2171
.LBB151_2159:
	s_mov_b64 s[0:1], -1
                                        ; implicit-def: $vgpr8
                                        ; implicit-def: $vgpr5
	s_branch .LBB151_2185
.LBB151_2160:
	s_or_saveexec_b64 s[24:25], s[24:25]
	v_mov_b32_e32 v5, 0x7e00
	s_xor_b64 exec, exec, s[24:25]
	s_cbranch_execz .LBB151_2131
.LBB151_2161:
	v_cmp_ne_u16_e32 vcc, 0, v8
	s_andn2_b64 s[22:23], s[22:23], exec
	s_and_b64 s[26:27], vcc, exec
	s_or_b64 s[22:23], s[22:23], s[26:27]
	v_mov_b32_e32 v5, v8
	s_or_b64 exec, exec, s[24:25]
	s_and_saveexec_b64 s[24:25], s[22:23]
	s_cbranch_execnz .LBB151_2132
	s_branch .LBB151_2133
.LBB151_2162:
	s_mov_b64 s[20:21], -1
                                        ; implicit-def: $vgpr5
	s_branch .LBB151_2168
.LBB151_2163:
	s_mov_b64 s[0:1], -1
                                        ; implicit-def: $vgpr8
                                        ; implicit-def: $vgpr5
	s_branch .LBB151_2182
.LBB151_2164:
	s_mov_b64 s[20:21], -1
                                        ; implicit-def: $vgpr5
.LBB151_2165:
	s_and_b64 vcc, exec, s[20:21]
	s_cbranch_vccz .LBB151_2167
; %bb.2166:
	global_load_ubyte v5, v[14:15], off
	s_mov_b32 s20, 0x7f800000
	s_waitcnt vmcnt(0)
	v_lshlrev_b32_e32 v5, 24, v5
	v_and_b32_e32 v8, 0x7f000000, v5
	v_ffbh_u32_e32 v10, v8
	v_min_u32_e32 v10, 32, v10
	v_sub_u32_e64 v10, v10, 4 clamp
	v_lshlrev_b32_e32 v16, v10, v8
	v_lshlrev_b32_e32 v10, 23, v10
	v_lshrrev_b32_e32 v16, 4, v16
	v_add_u32_e32 v12, 0x1000000, v8
	v_sub_u32_e32 v10, v16, v10
	v_ashrrev_i32_e32 v12, 8, v12
	v_add_u32_e32 v10, 0x3c000000, v10
	v_and_or_b32 v10, v12, s20, v10
	v_cmp_ne_u32_e32 vcc, 0, v8
	v_cndmask_b32_e32 v8, 0, v10, vcc
	s_brev_b32 s20, 1
	v_and_or_b32 v5, v5, s20, v8
	v_cvt_f16_f32_e32 v5, v5
.LBB151_2167:
	s_mov_b64 s[20:21], 0
.LBB151_2168:
	s_andn2_b64 vcc, exec, s[20:21]
	s_cbranch_vccnz .LBB151_2170
; %bb.2169:
	global_load_ubyte v5, v[14:15], off
	s_movk_i32 s20, 0x7f00
	s_brev_b32 s21, 16
	s_waitcnt vmcnt(0)
	v_lshlrev_b16_e32 v8, 8, v5
	v_lshlrev_b32_e32 v5, 25, v5
	v_lshrrev_b32_e32 v10, 4, v5
	v_and_or_b32 v12, v8, s20, 0.5
	v_or_b32_e32 v10, 0x70000000, v10
	v_add_f32_e32 v12, -0.5, v12
	v_mul_f32_e32 v10, 0x7800000, v10
	v_cmp_gt_u32_e32 vcc, s21, v5
	v_bfe_i32 v8, v8, 0, 16
	v_cndmask_b32_e32 v5, v10, v12, vcc
	s_brev_b32 s20, 1
	v_and_or_b32 v5, v8, s20, v5
	v_cvt_f16_f32_e32 v5, v5
.LBB151_2170:
	s_mov_b64 s[20:21], 0
	s_mov_b64 s[22:23], -1
.LBB151_2171:
	s_andn2_b64 vcc, exec, s[20:21]
	s_mov_b64 s[20:21], 0
	s_cbranch_vccnz .LBB151_2194
; %bb.2172:
	s_cmp_gt_i32 s28, 14
	s_cbranch_scc0 .LBB151_2175
; %bb.2173:
	s_cmp_eq_u32 s28, 15
	s_cbranch_scc0 .LBB151_2190
; %bb.2174:
	global_load_ushort v5, v[14:15], off
	s_mov_b64 s[0:1], 0
	s_mov_b64 s[22:23], -1
	s_waitcnt vmcnt(0)
	v_lshlrev_b32_e32 v5, 16, v5
	v_cvt_f16_f32_e32 v5, v5
	s_branch .LBB151_2191
.LBB151_2175:
	s_mov_b64 s[24:25], -1
                                        ; implicit-def: $vgpr5
	s_branch .LBB151_2192
.LBB151_2176:
	s_or_saveexec_b64 s[22:23], s[22:23]
	v_mov_b32_e32 v5, 0x7e00
	s_xor_b64 exec, exec, s[22:23]
	s_cbranch_execz .LBB151_2144
.LBB151_2177:
	v_cmp_ne_u16_e32 vcc, 0, v8
	s_andn2_b64 s[20:21], s[20:21], exec
	s_and_b64 s[24:25], vcc, exec
	s_or_b64 s[20:21], s[20:21], s[24:25]
	v_mov_b32_e32 v5, v8
	s_or_b64 exec, exec, s[22:23]
	s_and_saveexec_b64 s[22:23], s[20:21]
	s_cbranch_execnz .LBB151_2145
	s_branch .LBB151_2146
.LBB151_2178:
	s_mov_b64 s[0:1], -1
                                        ; implicit-def: $vgpr8
                                        ; implicit-def: $vgpr5
.LBB151_2179:
	s_andn2_b64 vcc, exec, s[0:1]
	s_cbranch_vccnz .LBB151_2181
; %bb.2180:
	global_load_dwordx2 v[16:17], v[14:15], off
	s_waitcnt vmcnt(0)
	v_cvt_f16_f32_e32 v5, v16
	v_cvt_f16_f32_e32 v8, v17
.LBB151_2181:
	s_mov_b64 s[0:1], 0
.LBB151_2182:
	s_andn2_b64 vcc, exec, s[0:1]
	s_cbranch_vccnz .LBB151_2184
; %bb.2183:
	global_load_dword v5, v[14:15], off
	s_waitcnt vmcnt(0)
	v_lshrrev_b32_e32 v8, 16, v5
.LBB151_2184:
	s_mov_b64 s[0:1], 0
.LBB151_2185:
	s_andn2_b64 vcc, exec, s[0:1]
	s_cbranch_vccnz .LBB151_2203
; %bb.2186:
	s_cmp_lt_i32 s20, 6
	s_cbranch_scc1 .LBB151_2189
; %bb.2187:
	s_cmp_gt_i32 s20, 6
	s_cbranch_scc0 .LBB151_2196
; %bb.2188:
	global_load_dwordx2 v[16:17], v[14:15], off
	s_movk_i32 s0, 0x1ff
	s_movk_i32 s1, 0xffe
	v_mov_b32_e32 v5, 0x7c00
	v_mov_b32_e32 v8, 0x7e00
	s_movk_i32 s21, 0x40f
	s_mov_b32 s22, 0x8000
	s_waitcnt vmcnt(0)
	v_and_or_b32 v10, v17, s0, v16
	v_cmp_ne_u32_e32 vcc, 0, v10
	v_lshrrev_b32_e32 v12, 8, v17
	v_bfe_u32 v16, v17, 20, 11
	v_cndmask_b32_e64 v10, 0, 1, vcc
	v_sub_u32_e32 v18, 0x3f1, v16
	v_and_or_b32 v10, v12, s1, v10
	v_add_u32_e32 v16, 0xfffffc10, v16
	v_med3_i32 v12, v18, 0, 13
	v_or_b32_e32 v18, 0x1000, v10
	v_lshl_or_b32 v19, v16, 12, v10
	v_cmp_ne_u32_e32 vcc, 0, v10
	v_lshrrev_b32_e32 v10, v12, v18
	v_lshlrev_b32_e32 v12, v12, v10
	v_cndmask_b32_e32 v8, v5, v8, vcc
	v_cmp_ne_u32_e32 vcc, v12, v18
	v_cndmask_b32_e64 v12, 0, 1, vcc
	v_or_b32_e32 v10, v10, v12
	v_cmp_gt_i32_e32 vcc, 1, v16
	v_cndmask_b32_e32 v10, v19, v10, vcc
	v_and_b32_e32 v12, 7, v10
	v_cmp_lt_i32_e32 vcc, 5, v12
	v_cndmask_b32_e64 v18, 0, 1, vcc
	v_cmp_eq_u32_e32 vcc, 3, v12
	v_cndmask_b32_e64 v12, 0, 1, vcc
	v_lshrrev_b32_e32 v10, 2, v10
	v_or_b32_e32 v12, v12, v18
	v_add_u32_e32 v10, v10, v12
	v_cmp_gt_i32_e32 vcc, 31, v16
	v_cndmask_b32_e32 v5, v5, v10, vcc
	v_cmp_eq_u32_e32 vcc, s21, v16
	v_lshrrev_b32_e32 v17, 16, v17
	v_cndmask_b32_e32 v5, v5, v8, vcc
	v_and_or_b32 v5, v17, s22, v5
	s_mov_b64 s[0:1], 0
	s_branch .LBB151_2197
.LBB151_2189:
	s_mov_b64 s[0:1], -1
                                        ; implicit-def: $vgpr5
	s_branch .LBB151_2200
.LBB151_2190:
	s_mov_b64 s[0:1], -1
                                        ; implicit-def: $vgpr5
.LBB151_2191:
	s_mov_b64 s[24:25], 0
.LBB151_2192:
	s_and_b64 vcc, exec, s[24:25]
	s_cbranch_vccz .LBB151_2194
; %bb.2193:
	s_cmp_lg_u32 s28, 11
	s_mov_b64 s[20:21], -1
	s_cselect_b64 s[0:1], -1, 0
.LBB151_2194:
	v_mov_b32_e32 v8, 0
	s_and_b64 vcc, exec, s[0:1]
	s_cbranch_vccz .LBB151_2148
.LBB151_2195:
	s_trap 2
	s_or_b64 s[4:5], s[4:5], exec
	s_cbranch_execz .LBB151_2149
	s_branch .LBB151_2150
.LBB151_2196:
	s_mov_b64 s[0:1], -1
                                        ; implicit-def: $vgpr5
.LBB151_2197:
	s_andn2_b64 vcc, exec, s[0:1]
	s_cbranch_vccnz .LBB151_2199
; %bb.2198:
	global_load_dword v5, v[14:15], off
	s_waitcnt vmcnt(0)
	v_cvt_f16_f32_e32 v5, v5
.LBB151_2199:
	s_mov_b64 s[0:1], 0
.LBB151_2200:
	s_andn2_b64 vcc, exec, s[0:1]
	s_cbranch_vccnz .LBB151_2202
; %bb.2201:
	global_load_ushort v5, v[14:15], off
.LBB151_2202:
	v_mov_b32_e32 v8, 0
.LBB151_2203:
	s_mov_b64 s[0:1], 0
.LBB151_2204:
	s_andn2_b64 vcc, exec, s[0:1]
	s_cbranch_vccnz .LBB151_2225
; %bb.2205:
	s_cmp_lt_i32 s20, 2
	s_cbranch_scc1 .LBB151_2209
; %bb.2206:
	s_cmp_lt_i32 s20, 3
	s_cbranch_scc1 .LBB151_2210
; %bb.2207:
	s_cmp_gt_i32 s20, 3
	s_cbranch_scc0 .LBB151_2211
; %bb.2208:
	global_load_dwordx2 v[16:17], v[14:15], off
	s_mov_b64 s[0:1], 0
	s_waitcnt vmcnt(0)
	v_xor_b32_e32 v8, v16, v17
	v_ffbh_i32_e32 v5, v17
	v_ashrrev_i32_e32 v8, 31, v8
	v_add_u32_e32 v5, -1, v5
	v_add_u32_e32 v8, 32, v8
	v_min_u32_e32 v5, v5, v8
	v_lshlrev_b64 v[16:17], v5, v[16:17]
	v_sub_u32_e32 v5, 32, v5
	v_min_u32_e32 v8, 1, v16
	v_or_b32_e32 v8, v17, v8
	v_cvt_f32_i32_e32 v8, v8
	v_ldexp_f32 v5, v8, v5
	v_cvt_f16_f32_e32 v5, v5
	s_branch .LBB151_2212
.LBB151_2209:
	s_mov_b64 s[0:1], -1
                                        ; implicit-def: $vgpr5
	s_branch .LBB151_2218
.LBB151_2210:
	s_mov_b64 s[0:1], -1
                                        ; implicit-def: $vgpr5
	s_branch .LBB151_2215
.LBB151_2211:
	s_mov_b64 s[0:1], -1
                                        ; implicit-def: $vgpr5
.LBB151_2212:
	s_andn2_b64 vcc, exec, s[0:1]
	s_cbranch_vccnz .LBB151_2214
; %bb.2213:
	global_load_dword v5, v[14:15], off
	s_waitcnt vmcnt(0)
	v_cvt_f32_i32_e32 v5, v5
	v_cvt_f16_f32_e32 v5, v5
.LBB151_2214:
	s_mov_b64 s[0:1], 0
.LBB151_2215:
	s_andn2_b64 vcc, exec, s[0:1]
	s_cbranch_vccnz .LBB151_2217
; %bb.2216:
	global_load_ushort v5, v[14:15], off
	s_waitcnt vmcnt(0)
	v_cvt_f16_i16_e32 v5, v5
.LBB151_2217:
	s_mov_b64 s[0:1], 0
.LBB151_2218:
	s_andn2_b64 vcc, exec, s[0:1]
	s_cbranch_vccnz .LBB151_2224
; %bb.2219:
	s_cmp_gt_i32 s20, 0
	s_cbranch_scc0 .LBB151_2221
; %bb.2220:
	global_load_sbyte v5, v[14:15], off
	s_mov_b64 s[0:1], 0
	s_waitcnt vmcnt(0)
	v_cvt_f16_i16_e32 v5, v5
	s_branch .LBB151_2222
.LBB151_2221:
	s_mov_b64 s[0:1], -1
                                        ; implicit-def: $vgpr5
.LBB151_2222:
	s_andn2_b64 vcc, exec, s[0:1]
	s_cbranch_vccnz .LBB151_2224
; %bb.2223:
	global_load_ubyte v5, v[14:15], off
	s_waitcnt vmcnt(0)
	v_cvt_f16_u16_e32 v5, v5
.LBB151_2224:
	v_mov_b32_e32 v8, 0
.LBB151_2225:
	s_mov_b64 s[22:23], -1
.LBB151_2226:
	s_andn2_b64 vcc, exec, s[22:23]
	s_cbranch_vccnz .LBB151_2781
; %bb.2227:
	s_and_b64 vcc, exec, s[18:19]
	s_cbranch_vccz .LBB151_2229
; %bb.2228:
	s_waitcnt vmcnt(0)
	v_cmp_neq_f16_e32 vcc, v1, v5
	v_cmp_neq_f16_e64 s[0:1], v3, v8
	s_or_b64 s[20:21], vcc, s[0:1]
	s_mov_b64 s[0:1], 0
	s_branch .LBB151_2230
.LBB151_2229:
	s_mov_b64 s[0:1], -1
                                        ; implicit-def: $sgpr20_sgpr21
.LBB151_2230:
	s_andn2_b64 vcc, exec, s[0:1]
	s_cbranch_vccnz .LBB151_2232
; %bb.2231:
	s_waitcnt vmcnt(0)
	v_cmp_eq_f16_e32 vcc, v1, v5
	v_cmp_eq_f16_e64 s[0:1], v3, v8
	s_and_b64 s[0:1], vcc, s[0:1]
	s_andn2_b64 s[20:21], s[20:21], exec
	s_and_b64 s[0:1], s[0:1], exec
	s_or_b64 s[20:21], s[20:21], s[0:1]
.LBB151_2232:
	v_mov_b32_e32 v1, s11
	v_add_co_u32_e32 v12, vcc, s10, v13
	s_cmp_lt_i32 s30, 11
	v_addc_co_u32_e32 v13, vcc, 0, v1, vcc
	s_cbranch_scc1 .LBB151_2239
; %bb.2233:
	s_and_b32 s33, 0xffff, s30
	s_cmp_gt_i32 s33, 25
	s_mov_b64 s[22:23], 0
	s_cbranch_scc0 .LBB151_2240
; %bb.2234:
	s_cmp_gt_i32 s33, 28
	s_cbranch_scc0 .LBB151_2241
; %bb.2235:
	s_cmp_gt_i32 s33, 43
	;; [unrolled: 3-line block ×3, first 2 shown]
	s_cbranch_scc0 .LBB151_2243
; %bb.2237:
	s_cmp_eq_u32 s33, 46
	s_mov_b64 s[26:27], 0
	s_cbranch_scc0 .LBB151_2244
; %bb.2238:
	global_load_dword v1, v[12:13], off
	s_mov_b64 s[0:1], 0
	s_mov_b64 s[24:25], -1
	s_waitcnt vmcnt(0)
	v_and_b32_e32 v3, 0xffff0000, v1
	v_lshlrev_b32_e32 v1, 16, v1
	v_cvt_f16_f32_e32 v1, v1
	v_cvt_f16_f32_e32 v3, v3
	s_branch .LBB151_2245
.LBB151_2239:
	s_mov_b64 s[0:1], -1
	s_mov_b64 s[24:25], 0
                                        ; implicit-def: $vgpr3
                                        ; implicit-def: $vgpr1
	s_branch .LBB151_2291
.LBB151_2240:
	s_mov_b64 s[26:27], -1
	s_mov_b64 s[24:25], 0
	s_mov_b64 s[0:1], 0
                                        ; implicit-def: $vgpr3
                                        ; implicit-def: $vgpr1
	s_branch .LBB151_2276
.LBB151_2241:
	s_mov_b64 s[26:27], -1
	s_mov_b64 s[24:25], 0
	s_mov_b64 s[0:1], 0
                                        ; implicit-def: $vgpr3
                                        ; implicit-def: $vgpr1
	s_branch .LBB151_2257
.LBB151_2242:
	s_mov_b64 s[26:27], -1
	s_mov_b64 s[24:25], 0
	s_mov_b64 s[0:1], 0
                                        ; implicit-def: $vgpr3
                                        ; implicit-def: $vgpr1
	s_branch .LBB151_2251
.LBB151_2243:
	s_mov_b64 s[26:27], -1
	s_mov_b64 s[24:25], 0
	s_mov_b64 s[0:1], 0
                                        ; implicit-def: $vgpr3
                                        ; implicit-def: $vgpr1
	s_branch .LBB151_2245
.LBB151_2244:
	s_mov_b64 s[0:1], -1
                                        ; implicit-def: $vgpr3
                                        ; implicit-def: $vgpr1
	s_mov_b64 s[24:25], 0
.LBB151_2245:
	s_and_b64 vcc, exec, s[26:27]
	s_cbranch_vccz .LBB151_2250
; %bb.2246:
	s_cmp_eq_u32 s33, 44
	s_cbranch_scc0 .LBB151_2248
; %bb.2247:
	global_load_ubyte v1, v[12:13], off
	s_movk_i32 s24, 0xff
	s_waitcnt vmcnt(1)
	v_mov_b32_e32 v5, 0x7e00
	s_mov_b64 s[0:1], 0
	s_waitcnt vmcnt(0)
	v_lshlrev_b32_e32 v3, 23, v1
	v_cvt_f16_f32_e32 v3, v3
	v_cmp_ne_u32_e32 vcc, s24, v1
	s_mov_b64 s[24:25], -1
	v_cndmask_b32_e32 v3, v5, v3, vcc
	v_cmp_ne_u32_e32 vcc, 0, v1
	v_cndmask_b32_e32 v1, 0, v3, vcc
	s_branch .LBB151_2249
.LBB151_2248:
	s_mov_b64 s[0:1], -1
                                        ; implicit-def: $vgpr1
.LBB151_2249:
	v_mov_b32_e32 v3, 0
.LBB151_2250:
	s_mov_b64 s[26:27], 0
.LBB151_2251:
	s_and_b64 vcc, exec, s[26:27]
	s_cbranch_vccz .LBB151_2256
; %bb.2252:
	s_cmp_eq_u32 s33, 29
	s_cbranch_scc0 .LBB151_2254
; %bb.2253:
	global_load_dwordx2 v[14:15], v[12:13], off
	s_mov_b64 s[0:1], 0
	s_mov_b64 s[24:25], -1
	s_waitcnt vmcnt(0)
	v_ffbh_u32_e32 v1, v15
	v_min_u32_e32 v1, 32, v1
	v_lshlrev_b64 v[14:15], v1, v[14:15]
	v_sub_u32_e32 v1, 32, v1
	v_min_u32_e32 v3, 1, v14
	v_or_b32_e32 v3, v15, v3
	v_cvt_f32_u32_e32 v3, v3
	v_ldexp_f32 v1, v3, v1
	v_cvt_f16_f32_e32 v1, v1
	s_branch .LBB151_2255
.LBB151_2254:
	s_mov_b64 s[0:1], -1
                                        ; implicit-def: $vgpr1
.LBB151_2255:
	v_mov_b32_e32 v3, 0
.LBB151_2256:
	s_mov_b64 s[26:27], 0
.LBB151_2257:
	s_and_b64 vcc, exec, s[26:27]
	s_cbranch_vccz .LBB151_2275
; %bb.2258:
	s_cmp_lt_i32 s33, 27
	s_cbranch_scc1 .LBB151_2261
; %bb.2259:
	s_cmp_gt_i32 s33, 27
	s_cbranch_scc0 .LBB151_2262
; %bb.2260:
	global_load_dword v1, v[12:13], off
	s_mov_b64 s[24:25], 0
	s_waitcnt vmcnt(0)
	v_cvt_f32_u32_e32 v1, v1
	v_cvt_f16_f32_e32 v1, v1
	s_branch .LBB151_2263
.LBB151_2261:
	s_mov_b64 s[24:25], -1
                                        ; implicit-def: $vgpr1
	s_branch .LBB151_2266
.LBB151_2262:
	s_mov_b64 s[24:25], -1
                                        ; implicit-def: $vgpr1
.LBB151_2263:
	s_andn2_b64 vcc, exec, s[24:25]
	s_cbranch_vccnz .LBB151_2265
; %bb.2264:
	global_load_ushort v1, v[12:13], off
	s_waitcnt vmcnt(0)
	v_cvt_f16_u16_e32 v1, v1
.LBB151_2265:
	s_mov_b64 s[24:25], 0
.LBB151_2266:
	s_andn2_b64 vcc, exec, s[24:25]
	s_cbranch_vccnz .LBB151_2274
; %bb.2267:
	global_load_ubyte v3, v[12:13], off
	s_movk_i32 s24, 0x7f
	s_waitcnt vmcnt(0)
	v_cmp_lt_i16_e32 vcc, s24, v3
	s_mov_b64 s[24:25], 0
	s_and_saveexec_b64 s[26:27], vcc
	s_xor_b64 s[26:27], exec, s[26:27]
	s_cbranch_execz .LBB151_2300
; %bb.2268:
	s_movk_i32 s24, 0x80
	v_cmp_eq_u16_e32 vcc, s24, v3
	s_mov_b64 s[24:25], -1
	s_and_saveexec_b64 s[28:29], vcc
; %bb.2269:
	s_xor_b64 s[24:25], exec, -1
; %bb.2270:
	s_or_b64 exec, exec, s[28:29]
	s_and_b64 s[24:25], s[24:25], exec
	s_or_saveexec_b64 s[26:27], s[26:27]
	v_mov_b32_e32 v1, 0x7e00
	s_xor_b64 exec, exec, s[26:27]
	s_cbranch_execnz .LBB151_2301
.LBB151_2271:
	s_or_b64 exec, exec, s[26:27]
	s_and_saveexec_b64 s[26:27], s[24:25]
	s_cbranch_execz .LBB151_2273
.LBB151_2272:
	v_lshlrev_b32_e32 v1, 24, v3
	v_and_b32_e32 v3, 0xffff, v3
	v_and_b32_e32 v5, 7, v3
	v_ffbh_u32_e32 v10, v5
	v_min_u32_e32 v10, 32, v10
	v_subrev_u32_e32 v14, 28, v10
	v_bfe_u32 v8, v3, 3, 4
	v_lshlrev_b32_e32 v3, v14, v3
	v_sub_u32_e32 v10, 29, v10
	v_and_b32_e32 v3, 7, v3
	v_cmp_eq_u32_e32 vcc, 0, v8
	v_cndmask_b32_e32 v8, v8, v10, vcc
	v_cndmask_b32_e32 v3, v5, v3, vcc
	v_mov_b32_e32 v5, 0x3b800000
	v_lshlrev_b32_e32 v3, 20, v3
	v_and_b32_e32 v1, 0x80000000, v1
	v_lshl_add_u32 v5, v8, 23, v5
	v_or3_b32 v1, v1, v5, v3
	v_cvt_f16_f32_e32 v1, v1
.LBB151_2273:
	s_or_b64 exec, exec, s[26:27]
.LBB151_2274:
	s_mov_b64 s[24:25], -1
	v_mov_b32_e32 v3, 0
.LBB151_2275:
	s_mov_b64 s[26:27], 0
.LBB151_2276:
	s_and_b64 vcc, exec, s[26:27]
	s_cbranch_vccz .LBB151_2287
; %bb.2277:
	s_cmp_gt_i32 s33, 22
	s_cbranch_scc0 .LBB151_2298
; %bb.2278:
	s_cmp_lt_i32 s33, 24
	s_cbranch_scc1 .LBB151_2302
; %bb.2279:
	s_cmp_gt_i32 s33, 24
	s_cbranch_scc0 .LBB151_2304
; %bb.2280:
	global_load_ubyte v3, v[12:13], off
	s_movk_i32 s22, 0x7f
	s_waitcnt vmcnt(0)
	v_cmp_lt_i16_e32 vcc, s22, v3
	s_mov_b64 s[22:23], 0
	s_and_saveexec_b64 s[24:25], vcc
	s_xor_b64 s[24:25], exec, s[24:25]
	s_cbranch_execz .LBB151_2316
; %bb.2281:
	s_movk_i32 s22, 0x80
	v_cmp_eq_u16_e32 vcc, s22, v3
	s_mov_b64 s[22:23], -1
	s_and_saveexec_b64 s[26:27], vcc
; %bb.2282:
	s_xor_b64 s[22:23], exec, -1
; %bb.2283:
	s_or_b64 exec, exec, s[26:27]
	s_and_b64 s[22:23], s[22:23], exec
	s_or_saveexec_b64 s[24:25], s[24:25]
	v_mov_b32_e32 v1, 0x7e00
	s_xor_b64 exec, exec, s[24:25]
	s_cbranch_execnz .LBB151_2317
.LBB151_2284:
	s_or_b64 exec, exec, s[24:25]
	s_and_saveexec_b64 s[24:25], s[22:23]
	s_cbranch_execz .LBB151_2286
.LBB151_2285:
	v_lshlrev_b32_e32 v1, 24, v3
	v_and_b32_e32 v3, 0xffff, v3
	v_and_b32_e32 v5, 3, v3
	v_ffbh_u32_e32 v10, v5
	v_min_u32_e32 v10, 32, v10
	v_subrev_u32_e32 v14, 29, v10
	v_bfe_u32 v8, v3, 2, 5
	v_lshlrev_b32_e32 v3, v14, v3
	v_sub_u32_e32 v10, 30, v10
	v_and_b32_e32 v3, 3, v3
	v_cmp_eq_u32_e32 vcc, 0, v8
	v_cndmask_b32_e32 v8, v8, v10, vcc
	v_cndmask_b32_e32 v3, v5, v3, vcc
	v_mov_b32_e32 v5, 0x37800000
	v_lshlrev_b32_e32 v3, 21, v3
	v_and_b32_e32 v1, 0x80000000, v1
	v_lshl_add_u32 v5, v8, 23, v5
	v_or3_b32 v1, v1, v5, v3
	v_cvt_f16_f32_e32 v1, v1
.LBB151_2286:
	s_or_b64 exec, exec, s[24:25]
	s_mov_b64 s[22:23], 0
	s_branch .LBB151_2305
.LBB151_2287:
	s_and_b64 vcc, exec, s[0:1]
	s_cbranch_vccnz .LBB151_2335
.LBB151_2288:
	s_andn2_b64 vcc, exec, s[22:23]
	s_cbranch_vccnz .LBB151_2290
.LBB151_2289:
	global_load_ubyte v1, v[12:13], off
	s_waitcnt vmcnt(1)
	v_mov_b32_e32 v5, 0x3c00
	v_mov_b32_e32 v3, 0
	s_mov_b64 s[24:25], -1
	s_waitcnt vmcnt(0)
	v_cmp_ne_u16_e32 vcc, 0, v1
	v_cndmask_b32_e32 v1, 0, v5, vcc
.LBB151_2290:
	s_mov_b64 s[0:1], 0
.LBB151_2291:
	s_and_b64 vcc, exec, s[0:1]
	s_cbranch_vccz .LBB151_2366
; %bb.2292:
	s_and_b32 s22, 0xffff, s30
	s_cmp_lt_i32 s22, 5
	s_cbranch_scc1 .LBB151_2297
; %bb.2293:
	s_cmp_lt_i32 s22, 8
	s_cbranch_scc1 .LBB151_2299
; %bb.2294:
	s_cmp_lt_i32 s22, 9
	s_cbranch_scc1 .LBB151_2303
; %bb.2295:
	s_cmp_gt_i32 s22, 9
	s_cbranch_scc0 .LBB151_2318
; %bb.2296:
	global_load_dwordx4 v[14:17], v[12:13], off
	s_movk_i32 s0, 0x1ff
	s_movk_i32 s1, 0xffe
	v_mov_b32_e32 v1, 0x7c00
	v_mov_b32_e32 v3, 0x7e00
	s_movk_i32 s23, 0x40f
	s_mov_b32 s24, 0x8000
	s_waitcnt vmcnt(0)
	v_and_or_b32 v5, v15, s0, v14
	v_lshrrev_b32_e32 v8, 8, v15
	v_bfe_u32 v10, v15, 20, 11
	v_lshrrev_b32_e32 v14, 16, v15
	v_and_or_b32 v15, v17, s0, v16
	v_cmp_ne_u32_e32 vcc, 0, v5
	v_cndmask_b32_e64 v5, 0, 1, vcc
	v_cmp_ne_u32_e32 vcc, 0, v15
	v_lshrrev_b32_e32 v16, 8, v17
	v_bfe_u32 v18, v17, 20, 11
	v_sub_u32_e32 v19, 0x3f1, v10
	v_cndmask_b32_e64 v15, 0, 1, vcc
	v_and_or_b32 v5, v8, s1, v5
	v_add_u32_e32 v10, 0xfffffc10, v10
	v_sub_u32_e32 v20, 0x3f1, v18
	v_add_u32_e32 v18, 0xfffffc10, v18
	v_med3_i32 v8, v19, 0, 13
	v_and_or_b32 v15, v16, s1, v15
	v_or_b32_e32 v19, 0x1000, v5
	v_cmp_ne_u32_e32 vcc, 0, v5
	v_med3_i32 v16, v20, 0, 13
	v_lshl_or_b32 v20, v10, 12, v5
	v_cndmask_b32_e32 v5, v1, v3, vcc
	v_or_b32_e32 v21, 0x1000, v15
	v_lshl_or_b32 v22, v18, 12, v15
	v_cmp_ne_u32_e32 vcc, 0, v15
	v_lshrrev_b32_e32 v15, v8, v19
	v_lshrrev_b32_e32 v23, v16, v21
	v_lshlrev_b32_e32 v8, v8, v15
	v_cndmask_b32_e32 v3, v1, v3, vcc
	v_lshlrev_b32_e32 v16, v16, v23
	v_cmp_ne_u32_e32 vcc, v8, v19
	v_cndmask_b32_e64 v8, 0, 1, vcc
	v_cmp_ne_u32_e32 vcc, v16, v21
	v_cndmask_b32_e64 v16, 0, 1, vcc
	v_or_b32_e32 v8, v15, v8
	v_cmp_gt_i32_e32 vcc, 1, v10
	v_cndmask_b32_e32 v8, v20, v8, vcc
	v_or_b32_e32 v15, v23, v16
	v_cmp_gt_i32_e32 vcc, 1, v18
	v_and_b32_e32 v16, 7, v8
	v_cndmask_b32_e32 v15, v22, v15, vcc
	v_cmp_lt_i32_e32 vcc, 5, v16
	v_and_b32_e32 v19, 7, v15
	v_cndmask_b32_e64 v20, 0, 1, vcc
	v_cmp_eq_u32_e32 vcc, 3, v16
	v_cndmask_b32_e64 v16, 0, 1, vcc
	v_cmp_lt_i32_e32 vcc, 5, v19
	v_cndmask_b32_e64 v21, 0, 1, vcc
	v_cmp_eq_u32_e32 vcc, 3, v19
	v_lshrrev_b32_e32 v8, 2, v8
	v_cndmask_b32_e64 v19, 0, 1, vcc
	v_or_b32_e32 v16, v16, v20
	v_lshrrev_b32_e32 v15, 2, v15
	v_or_b32_e32 v19, v19, v21
	v_add_u32_e32 v8, v8, v16
	v_cmp_gt_i32_e32 vcc, 31, v10
	v_add_u32_e32 v15, v15, v19
	v_cndmask_b32_e32 v8, v1, v8, vcc
	v_cmp_gt_i32_e32 vcc, 31, v18
	v_cndmask_b32_e32 v1, v1, v15, vcc
	v_cmp_eq_u32_e32 vcc, s23, v10
	v_cndmask_b32_e32 v5, v8, v5, vcc
	v_cmp_eq_u32_e32 vcc, s23, v18
	v_lshrrev_b32_e32 v17, 16, v17
	v_cndmask_b32_e32 v3, v1, v3, vcc
	v_and_or_b32 v1, v14, s24, v5
	v_and_or_b32 v3, v17, s24, v3
	s_mov_b64 s[0:1], 0
	s_branch .LBB151_2319
.LBB151_2297:
	s_mov_b64 s[0:1], -1
                                        ; implicit-def: $vgpr3
                                        ; implicit-def: $vgpr1
	s_branch .LBB151_2344
.LBB151_2298:
	s_mov_b64 s[22:23], -1
                                        ; implicit-def: $vgpr1
	s_branch .LBB151_2311
.LBB151_2299:
	s_mov_b64 s[0:1], -1
                                        ; implicit-def: $vgpr3
                                        ; implicit-def: $vgpr1
	s_branch .LBB151_2325
.LBB151_2300:
	s_or_saveexec_b64 s[26:27], s[26:27]
	v_mov_b32_e32 v1, 0x7e00
	s_xor_b64 exec, exec, s[26:27]
	s_cbranch_execz .LBB151_2271
.LBB151_2301:
	v_cmp_ne_u16_e32 vcc, 0, v3
	s_andn2_b64 s[24:25], s[24:25], exec
	s_and_b64 s[28:29], vcc, exec
	s_or_b64 s[24:25], s[24:25], s[28:29]
	v_mov_b32_e32 v1, v3
	s_or_b64 exec, exec, s[26:27]
	s_and_saveexec_b64 s[26:27], s[24:25]
	s_cbranch_execnz .LBB151_2272
	s_branch .LBB151_2273
.LBB151_2302:
	s_mov_b64 s[22:23], -1
                                        ; implicit-def: $vgpr1
	s_branch .LBB151_2308
.LBB151_2303:
	s_mov_b64 s[0:1], -1
                                        ; implicit-def: $vgpr3
                                        ; implicit-def: $vgpr1
	s_branch .LBB151_2322
.LBB151_2304:
	s_mov_b64 s[22:23], -1
                                        ; implicit-def: $vgpr1
.LBB151_2305:
	s_and_b64 vcc, exec, s[22:23]
	s_cbranch_vccz .LBB151_2307
; %bb.2306:
	global_load_ubyte v1, v[12:13], off
	s_mov_b32 s22, 0x7f800000
	s_waitcnt vmcnt(0)
	v_lshlrev_b32_e32 v1, 24, v1
	v_and_b32_e32 v3, 0x7f000000, v1
	v_ffbh_u32_e32 v5, v3
	v_min_u32_e32 v5, 32, v5
	v_sub_u32_e64 v5, v5, 4 clamp
	v_lshlrev_b32_e32 v10, v5, v3
	v_lshlrev_b32_e32 v5, 23, v5
	v_lshrrev_b32_e32 v10, 4, v10
	v_add_u32_e32 v8, 0x1000000, v3
	v_sub_u32_e32 v5, v10, v5
	v_ashrrev_i32_e32 v8, 8, v8
	v_add_u32_e32 v5, 0x3c000000, v5
	v_and_or_b32 v5, v8, s22, v5
	v_cmp_ne_u32_e32 vcc, 0, v3
	v_cndmask_b32_e32 v3, 0, v5, vcc
	s_brev_b32 s22, 1
	v_and_or_b32 v1, v1, s22, v3
	v_cvt_f16_f32_e32 v1, v1
.LBB151_2307:
	s_mov_b64 s[22:23], 0
.LBB151_2308:
	s_andn2_b64 vcc, exec, s[22:23]
	s_cbranch_vccnz .LBB151_2310
; %bb.2309:
	global_load_ubyte v1, v[12:13], off
	s_movk_i32 s22, 0x7f00
	s_brev_b32 s23, 16
	s_waitcnt vmcnt(0)
	v_lshlrev_b16_e32 v3, 8, v1
	v_lshlrev_b32_e32 v1, 25, v1
	v_lshrrev_b32_e32 v5, 4, v1
	v_and_or_b32 v8, v3, s22, 0.5
	v_or_b32_e32 v5, 0x70000000, v5
	v_add_f32_e32 v8, -0.5, v8
	v_mul_f32_e32 v5, 0x7800000, v5
	v_cmp_gt_u32_e32 vcc, s23, v1
	v_bfe_i32 v3, v3, 0, 16
	v_cndmask_b32_e32 v1, v5, v8, vcc
	s_brev_b32 s22, 1
	v_and_or_b32 v1, v3, s22, v1
	v_cvt_f16_f32_e32 v1, v1
.LBB151_2310:
	s_mov_b64 s[22:23], 0
	s_mov_b64 s[24:25], -1
.LBB151_2311:
	s_andn2_b64 vcc, exec, s[22:23]
	s_mov_b64 s[22:23], 0
	s_cbranch_vccnz .LBB151_2334
; %bb.2312:
	s_cmp_gt_i32 s33, 14
	s_cbranch_scc0 .LBB151_2315
; %bb.2313:
	s_cmp_eq_u32 s33, 15
	s_cbranch_scc0 .LBB151_2330
; %bb.2314:
	global_load_ushort v1, v[12:13], off
	s_mov_b64 s[0:1], 0
	s_mov_b64 s[24:25], -1
	s_waitcnt vmcnt(0)
	v_lshlrev_b32_e32 v1, 16, v1
	v_cvt_f16_f32_e32 v1, v1
	s_branch .LBB151_2331
.LBB151_2315:
	s_mov_b64 s[26:27], -1
                                        ; implicit-def: $vgpr1
	s_branch .LBB151_2332
.LBB151_2316:
	s_or_saveexec_b64 s[24:25], s[24:25]
	v_mov_b32_e32 v1, 0x7e00
	s_xor_b64 exec, exec, s[24:25]
	s_cbranch_execz .LBB151_2284
.LBB151_2317:
	v_cmp_ne_u16_e32 vcc, 0, v3
	s_andn2_b64 s[22:23], s[22:23], exec
	s_and_b64 s[26:27], vcc, exec
	s_or_b64 s[22:23], s[22:23], s[26:27]
	v_mov_b32_e32 v1, v3
	s_or_b64 exec, exec, s[24:25]
	s_and_saveexec_b64 s[24:25], s[22:23]
	s_cbranch_execnz .LBB151_2285
	s_branch .LBB151_2286
.LBB151_2318:
	s_mov_b64 s[0:1], -1
                                        ; implicit-def: $vgpr3
                                        ; implicit-def: $vgpr1
.LBB151_2319:
	s_andn2_b64 vcc, exec, s[0:1]
	s_cbranch_vccnz .LBB151_2321
; %bb.2320:
	global_load_dwordx2 v[14:15], v[12:13], off
	s_waitcnt vmcnt(0)
	v_cvt_f16_f32_e32 v1, v14
	v_cvt_f16_f32_e32 v3, v15
.LBB151_2321:
	s_mov_b64 s[0:1], 0
.LBB151_2322:
	s_andn2_b64 vcc, exec, s[0:1]
	s_cbranch_vccnz .LBB151_2324
; %bb.2323:
	global_load_dword v1, v[12:13], off
	s_waitcnt vmcnt(0)
	v_lshrrev_b32_e32 v3, 16, v1
.LBB151_2324:
	s_mov_b64 s[0:1], 0
.LBB151_2325:
	s_andn2_b64 vcc, exec, s[0:1]
	s_cbranch_vccnz .LBB151_2343
; %bb.2326:
	s_cmp_lt_i32 s22, 6
	s_cbranch_scc1 .LBB151_2329
; %bb.2327:
	s_cmp_gt_i32 s22, 6
	s_cbranch_scc0 .LBB151_2336
; %bb.2328:
	global_load_dwordx2 v[14:15], v[12:13], off
	s_movk_i32 s0, 0x1ff
	s_movk_i32 s1, 0xffe
	v_mov_b32_e32 v1, 0x7c00
	v_mov_b32_e32 v3, 0x7e00
	s_movk_i32 s23, 0x40f
	s_mov_b32 s24, 0x8000
	s_waitcnt vmcnt(0)
	v_and_or_b32 v5, v15, s0, v14
	v_cmp_ne_u32_e32 vcc, 0, v5
	v_lshrrev_b32_e32 v8, 8, v15
	v_bfe_u32 v10, v15, 20, 11
	v_cndmask_b32_e64 v5, 0, 1, vcc
	v_lshrrev_b32_e32 v14, 16, v15
	v_sub_u32_e32 v15, 0x3f1, v10
	v_and_or_b32 v5, v8, s1, v5
	v_add_u32_e32 v10, 0xfffffc10, v10
	v_med3_i32 v8, v15, 0, 13
	v_or_b32_e32 v15, 0x1000, v5
	v_lshl_or_b32 v16, v10, 12, v5
	v_cmp_ne_u32_e32 vcc, 0, v5
	v_lshrrev_b32_e32 v5, v8, v15
	v_lshlrev_b32_e32 v8, v8, v5
	v_cndmask_b32_e32 v3, v1, v3, vcc
	v_cmp_ne_u32_e32 vcc, v8, v15
	v_cndmask_b32_e64 v8, 0, 1, vcc
	v_or_b32_e32 v5, v5, v8
	v_cmp_gt_i32_e32 vcc, 1, v10
	v_cndmask_b32_e32 v5, v16, v5, vcc
	v_and_b32_e32 v8, 7, v5
	v_cmp_lt_i32_e32 vcc, 5, v8
	v_cndmask_b32_e64 v15, 0, 1, vcc
	v_cmp_eq_u32_e32 vcc, 3, v8
	v_cndmask_b32_e64 v8, 0, 1, vcc
	v_lshrrev_b32_e32 v5, 2, v5
	v_or_b32_e32 v8, v8, v15
	v_add_u32_e32 v5, v5, v8
	v_cmp_gt_i32_e32 vcc, 31, v10
	v_cndmask_b32_e32 v1, v1, v5, vcc
	v_cmp_eq_u32_e32 vcc, s23, v10
	v_cndmask_b32_e32 v1, v1, v3, vcc
	v_and_or_b32 v1, v14, s24, v1
	s_mov_b64 s[0:1], 0
	s_branch .LBB151_2337
.LBB151_2329:
	s_mov_b64 s[0:1], -1
                                        ; implicit-def: $vgpr1
	s_branch .LBB151_2340
.LBB151_2330:
	s_mov_b64 s[0:1], -1
                                        ; implicit-def: $vgpr1
.LBB151_2331:
	s_mov_b64 s[26:27], 0
.LBB151_2332:
	s_and_b64 vcc, exec, s[26:27]
	s_cbranch_vccz .LBB151_2334
; %bb.2333:
	s_cmp_lg_u32 s33, 11
	s_mov_b64 s[22:23], -1
	s_cselect_b64 s[0:1], -1, 0
.LBB151_2334:
	v_mov_b32_e32 v3, 0
	s_and_b64 vcc, exec, s[0:1]
	s_cbranch_vccz .LBB151_2288
.LBB151_2335:
	s_trap 2
	s_or_b64 s[4:5], s[4:5], exec
	s_cbranch_execz .LBB151_2289
	s_branch .LBB151_2290
.LBB151_2336:
	s_mov_b64 s[0:1], -1
                                        ; implicit-def: $vgpr1
.LBB151_2337:
	s_andn2_b64 vcc, exec, s[0:1]
	s_cbranch_vccnz .LBB151_2339
; %bb.2338:
	global_load_dword v1, v[12:13], off
	s_waitcnt vmcnt(0)
	v_cvt_f16_f32_e32 v1, v1
.LBB151_2339:
	s_mov_b64 s[0:1], 0
.LBB151_2340:
	s_andn2_b64 vcc, exec, s[0:1]
	s_cbranch_vccnz .LBB151_2342
; %bb.2341:
	global_load_ushort v1, v[12:13], off
.LBB151_2342:
	v_mov_b32_e32 v3, 0
.LBB151_2343:
	s_mov_b64 s[0:1], 0
.LBB151_2344:
	s_andn2_b64 vcc, exec, s[0:1]
	s_cbranch_vccnz .LBB151_2365
; %bb.2345:
	s_cmp_lt_i32 s22, 2
	s_cbranch_scc1 .LBB151_2349
; %bb.2346:
	s_cmp_lt_i32 s22, 3
	s_cbranch_scc1 .LBB151_2350
; %bb.2347:
	s_cmp_gt_i32 s22, 3
	s_cbranch_scc0 .LBB151_2351
; %bb.2348:
	global_load_dwordx2 v[14:15], v[12:13], off
	s_mov_b64 s[0:1], 0
	s_waitcnt vmcnt(0)
	v_xor_b32_e32 v3, v14, v15
	v_ffbh_i32_e32 v1, v15
	v_ashrrev_i32_e32 v3, 31, v3
	v_add_u32_e32 v1, -1, v1
	v_add_u32_e32 v3, 32, v3
	v_min_u32_e32 v1, v1, v3
	v_lshlrev_b64 v[14:15], v1, v[14:15]
	v_sub_u32_e32 v1, 32, v1
	v_min_u32_e32 v3, 1, v14
	v_or_b32_e32 v3, v15, v3
	v_cvt_f32_i32_e32 v3, v3
	v_ldexp_f32 v1, v3, v1
	v_cvt_f16_f32_e32 v1, v1
	s_branch .LBB151_2352
.LBB151_2349:
	s_mov_b64 s[0:1], -1
                                        ; implicit-def: $vgpr1
	s_branch .LBB151_2358
.LBB151_2350:
	s_mov_b64 s[0:1], -1
                                        ; implicit-def: $vgpr1
	s_branch .LBB151_2355
.LBB151_2351:
	s_mov_b64 s[0:1], -1
                                        ; implicit-def: $vgpr1
.LBB151_2352:
	s_andn2_b64 vcc, exec, s[0:1]
	s_cbranch_vccnz .LBB151_2354
; %bb.2353:
	global_load_dword v1, v[12:13], off
	s_waitcnt vmcnt(0)
	v_cvt_f32_i32_e32 v1, v1
	v_cvt_f16_f32_e32 v1, v1
.LBB151_2354:
	s_mov_b64 s[0:1], 0
.LBB151_2355:
	s_andn2_b64 vcc, exec, s[0:1]
	s_cbranch_vccnz .LBB151_2357
; %bb.2356:
	global_load_ushort v1, v[12:13], off
	s_waitcnt vmcnt(0)
	v_cvt_f16_i16_e32 v1, v1
.LBB151_2357:
	s_mov_b64 s[0:1], 0
.LBB151_2358:
	s_andn2_b64 vcc, exec, s[0:1]
	s_cbranch_vccnz .LBB151_2364
; %bb.2359:
	s_cmp_gt_i32 s22, 0
	s_cbranch_scc0 .LBB151_2361
; %bb.2360:
	global_load_sbyte v1, v[12:13], off
	s_mov_b64 s[0:1], 0
	s_waitcnt vmcnt(0)
	v_cvt_f16_i16_e32 v1, v1
	s_branch .LBB151_2362
.LBB151_2361:
	s_mov_b64 s[0:1], -1
                                        ; implicit-def: $vgpr1
.LBB151_2362:
	s_andn2_b64 vcc, exec, s[0:1]
	s_cbranch_vccnz .LBB151_2364
; %bb.2363:
	global_load_ubyte v1, v[12:13], off
	s_waitcnt vmcnt(0)
	v_cvt_f16_u16_e32 v1, v1
.LBB151_2364:
	v_mov_b32_e32 v3, 0
.LBB151_2365:
	s_mov_b64 s[24:25], -1
.LBB151_2366:
	s_andn2_b64 vcc, exec, s[24:25]
	s_cbranch_vccnz .LBB151_2781
; %bb.2367:
	s_waitcnt vmcnt(0)
	v_mov_b32_e32 v5, s17
	v_add_co_u32_e32 v10, vcc, s16, v11
	s_cmp_lt_i32 s31, 11
	v_addc_co_u32_e32 v11, vcc, 0, v5, vcc
	s_cbranch_scc1 .LBB151_2374
; %bb.2368:
	s_and_b32 s33, 0xffff, s31
	s_cmp_gt_i32 s33, 25
	s_mov_b64 s[22:23], 0
	s_cbranch_scc0 .LBB151_2375
; %bb.2369:
	s_cmp_gt_i32 s33, 28
	s_cbranch_scc0 .LBB151_2376
; %bb.2370:
	s_cmp_gt_i32 s33, 43
	;; [unrolled: 3-line block ×3, first 2 shown]
	s_cbranch_scc0 .LBB151_2378
; %bb.2372:
	s_cmp_eq_u32 s33, 46
	s_mov_b64 s[26:27], 0
	s_cbranch_scc0 .LBB151_2381
; %bb.2373:
	global_load_dword v5, v[10:11], off
	s_mov_b64 s[0:1], 0
	s_mov_b64 s[24:25], -1
	s_waitcnt vmcnt(0)
	v_and_b32_e32 v8, 0xffff0000, v5
	v_lshlrev_b32_e32 v5, 16, v5
	v_cvt_f16_f32_e32 v5, v5
	v_cvt_f16_f32_e32 v8, v8
	s_branch .LBB151_2382
.LBB151_2374:
	s_mov_b64 s[0:1], -1
	s_mov_b64 s[24:25], 0
                                        ; implicit-def: $vgpr8
                                        ; implicit-def: $vgpr5
	s_branch .LBB151_2428
.LBB151_2375:
	s_mov_b64 s[26:27], -1
	s_mov_b64 s[24:25], 0
	s_mov_b64 s[0:1], 0
                                        ; implicit-def: $vgpr8
                                        ; implicit-def: $vgpr5
	s_branch .LBB151_2413
.LBB151_2376:
	s_mov_b64 s[26:27], -1
	s_mov_b64 s[24:25], 0
	s_mov_b64 s[0:1], 0
                                        ; implicit-def: $vgpr8
                                        ; implicit-def: $vgpr5
	s_branch .LBB151_2394
.LBB151_2377:
	s_mov_b64 s[26:27], -1
	s_mov_b64 s[24:25], 0
	s_mov_b64 s[0:1], 0
                                        ; implicit-def: $vgpr8
                                        ; implicit-def: $vgpr5
	s_branch .LBB151_2388
.LBB151_2378:
	s_mov_b64 s[26:27], -1
	s_mov_b64 s[24:25], 0
	s_mov_b64 s[0:1], 0
                                        ; implicit-def: $vgpr8
                                        ; implicit-def: $vgpr5
	s_branch .LBB151_2382
.LBB151_2379:
	s_andn2_saveexec_b64 s[68:69], s[68:69]
	s_cbranch_execz .LBB151_1162
.LBB151_2380:
	v_add_f32_e32 v2, 0x42800000, v3
	v_and_b32_e32 v2, 0xff, v2
	v_cmp_ne_u32_e32 vcc, 0, v2
	s_andn2_b64 s[66:67], s[66:67], exec
	s_and_b64 s[76:77], vcc, exec
	s_or_b64 s[66:67], s[66:67], s[76:77]
	s_or_b64 exec, exec, s[68:69]
	v_mov_b32_e32 v4, 0
	s_and_saveexec_b64 s[68:69], s[66:67]
	s_cbranch_execnz .LBB151_1163
	s_branch .LBB151_1164
.LBB151_2381:
	s_mov_b64 s[0:1], -1
                                        ; implicit-def: $vgpr8
                                        ; implicit-def: $vgpr5
	s_mov_b64 s[24:25], 0
.LBB151_2382:
	s_and_b64 vcc, exec, s[26:27]
	s_cbranch_vccz .LBB151_2387
; %bb.2383:
	s_cmp_eq_u32 s33, 44
	s_cbranch_scc0 .LBB151_2385
; %bb.2384:
	global_load_ubyte v5, v[10:11], off
	s_movk_i32 s24, 0xff
	v_mov_b32_e32 v12, 0x7e00
	s_mov_b64 s[0:1], 0
	s_waitcnt vmcnt(0)
	v_lshlrev_b32_e32 v8, 23, v5
	v_cvt_f16_f32_e32 v8, v8
	v_cmp_ne_u32_e32 vcc, s24, v5
	s_mov_b64 s[24:25], -1
	v_cndmask_b32_e32 v8, v12, v8, vcc
	v_cmp_ne_u32_e32 vcc, 0, v5
	v_cndmask_b32_e32 v5, 0, v8, vcc
	s_branch .LBB151_2386
.LBB151_2385:
	s_mov_b64 s[0:1], -1
                                        ; implicit-def: $vgpr5
.LBB151_2386:
	v_mov_b32_e32 v8, 0
.LBB151_2387:
	s_mov_b64 s[26:27], 0
.LBB151_2388:
	s_and_b64 vcc, exec, s[26:27]
	s_cbranch_vccz .LBB151_2393
; %bb.2389:
	s_cmp_eq_u32 s33, 29
	s_cbranch_scc0 .LBB151_2391
; %bb.2390:
	global_load_dwordx2 v[12:13], v[10:11], off
	s_mov_b64 s[0:1], 0
	s_mov_b64 s[24:25], -1
	s_waitcnt vmcnt(0)
	v_ffbh_u32_e32 v5, v13
	v_min_u32_e32 v5, 32, v5
	v_lshlrev_b64 v[12:13], v5, v[12:13]
	v_sub_u32_e32 v5, 32, v5
	v_min_u32_e32 v8, 1, v12
	v_or_b32_e32 v8, v13, v8
	v_cvt_f32_u32_e32 v8, v8
	v_ldexp_f32 v5, v8, v5
	v_cvt_f16_f32_e32 v5, v5
	s_branch .LBB151_2392
.LBB151_2391:
	s_mov_b64 s[0:1], -1
                                        ; implicit-def: $vgpr5
.LBB151_2392:
	v_mov_b32_e32 v8, 0
.LBB151_2393:
	s_mov_b64 s[26:27], 0
.LBB151_2394:
	s_and_b64 vcc, exec, s[26:27]
	s_cbranch_vccz .LBB151_2412
; %bb.2395:
	s_cmp_lt_i32 s33, 27
	s_cbranch_scc1 .LBB151_2398
; %bb.2396:
	s_cmp_gt_i32 s33, 27
	s_cbranch_scc0 .LBB151_2399
; %bb.2397:
	global_load_dword v5, v[10:11], off
	s_mov_b64 s[24:25], 0
	s_waitcnt vmcnt(0)
	v_cvt_f32_u32_e32 v5, v5
	v_cvt_f16_f32_e32 v5, v5
	s_branch .LBB151_2400
.LBB151_2398:
	s_mov_b64 s[24:25], -1
                                        ; implicit-def: $vgpr5
	s_branch .LBB151_2403
.LBB151_2399:
	s_mov_b64 s[24:25], -1
                                        ; implicit-def: $vgpr5
.LBB151_2400:
	s_andn2_b64 vcc, exec, s[24:25]
	s_cbranch_vccnz .LBB151_2402
; %bb.2401:
	global_load_ushort v5, v[10:11], off
	s_waitcnt vmcnt(0)
	v_cvt_f16_u16_e32 v5, v5
.LBB151_2402:
	s_mov_b64 s[24:25], 0
.LBB151_2403:
	s_andn2_b64 vcc, exec, s[24:25]
	s_cbranch_vccnz .LBB151_2411
; %bb.2404:
	global_load_ubyte v8, v[10:11], off
	s_movk_i32 s24, 0x7f
	s_waitcnt vmcnt(0)
	v_cmp_lt_i16_e32 vcc, s24, v8
	s_mov_b64 s[24:25], 0
	s_and_saveexec_b64 s[26:27], vcc
	s_xor_b64 s[26:27], exec, s[26:27]
	s_cbranch_execz .LBB151_2437
; %bb.2405:
	s_movk_i32 s24, 0x80
	v_cmp_eq_u16_e32 vcc, s24, v8
	s_mov_b64 s[24:25], -1
	s_and_saveexec_b64 s[28:29], vcc
; %bb.2406:
	s_xor_b64 s[24:25], exec, -1
; %bb.2407:
	s_or_b64 exec, exec, s[28:29]
	s_and_b64 s[24:25], s[24:25], exec
	s_or_saveexec_b64 s[26:27], s[26:27]
	v_mov_b32_e32 v5, 0x7e00
	s_xor_b64 exec, exec, s[26:27]
	s_cbranch_execnz .LBB151_2438
.LBB151_2408:
	s_or_b64 exec, exec, s[26:27]
	s_and_saveexec_b64 s[26:27], s[24:25]
	s_cbranch_execz .LBB151_2410
.LBB151_2409:
	v_lshlrev_b32_e32 v5, 24, v8
	v_and_b32_e32 v8, 0xffff, v8
	v_and_b32_e32 v12, 7, v8
	v_ffbh_u32_e32 v14, v12
	v_min_u32_e32 v14, 32, v14
	v_subrev_u32_e32 v15, 28, v14
	v_bfe_u32 v13, v8, 3, 4
	v_lshlrev_b32_e32 v8, v15, v8
	v_sub_u32_e32 v14, 29, v14
	v_and_b32_e32 v8, 7, v8
	v_cmp_eq_u32_e32 vcc, 0, v13
	v_cndmask_b32_e32 v13, v13, v14, vcc
	v_cndmask_b32_e32 v8, v12, v8, vcc
	v_mov_b32_e32 v12, 0x3b800000
	v_lshlrev_b32_e32 v8, 20, v8
	v_and_b32_e32 v5, 0x80000000, v5
	v_lshl_add_u32 v12, v13, 23, v12
	v_or3_b32 v5, v5, v12, v8
	v_cvt_f16_f32_e32 v5, v5
.LBB151_2410:
	s_or_b64 exec, exec, s[26:27]
.LBB151_2411:
	s_mov_b64 s[24:25], -1
	v_mov_b32_e32 v8, 0
.LBB151_2412:
	s_mov_b64 s[26:27], 0
.LBB151_2413:
	s_and_b64 vcc, exec, s[26:27]
	s_cbranch_vccz .LBB151_2424
; %bb.2414:
	s_cmp_gt_i32 s33, 22
	s_cbranch_scc0 .LBB151_2435
; %bb.2415:
	s_cmp_lt_i32 s33, 24
	s_cbranch_scc1 .LBB151_2439
; %bb.2416:
	s_cmp_gt_i32 s33, 24
	s_cbranch_scc0 .LBB151_2441
; %bb.2417:
	global_load_ubyte v8, v[10:11], off
	s_movk_i32 s22, 0x7f
	s_waitcnt vmcnt(0)
	v_cmp_lt_i16_e32 vcc, s22, v8
	s_mov_b64 s[22:23], 0
	s_and_saveexec_b64 s[24:25], vcc
	s_xor_b64 s[24:25], exec, s[24:25]
	s_cbranch_execz .LBB151_2453
; %bb.2418:
	s_movk_i32 s22, 0x80
	v_cmp_eq_u16_e32 vcc, s22, v8
	s_mov_b64 s[22:23], -1
	s_and_saveexec_b64 s[26:27], vcc
; %bb.2419:
	s_xor_b64 s[22:23], exec, -1
; %bb.2420:
	s_or_b64 exec, exec, s[26:27]
	s_and_b64 s[22:23], s[22:23], exec
	s_or_saveexec_b64 s[24:25], s[24:25]
	v_mov_b32_e32 v5, 0x7e00
	s_xor_b64 exec, exec, s[24:25]
	s_cbranch_execnz .LBB151_2454
.LBB151_2421:
	s_or_b64 exec, exec, s[24:25]
	s_and_saveexec_b64 s[24:25], s[22:23]
	s_cbranch_execz .LBB151_2423
.LBB151_2422:
	v_lshlrev_b32_e32 v5, 24, v8
	v_and_b32_e32 v8, 0xffff, v8
	v_and_b32_e32 v12, 3, v8
	v_ffbh_u32_e32 v14, v12
	v_min_u32_e32 v14, 32, v14
	v_subrev_u32_e32 v15, 29, v14
	v_bfe_u32 v13, v8, 2, 5
	v_lshlrev_b32_e32 v8, v15, v8
	v_sub_u32_e32 v14, 30, v14
	v_and_b32_e32 v8, 3, v8
	v_cmp_eq_u32_e32 vcc, 0, v13
	v_cndmask_b32_e32 v13, v13, v14, vcc
	v_cndmask_b32_e32 v8, v12, v8, vcc
	v_mov_b32_e32 v12, 0x37800000
	v_lshlrev_b32_e32 v8, 21, v8
	v_and_b32_e32 v5, 0x80000000, v5
	v_lshl_add_u32 v12, v13, 23, v12
	v_or3_b32 v5, v5, v12, v8
	v_cvt_f16_f32_e32 v5, v5
.LBB151_2423:
	s_or_b64 exec, exec, s[24:25]
	s_mov_b64 s[22:23], 0
	s_branch .LBB151_2442
.LBB151_2424:
	s_and_b64 vcc, exec, s[0:1]
	s_cbranch_vccnz .LBB151_2472
.LBB151_2425:
	s_andn2_b64 vcc, exec, s[22:23]
	s_cbranch_vccnz .LBB151_2427
.LBB151_2426:
	global_load_ubyte v5, v[10:11], off
	v_mov_b32_e32 v12, 0x3c00
	v_mov_b32_e32 v8, 0
	s_mov_b64 s[24:25], -1
	s_waitcnt vmcnt(0)
	v_cmp_ne_u16_e32 vcc, 0, v5
	v_cndmask_b32_e32 v5, 0, v12, vcc
.LBB151_2427:
	s_mov_b64 s[0:1], 0
.LBB151_2428:
	s_and_b64 vcc, exec, s[0:1]
	s_cbranch_vccz .LBB151_2503
; %bb.2429:
	s_and_b32 s22, 0xffff, s31
	s_cmp_lt_i32 s22, 5
	s_cbranch_scc1 .LBB151_2434
; %bb.2430:
	s_cmp_lt_i32 s22, 8
	s_cbranch_scc1 .LBB151_2436
; %bb.2431:
	;; [unrolled: 3-line block ×3, first 2 shown]
	s_cmp_gt_i32 s22, 9
	s_cbranch_scc0 .LBB151_2455
; %bb.2433:
	global_load_dwordx4 v[12:15], v[10:11], off
	s_movk_i32 s0, 0x1ff
	s_movk_i32 s1, 0xffe
	v_mov_b32_e32 v5, 0x7c00
	v_mov_b32_e32 v8, 0x7e00
	s_movk_i32 s23, 0x40f
	s_mov_b32 s24, 0x8000
	s_waitcnt vmcnt(0)
	v_and_or_b32 v12, v13, s0, v12
	v_and_or_b32 v14, v15, s0, v14
	v_cmp_ne_u32_e32 vcc, 0, v12
	v_lshrrev_b32_e32 v16, 8, v13
	v_bfe_u32 v17, v13, 20, 11
	v_cndmask_b32_e64 v12, 0, 1, vcc
	v_cmp_ne_u32_e32 vcc, 0, v14
	v_lshrrev_b32_e32 v18, 8, v15
	v_bfe_u32 v19, v15, 20, 11
	v_sub_u32_e32 v20, 0x3f1, v17
	v_cndmask_b32_e64 v14, 0, 1, vcc
	v_and_or_b32 v12, v16, s1, v12
	v_add_u32_e32 v17, 0xfffffc10, v17
	v_sub_u32_e32 v21, 0x3f1, v19
	v_add_u32_e32 v19, 0xfffffc10, v19
	v_med3_i32 v16, v20, 0, 13
	v_and_or_b32 v14, v18, s1, v14
	v_or_b32_e32 v20, 0x1000, v12
	v_cmp_ne_u32_e32 vcc, 0, v12
	v_med3_i32 v18, v21, 0, 13
	v_lshl_or_b32 v21, v17, 12, v12
	v_cndmask_b32_e32 v12, v5, v8, vcc
	v_or_b32_e32 v22, 0x1000, v14
	v_lshl_or_b32 v23, v19, 12, v14
	v_cmp_ne_u32_e32 vcc, 0, v14
	v_lshrrev_b32_e32 v14, v16, v20
	v_lshrrev_b32_e32 v24, v18, v22
	v_lshlrev_b32_e32 v16, v16, v14
	v_cndmask_b32_e32 v8, v5, v8, vcc
	v_lshlrev_b32_e32 v18, v18, v24
	v_cmp_ne_u32_e32 vcc, v16, v20
	v_cndmask_b32_e64 v16, 0, 1, vcc
	v_cmp_ne_u32_e32 vcc, v18, v22
	v_cndmask_b32_e64 v18, 0, 1, vcc
	v_or_b32_e32 v14, v14, v16
	v_cmp_gt_i32_e32 vcc, 1, v17
	v_cndmask_b32_e32 v14, v21, v14, vcc
	v_or_b32_e32 v16, v24, v18
	v_cmp_gt_i32_e32 vcc, 1, v19
	v_and_b32_e32 v18, 7, v14
	v_cndmask_b32_e32 v16, v23, v16, vcc
	v_cmp_lt_i32_e32 vcc, 5, v18
	v_and_b32_e32 v20, 7, v16
	v_cndmask_b32_e64 v21, 0, 1, vcc
	v_cmp_eq_u32_e32 vcc, 3, v18
	v_cndmask_b32_e64 v18, 0, 1, vcc
	v_cmp_lt_i32_e32 vcc, 5, v20
	v_cndmask_b32_e64 v22, 0, 1, vcc
	v_cmp_eq_u32_e32 vcc, 3, v20
	v_lshrrev_b32_e32 v14, 2, v14
	v_cndmask_b32_e64 v20, 0, 1, vcc
	v_or_b32_e32 v18, v18, v21
	v_lshrrev_b32_e32 v16, 2, v16
	v_or_b32_e32 v20, v20, v22
	v_add_u32_e32 v14, v14, v18
	v_cmp_gt_i32_e32 vcc, 31, v17
	v_add_u32_e32 v16, v16, v20
	v_cndmask_b32_e32 v14, v5, v14, vcc
	v_cmp_gt_i32_e32 vcc, 31, v19
	v_cndmask_b32_e32 v5, v5, v16, vcc
	v_cmp_eq_u32_e32 vcc, s23, v17
	v_cndmask_b32_e32 v12, v14, v12, vcc
	v_cmp_eq_u32_e32 vcc, s23, v19
	v_lshrrev_b32_e32 v13, 16, v13
	v_lshrrev_b32_e32 v15, 16, v15
	v_cndmask_b32_e32 v8, v5, v8, vcc
	v_and_or_b32 v5, v13, s24, v12
	v_and_or_b32 v8, v15, s24, v8
	s_mov_b64 s[0:1], 0
	s_branch .LBB151_2456
.LBB151_2434:
	s_mov_b64 s[0:1], -1
                                        ; implicit-def: $vgpr8
                                        ; implicit-def: $vgpr5
	s_branch .LBB151_2481
.LBB151_2435:
	s_mov_b64 s[22:23], -1
                                        ; implicit-def: $vgpr5
	s_branch .LBB151_2448
.LBB151_2436:
	s_mov_b64 s[0:1], -1
                                        ; implicit-def: $vgpr8
                                        ; implicit-def: $vgpr5
	s_branch .LBB151_2462
.LBB151_2437:
	s_or_saveexec_b64 s[26:27], s[26:27]
	v_mov_b32_e32 v5, 0x7e00
	s_xor_b64 exec, exec, s[26:27]
	s_cbranch_execz .LBB151_2408
.LBB151_2438:
	v_cmp_ne_u16_e32 vcc, 0, v8
	s_andn2_b64 s[24:25], s[24:25], exec
	s_and_b64 s[28:29], vcc, exec
	s_or_b64 s[24:25], s[24:25], s[28:29]
	v_mov_b32_e32 v5, v8
	s_or_b64 exec, exec, s[26:27]
	s_and_saveexec_b64 s[26:27], s[24:25]
	s_cbranch_execnz .LBB151_2409
	s_branch .LBB151_2410
.LBB151_2439:
	s_mov_b64 s[22:23], -1
                                        ; implicit-def: $vgpr5
	s_branch .LBB151_2445
.LBB151_2440:
	s_mov_b64 s[0:1], -1
                                        ; implicit-def: $vgpr8
                                        ; implicit-def: $vgpr5
	s_branch .LBB151_2459
.LBB151_2441:
	s_mov_b64 s[22:23], -1
                                        ; implicit-def: $vgpr5
.LBB151_2442:
	s_and_b64 vcc, exec, s[22:23]
	s_cbranch_vccz .LBB151_2444
; %bb.2443:
	global_load_ubyte v5, v[10:11], off
	s_mov_b32 s22, 0x7f800000
	s_waitcnt vmcnt(0)
	v_lshlrev_b32_e32 v5, 24, v5
	v_and_b32_e32 v8, 0x7f000000, v5
	v_ffbh_u32_e32 v12, v8
	v_min_u32_e32 v12, 32, v12
	v_sub_u32_e64 v12, v12, 4 clamp
	v_lshlrev_b32_e32 v14, v12, v8
	v_lshlrev_b32_e32 v12, 23, v12
	v_lshrrev_b32_e32 v14, 4, v14
	v_add_u32_e32 v13, 0x1000000, v8
	v_sub_u32_e32 v12, v14, v12
	v_ashrrev_i32_e32 v13, 8, v13
	v_add_u32_e32 v12, 0x3c000000, v12
	v_and_or_b32 v12, v13, s22, v12
	v_cmp_ne_u32_e32 vcc, 0, v8
	v_cndmask_b32_e32 v8, 0, v12, vcc
	s_brev_b32 s22, 1
	v_and_or_b32 v5, v5, s22, v8
	v_cvt_f16_f32_e32 v5, v5
.LBB151_2444:
	s_mov_b64 s[22:23], 0
.LBB151_2445:
	s_andn2_b64 vcc, exec, s[22:23]
	s_cbranch_vccnz .LBB151_2447
; %bb.2446:
	global_load_ubyte v5, v[10:11], off
	s_movk_i32 s22, 0x7f00
	s_brev_b32 s23, 16
	s_waitcnt vmcnt(0)
	v_lshlrev_b16_e32 v8, 8, v5
	v_lshlrev_b32_e32 v5, 25, v5
	v_lshrrev_b32_e32 v12, 4, v5
	v_and_or_b32 v13, v8, s22, 0.5
	v_or_b32_e32 v12, 0x70000000, v12
	v_add_f32_e32 v13, -0.5, v13
	v_mul_f32_e32 v12, 0x7800000, v12
	v_cmp_gt_u32_e32 vcc, s23, v5
	v_bfe_i32 v8, v8, 0, 16
	v_cndmask_b32_e32 v5, v12, v13, vcc
	s_brev_b32 s22, 1
	v_and_or_b32 v5, v8, s22, v5
	v_cvt_f16_f32_e32 v5, v5
.LBB151_2447:
	s_mov_b64 s[22:23], 0
	s_mov_b64 s[24:25], -1
.LBB151_2448:
	s_andn2_b64 vcc, exec, s[22:23]
	s_mov_b64 s[22:23], 0
	s_cbranch_vccnz .LBB151_2471
; %bb.2449:
	s_cmp_gt_i32 s33, 14
	s_cbranch_scc0 .LBB151_2452
; %bb.2450:
	s_cmp_eq_u32 s33, 15
	s_cbranch_scc0 .LBB151_2467
; %bb.2451:
	global_load_ushort v5, v[10:11], off
	s_mov_b64 s[0:1], 0
	s_mov_b64 s[24:25], -1
	s_waitcnt vmcnt(0)
	v_lshlrev_b32_e32 v5, 16, v5
	v_cvt_f16_f32_e32 v5, v5
	s_branch .LBB151_2468
.LBB151_2452:
	s_mov_b64 s[26:27], -1
                                        ; implicit-def: $vgpr5
	s_branch .LBB151_2469
.LBB151_2453:
	s_or_saveexec_b64 s[24:25], s[24:25]
	v_mov_b32_e32 v5, 0x7e00
	s_xor_b64 exec, exec, s[24:25]
	s_cbranch_execz .LBB151_2421
.LBB151_2454:
	v_cmp_ne_u16_e32 vcc, 0, v8
	s_andn2_b64 s[22:23], s[22:23], exec
	s_and_b64 s[26:27], vcc, exec
	s_or_b64 s[22:23], s[22:23], s[26:27]
	v_mov_b32_e32 v5, v8
	s_or_b64 exec, exec, s[24:25]
	s_and_saveexec_b64 s[24:25], s[22:23]
	s_cbranch_execnz .LBB151_2422
	s_branch .LBB151_2423
.LBB151_2455:
	s_mov_b64 s[0:1], -1
                                        ; implicit-def: $vgpr8
                                        ; implicit-def: $vgpr5
.LBB151_2456:
	s_andn2_b64 vcc, exec, s[0:1]
	s_cbranch_vccnz .LBB151_2458
; %bb.2457:
	global_load_dwordx2 v[12:13], v[10:11], off
	s_waitcnt vmcnt(0)
	v_cvt_f16_f32_e32 v5, v12
	v_cvt_f16_f32_e32 v8, v13
.LBB151_2458:
	s_mov_b64 s[0:1], 0
.LBB151_2459:
	s_andn2_b64 vcc, exec, s[0:1]
	s_cbranch_vccnz .LBB151_2461
; %bb.2460:
	global_load_dword v5, v[10:11], off
	s_waitcnt vmcnt(0)
	v_lshrrev_b32_e32 v8, 16, v5
.LBB151_2461:
	s_mov_b64 s[0:1], 0
.LBB151_2462:
	s_andn2_b64 vcc, exec, s[0:1]
	s_cbranch_vccnz .LBB151_2480
; %bb.2463:
	s_cmp_lt_i32 s22, 6
	s_cbranch_scc1 .LBB151_2466
; %bb.2464:
	s_cmp_gt_i32 s22, 6
	s_cbranch_scc0 .LBB151_2473
; %bb.2465:
	global_load_dwordx2 v[12:13], v[10:11], off
	s_movk_i32 s0, 0x1ff
	s_movk_i32 s1, 0xffe
	v_mov_b32_e32 v5, 0x7c00
	v_mov_b32_e32 v8, 0x7e00
	s_movk_i32 s23, 0x40f
	s_mov_b32 s24, 0x8000
	s_waitcnt vmcnt(0)
	v_and_or_b32 v12, v13, s0, v12
	v_cmp_ne_u32_e32 vcc, 0, v12
	v_lshrrev_b32_e32 v14, 8, v13
	v_bfe_u32 v15, v13, 20, 11
	v_cndmask_b32_e64 v12, 0, 1, vcc
	v_sub_u32_e32 v16, 0x3f1, v15
	v_and_or_b32 v12, v14, s1, v12
	v_add_u32_e32 v15, 0xfffffc10, v15
	v_med3_i32 v14, v16, 0, 13
	v_or_b32_e32 v16, 0x1000, v12
	v_lshl_or_b32 v17, v15, 12, v12
	v_cmp_ne_u32_e32 vcc, 0, v12
	v_lshrrev_b32_e32 v12, v14, v16
	v_lshlrev_b32_e32 v14, v14, v12
	v_cndmask_b32_e32 v8, v5, v8, vcc
	v_cmp_ne_u32_e32 vcc, v14, v16
	v_cndmask_b32_e64 v14, 0, 1, vcc
	v_or_b32_e32 v12, v12, v14
	v_cmp_gt_i32_e32 vcc, 1, v15
	v_cndmask_b32_e32 v12, v17, v12, vcc
	v_and_b32_e32 v14, 7, v12
	v_cmp_lt_i32_e32 vcc, 5, v14
	v_cndmask_b32_e64 v16, 0, 1, vcc
	v_cmp_eq_u32_e32 vcc, 3, v14
	v_cndmask_b32_e64 v14, 0, 1, vcc
	v_lshrrev_b32_e32 v12, 2, v12
	v_or_b32_e32 v14, v14, v16
	v_add_u32_e32 v12, v12, v14
	v_cmp_gt_i32_e32 vcc, 31, v15
	v_cndmask_b32_e32 v5, v5, v12, vcc
	v_cmp_eq_u32_e32 vcc, s23, v15
	v_lshrrev_b32_e32 v13, 16, v13
	v_cndmask_b32_e32 v5, v5, v8, vcc
	v_and_or_b32 v5, v13, s24, v5
	s_mov_b64 s[0:1], 0
	s_branch .LBB151_2474
.LBB151_2466:
	s_mov_b64 s[0:1], -1
                                        ; implicit-def: $vgpr5
	s_branch .LBB151_2477
.LBB151_2467:
	s_mov_b64 s[0:1], -1
                                        ; implicit-def: $vgpr5
.LBB151_2468:
	s_mov_b64 s[26:27], 0
.LBB151_2469:
	s_and_b64 vcc, exec, s[26:27]
	s_cbranch_vccz .LBB151_2471
; %bb.2470:
	s_cmp_lg_u32 s33, 11
	s_mov_b64 s[22:23], -1
	s_cselect_b64 s[0:1], -1, 0
.LBB151_2471:
	v_mov_b32_e32 v8, 0
	s_and_b64 vcc, exec, s[0:1]
	s_cbranch_vccz .LBB151_2425
.LBB151_2472:
	s_trap 2
	s_or_b64 s[4:5], s[4:5], exec
	s_cbranch_execz .LBB151_2426
	s_branch .LBB151_2427
.LBB151_2473:
	s_mov_b64 s[0:1], -1
                                        ; implicit-def: $vgpr5
.LBB151_2474:
	s_andn2_b64 vcc, exec, s[0:1]
	s_cbranch_vccnz .LBB151_2476
; %bb.2475:
	global_load_dword v5, v[10:11], off
	s_waitcnt vmcnt(0)
	v_cvt_f16_f32_e32 v5, v5
.LBB151_2476:
	s_mov_b64 s[0:1], 0
.LBB151_2477:
	s_andn2_b64 vcc, exec, s[0:1]
	s_cbranch_vccnz .LBB151_2479
; %bb.2478:
	global_load_ushort v5, v[10:11], off
.LBB151_2479:
	v_mov_b32_e32 v8, 0
.LBB151_2480:
	s_mov_b64 s[0:1], 0
.LBB151_2481:
	s_andn2_b64 vcc, exec, s[0:1]
	s_cbranch_vccnz .LBB151_2502
; %bb.2482:
	s_cmp_lt_i32 s22, 2
	s_cbranch_scc1 .LBB151_2486
; %bb.2483:
	s_cmp_lt_i32 s22, 3
	s_cbranch_scc1 .LBB151_2487
; %bb.2484:
	s_cmp_gt_i32 s22, 3
	s_cbranch_scc0 .LBB151_2488
; %bb.2485:
	global_load_dwordx2 v[12:13], v[10:11], off
	s_mov_b64 s[0:1], 0
	s_waitcnt vmcnt(0)
	v_xor_b32_e32 v8, v12, v13
	v_ffbh_i32_e32 v5, v13
	v_ashrrev_i32_e32 v8, 31, v8
	v_add_u32_e32 v5, -1, v5
	v_add_u32_e32 v8, 32, v8
	v_min_u32_e32 v5, v5, v8
	v_lshlrev_b64 v[12:13], v5, v[12:13]
	v_sub_u32_e32 v5, 32, v5
	v_min_u32_e32 v8, 1, v12
	v_or_b32_e32 v8, v13, v8
	v_cvt_f32_i32_e32 v8, v8
	v_ldexp_f32 v5, v8, v5
	v_cvt_f16_f32_e32 v5, v5
	s_branch .LBB151_2489
.LBB151_2486:
	s_mov_b64 s[0:1], -1
                                        ; implicit-def: $vgpr5
	s_branch .LBB151_2495
.LBB151_2487:
	s_mov_b64 s[0:1], -1
                                        ; implicit-def: $vgpr5
	s_branch .LBB151_2492
.LBB151_2488:
	s_mov_b64 s[0:1], -1
                                        ; implicit-def: $vgpr5
.LBB151_2489:
	s_andn2_b64 vcc, exec, s[0:1]
	s_cbranch_vccnz .LBB151_2491
; %bb.2490:
	global_load_dword v5, v[10:11], off
	s_waitcnt vmcnt(0)
	v_cvt_f32_i32_e32 v5, v5
	v_cvt_f16_f32_e32 v5, v5
.LBB151_2491:
	s_mov_b64 s[0:1], 0
.LBB151_2492:
	s_andn2_b64 vcc, exec, s[0:1]
	s_cbranch_vccnz .LBB151_2494
; %bb.2493:
	global_load_ushort v5, v[10:11], off
	s_waitcnt vmcnt(0)
	v_cvt_f16_i16_e32 v5, v5
.LBB151_2494:
	s_mov_b64 s[0:1], 0
.LBB151_2495:
	s_andn2_b64 vcc, exec, s[0:1]
	s_cbranch_vccnz .LBB151_2501
; %bb.2496:
	s_cmp_gt_i32 s22, 0
	s_cbranch_scc0 .LBB151_2498
; %bb.2497:
	global_load_sbyte v5, v[10:11], off
	s_mov_b64 s[0:1], 0
	s_waitcnt vmcnt(0)
	v_cvt_f16_i16_e32 v5, v5
	s_branch .LBB151_2499
.LBB151_2498:
	s_mov_b64 s[0:1], -1
                                        ; implicit-def: $vgpr5
.LBB151_2499:
	s_andn2_b64 vcc, exec, s[0:1]
	s_cbranch_vccnz .LBB151_2501
; %bb.2500:
	global_load_ubyte v5, v[10:11], off
	s_waitcnt vmcnt(0)
	v_cvt_f16_u16_e32 v5, v5
.LBB151_2501:
	v_mov_b32_e32 v8, 0
.LBB151_2502:
	s_mov_b64 s[24:25], -1
.LBB151_2503:
	s_andn2_b64 vcc, exec, s[24:25]
	s_cbranch_vccnz .LBB151_2781
; %bb.2504:
	s_and_b64 vcc, exec, s[18:19]
	s_cbranch_vccz .LBB151_2506
; %bb.2505:
	s_waitcnt vmcnt(0)
	v_cmp_neq_f16_e32 vcc, v1, v5
	v_cmp_neq_f16_e64 s[0:1], v3, v8
	s_or_b64 s[22:23], vcc, s[0:1]
	s_mov_b64 s[0:1], 0
	s_branch .LBB151_2507
.LBB151_2506:
	s_mov_b64 s[0:1], -1
                                        ; implicit-def: $sgpr22_sgpr23
.LBB151_2507:
	s_andn2_b64 vcc, exec, s[0:1]
	s_cbranch_vccnz .LBB151_2509
; %bb.2508:
	s_waitcnt vmcnt(0)
	v_cmp_eq_f16_e32 vcc, v1, v5
	v_cmp_eq_f16_e64 s[0:1], v3, v8
	s_and_b64 s[0:1], vcc, s[0:1]
	s_andn2_b64 s[22:23], s[22:23], exec
	s_and_b64 s[0:1], s[0:1], exec
	s_or_b64 s[22:23], s[22:23], s[0:1]
.LBB151_2509:
	v_mov_b32_e32 v1, s11
	v_add_co_u32_e32 v8, vcc, s10, v9
	s_cmp_lt_i32 s30, 11
	v_addc_co_u32_e32 v9, vcc, 0, v1, vcc
	s_cbranch_scc1 .LBB151_2516
; %bb.2510:
	s_and_b32 s33, 0xffff, s30
	s_cmp_gt_i32 s33, 25
	s_mov_b64 s[10:11], 0
	s_cbranch_scc0 .LBB151_2517
; %bb.2511:
	s_cmp_gt_i32 s33, 28
	s_cbranch_scc0 .LBB151_2518
; %bb.2512:
	s_cmp_gt_i32 s33, 43
	;; [unrolled: 3-line block ×3, first 2 shown]
	s_cbranch_scc0 .LBB151_2520
; %bb.2514:
	s_cmp_eq_u32 s33, 46
	s_mov_b64 s[26:27], 0
	s_cbranch_scc0 .LBB151_2521
; %bb.2515:
	global_load_dword v1, v[8:9], off
	s_mov_b64 s[0:1], 0
	s_mov_b64 s[24:25], -1
	s_waitcnt vmcnt(0)
	v_and_b32_e32 v3, 0xffff0000, v1
	v_lshlrev_b32_e32 v1, 16, v1
	v_cvt_f16_f32_e32 v1, v1
	v_cvt_f16_f32_e32 v3, v3
	s_branch .LBB151_2522
.LBB151_2516:
	s_mov_b64 s[0:1], -1
	s_mov_b64 s[24:25], 0
                                        ; implicit-def: $vgpr3
                                        ; implicit-def: $vgpr1
	s_branch .LBB151_2568
.LBB151_2517:
	s_mov_b64 s[26:27], -1
	s_mov_b64 s[24:25], 0
	s_mov_b64 s[0:1], 0
                                        ; implicit-def: $vgpr3
                                        ; implicit-def: $vgpr1
	s_branch .LBB151_2553
.LBB151_2518:
	s_mov_b64 s[26:27], -1
	s_mov_b64 s[24:25], 0
	s_mov_b64 s[0:1], 0
                                        ; implicit-def: $vgpr3
                                        ; implicit-def: $vgpr1
	s_branch .LBB151_2534
.LBB151_2519:
	s_mov_b64 s[26:27], -1
	s_mov_b64 s[24:25], 0
	s_mov_b64 s[0:1], 0
                                        ; implicit-def: $vgpr3
                                        ; implicit-def: $vgpr1
	s_branch .LBB151_2528
.LBB151_2520:
	s_mov_b64 s[26:27], -1
	s_mov_b64 s[24:25], 0
	s_mov_b64 s[0:1], 0
                                        ; implicit-def: $vgpr3
                                        ; implicit-def: $vgpr1
	s_branch .LBB151_2522
.LBB151_2521:
	s_mov_b64 s[0:1], -1
                                        ; implicit-def: $vgpr3
                                        ; implicit-def: $vgpr1
	s_mov_b64 s[24:25], 0
.LBB151_2522:
	s_and_b64 vcc, exec, s[26:27]
	s_cbranch_vccz .LBB151_2527
; %bb.2523:
	s_cmp_eq_u32 s33, 44
	s_cbranch_scc0 .LBB151_2525
; %bb.2524:
	global_load_ubyte v1, v[8:9], off
	s_movk_i32 s24, 0xff
	s_waitcnt vmcnt(1)
	v_mov_b32_e32 v5, 0x7e00
	s_mov_b64 s[0:1], 0
	s_waitcnt vmcnt(0)
	v_lshlrev_b32_e32 v3, 23, v1
	v_cvt_f16_f32_e32 v3, v3
	v_cmp_ne_u32_e32 vcc, s24, v1
	s_mov_b64 s[24:25], -1
	v_cndmask_b32_e32 v3, v5, v3, vcc
	v_cmp_ne_u32_e32 vcc, 0, v1
	v_cndmask_b32_e32 v1, 0, v3, vcc
	s_branch .LBB151_2526
.LBB151_2525:
	s_mov_b64 s[0:1], -1
                                        ; implicit-def: $vgpr1
.LBB151_2526:
	v_mov_b32_e32 v3, 0
.LBB151_2527:
	s_mov_b64 s[26:27], 0
.LBB151_2528:
	s_and_b64 vcc, exec, s[26:27]
	s_cbranch_vccz .LBB151_2533
; %bb.2529:
	s_cmp_eq_u32 s33, 29
	s_cbranch_scc0 .LBB151_2531
; %bb.2530:
	global_load_dwordx2 v[10:11], v[8:9], off
	s_mov_b64 s[0:1], 0
	s_mov_b64 s[24:25], -1
	s_waitcnt vmcnt(0)
	v_ffbh_u32_e32 v1, v11
	v_min_u32_e32 v1, 32, v1
	v_lshlrev_b64 v[10:11], v1, v[10:11]
	v_sub_u32_e32 v1, 32, v1
	v_min_u32_e32 v3, 1, v10
	v_or_b32_e32 v3, v11, v3
	v_cvt_f32_u32_e32 v3, v3
	v_ldexp_f32 v1, v3, v1
	v_cvt_f16_f32_e32 v1, v1
	s_branch .LBB151_2532
.LBB151_2531:
	s_mov_b64 s[0:1], -1
                                        ; implicit-def: $vgpr1
.LBB151_2532:
	v_mov_b32_e32 v3, 0
.LBB151_2533:
	s_mov_b64 s[26:27], 0
.LBB151_2534:
	s_and_b64 vcc, exec, s[26:27]
	s_cbranch_vccz .LBB151_2552
; %bb.2535:
	s_cmp_lt_i32 s33, 27
	s_cbranch_scc1 .LBB151_2538
; %bb.2536:
	s_cmp_gt_i32 s33, 27
	s_cbranch_scc0 .LBB151_2539
; %bb.2537:
	global_load_dword v1, v[8:9], off
	s_mov_b64 s[24:25], 0
	s_waitcnt vmcnt(0)
	v_cvt_f32_u32_e32 v1, v1
	v_cvt_f16_f32_e32 v1, v1
	s_branch .LBB151_2540
.LBB151_2538:
	s_mov_b64 s[24:25], -1
                                        ; implicit-def: $vgpr1
	s_branch .LBB151_2543
.LBB151_2539:
	s_mov_b64 s[24:25], -1
                                        ; implicit-def: $vgpr1
.LBB151_2540:
	s_andn2_b64 vcc, exec, s[24:25]
	s_cbranch_vccnz .LBB151_2542
; %bb.2541:
	global_load_ushort v1, v[8:9], off
	s_waitcnt vmcnt(0)
	v_cvt_f16_u16_e32 v1, v1
.LBB151_2542:
	s_mov_b64 s[24:25], 0
.LBB151_2543:
	s_andn2_b64 vcc, exec, s[24:25]
	s_cbranch_vccnz .LBB151_2551
; %bb.2544:
	global_load_ubyte v3, v[8:9], off
	s_movk_i32 s24, 0x7f
	s_waitcnt vmcnt(0)
	v_cmp_lt_i16_e32 vcc, s24, v3
	s_mov_b64 s[24:25], 0
	s_and_saveexec_b64 s[26:27], vcc
	s_xor_b64 s[26:27], exec, s[26:27]
	s_cbranch_execz .LBB151_2577
; %bb.2545:
	s_movk_i32 s24, 0x80
	v_cmp_eq_u16_e32 vcc, s24, v3
	s_mov_b64 s[24:25], -1
	s_and_saveexec_b64 s[28:29], vcc
; %bb.2546:
	s_xor_b64 s[24:25], exec, -1
; %bb.2547:
	s_or_b64 exec, exec, s[28:29]
	s_and_b64 s[24:25], s[24:25], exec
	s_or_saveexec_b64 s[26:27], s[26:27]
	v_mov_b32_e32 v1, 0x7e00
	s_xor_b64 exec, exec, s[26:27]
	s_cbranch_execnz .LBB151_2578
.LBB151_2548:
	s_or_b64 exec, exec, s[26:27]
	s_and_saveexec_b64 s[26:27], s[24:25]
	s_cbranch_execz .LBB151_2550
.LBB151_2549:
	v_lshlrev_b32_e32 v1, 24, v3
	v_and_b32_e32 v3, 0xffff, v3
	v_and_b32_e32 v5, 7, v3
	v_ffbh_u32_e32 v11, v5
	v_min_u32_e32 v11, 32, v11
	v_subrev_u32_e32 v12, 28, v11
	v_bfe_u32 v10, v3, 3, 4
	v_lshlrev_b32_e32 v3, v12, v3
	v_sub_u32_e32 v11, 29, v11
	v_and_b32_e32 v3, 7, v3
	v_cmp_eq_u32_e32 vcc, 0, v10
	v_cndmask_b32_e32 v10, v10, v11, vcc
	v_cndmask_b32_e32 v3, v5, v3, vcc
	v_mov_b32_e32 v5, 0x3b800000
	v_lshlrev_b32_e32 v3, 20, v3
	v_and_b32_e32 v1, 0x80000000, v1
	v_lshl_add_u32 v5, v10, 23, v5
	v_or3_b32 v1, v1, v5, v3
	v_cvt_f16_f32_e32 v1, v1
.LBB151_2550:
	s_or_b64 exec, exec, s[26:27]
.LBB151_2551:
	s_mov_b64 s[24:25], -1
	v_mov_b32_e32 v3, 0
.LBB151_2552:
	s_mov_b64 s[26:27], 0
.LBB151_2553:
	s_and_b64 vcc, exec, s[26:27]
	s_cbranch_vccz .LBB151_2564
; %bb.2554:
	s_cmp_gt_i32 s33, 22
	s_cbranch_scc0 .LBB151_2575
; %bb.2555:
	s_cmp_lt_i32 s33, 24
	s_cbranch_scc1 .LBB151_2579
; %bb.2556:
	s_cmp_gt_i32 s33, 24
	s_cbranch_scc0 .LBB151_2581
; %bb.2557:
	global_load_ubyte v3, v[8:9], off
	s_movk_i32 s10, 0x7f
	s_waitcnt vmcnt(0)
	v_cmp_lt_i16_e32 vcc, s10, v3
	s_mov_b64 s[10:11], 0
	s_and_saveexec_b64 s[24:25], vcc
	s_xor_b64 s[24:25], exec, s[24:25]
	s_cbranch_execz .LBB151_2593
; %bb.2558:
	s_movk_i32 s10, 0x80
	v_cmp_eq_u16_e32 vcc, s10, v3
	s_mov_b64 s[10:11], -1
	s_and_saveexec_b64 s[26:27], vcc
; %bb.2559:
	s_xor_b64 s[10:11], exec, -1
; %bb.2560:
	s_or_b64 exec, exec, s[26:27]
	s_and_b64 s[10:11], s[10:11], exec
	s_or_saveexec_b64 s[24:25], s[24:25]
	v_mov_b32_e32 v1, 0x7e00
	s_xor_b64 exec, exec, s[24:25]
	s_cbranch_execnz .LBB151_2594
.LBB151_2561:
	s_or_b64 exec, exec, s[24:25]
	s_and_saveexec_b64 s[24:25], s[10:11]
	s_cbranch_execz .LBB151_2563
.LBB151_2562:
	v_lshlrev_b32_e32 v1, 24, v3
	v_and_b32_e32 v3, 0xffff, v3
	v_and_b32_e32 v5, 3, v3
	v_ffbh_u32_e32 v11, v5
	v_min_u32_e32 v11, 32, v11
	v_subrev_u32_e32 v12, 29, v11
	v_bfe_u32 v10, v3, 2, 5
	v_lshlrev_b32_e32 v3, v12, v3
	v_sub_u32_e32 v11, 30, v11
	v_and_b32_e32 v3, 3, v3
	v_cmp_eq_u32_e32 vcc, 0, v10
	v_cndmask_b32_e32 v10, v10, v11, vcc
	v_cndmask_b32_e32 v3, v5, v3, vcc
	v_mov_b32_e32 v5, 0x37800000
	v_lshlrev_b32_e32 v3, 21, v3
	v_and_b32_e32 v1, 0x80000000, v1
	v_lshl_add_u32 v5, v10, 23, v5
	v_or3_b32 v1, v1, v5, v3
	v_cvt_f16_f32_e32 v1, v1
.LBB151_2563:
	s_or_b64 exec, exec, s[24:25]
	s_mov_b64 s[10:11], 0
	s_branch .LBB151_2582
.LBB151_2564:
	s_and_b64 vcc, exec, s[0:1]
	s_cbranch_vccnz .LBB151_2612
.LBB151_2565:
	s_andn2_b64 vcc, exec, s[10:11]
	s_cbranch_vccnz .LBB151_2567
.LBB151_2566:
	global_load_ubyte v1, v[8:9], off
	s_waitcnt vmcnt(1)
	v_mov_b32_e32 v5, 0x3c00
	v_mov_b32_e32 v3, 0
	s_mov_b64 s[24:25], -1
	s_waitcnt vmcnt(0)
	v_cmp_ne_u16_e32 vcc, 0, v1
	v_cndmask_b32_e32 v1, 0, v5, vcc
.LBB151_2567:
	s_mov_b64 s[0:1], 0
.LBB151_2568:
	s_and_b64 vcc, exec, s[0:1]
	s_cbranch_vccz .LBB151_2643
; %bb.2569:
	s_and_b32 s10, 0xffff, s30
	s_cmp_lt_i32 s10, 5
	s_cbranch_scc1 .LBB151_2574
; %bb.2570:
	s_cmp_lt_i32 s10, 8
	s_cbranch_scc1 .LBB151_2576
; %bb.2571:
	;; [unrolled: 3-line block ×3, first 2 shown]
	s_cmp_gt_i32 s10, 9
	s_cbranch_scc0 .LBB151_2595
; %bb.2573:
	global_load_dwordx4 v[10:13], v[8:9], off
	s_movk_i32 s0, 0x1ff
	s_movk_i32 s1, 0xffe
	v_mov_b32_e32 v1, 0x7c00
	v_mov_b32_e32 v3, 0x7e00
	s_movk_i32 s11, 0x40f
	s_mov_b32 s24, 0x8000
	s_waitcnt vmcnt(0)
	v_and_or_b32 v5, v11, s0, v10
	v_and_or_b32 v12, v13, s0, v12
	v_cmp_ne_u32_e32 vcc, 0, v5
	v_lshrrev_b32_e32 v10, 8, v11
	v_bfe_u32 v14, v11, 20, 11
	v_cndmask_b32_e64 v5, 0, 1, vcc
	v_cmp_ne_u32_e32 vcc, 0, v12
	v_lshrrev_b32_e32 v15, 8, v13
	v_bfe_u32 v16, v13, 20, 11
	v_sub_u32_e32 v17, 0x3f1, v14
	v_cndmask_b32_e64 v12, 0, 1, vcc
	v_and_or_b32 v5, v10, s1, v5
	v_add_u32_e32 v14, 0xfffffc10, v14
	v_sub_u32_e32 v18, 0x3f1, v16
	v_add_u32_e32 v16, 0xfffffc10, v16
	v_med3_i32 v10, v17, 0, 13
	v_and_or_b32 v12, v15, s1, v12
	v_or_b32_e32 v17, 0x1000, v5
	v_cmp_ne_u32_e32 vcc, 0, v5
	v_med3_i32 v15, v18, 0, 13
	v_lshl_or_b32 v18, v14, 12, v5
	v_cndmask_b32_e32 v5, v1, v3, vcc
	v_or_b32_e32 v19, 0x1000, v12
	v_lshl_or_b32 v20, v16, 12, v12
	v_cmp_ne_u32_e32 vcc, 0, v12
	v_lshrrev_b32_e32 v12, v10, v17
	v_lshrrev_b32_e32 v21, v15, v19
	v_lshlrev_b32_e32 v10, v10, v12
	v_cndmask_b32_e32 v3, v1, v3, vcc
	v_lshlrev_b32_e32 v15, v15, v21
	v_cmp_ne_u32_e32 vcc, v10, v17
	v_cndmask_b32_e64 v10, 0, 1, vcc
	v_cmp_ne_u32_e32 vcc, v15, v19
	v_cndmask_b32_e64 v15, 0, 1, vcc
	v_or_b32_e32 v10, v12, v10
	v_cmp_gt_i32_e32 vcc, 1, v14
	v_cndmask_b32_e32 v10, v18, v10, vcc
	v_or_b32_e32 v12, v21, v15
	v_cmp_gt_i32_e32 vcc, 1, v16
	v_and_b32_e32 v15, 7, v10
	v_cndmask_b32_e32 v12, v20, v12, vcc
	v_cmp_lt_i32_e32 vcc, 5, v15
	v_and_b32_e32 v17, 7, v12
	v_cndmask_b32_e64 v18, 0, 1, vcc
	v_cmp_eq_u32_e32 vcc, 3, v15
	v_cndmask_b32_e64 v15, 0, 1, vcc
	v_cmp_lt_i32_e32 vcc, 5, v17
	v_cndmask_b32_e64 v19, 0, 1, vcc
	v_cmp_eq_u32_e32 vcc, 3, v17
	v_lshrrev_b32_e32 v10, 2, v10
	v_cndmask_b32_e64 v17, 0, 1, vcc
	v_or_b32_e32 v15, v15, v18
	v_lshrrev_b32_e32 v12, 2, v12
	v_or_b32_e32 v17, v17, v19
	v_add_u32_e32 v10, v10, v15
	v_cmp_gt_i32_e32 vcc, 31, v14
	v_add_u32_e32 v12, v12, v17
	v_cndmask_b32_e32 v10, v1, v10, vcc
	v_cmp_gt_i32_e32 vcc, 31, v16
	v_cndmask_b32_e32 v1, v1, v12, vcc
	v_cmp_eq_u32_e32 vcc, s11, v14
	v_cndmask_b32_e32 v5, v10, v5, vcc
	v_cmp_eq_u32_e32 vcc, s11, v16
	v_lshrrev_b32_e32 v11, 16, v11
	v_lshrrev_b32_e32 v13, 16, v13
	v_cndmask_b32_e32 v3, v1, v3, vcc
	v_and_or_b32 v1, v11, s24, v5
	v_and_or_b32 v3, v13, s24, v3
	s_mov_b64 s[0:1], 0
	s_branch .LBB151_2596
.LBB151_2574:
	s_mov_b64 s[0:1], -1
                                        ; implicit-def: $vgpr3
                                        ; implicit-def: $vgpr1
	s_branch .LBB151_2621
.LBB151_2575:
	s_mov_b64 s[10:11], -1
                                        ; implicit-def: $vgpr1
	s_branch .LBB151_2588
.LBB151_2576:
	s_mov_b64 s[0:1], -1
                                        ; implicit-def: $vgpr3
                                        ; implicit-def: $vgpr1
	s_branch .LBB151_2602
.LBB151_2577:
	s_or_saveexec_b64 s[26:27], s[26:27]
	v_mov_b32_e32 v1, 0x7e00
	s_xor_b64 exec, exec, s[26:27]
	s_cbranch_execz .LBB151_2548
.LBB151_2578:
	v_cmp_ne_u16_e32 vcc, 0, v3
	s_andn2_b64 s[24:25], s[24:25], exec
	s_and_b64 s[28:29], vcc, exec
	s_or_b64 s[24:25], s[24:25], s[28:29]
	v_mov_b32_e32 v1, v3
	s_or_b64 exec, exec, s[26:27]
	s_and_saveexec_b64 s[26:27], s[24:25]
	s_cbranch_execnz .LBB151_2549
	s_branch .LBB151_2550
.LBB151_2579:
	s_mov_b64 s[10:11], -1
                                        ; implicit-def: $vgpr1
	s_branch .LBB151_2585
.LBB151_2580:
	s_mov_b64 s[0:1], -1
                                        ; implicit-def: $vgpr3
                                        ; implicit-def: $vgpr1
	s_branch .LBB151_2599
.LBB151_2581:
	s_mov_b64 s[10:11], -1
                                        ; implicit-def: $vgpr1
.LBB151_2582:
	s_and_b64 vcc, exec, s[10:11]
	s_cbranch_vccz .LBB151_2584
; %bb.2583:
	global_load_ubyte v1, v[8:9], off
	s_mov_b32 s10, 0x7f800000
	s_waitcnt vmcnt(0)
	v_lshlrev_b32_e32 v1, 24, v1
	v_and_b32_e32 v3, 0x7f000000, v1
	v_ffbh_u32_e32 v5, v3
	v_min_u32_e32 v5, 32, v5
	v_sub_u32_e64 v5, v5, 4 clamp
	v_lshlrev_b32_e32 v11, v5, v3
	v_lshlrev_b32_e32 v5, 23, v5
	v_lshrrev_b32_e32 v11, 4, v11
	v_add_u32_e32 v10, 0x1000000, v3
	v_sub_u32_e32 v5, v11, v5
	v_ashrrev_i32_e32 v10, 8, v10
	v_add_u32_e32 v5, 0x3c000000, v5
	v_and_or_b32 v5, v10, s10, v5
	v_cmp_ne_u32_e32 vcc, 0, v3
	v_cndmask_b32_e32 v3, 0, v5, vcc
	s_brev_b32 s10, 1
	v_and_or_b32 v1, v1, s10, v3
	v_cvt_f16_f32_e32 v1, v1
.LBB151_2584:
	s_mov_b64 s[10:11], 0
.LBB151_2585:
	s_andn2_b64 vcc, exec, s[10:11]
	s_cbranch_vccnz .LBB151_2587
; %bb.2586:
	global_load_ubyte v1, v[8:9], off
	s_movk_i32 s10, 0x7f00
	s_brev_b32 s11, 16
	s_waitcnt vmcnt(0)
	v_lshlrev_b16_e32 v3, 8, v1
	v_lshlrev_b32_e32 v1, 25, v1
	v_lshrrev_b32_e32 v5, 4, v1
	v_and_or_b32 v10, v3, s10, 0.5
	v_or_b32_e32 v5, 0x70000000, v5
	v_add_f32_e32 v10, -0.5, v10
	v_mul_f32_e32 v5, 0x7800000, v5
	v_cmp_gt_u32_e32 vcc, s11, v1
	v_bfe_i32 v3, v3, 0, 16
	v_cndmask_b32_e32 v1, v5, v10, vcc
	s_brev_b32 s10, 1
	v_and_or_b32 v1, v3, s10, v1
	v_cvt_f16_f32_e32 v1, v1
.LBB151_2587:
	s_mov_b64 s[10:11], 0
	s_mov_b64 s[24:25], -1
.LBB151_2588:
	s_andn2_b64 vcc, exec, s[10:11]
	s_mov_b64 s[10:11], 0
	s_cbranch_vccnz .LBB151_2611
; %bb.2589:
	s_cmp_gt_i32 s33, 14
	s_cbranch_scc0 .LBB151_2592
; %bb.2590:
	s_cmp_eq_u32 s33, 15
	s_cbranch_scc0 .LBB151_2607
; %bb.2591:
	global_load_ushort v1, v[8:9], off
	s_mov_b64 s[0:1], 0
	s_mov_b64 s[24:25], -1
	s_waitcnt vmcnt(0)
	v_lshlrev_b32_e32 v1, 16, v1
	v_cvt_f16_f32_e32 v1, v1
	s_branch .LBB151_2608
.LBB151_2592:
	s_mov_b64 s[26:27], -1
                                        ; implicit-def: $vgpr1
	s_branch .LBB151_2609
.LBB151_2593:
	s_or_saveexec_b64 s[24:25], s[24:25]
	v_mov_b32_e32 v1, 0x7e00
	s_xor_b64 exec, exec, s[24:25]
	s_cbranch_execz .LBB151_2561
.LBB151_2594:
	v_cmp_ne_u16_e32 vcc, 0, v3
	s_andn2_b64 s[10:11], s[10:11], exec
	s_and_b64 s[26:27], vcc, exec
	s_or_b64 s[10:11], s[10:11], s[26:27]
	v_mov_b32_e32 v1, v3
	s_or_b64 exec, exec, s[24:25]
	s_and_saveexec_b64 s[24:25], s[10:11]
	s_cbranch_execnz .LBB151_2562
	s_branch .LBB151_2563
.LBB151_2595:
	s_mov_b64 s[0:1], -1
                                        ; implicit-def: $vgpr3
                                        ; implicit-def: $vgpr1
.LBB151_2596:
	s_andn2_b64 vcc, exec, s[0:1]
	s_cbranch_vccnz .LBB151_2598
; %bb.2597:
	global_load_dwordx2 v[10:11], v[8:9], off
	s_waitcnt vmcnt(0)
	v_cvt_f16_f32_e32 v1, v10
	v_cvt_f16_f32_e32 v3, v11
.LBB151_2598:
	s_mov_b64 s[0:1], 0
.LBB151_2599:
	s_andn2_b64 vcc, exec, s[0:1]
	s_cbranch_vccnz .LBB151_2601
; %bb.2600:
	global_load_dword v1, v[8:9], off
	s_waitcnt vmcnt(0)
	v_lshrrev_b32_e32 v3, 16, v1
.LBB151_2601:
	s_mov_b64 s[0:1], 0
.LBB151_2602:
	s_andn2_b64 vcc, exec, s[0:1]
	s_cbranch_vccnz .LBB151_2620
; %bb.2603:
	s_cmp_lt_i32 s10, 6
	s_cbranch_scc1 .LBB151_2606
; %bb.2604:
	s_cmp_gt_i32 s10, 6
	s_cbranch_scc0 .LBB151_2613
; %bb.2605:
	global_load_dwordx2 v[10:11], v[8:9], off
	s_movk_i32 s0, 0x1ff
	s_movk_i32 s1, 0xffe
	v_mov_b32_e32 v1, 0x7c00
	v_mov_b32_e32 v3, 0x7e00
	s_movk_i32 s11, 0x40f
	s_mov_b32 s24, 0x8000
	s_waitcnt vmcnt(0)
	v_and_or_b32 v5, v11, s0, v10
	v_cmp_ne_u32_e32 vcc, 0, v5
	v_lshrrev_b32_e32 v10, 8, v11
	v_bfe_u32 v12, v11, 20, 11
	v_cndmask_b32_e64 v5, 0, 1, vcc
	v_sub_u32_e32 v13, 0x3f1, v12
	v_and_or_b32 v5, v10, s1, v5
	v_add_u32_e32 v12, 0xfffffc10, v12
	v_med3_i32 v10, v13, 0, 13
	v_or_b32_e32 v13, 0x1000, v5
	v_lshl_or_b32 v14, v12, 12, v5
	v_cmp_ne_u32_e32 vcc, 0, v5
	v_lshrrev_b32_e32 v5, v10, v13
	v_lshlrev_b32_e32 v10, v10, v5
	v_cndmask_b32_e32 v3, v1, v3, vcc
	v_cmp_ne_u32_e32 vcc, v10, v13
	v_cndmask_b32_e64 v10, 0, 1, vcc
	v_or_b32_e32 v5, v5, v10
	v_cmp_gt_i32_e32 vcc, 1, v12
	v_cndmask_b32_e32 v5, v14, v5, vcc
	v_and_b32_e32 v10, 7, v5
	v_cmp_lt_i32_e32 vcc, 5, v10
	v_cndmask_b32_e64 v13, 0, 1, vcc
	v_cmp_eq_u32_e32 vcc, 3, v10
	v_cndmask_b32_e64 v10, 0, 1, vcc
	v_lshrrev_b32_e32 v5, 2, v5
	v_or_b32_e32 v10, v10, v13
	v_add_u32_e32 v5, v5, v10
	v_cmp_gt_i32_e32 vcc, 31, v12
	v_cndmask_b32_e32 v1, v1, v5, vcc
	v_cmp_eq_u32_e32 vcc, s11, v12
	v_lshrrev_b32_e32 v11, 16, v11
	v_cndmask_b32_e32 v1, v1, v3, vcc
	v_and_or_b32 v1, v11, s24, v1
	s_mov_b64 s[0:1], 0
	s_branch .LBB151_2614
.LBB151_2606:
	s_mov_b64 s[0:1], -1
                                        ; implicit-def: $vgpr1
	s_branch .LBB151_2617
.LBB151_2607:
	s_mov_b64 s[0:1], -1
                                        ; implicit-def: $vgpr1
.LBB151_2608:
	s_mov_b64 s[26:27], 0
.LBB151_2609:
	s_and_b64 vcc, exec, s[26:27]
	s_cbranch_vccz .LBB151_2611
; %bb.2610:
	s_cmp_lg_u32 s33, 11
	s_mov_b64 s[10:11], -1
	s_cselect_b64 s[0:1], -1, 0
.LBB151_2611:
	v_mov_b32_e32 v3, 0
	s_and_b64 vcc, exec, s[0:1]
	s_cbranch_vccz .LBB151_2565
.LBB151_2612:
	s_trap 2
	s_or_b64 s[4:5], s[4:5], exec
	s_cbranch_execz .LBB151_2566
	s_branch .LBB151_2567
.LBB151_2613:
	s_mov_b64 s[0:1], -1
                                        ; implicit-def: $vgpr1
.LBB151_2614:
	s_andn2_b64 vcc, exec, s[0:1]
	s_cbranch_vccnz .LBB151_2616
; %bb.2615:
	global_load_dword v1, v[8:9], off
	s_waitcnt vmcnt(0)
	v_cvt_f16_f32_e32 v1, v1
.LBB151_2616:
	s_mov_b64 s[0:1], 0
.LBB151_2617:
	s_andn2_b64 vcc, exec, s[0:1]
	s_cbranch_vccnz .LBB151_2619
; %bb.2618:
	global_load_ushort v1, v[8:9], off
.LBB151_2619:
	v_mov_b32_e32 v3, 0
.LBB151_2620:
	s_mov_b64 s[0:1], 0
.LBB151_2621:
	s_andn2_b64 vcc, exec, s[0:1]
	s_cbranch_vccnz .LBB151_2642
; %bb.2622:
	s_cmp_lt_i32 s10, 2
	s_cbranch_scc1 .LBB151_2626
; %bb.2623:
	s_cmp_lt_i32 s10, 3
	s_cbranch_scc1 .LBB151_2627
; %bb.2624:
	s_cmp_gt_i32 s10, 3
	s_cbranch_scc0 .LBB151_2628
; %bb.2625:
	global_load_dwordx2 v[10:11], v[8:9], off
	s_mov_b64 s[0:1], 0
	s_waitcnt vmcnt(0)
	v_xor_b32_e32 v3, v10, v11
	v_ffbh_i32_e32 v1, v11
	v_ashrrev_i32_e32 v3, 31, v3
	v_add_u32_e32 v1, -1, v1
	v_add_u32_e32 v3, 32, v3
	v_min_u32_e32 v1, v1, v3
	v_lshlrev_b64 v[10:11], v1, v[10:11]
	v_sub_u32_e32 v1, 32, v1
	v_min_u32_e32 v3, 1, v10
	v_or_b32_e32 v3, v11, v3
	v_cvt_f32_i32_e32 v3, v3
	v_ldexp_f32 v1, v3, v1
	v_cvt_f16_f32_e32 v1, v1
	s_branch .LBB151_2629
.LBB151_2626:
	s_mov_b64 s[0:1], -1
                                        ; implicit-def: $vgpr1
	s_branch .LBB151_2635
.LBB151_2627:
	s_mov_b64 s[0:1], -1
                                        ; implicit-def: $vgpr1
	s_branch .LBB151_2632
.LBB151_2628:
	s_mov_b64 s[0:1], -1
                                        ; implicit-def: $vgpr1
.LBB151_2629:
	s_andn2_b64 vcc, exec, s[0:1]
	s_cbranch_vccnz .LBB151_2631
; %bb.2630:
	global_load_dword v1, v[8:9], off
	s_waitcnt vmcnt(0)
	v_cvt_f32_i32_e32 v1, v1
	v_cvt_f16_f32_e32 v1, v1
.LBB151_2631:
	s_mov_b64 s[0:1], 0
.LBB151_2632:
	s_andn2_b64 vcc, exec, s[0:1]
	s_cbranch_vccnz .LBB151_2634
; %bb.2633:
	global_load_ushort v1, v[8:9], off
	s_waitcnt vmcnt(0)
	v_cvt_f16_i16_e32 v1, v1
.LBB151_2634:
	s_mov_b64 s[0:1], 0
.LBB151_2635:
	s_andn2_b64 vcc, exec, s[0:1]
	s_cbranch_vccnz .LBB151_2641
; %bb.2636:
	s_cmp_gt_i32 s10, 0
	s_cbranch_scc0 .LBB151_2638
; %bb.2637:
	global_load_sbyte v1, v[8:9], off
	s_mov_b64 s[0:1], 0
	s_waitcnt vmcnt(0)
	v_cvt_f16_i16_e32 v1, v1
	s_branch .LBB151_2639
.LBB151_2638:
	s_mov_b64 s[0:1], -1
                                        ; implicit-def: $vgpr1
.LBB151_2639:
	s_andn2_b64 vcc, exec, s[0:1]
	s_cbranch_vccnz .LBB151_2641
; %bb.2640:
	global_load_ubyte v1, v[8:9], off
	s_waitcnt vmcnt(0)
	v_cvt_f16_u16_e32 v1, v1
.LBB151_2641:
	v_mov_b32_e32 v3, 0
.LBB151_2642:
	s_mov_b64 s[24:25], -1
.LBB151_2643:
	s_andn2_b64 vcc, exec, s[24:25]
	s_cbranch_vccnz .LBB151_2781
; %bb.2644:
	s_waitcnt vmcnt(0)
	v_mov_b32_e32 v5, s17
	v_add_co_u32_e32 v7, vcc, s16, v7
	s_cmp_lt_i32 s31, 11
	v_addc_co_u32_e32 v8, vcc, 0, v5, vcc
	s_cbranch_scc1 .LBB151_2651
; %bb.2645:
	s_and_b32 s28, 0xffff, s31
	s_cmp_gt_i32 s28, 25
	s_mov_b64 s[10:11], 0
	s_cbranch_scc0 .LBB151_2652
; %bb.2646:
	s_cmp_gt_i32 s28, 28
	s_cbranch_scc0 .LBB151_2653
; %bb.2647:
	s_cmp_gt_i32 s28, 43
	;; [unrolled: 3-line block ×3, first 2 shown]
	s_cbranch_scc0 .LBB151_2655
; %bb.2649:
	s_cmp_eq_u32 s28, 46
	s_mov_b64 s[24:25], 0
	s_cbranch_scc0 .LBB151_2656
; %bb.2650:
	global_load_dword v5, v[7:8], off
	s_mov_b64 s[0:1], 0
	s_mov_b64 s[16:17], -1
	s_waitcnt vmcnt(0)
	v_and_b32_e32 v9, 0xffff0000, v5
	v_lshlrev_b32_e32 v5, 16, v5
	v_cvt_f16_f32_e32 v5, v5
	v_cvt_f16_f32_e32 v9, v9
	s_branch .LBB151_2657
.LBB151_2651:
	s_mov_b64 s[0:1], -1
	s_mov_b64 s[16:17], 0
                                        ; implicit-def: $vgpr9
                                        ; implicit-def: $vgpr5
	s_branch .LBB151_2703
.LBB151_2652:
	s_mov_b64 s[24:25], -1
	s_mov_b64 s[16:17], 0
	s_mov_b64 s[0:1], 0
                                        ; implicit-def: $vgpr9
                                        ; implicit-def: $vgpr5
	s_branch .LBB151_2688
.LBB151_2653:
	s_mov_b64 s[24:25], -1
	s_mov_b64 s[16:17], 0
	s_mov_b64 s[0:1], 0
                                        ; implicit-def: $vgpr9
                                        ; implicit-def: $vgpr5
	s_branch .LBB151_2669
.LBB151_2654:
	s_mov_b64 s[24:25], -1
	s_mov_b64 s[16:17], 0
	s_mov_b64 s[0:1], 0
                                        ; implicit-def: $vgpr9
                                        ; implicit-def: $vgpr5
	s_branch .LBB151_2663
.LBB151_2655:
	s_mov_b64 s[24:25], -1
	s_mov_b64 s[16:17], 0
	s_mov_b64 s[0:1], 0
                                        ; implicit-def: $vgpr9
                                        ; implicit-def: $vgpr5
	s_branch .LBB151_2657
.LBB151_2656:
	s_mov_b64 s[0:1], -1
                                        ; implicit-def: $vgpr9
                                        ; implicit-def: $vgpr5
	s_mov_b64 s[16:17], 0
.LBB151_2657:
	s_and_b64 vcc, exec, s[24:25]
	s_cbranch_vccz .LBB151_2662
; %bb.2658:
	s_cmp_eq_u32 s28, 44
	s_cbranch_scc0 .LBB151_2660
; %bb.2659:
	global_load_ubyte v5, v[7:8], off
	s_movk_i32 s16, 0xff
	v_mov_b32_e32 v10, 0x7e00
	s_mov_b64 s[0:1], 0
	s_waitcnt vmcnt(0)
	v_lshlrev_b32_e32 v9, 23, v5
	v_cvt_f16_f32_e32 v9, v9
	v_cmp_ne_u32_e32 vcc, s16, v5
	s_mov_b64 s[16:17], -1
	v_cndmask_b32_e32 v9, v10, v9, vcc
	v_cmp_ne_u32_e32 vcc, 0, v5
	v_cndmask_b32_e32 v5, 0, v9, vcc
	s_branch .LBB151_2661
.LBB151_2660:
	s_mov_b64 s[0:1], -1
                                        ; implicit-def: $vgpr5
.LBB151_2661:
	v_mov_b32_e32 v9, 0
.LBB151_2662:
	s_mov_b64 s[24:25], 0
.LBB151_2663:
	s_and_b64 vcc, exec, s[24:25]
	s_cbranch_vccz .LBB151_2668
; %bb.2664:
	s_cmp_eq_u32 s28, 29
	s_cbranch_scc0 .LBB151_2666
; %bb.2665:
	global_load_dwordx2 v[9:10], v[7:8], off
	s_mov_b64 s[0:1], 0
	s_mov_b64 s[16:17], -1
	s_waitcnt vmcnt(0)
	v_ffbh_u32_e32 v5, v10
	v_min_u32_e32 v5, 32, v5
	v_lshlrev_b64 v[9:10], v5, v[9:10]
	v_sub_u32_e32 v5, 32, v5
	v_min_u32_e32 v9, 1, v9
	v_or_b32_e32 v9, v10, v9
	v_cvt_f32_u32_e32 v9, v9
	v_ldexp_f32 v5, v9, v5
	v_cvt_f16_f32_e32 v5, v5
	s_branch .LBB151_2667
.LBB151_2666:
	s_mov_b64 s[0:1], -1
                                        ; implicit-def: $vgpr5
.LBB151_2667:
	v_mov_b32_e32 v9, 0
.LBB151_2668:
	s_mov_b64 s[24:25], 0
.LBB151_2669:
	s_and_b64 vcc, exec, s[24:25]
	s_cbranch_vccz .LBB151_2687
; %bb.2670:
	s_cmp_lt_i32 s28, 27
	s_cbranch_scc1 .LBB151_2673
; %bb.2671:
	s_cmp_gt_i32 s28, 27
	s_cbranch_scc0 .LBB151_2674
; %bb.2672:
	global_load_dword v5, v[7:8], off
	s_mov_b64 s[16:17], 0
	s_waitcnt vmcnt(0)
	v_cvt_f32_u32_e32 v5, v5
	v_cvt_f16_f32_e32 v5, v5
	s_branch .LBB151_2675
.LBB151_2673:
	s_mov_b64 s[16:17], -1
                                        ; implicit-def: $vgpr5
	s_branch .LBB151_2678
.LBB151_2674:
	s_mov_b64 s[16:17], -1
                                        ; implicit-def: $vgpr5
.LBB151_2675:
	s_andn2_b64 vcc, exec, s[16:17]
	s_cbranch_vccnz .LBB151_2677
; %bb.2676:
	global_load_ushort v5, v[7:8], off
	s_waitcnt vmcnt(0)
	v_cvt_f16_u16_e32 v5, v5
.LBB151_2677:
	s_mov_b64 s[16:17], 0
.LBB151_2678:
	s_andn2_b64 vcc, exec, s[16:17]
	s_cbranch_vccnz .LBB151_2686
; %bb.2679:
	global_load_ubyte v9, v[7:8], off
	s_movk_i32 s16, 0x7f
	s_waitcnt vmcnt(0)
	v_cmp_lt_i16_e32 vcc, s16, v9
	s_mov_b64 s[16:17], 0
	s_and_saveexec_b64 s[24:25], vcc
	s_xor_b64 s[24:25], exec, s[24:25]
	s_cbranch_execz .LBB151_2712
; %bb.2680:
	s_movk_i32 s16, 0x80
	v_cmp_eq_u16_e32 vcc, s16, v9
	s_mov_b64 s[16:17], -1
	s_and_saveexec_b64 s[26:27], vcc
; %bb.2681:
	s_xor_b64 s[16:17], exec, -1
; %bb.2682:
	s_or_b64 exec, exec, s[26:27]
	s_and_b64 s[16:17], s[16:17], exec
	s_or_saveexec_b64 s[24:25], s[24:25]
	v_mov_b32_e32 v5, 0x7e00
	s_xor_b64 exec, exec, s[24:25]
	s_cbranch_execnz .LBB151_2713
.LBB151_2683:
	s_or_b64 exec, exec, s[24:25]
	s_and_saveexec_b64 s[24:25], s[16:17]
	s_cbranch_execz .LBB151_2685
.LBB151_2684:
	v_lshlrev_b32_e32 v5, 24, v9
	v_and_b32_e32 v9, 0xffff, v9
	v_and_b32_e32 v10, 7, v9
	v_ffbh_u32_e32 v12, v10
	v_min_u32_e32 v12, 32, v12
	v_subrev_u32_e32 v13, 28, v12
	v_bfe_u32 v11, v9, 3, 4
	v_lshlrev_b32_e32 v9, v13, v9
	v_sub_u32_e32 v12, 29, v12
	v_and_b32_e32 v9, 7, v9
	v_cmp_eq_u32_e32 vcc, 0, v11
	v_cndmask_b32_e32 v11, v11, v12, vcc
	v_cndmask_b32_e32 v9, v10, v9, vcc
	v_mov_b32_e32 v10, 0x3b800000
	v_lshlrev_b32_e32 v9, 20, v9
	v_and_b32_e32 v5, 0x80000000, v5
	v_lshl_add_u32 v10, v11, 23, v10
	v_or3_b32 v5, v5, v10, v9
	v_cvt_f16_f32_e32 v5, v5
.LBB151_2685:
	s_or_b64 exec, exec, s[24:25]
.LBB151_2686:
	s_mov_b64 s[16:17], -1
	v_mov_b32_e32 v9, 0
.LBB151_2687:
	s_mov_b64 s[24:25], 0
.LBB151_2688:
	s_and_b64 vcc, exec, s[24:25]
	s_cbranch_vccz .LBB151_2699
; %bb.2689:
	s_cmp_gt_i32 s28, 22
	s_cbranch_scc0 .LBB151_2710
; %bb.2690:
	s_cmp_lt_i32 s28, 24
	s_cbranch_scc1 .LBB151_2714
; %bb.2691:
	s_cmp_gt_i32 s28, 24
	s_cbranch_scc0 .LBB151_2716
; %bb.2692:
	global_load_ubyte v9, v[7:8], off
	s_movk_i32 s10, 0x7f
	s_waitcnt vmcnt(0)
	v_cmp_lt_i16_e32 vcc, s10, v9
	s_mov_b64 s[10:11], 0
	s_and_saveexec_b64 s[16:17], vcc
	s_xor_b64 s[16:17], exec, s[16:17]
	s_cbranch_execz .LBB151_2728
; %bb.2693:
	s_movk_i32 s10, 0x80
	v_cmp_eq_u16_e32 vcc, s10, v9
	s_mov_b64 s[10:11], -1
	s_and_saveexec_b64 s[24:25], vcc
; %bb.2694:
	s_xor_b64 s[10:11], exec, -1
; %bb.2695:
	s_or_b64 exec, exec, s[24:25]
	s_and_b64 s[10:11], s[10:11], exec
	s_or_saveexec_b64 s[16:17], s[16:17]
	v_mov_b32_e32 v5, 0x7e00
	s_xor_b64 exec, exec, s[16:17]
	s_cbranch_execnz .LBB151_2729
.LBB151_2696:
	s_or_b64 exec, exec, s[16:17]
	s_and_saveexec_b64 s[16:17], s[10:11]
	s_cbranch_execz .LBB151_2698
.LBB151_2697:
	v_lshlrev_b32_e32 v5, 24, v9
	v_and_b32_e32 v9, 0xffff, v9
	v_and_b32_e32 v10, 3, v9
	v_ffbh_u32_e32 v12, v10
	v_min_u32_e32 v12, 32, v12
	v_subrev_u32_e32 v13, 29, v12
	v_bfe_u32 v11, v9, 2, 5
	v_lshlrev_b32_e32 v9, v13, v9
	v_sub_u32_e32 v12, 30, v12
	v_and_b32_e32 v9, 3, v9
	v_cmp_eq_u32_e32 vcc, 0, v11
	v_cndmask_b32_e32 v11, v11, v12, vcc
	v_cndmask_b32_e32 v9, v10, v9, vcc
	v_mov_b32_e32 v10, 0x37800000
	v_lshlrev_b32_e32 v9, 21, v9
	v_and_b32_e32 v5, 0x80000000, v5
	v_lshl_add_u32 v10, v11, 23, v10
	v_or3_b32 v5, v5, v10, v9
	v_cvt_f16_f32_e32 v5, v5
.LBB151_2698:
	s_or_b64 exec, exec, s[16:17]
	s_mov_b64 s[10:11], 0
	s_branch .LBB151_2717
.LBB151_2699:
	s_and_b64 vcc, exec, s[0:1]
	s_cbranch_vccnz .LBB151_2747
.LBB151_2700:
	s_andn2_b64 vcc, exec, s[10:11]
	s_cbranch_vccnz .LBB151_2702
.LBB151_2701:
	global_load_ubyte v5, v[7:8], off
	v_mov_b32_e32 v10, 0x3c00
	v_mov_b32_e32 v9, 0
	s_mov_b64 s[16:17], -1
	s_waitcnt vmcnt(0)
	v_cmp_ne_u16_e32 vcc, 0, v5
	v_cndmask_b32_e32 v5, 0, v10, vcc
.LBB151_2702:
	s_mov_b64 s[0:1], 0
.LBB151_2703:
	s_and_b64 vcc, exec, s[0:1]
	s_cbranch_vccz .LBB151_2778
; %bb.2704:
	s_and_b32 s10, 0xffff, s31
	s_cmp_lt_i32 s10, 5
	s_cbranch_scc1 .LBB151_2709
; %bb.2705:
	s_cmp_lt_i32 s10, 8
	s_cbranch_scc1 .LBB151_2711
; %bb.2706:
	;; [unrolled: 3-line block ×3, first 2 shown]
	s_cmp_gt_i32 s10, 9
	s_cbranch_scc0 .LBB151_2730
; %bb.2708:
	global_load_dwordx4 v[9:12], v[7:8], off
	s_movk_i32 s0, 0x1ff
	s_movk_i32 s1, 0xffe
	v_mov_b32_e32 v5, 0x7c00
	v_mov_b32_e32 v13, 0x7e00
	s_movk_i32 s11, 0x40f
	s_mov_b32 s16, 0x8000
	s_waitcnt vmcnt(0)
	v_and_or_b32 v9, v10, s0, v9
	v_and_or_b32 v11, v12, s0, v11
	v_cmp_ne_u32_e32 vcc, 0, v9
	v_lshrrev_b32_e32 v14, 8, v10
	v_cndmask_b32_e64 v9, 0, 1, vcc
	v_cmp_ne_u32_e32 vcc, 0, v11
	v_bfe_u32 v15, v10, 20, 11
	v_lshrrev_b32_e32 v16, 8, v12
	v_bfe_u32 v17, v12, 20, 11
	v_cndmask_b32_e64 v11, 0, 1, vcc
	v_and_or_b32 v9, v14, s1, v9
	v_sub_u32_e32 v18, 0x3f1, v15
	v_add_u32_e32 v15, 0xfffffc10, v15
	v_sub_u32_e32 v19, 0x3f1, v17
	v_and_or_b32 v11, v16, s1, v11
	v_cmp_ne_u32_e32 vcc, 0, v9
	v_add_u32_e32 v17, 0xfffffc10, v17
	v_med3_i32 v14, v18, 0, 13
	v_med3_i32 v16, v19, 0, 13
	v_or_b32_e32 v18, 0x1000, v9
	v_lshl_or_b32 v19, v15, 12, v9
	v_cndmask_b32_e32 v9, v5, v13, vcc
	v_cmp_ne_u32_e32 vcc, 0, v11
	v_or_b32_e32 v20, 0x1000, v11
	v_lshl_or_b32 v21, v17, 12, v11
	v_cndmask_b32_e32 v11, v5, v13, vcc
	v_lshrrev_b32_e32 v13, v14, v18
	v_lshrrev_b32_e32 v22, v16, v20
	v_lshlrev_b32_e32 v14, v14, v13
	v_lshlrev_b32_e32 v16, v16, v22
	v_cmp_ne_u32_e32 vcc, v14, v18
	v_cndmask_b32_e64 v14, 0, 1, vcc
	v_cmp_ne_u32_e32 vcc, v16, v20
	v_cndmask_b32_e64 v16, 0, 1, vcc
	v_or_b32_e32 v13, v13, v14
	v_cmp_gt_i32_e32 vcc, 1, v15
	v_cndmask_b32_e32 v13, v19, v13, vcc
	v_or_b32_e32 v14, v22, v16
	v_cmp_gt_i32_e32 vcc, 1, v17
	v_and_b32_e32 v16, 7, v13
	v_cndmask_b32_e32 v14, v21, v14, vcc
	v_cmp_lt_i32_e32 vcc, 5, v16
	v_and_b32_e32 v18, 7, v14
	v_cndmask_b32_e64 v19, 0, 1, vcc
	v_cmp_eq_u32_e32 vcc, 3, v16
	v_cndmask_b32_e64 v16, 0, 1, vcc
	v_cmp_lt_i32_e32 vcc, 5, v18
	v_cndmask_b32_e64 v20, 0, 1, vcc
	v_cmp_eq_u32_e32 vcc, 3, v18
	v_lshrrev_b32_e32 v13, 2, v13
	v_cndmask_b32_e64 v18, 0, 1, vcc
	v_or_b32_e32 v16, v16, v19
	v_lshrrev_b32_e32 v14, 2, v14
	v_or_b32_e32 v18, v18, v20
	v_add_u32_e32 v13, v13, v16
	v_cmp_gt_i32_e32 vcc, 31, v15
	v_add_u32_e32 v14, v14, v18
	v_cndmask_b32_e32 v13, v5, v13, vcc
	v_cmp_gt_i32_e32 vcc, 31, v17
	v_cndmask_b32_e32 v5, v5, v14, vcc
	v_cmp_eq_u32_e32 vcc, s11, v15
	v_cndmask_b32_e32 v9, v13, v9, vcc
	v_cmp_eq_u32_e32 vcc, s11, v17
	v_lshrrev_b32_e32 v10, 16, v10
	v_lshrrev_b32_e32 v12, 16, v12
	v_cndmask_b32_e32 v11, v5, v11, vcc
	v_and_or_b32 v5, v10, s16, v9
	v_and_or_b32 v9, v12, s16, v11
	s_mov_b64 s[0:1], 0
	s_branch .LBB151_2731
.LBB151_2709:
	s_mov_b64 s[0:1], -1
                                        ; implicit-def: $vgpr9
                                        ; implicit-def: $vgpr5
	s_branch .LBB151_2756
.LBB151_2710:
	s_mov_b64 s[10:11], -1
                                        ; implicit-def: $vgpr5
	s_branch .LBB151_2723
.LBB151_2711:
	s_mov_b64 s[0:1], -1
                                        ; implicit-def: $vgpr9
                                        ; implicit-def: $vgpr5
	s_branch .LBB151_2737
.LBB151_2712:
	s_or_saveexec_b64 s[24:25], s[24:25]
	v_mov_b32_e32 v5, 0x7e00
	s_xor_b64 exec, exec, s[24:25]
	s_cbranch_execz .LBB151_2683
.LBB151_2713:
	v_cmp_ne_u16_e32 vcc, 0, v9
	s_andn2_b64 s[16:17], s[16:17], exec
	s_and_b64 s[26:27], vcc, exec
	s_or_b64 s[16:17], s[16:17], s[26:27]
	v_mov_b32_e32 v5, v9
	s_or_b64 exec, exec, s[24:25]
	s_and_saveexec_b64 s[24:25], s[16:17]
	s_cbranch_execnz .LBB151_2684
	s_branch .LBB151_2685
.LBB151_2714:
	s_mov_b64 s[10:11], -1
                                        ; implicit-def: $vgpr5
	s_branch .LBB151_2720
.LBB151_2715:
	s_mov_b64 s[0:1], -1
                                        ; implicit-def: $vgpr9
                                        ; implicit-def: $vgpr5
	s_branch .LBB151_2734
.LBB151_2716:
	s_mov_b64 s[10:11], -1
                                        ; implicit-def: $vgpr5
.LBB151_2717:
	s_and_b64 vcc, exec, s[10:11]
	s_cbranch_vccz .LBB151_2719
; %bb.2718:
	global_load_ubyte v5, v[7:8], off
	s_mov_b32 s10, 0x7f800000
	s_waitcnt vmcnt(0)
	v_lshlrev_b32_e32 v5, 24, v5
	v_and_b32_e32 v9, 0x7f000000, v5
	v_ffbh_u32_e32 v10, v9
	v_min_u32_e32 v10, 32, v10
	v_sub_u32_e64 v10, v10, 4 clamp
	v_lshlrev_b32_e32 v12, v10, v9
	v_lshlrev_b32_e32 v10, 23, v10
	v_lshrrev_b32_e32 v12, 4, v12
	v_add_u32_e32 v11, 0x1000000, v9
	v_sub_u32_e32 v10, v12, v10
	v_ashrrev_i32_e32 v11, 8, v11
	v_add_u32_e32 v10, 0x3c000000, v10
	v_and_or_b32 v10, v11, s10, v10
	v_cmp_ne_u32_e32 vcc, 0, v9
	v_cndmask_b32_e32 v9, 0, v10, vcc
	s_brev_b32 s10, 1
	v_and_or_b32 v5, v5, s10, v9
	v_cvt_f16_f32_e32 v5, v5
.LBB151_2719:
	s_mov_b64 s[10:11], 0
.LBB151_2720:
	s_andn2_b64 vcc, exec, s[10:11]
	s_cbranch_vccnz .LBB151_2722
; %bb.2721:
	global_load_ubyte v5, v[7:8], off
	s_movk_i32 s10, 0x7f00
	s_brev_b32 s11, 16
	s_waitcnt vmcnt(0)
	v_lshlrev_b16_e32 v9, 8, v5
	v_lshlrev_b32_e32 v5, 25, v5
	v_lshrrev_b32_e32 v10, 4, v5
	v_and_or_b32 v11, v9, s10, 0.5
	v_or_b32_e32 v10, 0x70000000, v10
	v_add_f32_e32 v11, -0.5, v11
	v_mul_f32_e32 v10, 0x7800000, v10
	v_cmp_gt_u32_e32 vcc, s11, v5
	v_bfe_i32 v9, v9, 0, 16
	v_cndmask_b32_e32 v5, v10, v11, vcc
	s_brev_b32 s10, 1
	v_and_or_b32 v5, v9, s10, v5
	v_cvt_f16_f32_e32 v5, v5
.LBB151_2722:
	s_mov_b64 s[10:11], 0
	s_mov_b64 s[16:17], -1
.LBB151_2723:
	s_andn2_b64 vcc, exec, s[10:11]
	s_mov_b64 s[10:11], 0
	s_cbranch_vccnz .LBB151_2746
; %bb.2724:
	s_cmp_gt_i32 s28, 14
	s_cbranch_scc0 .LBB151_2727
; %bb.2725:
	s_cmp_eq_u32 s28, 15
	s_cbranch_scc0 .LBB151_2742
; %bb.2726:
	global_load_ushort v5, v[7:8], off
	s_mov_b64 s[0:1], 0
	s_mov_b64 s[16:17], -1
	s_waitcnt vmcnt(0)
	v_lshlrev_b32_e32 v5, 16, v5
	v_cvt_f16_f32_e32 v5, v5
	s_branch .LBB151_2743
.LBB151_2727:
	s_mov_b64 s[24:25], -1
                                        ; implicit-def: $vgpr5
	s_branch .LBB151_2744
.LBB151_2728:
	s_or_saveexec_b64 s[16:17], s[16:17]
	v_mov_b32_e32 v5, 0x7e00
	s_xor_b64 exec, exec, s[16:17]
	s_cbranch_execz .LBB151_2696
.LBB151_2729:
	v_cmp_ne_u16_e32 vcc, 0, v9
	s_andn2_b64 s[10:11], s[10:11], exec
	s_and_b64 s[24:25], vcc, exec
	s_or_b64 s[10:11], s[10:11], s[24:25]
	v_mov_b32_e32 v5, v9
	s_or_b64 exec, exec, s[16:17]
	s_and_saveexec_b64 s[16:17], s[10:11]
	s_cbranch_execnz .LBB151_2697
	s_branch .LBB151_2698
.LBB151_2730:
	s_mov_b64 s[0:1], -1
                                        ; implicit-def: $vgpr9
                                        ; implicit-def: $vgpr5
.LBB151_2731:
	s_andn2_b64 vcc, exec, s[0:1]
	s_cbranch_vccnz .LBB151_2733
; %bb.2732:
	global_load_dwordx2 v[9:10], v[7:8], off
	s_waitcnt vmcnt(0)
	v_cvt_f16_f32_e32 v5, v9
	v_cvt_f16_f32_e32 v9, v10
.LBB151_2733:
	s_mov_b64 s[0:1], 0
.LBB151_2734:
	s_andn2_b64 vcc, exec, s[0:1]
	s_cbranch_vccnz .LBB151_2736
; %bb.2735:
	global_load_dword v5, v[7:8], off
	s_waitcnt vmcnt(0)
	v_lshrrev_b32_e32 v9, 16, v5
.LBB151_2736:
	s_mov_b64 s[0:1], 0
.LBB151_2737:
	s_andn2_b64 vcc, exec, s[0:1]
	s_cbranch_vccnz .LBB151_2755
; %bb.2738:
	s_cmp_lt_i32 s10, 6
	s_cbranch_scc1 .LBB151_2741
; %bb.2739:
	s_cmp_gt_i32 s10, 6
	s_cbranch_scc0 .LBB151_2748
; %bb.2740:
	global_load_dwordx2 v[9:10], v[7:8], off
	s_movk_i32 s0, 0x1ff
	s_movk_i32 s1, 0xffe
	v_mov_b32_e32 v5, 0x7c00
	v_mov_b32_e32 v11, 0x7e00
	s_movk_i32 s11, 0x40f
	s_mov_b32 s16, 0x8000
	s_waitcnt vmcnt(0)
	v_and_or_b32 v9, v10, s0, v9
	v_cmp_ne_u32_e32 vcc, 0, v9
	v_lshrrev_b32_e32 v12, 8, v10
	v_bfe_u32 v13, v10, 20, 11
	v_cndmask_b32_e64 v9, 0, 1, vcc
	v_sub_u32_e32 v14, 0x3f1, v13
	v_and_or_b32 v9, v12, s1, v9
	v_add_u32_e32 v13, 0xfffffc10, v13
	v_med3_i32 v12, v14, 0, 13
	v_or_b32_e32 v14, 0x1000, v9
	v_cmp_ne_u32_e32 vcc, 0, v9
	v_lshl_or_b32 v15, v13, 12, v9
	v_cndmask_b32_e32 v9, v5, v11, vcc
	v_lshrrev_b32_e32 v11, v12, v14
	v_lshlrev_b32_e32 v12, v12, v11
	v_cmp_ne_u32_e32 vcc, v12, v14
	v_cndmask_b32_e64 v12, 0, 1, vcc
	v_or_b32_e32 v11, v11, v12
	v_cmp_gt_i32_e32 vcc, 1, v13
	v_cndmask_b32_e32 v11, v15, v11, vcc
	v_and_b32_e32 v12, 7, v11
	v_cmp_lt_i32_e32 vcc, 5, v12
	v_cndmask_b32_e64 v14, 0, 1, vcc
	v_cmp_eq_u32_e32 vcc, 3, v12
	v_cndmask_b32_e64 v12, 0, 1, vcc
	v_lshrrev_b32_e32 v11, 2, v11
	v_or_b32_e32 v12, v12, v14
	v_add_u32_e32 v11, v11, v12
	v_cmp_gt_i32_e32 vcc, 31, v13
	v_cndmask_b32_e32 v5, v5, v11, vcc
	v_cmp_eq_u32_e32 vcc, s11, v13
	v_lshrrev_b32_e32 v10, 16, v10
	v_cndmask_b32_e32 v5, v5, v9, vcc
	v_and_or_b32 v5, v10, s16, v5
	s_mov_b64 s[0:1], 0
	s_branch .LBB151_2749
.LBB151_2741:
	s_mov_b64 s[0:1], -1
                                        ; implicit-def: $vgpr5
	s_branch .LBB151_2752
.LBB151_2742:
	s_mov_b64 s[0:1], -1
                                        ; implicit-def: $vgpr5
.LBB151_2743:
	s_mov_b64 s[24:25], 0
.LBB151_2744:
	s_and_b64 vcc, exec, s[24:25]
	s_cbranch_vccz .LBB151_2746
; %bb.2745:
	s_cmp_lg_u32 s28, 11
	s_mov_b64 s[10:11], -1
	s_cselect_b64 s[0:1], -1, 0
.LBB151_2746:
	v_mov_b32_e32 v9, 0
	s_and_b64 vcc, exec, s[0:1]
	s_cbranch_vccz .LBB151_2700
.LBB151_2747:
	s_trap 2
	s_or_b64 s[4:5], s[4:5], exec
	s_cbranch_execz .LBB151_2701
	s_branch .LBB151_2702
.LBB151_2748:
	s_mov_b64 s[0:1], -1
                                        ; implicit-def: $vgpr5
.LBB151_2749:
	s_andn2_b64 vcc, exec, s[0:1]
	s_cbranch_vccnz .LBB151_2751
; %bb.2750:
	global_load_dword v5, v[7:8], off
	s_waitcnt vmcnt(0)
	v_cvt_f16_f32_e32 v5, v5
.LBB151_2751:
	s_mov_b64 s[0:1], 0
.LBB151_2752:
	s_andn2_b64 vcc, exec, s[0:1]
	s_cbranch_vccnz .LBB151_2754
; %bb.2753:
	global_load_ushort v5, v[7:8], off
.LBB151_2754:
	v_mov_b32_e32 v9, 0
.LBB151_2755:
	s_mov_b64 s[0:1], 0
.LBB151_2756:
	s_andn2_b64 vcc, exec, s[0:1]
	s_cbranch_vccnz .LBB151_2777
; %bb.2757:
	s_cmp_lt_i32 s10, 2
	s_cbranch_scc1 .LBB151_2761
; %bb.2758:
	s_cmp_lt_i32 s10, 3
	s_cbranch_scc1 .LBB151_2762
; %bb.2759:
	s_cmp_gt_i32 s10, 3
	s_cbranch_scc0 .LBB151_2763
; %bb.2760:
	global_load_dwordx2 v[9:10], v[7:8], off
	s_mov_b64 s[0:1], 0
	s_waitcnt vmcnt(0)
	v_xor_b32_e32 v11, v9, v10
	v_ffbh_i32_e32 v5, v10
	v_ashrrev_i32_e32 v11, 31, v11
	v_add_u32_e32 v5, -1, v5
	v_add_u32_e32 v11, 32, v11
	v_min_u32_e32 v5, v5, v11
	v_lshlrev_b64 v[9:10], v5, v[9:10]
	v_sub_u32_e32 v5, 32, v5
	v_min_u32_e32 v9, 1, v9
	v_or_b32_e32 v9, v10, v9
	v_cvt_f32_i32_e32 v9, v9
	v_ldexp_f32 v5, v9, v5
	v_cvt_f16_f32_e32 v5, v5
	s_branch .LBB151_2764
.LBB151_2761:
	s_mov_b64 s[0:1], -1
                                        ; implicit-def: $vgpr5
	s_branch .LBB151_2770
.LBB151_2762:
	s_mov_b64 s[0:1], -1
                                        ; implicit-def: $vgpr5
	s_branch .LBB151_2767
.LBB151_2763:
	s_mov_b64 s[0:1], -1
                                        ; implicit-def: $vgpr5
.LBB151_2764:
	s_andn2_b64 vcc, exec, s[0:1]
	s_cbranch_vccnz .LBB151_2766
; %bb.2765:
	global_load_dword v5, v[7:8], off
	s_waitcnt vmcnt(0)
	v_cvt_f32_i32_e32 v5, v5
	v_cvt_f16_f32_e32 v5, v5
.LBB151_2766:
	s_mov_b64 s[0:1], 0
.LBB151_2767:
	s_andn2_b64 vcc, exec, s[0:1]
	s_cbranch_vccnz .LBB151_2769
; %bb.2768:
	global_load_ushort v5, v[7:8], off
	s_waitcnt vmcnt(0)
	v_cvt_f16_i16_e32 v5, v5
.LBB151_2769:
	s_mov_b64 s[0:1], 0
.LBB151_2770:
	s_andn2_b64 vcc, exec, s[0:1]
	s_cbranch_vccnz .LBB151_2776
; %bb.2771:
	s_cmp_gt_i32 s10, 0
	s_cbranch_scc0 .LBB151_2773
; %bb.2772:
	global_load_sbyte v5, v[7:8], off
	s_mov_b64 s[0:1], 0
	s_waitcnt vmcnt(0)
	v_cvt_f16_i16_e32 v5, v5
	s_branch .LBB151_2774
.LBB151_2773:
	s_mov_b64 s[0:1], -1
                                        ; implicit-def: $vgpr5
.LBB151_2774:
	s_andn2_b64 vcc, exec, s[0:1]
	s_cbranch_vccnz .LBB151_2776
; %bb.2775:
	global_load_ubyte v5, v[7:8], off
	s_waitcnt vmcnt(0)
	v_cvt_f16_u16_e32 v5, v5
.LBB151_2776:
	v_mov_b32_e32 v9, 0
.LBB151_2777:
	s_mov_b64 s[16:17], -1
.LBB151_2778:
	s_andn2_b64 vcc, exec, s[16:17]
	s_cbranch_vccnz .LBB151_2781
; %bb.2779:
	s_and_b64 vcc, exec, s[18:19]
	s_cbranch_vccz .LBB151_2827
; %bb.2780:
	s_waitcnt vmcnt(0)
	v_cmp_neq_f16_e32 vcc, v1, v5
	v_cmp_neq_f16_e64 s[0:1], v3, v9
	s_or_b64 s[10:11], vcc, s[0:1]
	s_mov_b64 s[0:1], 0
	s_branch .LBB151_2828
.LBB151_2781:
	s_mov_b64 s[0:1], 0
                                        ; implicit-def: $sgpr10_sgpr11
.LBB151_2782:
                                        ; implicit-def: $vgpr0_vgpr1
                                        ; implicit-def: $sgpr26
	s_mov_b64 s[2:3], 0
.LBB151_2783:
	s_and_b64 s[6:7], s[2:3], exec
	s_andn2_b64 s[2:3], s[12:13], exec
	s_and_b64 s[4:5], s[4:5], exec
	s_and_b64 s[0:1], s[0:1], exec
	s_or_b64 s[12:13], s[2:3], s[4:5]
.LBB151_2784:
	s_or_b64 exec, exec, s[14:15]
	s_and_saveexec_b64 s[2:3], s[12:13]
	s_cbranch_execz .LBB151_2787
; %bb.2785:
	; divergent unreachable
	s_or_b64 exec, exec, s[2:3]
	s_and_saveexec_b64 s[2:3], s[6:7]
	s_xor_b64 s[2:3], exec, s[2:3]
	s_cbranch_execnz .LBB151_2788
.LBB151_2786:
	s_or_b64 exec, exec, s[2:3]
	s_and_saveexec_b64 s[2:3], s[0:1]
	s_cbranch_execnz .LBB151_2789
	s_branch .LBB151_2826
.LBB151_2787:
	s_or_b64 exec, exec, s[2:3]
	s_and_saveexec_b64 s[2:3], s[6:7]
	s_xor_b64 s[2:3], exec, s[2:3]
	s_cbranch_execz .LBB151_2786
.LBB151_2788:
	v_cndmask_b32_e64 v2, 0, 1, s[10:11]
	s_waitcnt vmcnt(0)
	global_store_byte v[0:1], v2, off
	s_or_b64 exec, exec, s[2:3]
	s_and_saveexec_b64 s[2:3], s[0:1]
	s_cbranch_execz .LBB151_2826
.LBB151_2789:
	s_sext_i32_i16 s2, s26
	s_cmp_lt_i32 s2, 5
	s_mov_b64 s[0:1], -1
	s_cbranch_scc1 .LBB151_2810
; %bb.2790:
	s_cmp_lt_i32 s2, 8
	s_cbranch_scc1 .LBB151_2800
; %bb.2791:
	s_cmp_lt_i32 s2, 9
	s_cbranch_scc1 .LBB151_2797
; %bb.2792:
	s_cmp_gt_i32 s2, 9
	s_cbranch_scc0 .LBB151_2794
; %bb.2793:
	v_cndmask_b32_e64 v2, 0, 1, s[10:11]
	s_waitcnt vmcnt(0)
	v_cvt_f64_u32_e32 v[2:3], v2
	v_mov_b32_e32 v4, 0
	v_mov_b32_e32 v5, v4
	s_mov_b64 s[0:1], 0
	global_store_dwordx4 v[0:1], v[2:5], off
.LBB151_2794:
	s_andn2_b64 vcc, exec, s[0:1]
	s_cbranch_vccnz .LBB151_2796
; %bb.2795:
	v_cndmask_b32_e64 v2, 0, 1.0, s[10:11]
	s_waitcnt vmcnt(0)
	v_mov_b32_e32 v3, 0
	global_store_dwordx2 v[0:1], v[2:3], off
.LBB151_2796:
	s_mov_b64 s[0:1], 0
.LBB151_2797:
	s_andn2_b64 vcc, exec, s[0:1]
	s_cbranch_vccnz .LBB151_2799
; %bb.2798:
	v_cndmask_b32_e64 v2, 0, 1.0, s[10:11]
	v_cvt_f16_f32_e32 v2, v2
	s_waitcnt vmcnt(0)
	global_store_dword v[0:1], v2, off
.LBB151_2799:
	s_mov_b64 s[0:1], 0
.LBB151_2800:
	s_andn2_b64 vcc, exec, s[0:1]
	s_cbranch_vccnz .LBB151_2809
; %bb.2801:
	s_sext_i32_i16 s2, s26
	s_cmp_lt_i32 s2, 6
	s_mov_b64 s[0:1], -1
	s_cbranch_scc1 .LBB151_2807
; %bb.2802:
	s_cmp_gt_i32 s2, 6
	s_cbranch_scc0 .LBB151_2804
; %bb.2803:
	v_cndmask_b32_e64 v2, 0, 1, s[10:11]
	s_waitcnt vmcnt(0)
	v_cvt_f64_u32_e32 v[2:3], v2
	s_mov_b64 s[0:1], 0
	global_store_dwordx2 v[0:1], v[2:3], off
.LBB151_2804:
	s_andn2_b64 vcc, exec, s[0:1]
	s_cbranch_vccnz .LBB151_2806
; %bb.2805:
	v_cndmask_b32_e64 v2, 0, 1.0, s[10:11]
	s_waitcnt vmcnt(0)
	global_store_dword v[0:1], v2, off
.LBB151_2806:
	s_mov_b64 s[0:1], 0
.LBB151_2807:
	s_andn2_b64 vcc, exec, s[0:1]
	s_cbranch_vccnz .LBB151_2809
; %bb.2808:
	v_cndmask_b32_e64 v2, 0, 1.0, s[10:11]
	v_cvt_f16_f32_e32 v2, v2
	s_waitcnt vmcnt(0)
	global_store_short v[0:1], v2, off
.LBB151_2809:
	s_mov_b64 s[0:1], 0
.LBB151_2810:
	s_andn2_b64 vcc, exec, s[0:1]
	s_cbranch_vccnz .LBB151_2826
; %bb.2811:
	s_sext_i32_i16 s2, s26
	s_cmp_lt_i32 s2, 2
	s_mov_b64 s[0:1], -1
	s_cbranch_scc1 .LBB151_2821
; %bb.2812:
	s_cmp_lt_i32 s2, 3
	s_cbranch_scc1 .LBB151_2818
; %bb.2813:
	s_cmp_gt_i32 s2, 3
	s_cbranch_scc0 .LBB151_2815
; %bb.2814:
	s_mov_b32 s0, 0
	v_cndmask_b32_e64 v2, 0, 1, s[10:11]
	s_waitcnt vmcnt(0)
	v_mov_b32_e32 v3, s0
	global_store_dwordx2 v[0:1], v[2:3], off
	s_mov_b64 s[0:1], 0
.LBB151_2815:
	s_andn2_b64 vcc, exec, s[0:1]
	s_cbranch_vccnz .LBB151_2817
; %bb.2816:
	v_cndmask_b32_e64 v2, 0, 1, s[10:11]
	s_waitcnt vmcnt(0)
	global_store_dword v[0:1], v2, off
.LBB151_2817:
	s_mov_b64 s[0:1], 0
.LBB151_2818:
	s_andn2_b64 vcc, exec, s[0:1]
	s_cbranch_vccnz .LBB151_2820
; %bb.2819:
	v_cndmask_b32_e64 v2, 0, 1, s[10:11]
	s_waitcnt vmcnt(0)
	global_store_short v[0:1], v2, off
.LBB151_2820:
	s_mov_b64 s[0:1], 0
.LBB151_2821:
	s_andn2_b64 vcc, exec, s[0:1]
	s_cbranch_vccnz .LBB151_2826
; %bb.2822:
	s_sext_i32_i16 s0, s26
	s_cmp_gt_i32 s0, 0
	s_mov_b64 s[0:1], -1
	s_cbranch_scc0 .LBB151_2824
; %bb.2823:
	v_cndmask_b32_e64 v2, 0, 1, s[10:11]
	s_waitcnt vmcnt(0)
	global_store_byte v[0:1], v2, off
	s_mov_b64 s[0:1], 0
.LBB151_2824:
	s_andn2_b64 vcc, exec, s[0:1]
	s_cbranch_vccnz .LBB151_2826
; %bb.2825:
	v_cndmask_b32_e64 v2, 0, 1, s[10:11]
	s_waitcnt vmcnt(0)
	global_store_byte v[0:1], v2, off
	s_endpgm
.LBB151_2826:
	s_endpgm
.LBB151_2827:
	s_mov_b64 s[0:1], -1
                                        ; implicit-def: $sgpr10_sgpr11
.LBB151_2828:
	s_andn2_b64 vcc, exec, s[0:1]
	s_cbranch_vccnz .LBB151_2830
; %bb.2829:
	s_waitcnt vmcnt(0)
	v_cmp_eq_f16_e32 vcc, v1, v5
	v_cmp_eq_f16_e64 s[0:1], v3, v9
	s_and_b64 s[0:1], vcc, s[0:1]
	s_andn2_b64 s[10:11], s[10:11], exec
	s_and_b64 s[0:1], s[0:1], exec
	s_or_b64 s[10:11], s[10:11], s[0:1]
.LBB151_2830:
	s_load_dword s0, s[2:3], 0x1a4
	v_mov_b32_e32 v1, s9
	s_waitcnt vmcnt(0)
	v_add_co_u32_e32 v5, vcc, s8, v6
	v_addc_co_u32_e32 v6, vcc, 0, v1, vcc
	s_waitcnt lgkmcnt(0)
	s_and_b32 s26, s0, 0xff
	s_cmp_lt_i32 s26, 11
	s_cbranch_scc1 .LBB151_2908
; %bb.2831:
	s_and_b32 s27, 0xffff, s26
	s_mov_b64 s[18:19], -1
	s_mov_b64 s[2:3], 0
	s_cmp_gt_i32 s27, 25
	s_mov_b64 s[16:17], 0
	s_mov_b64 s[0:1], 0
	s_cbranch_scc0 .LBB151_2864
; %bb.2832:
	s_cmp_gt_i32 s27, 28
	s_cbranch_scc0 .LBB151_2847
; %bb.2833:
	s_cmp_gt_i32 s27, 43
	;; [unrolled: 3-line block ×3, first 2 shown]
	s_cbranch_scc0 .LBB151_2837
; %bb.2835:
	s_mov_b64 s[0:1], -1
	s_mov_b64 s[18:19], 0
	s_cmp_eq_u32 s27, 46
	s_cbranch_scc0 .LBB151_2837
; %bb.2836:
	v_cndmask_b32_e64 v1, 0, 1.0, s[6:7]
	v_bfe_u32 v3, v1, 16, 1
	s_movk_i32 s0, 0x7fff
	v_add3_u32 v1, v1, v3, s0
	v_lshrrev_b32_e32 v1, 16, v1
	global_store_dword v[5:6], v1, off
	s_mov_b64 s[0:1], 0
	s_mov_b64 s[16:17], -1
.LBB151_2837:
	s_and_b64 vcc, exec, s[18:19]
	s_cbranch_vccz .LBB151_2842
; %bb.2838:
	s_cmp_eq_u32 s27, 44
	s_mov_b64 s[0:1], -1
	s_cbranch_scc0 .LBB151_2842
; %bb.2839:
	v_cndmask_b32_e64 v3, 0, 1.0, s[6:7]
	v_lshrrev_b32_e32 v1, 23, v3
	s_movk_i32 s0, 0xff
	v_cmp_ne_u32_e32 vcc, s0, v1
	v_mov_b32_e32 v7, 0xff
	s_and_saveexec_b64 s[16:17], vcc
; %bb.2840:
	s_mov_b32 s0, 0x3fffff
	v_and_b32_e32 v7, 0x400000, v3
	v_and_or_b32 v3, v3, s0, v1
	v_cmp_ne_u32_e32 vcc, 0, v7
	v_cmp_ne_u32_e64 s[0:1], 0, v3
	s_and_b64 s[0:1], vcc, s[0:1]
	v_cndmask_b32_e64 v3, 0, 1, s[0:1]
	v_add_u32_e32 v7, v1, v3
; %bb.2841:
	s_or_b64 exec, exec, s[16:17]
	s_mov_b64 s[0:1], 0
	s_mov_b64 s[16:17], -1
	global_store_byte v[5:6], v7, off
.LBB151_2842:
	s_mov_b64 s[18:19], 0
.LBB151_2843:
	s_and_b64 vcc, exec, s[18:19]
	s_cbranch_vccz .LBB151_2846
; %bb.2844:
	s_cmp_eq_u32 s27, 29
	s_mov_b64 s[0:1], -1
	s_cbranch_scc0 .LBB151_2846
; %bb.2845:
	s_mov_b32 s0, 0
	v_cndmask_b32_e64 v7, 0, 1, s[6:7]
	v_mov_b32_e32 v8, s0
	global_store_dwordx2 v[5:6], v[7:8], off
	s_mov_b64 s[0:1], 0
	s_mov_b64 s[16:17], -1
.LBB151_2846:
	s_mov_b64 s[18:19], 0
.LBB151_2847:
	s_and_b64 vcc, exec, s[18:19]
	s_cbranch_vccz .LBB151_2863
; %bb.2848:
	s_cmp_lt_i32 s27, 27
	s_mov_b64 s[16:17], -1
	s_cbranch_scc1 .LBB151_2854
; %bb.2849:
	s_cmp_gt_i32 s27, 27
	s_cbranch_scc0 .LBB151_2851
; %bb.2850:
	v_cndmask_b32_e64 v1, 0, 1, s[6:7]
	s_mov_b64 s[16:17], 0
	global_store_dword v[5:6], v1, off
.LBB151_2851:
	s_andn2_b64 vcc, exec, s[16:17]
	s_cbranch_vccnz .LBB151_2853
; %bb.2852:
	v_cndmask_b32_e64 v1, 0, 1, s[6:7]
	global_store_short v[5:6], v1, off
.LBB151_2853:
	s_mov_b64 s[16:17], 0
.LBB151_2854:
	s_andn2_b64 vcc, exec, s[16:17]
	s_cbranch_vccnz .LBB151_2862
; %bb.2855:
	v_cndmask_b32_e64 v3, 0, 1.0, s[6:7]
	s_mov_b32 s16, 0x43800000
	v_cmp_gt_u32_e32 vcc, s16, v3
	v_mov_b32_e32 v7, 0x80
	s_and_saveexec_b64 s[16:17], vcc
	s_cbranch_execz .LBB151_2861
; %bb.2856:
	s_mov_b32 s18, 0x3bffffff
	v_cmp_lt_u32_e32 vcc, s18, v3
	s_mov_b64 s[18:19], 0
                                        ; implicit-def: $vgpr1
	s_and_saveexec_b64 s[24:25], vcc
	s_xor_b64 s[24:25], exec, s[24:25]
	s_cbranch_execz .LBB151_3265
; %bb.2857:
	v_bfe_u32 v1, v3, 20, 1
	s_mov_b32 s28, 0x487ffff
	v_add3_u32 v1, v3, v1, s28
	s_mov_b64 s[18:19], exec
	v_lshrrev_b32_e32 v1, 20, v1
                                        ; implicit-def: $vgpr3
	s_andn2_saveexec_b64 s[24:25], s[24:25]
	s_cbranch_execnz .LBB151_3266
.LBB151_2858:
	s_or_b64 exec, exec, s[24:25]
	v_mov_b32_e32 v7, 0
	s_and_saveexec_b64 s[24:25], s[18:19]
.LBB151_2859:
	v_mov_b32_e32 v7, v1
.LBB151_2860:
	s_or_b64 exec, exec, s[24:25]
.LBB151_2861:
	s_or_b64 exec, exec, s[16:17]
	global_store_byte v[5:6], v7, off
.LBB151_2862:
	s_mov_b64 s[16:17], -1
.LBB151_2863:
	s_mov_b64 s[18:19], 0
.LBB151_2864:
	s_and_b64 vcc, exec, s[18:19]
	s_cbranch_vccz .LBB151_2904
; %bb.2865:
	s_cmp_gt_i32 s27, 22
	s_mov_b64 s[2:3], -1
	s_cbranch_scc0 .LBB151_2897
; %bb.2866:
	s_cmp_lt_i32 s27, 24
	s_cbranch_scc1 .LBB151_2886
; %bb.2867:
	s_cmp_gt_i32 s27, 24
	s_cbranch_scc0 .LBB151_2875
; %bb.2868:
	v_cndmask_b32_e64 v3, 0, 1.0, s[6:7]
	s_mov_b32 s2, 0x47800000
	v_cmp_gt_u32_e32 vcc, s2, v3
	v_mov_b32_e32 v7, 0x80
	s_and_saveexec_b64 s[2:3], vcc
	s_cbranch_execz .LBB151_2874
; %bb.2869:
	s_mov_b32 s16, 0x37ffffff
	v_cmp_lt_u32_e32 vcc, s16, v3
	s_mov_b64 s[16:17], 0
                                        ; implicit-def: $vgpr1
	s_and_saveexec_b64 s[18:19], vcc
	s_xor_b64 s[18:19], exec, s[18:19]
	s_cbranch_execz .LBB151_3268
; %bb.2870:
	v_bfe_u32 v1, v3, 21, 1
	s_mov_b32 s24, 0x88fffff
	v_add3_u32 v1, v3, v1, s24
	s_mov_b64 s[16:17], exec
	v_lshrrev_b32_e32 v1, 21, v1
                                        ; implicit-def: $vgpr3
	s_andn2_saveexec_b64 s[18:19], s[18:19]
	s_cbranch_execnz .LBB151_3269
.LBB151_2871:
	s_or_b64 exec, exec, s[18:19]
	v_mov_b32_e32 v7, 0
	s_and_saveexec_b64 s[18:19], s[16:17]
.LBB151_2872:
	v_mov_b32_e32 v7, v1
.LBB151_2873:
	s_or_b64 exec, exec, s[18:19]
.LBB151_2874:
	s_or_b64 exec, exec, s[2:3]
	s_mov_b64 s[2:3], 0
	global_store_byte v[5:6], v7, off
.LBB151_2875:
	s_and_b64 vcc, exec, s[2:3]
	s_cbranch_vccz .LBB151_2885
; %bb.2876:
	v_cndmask_b32_e64 v1, 0, 1.0, s[6:7]
	s_mov_b32 s2, 0x43f00000
	v_cmp_gt_u32_e32 vcc, s2, v1
                                        ; implicit-def: $vgpr3
	s_and_saveexec_b64 s[2:3], vcc
	s_xor_b64 s[2:3], exec, s[2:3]
	s_cbranch_execz .LBB151_2882
; %bb.2877:
	s_mov_b32 s16, 0x3c7fffff
	v_cmp_lt_u32_e32 vcc, s16, v1
                                        ; implicit-def: $vgpr3
	s_and_saveexec_b64 s[16:17], vcc
	s_xor_b64 s[16:17], exec, s[16:17]
; %bb.2878:
	v_bfe_u32 v3, v1, 20, 1
	s_mov_b32 s18, 0x407ffff
	v_add3_u32 v1, v1, v3, s18
	v_lshrrev_b32_e32 v3, 20, v1
	v_and_b32_e32 v1, 0xff00000, v1
	s_mov_b32 s18, 0x7f00000
	v_mov_b32_e32 v7, 0x7e
	v_cmp_ne_u32_e32 vcc, s18, v1
	v_cndmask_b32_e32 v3, v7, v3, vcc
                                        ; implicit-def: $vgpr1
; %bb.2879:
	s_andn2_saveexec_b64 s[16:17], s[16:17]
; %bb.2880:
	v_add_f32_e32 v3, 0x46800000, v1
; %bb.2881:
	s_or_b64 exec, exec, s[16:17]
                                        ; implicit-def: $vgpr1
.LBB151_2882:
	s_andn2_saveexec_b64 s[2:3], s[2:3]
; %bb.2883:
	s_mov_b32 s16, 0x7f800000
	v_mov_b32_e32 v3, 0x7e
	v_mov_b32_e32 v7, 0x7f
	v_cmp_lt_u32_e32 vcc, s16, v1
	v_cndmask_b32_e32 v3, v3, v7, vcc
; %bb.2884:
	s_or_b64 exec, exec, s[2:3]
	global_store_byte v[5:6], v3, off
.LBB151_2885:
	s_mov_b64 s[2:3], 0
.LBB151_2886:
	s_andn2_b64 vcc, exec, s[2:3]
	s_cbranch_vccnz .LBB151_2896
; %bb.2887:
	v_cndmask_b32_e64 v1, 0, 1.0, s[6:7]
	s_mov_b32 s2, 0x47800000
	v_cmp_gt_u32_e32 vcc, s2, v1
                                        ; implicit-def: $vgpr3
	s_and_saveexec_b64 s[2:3], vcc
	s_xor_b64 s[2:3], exec, s[2:3]
	s_cbranch_execz .LBB151_2893
; %bb.2888:
	s_mov_b32 s16, 0x387fffff
	v_cmp_lt_u32_e32 vcc, s16, v1
                                        ; implicit-def: $vgpr3
	s_and_saveexec_b64 s[16:17], vcc
	s_xor_b64 s[16:17], exec, s[16:17]
; %bb.2889:
	v_bfe_u32 v3, v1, 21, 1
	s_mov_b32 s18, 0x80fffff
	v_add3_u32 v1, v1, v3, s18
	v_lshrrev_b32_e32 v3, 21, v1
                                        ; implicit-def: $vgpr1
; %bb.2890:
	s_andn2_saveexec_b64 s[16:17], s[16:17]
; %bb.2891:
	v_add_f32_e32 v3, 0x43000000, v1
; %bb.2892:
	s_or_b64 exec, exec, s[16:17]
                                        ; implicit-def: $vgpr1
.LBB151_2893:
	s_andn2_saveexec_b64 s[2:3], s[2:3]
; %bb.2894:
	s_mov_b32 s16, 0x7f800000
	v_mov_b32_e32 v3, 0x7c
	v_mov_b32_e32 v7, 0x7f
	v_cmp_lt_u32_e32 vcc, s16, v1
	v_cndmask_b32_e32 v3, v3, v7, vcc
; %bb.2895:
	s_or_b64 exec, exec, s[2:3]
	global_store_byte v[5:6], v3, off
.LBB151_2896:
	s_mov_b64 s[2:3], 0
	s_mov_b64 s[16:17], -1
.LBB151_2897:
	s_andn2_b64 vcc, exec, s[2:3]
	s_mov_b64 s[2:3], 0
	s_cbranch_vccnz .LBB151_2904
; %bb.2898:
	s_cmp_gt_i32 s27, 14
	s_mov_b64 s[18:19], -1
	s_cbranch_scc0 .LBB151_2902
; %bb.2899:
	s_cmp_eq_u32 s27, 15
	s_mov_b64 s[0:1], -1
	s_cbranch_scc0 .LBB151_2901
; %bb.2900:
	v_cndmask_b32_e64 v1, 0, 1.0, s[6:7]
	v_bfe_u32 v3, v1, 16, 1
	s_movk_i32 s0, 0x7fff
	v_add3_u32 v1, v1, v3, s0
	global_store_short_d16_hi v[5:6], v1, off
	s_mov_b64 s[0:1], 0
	s_mov_b64 s[16:17], -1
.LBB151_2901:
	s_mov_b64 s[18:19], 0
.LBB151_2902:
	s_and_b64 vcc, exec, s[18:19]
	s_cbranch_vccz .LBB151_2904
; %bb.2903:
	s_cmp_lg_u32 s27, 11
	s_mov_b64 s[2:3], -1
	s_cselect_b64 s[0:1], -1, 0
.LBB151_2904:
	s_and_b64 vcc, exec, s[0:1]
	s_cbranch_vccnz .LBB151_3267
; %bb.2905:
	s_andn2_b64 vcc, exec, s[2:3]
	s_cbranch_vccnz .LBB151_2907
.LBB151_2906:
	v_cndmask_b32_e64 v1, 0, 1, s[6:7]
	s_mov_b64 s[16:17], -1
	global_store_byte v[5:6], v1, off
.LBB151_2907:
	s_mov_b64 s[0:1], 0
	s_branch .LBB151_2909
.LBB151_2908:
	s_mov_b64 s[0:1], -1
	s_mov_b64 s[16:17], 0
.LBB151_2909:
	s_and_b64 vcc, exec, s[0:1]
	s_cbranch_vccz .LBB151_2948
; %bb.2910:
	s_and_b32 s2, 0xffff, s26
	s_cmp_lt_i32 s2, 5
	s_mov_b64 s[0:1], -1
	s_cbranch_scc1 .LBB151_2931
; %bb.2911:
	s_cmp_lt_i32 s2, 8
	s_cbranch_scc1 .LBB151_2921
; %bb.2912:
	s_cmp_lt_i32 s2, 9
	s_cbranch_scc1 .LBB151_2918
; %bb.2913:
	s_cmp_gt_i32 s2, 9
	s_cbranch_scc0 .LBB151_2915
; %bb.2914:
	v_cndmask_b32_e64 v1, 0, 1, s[6:7]
	v_cvt_f64_u32_e32 v[7:8], v1
	v_mov_b32_e32 v9, 0
	v_mov_b32_e32 v10, v9
	s_mov_b64 s[0:1], 0
	global_store_dwordx4 v[5:6], v[7:10], off
.LBB151_2915:
	s_andn2_b64 vcc, exec, s[0:1]
	s_cbranch_vccnz .LBB151_2917
; %bb.2916:
	v_cndmask_b32_e64 v7, 0, 1.0, s[6:7]
	v_mov_b32_e32 v8, 0
	global_store_dwordx2 v[5:6], v[7:8], off
.LBB151_2917:
	s_mov_b64 s[0:1], 0
.LBB151_2918:
	s_andn2_b64 vcc, exec, s[0:1]
	s_cbranch_vccnz .LBB151_2920
; %bb.2919:
	v_cndmask_b32_e64 v1, 0, 1.0, s[6:7]
	v_cvt_f16_f32_e32 v1, v1
	global_store_dword v[5:6], v1, off
.LBB151_2920:
	s_mov_b64 s[0:1], 0
.LBB151_2921:
	s_andn2_b64 vcc, exec, s[0:1]
	s_cbranch_vccnz .LBB151_2930
; %bb.2922:
	s_cmp_lt_i32 s2, 6
	s_mov_b64 s[0:1], -1
	s_cbranch_scc1 .LBB151_2928
; %bb.2923:
	s_cmp_gt_i32 s2, 6
	s_cbranch_scc0 .LBB151_2925
; %bb.2924:
	v_cndmask_b32_e64 v1, 0, 1, s[6:7]
	v_cvt_f64_u32_e32 v[7:8], v1
	s_mov_b64 s[0:1], 0
	global_store_dwordx2 v[5:6], v[7:8], off
.LBB151_2925:
	s_andn2_b64 vcc, exec, s[0:1]
	s_cbranch_vccnz .LBB151_2927
; %bb.2926:
	v_cndmask_b32_e64 v1, 0, 1.0, s[6:7]
	global_store_dword v[5:6], v1, off
.LBB151_2927:
	s_mov_b64 s[0:1], 0
.LBB151_2928:
	s_andn2_b64 vcc, exec, s[0:1]
	s_cbranch_vccnz .LBB151_2930
; %bb.2929:
	v_cndmask_b32_e64 v1, 0, 1.0, s[6:7]
	v_cvt_f16_f32_e32 v1, v1
	global_store_short v[5:6], v1, off
.LBB151_2930:
	s_mov_b64 s[0:1], 0
.LBB151_2931:
	s_andn2_b64 vcc, exec, s[0:1]
	s_cbranch_vccnz .LBB151_2947
; %bb.2932:
	s_cmp_lt_i32 s2, 2
	s_mov_b64 s[0:1], -1
	s_cbranch_scc1 .LBB151_2942
; %bb.2933:
	s_cmp_lt_i32 s2, 3
	s_cbranch_scc1 .LBB151_2939
; %bb.2934:
	s_cmp_gt_i32 s2, 3
	s_cbranch_scc0 .LBB151_2936
; %bb.2935:
	s_mov_b32 s0, 0
	v_cndmask_b32_e64 v7, 0, 1, s[6:7]
	v_mov_b32_e32 v8, s0
	global_store_dwordx2 v[5:6], v[7:8], off
	s_mov_b64 s[0:1], 0
.LBB151_2936:
	s_andn2_b64 vcc, exec, s[0:1]
	s_cbranch_vccnz .LBB151_2938
; %bb.2937:
	v_cndmask_b32_e64 v1, 0, 1, s[6:7]
	global_store_dword v[5:6], v1, off
.LBB151_2938:
	s_mov_b64 s[0:1], 0
.LBB151_2939:
	s_andn2_b64 vcc, exec, s[0:1]
	s_cbranch_vccnz .LBB151_2941
; %bb.2940:
	v_cndmask_b32_e64 v1, 0, 1, s[6:7]
	global_store_short v[5:6], v1, off
.LBB151_2941:
	s_mov_b64 s[0:1], 0
.LBB151_2942:
	s_andn2_b64 vcc, exec, s[0:1]
	s_cbranch_vccnz .LBB151_2947
; %bb.2943:
	s_mov_b64 s[0:1], -1
	s_cmp_gt_i32 s2, 0
	v_cndmask_b32_e64 v1, 0, 1, s[6:7]
	s_cbranch_scc0 .LBB151_2945
; %bb.2944:
	global_store_byte v[5:6], v1, off
	s_mov_b64 s[0:1], 0
.LBB151_2945:
	s_andn2_b64 vcc, exec, s[0:1]
	s_cbranch_vccnz .LBB151_2947
; %bb.2946:
	global_store_byte v[5:6], v1, off
.LBB151_2947:
	s_mov_b64 s[16:17], -1
.LBB151_2948:
	s_andn2_b64 vcc, exec, s[16:17]
	s_cbranch_vccnz .LBB151_3263
; %bb.2949:
	v_mov_b32_e32 v1, s9
	s_and_b32 s24, 0xffff, s26
	v_add_co_u32_e32 v3, vcc, s8, v4
	s_cmp_lt_i32 s24, 11
	v_addc_co_u32_e32 v4, vcc, 0, v1, vcc
	s_cbranch_scc1 .LBB151_3027
; %bb.2950:
	s_mov_b64 s[16:17], -1
	s_mov_b64 s[2:3], 0
	s_cmp_gt_i32 s24, 25
	s_mov_b64 s[6:7], 0
	s_mov_b64 s[0:1], 0
	s_cbranch_scc0 .LBB151_2983
; %bb.2951:
	s_cmp_gt_i32 s24, 28
	s_cbranch_scc0 .LBB151_2966
; %bb.2952:
	s_cmp_gt_i32 s24, 43
	;; [unrolled: 3-line block ×3, first 2 shown]
	s_cbranch_scc0 .LBB151_2956
; %bb.2954:
	s_mov_b64 s[0:1], -1
	s_mov_b64 s[16:17], 0
	s_cmp_eq_u32 s24, 46
	s_cbranch_scc0 .LBB151_2956
; %bb.2955:
	v_cndmask_b32_e64 v1, 0, 1.0, s[20:21]
	v_bfe_u32 v5, v1, 16, 1
	s_movk_i32 s0, 0x7fff
	v_add3_u32 v1, v1, v5, s0
	v_lshrrev_b32_e32 v1, 16, v1
	global_store_dword v[3:4], v1, off
	s_mov_b64 s[0:1], 0
	s_mov_b64 s[6:7], -1
.LBB151_2956:
	s_and_b64 vcc, exec, s[16:17]
	s_cbranch_vccz .LBB151_2961
; %bb.2957:
	s_cmp_eq_u32 s24, 44
	s_mov_b64 s[0:1], -1
	s_cbranch_scc0 .LBB151_2961
; %bb.2958:
	v_cndmask_b32_e64 v5, 0, 1.0, s[20:21]
	v_lshrrev_b32_e32 v1, 23, v5
	s_movk_i32 s0, 0xff
	v_cmp_ne_u32_e32 vcc, s0, v1
	v_mov_b32_e32 v6, 0xff
	s_and_saveexec_b64 s[6:7], vcc
; %bb.2959:
	s_mov_b32 s0, 0x3fffff
	v_and_b32_e32 v6, 0x400000, v5
	v_and_or_b32 v5, v5, s0, v1
	v_cmp_ne_u32_e32 vcc, 0, v6
	v_cmp_ne_u32_e64 s[0:1], 0, v5
	s_and_b64 s[0:1], vcc, s[0:1]
	v_cndmask_b32_e64 v5, 0, 1, s[0:1]
	v_add_u32_e32 v6, v1, v5
; %bb.2960:
	s_or_b64 exec, exec, s[6:7]
	s_mov_b64 s[0:1], 0
	s_mov_b64 s[6:7], -1
	global_store_byte v[3:4], v6, off
.LBB151_2961:
	s_mov_b64 s[16:17], 0
.LBB151_2962:
	s_and_b64 vcc, exec, s[16:17]
	s_cbranch_vccz .LBB151_2965
; %bb.2963:
	s_cmp_eq_u32 s24, 29
	s_mov_b64 s[0:1], -1
	s_cbranch_scc0 .LBB151_2965
; %bb.2964:
	s_mov_b32 s0, 0
	v_cndmask_b32_e64 v5, 0, 1, s[20:21]
	v_mov_b32_e32 v6, s0
	global_store_dwordx2 v[3:4], v[5:6], off
	s_mov_b64 s[0:1], 0
	s_mov_b64 s[6:7], -1
.LBB151_2965:
	s_mov_b64 s[16:17], 0
.LBB151_2966:
	s_and_b64 vcc, exec, s[16:17]
	s_cbranch_vccz .LBB151_2982
; %bb.2967:
	s_cmp_lt_i32 s24, 27
	s_mov_b64 s[6:7], -1
	s_cbranch_scc1 .LBB151_2973
; %bb.2968:
	s_cmp_gt_i32 s24, 27
	s_cbranch_scc0 .LBB151_2970
; %bb.2969:
	v_cndmask_b32_e64 v1, 0, 1, s[20:21]
	s_mov_b64 s[6:7], 0
	global_store_dword v[3:4], v1, off
.LBB151_2970:
	s_andn2_b64 vcc, exec, s[6:7]
	s_cbranch_vccnz .LBB151_2972
; %bb.2971:
	v_cndmask_b32_e64 v1, 0, 1, s[20:21]
	global_store_short v[3:4], v1, off
.LBB151_2972:
	s_mov_b64 s[6:7], 0
.LBB151_2973:
	s_andn2_b64 vcc, exec, s[6:7]
	s_cbranch_vccnz .LBB151_2981
; %bb.2974:
	v_cndmask_b32_e64 v5, 0, 1.0, s[20:21]
	s_mov_b32 s6, 0x43800000
	v_cmp_gt_u32_e32 vcc, s6, v5
	v_mov_b32_e32 v6, 0x80
	s_and_saveexec_b64 s[6:7], vcc
	s_cbranch_execz .LBB151_2980
; %bb.2975:
	s_mov_b32 s16, 0x3bffffff
	v_cmp_lt_u32_e32 vcc, s16, v5
	s_mov_b64 s[16:17], 0
                                        ; implicit-def: $vgpr1
	s_and_saveexec_b64 s[18:19], vcc
	s_xor_b64 s[18:19], exec, s[18:19]
	s_cbranch_execz .LBB151_3270
; %bb.2976:
	v_bfe_u32 v1, v5, 20, 1
	s_mov_b32 s25, 0x487ffff
	v_add3_u32 v1, v5, v1, s25
	s_mov_b64 s[16:17], exec
	v_lshrrev_b32_e32 v1, 20, v1
                                        ; implicit-def: $vgpr5
	s_andn2_saveexec_b64 s[18:19], s[18:19]
	s_cbranch_execnz .LBB151_3271
.LBB151_2977:
	s_or_b64 exec, exec, s[18:19]
	v_mov_b32_e32 v6, 0
	s_and_saveexec_b64 s[18:19], s[16:17]
.LBB151_2978:
	v_mov_b32_e32 v6, v1
.LBB151_2979:
	s_or_b64 exec, exec, s[18:19]
.LBB151_2980:
	s_or_b64 exec, exec, s[6:7]
	global_store_byte v[3:4], v6, off
.LBB151_2981:
	s_mov_b64 s[6:7], -1
.LBB151_2982:
	s_mov_b64 s[16:17], 0
.LBB151_2983:
	s_and_b64 vcc, exec, s[16:17]
	s_cbranch_vccz .LBB151_3023
; %bb.2984:
	s_cmp_gt_i32 s24, 22
	s_mov_b64 s[2:3], -1
	s_cbranch_scc0 .LBB151_3016
; %bb.2985:
	s_cmp_lt_i32 s24, 24
	s_cbranch_scc1 .LBB151_3005
; %bb.2986:
	s_cmp_gt_i32 s24, 24
	s_cbranch_scc0 .LBB151_2994
; %bb.2987:
	v_cndmask_b32_e64 v5, 0, 1.0, s[20:21]
	s_mov_b32 s2, 0x47800000
	v_cmp_gt_u32_e32 vcc, s2, v5
	v_mov_b32_e32 v6, 0x80
	s_and_saveexec_b64 s[2:3], vcc
	s_cbranch_execz .LBB151_2993
; %bb.2988:
	s_mov_b32 s6, 0x37ffffff
	v_cmp_lt_u32_e32 vcc, s6, v5
	s_mov_b64 s[6:7], 0
                                        ; implicit-def: $vgpr1
	s_and_saveexec_b64 s[16:17], vcc
	s_xor_b64 s[16:17], exec, s[16:17]
	s_cbranch_execz .LBB151_3273
; %bb.2989:
	v_bfe_u32 v1, v5, 21, 1
	s_mov_b32 s18, 0x88fffff
	v_add3_u32 v1, v5, v1, s18
	s_mov_b64 s[6:7], exec
	v_lshrrev_b32_e32 v1, 21, v1
                                        ; implicit-def: $vgpr5
	s_andn2_saveexec_b64 s[16:17], s[16:17]
	s_cbranch_execnz .LBB151_3274
.LBB151_2990:
	s_or_b64 exec, exec, s[16:17]
	v_mov_b32_e32 v6, 0
	s_and_saveexec_b64 s[16:17], s[6:7]
.LBB151_2991:
	v_mov_b32_e32 v6, v1
.LBB151_2992:
	s_or_b64 exec, exec, s[16:17]
.LBB151_2993:
	s_or_b64 exec, exec, s[2:3]
	s_mov_b64 s[2:3], 0
	global_store_byte v[3:4], v6, off
.LBB151_2994:
	s_and_b64 vcc, exec, s[2:3]
	s_cbranch_vccz .LBB151_3004
; %bb.2995:
	v_cndmask_b32_e64 v1, 0, 1.0, s[20:21]
	s_mov_b32 s2, 0x43f00000
	v_cmp_gt_u32_e32 vcc, s2, v1
                                        ; implicit-def: $vgpr5
	s_and_saveexec_b64 s[2:3], vcc
	s_xor_b64 s[2:3], exec, s[2:3]
	s_cbranch_execz .LBB151_3001
; %bb.2996:
	s_mov_b32 s6, 0x3c7fffff
	v_cmp_lt_u32_e32 vcc, s6, v1
                                        ; implicit-def: $vgpr5
	s_and_saveexec_b64 s[6:7], vcc
	s_xor_b64 s[6:7], exec, s[6:7]
; %bb.2997:
	v_bfe_u32 v5, v1, 20, 1
	s_mov_b32 s16, 0x407ffff
	v_add3_u32 v1, v1, v5, s16
	v_lshrrev_b32_e32 v5, 20, v1
	v_and_b32_e32 v1, 0xff00000, v1
	s_mov_b32 s16, 0x7f00000
	v_mov_b32_e32 v6, 0x7e
	v_cmp_ne_u32_e32 vcc, s16, v1
	v_cndmask_b32_e32 v5, v6, v5, vcc
                                        ; implicit-def: $vgpr1
; %bb.2998:
	s_andn2_saveexec_b64 s[6:7], s[6:7]
; %bb.2999:
	v_add_f32_e32 v5, 0x46800000, v1
; %bb.3000:
	s_or_b64 exec, exec, s[6:7]
                                        ; implicit-def: $vgpr1
.LBB151_3001:
	s_andn2_saveexec_b64 s[2:3], s[2:3]
; %bb.3002:
	s_mov_b32 s6, 0x7f800000
	v_mov_b32_e32 v5, 0x7e
	v_mov_b32_e32 v6, 0x7f
	v_cmp_lt_u32_e32 vcc, s6, v1
	v_cndmask_b32_e32 v5, v5, v6, vcc
; %bb.3003:
	s_or_b64 exec, exec, s[2:3]
	global_store_byte v[3:4], v5, off
.LBB151_3004:
	s_mov_b64 s[2:3], 0
.LBB151_3005:
	s_andn2_b64 vcc, exec, s[2:3]
	s_cbranch_vccnz .LBB151_3015
; %bb.3006:
	v_cndmask_b32_e64 v1, 0, 1.0, s[20:21]
	s_mov_b32 s2, 0x47800000
	v_cmp_gt_u32_e32 vcc, s2, v1
                                        ; implicit-def: $vgpr5
	s_and_saveexec_b64 s[2:3], vcc
	s_xor_b64 s[2:3], exec, s[2:3]
	s_cbranch_execz .LBB151_3012
; %bb.3007:
	s_mov_b32 s6, 0x387fffff
	v_cmp_lt_u32_e32 vcc, s6, v1
                                        ; implicit-def: $vgpr5
	s_and_saveexec_b64 s[6:7], vcc
	s_xor_b64 s[6:7], exec, s[6:7]
; %bb.3008:
	v_bfe_u32 v5, v1, 21, 1
	s_mov_b32 s16, 0x80fffff
	v_add3_u32 v1, v1, v5, s16
	v_lshrrev_b32_e32 v5, 21, v1
                                        ; implicit-def: $vgpr1
; %bb.3009:
	s_andn2_saveexec_b64 s[6:7], s[6:7]
; %bb.3010:
	v_add_f32_e32 v5, 0x43000000, v1
; %bb.3011:
	s_or_b64 exec, exec, s[6:7]
                                        ; implicit-def: $vgpr1
.LBB151_3012:
	s_andn2_saveexec_b64 s[2:3], s[2:3]
; %bb.3013:
	s_mov_b32 s6, 0x7f800000
	v_mov_b32_e32 v5, 0x7c
	v_mov_b32_e32 v6, 0x7f
	v_cmp_lt_u32_e32 vcc, s6, v1
	v_cndmask_b32_e32 v5, v5, v6, vcc
; %bb.3014:
	s_or_b64 exec, exec, s[2:3]
	global_store_byte v[3:4], v5, off
.LBB151_3015:
	s_mov_b64 s[2:3], 0
	s_mov_b64 s[6:7], -1
.LBB151_3016:
	s_andn2_b64 vcc, exec, s[2:3]
	s_mov_b64 s[2:3], 0
	s_cbranch_vccnz .LBB151_3023
; %bb.3017:
	s_cmp_gt_i32 s24, 14
	s_mov_b64 s[16:17], -1
	s_cbranch_scc0 .LBB151_3021
; %bb.3018:
	s_cmp_eq_u32 s24, 15
	s_mov_b64 s[0:1], -1
	s_cbranch_scc0 .LBB151_3020
; %bb.3019:
	v_cndmask_b32_e64 v1, 0, 1.0, s[20:21]
	v_bfe_u32 v5, v1, 16, 1
	s_movk_i32 s0, 0x7fff
	v_add3_u32 v1, v1, v5, s0
	global_store_short_d16_hi v[3:4], v1, off
	s_mov_b64 s[0:1], 0
	s_mov_b64 s[6:7], -1
.LBB151_3020:
	s_mov_b64 s[16:17], 0
.LBB151_3021:
	s_and_b64 vcc, exec, s[16:17]
	s_cbranch_vccz .LBB151_3023
; %bb.3022:
	s_cmp_lg_u32 s24, 11
	s_mov_b64 s[2:3], -1
	s_cselect_b64 s[0:1], -1, 0
.LBB151_3023:
	s_and_b64 vcc, exec, s[0:1]
	s_cbranch_vccnz .LBB151_3272
; %bb.3024:
	s_andn2_b64 vcc, exec, s[2:3]
	s_cbranch_vccnz .LBB151_3026
.LBB151_3025:
	v_cndmask_b32_e64 v1, 0, 1, s[20:21]
	s_mov_b64 s[6:7], -1
	global_store_byte v[3:4], v1, off
.LBB151_3026:
	s_mov_b64 s[0:1], 0
	s_branch .LBB151_3028
.LBB151_3027:
	s_mov_b64 s[0:1], -1
	s_mov_b64 s[6:7], 0
.LBB151_3028:
	s_and_b64 vcc, exec, s[0:1]
	s_cbranch_vccz .LBB151_3067
; %bb.3029:
	s_cmp_lt_i32 s24, 5
	s_mov_b64 s[0:1], -1
	s_cbranch_scc1 .LBB151_3050
; %bb.3030:
	s_cmp_lt_i32 s24, 8
	s_cbranch_scc1 .LBB151_3040
; %bb.3031:
	s_cmp_lt_i32 s24, 9
	s_cbranch_scc1 .LBB151_3037
; %bb.3032:
	s_cmp_gt_i32 s24, 9
	s_cbranch_scc0 .LBB151_3034
; %bb.3033:
	v_cndmask_b32_e64 v1, 0, 1, s[20:21]
	v_cvt_f64_u32_e32 v[5:6], v1
	v_mov_b32_e32 v7, 0
	v_mov_b32_e32 v8, v7
	s_mov_b64 s[0:1], 0
	global_store_dwordx4 v[3:4], v[5:8], off
.LBB151_3034:
	s_andn2_b64 vcc, exec, s[0:1]
	s_cbranch_vccnz .LBB151_3036
; %bb.3035:
	v_cndmask_b32_e64 v5, 0, 1.0, s[20:21]
	v_mov_b32_e32 v6, 0
	global_store_dwordx2 v[3:4], v[5:6], off
.LBB151_3036:
	s_mov_b64 s[0:1], 0
.LBB151_3037:
	s_andn2_b64 vcc, exec, s[0:1]
	s_cbranch_vccnz .LBB151_3039
; %bb.3038:
	v_cndmask_b32_e64 v1, 0, 1.0, s[20:21]
	v_cvt_f16_f32_e32 v1, v1
	global_store_dword v[3:4], v1, off
.LBB151_3039:
	s_mov_b64 s[0:1], 0
.LBB151_3040:
	s_andn2_b64 vcc, exec, s[0:1]
	s_cbranch_vccnz .LBB151_3049
; %bb.3041:
	s_cmp_lt_i32 s24, 6
	s_mov_b64 s[0:1], -1
	s_cbranch_scc1 .LBB151_3047
; %bb.3042:
	s_cmp_gt_i32 s24, 6
	s_cbranch_scc0 .LBB151_3044
; %bb.3043:
	v_cndmask_b32_e64 v1, 0, 1, s[20:21]
	v_cvt_f64_u32_e32 v[5:6], v1
	s_mov_b64 s[0:1], 0
	global_store_dwordx2 v[3:4], v[5:6], off
.LBB151_3044:
	s_andn2_b64 vcc, exec, s[0:1]
	s_cbranch_vccnz .LBB151_3046
; %bb.3045:
	v_cndmask_b32_e64 v1, 0, 1.0, s[20:21]
	global_store_dword v[3:4], v1, off
.LBB151_3046:
	s_mov_b64 s[0:1], 0
.LBB151_3047:
	s_andn2_b64 vcc, exec, s[0:1]
	s_cbranch_vccnz .LBB151_3049
; %bb.3048:
	v_cndmask_b32_e64 v1, 0, 1.0, s[20:21]
	v_cvt_f16_f32_e32 v1, v1
	global_store_short v[3:4], v1, off
.LBB151_3049:
	s_mov_b64 s[0:1], 0
.LBB151_3050:
	s_andn2_b64 vcc, exec, s[0:1]
	s_cbranch_vccnz .LBB151_3066
; %bb.3051:
	s_cmp_lt_i32 s24, 2
	s_mov_b64 s[0:1], -1
	s_cbranch_scc1 .LBB151_3061
; %bb.3052:
	s_cmp_lt_i32 s24, 3
	s_cbranch_scc1 .LBB151_3058
; %bb.3053:
	s_cmp_gt_i32 s24, 3
	s_cbranch_scc0 .LBB151_3055
; %bb.3054:
	s_mov_b32 s0, 0
	v_cndmask_b32_e64 v5, 0, 1, s[20:21]
	v_mov_b32_e32 v6, s0
	global_store_dwordx2 v[3:4], v[5:6], off
	s_mov_b64 s[0:1], 0
.LBB151_3055:
	s_andn2_b64 vcc, exec, s[0:1]
	s_cbranch_vccnz .LBB151_3057
; %bb.3056:
	v_cndmask_b32_e64 v1, 0, 1, s[20:21]
	global_store_dword v[3:4], v1, off
.LBB151_3057:
	s_mov_b64 s[0:1], 0
.LBB151_3058:
	s_andn2_b64 vcc, exec, s[0:1]
	s_cbranch_vccnz .LBB151_3060
; %bb.3059:
	v_cndmask_b32_e64 v1, 0, 1, s[20:21]
	global_store_short v[3:4], v1, off
.LBB151_3060:
	s_mov_b64 s[0:1], 0
.LBB151_3061:
	s_andn2_b64 vcc, exec, s[0:1]
	s_cbranch_vccnz .LBB151_3066
; %bb.3062:
	s_mov_b64 s[0:1], -1
	s_cmp_gt_i32 s24, 0
	v_cndmask_b32_e64 v1, 0, 1, s[20:21]
	s_cbranch_scc0 .LBB151_3064
; %bb.3063:
	global_store_byte v[3:4], v1, off
	s_mov_b64 s[0:1], 0
.LBB151_3064:
	s_andn2_b64 vcc, exec, s[0:1]
	s_cbranch_vccnz .LBB151_3066
; %bb.3065:
	global_store_byte v[3:4], v1, off
.LBB151_3066:
	s_mov_b64 s[6:7], -1
.LBB151_3067:
	s_andn2_b64 vcc, exec, s[6:7]
	s_cbranch_vccnz .LBB151_3263
; %bb.3068:
	v_mov_b32_e32 v3, s9
	v_add_co_u32_e32 v1, vcc, s8, v2
	s_cmp_lt_i32 s24, 11
	v_addc_co_u32_e32 v2, vcc, 0, v3, vcc
	s_cbranch_scc1 .LBB151_3146
; %bb.3069:
	s_mov_b64 s[16:17], -1
	s_mov_b64 s[2:3], 0
	s_cmp_gt_i32 s24, 25
	s_mov_b64 s[6:7], 0
	s_mov_b64 s[0:1], 0
	s_cbranch_scc0 .LBB151_3102
; %bb.3070:
	s_cmp_gt_i32 s24, 28
	s_cbranch_scc0 .LBB151_3085
; %bb.3071:
	s_cmp_gt_i32 s24, 43
	s_cbranch_scc0 .LBB151_3081
; %bb.3072:
	s_cmp_gt_i32 s24, 45
	s_cbranch_scc0 .LBB151_3075
; %bb.3073:
	s_mov_b64 s[0:1], -1
	s_mov_b64 s[16:17], 0
	s_cmp_eq_u32 s24, 46
	s_cbranch_scc0 .LBB151_3075
; %bb.3074:
	v_cndmask_b32_e64 v3, 0, 1.0, s[22:23]
	v_bfe_u32 v4, v3, 16, 1
	s_movk_i32 s0, 0x7fff
	v_add3_u32 v3, v3, v4, s0
	v_lshrrev_b32_e32 v3, 16, v3
	global_store_dword v[1:2], v3, off
	s_mov_b64 s[0:1], 0
	s_mov_b64 s[6:7], -1
.LBB151_3075:
	s_and_b64 vcc, exec, s[16:17]
	s_cbranch_vccz .LBB151_3080
; %bb.3076:
	s_cmp_eq_u32 s24, 44
	s_mov_b64 s[0:1], -1
	s_cbranch_scc0 .LBB151_3080
; %bb.3077:
	v_cndmask_b32_e64 v4, 0, 1.0, s[22:23]
	v_lshrrev_b32_e32 v3, 23, v4
	s_movk_i32 s0, 0xff
	v_cmp_ne_u32_e32 vcc, s0, v3
	v_mov_b32_e32 v5, 0xff
	s_and_saveexec_b64 s[6:7], vcc
; %bb.3078:
	s_mov_b32 s0, 0x3fffff
	v_and_b32_e32 v5, 0x400000, v4
	v_and_or_b32 v4, v4, s0, v3
	v_cmp_ne_u32_e32 vcc, 0, v5
	v_cmp_ne_u32_e64 s[0:1], 0, v4
	s_and_b64 s[0:1], vcc, s[0:1]
	v_cndmask_b32_e64 v4, 0, 1, s[0:1]
	v_add_u32_e32 v5, v3, v4
; %bb.3079:
	s_or_b64 exec, exec, s[6:7]
	s_mov_b64 s[0:1], 0
	s_mov_b64 s[6:7], -1
	global_store_byte v[1:2], v5, off
.LBB151_3080:
	s_mov_b64 s[16:17], 0
.LBB151_3081:
	s_and_b64 vcc, exec, s[16:17]
	s_cbranch_vccz .LBB151_3084
; %bb.3082:
	s_cmp_eq_u32 s24, 29
	s_mov_b64 s[0:1], -1
	s_cbranch_scc0 .LBB151_3084
; %bb.3083:
	s_mov_b32 s0, 0
	v_cndmask_b32_e64 v3, 0, 1, s[22:23]
	v_mov_b32_e32 v4, s0
	global_store_dwordx2 v[1:2], v[3:4], off
	s_mov_b64 s[0:1], 0
	s_mov_b64 s[6:7], -1
.LBB151_3084:
	s_mov_b64 s[16:17], 0
.LBB151_3085:
	s_and_b64 vcc, exec, s[16:17]
	s_cbranch_vccz .LBB151_3101
; %bb.3086:
	s_cmp_lt_i32 s24, 27
	s_mov_b64 s[6:7], -1
	s_cbranch_scc1 .LBB151_3092
; %bb.3087:
	s_cmp_gt_i32 s24, 27
	s_cbranch_scc0 .LBB151_3089
; %bb.3088:
	v_cndmask_b32_e64 v3, 0, 1, s[22:23]
	s_mov_b64 s[6:7], 0
	global_store_dword v[1:2], v3, off
.LBB151_3089:
	s_andn2_b64 vcc, exec, s[6:7]
	s_cbranch_vccnz .LBB151_3091
; %bb.3090:
	v_cndmask_b32_e64 v3, 0, 1, s[22:23]
	global_store_short v[1:2], v3, off
.LBB151_3091:
	s_mov_b64 s[6:7], 0
.LBB151_3092:
	s_andn2_b64 vcc, exec, s[6:7]
	s_cbranch_vccnz .LBB151_3100
; %bb.3093:
	v_cndmask_b32_e64 v4, 0, 1.0, s[22:23]
	s_mov_b32 s6, 0x43800000
	v_cmp_gt_u32_e32 vcc, s6, v4
	v_mov_b32_e32 v5, 0x80
	s_and_saveexec_b64 s[6:7], vcc
	s_cbranch_execz .LBB151_3099
; %bb.3094:
	s_mov_b32 s16, 0x3bffffff
	v_cmp_lt_u32_e32 vcc, s16, v4
	s_mov_b64 s[16:17], 0
                                        ; implicit-def: $vgpr3
	s_and_saveexec_b64 s[18:19], vcc
	s_xor_b64 s[18:19], exec, s[18:19]
	s_cbranch_execz .LBB151_3275
; %bb.3095:
	v_bfe_u32 v3, v4, 20, 1
	s_mov_b32 s20, 0x487ffff
	v_add3_u32 v3, v4, v3, s20
	s_mov_b64 s[16:17], exec
	v_lshrrev_b32_e32 v3, 20, v3
                                        ; implicit-def: $vgpr4
	s_andn2_saveexec_b64 s[18:19], s[18:19]
	s_cbranch_execnz .LBB151_3276
.LBB151_3096:
	s_or_b64 exec, exec, s[18:19]
	v_mov_b32_e32 v5, 0
	s_and_saveexec_b64 s[18:19], s[16:17]
.LBB151_3097:
	v_mov_b32_e32 v5, v3
.LBB151_3098:
	s_or_b64 exec, exec, s[18:19]
.LBB151_3099:
	s_or_b64 exec, exec, s[6:7]
	global_store_byte v[1:2], v5, off
.LBB151_3100:
	s_mov_b64 s[6:7], -1
.LBB151_3101:
	s_mov_b64 s[16:17], 0
.LBB151_3102:
	s_and_b64 vcc, exec, s[16:17]
	s_cbranch_vccz .LBB151_3142
; %bb.3103:
	s_cmp_gt_i32 s24, 22
	s_mov_b64 s[2:3], -1
	s_cbranch_scc0 .LBB151_3135
; %bb.3104:
	s_cmp_lt_i32 s24, 24
	s_cbranch_scc1 .LBB151_3124
; %bb.3105:
	s_cmp_gt_i32 s24, 24
	s_cbranch_scc0 .LBB151_3113
; %bb.3106:
	v_cndmask_b32_e64 v4, 0, 1.0, s[22:23]
	s_mov_b32 s2, 0x47800000
	v_cmp_gt_u32_e32 vcc, s2, v4
	v_mov_b32_e32 v5, 0x80
	s_and_saveexec_b64 s[2:3], vcc
	s_cbranch_execz .LBB151_3112
; %bb.3107:
	s_mov_b32 s6, 0x37ffffff
	v_cmp_lt_u32_e32 vcc, s6, v4
	s_mov_b64 s[6:7], 0
                                        ; implicit-def: $vgpr3
	s_and_saveexec_b64 s[16:17], vcc
	s_xor_b64 s[16:17], exec, s[16:17]
	s_cbranch_execz .LBB151_3278
; %bb.3108:
	v_bfe_u32 v3, v4, 21, 1
	s_mov_b32 s18, 0x88fffff
	v_add3_u32 v3, v4, v3, s18
	s_mov_b64 s[6:7], exec
	v_lshrrev_b32_e32 v3, 21, v3
                                        ; implicit-def: $vgpr4
	s_andn2_saveexec_b64 s[16:17], s[16:17]
	s_cbranch_execnz .LBB151_3279
.LBB151_3109:
	s_or_b64 exec, exec, s[16:17]
	v_mov_b32_e32 v5, 0
	s_and_saveexec_b64 s[16:17], s[6:7]
.LBB151_3110:
	v_mov_b32_e32 v5, v3
.LBB151_3111:
	s_or_b64 exec, exec, s[16:17]
.LBB151_3112:
	s_or_b64 exec, exec, s[2:3]
	s_mov_b64 s[2:3], 0
	global_store_byte v[1:2], v5, off
.LBB151_3113:
	s_and_b64 vcc, exec, s[2:3]
	s_cbranch_vccz .LBB151_3123
; %bb.3114:
	v_cndmask_b32_e64 v3, 0, 1.0, s[22:23]
	s_mov_b32 s2, 0x43f00000
	v_cmp_gt_u32_e32 vcc, s2, v3
                                        ; implicit-def: $vgpr4
	s_and_saveexec_b64 s[2:3], vcc
	s_xor_b64 s[2:3], exec, s[2:3]
	s_cbranch_execz .LBB151_3120
; %bb.3115:
	s_mov_b32 s6, 0x3c7fffff
	v_cmp_lt_u32_e32 vcc, s6, v3
                                        ; implicit-def: $vgpr4
	s_and_saveexec_b64 s[6:7], vcc
	s_xor_b64 s[6:7], exec, s[6:7]
; %bb.3116:
	v_bfe_u32 v4, v3, 20, 1
	s_mov_b32 s16, 0x407ffff
	v_add3_u32 v3, v3, v4, s16
	v_lshrrev_b32_e32 v4, 20, v3
	v_and_b32_e32 v3, 0xff00000, v3
	s_mov_b32 s16, 0x7f00000
	v_mov_b32_e32 v5, 0x7e
	v_cmp_ne_u32_e32 vcc, s16, v3
	v_cndmask_b32_e32 v4, v5, v4, vcc
                                        ; implicit-def: $vgpr3
; %bb.3117:
	s_andn2_saveexec_b64 s[6:7], s[6:7]
; %bb.3118:
	v_add_f32_e32 v4, 0x46800000, v3
; %bb.3119:
	s_or_b64 exec, exec, s[6:7]
                                        ; implicit-def: $vgpr3
.LBB151_3120:
	s_andn2_saveexec_b64 s[2:3], s[2:3]
; %bb.3121:
	s_mov_b32 s6, 0x7f800000
	v_mov_b32_e32 v4, 0x7e
	v_mov_b32_e32 v5, 0x7f
	v_cmp_lt_u32_e32 vcc, s6, v3
	v_cndmask_b32_e32 v4, v4, v5, vcc
; %bb.3122:
	s_or_b64 exec, exec, s[2:3]
	global_store_byte v[1:2], v4, off
.LBB151_3123:
	s_mov_b64 s[2:3], 0
.LBB151_3124:
	s_andn2_b64 vcc, exec, s[2:3]
	s_cbranch_vccnz .LBB151_3134
; %bb.3125:
	v_cndmask_b32_e64 v3, 0, 1.0, s[22:23]
	s_mov_b32 s2, 0x47800000
	v_cmp_gt_u32_e32 vcc, s2, v3
                                        ; implicit-def: $vgpr4
	s_and_saveexec_b64 s[2:3], vcc
	s_xor_b64 s[2:3], exec, s[2:3]
	s_cbranch_execz .LBB151_3131
; %bb.3126:
	s_mov_b32 s6, 0x387fffff
	v_cmp_lt_u32_e32 vcc, s6, v3
                                        ; implicit-def: $vgpr4
	s_and_saveexec_b64 s[6:7], vcc
	s_xor_b64 s[6:7], exec, s[6:7]
; %bb.3127:
	v_bfe_u32 v4, v3, 21, 1
	s_mov_b32 s16, 0x80fffff
	v_add3_u32 v3, v3, v4, s16
	v_lshrrev_b32_e32 v4, 21, v3
                                        ; implicit-def: $vgpr3
; %bb.3128:
	s_andn2_saveexec_b64 s[6:7], s[6:7]
; %bb.3129:
	v_add_f32_e32 v4, 0x43000000, v3
; %bb.3130:
	s_or_b64 exec, exec, s[6:7]
                                        ; implicit-def: $vgpr3
.LBB151_3131:
	s_andn2_saveexec_b64 s[2:3], s[2:3]
; %bb.3132:
	s_mov_b32 s6, 0x7f800000
	v_mov_b32_e32 v4, 0x7c
	v_mov_b32_e32 v5, 0x7f
	v_cmp_lt_u32_e32 vcc, s6, v3
	v_cndmask_b32_e32 v4, v4, v5, vcc
; %bb.3133:
	s_or_b64 exec, exec, s[2:3]
	global_store_byte v[1:2], v4, off
.LBB151_3134:
	s_mov_b64 s[2:3], 0
	s_mov_b64 s[6:7], -1
.LBB151_3135:
	s_andn2_b64 vcc, exec, s[2:3]
	s_mov_b64 s[2:3], 0
	s_cbranch_vccnz .LBB151_3142
; %bb.3136:
	s_cmp_gt_i32 s24, 14
	s_mov_b64 s[16:17], -1
	s_cbranch_scc0 .LBB151_3140
; %bb.3137:
	s_cmp_eq_u32 s24, 15
	s_mov_b64 s[0:1], -1
	s_cbranch_scc0 .LBB151_3139
; %bb.3138:
	v_cndmask_b32_e64 v3, 0, 1.0, s[22:23]
	v_bfe_u32 v4, v3, 16, 1
	s_movk_i32 s0, 0x7fff
	v_add3_u32 v3, v3, v4, s0
	global_store_short_d16_hi v[1:2], v3, off
	s_mov_b64 s[0:1], 0
	s_mov_b64 s[6:7], -1
.LBB151_3139:
	s_mov_b64 s[16:17], 0
.LBB151_3140:
	s_and_b64 vcc, exec, s[16:17]
	s_cbranch_vccz .LBB151_3142
; %bb.3141:
	s_cmp_lg_u32 s24, 11
	s_mov_b64 s[2:3], -1
	s_cselect_b64 s[0:1], -1, 0
.LBB151_3142:
	s_and_b64 vcc, exec, s[0:1]
	s_cbranch_vccnz .LBB151_3277
; %bb.3143:
	s_andn2_b64 vcc, exec, s[2:3]
	s_cbranch_vccnz .LBB151_3145
.LBB151_3144:
	v_cndmask_b32_e64 v3, 0, 1, s[22:23]
	s_mov_b64 s[6:7], -1
	global_store_byte v[1:2], v3, off
.LBB151_3145:
	s_mov_b64 s[0:1], 0
	s_branch .LBB151_3147
.LBB151_3146:
	s_mov_b64 s[0:1], -1
	s_mov_b64 s[6:7], 0
.LBB151_3147:
	s_and_b64 vcc, exec, s[0:1]
	s_cbranch_vccz .LBB151_3186
; %bb.3148:
	s_cmp_lt_i32 s24, 5
	s_mov_b64 s[0:1], -1
	s_cbranch_scc1 .LBB151_3169
; %bb.3149:
	s_cmp_lt_i32 s24, 8
	s_cbranch_scc1 .LBB151_3159
; %bb.3150:
	s_cmp_lt_i32 s24, 9
	s_cbranch_scc1 .LBB151_3156
; %bb.3151:
	s_cmp_gt_i32 s24, 9
	s_cbranch_scc0 .LBB151_3153
; %bb.3152:
	v_cndmask_b32_e64 v3, 0, 1, s[22:23]
	v_cvt_f64_u32_e32 v[3:4], v3
	v_mov_b32_e32 v5, 0
	v_mov_b32_e32 v6, v5
	s_mov_b64 s[0:1], 0
	global_store_dwordx4 v[1:2], v[3:6], off
.LBB151_3153:
	s_andn2_b64 vcc, exec, s[0:1]
	s_cbranch_vccnz .LBB151_3155
; %bb.3154:
	v_cndmask_b32_e64 v3, 0, 1.0, s[22:23]
	v_mov_b32_e32 v4, 0
	global_store_dwordx2 v[1:2], v[3:4], off
.LBB151_3155:
	s_mov_b64 s[0:1], 0
.LBB151_3156:
	s_andn2_b64 vcc, exec, s[0:1]
	s_cbranch_vccnz .LBB151_3158
; %bb.3157:
	v_cndmask_b32_e64 v3, 0, 1.0, s[22:23]
	v_cvt_f16_f32_e32 v3, v3
	global_store_dword v[1:2], v3, off
.LBB151_3158:
	s_mov_b64 s[0:1], 0
.LBB151_3159:
	s_andn2_b64 vcc, exec, s[0:1]
	s_cbranch_vccnz .LBB151_3168
; %bb.3160:
	s_cmp_lt_i32 s24, 6
	s_mov_b64 s[0:1], -1
	s_cbranch_scc1 .LBB151_3166
; %bb.3161:
	s_cmp_gt_i32 s24, 6
	s_cbranch_scc0 .LBB151_3163
; %bb.3162:
	v_cndmask_b32_e64 v3, 0, 1, s[22:23]
	v_cvt_f64_u32_e32 v[3:4], v3
	s_mov_b64 s[0:1], 0
	global_store_dwordx2 v[1:2], v[3:4], off
.LBB151_3163:
	s_andn2_b64 vcc, exec, s[0:1]
	s_cbranch_vccnz .LBB151_3165
; %bb.3164:
	v_cndmask_b32_e64 v3, 0, 1.0, s[22:23]
	global_store_dword v[1:2], v3, off
.LBB151_3165:
	s_mov_b64 s[0:1], 0
.LBB151_3166:
	s_andn2_b64 vcc, exec, s[0:1]
	s_cbranch_vccnz .LBB151_3168
; %bb.3167:
	v_cndmask_b32_e64 v3, 0, 1.0, s[22:23]
	v_cvt_f16_f32_e32 v3, v3
	global_store_short v[1:2], v3, off
.LBB151_3168:
	s_mov_b64 s[0:1], 0
.LBB151_3169:
	s_andn2_b64 vcc, exec, s[0:1]
	s_cbranch_vccnz .LBB151_3185
; %bb.3170:
	s_cmp_lt_i32 s24, 2
	s_mov_b64 s[0:1], -1
	s_cbranch_scc1 .LBB151_3180
; %bb.3171:
	s_cmp_lt_i32 s24, 3
	s_cbranch_scc1 .LBB151_3177
; %bb.3172:
	s_cmp_gt_i32 s24, 3
	s_cbranch_scc0 .LBB151_3174
; %bb.3173:
	s_mov_b32 s0, 0
	v_cndmask_b32_e64 v3, 0, 1, s[22:23]
	v_mov_b32_e32 v4, s0
	global_store_dwordx2 v[1:2], v[3:4], off
	s_mov_b64 s[0:1], 0
.LBB151_3174:
	s_andn2_b64 vcc, exec, s[0:1]
	s_cbranch_vccnz .LBB151_3176
; %bb.3175:
	v_cndmask_b32_e64 v3, 0, 1, s[22:23]
	global_store_dword v[1:2], v3, off
.LBB151_3176:
	s_mov_b64 s[0:1], 0
.LBB151_3177:
	s_andn2_b64 vcc, exec, s[0:1]
	s_cbranch_vccnz .LBB151_3179
; %bb.3178:
	v_cndmask_b32_e64 v3, 0, 1, s[22:23]
	global_store_short v[1:2], v3, off
.LBB151_3179:
	s_mov_b64 s[0:1], 0
.LBB151_3180:
	s_andn2_b64 vcc, exec, s[0:1]
	s_cbranch_vccnz .LBB151_3185
; %bb.3181:
	s_cmp_gt_i32 s24, 0
	s_mov_b64 s[0:1], -1
	s_cbranch_scc0 .LBB151_3183
; %bb.3182:
	v_cndmask_b32_e64 v3, 0, 1, s[22:23]
	global_store_byte v[1:2], v3, off
	s_mov_b64 s[0:1], 0
.LBB151_3183:
	s_andn2_b64 vcc, exec, s[0:1]
	s_cbranch_vccnz .LBB151_3185
; %bb.3184:
	v_cndmask_b32_e64 v3, 0, 1, s[22:23]
	global_store_byte v[1:2], v3, off
.LBB151_3185:
	s_mov_b64 s[6:7], -1
.LBB151_3186:
	s_andn2_b64 vcc, exec, s[6:7]
	s_cbranch_vccnz .LBB151_3263
; %bb.3187:
	v_mov_b32_e32 v1, s9
	v_add_co_u32_e32 v0, vcc, s8, v0
	s_cmp_lt_i32 s24, 11
	v_addc_co_u32_e32 v1, vcc, 0, v1, vcc
	s_cbranch_scc1 .LBB151_3264
; %bb.3188:
	s_mov_b64 s[6:7], -1
	s_mov_b64 s[2:3], 0
	s_cmp_gt_i32 s24, 25
	s_mov_b64 s[0:1], 0
	s_cbranch_scc0 .LBB151_3221
; %bb.3189:
	s_cmp_gt_i32 s24, 28
	s_cbranch_scc0 .LBB151_3205
; %bb.3190:
	s_cmp_gt_i32 s24, 43
	;; [unrolled: 3-line block ×3, first 2 shown]
	s_cbranch_scc0 .LBB151_3195
; %bb.3192:
	s_cmp_eq_u32 s24, 46
	s_mov_b64 s[0:1], -1
	s_cbranch_scc0 .LBB151_3194
; %bb.3193:
	v_cndmask_b32_e64 v2, 0, 1.0, s[10:11]
	v_bfe_u32 v3, v2, 16, 1
	s_movk_i32 s0, 0x7fff
	v_add3_u32 v2, v2, v3, s0
	v_lshrrev_b32_e32 v2, 16, v2
	global_store_dword v[0:1], v2, off
	s_mov_b64 s[0:1], 0
.LBB151_3194:
	s_mov_b64 s[6:7], 0
.LBB151_3195:
	s_and_b64 vcc, exec, s[6:7]
	s_cbranch_vccz .LBB151_3200
; %bb.3196:
	s_cmp_eq_u32 s24, 44
	s_mov_b64 s[0:1], -1
	s_cbranch_scc0 .LBB151_3200
; %bb.3197:
	v_cndmask_b32_e64 v3, 0, 1.0, s[10:11]
	v_lshrrev_b32_e32 v2, 23, v3
	s_movk_i32 s0, 0xff
	v_cmp_ne_u32_e32 vcc, s0, v2
	v_mov_b32_e32 v4, 0xff
	s_and_saveexec_b64 s[6:7], vcc
; %bb.3198:
	s_mov_b32 s0, 0x3fffff
	v_and_b32_e32 v4, 0x400000, v3
	v_and_or_b32 v3, v3, s0, v2
	v_cmp_ne_u32_e32 vcc, 0, v4
	v_cmp_ne_u32_e64 s[0:1], 0, v3
	s_and_b64 s[0:1], vcc, s[0:1]
	v_cndmask_b32_e64 v3, 0, 1, s[0:1]
	v_add_u32_e32 v4, v2, v3
; %bb.3199:
	s_or_b64 exec, exec, s[6:7]
	s_mov_b64 s[0:1], 0
	global_store_byte v[0:1], v4, off
.LBB151_3200:
	s_mov_b64 s[6:7], 0
.LBB151_3201:
	s_and_b64 vcc, exec, s[6:7]
	s_cbranch_vccz .LBB151_3204
; %bb.3202:
	s_cmp_eq_u32 s24, 29
	s_mov_b64 s[0:1], -1
	s_cbranch_scc0 .LBB151_3204
; %bb.3203:
	s_mov_b32 s0, 0
	v_cndmask_b32_e64 v2, 0, 1, s[10:11]
	v_mov_b32_e32 v3, s0
	global_store_dwordx2 v[0:1], v[2:3], off
	s_mov_b64 s[0:1], 0
.LBB151_3204:
	s_mov_b64 s[6:7], 0
.LBB151_3205:
	s_and_b64 vcc, exec, s[6:7]
	s_cbranch_vccz .LBB151_3220
; %bb.3206:
	s_cmp_lt_i32 s24, 27
	s_mov_b64 s[6:7], -1
	s_cbranch_scc1 .LBB151_3212
; %bb.3207:
	s_cmp_gt_i32 s24, 27
	v_cndmask_b32_e64 v2, 0, 1, s[10:11]
	s_cbranch_scc0 .LBB151_3209
; %bb.3208:
	global_store_dword v[0:1], v2, off
	s_mov_b64 s[6:7], 0
.LBB151_3209:
	s_andn2_b64 vcc, exec, s[6:7]
	s_cbranch_vccnz .LBB151_3211
; %bb.3210:
	global_store_short v[0:1], v2, off
.LBB151_3211:
	s_mov_b64 s[6:7], 0
.LBB151_3212:
	s_andn2_b64 vcc, exec, s[6:7]
	s_cbranch_vccnz .LBB151_3220
; %bb.3213:
	v_cndmask_b32_e64 v3, 0, 1.0, s[10:11]
	s_mov_b32 s6, 0x43800000
	v_cmp_gt_u32_e32 vcc, s6, v3
	v_mov_b32_e32 v4, 0x80
	s_and_saveexec_b64 s[6:7], vcc
	s_cbranch_execz .LBB151_3219
; %bb.3214:
	s_mov_b32 s8, 0x3bffffff
	v_cmp_lt_u32_e32 vcc, s8, v3
	s_mov_b64 s[8:9], 0
                                        ; implicit-def: $vgpr2
	s_and_saveexec_b64 s[16:17], vcc
	s_xor_b64 s[16:17], exec, s[16:17]
	s_cbranch_execz .LBB151_3280
; %bb.3215:
	v_bfe_u32 v2, v3, 20, 1
	s_mov_b32 s18, 0x487ffff
	v_add3_u32 v2, v3, v2, s18
	s_mov_b64 s[8:9], exec
	v_lshrrev_b32_e32 v2, 20, v2
                                        ; implicit-def: $vgpr3
	s_andn2_saveexec_b64 s[16:17], s[16:17]
	s_cbranch_execnz .LBB151_3281
.LBB151_3216:
	s_or_b64 exec, exec, s[16:17]
	v_mov_b32_e32 v4, 0
	s_and_saveexec_b64 s[16:17], s[8:9]
.LBB151_3217:
	v_mov_b32_e32 v4, v2
.LBB151_3218:
	s_or_b64 exec, exec, s[16:17]
.LBB151_3219:
	s_or_b64 exec, exec, s[6:7]
	global_store_byte v[0:1], v4, off
.LBB151_3220:
	s_mov_b64 s[6:7], 0
.LBB151_3221:
	s_and_b64 vcc, exec, s[6:7]
	s_cbranch_vccz .LBB151_3261
; %bb.3222:
	s_cmp_gt_i32 s24, 22
	s_mov_b64 s[2:3], -1
	s_cbranch_scc0 .LBB151_3254
; %bb.3223:
	s_cmp_lt_i32 s24, 24
	s_cbranch_scc1 .LBB151_3243
; %bb.3224:
	s_cmp_gt_i32 s24, 24
	s_cbranch_scc0 .LBB151_3232
; %bb.3225:
	v_cndmask_b32_e64 v3, 0, 1.0, s[10:11]
	s_mov_b32 s2, 0x47800000
	v_cmp_gt_u32_e32 vcc, s2, v3
	v_mov_b32_e32 v4, 0x80
	s_and_saveexec_b64 s[2:3], vcc
	s_cbranch_execz .LBB151_3231
; %bb.3226:
	s_mov_b32 s6, 0x37ffffff
	v_cmp_lt_u32_e32 vcc, s6, v3
	s_mov_b64 s[6:7], 0
                                        ; implicit-def: $vgpr2
	s_and_saveexec_b64 s[8:9], vcc
	s_xor_b64 s[8:9], exec, s[8:9]
	s_cbranch_execz .LBB151_3283
; %bb.3227:
	v_bfe_u32 v2, v3, 21, 1
	s_mov_b32 s16, 0x88fffff
	v_add3_u32 v2, v3, v2, s16
	s_mov_b64 s[6:7], exec
	v_lshrrev_b32_e32 v2, 21, v2
                                        ; implicit-def: $vgpr3
	s_andn2_saveexec_b64 s[8:9], s[8:9]
	s_cbranch_execnz .LBB151_3284
.LBB151_3228:
	s_or_b64 exec, exec, s[8:9]
	v_mov_b32_e32 v4, 0
	s_and_saveexec_b64 s[8:9], s[6:7]
.LBB151_3229:
	v_mov_b32_e32 v4, v2
.LBB151_3230:
	s_or_b64 exec, exec, s[8:9]
.LBB151_3231:
	s_or_b64 exec, exec, s[2:3]
	s_mov_b64 s[2:3], 0
	global_store_byte v[0:1], v4, off
.LBB151_3232:
	s_and_b64 vcc, exec, s[2:3]
	s_cbranch_vccz .LBB151_3242
; %bb.3233:
	v_cndmask_b32_e64 v2, 0, 1.0, s[10:11]
	s_mov_b32 s2, 0x43f00000
	v_cmp_gt_u32_e32 vcc, s2, v2
                                        ; implicit-def: $vgpr3
	s_and_saveexec_b64 s[2:3], vcc
	s_xor_b64 s[2:3], exec, s[2:3]
	s_cbranch_execz .LBB151_3239
; %bb.3234:
	s_mov_b32 s6, 0x3c7fffff
	v_cmp_lt_u32_e32 vcc, s6, v2
                                        ; implicit-def: $vgpr3
	s_and_saveexec_b64 s[6:7], vcc
	s_xor_b64 s[6:7], exec, s[6:7]
; %bb.3235:
	v_bfe_u32 v3, v2, 20, 1
	s_mov_b32 s8, 0x407ffff
	v_add3_u32 v2, v2, v3, s8
	v_lshrrev_b32_e32 v3, 20, v2
	v_and_b32_e32 v2, 0xff00000, v2
	s_mov_b32 s8, 0x7f00000
	v_mov_b32_e32 v4, 0x7e
	v_cmp_ne_u32_e32 vcc, s8, v2
	v_cndmask_b32_e32 v3, v4, v3, vcc
                                        ; implicit-def: $vgpr2
; %bb.3236:
	s_andn2_saveexec_b64 s[6:7], s[6:7]
; %bb.3237:
	v_add_f32_e32 v3, 0x46800000, v2
; %bb.3238:
	s_or_b64 exec, exec, s[6:7]
                                        ; implicit-def: $vgpr2
.LBB151_3239:
	s_andn2_saveexec_b64 s[2:3], s[2:3]
; %bb.3240:
	s_mov_b32 s6, 0x7f800000
	v_mov_b32_e32 v3, 0x7e
	v_mov_b32_e32 v4, 0x7f
	v_cmp_lt_u32_e32 vcc, s6, v2
	v_cndmask_b32_e32 v3, v3, v4, vcc
; %bb.3241:
	s_or_b64 exec, exec, s[2:3]
	global_store_byte v[0:1], v3, off
.LBB151_3242:
	s_mov_b64 s[2:3], 0
.LBB151_3243:
	s_andn2_b64 vcc, exec, s[2:3]
	s_cbranch_vccnz .LBB151_3253
; %bb.3244:
	v_cndmask_b32_e64 v2, 0, 1.0, s[10:11]
	s_mov_b32 s2, 0x47800000
	v_cmp_gt_u32_e32 vcc, s2, v2
                                        ; implicit-def: $vgpr3
	s_and_saveexec_b64 s[2:3], vcc
	s_xor_b64 s[2:3], exec, s[2:3]
	s_cbranch_execz .LBB151_3250
; %bb.3245:
	s_mov_b32 s6, 0x387fffff
	v_cmp_lt_u32_e32 vcc, s6, v2
                                        ; implicit-def: $vgpr3
	s_and_saveexec_b64 s[6:7], vcc
	s_xor_b64 s[6:7], exec, s[6:7]
; %bb.3246:
	v_bfe_u32 v3, v2, 21, 1
	s_mov_b32 s8, 0x80fffff
	v_add3_u32 v2, v2, v3, s8
	v_lshrrev_b32_e32 v3, 21, v2
                                        ; implicit-def: $vgpr2
; %bb.3247:
	s_andn2_saveexec_b64 s[6:7], s[6:7]
; %bb.3248:
	v_add_f32_e32 v3, 0x43000000, v2
; %bb.3249:
	s_or_b64 exec, exec, s[6:7]
                                        ; implicit-def: $vgpr2
.LBB151_3250:
	s_andn2_saveexec_b64 s[2:3], s[2:3]
; %bb.3251:
	s_mov_b32 s6, 0x7f800000
	v_mov_b32_e32 v3, 0x7c
	v_mov_b32_e32 v4, 0x7f
	v_cmp_lt_u32_e32 vcc, s6, v2
	v_cndmask_b32_e32 v3, v3, v4, vcc
; %bb.3252:
	s_or_b64 exec, exec, s[2:3]
	global_store_byte v[0:1], v3, off
.LBB151_3253:
	s_mov_b64 s[2:3], 0
.LBB151_3254:
	s_andn2_b64 vcc, exec, s[2:3]
	s_mov_b64 s[2:3], 0
	s_cbranch_vccnz .LBB151_3261
; %bb.3255:
	s_cmp_gt_i32 s24, 14
	s_mov_b64 s[6:7], -1
	s_cbranch_scc0 .LBB151_3259
; %bb.3256:
	s_cmp_eq_u32 s24, 15
	s_mov_b64 s[0:1], -1
	s_cbranch_scc0 .LBB151_3258
; %bb.3257:
	v_cndmask_b32_e64 v2, 0, 1.0, s[10:11]
	v_bfe_u32 v3, v2, 16, 1
	s_movk_i32 s0, 0x7fff
	v_add3_u32 v2, v2, v3, s0
	global_store_short_d16_hi v[0:1], v2, off
	s_mov_b64 s[0:1], 0
.LBB151_3258:
	s_mov_b64 s[6:7], 0
.LBB151_3259:
	s_and_b64 vcc, exec, s[6:7]
	s_cbranch_vccz .LBB151_3261
; %bb.3260:
	s_cmp_lg_u32 s24, 11
	s_mov_b64 s[2:3], -1
	s_cselect_b64 s[0:1], -1, 0
.LBB151_3261:
	s_and_b64 vcc, exec, s[0:1]
	s_cbranch_vccnz .LBB151_3282
.LBB151_3262:
	s_mov_b64 s[0:1], 0
	s_branch .LBB151_2783
.LBB151_3263:
	s_mov_b64 s[0:1], 0
	s_branch .LBB151_2782
.LBB151_3264:
	s_mov_b64 s[2:3], 0
	s_mov_b64 s[0:1], -1
	s_branch .LBB151_2783
.LBB151_3265:
	s_andn2_saveexec_b64 s[24:25], s[24:25]
	s_cbranch_execz .LBB151_2858
.LBB151_3266:
	v_add_f32_e32 v1, 0x46000000, v3
	v_and_b32_e32 v1, 0xff, v1
	v_cmp_ne_u32_e32 vcc, 0, v1
	s_andn2_b64 s[18:19], s[18:19], exec
	s_and_b64 s[28:29], vcc, exec
	s_or_b64 s[18:19], s[18:19], s[28:29]
	s_or_b64 exec, exec, s[24:25]
	v_mov_b32_e32 v7, 0
	s_and_saveexec_b64 s[24:25], s[18:19]
	s_cbranch_execnz .LBB151_2859
	s_branch .LBB151_2860
.LBB151_3267:
	s_trap 2
	s_or_b64 s[4:5], s[4:5], exec
	s_cbranch_execz .LBB151_2906
	s_branch .LBB151_2907
.LBB151_3268:
	s_andn2_saveexec_b64 s[18:19], s[18:19]
	s_cbranch_execz .LBB151_2871
.LBB151_3269:
	v_add_f32_e32 v1, 0x42800000, v3
	v_and_b32_e32 v1, 0xff, v1
	v_cmp_ne_u32_e32 vcc, 0, v1
	s_andn2_b64 s[16:17], s[16:17], exec
	s_and_b64 s[24:25], vcc, exec
	s_or_b64 s[16:17], s[16:17], s[24:25]
	s_or_b64 exec, exec, s[18:19]
	v_mov_b32_e32 v7, 0
	s_and_saveexec_b64 s[18:19], s[16:17]
	s_cbranch_execnz .LBB151_2872
	s_branch .LBB151_2873
.LBB151_3270:
	s_andn2_saveexec_b64 s[18:19], s[18:19]
	s_cbranch_execz .LBB151_2977
.LBB151_3271:
	v_add_f32_e32 v1, 0x46000000, v5
	v_and_b32_e32 v1, 0xff, v1
	v_cmp_ne_u32_e32 vcc, 0, v1
	s_andn2_b64 s[16:17], s[16:17], exec
	s_and_b64 s[28:29], vcc, exec
	s_or_b64 s[16:17], s[16:17], s[28:29]
	s_or_b64 exec, exec, s[18:19]
	v_mov_b32_e32 v6, 0
	s_and_saveexec_b64 s[18:19], s[16:17]
	s_cbranch_execnz .LBB151_2978
	s_branch .LBB151_2979
.LBB151_3272:
	s_trap 2
	s_or_b64 s[4:5], s[4:5], exec
	s_cbranch_execz .LBB151_3025
	s_branch .LBB151_3026
.LBB151_3273:
	s_andn2_saveexec_b64 s[16:17], s[16:17]
	s_cbranch_execz .LBB151_2990
.LBB151_3274:
	v_add_f32_e32 v1, 0x42800000, v5
	v_and_b32_e32 v1, 0xff, v1
	v_cmp_ne_u32_e32 vcc, 0, v1
	s_andn2_b64 s[6:7], s[6:7], exec
	s_and_b64 s[18:19], vcc, exec
	s_or_b64 s[6:7], s[6:7], s[18:19]
	s_or_b64 exec, exec, s[16:17]
	v_mov_b32_e32 v6, 0
	s_and_saveexec_b64 s[16:17], s[6:7]
	s_cbranch_execnz .LBB151_2991
	s_branch .LBB151_2992
.LBB151_3275:
	s_andn2_saveexec_b64 s[18:19], s[18:19]
	s_cbranch_execz .LBB151_3096
.LBB151_3276:
	v_add_f32_e32 v3, 0x46000000, v4
	v_and_b32_e32 v3, 0xff, v3
	v_cmp_ne_u32_e32 vcc, 0, v3
	s_andn2_b64 s[16:17], s[16:17], exec
	s_and_b64 s[20:21], vcc, exec
	s_or_b64 s[16:17], s[16:17], s[20:21]
	s_or_b64 exec, exec, s[18:19]
	v_mov_b32_e32 v5, 0
	s_and_saveexec_b64 s[18:19], s[16:17]
	s_cbranch_execnz .LBB151_3097
	s_branch .LBB151_3098
.LBB151_3277:
	s_trap 2
	s_or_b64 s[4:5], s[4:5], exec
	s_cbranch_execz .LBB151_3144
	s_branch .LBB151_3145
.LBB151_3278:
	s_andn2_saveexec_b64 s[16:17], s[16:17]
	s_cbranch_execz .LBB151_3109
.LBB151_3279:
	v_add_f32_e32 v3, 0x42800000, v4
	v_and_b32_e32 v3, 0xff, v3
	v_cmp_ne_u32_e32 vcc, 0, v3
	s_andn2_b64 s[6:7], s[6:7], exec
	s_and_b64 s[18:19], vcc, exec
	s_or_b64 s[6:7], s[6:7], s[18:19]
	s_or_b64 exec, exec, s[16:17]
	v_mov_b32_e32 v5, 0
	s_and_saveexec_b64 s[16:17], s[6:7]
	s_cbranch_execnz .LBB151_3110
	s_branch .LBB151_3111
.LBB151_3280:
	s_andn2_saveexec_b64 s[16:17], s[16:17]
	s_cbranch_execz .LBB151_3216
.LBB151_3281:
	v_add_f32_e32 v2, 0x46000000, v3
	v_and_b32_e32 v2, 0xff, v2
	v_cmp_ne_u32_e32 vcc, 0, v2
	s_andn2_b64 s[8:9], s[8:9], exec
	s_and_b64 s[18:19], vcc, exec
	s_or_b64 s[8:9], s[8:9], s[18:19]
	s_or_b64 exec, exec, s[16:17]
	v_mov_b32_e32 v4, 0
	s_and_saveexec_b64 s[16:17], s[8:9]
	s_cbranch_execnz .LBB151_3217
	s_branch .LBB151_3218
.LBB151_3282:
	s_mov_b64 s[2:3], 0
	s_or_b64 s[4:5], s[4:5], exec
	s_trap 2
	s_branch .LBB151_3262
.LBB151_3283:
	s_andn2_saveexec_b64 s[8:9], s[8:9]
	s_cbranch_execz .LBB151_3228
.LBB151_3284:
	v_add_f32_e32 v2, 0x42800000, v3
	v_and_b32_e32 v2, 0xff, v2
	v_cmp_ne_u32_e32 vcc, 0, v2
	s_andn2_b64 s[6:7], s[6:7], exec
	s_and_b64 s[16:17], vcc, exec
	s_or_b64 s[6:7], s[6:7], s[16:17]
	s_or_b64 exec, exec, s[8:9]
	v_mov_b32_e32 v4, 0
	s_and_saveexec_b64 s[8:9], s[6:7]
	s_cbranch_execnz .LBB151_3229
	s_branch .LBB151_3230
	.section	.rodata,"a",@progbits
	.p2align	6, 0x0
	.amdhsa_kernel _ZN2at6native32elementwise_kernel_manual_unrollILi128ELi4EZNS0_15gpu_kernel_implINS0_13BinaryFunctorIN3c107complexINS4_4HalfEEES7_bNS0_12_GLOBAL__N_116CompareEqFunctorIS7_EEEEEEvRNS_18TensorIteratorBaseERKT_EUlibE0_EEviT1_
		.amdhsa_group_segment_fixed_size 0
		.amdhsa_private_segment_fixed_size 0
		.amdhsa_kernarg_size 432
		.amdhsa_user_sgpr_count 6
		.amdhsa_user_sgpr_private_segment_buffer 1
		.amdhsa_user_sgpr_dispatch_ptr 0
		.amdhsa_user_sgpr_queue_ptr 0
		.amdhsa_user_sgpr_kernarg_segment_ptr 1
		.amdhsa_user_sgpr_dispatch_id 0
		.amdhsa_user_sgpr_flat_scratch_init 0
		.amdhsa_user_sgpr_private_segment_size 0
		.amdhsa_uses_dynamic_stack 0
		.amdhsa_system_sgpr_private_segment_wavefront_offset 0
		.amdhsa_system_sgpr_workgroup_id_x 1
		.amdhsa_system_sgpr_workgroup_id_y 0
		.amdhsa_system_sgpr_workgroup_id_z 0
		.amdhsa_system_sgpr_workgroup_info 0
		.amdhsa_system_vgpr_workitem_id 0
		.amdhsa_next_free_vgpr 29
		.amdhsa_next_free_sgpr 80
		.amdhsa_reserve_vcc 1
		.amdhsa_reserve_flat_scratch 0
		.amdhsa_float_round_mode_32 0
		.amdhsa_float_round_mode_16_64 0
		.amdhsa_float_denorm_mode_32 3
		.amdhsa_float_denorm_mode_16_64 3
		.amdhsa_dx10_clamp 1
		.amdhsa_ieee_mode 1
		.amdhsa_fp16_overflow 0
		.amdhsa_exception_fp_ieee_invalid_op 0
		.amdhsa_exception_fp_denorm_src 0
		.amdhsa_exception_fp_ieee_div_zero 0
		.amdhsa_exception_fp_ieee_overflow 0
		.amdhsa_exception_fp_ieee_underflow 0
		.amdhsa_exception_fp_ieee_inexact 0
		.amdhsa_exception_int_div_zero 0
	.end_amdhsa_kernel
	.section	.text._ZN2at6native32elementwise_kernel_manual_unrollILi128ELi4EZNS0_15gpu_kernel_implINS0_13BinaryFunctorIN3c107complexINS4_4HalfEEES7_bNS0_12_GLOBAL__N_116CompareEqFunctorIS7_EEEEEEvRNS_18TensorIteratorBaseERKT_EUlibE0_EEviT1_,"axG",@progbits,_ZN2at6native32elementwise_kernel_manual_unrollILi128ELi4EZNS0_15gpu_kernel_implINS0_13BinaryFunctorIN3c107complexINS4_4HalfEEES7_bNS0_12_GLOBAL__N_116CompareEqFunctorIS7_EEEEEEvRNS_18TensorIteratorBaseERKT_EUlibE0_EEviT1_,comdat
.Lfunc_end151:
	.size	_ZN2at6native32elementwise_kernel_manual_unrollILi128ELi4EZNS0_15gpu_kernel_implINS0_13BinaryFunctorIN3c107complexINS4_4HalfEEES7_bNS0_12_GLOBAL__N_116CompareEqFunctorIS7_EEEEEEvRNS_18TensorIteratorBaseERKT_EUlibE0_EEviT1_, .Lfunc_end151-_ZN2at6native32elementwise_kernel_manual_unrollILi128ELi4EZNS0_15gpu_kernel_implINS0_13BinaryFunctorIN3c107complexINS4_4HalfEEES7_bNS0_12_GLOBAL__N_116CompareEqFunctorIS7_EEEEEEvRNS_18TensorIteratorBaseERKT_EUlibE0_EEviT1_
                                        ; -- End function
	.set _ZN2at6native32elementwise_kernel_manual_unrollILi128ELi4EZNS0_15gpu_kernel_implINS0_13BinaryFunctorIN3c107complexINS4_4HalfEEES7_bNS0_12_GLOBAL__N_116CompareEqFunctorIS7_EEEEEEvRNS_18TensorIteratorBaseERKT_EUlibE0_EEviT1_.num_vgpr, 29
	.set _ZN2at6native32elementwise_kernel_manual_unrollILi128ELi4EZNS0_15gpu_kernel_implINS0_13BinaryFunctorIN3c107complexINS4_4HalfEEES7_bNS0_12_GLOBAL__N_116CompareEqFunctorIS7_EEEEEEvRNS_18TensorIteratorBaseERKT_EUlibE0_EEviT1_.num_agpr, 0
	.set _ZN2at6native32elementwise_kernel_manual_unrollILi128ELi4EZNS0_15gpu_kernel_implINS0_13BinaryFunctorIN3c107complexINS4_4HalfEEES7_bNS0_12_GLOBAL__N_116CompareEqFunctorIS7_EEEEEEvRNS_18TensorIteratorBaseERKT_EUlibE0_EEviT1_.numbered_sgpr, 80
	.set _ZN2at6native32elementwise_kernel_manual_unrollILi128ELi4EZNS0_15gpu_kernel_implINS0_13BinaryFunctorIN3c107complexINS4_4HalfEEES7_bNS0_12_GLOBAL__N_116CompareEqFunctorIS7_EEEEEEvRNS_18TensorIteratorBaseERKT_EUlibE0_EEviT1_.num_named_barrier, 0
	.set _ZN2at6native32elementwise_kernel_manual_unrollILi128ELi4EZNS0_15gpu_kernel_implINS0_13BinaryFunctorIN3c107complexINS4_4HalfEEES7_bNS0_12_GLOBAL__N_116CompareEqFunctorIS7_EEEEEEvRNS_18TensorIteratorBaseERKT_EUlibE0_EEviT1_.private_seg_size, 0
	.set _ZN2at6native32elementwise_kernel_manual_unrollILi128ELi4EZNS0_15gpu_kernel_implINS0_13BinaryFunctorIN3c107complexINS4_4HalfEEES7_bNS0_12_GLOBAL__N_116CompareEqFunctorIS7_EEEEEEvRNS_18TensorIteratorBaseERKT_EUlibE0_EEviT1_.uses_vcc, 1
	.set _ZN2at6native32elementwise_kernel_manual_unrollILi128ELi4EZNS0_15gpu_kernel_implINS0_13BinaryFunctorIN3c107complexINS4_4HalfEEES7_bNS0_12_GLOBAL__N_116CompareEqFunctorIS7_EEEEEEvRNS_18TensorIteratorBaseERKT_EUlibE0_EEviT1_.uses_flat_scratch, 0
	.set _ZN2at6native32elementwise_kernel_manual_unrollILi128ELi4EZNS0_15gpu_kernel_implINS0_13BinaryFunctorIN3c107complexINS4_4HalfEEES7_bNS0_12_GLOBAL__N_116CompareEqFunctorIS7_EEEEEEvRNS_18TensorIteratorBaseERKT_EUlibE0_EEviT1_.has_dyn_sized_stack, 0
	.set _ZN2at6native32elementwise_kernel_manual_unrollILi128ELi4EZNS0_15gpu_kernel_implINS0_13BinaryFunctorIN3c107complexINS4_4HalfEEES7_bNS0_12_GLOBAL__N_116CompareEqFunctorIS7_EEEEEEvRNS_18TensorIteratorBaseERKT_EUlibE0_EEviT1_.has_recursion, 0
	.set _ZN2at6native32elementwise_kernel_manual_unrollILi128ELi4EZNS0_15gpu_kernel_implINS0_13BinaryFunctorIN3c107complexINS4_4HalfEEES7_bNS0_12_GLOBAL__N_116CompareEqFunctorIS7_EEEEEEvRNS_18TensorIteratorBaseERKT_EUlibE0_EEviT1_.has_indirect_call, 0
	.section	.AMDGPU.csdata,"",@progbits
; Kernel info:
; codeLenInByte = 63376
; TotalNumSgprs: 84
; NumVgprs: 29
; ScratchSize: 0
; MemoryBound: 0
; FloatMode: 240
; IeeeMode: 1
; LDSByteSize: 0 bytes/workgroup (compile time only)
; SGPRBlocks: 10
; VGPRBlocks: 7
; NumSGPRsForWavesPerEU: 84
; NumVGPRsForWavesPerEU: 29
; Occupancy: 8
; WaveLimiterHint : 1
; COMPUTE_PGM_RSRC2:SCRATCH_EN: 0
; COMPUTE_PGM_RSRC2:USER_SGPR: 6
; COMPUTE_PGM_RSRC2:TRAP_HANDLER: 0
; COMPUTE_PGM_RSRC2:TGID_X_EN: 1
; COMPUTE_PGM_RSRC2:TGID_Y_EN: 0
; COMPUTE_PGM_RSRC2:TGID_Z_EN: 0
; COMPUTE_PGM_RSRC2:TIDIG_COMP_CNT: 0
	.section	.text._ZN2at6native29vectorized_elementwise_kernelILi16ENS0_13AUnaryFunctorIN3c107complexINS3_4HalfEEES6_bNS0_12_GLOBAL__N_116CompareEqFunctorIS6_EEEESt5arrayIPcLm2EEEEviT0_T1_,"axG",@progbits,_ZN2at6native29vectorized_elementwise_kernelILi16ENS0_13AUnaryFunctorIN3c107complexINS3_4HalfEEES6_bNS0_12_GLOBAL__N_116CompareEqFunctorIS6_EEEESt5arrayIPcLm2EEEEviT0_T1_,comdat
	.globl	_ZN2at6native29vectorized_elementwise_kernelILi16ENS0_13AUnaryFunctorIN3c107complexINS3_4HalfEEES6_bNS0_12_GLOBAL__N_116CompareEqFunctorIS6_EEEESt5arrayIPcLm2EEEEviT0_T1_ ; -- Begin function _ZN2at6native29vectorized_elementwise_kernelILi16ENS0_13AUnaryFunctorIN3c107complexINS3_4HalfEEES6_bNS0_12_GLOBAL__N_116CompareEqFunctorIS6_EEEESt5arrayIPcLm2EEEEviT0_T1_
	.p2align	8
	.type	_ZN2at6native29vectorized_elementwise_kernelILi16ENS0_13AUnaryFunctorIN3c107complexINS3_4HalfEEES6_bNS0_12_GLOBAL__N_116CompareEqFunctorIS6_EEEESt5arrayIPcLm2EEEEviT0_T1_,@function
_ZN2at6native29vectorized_elementwise_kernelILi16ENS0_13AUnaryFunctorIN3c107complexINS3_4HalfEEES6_bNS0_12_GLOBAL__N_116CompareEqFunctorIS6_EEEESt5arrayIPcLm2EEEEviT0_T1_: ; @_ZN2at6native29vectorized_elementwise_kernelILi16ENS0_13AUnaryFunctorIN3c107complexINS3_4HalfEEES6_bNS0_12_GLOBAL__N_116CompareEqFunctorIS6_EEEESt5arrayIPcLm2EEEEviT0_T1_
; %bb.0:
	s_load_dwordx8 s[8:15], s[4:5], 0x0
	s_lshl_b32 s4, s6, 12
	s_mov_b64 s[0:1], -1
	s_waitcnt lgkmcnt(0)
	s_sub_i32 s11, s8, s4
	s_cmpk_gt_i32 s11, 0xfff
	s_cbranch_scc0 .LBB152_50
; %bb.1:
	s_ashr_i32 s5, s4, 31
	s_lshl_b64 s[0:1], s[4:5], 2
	s_add_u32 s0, s14, s0
	s_addc_u32 s1, s15, s1
	v_lshlrev_b32_e32 v17, 6, v0
	global_load_dwordx4 v[1:4], v17, s[0:1] offset:48
	global_load_dwordx4 v[5:8], v17, s[0:1] offset:32
	;; [unrolled: 1-line block ×3, first 2 shown]
	global_load_dwordx4 v[13:16], v17, s[0:1]
	s_lshr_b32 s8, s10, 16
	s_cmp_lg_u32 s9, 0
	s_cselect_b64 s[6:7], -1, 0
	s_and_b64 vcc, exec, s[6:7]
	s_cbranch_vccz .LBB152_196
; %bb.2:
	s_waitcnt vmcnt(0)
	v_cmp_neq_f16_e32 vcc, s10, v13
	v_cmp_neq_f16_sdwa s[0:1], s8, v13 src0_sel:DWORD src1_sel:WORD_1
	s_or_b64 s[2:3], vcc, s[0:1]
	s_cbranch_execnz .LBB152_4
.LBB152_3:
	s_waitcnt vmcnt(0)
	v_cmp_eq_f16_e32 vcc, s10, v13
	v_cmp_eq_f16_sdwa s[0:1], s8, v13 src0_sel:DWORD src1_sel:WORD_1
	s_and_b64 s[0:1], vcc, s[0:1]
	s_andn2_b64 s[2:3], s[2:3], exec
	s_and_b64 s[0:1], s[0:1], exec
	s_or_b64 s[2:3], s[2:3], s[0:1]
.LBB152_4:
	s_waitcnt vmcnt(0)
	v_cndmask_b32_e64 v13, 0, 1, s[6:7]
	v_cmp_ne_u32_e64 s[0:1], 1, v13
	s_andn2_b64 vcc, exec, s[6:7]
	s_cbranch_vccnz .LBB152_197
; %bb.5:
	v_cmp_neq_f16_e32 vcc, s10, v14
	v_cmp_neq_f16_sdwa s[6:7], s8, v14 src0_sel:DWORD src1_sel:WORD_1
	s_or_b64 s[6:7], vcc, s[6:7]
	s_cbranch_execnz .LBB152_7
.LBB152_6:
	v_cmp_eq_f16_e32 vcc, s10, v14
	v_cmp_eq_f16_sdwa s[16:17], s8, v14 src0_sel:DWORD src1_sel:WORD_1
	s_and_b64 s[16:17], vcc, s[16:17]
	s_andn2_b64 s[6:7], s[6:7], exec
	s_and_b64 s[16:17], s[16:17], exec
	s_or_b64 s[6:7], s[6:7], s[16:17]
.LBB152_7:
	s_and_b64 vcc, exec, s[0:1]
	s_cbranch_vccnz .LBB152_198
; %bb.8:
	v_cmp_neq_f16_e32 vcc, s10, v15
	v_cmp_neq_f16_sdwa s[16:17], s8, v15 src0_sel:DWORD src1_sel:WORD_1
	s_or_b64 s[16:17], vcc, s[16:17]
	s_cbranch_execnz .LBB152_10
.LBB152_9:
	v_cmp_eq_f16_e32 vcc, s10, v15
	v_cmp_eq_f16_sdwa s[18:19], s8, v15 src0_sel:DWORD src1_sel:WORD_1
	s_and_b64 s[18:19], vcc, s[18:19]
	s_andn2_b64 s[16:17], s[16:17], exec
	s_and_b64 s[18:19], s[18:19], exec
	s_or_b64 s[16:17], s[16:17], s[18:19]
.LBB152_10:
	s_and_b64 vcc, exec, s[0:1]
	s_cbranch_vccnz .LBB152_199
; %bb.11:
	v_cmp_neq_f16_e32 vcc, s10, v16
	v_cmp_neq_f16_sdwa s[18:19], s8, v16 src0_sel:DWORD src1_sel:WORD_1
	s_or_b64 s[18:19], vcc, s[18:19]
	s_cbranch_execnz .LBB152_13
.LBB152_12:
	v_cmp_eq_f16_e32 vcc, s10, v16
	v_cmp_eq_f16_sdwa s[20:21], s8, v16 src0_sel:DWORD src1_sel:WORD_1
	s_and_b64 s[20:21], vcc, s[20:21]
	s_andn2_b64 s[18:19], s[18:19], exec
	s_and_b64 s[20:21], s[20:21], exec
	s_or_b64 s[18:19], s[18:19], s[20:21]
.LBB152_13:
	s_and_b64 vcc, exec, s[0:1]
	s_cbranch_vccnz .LBB152_200
; %bb.14:
	v_cmp_neq_f16_e32 vcc, s10, v9
	v_cmp_neq_f16_sdwa s[20:21], s8, v9 src0_sel:DWORD src1_sel:WORD_1
	s_or_b64 s[20:21], vcc, s[20:21]
	s_cbranch_execnz .LBB152_16
.LBB152_15:
	v_cmp_eq_f16_e32 vcc, s10, v9
	v_cmp_eq_f16_sdwa s[22:23], s8, v9 src0_sel:DWORD src1_sel:WORD_1
	s_and_b64 s[22:23], vcc, s[22:23]
	s_andn2_b64 s[20:21], s[20:21], exec
	s_and_b64 s[22:23], s[22:23], exec
	s_or_b64 s[20:21], s[20:21], s[22:23]
.LBB152_16:
	s_and_b64 vcc, exec, s[0:1]
	s_cbranch_vccnz .LBB152_201
; %bb.17:
	v_cmp_neq_f16_e32 vcc, s10, v10
	v_cmp_neq_f16_sdwa s[22:23], s8, v10 src0_sel:DWORD src1_sel:WORD_1
	s_or_b64 s[22:23], vcc, s[22:23]
	s_cbranch_execnz .LBB152_19
.LBB152_18:
	v_cmp_eq_f16_e32 vcc, s10, v10
	v_cmp_eq_f16_sdwa s[24:25], s8, v10 src0_sel:DWORD src1_sel:WORD_1
	s_and_b64 s[24:25], vcc, s[24:25]
	s_andn2_b64 s[22:23], s[22:23], exec
	s_and_b64 s[24:25], s[24:25], exec
	s_or_b64 s[22:23], s[22:23], s[24:25]
.LBB152_19:
	s_and_b64 vcc, exec, s[0:1]
	s_cbranch_vccnz .LBB152_202
; %bb.20:
	v_cmp_neq_f16_e32 vcc, s10, v11
	v_cmp_neq_f16_sdwa s[24:25], s8, v11 src0_sel:DWORD src1_sel:WORD_1
	s_or_b64 s[24:25], vcc, s[24:25]
	s_cbranch_execnz .LBB152_22
.LBB152_21:
	v_cmp_eq_f16_e32 vcc, s10, v11
	v_cmp_eq_f16_sdwa s[26:27], s8, v11 src0_sel:DWORD src1_sel:WORD_1
	s_and_b64 s[26:27], vcc, s[26:27]
	s_andn2_b64 s[24:25], s[24:25], exec
	s_and_b64 s[26:27], s[26:27], exec
	s_or_b64 s[24:25], s[24:25], s[26:27]
.LBB152_22:
	s_and_b64 vcc, exec, s[0:1]
	s_cbranch_vccnz .LBB152_203
; %bb.23:
	v_cmp_neq_f16_e32 vcc, s10, v12
	v_cmp_neq_f16_sdwa s[26:27], s8, v12 src0_sel:DWORD src1_sel:WORD_1
	s_or_b64 s[26:27], vcc, s[26:27]
	s_cbranch_execnz .LBB152_25
.LBB152_24:
	v_cmp_eq_f16_e32 vcc, s10, v12
	v_cmp_eq_f16_sdwa s[28:29], s8, v12 src0_sel:DWORD src1_sel:WORD_1
	s_and_b64 s[28:29], vcc, s[28:29]
	s_andn2_b64 s[26:27], s[26:27], exec
	s_and_b64 s[28:29], s[28:29], exec
	s_or_b64 s[26:27], s[26:27], s[28:29]
.LBB152_25:
	s_and_b64 vcc, exec, s[0:1]
	s_cbranch_vccnz .LBB152_204
; %bb.26:
	v_cmp_neq_f16_e32 vcc, s10, v5
	v_cmp_neq_f16_sdwa s[28:29], s8, v5 src0_sel:DWORD src1_sel:WORD_1
	s_or_b64 s[28:29], vcc, s[28:29]
	s_cbranch_execnz .LBB152_28
.LBB152_27:
	v_cmp_eq_f16_e32 vcc, s10, v5
	v_cmp_eq_f16_sdwa s[30:31], s8, v5 src0_sel:DWORD src1_sel:WORD_1
	s_and_b64 s[30:31], vcc, s[30:31]
	s_andn2_b64 s[28:29], s[28:29], exec
	s_and_b64 s[30:31], s[30:31], exec
	s_or_b64 s[28:29], s[28:29], s[30:31]
.LBB152_28:
	s_and_b64 vcc, exec, s[0:1]
	s_cbranch_vccnz .LBB152_205
; %bb.29:
	v_cmp_neq_f16_e32 vcc, s10, v6
	v_cmp_neq_f16_sdwa s[30:31], s8, v6 src0_sel:DWORD src1_sel:WORD_1
	s_or_b64 s[30:31], vcc, s[30:31]
	s_cbranch_execnz .LBB152_31
.LBB152_30:
	v_cmp_eq_f16_e32 vcc, s10, v6
	v_cmp_eq_f16_sdwa s[34:35], s8, v6 src0_sel:DWORD src1_sel:WORD_1
	s_and_b64 s[34:35], vcc, s[34:35]
	s_andn2_b64 s[30:31], s[30:31], exec
	s_and_b64 s[34:35], s[34:35], exec
	s_or_b64 s[30:31], s[30:31], s[34:35]
.LBB152_31:
	s_and_b64 vcc, exec, s[0:1]
	s_cbranch_vccnz .LBB152_206
; %bb.32:
	v_cmp_neq_f16_e32 vcc, s10, v7
	v_cmp_neq_f16_sdwa s[34:35], s8, v7 src0_sel:DWORD src1_sel:WORD_1
	s_or_b64 s[34:35], vcc, s[34:35]
	s_cbranch_execnz .LBB152_34
.LBB152_33:
	v_cmp_eq_f16_e32 vcc, s10, v7
	v_cmp_eq_f16_sdwa s[36:37], s8, v7 src0_sel:DWORD src1_sel:WORD_1
	s_and_b64 s[36:37], vcc, s[36:37]
	s_andn2_b64 s[34:35], s[34:35], exec
	s_and_b64 s[36:37], s[36:37], exec
	s_or_b64 s[34:35], s[34:35], s[36:37]
.LBB152_34:
	s_and_b64 vcc, exec, s[0:1]
	s_cbranch_vccnz .LBB152_207
; %bb.35:
	v_cmp_neq_f16_e32 vcc, s10, v8
	v_cmp_neq_f16_sdwa s[36:37], s8, v8 src0_sel:DWORD src1_sel:WORD_1
	s_or_b64 s[36:37], vcc, s[36:37]
	s_cbranch_execnz .LBB152_37
.LBB152_36:
	v_cmp_eq_f16_e32 vcc, s10, v8
	v_cmp_eq_f16_sdwa s[38:39], s8, v8 src0_sel:DWORD src1_sel:WORD_1
	s_and_b64 s[38:39], vcc, s[38:39]
	s_andn2_b64 s[36:37], s[36:37], exec
	s_and_b64 s[38:39], s[38:39], exec
	s_or_b64 s[36:37], s[36:37], s[38:39]
.LBB152_37:
	s_and_b64 vcc, exec, s[0:1]
	s_cbranch_vccnz .LBB152_208
; %bb.38:
	v_cmp_neq_f16_e32 vcc, s10, v1
	v_cmp_neq_f16_sdwa s[38:39], s8, v1 src0_sel:DWORD src1_sel:WORD_1
	s_or_b64 s[38:39], vcc, s[38:39]
	s_cbranch_execnz .LBB152_40
.LBB152_39:
	v_cmp_eq_f16_e32 vcc, s10, v1
	v_cmp_eq_f16_sdwa s[40:41], s8, v1 src0_sel:DWORD src1_sel:WORD_1
	s_and_b64 s[40:41], vcc, s[40:41]
	s_andn2_b64 s[38:39], s[38:39], exec
	s_and_b64 s[40:41], s[40:41], exec
	s_or_b64 s[38:39], s[38:39], s[40:41]
.LBB152_40:
	s_and_b64 vcc, exec, s[0:1]
	s_cbranch_vccnz .LBB152_209
; %bb.41:
	v_cmp_neq_f16_e32 vcc, s10, v2
	v_cmp_neq_f16_sdwa s[40:41], s8, v2 src0_sel:DWORD src1_sel:WORD_1
	s_or_b64 s[40:41], vcc, s[40:41]
	s_cbranch_execnz .LBB152_43
.LBB152_42:
	v_cmp_eq_f16_e32 vcc, s10, v2
	v_cmp_eq_f16_sdwa s[42:43], s8, v2 src0_sel:DWORD src1_sel:WORD_1
	s_and_b64 s[42:43], vcc, s[42:43]
	s_andn2_b64 s[40:41], s[40:41], exec
	s_and_b64 s[42:43], s[42:43], exec
	s_or_b64 s[40:41], s[40:41], s[42:43]
.LBB152_43:
	s_and_b64 vcc, exec, s[0:1]
	s_cbranch_vccnz .LBB152_210
; %bb.44:
	v_cmp_neq_f16_e32 vcc, s10, v3
	v_cmp_neq_f16_sdwa s[42:43], s8, v3 src0_sel:DWORD src1_sel:WORD_1
	s_or_b64 s[42:43], vcc, s[42:43]
	s_cbranch_execnz .LBB152_46
.LBB152_45:
	v_cmp_eq_f16_e32 vcc, s10, v3
	v_cmp_eq_f16_sdwa s[44:45], s8, v3 src0_sel:DWORD src1_sel:WORD_1
	s_and_b64 s[44:45], vcc, s[44:45]
	s_andn2_b64 s[42:43], s[42:43], exec
	s_and_b64 s[44:45], s[44:45], exec
	s_or_b64 s[42:43], s[42:43], s[44:45]
.LBB152_46:
	s_and_b64 vcc, exec, s[0:1]
	s_cbranch_vccnz .LBB152_211
; %bb.47:
	v_cmp_neq_f16_e32 vcc, s10, v4
	v_cmp_neq_f16_sdwa s[0:1], s8, v4 src0_sel:DWORD src1_sel:WORD_1
	s_or_b64 s[0:1], vcc, s[0:1]
	s_cbranch_execnz .LBB152_49
.LBB152_48:
	v_cmp_eq_f16_e32 vcc, s10, v4
	v_cmp_eq_f16_sdwa s[44:45], s8, v4 src0_sel:DWORD src1_sel:WORD_1
	s_and_b64 s[44:45], vcc, s[44:45]
	s_andn2_b64 s[0:1], s[0:1], exec
	s_and_b64 s[44:45], s[44:45], exec
	s_or_b64 s[0:1], s[0:1], s[44:45]
.LBB152_49:
	v_cndmask_b32_e64 v1, 0, 1, s[6:7]
	v_lshlrev_b16_e32 v1, 8, v1
	v_cndmask_b32_e64 v2, 0, 1, s[2:3]
	v_or_b32_e32 v1, v2, v1
	v_cndmask_b32_e64 v2, 0, 1, s[18:19]
	v_lshlrev_b16_e32 v2, 8, v2
	v_cndmask_b32_e64 v3, 0, 1, s[16:17]
	v_or_b32_sdwa v2, v3, v2 dst_sel:WORD_1 dst_unused:UNUSED_PAD src0_sel:DWORD src1_sel:DWORD
	v_or_b32_sdwa v1, v1, v2 dst_sel:DWORD dst_unused:UNUSED_PAD src0_sel:WORD_0 src1_sel:DWORD
	v_cndmask_b32_e64 v2, 0, 1, s[22:23]
	v_lshlrev_b16_e32 v2, 8, v2
	v_cndmask_b32_e64 v3, 0, 1, s[20:21]
	v_or_b32_e32 v2, v3, v2
	v_cndmask_b32_e64 v3, 0, 1, s[26:27]
	v_lshlrev_b16_e32 v3, 8, v3
	v_cndmask_b32_e64 v4, 0, 1, s[24:25]
	v_or_b32_sdwa v3, v4, v3 dst_sel:WORD_1 dst_unused:UNUSED_PAD src0_sel:DWORD src1_sel:DWORD
	v_or_b32_sdwa v2, v2, v3 dst_sel:DWORD dst_unused:UNUSED_PAD src0_sel:WORD_0 src1_sel:DWORD
	;; [unrolled: 9-line block ×3, first 2 shown]
	v_cndmask_b32_e64 v4, 0, 1, s[40:41]
	v_lshlrev_b16_e32 v4, 8, v4
	v_cndmask_b32_e64 v6, 0, 1, s[38:39]
	v_or_b32_e32 v4, v6, v4
	v_cndmask_b32_e64 v6, 0, 1, s[0:1]
	v_lshlrev_b16_e32 v6, 8, v6
	v_cndmask_b32_e64 v7, 0, 1, s[42:43]
	s_add_u32 s44, s12, s4
	v_or_b32_sdwa v6, v7, v6 dst_sel:WORD_1 dst_unused:UNUSED_PAD src0_sel:DWORD src1_sel:DWORD
	s_addc_u32 s45, s13, s5
	v_lshlrev_b32_e32 v5, 4, v0
	v_or_b32_sdwa v4, v4, v6 dst_sel:DWORD dst_unused:UNUSED_PAD src0_sel:WORD_0 src1_sel:DWORD
	s_mov_b64 s[0:1], 0
	global_store_dwordx4 v5, v[1:4], s[44:45]
.LBB152_50:
	s_and_b64 vcc, exec, s[0:1]
	s_cbranch_vccz .LBB152_195
; %bb.51:
	v_cmp_gt_i32_e64 s[0:1], s11, v0
	v_mov_b32_e32 v4, 0
	v_or_b32_e32 v1, s4, v0
	v_mov_b32_e32 v5, 0
	v_mov_b32_e32 v6, 0
	;; [unrolled: 1-line block ×15, first 2 shown]
	s_and_saveexec_b64 s[2:3], s[0:1]
	s_cbranch_execz .LBB152_83
; %bb.52:
	v_mov_b32_e32 v2, 0
	v_lshlrev_b64 v[3:4], 2, v[1:2]
	v_mov_b32_e32 v5, s15
	v_add_co_u32_e32 v3, vcc, s14, v3
	v_addc_co_u32_e32 v4, vcc, v5, v4, vcc
	global_load_dword v20, v[3:4], off
	v_or_b32_e32 v3, 0x100, v0
	v_cmp_gt_u32_e32 vcc, s11, v3
	v_mov_b32_e32 v15, v2
	v_mov_b32_e32 v19, v2
	;; [unrolled: 1-line block ×14, first 2 shown]
	s_and_saveexec_b64 s[6:7], vcc
	s_cbranch_execz .LBB152_82
; %bb.53:
	v_add_u32_e32 v14, s4, v0
	v_mov_b32_e32 v15, 0
	v_lshlrev_b64 v[2:3], 2, v[14:15]
	v_mov_b32_e32 v4, s15
	v_add_co_u32_e32 v16, vcc, s14, v2
	v_addc_co_u32_e32 v17, vcc, v4, v3, vcc
	global_load_dword v2, v[16:17], off offset:1024
	v_or_b32_e32 v3, 0x200, v0
	v_cmp_gt_u32_e32 vcc, s11, v3
	v_mov_b32_e32 v19, v15
	v_mov_b32_e32 v18, v15
	;; [unrolled: 1-line block ×13, first 2 shown]
	s_and_saveexec_b64 s[16:17], vcc
	s_cbranch_execz .LBB152_81
; %bb.54:
	global_load_dword v15, v[16:17], off offset:2048
	v_or_b32_e32 v3, 0x300, v0
	v_cmp_gt_u32_e32 vcc, s11, v3
	v_mov_b32_e32 v19, 0
	v_mov_b32_e32 v18, 0
	;; [unrolled: 1-line block ×13, first 2 shown]
	s_and_saveexec_b64 s[18:19], vcc
	s_cbranch_execz .LBB152_80
; %bb.55:
	global_load_dword v19, v[16:17], off offset:3072
	v_or_b32_e32 v3, 0x400, v0
	v_cmp_gt_u32_e32 vcc, s11, v3
	v_mov_b32_e32 v18, 0
	v_mov_b32_e32 v14, 0
	;; [unrolled: 1-line block ×12, first 2 shown]
	s_and_saveexec_b64 s[20:21], vcc
	s_cbranch_execz .LBB152_79
; %bb.56:
	v_or_b32_e32 v13, s4, v3
	v_mov_b32_e32 v14, 0
	v_lshlrev_b64 v[3:4], 2, v[13:14]
	v_mov_b32_e32 v5, s15
	v_add_co_u32_e32 v3, vcc, s14, v3
	v_addc_co_u32_e32 v4, vcc, v5, v4, vcc
	global_load_dword v18, v[3:4], off
	v_or_b32_e32 v3, 0x500, v0
	v_cmp_gt_u32_e32 vcc, s11, v3
	v_mov_b32_e32 v13, v14
	v_mov_b32_e32 v12, v14
	;; [unrolled: 1-line block ×10, first 2 shown]
	s_and_saveexec_b64 s[22:23], vcc
	s_cbranch_execz .LBB152_78
; %bb.57:
	v_or_b32_e32 v12, s4, v3
	v_mov_b32_e32 v13, 0
	v_lshlrev_b64 v[3:4], 2, v[12:13]
	v_mov_b32_e32 v5, s15
	v_add_co_u32_e32 v3, vcc, s14, v3
	v_addc_co_u32_e32 v4, vcc, v5, v4, vcc
	global_load_dword v14, v[3:4], off
	v_or_b32_e32 v3, 0x600, v0
	v_cmp_gt_u32_e32 vcc, s11, v3
	v_mov_b32_e32 v12, v13
	v_mov_b32_e32 v11, v13
	;; [unrolled: 1-line block ×9, first 2 shown]
	s_and_saveexec_b64 s[24:25], vcc
	s_cbranch_execz .LBB152_77
; %bb.58:
	v_or_b32_e32 v11, s4, v3
	v_mov_b32_e32 v12, 0
	v_lshlrev_b64 v[3:4], 2, v[11:12]
	v_mov_b32_e32 v5, s15
	v_add_co_u32_e32 v3, vcc, s14, v3
	v_addc_co_u32_e32 v4, vcc, v5, v4, vcc
	global_load_dword v13, v[3:4], off
	v_or_b32_e32 v3, 0x700, v0
	v_cmp_gt_u32_e32 vcc, s11, v3
	v_mov_b32_e32 v11, v12
	v_mov_b32_e32 v10, v12
	;; [unrolled: 1-line block ×8, first 2 shown]
	s_and_saveexec_b64 s[26:27], vcc
	s_cbranch_execz .LBB152_76
; %bb.59:
	v_or_b32_e32 v10, s4, v3
	v_mov_b32_e32 v11, 0
	v_lshlrev_b64 v[3:4], 2, v[10:11]
	v_mov_b32_e32 v5, s15
	v_add_co_u32_e32 v3, vcc, s14, v3
	v_addc_co_u32_e32 v4, vcc, v5, v4, vcc
	global_load_dword v12, v[3:4], off
	v_or_b32_e32 v3, 0x800, v0
	v_cmp_gt_u32_e32 vcc, s11, v3
	v_mov_b32_e32 v10, v11
	v_mov_b32_e32 v9, v11
	;; [unrolled: 1-line block ×7, first 2 shown]
	s_and_saveexec_b64 s[28:29], vcc
	s_cbranch_execz .LBB152_75
; %bb.60:
	v_or_b32_e32 v9, s4, v3
	v_mov_b32_e32 v10, 0
	v_lshlrev_b64 v[3:4], 2, v[9:10]
	v_mov_b32_e32 v5, s15
	v_add_co_u32_e32 v3, vcc, s14, v3
	v_addc_co_u32_e32 v4, vcc, v5, v4, vcc
	global_load_dword v11, v[3:4], off
	v_or_b32_e32 v3, 0x900, v0
	v_cmp_gt_u32_e32 vcc, s11, v3
	v_mov_b32_e32 v9, v10
	v_mov_b32_e32 v8, v10
	;; [unrolled: 1-line block ×6, first 2 shown]
	s_and_saveexec_b64 s[30:31], vcc
	s_cbranch_execz .LBB152_74
; %bb.61:
	v_or_b32_e32 v8, s4, v3
	v_mov_b32_e32 v9, 0
	v_lshlrev_b64 v[3:4], 2, v[8:9]
	v_mov_b32_e32 v5, s15
	v_add_co_u32_e32 v3, vcc, s14, v3
	v_addc_co_u32_e32 v4, vcc, v5, v4, vcc
	global_load_dword v10, v[3:4], off
	v_or_b32_e32 v3, 0xa00, v0
	v_cmp_gt_u32_e32 vcc, s11, v3
	v_mov_b32_e32 v8, v9
	v_mov_b32_e32 v7, v9
	;; [unrolled: 1-line block ×5, first 2 shown]
	s_and_saveexec_b64 s[34:35], vcc
	s_cbranch_execz .LBB152_73
; %bb.62:
	v_or_b32_e32 v7, s4, v3
	v_mov_b32_e32 v8, 0
	v_lshlrev_b64 v[3:4], 2, v[7:8]
	v_mov_b32_e32 v5, s15
	v_add_co_u32_e32 v3, vcc, s14, v3
	v_addc_co_u32_e32 v4, vcc, v5, v4, vcc
	global_load_dword v9, v[3:4], off
	v_or_b32_e32 v3, 0xb00, v0
	v_cmp_gt_u32_e32 vcc, s11, v3
	v_mov_b32_e32 v7, v8
	v_mov_b32_e32 v6, v8
	;; [unrolled: 1-line block ×4, first 2 shown]
	s_and_saveexec_b64 s[36:37], vcc
	s_cbranch_execz .LBB152_72
; %bb.63:
	v_or_b32_e32 v6, s4, v3
	v_mov_b32_e32 v7, 0
	v_lshlrev_b64 v[3:4], 2, v[6:7]
	v_mov_b32_e32 v5, s15
	v_add_co_u32_e32 v3, vcc, s14, v3
	v_addc_co_u32_e32 v4, vcc, v5, v4, vcc
	global_load_dword v8, v[3:4], off
	v_or_b32_e32 v3, 0xc00, v0
	v_cmp_gt_u32_e32 vcc, s11, v3
	v_mov_b32_e32 v6, v7
	v_mov_b32_e32 v5, v7
	;; [unrolled: 1-line block ×3, first 2 shown]
	s_and_saveexec_b64 s[38:39], vcc
	s_cbranch_execz .LBB152_71
; %bb.64:
	v_or_b32_e32 v5, s4, v3
	v_mov_b32_e32 v6, 0
	v_lshlrev_b64 v[3:4], 2, v[5:6]
	v_mov_b32_e32 v5, s15
	v_add_co_u32_e32 v3, vcc, s14, v3
	v_addc_co_u32_e32 v4, vcc, v5, v4, vcc
	global_load_dword v7, v[3:4], off
	v_or_b32_e32 v3, 0xd00, v0
	v_cmp_gt_u32_e32 vcc, s11, v3
	v_mov_b32_e32 v5, v6
	v_mov_b32_e32 v4, v6
	s_and_saveexec_b64 s[40:41], vcc
	s_cbranch_execz .LBB152_70
; %bb.65:
	v_add_u32_e32 v4, s4, v3
	v_mov_b32_e32 v5, 0
	v_lshlrev_b64 v[3:4], 2, v[4:5]
	v_mov_b32_e32 v6, s15
	v_add_co_u32_e32 v3, vcc, s14, v3
	v_addc_co_u32_e32 v4, vcc, v6, v4, vcc
	global_load_dword v6, v[3:4], off
	v_or_b32_e32 v3, 0xe00, v0
	v_cmp_gt_u32_e32 vcc, s11, v3
	v_mov_b32_e32 v4, v5
	s_and_saveexec_b64 s[42:43], vcc
	s_cbranch_execz .LBB152_69
; %bb.66:
	v_add_u32_e32 v3, s4, v3
	v_mov_b32_e32 v4, 0
	v_lshlrev_b64 v[16:17], 2, v[3:4]
	v_mov_b32_e32 v3, s15
	v_add_co_u32_e32 v16, vcc, s14, v16
	v_addc_co_u32_e32 v17, vcc, v3, v17, vcc
	global_load_dword v5, v[16:17], off
	v_or_b32_e32 v3, 0xf00, v0
	v_cmp_gt_u32_e32 vcc, s11, v3
	s_and_saveexec_b64 s[44:45], vcc
	s_cbranch_execz .LBB152_68
; %bb.67:
	v_add_u32_e32 v3, s4, v3
	v_mov_b32_e32 v4, 0
	v_lshlrev_b64 v[3:4], 2, v[3:4]
	v_mov_b32_e32 v16, s15
	v_add_co_u32_e32 v3, vcc, s14, v3
	v_addc_co_u32_e32 v4, vcc, v16, v4, vcc
	global_load_dword v4, v[3:4], off
.LBB152_68:
	s_or_b64 exec, exec, s[44:45]
.LBB152_69:
	s_or_b64 exec, exec, s[42:43]
.LBB152_70:
	s_or_b64 exec, exec, s[40:41]
.LBB152_71:
	s_or_b64 exec, exec, s[38:39]
.LBB152_72:
	s_or_b64 exec, exec, s[36:37]
.LBB152_73:
	s_or_b64 exec, exec, s[34:35]
.LBB152_74:
	s_or_b64 exec, exec, s[30:31]
.LBB152_75:
	s_or_b64 exec, exec, s[28:29]
.LBB152_76:
	s_or_b64 exec, exec, s[26:27]
.LBB152_77:
	s_or_b64 exec, exec, s[24:25]
.LBB152_78:
	s_or_b64 exec, exec, s[22:23]
.LBB152_79:
	s_or_b64 exec, exec, s[20:21]
.LBB152_80:
	s_or_b64 exec, exec, s[18:19]
.LBB152_81:
	s_or_b64 exec, exec, s[16:17]
.LBB152_82:
	s_or_b64 exec, exec, s[6:7]
.LBB152_83:
	s_or_b64 exec, exec, s[2:3]
	s_lshr_b32 s5, s10, 16
	s_cmp_lg_u32 s9, 0
	s_cselect_b64 s[2:3], -1, 0
                                        ; implicit-def: $vgpr3
	s_and_saveexec_b64 s[6:7], s[0:1]
	s_cbranch_execz .LBB152_88
; %bb.84:
	s_and_b64 vcc, exec, s[2:3]
	s_cbranch_vccz .LBB152_212
; %bb.85:
	s_waitcnt vmcnt(0)
	v_cmp_neq_f16_e32 vcc, s10, v20
	v_cmp_neq_f16_sdwa s[8:9], s5, v20 src0_sel:DWORD src1_sel:WORD_1
	s_or_b64 s[8:9], vcc, s[8:9]
	s_cbranch_execnz .LBB152_87
.LBB152_86:
	s_waitcnt vmcnt(0)
	v_cmp_eq_f16_e32 vcc, s10, v20
	v_cmp_eq_f16_sdwa s[14:15], s5, v20 src0_sel:DWORD src1_sel:WORD_1
	s_and_b64 s[14:15], vcc, s[14:15]
	s_andn2_b64 s[8:9], s[8:9], exec
	s_and_b64 s[14:15], s[14:15], exec
	s_or_b64 s[8:9], s[8:9], s[14:15]
.LBB152_87:
	v_cndmask_b32_e64 v3, 0, 1, s[8:9]
.LBB152_88:
	s_or_b64 exec, exec, s[6:7]
	v_or_b32_e32 v16, 0x100, v0
	v_cndmask_b32_e64 v17, 0, 1, s[2:3]
	v_cmp_gt_i32_e32 vcc, s11, v16
	v_cmp_ne_u32_e64 s[2:3], 1, v17
                                        ; implicit-def: $vgpr17
	s_and_saveexec_b64 s[6:7], vcc
	s_cbranch_execz .LBB152_93
; %bb.89:
	s_and_b64 vcc, exec, s[2:3]
	s_cbranch_vccnz .LBB152_213
; %bb.90:
	s_waitcnt vmcnt(0)
	v_cmp_neq_f16_e32 vcc, s10, v2
	v_cmp_neq_f16_sdwa s[8:9], s5, v2 src0_sel:DWORD src1_sel:WORD_1
	s_or_b64 s[8:9], vcc, s[8:9]
	s_cbranch_execnz .LBB152_92
.LBB152_91:
	s_waitcnt vmcnt(0)
	v_cmp_eq_f16_e32 vcc, s10, v2
	v_cmp_eq_f16_sdwa s[14:15], s5, v2 src0_sel:DWORD src1_sel:WORD_1
	s_and_b64 s[14:15], vcc, s[14:15]
	s_andn2_b64 s[8:9], s[8:9], exec
	s_and_b64 s[14:15], s[14:15], exec
	s_or_b64 s[8:9], s[8:9], s[14:15]
.LBB152_92:
	v_cndmask_b32_e64 v17, 0, 1, s[8:9]
.LBB152_93:
	s_or_b64 exec, exec, s[6:7]
	s_waitcnt vmcnt(0)
	v_or_b32_e32 v2, 0x200, v0
	v_cmp_gt_i32_e32 vcc, s11, v2
                                        ; implicit-def: $vgpr2
	s_and_saveexec_b64 s[6:7], vcc
	s_cbranch_execz .LBB152_98
; %bb.94:
	s_and_b64 vcc, exec, s[2:3]
	s_cbranch_vccnz .LBB152_214
; %bb.95:
	v_cmp_neq_f16_e32 vcc, s10, v15
	v_cmp_neq_f16_sdwa s[8:9], s5, v15 src0_sel:DWORD src1_sel:WORD_1
	s_or_b64 s[8:9], vcc, s[8:9]
	s_cbranch_execnz .LBB152_97
.LBB152_96:
	v_cmp_eq_f16_e32 vcc, s10, v15
	v_cmp_eq_f16_sdwa s[14:15], s5, v15 src0_sel:DWORD src1_sel:WORD_1
	s_and_b64 s[14:15], vcc, s[14:15]
	s_andn2_b64 s[8:9], s[8:9], exec
	s_and_b64 s[14:15], s[14:15], exec
	s_or_b64 s[8:9], s[8:9], s[14:15]
.LBB152_97:
	v_cndmask_b32_e64 v2, 0, 1, s[8:9]
.LBB152_98:
	s_or_b64 exec, exec, s[6:7]
	v_or_b32_e32 v15, 0x300, v0
	v_cmp_gt_i32_e32 vcc, s11, v15
                                        ; implicit-def: $vgpr15
	s_and_saveexec_b64 s[6:7], vcc
	s_cbranch_execz .LBB152_103
; %bb.99:
	s_and_b64 vcc, exec, s[2:3]
	s_cbranch_vccnz .LBB152_215
; %bb.100:
	v_cmp_neq_f16_e32 vcc, s10, v19
	v_cmp_neq_f16_sdwa s[8:9], s5, v19 src0_sel:DWORD src1_sel:WORD_1
	s_or_b64 s[8:9], vcc, s[8:9]
	s_cbranch_execnz .LBB152_102
.LBB152_101:
	v_cmp_eq_f16_e32 vcc, s10, v19
	v_cmp_eq_f16_sdwa s[14:15], s5, v19 src0_sel:DWORD src1_sel:WORD_1
	s_and_b64 s[14:15], vcc, s[14:15]
	s_andn2_b64 s[8:9], s[8:9], exec
	s_and_b64 s[14:15], s[14:15], exec
	s_or_b64 s[8:9], s[8:9], s[14:15]
.LBB152_102:
	v_cndmask_b32_e64 v15, 0, 1, s[8:9]
.LBB152_103:
	s_or_b64 exec, exec, s[6:7]
	v_or_b32_e32 v19, 0x400, v0
	v_cmp_gt_i32_e32 vcc, s11, v19
                                        ; implicit-def: $vgpr19
	s_and_saveexec_b64 s[6:7], vcc
	s_cbranch_execz .LBB152_108
; %bb.104:
	s_and_b64 vcc, exec, s[2:3]
	s_cbranch_vccnz .LBB152_216
; %bb.105:
	v_cmp_neq_f16_e32 vcc, s10, v18
	v_cmp_neq_f16_sdwa s[8:9], s5, v18 src0_sel:DWORD src1_sel:WORD_1
	s_or_b64 s[8:9], vcc, s[8:9]
	s_cbranch_execnz .LBB152_107
.LBB152_106:
	v_cmp_eq_f16_e32 vcc, s10, v18
	v_cmp_eq_f16_sdwa s[14:15], s5, v18 src0_sel:DWORD src1_sel:WORD_1
	s_and_b64 s[14:15], vcc, s[14:15]
	s_andn2_b64 s[8:9], s[8:9], exec
	s_and_b64 s[14:15], s[14:15], exec
	s_or_b64 s[8:9], s[8:9], s[14:15]
.LBB152_107:
	v_cndmask_b32_e64 v19, 0, 1, s[8:9]
.LBB152_108:
	s_or_b64 exec, exec, s[6:7]
	v_or_b32_e32 v18, 0x500, v0
	v_cmp_gt_i32_e32 vcc, s11, v18
                                        ; implicit-def: $vgpr18
	s_and_saveexec_b64 s[6:7], vcc
	s_cbranch_execz .LBB152_113
; %bb.109:
	s_and_b64 vcc, exec, s[2:3]
	s_cbranch_vccnz .LBB152_217
; %bb.110:
	v_cmp_neq_f16_e32 vcc, s10, v14
	v_cmp_neq_f16_sdwa s[8:9], s5, v14 src0_sel:DWORD src1_sel:WORD_1
	s_or_b64 s[8:9], vcc, s[8:9]
	s_cbranch_execnz .LBB152_112
.LBB152_111:
	v_cmp_eq_f16_e32 vcc, s10, v14
	v_cmp_eq_f16_sdwa s[14:15], s5, v14 src0_sel:DWORD src1_sel:WORD_1
	s_and_b64 s[14:15], vcc, s[14:15]
	s_andn2_b64 s[8:9], s[8:9], exec
	s_and_b64 s[14:15], s[14:15], exec
	s_or_b64 s[8:9], s[8:9], s[14:15]
.LBB152_112:
	v_cndmask_b32_e64 v18, 0, 1, s[8:9]
.LBB152_113:
	s_or_b64 exec, exec, s[6:7]
	v_or_b32_e32 v14, 0x600, v0
	v_cmp_gt_i32_e32 vcc, s11, v14
                                        ; implicit-def: $vgpr14
	s_and_saveexec_b64 s[6:7], vcc
	s_cbranch_execz .LBB152_118
; %bb.114:
	s_and_b64 vcc, exec, s[2:3]
	s_cbranch_vccnz .LBB152_218
; %bb.115:
	v_cmp_neq_f16_e32 vcc, s10, v13
	v_cmp_neq_f16_sdwa s[8:9], s5, v13 src0_sel:DWORD src1_sel:WORD_1
	s_or_b64 s[8:9], vcc, s[8:9]
	s_cbranch_execnz .LBB152_117
.LBB152_116:
	v_cmp_eq_f16_e32 vcc, s10, v13
	v_cmp_eq_f16_sdwa s[14:15], s5, v13 src0_sel:DWORD src1_sel:WORD_1
	s_and_b64 s[14:15], vcc, s[14:15]
	s_andn2_b64 s[8:9], s[8:9], exec
	s_and_b64 s[14:15], s[14:15], exec
	s_or_b64 s[8:9], s[8:9], s[14:15]
.LBB152_117:
	v_cndmask_b32_e64 v14, 0, 1, s[8:9]
.LBB152_118:
	s_or_b64 exec, exec, s[6:7]
	v_or_b32_e32 v13, 0x700, v0
	v_cmp_gt_i32_e32 vcc, s11, v13
                                        ; implicit-def: $vgpr13
	s_and_saveexec_b64 s[6:7], vcc
	s_cbranch_execz .LBB152_123
; %bb.119:
	s_and_b64 vcc, exec, s[2:3]
	s_cbranch_vccnz .LBB152_219
; %bb.120:
	v_cmp_neq_f16_e32 vcc, s10, v12
	v_cmp_neq_f16_sdwa s[8:9], s5, v12 src0_sel:DWORD src1_sel:WORD_1
	s_or_b64 s[8:9], vcc, s[8:9]
	s_cbranch_execnz .LBB152_122
.LBB152_121:
	v_cmp_eq_f16_e32 vcc, s10, v12
	v_cmp_eq_f16_sdwa s[14:15], s5, v12 src0_sel:DWORD src1_sel:WORD_1
	s_and_b64 s[14:15], vcc, s[14:15]
	s_andn2_b64 s[8:9], s[8:9], exec
	s_and_b64 s[14:15], s[14:15], exec
	s_or_b64 s[8:9], s[8:9], s[14:15]
.LBB152_122:
	v_cndmask_b32_e64 v13, 0, 1, s[8:9]
.LBB152_123:
	s_or_b64 exec, exec, s[6:7]
	v_or_b32_e32 v12, 0x800, v0
	v_cmp_gt_i32_e32 vcc, s11, v12
                                        ; implicit-def: $vgpr12
	s_and_saveexec_b64 s[6:7], vcc
	s_cbranch_execz .LBB152_128
; %bb.124:
	s_and_b64 vcc, exec, s[2:3]
	s_cbranch_vccnz .LBB152_220
; %bb.125:
	v_cmp_neq_f16_e32 vcc, s10, v11
	v_cmp_neq_f16_sdwa s[8:9], s5, v11 src0_sel:DWORD src1_sel:WORD_1
	s_or_b64 s[8:9], vcc, s[8:9]
	s_cbranch_execnz .LBB152_127
.LBB152_126:
	v_cmp_eq_f16_e32 vcc, s10, v11
	v_cmp_eq_f16_sdwa s[14:15], s5, v11 src0_sel:DWORD src1_sel:WORD_1
	s_and_b64 s[14:15], vcc, s[14:15]
	s_andn2_b64 s[8:9], s[8:9], exec
	s_and_b64 s[14:15], s[14:15], exec
	s_or_b64 s[8:9], s[8:9], s[14:15]
.LBB152_127:
	v_cndmask_b32_e64 v12, 0, 1, s[8:9]
.LBB152_128:
	s_or_b64 exec, exec, s[6:7]
	v_or_b32_e32 v11, 0x900, v0
	v_cmp_gt_i32_e32 vcc, s11, v11
                                        ; implicit-def: $vgpr11
	s_and_saveexec_b64 s[6:7], vcc
	s_cbranch_execz .LBB152_133
; %bb.129:
	s_and_b64 vcc, exec, s[2:3]
	s_cbranch_vccnz .LBB152_221
; %bb.130:
	v_cmp_neq_f16_e32 vcc, s10, v10
	v_cmp_neq_f16_sdwa s[8:9], s5, v10 src0_sel:DWORD src1_sel:WORD_1
	s_or_b64 s[8:9], vcc, s[8:9]
	s_cbranch_execnz .LBB152_132
.LBB152_131:
	v_cmp_eq_f16_e32 vcc, s10, v10
	v_cmp_eq_f16_sdwa s[14:15], s5, v10 src0_sel:DWORD src1_sel:WORD_1
	s_and_b64 s[14:15], vcc, s[14:15]
	s_andn2_b64 s[8:9], s[8:9], exec
	s_and_b64 s[14:15], s[14:15], exec
	s_or_b64 s[8:9], s[8:9], s[14:15]
.LBB152_132:
	v_cndmask_b32_e64 v11, 0, 1, s[8:9]
.LBB152_133:
	s_or_b64 exec, exec, s[6:7]
	v_or_b32_e32 v10, 0xa00, v0
	v_cmp_gt_i32_e32 vcc, s11, v10
                                        ; implicit-def: $vgpr10
	s_and_saveexec_b64 s[6:7], vcc
	s_cbranch_execz .LBB152_138
; %bb.134:
	s_and_b64 vcc, exec, s[2:3]
	s_cbranch_vccnz .LBB152_222
; %bb.135:
	v_cmp_neq_f16_e32 vcc, s10, v9
	v_cmp_neq_f16_sdwa s[8:9], s5, v9 src0_sel:DWORD src1_sel:WORD_1
	s_or_b64 s[8:9], vcc, s[8:9]
	s_cbranch_execnz .LBB152_137
.LBB152_136:
	v_cmp_eq_f16_e32 vcc, s10, v9
	v_cmp_eq_f16_sdwa s[14:15], s5, v9 src0_sel:DWORD src1_sel:WORD_1
	s_and_b64 s[14:15], vcc, s[14:15]
	s_andn2_b64 s[8:9], s[8:9], exec
	s_and_b64 s[14:15], s[14:15], exec
	s_or_b64 s[8:9], s[8:9], s[14:15]
.LBB152_137:
	v_cndmask_b32_e64 v10, 0, 1, s[8:9]
.LBB152_138:
	s_or_b64 exec, exec, s[6:7]
	v_or_b32_e32 v9, 0xb00, v0
	v_cmp_gt_i32_e32 vcc, s11, v9
                                        ; implicit-def: $vgpr9
	s_and_saveexec_b64 s[6:7], vcc
	s_cbranch_execz .LBB152_143
; %bb.139:
	s_and_b64 vcc, exec, s[2:3]
	s_cbranch_vccnz .LBB152_223
; %bb.140:
	v_cmp_neq_f16_e32 vcc, s10, v8
	v_cmp_neq_f16_sdwa s[8:9], s5, v8 src0_sel:DWORD src1_sel:WORD_1
	s_or_b64 s[8:9], vcc, s[8:9]
	s_cbranch_execnz .LBB152_142
.LBB152_141:
	v_cmp_eq_f16_e32 vcc, s10, v8
	v_cmp_eq_f16_sdwa s[14:15], s5, v8 src0_sel:DWORD src1_sel:WORD_1
	s_and_b64 s[14:15], vcc, s[14:15]
	s_andn2_b64 s[8:9], s[8:9], exec
	s_and_b64 s[14:15], s[14:15], exec
	s_or_b64 s[8:9], s[8:9], s[14:15]
.LBB152_142:
	v_cndmask_b32_e64 v9, 0, 1, s[8:9]
.LBB152_143:
	s_or_b64 exec, exec, s[6:7]
	v_or_b32_e32 v8, 0xc00, v0
	v_cmp_gt_i32_e32 vcc, s11, v8
                                        ; implicit-def: $vgpr8
	s_and_saveexec_b64 s[6:7], vcc
	s_cbranch_execz .LBB152_148
; %bb.144:
	s_and_b64 vcc, exec, s[2:3]
	s_cbranch_vccnz .LBB152_224
; %bb.145:
	v_cmp_neq_f16_e32 vcc, s10, v7
	v_cmp_neq_f16_sdwa s[8:9], s5, v7 src0_sel:DWORD src1_sel:WORD_1
	s_or_b64 s[8:9], vcc, s[8:9]
	s_cbranch_execnz .LBB152_147
.LBB152_146:
	v_cmp_eq_f16_e32 vcc, s10, v7
	v_cmp_eq_f16_sdwa s[14:15], s5, v7 src0_sel:DWORD src1_sel:WORD_1
	s_and_b64 s[14:15], vcc, s[14:15]
	s_andn2_b64 s[8:9], s[8:9], exec
	s_and_b64 s[14:15], s[14:15], exec
	s_or_b64 s[8:9], s[8:9], s[14:15]
.LBB152_147:
	v_cndmask_b32_e64 v8, 0, 1, s[8:9]
.LBB152_148:
	s_or_b64 exec, exec, s[6:7]
	v_or_b32_e32 v7, 0xd00, v0
	v_cmp_gt_i32_e32 vcc, s11, v7
                                        ; implicit-def: $vgpr7
	s_and_saveexec_b64 s[6:7], vcc
	s_cbranch_execz .LBB152_153
; %bb.149:
	s_and_b64 vcc, exec, s[2:3]
	s_cbranch_vccnz .LBB152_225
; %bb.150:
	v_cmp_neq_f16_e32 vcc, s10, v6
	v_cmp_neq_f16_sdwa s[8:9], s5, v6 src0_sel:DWORD src1_sel:WORD_1
	s_or_b64 s[8:9], vcc, s[8:9]
	s_cbranch_execnz .LBB152_152
.LBB152_151:
	v_cmp_eq_f16_e32 vcc, s10, v6
	v_cmp_eq_f16_sdwa s[14:15], s5, v6 src0_sel:DWORD src1_sel:WORD_1
	s_and_b64 s[14:15], vcc, s[14:15]
	s_andn2_b64 s[8:9], s[8:9], exec
	s_and_b64 s[14:15], s[14:15], exec
	s_or_b64 s[8:9], s[8:9], s[14:15]
.LBB152_152:
	v_cndmask_b32_e64 v7, 0, 1, s[8:9]
.LBB152_153:
	s_or_b64 exec, exec, s[6:7]
	v_or_b32_e32 v6, 0xe00, v0
	v_cmp_gt_i32_e32 vcc, s11, v6
                                        ; implicit-def: $vgpr6
	s_and_saveexec_b64 s[6:7], vcc
	s_cbranch_execz .LBB152_158
; %bb.154:
	s_and_b64 vcc, exec, s[2:3]
	s_cbranch_vccnz .LBB152_226
; %bb.155:
	v_cmp_neq_f16_e32 vcc, s10, v5
	v_cmp_neq_f16_sdwa s[8:9], s5, v5 src0_sel:DWORD src1_sel:WORD_1
	s_or_b64 s[8:9], vcc, s[8:9]
	s_cbranch_execnz .LBB152_157
.LBB152_156:
	v_cmp_eq_f16_e32 vcc, s10, v5
	v_cmp_eq_f16_sdwa s[14:15], s5, v5 src0_sel:DWORD src1_sel:WORD_1
	s_and_b64 s[14:15], vcc, s[14:15]
	s_andn2_b64 s[8:9], s[8:9], exec
	s_and_b64 s[14:15], s[14:15], exec
	s_or_b64 s[8:9], s[8:9], s[14:15]
.LBB152_157:
	v_cndmask_b32_e64 v6, 0, 1, s[8:9]
.LBB152_158:
	s_or_b64 exec, exec, s[6:7]
	v_or_b32_e32 v5, 0xf00, v0
	v_cmp_gt_i32_e32 vcc, s11, v5
                                        ; implicit-def: $vgpr5
	s_and_saveexec_b64 s[6:7], vcc
	s_cbranch_execz .LBB152_163
; %bb.159:
	s_and_b64 vcc, exec, s[2:3]
	s_cbranch_vccnz .LBB152_227
; %bb.160:
	v_cmp_neq_f16_e32 vcc, s10, v4
	v_cmp_neq_f16_sdwa s[2:3], s5, v4 src0_sel:DWORD src1_sel:WORD_1
	s_or_b64 s[2:3], vcc, s[2:3]
	s_cbranch_execnz .LBB152_162
.LBB152_161:
	v_cmp_eq_f16_e32 vcc, s10, v4
	v_cmp_eq_f16_sdwa s[8:9], s5, v4 src0_sel:DWORD src1_sel:WORD_1
	s_and_b64 s[8:9], vcc, s[8:9]
	s_andn2_b64 s[2:3], s[2:3], exec
	s_and_b64 s[8:9], s[8:9], exec
	s_or_b64 s[2:3], s[2:3], s[8:9]
.LBB152_162:
	v_cndmask_b32_e64 v5, 0, 1, s[2:3]
.LBB152_163:
	s_or_b64 exec, exec, s[6:7]
	s_and_saveexec_b64 s[2:3], s[0:1]
	s_xor_b64 s[0:1], exec, s[2:3]
	s_cbranch_execz .LBB152_165
; %bb.164:
	v_mov_b32_e32 v0, v16
	global_store_byte v1, v3, s[12:13]
.LBB152_165:
	s_or_b64 exec, exec, s[0:1]
	v_cmp_gt_i32_e32 vcc, s11, v0
	s_and_saveexec_b64 s[0:1], vcc
	s_cbranch_execnz .LBB152_181
; %bb.166:
	s_or_b64 exec, exec, s[0:1]
	v_cmp_gt_i32_e32 vcc, s11, v0
	s_and_saveexec_b64 s[0:1], vcc
	s_cbranch_execnz .LBB152_182
.LBB152_167:
	s_or_b64 exec, exec, s[0:1]
	v_cmp_gt_i32_e32 vcc, s11, v0
	s_and_saveexec_b64 s[0:1], vcc
	s_cbranch_execnz .LBB152_183
.LBB152_168:
	s_or_b64 exec, exec, s[0:1]
	v_cmp_gt_i32_e32 vcc, s11, v0
	s_and_saveexec_b64 s[0:1], vcc
	s_cbranch_execnz .LBB152_184
.LBB152_169:
	s_or_b64 exec, exec, s[0:1]
	v_cmp_gt_i32_e32 vcc, s11, v0
	s_and_saveexec_b64 s[0:1], vcc
	s_cbranch_execnz .LBB152_185
.LBB152_170:
	s_or_b64 exec, exec, s[0:1]
	v_cmp_gt_i32_e32 vcc, s11, v0
	s_and_saveexec_b64 s[0:1], vcc
	s_cbranch_execnz .LBB152_186
.LBB152_171:
	s_or_b64 exec, exec, s[0:1]
	v_cmp_gt_i32_e32 vcc, s11, v0
	s_and_saveexec_b64 s[0:1], vcc
	s_cbranch_execnz .LBB152_187
.LBB152_172:
	s_or_b64 exec, exec, s[0:1]
	v_cmp_gt_i32_e32 vcc, s11, v0
	s_and_saveexec_b64 s[0:1], vcc
	s_cbranch_execnz .LBB152_188
.LBB152_173:
	s_or_b64 exec, exec, s[0:1]
	v_cmp_gt_i32_e32 vcc, s11, v0
	s_and_saveexec_b64 s[0:1], vcc
	s_cbranch_execnz .LBB152_189
.LBB152_174:
	s_or_b64 exec, exec, s[0:1]
	v_cmp_gt_i32_e32 vcc, s11, v0
	s_and_saveexec_b64 s[0:1], vcc
	s_cbranch_execnz .LBB152_190
.LBB152_175:
	s_or_b64 exec, exec, s[0:1]
	v_cmp_gt_i32_e32 vcc, s11, v0
	s_and_saveexec_b64 s[0:1], vcc
	s_cbranch_execnz .LBB152_191
.LBB152_176:
	s_or_b64 exec, exec, s[0:1]
	v_cmp_gt_i32_e32 vcc, s11, v0
	s_and_saveexec_b64 s[0:1], vcc
	s_cbranch_execnz .LBB152_192
.LBB152_177:
	s_or_b64 exec, exec, s[0:1]
	v_cmp_gt_i32_e32 vcc, s11, v0
	s_and_saveexec_b64 s[0:1], vcc
	s_cbranch_execnz .LBB152_193
.LBB152_178:
	s_or_b64 exec, exec, s[0:1]
	v_cmp_gt_i32_e32 vcc, s11, v0
	s_and_saveexec_b64 s[0:1], vcc
	s_cbranch_execnz .LBB152_194
.LBB152_179:
	s_or_b64 exec, exec, s[0:1]
	v_cmp_gt_i32_e32 vcc, s11, v0
	s_and_saveexec_b64 s[0:1], vcc
	s_cbranch_execz .LBB152_195
.LBB152_180:
	v_add_u32_e32 v0, s4, v0
	global_store_byte v0, v5, s[12:13]
	s_endpgm
.LBB152_181:
	v_add_u32_e32 v1, s4, v0
	v_add_u32_e32 v0, 0x100, v0
	global_store_byte v1, v17, s[12:13]
	s_or_b64 exec, exec, s[0:1]
	v_cmp_gt_i32_e32 vcc, s11, v0
	s_and_saveexec_b64 s[0:1], vcc
	s_cbranch_execz .LBB152_167
.LBB152_182:
	v_add_u32_e32 v1, s4, v0
	v_add_u32_e32 v0, 0x100, v0
	global_store_byte v1, v2, s[12:13]
	s_or_b64 exec, exec, s[0:1]
	v_cmp_gt_i32_e32 vcc, s11, v0
	s_and_saveexec_b64 s[0:1], vcc
	s_cbranch_execz .LBB152_168
.LBB152_183:
	v_add_u32_e32 v1, s4, v0
	v_add_u32_e32 v0, 0x100, v0
	global_store_byte v1, v15, s[12:13]
	s_or_b64 exec, exec, s[0:1]
	v_cmp_gt_i32_e32 vcc, s11, v0
	s_and_saveexec_b64 s[0:1], vcc
	s_cbranch_execz .LBB152_169
.LBB152_184:
	v_add_u32_e32 v1, s4, v0
	v_add_u32_e32 v0, 0x100, v0
	global_store_byte v1, v19, s[12:13]
	s_or_b64 exec, exec, s[0:1]
	v_cmp_gt_i32_e32 vcc, s11, v0
	s_and_saveexec_b64 s[0:1], vcc
	s_cbranch_execz .LBB152_170
.LBB152_185:
	v_add_u32_e32 v1, s4, v0
	v_add_u32_e32 v0, 0x100, v0
	global_store_byte v1, v18, s[12:13]
	s_or_b64 exec, exec, s[0:1]
	v_cmp_gt_i32_e32 vcc, s11, v0
	s_and_saveexec_b64 s[0:1], vcc
	s_cbranch_execz .LBB152_171
.LBB152_186:
	v_add_u32_e32 v1, s4, v0
	v_add_u32_e32 v0, 0x100, v0
	global_store_byte v1, v14, s[12:13]
	s_or_b64 exec, exec, s[0:1]
	v_cmp_gt_i32_e32 vcc, s11, v0
	s_and_saveexec_b64 s[0:1], vcc
	s_cbranch_execz .LBB152_172
.LBB152_187:
	v_add_u32_e32 v1, s4, v0
	v_add_u32_e32 v0, 0x100, v0
	global_store_byte v1, v13, s[12:13]
	s_or_b64 exec, exec, s[0:1]
	v_cmp_gt_i32_e32 vcc, s11, v0
	s_and_saveexec_b64 s[0:1], vcc
	s_cbranch_execz .LBB152_173
.LBB152_188:
	v_add_u32_e32 v1, s4, v0
	v_add_u32_e32 v0, 0x100, v0
	global_store_byte v1, v12, s[12:13]
	s_or_b64 exec, exec, s[0:1]
	v_cmp_gt_i32_e32 vcc, s11, v0
	s_and_saveexec_b64 s[0:1], vcc
	s_cbranch_execz .LBB152_174
.LBB152_189:
	v_add_u32_e32 v1, s4, v0
	v_add_u32_e32 v0, 0x100, v0
	global_store_byte v1, v11, s[12:13]
	s_or_b64 exec, exec, s[0:1]
	v_cmp_gt_i32_e32 vcc, s11, v0
	s_and_saveexec_b64 s[0:1], vcc
	s_cbranch_execz .LBB152_175
.LBB152_190:
	v_add_u32_e32 v1, s4, v0
	v_add_u32_e32 v0, 0x100, v0
	global_store_byte v1, v10, s[12:13]
	s_or_b64 exec, exec, s[0:1]
	v_cmp_gt_i32_e32 vcc, s11, v0
	s_and_saveexec_b64 s[0:1], vcc
	s_cbranch_execz .LBB152_176
.LBB152_191:
	v_add_u32_e32 v1, s4, v0
	v_add_u32_e32 v0, 0x100, v0
	global_store_byte v1, v9, s[12:13]
	s_or_b64 exec, exec, s[0:1]
	v_cmp_gt_i32_e32 vcc, s11, v0
	s_and_saveexec_b64 s[0:1], vcc
	s_cbranch_execz .LBB152_177
.LBB152_192:
	v_add_u32_e32 v1, s4, v0
	v_add_u32_e32 v0, 0x100, v0
	global_store_byte v1, v8, s[12:13]
	s_or_b64 exec, exec, s[0:1]
	v_cmp_gt_i32_e32 vcc, s11, v0
	s_and_saveexec_b64 s[0:1], vcc
	s_cbranch_execz .LBB152_178
.LBB152_193:
	v_add_u32_e32 v1, s4, v0
	v_add_u32_e32 v0, 0x100, v0
	global_store_byte v1, v7, s[12:13]
	s_or_b64 exec, exec, s[0:1]
	v_cmp_gt_i32_e32 vcc, s11, v0
	s_and_saveexec_b64 s[0:1], vcc
	s_cbranch_execz .LBB152_179
.LBB152_194:
	v_add_u32_e32 v1, s4, v0
	v_add_u32_e32 v0, 0x100, v0
	global_store_byte v1, v6, s[12:13]
	s_or_b64 exec, exec, s[0:1]
	v_cmp_gt_i32_e32 vcc, s11, v0
	s_and_saveexec_b64 s[0:1], vcc
	s_cbranch_execnz .LBB152_180
.LBB152_195:
	s_endpgm
.LBB152_196:
                                        ; implicit-def: $sgpr2_sgpr3
	s_branch .LBB152_3
.LBB152_197:
                                        ; implicit-def: $sgpr6_sgpr7
	s_branch .LBB152_6
.LBB152_198:
                                        ; implicit-def: $sgpr16_sgpr17
	s_branch .LBB152_9
.LBB152_199:
                                        ; implicit-def: $sgpr18_sgpr19
	s_branch .LBB152_12
.LBB152_200:
                                        ; implicit-def: $sgpr20_sgpr21
	s_branch .LBB152_15
.LBB152_201:
                                        ; implicit-def: $sgpr22_sgpr23
	s_branch .LBB152_18
.LBB152_202:
                                        ; implicit-def: $sgpr24_sgpr25
	s_branch .LBB152_21
.LBB152_203:
                                        ; implicit-def: $sgpr26_sgpr27
	s_branch .LBB152_24
.LBB152_204:
                                        ; implicit-def: $sgpr28_sgpr29
	s_branch .LBB152_27
.LBB152_205:
                                        ; implicit-def: $sgpr30_sgpr31
	s_branch .LBB152_30
.LBB152_206:
                                        ; implicit-def: $sgpr34_sgpr35
	s_branch .LBB152_33
.LBB152_207:
                                        ; implicit-def: $sgpr36_sgpr37
	s_branch .LBB152_36
.LBB152_208:
                                        ; implicit-def: $sgpr38_sgpr39
	s_branch .LBB152_39
.LBB152_209:
                                        ; implicit-def: $sgpr40_sgpr41
	s_branch .LBB152_42
.LBB152_210:
                                        ; implicit-def: $sgpr42_sgpr43
	s_branch .LBB152_45
.LBB152_211:
                                        ; implicit-def: $sgpr0_sgpr1
	s_branch .LBB152_48
.LBB152_212:
                                        ; implicit-def: $sgpr8_sgpr9
	s_branch .LBB152_86
.LBB152_213:
                                        ; implicit-def: $sgpr8_sgpr9
	s_branch .LBB152_91
.LBB152_214:
                                        ; implicit-def: $sgpr8_sgpr9
	s_branch .LBB152_96
.LBB152_215:
                                        ; implicit-def: $sgpr8_sgpr9
	s_branch .LBB152_101
.LBB152_216:
                                        ; implicit-def: $sgpr8_sgpr9
	s_branch .LBB152_106
.LBB152_217:
                                        ; implicit-def: $sgpr8_sgpr9
	s_branch .LBB152_111
.LBB152_218:
                                        ; implicit-def: $sgpr8_sgpr9
	s_branch .LBB152_116
.LBB152_219:
                                        ; implicit-def: $sgpr8_sgpr9
	s_branch .LBB152_121
.LBB152_220:
                                        ; implicit-def: $sgpr8_sgpr9
	s_branch .LBB152_126
.LBB152_221:
                                        ; implicit-def: $sgpr8_sgpr9
	s_branch .LBB152_131
.LBB152_222:
                                        ; implicit-def: $sgpr8_sgpr9
	s_branch .LBB152_136
.LBB152_223:
                                        ; implicit-def: $sgpr8_sgpr9
	s_branch .LBB152_141
.LBB152_224:
                                        ; implicit-def: $sgpr8_sgpr9
	s_branch .LBB152_146
.LBB152_225:
                                        ; implicit-def: $sgpr8_sgpr9
	s_branch .LBB152_151
.LBB152_226:
                                        ; implicit-def: $sgpr8_sgpr9
	s_branch .LBB152_156
.LBB152_227:
                                        ; implicit-def: $sgpr2_sgpr3
	s_branch .LBB152_161
	.section	.rodata,"a",@progbits
	.p2align	6, 0x0
	.amdhsa_kernel _ZN2at6native29vectorized_elementwise_kernelILi16ENS0_13AUnaryFunctorIN3c107complexINS3_4HalfEEES6_bNS0_12_GLOBAL__N_116CompareEqFunctorIS6_EEEESt5arrayIPcLm2EEEEviT0_T1_
		.amdhsa_group_segment_fixed_size 0
		.amdhsa_private_segment_fixed_size 0
		.amdhsa_kernarg_size 32
		.amdhsa_user_sgpr_count 6
		.amdhsa_user_sgpr_private_segment_buffer 1
		.amdhsa_user_sgpr_dispatch_ptr 0
		.amdhsa_user_sgpr_queue_ptr 0
		.amdhsa_user_sgpr_kernarg_segment_ptr 1
		.amdhsa_user_sgpr_dispatch_id 0
		.amdhsa_user_sgpr_flat_scratch_init 0
		.amdhsa_user_sgpr_private_segment_size 0
		.amdhsa_uses_dynamic_stack 0
		.amdhsa_system_sgpr_private_segment_wavefront_offset 0
		.amdhsa_system_sgpr_workgroup_id_x 1
		.amdhsa_system_sgpr_workgroup_id_y 0
		.amdhsa_system_sgpr_workgroup_id_z 0
		.amdhsa_system_sgpr_workgroup_info 0
		.amdhsa_system_vgpr_workitem_id 0
		.amdhsa_next_free_vgpr 21
		.amdhsa_next_free_sgpr 46
		.amdhsa_reserve_vcc 1
		.amdhsa_reserve_flat_scratch 0
		.amdhsa_float_round_mode_32 0
		.amdhsa_float_round_mode_16_64 0
		.amdhsa_float_denorm_mode_32 3
		.amdhsa_float_denorm_mode_16_64 3
		.amdhsa_dx10_clamp 1
		.amdhsa_ieee_mode 1
		.amdhsa_fp16_overflow 0
		.amdhsa_exception_fp_ieee_invalid_op 0
		.amdhsa_exception_fp_denorm_src 0
		.amdhsa_exception_fp_ieee_div_zero 0
		.amdhsa_exception_fp_ieee_overflow 0
		.amdhsa_exception_fp_ieee_underflow 0
		.amdhsa_exception_fp_ieee_inexact 0
		.amdhsa_exception_int_div_zero 0
	.end_amdhsa_kernel
	.section	.text._ZN2at6native29vectorized_elementwise_kernelILi16ENS0_13AUnaryFunctorIN3c107complexINS3_4HalfEEES6_bNS0_12_GLOBAL__N_116CompareEqFunctorIS6_EEEESt5arrayIPcLm2EEEEviT0_T1_,"axG",@progbits,_ZN2at6native29vectorized_elementwise_kernelILi16ENS0_13AUnaryFunctorIN3c107complexINS3_4HalfEEES6_bNS0_12_GLOBAL__N_116CompareEqFunctorIS6_EEEESt5arrayIPcLm2EEEEviT0_T1_,comdat
.Lfunc_end152:
	.size	_ZN2at6native29vectorized_elementwise_kernelILi16ENS0_13AUnaryFunctorIN3c107complexINS3_4HalfEEES6_bNS0_12_GLOBAL__N_116CompareEqFunctorIS6_EEEESt5arrayIPcLm2EEEEviT0_T1_, .Lfunc_end152-_ZN2at6native29vectorized_elementwise_kernelILi16ENS0_13AUnaryFunctorIN3c107complexINS3_4HalfEEES6_bNS0_12_GLOBAL__N_116CompareEqFunctorIS6_EEEESt5arrayIPcLm2EEEEviT0_T1_
                                        ; -- End function
	.set _ZN2at6native29vectorized_elementwise_kernelILi16ENS0_13AUnaryFunctorIN3c107complexINS3_4HalfEEES6_bNS0_12_GLOBAL__N_116CompareEqFunctorIS6_EEEESt5arrayIPcLm2EEEEviT0_T1_.num_vgpr, 21
	.set _ZN2at6native29vectorized_elementwise_kernelILi16ENS0_13AUnaryFunctorIN3c107complexINS3_4HalfEEES6_bNS0_12_GLOBAL__N_116CompareEqFunctorIS6_EEEESt5arrayIPcLm2EEEEviT0_T1_.num_agpr, 0
	.set _ZN2at6native29vectorized_elementwise_kernelILi16ENS0_13AUnaryFunctorIN3c107complexINS3_4HalfEEES6_bNS0_12_GLOBAL__N_116CompareEqFunctorIS6_EEEESt5arrayIPcLm2EEEEviT0_T1_.numbered_sgpr, 46
	.set _ZN2at6native29vectorized_elementwise_kernelILi16ENS0_13AUnaryFunctorIN3c107complexINS3_4HalfEEES6_bNS0_12_GLOBAL__N_116CompareEqFunctorIS6_EEEESt5arrayIPcLm2EEEEviT0_T1_.num_named_barrier, 0
	.set _ZN2at6native29vectorized_elementwise_kernelILi16ENS0_13AUnaryFunctorIN3c107complexINS3_4HalfEEES6_bNS0_12_GLOBAL__N_116CompareEqFunctorIS6_EEEESt5arrayIPcLm2EEEEviT0_T1_.private_seg_size, 0
	.set _ZN2at6native29vectorized_elementwise_kernelILi16ENS0_13AUnaryFunctorIN3c107complexINS3_4HalfEEES6_bNS0_12_GLOBAL__N_116CompareEqFunctorIS6_EEEESt5arrayIPcLm2EEEEviT0_T1_.uses_vcc, 1
	.set _ZN2at6native29vectorized_elementwise_kernelILi16ENS0_13AUnaryFunctorIN3c107complexINS3_4HalfEEES6_bNS0_12_GLOBAL__N_116CompareEqFunctorIS6_EEEESt5arrayIPcLm2EEEEviT0_T1_.uses_flat_scratch, 0
	.set _ZN2at6native29vectorized_elementwise_kernelILi16ENS0_13AUnaryFunctorIN3c107complexINS3_4HalfEEES6_bNS0_12_GLOBAL__N_116CompareEqFunctorIS6_EEEESt5arrayIPcLm2EEEEviT0_T1_.has_dyn_sized_stack, 0
	.set _ZN2at6native29vectorized_elementwise_kernelILi16ENS0_13AUnaryFunctorIN3c107complexINS3_4HalfEEES6_bNS0_12_GLOBAL__N_116CompareEqFunctorIS6_EEEESt5arrayIPcLm2EEEEviT0_T1_.has_recursion, 0
	.set _ZN2at6native29vectorized_elementwise_kernelILi16ENS0_13AUnaryFunctorIN3c107complexINS3_4HalfEEES6_bNS0_12_GLOBAL__N_116CompareEqFunctorIS6_EEEESt5arrayIPcLm2EEEEviT0_T1_.has_indirect_call, 0
	.section	.AMDGPU.csdata,"",@progbits
; Kernel info:
; codeLenInByte = 5044
; TotalNumSgprs: 50
; NumVgprs: 21
; ScratchSize: 0
; MemoryBound: 1
; FloatMode: 240
; IeeeMode: 1
; LDSByteSize: 0 bytes/workgroup (compile time only)
; SGPRBlocks: 6
; VGPRBlocks: 5
; NumSGPRsForWavesPerEU: 50
; NumVGPRsForWavesPerEU: 21
; Occupancy: 10
; WaveLimiterHint : 0
; COMPUTE_PGM_RSRC2:SCRATCH_EN: 0
; COMPUTE_PGM_RSRC2:USER_SGPR: 6
; COMPUTE_PGM_RSRC2:TRAP_HANDLER: 0
; COMPUTE_PGM_RSRC2:TGID_X_EN: 1
; COMPUTE_PGM_RSRC2:TGID_Y_EN: 0
; COMPUTE_PGM_RSRC2:TGID_Z_EN: 0
; COMPUTE_PGM_RSRC2:TIDIG_COMP_CNT: 0
	.section	.text._ZN2at6native29vectorized_elementwise_kernelILi8ENS0_13AUnaryFunctorIN3c107complexINS3_4HalfEEES6_bNS0_12_GLOBAL__N_116CompareEqFunctorIS6_EEEESt5arrayIPcLm2EEEEviT0_T1_,"axG",@progbits,_ZN2at6native29vectorized_elementwise_kernelILi8ENS0_13AUnaryFunctorIN3c107complexINS3_4HalfEEES6_bNS0_12_GLOBAL__N_116CompareEqFunctorIS6_EEEESt5arrayIPcLm2EEEEviT0_T1_,comdat
	.globl	_ZN2at6native29vectorized_elementwise_kernelILi8ENS0_13AUnaryFunctorIN3c107complexINS3_4HalfEEES6_bNS0_12_GLOBAL__N_116CompareEqFunctorIS6_EEEESt5arrayIPcLm2EEEEviT0_T1_ ; -- Begin function _ZN2at6native29vectorized_elementwise_kernelILi8ENS0_13AUnaryFunctorIN3c107complexINS3_4HalfEEES6_bNS0_12_GLOBAL__N_116CompareEqFunctorIS6_EEEESt5arrayIPcLm2EEEEviT0_T1_
	.p2align	8
	.type	_ZN2at6native29vectorized_elementwise_kernelILi8ENS0_13AUnaryFunctorIN3c107complexINS3_4HalfEEES6_bNS0_12_GLOBAL__N_116CompareEqFunctorIS6_EEEESt5arrayIPcLm2EEEEviT0_T1_,@function
_ZN2at6native29vectorized_elementwise_kernelILi8ENS0_13AUnaryFunctorIN3c107complexINS3_4HalfEEES6_bNS0_12_GLOBAL__N_116CompareEqFunctorIS6_EEEESt5arrayIPcLm2EEEEviT0_T1_: ; @_ZN2at6native29vectorized_elementwise_kernelILi8ENS0_13AUnaryFunctorIN3c107complexINS3_4HalfEEES6_bNS0_12_GLOBAL__N_116CompareEqFunctorIS6_EEEESt5arrayIPcLm2EEEEviT0_T1_
; %bb.0:
	s_load_dwordx8 s[8:15], s[4:5], 0x0
	s_lshl_b32 s4, s6, 12
	s_mov_b64 s[0:1], -1
	s_waitcnt lgkmcnt(0)
	s_sub_i32 s11, s8, s4
	s_cmpk_gt_i32 s11, 0xfff
	s_cbranch_scc0 .LBB153_50
; %bb.1:
	s_ashr_i32 s5, s4, 31
	s_lshl_b64 s[0:1], s[4:5], 2
	s_add_u32 s0, s14, s0
	s_addc_u32 s1, s15, s1
	v_lshlrev_b32_e32 v1, 5, v0
	v_mov_b32_e32 v2, s1
	v_add_co_u32_e32 v3, vcc, s0, v1
	v_addc_co_u32_e32 v2, vcc, 0, v2, vcc
	v_add_co_u32_e32 v17, vcc, 0x2000, v3
	global_load_dwordx4 v[9:12], v1, s[0:1] offset:16
	global_load_dwordx4 v[13:16], v1, s[0:1]
	v_addc_co_u32_e64 v18, s[0:1], 0, v2, vcc
	v_addc_co_u32_e32 v20, vcc, 0, v2, vcc
	v_mov_b32_e32 v19, v17
	global_load_dwordx4 v[5:8], v[19:20], off
	global_load_dwordx4 v[1:4], v[17:18], off offset:16
	s_lshr_b32 s8, s10, 16
	s_cmp_lg_u32 s9, 0
	s_cselect_b64 s[6:7], -1, 0
	s_and_b64 vcc, exec, s[6:7]
	s_cbranch_vccz .LBB153_196
; %bb.2:
	s_waitcnt vmcnt(2)
	v_cmp_neq_f16_e32 vcc, s10, v13
	v_cmp_neq_f16_sdwa s[0:1], s8, v13 src0_sel:DWORD src1_sel:WORD_1
	s_or_b64 s[2:3], vcc, s[0:1]
	s_cbranch_execnz .LBB153_4
.LBB153_3:
	s_waitcnt vmcnt(2)
	v_cmp_eq_f16_e32 vcc, s10, v13
	v_cmp_eq_f16_sdwa s[0:1], s8, v13 src0_sel:DWORD src1_sel:WORD_1
	s_and_b64 s[0:1], vcc, s[0:1]
	s_andn2_b64 s[2:3], s[2:3], exec
	s_and_b64 s[0:1], s[0:1], exec
	s_or_b64 s[2:3], s[2:3], s[0:1]
.LBB153_4:
	s_waitcnt vmcnt(2)
	v_cndmask_b32_e64 v13, 0, 1, s[6:7]
	v_cmp_ne_u32_e64 s[0:1], 1, v13
	s_andn2_b64 vcc, exec, s[6:7]
	s_cbranch_vccnz .LBB153_197
; %bb.5:
	v_cmp_neq_f16_e32 vcc, s10, v14
	v_cmp_neq_f16_sdwa s[6:7], s8, v14 src0_sel:DWORD src1_sel:WORD_1
	s_or_b64 s[6:7], vcc, s[6:7]
	s_cbranch_execnz .LBB153_7
.LBB153_6:
	v_cmp_eq_f16_e32 vcc, s10, v14
	v_cmp_eq_f16_sdwa s[16:17], s8, v14 src0_sel:DWORD src1_sel:WORD_1
	s_and_b64 s[16:17], vcc, s[16:17]
	s_andn2_b64 s[6:7], s[6:7], exec
	s_and_b64 s[16:17], s[16:17], exec
	s_or_b64 s[6:7], s[6:7], s[16:17]
.LBB153_7:
	s_and_b64 vcc, exec, s[0:1]
	s_cbranch_vccnz .LBB153_198
; %bb.8:
	v_cmp_neq_f16_e32 vcc, s10, v15
	v_cmp_neq_f16_sdwa s[16:17], s8, v15 src0_sel:DWORD src1_sel:WORD_1
	s_or_b64 s[16:17], vcc, s[16:17]
	s_cbranch_execnz .LBB153_10
.LBB153_9:
	v_cmp_eq_f16_e32 vcc, s10, v15
	v_cmp_eq_f16_sdwa s[18:19], s8, v15 src0_sel:DWORD src1_sel:WORD_1
	s_and_b64 s[18:19], vcc, s[18:19]
	s_andn2_b64 s[16:17], s[16:17], exec
	s_and_b64 s[18:19], s[18:19], exec
	s_or_b64 s[16:17], s[16:17], s[18:19]
.LBB153_10:
	s_and_b64 vcc, exec, s[0:1]
	s_cbranch_vccnz .LBB153_199
; %bb.11:
	v_cmp_neq_f16_e32 vcc, s10, v16
	v_cmp_neq_f16_sdwa s[18:19], s8, v16 src0_sel:DWORD src1_sel:WORD_1
	s_or_b64 s[18:19], vcc, s[18:19]
	s_cbranch_execnz .LBB153_13
.LBB153_12:
	v_cmp_eq_f16_e32 vcc, s10, v16
	v_cmp_eq_f16_sdwa s[20:21], s8, v16 src0_sel:DWORD src1_sel:WORD_1
	s_and_b64 s[20:21], vcc, s[20:21]
	s_andn2_b64 s[18:19], s[18:19], exec
	s_and_b64 s[20:21], s[20:21], exec
	s_or_b64 s[18:19], s[18:19], s[20:21]
.LBB153_13:
	s_and_b64 vcc, exec, s[0:1]
	s_cbranch_vccnz .LBB153_200
; %bb.14:
	v_cmp_neq_f16_e32 vcc, s10, v9
	v_cmp_neq_f16_sdwa s[20:21], s8, v9 src0_sel:DWORD src1_sel:WORD_1
	s_or_b64 s[20:21], vcc, s[20:21]
	s_cbranch_execnz .LBB153_16
.LBB153_15:
	v_cmp_eq_f16_e32 vcc, s10, v9
	v_cmp_eq_f16_sdwa s[22:23], s8, v9 src0_sel:DWORD src1_sel:WORD_1
	s_and_b64 s[22:23], vcc, s[22:23]
	s_andn2_b64 s[20:21], s[20:21], exec
	s_and_b64 s[22:23], s[22:23], exec
	s_or_b64 s[20:21], s[20:21], s[22:23]
.LBB153_16:
	s_and_b64 vcc, exec, s[0:1]
	s_cbranch_vccnz .LBB153_201
; %bb.17:
	v_cmp_neq_f16_e32 vcc, s10, v10
	v_cmp_neq_f16_sdwa s[22:23], s8, v10 src0_sel:DWORD src1_sel:WORD_1
	s_or_b64 s[22:23], vcc, s[22:23]
	s_cbranch_execnz .LBB153_19
.LBB153_18:
	v_cmp_eq_f16_e32 vcc, s10, v10
	v_cmp_eq_f16_sdwa s[24:25], s8, v10 src0_sel:DWORD src1_sel:WORD_1
	s_and_b64 s[24:25], vcc, s[24:25]
	s_andn2_b64 s[22:23], s[22:23], exec
	s_and_b64 s[24:25], s[24:25], exec
	s_or_b64 s[22:23], s[22:23], s[24:25]
.LBB153_19:
	s_and_b64 vcc, exec, s[0:1]
	s_cbranch_vccnz .LBB153_202
; %bb.20:
	v_cmp_neq_f16_e32 vcc, s10, v11
	v_cmp_neq_f16_sdwa s[24:25], s8, v11 src0_sel:DWORD src1_sel:WORD_1
	s_or_b64 s[24:25], vcc, s[24:25]
	s_cbranch_execnz .LBB153_22
.LBB153_21:
	v_cmp_eq_f16_e32 vcc, s10, v11
	v_cmp_eq_f16_sdwa s[26:27], s8, v11 src0_sel:DWORD src1_sel:WORD_1
	s_and_b64 s[26:27], vcc, s[26:27]
	s_andn2_b64 s[24:25], s[24:25], exec
	s_and_b64 s[26:27], s[26:27], exec
	s_or_b64 s[24:25], s[24:25], s[26:27]
.LBB153_22:
	s_and_b64 vcc, exec, s[0:1]
	s_cbranch_vccnz .LBB153_203
; %bb.23:
	v_cmp_neq_f16_e32 vcc, s10, v12
	v_cmp_neq_f16_sdwa s[26:27], s8, v12 src0_sel:DWORD src1_sel:WORD_1
	s_or_b64 s[26:27], vcc, s[26:27]
	s_cbranch_execnz .LBB153_25
.LBB153_24:
	v_cmp_eq_f16_e32 vcc, s10, v12
	v_cmp_eq_f16_sdwa s[28:29], s8, v12 src0_sel:DWORD src1_sel:WORD_1
	s_and_b64 s[28:29], vcc, s[28:29]
	s_andn2_b64 s[26:27], s[26:27], exec
	s_and_b64 s[28:29], s[28:29], exec
	s_or_b64 s[26:27], s[26:27], s[28:29]
.LBB153_25:
	s_and_b64 vcc, exec, s[0:1]
	s_cbranch_vccnz .LBB153_204
; %bb.26:
	s_waitcnt vmcnt(1)
	v_cmp_neq_f16_e32 vcc, s10, v5
	v_cmp_neq_f16_sdwa s[28:29], s8, v5 src0_sel:DWORD src1_sel:WORD_1
	s_or_b64 s[28:29], vcc, s[28:29]
	s_cbranch_execnz .LBB153_28
.LBB153_27:
	s_waitcnt vmcnt(1)
	v_cmp_eq_f16_e32 vcc, s10, v5
	v_cmp_eq_f16_sdwa s[30:31], s8, v5 src0_sel:DWORD src1_sel:WORD_1
	s_and_b64 s[30:31], vcc, s[30:31]
	s_andn2_b64 s[28:29], s[28:29], exec
	s_and_b64 s[30:31], s[30:31], exec
	s_or_b64 s[28:29], s[28:29], s[30:31]
.LBB153_28:
	s_and_b64 vcc, exec, s[0:1]
	s_cbranch_vccnz .LBB153_205
; %bb.29:
	s_waitcnt vmcnt(1)
	v_cmp_neq_f16_e32 vcc, s10, v6
	v_cmp_neq_f16_sdwa s[30:31], s8, v6 src0_sel:DWORD src1_sel:WORD_1
	s_or_b64 s[30:31], vcc, s[30:31]
	s_cbranch_execnz .LBB153_31
.LBB153_30:
	s_waitcnt vmcnt(1)
	v_cmp_eq_f16_e32 vcc, s10, v6
	v_cmp_eq_f16_sdwa s[34:35], s8, v6 src0_sel:DWORD src1_sel:WORD_1
	s_and_b64 s[34:35], vcc, s[34:35]
	s_andn2_b64 s[30:31], s[30:31], exec
	s_and_b64 s[34:35], s[34:35], exec
	s_or_b64 s[30:31], s[30:31], s[34:35]
.LBB153_31:
	s_and_b64 vcc, exec, s[0:1]
	s_cbranch_vccnz .LBB153_206
; %bb.32:
	s_waitcnt vmcnt(1)
	v_cmp_neq_f16_e32 vcc, s10, v7
	v_cmp_neq_f16_sdwa s[34:35], s8, v7 src0_sel:DWORD src1_sel:WORD_1
	s_or_b64 s[34:35], vcc, s[34:35]
	s_cbranch_execnz .LBB153_34
.LBB153_33:
	s_waitcnt vmcnt(1)
	v_cmp_eq_f16_e32 vcc, s10, v7
	v_cmp_eq_f16_sdwa s[36:37], s8, v7 src0_sel:DWORD src1_sel:WORD_1
	s_and_b64 s[36:37], vcc, s[36:37]
	s_andn2_b64 s[34:35], s[34:35], exec
	s_and_b64 s[36:37], s[36:37], exec
	s_or_b64 s[34:35], s[34:35], s[36:37]
.LBB153_34:
	s_and_b64 vcc, exec, s[0:1]
	s_cbranch_vccnz .LBB153_207
; %bb.35:
	s_waitcnt vmcnt(1)
	v_cmp_neq_f16_e32 vcc, s10, v8
	v_cmp_neq_f16_sdwa s[36:37], s8, v8 src0_sel:DWORD src1_sel:WORD_1
	s_or_b64 s[36:37], vcc, s[36:37]
	s_cbranch_execnz .LBB153_37
.LBB153_36:
	s_waitcnt vmcnt(1)
	v_cmp_eq_f16_e32 vcc, s10, v8
	v_cmp_eq_f16_sdwa s[38:39], s8, v8 src0_sel:DWORD src1_sel:WORD_1
	s_and_b64 s[38:39], vcc, s[38:39]
	s_andn2_b64 s[36:37], s[36:37], exec
	s_and_b64 s[38:39], s[38:39], exec
	s_or_b64 s[36:37], s[36:37], s[38:39]
.LBB153_37:
	s_and_b64 vcc, exec, s[0:1]
	s_cbranch_vccnz .LBB153_208
; %bb.38:
	s_waitcnt vmcnt(0)
	v_cmp_neq_f16_e32 vcc, s10, v1
	v_cmp_neq_f16_sdwa s[38:39], s8, v1 src0_sel:DWORD src1_sel:WORD_1
	s_or_b64 s[38:39], vcc, s[38:39]
	s_cbranch_execnz .LBB153_40
.LBB153_39:
	s_waitcnt vmcnt(0)
	v_cmp_eq_f16_e32 vcc, s10, v1
	v_cmp_eq_f16_sdwa s[40:41], s8, v1 src0_sel:DWORD src1_sel:WORD_1
	s_and_b64 s[40:41], vcc, s[40:41]
	s_andn2_b64 s[38:39], s[38:39], exec
	s_and_b64 s[40:41], s[40:41], exec
	s_or_b64 s[38:39], s[38:39], s[40:41]
.LBB153_40:
	s_and_b64 vcc, exec, s[0:1]
	s_cbranch_vccnz .LBB153_209
; %bb.41:
	s_waitcnt vmcnt(0)
	v_cmp_neq_f16_e32 vcc, s10, v2
	v_cmp_neq_f16_sdwa s[40:41], s8, v2 src0_sel:DWORD src1_sel:WORD_1
	s_or_b64 s[40:41], vcc, s[40:41]
	s_cbranch_execnz .LBB153_43
.LBB153_42:
	s_waitcnt vmcnt(0)
	v_cmp_eq_f16_e32 vcc, s10, v2
	v_cmp_eq_f16_sdwa s[42:43], s8, v2 src0_sel:DWORD src1_sel:WORD_1
	s_and_b64 s[42:43], vcc, s[42:43]
	s_andn2_b64 s[40:41], s[40:41], exec
	s_and_b64 s[42:43], s[42:43], exec
	s_or_b64 s[40:41], s[40:41], s[42:43]
.LBB153_43:
	s_and_b64 vcc, exec, s[0:1]
	s_cbranch_vccnz .LBB153_210
; %bb.44:
	s_waitcnt vmcnt(0)
	v_cmp_neq_f16_e32 vcc, s10, v3
	v_cmp_neq_f16_sdwa s[42:43], s8, v3 src0_sel:DWORD src1_sel:WORD_1
	s_or_b64 s[42:43], vcc, s[42:43]
	s_cbranch_execnz .LBB153_46
.LBB153_45:
	s_waitcnt vmcnt(0)
	v_cmp_eq_f16_e32 vcc, s10, v3
	v_cmp_eq_f16_sdwa s[44:45], s8, v3 src0_sel:DWORD src1_sel:WORD_1
	s_and_b64 s[44:45], vcc, s[44:45]
	s_andn2_b64 s[42:43], s[42:43], exec
	s_and_b64 s[44:45], s[44:45], exec
	s_or_b64 s[42:43], s[42:43], s[44:45]
.LBB153_46:
	s_and_b64 vcc, exec, s[0:1]
	s_cbranch_vccnz .LBB153_211
; %bb.47:
	s_waitcnt vmcnt(0)
	v_cmp_neq_f16_e32 vcc, s10, v4
	v_cmp_neq_f16_sdwa s[0:1], s8, v4 src0_sel:DWORD src1_sel:WORD_1
	s_or_b64 s[0:1], vcc, s[0:1]
	s_cbranch_execnz .LBB153_49
.LBB153_48:
	s_waitcnt vmcnt(0)
	v_cmp_eq_f16_e32 vcc, s10, v4
	v_cmp_eq_f16_sdwa s[44:45], s8, v4 src0_sel:DWORD src1_sel:WORD_1
	s_and_b64 s[44:45], vcc, s[44:45]
	s_andn2_b64 s[0:1], s[0:1], exec
	s_and_b64 s[44:45], s[44:45], exec
	s_or_b64 s[0:1], s[0:1], s[44:45]
.LBB153_49:
	s_waitcnt vmcnt(0)
	v_mov_b32_e32 v1, 0x100
	v_cndmask_b32_e64 v2, 0, v1, s[30:31]
	v_cndmask_b32_e64 v3, 0, 1, s[28:29]
	v_or_b32_e32 v2, v2, v3
	v_mov_b32_e32 v3, 0x10000
	v_mov_b32_e32 v5, 0x1000000
	v_cndmask_b32_e64 v4, 0, v3, s[34:35]
	v_cndmask_b32_e64 v6, 0, v5, s[36:37]
	v_or3_b32 v7, 0, 0, 0
	v_or3_b32 v2, v2, v4, v6
	v_cndmask_b32_e64 v4, 0, 1, s[38:39]
	v_cndmask_b32_e64 v6, 0, v1, s[40:41]
	v_or3_b32 v4, v7, v4, v6
	v_or3_b32 v6, v2, 0, 0
	v_cndmask_b32_e64 v2, 0, v1, s[6:7]
	v_cndmask_b32_e64 v9, 0, 1, s[2:3]
	v_or_b32_e32 v2, v2, v9
	v_cndmask_b32_e64 v9, 0, v3, s[16:17]
	v_cndmask_b32_e64 v10, 0, v5, s[18:19]
	v_or3_b32 v2, v2, v9, v10
	v_cndmask_b32_e64 v9, 0, 1, s[20:21]
	v_cndmask_b32_e64 v1, 0, v1, s[22:23]
	;; [unrolled: 1-line block ×3, first 2 shown]
	v_or3_b32 v1, v7, v9, v1
	v_or3_b32 v7, v2, 0, 0
	v_cndmask_b32_e64 v2, 0, v3, s[24:25]
	v_cndmask_b32_e64 v3, 0, v5, s[26:27]
	v_or3_b32 v2, v1, v2, v3
	v_cndmask_b32_e64 v3, 0, v5, s[0:1]
	s_add_u32 s0, s12, s4
	v_or3_b32 v1, v7, 0, 0
	s_addc_u32 s1, s13, s5
	v_lshlrev_b32_e32 v5, 3, v0
	v_or3_b32 v4, v4, v8, v3
	v_or3_b32 v3, v6, 0, 0
	global_store_dwordx2 v5, v[1:2], s[0:1]
	global_store_dwordx2 v5, v[3:4], s[0:1] offset:2048
	s_mov_b64 s[0:1], 0
.LBB153_50:
	s_and_b64 vcc, exec, s[0:1]
	s_cbranch_vccz .LBB153_195
; %bb.51:
	v_cmp_gt_i32_e64 s[0:1], s11, v0
	v_mov_b32_e32 v4, 0
	v_or_b32_e32 v1, s4, v0
	v_mov_b32_e32 v5, 0
	v_mov_b32_e32 v6, 0
	;; [unrolled: 1-line block ×15, first 2 shown]
	s_and_saveexec_b64 s[2:3], s[0:1]
	s_cbranch_execz .LBB153_83
; %bb.52:
	v_mov_b32_e32 v2, 0
	v_lshlrev_b64 v[3:4], 2, v[1:2]
	v_mov_b32_e32 v5, s15
	v_add_co_u32_e32 v3, vcc, s14, v3
	v_addc_co_u32_e32 v4, vcc, v5, v4, vcc
	global_load_dword v20, v[3:4], off
	v_or_b32_e32 v3, 0x100, v0
	v_cmp_gt_u32_e32 vcc, s11, v3
	v_mov_b32_e32 v15, v2
	v_mov_b32_e32 v19, v2
	;; [unrolled: 1-line block ×14, first 2 shown]
	s_and_saveexec_b64 s[6:7], vcc
	s_cbranch_execz .LBB153_82
; %bb.53:
	v_add_u32_e32 v14, s4, v0
	v_mov_b32_e32 v15, 0
	v_lshlrev_b64 v[2:3], 2, v[14:15]
	v_mov_b32_e32 v4, s15
	v_add_co_u32_e32 v16, vcc, s14, v2
	v_addc_co_u32_e32 v17, vcc, v4, v3, vcc
	global_load_dword v2, v[16:17], off offset:1024
	v_or_b32_e32 v3, 0x200, v0
	v_cmp_gt_u32_e32 vcc, s11, v3
	v_mov_b32_e32 v19, v15
	v_mov_b32_e32 v18, v15
	;; [unrolled: 1-line block ×13, first 2 shown]
	s_and_saveexec_b64 s[16:17], vcc
	s_cbranch_execz .LBB153_81
; %bb.54:
	global_load_dword v15, v[16:17], off offset:2048
	v_or_b32_e32 v3, 0x300, v0
	v_cmp_gt_u32_e32 vcc, s11, v3
	v_mov_b32_e32 v19, 0
	v_mov_b32_e32 v18, 0
	;; [unrolled: 1-line block ×13, first 2 shown]
	s_and_saveexec_b64 s[18:19], vcc
	s_cbranch_execz .LBB153_80
; %bb.55:
	global_load_dword v19, v[16:17], off offset:3072
	v_or_b32_e32 v3, 0x400, v0
	v_cmp_gt_u32_e32 vcc, s11, v3
	v_mov_b32_e32 v18, 0
	v_mov_b32_e32 v14, 0
	;; [unrolled: 1-line block ×12, first 2 shown]
	s_and_saveexec_b64 s[20:21], vcc
	s_cbranch_execz .LBB153_79
; %bb.56:
	v_or_b32_e32 v13, s4, v3
	v_mov_b32_e32 v14, 0
	v_lshlrev_b64 v[3:4], 2, v[13:14]
	v_mov_b32_e32 v5, s15
	v_add_co_u32_e32 v3, vcc, s14, v3
	v_addc_co_u32_e32 v4, vcc, v5, v4, vcc
	global_load_dword v18, v[3:4], off
	v_or_b32_e32 v3, 0x500, v0
	v_cmp_gt_u32_e32 vcc, s11, v3
	v_mov_b32_e32 v13, v14
	v_mov_b32_e32 v12, v14
	v_mov_b32_e32 v11, v14
	v_mov_b32_e32 v10, v14
	v_mov_b32_e32 v9, v14
	v_mov_b32_e32 v8, v14
	v_mov_b32_e32 v7, v14
	v_mov_b32_e32 v6, v14
	v_mov_b32_e32 v5, v14
	v_mov_b32_e32 v4, v14
	s_and_saveexec_b64 s[22:23], vcc
	s_cbranch_execz .LBB153_78
; %bb.57:
	v_or_b32_e32 v12, s4, v3
	v_mov_b32_e32 v13, 0
	v_lshlrev_b64 v[3:4], 2, v[12:13]
	v_mov_b32_e32 v5, s15
	v_add_co_u32_e32 v3, vcc, s14, v3
	v_addc_co_u32_e32 v4, vcc, v5, v4, vcc
	global_load_dword v14, v[3:4], off
	v_or_b32_e32 v3, 0x600, v0
	v_cmp_gt_u32_e32 vcc, s11, v3
	v_mov_b32_e32 v12, v13
	v_mov_b32_e32 v11, v13
	;; [unrolled: 1-line block ×9, first 2 shown]
	s_and_saveexec_b64 s[24:25], vcc
	s_cbranch_execz .LBB153_77
; %bb.58:
	v_or_b32_e32 v11, s4, v3
	v_mov_b32_e32 v12, 0
	v_lshlrev_b64 v[3:4], 2, v[11:12]
	v_mov_b32_e32 v5, s15
	v_add_co_u32_e32 v3, vcc, s14, v3
	v_addc_co_u32_e32 v4, vcc, v5, v4, vcc
	global_load_dword v13, v[3:4], off
	v_or_b32_e32 v3, 0x700, v0
	v_cmp_gt_u32_e32 vcc, s11, v3
	v_mov_b32_e32 v11, v12
	v_mov_b32_e32 v10, v12
	;; [unrolled: 1-line block ×8, first 2 shown]
	s_and_saveexec_b64 s[26:27], vcc
	s_cbranch_execz .LBB153_76
; %bb.59:
	v_or_b32_e32 v10, s4, v3
	v_mov_b32_e32 v11, 0
	v_lshlrev_b64 v[3:4], 2, v[10:11]
	v_mov_b32_e32 v5, s15
	v_add_co_u32_e32 v3, vcc, s14, v3
	v_addc_co_u32_e32 v4, vcc, v5, v4, vcc
	global_load_dword v12, v[3:4], off
	v_or_b32_e32 v3, 0x800, v0
	v_cmp_gt_u32_e32 vcc, s11, v3
	v_mov_b32_e32 v10, v11
	v_mov_b32_e32 v9, v11
	;; [unrolled: 1-line block ×7, first 2 shown]
	s_and_saveexec_b64 s[28:29], vcc
	s_cbranch_execz .LBB153_75
; %bb.60:
	v_or_b32_e32 v9, s4, v3
	v_mov_b32_e32 v10, 0
	v_lshlrev_b64 v[3:4], 2, v[9:10]
	v_mov_b32_e32 v5, s15
	v_add_co_u32_e32 v3, vcc, s14, v3
	v_addc_co_u32_e32 v4, vcc, v5, v4, vcc
	global_load_dword v11, v[3:4], off
	v_or_b32_e32 v3, 0x900, v0
	v_cmp_gt_u32_e32 vcc, s11, v3
	v_mov_b32_e32 v9, v10
	v_mov_b32_e32 v8, v10
	;; [unrolled: 1-line block ×6, first 2 shown]
	s_and_saveexec_b64 s[30:31], vcc
	s_cbranch_execz .LBB153_74
; %bb.61:
	v_or_b32_e32 v8, s4, v3
	v_mov_b32_e32 v9, 0
	v_lshlrev_b64 v[3:4], 2, v[8:9]
	v_mov_b32_e32 v5, s15
	v_add_co_u32_e32 v3, vcc, s14, v3
	v_addc_co_u32_e32 v4, vcc, v5, v4, vcc
	global_load_dword v10, v[3:4], off
	v_or_b32_e32 v3, 0xa00, v0
	v_cmp_gt_u32_e32 vcc, s11, v3
	v_mov_b32_e32 v8, v9
	v_mov_b32_e32 v7, v9
	;; [unrolled: 1-line block ×5, first 2 shown]
	s_and_saveexec_b64 s[34:35], vcc
	s_cbranch_execz .LBB153_73
; %bb.62:
	v_or_b32_e32 v7, s4, v3
	v_mov_b32_e32 v8, 0
	v_lshlrev_b64 v[3:4], 2, v[7:8]
	v_mov_b32_e32 v5, s15
	v_add_co_u32_e32 v3, vcc, s14, v3
	v_addc_co_u32_e32 v4, vcc, v5, v4, vcc
	global_load_dword v9, v[3:4], off
	v_or_b32_e32 v3, 0xb00, v0
	v_cmp_gt_u32_e32 vcc, s11, v3
	v_mov_b32_e32 v7, v8
	v_mov_b32_e32 v6, v8
	;; [unrolled: 1-line block ×4, first 2 shown]
	s_and_saveexec_b64 s[36:37], vcc
	s_cbranch_execz .LBB153_72
; %bb.63:
	v_or_b32_e32 v6, s4, v3
	v_mov_b32_e32 v7, 0
	v_lshlrev_b64 v[3:4], 2, v[6:7]
	v_mov_b32_e32 v5, s15
	v_add_co_u32_e32 v3, vcc, s14, v3
	v_addc_co_u32_e32 v4, vcc, v5, v4, vcc
	global_load_dword v8, v[3:4], off
	v_or_b32_e32 v3, 0xc00, v0
	v_cmp_gt_u32_e32 vcc, s11, v3
	v_mov_b32_e32 v6, v7
	v_mov_b32_e32 v5, v7
	;; [unrolled: 1-line block ×3, first 2 shown]
	s_and_saveexec_b64 s[38:39], vcc
	s_cbranch_execz .LBB153_71
; %bb.64:
	v_or_b32_e32 v5, s4, v3
	v_mov_b32_e32 v6, 0
	v_lshlrev_b64 v[3:4], 2, v[5:6]
	v_mov_b32_e32 v5, s15
	v_add_co_u32_e32 v3, vcc, s14, v3
	v_addc_co_u32_e32 v4, vcc, v5, v4, vcc
	global_load_dword v7, v[3:4], off
	v_or_b32_e32 v3, 0xd00, v0
	v_cmp_gt_u32_e32 vcc, s11, v3
	v_mov_b32_e32 v5, v6
	v_mov_b32_e32 v4, v6
	s_and_saveexec_b64 s[40:41], vcc
	s_cbranch_execz .LBB153_70
; %bb.65:
	v_add_u32_e32 v4, s4, v3
	v_mov_b32_e32 v5, 0
	v_lshlrev_b64 v[3:4], 2, v[4:5]
	v_mov_b32_e32 v6, s15
	v_add_co_u32_e32 v3, vcc, s14, v3
	v_addc_co_u32_e32 v4, vcc, v6, v4, vcc
	global_load_dword v6, v[3:4], off
	v_or_b32_e32 v3, 0xe00, v0
	v_cmp_gt_u32_e32 vcc, s11, v3
	v_mov_b32_e32 v4, v5
	s_and_saveexec_b64 s[42:43], vcc
	s_cbranch_execz .LBB153_69
; %bb.66:
	v_add_u32_e32 v3, s4, v3
	v_mov_b32_e32 v4, 0
	v_lshlrev_b64 v[16:17], 2, v[3:4]
	v_mov_b32_e32 v3, s15
	v_add_co_u32_e32 v16, vcc, s14, v16
	v_addc_co_u32_e32 v17, vcc, v3, v17, vcc
	global_load_dword v5, v[16:17], off
	v_or_b32_e32 v3, 0xf00, v0
	v_cmp_gt_u32_e32 vcc, s11, v3
	s_and_saveexec_b64 s[44:45], vcc
	s_cbranch_execz .LBB153_68
; %bb.67:
	v_add_u32_e32 v3, s4, v3
	v_mov_b32_e32 v4, 0
	v_lshlrev_b64 v[3:4], 2, v[3:4]
	v_mov_b32_e32 v16, s15
	v_add_co_u32_e32 v3, vcc, s14, v3
	v_addc_co_u32_e32 v4, vcc, v16, v4, vcc
	global_load_dword v4, v[3:4], off
.LBB153_68:
	s_or_b64 exec, exec, s[44:45]
.LBB153_69:
	s_or_b64 exec, exec, s[42:43]
.LBB153_70:
	s_or_b64 exec, exec, s[40:41]
.LBB153_71:
	s_or_b64 exec, exec, s[38:39]
.LBB153_72:
	s_or_b64 exec, exec, s[36:37]
.LBB153_73:
	s_or_b64 exec, exec, s[34:35]
.LBB153_74:
	s_or_b64 exec, exec, s[30:31]
.LBB153_75:
	s_or_b64 exec, exec, s[28:29]
.LBB153_76:
	s_or_b64 exec, exec, s[26:27]
.LBB153_77:
	s_or_b64 exec, exec, s[24:25]
.LBB153_78:
	s_or_b64 exec, exec, s[22:23]
.LBB153_79:
	s_or_b64 exec, exec, s[20:21]
.LBB153_80:
	s_or_b64 exec, exec, s[18:19]
.LBB153_81:
	s_or_b64 exec, exec, s[16:17]
.LBB153_82:
	s_or_b64 exec, exec, s[6:7]
.LBB153_83:
	s_or_b64 exec, exec, s[2:3]
	s_lshr_b32 s5, s10, 16
	s_cmp_lg_u32 s9, 0
	s_cselect_b64 s[2:3], -1, 0
                                        ; implicit-def: $vgpr3
	s_and_saveexec_b64 s[6:7], s[0:1]
	s_cbranch_execz .LBB153_88
; %bb.84:
	s_and_b64 vcc, exec, s[2:3]
	s_cbranch_vccz .LBB153_212
; %bb.85:
	s_waitcnt vmcnt(0)
	v_cmp_neq_f16_e32 vcc, s10, v20
	v_cmp_neq_f16_sdwa s[8:9], s5, v20 src0_sel:DWORD src1_sel:WORD_1
	s_or_b64 s[8:9], vcc, s[8:9]
	s_cbranch_execnz .LBB153_87
.LBB153_86:
	s_waitcnt vmcnt(0)
	v_cmp_eq_f16_e32 vcc, s10, v20
	v_cmp_eq_f16_sdwa s[14:15], s5, v20 src0_sel:DWORD src1_sel:WORD_1
	s_and_b64 s[14:15], vcc, s[14:15]
	s_andn2_b64 s[8:9], s[8:9], exec
	s_and_b64 s[14:15], s[14:15], exec
	s_or_b64 s[8:9], s[8:9], s[14:15]
.LBB153_87:
	v_cndmask_b32_e64 v3, 0, 1, s[8:9]
.LBB153_88:
	s_or_b64 exec, exec, s[6:7]
	v_or_b32_e32 v16, 0x100, v0
	v_cndmask_b32_e64 v17, 0, 1, s[2:3]
	v_cmp_gt_i32_e32 vcc, s11, v16
	v_cmp_ne_u32_e64 s[2:3], 1, v17
                                        ; implicit-def: $vgpr17
	s_and_saveexec_b64 s[6:7], vcc
	s_cbranch_execz .LBB153_93
; %bb.89:
	s_and_b64 vcc, exec, s[2:3]
	s_cbranch_vccnz .LBB153_213
; %bb.90:
	s_waitcnt vmcnt(0)
	v_cmp_neq_f16_e32 vcc, s10, v2
	v_cmp_neq_f16_sdwa s[8:9], s5, v2 src0_sel:DWORD src1_sel:WORD_1
	s_or_b64 s[8:9], vcc, s[8:9]
	s_cbranch_execnz .LBB153_92
.LBB153_91:
	s_waitcnt vmcnt(0)
	v_cmp_eq_f16_e32 vcc, s10, v2
	v_cmp_eq_f16_sdwa s[14:15], s5, v2 src0_sel:DWORD src1_sel:WORD_1
	s_and_b64 s[14:15], vcc, s[14:15]
	s_andn2_b64 s[8:9], s[8:9], exec
	s_and_b64 s[14:15], s[14:15], exec
	s_or_b64 s[8:9], s[8:9], s[14:15]
.LBB153_92:
	v_cndmask_b32_e64 v17, 0, 1, s[8:9]
.LBB153_93:
	s_or_b64 exec, exec, s[6:7]
	s_waitcnt vmcnt(0)
	v_or_b32_e32 v2, 0x200, v0
	v_cmp_gt_i32_e32 vcc, s11, v2
                                        ; implicit-def: $vgpr2
	s_and_saveexec_b64 s[6:7], vcc
	s_cbranch_execz .LBB153_98
; %bb.94:
	s_and_b64 vcc, exec, s[2:3]
	s_cbranch_vccnz .LBB153_214
; %bb.95:
	v_cmp_neq_f16_e32 vcc, s10, v15
	v_cmp_neq_f16_sdwa s[8:9], s5, v15 src0_sel:DWORD src1_sel:WORD_1
	s_or_b64 s[8:9], vcc, s[8:9]
	s_cbranch_execnz .LBB153_97
.LBB153_96:
	v_cmp_eq_f16_e32 vcc, s10, v15
	v_cmp_eq_f16_sdwa s[14:15], s5, v15 src0_sel:DWORD src1_sel:WORD_1
	s_and_b64 s[14:15], vcc, s[14:15]
	s_andn2_b64 s[8:9], s[8:9], exec
	s_and_b64 s[14:15], s[14:15], exec
	s_or_b64 s[8:9], s[8:9], s[14:15]
.LBB153_97:
	v_cndmask_b32_e64 v2, 0, 1, s[8:9]
.LBB153_98:
	s_or_b64 exec, exec, s[6:7]
	v_or_b32_e32 v15, 0x300, v0
	v_cmp_gt_i32_e32 vcc, s11, v15
                                        ; implicit-def: $vgpr15
	s_and_saveexec_b64 s[6:7], vcc
	s_cbranch_execz .LBB153_103
; %bb.99:
	s_and_b64 vcc, exec, s[2:3]
	s_cbranch_vccnz .LBB153_215
; %bb.100:
	v_cmp_neq_f16_e32 vcc, s10, v19
	v_cmp_neq_f16_sdwa s[8:9], s5, v19 src0_sel:DWORD src1_sel:WORD_1
	s_or_b64 s[8:9], vcc, s[8:9]
	s_cbranch_execnz .LBB153_102
.LBB153_101:
	v_cmp_eq_f16_e32 vcc, s10, v19
	v_cmp_eq_f16_sdwa s[14:15], s5, v19 src0_sel:DWORD src1_sel:WORD_1
	s_and_b64 s[14:15], vcc, s[14:15]
	s_andn2_b64 s[8:9], s[8:9], exec
	s_and_b64 s[14:15], s[14:15], exec
	s_or_b64 s[8:9], s[8:9], s[14:15]
.LBB153_102:
	v_cndmask_b32_e64 v15, 0, 1, s[8:9]
.LBB153_103:
	s_or_b64 exec, exec, s[6:7]
	v_or_b32_e32 v19, 0x400, v0
	v_cmp_gt_i32_e32 vcc, s11, v19
                                        ; implicit-def: $vgpr19
	s_and_saveexec_b64 s[6:7], vcc
	s_cbranch_execz .LBB153_108
; %bb.104:
	s_and_b64 vcc, exec, s[2:3]
	s_cbranch_vccnz .LBB153_216
; %bb.105:
	v_cmp_neq_f16_e32 vcc, s10, v18
	v_cmp_neq_f16_sdwa s[8:9], s5, v18 src0_sel:DWORD src1_sel:WORD_1
	s_or_b64 s[8:9], vcc, s[8:9]
	s_cbranch_execnz .LBB153_107
.LBB153_106:
	v_cmp_eq_f16_e32 vcc, s10, v18
	v_cmp_eq_f16_sdwa s[14:15], s5, v18 src0_sel:DWORD src1_sel:WORD_1
	s_and_b64 s[14:15], vcc, s[14:15]
	s_andn2_b64 s[8:9], s[8:9], exec
	s_and_b64 s[14:15], s[14:15], exec
	s_or_b64 s[8:9], s[8:9], s[14:15]
.LBB153_107:
	v_cndmask_b32_e64 v19, 0, 1, s[8:9]
.LBB153_108:
	s_or_b64 exec, exec, s[6:7]
	v_or_b32_e32 v18, 0x500, v0
	v_cmp_gt_i32_e32 vcc, s11, v18
                                        ; implicit-def: $vgpr18
	s_and_saveexec_b64 s[6:7], vcc
	s_cbranch_execz .LBB153_113
; %bb.109:
	s_and_b64 vcc, exec, s[2:3]
	s_cbranch_vccnz .LBB153_217
; %bb.110:
	v_cmp_neq_f16_e32 vcc, s10, v14
	v_cmp_neq_f16_sdwa s[8:9], s5, v14 src0_sel:DWORD src1_sel:WORD_1
	s_or_b64 s[8:9], vcc, s[8:9]
	s_cbranch_execnz .LBB153_112
.LBB153_111:
	v_cmp_eq_f16_e32 vcc, s10, v14
	v_cmp_eq_f16_sdwa s[14:15], s5, v14 src0_sel:DWORD src1_sel:WORD_1
	s_and_b64 s[14:15], vcc, s[14:15]
	s_andn2_b64 s[8:9], s[8:9], exec
	s_and_b64 s[14:15], s[14:15], exec
	s_or_b64 s[8:9], s[8:9], s[14:15]
.LBB153_112:
	v_cndmask_b32_e64 v18, 0, 1, s[8:9]
.LBB153_113:
	s_or_b64 exec, exec, s[6:7]
	v_or_b32_e32 v14, 0x600, v0
	v_cmp_gt_i32_e32 vcc, s11, v14
                                        ; implicit-def: $vgpr14
	s_and_saveexec_b64 s[6:7], vcc
	s_cbranch_execz .LBB153_118
; %bb.114:
	s_and_b64 vcc, exec, s[2:3]
	s_cbranch_vccnz .LBB153_218
; %bb.115:
	v_cmp_neq_f16_e32 vcc, s10, v13
	v_cmp_neq_f16_sdwa s[8:9], s5, v13 src0_sel:DWORD src1_sel:WORD_1
	s_or_b64 s[8:9], vcc, s[8:9]
	s_cbranch_execnz .LBB153_117
.LBB153_116:
	v_cmp_eq_f16_e32 vcc, s10, v13
	v_cmp_eq_f16_sdwa s[14:15], s5, v13 src0_sel:DWORD src1_sel:WORD_1
	s_and_b64 s[14:15], vcc, s[14:15]
	s_andn2_b64 s[8:9], s[8:9], exec
	s_and_b64 s[14:15], s[14:15], exec
	s_or_b64 s[8:9], s[8:9], s[14:15]
.LBB153_117:
	v_cndmask_b32_e64 v14, 0, 1, s[8:9]
.LBB153_118:
	s_or_b64 exec, exec, s[6:7]
	v_or_b32_e32 v13, 0x700, v0
	v_cmp_gt_i32_e32 vcc, s11, v13
                                        ; implicit-def: $vgpr13
	s_and_saveexec_b64 s[6:7], vcc
	s_cbranch_execz .LBB153_123
; %bb.119:
	s_and_b64 vcc, exec, s[2:3]
	s_cbranch_vccnz .LBB153_219
; %bb.120:
	v_cmp_neq_f16_e32 vcc, s10, v12
	v_cmp_neq_f16_sdwa s[8:9], s5, v12 src0_sel:DWORD src1_sel:WORD_1
	s_or_b64 s[8:9], vcc, s[8:9]
	s_cbranch_execnz .LBB153_122
.LBB153_121:
	v_cmp_eq_f16_e32 vcc, s10, v12
	v_cmp_eq_f16_sdwa s[14:15], s5, v12 src0_sel:DWORD src1_sel:WORD_1
	s_and_b64 s[14:15], vcc, s[14:15]
	s_andn2_b64 s[8:9], s[8:9], exec
	s_and_b64 s[14:15], s[14:15], exec
	s_or_b64 s[8:9], s[8:9], s[14:15]
.LBB153_122:
	v_cndmask_b32_e64 v13, 0, 1, s[8:9]
.LBB153_123:
	s_or_b64 exec, exec, s[6:7]
	v_or_b32_e32 v12, 0x800, v0
	v_cmp_gt_i32_e32 vcc, s11, v12
                                        ; implicit-def: $vgpr12
	s_and_saveexec_b64 s[6:7], vcc
	s_cbranch_execz .LBB153_128
; %bb.124:
	s_and_b64 vcc, exec, s[2:3]
	s_cbranch_vccnz .LBB153_220
; %bb.125:
	v_cmp_neq_f16_e32 vcc, s10, v11
	v_cmp_neq_f16_sdwa s[8:9], s5, v11 src0_sel:DWORD src1_sel:WORD_1
	s_or_b64 s[8:9], vcc, s[8:9]
	s_cbranch_execnz .LBB153_127
.LBB153_126:
	v_cmp_eq_f16_e32 vcc, s10, v11
	v_cmp_eq_f16_sdwa s[14:15], s5, v11 src0_sel:DWORD src1_sel:WORD_1
	s_and_b64 s[14:15], vcc, s[14:15]
	s_andn2_b64 s[8:9], s[8:9], exec
	s_and_b64 s[14:15], s[14:15], exec
	s_or_b64 s[8:9], s[8:9], s[14:15]
.LBB153_127:
	v_cndmask_b32_e64 v12, 0, 1, s[8:9]
.LBB153_128:
	s_or_b64 exec, exec, s[6:7]
	v_or_b32_e32 v11, 0x900, v0
	v_cmp_gt_i32_e32 vcc, s11, v11
                                        ; implicit-def: $vgpr11
	s_and_saveexec_b64 s[6:7], vcc
	s_cbranch_execz .LBB153_133
; %bb.129:
	s_and_b64 vcc, exec, s[2:3]
	s_cbranch_vccnz .LBB153_221
; %bb.130:
	v_cmp_neq_f16_e32 vcc, s10, v10
	v_cmp_neq_f16_sdwa s[8:9], s5, v10 src0_sel:DWORD src1_sel:WORD_1
	s_or_b64 s[8:9], vcc, s[8:9]
	s_cbranch_execnz .LBB153_132
.LBB153_131:
	v_cmp_eq_f16_e32 vcc, s10, v10
	v_cmp_eq_f16_sdwa s[14:15], s5, v10 src0_sel:DWORD src1_sel:WORD_1
	s_and_b64 s[14:15], vcc, s[14:15]
	s_andn2_b64 s[8:9], s[8:9], exec
	s_and_b64 s[14:15], s[14:15], exec
	s_or_b64 s[8:9], s[8:9], s[14:15]
.LBB153_132:
	v_cndmask_b32_e64 v11, 0, 1, s[8:9]
.LBB153_133:
	s_or_b64 exec, exec, s[6:7]
	v_or_b32_e32 v10, 0xa00, v0
	v_cmp_gt_i32_e32 vcc, s11, v10
                                        ; implicit-def: $vgpr10
	s_and_saveexec_b64 s[6:7], vcc
	s_cbranch_execz .LBB153_138
; %bb.134:
	s_and_b64 vcc, exec, s[2:3]
	s_cbranch_vccnz .LBB153_222
; %bb.135:
	v_cmp_neq_f16_e32 vcc, s10, v9
	v_cmp_neq_f16_sdwa s[8:9], s5, v9 src0_sel:DWORD src1_sel:WORD_1
	s_or_b64 s[8:9], vcc, s[8:9]
	s_cbranch_execnz .LBB153_137
.LBB153_136:
	v_cmp_eq_f16_e32 vcc, s10, v9
	v_cmp_eq_f16_sdwa s[14:15], s5, v9 src0_sel:DWORD src1_sel:WORD_1
	s_and_b64 s[14:15], vcc, s[14:15]
	s_andn2_b64 s[8:9], s[8:9], exec
	s_and_b64 s[14:15], s[14:15], exec
	s_or_b64 s[8:9], s[8:9], s[14:15]
.LBB153_137:
	v_cndmask_b32_e64 v10, 0, 1, s[8:9]
.LBB153_138:
	s_or_b64 exec, exec, s[6:7]
	v_or_b32_e32 v9, 0xb00, v0
	v_cmp_gt_i32_e32 vcc, s11, v9
                                        ; implicit-def: $vgpr9
	s_and_saveexec_b64 s[6:7], vcc
	s_cbranch_execz .LBB153_143
; %bb.139:
	s_and_b64 vcc, exec, s[2:3]
	s_cbranch_vccnz .LBB153_223
; %bb.140:
	v_cmp_neq_f16_e32 vcc, s10, v8
	v_cmp_neq_f16_sdwa s[8:9], s5, v8 src0_sel:DWORD src1_sel:WORD_1
	s_or_b64 s[8:9], vcc, s[8:9]
	s_cbranch_execnz .LBB153_142
.LBB153_141:
	v_cmp_eq_f16_e32 vcc, s10, v8
	v_cmp_eq_f16_sdwa s[14:15], s5, v8 src0_sel:DWORD src1_sel:WORD_1
	s_and_b64 s[14:15], vcc, s[14:15]
	s_andn2_b64 s[8:9], s[8:9], exec
	s_and_b64 s[14:15], s[14:15], exec
	s_or_b64 s[8:9], s[8:9], s[14:15]
.LBB153_142:
	v_cndmask_b32_e64 v9, 0, 1, s[8:9]
.LBB153_143:
	s_or_b64 exec, exec, s[6:7]
	v_or_b32_e32 v8, 0xc00, v0
	v_cmp_gt_i32_e32 vcc, s11, v8
                                        ; implicit-def: $vgpr8
	s_and_saveexec_b64 s[6:7], vcc
	s_cbranch_execz .LBB153_148
; %bb.144:
	s_and_b64 vcc, exec, s[2:3]
	s_cbranch_vccnz .LBB153_224
; %bb.145:
	v_cmp_neq_f16_e32 vcc, s10, v7
	v_cmp_neq_f16_sdwa s[8:9], s5, v7 src0_sel:DWORD src1_sel:WORD_1
	s_or_b64 s[8:9], vcc, s[8:9]
	s_cbranch_execnz .LBB153_147
.LBB153_146:
	v_cmp_eq_f16_e32 vcc, s10, v7
	v_cmp_eq_f16_sdwa s[14:15], s5, v7 src0_sel:DWORD src1_sel:WORD_1
	s_and_b64 s[14:15], vcc, s[14:15]
	s_andn2_b64 s[8:9], s[8:9], exec
	s_and_b64 s[14:15], s[14:15], exec
	s_or_b64 s[8:9], s[8:9], s[14:15]
.LBB153_147:
	v_cndmask_b32_e64 v8, 0, 1, s[8:9]
.LBB153_148:
	s_or_b64 exec, exec, s[6:7]
	v_or_b32_e32 v7, 0xd00, v0
	v_cmp_gt_i32_e32 vcc, s11, v7
                                        ; implicit-def: $vgpr7
	s_and_saveexec_b64 s[6:7], vcc
	s_cbranch_execz .LBB153_153
; %bb.149:
	s_and_b64 vcc, exec, s[2:3]
	s_cbranch_vccnz .LBB153_225
; %bb.150:
	v_cmp_neq_f16_e32 vcc, s10, v6
	v_cmp_neq_f16_sdwa s[8:9], s5, v6 src0_sel:DWORD src1_sel:WORD_1
	s_or_b64 s[8:9], vcc, s[8:9]
	s_cbranch_execnz .LBB153_152
.LBB153_151:
	v_cmp_eq_f16_e32 vcc, s10, v6
	v_cmp_eq_f16_sdwa s[14:15], s5, v6 src0_sel:DWORD src1_sel:WORD_1
	s_and_b64 s[14:15], vcc, s[14:15]
	s_andn2_b64 s[8:9], s[8:9], exec
	s_and_b64 s[14:15], s[14:15], exec
	s_or_b64 s[8:9], s[8:9], s[14:15]
.LBB153_152:
	v_cndmask_b32_e64 v7, 0, 1, s[8:9]
.LBB153_153:
	s_or_b64 exec, exec, s[6:7]
	v_or_b32_e32 v6, 0xe00, v0
	v_cmp_gt_i32_e32 vcc, s11, v6
                                        ; implicit-def: $vgpr6
	s_and_saveexec_b64 s[6:7], vcc
	s_cbranch_execz .LBB153_158
; %bb.154:
	s_and_b64 vcc, exec, s[2:3]
	s_cbranch_vccnz .LBB153_226
; %bb.155:
	v_cmp_neq_f16_e32 vcc, s10, v5
	v_cmp_neq_f16_sdwa s[8:9], s5, v5 src0_sel:DWORD src1_sel:WORD_1
	s_or_b64 s[8:9], vcc, s[8:9]
	s_cbranch_execnz .LBB153_157
.LBB153_156:
	v_cmp_eq_f16_e32 vcc, s10, v5
	v_cmp_eq_f16_sdwa s[14:15], s5, v5 src0_sel:DWORD src1_sel:WORD_1
	s_and_b64 s[14:15], vcc, s[14:15]
	s_andn2_b64 s[8:9], s[8:9], exec
	s_and_b64 s[14:15], s[14:15], exec
	s_or_b64 s[8:9], s[8:9], s[14:15]
.LBB153_157:
	v_cndmask_b32_e64 v6, 0, 1, s[8:9]
.LBB153_158:
	s_or_b64 exec, exec, s[6:7]
	v_or_b32_e32 v5, 0xf00, v0
	v_cmp_gt_i32_e32 vcc, s11, v5
                                        ; implicit-def: $vgpr5
	s_and_saveexec_b64 s[6:7], vcc
	s_cbranch_execz .LBB153_163
; %bb.159:
	s_and_b64 vcc, exec, s[2:3]
	s_cbranch_vccnz .LBB153_227
; %bb.160:
	v_cmp_neq_f16_e32 vcc, s10, v4
	v_cmp_neq_f16_sdwa s[2:3], s5, v4 src0_sel:DWORD src1_sel:WORD_1
	s_or_b64 s[2:3], vcc, s[2:3]
	s_cbranch_execnz .LBB153_162
.LBB153_161:
	v_cmp_eq_f16_e32 vcc, s10, v4
	v_cmp_eq_f16_sdwa s[8:9], s5, v4 src0_sel:DWORD src1_sel:WORD_1
	s_and_b64 s[8:9], vcc, s[8:9]
	s_andn2_b64 s[2:3], s[2:3], exec
	s_and_b64 s[8:9], s[8:9], exec
	s_or_b64 s[2:3], s[2:3], s[8:9]
.LBB153_162:
	v_cndmask_b32_e64 v5, 0, 1, s[2:3]
.LBB153_163:
	s_or_b64 exec, exec, s[6:7]
	s_and_saveexec_b64 s[2:3], s[0:1]
	s_xor_b64 s[0:1], exec, s[2:3]
	s_cbranch_execz .LBB153_165
; %bb.164:
	v_mov_b32_e32 v0, v16
	global_store_byte v1, v3, s[12:13]
.LBB153_165:
	s_or_b64 exec, exec, s[0:1]
	v_cmp_gt_i32_e32 vcc, s11, v0
	s_and_saveexec_b64 s[0:1], vcc
	s_cbranch_execnz .LBB153_181
; %bb.166:
	s_or_b64 exec, exec, s[0:1]
	v_cmp_gt_i32_e32 vcc, s11, v0
	s_and_saveexec_b64 s[0:1], vcc
	s_cbranch_execnz .LBB153_182
.LBB153_167:
	s_or_b64 exec, exec, s[0:1]
	v_cmp_gt_i32_e32 vcc, s11, v0
	s_and_saveexec_b64 s[0:1], vcc
	s_cbranch_execnz .LBB153_183
.LBB153_168:
	s_or_b64 exec, exec, s[0:1]
	v_cmp_gt_i32_e32 vcc, s11, v0
	s_and_saveexec_b64 s[0:1], vcc
	s_cbranch_execnz .LBB153_184
.LBB153_169:
	s_or_b64 exec, exec, s[0:1]
	v_cmp_gt_i32_e32 vcc, s11, v0
	s_and_saveexec_b64 s[0:1], vcc
	s_cbranch_execnz .LBB153_185
.LBB153_170:
	s_or_b64 exec, exec, s[0:1]
	v_cmp_gt_i32_e32 vcc, s11, v0
	s_and_saveexec_b64 s[0:1], vcc
	s_cbranch_execnz .LBB153_186
.LBB153_171:
	s_or_b64 exec, exec, s[0:1]
	v_cmp_gt_i32_e32 vcc, s11, v0
	s_and_saveexec_b64 s[0:1], vcc
	s_cbranch_execnz .LBB153_187
.LBB153_172:
	s_or_b64 exec, exec, s[0:1]
	v_cmp_gt_i32_e32 vcc, s11, v0
	s_and_saveexec_b64 s[0:1], vcc
	s_cbranch_execnz .LBB153_188
.LBB153_173:
	s_or_b64 exec, exec, s[0:1]
	v_cmp_gt_i32_e32 vcc, s11, v0
	s_and_saveexec_b64 s[0:1], vcc
	s_cbranch_execnz .LBB153_189
.LBB153_174:
	s_or_b64 exec, exec, s[0:1]
	v_cmp_gt_i32_e32 vcc, s11, v0
	s_and_saveexec_b64 s[0:1], vcc
	s_cbranch_execnz .LBB153_190
.LBB153_175:
	s_or_b64 exec, exec, s[0:1]
	v_cmp_gt_i32_e32 vcc, s11, v0
	s_and_saveexec_b64 s[0:1], vcc
	s_cbranch_execnz .LBB153_191
.LBB153_176:
	s_or_b64 exec, exec, s[0:1]
	v_cmp_gt_i32_e32 vcc, s11, v0
	s_and_saveexec_b64 s[0:1], vcc
	s_cbranch_execnz .LBB153_192
.LBB153_177:
	s_or_b64 exec, exec, s[0:1]
	v_cmp_gt_i32_e32 vcc, s11, v0
	s_and_saveexec_b64 s[0:1], vcc
	s_cbranch_execnz .LBB153_193
.LBB153_178:
	s_or_b64 exec, exec, s[0:1]
	v_cmp_gt_i32_e32 vcc, s11, v0
	s_and_saveexec_b64 s[0:1], vcc
	s_cbranch_execnz .LBB153_194
.LBB153_179:
	s_or_b64 exec, exec, s[0:1]
	v_cmp_gt_i32_e32 vcc, s11, v0
	s_and_saveexec_b64 s[0:1], vcc
	s_cbranch_execz .LBB153_195
.LBB153_180:
	v_add_u32_e32 v0, s4, v0
	global_store_byte v0, v5, s[12:13]
	s_endpgm
.LBB153_181:
	v_add_u32_e32 v1, s4, v0
	v_add_u32_e32 v0, 0x100, v0
	global_store_byte v1, v17, s[12:13]
	s_or_b64 exec, exec, s[0:1]
	v_cmp_gt_i32_e32 vcc, s11, v0
	s_and_saveexec_b64 s[0:1], vcc
	s_cbranch_execz .LBB153_167
.LBB153_182:
	v_add_u32_e32 v1, s4, v0
	v_add_u32_e32 v0, 0x100, v0
	global_store_byte v1, v2, s[12:13]
	s_or_b64 exec, exec, s[0:1]
	v_cmp_gt_i32_e32 vcc, s11, v0
	s_and_saveexec_b64 s[0:1], vcc
	s_cbranch_execz .LBB153_168
.LBB153_183:
	v_add_u32_e32 v1, s4, v0
	v_add_u32_e32 v0, 0x100, v0
	global_store_byte v1, v15, s[12:13]
	s_or_b64 exec, exec, s[0:1]
	v_cmp_gt_i32_e32 vcc, s11, v0
	s_and_saveexec_b64 s[0:1], vcc
	s_cbranch_execz .LBB153_169
.LBB153_184:
	v_add_u32_e32 v1, s4, v0
	v_add_u32_e32 v0, 0x100, v0
	global_store_byte v1, v19, s[12:13]
	s_or_b64 exec, exec, s[0:1]
	v_cmp_gt_i32_e32 vcc, s11, v0
	s_and_saveexec_b64 s[0:1], vcc
	s_cbranch_execz .LBB153_170
.LBB153_185:
	v_add_u32_e32 v1, s4, v0
	v_add_u32_e32 v0, 0x100, v0
	global_store_byte v1, v18, s[12:13]
	s_or_b64 exec, exec, s[0:1]
	v_cmp_gt_i32_e32 vcc, s11, v0
	s_and_saveexec_b64 s[0:1], vcc
	s_cbranch_execz .LBB153_171
.LBB153_186:
	v_add_u32_e32 v1, s4, v0
	v_add_u32_e32 v0, 0x100, v0
	global_store_byte v1, v14, s[12:13]
	s_or_b64 exec, exec, s[0:1]
	v_cmp_gt_i32_e32 vcc, s11, v0
	s_and_saveexec_b64 s[0:1], vcc
	s_cbranch_execz .LBB153_172
.LBB153_187:
	v_add_u32_e32 v1, s4, v0
	v_add_u32_e32 v0, 0x100, v0
	global_store_byte v1, v13, s[12:13]
	s_or_b64 exec, exec, s[0:1]
	v_cmp_gt_i32_e32 vcc, s11, v0
	s_and_saveexec_b64 s[0:1], vcc
	s_cbranch_execz .LBB153_173
.LBB153_188:
	v_add_u32_e32 v1, s4, v0
	v_add_u32_e32 v0, 0x100, v0
	global_store_byte v1, v12, s[12:13]
	s_or_b64 exec, exec, s[0:1]
	v_cmp_gt_i32_e32 vcc, s11, v0
	s_and_saveexec_b64 s[0:1], vcc
	s_cbranch_execz .LBB153_174
.LBB153_189:
	v_add_u32_e32 v1, s4, v0
	v_add_u32_e32 v0, 0x100, v0
	global_store_byte v1, v11, s[12:13]
	s_or_b64 exec, exec, s[0:1]
	v_cmp_gt_i32_e32 vcc, s11, v0
	s_and_saveexec_b64 s[0:1], vcc
	s_cbranch_execz .LBB153_175
.LBB153_190:
	v_add_u32_e32 v1, s4, v0
	v_add_u32_e32 v0, 0x100, v0
	global_store_byte v1, v10, s[12:13]
	s_or_b64 exec, exec, s[0:1]
	v_cmp_gt_i32_e32 vcc, s11, v0
	s_and_saveexec_b64 s[0:1], vcc
	s_cbranch_execz .LBB153_176
.LBB153_191:
	v_add_u32_e32 v1, s4, v0
	v_add_u32_e32 v0, 0x100, v0
	global_store_byte v1, v9, s[12:13]
	s_or_b64 exec, exec, s[0:1]
	v_cmp_gt_i32_e32 vcc, s11, v0
	s_and_saveexec_b64 s[0:1], vcc
	s_cbranch_execz .LBB153_177
.LBB153_192:
	v_add_u32_e32 v1, s4, v0
	v_add_u32_e32 v0, 0x100, v0
	global_store_byte v1, v8, s[12:13]
	s_or_b64 exec, exec, s[0:1]
	v_cmp_gt_i32_e32 vcc, s11, v0
	s_and_saveexec_b64 s[0:1], vcc
	s_cbranch_execz .LBB153_178
.LBB153_193:
	v_add_u32_e32 v1, s4, v0
	v_add_u32_e32 v0, 0x100, v0
	global_store_byte v1, v7, s[12:13]
	s_or_b64 exec, exec, s[0:1]
	v_cmp_gt_i32_e32 vcc, s11, v0
	s_and_saveexec_b64 s[0:1], vcc
	s_cbranch_execz .LBB153_179
.LBB153_194:
	v_add_u32_e32 v1, s4, v0
	v_add_u32_e32 v0, 0x100, v0
	global_store_byte v1, v6, s[12:13]
	s_or_b64 exec, exec, s[0:1]
	v_cmp_gt_i32_e32 vcc, s11, v0
	s_and_saveexec_b64 s[0:1], vcc
	s_cbranch_execnz .LBB153_180
.LBB153_195:
	s_endpgm
.LBB153_196:
                                        ; implicit-def: $sgpr2_sgpr3
	s_branch .LBB153_3
.LBB153_197:
                                        ; implicit-def: $sgpr6_sgpr7
	s_branch .LBB153_6
.LBB153_198:
                                        ; implicit-def: $sgpr16_sgpr17
	s_branch .LBB153_9
.LBB153_199:
                                        ; implicit-def: $sgpr18_sgpr19
	s_branch .LBB153_12
.LBB153_200:
                                        ; implicit-def: $sgpr20_sgpr21
	s_branch .LBB153_15
.LBB153_201:
                                        ; implicit-def: $sgpr22_sgpr23
	s_branch .LBB153_18
.LBB153_202:
                                        ; implicit-def: $sgpr24_sgpr25
	s_branch .LBB153_21
.LBB153_203:
                                        ; implicit-def: $sgpr26_sgpr27
	s_branch .LBB153_24
.LBB153_204:
                                        ; implicit-def: $sgpr28_sgpr29
	s_branch .LBB153_27
.LBB153_205:
                                        ; implicit-def: $sgpr30_sgpr31
	s_branch .LBB153_30
.LBB153_206:
                                        ; implicit-def: $sgpr34_sgpr35
	s_branch .LBB153_33
.LBB153_207:
                                        ; implicit-def: $sgpr36_sgpr37
	s_branch .LBB153_36
.LBB153_208:
                                        ; implicit-def: $sgpr38_sgpr39
	s_branch .LBB153_39
.LBB153_209:
                                        ; implicit-def: $sgpr40_sgpr41
	s_branch .LBB153_42
.LBB153_210:
                                        ; implicit-def: $sgpr42_sgpr43
	s_branch .LBB153_45
.LBB153_211:
                                        ; implicit-def: $sgpr0_sgpr1
	s_branch .LBB153_48
.LBB153_212:
                                        ; implicit-def: $sgpr8_sgpr9
	s_branch .LBB153_86
.LBB153_213:
                                        ; implicit-def: $sgpr8_sgpr9
	s_branch .LBB153_91
.LBB153_214:
                                        ; implicit-def: $sgpr8_sgpr9
	s_branch .LBB153_96
.LBB153_215:
                                        ; implicit-def: $sgpr8_sgpr9
	s_branch .LBB153_101
.LBB153_216:
                                        ; implicit-def: $sgpr8_sgpr9
	s_branch .LBB153_106
.LBB153_217:
                                        ; implicit-def: $sgpr8_sgpr9
	s_branch .LBB153_111
.LBB153_218:
                                        ; implicit-def: $sgpr8_sgpr9
	s_branch .LBB153_116
.LBB153_219:
                                        ; implicit-def: $sgpr8_sgpr9
	s_branch .LBB153_121
.LBB153_220:
                                        ; implicit-def: $sgpr8_sgpr9
	s_branch .LBB153_126
.LBB153_221:
                                        ; implicit-def: $sgpr8_sgpr9
	s_branch .LBB153_131
.LBB153_222:
                                        ; implicit-def: $sgpr8_sgpr9
	s_branch .LBB153_136
.LBB153_223:
                                        ; implicit-def: $sgpr8_sgpr9
	s_branch .LBB153_141
.LBB153_224:
                                        ; implicit-def: $sgpr8_sgpr9
	s_branch .LBB153_146
.LBB153_225:
                                        ; implicit-def: $sgpr8_sgpr9
	s_branch .LBB153_151
.LBB153_226:
                                        ; implicit-def: $sgpr8_sgpr9
	s_branch .LBB153_156
.LBB153_227:
                                        ; implicit-def: $sgpr2_sgpr3
	s_branch .LBB153_161
	.section	.rodata,"a",@progbits
	.p2align	6, 0x0
	.amdhsa_kernel _ZN2at6native29vectorized_elementwise_kernelILi8ENS0_13AUnaryFunctorIN3c107complexINS3_4HalfEEES6_bNS0_12_GLOBAL__N_116CompareEqFunctorIS6_EEEESt5arrayIPcLm2EEEEviT0_T1_
		.amdhsa_group_segment_fixed_size 0
		.amdhsa_private_segment_fixed_size 0
		.amdhsa_kernarg_size 32
		.amdhsa_user_sgpr_count 6
		.amdhsa_user_sgpr_private_segment_buffer 1
		.amdhsa_user_sgpr_dispatch_ptr 0
		.amdhsa_user_sgpr_queue_ptr 0
		.amdhsa_user_sgpr_kernarg_segment_ptr 1
		.amdhsa_user_sgpr_dispatch_id 0
		.amdhsa_user_sgpr_flat_scratch_init 0
		.amdhsa_user_sgpr_private_segment_size 0
		.amdhsa_uses_dynamic_stack 0
		.amdhsa_system_sgpr_private_segment_wavefront_offset 0
		.amdhsa_system_sgpr_workgroup_id_x 1
		.amdhsa_system_sgpr_workgroup_id_y 0
		.amdhsa_system_sgpr_workgroup_id_z 0
		.amdhsa_system_sgpr_workgroup_info 0
		.amdhsa_system_vgpr_workitem_id 0
		.amdhsa_next_free_vgpr 21
		.amdhsa_next_free_sgpr 46
		.amdhsa_reserve_vcc 1
		.amdhsa_reserve_flat_scratch 0
		.amdhsa_float_round_mode_32 0
		.amdhsa_float_round_mode_16_64 0
		.amdhsa_float_denorm_mode_32 3
		.amdhsa_float_denorm_mode_16_64 3
		.amdhsa_dx10_clamp 1
		.amdhsa_ieee_mode 1
		.amdhsa_fp16_overflow 0
		.amdhsa_exception_fp_ieee_invalid_op 0
		.amdhsa_exception_fp_denorm_src 0
		.amdhsa_exception_fp_ieee_div_zero 0
		.amdhsa_exception_fp_ieee_overflow 0
		.amdhsa_exception_fp_ieee_underflow 0
		.amdhsa_exception_fp_ieee_inexact 0
		.amdhsa_exception_int_div_zero 0
	.end_amdhsa_kernel
	.section	.text._ZN2at6native29vectorized_elementwise_kernelILi8ENS0_13AUnaryFunctorIN3c107complexINS3_4HalfEEES6_bNS0_12_GLOBAL__N_116CompareEqFunctorIS6_EEEESt5arrayIPcLm2EEEEviT0_T1_,"axG",@progbits,_ZN2at6native29vectorized_elementwise_kernelILi8ENS0_13AUnaryFunctorIN3c107complexINS3_4HalfEEES6_bNS0_12_GLOBAL__N_116CompareEqFunctorIS6_EEEESt5arrayIPcLm2EEEEviT0_T1_,comdat
.Lfunc_end153:
	.size	_ZN2at6native29vectorized_elementwise_kernelILi8ENS0_13AUnaryFunctorIN3c107complexINS3_4HalfEEES6_bNS0_12_GLOBAL__N_116CompareEqFunctorIS6_EEEESt5arrayIPcLm2EEEEviT0_T1_, .Lfunc_end153-_ZN2at6native29vectorized_elementwise_kernelILi8ENS0_13AUnaryFunctorIN3c107complexINS3_4HalfEEES6_bNS0_12_GLOBAL__N_116CompareEqFunctorIS6_EEEESt5arrayIPcLm2EEEEviT0_T1_
                                        ; -- End function
	.set _ZN2at6native29vectorized_elementwise_kernelILi8ENS0_13AUnaryFunctorIN3c107complexINS3_4HalfEEES6_bNS0_12_GLOBAL__N_116CompareEqFunctorIS6_EEEESt5arrayIPcLm2EEEEviT0_T1_.num_vgpr, 21
	.set _ZN2at6native29vectorized_elementwise_kernelILi8ENS0_13AUnaryFunctorIN3c107complexINS3_4HalfEEES6_bNS0_12_GLOBAL__N_116CompareEqFunctorIS6_EEEESt5arrayIPcLm2EEEEviT0_T1_.num_agpr, 0
	.set _ZN2at6native29vectorized_elementwise_kernelILi8ENS0_13AUnaryFunctorIN3c107complexINS3_4HalfEEES6_bNS0_12_GLOBAL__N_116CompareEqFunctorIS6_EEEESt5arrayIPcLm2EEEEviT0_T1_.numbered_sgpr, 46
	.set _ZN2at6native29vectorized_elementwise_kernelILi8ENS0_13AUnaryFunctorIN3c107complexINS3_4HalfEEES6_bNS0_12_GLOBAL__N_116CompareEqFunctorIS6_EEEESt5arrayIPcLm2EEEEviT0_T1_.num_named_barrier, 0
	.set _ZN2at6native29vectorized_elementwise_kernelILi8ENS0_13AUnaryFunctorIN3c107complexINS3_4HalfEEES6_bNS0_12_GLOBAL__N_116CompareEqFunctorIS6_EEEESt5arrayIPcLm2EEEEviT0_T1_.private_seg_size, 0
	.set _ZN2at6native29vectorized_elementwise_kernelILi8ENS0_13AUnaryFunctorIN3c107complexINS3_4HalfEEES6_bNS0_12_GLOBAL__N_116CompareEqFunctorIS6_EEEESt5arrayIPcLm2EEEEviT0_T1_.uses_vcc, 1
	.set _ZN2at6native29vectorized_elementwise_kernelILi8ENS0_13AUnaryFunctorIN3c107complexINS3_4HalfEEES6_bNS0_12_GLOBAL__N_116CompareEqFunctorIS6_EEEESt5arrayIPcLm2EEEEviT0_T1_.uses_flat_scratch, 0
	.set _ZN2at6native29vectorized_elementwise_kernelILi8ENS0_13AUnaryFunctorIN3c107complexINS3_4HalfEEES6_bNS0_12_GLOBAL__N_116CompareEqFunctorIS6_EEEESt5arrayIPcLm2EEEEviT0_T1_.has_dyn_sized_stack, 0
	.set _ZN2at6native29vectorized_elementwise_kernelILi8ENS0_13AUnaryFunctorIN3c107complexINS3_4HalfEEES6_bNS0_12_GLOBAL__N_116CompareEqFunctorIS6_EEEESt5arrayIPcLm2EEEEviT0_T1_.has_recursion, 0
	.set _ZN2at6native29vectorized_elementwise_kernelILi8ENS0_13AUnaryFunctorIN3c107complexINS3_4HalfEEES6_bNS0_12_GLOBAL__N_116CompareEqFunctorIS6_EEEESt5arrayIPcLm2EEEEviT0_T1_.has_indirect_call, 0
	.section	.AMDGPU.csdata,"",@progbits
; Kernel info:
; codeLenInByte = 5164
; TotalNumSgprs: 50
; NumVgprs: 21
; ScratchSize: 0
; MemoryBound: 0
; FloatMode: 240
; IeeeMode: 1
; LDSByteSize: 0 bytes/workgroup (compile time only)
; SGPRBlocks: 6
; VGPRBlocks: 5
; NumSGPRsForWavesPerEU: 50
; NumVGPRsForWavesPerEU: 21
; Occupancy: 10
; WaveLimiterHint : 1
; COMPUTE_PGM_RSRC2:SCRATCH_EN: 0
; COMPUTE_PGM_RSRC2:USER_SGPR: 6
; COMPUTE_PGM_RSRC2:TRAP_HANDLER: 0
; COMPUTE_PGM_RSRC2:TGID_X_EN: 1
; COMPUTE_PGM_RSRC2:TGID_Y_EN: 0
; COMPUTE_PGM_RSRC2:TGID_Z_EN: 0
; COMPUTE_PGM_RSRC2:TIDIG_COMP_CNT: 0
	.section	.text._ZN2at6native29vectorized_elementwise_kernelILi4ENS0_13AUnaryFunctorIN3c107complexINS3_4HalfEEES6_bNS0_12_GLOBAL__N_116CompareEqFunctorIS6_EEEESt5arrayIPcLm2EEEEviT0_T1_,"axG",@progbits,_ZN2at6native29vectorized_elementwise_kernelILi4ENS0_13AUnaryFunctorIN3c107complexINS3_4HalfEEES6_bNS0_12_GLOBAL__N_116CompareEqFunctorIS6_EEEESt5arrayIPcLm2EEEEviT0_T1_,comdat
	.globl	_ZN2at6native29vectorized_elementwise_kernelILi4ENS0_13AUnaryFunctorIN3c107complexINS3_4HalfEEES6_bNS0_12_GLOBAL__N_116CompareEqFunctorIS6_EEEESt5arrayIPcLm2EEEEviT0_T1_ ; -- Begin function _ZN2at6native29vectorized_elementwise_kernelILi4ENS0_13AUnaryFunctorIN3c107complexINS3_4HalfEEES6_bNS0_12_GLOBAL__N_116CompareEqFunctorIS6_EEEESt5arrayIPcLm2EEEEviT0_T1_
	.p2align	8
	.type	_ZN2at6native29vectorized_elementwise_kernelILi4ENS0_13AUnaryFunctorIN3c107complexINS3_4HalfEEES6_bNS0_12_GLOBAL__N_116CompareEqFunctorIS6_EEEESt5arrayIPcLm2EEEEviT0_T1_,@function
_ZN2at6native29vectorized_elementwise_kernelILi4ENS0_13AUnaryFunctorIN3c107complexINS3_4HalfEEES6_bNS0_12_GLOBAL__N_116CompareEqFunctorIS6_EEEESt5arrayIPcLm2EEEEviT0_T1_: ; @_ZN2at6native29vectorized_elementwise_kernelILi4ENS0_13AUnaryFunctorIN3c107complexINS3_4HalfEEES6_bNS0_12_GLOBAL__N_116CompareEqFunctorIS6_EEEESt5arrayIPcLm2EEEEviT0_T1_
; %bb.0:
	s_load_dwordx8 s[8:15], s[4:5], 0x0
	s_lshl_b32 s4, s6, 12
	s_mov_b64 s[0:1], -1
	s_waitcnt lgkmcnt(0)
	s_sub_i32 s11, s8, s4
	s_cmpk_gt_i32 s11, 0xfff
	s_cbranch_scc0 .LBB154_50
; %bb.1:
	s_ashr_i32 s5, s4, 31
	s_lshl_b64 s[0:1], s[4:5], 2
	s_add_u32 s0, s14, s0
	s_addc_u32 s1, s15, s1
	v_lshlrev_b32_e32 v3, 4, v0
	v_mov_b32_e32 v1, s1
	v_add_co_u32_e32 v4, vcc, s0, v3
	v_addc_co_u32_e32 v5, vcc, 0, v1, vcc
	v_add_co_u32_e32 v1, vcc, 0x1000, v4
	v_addc_co_u32_e32 v2, vcc, 0, v5, vcc
	;; [unrolled: 2-line block ×3, first 2 shown]
	v_add_co_u32_e32 v19, vcc, 0x3000, v4
	global_load_dwordx4 v[13:16], v3, s[0:1]
	global_load_dwordx4 v[9:12], v[1:2], off
	v_addc_co_u32_e32 v20, vcc, 0, v5, vcc
	global_load_dwordx4 v[5:8], v[17:18], off
	global_load_dwordx4 v[1:4], v[19:20], off
	s_lshr_b32 s8, s10, 16
	s_cmp_lg_u32 s9, 0
	s_cselect_b64 s[6:7], -1, 0
	s_and_b64 vcc, exec, s[6:7]
	s_cbranch_vccz .LBB154_196
; %bb.2:
	s_waitcnt vmcnt(3)
	v_cmp_neq_f16_e32 vcc, s10, v13
	v_cmp_neq_f16_sdwa s[0:1], s8, v13 src0_sel:DWORD src1_sel:WORD_1
	s_or_b64 s[2:3], vcc, s[0:1]
	s_cbranch_execnz .LBB154_4
.LBB154_3:
	s_waitcnt vmcnt(3)
	v_cmp_eq_f16_e32 vcc, s10, v13
	v_cmp_eq_f16_sdwa s[0:1], s8, v13 src0_sel:DWORD src1_sel:WORD_1
	s_and_b64 s[0:1], vcc, s[0:1]
	s_andn2_b64 s[2:3], s[2:3], exec
	s_and_b64 s[0:1], s[0:1], exec
	s_or_b64 s[2:3], s[2:3], s[0:1]
.LBB154_4:
	s_waitcnt vmcnt(3)
	v_cndmask_b32_e64 v13, 0, 1, s[6:7]
	v_cmp_ne_u32_e64 s[0:1], 1, v13
	s_andn2_b64 vcc, exec, s[6:7]
	s_cbranch_vccnz .LBB154_197
; %bb.5:
	v_cmp_neq_f16_e32 vcc, s10, v14
	v_cmp_neq_f16_sdwa s[6:7], s8, v14 src0_sel:DWORD src1_sel:WORD_1
	s_or_b64 s[6:7], vcc, s[6:7]
	s_cbranch_execnz .LBB154_7
.LBB154_6:
	v_cmp_eq_f16_e32 vcc, s10, v14
	v_cmp_eq_f16_sdwa s[16:17], s8, v14 src0_sel:DWORD src1_sel:WORD_1
	s_and_b64 s[16:17], vcc, s[16:17]
	s_andn2_b64 s[6:7], s[6:7], exec
	s_and_b64 s[16:17], s[16:17], exec
	s_or_b64 s[6:7], s[6:7], s[16:17]
.LBB154_7:
	s_and_b64 vcc, exec, s[0:1]
	s_cbranch_vccnz .LBB154_198
; %bb.8:
	v_cmp_neq_f16_e32 vcc, s10, v15
	v_cmp_neq_f16_sdwa s[16:17], s8, v15 src0_sel:DWORD src1_sel:WORD_1
	s_or_b64 s[16:17], vcc, s[16:17]
	s_cbranch_execnz .LBB154_10
.LBB154_9:
	v_cmp_eq_f16_e32 vcc, s10, v15
	v_cmp_eq_f16_sdwa s[18:19], s8, v15 src0_sel:DWORD src1_sel:WORD_1
	s_and_b64 s[18:19], vcc, s[18:19]
	s_andn2_b64 s[16:17], s[16:17], exec
	s_and_b64 s[18:19], s[18:19], exec
	s_or_b64 s[16:17], s[16:17], s[18:19]
.LBB154_10:
	s_and_b64 vcc, exec, s[0:1]
	s_cbranch_vccnz .LBB154_199
; %bb.11:
	v_cmp_neq_f16_e32 vcc, s10, v16
	v_cmp_neq_f16_sdwa s[18:19], s8, v16 src0_sel:DWORD src1_sel:WORD_1
	s_or_b64 s[18:19], vcc, s[18:19]
	s_cbranch_execnz .LBB154_13
.LBB154_12:
	v_cmp_eq_f16_e32 vcc, s10, v16
	v_cmp_eq_f16_sdwa s[20:21], s8, v16 src0_sel:DWORD src1_sel:WORD_1
	s_and_b64 s[20:21], vcc, s[20:21]
	s_andn2_b64 s[18:19], s[18:19], exec
	s_and_b64 s[20:21], s[20:21], exec
	s_or_b64 s[18:19], s[18:19], s[20:21]
.LBB154_13:
	s_and_b64 vcc, exec, s[0:1]
	s_cbranch_vccnz .LBB154_200
; %bb.14:
	s_waitcnt vmcnt(2)
	v_cmp_neq_f16_e32 vcc, s10, v9
	v_cmp_neq_f16_sdwa s[20:21], s8, v9 src0_sel:DWORD src1_sel:WORD_1
	s_or_b64 s[20:21], vcc, s[20:21]
	s_cbranch_execnz .LBB154_16
.LBB154_15:
	s_waitcnt vmcnt(2)
	v_cmp_eq_f16_e32 vcc, s10, v9
	v_cmp_eq_f16_sdwa s[22:23], s8, v9 src0_sel:DWORD src1_sel:WORD_1
	s_and_b64 s[22:23], vcc, s[22:23]
	s_andn2_b64 s[20:21], s[20:21], exec
	s_and_b64 s[22:23], s[22:23], exec
	s_or_b64 s[20:21], s[20:21], s[22:23]
.LBB154_16:
	s_and_b64 vcc, exec, s[0:1]
	s_cbranch_vccnz .LBB154_201
; %bb.17:
	s_waitcnt vmcnt(2)
	v_cmp_neq_f16_e32 vcc, s10, v10
	v_cmp_neq_f16_sdwa s[22:23], s8, v10 src0_sel:DWORD src1_sel:WORD_1
	s_or_b64 s[22:23], vcc, s[22:23]
	s_cbranch_execnz .LBB154_19
.LBB154_18:
	s_waitcnt vmcnt(2)
	v_cmp_eq_f16_e32 vcc, s10, v10
	v_cmp_eq_f16_sdwa s[24:25], s8, v10 src0_sel:DWORD src1_sel:WORD_1
	s_and_b64 s[24:25], vcc, s[24:25]
	s_andn2_b64 s[22:23], s[22:23], exec
	s_and_b64 s[24:25], s[24:25], exec
	s_or_b64 s[22:23], s[22:23], s[24:25]
.LBB154_19:
	s_and_b64 vcc, exec, s[0:1]
	s_cbranch_vccnz .LBB154_202
; %bb.20:
	s_waitcnt vmcnt(2)
	v_cmp_neq_f16_e32 vcc, s10, v11
	v_cmp_neq_f16_sdwa s[24:25], s8, v11 src0_sel:DWORD src1_sel:WORD_1
	s_or_b64 s[24:25], vcc, s[24:25]
	s_cbranch_execnz .LBB154_22
.LBB154_21:
	s_waitcnt vmcnt(2)
	v_cmp_eq_f16_e32 vcc, s10, v11
	v_cmp_eq_f16_sdwa s[26:27], s8, v11 src0_sel:DWORD src1_sel:WORD_1
	s_and_b64 s[26:27], vcc, s[26:27]
	s_andn2_b64 s[24:25], s[24:25], exec
	s_and_b64 s[26:27], s[26:27], exec
	s_or_b64 s[24:25], s[24:25], s[26:27]
.LBB154_22:
	s_and_b64 vcc, exec, s[0:1]
	s_cbranch_vccnz .LBB154_203
; %bb.23:
	s_waitcnt vmcnt(2)
	v_cmp_neq_f16_e32 vcc, s10, v12
	v_cmp_neq_f16_sdwa s[26:27], s8, v12 src0_sel:DWORD src1_sel:WORD_1
	s_or_b64 s[26:27], vcc, s[26:27]
	s_cbranch_execnz .LBB154_25
.LBB154_24:
	s_waitcnt vmcnt(2)
	v_cmp_eq_f16_e32 vcc, s10, v12
	v_cmp_eq_f16_sdwa s[28:29], s8, v12 src0_sel:DWORD src1_sel:WORD_1
	s_and_b64 s[28:29], vcc, s[28:29]
	s_andn2_b64 s[26:27], s[26:27], exec
	s_and_b64 s[28:29], s[28:29], exec
	s_or_b64 s[26:27], s[26:27], s[28:29]
.LBB154_25:
	s_and_b64 vcc, exec, s[0:1]
	s_cbranch_vccnz .LBB154_204
; %bb.26:
	s_waitcnt vmcnt(1)
	v_cmp_neq_f16_e32 vcc, s10, v5
	v_cmp_neq_f16_sdwa s[28:29], s8, v5 src0_sel:DWORD src1_sel:WORD_1
	s_or_b64 s[28:29], vcc, s[28:29]
	s_cbranch_execnz .LBB154_28
.LBB154_27:
	s_waitcnt vmcnt(1)
	v_cmp_eq_f16_e32 vcc, s10, v5
	v_cmp_eq_f16_sdwa s[30:31], s8, v5 src0_sel:DWORD src1_sel:WORD_1
	s_and_b64 s[30:31], vcc, s[30:31]
	s_andn2_b64 s[28:29], s[28:29], exec
	s_and_b64 s[30:31], s[30:31], exec
	s_or_b64 s[28:29], s[28:29], s[30:31]
.LBB154_28:
	s_and_b64 vcc, exec, s[0:1]
	s_cbranch_vccnz .LBB154_205
; %bb.29:
	s_waitcnt vmcnt(1)
	v_cmp_neq_f16_e32 vcc, s10, v6
	v_cmp_neq_f16_sdwa s[30:31], s8, v6 src0_sel:DWORD src1_sel:WORD_1
	s_or_b64 s[30:31], vcc, s[30:31]
	s_cbranch_execnz .LBB154_31
.LBB154_30:
	s_waitcnt vmcnt(1)
	v_cmp_eq_f16_e32 vcc, s10, v6
	v_cmp_eq_f16_sdwa s[34:35], s8, v6 src0_sel:DWORD src1_sel:WORD_1
	s_and_b64 s[34:35], vcc, s[34:35]
	s_andn2_b64 s[30:31], s[30:31], exec
	s_and_b64 s[34:35], s[34:35], exec
	s_or_b64 s[30:31], s[30:31], s[34:35]
.LBB154_31:
	s_and_b64 vcc, exec, s[0:1]
	s_cbranch_vccnz .LBB154_206
; %bb.32:
	s_waitcnt vmcnt(1)
	v_cmp_neq_f16_e32 vcc, s10, v7
	v_cmp_neq_f16_sdwa s[34:35], s8, v7 src0_sel:DWORD src1_sel:WORD_1
	s_or_b64 s[34:35], vcc, s[34:35]
	s_cbranch_execnz .LBB154_34
.LBB154_33:
	s_waitcnt vmcnt(1)
	v_cmp_eq_f16_e32 vcc, s10, v7
	v_cmp_eq_f16_sdwa s[36:37], s8, v7 src0_sel:DWORD src1_sel:WORD_1
	s_and_b64 s[36:37], vcc, s[36:37]
	s_andn2_b64 s[34:35], s[34:35], exec
	s_and_b64 s[36:37], s[36:37], exec
	s_or_b64 s[34:35], s[34:35], s[36:37]
.LBB154_34:
	s_and_b64 vcc, exec, s[0:1]
	s_cbranch_vccnz .LBB154_207
; %bb.35:
	s_waitcnt vmcnt(1)
	v_cmp_neq_f16_e32 vcc, s10, v8
	v_cmp_neq_f16_sdwa s[36:37], s8, v8 src0_sel:DWORD src1_sel:WORD_1
	s_or_b64 s[36:37], vcc, s[36:37]
	s_cbranch_execnz .LBB154_37
.LBB154_36:
	s_waitcnt vmcnt(1)
	v_cmp_eq_f16_e32 vcc, s10, v8
	v_cmp_eq_f16_sdwa s[38:39], s8, v8 src0_sel:DWORD src1_sel:WORD_1
	s_and_b64 s[38:39], vcc, s[38:39]
	s_andn2_b64 s[36:37], s[36:37], exec
	s_and_b64 s[38:39], s[38:39], exec
	s_or_b64 s[36:37], s[36:37], s[38:39]
.LBB154_37:
	s_and_b64 vcc, exec, s[0:1]
	s_cbranch_vccnz .LBB154_208
; %bb.38:
	s_waitcnt vmcnt(0)
	v_cmp_neq_f16_e32 vcc, s10, v1
	v_cmp_neq_f16_sdwa s[38:39], s8, v1 src0_sel:DWORD src1_sel:WORD_1
	s_or_b64 s[38:39], vcc, s[38:39]
	s_cbranch_execnz .LBB154_40
.LBB154_39:
	s_waitcnt vmcnt(0)
	v_cmp_eq_f16_e32 vcc, s10, v1
	v_cmp_eq_f16_sdwa s[40:41], s8, v1 src0_sel:DWORD src1_sel:WORD_1
	s_and_b64 s[40:41], vcc, s[40:41]
	s_andn2_b64 s[38:39], s[38:39], exec
	s_and_b64 s[40:41], s[40:41], exec
	s_or_b64 s[38:39], s[38:39], s[40:41]
.LBB154_40:
	s_and_b64 vcc, exec, s[0:1]
	s_cbranch_vccnz .LBB154_209
; %bb.41:
	s_waitcnt vmcnt(0)
	v_cmp_neq_f16_e32 vcc, s10, v2
	v_cmp_neq_f16_sdwa s[40:41], s8, v2 src0_sel:DWORD src1_sel:WORD_1
	s_or_b64 s[40:41], vcc, s[40:41]
	s_cbranch_execnz .LBB154_43
.LBB154_42:
	s_waitcnt vmcnt(0)
	v_cmp_eq_f16_e32 vcc, s10, v2
	v_cmp_eq_f16_sdwa s[42:43], s8, v2 src0_sel:DWORD src1_sel:WORD_1
	s_and_b64 s[42:43], vcc, s[42:43]
	s_andn2_b64 s[40:41], s[40:41], exec
	s_and_b64 s[42:43], s[42:43], exec
	s_or_b64 s[40:41], s[40:41], s[42:43]
.LBB154_43:
	s_and_b64 vcc, exec, s[0:1]
	s_cbranch_vccnz .LBB154_210
; %bb.44:
	s_waitcnt vmcnt(0)
	v_cmp_neq_f16_e32 vcc, s10, v3
	v_cmp_neq_f16_sdwa s[42:43], s8, v3 src0_sel:DWORD src1_sel:WORD_1
	s_or_b64 s[42:43], vcc, s[42:43]
	s_cbranch_execnz .LBB154_46
.LBB154_45:
	s_waitcnt vmcnt(0)
	v_cmp_eq_f16_e32 vcc, s10, v3
	v_cmp_eq_f16_sdwa s[44:45], s8, v3 src0_sel:DWORD src1_sel:WORD_1
	s_and_b64 s[44:45], vcc, s[44:45]
	s_andn2_b64 s[42:43], s[42:43], exec
	s_and_b64 s[44:45], s[44:45], exec
	s_or_b64 s[42:43], s[42:43], s[44:45]
.LBB154_46:
	s_and_b64 vcc, exec, s[0:1]
	s_cbranch_vccnz .LBB154_211
; %bb.47:
	s_waitcnt vmcnt(0)
	v_cmp_neq_f16_e32 vcc, s10, v4
	v_cmp_neq_f16_sdwa s[0:1], s8, v4 src0_sel:DWORD src1_sel:WORD_1
	s_or_b64 s[0:1], vcc, s[0:1]
	s_cbranch_execnz .LBB154_49
.LBB154_48:
	s_waitcnt vmcnt(0)
	v_cmp_eq_f16_e32 vcc, s10, v4
	v_cmp_eq_f16_sdwa s[44:45], s8, v4 src0_sel:DWORD src1_sel:WORD_1
	s_and_b64 s[44:45], vcc, s[44:45]
	s_andn2_b64 s[0:1], s[0:1], exec
	s_and_b64 s[44:45], s[44:45], exec
	s_or_b64 s[0:1], s[0:1], s[44:45]
.LBB154_49:
	s_waitcnt vmcnt(0)
	v_mov_b32_e32 v1, 0x100
	v_cndmask_b32_e64 v2, 0, v1, s[40:41]
	v_cndmask_b32_e64 v3, 0, 1, s[38:39]
	v_or_b32_e32 v2, v2, v3
	v_mov_b32_e32 v3, 0x10000
	v_cndmask_b32_e64 v5, 0, v1, s[30:31]
	v_cndmask_b32_e64 v6, 0, 1, s[28:29]
	v_mov_b32_e32 v7, 0x1000000
	v_or_b32_e32 v5, v5, v6
	v_cndmask_b32_e64 v6, 0, v3, s[34:35]
	v_cndmask_b32_e64 v8, 0, v7, s[36:37]
	v_or3_b32 v5, v5, v6, v8
	v_cndmask_b32_e64 v6, 0, v1, s[22:23]
	v_cndmask_b32_e64 v8, 0, 1, s[20:21]
	v_or_b32_e32 v6, v6, v8
	v_cndmask_b32_e64 v8, 0, v3, s[24:25]
	v_cndmask_b32_e64 v9, 0, v7, s[26:27]
	v_or3_b32 v6, v6, v8, v9
	v_cndmask_b32_e64 v1, 0, v1, s[6:7]
	v_cndmask_b32_e64 v8, 0, 1, s[2:3]
	;; [unrolled: 1-line block ×3, first 2 shown]
	v_or_b32_e32 v1, v1, v8
	v_cndmask_b32_e64 v3, 0, v3, s[16:17]
	v_cndmask_b32_e64 v8, 0, v7, s[18:19]
	v_or3_b32 v1, v1, v3, v8
	v_cndmask_b32_e64 v3, 0, v7, s[0:1]
	s_add_u32 s0, s12, s4
	v_or3_b32 v2, v2, v4, v3
	s_addc_u32 s1, s13, s5
	v_lshlrev_b32_e32 v3, 2, v0
	global_store_dword v3, v1, s[0:1]
	global_store_dword v3, v6, s[0:1] offset:1024
	global_store_dword v3, v5, s[0:1] offset:2048
	;; [unrolled: 1-line block ×3, first 2 shown]
	s_mov_b64 s[0:1], 0
.LBB154_50:
	s_and_b64 vcc, exec, s[0:1]
	s_cbranch_vccz .LBB154_195
; %bb.51:
	v_cmp_gt_i32_e64 s[0:1], s11, v0
	v_mov_b32_e32 v4, 0
	v_or_b32_e32 v1, s4, v0
	v_mov_b32_e32 v5, 0
	v_mov_b32_e32 v6, 0
	;; [unrolled: 1-line block ×15, first 2 shown]
	s_and_saveexec_b64 s[2:3], s[0:1]
	s_cbranch_execz .LBB154_83
; %bb.52:
	v_mov_b32_e32 v2, 0
	v_lshlrev_b64 v[3:4], 2, v[1:2]
	v_mov_b32_e32 v5, s15
	v_add_co_u32_e32 v3, vcc, s14, v3
	v_addc_co_u32_e32 v4, vcc, v5, v4, vcc
	global_load_dword v20, v[3:4], off
	v_or_b32_e32 v3, 0x100, v0
	v_cmp_gt_u32_e32 vcc, s11, v3
	v_mov_b32_e32 v15, v2
	v_mov_b32_e32 v19, v2
	;; [unrolled: 1-line block ×14, first 2 shown]
	s_and_saveexec_b64 s[6:7], vcc
	s_cbranch_execz .LBB154_82
; %bb.53:
	v_add_u32_e32 v14, s4, v0
	v_mov_b32_e32 v15, 0
	v_lshlrev_b64 v[2:3], 2, v[14:15]
	v_mov_b32_e32 v4, s15
	v_add_co_u32_e32 v16, vcc, s14, v2
	v_addc_co_u32_e32 v17, vcc, v4, v3, vcc
	global_load_dword v2, v[16:17], off offset:1024
	v_or_b32_e32 v3, 0x200, v0
	v_cmp_gt_u32_e32 vcc, s11, v3
	v_mov_b32_e32 v19, v15
	v_mov_b32_e32 v18, v15
	v_mov_b32_e32 v14, v15
	v_mov_b32_e32 v13, v15
	v_mov_b32_e32 v12, v15
	v_mov_b32_e32 v11, v15
	v_mov_b32_e32 v10, v15
	v_mov_b32_e32 v9, v15
	v_mov_b32_e32 v8, v15
	v_mov_b32_e32 v7, v15
	v_mov_b32_e32 v6, v15
	v_mov_b32_e32 v5, v15
	v_mov_b32_e32 v4, v15
	s_and_saveexec_b64 s[16:17], vcc
	s_cbranch_execz .LBB154_81
; %bb.54:
	global_load_dword v15, v[16:17], off offset:2048
	v_or_b32_e32 v3, 0x300, v0
	v_cmp_gt_u32_e32 vcc, s11, v3
	v_mov_b32_e32 v19, 0
	v_mov_b32_e32 v18, 0
	;; [unrolled: 1-line block ×13, first 2 shown]
	s_and_saveexec_b64 s[18:19], vcc
	s_cbranch_execz .LBB154_80
; %bb.55:
	global_load_dword v19, v[16:17], off offset:3072
	v_or_b32_e32 v3, 0x400, v0
	v_cmp_gt_u32_e32 vcc, s11, v3
	v_mov_b32_e32 v18, 0
	v_mov_b32_e32 v14, 0
	;; [unrolled: 1-line block ×12, first 2 shown]
	s_and_saveexec_b64 s[20:21], vcc
	s_cbranch_execz .LBB154_79
; %bb.56:
	v_or_b32_e32 v13, s4, v3
	v_mov_b32_e32 v14, 0
	v_lshlrev_b64 v[3:4], 2, v[13:14]
	v_mov_b32_e32 v5, s15
	v_add_co_u32_e32 v3, vcc, s14, v3
	v_addc_co_u32_e32 v4, vcc, v5, v4, vcc
	global_load_dword v18, v[3:4], off
	v_or_b32_e32 v3, 0x500, v0
	v_cmp_gt_u32_e32 vcc, s11, v3
	v_mov_b32_e32 v13, v14
	v_mov_b32_e32 v12, v14
	;; [unrolled: 1-line block ×10, first 2 shown]
	s_and_saveexec_b64 s[22:23], vcc
	s_cbranch_execz .LBB154_78
; %bb.57:
	v_or_b32_e32 v12, s4, v3
	v_mov_b32_e32 v13, 0
	v_lshlrev_b64 v[3:4], 2, v[12:13]
	v_mov_b32_e32 v5, s15
	v_add_co_u32_e32 v3, vcc, s14, v3
	v_addc_co_u32_e32 v4, vcc, v5, v4, vcc
	global_load_dword v14, v[3:4], off
	v_or_b32_e32 v3, 0x600, v0
	v_cmp_gt_u32_e32 vcc, s11, v3
	v_mov_b32_e32 v12, v13
	v_mov_b32_e32 v11, v13
	;; [unrolled: 1-line block ×9, first 2 shown]
	s_and_saveexec_b64 s[24:25], vcc
	s_cbranch_execz .LBB154_77
; %bb.58:
	v_or_b32_e32 v11, s4, v3
	v_mov_b32_e32 v12, 0
	v_lshlrev_b64 v[3:4], 2, v[11:12]
	v_mov_b32_e32 v5, s15
	v_add_co_u32_e32 v3, vcc, s14, v3
	v_addc_co_u32_e32 v4, vcc, v5, v4, vcc
	global_load_dword v13, v[3:4], off
	v_or_b32_e32 v3, 0x700, v0
	v_cmp_gt_u32_e32 vcc, s11, v3
	v_mov_b32_e32 v11, v12
	v_mov_b32_e32 v10, v12
	;; [unrolled: 1-line block ×8, first 2 shown]
	s_and_saveexec_b64 s[26:27], vcc
	s_cbranch_execz .LBB154_76
; %bb.59:
	v_or_b32_e32 v10, s4, v3
	v_mov_b32_e32 v11, 0
	v_lshlrev_b64 v[3:4], 2, v[10:11]
	v_mov_b32_e32 v5, s15
	v_add_co_u32_e32 v3, vcc, s14, v3
	v_addc_co_u32_e32 v4, vcc, v5, v4, vcc
	global_load_dword v12, v[3:4], off
	v_or_b32_e32 v3, 0x800, v0
	v_cmp_gt_u32_e32 vcc, s11, v3
	v_mov_b32_e32 v10, v11
	v_mov_b32_e32 v9, v11
	;; [unrolled: 1-line block ×7, first 2 shown]
	s_and_saveexec_b64 s[28:29], vcc
	s_cbranch_execz .LBB154_75
; %bb.60:
	v_or_b32_e32 v9, s4, v3
	v_mov_b32_e32 v10, 0
	v_lshlrev_b64 v[3:4], 2, v[9:10]
	v_mov_b32_e32 v5, s15
	v_add_co_u32_e32 v3, vcc, s14, v3
	v_addc_co_u32_e32 v4, vcc, v5, v4, vcc
	global_load_dword v11, v[3:4], off
	v_or_b32_e32 v3, 0x900, v0
	v_cmp_gt_u32_e32 vcc, s11, v3
	v_mov_b32_e32 v9, v10
	v_mov_b32_e32 v8, v10
	;; [unrolled: 1-line block ×6, first 2 shown]
	s_and_saveexec_b64 s[30:31], vcc
	s_cbranch_execz .LBB154_74
; %bb.61:
	v_or_b32_e32 v8, s4, v3
	v_mov_b32_e32 v9, 0
	v_lshlrev_b64 v[3:4], 2, v[8:9]
	v_mov_b32_e32 v5, s15
	v_add_co_u32_e32 v3, vcc, s14, v3
	v_addc_co_u32_e32 v4, vcc, v5, v4, vcc
	global_load_dword v10, v[3:4], off
	v_or_b32_e32 v3, 0xa00, v0
	v_cmp_gt_u32_e32 vcc, s11, v3
	v_mov_b32_e32 v8, v9
	v_mov_b32_e32 v7, v9
	;; [unrolled: 1-line block ×5, first 2 shown]
	s_and_saveexec_b64 s[34:35], vcc
	s_cbranch_execz .LBB154_73
; %bb.62:
	v_or_b32_e32 v7, s4, v3
	v_mov_b32_e32 v8, 0
	v_lshlrev_b64 v[3:4], 2, v[7:8]
	v_mov_b32_e32 v5, s15
	v_add_co_u32_e32 v3, vcc, s14, v3
	v_addc_co_u32_e32 v4, vcc, v5, v4, vcc
	global_load_dword v9, v[3:4], off
	v_or_b32_e32 v3, 0xb00, v0
	v_cmp_gt_u32_e32 vcc, s11, v3
	v_mov_b32_e32 v7, v8
	v_mov_b32_e32 v6, v8
	;; [unrolled: 1-line block ×4, first 2 shown]
	s_and_saveexec_b64 s[36:37], vcc
	s_cbranch_execz .LBB154_72
; %bb.63:
	v_or_b32_e32 v6, s4, v3
	v_mov_b32_e32 v7, 0
	v_lshlrev_b64 v[3:4], 2, v[6:7]
	v_mov_b32_e32 v5, s15
	v_add_co_u32_e32 v3, vcc, s14, v3
	v_addc_co_u32_e32 v4, vcc, v5, v4, vcc
	global_load_dword v8, v[3:4], off
	v_or_b32_e32 v3, 0xc00, v0
	v_cmp_gt_u32_e32 vcc, s11, v3
	v_mov_b32_e32 v6, v7
	v_mov_b32_e32 v5, v7
	;; [unrolled: 1-line block ×3, first 2 shown]
	s_and_saveexec_b64 s[38:39], vcc
	s_cbranch_execz .LBB154_71
; %bb.64:
	v_or_b32_e32 v5, s4, v3
	v_mov_b32_e32 v6, 0
	v_lshlrev_b64 v[3:4], 2, v[5:6]
	v_mov_b32_e32 v5, s15
	v_add_co_u32_e32 v3, vcc, s14, v3
	v_addc_co_u32_e32 v4, vcc, v5, v4, vcc
	global_load_dword v7, v[3:4], off
	v_or_b32_e32 v3, 0xd00, v0
	v_cmp_gt_u32_e32 vcc, s11, v3
	v_mov_b32_e32 v5, v6
	v_mov_b32_e32 v4, v6
	s_and_saveexec_b64 s[40:41], vcc
	s_cbranch_execz .LBB154_70
; %bb.65:
	v_add_u32_e32 v4, s4, v3
	v_mov_b32_e32 v5, 0
	v_lshlrev_b64 v[3:4], 2, v[4:5]
	v_mov_b32_e32 v6, s15
	v_add_co_u32_e32 v3, vcc, s14, v3
	v_addc_co_u32_e32 v4, vcc, v6, v4, vcc
	global_load_dword v6, v[3:4], off
	v_or_b32_e32 v3, 0xe00, v0
	v_cmp_gt_u32_e32 vcc, s11, v3
	v_mov_b32_e32 v4, v5
	s_and_saveexec_b64 s[42:43], vcc
	s_cbranch_execz .LBB154_69
; %bb.66:
	v_add_u32_e32 v3, s4, v3
	v_mov_b32_e32 v4, 0
	v_lshlrev_b64 v[16:17], 2, v[3:4]
	v_mov_b32_e32 v3, s15
	v_add_co_u32_e32 v16, vcc, s14, v16
	v_addc_co_u32_e32 v17, vcc, v3, v17, vcc
	global_load_dword v5, v[16:17], off
	v_or_b32_e32 v3, 0xf00, v0
	v_cmp_gt_u32_e32 vcc, s11, v3
	s_and_saveexec_b64 s[44:45], vcc
	s_cbranch_execz .LBB154_68
; %bb.67:
	v_add_u32_e32 v3, s4, v3
	v_mov_b32_e32 v4, 0
	v_lshlrev_b64 v[3:4], 2, v[3:4]
	v_mov_b32_e32 v16, s15
	v_add_co_u32_e32 v3, vcc, s14, v3
	v_addc_co_u32_e32 v4, vcc, v16, v4, vcc
	global_load_dword v4, v[3:4], off
.LBB154_68:
	s_or_b64 exec, exec, s[44:45]
.LBB154_69:
	s_or_b64 exec, exec, s[42:43]
.LBB154_70:
	s_or_b64 exec, exec, s[40:41]
.LBB154_71:
	s_or_b64 exec, exec, s[38:39]
.LBB154_72:
	s_or_b64 exec, exec, s[36:37]
.LBB154_73:
	s_or_b64 exec, exec, s[34:35]
.LBB154_74:
	s_or_b64 exec, exec, s[30:31]
.LBB154_75:
	s_or_b64 exec, exec, s[28:29]
.LBB154_76:
	s_or_b64 exec, exec, s[26:27]
.LBB154_77:
	s_or_b64 exec, exec, s[24:25]
.LBB154_78:
	s_or_b64 exec, exec, s[22:23]
.LBB154_79:
	s_or_b64 exec, exec, s[20:21]
.LBB154_80:
	s_or_b64 exec, exec, s[18:19]
.LBB154_81:
	s_or_b64 exec, exec, s[16:17]
.LBB154_82:
	s_or_b64 exec, exec, s[6:7]
.LBB154_83:
	s_or_b64 exec, exec, s[2:3]
	s_lshr_b32 s5, s10, 16
	s_cmp_lg_u32 s9, 0
	s_cselect_b64 s[2:3], -1, 0
                                        ; implicit-def: $vgpr3
	s_and_saveexec_b64 s[6:7], s[0:1]
	s_cbranch_execz .LBB154_88
; %bb.84:
	s_and_b64 vcc, exec, s[2:3]
	s_cbranch_vccz .LBB154_212
; %bb.85:
	s_waitcnt vmcnt(0)
	v_cmp_neq_f16_e32 vcc, s10, v20
	v_cmp_neq_f16_sdwa s[8:9], s5, v20 src0_sel:DWORD src1_sel:WORD_1
	s_or_b64 s[8:9], vcc, s[8:9]
	s_cbranch_execnz .LBB154_87
.LBB154_86:
	s_waitcnt vmcnt(0)
	v_cmp_eq_f16_e32 vcc, s10, v20
	v_cmp_eq_f16_sdwa s[14:15], s5, v20 src0_sel:DWORD src1_sel:WORD_1
	s_and_b64 s[14:15], vcc, s[14:15]
	s_andn2_b64 s[8:9], s[8:9], exec
	s_and_b64 s[14:15], s[14:15], exec
	s_or_b64 s[8:9], s[8:9], s[14:15]
.LBB154_87:
	v_cndmask_b32_e64 v3, 0, 1, s[8:9]
.LBB154_88:
	s_or_b64 exec, exec, s[6:7]
	v_or_b32_e32 v16, 0x100, v0
	v_cndmask_b32_e64 v17, 0, 1, s[2:3]
	v_cmp_gt_i32_e32 vcc, s11, v16
	v_cmp_ne_u32_e64 s[2:3], 1, v17
                                        ; implicit-def: $vgpr17
	s_and_saveexec_b64 s[6:7], vcc
	s_cbranch_execz .LBB154_93
; %bb.89:
	s_and_b64 vcc, exec, s[2:3]
	s_cbranch_vccnz .LBB154_213
; %bb.90:
	s_waitcnt vmcnt(0)
	v_cmp_neq_f16_e32 vcc, s10, v2
	v_cmp_neq_f16_sdwa s[8:9], s5, v2 src0_sel:DWORD src1_sel:WORD_1
	s_or_b64 s[8:9], vcc, s[8:9]
	s_cbranch_execnz .LBB154_92
.LBB154_91:
	s_waitcnt vmcnt(0)
	v_cmp_eq_f16_e32 vcc, s10, v2
	v_cmp_eq_f16_sdwa s[14:15], s5, v2 src0_sel:DWORD src1_sel:WORD_1
	s_and_b64 s[14:15], vcc, s[14:15]
	s_andn2_b64 s[8:9], s[8:9], exec
	s_and_b64 s[14:15], s[14:15], exec
	s_or_b64 s[8:9], s[8:9], s[14:15]
.LBB154_92:
	v_cndmask_b32_e64 v17, 0, 1, s[8:9]
.LBB154_93:
	s_or_b64 exec, exec, s[6:7]
	s_waitcnt vmcnt(0)
	v_or_b32_e32 v2, 0x200, v0
	v_cmp_gt_i32_e32 vcc, s11, v2
                                        ; implicit-def: $vgpr2
	s_and_saveexec_b64 s[6:7], vcc
	s_cbranch_execz .LBB154_98
; %bb.94:
	s_and_b64 vcc, exec, s[2:3]
	s_cbranch_vccnz .LBB154_214
; %bb.95:
	v_cmp_neq_f16_e32 vcc, s10, v15
	v_cmp_neq_f16_sdwa s[8:9], s5, v15 src0_sel:DWORD src1_sel:WORD_1
	s_or_b64 s[8:9], vcc, s[8:9]
	s_cbranch_execnz .LBB154_97
.LBB154_96:
	v_cmp_eq_f16_e32 vcc, s10, v15
	v_cmp_eq_f16_sdwa s[14:15], s5, v15 src0_sel:DWORD src1_sel:WORD_1
	s_and_b64 s[14:15], vcc, s[14:15]
	s_andn2_b64 s[8:9], s[8:9], exec
	s_and_b64 s[14:15], s[14:15], exec
	s_or_b64 s[8:9], s[8:9], s[14:15]
.LBB154_97:
	v_cndmask_b32_e64 v2, 0, 1, s[8:9]
.LBB154_98:
	s_or_b64 exec, exec, s[6:7]
	v_or_b32_e32 v15, 0x300, v0
	v_cmp_gt_i32_e32 vcc, s11, v15
                                        ; implicit-def: $vgpr15
	s_and_saveexec_b64 s[6:7], vcc
	s_cbranch_execz .LBB154_103
; %bb.99:
	s_and_b64 vcc, exec, s[2:3]
	s_cbranch_vccnz .LBB154_215
; %bb.100:
	v_cmp_neq_f16_e32 vcc, s10, v19
	v_cmp_neq_f16_sdwa s[8:9], s5, v19 src0_sel:DWORD src1_sel:WORD_1
	s_or_b64 s[8:9], vcc, s[8:9]
	s_cbranch_execnz .LBB154_102
.LBB154_101:
	v_cmp_eq_f16_e32 vcc, s10, v19
	v_cmp_eq_f16_sdwa s[14:15], s5, v19 src0_sel:DWORD src1_sel:WORD_1
	s_and_b64 s[14:15], vcc, s[14:15]
	s_andn2_b64 s[8:9], s[8:9], exec
	s_and_b64 s[14:15], s[14:15], exec
	s_or_b64 s[8:9], s[8:9], s[14:15]
.LBB154_102:
	v_cndmask_b32_e64 v15, 0, 1, s[8:9]
.LBB154_103:
	s_or_b64 exec, exec, s[6:7]
	v_or_b32_e32 v19, 0x400, v0
	v_cmp_gt_i32_e32 vcc, s11, v19
                                        ; implicit-def: $vgpr19
	s_and_saveexec_b64 s[6:7], vcc
	s_cbranch_execz .LBB154_108
; %bb.104:
	s_and_b64 vcc, exec, s[2:3]
	s_cbranch_vccnz .LBB154_216
; %bb.105:
	v_cmp_neq_f16_e32 vcc, s10, v18
	v_cmp_neq_f16_sdwa s[8:9], s5, v18 src0_sel:DWORD src1_sel:WORD_1
	s_or_b64 s[8:9], vcc, s[8:9]
	s_cbranch_execnz .LBB154_107
.LBB154_106:
	v_cmp_eq_f16_e32 vcc, s10, v18
	v_cmp_eq_f16_sdwa s[14:15], s5, v18 src0_sel:DWORD src1_sel:WORD_1
	s_and_b64 s[14:15], vcc, s[14:15]
	s_andn2_b64 s[8:9], s[8:9], exec
	s_and_b64 s[14:15], s[14:15], exec
	s_or_b64 s[8:9], s[8:9], s[14:15]
.LBB154_107:
	v_cndmask_b32_e64 v19, 0, 1, s[8:9]
.LBB154_108:
	s_or_b64 exec, exec, s[6:7]
	v_or_b32_e32 v18, 0x500, v0
	v_cmp_gt_i32_e32 vcc, s11, v18
                                        ; implicit-def: $vgpr18
	s_and_saveexec_b64 s[6:7], vcc
	s_cbranch_execz .LBB154_113
; %bb.109:
	s_and_b64 vcc, exec, s[2:3]
	s_cbranch_vccnz .LBB154_217
; %bb.110:
	v_cmp_neq_f16_e32 vcc, s10, v14
	v_cmp_neq_f16_sdwa s[8:9], s5, v14 src0_sel:DWORD src1_sel:WORD_1
	s_or_b64 s[8:9], vcc, s[8:9]
	s_cbranch_execnz .LBB154_112
.LBB154_111:
	v_cmp_eq_f16_e32 vcc, s10, v14
	v_cmp_eq_f16_sdwa s[14:15], s5, v14 src0_sel:DWORD src1_sel:WORD_1
	s_and_b64 s[14:15], vcc, s[14:15]
	s_andn2_b64 s[8:9], s[8:9], exec
	s_and_b64 s[14:15], s[14:15], exec
	s_or_b64 s[8:9], s[8:9], s[14:15]
.LBB154_112:
	v_cndmask_b32_e64 v18, 0, 1, s[8:9]
.LBB154_113:
	s_or_b64 exec, exec, s[6:7]
	v_or_b32_e32 v14, 0x600, v0
	v_cmp_gt_i32_e32 vcc, s11, v14
                                        ; implicit-def: $vgpr14
	s_and_saveexec_b64 s[6:7], vcc
	s_cbranch_execz .LBB154_118
; %bb.114:
	s_and_b64 vcc, exec, s[2:3]
	s_cbranch_vccnz .LBB154_218
; %bb.115:
	v_cmp_neq_f16_e32 vcc, s10, v13
	v_cmp_neq_f16_sdwa s[8:9], s5, v13 src0_sel:DWORD src1_sel:WORD_1
	s_or_b64 s[8:9], vcc, s[8:9]
	s_cbranch_execnz .LBB154_117
.LBB154_116:
	v_cmp_eq_f16_e32 vcc, s10, v13
	v_cmp_eq_f16_sdwa s[14:15], s5, v13 src0_sel:DWORD src1_sel:WORD_1
	s_and_b64 s[14:15], vcc, s[14:15]
	s_andn2_b64 s[8:9], s[8:9], exec
	s_and_b64 s[14:15], s[14:15], exec
	s_or_b64 s[8:9], s[8:9], s[14:15]
.LBB154_117:
	v_cndmask_b32_e64 v14, 0, 1, s[8:9]
.LBB154_118:
	s_or_b64 exec, exec, s[6:7]
	v_or_b32_e32 v13, 0x700, v0
	v_cmp_gt_i32_e32 vcc, s11, v13
                                        ; implicit-def: $vgpr13
	s_and_saveexec_b64 s[6:7], vcc
	s_cbranch_execz .LBB154_123
; %bb.119:
	s_and_b64 vcc, exec, s[2:3]
	s_cbranch_vccnz .LBB154_219
; %bb.120:
	v_cmp_neq_f16_e32 vcc, s10, v12
	v_cmp_neq_f16_sdwa s[8:9], s5, v12 src0_sel:DWORD src1_sel:WORD_1
	s_or_b64 s[8:9], vcc, s[8:9]
	s_cbranch_execnz .LBB154_122
.LBB154_121:
	v_cmp_eq_f16_e32 vcc, s10, v12
	v_cmp_eq_f16_sdwa s[14:15], s5, v12 src0_sel:DWORD src1_sel:WORD_1
	s_and_b64 s[14:15], vcc, s[14:15]
	s_andn2_b64 s[8:9], s[8:9], exec
	s_and_b64 s[14:15], s[14:15], exec
	s_or_b64 s[8:9], s[8:9], s[14:15]
.LBB154_122:
	v_cndmask_b32_e64 v13, 0, 1, s[8:9]
.LBB154_123:
	s_or_b64 exec, exec, s[6:7]
	v_or_b32_e32 v12, 0x800, v0
	v_cmp_gt_i32_e32 vcc, s11, v12
                                        ; implicit-def: $vgpr12
	s_and_saveexec_b64 s[6:7], vcc
	s_cbranch_execz .LBB154_128
; %bb.124:
	s_and_b64 vcc, exec, s[2:3]
	s_cbranch_vccnz .LBB154_220
; %bb.125:
	v_cmp_neq_f16_e32 vcc, s10, v11
	v_cmp_neq_f16_sdwa s[8:9], s5, v11 src0_sel:DWORD src1_sel:WORD_1
	s_or_b64 s[8:9], vcc, s[8:9]
	s_cbranch_execnz .LBB154_127
.LBB154_126:
	v_cmp_eq_f16_e32 vcc, s10, v11
	v_cmp_eq_f16_sdwa s[14:15], s5, v11 src0_sel:DWORD src1_sel:WORD_1
	s_and_b64 s[14:15], vcc, s[14:15]
	s_andn2_b64 s[8:9], s[8:9], exec
	s_and_b64 s[14:15], s[14:15], exec
	s_or_b64 s[8:9], s[8:9], s[14:15]
.LBB154_127:
	v_cndmask_b32_e64 v12, 0, 1, s[8:9]
.LBB154_128:
	s_or_b64 exec, exec, s[6:7]
	v_or_b32_e32 v11, 0x900, v0
	v_cmp_gt_i32_e32 vcc, s11, v11
                                        ; implicit-def: $vgpr11
	s_and_saveexec_b64 s[6:7], vcc
	s_cbranch_execz .LBB154_133
; %bb.129:
	s_and_b64 vcc, exec, s[2:3]
	s_cbranch_vccnz .LBB154_221
; %bb.130:
	v_cmp_neq_f16_e32 vcc, s10, v10
	v_cmp_neq_f16_sdwa s[8:9], s5, v10 src0_sel:DWORD src1_sel:WORD_1
	s_or_b64 s[8:9], vcc, s[8:9]
	s_cbranch_execnz .LBB154_132
.LBB154_131:
	v_cmp_eq_f16_e32 vcc, s10, v10
	v_cmp_eq_f16_sdwa s[14:15], s5, v10 src0_sel:DWORD src1_sel:WORD_1
	s_and_b64 s[14:15], vcc, s[14:15]
	s_andn2_b64 s[8:9], s[8:9], exec
	s_and_b64 s[14:15], s[14:15], exec
	s_or_b64 s[8:9], s[8:9], s[14:15]
.LBB154_132:
	v_cndmask_b32_e64 v11, 0, 1, s[8:9]
.LBB154_133:
	s_or_b64 exec, exec, s[6:7]
	v_or_b32_e32 v10, 0xa00, v0
	v_cmp_gt_i32_e32 vcc, s11, v10
                                        ; implicit-def: $vgpr10
	s_and_saveexec_b64 s[6:7], vcc
	s_cbranch_execz .LBB154_138
; %bb.134:
	s_and_b64 vcc, exec, s[2:3]
	s_cbranch_vccnz .LBB154_222
; %bb.135:
	v_cmp_neq_f16_e32 vcc, s10, v9
	v_cmp_neq_f16_sdwa s[8:9], s5, v9 src0_sel:DWORD src1_sel:WORD_1
	s_or_b64 s[8:9], vcc, s[8:9]
	s_cbranch_execnz .LBB154_137
.LBB154_136:
	v_cmp_eq_f16_e32 vcc, s10, v9
	v_cmp_eq_f16_sdwa s[14:15], s5, v9 src0_sel:DWORD src1_sel:WORD_1
	s_and_b64 s[14:15], vcc, s[14:15]
	s_andn2_b64 s[8:9], s[8:9], exec
	s_and_b64 s[14:15], s[14:15], exec
	s_or_b64 s[8:9], s[8:9], s[14:15]
.LBB154_137:
	v_cndmask_b32_e64 v10, 0, 1, s[8:9]
.LBB154_138:
	s_or_b64 exec, exec, s[6:7]
	v_or_b32_e32 v9, 0xb00, v0
	v_cmp_gt_i32_e32 vcc, s11, v9
                                        ; implicit-def: $vgpr9
	s_and_saveexec_b64 s[6:7], vcc
	s_cbranch_execz .LBB154_143
; %bb.139:
	s_and_b64 vcc, exec, s[2:3]
	s_cbranch_vccnz .LBB154_223
; %bb.140:
	v_cmp_neq_f16_e32 vcc, s10, v8
	v_cmp_neq_f16_sdwa s[8:9], s5, v8 src0_sel:DWORD src1_sel:WORD_1
	s_or_b64 s[8:9], vcc, s[8:9]
	s_cbranch_execnz .LBB154_142
.LBB154_141:
	v_cmp_eq_f16_e32 vcc, s10, v8
	v_cmp_eq_f16_sdwa s[14:15], s5, v8 src0_sel:DWORD src1_sel:WORD_1
	s_and_b64 s[14:15], vcc, s[14:15]
	s_andn2_b64 s[8:9], s[8:9], exec
	s_and_b64 s[14:15], s[14:15], exec
	s_or_b64 s[8:9], s[8:9], s[14:15]
.LBB154_142:
	v_cndmask_b32_e64 v9, 0, 1, s[8:9]
.LBB154_143:
	s_or_b64 exec, exec, s[6:7]
	v_or_b32_e32 v8, 0xc00, v0
	v_cmp_gt_i32_e32 vcc, s11, v8
                                        ; implicit-def: $vgpr8
	s_and_saveexec_b64 s[6:7], vcc
	s_cbranch_execz .LBB154_148
; %bb.144:
	s_and_b64 vcc, exec, s[2:3]
	s_cbranch_vccnz .LBB154_224
; %bb.145:
	v_cmp_neq_f16_e32 vcc, s10, v7
	v_cmp_neq_f16_sdwa s[8:9], s5, v7 src0_sel:DWORD src1_sel:WORD_1
	s_or_b64 s[8:9], vcc, s[8:9]
	s_cbranch_execnz .LBB154_147
.LBB154_146:
	v_cmp_eq_f16_e32 vcc, s10, v7
	v_cmp_eq_f16_sdwa s[14:15], s5, v7 src0_sel:DWORD src1_sel:WORD_1
	s_and_b64 s[14:15], vcc, s[14:15]
	s_andn2_b64 s[8:9], s[8:9], exec
	s_and_b64 s[14:15], s[14:15], exec
	s_or_b64 s[8:9], s[8:9], s[14:15]
.LBB154_147:
	v_cndmask_b32_e64 v8, 0, 1, s[8:9]
.LBB154_148:
	s_or_b64 exec, exec, s[6:7]
	v_or_b32_e32 v7, 0xd00, v0
	v_cmp_gt_i32_e32 vcc, s11, v7
                                        ; implicit-def: $vgpr7
	s_and_saveexec_b64 s[6:7], vcc
	s_cbranch_execz .LBB154_153
; %bb.149:
	s_and_b64 vcc, exec, s[2:3]
	s_cbranch_vccnz .LBB154_225
; %bb.150:
	v_cmp_neq_f16_e32 vcc, s10, v6
	v_cmp_neq_f16_sdwa s[8:9], s5, v6 src0_sel:DWORD src1_sel:WORD_1
	s_or_b64 s[8:9], vcc, s[8:9]
	s_cbranch_execnz .LBB154_152
.LBB154_151:
	v_cmp_eq_f16_e32 vcc, s10, v6
	v_cmp_eq_f16_sdwa s[14:15], s5, v6 src0_sel:DWORD src1_sel:WORD_1
	s_and_b64 s[14:15], vcc, s[14:15]
	s_andn2_b64 s[8:9], s[8:9], exec
	s_and_b64 s[14:15], s[14:15], exec
	s_or_b64 s[8:9], s[8:9], s[14:15]
.LBB154_152:
	v_cndmask_b32_e64 v7, 0, 1, s[8:9]
.LBB154_153:
	s_or_b64 exec, exec, s[6:7]
	v_or_b32_e32 v6, 0xe00, v0
	v_cmp_gt_i32_e32 vcc, s11, v6
                                        ; implicit-def: $vgpr6
	s_and_saveexec_b64 s[6:7], vcc
	s_cbranch_execz .LBB154_158
; %bb.154:
	s_and_b64 vcc, exec, s[2:3]
	s_cbranch_vccnz .LBB154_226
; %bb.155:
	v_cmp_neq_f16_e32 vcc, s10, v5
	v_cmp_neq_f16_sdwa s[8:9], s5, v5 src0_sel:DWORD src1_sel:WORD_1
	s_or_b64 s[8:9], vcc, s[8:9]
	s_cbranch_execnz .LBB154_157
.LBB154_156:
	v_cmp_eq_f16_e32 vcc, s10, v5
	v_cmp_eq_f16_sdwa s[14:15], s5, v5 src0_sel:DWORD src1_sel:WORD_1
	s_and_b64 s[14:15], vcc, s[14:15]
	s_andn2_b64 s[8:9], s[8:9], exec
	s_and_b64 s[14:15], s[14:15], exec
	s_or_b64 s[8:9], s[8:9], s[14:15]
.LBB154_157:
	v_cndmask_b32_e64 v6, 0, 1, s[8:9]
.LBB154_158:
	s_or_b64 exec, exec, s[6:7]
	v_or_b32_e32 v5, 0xf00, v0
	v_cmp_gt_i32_e32 vcc, s11, v5
                                        ; implicit-def: $vgpr5
	s_and_saveexec_b64 s[6:7], vcc
	s_cbranch_execz .LBB154_163
; %bb.159:
	s_and_b64 vcc, exec, s[2:3]
	s_cbranch_vccnz .LBB154_227
; %bb.160:
	v_cmp_neq_f16_e32 vcc, s10, v4
	v_cmp_neq_f16_sdwa s[2:3], s5, v4 src0_sel:DWORD src1_sel:WORD_1
	s_or_b64 s[2:3], vcc, s[2:3]
	s_cbranch_execnz .LBB154_162
.LBB154_161:
	v_cmp_eq_f16_e32 vcc, s10, v4
	v_cmp_eq_f16_sdwa s[8:9], s5, v4 src0_sel:DWORD src1_sel:WORD_1
	s_and_b64 s[8:9], vcc, s[8:9]
	s_andn2_b64 s[2:3], s[2:3], exec
	s_and_b64 s[8:9], s[8:9], exec
	s_or_b64 s[2:3], s[2:3], s[8:9]
.LBB154_162:
	v_cndmask_b32_e64 v5, 0, 1, s[2:3]
.LBB154_163:
	s_or_b64 exec, exec, s[6:7]
	s_and_saveexec_b64 s[2:3], s[0:1]
	s_xor_b64 s[0:1], exec, s[2:3]
	s_cbranch_execz .LBB154_165
; %bb.164:
	v_mov_b32_e32 v0, v16
	global_store_byte v1, v3, s[12:13]
.LBB154_165:
	s_or_b64 exec, exec, s[0:1]
	v_cmp_gt_i32_e32 vcc, s11, v0
	s_and_saveexec_b64 s[0:1], vcc
	s_cbranch_execnz .LBB154_181
; %bb.166:
	s_or_b64 exec, exec, s[0:1]
	v_cmp_gt_i32_e32 vcc, s11, v0
	s_and_saveexec_b64 s[0:1], vcc
	s_cbranch_execnz .LBB154_182
.LBB154_167:
	s_or_b64 exec, exec, s[0:1]
	v_cmp_gt_i32_e32 vcc, s11, v0
	s_and_saveexec_b64 s[0:1], vcc
	s_cbranch_execnz .LBB154_183
.LBB154_168:
	s_or_b64 exec, exec, s[0:1]
	v_cmp_gt_i32_e32 vcc, s11, v0
	s_and_saveexec_b64 s[0:1], vcc
	s_cbranch_execnz .LBB154_184
.LBB154_169:
	s_or_b64 exec, exec, s[0:1]
	v_cmp_gt_i32_e32 vcc, s11, v0
	s_and_saveexec_b64 s[0:1], vcc
	s_cbranch_execnz .LBB154_185
.LBB154_170:
	s_or_b64 exec, exec, s[0:1]
	v_cmp_gt_i32_e32 vcc, s11, v0
	s_and_saveexec_b64 s[0:1], vcc
	s_cbranch_execnz .LBB154_186
.LBB154_171:
	s_or_b64 exec, exec, s[0:1]
	v_cmp_gt_i32_e32 vcc, s11, v0
	s_and_saveexec_b64 s[0:1], vcc
	s_cbranch_execnz .LBB154_187
.LBB154_172:
	s_or_b64 exec, exec, s[0:1]
	v_cmp_gt_i32_e32 vcc, s11, v0
	s_and_saveexec_b64 s[0:1], vcc
	s_cbranch_execnz .LBB154_188
.LBB154_173:
	s_or_b64 exec, exec, s[0:1]
	v_cmp_gt_i32_e32 vcc, s11, v0
	s_and_saveexec_b64 s[0:1], vcc
	s_cbranch_execnz .LBB154_189
.LBB154_174:
	s_or_b64 exec, exec, s[0:1]
	v_cmp_gt_i32_e32 vcc, s11, v0
	s_and_saveexec_b64 s[0:1], vcc
	s_cbranch_execnz .LBB154_190
.LBB154_175:
	s_or_b64 exec, exec, s[0:1]
	v_cmp_gt_i32_e32 vcc, s11, v0
	s_and_saveexec_b64 s[0:1], vcc
	s_cbranch_execnz .LBB154_191
.LBB154_176:
	s_or_b64 exec, exec, s[0:1]
	v_cmp_gt_i32_e32 vcc, s11, v0
	s_and_saveexec_b64 s[0:1], vcc
	s_cbranch_execnz .LBB154_192
.LBB154_177:
	s_or_b64 exec, exec, s[0:1]
	v_cmp_gt_i32_e32 vcc, s11, v0
	s_and_saveexec_b64 s[0:1], vcc
	s_cbranch_execnz .LBB154_193
.LBB154_178:
	s_or_b64 exec, exec, s[0:1]
	v_cmp_gt_i32_e32 vcc, s11, v0
	s_and_saveexec_b64 s[0:1], vcc
	s_cbranch_execnz .LBB154_194
.LBB154_179:
	s_or_b64 exec, exec, s[0:1]
	v_cmp_gt_i32_e32 vcc, s11, v0
	s_and_saveexec_b64 s[0:1], vcc
	s_cbranch_execz .LBB154_195
.LBB154_180:
	v_add_u32_e32 v0, s4, v0
	global_store_byte v0, v5, s[12:13]
	s_endpgm
.LBB154_181:
	v_add_u32_e32 v1, s4, v0
	v_add_u32_e32 v0, 0x100, v0
	global_store_byte v1, v17, s[12:13]
	s_or_b64 exec, exec, s[0:1]
	v_cmp_gt_i32_e32 vcc, s11, v0
	s_and_saveexec_b64 s[0:1], vcc
	s_cbranch_execz .LBB154_167
.LBB154_182:
	v_add_u32_e32 v1, s4, v0
	v_add_u32_e32 v0, 0x100, v0
	global_store_byte v1, v2, s[12:13]
	s_or_b64 exec, exec, s[0:1]
	v_cmp_gt_i32_e32 vcc, s11, v0
	s_and_saveexec_b64 s[0:1], vcc
	s_cbranch_execz .LBB154_168
.LBB154_183:
	v_add_u32_e32 v1, s4, v0
	v_add_u32_e32 v0, 0x100, v0
	global_store_byte v1, v15, s[12:13]
	s_or_b64 exec, exec, s[0:1]
	v_cmp_gt_i32_e32 vcc, s11, v0
	s_and_saveexec_b64 s[0:1], vcc
	s_cbranch_execz .LBB154_169
.LBB154_184:
	v_add_u32_e32 v1, s4, v0
	v_add_u32_e32 v0, 0x100, v0
	global_store_byte v1, v19, s[12:13]
	s_or_b64 exec, exec, s[0:1]
	v_cmp_gt_i32_e32 vcc, s11, v0
	s_and_saveexec_b64 s[0:1], vcc
	s_cbranch_execz .LBB154_170
.LBB154_185:
	v_add_u32_e32 v1, s4, v0
	v_add_u32_e32 v0, 0x100, v0
	global_store_byte v1, v18, s[12:13]
	s_or_b64 exec, exec, s[0:1]
	v_cmp_gt_i32_e32 vcc, s11, v0
	s_and_saveexec_b64 s[0:1], vcc
	s_cbranch_execz .LBB154_171
.LBB154_186:
	v_add_u32_e32 v1, s4, v0
	v_add_u32_e32 v0, 0x100, v0
	global_store_byte v1, v14, s[12:13]
	s_or_b64 exec, exec, s[0:1]
	v_cmp_gt_i32_e32 vcc, s11, v0
	s_and_saveexec_b64 s[0:1], vcc
	s_cbranch_execz .LBB154_172
.LBB154_187:
	v_add_u32_e32 v1, s4, v0
	v_add_u32_e32 v0, 0x100, v0
	global_store_byte v1, v13, s[12:13]
	s_or_b64 exec, exec, s[0:1]
	v_cmp_gt_i32_e32 vcc, s11, v0
	s_and_saveexec_b64 s[0:1], vcc
	s_cbranch_execz .LBB154_173
.LBB154_188:
	v_add_u32_e32 v1, s4, v0
	v_add_u32_e32 v0, 0x100, v0
	global_store_byte v1, v12, s[12:13]
	s_or_b64 exec, exec, s[0:1]
	v_cmp_gt_i32_e32 vcc, s11, v0
	s_and_saveexec_b64 s[0:1], vcc
	s_cbranch_execz .LBB154_174
.LBB154_189:
	v_add_u32_e32 v1, s4, v0
	v_add_u32_e32 v0, 0x100, v0
	global_store_byte v1, v11, s[12:13]
	s_or_b64 exec, exec, s[0:1]
	v_cmp_gt_i32_e32 vcc, s11, v0
	s_and_saveexec_b64 s[0:1], vcc
	s_cbranch_execz .LBB154_175
.LBB154_190:
	v_add_u32_e32 v1, s4, v0
	v_add_u32_e32 v0, 0x100, v0
	global_store_byte v1, v10, s[12:13]
	s_or_b64 exec, exec, s[0:1]
	v_cmp_gt_i32_e32 vcc, s11, v0
	s_and_saveexec_b64 s[0:1], vcc
	s_cbranch_execz .LBB154_176
.LBB154_191:
	v_add_u32_e32 v1, s4, v0
	v_add_u32_e32 v0, 0x100, v0
	global_store_byte v1, v9, s[12:13]
	s_or_b64 exec, exec, s[0:1]
	v_cmp_gt_i32_e32 vcc, s11, v0
	s_and_saveexec_b64 s[0:1], vcc
	s_cbranch_execz .LBB154_177
.LBB154_192:
	v_add_u32_e32 v1, s4, v0
	v_add_u32_e32 v0, 0x100, v0
	global_store_byte v1, v8, s[12:13]
	s_or_b64 exec, exec, s[0:1]
	v_cmp_gt_i32_e32 vcc, s11, v0
	s_and_saveexec_b64 s[0:1], vcc
	s_cbranch_execz .LBB154_178
.LBB154_193:
	v_add_u32_e32 v1, s4, v0
	v_add_u32_e32 v0, 0x100, v0
	global_store_byte v1, v7, s[12:13]
	s_or_b64 exec, exec, s[0:1]
	v_cmp_gt_i32_e32 vcc, s11, v0
	s_and_saveexec_b64 s[0:1], vcc
	s_cbranch_execz .LBB154_179
.LBB154_194:
	v_add_u32_e32 v1, s4, v0
	v_add_u32_e32 v0, 0x100, v0
	global_store_byte v1, v6, s[12:13]
	s_or_b64 exec, exec, s[0:1]
	v_cmp_gt_i32_e32 vcc, s11, v0
	s_and_saveexec_b64 s[0:1], vcc
	s_cbranch_execnz .LBB154_180
.LBB154_195:
	s_endpgm
.LBB154_196:
                                        ; implicit-def: $sgpr2_sgpr3
	s_branch .LBB154_3
.LBB154_197:
                                        ; implicit-def: $sgpr6_sgpr7
	s_branch .LBB154_6
.LBB154_198:
                                        ; implicit-def: $sgpr16_sgpr17
	s_branch .LBB154_9
.LBB154_199:
                                        ; implicit-def: $sgpr18_sgpr19
	s_branch .LBB154_12
.LBB154_200:
                                        ; implicit-def: $sgpr20_sgpr21
	s_branch .LBB154_15
.LBB154_201:
                                        ; implicit-def: $sgpr22_sgpr23
	s_branch .LBB154_18
.LBB154_202:
                                        ; implicit-def: $sgpr24_sgpr25
	s_branch .LBB154_21
.LBB154_203:
                                        ; implicit-def: $sgpr26_sgpr27
	s_branch .LBB154_24
.LBB154_204:
                                        ; implicit-def: $sgpr28_sgpr29
	s_branch .LBB154_27
.LBB154_205:
                                        ; implicit-def: $sgpr30_sgpr31
	s_branch .LBB154_30
.LBB154_206:
                                        ; implicit-def: $sgpr34_sgpr35
	s_branch .LBB154_33
.LBB154_207:
                                        ; implicit-def: $sgpr36_sgpr37
	s_branch .LBB154_36
.LBB154_208:
                                        ; implicit-def: $sgpr38_sgpr39
	s_branch .LBB154_39
.LBB154_209:
                                        ; implicit-def: $sgpr40_sgpr41
	s_branch .LBB154_42
.LBB154_210:
                                        ; implicit-def: $sgpr42_sgpr43
	s_branch .LBB154_45
.LBB154_211:
                                        ; implicit-def: $sgpr0_sgpr1
	s_branch .LBB154_48
.LBB154_212:
                                        ; implicit-def: $sgpr8_sgpr9
	s_branch .LBB154_86
.LBB154_213:
                                        ; implicit-def: $sgpr8_sgpr9
	s_branch .LBB154_91
.LBB154_214:
                                        ; implicit-def: $sgpr8_sgpr9
	s_branch .LBB154_96
.LBB154_215:
                                        ; implicit-def: $sgpr8_sgpr9
	s_branch .LBB154_101
.LBB154_216:
                                        ; implicit-def: $sgpr8_sgpr9
	s_branch .LBB154_106
.LBB154_217:
                                        ; implicit-def: $sgpr8_sgpr9
	s_branch .LBB154_111
.LBB154_218:
                                        ; implicit-def: $sgpr8_sgpr9
	s_branch .LBB154_116
.LBB154_219:
                                        ; implicit-def: $sgpr8_sgpr9
	s_branch .LBB154_121
.LBB154_220:
                                        ; implicit-def: $sgpr8_sgpr9
	s_branch .LBB154_126
.LBB154_221:
                                        ; implicit-def: $sgpr8_sgpr9
	s_branch .LBB154_131
.LBB154_222:
                                        ; implicit-def: $sgpr8_sgpr9
	s_branch .LBB154_136
.LBB154_223:
                                        ; implicit-def: $sgpr8_sgpr9
	s_branch .LBB154_141
.LBB154_224:
                                        ; implicit-def: $sgpr8_sgpr9
	s_branch .LBB154_146
.LBB154_225:
                                        ; implicit-def: $sgpr8_sgpr9
	s_branch .LBB154_151
.LBB154_226:
                                        ; implicit-def: $sgpr8_sgpr9
	s_branch .LBB154_156
.LBB154_227:
                                        ; implicit-def: $sgpr2_sgpr3
	s_branch .LBB154_161
	.section	.rodata,"a",@progbits
	.p2align	6, 0x0
	.amdhsa_kernel _ZN2at6native29vectorized_elementwise_kernelILi4ENS0_13AUnaryFunctorIN3c107complexINS3_4HalfEEES6_bNS0_12_GLOBAL__N_116CompareEqFunctorIS6_EEEESt5arrayIPcLm2EEEEviT0_T1_
		.amdhsa_group_segment_fixed_size 0
		.amdhsa_private_segment_fixed_size 0
		.amdhsa_kernarg_size 32
		.amdhsa_user_sgpr_count 6
		.amdhsa_user_sgpr_private_segment_buffer 1
		.amdhsa_user_sgpr_dispatch_ptr 0
		.amdhsa_user_sgpr_queue_ptr 0
		.amdhsa_user_sgpr_kernarg_segment_ptr 1
		.amdhsa_user_sgpr_dispatch_id 0
		.amdhsa_user_sgpr_flat_scratch_init 0
		.amdhsa_user_sgpr_private_segment_size 0
		.amdhsa_uses_dynamic_stack 0
		.amdhsa_system_sgpr_private_segment_wavefront_offset 0
		.amdhsa_system_sgpr_workgroup_id_x 1
		.amdhsa_system_sgpr_workgroup_id_y 0
		.amdhsa_system_sgpr_workgroup_id_z 0
		.amdhsa_system_sgpr_workgroup_info 0
		.amdhsa_system_vgpr_workitem_id 0
		.amdhsa_next_free_vgpr 21
		.amdhsa_next_free_sgpr 46
		.amdhsa_reserve_vcc 1
		.amdhsa_reserve_flat_scratch 0
		.amdhsa_float_round_mode_32 0
		.amdhsa_float_round_mode_16_64 0
		.amdhsa_float_denorm_mode_32 3
		.amdhsa_float_denorm_mode_16_64 3
		.amdhsa_dx10_clamp 1
		.amdhsa_ieee_mode 1
		.amdhsa_fp16_overflow 0
		.amdhsa_exception_fp_ieee_invalid_op 0
		.amdhsa_exception_fp_denorm_src 0
		.amdhsa_exception_fp_ieee_div_zero 0
		.amdhsa_exception_fp_ieee_overflow 0
		.amdhsa_exception_fp_ieee_underflow 0
		.amdhsa_exception_fp_ieee_inexact 0
		.amdhsa_exception_int_div_zero 0
	.end_amdhsa_kernel
	.section	.text._ZN2at6native29vectorized_elementwise_kernelILi4ENS0_13AUnaryFunctorIN3c107complexINS3_4HalfEEES6_bNS0_12_GLOBAL__N_116CompareEqFunctorIS6_EEEESt5arrayIPcLm2EEEEviT0_T1_,"axG",@progbits,_ZN2at6native29vectorized_elementwise_kernelILi4ENS0_13AUnaryFunctorIN3c107complexINS3_4HalfEEES6_bNS0_12_GLOBAL__N_116CompareEqFunctorIS6_EEEESt5arrayIPcLm2EEEEviT0_T1_,comdat
.Lfunc_end154:
	.size	_ZN2at6native29vectorized_elementwise_kernelILi4ENS0_13AUnaryFunctorIN3c107complexINS3_4HalfEEES6_bNS0_12_GLOBAL__N_116CompareEqFunctorIS6_EEEESt5arrayIPcLm2EEEEviT0_T1_, .Lfunc_end154-_ZN2at6native29vectorized_elementwise_kernelILi4ENS0_13AUnaryFunctorIN3c107complexINS3_4HalfEEES6_bNS0_12_GLOBAL__N_116CompareEqFunctorIS6_EEEESt5arrayIPcLm2EEEEviT0_T1_
                                        ; -- End function
	.set _ZN2at6native29vectorized_elementwise_kernelILi4ENS0_13AUnaryFunctorIN3c107complexINS3_4HalfEEES6_bNS0_12_GLOBAL__N_116CompareEqFunctorIS6_EEEESt5arrayIPcLm2EEEEviT0_T1_.num_vgpr, 21
	.set _ZN2at6native29vectorized_elementwise_kernelILi4ENS0_13AUnaryFunctorIN3c107complexINS3_4HalfEEES6_bNS0_12_GLOBAL__N_116CompareEqFunctorIS6_EEEESt5arrayIPcLm2EEEEviT0_T1_.num_agpr, 0
	.set _ZN2at6native29vectorized_elementwise_kernelILi4ENS0_13AUnaryFunctorIN3c107complexINS3_4HalfEEES6_bNS0_12_GLOBAL__N_116CompareEqFunctorIS6_EEEESt5arrayIPcLm2EEEEviT0_T1_.numbered_sgpr, 46
	.set _ZN2at6native29vectorized_elementwise_kernelILi4ENS0_13AUnaryFunctorIN3c107complexINS3_4HalfEEES6_bNS0_12_GLOBAL__N_116CompareEqFunctorIS6_EEEESt5arrayIPcLm2EEEEviT0_T1_.num_named_barrier, 0
	.set _ZN2at6native29vectorized_elementwise_kernelILi4ENS0_13AUnaryFunctorIN3c107complexINS3_4HalfEEES6_bNS0_12_GLOBAL__N_116CompareEqFunctorIS6_EEEESt5arrayIPcLm2EEEEviT0_T1_.private_seg_size, 0
	.set _ZN2at6native29vectorized_elementwise_kernelILi4ENS0_13AUnaryFunctorIN3c107complexINS3_4HalfEEES6_bNS0_12_GLOBAL__N_116CompareEqFunctorIS6_EEEESt5arrayIPcLm2EEEEviT0_T1_.uses_vcc, 1
	.set _ZN2at6native29vectorized_elementwise_kernelILi4ENS0_13AUnaryFunctorIN3c107complexINS3_4HalfEEES6_bNS0_12_GLOBAL__N_116CompareEqFunctorIS6_EEEESt5arrayIPcLm2EEEEviT0_T1_.uses_flat_scratch, 0
	.set _ZN2at6native29vectorized_elementwise_kernelILi4ENS0_13AUnaryFunctorIN3c107complexINS3_4HalfEEES6_bNS0_12_GLOBAL__N_116CompareEqFunctorIS6_EEEESt5arrayIPcLm2EEEEviT0_T1_.has_dyn_sized_stack, 0
	.set _ZN2at6native29vectorized_elementwise_kernelILi4ENS0_13AUnaryFunctorIN3c107complexINS3_4HalfEEES6_bNS0_12_GLOBAL__N_116CompareEqFunctorIS6_EEEESt5arrayIPcLm2EEEEviT0_T1_.has_recursion, 0
	.set _ZN2at6native29vectorized_elementwise_kernelILi4ENS0_13AUnaryFunctorIN3c107complexINS3_4HalfEEES6_bNS0_12_GLOBAL__N_116CompareEqFunctorIS6_EEEESt5arrayIPcLm2EEEEviT0_T1_.has_indirect_call, 0
	.section	.AMDGPU.csdata,"",@progbits
; Kernel info:
; codeLenInByte = 5176
; TotalNumSgprs: 50
; NumVgprs: 21
; ScratchSize: 0
; MemoryBound: 0
; FloatMode: 240
; IeeeMode: 1
; LDSByteSize: 0 bytes/workgroup (compile time only)
; SGPRBlocks: 6
; VGPRBlocks: 5
; NumSGPRsForWavesPerEU: 50
; NumVGPRsForWavesPerEU: 21
; Occupancy: 10
; WaveLimiterHint : 1
; COMPUTE_PGM_RSRC2:SCRATCH_EN: 0
; COMPUTE_PGM_RSRC2:USER_SGPR: 6
; COMPUTE_PGM_RSRC2:TRAP_HANDLER: 0
; COMPUTE_PGM_RSRC2:TGID_X_EN: 1
; COMPUTE_PGM_RSRC2:TGID_Y_EN: 0
; COMPUTE_PGM_RSRC2:TGID_Z_EN: 0
; COMPUTE_PGM_RSRC2:TIDIG_COMP_CNT: 0
	.section	.text._ZN2at6native29vectorized_elementwise_kernelILi2ENS0_13AUnaryFunctorIN3c107complexINS3_4HalfEEES6_bNS0_12_GLOBAL__N_116CompareEqFunctorIS6_EEEESt5arrayIPcLm2EEEEviT0_T1_,"axG",@progbits,_ZN2at6native29vectorized_elementwise_kernelILi2ENS0_13AUnaryFunctorIN3c107complexINS3_4HalfEEES6_bNS0_12_GLOBAL__N_116CompareEqFunctorIS6_EEEESt5arrayIPcLm2EEEEviT0_T1_,comdat
	.globl	_ZN2at6native29vectorized_elementwise_kernelILi2ENS0_13AUnaryFunctorIN3c107complexINS3_4HalfEEES6_bNS0_12_GLOBAL__N_116CompareEqFunctorIS6_EEEESt5arrayIPcLm2EEEEviT0_T1_ ; -- Begin function _ZN2at6native29vectorized_elementwise_kernelILi2ENS0_13AUnaryFunctorIN3c107complexINS3_4HalfEEES6_bNS0_12_GLOBAL__N_116CompareEqFunctorIS6_EEEESt5arrayIPcLm2EEEEviT0_T1_
	.p2align	8
	.type	_ZN2at6native29vectorized_elementwise_kernelILi2ENS0_13AUnaryFunctorIN3c107complexINS3_4HalfEEES6_bNS0_12_GLOBAL__N_116CompareEqFunctorIS6_EEEESt5arrayIPcLm2EEEEviT0_T1_,@function
_ZN2at6native29vectorized_elementwise_kernelILi2ENS0_13AUnaryFunctorIN3c107complexINS3_4HalfEEES6_bNS0_12_GLOBAL__N_116CompareEqFunctorIS6_EEEESt5arrayIPcLm2EEEEviT0_T1_: ; @_ZN2at6native29vectorized_elementwise_kernelILi2ENS0_13AUnaryFunctorIN3c107complexINS3_4HalfEEES6_bNS0_12_GLOBAL__N_116CompareEqFunctorIS6_EEEESt5arrayIPcLm2EEEEviT0_T1_
; %bb.0:
	s_load_dwordx8 s[8:15], s[4:5], 0x0
	s_lshl_b32 s4, s6, 12
	s_mov_b64 s[0:1], -1
	s_waitcnt lgkmcnt(0)
	s_sub_i32 s11, s8, s4
	s_cmpk_gt_i32 s11, 0xfff
	s_cbranch_scc0 .LBB155_50
; %bb.1:
	s_ashr_i32 s5, s4, 31
	s_lshl_b64 s[0:1], s[4:5], 2
	s_add_u32 s0, s14, s0
	s_addc_u32 s1, s15, s1
	v_lshlrev_b32_e32 v3, 3, v0
	v_mov_b32_e32 v1, s1
	v_add_co_u32_e32 v4, vcc, s0, v3
	v_addc_co_u32_e32 v5, vcc, 0, v1, vcc
	v_add_co_u32_e32 v1, vcc, 0x1000, v4
	v_addc_co_u32_e32 v2, vcc, 0, v5, vcc
	;; [unrolled: 2-line block ×3, first 2 shown]
	v_add_co_u32_e32 v19, vcc, 0x3000, v4
	global_load_dwordx2 v[15:16], v3, s[0:1]
	global_load_dwordx2 v[13:14], v3, s[0:1] offset:2048
	global_load_dwordx2 v[11:12], v[1:2], off
	global_load_dwordx2 v[9:10], v[1:2], off offset:2048
	v_addc_co_u32_e32 v20, vcc, 0, v5, vcc
	global_load_dwordx2 v[7:8], v[17:18], off
	global_load_dwordx2 v[5:6], v[17:18], off offset:2048
	global_load_dwordx2 v[3:4], v[19:20], off
	global_load_dwordx2 v[1:2], v[19:20], off offset:2048
	s_lshr_b32 s8, s10, 16
	s_cmp_lg_u32 s9, 0
	s_cselect_b64 s[6:7], -1, 0
	s_and_b64 vcc, exec, s[6:7]
	s_cbranch_vccz .LBB155_196
; %bb.2:
	s_waitcnt vmcnt(7)
	v_cmp_neq_f16_e32 vcc, s10, v15
	v_cmp_neq_f16_sdwa s[0:1], s8, v15 src0_sel:DWORD src1_sel:WORD_1
	s_or_b64 s[2:3], vcc, s[0:1]
	s_cbranch_execnz .LBB155_4
.LBB155_3:
	s_waitcnt vmcnt(7)
	v_cmp_eq_f16_e32 vcc, s10, v15
	v_cmp_eq_f16_sdwa s[0:1], s8, v15 src0_sel:DWORD src1_sel:WORD_1
	s_and_b64 s[0:1], vcc, s[0:1]
	s_andn2_b64 s[2:3], s[2:3], exec
	s_and_b64 s[0:1], s[0:1], exec
	s_or_b64 s[2:3], s[2:3], s[0:1]
.LBB155_4:
	s_waitcnt vmcnt(7)
	v_cndmask_b32_e64 v15, 0, 1, s[6:7]
	v_cmp_ne_u32_e64 s[0:1], 1, v15
	s_andn2_b64 vcc, exec, s[6:7]
	s_cbranch_vccnz .LBB155_197
; %bb.5:
	v_cmp_neq_f16_e32 vcc, s10, v16
	v_cmp_neq_f16_sdwa s[6:7], s8, v16 src0_sel:DWORD src1_sel:WORD_1
	s_or_b64 s[6:7], vcc, s[6:7]
	s_cbranch_execnz .LBB155_7
.LBB155_6:
	v_cmp_eq_f16_e32 vcc, s10, v16
	v_cmp_eq_f16_sdwa s[16:17], s8, v16 src0_sel:DWORD src1_sel:WORD_1
	s_and_b64 s[16:17], vcc, s[16:17]
	s_andn2_b64 s[6:7], s[6:7], exec
	s_and_b64 s[16:17], s[16:17], exec
	s_or_b64 s[6:7], s[6:7], s[16:17]
.LBB155_7:
	s_and_b64 vcc, exec, s[0:1]
	s_cbranch_vccnz .LBB155_198
; %bb.8:
	s_waitcnt vmcnt(6)
	v_cmp_neq_f16_e32 vcc, s10, v13
	v_cmp_neq_f16_sdwa s[16:17], s8, v13 src0_sel:DWORD src1_sel:WORD_1
	s_or_b64 s[16:17], vcc, s[16:17]
	s_cbranch_execnz .LBB155_10
.LBB155_9:
	s_waitcnt vmcnt(6)
	v_cmp_eq_f16_e32 vcc, s10, v13
	v_cmp_eq_f16_sdwa s[18:19], s8, v13 src0_sel:DWORD src1_sel:WORD_1
	s_and_b64 s[18:19], vcc, s[18:19]
	s_andn2_b64 s[16:17], s[16:17], exec
	s_and_b64 s[18:19], s[18:19], exec
	s_or_b64 s[16:17], s[16:17], s[18:19]
.LBB155_10:
	s_and_b64 vcc, exec, s[0:1]
	s_cbranch_vccnz .LBB155_199
; %bb.11:
	s_waitcnt vmcnt(6)
	v_cmp_neq_f16_e32 vcc, s10, v14
	v_cmp_neq_f16_sdwa s[18:19], s8, v14 src0_sel:DWORD src1_sel:WORD_1
	s_or_b64 s[18:19], vcc, s[18:19]
	s_cbranch_execnz .LBB155_13
.LBB155_12:
	s_waitcnt vmcnt(6)
	v_cmp_eq_f16_e32 vcc, s10, v14
	v_cmp_eq_f16_sdwa s[20:21], s8, v14 src0_sel:DWORD src1_sel:WORD_1
	s_and_b64 s[20:21], vcc, s[20:21]
	s_andn2_b64 s[18:19], s[18:19], exec
	s_and_b64 s[20:21], s[20:21], exec
	s_or_b64 s[18:19], s[18:19], s[20:21]
.LBB155_13:
	s_and_b64 vcc, exec, s[0:1]
	s_cbranch_vccnz .LBB155_200
; %bb.14:
	s_waitcnt vmcnt(5)
	v_cmp_neq_f16_e32 vcc, s10, v11
	v_cmp_neq_f16_sdwa s[20:21], s8, v11 src0_sel:DWORD src1_sel:WORD_1
	s_or_b64 s[20:21], vcc, s[20:21]
	s_cbranch_execnz .LBB155_16
.LBB155_15:
	s_waitcnt vmcnt(5)
	v_cmp_eq_f16_e32 vcc, s10, v11
	v_cmp_eq_f16_sdwa s[22:23], s8, v11 src0_sel:DWORD src1_sel:WORD_1
	s_and_b64 s[22:23], vcc, s[22:23]
	s_andn2_b64 s[20:21], s[20:21], exec
	s_and_b64 s[22:23], s[22:23], exec
	s_or_b64 s[20:21], s[20:21], s[22:23]
.LBB155_16:
	s_and_b64 vcc, exec, s[0:1]
	s_cbranch_vccnz .LBB155_201
; %bb.17:
	s_waitcnt vmcnt(5)
	v_cmp_neq_f16_e32 vcc, s10, v12
	v_cmp_neq_f16_sdwa s[22:23], s8, v12 src0_sel:DWORD src1_sel:WORD_1
	s_or_b64 s[22:23], vcc, s[22:23]
	s_cbranch_execnz .LBB155_19
.LBB155_18:
	s_waitcnt vmcnt(5)
	v_cmp_eq_f16_e32 vcc, s10, v12
	v_cmp_eq_f16_sdwa s[24:25], s8, v12 src0_sel:DWORD src1_sel:WORD_1
	s_and_b64 s[24:25], vcc, s[24:25]
	s_andn2_b64 s[22:23], s[22:23], exec
	s_and_b64 s[24:25], s[24:25], exec
	s_or_b64 s[22:23], s[22:23], s[24:25]
.LBB155_19:
	s_and_b64 vcc, exec, s[0:1]
	s_cbranch_vccnz .LBB155_202
; %bb.20:
	s_waitcnt vmcnt(4)
	v_cmp_neq_f16_e32 vcc, s10, v9
	v_cmp_neq_f16_sdwa s[24:25], s8, v9 src0_sel:DWORD src1_sel:WORD_1
	s_or_b64 s[24:25], vcc, s[24:25]
	s_cbranch_execnz .LBB155_22
.LBB155_21:
	s_waitcnt vmcnt(4)
	v_cmp_eq_f16_e32 vcc, s10, v9
	v_cmp_eq_f16_sdwa s[26:27], s8, v9 src0_sel:DWORD src1_sel:WORD_1
	s_and_b64 s[26:27], vcc, s[26:27]
	s_andn2_b64 s[24:25], s[24:25], exec
	s_and_b64 s[26:27], s[26:27], exec
	s_or_b64 s[24:25], s[24:25], s[26:27]
.LBB155_22:
	s_and_b64 vcc, exec, s[0:1]
	s_cbranch_vccnz .LBB155_203
; %bb.23:
	s_waitcnt vmcnt(4)
	v_cmp_neq_f16_e32 vcc, s10, v10
	v_cmp_neq_f16_sdwa s[26:27], s8, v10 src0_sel:DWORD src1_sel:WORD_1
	s_or_b64 s[26:27], vcc, s[26:27]
	s_cbranch_execnz .LBB155_25
.LBB155_24:
	s_waitcnt vmcnt(4)
	v_cmp_eq_f16_e32 vcc, s10, v10
	v_cmp_eq_f16_sdwa s[28:29], s8, v10 src0_sel:DWORD src1_sel:WORD_1
	s_and_b64 s[28:29], vcc, s[28:29]
	s_andn2_b64 s[26:27], s[26:27], exec
	s_and_b64 s[28:29], s[28:29], exec
	s_or_b64 s[26:27], s[26:27], s[28:29]
.LBB155_25:
	s_and_b64 vcc, exec, s[0:1]
	s_cbranch_vccnz .LBB155_204
; %bb.26:
	s_waitcnt vmcnt(3)
	v_cmp_neq_f16_e32 vcc, s10, v7
	v_cmp_neq_f16_sdwa s[28:29], s8, v7 src0_sel:DWORD src1_sel:WORD_1
	s_or_b64 s[28:29], vcc, s[28:29]
	s_cbranch_execnz .LBB155_28
.LBB155_27:
	s_waitcnt vmcnt(3)
	v_cmp_eq_f16_e32 vcc, s10, v7
	v_cmp_eq_f16_sdwa s[30:31], s8, v7 src0_sel:DWORD src1_sel:WORD_1
	s_and_b64 s[30:31], vcc, s[30:31]
	s_andn2_b64 s[28:29], s[28:29], exec
	s_and_b64 s[30:31], s[30:31], exec
	s_or_b64 s[28:29], s[28:29], s[30:31]
.LBB155_28:
	s_and_b64 vcc, exec, s[0:1]
	s_cbranch_vccnz .LBB155_205
; %bb.29:
	s_waitcnt vmcnt(3)
	v_cmp_neq_f16_e32 vcc, s10, v8
	v_cmp_neq_f16_sdwa s[30:31], s8, v8 src0_sel:DWORD src1_sel:WORD_1
	s_or_b64 s[30:31], vcc, s[30:31]
	s_cbranch_execnz .LBB155_31
.LBB155_30:
	s_waitcnt vmcnt(3)
	v_cmp_eq_f16_e32 vcc, s10, v8
	v_cmp_eq_f16_sdwa s[34:35], s8, v8 src0_sel:DWORD src1_sel:WORD_1
	s_and_b64 s[34:35], vcc, s[34:35]
	s_andn2_b64 s[30:31], s[30:31], exec
	s_and_b64 s[34:35], s[34:35], exec
	s_or_b64 s[30:31], s[30:31], s[34:35]
.LBB155_31:
	s_and_b64 vcc, exec, s[0:1]
	s_cbranch_vccnz .LBB155_206
; %bb.32:
	s_waitcnt vmcnt(2)
	v_cmp_neq_f16_e32 vcc, s10, v5
	v_cmp_neq_f16_sdwa s[34:35], s8, v5 src0_sel:DWORD src1_sel:WORD_1
	s_or_b64 s[34:35], vcc, s[34:35]
	s_cbranch_execnz .LBB155_34
.LBB155_33:
	s_waitcnt vmcnt(2)
	v_cmp_eq_f16_e32 vcc, s10, v5
	v_cmp_eq_f16_sdwa s[36:37], s8, v5 src0_sel:DWORD src1_sel:WORD_1
	s_and_b64 s[36:37], vcc, s[36:37]
	s_andn2_b64 s[34:35], s[34:35], exec
	s_and_b64 s[36:37], s[36:37], exec
	s_or_b64 s[34:35], s[34:35], s[36:37]
.LBB155_34:
	s_and_b64 vcc, exec, s[0:1]
	s_cbranch_vccnz .LBB155_207
; %bb.35:
	s_waitcnt vmcnt(2)
	v_cmp_neq_f16_e32 vcc, s10, v6
	v_cmp_neq_f16_sdwa s[36:37], s8, v6 src0_sel:DWORD src1_sel:WORD_1
	s_or_b64 s[36:37], vcc, s[36:37]
	s_cbranch_execnz .LBB155_37
.LBB155_36:
	s_waitcnt vmcnt(2)
	v_cmp_eq_f16_e32 vcc, s10, v6
	v_cmp_eq_f16_sdwa s[38:39], s8, v6 src0_sel:DWORD src1_sel:WORD_1
	s_and_b64 s[38:39], vcc, s[38:39]
	s_andn2_b64 s[36:37], s[36:37], exec
	s_and_b64 s[38:39], s[38:39], exec
	s_or_b64 s[36:37], s[36:37], s[38:39]
.LBB155_37:
	s_and_b64 vcc, exec, s[0:1]
	s_cbranch_vccnz .LBB155_208
; %bb.38:
	s_waitcnt vmcnt(1)
	v_cmp_neq_f16_e32 vcc, s10, v3
	v_cmp_neq_f16_sdwa s[38:39], s8, v3 src0_sel:DWORD src1_sel:WORD_1
	s_or_b64 s[38:39], vcc, s[38:39]
	s_cbranch_execnz .LBB155_40
.LBB155_39:
	s_waitcnt vmcnt(1)
	v_cmp_eq_f16_e32 vcc, s10, v3
	v_cmp_eq_f16_sdwa s[40:41], s8, v3 src0_sel:DWORD src1_sel:WORD_1
	s_and_b64 s[40:41], vcc, s[40:41]
	s_andn2_b64 s[38:39], s[38:39], exec
	s_and_b64 s[40:41], s[40:41], exec
	s_or_b64 s[38:39], s[38:39], s[40:41]
.LBB155_40:
	s_and_b64 vcc, exec, s[0:1]
	s_cbranch_vccnz .LBB155_209
; %bb.41:
	s_waitcnt vmcnt(1)
	v_cmp_neq_f16_e32 vcc, s10, v4
	v_cmp_neq_f16_sdwa s[40:41], s8, v4 src0_sel:DWORD src1_sel:WORD_1
	s_or_b64 s[40:41], vcc, s[40:41]
	s_cbranch_execnz .LBB155_43
.LBB155_42:
	s_waitcnt vmcnt(1)
	v_cmp_eq_f16_e32 vcc, s10, v4
	v_cmp_eq_f16_sdwa s[42:43], s8, v4 src0_sel:DWORD src1_sel:WORD_1
	s_and_b64 s[42:43], vcc, s[42:43]
	s_andn2_b64 s[40:41], s[40:41], exec
	s_and_b64 s[42:43], s[42:43], exec
	s_or_b64 s[40:41], s[40:41], s[42:43]
.LBB155_43:
	s_and_b64 vcc, exec, s[0:1]
	s_cbranch_vccnz .LBB155_210
; %bb.44:
	s_waitcnt vmcnt(0)
	v_cmp_neq_f16_e32 vcc, s10, v1
	v_cmp_neq_f16_sdwa s[42:43], s8, v1 src0_sel:DWORD src1_sel:WORD_1
	s_or_b64 s[42:43], vcc, s[42:43]
	s_cbranch_execnz .LBB155_46
.LBB155_45:
	s_waitcnt vmcnt(0)
	v_cmp_eq_f16_e32 vcc, s10, v1
	v_cmp_eq_f16_sdwa s[44:45], s8, v1 src0_sel:DWORD src1_sel:WORD_1
	s_and_b64 s[44:45], vcc, s[44:45]
	s_andn2_b64 s[42:43], s[42:43], exec
	s_and_b64 s[44:45], s[44:45], exec
	s_or_b64 s[42:43], s[42:43], s[44:45]
.LBB155_46:
	s_and_b64 vcc, exec, s[0:1]
	s_cbranch_vccnz .LBB155_211
; %bb.47:
	s_waitcnt vmcnt(0)
	v_cmp_neq_f16_e32 vcc, s10, v2
	v_cmp_neq_f16_sdwa s[0:1], s8, v2 src0_sel:DWORD src1_sel:WORD_1
	s_or_b64 s[0:1], vcc, s[0:1]
	s_cbranch_execnz .LBB155_49
.LBB155_48:
	s_waitcnt vmcnt(0)
	v_cmp_eq_f16_e32 vcc, s10, v2
	v_cmp_eq_f16_sdwa s[44:45], s8, v2 src0_sel:DWORD src1_sel:WORD_1
	s_and_b64 s[44:45], vcc, s[44:45]
	s_andn2_b64 s[0:1], s[0:1], exec
	s_and_b64 s[44:45], s[44:45], exec
	s_or_b64 s[0:1], s[0:1], s[44:45]
.LBB155_49:
	s_waitcnt vmcnt(1)
	v_mov_b32_e32 v3, 0x100
	s_waitcnt vmcnt(0)
	v_cndmask_b32_e64 v2, 0, 1, s[38:39]
	v_cndmask_b32_e64 v4, 0, v3, s[40:41]
	v_or_b32_e32 v2, v4, v2
	v_cndmask_b32_e64 v4, 0, 1, s[34:35]
	v_cndmask_b32_e64 v5, 0, v3, s[36:37]
	v_or_b32_e32 v4, v5, v4
	;; [unrolled: 3-line block ×5, first 2 shown]
	v_cndmask_b32_e64 v8, 0, 1, s[16:17]
	v_cndmask_b32_e64 v9, 0, v3, s[18:19]
	;; [unrolled: 1-line block ×3, first 2 shown]
	v_or_b32_e32 v8, v9, v8
	v_cndmask_b32_e64 v9, 0, 1, s[2:3]
	v_cndmask_b32_e64 v10, 0, v3, s[6:7]
	;; [unrolled: 1-line block ×3, first 2 shown]
	s_add_u32 s0, s12, s4
	v_or_b32_e32 v9, v10, v9
	v_or_b32_e32 v1, v3, v1
	s_addc_u32 s1, s13, s5
	v_lshlrev_b32_e32 v3, 1, v0
	global_store_short v3, v9, s[0:1]
	global_store_short v3, v8, s[0:1] offset:512
	global_store_short v3, v7, s[0:1] offset:1024
	;; [unrolled: 1-line block ×7, first 2 shown]
	s_mov_b64 s[0:1], 0
.LBB155_50:
	s_and_b64 vcc, exec, s[0:1]
	s_cbranch_vccz .LBB155_195
; %bb.51:
	v_cmp_gt_i32_e64 s[0:1], s11, v0
	v_mov_b32_e32 v4, 0
	v_or_b32_e32 v1, s4, v0
	v_mov_b32_e32 v5, 0
	v_mov_b32_e32 v6, 0
	;; [unrolled: 1-line block ×15, first 2 shown]
	s_and_saveexec_b64 s[2:3], s[0:1]
	s_cbranch_execz .LBB155_83
; %bb.52:
	v_mov_b32_e32 v2, 0
	v_lshlrev_b64 v[3:4], 2, v[1:2]
	v_mov_b32_e32 v5, s15
	v_add_co_u32_e32 v3, vcc, s14, v3
	v_addc_co_u32_e32 v4, vcc, v5, v4, vcc
	global_load_dword v20, v[3:4], off
	v_or_b32_e32 v3, 0x100, v0
	v_cmp_gt_u32_e32 vcc, s11, v3
	v_mov_b32_e32 v15, v2
	v_mov_b32_e32 v19, v2
	;; [unrolled: 1-line block ×14, first 2 shown]
	s_and_saveexec_b64 s[6:7], vcc
	s_cbranch_execz .LBB155_82
; %bb.53:
	v_add_u32_e32 v14, s4, v0
	v_mov_b32_e32 v15, 0
	v_lshlrev_b64 v[2:3], 2, v[14:15]
	v_mov_b32_e32 v4, s15
	v_add_co_u32_e32 v16, vcc, s14, v2
	v_addc_co_u32_e32 v17, vcc, v4, v3, vcc
	global_load_dword v2, v[16:17], off offset:1024
	v_or_b32_e32 v3, 0x200, v0
	v_cmp_gt_u32_e32 vcc, s11, v3
	v_mov_b32_e32 v19, v15
	v_mov_b32_e32 v18, v15
	;; [unrolled: 1-line block ×13, first 2 shown]
	s_and_saveexec_b64 s[16:17], vcc
	s_cbranch_execz .LBB155_81
; %bb.54:
	global_load_dword v15, v[16:17], off offset:2048
	v_or_b32_e32 v3, 0x300, v0
	v_cmp_gt_u32_e32 vcc, s11, v3
	v_mov_b32_e32 v19, 0
	v_mov_b32_e32 v18, 0
	;; [unrolled: 1-line block ×13, first 2 shown]
	s_and_saveexec_b64 s[18:19], vcc
	s_cbranch_execz .LBB155_80
; %bb.55:
	global_load_dword v19, v[16:17], off offset:3072
	v_or_b32_e32 v3, 0x400, v0
	v_cmp_gt_u32_e32 vcc, s11, v3
	v_mov_b32_e32 v18, 0
	v_mov_b32_e32 v14, 0
	;; [unrolled: 1-line block ×12, first 2 shown]
	s_and_saveexec_b64 s[20:21], vcc
	s_cbranch_execz .LBB155_79
; %bb.56:
	v_or_b32_e32 v13, s4, v3
	v_mov_b32_e32 v14, 0
	v_lshlrev_b64 v[3:4], 2, v[13:14]
	v_mov_b32_e32 v5, s15
	v_add_co_u32_e32 v3, vcc, s14, v3
	v_addc_co_u32_e32 v4, vcc, v5, v4, vcc
	global_load_dword v18, v[3:4], off
	v_or_b32_e32 v3, 0x500, v0
	v_cmp_gt_u32_e32 vcc, s11, v3
	v_mov_b32_e32 v13, v14
	v_mov_b32_e32 v12, v14
	;; [unrolled: 1-line block ×10, first 2 shown]
	s_and_saveexec_b64 s[22:23], vcc
	s_cbranch_execz .LBB155_78
; %bb.57:
	v_or_b32_e32 v12, s4, v3
	v_mov_b32_e32 v13, 0
	v_lshlrev_b64 v[3:4], 2, v[12:13]
	v_mov_b32_e32 v5, s15
	v_add_co_u32_e32 v3, vcc, s14, v3
	v_addc_co_u32_e32 v4, vcc, v5, v4, vcc
	global_load_dword v14, v[3:4], off
	v_or_b32_e32 v3, 0x600, v0
	v_cmp_gt_u32_e32 vcc, s11, v3
	v_mov_b32_e32 v12, v13
	v_mov_b32_e32 v11, v13
	;; [unrolled: 1-line block ×9, first 2 shown]
	s_and_saveexec_b64 s[24:25], vcc
	s_cbranch_execz .LBB155_77
; %bb.58:
	v_or_b32_e32 v11, s4, v3
	v_mov_b32_e32 v12, 0
	v_lshlrev_b64 v[3:4], 2, v[11:12]
	v_mov_b32_e32 v5, s15
	v_add_co_u32_e32 v3, vcc, s14, v3
	v_addc_co_u32_e32 v4, vcc, v5, v4, vcc
	global_load_dword v13, v[3:4], off
	v_or_b32_e32 v3, 0x700, v0
	v_cmp_gt_u32_e32 vcc, s11, v3
	v_mov_b32_e32 v11, v12
	v_mov_b32_e32 v10, v12
	;; [unrolled: 1-line block ×8, first 2 shown]
	s_and_saveexec_b64 s[26:27], vcc
	s_cbranch_execz .LBB155_76
; %bb.59:
	v_or_b32_e32 v10, s4, v3
	v_mov_b32_e32 v11, 0
	v_lshlrev_b64 v[3:4], 2, v[10:11]
	v_mov_b32_e32 v5, s15
	v_add_co_u32_e32 v3, vcc, s14, v3
	v_addc_co_u32_e32 v4, vcc, v5, v4, vcc
	global_load_dword v12, v[3:4], off
	v_or_b32_e32 v3, 0x800, v0
	v_cmp_gt_u32_e32 vcc, s11, v3
	v_mov_b32_e32 v10, v11
	v_mov_b32_e32 v9, v11
	;; [unrolled: 1-line block ×7, first 2 shown]
	s_and_saveexec_b64 s[28:29], vcc
	s_cbranch_execz .LBB155_75
; %bb.60:
	v_or_b32_e32 v9, s4, v3
	v_mov_b32_e32 v10, 0
	v_lshlrev_b64 v[3:4], 2, v[9:10]
	v_mov_b32_e32 v5, s15
	v_add_co_u32_e32 v3, vcc, s14, v3
	v_addc_co_u32_e32 v4, vcc, v5, v4, vcc
	global_load_dword v11, v[3:4], off
	v_or_b32_e32 v3, 0x900, v0
	v_cmp_gt_u32_e32 vcc, s11, v3
	v_mov_b32_e32 v9, v10
	v_mov_b32_e32 v8, v10
	;; [unrolled: 1-line block ×6, first 2 shown]
	s_and_saveexec_b64 s[30:31], vcc
	s_cbranch_execz .LBB155_74
; %bb.61:
	v_or_b32_e32 v8, s4, v3
	v_mov_b32_e32 v9, 0
	v_lshlrev_b64 v[3:4], 2, v[8:9]
	v_mov_b32_e32 v5, s15
	v_add_co_u32_e32 v3, vcc, s14, v3
	v_addc_co_u32_e32 v4, vcc, v5, v4, vcc
	global_load_dword v10, v[3:4], off
	v_or_b32_e32 v3, 0xa00, v0
	v_cmp_gt_u32_e32 vcc, s11, v3
	v_mov_b32_e32 v8, v9
	v_mov_b32_e32 v7, v9
	;; [unrolled: 1-line block ×5, first 2 shown]
	s_and_saveexec_b64 s[34:35], vcc
	s_cbranch_execz .LBB155_73
; %bb.62:
	v_or_b32_e32 v7, s4, v3
	v_mov_b32_e32 v8, 0
	v_lshlrev_b64 v[3:4], 2, v[7:8]
	v_mov_b32_e32 v5, s15
	v_add_co_u32_e32 v3, vcc, s14, v3
	v_addc_co_u32_e32 v4, vcc, v5, v4, vcc
	global_load_dword v9, v[3:4], off
	v_or_b32_e32 v3, 0xb00, v0
	v_cmp_gt_u32_e32 vcc, s11, v3
	v_mov_b32_e32 v7, v8
	v_mov_b32_e32 v6, v8
	;; [unrolled: 1-line block ×4, first 2 shown]
	s_and_saveexec_b64 s[36:37], vcc
	s_cbranch_execz .LBB155_72
; %bb.63:
	v_or_b32_e32 v6, s4, v3
	v_mov_b32_e32 v7, 0
	v_lshlrev_b64 v[3:4], 2, v[6:7]
	v_mov_b32_e32 v5, s15
	v_add_co_u32_e32 v3, vcc, s14, v3
	v_addc_co_u32_e32 v4, vcc, v5, v4, vcc
	global_load_dword v8, v[3:4], off
	v_or_b32_e32 v3, 0xc00, v0
	v_cmp_gt_u32_e32 vcc, s11, v3
	v_mov_b32_e32 v6, v7
	v_mov_b32_e32 v5, v7
	;; [unrolled: 1-line block ×3, first 2 shown]
	s_and_saveexec_b64 s[38:39], vcc
	s_cbranch_execz .LBB155_71
; %bb.64:
	v_or_b32_e32 v5, s4, v3
	v_mov_b32_e32 v6, 0
	v_lshlrev_b64 v[3:4], 2, v[5:6]
	v_mov_b32_e32 v5, s15
	v_add_co_u32_e32 v3, vcc, s14, v3
	v_addc_co_u32_e32 v4, vcc, v5, v4, vcc
	global_load_dword v7, v[3:4], off
	v_or_b32_e32 v3, 0xd00, v0
	v_cmp_gt_u32_e32 vcc, s11, v3
	v_mov_b32_e32 v5, v6
	v_mov_b32_e32 v4, v6
	s_and_saveexec_b64 s[40:41], vcc
	s_cbranch_execz .LBB155_70
; %bb.65:
	v_add_u32_e32 v4, s4, v3
	v_mov_b32_e32 v5, 0
	v_lshlrev_b64 v[3:4], 2, v[4:5]
	v_mov_b32_e32 v6, s15
	v_add_co_u32_e32 v3, vcc, s14, v3
	v_addc_co_u32_e32 v4, vcc, v6, v4, vcc
	global_load_dword v6, v[3:4], off
	v_or_b32_e32 v3, 0xe00, v0
	v_cmp_gt_u32_e32 vcc, s11, v3
	v_mov_b32_e32 v4, v5
	s_and_saveexec_b64 s[42:43], vcc
	s_cbranch_execz .LBB155_69
; %bb.66:
	v_add_u32_e32 v3, s4, v3
	v_mov_b32_e32 v4, 0
	v_lshlrev_b64 v[16:17], 2, v[3:4]
	v_mov_b32_e32 v3, s15
	v_add_co_u32_e32 v16, vcc, s14, v16
	v_addc_co_u32_e32 v17, vcc, v3, v17, vcc
	global_load_dword v5, v[16:17], off
	v_or_b32_e32 v3, 0xf00, v0
	v_cmp_gt_u32_e32 vcc, s11, v3
	s_and_saveexec_b64 s[44:45], vcc
	s_cbranch_execz .LBB155_68
; %bb.67:
	v_add_u32_e32 v3, s4, v3
	v_mov_b32_e32 v4, 0
	v_lshlrev_b64 v[3:4], 2, v[3:4]
	v_mov_b32_e32 v16, s15
	v_add_co_u32_e32 v3, vcc, s14, v3
	v_addc_co_u32_e32 v4, vcc, v16, v4, vcc
	global_load_dword v4, v[3:4], off
.LBB155_68:
	s_or_b64 exec, exec, s[44:45]
.LBB155_69:
	s_or_b64 exec, exec, s[42:43]
.LBB155_70:
	s_or_b64 exec, exec, s[40:41]
.LBB155_71:
	s_or_b64 exec, exec, s[38:39]
.LBB155_72:
	s_or_b64 exec, exec, s[36:37]
.LBB155_73:
	s_or_b64 exec, exec, s[34:35]
.LBB155_74:
	s_or_b64 exec, exec, s[30:31]
.LBB155_75:
	s_or_b64 exec, exec, s[28:29]
.LBB155_76:
	s_or_b64 exec, exec, s[26:27]
.LBB155_77:
	s_or_b64 exec, exec, s[24:25]
.LBB155_78:
	s_or_b64 exec, exec, s[22:23]
.LBB155_79:
	s_or_b64 exec, exec, s[20:21]
.LBB155_80:
	s_or_b64 exec, exec, s[18:19]
.LBB155_81:
	s_or_b64 exec, exec, s[16:17]
.LBB155_82:
	s_or_b64 exec, exec, s[6:7]
.LBB155_83:
	s_or_b64 exec, exec, s[2:3]
	s_lshr_b32 s5, s10, 16
	s_cmp_lg_u32 s9, 0
	s_cselect_b64 s[2:3], -1, 0
                                        ; implicit-def: $vgpr3
	s_and_saveexec_b64 s[6:7], s[0:1]
	s_cbranch_execz .LBB155_88
; %bb.84:
	s_and_b64 vcc, exec, s[2:3]
	s_cbranch_vccz .LBB155_212
; %bb.85:
	s_waitcnt vmcnt(0)
	v_cmp_neq_f16_e32 vcc, s10, v20
	v_cmp_neq_f16_sdwa s[8:9], s5, v20 src0_sel:DWORD src1_sel:WORD_1
	s_or_b64 s[8:9], vcc, s[8:9]
	s_cbranch_execnz .LBB155_87
.LBB155_86:
	s_waitcnt vmcnt(0)
	v_cmp_eq_f16_e32 vcc, s10, v20
	v_cmp_eq_f16_sdwa s[14:15], s5, v20 src0_sel:DWORD src1_sel:WORD_1
	s_and_b64 s[14:15], vcc, s[14:15]
	s_andn2_b64 s[8:9], s[8:9], exec
	s_and_b64 s[14:15], s[14:15], exec
	s_or_b64 s[8:9], s[8:9], s[14:15]
.LBB155_87:
	v_cndmask_b32_e64 v3, 0, 1, s[8:9]
.LBB155_88:
	s_or_b64 exec, exec, s[6:7]
	v_or_b32_e32 v16, 0x100, v0
	v_cndmask_b32_e64 v17, 0, 1, s[2:3]
	v_cmp_gt_i32_e32 vcc, s11, v16
	v_cmp_ne_u32_e64 s[2:3], 1, v17
                                        ; implicit-def: $vgpr17
	s_and_saveexec_b64 s[6:7], vcc
	s_cbranch_execz .LBB155_93
; %bb.89:
	s_and_b64 vcc, exec, s[2:3]
	s_cbranch_vccnz .LBB155_213
; %bb.90:
	s_waitcnt vmcnt(0)
	v_cmp_neq_f16_e32 vcc, s10, v2
	v_cmp_neq_f16_sdwa s[8:9], s5, v2 src0_sel:DWORD src1_sel:WORD_1
	s_or_b64 s[8:9], vcc, s[8:9]
	s_cbranch_execnz .LBB155_92
.LBB155_91:
	s_waitcnt vmcnt(0)
	v_cmp_eq_f16_e32 vcc, s10, v2
	v_cmp_eq_f16_sdwa s[14:15], s5, v2 src0_sel:DWORD src1_sel:WORD_1
	s_and_b64 s[14:15], vcc, s[14:15]
	s_andn2_b64 s[8:9], s[8:9], exec
	s_and_b64 s[14:15], s[14:15], exec
	s_or_b64 s[8:9], s[8:9], s[14:15]
.LBB155_92:
	v_cndmask_b32_e64 v17, 0, 1, s[8:9]
.LBB155_93:
	s_or_b64 exec, exec, s[6:7]
	s_waitcnt vmcnt(0)
	v_or_b32_e32 v2, 0x200, v0
	v_cmp_gt_i32_e32 vcc, s11, v2
                                        ; implicit-def: $vgpr2
	s_and_saveexec_b64 s[6:7], vcc
	s_cbranch_execz .LBB155_98
; %bb.94:
	s_and_b64 vcc, exec, s[2:3]
	s_cbranch_vccnz .LBB155_214
; %bb.95:
	v_cmp_neq_f16_e32 vcc, s10, v15
	v_cmp_neq_f16_sdwa s[8:9], s5, v15 src0_sel:DWORD src1_sel:WORD_1
	s_or_b64 s[8:9], vcc, s[8:9]
	s_cbranch_execnz .LBB155_97
.LBB155_96:
	v_cmp_eq_f16_e32 vcc, s10, v15
	v_cmp_eq_f16_sdwa s[14:15], s5, v15 src0_sel:DWORD src1_sel:WORD_1
	s_and_b64 s[14:15], vcc, s[14:15]
	s_andn2_b64 s[8:9], s[8:9], exec
	s_and_b64 s[14:15], s[14:15], exec
	s_or_b64 s[8:9], s[8:9], s[14:15]
.LBB155_97:
	v_cndmask_b32_e64 v2, 0, 1, s[8:9]
.LBB155_98:
	s_or_b64 exec, exec, s[6:7]
	v_or_b32_e32 v15, 0x300, v0
	v_cmp_gt_i32_e32 vcc, s11, v15
                                        ; implicit-def: $vgpr15
	s_and_saveexec_b64 s[6:7], vcc
	s_cbranch_execz .LBB155_103
; %bb.99:
	s_and_b64 vcc, exec, s[2:3]
	s_cbranch_vccnz .LBB155_215
; %bb.100:
	v_cmp_neq_f16_e32 vcc, s10, v19
	v_cmp_neq_f16_sdwa s[8:9], s5, v19 src0_sel:DWORD src1_sel:WORD_1
	s_or_b64 s[8:9], vcc, s[8:9]
	s_cbranch_execnz .LBB155_102
.LBB155_101:
	v_cmp_eq_f16_e32 vcc, s10, v19
	v_cmp_eq_f16_sdwa s[14:15], s5, v19 src0_sel:DWORD src1_sel:WORD_1
	s_and_b64 s[14:15], vcc, s[14:15]
	s_andn2_b64 s[8:9], s[8:9], exec
	s_and_b64 s[14:15], s[14:15], exec
	s_or_b64 s[8:9], s[8:9], s[14:15]
.LBB155_102:
	v_cndmask_b32_e64 v15, 0, 1, s[8:9]
.LBB155_103:
	s_or_b64 exec, exec, s[6:7]
	v_or_b32_e32 v19, 0x400, v0
	v_cmp_gt_i32_e32 vcc, s11, v19
                                        ; implicit-def: $vgpr19
	s_and_saveexec_b64 s[6:7], vcc
	s_cbranch_execz .LBB155_108
; %bb.104:
	s_and_b64 vcc, exec, s[2:3]
	s_cbranch_vccnz .LBB155_216
; %bb.105:
	v_cmp_neq_f16_e32 vcc, s10, v18
	v_cmp_neq_f16_sdwa s[8:9], s5, v18 src0_sel:DWORD src1_sel:WORD_1
	s_or_b64 s[8:9], vcc, s[8:9]
	s_cbranch_execnz .LBB155_107
.LBB155_106:
	v_cmp_eq_f16_e32 vcc, s10, v18
	v_cmp_eq_f16_sdwa s[14:15], s5, v18 src0_sel:DWORD src1_sel:WORD_1
	s_and_b64 s[14:15], vcc, s[14:15]
	s_andn2_b64 s[8:9], s[8:9], exec
	s_and_b64 s[14:15], s[14:15], exec
	s_or_b64 s[8:9], s[8:9], s[14:15]
.LBB155_107:
	v_cndmask_b32_e64 v19, 0, 1, s[8:9]
.LBB155_108:
	s_or_b64 exec, exec, s[6:7]
	v_or_b32_e32 v18, 0x500, v0
	v_cmp_gt_i32_e32 vcc, s11, v18
                                        ; implicit-def: $vgpr18
	s_and_saveexec_b64 s[6:7], vcc
	s_cbranch_execz .LBB155_113
; %bb.109:
	s_and_b64 vcc, exec, s[2:3]
	s_cbranch_vccnz .LBB155_217
; %bb.110:
	v_cmp_neq_f16_e32 vcc, s10, v14
	v_cmp_neq_f16_sdwa s[8:9], s5, v14 src0_sel:DWORD src1_sel:WORD_1
	s_or_b64 s[8:9], vcc, s[8:9]
	s_cbranch_execnz .LBB155_112
.LBB155_111:
	v_cmp_eq_f16_e32 vcc, s10, v14
	v_cmp_eq_f16_sdwa s[14:15], s5, v14 src0_sel:DWORD src1_sel:WORD_1
	s_and_b64 s[14:15], vcc, s[14:15]
	s_andn2_b64 s[8:9], s[8:9], exec
	s_and_b64 s[14:15], s[14:15], exec
	s_or_b64 s[8:9], s[8:9], s[14:15]
.LBB155_112:
	v_cndmask_b32_e64 v18, 0, 1, s[8:9]
.LBB155_113:
	s_or_b64 exec, exec, s[6:7]
	v_or_b32_e32 v14, 0x600, v0
	v_cmp_gt_i32_e32 vcc, s11, v14
                                        ; implicit-def: $vgpr14
	s_and_saveexec_b64 s[6:7], vcc
	s_cbranch_execz .LBB155_118
; %bb.114:
	s_and_b64 vcc, exec, s[2:3]
	s_cbranch_vccnz .LBB155_218
; %bb.115:
	v_cmp_neq_f16_e32 vcc, s10, v13
	v_cmp_neq_f16_sdwa s[8:9], s5, v13 src0_sel:DWORD src1_sel:WORD_1
	s_or_b64 s[8:9], vcc, s[8:9]
	s_cbranch_execnz .LBB155_117
.LBB155_116:
	v_cmp_eq_f16_e32 vcc, s10, v13
	v_cmp_eq_f16_sdwa s[14:15], s5, v13 src0_sel:DWORD src1_sel:WORD_1
	s_and_b64 s[14:15], vcc, s[14:15]
	s_andn2_b64 s[8:9], s[8:9], exec
	s_and_b64 s[14:15], s[14:15], exec
	s_or_b64 s[8:9], s[8:9], s[14:15]
.LBB155_117:
	v_cndmask_b32_e64 v14, 0, 1, s[8:9]
.LBB155_118:
	s_or_b64 exec, exec, s[6:7]
	v_or_b32_e32 v13, 0x700, v0
	v_cmp_gt_i32_e32 vcc, s11, v13
                                        ; implicit-def: $vgpr13
	s_and_saveexec_b64 s[6:7], vcc
	s_cbranch_execz .LBB155_123
; %bb.119:
	s_and_b64 vcc, exec, s[2:3]
	s_cbranch_vccnz .LBB155_219
; %bb.120:
	v_cmp_neq_f16_e32 vcc, s10, v12
	v_cmp_neq_f16_sdwa s[8:9], s5, v12 src0_sel:DWORD src1_sel:WORD_1
	s_or_b64 s[8:9], vcc, s[8:9]
	s_cbranch_execnz .LBB155_122
.LBB155_121:
	v_cmp_eq_f16_e32 vcc, s10, v12
	v_cmp_eq_f16_sdwa s[14:15], s5, v12 src0_sel:DWORD src1_sel:WORD_1
	s_and_b64 s[14:15], vcc, s[14:15]
	s_andn2_b64 s[8:9], s[8:9], exec
	s_and_b64 s[14:15], s[14:15], exec
	s_or_b64 s[8:9], s[8:9], s[14:15]
.LBB155_122:
	v_cndmask_b32_e64 v13, 0, 1, s[8:9]
.LBB155_123:
	s_or_b64 exec, exec, s[6:7]
	v_or_b32_e32 v12, 0x800, v0
	v_cmp_gt_i32_e32 vcc, s11, v12
                                        ; implicit-def: $vgpr12
	s_and_saveexec_b64 s[6:7], vcc
	s_cbranch_execz .LBB155_128
; %bb.124:
	s_and_b64 vcc, exec, s[2:3]
	s_cbranch_vccnz .LBB155_220
; %bb.125:
	v_cmp_neq_f16_e32 vcc, s10, v11
	v_cmp_neq_f16_sdwa s[8:9], s5, v11 src0_sel:DWORD src1_sel:WORD_1
	s_or_b64 s[8:9], vcc, s[8:9]
	s_cbranch_execnz .LBB155_127
.LBB155_126:
	v_cmp_eq_f16_e32 vcc, s10, v11
	v_cmp_eq_f16_sdwa s[14:15], s5, v11 src0_sel:DWORD src1_sel:WORD_1
	s_and_b64 s[14:15], vcc, s[14:15]
	s_andn2_b64 s[8:9], s[8:9], exec
	s_and_b64 s[14:15], s[14:15], exec
	s_or_b64 s[8:9], s[8:9], s[14:15]
.LBB155_127:
	v_cndmask_b32_e64 v12, 0, 1, s[8:9]
.LBB155_128:
	s_or_b64 exec, exec, s[6:7]
	v_or_b32_e32 v11, 0x900, v0
	v_cmp_gt_i32_e32 vcc, s11, v11
                                        ; implicit-def: $vgpr11
	s_and_saveexec_b64 s[6:7], vcc
	s_cbranch_execz .LBB155_133
; %bb.129:
	s_and_b64 vcc, exec, s[2:3]
	s_cbranch_vccnz .LBB155_221
; %bb.130:
	v_cmp_neq_f16_e32 vcc, s10, v10
	v_cmp_neq_f16_sdwa s[8:9], s5, v10 src0_sel:DWORD src1_sel:WORD_1
	s_or_b64 s[8:9], vcc, s[8:9]
	s_cbranch_execnz .LBB155_132
.LBB155_131:
	v_cmp_eq_f16_e32 vcc, s10, v10
	v_cmp_eq_f16_sdwa s[14:15], s5, v10 src0_sel:DWORD src1_sel:WORD_1
	s_and_b64 s[14:15], vcc, s[14:15]
	s_andn2_b64 s[8:9], s[8:9], exec
	s_and_b64 s[14:15], s[14:15], exec
	s_or_b64 s[8:9], s[8:9], s[14:15]
.LBB155_132:
	v_cndmask_b32_e64 v11, 0, 1, s[8:9]
.LBB155_133:
	s_or_b64 exec, exec, s[6:7]
	v_or_b32_e32 v10, 0xa00, v0
	v_cmp_gt_i32_e32 vcc, s11, v10
                                        ; implicit-def: $vgpr10
	s_and_saveexec_b64 s[6:7], vcc
	s_cbranch_execz .LBB155_138
; %bb.134:
	s_and_b64 vcc, exec, s[2:3]
	s_cbranch_vccnz .LBB155_222
; %bb.135:
	v_cmp_neq_f16_e32 vcc, s10, v9
	v_cmp_neq_f16_sdwa s[8:9], s5, v9 src0_sel:DWORD src1_sel:WORD_1
	s_or_b64 s[8:9], vcc, s[8:9]
	s_cbranch_execnz .LBB155_137
.LBB155_136:
	v_cmp_eq_f16_e32 vcc, s10, v9
	v_cmp_eq_f16_sdwa s[14:15], s5, v9 src0_sel:DWORD src1_sel:WORD_1
	s_and_b64 s[14:15], vcc, s[14:15]
	s_andn2_b64 s[8:9], s[8:9], exec
	s_and_b64 s[14:15], s[14:15], exec
	s_or_b64 s[8:9], s[8:9], s[14:15]
.LBB155_137:
	v_cndmask_b32_e64 v10, 0, 1, s[8:9]
.LBB155_138:
	s_or_b64 exec, exec, s[6:7]
	v_or_b32_e32 v9, 0xb00, v0
	v_cmp_gt_i32_e32 vcc, s11, v9
                                        ; implicit-def: $vgpr9
	s_and_saveexec_b64 s[6:7], vcc
	s_cbranch_execz .LBB155_143
; %bb.139:
	s_and_b64 vcc, exec, s[2:3]
	s_cbranch_vccnz .LBB155_223
; %bb.140:
	v_cmp_neq_f16_e32 vcc, s10, v8
	v_cmp_neq_f16_sdwa s[8:9], s5, v8 src0_sel:DWORD src1_sel:WORD_1
	s_or_b64 s[8:9], vcc, s[8:9]
	s_cbranch_execnz .LBB155_142
.LBB155_141:
	v_cmp_eq_f16_e32 vcc, s10, v8
	v_cmp_eq_f16_sdwa s[14:15], s5, v8 src0_sel:DWORD src1_sel:WORD_1
	s_and_b64 s[14:15], vcc, s[14:15]
	s_andn2_b64 s[8:9], s[8:9], exec
	s_and_b64 s[14:15], s[14:15], exec
	s_or_b64 s[8:9], s[8:9], s[14:15]
.LBB155_142:
	v_cndmask_b32_e64 v9, 0, 1, s[8:9]
.LBB155_143:
	s_or_b64 exec, exec, s[6:7]
	v_or_b32_e32 v8, 0xc00, v0
	v_cmp_gt_i32_e32 vcc, s11, v8
                                        ; implicit-def: $vgpr8
	s_and_saveexec_b64 s[6:7], vcc
	s_cbranch_execz .LBB155_148
; %bb.144:
	s_and_b64 vcc, exec, s[2:3]
	s_cbranch_vccnz .LBB155_224
; %bb.145:
	v_cmp_neq_f16_e32 vcc, s10, v7
	v_cmp_neq_f16_sdwa s[8:9], s5, v7 src0_sel:DWORD src1_sel:WORD_1
	s_or_b64 s[8:9], vcc, s[8:9]
	s_cbranch_execnz .LBB155_147
.LBB155_146:
	v_cmp_eq_f16_e32 vcc, s10, v7
	v_cmp_eq_f16_sdwa s[14:15], s5, v7 src0_sel:DWORD src1_sel:WORD_1
	s_and_b64 s[14:15], vcc, s[14:15]
	s_andn2_b64 s[8:9], s[8:9], exec
	s_and_b64 s[14:15], s[14:15], exec
	s_or_b64 s[8:9], s[8:9], s[14:15]
.LBB155_147:
	v_cndmask_b32_e64 v8, 0, 1, s[8:9]
.LBB155_148:
	s_or_b64 exec, exec, s[6:7]
	v_or_b32_e32 v7, 0xd00, v0
	v_cmp_gt_i32_e32 vcc, s11, v7
                                        ; implicit-def: $vgpr7
	s_and_saveexec_b64 s[6:7], vcc
	s_cbranch_execz .LBB155_153
; %bb.149:
	s_and_b64 vcc, exec, s[2:3]
	s_cbranch_vccnz .LBB155_225
; %bb.150:
	v_cmp_neq_f16_e32 vcc, s10, v6
	v_cmp_neq_f16_sdwa s[8:9], s5, v6 src0_sel:DWORD src1_sel:WORD_1
	s_or_b64 s[8:9], vcc, s[8:9]
	s_cbranch_execnz .LBB155_152
.LBB155_151:
	v_cmp_eq_f16_e32 vcc, s10, v6
	v_cmp_eq_f16_sdwa s[14:15], s5, v6 src0_sel:DWORD src1_sel:WORD_1
	s_and_b64 s[14:15], vcc, s[14:15]
	s_andn2_b64 s[8:9], s[8:9], exec
	s_and_b64 s[14:15], s[14:15], exec
	s_or_b64 s[8:9], s[8:9], s[14:15]
.LBB155_152:
	v_cndmask_b32_e64 v7, 0, 1, s[8:9]
.LBB155_153:
	s_or_b64 exec, exec, s[6:7]
	v_or_b32_e32 v6, 0xe00, v0
	v_cmp_gt_i32_e32 vcc, s11, v6
                                        ; implicit-def: $vgpr6
	s_and_saveexec_b64 s[6:7], vcc
	s_cbranch_execz .LBB155_158
; %bb.154:
	s_and_b64 vcc, exec, s[2:3]
	s_cbranch_vccnz .LBB155_226
; %bb.155:
	v_cmp_neq_f16_e32 vcc, s10, v5
	v_cmp_neq_f16_sdwa s[8:9], s5, v5 src0_sel:DWORD src1_sel:WORD_1
	s_or_b64 s[8:9], vcc, s[8:9]
	s_cbranch_execnz .LBB155_157
.LBB155_156:
	v_cmp_eq_f16_e32 vcc, s10, v5
	v_cmp_eq_f16_sdwa s[14:15], s5, v5 src0_sel:DWORD src1_sel:WORD_1
	s_and_b64 s[14:15], vcc, s[14:15]
	s_andn2_b64 s[8:9], s[8:9], exec
	s_and_b64 s[14:15], s[14:15], exec
	s_or_b64 s[8:9], s[8:9], s[14:15]
.LBB155_157:
	v_cndmask_b32_e64 v6, 0, 1, s[8:9]
.LBB155_158:
	s_or_b64 exec, exec, s[6:7]
	v_or_b32_e32 v5, 0xf00, v0
	v_cmp_gt_i32_e32 vcc, s11, v5
                                        ; implicit-def: $vgpr5
	s_and_saveexec_b64 s[6:7], vcc
	s_cbranch_execz .LBB155_163
; %bb.159:
	s_and_b64 vcc, exec, s[2:3]
	s_cbranch_vccnz .LBB155_227
; %bb.160:
	v_cmp_neq_f16_e32 vcc, s10, v4
	v_cmp_neq_f16_sdwa s[2:3], s5, v4 src0_sel:DWORD src1_sel:WORD_1
	s_or_b64 s[2:3], vcc, s[2:3]
	s_cbranch_execnz .LBB155_162
.LBB155_161:
	v_cmp_eq_f16_e32 vcc, s10, v4
	v_cmp_eq_f16_sdwa s[8:9], s5, v4 src0_sel:DWORD src1_sel:WORD_1
	s_and_b64 s[8:9], vcc, s[8:9]
	s_andn2_b64 s[2:3], s[2:3], exec
	s_and_b64 s[8:9], s[8:9], exec
	s_or_b64 s[2:3], s[2:3], s[8:9]
.LBB155_162:
	v_cndmask_b32_e64 v5, 0, 1, s[2:3]
.LBB155_163:
	s_or_b64 exec, exec, s[6:7]
	s_and_saveexec_b64 s[2:3], s[0:1]
	s_xor_b64 s[0:1], exec, s[2:3]
	s_cbranch_execz .LBB155_165
; %bb.164:
	v_mov_b32_e32 v0, v16
	global_store_byte v1, v3, s[12:13]
.LBB155_165:
	s_or_b64 exec, exec, s[0:1]
	v_cmp_gt_i32_e32 vcc, s11, v0
	s_and_saveexec_b64 s[0:1], vcc
	s_cbranch_execnz .LBB155_181
; %bb.166:
	s_or_b64 exec, exec, s[0:1]
	v_cmp_gt_i32_e32 vcc, s11, v0
	s_and_saveexec_b64 s[0:1], vcc
	s_cbranch_execnz .LBB155_182
.LBB155_167:
	s_or_b64 exec, exec, s[0:1]
	v_cmp_gt_i32_e32 vcc, s11, v0
	s_and_saveexec_b64 s[0:1], vcc
	s_cbranch_execnz .LBB155_183
.LBB155_168:
	s_or_b64 exec, exec, s[0:1]
	v_cmp_gt_i32_e32 vcc, s11, v0
	s_and_saveexec_b64 s[0:1], vcc
	s_cbranch_execnz .LBB155_184
.LBB155_169:
	s_or_b64 exec, exec, s[0:1]
	v_cmp_gt_i32_e32 vcc, s11, v0
	s_and_saveexec_b64 s[0:1], vcc
	s_cbranch_execnz .LBB155_185
.LBB155_170:
	s_or_b64 exec, exec, s[0:1]
	v_cmp_gt_i32_e32 vcc, s11, v0
	s_and_saveexec_b64 s[0:1], vcc
	s_cbranch_execnz .LBB155_186
.LBB155_171:
	s_or_b64 exec, exec, s[0:1]
	v_cmp_gt_i32_e32 vcc, s11, v0
	s_and_saveexec_b64 s[0:1], vcc
	s_cbranch_execnz .LBB155_187
.LBB155_172:
	s_or_b64 exec, exec, s[0:1]
	v_cmp_gt_i32_e32 vcc, s11, v0
	s_and_saveexec_b64 s[0:1], vcc
	s_cbranch_execnz .LBB155_188
.LBB155_173:
	s_or_b64 exec, exec, s[0:1]
	v_cmp_gt_i32_e32 vcc, s11, v0
	s_and_saveexec_b64 s[0:1], vcc
	s_cbranch_execnz .LBB155_189
.LBB155_174:
	s_or_b64 exec, exec, s[0:1]
	v_cmp_gt_i32_e32 vcc, s11, v0
	s_and_saveexec_b64 s[0:1], vcc
	s_cbranch_execnz .LBB155_190
.LBB155_175:
	s_or_b64 exec, exec, s[0:1]
	v_cmp_gt_i32_e32 vcc, s11, v0
	s_and_saveexec_b64 s[0:1], vcc
	s_cbranch_execnz .LBB155_191
.LBB155_176:
	s_or_b64 exec, exec, s[0:1]
	v_cmp_gt_i32_e32 vcc, s11, v0
	s_and_saveexec_b64 s[0:1], vcc
	s_cbranch_execnz .LBB155_192
.LBB155_177:
	s_or_b64 exec, exec, s[0:1]
	v_cmp_gt_i32_e32 vcc, s11, v0
	s_and_saveexec_b64 s[0:1], vcc
	s_cbranch_execnz .LBB155_193
.LBB155_178:
	s_or_b64 exec, exec, s[0:1]
	v_cmp_gt_i32_e32 vcc, s11, v0
	s_and_saveexec_b64 s[0:1], vcc
	s_cbranch_execnz .LBB155_194
.LBB155_179:
	s_or_b64 exec, exec, s[0:1]
	v_cmp_gt_i32_e32 vcc, s11, v0
	s_and_saveexec_b64 s[0:1], vcc
	s_cbranch_execz .LBB155_195
.LBB155_180:
	v_add_u32_e32 v0, s4, v0
	global_store_byte v0, v5, s[12:13]
	s_endpgm
.LBB155_181:
	v_add_u32_e32 v1, s4, v0
	v_add_u32_e32 v0, 0x100, v0
	global_store_byte v1, v17, s[12:13]
	s_or_b64 exec, exec, s[0:1]
	v_cmp_gt_i32_e32 vcc, s11, v0
	s_and_saveexec_b64 s[0:1], vcc
	s_cbranch_execz .LBB155_167
.LBB155_182:
	v_add_u32_e32 v1, s4, v0
	v_add_u32_e32 v0, 0x100, v0
	global_store_byte v1, v2, s[12:13]
	s_or_b64 exec, exec, s[0:1]
	v_cmp_gt_i32_e32 vcc, s11, v0
	s_and_saveexec_b64 s[0:1], vcc
	s_cbranch_execz .LBB155_168
.LBB155_183:
	v_add_u32_e32 v1, s4, v0
	v_add_u32_e32 v0, 0x100, v0
	global_store_byte v1, v15, s[12:13]
	s_or_b64 exec, exec, s[0:1]
	v_cmp_gt_i32_e32 vcc, s11, v0
	s_and_saveexec_b64 s[0:1], vcc
	s_cbranch_execz .LBB155_169
.LBB155_184:
	v_add_u32_e32 v1, s4, v0
	v_add_u32_e32 v0, 0x100, v0
	global_store_byte v1, v19, s[12:13]
	s_or_b64 exec, exec, s[0:1]
	v_cmp_gt_i32_e32 vcc, s11, v0
	s_and_saveexec_b64 s[0:1], vcc
	s_cbranch_execz .LBB155_170
.LBB155_185:
	v_add_u32_e32 v1, s4, v0
	v_add_u32_e32 v0, 0x100, v0
	global_store_byte v1, v18, s[12:13]
	s_or_b64 exec, exec, s[0:1]
	v_cmp_gt_i32_e32 vcc, s11, v0
	s_and_saveexec_b64 s[0:1], vcc
	s_cbranch_execz .LBB155_171
.LBB155_186:
	v_add_u32_e32 v1, s4, v0
	v_add_u32_e32 v0, 0x100, v0
	global_store_byte v1, v14, s[12:13]
	s_or_b64 exec, exec, s[0:1]
	v_cmp_gt_i32_e32 vcc, s11, v0
	s_and_saveexec_b64 s[0:1], vcc
	s_cbranch_execz .LBB155_172
.LBB155_187:
	v_add_u32_e32 v1, s4, v0
	v_add_u32_e32 v0, 0x100, v0
	global_store_byte v1, v13, s[12:13]
	s_or_b64 exec, exec, s[0:1]
	v_cmp_gt_i32_e32 vcc, s11, v0
	s_and_saveexec_b64 s[0:1], vcc
	s_cbranch_execz .LBB155_173
.LBB155_188:
	v_add_u32_e32 v1, s4, v0
	v_add_u32_e32 v0, 0x100, v0
	global_store_byte v1, v12, s[12:13]
	s_or_b64 exec, exec, s[0:1]
	v_cmp_gt_i32_e32 vcc, s11, v0
	s_and_saveexec_b64 s[0:1], vcc
	s_cbranch_execz .LBB155_174
.LBB155_189:
	v_add_u32_e32 v1, s4, v0
	v_add_u32_e32 v0, 0x100, v0
	global_store_byte v1, v11, s[12:13]
	s_or_b64 exec, exec, s[0:1]
	v_cmp_gt_i32_e32 vcc, s11, v0
	s_and_saveexec_b64 s[0:1], vcc
	s_cbranch_execz .LBB155_175
.LBB155_190:
	v_add_u32_e32 v1, s4, v0
	v_add_u32_e32 v0, 0x100, v0
	global_store_byte v1, v10, s[12:13]
	s_or_b64 exec, exec, s[0:1]
	v_cmp_gt_i32_e32 vcc, s11, v0
	s_and_saveexec_b64 s[0:1], vcc
	s_cbranch_execz .LBB155_176
.LBB155_191:
	v_add_u32_e32 v1, s4, v0
	v_add_u32_e32 v0, 0x100, v0
	global_store_byte v1, v9, s[12:13]
	s_or_b64 exec, exec, s[0:1]
	v_cmp_gt_i32_e32 vcc, s11, v0
	s_and_saveexec_b64 s[0:1], vcc
	s_cbranch_execz .LBB155_177
.LBB155_192:
	v_add_u32_e32 v1, s4, v0
	v_add_u32_e32 v0, 0x100, v0
	global_store_byte v1, v8, s[12:13]
	s_or_b64 exec, exec, s[0:1]
	v_cmp_gt_i32_e32 vcc, s11, v0
	s_and_saveexec_b64 s[0:1], vcc
	s_cbranch_execz .LBB155_178
.LBB155_193:
	v_add_u32_e32 v1, s4, v0
	v_add_u32_e32 v0, 0x100, v0
	global_store_byte v1, v7, s[12:13]
	s_or_b64 exec, exec, s[0:1]
	v_cmp_gt_i32_e32 vcc, s11, v0
	s_and_saveexec_b64 s[0:1], vcc
	s_cbranch_execz .LBB155_179
.LBB155_194:
	v_add_u32_e32 v1, s4, v0
	v_add_u32_e32 v0, 0x100, v0
	global_store_byte v1, v6, s[12:13]
	s_or_b64 exec, exec, s[0:1]
	v_cmp_gt_i32_e32 vcc, s11, v0
	s_and_saveexec_b64 s[0:1], vcc
	s_cbranch_execnz .LBB155_180
.LBB155_195:
	s_endpgm
.LBB155_196:
                                        ; implicit-def: $sgpr2_sgpr3
	s_branch .LBB155_3
.LBB155_197:
                                        ; implicit-def: $sgpr6_sgpr7
	s_branch .LBB155_6
.LBB155_198:
                                        ; implicit-def: $sgpr16_sgpr17
	s_branch .LBB155_9
.LBB155_199:
                                        ; implicit-def: $sgpr18_sgpr19
	s_branch .LBB155_12
.LBB155_200:
                                        ; implicit-def: $sgpr20_sgpr21
	s_branch .LBB155_15
.LBB155_201:
                                        ; implicit-def: $sgpr22_sgpr23
	s_branch .LBB155_18
.LBB155_202:
                                        ; implicit-def: $sgpr24_sgpr25
	s_branch .LBB155_21
.LBB155_203:
                                        ; implicit-def: $sgpr26_sgpr27
	s_branch .LBB155_24
.LBB155_204:
                                        ; implicit-def: $sgpr28_sgpr29
	s_branch .LBB155_27
.LBB155_205:
                                        ; implicit-def: $sgpr30_sgpr31
	s_branch .LBB155_30
.LBB155_206:
                                        ; implicit-def: $sgpr34_sgpr35
	s_branch .LBB155_33
.LBB155_207:
                                        ; implicit-def: $sgpr36_sgpr37
	s_branch .LBB155_36
.LBB155_208:
                                        ; implicit-def: $sgpr38_sgpr39
	s_branch .LBB155_39
.LBB155_209:
                                        ; implicit-def: $sgpr40_sgpr41
	s_branch .LBB155_42
.LBB155_210:
                                        ; implicit-def: $sgpr42_sgpr43
	s_branch .LBB155_45
.LBB155_211:
                                        ; implicit-def: $sgpr0_sgpr1
	s_branch .LBB155_48
.LBB155_212:
                                        ; implicit-def: $sgpr8_sgpr9
	s_branch .LBB155_86
.LBB155_213:
                                        ; implicit-def: $sgpr8_sgpr9
	s_branch .LBB155_91
.LBB155_214:
                                        ; implicit-def: $sgpr8_sgpr9
	s_branch .LBB155_96
.LBB155_215:
                                        ; implicit-def: $sgpr8_sgpr9
	s_branch .LBB155_101
.LBB155_216:
                                        ; implicit-def: $sgpr8_sgpr9
	s_branch .LBB155_106
.LBB155_217:
                                        ; implicit-def: $sgpr8_sgpr9
	s_branch .LBB155_111
.LBB155_218:
                                        ; implicit-def: $sgpr8_sgpr9
	s_branch .LBB155_116
.LBB155_219:
                                        ; implicit-def: $sgpr8_sgpr9
	s_branch .LBB155_121
.LBB155_220:
                                        ; implicit-def: $sgpr8_sgpr9
	s_branch .LBB155_126
.LBB155_221:
                                        ; implicit-def: $sgpr8_sgpr9
	s_branch .LBB155_131
.LBB155_222:
                                        ; implicit-def: $sgpr8_sgpr9
	s_branch .LBB155_136
.LBB155_223:
                                        ; implicit-def: $sgpr8_sgpr9
	s_branch .LBB155_141
.LBB155_224:
                                        ; implicit-def: $sgpr8_sgpr9
	s_branch .LBB155_146
.LBB155_225:
                                        ; implicit-def: $sgpr8_sgpr9
	s_branch .LBB155_151
.LBB155_226:
                                        ; implicit-def: $sgpr8_sgpr9
	s_branch .LBB155_156
.LBB155_227:
                                        ; implicit-def: $sgpr2_sgpr3
	s_branch .LBB155_161
	.section	.rodata,"a",@progbits
	.p2align	6, 0x0
	.amdhsa_kernel _ZN2at6native29vectorized_elementwise_kernelILi2ENS0_13AUnaryFunctorIN3c107complexINS3_4HalfEEES6_bNS0_12_GLOBAL__N_116CompareEqFunctorIS6_EEEESt5arrayIPcLm2EEEEviT0_T1_
		.amdhsa_group_segment_fixed_size 0
		.amdhsa_private_segment_fixed_size 0
		.amdhsa_kernarg_size 32
		.amdhsa_user_sgpr_count 6
		.amdhsa_user_sgpr_private_segment_buffer 1
		.amdhsa_user_sgpr_dispatch_ptr 0
		.amdhsa_user_sgpr_queue_ptr 0
		.amdhsa_user_sgpr_kernarg_segment_ptr 1
		.amdhsa_user_sgpr_dispatch_id 0
		.amdhsa_user_sgpr_flat_scratch_init 0
		.amdhsa_user_sgpr_private_segment_size 0
		.amdhsa_uses_dynamic_stack 0
		.amdhsa_system_sgpr_private_segment_wavefront_offset 0
		.amdhsa_system_sgpr_workgroup_id_x 1
		.amdhsa_system_sgpr_workgroup_id_y 0
		.amdhsa_system_sgpr_workgroup_id_z 0
		.amdhsa_system_sgpr_workgroup_info 0
		.amdhsa_system_vgpr_workitem_id 0
		.amdhsa_next_free_vgpr 21
		.amdhsa_next_free_sgpr 46
		.amdhsa_reserve_vcc 1
		.amdhsa_reserve_flat_scratch 0
		.amdhsa_float_round_mode_32 0
		.amdhsa_float_round_mode_16_64 0
		.amdhsa_float_denorm_mode_32 3
		.amdhsa_float_denorm_mode_16_64 3
		.amdhsa_dx10_clamp 1
		.amdhsa_ieee_mode 1
		.amdhsa_fp16_overflow 0
		.amdhsa_exception_fp_ieee_invalid_op 0
		.amdhsa_exception_fp_denorm_src 0
		.amdhsa_exception_fp_ieee_div_zero 0
		.amdhsa_exception_fp_ieee_overflow 0
		.amdhsa_exception_fp_ieee_underflow 0
		.amdhsa_exception_fp_ieee_inexact 0
		.amdhsa_exception_int_div_zero 0
	.end_amdhsa_kernel
	.section	.text._ZN2at6native29vectorized_elementwise_kernelILi2ENS0_13AUnaryFunctorIN3c107complexINS3_4HalfEEES6_bNS0_12_GLOBAL__N_116CompareEqFunctorIS6_EEEESt5arrayIPcLm2EEEEviT0_T1_,"axG",@progbits,_ZN2at6native29vectorized_elementwise_kernelILi2ENS0_13AUnaryFunctorIN3c107complexINS3_4HalfEEES6_bNS0_12_GLOBAL__N_116CompareEqFunctorIS6_EEEESt5arrayIPcLm2EEEEviT0_T1_,comdat
.Lfunc_end155:
	.size	_ZN2at6native29vectorized_elementwise_kernelILi2ENS0_13AUnaryFunctorIN3c107complexINS3_4HalfEEES6_bNS0_12_GLOBAL__N_116CompareEqFunctorIS6_EEEESt5arrayIPcLm2EEEEviT0_T1_, .Lfunc_end155-_ZN2at6native29vectorized_elementwise_kernelILi2ENS0_13AUnaryFunctorIN3c107complexINS3_4HalfEEES6_bNS0_12_GLOBAL__N_116CompareEqFunctorIS6_EEEESt5arrayIPcLm2EEEEviT0_T1_
                                        ; -- End function
	.set _ZN2at6native29vectorized_elementwise_kernelILi2ENS0_13AUnaryFunctorIN3c107complexINS3_4HalfEEES6_bNS0_12_GLOBAL__N_116CompareEqFunctorIS6_EEEESt5arrayIPcLm2EEEEviT0_T1_.num_vgpr, 21
	.set _ZN2at6native29vectorized_elementwise_kernelILi2ENS0_13AUnaryFunctorIN3c107complexINS3_4HalfEEES6_bNS0_12_GLOBAL__N_116CompareEqFunctorIS6_EEEESt5arrayIPcLm2EEEEviT0_T1_.num_agpr, 0
	.set _ZN2at6native29vectorized_elementwise_kernelILi2ENS0_13AUnaryFunctorIN3c107complexINS3_4HalfEEES6_bNS0_12_GLOBAL__N_116CompareEqFunctorIS6_EEEESt5arrayIPcLm2EEEEviT0_T1_.numbered_sgpr, 46
	.set _ZN2at6native29vectorized_elementwise_kernelILi2ENS0_13AUnaryFunctorIN3c107complexINS3_4HalfEEES6_bNS0_12_GLOBAL__N_116CompareEqFunctorIS6_EEEESt5arrayIPcLm2EEEEviT0_T1_.num_named_barrier, 0
	.set _ZN2at6native29vectorized_elementwise_kernelILi2ENS0_13AUnaryFunctorIN3c107complexINS3_4HalfEEES6_bNS0_12_GLOBAL__N_116CompareEqFunctorIS6_EEEESt5arrayIPcLm2EEEEviT0_T1_.private_seg_size, 0
	.set _ZN2at6native29vectorized_elementwise_kernelILi2ENS0_13AUnaryFunctorIN3c107complexINS3_4HalfEEES6_bNS0_12_GLOBAL__N_116CompareEqFunctorIS6_EEEESt5arrayIPcLm2EEEEviT0_T1_.uses_vcc, 1
	.set _ZN2at6native29vectorized_elementwise_kernelILi2ENS0_13AUnaryFunctorIN3c107complexINS3_4HalfEEES6_bNS0_12_GLOBAL__N_116CompareEqFunctorIS6_EEEESt5arrayIPcLm2EEEEviT0_T1_.uses_flat_scratch, 0
	.set _ZN2at6native29vectorized_elementwise_kernelILi2ENS0_13AUnaryFunctorIN3c107complexINS3_4HalfEEES6_bNS0_12_GLOBAL__N_116CompareEqFunctorIS6_EEEESt5arrayIPcLm2EEEEviT0_T1_.has_dyn_sized_stack, 0
	.set _ZN2at6native29vectorized_elementwise_kernelILi2ENS0_13AUnaryFunctorIN3c107complexINS3_4HalfEEES6_bNS0_12_GLOBAL__N_116CompareEqFunctorIS6_EEEESt5arrayIPcLm2EEEEviT0_T1_.has_recursion, 0
	.set _ZN2at6native29vectorized_elementwise_kernelILi2ENS0_13AUnaryFunctorIN3c107complexINS3_4HalfEEES6_bNS0_12_GLOBAL__N_116CompareEqFunctorIS6_EEEESt5arrayIPcLm2EEEEviT0_T1_.has_indirect_call, 0
	.section	.AMDGPU.csdata,"",@progbits
; Kernel info:
; codeLenInByte = 5228
; TotalNumSgprs: 50
; NumVgprs: 21
; ScratchSize: 0
; MemoryBound: 0
; FloatMode: 240
; IeeeMode: 1
; LDSByteSize: 0 bytes/workgroup (compile time only)
; SGPRBlocks: 6
; VGPRBlocks: 5
; NumSGPRsForWavesPerEU: 50
; NumVGPRsForWavesPerEU: 21
; Occupancy: 10
; WaveLimiterHint : 1
; COMPUTE_PGM_RSRC2:SCRATCH_EN: 0
; COMPUTE_PGM_RSRC2:USER_SGPR: 6
; COMPUTE_PGM_RSRC2:TRAP_HANDLER: 0
; COMPUTE_PGM_RSRC2:TGID_X_EN: 1
; COMPUTE_PGM_RSRC2:TGID_Y_EN: 0
; COMPUTE_PGM_RSRC2:TGID_Z_EN: 0
; COMPUTE_PGM_RSRC2:TIDIG_COMP_CNT: 0
	.section	.text._ZN2at6native27unrolled_elementwise_kernelINS0_13AUnaryFunctorIN3c107complexINS3_4HalfEEES6_bNS0_12_GLOBAL__N_116CompareEqFunctorIS6_EEEESt5arrayIPcLm2EELi4E23TrivialOffsetCalculatorILi1EjESF_NS0_6memory15LoadWithoutCastENSG_16StoreWithoutCastEEEviT_T0_T2_T3_T4_T5_,"axG",@progbits,_ZN2at6native27unrolled_elementwise_kernelINS0_13AUnaryFunctorIN3c107complexINS3_4HalfEEES6_bNS0_12_GLOBAL__N_116CompareEqFunctorIS6_EEEESt5arrayIPcLm2EELi4E23TrivialOffsetCalculatorILi1EjESF_NS0_6memory15LoadWithoutCastENSG_16StoreWithoutCastEEEviT_T0_T2_T3_T4_T5_,comdat
	.globl	_ZN2at6native27unrolled_elementwise_kernelINS0_13AUnaryFunctorIN3c107complexINS3_4HalfEEES6_bNS0_12_GLOBAL__N_116CompareEqFunctorIS6_EEEESt5arrayIPcLm2EELi4E23TrivialOffsetCalculatorILi1EjESF_NS0_6memory15LoadWithoutCastENSG_16StoreWithoutCastEEEviT_T0_T2_T3_T4_T5_ ; -- Begin function _ZN2at6native27unrolled_elementwise_kernelINS0_13AUnaryFunctorIN3c107complexINS3_4HalfEEES6_bNS0_12_GLOBAL__N_116CompareEqFunctorIS6_EEEESt5arrayIPcLm2EELi4E23TrivialOffsetCalculatorILi1EjESF_NS0_6memory15LoadWithoutCastENSG_16StoreWithoutCastEEEviT_T0_T2_T3_T4_T5_
	.p2align	8
	.type	_ZN2at6native27unrolled_elementwise_kernelINS0_13AUnaryFunctorIN3c107complexINS3_4HalfEEES6_bNS0_12_GLOBAL__N_116CompareEqFunctorIS6_EEEESt5arrayIPcLm2EELi4E23TrivialOffsetCalculatorILi1EjESF_NS0_6memory15LoadWithoutCastENSG_16StoreWithoutCastEEEviT_T0_T2_T3_T4_T5_,@function
_ZN2at6native27unrolled_elementwise_kernelINS0_13AUnaryFunctorIN3c107complexINS3_4HalfEEES6_bNS0_12_GLOBAL__N_116CompareEqFunctorIS6_EEEESt5arrayIPcLm2EELi4E23TrivialOffsetCalculatorILi1EjESF_NS0_6memory15LoadWithoutCastENSG_16StoreWithoutCastEEEviT_T0_T2_T3_T4_T5_: ; @_ZN2at6native27unrolled_elementwise_kernelINS0_13AUnaryFunctorIN3c107complexINS3_4HalfEEES6_bNS0_12_GLOBAL__N_116CompareEqFunctorIS6_EEEESt5arrayIPcLm2EELi4E23TrivialOffsetCalculatorILi1EjESF_NS0_6memory15LoadWithoutCastENSG_16StoreWithoutCastEEEviT_T0_T2_T3_T4_T5_
; %bb.0:
	s_load_dwordx8 s[8:15], s[4:5], 0x0
	s_waitcnt lgkmcnt(0)
	s_lshl_b32 s11, s6, 10
	v_mov_b32_e32 v5, 0
	v_or_b32_e32 v1, s11, v0
	v_mov_b32_e32 v4, 0
	s_sub_i32 s18, s8, s11
	v_cmp_gt_i32_e64 s[0:1], s18, v0
	v_mov_b32_e32 v3, 0
	v_mov_b32_e32 v2, 0
	v_mov_b32_e32 v6, 0
	s_and_saveexec_b64 s[2:3], s[0:1]
	s_cbranch_execz .LBB156_8
; %bb.1:
	v_mov_b32_e32 v2, 0
	v_lshlrev_b64 v[3:4], 2, v[1:2]
	v_mov_b32_e32 v6, s15
	v_add_co_u32_e32 v3, vcc, s14, v3
	v_addc_co_u32_e32 v4, vcc, v6, v4, vcc
	global_load_dword v6, v[3:4], off
	v_or_b32_e32 v7, 0x100, v0
	v_cmp_gt_u32_e32 vcc, s18, v7
	v_mov_b32_e32 v3, v2
	v_mov_b32_e32 v4, v2
	s_and_saveexec_b64 s[4:5], vcc
	s_cbranch_execz .LBB156_7
; %bb.2:
	v_add_u32_e32 v2, s11, v7
	v_mov_b32_e32 v3, 0
	v_lshlrev_b64 v[7:8], 2, v[2:3]
	v_mov_b32_e32 v2, s15
	v_add_co_u32_e32 v7, vcc, s14, v7
	v_addc_co_u32_e32 v8, vcc, v2, v8, vcc
	global_load_dword v2, v[7:8], off
	v_or_b32_e32 v7, 0x200, v0
	v_cmp_gt_u32_e32 vcc, s18, v7
	v_mov_b32_e32 v4, v3
	s_and_saveexec_b64 s[6:7], vcc
	s_cbranch_execz .LBB156_6
; %bb.3:
	v_add_u32_e32 v3, s11, v7
	v_mov_b32_e32 v4, 0
	v_lshlrev_b64 v[7:8], 2, v[3:4]
	v_mov_b32_e32 v3, s15
	v_add_co_u32_e32 v7, vcc, s14, v7
	v_addc_co_u32_e32 v8, vcc, v3, v8, vcc
	global_load_dword v3, v[7:8], off
	v_or_b32_e32 v7, 0x300, v0
	v_cmp_gt_u32_e32 vcc, s18, v7
	s_and_saveexec_b64 s[16:17], vcc
	s_cbranch_execz .LBB156_5
; %bb.4:
	v_add_u32_e32 v7, s11, v7
	v_mov_b32_e32 v8, 0
	v_lshlrev_b64 v[7:8], 2, v[7:8]
	v_mov_b32_e32 v4, s15
	v_add_co_u32_e32 v7, vcc, s14, v7
	v_addc_co_u32_e32 v8, vcc, v4, v8, vcc
	global_load_dword v4, v[7:8], off
.LBB156_5:
	s_or_b64 exec, exec, s[16:17]
.LBB156_6:
	s_or_b64 exec, exec, s[6:7]
.LBB156_7:
	s_or_b64 exec, exec, s[4:5]
.LBB156_8:
	s_or_b64 exec, exec, s[2:3]
	s_lshr_b32 s14, s10, 16
	s_cmp_lg_u32 s9, 0
	s_cselect_b64 s[2:3], -1, 0
	s_and_saveexec_b64 s[4:5], s[0:1]
	s_cbranch_execz .LBB156_13
; %bb.9:
	s_and_b64 vcc, exec, s[2:3]
	s_cbranch_vccz .LBB156_37
; %bb.10:
	s_waitcnt vmcnt(0)
	v_cmp_neq_f16_e32 vcc, s10, v6
	v_cmp_neq_f16_sdwa s[6:7], s14, v6 src0_sel:DWORD src1_sel:WORD_1
	s_or_b64 s[6:7], vcc, s[6:7]
	s_cbranch_execnz .LBB156_12
.LBB156_11:
	s_waitcnt vmcnt(0)
	v_cmp_eq_f16_e32 vcc, s10, v6
	v_cmp_eq_f16_sdwa s[8:9], s14, v6 src0_sel:DWORD src1_sel:WORD_1
	s_and_b64 s[8:9], vcc, s[8:9]
	s_andn2_b64 s[6:7], s[6:7], exec
	s_and_b64 s[8:9], s[8:9], exec
	s_or_b64 s[6:7], s[6:7], s[8:9]
.LBB156_12:
	v_cndmask_b32_e64 v5, 0, 1, s[6:7]
.LBB156_13:
	s_or_b64 exec, exec, s[4:5]
	s_waitcnt vmcnt(0)
	v_or_b32_e32 v6, 0x100, v0
	v_cndmask_b32_e64 v7, 0, 1, s[2:3]
	v_cmp_gt_i32_e32 vcc, s18, v6
	v_cmp_ne_u32_e64 s[2:3], 1, v7
	s_and_saveexec_b64 s[4:5], vcc
	s_cbranch_execz .LBB156_18
; %bb.14:
	s_and_b64 vcc, exec, s[2:3]
	s_cbranch_vccnz .LBB156_38
; %bb.15:
	v_cmp_neq_f16_e32 vcc, s10, v2
	v_cmp_neq_f16_sdwa s[6:7], s14, v2 src0_sel:DWORD src1_sel:WORD_1
	s_or_b64 s[6:7], vcc, s[6:7]
	s_cbranch_execnz .LBB156_17
.LBB156_16:
	v_cmp_eq_f16_e32 vcc, s10, v2
	v_cmp_eq_f16_sdwa s[8:9], s14, v2 src0_sel:DWORD src1_sel:WORD_1
	s_and_b64 s[8:9], vcc, s[8:9]
	s_andn2_b64 s[6:7], s[6:7], exec
	s_and_b64 s[8:9], s[8:9], exec
	s_or_b64 s[6:7], s[6:7], s[8:9]
.LBB156_17:
	v_cndmask_b32_e64 v2, 0, 1, s[6:7]
	v_lshlrev_b16_e32 v2, 8, v2
	v_or_b32_e32 v2, v5, v2
	v_and_b32_e32 v5, 0xffff, v2
.LBB156_18:
	s_or_b64 exec, exec, s[4:5]
	v_or_b32_e32 v2, 0x200, v0
	v_cmp_gt_i32_e32 vcc, s18, v2
	s_and_saveexec_b64 s[4:5], vcc
	s_cbranch_execz .LBB156_23
; %bb.19:
	s_and_b64 vcc, exec, s[2:3]
	s_cbranch_vccnz .LBB156_39
; %bb.20:
	v_cmp_neq_f16_e32 vcc, s10, v3
	v_cmp_neq_f16_sdwa s[6:7], s14, v3 src0_sel:DWORD src1_sel:WORD_1
	s_or_b64 s[6:7], vcc, s[6:7]
	s_cbranch_execnz .LBB156_22
.LBB156_21:
	v_cmp_eq_f16_e32 vcc, s10, v3
	v_cmp_eq_f16_sdwa s[8:9], s14, v3 src0_sel:DWORD src1_sel:WORD_1
	s_and_b64 s[8:9], vcc, s[8:9]
	s_andn2_b64 s[6:7], s[6:7], exec
	s_and_b64 s[8:9], s[8:9], exec
	s_or_b64 s[6:7], s[6:7], s[8:9]
.LBB156_22:
	v_cndmask_b32_e64 v2, 0, 1, s[6:7]
	v_lshl_or_b32 v5, v2, 16, v5
.LBB156_23:
	s_or_b64 exec, exec, s[4:5]
	v_or_b32_e32 v2, 0x300, v0
	v_cmp_gt_i32_e32 vcc, s18, v2
	s_and_saveexec_b64 s[4:5], vcc
	s_cbranch_execz .LBB156_28
; %bb.24:
	s_and_b64 vcc, exec, s[2:3]
	s_cbranch_vccnz .LBB156_40
; %bb.25:
	v_cmp_neq_f16_e32 vcc, s10, v4
	v_cmp_neq_f16_sdwa s[2:3], s14, v4 src0_sel:DWORD src1_sel:WORD_1
	s_or_b64 s[2:3], vcc, s[2:3]
	s_cbranch_execnz .LBB156_27
.LBB156_26:
	v_cmp_eq_f16_e32 vcc, s10, v4
	v_cmp_eq_f16_sdwa s[6:7], s14, v4 src0_sel:DWORD src1_sel:WORD_1
	s_and_b64 s[6:7], vcc, s[6:7]
	s_andn2_b64 s[2:3], s[2:3], exec
	s_and_b64 s[6:7], s[6:7], exec
	s_or_b64 s[2:3], s[2:3], s[6:7]
.LBB156_27:
	v_cndmask_b32_e64 v2, 0, 1, s[2:3]
	v_lshlrev_b16_e32 v2, 8, v2
	v_or_b32_sdwa v2, v5, v2 dst_sel:WORD_1 dst_unused:UNUSED_PAD src0_sel:WORD_1 src1_sel:DWORD
	s_mov_b32 s2, 0xffff
	v_and_or_b32 v5, v5, s2, v2
.LBB156_28:
	s_or_b64 exec, exec, s[4:5]
	s_and_saveexec_b64 s[2:3], s[0:1]
	s_xor_b64 s[0:1], exec, s[2:3]
	s_cbranch_execz .LBB156_30
; %bb.29:
	v_mov_b32_e32 v0, v6
	global_store_byte v1, v5, s[12:13]
.LBB156_30:
	s_or_b64 exec, exec, s[0:1]
	v_cmp_gt_i32_e32 vcc, s18, v0
	s_and_saveexec_b64 s[0:1], vcc
	s_cbranch_execnz .LBB156_34
; %bb.31:
	s_or_b64 exec, exec, s[0:1]
	v_cmp_gt_i32_e32 vcc, s18, v0
	s_and_saveexec_b64 s[0:1], vcc
	s_cbranch_execnz .LBB156_35
.LBB156_32:
	s_or_b64 exec, exec, s[0:1]
	v_cmp_gt_i32_e32 vcc, s18, v0
	s_and_saveexec_b64 s[0:1], vcc
	s_cbranch_execnz .LBB156_36
.LBB156_33:
	s_endpgm
.LBB156_34:
	v_add_u32_e32 v1, 0x100, v0
	v_add_u32_e32 v0, s11, v0
	v_lshrrev_b32_e32 v2, 8, v5
	global_store_byte v0, v2, s[12:13]
	v_mov_b32_e32 v0, v1
	s_or_b64 exec, exec, s[0:1]
	v_cmp_gt_i32_e32 vcc, s18, v0
	s_and_saveexec_b64 s[0:1], vcc
	s_cbranch_execz .LBB156_32
.LBB156_35:
	v_add_u32_e32 v1, 0x100, v0
	v_add_u32_e32 v0, s11, v0
	global_store_byte_d16_hi v0, v5, s[12:13]
	v_mov_b32_e32 v0, v1
	s_or_b64 exec, exec, s[0:1]
	v_cmp_gt_i32_e32 vcc, s18, v0
	s_and_saveexec_b64 s[0:1], vcc
	s_cbranch_execz .LBB156_33
.LBB156_36:
	v_add_u32_e32 v0, s11, v0
	v_lshrrev_b32_e32 v1, 24, v5
	global_store_byte v0, v1, s[12:13]
	s_endpgm
.LBB156_37:
                                        ; implicit-def: $sgpr6_sgpr7
	s_branch .LBB156_11
.LBB156_38:
                                        ; implicit-def: $sgpr6_sgpr7
	s_branch .LBB156_16
.LBB156_39:
                                        ; implicit-def: $sgpr6_sgpr7
	s_branch .LBB156_21
.LBB156_40:
                                        ; implicit-def: $sgpr2_sgpr3
	s_branch .LBB156_26
	.section	.rodata,"a",@progbits
	.p2align	6, 0x0
	.amdhsa_kernel _ZN2at6native27unrolled_elementwise_kernelINS0_13AUnaryFunctorIN3c107complexINS3_4HalfEEES6_bNS0_12_GLOBAL__N_116CompareEqFunctorIS6_EEEESt5arrayIPcLm2EELi4E23TrivialOffsetCalculatorILi1EjESF_NS0_6memory15LoadWithoutCastENSG_16StoreWithoutCastEEEviT_T0_T2_T3_T4_T5_
		.amdhsa_group_segment_fixed_size 0
		.amdhsa_private_segment_fixed_size 0
		.amdhsa_kernarg_size 36
		.amdhsa_user_sgpr_count 6
		.amdhsa_user_sgpr_private_segment_buffer 1
		.amdhsa_user_sgpr_dispatch_ptr 0
		.amdhsa_user_sgpr_queue_ptr 0
		.amdhsa_user_sgpr_kernarg_segment_ptr 1
		.amdhsa_user_sgpr_dispatch_id 0
		.amdhsa_user_sgpr_flat_scratch_init 0
		.amdhsa_user_sgpr_private_segment_size 0
		.amdhsa_uses_dynamic_stack 0
		.amdhsa_system_sgpr_private_segment_wavefront_offset 0
		.amdhsa_system_sgpr_workgroup_id_x 1
		.amdhsa_system_sgpr_workgroup_id_y 0
		.amdhsa_system_sgpr_workgroup_id_z 0
		.amdhsa_system_sgpr_workgroup_info 0
		.amdhsa_system_vgpr_workitem_id 0
		.amdhsa_next_free_vgpr 9
		.amdhsa_next_free_sgpr 19
		.amdhsa_reserve_vcc 1
		.amdhsa_reserve_flat_scratch 0
		.amdhsa_float_round_mode_32 0
		.amdhsa_float_round_mode_16_64 0
		.amdhsa_float_denorm_mode_32 3
		.amdhsa_float_denorm_mode_16_64 3
		.amdhsa_dx10_clamp 1
		.amdhsa_ieee_mode 1
		.amdhsa_fp16_overflow 0
		.amdhsa_exception_fp_ieee_invalid_op 0
		.amdhsa_exception_fp_denorm_src 0
		.amdhsa_exception_fp_ieee_div_zero 0
		.amdhsa_exception_fp_ieee_overflow 0
		.amdhsa_exception_fp_ieee_underflow 0
		.amdhsa_exception_fp_ieee_inexact 0
		.amdhsa_exception_int_div_zero 0
	.end_amdhsa_kernel
	.section	.text._ZN2at6native27unrolled_elementwise_kernelINS0_13AUnaryFunctorIN3c107complexINS3_4HalfEEES6_bNS0_12_GLOBAL__N_116CompareEqFunctorIS6_EEEESt5arrayIPcLm2EELi4E23TrivialOffsetCalculatorILi1EjESF_NS0_6memory15LoadWithoutCastENSG_16StoreWithoutCastEEEviT_T0_T2_T3_T4_T5_,"axG",@progbits,_ZN2at6native27unrolled_elementwise_kernelINS0_13AUnaryFunctorIN3c107complexINS3_4HalfEEES6_bNS0_12_GLOBAL__N_116CompareEqFunctorIS6_EEEESt5arrayIPcLm2EELi4E23TrivialOffsetCalculatorILi1EjESF_NS0_6memory15LoadWithoutCastENSG_16StoreWithoutCastEEEviT_T0_T2_T3_T4_T5_,comdat
.Lfunc_end156:
	.size	_ZN2at6native27unrolled_elementwise_kernelINS0_13AUnaryFunctorIN3c107complexINS3_4HalfEEES6_bNS0_12_GLOBAL__N_116CompareEqFunctorIS6_EEEESt5arrayIPcLm2EELi4E23TrivialOffsetCalculatorILi1EjESF_NS0_6memory15LoadWithoutCastENSG_16StoreWithoutCastEEEviT_T0_T2_T3_T4_T5_, .Lfunc_end156-_ZN2at6native27unrolled_elementwise_kernelINS0_13AUnaryFunctorIN3c107complexINS3_4HalfEEES6_bNS0_12_GLOBAL__N_116CompareEqFunctorIS6_EEEESt5arrayIPcLm2EELi4E23TrivialOffsetCalculatorILi1EjESF_NS0_6memory15LoadWithoutCastENSG_16StoreWithoutCastEEEviT_T0_T2_T3_T4_T5_
                                        ; -- End function
	.set _ZN2at6native27unrolled_elementwise_kernelINS0_13AUnaryFunctorIN3c107complexINS3_4HalfEEES6_bNS0_12_GLOBAL__N_116CompareEqFunctorIS6_EEEESt5arrayIPcLm2EELi4E23TrivialOffsetCalculatorILi1EjESF_NS0_6memory15LoadWithoutCastENSG_16StoreWithoutCastEEEviT_T0_T2_T3_T4_T5_.num_vgpr, 9
	.set _ZN2at6native27unrolled_elementwise_kernelINS0_13AUnaryFunctorIN3c107complexINS3_4HalfEEES6_bNS0_12_GLOBAL__N_116CompareEqFunctorIS6_EEEESt5arrayIPcLm2EELi4E23TrivialOffsetCalculatorILi1EjESF_NS0_6memory15LoadWithoutCastENSG_16StoreWithoutCastEEEviT_T0_T2_T3_T4_T5_.num_agpr, 0
	.set _ZN2at6native27unrolled_elementwise_kernelINS0_13AUnaryFunctorIN3c107complexINS3_4HalfEEES6_bNS0_12_GLOBAL__N_116CompareEqFunctorIS6_EEEESt5arrayIPcLm2EELi4E23TrivialOffsetCalculatorILi1EjESF_NS0_6memory15LoadWithoutCastENSG_16StoreWithoutCastEEEviT_T0_T2_T3_T4_T5_.numbered_sgpr, 19
	.set _ZN2at6native27unrolled_elementwise_kernelINS0_13AUnaryFunctorIN3c107complexINS3_4HalfEEES6_bNS0_12_GLOBAL__N_116CompareEqFunctorIS6_EEEESt5arrayIPcLm2EELi4E23TrivialOffsetCalculatorILi1EjESF_NS0_6memory15LoadWithoutCastENSG_16StoreWithoutCastEEEviT_T0_T2_T3_T4_T5_.num_named_barrier, 0
	.set _ZN2at6native27unrolled_elementwise_kernelINS0_13AUnaryFunctorIN3c107complexINS3_4HalfEEES6_bNS0_12_GLOBAL__N_116CompareEqFunctorIS6_EEEESt5arrayIPcLm2EELi4E23TrivialOffsetCalculatorILi1EjESF_NS0_6memory15LoadWithoutCastENSG_16StoreWithoutCastEEEviT_T0_T2_T3_T4_T5_.private_seg_size, 0
	.set _ZN2at6native27unrolled_elementwise_kernelINS0_13AUnaryFunctorIN3c107complexINS3_4HalfEEES6_bNS0_12_GLOBAL__N_116CompareEqFunctorIS6_EEEESt5arrayIPcLm2EELi4E23TrivialOffsetCalculatorILi1EjESF_NS0_6memory15LoadWithoutCastENSG_16StoreWithoutCastEEEviT_T0_T2_T3_T4_T5_.uses_vcc, 1
	.set _ZN2at6native27unrolled_elementwise_kernelINS0_13AUnaryFunctorIN3c107complexINS3_4HalfEEES6_bNS0_12_GLOBAL__N_116CompareEqFunctorIS6_EEEESt5arrayIPcLm2EELi4E23TrivialOffsetCalculatorILi1EjESF_NS0_6memory15LoadWithoutCastENSG_16StoreWithoutCastEEEviT_T0_T2_T3_T4_T5_.uses_flat_scratch, 0
	.set _ZN2at6native27unrolled_elementwise_kernelINS0_13AUnaryFunctorIN3c107complexINS3_4HalfEEES6_bNS0_12_GLOBAL__N_116CompareEqFunctorIS6_EEEESt5arrayIPcLm2EELi4E23TrivialOffsetCalculatorILi1EjESF_NS0_6memory15LoadWithoutCastENSG_16StoreWithoutCastEEEviT_T0_T2_T3_T4_T5_.has_dyn_sized_stack, 0
	.set _ZN2at6native27unrolled_elementwise_kernelINS0_13AUnaryFunctorIN3c107complexINS3_4HalfEEES6_bNS0_12_GLOBAL__N_116CompareEqFunctorIS6_EEEESt5arrayIPcLm2EELi4E23TrivialOffsetCalculatorILi1EjESF_NS0_6memory15LoadWithoutCastENSG_16StoreWithoutCastEEEviT_T0_T2_T3_T4_T5_.has_recursion, 0
	.set _ZN2at6native27unrolled_elementwise_kernelINS0_13AUnaryFunctorIN3c107complexINS3_4HalfEEES6_bNS0_12_GLOBAL__N_116CompareEqFunctorIS6_EEEESt5arrayIPcLm2EELi4E23TrivialOffsetCalculatorILi1EjESF_NS0_6memory15LoadWithoutCastENSG_16StoreWithoutCastEEEviT_T0_T2_T3_T4_T5_.has_indirect_call, 0
	.section	.AMDGPU.csdata,"",@progbits
; Kernel info:
; codeLenInByte = 916
; TotalNumSgprs: 23
; NumVgprs: 9
; ScratchSize: 0
; MemoryBound: 0
; FloatMode: 240
; IeeeMode: 1
; LDSByteSize: 0 bytes/workgroup (compile time only)
; SGPRBlocks: 2
; VGPRBlocks: 2
; NumSGPRsForWavesPerEU: 23
; NumVGPRsForWavesPerEU: 9
; Occupancy: 10
; WaveLimiterHint : 0
; COMPUTE_PGM_RSRC2:SCRATCH_EN: 0
; COMPUTE_PGM_RSRC2:USER_SGPR: 6
; COMPUTE_PGM_RSRC2:TRAP_HANDLER: 0
; COMPUTE_PGM_RSRC2:TGID_X_EN: 1
; COMPUTE_PGM_RSRC2:TGID_Y_EN: 0
; COMPUTE_PGM_RSRC2:TGID_Z_EN: 0
; COMPUTE_PGM_RSRC2:TIDIG_COMP_CNT: 0
	.section	.text._ZN2at6native32elementwise_kernel_manual_unrollILi128ELi8EZNS0_22gpu_kernel_impl_nocastINS0_13AUnaryFunctorIN3c107complexINS4_4HalfEEES7_bNS0_12_GLOBAL__N_116CompareEqFunctorIS7_EEEEEEvRNS_18TensorIteratorBaseERKT_EUlibE_EEviT1_,"axG",@progbits,_ZN2at6native32elementwise_kernel_manual_unrollILi128ELi8EZNS0_22gpu_kernel_impl_nocastINS0_13AUnaryFunctorIN3c107complexINS4_4HalfEEES7_bNS0_12_GLOBAL__N_116CompareEqFunctorIS7_EEEEEEvRNS_18TensorIteratorBaseERKT_EUlibE_EEviT1_,comdat
	.globl	_ZN2at6native32elementwise_kernel_manual_unrollILi128ELi8EZNS0_22gpu_kernel_impl_nocastINS0_13AUnaryFunctorIN3c107complexINS4_4HalfEEES7_bNS0_12_GLOBAL__N_116CompareEqFunctorIS7_EEEEEEvRNS_18TensorIteratorBaseERKT_EUlibE_EEviT1_ ; -- Begin function _ZN2at6native32elementwise_kernel_manual_unrollILi128ELi8EZNS0_22gpu_kernel_impl_nocastINS0_13AUnaryFunctorIN3c107complexINS4_4HalfEEES7_bNS0_12_GLOBAL__N_116CompareEqFunctorIS7_EEEEEEvRNS_18TensorIteratorBaseERKT_EUlibE_EEviT1_
	.p2align	8
	.type	_ZN2at6native32elementwise_kernel_manual_unrollILi128ELi8EZNS0_22gpu_kernel_impl_nocastINS0_13AUnaryFunctorIN3c107complexINS4_4HalfEEES7_bNS0_12_GLOBAL__N_116CompareEqFunctorIS7_EEEEEEvRNS_18TensorIteratorBaseERKT_EUlibE_EEviT1_,@function
_ZN2at6native32elementwise_kernel_manual_unrollILi128ELi8EZNS0_22gpu_kernel_impl_nocastINS0_13AUnaryFunctorIN3c107complexINS4_4HalfEEES7_bNS0_12_GLOBAL__N_116CompareEqFunctorIS7_EEEEEEvRNS_18TensorIteratorBaseERKT_EUlibE_EEviT1_: ; @_ZN2at6native32elementwise_kernel_manual_unrollILi128ELi8EZNS0_22gpu_kernel_impl_nocastINS0_13AUnaryFunctorIN3c107complexINS4_4HalfEEES7_bNS0_12_GLOBAL__N_116CompareEqFunctorIS7_EEEEEEvRNS_18TensorIteratorBaseERKT_EUlibE_EEviT1_
; %bb.0:
	s_load_dword s60, s[4:5], 0x0
	s_load_dword s33, s[4:5], 0x8
	s_add_u32 s34, s4, 8
	s_addc_u32 s35, s5, 0
	v_lshl_or_b32 v19, s6, 10, v0
	v_or_b32_e32 v25, 0x380, v19
	s_waitcnt lgkmcnt(0)
	s_add_i32 s58, s33, -1
	s_cmp_gt_u32 s58, 1
	v_cmp_le_i32_e32 vcc, s60, v25
	s_cselect_b64 s[36:37], -1, 0
	s_and_saveexec_b64 s[0:1], vcc
	s_xor_b64 s[38:39], exec, s[0:1]
	s_cbranch_execz .LBB157_161
; %bb.1:
	s_load_dwordx4 s[20:23], s[34:35], 0x4
	s_load_dwordx2 s[44:45], s[34:35], 0x14
	s_load_dwordx2 s[40:41], s[34:35], 0x158
	s_cmp_lg_u32 s33, 0
	s_cselect_b64 s[50:51], -1, 0
	s_add_u32 s48, s34, 0xc4
	s_addc_u32 s49, s35, 0
	s_min_u32 s61, s58, 15
	s_load_dwordx4 s[24:27], s[34:35], 0xc4
	s_load_dwordx4 s[16:19], s[34:35], 0x148
	s_cmp_gt_u32 s33, 1
	s_cselect_b64 s[46:47], -1, 0
	s_waitcnt lgkmcnt(0)
	s_lshr_b32 s59, s41, 16
	s_cmp_lg_u32 s40, 0
	s_cselect_b64 s[42:43], -1, 0
	v_cmp_gt_i32_e32 vcc, s60, v19
	s_and_saveexec_b64 s[52:53], vcc
	s_cbranch_execnz .LBB157_9
; %bb.2:
	s_or_b64 exec, exec, s[52:53]
	v_cmp_gt_i32_e32 vcc, s60, v19
	s_and_saveexec_b64 s[52:53], vcc
	s_cbranch_execnz .LBB157_27
.LBB157_3:
	s_or_b64 exec, exec, s[52:53]
	v_cmp_gt_i32_e32 vcc, s60, v19
	s_and_saveexec_b64 s[52:53], vcc
	s_cbranch_execnz .LBB157_46
.LBB157_4:
	s_or_b64 exec, exec, s[52:53]
	v_cmp_gt_i32_e32 vcc, s60, v19
	s_and_saveexec_b64 s[52:53], vcc
	s_cbranch_execnz .LBB157_65
.LBB157_5:
	s_or_b64 exec, exec, s[52:53]
	v_cmp_gt_i32_e32 vcc, s60, v19
	s_and_saveexec_b64 s[52:53], vcc
	s_cbranch_execnz .LBB157_84
.LBB157_6:
	s_or_b64 exec, exec, s[52:53]
	v_cmp_gt_i32_e32 vcc, s60, v19
	s_and_saveexec_b64 s[52:53], vcc
	s_cbranch_execnz .LBB157_103
.LBB157_7:
	s_or_b64 exec, exec, s[52:53]
	v_cmp_gt_i32_e32 vcc, s60, v19
	s_and_saveexec_b64 s[52:53], vcc
	s_cbranch_execnz .LBB157_122
.LBB157_8:
	s_or_b64 exec, exec, s[52:53]
	v_cmp_gt_i32_e32 vcc, s60, v19
	s_and_saveexec_b64 s[52:53], vcc
	s_cbranch_execnz .LBB157_141
	s_branch .LBB157_160
.LBB157_9:
	s_andn2_b64 vcc, exec, s[36:37]
	s_cbranch_vccnz .LBB157_14
; %bb.10:
	s_andn2_b64 vcc, exec, s[50:51]
	s_cbranch_vccnz .LBB157_15
; %bb.11:
	s_add_i32 s62, s61, 1
	s_cmp_eq_u32 s58, 2
	s_cbranch_scc1 .LBB157_16
; %bb.12:
	s_and_b32 s40, s62, 28
	v_mov_b32_e32 v2, 0
	s_mov_b32 s63, 0
	s_mov_b64 s[54:55], s[34:35]
	s_mov_b64 s[56:57], s[48:49]
	v_mov_b32_e32 v0, 0
	v_mov_b32_e32 v1, v19
.LBB157_13:                             ; =>This Inner Loop Header: Depth=1
	s_load_dwordx8 s[8:15], s[54:55], 0x4
	s_load_dwordx4 s[28:31], s[54:55], 0x24
	s_load_dwordx8 s[0:7], s[56:57], 0x0
	s_add_u32 s54, s54, 48
	s_addc_u32 s55, s55, 0
	s_waitcnt lgkmcnt(0)
	v_mul_hi_u32 v3, s9, v1
	s_add_i32 s63, s63, 4
	s_add_u32 s56, s56, 32
	s_addc_u32 s57, s57, 0
	v_add_u32_e32 v3, v1, v3
	v_lshrrev_b32_e32 v3, s10, v3
	v_mul_lo_u32 v4, v3, s8
	v_mul_hi_u32 v5, s12, v3
	s_cmp_lg_u32 s40, s63
	v_sub_u32_e32 v1, v1, v4
	v_add_u32_e32 v4, v3, v5
	v_mul_lo_u32 v5, v1, s0
	v_mul_lo_u32 v6, v1, s1
	v_lshrrev_b32_e32 v1, s13, v4
	v_mul_lo_u32 v4, v1, s11
	v_mul_hi_u32 v7, s15, v1
	v_sub_u32_e32 v3, v3, v4
	v_add_u32_e32 v4, v1, v7
	v_lshrrev_b32_e32 v4, s28, v4
	v_mul_hi_u32 v8, s30, v4
	v_mul_lo_u32 v9, v4, s14
	v_mul_lo_u32 v7, v3, s2
	;; [unrolled: 1-line block ×3, first 2 shown]
	v_sub_u32_e32 v9, v1, v9
	v_add_u32_e32 v1, v4, v8
	v_lshrrev_b32_e32 v1, s31, v1
	v_mul_lo_u32 v8, v1, s29
	v_mul_lo_u32 v10, v9, s4
	;; [unrolled: 1-line block ×3, first 2 shown]
	v_add3_u32 v0, v5, v0, v7
	v_sub_u32_e32 v4, v4, v8
	v_mul_lo_u32 v8, v4, s6
	v_mul_lo_u32 v4, v4, s7
	v_add3_u32 v2, v6, v2, v3
	v_add3_u32 v0, v10, v0, v8
	;; [unrolled: 1-line block ×3, first 2 shown]
	s_cbranch_scc1 .LBB157_13
	s_branch .LBB157_17
.LBB157_14:
                                        ; implicit-def: $vgpr0
                                        ; implicit-def: $vgpr2
	s_branch .LBB157_21
.LBB157_15:
	v_mov_b32_e32 v0, 0
	v_mov_b32_e32 v2, 0
	s_branch .LBB157_20
.LBB157_16:
	s_mov_b32 s40, 0
	v_mov_b32_e32 v0, 0
	v_mov_b32_e32 v2, 0
	;; [unrolled: 1-line block ×3, first 2 shown]
.LBB157_17:
	s_and_b32 s4, s62, 3
	s_cmp_eq_u32 s4, 0
	s_cbranch_scc1 .LBB157_20
; %bb.18:
	s_lshl_b32 s0, s40, 3
	s_add_u32 s0, s34, s0
	s_addc_u32 s1, s35, 0
	s_add_u32 s0, s0, 0xc4
	s_addc_u32 s1, s1, 0
	s_mul_i32 s2, s40, 12
	s_add_u32 s2, s34, s2
	s_addc_u32 s3, s35, 0
.LBB157_19:                             ; =>This Inner Loop Header: Depth=1
	s_load_dwordx2 s[6:7], s[2:3], 0x4
	s_load_dword s5, s[2:3], 0xc
	s_load_dwordx2 s[8:9], s[0:1], 0x0
	s_add_u32 s2, s2, 12
	s_addc_u32 s3, s3, 0
	s_waitcnt lgkmcnt(0)
	v_mul_hi_u32 v3, s7, v1
	s_add_u32 s0, s0, 8
	s_addc_u32 s1, s1, 0
	s_add_i32 s4, s4, -1
	v_add_u32_e32 v3, v1, v3
	v_lshrrev_b32_e32 v4, s5, v3
	v_mul_lo_u32 v3, v4, s6
	s_cmp_lg_u32 s4, 0
	v_sub_u32_e32 v3, v1, v3
	v_mad_u64_u32 v[0:1], s[6:7], v3, s8, v[0:1]
	v_mad_u64_u32 v[2:3], s[6:7], v3, s9, v[2:3]
	v_mov_b32_e32 v1, v4
	s_cbranch_scc1 .LBB157_19
.LBB157_20:
	s_cbranch_execnz .LBB157_23
.LBB157_21:
	v_mul_hi_u32 v0, s21, v19
	s_andn2_b64 vcc, exec, s[46:47]
	v_add_u32_e32 v0, v19, v0
	v_lshrrev_b32_e32 v1, s22, v0
	v_mul_lo_u32 v0, v1, s20
	v_sub_u32_e32 v2, v19, v0
	v_mul_lo_u32 v0, v2, s24
	v_mul_lo_u32 v2, v2, s25
	s_cbranch_vccnz .LBB157_23
; %bb.22:
	v_mul_hi_u32 v3, s44, v1
	v_add_u32_e32 v3, v1, v3
	v_lshrrev_b32_e32 v3, s45, v3
	v_mul_lo_u32 v3, v3, s23
	v_sub_u32_e32 v3, v1, v3
	v_mad_u64_u32 v[0:1], s[0:1], v3, s26, v[0:1]
	v_mad_u64_u32 v[2:3], s[0:1], v3, s27, v[2:3]
.LBB157_23:
	global_load_dword v1, v2, s[18:19]
	s_and_b64 vcc, exec, s[42:43]
	s_cbranch_vccz .LBB157_33
; %bb.24:
	s_waitcnt vmcnt(0)
	v_cmp_neq_f16_e32 vcc, s41, v1
	v_cmp_neq_f16_sdwa s[0:1], s59, v1 src0_sel:DWORD src1_sel:WORD_1
	s_or_b64 s[0:1], vcc, s[0:1]
	s_cbranch_execnz .LBB157_26
.LBB157_25:
	s_waitcnt vmcnt(0)
	v_cmp_eq_f16_e32 vcc, s41, v1
	v_cmp_eq_f16_sdwa s[2:3], s59, v1 src0_sel:DWORD src1_sel:WORD_1
	s_and_b64 s[2:3], vcc, s[2:3]
	s_andn2_b64 s[0:1], s[0:1], exec
	s_and_b64 s[2:3], s[2:3], exec
	s_or_b64 s[0:1], s[0:1], s[2:3]
.LBB157_26:
	s_waitcnt vmcnt(0)
	v_cndmask_b32_e64 v1, 0, 1, s[0:1]
	v_add_u32_e32 v19, 0x80, v19
	global_store_byte v0, v1, s[16:17]
	s_or_b64 exec, exec, s[52:53]
	v_cmp_gt_i32_e32 vcc, s60, v19
	s_and_saveexec_b64 s[52:53], vcc
	s_cbranch_execz .LBB157_3
.LBB157_27:
	s_andn2_b64 vcc, exec, s[36:37]
	s_cbranch_vccnz .LBB157_32
; %bb.28:
	s_andn2_b64 vcc, exec, s[50:51]
	s_cbranch_vccnz .LBB157_34
; %bb.29:
	s_add_i32 s62, s61, 1
	s_cmp_eq_u32 s58, 2
	s_cbranch_scc1 .LBB157_35
; %bb.30:
	s_and_b32 s40, s62, 28
	v_mov_b32_e32 v2, 0
	s_mov_b32 s63, 0
	s_mov_b64 s[54:55], s[34:35]
	s_mov_b64 s[56:57], s[48:49]
	v_mov_b32_e32 v0, 0
	v_mov_b32_e32 v1, v19
.LBB157_31:                             ; =>This Inner Loop Header: Depth=1
	s_load_dwordx8 s[8:15], s[54:55], 0x4
	s_load_dwordx4 s[28:31], s[54:55], 0x24
	s_load_dwordx8 s[0:7], s[56:57], 0x0
	s_add_u32 s54, s54, 48
	s_addc_u32 s55, s55, 0
	s_waitcnt lgkmcnt(0)
	v_mul_hi_u32 v3, s9, v1
	s_add_i32 s63, s63, 4
	s_add_u32 s56, s56, 32
	s_addc_u32 s57, s57, 0
	v_add_u32_e32 v3, v1, v3
	v_lshrrev_b32_e32 v3, s10, v3
	v_mul_lo_u32 v4, v3, s8
	v_mul_hi_u32 v5, s12, v3
	s_cmp_eq_u32 s40, s63
	v_sub_u32_e32 v1, v1, v4
	v_add_u32_e32 v4, v3, v5
	v_mul_lo_u32 v5, v1, s0
	v_mul_lo_u32 v6, v1, s1
	v_lshrrev_b32_e32 v1, s13, v4
	v_mul_lo_u32 v4, v1, s11
	v_mul_hi_u32 v7, s15, v1
	v_sub_u32_e32 v3, v3, v4
	v_add_u32_e32 v4, v1, v7
	v_lshrrev_b32_e32 v4, s28, v4
	v_mul_hi_u32 v8, s30, v4
	v_mul_lo_u32 v9, v4, s14
	v_mul_lo_u32 v7, v3, s2
	;; [unrolled: 1-line block ×3, first 2 shown]
	v_sub_u32_e32 v9, v1, v9
	v_add_u32_e32 v1, v4, v8
	v_lshrrev_b32_e32 v1, s31, v1
	v_mul_lo_u32 v8, v1, s29
	v_mul_lo_u32 v10, v9, s4
	;; [unrolled: 1-line block ×3, first 2 shown]
	v_add3_u32 v0, v5, v0, v7
	v_sub_u32_e32 v4, v4, v8
	v_mul_lo_u32 v8, v4, s6
	v_mul_lo_u32 v4, v4, s7
	v_add3_u32 v2, v6, v2, v3
	v_add3_u32 v0, v10, v0, v8
	;; [unrolled: 1-line block ×3, first 2 shown]
	s_cbranch_scc0 .LBB157_31
	s_branch .LBB157_36
.LBB157_32:
                                        ; implicit-def: $vgpr0
                                        ; implicit-def: $vgpr2
	s_branch .LBB157_40
.LBB157_33:
                                        ; implicit-def: $sgpr0_sgpr1
	s_branch .LBB157_25
.LBB157_34:
	v_mov_b32_e32 v0, 0
	v_mov_b32_e32 v2, 0
	s_branch .LBB157_39
.LBB157_35:
	s_mov_b32 s40, 0
	v_mov_b32_e32 v0, 0
	v_mov_b32_e32 v2, 0
	v_mov_b32_e32 v1, v19
.LBB157_36:
	s_and_b32 s4, s62, 3
	s_cmp_eq_u32 s4, 0
	s_cbranch_scc1 .LBB157_39
; %bb.37:
	s_lshl_b32 s0, s40, 3
	s_add_u32 s0, s34, s0
	s_addc_u32 s1, s35, 0
	s_add_u32 s0, s0, 0xc4
	s_addc_u32 s1, s1, 0
	s_mul_i32 s2, s40, 12
	s_add_u32 s2, s34, s2
	s_addc_u32 s3, s35, 0
.LBB157_38:                             ; =>This Inner Loop Header: Depth=1
	s_load_dwordx2 s[6:7], s[2:3], 0x4
	s_load_dword s5, s[2:3], 0xc
	s_load_dwordx2 s[8:9], s[0:1], 0x0
	s_add_u32 s2, s2, 12
	s_addc_u32 s3, s3, 0
	s_waitcnt lgkmcnt(0)
	v_mul_hi_u32 v3, s7, v1
	s_add_u32 s0, s0, 8
	s_addc_u32 s1, s1, 0
	s_add_i32 s4, s4, -1
	v_add_u32_e32 v3, v1, v3
	v_lshrrev_b32_e32 v4, s5, v3
	v_mul_lo_u32 v3, v4, s6
	s_cmp_lg_u32 s4, 0
	v_sub_u32_e32 v3, v1, v3
	v_mad_u64_u32 v[0:1], s[6:7], v3, s8, v[0:1]
	v_mad_u64_u32 v[2:3], s[6:7], v3, s9, v[2:3]
	v_mov_b32_e32 v1, v4
	s_cbranch_scc1 .LBB157_38
.LBB157_39:
	s_cbranch_execnz .LBB157_42
.LBB157_40:
	v_mul_hi_u32 v0, s21, v19
	s_andn2_b64 vcc, exec, s[46:47]
	v_add_u32_e32 v0, v19, v0
	v_lshrrev_b32_e32 v1, s22, v0
	v_mul_lo_u32 v0, v1, s20
	v_sub_u32_e32 v2, v19, v0
	v_mul_lo_u32 v0, v2, s24
	v_mul_lo_u32 v2, v2, s25
	s_cbranch_vccnz .LBB157_42
; %bb.41:
	v_mul_hi_u32 v3, s44, v1
	v_add_u32_e32 v3, v1, v3
	v_lshrrev_b32_e32 v3, s45, v3
	v_mul_lo_u32 v3, v3, s23
	v_sub_u32_e32 v3, v1, v3
	v_mad_u64_u32 v[0:1], s[0:1], v3, s26, v[0:1]
	v_mad_u64_u32 v[2:3], s[0:1], v3, s27, v[2:3]
.LBB157_42:
	global_load_dword v1, v2, s[18:19]
	s_andn2_b64 vcc, exec, s[42:43]
	s_cbranch_vccnz .LBB157_52
; %bb.43:
	s_waitcnt vmcnt(0)
	v_cmp_neq_f16_e32 vcc, s41, v1
	v_cmp_neq_f16_sdwa s[0:1], s59, v1 src0_sel:DWORD src1_sel:WORD_1
	s_or_b64 s[0:1], vcc, s[0:1]
	s_cbranch_execnz .LBB157_45
.LBB157_44:
	s_waitcnt vmcnt(0)
	v_cmp_eq_f16_e32 vcc, s41, v1
	v_cmp_eq_f16_sdwa s[2:3], s59, v1 src0_sel:DWORD src1_sel:WORD_1
	s_and_b64 s[2:3], vcc, s[2:3]
	s_andn2_b64 s[0:1], s[0:1], exec
	s_and_b64 s[2:3], s[2:3], exec
	s_or_b64 s[0:1], s[0:1], s[2:3]
.LBB157_45:
	s_waitcnt vmcnt(0)
	v_cndmask_b32_e64 v1, 0, 1, s[0:1]
	v_add_u32_e32 v19, 0x80, v19
	global_store_byte v0, v1, s[16:17]
	s_or_b64 exec, exec, s[52:53]
	v_cmp_gt_i32_e32 vcc, s60, v19
	s_and_saveexec_b64 s[52:53], vcc
	s_cbranch_execz .LBB157_4
.LBB157_46:
	s_andn2_b64 vcc, exec, s[36:37]
	s_cbranch_vccnz .LBB157_51
; %bb.47:
	s_andn2_b64 vcc, exec, s[50:51]
	s_cbranch_vccnz .LBB157_53
; %bb.48:
	s_add_i32 s62, s61, 1
	s_cmp_eq_u32 s58, 2
	s_cbranch_scc1 .LBB157_54
; %bb.49:
	s_and_b32 s40, s62, 28
	v_mov_b32_e32 v2, 0
	s_mov_b32 s63, 0
	s_mov_b64 s[54:55], s[34:35]
	s_mov_b64 s[56:57], s[48:49]
	v_mov_b32_e32 v0, 0
	v_mov_b32_e32 v1, v19
.LBB157_50:                             ; =>This Inner Loop Header: Depth=1
	s_load_dwordx8 s[8:15], s[54:55], 0x4
	s_load_dwordx4 s[28:31], s[54:55], 0x24
	s_load_dwordx8 s[0:7], s[56:57], 0x0
	s_add_u32 s54, s54, 48
	s_addc_u32 s55, s55, 0
	s_waitcnt lgkmcnt(0)
	v_mul_hi_u32 v3, s9, v1
	s_add_i32 s63, s63, 4
	s_add_u32 s56, s56, 32
	s_addc_u32 s57, s57, 0
	v_add_u32_e32 v3, v1, v3
	v_lshrrev_b32_e32 v3, s10, v3
	v_mul_lo_u32 v4, v3, s8
	v_mul_hi_u32 v5, s12, v3
	s_cmp_eq_u32 s40, s63
	v_sub_u32_e32 v1, v1, v4
	v_add_u32_e32 v4, v3, v5
	v_mul_lo_u32 v5, v1, s0
	v_mul_lo_u32 v6, v1, s1
	v_lshrrev_b32_e32 v1, s13, v4
	v_mul_lo_u32 v4, v1, s11
	v_mul_hi_u32 v7, s15, v1
	v_sub_u32_e32 v3, v3, v4
	v_add_u32_e32 v4, v1, v7
	v_lshrrev_b32_e32 v4, s28, v4
	v_mul_hi_u32 v8, s30, v4
	v_mul_lo_u32 v9, v4, s14
	v_mul_lo_u32 v7, v3, s2
	;; [unrolled: 1-line block ×3, first 2 shown]
	v_sub_u32_e32 v9, v1, v9
	v_add_u32_e32 v1, v4, v8
	v_lshrrev_b32_e32 v1, s31, v1
	v_mul_lo_u32 v8, v1, s29
	v_mul_lo_u32 v10, v9, s4
	;; [unrolled: 1-line block ×3, first 2 shown]
	v_add3_u32 v0, v5, v0, v7
	v_sub_u32_e32 v4, v4, v8
	v_mul_lo_u32 v8, v4, s6
	v_mul_lo_u32 v4, v4, s7
	v_add3_u32 v2, v6, v2, v3
	v_add3_u32 v0, v10, v0, v8
	;; [unrolled: 1-line block ×3, first 2 shown]
	s_cbranch_scc0 .LBB157_50
	s_branch .LBB157_55
.LBB157_51:
                                        ; implicit-def: $vgpr0
                                        ; implicit-def: $vgpr2
	s_branch .LBB157_59
.LBB157_52:
                                        ; implicit-def: $sgpr0_sgpr1
	s_branch .LBB157_44
.LBB157_53:
	v_mov_b32_e32 v0, 0
	v_mov_b32_e32 v2, 0
	s_branch .LBB157_58
.LBB157_54:
	s_mov_b32 s40, 0
	v_mov_b32_e32 v0, 0
	v_mov_b32_e32 v2, 0
	;; [unrolled: 1-line block ×3, first 2 shown]
.LBB157_55:
	s_and_b32 s4, s62, 3
	s_cmp_eq_u32 s4, 0
	s_cbranch_scc1 .LBB157_58
; %bb.56:
	s_lshl_b32 s0, s40, 3
	s_add_u32 s0, s34, s0
	s_addc_u32 s1, s35, 0
	s_add_u32 s0, s0, 0xc4
	s_addc_u32 s1, s1, 0
	s_mul_i32 s2, s40, 12
	s_add_u32 s2, s34, s2
	s_addc_u32 s3, s35, 0
.LBB157_57:                             ; =>This Inner Loop Header: Depth=1
	s_load_dwordx2 s[6:7], s[2:3], 0x4
	s_load_dword s5, s[2:3], 0xc
	s_load_dwordx2 s[8:9], s[0:1], 0x0
	s_add_u32 s2, s2, 12
	s_addc_u32 s3, s3, 0
	s_waitcnt lgkmcnt(0)
	v_mul_hi_u32 v3, s7, v1
	s_add_u32 s0, s0, 8
	s_addc_u32 s1, s1, 0
	s_add_i32 s4, s4, -1
	v_add_u32_e32 v3, v1, v3
	v_lshrrev_b32_e32 v4, s5, v3
	v_mul_lo_u32 v3, v4, s6
	s_cmp_lg_u32 s4, 0
	v_sub_u32_e32 v3, v1, v3
	v_mad_u64_u32 v[0:1], s[6:7], v3, s8, v[0:1]
	v_mad_u64_u32 v[2:3], s[6:7], v3, s9, v[2:3]
	v_mov_b32_e32 v1, v4
	s_cbranch_scc1 .LBB157_57
.LBB157_58:
	s_cbranch_execnz .LBB157_61
.LBB157_59:
	v_mul_hi_u32 v0, s21, v19
	s_andn2_b64 vcc, exec, s[46:47]
	v_add_u32_e32 v0, v19, v0
	v_lshrrev_b32_e32 v1, s22, v0
	v_mul_lo_u32 v0, v1, s20
	v_sub_u32_e32 v2, v19, v0
	v_mul_lo_u32 v0, v2, s24
	v_mul_lo_u32 v2, v2, s25
	s_cbranch_vccnz .LBB157_61
; %bb.60:
	v_mul_hi_u32 v3, s44, v1
	v_add_u32_e32 v3, v1, v3
	v_lshrrev_b32_e32 v3, s45, v3
	v_mul_lo_u32 v3, v3, s23
	v_sub_u32_e32 v3, v1, v3
	v_mad_u64_u32 v[0:1], s[0:1], v3, s26, v[0:1]
	v_mad_u64_u32 v[2:3], s[0:1], v3, s27, v[2:3]
.LBB157_61:
	global_load_dword v1, v2, s[18:19]
	s_andn2_b64 vcc, exec, s[42:43]
	s_cbranch_vccnz .LBB157_71
; %bb.62:
	s_waitcnt vmcnt(0)
	v_cmp_neq_f16_e32 vcc, s41, v1
	v_cmp_neq_f16_sdwa s[0:1], s59, v1 src0_sel:DWORD src1_sel:WORD_1
	s_or_b64 s[0:1], vcc, s[0:1]
	s_cbranch_execnz .LBB157_64
.LBB157_63:
	s_waitcnt vmcnt(0)
	v_cmp_eq_f16_e32 vcc, s41, v1
	v_cmp_eq_f16_sdwa s[2:3], s59, v1 src0_sel:DWORD src1_sel:WORD_1
	s_and_b64 s[2:3], vcc, s[2:3]
	s_andn2_b64 s[0:1], s[0:1], exec
	s_and_b64 s[2:3], s[2:3], exec
	s_or_b64 s[0:1], s[0:1], s[2:3]
.LBB157_64:
	s_waitcnt vmcnt(0)
	v_cndmask_b32_e64 v1, 0, 1, s[0:1]
	v_add_u32_e32 v19, 0x80, v19
	global_store_byte v0, v1, s[16:17]
	s_or_b64 exec, exec, s[52:53]
	v_cmp_gt_i32_e32 vcc, s60, v19
	s_and_saveexec_b64 s[52:53], vcc
	s_cbranch_execz .LBB157_5
.LBB157_65:
	s_andn2_b64 vcc, exec, s[36:37]
	s_cbranch_vccnz .LBB157_70
; %bb.66:
	s_andn2_b64 vcc, exec, s[50:51]
	s_cbranch_vccnz .LBB157_72
; %bb.67:
	s_add_i32 s62, s61, 1
	s_cmp_eq_u32 s58, 2
	s_cbranch_scc1 .LBB157_73
; %bb.68:
	s_and_b32 s40, s62, 28
	v_mov_b32_e32 v2, 0
	s_mov_b32 s63, 0
	s_mov_b64 s[54:55], s[34:35]
	s_mov_b64 s[56:57], s[48:49]
	v_mov_b32_e32 v0, 0
	v_mov_b32_e32 v1, v19
.LBB157_69:                             ; =>This Inner Loop Header: Depth=1
	s_load_dwordx8 s[8:15], s[54:55], 0x4
	s_load_dwordx4 s[28:31], s[54:55], 0x24
	s_load_dwordx8 s[0:7], s[56:57], 0x0
	s_add_u32 s54, s54, 48
	s_addc_u32 s55, s55, 0
	s_waitcnt lgkmcnt(0)
	v_mul_hi_u32 v3, s9, v1
	s_add_i32 s63, s63, 4
	s_add_u32 s56, s56, 32
	s_addc_u32 s57, s57, 0
	v_add_u32_e32 v3, v1, v3
	v_lshrrev_b32_e32 v3, s10, v3
	v_mul_lo_u32 v4, v3, s8
	v_mul_hi_u32 v5, s12, v3
	s_cmp_eq_u32 s40, s63
	v_sub_u32_e32 v1, v1, v4
	v_add_u32_e32 v4, v3, v5
	v_mul_lo_u32 v5, v1, s0
	v_mul_lo_u32 v6, v1, s1
	v_lshrrev_b32_e32 v1, s13, v4
	v_mul_lo_u32 v4, v1, s11
	v_mul_hi_u32 v7, s15, v1
	v_sub_u32_e32 v3, v3, v4
	v_add_u32_e32 v4, v1, v7
	v_lshrrev_b32_e32 v4, s28, v4
	v_mul_hi_u32 v8, s30, v4
	v_mul_lo_u32 v9, v4, s14
	v_mul_lo_u32 v7, v3, s2
	;; [unrolled: 1-line block ×3, first 2 shown]
	v_sub_u32_e32 v9, v1, v9
	v_add_u32_e32 v1, v4, v8
	v_lshrrev_b32_e32 v1, s31, v1
	v_mul_lo_u32 v8, v1, s29
	v_mul_lo_u32 v10, v9, s4
	v_mul_lo_u32 v9, v9, s5
	v_add3_u32 v0, v5, v0, v7
	v_sub_u32_e32 v4, v4, v8
	v_mul_lo_u32 v8, v4, s6
	v_mul_lo_u32 v4, v4, s7
	v_add3_u32 v2, v6, v2, v3
	v_add3_u32 v0, v10, v0, v8
	;; [unrolled: 1-line block ×3, first 2 shown]
	s_cbranch_scc0 .LBB157_69
	s_branch .LBB157_74
.LBB157_70:
                                        ; implicit-def: $vgpr0
                                        ; implicit-def: $vgpr2
	s_branch .LBB157_78
.LBB157_71:
                                        ; implicit-def: $sgpr0_sgpr1
	s_branch .LBB157_63
.LBB157_72:
	v_mov_b32_e32 v0, 0
	v_mov_b32_e32 v2, 0
	s_branch .LBB157_77
.LBB157_73:
	s_mov_b32 s40, 0
	v_mov_b32_e32 v0, 0
	v_mov_b32_e32 v2, 0
	v_mov_b32_e32 v1, v19
.LBB157_74:
	s_and_b32 s4, s62, 3
	s_cmp_eq_u32 s4, 0
	s_cbranch_scc1 .LBB157_77
; %bb.75:
	s_lshl_b32 s0, s40, 3
	s_add_u32 s0, s34, s0
	s_addc_u32 s1, s35, 0
	s_add_u32 s0, s0, 0xc4
	s_addc_u32 s1, s1, 0
	s_mul_i32 s2, s40, 12
	s_add_u32 s2, s34, s2
	s_addc_u32 s3, s35, 0
.LBB157_76:                             ; =>This Inner Loop Header: Depth=1
	s_load_dwordx2 s[6:7], s[2:3], 0x4
	s_load_dword s5, s[2:3], 0xc
	s_load_dwordx2 s[8:9], s[0:1], 0x0
	s_add_u32 s2, s2, 12
	s_addc_u32 s3, s3, 0
	s_waitcnt lgkmcnt(0)
	v_mul_hi_u32 v3, s7, v1
	s_add_u32 s0, s0, 8
	s_addc_u32 s1, s1, 0
	s_add_i32 s4, s4, -1
	v_add_u32_e32 v3, v1, v3
	v_lshrrev_b32_e32 v4, s5, v3
	v_mul_lo_u32 v3, v4, s6
	s_cmp_lg_u32 s4, 0
	v_sub_u32_e32 v3, v1, v3
	v_mad_u64_u32 v[0:1], s[6:7], v3, s8, v[0:1]
	v_mad_u64_u32 v[2:3], s[6:7], v3, s9, v[2:3]
	v_mov_b32_e32 v1, v4
	s_cbranch_scc1 .LBB157_76
.LBB157_77:
	s_cbranch_execnz .LBB157_80
.LBB157_78:
	v_mul_hi_u32 v0, s21, v19
	s_andn2_b64 vcc, exec, s[46:47]
	v_add_u32_e32 v0, v19, v0
	v_lshrrev_b32_e32 v1, s22, v0
	v_mul_lo_u32 v0, v1, s20
	v_sub_u32_e32 v2, v19, v0
	v_mul_lo_u32 v0, v2, s24
	v_mul_lo_u32 v2, v2, s25
	s_cbranch_vccnz .LBB157_80
; %bb.79:
	v_mul_hi_u32 v3, s44, v1
	v_add_u32_e32 v3, v1, v3
	v_lshrrev_b32_e32 v3, s45, v3
	v_mul_lo_u32 v3, v3, s23
	v_sub_u32_e32 v3, v1, v3
	v_mad_u64_u32 v[0:1], s[0:1], v3, s26, v[0:1]
	v_mad_u64_u32 v[2:3], s[0:1], v3, s27, v[2:3]
.LBB157_80:
	global_load_dword v1, v2, s[18:19]
	s_andn2_b64 vcc, exec, s[42:43]
	s_cbranch_vccnz .LBB157_90
; %bb.81:
	s_waitcnt vmcnt(0)
	v_cmp_neq_f16_e32 vcc, s41, v1
	v_cmp_neq_f16_sdwa s[0:1], s59, v1 src0_sel:DWORD src1_sel:WORD_1
	s_or_b64 s[0:1], vcc, s[0:1]
	s_cbranch_execnz .LBB157_83
.LBB157_82:
	s_waitcnt vmcnt(0)
	v_cmp_eq_f16_e32 vcc, s41, v1
	v_cmp_eq_f16_sdwa s[2:3], s59, v1 src0_sel:DWORD src1_sel:WORD_1
	s_and_b64 s[2:3], vcc, s[2:3]
	s_andn2_b64 s[0:1], s[0:1], exec
	s_and_b64 s[2:3], s[2:3], exec
	s_or_b64 s[0:1], s[0:1], s[2:3]
.LBB157_83:
	s_waitcnt vmcnt(0)
	v_cndmask_b32_e64 v1, 0, 1, s[0:1]
	v_add_u32_e32 v19, 0x80, v19
	global_store_byte v0, v1, s[16:17]
	s_or_b64 exec, exec, s[52:53]
	v_cmp_gt_i32_e32 vcc, s60, v19
	s_and_saveexec_b64 s[52:53], vcc
	s_cbranch_execz .LBB157_6
.LBB157_84:
	s_andn2_b64 vcc, exec, s[36:37]
	s_cbranch_vccnz .LBB157_89
; %bb.85:
	s_andn2_b64 vcc, exec, s[50:51]
	s_cbranch_vccnz .LBB157_91
; %bb.86:
	s_add_i32 s62, s61, 1
	s_cmp_eq_u32 s58, 2
	s_cbranch_scc1 .LBB157_92
; %bb.87:
	s_and_b32 s40, s62, 28
	v_mov_b32_e32 v2, 0
	s_mov_b32 s63, 0
	s_mov_b64 s[54:55], s[34:35]
	s_mov_b64 s[56:57], s[48:49]
	v_mov_b32_e32 v0, 0
	v_mov_b32_e32 v1, v19
.LBB157_88:                             ; =>This Inner Loop Header: Depth=1
	s_load_dwordx8 s[8:15], s[54:55], 0x4
	s_load_dwordx4 s[28:31], s[54:55], 0x24
	s_load_dwordx8 s[0:7], s[56:57], 0x0
	s_add_u32 s54, s54, 48
	s_addc_u32 s55, s55, 0
	s_waitcnt lgkmcnt(0)
	v_mul_hi_u32 v3, s9, v1
	s_add_i32 s63, s63, 4
	s_add_u32 s56, s56, 32
	s_addc_u32 s57, s57, 0
	v_add_u32_e32 v3, v1, v3
	v_lshrrev_b32_e32 v3, s10, v3
	v_mul_lo_u32 v4, v3, s8
	v_mul_hi_u32 v5, s12, v3
	s_cmp_eq_u32 s40, s63
	v_sub_u32_e32 v1, v1, v4
	v_add_u32_e32 v4, v3, v5
	v_mul_lo_u32 v5, v1, s0
	v_mul_lo_u32 v6, v1, s1
	v_lshrrev_b32_e32 v1, s13, v4
	v_mul_lo_u32 v4, v1, s11
	v_mul_hi_u32 v7, s15, v1
	v_sub_u32_e32 v3, v3, v4
	v_add_u32_e32 v4, v1, v7
	v_lshrrev_b32_e32 v4, s28, v4
	v_mul_hi_u32 v8, s30, v4
	v_mul_lo_u32 v9, v4, s14
	v_mul_lo_u32 v7, v3, s2
	;; [unrolled: 1-line block ×3, first 2 shown]
	v_sub_u32_e32 v9, v1, v9
	v_add_u32_e32 v1, v4, v8
	v_lshrrev_b32_e32 v1, s31, v1
	v_mul_lo_u32 v8, v1, s29
	v_mul_lo_u32 v10, v9, s4
	;; [unrolled: 1-line block ×3, first 2 shown]
	v_add3_u32 v0, v5, v0, v7
	v_sub_u32_e32 v4, v4, v8
	v_mul_lo_u32 v8, v4, s6
	v_mul_lo_u32 v4, v4, s7
	v_add3_u32 v2, v6, v2, v3
	v_add3_u32 v0, v10, v0, v8
	;; [unrolled: 1-line block ×3, first 2 shown]
	s_cbranch_scc0 .LBB157_88
	s_branch .LBB157_93
.LBB157_89:
                                        ; implicit-def: $vgpr0
                                        ; implicit-def: $vgpr2
	s_branch .LBB157_97
.LBB157_90:
                                        ; implicit-def: $sgpr0_sgpr1
	s_branch .LBB157_82
.LBB157_91:
	v_mov_b32_e32 v0, 0
	v_mov_b32_e32 v2, 0
	s_branch .LBB157_96
.LBB157_92:
	s_mov_b32 s40, 0
	v_mov_b32_e32 v0, 0
	v_mov_b32_e32 v2, 0
	;; [unrolled: 1-line block ×3, first 2 shown]
.LBB157_93:
	s_and_b32 s4, s62, 3
	s_cmp_eq_u32 s4, 0
	s_cbranch_scc1 .LBB157_96
; %bb.94:
	s_lshl_b32 s0, s40, 3
	s_add_u32 s0, s34, s0
	s_addc_u32 s1, s35, 0
	s_add_u32 s0, s0, 0xc4
	s_addc_u32 s1, s1, 0
	s_mul_i32 s2, s40, 12
	s_add_u32 s2, s34, s2
	s_addc_u32 s3, s35, 0
.LBB157_95:                             ; =>This Inner Loop Header: Depth=1
	s_load_dwordx2 s[6:7], s[2:3], 0x4
	s_load_dword s5, s[2:3], 0xc
	s_load_dwordx2 s[8:9], s[0:1], 0x0
	s_add_u32 s2, s2, 12
	s_addc_u32 s3, s3, 0
	s_waitcnt lgkmcnt(0)
	v_mul_hi_u32 v3, s7, v1
	s_add_u32 s0, s0, 8
	s_addc_u32 s1, s1, 0
	s_add_i32 s4, s4, -1
	v_add_u32_e32 v3, v1, v3
	v_lshrrev_b32_e32 v4, s5, v3
	v_mul_lo_u32 v3, v4, s6
	s_cmp_lg_u32 s4, 0
	v_sub_u32_e32 v3, v1, v3
	v_mad_u64_u32 v[0:1], s[6:7], v3, s8, v[0:1]
	v_mad_u64_u32 v[2:3], s[6:7], v3, s9, v[2:3]
	v_mov_b32_e32 v1, v4
	s_cbranch_scc1 .LBB157_95
.LBB157_96:
	s_cbranch_execnz .LBB157_99
.LBB157_97:
	v_mul_hi_u32 v0, s21, v19
	s_andn2_b64 vcc, exec, s[46:47]
	v_add_u32_e32 v0, v19, v0
	v_lshrrev_b32_e32 v1, s22, v0
	v_mul_lo_u32 v0, v1, s20
	v_sub_u32_e32 v2, v19, v0
	v_mul_lo_u32 v0, v2, s24
	v_mul_lo_u32 v2, v2, s25
	s_cbranch_vccnz .LBB157_99
; %bb.98:
	v_mul_hi_u32 v3, s44, v1
	v_add_u32_e32 v3, v1, v3
	v_lshrrev_b32_e32 v3, s45, v3
	v_mul_lo_u32 v3, v3, s23
	v_sub_u32_e32 v3, v1, v3
	v_mad_u64_u32 v[0:1], s[0:1], v3, s26, v[0:1]
	v_mad_u64_u32 v[2:3], s[0:1], v3, s27, v[2:3]
.LBB157_99:
	global_load_dword v1, v2, s[18:19]
	s_andn2_b64 vcc, exec, s[42:43]
	s_cbranch_vccnz .LBB157_109
; %bb.100:
	s_waitcnt vmcnt(0)
	v_cmp_neq_f16_e32 vcc, s41, v1
	v_cmp_neq_f16_sdwa s[0:1], s59, v1 src0_sel:DWORD src1_sel:WORD_1
	s_or_b64 s[0:1], vcc, s[0:1]
	s_cbranch_execnz .LBB157_102
.LBB157_101:
	s_waitcnt vmcnt(0)
	v_cmp_eq_f16_e32 vcc, s41, v1
	v_cmp_eq_f16_sdwa s[2:3], s59, v1 src0_sel:DWORD src1_sel:WORD_1
	s_and_b64 s[2:3], vcc, s[2:3]
	s_andn2_b64 s[0:1], s[0:1], exec
	s_and_b64 s[2:3], s[2:3], exec
	s_or_b64 s[0:1], s[0:1], s[2:3]
.LBB157_102:
	s_waitcnt vmcnt(0)
	v_cndmask_b32_e64 v1, 0, 1, s[0:1]
	v_add_u32_e32 v19, 0x80, v19
	global_store_byte v0, v1, s[16:17]
	s_or_b64 exec, exec, s[52:53]
	v_cmp_gt_i32_e32 vcc, s60, v19
	s_and_saveexec_b64 s[52:53], vcc
	s_cbranch_execz .LBB157_7
.LBB157_103:
	s_andn2_b64 vcc, exec, s[36:37]
	s_cbranch_vccnz .LBB157_108
; %bb.104:
	s_andn2_b64 vcc, exec, s[50:51]
	s_cbranch_vccnz .LBB157_110
; %bb.105:
	s_add_i32 s62, s61, 1
	s_cmp_eq_u32 s58, 2
	s_cbranch_scc1 .LBB157_111
; %bb.106:
	s_and_b32 s40, s62, 28
	v_mov_b32_e32 v2, 0
	s_mov_b32 s63, 0
	s_mov_b64 s[54:55], s[34:35]
	s_mov_b64 s[56:57], s[48:49]
	v_mov_b32_e32 v0, 0
	v_mov_b32_e32 v1, v19
.LBB157_107:                            ; =>This Inner Loop Header: Depth=1
	s_load_dwordx8 s[8:15], s[54:55], 0x4
	s_load_dwordx4 s[28:31], s[54:55], 0x24
	s_load_dwordx8 s[0:7], s[56:57], 0x0
	s_add_u32 s54, s54, 48
	s_addc_u32 s55, s55, 0
	s_waitcnt lgkmcnt(0)
	v_mul_hi_u32 v3, s9, v1
	s_add_i32 s63, s63, 4
	s_add_u32 s56, s56, 32
	s_addc_u32 s57, s57, 0
	v_add_u32_e32 v3, v1, v3
	v_lshrrev_b32_e32 v3, s10, v3
	v_mul_lo_u32 v4, v3, s8
	v_mul_hi_u32 v5, s12, v3
	s_cmp_eq_u32 s40, s63
	v_sub_u32_e32 v1, v1, v4
	v_add_u32_e32 v4, v3, v5
	v_mul_lo_u32 v5, v1, s0
	v_mul_lo_u32 v6, v1, s1
	v_lshrrev_b32_e32 v1, s13, v4
	v_mul_lo_u32 v4, v1, s11
	v_mul_hi_u32 v7, s15, v1
	v_sub_u32_e32 v3, v3, v4
	v_add_u32_e32 v4, v1, v7
	v_lshrrev_b32_e32 v4, s28, v4
	v_mul_hi_u32 v8, s30, v4
	v_mul_lo_u32 v9, v4, s14
	v_mul_lo_u32 v7, v3, s2
	;; [unrolled: 1-line block ×3, first 2 shown]
	v_sub_u32_e32 v9, v1, v9
	v_add_u32_e32 v1, v4, v8
	v_lshrrev_b32_e32 v1, s31, v1
	v_mul_lo_u32 v8, v1, s29
	v_mul_lo_u32 v10, v9, s4
	;; [unrolled: 1-line block ×3, first 2 shown]
	v_add3_u32 v0, v5, v0, v7
	v_sub_u32_e32 v4, v4, v8
	v_mul_lo_u32 v8, v4, s6
	v_mul_lo_u32 v4, v4, s7
	v_add3_u32 v2, v6, v2, v3
	v_add3_u32 v0, v10, v0, v8
	;; [unrolled: 1-line block ×3, first 2 shown]
	s_cbranch_scc0 .LBB157_107
	s_branch .LBB157_112
.LBB157_108:
                                        ; implicit-def: $vgpr0
                                        ; implicit-def: $vgpr2
	s_branch .LBB157_116
.LBB157_109:
                                        ; implicit-def: $sgpr0_sgpr1
	s_branch .LBB157_101
.LBB157_110:
	v_mov_b32_e32 v0, 0
	v_mov_b32_e32 v2, 0
	s_branch .LBB157_115
.LBB157_111:
	s_mov_b32 s40, 0
	v_mov_b32_e32 v0, 0
	v_mov_b32_e32 v2, 0
	;; [unrolled: 1-line block ×3, first 2 shown]
.LBB157_112:
	s_and_b32 s4, s62, 3
	s_cmp_eq_u32 s4, 0
	s_cbranch_scc1 .LBB157_115
; %bb.113:
	s_lshl_b32 s0, s40, 3
	s_add_u32 s0, s34, s0
	s_addc_u32 s1, s35, 0
	s_add_u32 s0, s0, 0xc4
	s_addc_u32 s1, s1, 0
	s_mul_i32 s2, s40, 12
	s_add_u32 s2, s34, s2
	s_addc_u32 s3, s35, 0
.LBB157_114:                            ; =>This Inner Loop Header: Depth=1
	s_load_dwordx2 s[6:7], s[2:3], 0x4
	s_load_dword s5, s[2:3], 0xc
	s_load_dwordx2 s[8:9], s[0:1], 0x0
	s_add_u32 s2, s2, 12
	s_addc_u32 s3, s3, 0
	s_waitcnt lgkmcnt(0)
	v_mul_hi_u32 v3, s7, v1
	s_add_u32 s0, s0, 8
	s_addc_u32 s1, s1, 0
	s_add_i32 s4, s4, -1
	v_add_u32_e32 v3, v1, v3
	v_lshrrev_b32_e32 v4, s5, v3
	v_mul_lo_u32 v3, v4, s6
	s_cmp_lg_u32 s4, 0
	v_sub_u32_e32 v3, v1, v3
	v_mad_u64_u32 v[0:1], s[6:7], v3, s8, v[0:1]
	v_mad_u64_u32 v[2:3], s[6:7], v3, s9, v[2:3]
	v_mov_b32_e32 v1, v4
	s_cbranch_scc1 .LBB157_114
.LBB157_115:
	s_cbranch_execnz .LBB157_118
.LBB157_116:
	v_mul_hi_u32 v0, s21, v19
	s_andn2_b64 vcc, exec, s[46:47]
	v_add_u32_e32 v0, v19, v0
	v_lshrrev_b32_e32 v1, s22, v0
	v_mul_lo_u32 v0, v1, s20
	v_sub_u32_e32 v2, v19, v0
	v_mul_lo_u32 v0, v2, s24
	v_mul_lo_u32 v2, v2, s25
	s_cbranch_vccnz .LBB157_118
; %bb.117:
	v_mul_hi_u32 v3, s44, v1
	v_add_u32_e32 v3, v1, v3
	v_lshrrev_b32_e32 v3, s45, v3
	v_mul_lo_u32 v3, v3, s23
	v_sub_u32_e32 v3, v1, v3
	v_mad_u64_u32 v[0:1], s[0:1], v3, s26, v[0:1]
	v_mad_u64_u32 v[2:3], s[0:1], v3, s27, v[2:3]
.LBB157_118:
	global_load_dword v1, v2, s[18:19]
	s_andn2_b64 vcc, exec, s[42:43]
	s_cbranch_vccnz .LBB157_128
; %bb.119:
	s_waitcnt vmcnt(0)
	v_cmp_neq_f16_e32 vcc, s41, v1
	v_cmp_neq_f16_sdwa s[0:1], s59, v1 src0_sel:DWORD src1_sel:WORD_1
	s_or_b64 s[0:1], vcc, s[0:1]
	s_cbranch_execnz .LBB157_121
.LBB157_120:
	s_waitcnt vmcnt(0)
	v_cmp_eq_f16_e32 vcc, s41, v1
	v_cmp_eq_f16_sdwa s[2:3], s59, v1 src0_sel:DWORD src1_sel:WORD_1
	s_and_b64 s[2:3], vcc, s[2:3]
	s_andn2_b64 s[0:1], s[0:1], exec
	s_and_b64 s[2:3], s[2:3], exec
	s_or_b64 s[0:1], s[0:1], s[2:3]
.LBB157_121:
	s_waitcnt vmcnt(0)
	v_cndmask_b32_e64 v1, 0, 1, s[0:1]
	v_add_u32_e32 v19, 0x80, v19
	global_store_byte v0, v1, s[16:17]
	s_or_b64 exec, exec, s[52:53]
	v_cmp_gt_i32_e32 vcc, s60, v19
	s_and_saveexec_b64 s[52:53], vcc
	s_cbranch_execz .LBB157_8
.LBB157_122:
	s_andn2_b64 vcc, exec, s[36:37]
	s_cbranch_vccnz .LBB157_127
; %bb.123:
	s_andn2_b64 vcc, exec, s[50:51]
	s_cbranch_vccnz .LBB157_129
; %bb.124:
	s_add_i32 s62, s61, 1
	s_cmp_eq_u32 s58, 2
	s_cbranch_scc1 .LBB157_130
; %bb.125:
	s_and_b32 s40, s62, 28
	v_mov_b32_e32 v2, 0
	s_mov_b32 s63, 0
	s_mov_b64 s[54:55], s[34:35]
	s_mov_b64 s[56:57], s[48:49]
	v_mov_b32_e32 v0, 0
	v_mov_b32_e32 v1, v19
.LBB157_126:                            ; =>This Inner Loop Header: Depth=1
	s_load_dwordx8 s[8:15], s[54:55], 0x4
	s_load_dwordx4 s[28:31], s[54:55], 0x24
	s_load_dwordx8 s[0:7], s[56:57], 0x0
	s_add_u32 s54, s54, 48
	s_addc_u32 s55, s55, 0
	s_waitcnt lgkmcnt(0)
	v_mul_hi_u32 v3, s9, v1
	s_add_i32 s63, s63, 4
	s_add_u32 s56, s56, 32
	s_addc_u32 s57, s57, 0
	v_add_u32_e32 v3, v1, v3
	v_lshrrev_b32_e32 v3, s10, v3
	v_mul_lo_u32 v4, v3, s8
	v_mul_hi_u32 v5, s12, v3
	s_cmp_eq_u32 s40, s63
	v_sub_u32_e32 v1, v1, v4
	v_add_u32_e32 v4, v3, v5
	v_mul_lo_u32 v5, v1, s0
	v_mul_lo_u32 v6, v1, s1
	v_lshrrev_b32_e32 v1, s13, v4
	v_mul_lo_u32 v4, v1, s11
	v_mul_hi_u32 v7, s15, v1
	v_sub_u32_e32 v3, v3, v4
	v_add_u32_e32 v4, v1, v7
	v_lshrrev_b32_e32 v4, s28, v4
	v_mul_hi_u32 v8, s30, v4
	v_mul_lo_u32 v9, v4, s14
	v_mul_lo_u32 v7, v3, s2
	;; [unrolled: 1-line block ×3, first 2 shown]
	v_sub_u32_e32 v9, v1, v9
	v_add_u32_e32 v1, v4, v8
	v_lshrrev_b32_e32 v1, s31, v1
	v_mul_lo_u32 v8, v1, s29
	v_mul_lo_u32 v10, v9, s4
	;; [unrolled: 1-line block ×3, first 2 shown]
	v_add3_u32 v0, v5, v0, v7
	v_sub_u32_e32 v4, v4, v8
	v_mul_lo_u32 v8, v4, s6
	v_mul_lo_u32 v4, v4, s7
	v_add3_u32 v2, v6, v2, v3
	v_add3_u32 v0, v10, v0, v8
	;; [unrolled: 1-line block ×3, first 2 shown]
	s_cbranch_scc0 .LBB157_126
	s_branch .LBB157_131
.LBB157_127:
                                        ; implicit-def: $vgpr0
                                        ; implicit-def: $vgpr2
	s_branch .LBB157_135
.LBB157_128:
                                        ; implicit-def: $sgpr0_sgpr1
	s_branch .LBB157_120
.LBB157_129:
	v_mov_b32_e32 v0, 0
	v_mov_b32_e32 v2, 0
	s_branch .LBB157_134
.LBB157_130:
	s_mov_b32 s40, 0
	v_mov_b32_e32 v0, 0
	v_mov_b32_e32 v2, 0
	;; [unrolled: 1-line block ×3, first 2 shown]
.LBB157_131:
	s_and_b32 s4, s62, 3
	s_cmp_eq_u32 s4, 0
	s_cbranch_scc1 .LBB157_134
; %bb.132:
	s_lshl_b32 s0, s40, 3
	s_add_u32 s0, s34, s0
	s_addc_u32 s1, s35, 0
	s_add_u32 s0, s0, 0xc4
	s_addc_u32 s1, s1, 0
	s_mul_i32 s2, s40, 12
	s_add_u32 s2, s34, s2
	s_addc_u32 s3, s35, 0
.LBB157_133:                            ; =>This Inner Loop Header: Depth=1
	s_load_dwordx2 s[6:7], s[2:3], 0x4
	s_load_dword s5, s[2:3], 0xc
	s_load_dwordx2 s[8:9], s[0:1], 0x0
	s_add_u32 s2, s2, 12
	s_addc_u32 s3, s3, 0
	s_waitcnt lgkmcnt(0)
	v_mul_hi_u32 v3, s7, v1
	s_add_u32 s0, s0, 8
	s_addc_u32 s1, s1, 0
	s_add_i32 s4, s4, -1
	v_add_u32_e32 v3, v1, v3
	v_lshrrev_b32_e32 v4, s5, v3
	v_mul_lo_u32 v3, v4, s6
	s_cmp_lg_u32 s4, 0
	v_sub_u32_e32 v3, v1, v3
	v_mad_u64_u32 v[0:1], s[6:7], v3, s8, v[0:1]
	v_mad_u64_u32 v[2:3], s[6:7], v3, s9, v[2:3]
	v_mov_b32_e32 v1, v4
	s_cbranch_scc1 .LBB157_133
.LBB157_134:
	s_cbranch_execnz .LBB157_137
.LBB157_135:
	v_mul_hi_u32 v0, s21, v19
	s_andn2_b64 vcc, exec, s[46:47]
	v_add_u32_e32 v0, v19, v0
	v_lshrrev_b32_e32 v1, s22, v0
	v_mul_lo_u32 v0, v1, s20
	v_sub_u32_e32 v2, v19, v0
	v_mul_lo_u32 v0, v2, s24
	v_mul_lo_u32 v2, v2, s25
	s_cbranch_vccnz .LBB157_137
; %bb.136:
	v_mul_hi_u32 v3, s44, v1
	v_add_u32_e32 v3, v1, v3
	v_lshrrev_b32_e32 v3, s45, v3
	v_mul_lo_u32 v3, v3, s23
	v_sub_u32_e32 v3, v1, v3
	v_mad_u64_u32 v[0:1], s[0:1], v3, s26, v[0:1]
	v_mad_u64_u32 v[2:3], s[0:1], v3, s27, v[2:3]
.LBB157_137:
	global_load_dword v1, v2, s[18:19]
	s_andn2_b64 vcc, exec, s[42:43]
	s_cbranch_vccnz .LBB157_147
; %bb.138:
	s_waitcnt vmcnt(0)
	v_cmp_neq_f16_e32 vcc, s41, v1
	v_cmp_neq_f16_sdwa s[0:1], s59, v1 src0_sel:DWORD src1_sel:WORD_1
	s_or_b64 s[0:1], vcc, s[0:1]
	s_cbranch_execnz .LBB157_140
.LBB157_139:
	s_waitcnt vmcnt(0)
	v_cmp_eq_f16_e32 vcc, s41, v1
	v_cmp_eq_f16_sdwa s[2:3], s59, v1 src0_sel:DWORD src1_sel:WORD_1
	s_and_b64 s[2:3], vcc, s[2:3]
	s_andn2_b64 s[0:1], s[0:1], exec
	s_and_b64 s[2:3], s[2:3], exec
	s_or_b64 s[0:1], s[0:1], s[2:3]
.LBB157_140:
	s_waitcnt vmcnt(0)
	v_cndmask_b32_e64 v1, 0, 1, s[0:1]
	v_add_u32_e32 v19, 0x80, v19
	global_store_byte v0, v1, s[16:17]
	s_or_b64 exec, exec, s[52:53]
	v_cmp_gt_i32_e32 vcc, s60, v19
	s_and_saveexec_b64 s[52:53], vcc
	s_cbranch_execz .LBB157_160
.LBB157_141:
	s_andn2_b64 vcc, exec, s[36:37]
	s_cbranch_vccnz .LBB157_146
; %bb.142:
	s_andn2_b64 vcc, exec, s[50:51]
	s_cbranch_vccnz .LBB157_148
; %bb.143:
	s_add_i32 s61, s61, 1
	s_cmp_eq_u32 s58, 2
	s_cbranch_scc1 .LBB157_149
; %bb.144:
	s_and_b32 s40, s61, 28
	v_mov_b32_e32 v2, 0
	s_mov_b32 s54, 0
	s_mov_b64 s[50:51], s[34:35]
	v_mov_b32_e32 v0, 0
	v_mov_b32_e32 v1, v19
.LBB157_145:                            ; =>This Inner Loop Header: Depth=1
	s_load_dwordx8 s[8:15], s[50:51], 0x4
	s_load_dwordx4 s[28:31], s[50:51], 0x24
	s_load_dwordx8 s[0:7], s[48:49], 0x0
	s_add_u32 s50, s50, 48
	s_addc_u32 s51, s51, 0
	s_waitcnt lgkmcnt(0)
	v_mul_hi_u32 v3, s9, v1
	s_add_i32 s54, s54, 4
	s_add_u32 s48, s48, 32
	s_addc_u32 s49, s49, 0
	v_add_u32_e32 v3, v1, v3
	v_lshrrev_b32_e32 v3, s10, v3
	v_mul_lo_u32 v4, v3, s8
	v_mul_hi_u32 v5, s12, v3
	s_cmp_eq_u32 s40, s54
	v_sub_u32_e32 v1, v1, v4
	v_add_u32_e32 v4, v3, v5
	v_mul_lo_u32 v5, v1, s0
	v_mul_lo_u32 v6, v1, s1
	v_lshrrev_b32_e32 v1, s13, v4
	v_mul_lo_u32 v4, v1, s11
	v_mul_hi_u32 v7, s15, v1
	v_sub_u32_e32 v3, v3, v4
	v_add_u32_e32 v4, v1, v7
	v_lshrrev_b32_e32 v4, s28, v4
	v_mul_hi_u32 v8, s30, v4
	v_mul_lo_u32 v9, v4, s14
	v_mul_lo_u32 v7, v3, s2
	;; [unrolled: 1-line block ×3, first 2 shown]
	v_sub_u32_e32 v9, v1, v9
	v_add_u32_e32 v1, v4, v8
	v_lshrrev_b32_e32 v1, s31, v1
	v_mul_lo_u32 v8, v1, s29
	v_mul_lo_u32 v10, v9, s4
	;; [unrolled: 1-line block ×3, first 2 shown]
	v_add3_u32 v0, v5, v0, v7
	v_sub_u32_e32 v4, v4, v8
	v_mul_lo_u32 v8, v4, s6
	v_mul_lo_u32 v4, v4, s7
	v_add3_u32 v2, v6, v2, v3
	v_add3_u32 v0, v10, v0, v8
	;; [unrolled: 1-line block ×3, first 2 shown]
	s_cbranch_scc0 .LBB157_145
	s_branch .LBB157_150
.LBB157_146:
                                        ; implicit-def: $vgpr0
                                        ; implicit-def: $vgpr2
	s_branch .LBB157_154
.LBB157_147:
                                        ; implicit-def: $sgpr0_sgpr1
	s_branch .LBB157_139
.LBB157_148:
	v_mov_b32_e32 v0, 0
	v_mov_b32_e32 v2, 0
	s_branch .LBB157_153
.LBB157_149:
	s_mov_b32 s40, 0
	v_mov_b32_e32 v0, 0
	v_mov_b32_e32 v2, 0
	;; [unrolled: 1-line block ×3, first 2 shown]
.LBB157_150:
	s_and_b32 s4, s61, 3
	s_cmp_eq_u32 s4, 0
	s_cbranch_scc1 .LBB157_153
; %bb.151:
	s_lshl_b32 s0, s40, 3
	s_add_u32 s0, s34, s0
	s_addc_u32 s1, s35, 0
	s_add_u32 s0, s0, 0xc4
	s_addc_u32 s1, s1, 0
	s_mul_i32 s2, s40, 12
	s_add_u32 s2, s34, s2
	s_addc_u32 s3, s35, 0
.LBB157_152:                            ; =>This Inner Loop Header: Depth=1
	s_load_dwordx2 s[6:7], s[2:3], 0x4
	s_load_dword s5, s[2:3], 0xc
	s_load_dwordx2 s[8:9], s[0:1], 0x0
	s_add_u32 s2, s2, 12
	s_addc_u32 s3, s3, 0
	s_waitcnt lgkmcnt(0)
	v_mul_hi_u32 v3, s7, v1
	s_add_u32 s0, s0, 8
	s_addc_u32 s1, s1, 0
	s_add_i32 s4, s4, -1
	v_add_u32_e32 v3, v1, v3
	v_lshrrev_b32_e32 v4, s5, v3
	v_mul_lo_u32 v3, v4, s6
	s_cmp_lg_u32 s4, 0
	v_sub_u32_e32 v3, v1, v3
	v_mad_u64_u32 v[0:1], s[6:7], v3, s8, v[0:1]
	v_mad_u64_u32 v[2:3], s[6:7], v3, s9, v[2:3]
	v_mov_b32_e32 v1, v4
	s_cbranch_scc1 .LBB157_152
.LBB157_153:
	s_cbranch_execnz .LBB157_156
.LBB157_154:
	v_mul_hi_u32 v0, s21, v19
	s_andn2_b64 vcc, exec, s[46:47]
	v_add_u32_e32 v0, v19, v0
	v_lshrrev_b32_e32 v1, s22, v0
	v_mul_lo_u32 v0, v1, s20
	v_sub_u32_e32 v2, v19, v0
	v_mul_lo_u32 v0, v2, s24
	v_mul_lo_u32 v2, v2, s25
	s_cbranch_vccnz .LBB157_156
; %bb.155:
	v_mul_hi_u32 v3, s44, v1
	v_add_u32_e32 v3, v1, v3
	v_lshrrev_b32_e32 v3, s45, v3
	v_mul_lo_u32 v3, v3, s23
	v_sub_u32_e32 v3, v1, v3
	v_mad_u64_u32 v[0:1], s[0:1], v3, s26, v[0:1]
	v_mad_u64_u32 v[2:3], s[0:1], v3, s27, v[2:3]
.LBB157_156:
	global_load_dword v1, v2, s[18:19]
	s_andn2_b64 vcc, exec, s[42:43]
	s_cbranch_vccnz .LBB157_170
; %bb.157:
	s_waitcnt vmcnt(0)
	v_cmp_neq_f16_e32 vcc, s41, v1
	v_cmp_neq_f16_sdwa s[0:1], s59, v1 src0_sel:DWORD src1_sel:WORD_1
	s_or_b64 s[0:1], vcc, s[0:1]
	s_cbranch_execnz .LBB157_159
.LBB157_158:
	s_waitcnt vmcnt(0)
	v_cmp_eq_f16_e32 vcc, s41, v1
	v_cmp_eq_f16_sdwa s[2:3], s59, v1 src0_sel:DWORD src1_sel:WORD_1
	s_and_b64 s[2:3], vcc, s[2:3]
	s_andn2_b64 s[0:1], s[0:1], exec
	s_and_b64 s[2:3], s[2:3], exec
	s_or_b64 s[0:1], s[0:1], s[2:3]
.LBB157_159:
	s_waitcnt vmcnt(0)
	v_cndmask_b32_e64 v1, 0, 1, s[0:1]
	global_store_byte v0, v1, s[16:17]
.LBB157_160:
	s_or_b64 exec, exec, s[52:53]
                                        ; implicit-def: $vgpr25
                                        ; implicit-def: $vgpr19
.LBB157_161:
	s_andn2_saveexec_b64 s[0:1], s[38:39]
	s_cbranch_execz .LBB157_168
; %bb.162:
	v_cndmask_b32_e64 v0, 0, 1, s[36:37]
	v_cmp_ne_u32_e64 s[0:1], 1, v0
	s_andn2_b64 vcc, exec, s[36:37]
	s_cbranch_vccnz .LBB157_169
; %bb.163:
	s_cmp_lg_u32 s33, 0
	s_mov_b32 s26, 0
	s_cbranch_scc0 .LBB157_171
; %bb.164:
	s_min_u32 s27, s58, 15
	s_add_i32 s27, s27, 1
	s_cmp_eq_u32 s58, 2
	s_cbranch_scc1 .LBB157_172
; %bb.165:
	s_and_b32 s26, s27, 28
	s_add_u32 s2, s34, 0xc4
	s_addc_u32 s3, s35, 0
	v_mov_b32_e32 v2, 0
	s_mov_b32 s28, 0
	s_mov_b64 s[24:25], s[34:35]
	v_mov_b32_e32 v0, 0
	v_mov_b32_e32 v1, v19
.LBB157_166:                            ; =>This Inner Loop Header: Depth=1
	s_load_dwordx8 s[12:19], s[24:25], 0x4
	s_load_dwordx4 s[20:23], s[24:25], 0x24
	s_load_dwordx8 s[4:11], s[2:3], 0x0
	s_add_u32 s24, s24, 48
	s_addc_u32 s25, s25, 0
	s_waitcnt lgkmcnt(0)
	v_mul_hi_u32 v3, s13, v1
	s_add_i32 s28, s28, 4
	s_add_u32 s2, s2, 32
	s_addc_u32 s3, s3, 0
	v_add_u32_e32 v3, v1, v3
	v_lshrrev_b32_e32 v3, s14, v3
	v_mul_lo_u32 v4, v3, s12
	v_mul_hi_u32 v5, s16, v3
	s_cmp_lg_u32 s26, s28
	v_sub_u32_e32 v1, v1, v4
	v_add_u32_e32 v4, v3, v5
	v_mul_lo_u32 v5, v1, s4
	v_mul_lo_u32 v6, v1, s5
	v_lshrrev_b32_e32 v1, s17, v4
	v_mul_lo_u32 v4, v1, s15
	v_mul_hi_u32 v7, s19, v1
	v_sub_u32_e32 v3, v3, v4
	v_add_u32_e32 v4, v1, v7
	v_lshrrev_b32_e32 v4, s20, v4
	v_mul_hi_u32 v8, s22, v4
	v_mul_lo_u32 v9, v4, s18
	v_mul_lo_u32 v7, v3, s6
	;; [unrolled: 1-line block ×3, first 2 shown]
	v_sub_u32_e32 v9, v1, v9
	v_add_u32_e32 v1, v4, v8
	v_lshrrev_b32_e32 v1, s23, v1
	v_mul_lo_u32 v8, v1, s21
	v_mul_lo_u32 v10, v9, s8
	;; [unrolled: 1-line block ×3, first 2 shown]
	v_add3_u32 v0, v5, v0, v7
	v_sub_u32_e32 v4, v4, v8
	v_mul_lo_u32 v8, v4, s10
	v_mul_lo_u32 v4, v4, s11
	v_add3_u32 v2, v6, v2, v3
	v_add3_u32 v0, v10, v0, v8
	;; [unrolled: 1-line block ×3, first 2 shown]
	s_cbranch_scc1 .LBB157_166
; %bb.167:
	s_and_b32 s6, s27, 3
	s_cmp_eq_u32 s6, 0
	s_cbranch_scc0 .LBB157_173
	s_branch .LBB157_175
.LBB157_168:
	s_endpgm
.LBB157_169:
                                        ; implicit-def: $vgpr0
                                        ; implicit-def: $vgpr2
	s_branch .LBB157_176
.LBB157_170:
                                        ; implicit-def: $sgpr0_sgpr1
	s_branch .LBB157_158
.LBB157_171:
	v_mov_b32_e32 v0, 0
	v_mov_b32_e32 v2, 0
	s_branch .LBB157_175
.LBB157_172:
	v_mov_b32_e32 v0, 0
	v_mov_b32_e32 v2, 0
	;; [unrolled: 1-line block ×3, first 2 shown]
	s_and_b32 s6, s27, 3
	s_cmp_eq_u32 s6, 0
	s_cbranch_scc1 .LBB157_175
.LBB157_173:
	s_lshl_b32 s2, s26, 3
	s_add_u32 s2, s34, s2
	s_addc_u32 s3, s35, 0
	s_add_u32 s2, s2, 0xc4
	s_addc_u32 s3, s3, 0
	s_mul_i32 s4, s26, 12
	s_add_u32 s4, s34, s4
	s_addc_u32 s5, s35, 0
.LBB157_174:                            ; =>This Inner Loop Header: Depth=1
	s_load_dwordx2 s[8:9], s[4:5], 0x4
	s_load_dword s7, s[4:5], 0xc
	s_load_dwordx2 s[10:11], s[2:3], 0x0
	s_add_u32 s4, s4, 12
	s_addc_u32 s5, s5, 0
	s_waitcnt lgkmcnt(0)
	v_mul_hi_u32 v3, s9, v1
	s_add_u32 s2, s2, 8
	s_addc_u32 s3, s3, 0
	s_add_i32 s6, s6, -1
	v_add_u32_e32 v3, v1, v3
	v_lshrrev_b32_e32 v4, s7, v3
	v_mul_lo_u32 v3, v4, s8
	s_cmp_lg_u32 s6, 0
	v_sub_u32_e32 v3, v1, v3
	v_mad_u64_u32 v[0:1], s[8:9], v3, s10, v[0:1]
	v_mad_u64_u32 v[2:3], s[8:9], v3, s11, v[2:3]
	v_mov_b32_e32 v1, v4
	s_cbranch_scc1 .LBB157_174
.LBB157_175:
	s_cbranch_execnz .LBB157_178
.LBB157_176:
	s_load_dwordx4 s[4:7], s[34:35], 0x4
	s_load_dwordx2 s[2:3], s[34:35], 0xc4
	s_cmp_lt_u32 s33, 2
	s_waitcnt lgkmcnt(0)
	v_mul_hi_u32 v0, s5, v19
	v_add_u32_e32 v0, v19, v0
	v_lshrrev_b32_e32 v1, s6, v0
	v_mul_lo_u32 v0, v1, s4
	v_sub_u32_e32 v2, v19, v0
	v_mul_lo_u32 v0, v2, s2
	v_mul_lo_u32 v2, v2, s3
	s_cbranch_scc1 .LBB157_178
; %bb.177:
	s_load_dwordx4 s[4:7], s[34:35], 0x10
	s_load_dwordx2 s[2:3], s[34:35], 0xcc
	s_waitcnt lgkmcnt(0)
	v_mul_hi_u32 v3, s5, v1
	v_add_u32_e32 v3, v1, v3
	v_lshrrev_b32_e32 v3, s6, v3
	v_mul_lo_u32 v3, v3, s4
	v_sub_u32_e32 v3, v1, v3
	v_mad_u64_u32 v[0:1], s[4:5], v3, s2, v[0:1]
	v_mad_u64_u32 v[2:3], s[2:3], v3, s3, v[2:3]
.LBB157_178:
	s_and_b64 vcc, exec, s[0:1]
	v_add_u32_e32 v1, 0x80, v19
	s_cbranch_vccnz .LBB157_184
; %bb.179:
	s_cmp_lg_u32 s33, 0
	s_mov_b32 s26, 0
	s_cbranch_scc0 .LBB157_185
; %bb.180:
	s_min_u32 s27, s58, 15
	s_add_i32 s27, s27, 1
	s_cmp_eq_u32 s58, 2
	s_cbranch_scc1 .LBB157_186
; %bb.181:
	s_and_b32 s26, s27, 28
	s_add_u32 s2, s34, 0xc4
	s_addc_u32 s3, s35, 0
	v_mov_b32_e32 v5, 0
	s_mov_b32 s28, 0
	s_mov_b64 s[24:25], s[34:35]
	v_mov_b32_e32 v3, 0
	v_mov_b32_e32 v4, v1
.LBB157_182:                            ; =>This Inner Loop Header: Depth=1
	s_load_dwordx8 s[12:19], s[24:25], 0x4
	s_load_dwordx4 s[20:23], s[24:25], 0x24
	s_load_dwordx8 s[4:11], s[2:3], 0x0
	s_add_u32 s24, s24, 48
	s_addc_u32 s25, s25, 0
	s_waitcnt lgkmcnt(0)
	v_mul_hi_u32 v6, s13, v4
	s_add_i32 s28, s28, 4
	s_add_u32 s2, s2, 32
	s_addc_u32 s3, s3, 0
	v_add_u32_e32 v6, v4, v6
	v_lshrrev_b32_e32 v6, s14, v6
	v_mul_lo_u32 v7, v6, s12
	v_mul_hi_u32 v8, s16, v6
	s_cmp_lg_u32 s26, s28
	v_sub_u32_e32 v4, v4, v7
	v_add_u32_e32 v7, v6, v8
	v_mul_lo_u32 v8, v4, s4
	v_mul_lo_u32 v9, v4, s5
	v_lshrrev_b32_e32 v4, s17, v7
	v_mul_lo_u32 v7, v4, s15
	v_mul_hi_u32 v10, s19, v4
	v_sub_u32_e32 v6, v6, v7
	v_add_u32_e32 v7, v4, v10
	v_lshrrev_b32_e32 v7, s20, v7
	v_mul_hi_u32 v11, s22, v7
	v_mul_lo_u32 v12, v7, s18
	v_mul_lo_u32 v10, v6, s6
	;; [unrolled: 1-line block ×3, first 2 shown]
	v_sub_u32_e32 v12, v4, v12
	v_add_u32_e32 v4, v7, v11
	v_lshrrev_b32_e32 v4, s23, v4
	v_mul_lo_u32 v11, v4, s21
	v_mul_lo_u32 v13, v12, s8
	;; [unrolled: 1-line block ×3, first 2 shown]
	v_add3_u32 v3, v8, v3, v10
	v_sub_u32_e32 v7, v7, v11
	v_mul_lo_u32 v11, v7, s10
	v_mul_lo_u32 v7, v7, s11
	v_add3_u32 v5, v9, v5, v6
	v_add3_u32 v3, v13, v3, v11
	;; [unrolled: 1-line block ×3, first 2 shown]
	s_cbranch_scc1 .LBB157_182
; %bb.183:
	s_and_b32 s6, s27, 3
	s_cmp_eq_u32 s6, 0
	s_cbranch_scc0 .LBB157_187
	s_branch .LBB157_189
.LBB157_184:
                                        ; implicit-def: $vgpr3
                                        ; implicit-def: $vgpr5
	s_branch .LBB157_190
.LBB157_185:
	v_mov_b32_e32 v3, 0
	v_mov_b32_e32 v5, 0
	s_branch .LBB157_189
.LBB157_186:
	v_mov_b32_e32 v3, 0
	v_mov_b32_e32 v5, 0
	;; [unrolled: 1-line block ×3, first 2 shown]
	s_and_b32 s6, s27, 3
	s_cmp_eq_u32 s6, 0
	s_cbranch_scc1 .LBB157_189
.LBB157_187:
	s_lshl_b32 s2, s26, 3
	s_add_u32 s2, s34, s2
	s_addc_u32 s3, s35, 0
	s_add_u32 s2, s2, 0xc4
	s_addc_u32 s3, s3, 0
	s_mul_i32 s4, s26, 12
	s_add_u32 s4, s34, s4
	s_addc_u32 s5, s35, 0
.LBB157_188:                            ; =>This Inner Loop Header: Depth=1
	s_load_dwordx2 s[8:9], s[4:5], 0x4
	s_load_dword s7, s[4:5], 0xc
	s_load_dwordx2 s[10:11], s[2:3], 0x0
	s_add_u32 s4, s4, 12
	s_addc_u32 s5, s5, 0
	s_waitcnt lgkmcnt(0)
	v_mul_hi_u32 v6, s9, v4
	s_add_u32 s2, s2, 8
	s_addc_u32 s3, s3, 0
	s_add_i32 s6, s6, -1
	v_add_u32_e32 v6, v4, v6
	v_lshrrev_b32_e32 v7, s7, v6
	v_mul_lo_u32 v6, v7, s8
	s_cmp_lg_u32 s6, 0
	v_sub_u32_e32 v6, v4, v6
	v_mad_u64_u32 v[3:4], s[8:9], v6, s10, v[3:4]
	v_mad_u64_u32 v[5:6], s[8:9], v6, s11, v[5:6]
	v_mov_b32_e32 v4, v7
	s_cbranch_scc1 .LBB157_188
.LBB157_189:
	s_cbranch_execnz .LBB157_192
.LBB157_190:
	s_load_dwordx4 s[4:7], s[34:35], 0x4
	s_load_dwordx2 s[2:3], s[34:35], 0xc4
	s_cmp_lt_u32 s33, 2
	s_waitcnt lgkmcnt(0)
	v_mul_hi_u32 v3, s5, v1
	v_add_u32_e32 v3, v1, v3
	v_lshrrev_b32_e32 v4, s6, v3
	v_mul_lo_u32 v3, v4, s4
	v_sub_u32_e32 v1, v1, v3
	v_mul_lo_u32 v3, v1, s2
	v_mul_lo_u32 v5, v1, s3
	s_cbranch_scc1 .LBB157_192
; %bb.191:
	s_load_dwordx4 s[4:7], s[34:35], 0x10
	s_load_dwordx2 s[2:3], s[34:35], 0xcc
	s_waitcnt lgkmcnt(0)
	v_mul_hi_u32 v1, s5, v4
	v_add_u32_e32 v1, v4, v1
	v_lshrrev_b32_e32 v1, s6, v1
	v_mul_lo_u32 v1, v1, s4
	v_sub_u32_e32 v1, v4, v1
	v_mad_u64_u32 v[3:4], s[4:5], v1, s2, v[3:4]
	v_mad_u64_u32 v[5:6], s[2:3], v1, s3, v[5:6]
.LBB157_192:
	s_and_b64 vcc, exec, s[0:1]
	v_add_u32_e32 v1, 0x100, v19
	s_cbranch_vccnz .LBB157_198
; %bb.193:
	s_cmp_lg_u32 s33, 0
	s_mov_b32 s26, 0
	s_cbranch_scc0 .LBB157_199
; %bb.194:
	s_min_u32 s27, s58, 15
	s_add_i32 s27, s27, 1
	s_cmp_eq_u32 s58, 2
	s_cbranch_scc1 .LBB157_200
; %bb.195:
	s_and_b32 s26, s27, 28
	s_add_u32 s2, s34, 0xc4
	s_addc_u32 s3, s35, 0
	v_mov_b32_e32 v8, 0
	s_mov_b32 s28, 0
	s_mov_b64 s[24:25], s[34:35]
	v_mov_b32_e32 v6, 0
	v_mov_b32_e32 v4, v1
.LBB157_196:                            ; =>This Inner Loop Header: Depth=1
	s_load_dwordx8 s[12:19], s[24:25], 0x4
	s_load_dwordx4 s[20:23], s[24:25], 0x24
	s_load_dwordx8 s[4:11], s[2:3], 0x0
	s_add_u32 s24, s24, 48
	s_addc_u32 s25, s25, 0
	s_waitcnt lgkmcnt(0)
	v_mul_hi_u32 v7, s13, v4
	s_add_i32 s28, s28, 4
	s_add_u32 s2, s2, 32
	s_addc_u32 s3, s3, 0
	v_add_u32_e32 v7, v4, v7
	v_lshrrev_b32_e32 v7, s14, v7
	v_mul_lo_u32 v9, v7, s12
	v_mul_hi_u32 v10, s16, v7
	s_cmp_lg_u32 s26, s28
	v_sub_u32_e32 v4, v4, v9
	v_add_u32_e32 v9, v7, v10
	v_mul_lo_u32 v10, v4, s4
	v_mul_lo_u32 v11, v4, s5
	v_lshrrev_b32_e32 v4, s17, v9
	v_mul_lo_u32 v9, v4, s15
	v_mul_hi_u32 v12, s19, v4
	v_sub_u32_e32 v7, v7, v9
	v_add_u32_e32 v9, v4, v12
	v_lshrrev_b32_e32 v9, s20, v9
	v_mul_hi_u32 v13, s22, v9
	v_mul_lo_u32 v14, v9, s18
	v_mul_lo_u32 v12, v7, s6
	;; [unrolled: 1-line block ×3, first 2 shown]
	v_sub_u32_e32 v14, v4, v14
	v_add_u32_e32 v4, v9, v13
	v_lshrrev_b32_e32 v4, s23, v4
	v_mul_lo_u32 v13, v4, s21
	v_mul_lo_u32 v15, v14, s8
	;; [unrolled: 1-line block ×3, first 2 shown]
	v_add3_u32 v6, v10, v6, v12
	v_sub_u32_e32 v9, v9, v13
	v_mul_lo_u32 v13, v9, s10
	v_mul_lo_u32 v9, v9, s11
	v_add3_u32 v7, v11, v8, v7
	v_add3_u32 v6, v15, v6, v13
	;; [unrolled: 1-line block ×3, first 2 shown]
	s_cbranch_scc1 .LBB157_196
; %bb.197:
	s_and_b32 s6, s27, 3
	s_cmp_eq_u32 s6, 0
	s_cbranch_scc0 .LBB157_201
	s_branch .LBB157_203
.LBB157_198:
                                        ; implicit-def: $vgpr6
                                        ; implicit-def: $vgpr8
	s_branch .LBB157_204
.LBB157_199:
	v_mov_b32_e32 v6, 0
	v_mov_b32_e32 v8, 0
	s_branch .LBB157_203
.LBB157_200:
	v_mov_b32_e32 v6, 0
	v_mov_b32_e32 v8, 0
	;; [unrolled: 1-line block ×3, first 2 shown]
	s_and_b32 s6, s27, 3
	s_cmp_eq_u32 s6, 0
	s_cbranch_scc1 .LBB157_203
.LBB157_201:
	s_lshl_b32 s2, s26, 3
	s_add_u32 s2, s34, s2
	s_addc_u32 s3, s35, 0
	s_add_u32 s2, s2, 0xc4
	s_addc_u32 s3, s3, 0
	s_mul_i32 s4, s26, 12
	s_add_u32 s4, s34, s4
	s_addc_u32 s5, s35, 0
.LBB157_202:                            ; =>This Inner Loop Header: Depth=1
	s_load_dwordx2 s[8:9], s[4:5], 0x4
	s_load_dword s7, s[4:5], 0xc
	s_load_dwordx2 s[10:11], s[2:3], 0x0
	s_add_u32 s4, s4, 12
	s_addc_u32 s5, s5, 0
	s_waitcnt lgkmcnt(0)
	v_mul_hi_u32 v7, s9, v4
	s_add_u32 s2, s2, 8
	s_addc_u32 s3, s3, 0
	s_add_i32 s6, s6, -1
	v_add_u32_e32 v7, v4, v7
	v_lshrrev_b32_e32 v10, s7, v7
	v_mul_lo_u32 v7, v10, s8
	s_cmp_lg_u32 s6, 0
	v_sub_u32_e32 v4, v4, v7
	v_mad_u64_u32 v[6:7], s[8:9], v4, s10, v[6:7]
	v_mad_u64_u32 v[8:9], s[8:9], v4, s11, v[8:9]
	v_mov_b32_e32 v4, v10
	s_cbranch_scc1 .LBB157_202
.LBB157_203:
	s_cbranch_execnz .LBB157_206
.LBB157_204:
	s_load_dwordx4 s[4:7], s[34:35], 0x4
	s_load_dwordx2 s[2:3], s[34:35], 0xc4
	s_cmp_lt_u32 s33, 2
	s_waitcnt lgkmcnt(0)
	v_mul_hi_u32 v4, s5, v1
	v_add_u32_e32 v4, v1, v4
	v_lshrrev_b32_e32 v4, s6, v4
	v_mul_lo_u32 v6, v4, s4
	v_sub_u32_e32 v1, v1, v6
	v_mul_lo_u32 v6, v1, s2
	v_mul_lo_u32 v8, v1, s3
	s_cbranch_scc1 .LBB157_206
; %bb.205:
	s_load_dwordx4 s[4:7], s[34:35], 0x10
	s_load_dwordx2 s[2:3], s[34:35], 0xcc
	s_waitcnt lgkmcnt(0)
	v_mul_hi_u32 v1, s5, v4
	v_add_u32_e32 v1, v4, v1
	v_lshrrev_b32_e32 v1, s6, v1
	v_mul_lo_u32 v1, v1, s4
	v_sub_u32_e32 v1, v4, v1
	v_mad_u64_u32 v[6:7], s[4:5], v1, s2, v[6:7]
	v_mad_u64_u32 v[8:9], s[2:3], v1, s3, v[8:9]
.LBB157_206:
	s_and_b64 vcc, exec, s[0:1]
	v_add_u32_e32 v1, 0x180, v19
	s_cbranch_vccnz .LBB157_212
; %bb.207:
	s_cmp_lg_u32 s33, 0
	s_mov_b32 s26, 0
	s_cbranch_scc0 .LBB157_213
; %bb.208:
	s_min_u32 s27, s58, 15
	s_add_i32 s27, s27, 1
	s_cmp_eq_u32 s58, 2
	s_cbranch_scc1 .LBB157_214
; %bb.209:
	s_and_b32 s26, s27, 28
	s_add_u32 s2, s34, 0xc4
	s_addc_u32 s3, s35, 0
	v_mov_b32_e32 v11, 0
	s_mov_b32 s28, 0
	s_mov_b64 s[24:25], s[34:35]
	v_mov_b32_e32 v9, 0
	v_mov_b32_e32 v4, v1
.LBB157_210:                            ; =>This Inner Loop Header: Depth=1
	s_load_dwordx8 s[12:19], s[24:25], 0x4
	s_load_dwordx4 s[20:23], s[24:25], 0x24
	s_load_dwordx8 s[4:11], s[2:3], 0x0
	s_add_u32 s24, s24, 48
	s_addc_u32 s25, s25, 0
	s_waitcnt lgkmcnt(0)
	v_mul_hi_u32 v7, s13, v4
	s_add_i32 s28, s28, 4
	s_add_u32 s2, s2, 32
	s_addc_u32 s3, s3, 0
	v_add_u32_e32 v7, v4, v7
	v_lshrrev_b32_e32 v7, s14, v7
	v_mul_lo_u32 v10, v7, s12
	v_mul_hi_u32 v12, s16, v7
	s_cmp_lg_u32 s26, s28
	v_sub_u32_e32 v4, v4, v10
	v_add_u32_e32 v10, v7, v12
	v_mul_lo_u32 v12, v4, s4
	v_mul_lo_u32 v13, v4, s5
	v_lshrrev_b32_e32 v4, s17, v10
	v_mul_lo_u32 v10, v4, s15
	v_mul_hi_u32 v14, s19, v4
	v_sub_u32_e32 v7, v7, v10
	v_add_u32_e32 v10, v4, v14
	v_lshrrev_b32_e32 v10, s20, v10
	v_mul_hi_u32 v15, s22, v10
	v_mul_lo_u32 v16, v10, s18
	v_mul_lo_u32 v14, v7, s6
	;; [unrolled: 1-line block ×3, first 2 shown]
	v_sub_u32_e32 v16, v4, v16
	v_add_u32_e32 v4, v10, v15
	v_lshrrev_b32_e32 v4, s23, v4
	v_mul_lo_u32 v15, v4, s21
	v_mul_lo_u32 v17, v16, s8
	;; [unrolled: 1-line block ×3, first 2 shown]
	v_add3_u32 v9, v12, v9, v14
	v_sub_u32_e32 v10, v10, v15
	v_mul_lo_u32 v15, v10, s10
	v_mul_lo_u32 v10, v10, s11
	v_add3_u32 v7, v13, v11, v7
	v_add3_u32 v9, v17, v9, v15
	;; [unrolled: 1-line block ×3, first 2 shown]
	s_cbranch_scc1 .LBB157_210
; %bb.211:
	s_and_b32 s6, s27, 3
	s_cmp_eq_u32 s6, 0
	s_cbranch_scc0 .LBB157_215
	s_branch .LBB157_217
.LBB157_212:
                                        ; implicit-def: $vgpr9
                                        ; implicit-def: $vgpr11
	s_branch .LBB157_218
.LBB157_213:
	v_mov_b32_e32 v9, 0
	v_mov_b32_e32 v11, 0
	s_branch .LBB157_217
.LBB157_214:
	v_mov_b32_e32 v9, 0
	v_mov_b32_e32 v11, 0
	;; [unrolled: 1-line block ×3, first 2 shown]
	s_and_b32 s6, s27, 3
	s_cmp_eq_u32 s6, 0
	s_cbranch_scc1 .LBB157_217
.LBB157_215:
	s_lshl_b32 s2, s26, 3
	s_add_u32 s2, s34, s2
	s_addc_u32 s3, s35, 0
	s_add_u32 s2, s2, 0xc4
	s_addc_u32 s3, s3, 0
	s_mul_i32 s4, s26, 12
	s_add_u32 s4, s34, s4
	s_addc_u32 s5, s35, 0
.LBB157_216:                            ; =>This Inner Loop Header: Depth=1
	s_load_dwordx2 s[8:9], s[4:5], 0x4
	s_load_dword s7, s[4:5], 0xc
	s_load_dwordx2 s[10:11], s[2:3], 0x0
	s_add_u32 s4, s4, 12
	s_addc_u32 s5, s5, 0
	s_waitcnt lgkmcnt(0)
	v_mul_hi_u32 v7, s9, v4
	s_add_u32 s2, s2, 8
	s_addc_u32 s3, s3, 0
	s_add_i32 s6, s6, -1
	v_add_u32_e32 v7, v4, v7
	v_lshrrev_b32_e32 v7, s7, v7
	v_mul_lo_u32 v10, v7, s8
	s_cmp_lg_u32 s6, 0
	v_sub_u32_e32 v4, v4, v10
	v_mad_u64_u32 v[9:10], s[8:9], v4, s10, v[9:10]
	v_mad_u64_u32 v[11:12], s[8:9], v4, s11, v[11:12]
	v_mov_b32_e32 v4, v7
	s_cbranch_scc1 .LBB157_216
.LBB157_217:
	s_cbranch_execnz .LBB157_220
.LBB157_218:
	s_load_dwordx4 s[4:7], s[34:35], 0x4
	s_load_dwordx2 s[2:3], s[34:35], 0xc4
	s_cmp_lt_u32 s33, 2
	s_waitcnt lgkmcnt(0)
	v_mul_hi_u32 v4, s5, v1
	v_add_u32_e32 v4, v1, v4
	v_lshrrev_b32_e32 v4, s6, v4
	v_mul_lo_u32 v7, v4, s4
	v_sub_u32_e32 v1, v1, v7
	v_mul_lo_u32 v9, v1, s2
	v_mul_lo_u32 v11, v1, s3
	s_cbranch_scc1 .LBB157_220
; %bb.219:
	s_load_dwordx4 s[4:7], s[34:35], 0x10
	s_load_dwordx2 s[2:3], s[34:35], 0xcc
	s_waitcnt lgkmcnt(0)
	v_mul_hi_u32 v1, s5, v4
	v_add_u32_e32 v1, v4, v1
	v_lshrrev_b32_e32 v1, s6, v1
	v_mul_lo_u32 v1, v1, s4
	v_sub_u32_e32 v1, v4, v1
	v_mad_u64_u32 v[9:10], s[4:5], v1, s2, v[9:10]
	v_mad_u64_u32 v[11:12], s[2:3], v1, s3, v[11:12]
.LBB157_220:
	s_and_b64 vcc, exec, s[0:1]
	v_add_u32_e32 v1, 0x200, v19
	s_cbranch_vccnz .LBB157_226
; %bb.221:
	s_cmp_lg_u32 s33, 0
	s_mov_b32 s26, 0
	s_cbranch_scc0 .LBB157_227
; %bb.222:
	s_min_u32 s27, s58, 15
	s_add_i32 s27, s27, 1
	s_cmp_eq_u32 s58, 2
	s_cbranch_scc1 .LBB157_228
; %bb.223:
	s_and_b32 s26, s27, 28
	s_add_u32 s2, s34, 0xc4
	s_addc_u32 s3, s35, 0
	v_mov_b32_e32 v14, 0
	s_mov_b32 s28, 0
	s_mov_b64 s[24:25], s[34:35]
	v_mov_b32_e32 v12, 0
	v_mov_b32_e32 v4, v1
.LBB157_224:                            ; =>This Inner Loop Header: Depth=1
	s_load_dwordx8 s[12:19], s[24:25], 0x4
	s_load_dwordx4 s[20:23], s[24:25], 0x24
	s_load_dwordx8 s[4:11], s[2:3], 0x0
	s_add_u32 s24, s24, 48
	s_addc_u32 s25, s25, 0
	s_waitcnt lgkmcnt(0)
	v_mul_hi_u32 v7, s13, v4
	s_add_i32 s28, s28, 4
	s_add_u32 s2, s2, 32
	s_addc_u32 s3, s3, 0
	v_add_u32_e32 v7, v4, v7
	v_lshrrev_b32_e32 v7, s14, v7
	v_mul_lo_u32 v10, v7, s12
	v_mul_hi_u32 v13, s16, v7
	s_cmp_lg_u32 s26, s28
	v_sub_u32_e32 v4, v4, v10
	v_add_u32_e32 v10, v7, v13
	v_mul_lo_u32 v13, v4, s4
	v_mul_lo_u32 v15, v4, s5
	v_lshrrev_b32_e32 v4, s17, v10
	v_mul_lo_u32 v10, v4, s15
	v_mul_hi_u32 v16, s19, v4
	v_sub_u32_e32 v7, v7, v10
	v_add_u32_e32 v10, v4, v16
	v_lshrrev_b32_e32 v10, s20, v10
	v_mul_hi_u32 v17, s22, v10
	v_mul_lo_u32 v18, v10, s18
	v_mul_lo_u32 v16, v7, s6
	;; [unrolled: 1-line block ×3, first 2 shown]
	v_sub_u32_e32 v18, v4, v18
	v_add_u32_e32 v4, v10, v17
	v_lshrrev_b32_e32 v4, s23, v4
	v_mul_lo_u32 v17, v4, s21
	v_mul_lo_u32 v20, v18, s8
	;; [unrolled: 1-line block ×3, first 2 shown]
	v_add3_u32 v12, v13, v12, v16
	v_sub_u32_e32 v10, v10, v17
	v_mul_lo_u32 v17, v10, s10
	v_mul_lo_u32 v10, v10, s11
	v_add3_u32 v7, v15, v14, v7
	v_add3_u32 v12, v20, v12, v17
	;; [unrolled: 1-line block ×3, first 2 shown]
	s_cbranch_scc1 .LBB157_224
; %bb.225:
	s_and_b32 s6, s27, 3
	s_cmp_eq_u32 s6, 0
	s_cbranch_scc0 .LBB157_229
	s_branch .LBB157_231
.LBB157_226:
                                        ; implicit-def: $vgpr12
                                        ; implicit-def: $vgpr14
	s_branch .LBB157_232
.LBB157_227:
	v_mov_b32_e32 v12, 0
	v_mov_b32_e32 v14, 0
	s_branch .LBB157_231
.LBB157_228:
	v_mov_b32_e32 v12, 0
	v_mov_b32_e32 v14, 0
	;; [unrolled: 1-line block ×3, first 2 shown]
	s_and_b32 s6, s27, 3
	s_cmp_eq_u32 s6, 0
	s_cbranch_scc1 .LBB157_231
.LBB157_229:
	s_lshl_b32 s2, s26, 3
	s_add_u32 s2, s34, s2
	s_addc_u32 s3, s35, 0
	s_add_u32 s2, s2, 0xc4
	s_addc_u32 s3, s3, 0
	s_mul_i32 s4, s26, 12
	s_add_u32 s4, s34, s4
	s_addc_u32 s5, s35, 0
.LBB157_230:                            ; =>This Inner Loop Header: Depth=1
	s_load_dwordx2 s[8:9], s[4:5], 0x4
	s_load_dword s7, s[4:5], 0xc
	s_load_dwordx2 s[10:11], s[2:3], 0x0
	s_add_u32 s4, s4, 12
	s_addc_u32 s5, s5, 0
	s_waitcnt lgkmcnt(0)
	v_mul_hi_u32 v7, s9, v4
	s_add_u32 s2, s2, 8
	s_addc_u32 s3, s3, 0
	s_add_i32 s6, s6, -1
	v_add_u32_e32 v7, v4, v7
	v_lshrrev_b32_e32 v7, s7, v7
	v_mul_lo_u32 v10, v7, s8
	s_cmp_lg_u32 s6, 0
	v_sub_u32_e32 v4, v4, v10
	v_mad_u64_u32 v[12:13], s[8:9], v4, s10, v[12:13]
	v_mad_u64_u32 v[14:15], s[8:9], v4, s11, v[14:15]
	v_mov_b32_e32 v4, v7
	s_cbranch_scc1 .LBB157_230
.LBB157_231:
	s_cbranch_execnz .LBB157_234
.LBB157_232:
	s_load_dwordx4 s[4:7], s[34:35], 0x4
	s_load_dwordx2 s[2:3], s[34:35], 0xc4
	s_cmp_lt_u32 s33, 2
	s_waitcnt lgkmcnt(0)
	v_mul_hi_u32 v4, s5, v1
	v_add_u32_e32 v4, v1, v4
	v_lshrrev_b32_e32 v4, s6, v4
	v_mul_lo_u32 v7, v4, s4
	v_sub_u32_e32 v1, v1, v7
	v_mul_lo_u32 v12, v1, s2
	v_mul_lo_u32 v14, v1, s3
	s_cbranch_scc1 .LBB157_234
; %bb.233:
	s_load_dwordx4 s[4:7], s[34:35], 0x10
	s_load_dwordx2 s[2:3], s[34:35], 0xcc
	s_waitcnt lgkmcnt(0)
	v_mul_hi_u32 v1, s5, v4
	v_add_u32_e32 v1, v4, v1
	v_lshrrev_b32_e32 v1, s6, v1
	v_mul_lo_u32 v1, v1, s4
	v_sub_u32_e32 v1, v4, v1
	v_mad_u64_u32 v[12:13], s[4:5], v1, s2, v[12:13]
	v_mad_u64_u32 v[14:15], s[2:3], v1, s3, v[14:15]
.LBB157_234:
	s_and_b64 vcc, exec, s[0:1]
	v_add_u32_e32 v1, 0x280, v19
	s_cbranch_vccnz .LBB157_240
; %bb.235:
	s_cmp_lg_u32 s33, 0
	s_mov_b32 s26, 0
	s_cbranch_scc0 .LBB157_241
; %bb.236:
	s_min_u32 s27, s58, 15
	s_add_i32 s27, s27, 1
	s_cmp_eq_u32 s58, 2
	s_cbranch_scc1 .LBB157_242
; %bb.237:
	s_and_b32 s26, s27, 28
	s_add_u32 s2, s34, 0xc4
	s_addc_u32 s3, s35, 0
	v_mov_b32_e32 v17, 0
	s_mov_b32 s28, 0
	s_mov_b64 s[24:25], s[34:35]
	v_mov_b32_e32 v15, 0
	v_mov_b32_e32 v4, v1
.LBB157_238:                            ; =>This Inner Loop Header: Depth=1
	s_load_dwordx8 s[12:19], s[24:25], 0x4
	s_load_dwordx4 s[20:23], s[24:25], 0x24
	s_load_dwordx8 s[4:11], s[2:3], 0x0
	s_add_u32 s24, s24, 48
	s_addc_u32 s25, s25, 0
	s_waitcnt lgkmcnt(0)
	v_mul_hi_u32 v7, s13, v4
	s_add_i32 s28, s28, 4
	s_add_u32 s2, s2, 32
	s_addc_u32 s3, s3, 0
	v_add_u32_e32 v7, v4, v7
	v_lshrrev_b32_e32 v7, s14, v7
	v_mul_lo_u32 v10, v7, s12
	v_mul_hi_u32 v13, s16, v7
	s_cmp_lg_u32 s26, s28
	v_sub_u32_e32 v4, v4, v10
	v_add_u32_e32 v10, v7, v13
	v_mul_lo_u32 v13, v4, s4
	v_mul_lo_u32 v16, v4, s5
	v_lshrrev_b32_e32 v4, s17, v10
	v_mul_lo_u32 v10, v4, s15
	v_mul_hi_u32 v18, s19, v4
	v_sub_u32_e32 v7, v7, v10
	v_add_u32_e32 v10, v4, v18
	v_lshrrev_b32_e32 v10, s20, v10
	v_mul_hi_u32 v20, s22, v10
	v_mul_lo_u32 v21, v10, s18
	v_mul_lo_u32 v18, v7, s6
	;; [unrolled: 1-line block ×3, first 2 shown]
	v_sub_u32_e32 v21, v4, v21
	v_add_u32_e32 v4, v10, v20
	v_lshrrev_b32_e32 v4, s23, v4
	v_mul_lo_u32 v20, v4, s21
	v_mul_lo_u32 v22, v21, s8
	;; [unrolled: 1-line block ×3, first 2 shown]
	v_add3_u32 v13, v13, v15, v18
	v_sub_u32_e32 v10, v10, v20
	v_mul_lo_u32 v20, v10, s10
	v_mul_lo_u32 v10, v10, s11
	v_add3_u32 v7, v16, v17, v7
	v_add3_u32 v15, v22, v13, v20
	;; [unrolled: 1-line block ×3, first 2 shown]
	s_cbranch_scc1 .LBB157_238
; %bb.239:
	s_and_b32 s6, s27, 3
	s_cmp_eq_u32 s6, 0
	s_cbranch_scc0 .LBB157_243
	s_branch .LBB157_245
.LBB157_240:
                                        ; implicit-def: $vgpr15
                                        ; implicit-def: $vgpr17
	s_branch .LBB157_246
.LBB157_241:
	v_mov_b32_e32 v15, 0
	v_mov_b32_e32 v17, 0
	s_branch .LBB157_245
.LBB157_242:
	v_mov_b32_e32 v15, 0
	v_mov_b32_e32 v17, 0
	;; [unrolled: 1-line block ×3, first 2 shown]
	s_and_b32 s6, s27, 3
	s_cmp_eq_u32 s6, 0
	s_cbranch_scc1 .LBB157_245
.LBB157_243:
	s_lshl_b32 s2, s26, 3
	s_add_u32 s2, s34, s2
	s_addc_u32 s3, s35, 0
	s_add_u32 s2, s2, 0xc4
	s_addc_u32 s3, s3, 0
	s_mul_i32 s4, s26, 12
	s_add_u32 s4, s34, s4
	s_addc_u32 s5, s35, 0
.LBB157_244:                            ; =>This Inner Loop Header: Depth=1
	s_load_dwordx2 s[8:9], s[4:5], 0x4
	s_load_dword s7, s[4:5], 0xc
	s_load_dwordx2 s[10:11], s[2:3], 0x0
	s_add_u32 s4, s4, 12
	s_addc_u32 s5, s5, 0
	s_waitcnt lgkmcnt(0)
	v_mul_hi_u32 v7, s9, v4
	s_add_u32 s2, s2, 8
	s_addc_u32 s3, s3, 0
	s_add_i32 s6, s6, -1
	v_add_u32_e32 v7, v4, v7
	v_lshrrev_b32_e32 v7, s7, v7
	v_mul_lo_u32 v10, v7, s8
	s_cmp_lg_u32 s6, 0
	v_sub_u32_e32 v4, v4, v10
	v_mad_u64_u32 v[15:16], s[8:9], v4, s10, v[15:16]
	v_mad_u64_u32 v[17:18], s[8:9], v4, s11, v[17:18]
	v_mov_b32_e32 v4, v7
	s_cbranch_scc1 .LBB157_244
.LBB157_245:
	s_cbranch_execnz .LBB157_248
.LBB157_246:
	s_load_dwordx4 s[4:7], s[34:35], 0x4
	s_load_dwordx2 s[2:3], s[34:35], 0xc4
	s_cmp_lt_u32 s33, 2
	s_waitcnt lgkmcnt(0)
	v_mul_hi_u32 v4, s5, v1
	v_add_u32_e32 v4, v1, v4
	v_lshrrev_b32_e32 v4, s6, v4
	v_mul_lo_u32 v7, v4, s4
	v_sub_u32_e32 v1, v1, v7
	v_mul_lo_u32 v15, v1, s2
	v_mul_lo_u32 v17, v1, s3
	s_cbranch_scc1 .LBB157_248
; %bb.247:
	s_load_dwordx4 s[4:7], s[34:35], 0x10
	s_load_dwordx2 s[2:3], s[34:35], 0xcc
	s_waitcnt lgkmcnt(0)
	v_mul_hi_u32 v1, s5, v4
	v_add_u32_e32 v1, v4, v1
	v_lshrrev_b32_e32 v1, s6, v1
	v_mul_lo_u32 v1, v1, s4
	v_sub_u32_e32 v1, v4, v1
	v_mad_u64_u32 v[15:16], s[4:5], v1, s2, v[15:16]
	v_mad_u64_u32 v[17:18], s[2:3], v1, s3, v[17:18]
.LBB157_248:
	s_and_b64 vcc, exec, s[0:1]
	v_add_u32_e32 v1, 0x300, v19
	s_cbranch_vccnz .LBB157_254
; %bb.249:
	s_cmp_lg_u32 s33, 0
	s_mov_b32 s26, 0
	s_cbranch_scc0 .LBB157_255
; %bb.250:
	s_min_u32 s27, s58, 15
	s_add_i32 s27, s27, 1
	s_cmp_eq_u32 s58, 2
	s_cbranch_scc1 .LBB157_256
; %bb.251:
	s_and_b32 s26, s27, 28
	s_add_u32 s2, s34, 0xc4
	s_addc_u32 s3, s35, 0
	v_mov_b32_e32 v20, 0
	s_mov_b32 s28, 0
	s_mov_b64 s[24:25], s[34:35]
	v_mov_b32_e32 v18, 0
	v_mov_b32_e32 v4, v1
.LBB157_252:                            ; =>This Inner Loop Header: Depth=1
	s_load_dwordx8 s[12:19], s[24:25], 0x4
	s_load_dwordx4 s[20:23], s[24:25], 0x24
	s_load_dwordx8 s[4:11], s[2:3], 0x0
	s_add_u32 s24, s24, 48
	s_addc_u32 s25, s25, 0
	s_waitcnt lgkmcnt(0)
	v_mul_hi_u32 v7, s13, v4
	s_add_i32 s28, s28, 4
	s_add_u32 s2, s2, 32
	s_addc_u32 s3, s3, 0
	v_add_u32_e32 v7, v4, v7
	v_lshrrev_b32_e32 v7, s14, v7
	v_mul_lo_u32 v10, v7, s12
	v_mul_hi_u32 v13, s16, v7
	s_cmp_lg_u32 s26, s28
	v_sub_u32_e32 v4, v4, v10
	v_add_u32_e32 v10, v7, v13
	v_mul_lo_u32 v13, v4, s4
	v_mul_lo_u32 v16, v4, s5
	v_lshrrev_b32_e32 v4, s17, v10
	v_mul_lo_u32 v10, v4, s15
	v_mul_hi_u32 v19, s19, v4
	v_sub_u32_e32 v7, v7, v10
	v_add_u32_e32 v10, v4, v19
	v_lshrrev_b32_e32 v10, s20, v10
	v_mul_hi_u32 v21, s22, v10
	v_mul_lo_u32 v22, v10, s18
	v_mul_lo_u32 v19, v7, s6
	;; [unrolled: 1-line block ×3, first 2 shown]
	v_sub_u32_e32 v22, v4, v22
	v_add_u32_e32 v4, v10, v21
	v_lshrrev_b32_e32 v4, s23, v4
	v_mul_lo_u32 v21, v4, s21
	v_mul_lo_u32 v23, v22, s8
	;; [unrolled: 1-line block ×3, first 2 shown]
	v_add3_u32 v13, v13, v18, v19
	v_sub_u32_e32 v10, v10, v21
	v_mul_lo_u32 v21, v10, s10
	v_mul_lo_u32 v10, v10, s11
	v_add3_u32 v7, v16, v20, v7
	v_add3_u32 v18, v23, v13, v21
	;; [unrolled: 1-line block ×3, first 2 shown]
	s_cbranch_scc1 .LBB157_252
; %bb.253:
	s_and_b32 s6, s27, 3
	s_cmp_eq_u32 s6, 0
	s_cbranch_scc0 .LBB157_257
	s_branch .LBB157_259
.LBB157_254:
                                        ; implicit-def: $vgpr18
                                        ; implicit-def: $vgpr20
	s_branch .LBB157_260
.LBB157_255:
	v_mov_b32_e32 v18, 0
	v_mov_b32_e32 v20, 0
	s_branch .LBB157_259
.LBB157_256:
	v_mov_b32_e32 v18, 0
	v_mov_b32_e32 v20, 0
	;; [unrolled: 1-line block ×3, first 2 shown]
	s_and_b32 s6, s27, 3
	s_cmp_eq_u32 s6, 0
	s_cbranch_scc1 .LBB157_259
.LBB157_257:
	s_lshl_b32 s2, s26, 3
	s_add_u32 s2, s34, s2
	s_addc_u32 s3, s35, 0
	s_add_u32 s2, s2, 0xc4
	s_addc_u32 s3, s3, 0
	s_mul_i32 s4, s26, 12
	s_add_u32 s4, s34, s4
	s_addc_u32 s5, s35, 0
.LBB157_258:                            ; =>This Inner Loop Header: Depth=1
	s_load_dwordx2 s[8:9], s[4:5], 0x4
	s_load_dword s7, s[4:5], 0xc
	s_load_dwordx2 s[10:11], s[2:3], 0x0
	s_add_u32 s4, s4, 12
	s_addc_u32 s5, s5, 0
	s_waitcnt lgkmcnt(0)
	v_mul_hi_u32 v7, s9, v4
	s_add_u32 s2, s2, 8
	s_addc_u32 s3, s3, 0
	s_add_i32 s6, s6, -1
	v_add_u32_e32 v7, v4, v7
	v_lshrrev_b32_e32 v7, s7, v7
	v_mul_lo_u32 v10, v7, s8
	s_cmp_lg_u32 s6, 0
	v_sub_u32_e32 v4, v4, v10
	v_mad_u64_u32 v[18:19], s[8:9], v4, s10, v[18:19]
	v_mad_u64_u32 v[20:21], s[8:9], v4, s11, v[20:21]
	v_mov_b32_e32 v4, v7
	s_cbranch_scc1 .LBB157_258
.LBB157_259:
	s_cbranch_execnz .LBB157_262
.LBB157_260:
	s_load_dwordx4 s[4:7], s[34:35], 0x4
	s_load_dwordx2 s[2:3], s[34:35], 0xc4
	s_cmp_lt_u32 s33, 2
	s_waitcnt lgkmcnt(0)
	v_mul_hi_u32 v4, s5, v1
	v_add_u32_e32 v4, v1, v4
	v_lshrrev_b32_e32 v4, s6, v4
	v_mul_lo_u32 v7, v4, s4
	v_sub_u32_e32 v1, v1, v7
	v_mul_lo_u32 v18, v1, s2
	v_mul_lo_u32 v20, v1, s3
	s_cbranch_scc1 .LBB157_262
; %bb.261:
	s_load_dwordx4 s[4:7], s[34:35], 0x10
	s_load_dwordx2 s[2:3], s[34:35], 0xcc
	s_waitcnt lgkmcnt(0)
	v_mul_hi_u32 v1, s5, v4
	v_add_u32_e32 v1, v4, v1
	v_lshrrev_b32_e32 v1, s6, v1
	v_mul_lo_u32 v1, v1, s4
	v_sub_u32_e32 v1, v4, v1
	v_mad_u64_u32 v[18:19], s[4:5], v1, s2, v[18:19]
	v_mad_u64_u32 v[20:21], s[2:3], v1, s3, v[20:21]
.LBB157_262:
	s_and_b64 vcc, exec, s[0:1]
	s_cbranch_vccnz .LBB157_268
; %bb.263:
	s_cmp_lg_u32 s33, 0
	s_mov_b32 s24, 0
	s_cbranch_scc0 .LBB157_269
; %bb.264:
	s_min_u32 s25, s58, 15
	s_add_i32 s25, s25, 1
	s_cmp_eq_u32 s58, 2
	s_cbranch_scc1 .LBB157_270
; %bb.265:
	s_and_b32 s24, s25, 28
	s_add_u32 s20, s34, 0xc4
	s_addc_u32 s21, s35, 0
	v_mov_b32_e32 v23, 0
	s_mov_b32 s26, 0
	s_mov_b64 s[22:23], s[34:35]
	v_mov_b32_e32 v21, 0
	v_mov_b32_e32 v1, v25
.LBB157_266:                            ; =>This Inner Loop Header: Depth=1
	s_load_dwordx8 s[8:15], s[22:23], 0x4
	s_load_dwordx4 s[16:19], s[22:23], 0x24
	s_load_dwordx8 s[0:7], s[20:21], 0x0
	s_add_u32 s22, s22, 48
	s_addc_u32 s23, s23, 0
	s_waitcnt lgkmcnt(0)
	v_mul_hi_u32 v4, s9, v1
	s_add_i32 s26, s26, 4
	s_add_u32 s20, s20, 32
	s_addc_u32 s21, s21, 0
	v_add_u32_e32 v4, v1, v4
	v_lshrrev_b32_e32 v4, s10, v4
	v_mul_lo_u32 v7, v4, s8
	v_mul_hi_u32 v10, s12, v4
	s_cmp_lg_u32 s24, s26
	v_sub_u32_e32 v1, v1, v7
	v_add_u32_e32 v7, v4, v10
	v_mul_lo_u32 v10, v1, s0
	v_mul_lo_u32 v13, v1, s1
	v_lshrrev_b32_e32 v1, s13, v7
	v_mul_lo_u32 v7, v1, s11
	v_mul_hi_u32 v16, s15, v1
	v_sub_u32_e32 v4, v4, v7
	v_add_u32_e32 v7, v1, v16
	v_lshrrev_b32_e32 v7, s16, v7
	v_mul_hi_u32 v19, s18, v7
	v_mul_lo_u32 v22, v7, s14
	v_mul_lo_u32 v16, v4, s2
	v_mul_lo_u32 v4, v4, s3
	v_sub_u32_e32 v22, v1, v22
	v_add_u32_e32 v1, v7, v19
	v_lshrrev_b32_e32 v1, s19, v1
	v_mul_lo_u32 v19, v1, s17
	v_mul_lo_u32 v24, v22, s4
	;; [unrolled: 1-line block ×3, first 2 shown]
	v_add3_u32 v10, v10, v21, v16
	v_sub_u32_e32 v7, v7, v19
	v_mul_lo_u32 v19, v7, s6
	v_mul_lo_u32 v7, v7, s7
	v_add3_u32 v4, v13, v23, v4
	v_add3_u32 v21, v24, v10, v19
	v_add3_u32 v23, v22, v4, v7
	s_cbranch_scc1 .LBB157_266
; %bb.267:
	s_and_b32 s4, s25, 3
	s_cmp_eq_u32 s4, 0
	s_cbranch_scc0 .LBB157_271
	s_branch .LBB157_273
.LBB157_268:
                                        ; implicit-def: $vgpr21
                                        ; implicit-def: $vgpr23
	s_branch .LBB157_274
.LBB157_269:
	v_mov_b32_e32 v21, 0
	v_mov_b32_e32 v23, 0
	s_branch .LBB157_273
.LBB157_270:
	v_mov_b32_e32 v21, 0
	v_mov_b32_e32 v23, 0
	;; [unrolled: 1-line block ×3, first 2 shown]
	s_and_b32 s4, s25, 3
	s_cmp_eq_u32 s4, 0
	s_cbranch_scc1 .LBB157_273
.LBB157_271:
	s_lshl_b32 s0, s24, 3
	s_add_u32 s0, s34, s0
	s_addc_u32 s1, s35, 0
	s_add_u32 s0, s0, 0xc4
	s_addc_u32 s1, s1, 0
	s_mul_i32 s2, s24, 12
	s_add_u32 s2, s34, s2
	s_addc_u32 s3, s35, 0
.LBB157_272:                            ; =>This Inner Loop Header: Depth=1
	s_load_dwordx2 s[6:7], s[2:3], 0x4
	s_load_dword s5, s[2:3], 0xc
	s_load_dwordx2 s[8:9], s[0:1], 0x0
	s_add_u32 s2, s2, 12
	s_addc_u32 s3, s3, 0
	s_waitcnt lgkmcnt(0)
	v_mul_hi_u32 v4, s7, v1
	s_add_u32 s0, s0, 8
	s_addc_u32 s1, s1, 0
	s_add_i32 s4, s4, -1
	v_add_u32_e32 v4, v1, v4
	v_lshrrev_b32_e32 v4, s5, v4
	v_mul_lo_u32 v7, v4, s6
	s_cmp_lg_u32 s4, 0
	v_sub_u32_e32 v1, v1, v7
	v_mad_u64_u32 v[21:22], s[6:7], v1, s8, v[21:22]
	v_mad_u64_u32 v[23:24], s[6:7], v1, s9, v[23:24]
	v_mov_b32_e32 v1, v4
	s_cbranch_scc1 .LBB157_272
.LBB157_273:
	s_cbranch_execnz .LBB157_276
.LBB157_274:
	s_load_dwordx4 s[0:3], s[34:35], 0x4
	s_load_dwordx2 s[4:5], s[34:35], 0xc4
	s_cmp_lt_u32 s33, 2
	s_waitcnt lgkmcnt(0)
	v_mul_hi_u32 v1, s1, v25
	v_add_u32_e32 v1, v25, v1
	v_lshrrev_b32_e32 v1, s2, v1
	v_mul_lo_u32 v4, v1, s0
	v_sub_u32_e32 v4, v25, v4
	v_mul_lo_u32 v21, v4, s4
	v_mul_lo_u32 v23, v4, s5
	s_cbranch_scc1 .LBB157_276
; %bb.275:
	s_load_dwordx4 s[0:3], s[34:35], 0x10
	s_load_dwordx2 s[4:5], s[34:35], 0xcc
	s_waitcnt lgkmcnt(0)
	v_mul_hi_u32 v4, s1, v1
	v_add_u32_e32 v4, v1, v4
	v_lshrrev_b32_e32 v4, s2, v4
	v_mul_lo_u32 v4, v4, s0
	v_sub_u32_e32 v1, v1, v4
	v_mad_u64_u32 v[21:22], s[0:1], v1, s4, v[21:22]
	v_mad_u64_u32 v[23:24], s[0:1], v1, s5, v[23:24]
.LBB157_276:
	s_load_dwordx4 s[0:3], s[34:35], 0x148
	s_load_dwordx2 s[4:5], s[34:35], 0x158
	s_waitcnt lgkmcnt(0)
	global_load_dword v1, v2, s[2:3]
	s_lshr_b32 s24, s5, 16
	s_cmp_lg_u32 s4, 0
	s_cselect_b64 s[8:9], -1, 0
	s_and_b64 vcc, exec, s[8:9]
	s_cbranch_vccz .LBB157_301
; %bb.277:
	s_waitcnt vmcnt(0)
	v_cmp_neq_f16_e32 vcc, s5, v1
	v_cmp_neq_f16_sdwa s[6:7], s24, v1 src0_sel:DWORD src1_sel:WORD_1
	s_or_b64 s[6:7], vcc, s[6:7]
	s_cbranch_execnz .LBB157_279
.LBB157_278:
	s_waitcnt vmcnt(0)
	v_cmp_eq_f16_e32 vcc, s5, v1
	v_cmp_eq_f16_sdwa s[10:11], s24, v1 src0_sel:DWORD src1_sel:WORD_1
	s_and_b64 s[10:11], vcc, s[10:11]
	s_andn2_b64 s[6:7], s[6:7], exec
	s_and_b64 s[10:11], s[10:11], exec
	s_or_b64 s[6:7], s[6:7], s[10:11]
.LBB157_279:
	global_load_dword v1, v5, s[2:3]
	s_and_b64 vcc, exec, s[8:9]
	s_cbranch_vccz .LBB157_302
; %bb.280:
	s_waitcnt vmcnt(0)
	v_cmp_neq_f16_e32 vcc, s5, v1
	v_cmp_neq_f16_sdwa s[10:11], s24, v1 src0_sel:DWORD src1_sel:WORD_1
	s_or_b64 s[10:11], vcc, s[10:11]
	s_cbranch_execnz .LBB157_282
.LBB157_281:
	s_waitcnt vmcnt(0)
	v_cmp_eq_f16_e32 vcc, s5, v1
	v_cmp_eq_f16_sdwa s[12:13], s24, v1 src0_sel:DWORD src1_sel:WORD_1
	s_and_b64 s[12:13], vcc, s[12:13]
	s_andn2_b64 s[10:11], s[10:11], exec
	s_and_b64 s[12:13], s[12:13], exec
	s_or_b64 s[10:11], s[10:11], s[12:13]
.LBB157_282:
	global_load_dword v1, v8, s[2:3]
	s_and_b64 vcc, exec, s[8:9]
	s_cbranch_vccz .LBB157_303
; %bb.283:
	s_waitcnt vmcnt(0)
	v_cmp_neq_f16_e32 vcc, s5, v1
	v_cmp_neq_f16_sdwa s[12:13], s24, v1 src0_sel:DWORD src1_sel:WORD_1
	s_or_b64 s[12:13], vcc, s[12:13]
	s_cbranch_execnz .LBB157_285
.LBB157_284:
	s_waitcnt vmcnt(0)
	v_cmp_eq_f16_e32 vcc, s5, v1
	v_cmp_eq_f16_sdwa s[14:15], s24, v1 src0_sel:DWORD src1_sel:WORD_1
	s_and_b64 s[14:15], vcc, s[14:15]
	s_andn2_b64 s[12:13], s[12:13], exec
	s_and_b64 s[14:15], s[14:15], exec
	s_or_b64 s[12:13], s[12:13], s[14:15]
.LBB157_285:
	global_load_dword v1, v11, s[2:3]
	s_and_b64 vcc, exec, s[8:9]
	s_cbranch_vccz .LBB157_304
; %bb.286:
	s_waitcnt vmcnt(0)
	v_cmp_neq_f16_e32 vcc, s5, v1
	v_cmp_neq_f16_sdwa s[14:15], s24, v1 src0_sel:DWORD src1_sel:WORD_1
	s_or_b64 s[14:15], vcc, s[14:15]
	s_cbranch_execnz .LBB157_288
.LBB157_287:
	s_waitcnt vmcnt(0)
	v_cmp_eq_f16_e32 vcc, s5, v1
	v_cmp_eq_f16_sdwa s[16:17], s24, v1 src0_sel:DWORD src1_sel:WORD_1
	s_and_b64 s[16:17], vcc, s[16:17]
	s_andn2_b64 s[14:15], s[14:15], exec
	s_and_b64 s[16:17], s[16:17], exec
	s_or_b64 s[14:15], s[14:15], s[16:17]
.LBB157_288:
	global_load_dword v1, v14, s[2:3]
	s_and_b64 vcc, exec, s[8:9]
	s_cbranch_vccz .LBB157_305
; %bb.289:
	s_waitcnt vmcnt(0)
	v_cmp_neq_f16_e32 vcc, s5, v1
	v_cmp_neq_f16_sdwa s[16:17], s24, v1 src0_sel:DWORD src1_sel:WORD_1
	s_or_b64 s[16:17], vcc, s[16:17]
	s_cbranch_execnz .LBB157_291
.LBB157_290:
	s_waitcnt vmcnt(0)
	v_cmp_eq_f16_e32 vcc, s5, v1
	v_cmp_eq_f16_sdwa s[18:19], s24, v1 src0_sel:DWORD src1_sel:WORD_1
	s_and_b64 s[18:19], vcc, s[18:19]
	s_andn2_b64 s[16:17], s[16:17], exec
	s_and_b64 s[18:19], s[18:19], exec
	s_or_b64 s[16:17], s[16:17], s[18:19]
.LBB157_291:
	global_load_dword v1, v17, s[2:3]
	s_and_b64 vcc, exec, s[8:9]
	s_cbranch_vccz .LBB157_306
; %bb.292:
	s_waitcnt vmcnt(0)
	v_cmp_neq_f16_e32 vcc, s5, v1
	v_cmp_neq_f16_sdwa s[18:19], s24, v1 src0_sel:DWORD src1_sel:WORD_1
	s_or_b64 s[18:19], vcc, s[18:19]
	s_cbranch_execnz .LBB157_294
.LBB157_293:
	s_waitcnt vmcnt(0)
	v_cmp_eq_f16_e32 vcc, s5, v1
	v_cmp_eq_f16_sdwa s[20:21], s24, v1 src0_sel:DWORD src1_sel:WORD_1
	s_and_b64 s[20:21], vcc, s[20:21]
	s_andn2_b64 s[18:19], s[18:19], exec
	s_and_b64 s[20:21], s[20:21], exec
	s_or_b64 s[18:19], s[18:19], s[20:21]
.LBB157_294:
	global_load_dword v1, v20, s[2:3]
	s_and_b64 vcc, exec, s[8:9]
	s_cbranch_vccz .LBB157_307
; %bb.295:
	s_waitcnt vmcnt(0)
	v_cmp_neq_f16_e32 vcc, s5, v1
	v_cmp_neq_f16_sdwa s[20:21], s24, v1 src0_sel:DWORD src1_sel:WORD_1
	s_or_b64 s[20:21], vcc, s[20:21]
	s_cbranch_execnz .LBB157_297
.LBB157_296:
	s_waitcnt vmcnt(0)
	v_cmp_eq_f16_e32 vcc, s5, v1
	v_cmp_eq_f16_sdwa s[22:23], s24, v1 src0_sel:DWORD src1_sel:WORD_1
	s_and_b64 s[22:23], vcc, s[22:23]
	s_andn2_b64 s[20:21], s[20:21], exec
	s_and_b64 s[22:23], s[22:23], exec
	s_or_b64 s[20:21], s[20:21], s[22:23]
.LBB157_297:
	global_load_dword v1, v23, s[2:3]
	s_and_b64 vcc, exec, s[8:9]
	s_cbranch_vccz .LBB157_308
; %bb.298:
	s_waitcnt vmcnt(0)
	v_cmp_neq_f16_e32 vcc, s5, v1
	v_cmp_neq_f16_sdwa s[2:3], s24, v1 src0_sel:DWORD src1_sel:WORD_1
	s_or_b64 s[2:3], vcc, s[2:3]
	s_cbranch_execnz .LBB157_300
.LBB157_299:
	s_waitcnt vmcnt(0)
	v_cmp_eq_f16_e32 vcc, s5, v1
	v_cmp_eq_f16_sdwa s[4:5], s24, v1 src0_sel:DWORD src1_sel:WORD_1
	s_and_b64 s[4:5], vcc, s[4:5]
	s_andn2_b64 s[2:3], s[2:3], exec
	s_and_b64 s[4:5], s[4:5], exec
	s_or_b64 s[2:3], s[2:3], s[4:5]
.LBB157_300:
	v_cndmask_b32_e64 v10, 0, 1, s[6:7]
	s_waitcnt vmcnt(0)
	v_cndmask_b32_e64 v1, 0, 1, s[20:21]
	v_cndmask_b32_e64 v2, 0, 1, s[18:19]
	;; [unrolled: 1-line block ×7, first 2 shown]
	global_store_byte v0, v10, s[0:1]
	global_store_byte v3, v8, s[0:1]
	;; [unrolled: 1-line block ×8, first 2 shown]
	s_endpgm
.LBB157_301:
                                        ; implicit-def: $sgpr6_sgpr7
	s_branch .LBB157_278
.LBB157_302:
                                        ; implicit-def: $sgpr10_sgpr11
	s_branch .LBB157_281
.LBB157_303:
                                        ; implicit-def: $sgpr12_sgpr13
	s_branch .LBB157_284
.LBB157_304:
                                        ; implicit-def: $sgpr14_sgpr15
	s_branch .LBB157_287
.LBB157_305:
                                        ; implicit-def: $sgpr16_sgpr17
	s_branch .LBB157_290
.LBB157_306:
                                        ; implicit-def: $sgpr18_sgpr19
	s_branch .LBB157_293
.LBB157_307:
                                        ; implicit-def: $sgpr20_sgpr21
	s_branch .LBB157_296
.LBB157_308:
                                        ; implicit-def: $sgpr2_sgpr3
	s_branch .LBB157_299
	.section	.rodata,"a",@progbits
	.p2align	6, 0x0
	.amdhsa_kernel _ZN2at6native32elementwise_kernel_manual_unrollILi128ELi8EZNS0_22gpu_kernel_impl_nocastINS0_13AUnaryFunctorIN3c107complexINS4_4HalfEEES7_bNS0_12_GLOBAL__N_116CompareEqFunctorIS7_EEEEEEvRNS_18TensorIteratorBaseERKT_EUlibE_EEviT1_
		.amdhsa_group_segment_fixed_size 0
		.amdhsa_private_segment_fixed_size 0
		.amdhsa_kernarg_size 360
		.amdhsa_user_sgpr_count 6
		.amdhsa_user_sgpr_private_segment_buffer 1
		.amdhsa_user_sgpr_dispatch_ptr 0
		.amdhsa_user_sgpr_queue_ptr 0
		.amdhsa_user_sgpr_kernarg_segment_ptr 1
		.amdhsa_user_sgpr_dispatch_id 0
		.amdhsa_user_sgpr_flat_scratch_init 0
		.amdhsa_user_sgpr_private_segment_size 0
		.amdhsa_uses_dynamic_stack 0
		.amdhsa_system_sgpr_private_segment_wavefront_offset 0
		.amdhsa_system_sgpr_workgroup_id_x 1
		.amdhsa_system_sgpr_workgroup_id_y 0
		.amdhsa_system_sgpr_workgroup_id_z 0
		.amdhsa_system_sgpr_workgroup_info 0
		.amdhsa_system_vgpr_workitem_id 0
		.amdhsa_next_free_vgpr 26
		.amdhsa_next_free_sgpr 64
		.amdhsa_reserve_vcc 1
		.amdhsa_reserve_flat_scratch 0
		.amdhsa_float_round_mode_32 0
		.amdhsa_float_round_mode_16_64 0
		.amdhsa_float_denorm_mode_32 3
		.amdhsa_float_denorm_mode_16_64 3
		.amdhsa_dx10_clamp 1
		.amdhsa_ieee_mode 1
		.amdhsa_fp16_overflow 0
		.amdhsa_exception_fp_ieee_invalid_op 0
		.amdhsa_exception_fp_denorm_src 0
		.amdhsa_exception_fp_ieee_div_zero 0
		.amdhsa_exception_fp_ieee_overflow 0
		.amdhsa_exception_fp_ieee_underflow 0
		.amdhsa_exception_fp_ieee_inexact 0
		.amdhsa_exception_int_div_zero 0
	.end_amdhsa_kernel
	.section	.text._ZN2at6native32elementwise_kernel_manual_unrollILi128ELi8EZNS0_22gpu_kernel_impl_nocastINS0_13AUnaryFunctorIN3c107complexINS4_4HalfEEES7_bNS0_12_GLOBAL__N_116CompareEqFunctorIS7_EEEEEEvRNS_18TensorIteratorBaseERKT_EUlibE_EEviT1_,"axG",@progbits,_ZN2at6native32elementwise_kernel_manual_unrollILi128ELi8EZNS0_22gpu_kernel_impl_nocastINS0_13AUnaryFunctorIN3c107complexINS4_4HalfEEES7_bNS0_12_GLOBAL__N_116CompareEqFunctorIS7_EEEEEEvRNS_18TensorIteratorBaseERKT_EUlibE_EEviT1_,comdat
.Lfunc_end157:
	.size	_ZN2at6native32elementwise_kernel_manual_unrollILi128ELi8EZNS0_22gpu_kernel_impl_nocastINS0_13AUnaryFunctorIN3c107complexINS4_4HalfEEES7_bNS0_12_GLOBAL__N_116CompareEqFunctorIS7_EEEEEEvRNS_18TensorIteratorBaseERKT_EUlibE_EEviT1_, .Lfunc_end157-_ZN2at6native32elementwise_kernel_manual_unrollILi128ELi8EZNS0_22gpu_kernel_impl_nocastINS0_13AUnaryFunctorIN3c107complexINS4_4HalfEEES7_bNS0_12_GLOBAL__N_116CompareEqFunctorIS7_EEEEEEvRNS_18TensorIteratorBaseERKT_EUlibE_EEviT1_
                                        ; -- End function
	.set _ZN2at6native32elementwise_kernel_manual_unrollILi128ELi8EZNS0_22gpu_kernel_impl_nocastINS0_13AUnaryFunctorIN3c107complexINS4_4HalfEEES7_bNS0_12_GLOBAL__N_116CompareEqFunctorIS7_EEEEEEvRNS_18TensorIteratorBaseERKT_EUlibE_EEviT1_.num_vgpr, 26
	.set _ZN2at6native32elementwise_kernel_manual_unrollILi128ELi8EZNS0_22gpu_kernel_impl_nocastINS0_13AUnaryFunctorIN3c107complexINS4_4HalfEEES7_bNS0_12_GLOBAL__N_116CompareEqFunctorIS7_EEEEEEvRNS_18TensorIteratorBaseERKT_EUlibE_EEviT1_.num_agpr, 0
	.set _ZN2at6native32elementwise_kernel_manual_unrollILi128ELi8EZNS0_22gpu_kernel_impl_nocastINS0_13AUnaryFunctorIN3c107complexINS4_4HalfEEES7_bNS0_12_GLOBAL__N_116CompareEqFunctorIS7_EEEEEEvRNS_18TensorIteratorBaseERKT_EUlibE_EEviT1_.numbered_sgpr, 64
	.set _ZN2at6native32elementwise_kernel_manual_unrollILi128ELi8EZNS0_22gpu_kernel_impl_nocastINS0_13AUnaryFunctorIN3c107complexINS4_4HalfEEES7_bNS0_12_GLOBAL__N_116CompareEqFunctorIS7_EEEEEEvRNS_18TensorIteratorBaseERKT_EUlibE_EEviT1_.num_named_barrier, 0
	.set _ZN2at6native32elementwise_kernel_manual_unrollILi128ELi8EZNS0_22gpu_kernel_impl_nocastINS0_13AUnaryFunctorIN3c107complexINS4_4HalfEEES7_bNS0_12_GLOBAL__N_116CompareEqFunctorIS7_EEEEEEvRNS_18TensorIteratorBaseERKT_EUlibE_EEviT1_.private_seg_size, 0
	.set _ZN2at6native32elementwise_kernel_manual_unrollILi128ELi8EZNS0_22gpu_kernel_impl_nocastINS0_13AUnaryFunctorIN3c107complexINS4_4HalfEEES7_bNS0_12_GLOBAL__N_116CompareEqFunctorIS7_EEEEEEvRNS_18TensorIteratorBaseERKT_EUlibE_EEviT1_.uses_vcc, 1
	.set _ZN2at6native32elementwise_kernel_manual_unrollILi128ELi8EZNS0_22gpu_kernel_impl_nocastINS0_13AUnaryFunctorIN3c107complexINS4_4HalfEEES7_bNS0_12_GLOBAL__N_116CompareEqFunctorIS7_EEEEEEvRNS_18TensorIteratorBaseERKT_EUlibE_EEviT1_.uses_flat_scratch, 0
	.set _ZN2at6native32elementwise_kernel_manual_unrollILi128ELi8EZNS0_22gpu_kernel_impl_nocastINS0_13AUnaryFunctorIN3c107complexINS4_4HalfEEES7_bNS0_12_GLOBAL__N_116CompareEqFunctorIS7_EEEEEEvRNS_18TensorIteratorBaseERKT_EUlibE_EEviT1_.has_dyn_sized_stack, 0
	.set _ZN2at6native32elementwise_kernel_manual_unrollILi128ELi8EZNS0_22gpu_kernel_impl_nocastINS0_13AUnaryFunctorIN3c107complexINS4_4HalfEEES7_bNS0_12_GLOBAL__N_116CompareEqFunctorIS7_EEEEEEvRNS_18TensorIteratorBaseERKT_EUlibE_EEviT1_.has_recursion, 0
	.set _ZN2at6native32elementwise_kernel_manual_unrollILi128ELi8EZNS0_22gpu_kernel_impl_nocastINS0_13AUnaryFunctorIN3c107complexINS4_4HalfEEES7_bNS0_12_GLOBAL__N_116CompareEqFunctorIS7_EEEEEEvRNS_18TensorIteratorBaseERKT_EUlibE_EEviT1_.has_indirect_call, 0
	.section	.AMDGPU.csdata,"",@progbits
; Kernel info:
; codeLenInByte = 12316
; TotalNumSgprs: 68
; NumVgprs: 26
; ScratchSize: 0
; MemoryBound: 0
; FloatMode: 240
; IeeeMode: 1
; LDSByteSize: 0 bytes/workgroup (compile time only)
; SGPRBlocks: 8
; VGPRBlocks: 6
; NumSGPRsForWavesPerEU: 68
; NumVGPRsForWavesPerEU: 26
; Occupancy: 9
; WaveLimiterHint : 1
; COMPUTE_PGM_RSRC2:SCRATCH_EN: 0
; COMPUTE_PGM_RSRC2:USER_SGPR: 6
; COMPUTE_PGM_RSRC2:TRAP_HANDLER: 0
; COMPUTE_PGM_RSRC2:TGID_X_EN: 1
; COMPUTE_PGM_RSRC2:TGID_Y_EN: 0
; COMPUTE_PGM_RSRC2:TGID_Z_EN: 0
; COMPUTE_PGM_RSRC2:TIDIG_COMP_CNT: 0
	.section	.text._ZN2at6native32elementwise_kernel_manual_unrollILi128ELi4EZNS0_15gpu_kernel_implINS0_13AUnaryFunctorIN3c107complexINS4_4HalfEEES7_bNS0_12_GLOBAL__N_116CompareEqFunctorIS7_EEEEEEvRNS_18TensorIteratorBaseERKT_EUlibE_EEviT1_,"axG",@progbits,_ZN2at6native32elementwise_kernel_manual_unrollILi128ELi4EZNS0_15gpu_kernel_implINS0_13AUnaryFunctorIN3c107complexINS4_4HalfEEES7_bNS0_12_GLOBAL__N_116CompareEqFunctorIS7_EEEEEEvRNS_18TensorIteratorBaseERKT_EUlibE_EEviT1_,comdat
	.globl	_ZN2at6native32elementwise_kernel_manual_unrollILi128ELi4EZNS0_15gpu_kernel_implINS0_13AUnaryFunctorIN3c107complexINS4_4HalfEEES7_bNS0_12_GLOBAL__N_116CompareEqFunctorIS7_EEEEEEvRNS_18TensorIteratorBaseERKT_EUlibE_EEviT1_ ; -- Begin function _ZN2at6native32elementwise_kernel_manual_unrollILi128ELi4EZNS0_15gpu_kernel_implINS0_13AUnaryFunctorIN3c107complexINS4_4HalfEEES7_bNS0_12_GLOBAL__N_116CompareEqFunctorIS7_EEEEEEvRNS_18TensorIteratorBaseERKT_EUlibE_EEviT1_
	.p2align	8
	.type	_ZN2at6native32elementwise_kernel_manual_unrollILi128ELi4EZNS0_15gpu_kernel_implINS0_13AUnaryFunctorIN3c107complexINS4_4HalfEEES7_bNS0_12_GLOBAL__N_116CompareEqFunctorIS7_EEEEEEvRNS_18TensorIteratorBaseERKT_EUlibE_EEviT1_,@function
_ZN2at6native32elementwise_kernel_manual_unrollILi128ELi4EZNS0_15gpu_kernel_implINS0_13AUnaryFunctorIN3c107complexINS4_4HalfEEES7_bNS0_12_GLOBAL__N_116CompareEqFunctorIS7_EEEEEEvRNS_18TensorIteratorBaseERKT_EUlibE_EEviT1_: ; @_ZN2at6native32elementwise_kernel_manual_unrollILi128ELi4EZNS0_15gpu_kernel_implINS0_13AUnaryFunctorIN3c107complexINS4_4HalfEEES7_bNS0_12_GLOBAL__N_116CompareEqFunctorIS7_EEEEEEvRNS_18TensorIteratorBaseERKT_EUlibE_EEviT1_
; %bb.0:
	s_load_dword s33, s[4:5], 0x28
	s_load_dword s42, s[4:5], 0x0
	s_load_dwordx8 s[8:15], s[4:5], 0x8
	v_lshl_or_b32 v2, s6, 9, v0
	v_or_b32_e32 v0, 0x180, v2
	s_waitcnt lgkmcnt(0)
	s_bfe_u32 s46, s33, 0x80008
	v_cmp_le_i32_e32 vcc, s42, v0
	s_mov_b64 s[2:3], 0
	s_mov_b64 s[6:7], 0
	s_and_saveexec_b64 s[0:1], vcc
	s_xor_b64 s[4:5], exec, s[0:1]
	s_cbranch_execz .LBB158_1063
; %bb.1:
	s_lshr_b32 s47, s15, 16
	s_cmp_lg_u32 s14, 0
	s_cselect_b64 s[6:7], -1, 0
	v_cmp_gt_i32_e32 vcc, s42, v2
	s_mov_b64 s[22:23], -1
	s_mov_b64 s[24:25], 0
	s_mov_b64 s[18:19], 0
	;; [unrolled: 1-line block ×3, first 2 shown]
	s_and_saveexec_b64 s[20:21], vcc
	s_cbranch_execz .LBB158_260
; %bb.2:
	v_mul_lo_u32 v0, v2, s13
	v_mov_b32_e32 v1, s11
	s_and_b32 s26, 0xffff, s46
	s_cmp_lt_i32 s26, 11
	v_ashrrev_i32_e32 v3, 31, v0
	v_add_co_u32_e32 v0, vcc, s10, v0
	v_addc_co_u32_e32 v1, vcc, v1, v3, vcc
	s_cbranch_scc1 .LBB158_9
; %bb.3:
	s_cmp_gt_i32 s26, 25
	s_cbranch_scc0 .LBB158_21
; %bb.4:
	s_cmp_gt_i32 s26, 28
	s_cbranch_scc0 .LBB158_26
	;; [unrolled: 3-line block ×4, first 2 shown]
; %bb.7:
	s_cmp_eq_u32 s26, 46
	s_cbranch_scc0 .LBB158_32
; %bb.8:
	global_load_dword v3, v[0:1], off
	s_mov_b64 s[0:1], -1
	s_waitcnt vmcnt(0)
	v_and_b32_e32 v4, 0xffff0000, v3
	v_lshlrev_b32_e32 v3, 16, v3
	v_cvt_f16_f32_e32 v3, v3
	v_cvt_f16_f32_e32 v4, v4
	s_branch .LBB158_34
.LBB158_9:
                                        ; implicit-def: $vgpr4
                                        ; implicit-def: $vgpr3
	s_mov_b64 s[0:1], 0
	s_cbranch_execnz .LBB158_209
.LBB158_10:
	s_andn2_b64 vcc, exec, s[0:1]
	s_cbranch_vccnz .LBB158_258
.LBB158_11:
	s_and_b64 vcc, exec, s[6:7]
	s_cbranch_vccz .LBB158_25
; %bb.12:
	s_waitcnt vmcnt(0)
	v_cmp_neq_f16_e32 vcc, s15, v3
	v_cmp_neq_f16_e64 s[0:1], s47, v4
	s_or_b64 s[16:17], vcc, s[0:1]
	s_cbranch_execnz .LBB158_14
.LBB158_13:
	s_waitcnt vmcnt(0)
	v_cmp_eq_f16_e32 vcc, s15, v3
	v_cmp_eq_f16_e64 s[0:1], s47, v4
	s_and_b64 s[0:1], vcc, s[0:1]
	s_andn2_b64 s[16:17], s[16:17], exec
	s_and_b64 s[0:1], s[0:1], exec
	s_or_b64 s[16:17], s[16:17], s[0:1]
.LBB158_14:
	v_mul_lo_u32 v0, v2, s12
	v_mov_b32_e32 v1, s9
	s_and_b32 s30, s33, 0xff
	s_cmp_lt_i32 s30, 11
	s_waitcnt vmcnt(0)
	v_ashrrev_i32_e32 v3, 31, v0
	v_add_co_u32_e32 v0, vcc, s8, v0
	v_addc_co_u32_e32 v1, vcc, v1, v3, vcc
	s_cbranch_scc1 .LBB158_22
; %bb.15:
	s_and_b32 s31, 0xffff, s30
	s_cmp_gt_i32 s31, 25
	s_cbranch_scc0 .LBB158_27
; %bb.16:
	s_cmp_gt_i32 s31, 28
	s_cbranch_scc0 .LBB158_29
; %bb.17:
	s_cmp_gt_i32 s31, 43
	s_cbranch_scc0 .LBB158_31
; %bb.18:
	s_cmp_gt_i32 s31, 45
	s_cbranch_scc0 .LBB158_37
; %bb.19:
	s_mov_b64 s[26:27], 0
	s_mov_b64 s[0:1], -1
	s_cmp_eq_u32 s31, 46
	s_mov_b64 s[22:23], 0
	s_cbranch_scc0 .LBB158_38
; %bb.20:
	v_cndmask_b32_e64 v3, 0, 1.0, s[16:17]
	v_bfe_u32 v4, v3, 16, 1
	s_movk_i32 s0, 0x7fff
	v_add3_u32 v3, v3, v4, s0
	v_lshrrev_b32_e32 v3, 16, v3
	global_store_dword v[0:1], v3, off
	s_mov_b64 s[22:23], -1
	s_mov_b64 s[0:1], 0
	s_branch .LBB158_38
.LBB158_21:
	s_mov_b64 s[0:1], 0
                                        ; implicit-def: $vgpr4
                                        ; implicit-def: $vgpr3
	s_cbranch_execnz .LBB158_174
	s_branch .LBB158_208
.LBB158_22:
	s_mov_b64 s[0:1], 0
	s_mov_b64 s[22:23], 0
	s_cbranch_execnz .LBB158_107
.LBB158_23:
	s_andn2_b64 vcc, exec, s[22:23]
	s_cbranch_vccnz .LBB158_145
.LBB158_24:
	v_add_u32_e32 v2, 0x80, v2
	s_mov_b64 s[22:23], -1
	s_branch .LBB158_259
.LBB158_25:
                                        ; implicit-def: $sgpr16_sgpr17
	s_branch .LBB158_13
.LBB158_26:
	s_mov_b64 s[16:17], -1
	s_mov_b64 s[0:1], 0
                                        ; implicit-def: $vgpr4
                                        ; implicit-def: $vgpr3
	s_branch .LBB158_155
.LBB158_27:
	s_mov_b64 s[26:27], -1
	s_mov_b64 s[0:1], 0
	s_mov_b64 s[22:23], 0
	s_branch .LBB158_65
.LBB158_28:
	s_mov_b64 s[16:17], -1
	s_mov_b64 s[0:1], 0
                                        ; implicit-def: $vgpr4
                                        ; implicit-def: $vgpr3
	s_branch .LBB158_149
.LBB158_29:
	s_mov_b64 s[26:27], -1
	s_mov_b64 s[0:1], 0
	s_mov_b64 s[22:23], 0
	s_branch .LBB158_48
.LBB158_30:
	s_mov_b64 s[16:17], -1
	s_branch .LBB158_33
.LBB158_31:
	s_mov_b64 s[26:27], -1
	s_mov_b64 s[0:1], 0
	s_mov_b64 s[22:23], 0
	s_branch .LBB158_44
.LBB158_32:
	s_mov_b64 s[18:19], -1
.LBB158_33:
	s_mov_b64 s[0:1], 0
                                        ; implicit-def: $vgpr4
                                        ; implicit-def: $vgpr3
.LBB158_34:
	s_and_b64 vcc, exec, s[16:17]
	s_cbranch_vccz .LBB158_148
; %bb.35:
	s_cmp_eq_u32 s26, 44
	s_cbranch_scc0 .LBB158_146
; %bb.36:
	global_load_ubyte v3, v[0:1], off
	s_movk_i32 s16, 0xff
	v_mov_b32_e32 v5, 0x7e00
	s_mov_b64 s[0:1], -1
	s_mov_b64 s[18:19], 0
	s_waitcnt vmcnt(0)
	v_lshlrev_b32_e32 v4, 23, v3
	v_cvt_f16_f32_e32 v4, v4
	v_cmp_ne_u32_e32 vcc, s16, v3
	v_cndmask_b32_e32 v4, v5, v4, vcc
	v_cmp_ne_u32_e32 vcc, 0, v3
	v_cndmask_b32_e32 v3, 0, v4, vcc
	s_branch .LBB158_147
.LBB158_37:
	s_mov_b64 s[26:27], -1
	s_mov_b64 s[0:1], 0
	s_mov_b64 s[22:23], 0
.LBB158_38:
	s_and_b64 vcc, exec, s[26:27]
	s_cbranch_vccz .LBB158_43
; %bb.39:
	s_cmp_eq_u32 s31, 44
	s_mov_b64 s[0:1], -1
	s_cbranch_scc0 .LBB158_43
; %bb.40:
	v_cndmask_b32_e64 v4, 0, 1.0, s[16:17]
	v_lshrrev_b32_e32 v3, 23, v4
	s_movk_i32 s0, 0xff
	v_cmp_ne_u32_e32 vcc, s0, v3
	v_mov_b32_e32 v5, 0xff
	s_and_saveexec_b64 s[22:23], vcc
; %bb.41:
	s_mov_b32 s0, 0x3fffff
	v_and_b32_e32 v5, 0x400000, v4
	v_and_or_b32 v4, v4, s0, v3
	v_cmp_ne_u32_e32 vcc, 0, v5
	v_cmp_ne_u32_e64 s[0:1], 0, v4
	s_and_b64 s[0:1], vcc, s[0:1]
	v_cndmask_b32_e64 v4, 0, 1, s[0:1]
	v_add_u32_e32 v5, v3, v4
; %bb.42:
	s_or_b64 exec, exec, s[22:23]
	s_mov_b64 s[22:23], -1
	s_mov_b64 s[0:1], 0
	global_store_byte v[0:1], v5, off
.LBB158_43:
	s_mov_b64 s[26:27], 0
.LBB158_44:
	s_and_b64 vcc, exec, s[26:27]
	s_cbranch_vccz .LBB158_47
; %bb.45:
	s_cmp_eq_u32 s31, 29
	s_mov_b64 s[0:1], -1
	s_cbranch_scc0 .LBB158_47
; %bb.46:
	s_mov_b32 s0, 0
	v_cndmask_b32_e64 v3, 0, 1, s[16:17]
	v_mov_b32_e32 v4, s0
	global_store_dwordx2 v[0:1], v[3:4], off
	s_mov_b64 s[22:23], -1
	s_mov_b64 s[0:1], 0
.LBB158_47:
	s_mov_b64 s[26:27], 0
.LBB158_48:
	s_and_b64 vcc, exec, s[26:27]
	s_cbranch_vccz .LBB158_64
; %bb.49:
	s_cmp_lt_i32 s31, 27
	s_mov_b64 s[22:23], -1
	s_cbranch_scc1 .LBB158_55
; %bb.50:
	s_cmp_gt_i32 s31, 27
	s_cbranch_scc0 .LBB158_52
; %bb.51:
	v_cndmask_b32_e64 v3, 0, 1, s[16:17]
	s_mov_b64 s[22:23], 0
	global_store_dword v[0:1], v3, off
.LBB158_52:
	s_andn2_b64 vcc, exec, s[22:23]
	s_cbranch_vccnz .LBB158_54
; %bb.53:
	v_cndmask_b32_e64 v3, 0, 1, s[16:17]
	global_store_short v[0:1], v3, off
.LBB158_54:
	s_mov_b64 s[22:23], 0
.LBB158_55:
	s_andn2_b64 vcc, exec, s[22:23]
	s_cbranch_vccnz .LBB158_63
; %bb.56:
	v_cndmask_b32_e64 v4, 0, 1.0, s[16:17]
	s_mov_b32 s22, 0x43800000
	v_cmp_gt_u32_e32 vcc, s22, v4
	v_mov_b32_e32 v5, 0x80
	s_and_saveexec_b64 s[22:23], vcc
	s_cbranch_execz .LBB158_62
; %bb.57:
	s_mov_b32 s26, 0x3bffffff
	v_cmp_lt_u32_e32 vcc, s26, v4
	s_mov_b64 s[26:27], 0
                                        ; implicit-def: $vgpr3
	s_and_saveexec_b64 s[28:29], vcc
	s_xor_b64 s[28:29], exec, s[28:29]
	s_cbranch_execz .LBB158_291
; %bb.58:
	v_bfe_u32 v3, v4, 20, 1
	s_mov_b32 s34, 0x487ffff
	v_add3_u32 v3, v4, v3, s34
	s_mov_b64 s[26:27], exec
	v_lshrrev_b32_e32 v3, 20, v3
                                        ; implicit-def: $vgpr4
	s_andn2_saveexec_b64 s[28:29], s[28:29]
	s_cbranch_execnz .LBB158_292
.LBB158_59:
	s_or_b64 exec, exec, s[28:29]
	v_mov_b32_e32 v5, 0
	s_and_saveexec_b64 s[28:29], s[26:27]
.LBB158_60:
	v_mov_b32_e32 v5, v3
.LBB158_61:
	s_or_b64 exec, exec, s[28:29]
.LBB158_62:
	s_or_b64 exec, exec, s[22:23]
	global_store_byte v[0:1], v5, off
.LBB158_63:
	s_mov_b64 s[22:23], -1
.LBB158_64:
	s_mov_b64 s[26:27], 0
.LBB158_65:
	s_and_b64 vcc, exec, s[26:27]
	s_cbranch_vccz .LBB158_106
; %bb.66:
	s_cmp_gt_i32 s31, 22
	s_mov_b64 s[26:27], -1
	s_cbranch_scc0 .LBB158_98
; %bb.67:
	s_cmp_lt_i32 s31, 24
	s_mov_b64 s[22:23], -1
	s_cbranch_scc1 .LBB158_87
; %bb.68:
	s_cmp_gt_i32 s31, 24
	s_cbranch_scc0 .LBB158_76
; %bb.69:
	v_cndmask_b32_e64 v4, 0, 1.0, s[16:17]
	s_mov_b32 s22, 0x47800000
	v_cmp_gt_u32_e32 vcc, s22, v4
	v_mov_b32_e32 v5, 0x80
	s_and_saveexec_b64 s[22:23], vcc
	s_cbranch_execz .LBB158_75
; %bb.70:
	s_mov_b32 s26, 0x37ffffff
	v_cmp_lt_u32_e32 vcc, s26, v4
	s_mov_b64 s[26:27], 0
                                        ; implicit-def: $vgpr3
	s_and_saveexec_b64 s[28:29], vcc
	s_xor_b64 s[28:29], exec, s[28:29]
	s_cbranch_execz .LBB158_295
; %bb.71:
	v_bfe_u32 v3, v4, 21, 1
	s_mov_b32 s34, 0x88fffff
	v_add3_u32 v3, v4, v3, s34
	s_mov_b64 s[26:27], exec
	v_lshrrev_b32_e32 v3, 21, v3
                                        ; implicit-def: $vgpr4
	s_andn2_saveexec_b64 s[28:29], s[28:29]
	s_cbranch_execnz .LBB158_296
.LBB158_72:
	s_or_b64 exec, exec, s[28:29]
	v_mov_b32_e32 v5, 0
	s_and_saveexec_b64 s[28:29], s[26:27]
.LBB158_73:
	v_mov_b32_e32 v5, v3
.LBB158_74:
	s_or_b64 exec, exec, s[28:29]
.LBB158_75:
	s_or_b64 exec, exec, s[22:23]
	s_mov_b64 s[22:23], 0
	global_store_byte v[0:1], v5, off
.LBB158_76:
	s_and_b64 vcc, exec, s[22:23]
	s_cbranch_vccz .LBB158_86
; %bb.77:
	v_cndmask_b32_e64 v3, 0, 1.0, s[16:17]
	s_mov_b32 s22, 0x43f00000
	v_cmp_gt_u32_e32 vcc, s22, v3
                                        ; implicit-def: $vgpr4
	s_and_saveexec_b64 s[22:23], vcc
	s_xor_b64 s[22:23], exec, s[22:23]
	s_cbranch_execz .LBB158_83
; %bb.78:
	s_mov_b32 s26, 0x3c7fffff
	v_cmp_lt_u32_e32 vcc, s26, v3
                                        ; implicit-def: $vgpr4
	s_and_saveexec_b64 s[26:27], vcc
	s_xor_b64 s[26:27], exec, s[26:27]
; %bb.79:
	v_bfe_u32 v4, v3, 20, 1
	s_mov_b32 s28, 0x407ffff
	v_add3_u32 v3, v3, v4, s28
	v_lshrrev_b32_e32 v4, 20, v3
	v_and_b32_e32 v3, 0xff00000, v3
	s_mov_b32 s28, 0x7f00000
	v_mov_b32_e32 v5, 0x7e
	v_cmp_ne_u32_e32 vcc, s28, v3
	v_cndmask_b32_e32 v4, v5, v4, vcc
                                        ; implicit-def: $vgpr3
; %bb.80:
	s_andn2_saveexec_b64 s[26:27], s[26:27]
; %bb.81:
	v_add_f32_e32 v4, 0x46800000, v3
; %bb.82:
	s_or_b64 exec, exec, s[26:27]
                                        ; implicit-def: $vgpr3
.LBB158_83:
	s_andn2_saveexec_b64 s[22:23], s[22:23]
; %bb.84:
	s_mov_b32 s26, 0x7f800000
	v_mov_b32_e32 v4, 0x7e
	v_mov_b32_e32 v5, 0x7f
	v_cmp_lt_u32_e32 vcc, s26, v3
	v_cndmask_b32_e32 v4, v4, v5, vcc
; %bb.85:
	s_or_b64 exec, exec, s[22:23]
	global_store_byte v[0:1], v4, off
.LBB158_86:
	s_mov_b64 s[22:23], 0
.LBB158_87:
	s_andn2_b64 vcc, exec, s[22:23]
	s_cbranch_vccnz .LBB158_97
; %bb.88:
	v_cndmask_b32_e64 v3, 0, 1.0, s[16:17]
	s_mov_b32 s22, 0x47800000
	v_cmp_gt_u32_e32 vcc, s22, v3
                                        ; implicit-def: $vgpr4
	s_and_saveexec_b64 s[22:23], vcc
	s_xor_b64 s[22:23], exec, s[22:23]
	s_cbranch_execz .LBB158_94
; %bb.89:
	s_mov_b32 s26, 0x387fffff
	v_cmp_lt_u32_e32 vcc, s26, v3
                                        ; implicit-def: $vgpr4
	s_and_saveexec_b64 s[26:27], vcc
	s_xor_b64 s[26:27], exec, s[26:27]
; %bb.90:
	v_bfe_u32 v4, v3, 21, 1
	s_mov_b32 s28, 0x80fffff
	v_add3_u32 v3, v3, v4, s28
	v_lshrrev_b32_e32 v4, 21, v3
                                        ; implicit-def: $vgpr3
; %bb.91:
	s_andn2_saveexec_b64 s[26:27], s[26:27]
; %bb.92:
	v_add_f32_e32 v4, 0x43000000, v3
; %bb.93:
	s_or_b64 exec, exec, s[26:27]
                                        ; implicit-def: $vgpr3
.LBB158_94:
	s_andn2_saveexec_b64 s[22:23], s[22:23]
; %bb.95:
	s_mov_b32 s26, 0x7f800000
	v_mov_b32_e32 v4, 0x7c
	v_mov_b32_e32 v5, 0x7f
	v_cmp_lt_u32_e32 vcc, s26, v3
	v_cndmask_b32_e32 v4, v4, v5, vcc
; %bb.96:
	s_or_b64 exec, exec, s[22:23]
	global_store_byte v[0:1], v4, off
.LBB158_97:
	s_mov_b64 s[26:27], 0
	s_mov_b64 s[22:23], -1
.LBB158_98:
	s_andn2_b64 vcc, exec, s[26:27]
	s_cbranch_vccnz .LBB158_106
; %bb.99:
	s_cmp_gt_i32 s31, 14
	s_mov_b64 s[26:27], -1
	s_cbranch_scc0 .LBB158_103
; %bb.100:
	s_cmp_eq_u32 s31, 15
	s_mov_b64 s[0:1], -1
	s_cbranch_scc0 .LBB158_102
; %bb.101:
	v_cndmask_b32_e64 v3, 0, 1.0, s[16:17]
	v_bfe_u32 v4, v3, 16, 1
	s_movk_i32 s0, 0x7fff
	v_add3_u32 v3, v3, v4, s0
	global_store_short_d16_hi v[0:1], v3, off
	s_mov_b64 s[22:23], -1
	s_mov_b64 s[0:1], 0
.LBB158_102:
	s_mov_b64 s[26:27], 0
.LBB158_103:
	s_and_b64 vcc, exec, s[26:27]
	s_cbranch_vccz .LBB158_106
; %bb.104:
	s_cmp_eq_u32 s31, 11
	s_mov_b64 s[0:1], -1
	s_cbranch_scc0 .LBB158_106
; %bb.105:
	v_cndmask_b32_e64 v3, 0, 1, s[16:17]
	s_mov_b64 s[22:23], -1
	s_mov_b64 s[0:1], 0
	global_store_byte v[0:1], v3, off
.LBB158_106:
	s_branch .LBB158_23
.LBB158_107:
	s_and_b32 s26, 0xffff, s30
	s_cmp_lt_i32 s26, 5
	s_mov_b64 s[22:23], -1
	s_cbranch_scc1 .LBB158_128
; %bb.108:
	s_cmp_lt_i32 s26, 8
	s_cbranch_scc1 .LBB158_118
; %bb.109:
	s_cmp_lt_i32 s26, 9
	s_cbranch_scc1 .LBB158_115
; %bb.110:
	s_cmp_gt_i32 s26, 9
	s_cbranch_scc0 .LBB158_112
; %bb.111:
	v_cndmask_b32_e64 v3, 0, 1, s[16:17]
	v_cvt_f64_u32_e32 v[3:4], v3
	v_mov_b32_e32 v5, 0
	v_mov_b32_e32 v6, v5
	s_mov_b64 s[22:23], 0
	global_store_dwordx4 v[0:1], v[3:6], off
.LBB158_112:
	s_andn2_b64 vcc, exec, s[22:23]
	s_cbranch_vccnz .LBB158_114
; %bb.113:
	v_cndmask_b32_e64 v3, 0, 1.0, s[16:17]
	v_mov_b32_e32 v4, 0
	global_store_dwordx2 v[0:1], v[3:4], off
.LBB158_114:
	s_mov_b64 s[22:23], 0
.LBB158_115:
	s_andn2_b64 vcc, exec, s[22:23]
	s_cbranch_vccnz .LBB158_117
; %bb.116:
	v_cndmask_b32_e64 v3, 0, 1.0, s[16:17]
	v_cvt_f16_f32_e32 v3, v3
	global_store_dword v[0:1], v3, off
.LBB158_117:
	s_mov_b64 s[22:23], 0
.LBB158_118:
	s_andn2_b64 vcc, exec, s[22:23]
	s_cbranch_vccnz .LBB158_127
; %bb.119:
	s_cmp_lt_i32 s26, 6
	s_mov_b64 s[22:23], -1
	s_cbranch_scc1 .LBB158_125
; %bb.120:
	s_cmp_gt_i32 s26, 6
	s_cbranch_scc0 .LBB158_122
; %bb.121:
	v_cndmask_b32_e64 v3, 0, 1, s[16:17]
	v_cvt_f64_u32_e32 v[3:4], v3
	s_mov_b64 s[22:23], 0
	global_store_dwordx2 v[0:1], v[3:4], off
.LBB158_122:
	s_andn2_b64 vcc, exec, s[22:23]
	s_cbranch_vccnz .LBB158_124
; %bb.123:
	v_cndmask_b32_e64 v3, 0, 1.0, s[16:17]
	global_store_dword v[0:1], v3, off
.LBB158_124:
	s_mov_b64 s[22:23], 0
.LBB158_125:
	s_andn2_b64 vcc, exec, s[22:23]
	s_cbranch_vccnz .LBB158_127
; %bb.126:
	v_cndmask_b32_e64 v3, 0, 1.0, s[16:17]
	v_cvt_f16_f32_e32 v3, v3
	global_store_short v[0:1], v3, off
.LBB158_127:
	s_mov_b64 s[22:23], 0
.LBB158_128:
	s_andn2_b64 vcc, exec, s[22:23]
	s_cbranch_vccnz .LBB158_144
; %bb.129:
	s_cmp_lt_i32 s26, 2
	s_mov_b64 s[22:23], -1
	s_cbranch_scc1 .LBB158_139
; %bb.130:
	s_cmp_lt_i32 s26, 3
	s_cbranch_scc1 .LBB158_136
; %bb.131:
	s_cmp_gt_i32 s26, 3
	s_cbranch_scc0 .LBB158_133
; %bb.132:
	s_mov_b32 s22, 0
	v_cndmask_b32_e64 v3, 0, 1, s[16:17]
	v_mov_b32_e32 v4, s22
	global_store_dwordx2 v[0:1], v[3:4], off
	s_mov_b64 s[22:23], 0
.LBB158_133:
	s_andn2_b64 vcc, exec, s[22:23]
	s_cbranch_vccnz .LBB158_135
; %bb.134:
	v_cndmask_b32_e64 v3, 0, 1, s[16:17]
	global_store_dword v[0:1], v3, off
.LBB158_135:
	s_mov_b64 s[22:23], 0
.LBB158_136:
	s_andn2_b64 vcc, exec, s[22:23]
	s_cbranch_vccnz .LBB158_138
; %bb.137:
	v_cndmask_b32_e64 v3, 0, 1, s[16:17]
	global_store_short v[0:1], v3, off
.LBB158_138:
	s_mov_b64 s[22:23], 0
.LBB158_139:
	s_andn2_b64 vcc, exec, s[22:23]
	s_cbranch_vccnz .LBB158_144
; %bb.140:
	s_mov_b64 s[22:23], -1
	s_cmp_gt_i32 s26, 0
	v_cndmask_b32_e64 v3, 0, 1, s[16:17]
	s_cbranch_scc0 .LBB158_142
; %bb.141:
	global_store_byte v[0:1], v3, off
	s_mov_b64 s[22:23], 0
.LBB158_142:
	s_andn2_b64 vcc, exec, s[22:23]
	s_cbranch_vccnz .LBB158_144
; %bb.143:
	global_store_byte v[0:1], v3, off
.LBB158_144:
	s_branch .LBB158_24
.LBB158_145:
	s_mov_b64 s[22:23], 0
                                        ; implicit-def: $vgpr2
	s_branch .LBB158_259
.LBB158_146:
	s_mov_b64 s[18:19], -1
                                        ; implicit-def: $vgpr3
.LBB158_147:
	v_mov_b32_e32 v4, 0
.LBB158_148:
	s_mov_b64 s[16:17], 0
.LBB158_149:
	s_and_b64 vcc, exec, s[16:17]
	s_cbranch_vccz .LBB158_154
; %bb.150:
	s_cmp_eq_u32 s26, 29
	s_cbranch_scc0 .LBB158_152
; %bb.151:
	global_load_dwordx2 v[3:4], v[0:1], off
	s_mov_b64 s[0:1], -1
	s_mov_b64 s[18:19], 0
	s_waitcnt vmcnt(0)
	v_ffbh_u32_e32 v5, v4
	v_min_u32_e32 v5, 32, v5
	v_lshlrev_b64 v[3:4], v5, v[3:4]
	v_min_u32_e32 v3, 1, v3
	v_or_b32_e32 v3, v4, v3
	v_cvt_f32_u32_e32 v3, v3
	v_sub_u32_e32 v4, 32, v5
	v_ldexp_f32 v3, v3, v4
	v_cvt_f16_f32_e32 v3, v3
	s_branch .LBB158_153
.LBB158_152:
	s_mov_b64 s[18:19], -1
                                        ; implicit-def: $vgpr3
.LBB158_153:
	v_mov_b32_e32 v4, 0
.LBB158_154:
	s_mov_b64 s[16:17], 0
.LBB158_155:
	s_and_b64 vcc, exec, s[16:17]
	s_cbranch_vccz .LBB158_173
; %bb.156:
	s_cmp_lt_i32 s26, 27
	s_cbranch_scc1 .LBB158_159
; %bb.157:
	s_cmp_gt_i32 s26, 27
	s_cbranch_scc0 .LBB158_160
; %bb.158:
	global_load_dword v3, v[0:1], off
	s_mov_b64 s[0:1], 0
	s_waitcnt vmcnt(0)
	v_cvt_f32_u32_e32 v3, v3
	v_cvt_f16_f32_e32 v3, v3
	s_branch .LBB158_161
.LBB158_159:
	s_mov_b64 s[0:1], -1
                                        ; implicit-def: $vgpr3
	s_branch .LBB158_164
.LBB158_160:
	s_mov_b64 s[0:1], -1
                                        ; implicit-def: $vgpr3
.LBB158_161:
	s_andn2_b64 vcc, exec, s[0:1]
	s_cbranch_vccnz .LBB158_163
; %bb.162:
	global_load_ushort v3, v[0:1], off
	s_waitcnt vmcnt(0)
	v_cvt_f16_u16_e32 v3, v3
.LBB158_163:
	s_mov_b64 s[0:1], 0
.LBB158_164:
	s_andn2_b64 vcc, exec, s[0:1]
	s_cbranch_vccnz .LBB158_172
; %bb.165:
	global_load_ubyte v4, v[0:1], off
	s_movk_i32 s0, 0x7f
	s_waitcnt vmcnt(0)
	v_cmp_lt_i16_e32 vcc, s0, v4
	s_mov_b64 s[0:1], 0
	s_and_saveexec_b64 s[16:17], vcc
	s_xor_b64 s[16:17], exec, s[16:17]
	s_cbranch_execz .LBB158_185
; %bb.166:
	s_movk_i32 s0, 0x80
	v_cmp_eq_u16_e32 vcc, s0, v4
	s_mov_b64 s[0:1], -1
	s_and_saveexec_b64 s[22:23], vcc
; %bb.167:
	s_xor_b64 s[0:1], exec, -1
; %bb.168:
	s_or_b64 exec, exec, s[22:23]
	s_and_b64 s[0:1], s[0:1], exec
	s_or_saveexec_b64 s[16:17], s[16:17]
	v_mov_b32_e32 v3, 0x7e00
	s_xor_b64 exec, exec, s[16:17]
	s_cbranch_execnz .LBB158_186
.LBB158_169:
	s_or_b64 exec, exec, s[16:17]
	s_and_saveexec_b64 s[16:17], s[0:1]
	s_cbranch_execz .LBB158_171
.LBB158_170:
	v_lshlrev_b32_e32 v3, 24, v4
	v_and_b32_e32 v4, 0xffff, v4
	v_and_b32_e32 v5, 7, v4
	v_ffbh_u32_e32 v7, v5
	v_min_u32_e32 v7, 32, v7
	v_subrev_u32_e32 v8, 28, v7
	v_bfe_u32 v6, v4, 3, 4
	v_lshlrev_b32_e32 v4, v8, v4
	v_sub_u32_e32 v7, 29, v7
	v_and_b32_e32 v4, 7, v4
	v_cmp_eq_u32_e32 vcc, 0, v6
	v_cndmask_b32_e32 v6, v6, v7, vcc
	v_cndmask_b32_e32 v4, v5, v4, vcc
	v_mov_b32_e32 v5, 0x3b800000
	v_lshlrev_b32_e32 v4, 20, v4
	v_and_b32_e32 v3, 0x80000000, v3
	v_lshl_add_u32 v5, v6, 23, v5
	v_or3_b32 v3, v3, v5, v4
	v_cvt_f16_f32_e32 v3, v3
.LBB158_171:
	s_or_b64 exec, exec, s[16:17]
.LBB158_172:
	s_mov_b64 s[0:1], -1
	v_mov_b32_e32 v4, 0
.LBB158_173:
	s_branch .LBB158_208
.LBB158_174:
	s_cmp_gt_i32 s26, 22
	s_cbranch_scc0 .LBB158_184
; %bb.175:
	s_cmp_lt_i32 s26, 24
	s_cbranch_scc1 .LBB158_187
; %bb.176:
	s_cmp_gt_i32 s26, 24
	s_cbranch_scc0 .LBB158_188
; %bb.177:
	global_load_ubyte v4, v[0:1], off
	s_movk_i32 s0, 0x7f
	s_waitcnt vmcnt(0)
	v_cmp_lt_i16_e32 vcc, s0, v4
	s_mov_b64 s[0:1], 0
	s_and_saveexec_b64 s[16:17], vcc
	s_xor_b64 s[16:17], exec, s[16:17]
	s_cbranch_execz .LBB158_199
; %bb.178:
	s_movk_i32 s0, 0x80
	v_cmp_eq_u16_e32 vcc, s0, v4
	s_mov_b64 s[0:1], -1
	s_and_saveexec_b64 s[22:23], vcc
; %bb.179:
	s_xor_b64 s[0:1], exec, -1
; %bb.180:
	s_or_b64 exec, exec, s[22:23]
	s_and_b64 s[0:1], s[0:1], exec
	s_or_saveexec_b64 s[16:17], s[16:17]
	v_mov_b32_e32 v3, 0x7e00
	s_xor_b64 exec, exec, s[16:17]
	s_cbranch_execnz .LBB158_200
.LBB158_181:
	s_or_b64 exec, exec, s[16:17]
	s_and_saveexec_b64 s[16:17], s[0:1]
	s_cbranch_execz .LBB158_183
.LBB158_182:
	v_lshlrev_b32_e32 v3, 24, v4
	v_and_b32_e32 v4, 0xffff, v4
	v_and_b32_e32 v5, 3, v4
	v_ffbh_u32_e32 v7, v5
	v_min_u32_e32 v7, 32, v7
	v_subrev_u32_e32 v8, 29, v7
	v_bfe_u32 v6, v4, 2, 5
	v_lshlrev_b32_e32 v4, v8, v4
	v_sub_u32_e32 v7, 30, v7
	v_and_b32_e32 v4, 3, v4
	v_cmp_eq_u32_e32 vcc, 0, v6
	v_cndmask_b32_e32 v6, v6, v7, vcc
	v_cndmask_b32_e32 v4, v5, v4, vcc
	v_mov_b32_e32 v5, 0x37800000
	v_lshlrev_b32_e32 v4, 21, v4
	v_and_b32_e32 v3, 0x80000000, v3
	v_lshl_add_u32 v5, v6, 23, v5
	v_or3_b32 v3, v3, v5, v4
	v_cvt_f16_f32_e32 v3, v3
.LBB158_183:
	s_or_b64 exec, exec, s[16:17]
	s_mov_b64 s[0:1], 0
	s_branch .LBB158_189
.LBB158_184:
                                        ; implicit-def: $vgpr3
	s_branch .LBB158_195
.LBB158_185:
	s_or_saveexec_b64 s[16:17], s[16:17]
	v_mov_b32_e32 v3, 0x7e00
	s_xor_b64 exec, exec, s[16:17]
	s_cbranch_execz .LBB158_169
.LBB158_186:
	v_cmp_ne_u16_e32 vcc, 0, v4
	s_andn2_b64 s[0:1], s[0:1], exec
	s_and_b64 s[22:23], vcc, exec
	s_or_b64 s[0:1], s[0:1], s[22:23]
	v_mov_b32_e32 v3, v4
	s_or_b64 exec, exec, s[16:17]
	s_and_saveexec_b64 s[16:17], s[0:1]
	s_cbranch_execnz .LBB158_170
	s_branch .LBB158_171
.LBB158_187:
	s_mov_b64 s[0:1], -1
                                        ; implicit-def: $vgpr3
	s_branch .LBB158_192
.LBB158_188:
	s_mov_b64 s[0:1], -1
                                        ; implicit-def: $vgpr3
.LBB158_189:
	s_and_b64 vcc, exec, s[0:1]
	s_cbranch_vccz .LBB158_191
; %bb.190:
	global_load_ubyte v3, v[0:1], off
	s_mov_b32 s0, 0x7f800000
	s_waitcnt vmcnt(0)
	v_lshlrev_b32_e32 v3, 24, v3
	v_and_b32_e32 v4, 0x7f000000, v3
	v_ffbh_u32_e32 v5, v4
	v_min_u32_e32 v5, 32, v5
	v_sub_u32_e64 v5, v5, 4 clamp
	v_lshlrev_b32_e32 v7, v5, v4
	v_lshlrev_b32_e32 v5, 23, v5
	v_lshrrev_b32_e32 v7, 4, v7
	v_add_u32_e32 v6, 0x1000000, v4
	v_sub_u32_e32 v5, v7, v5
	v_ashrrev_i32_e32 v6, 8, v6
	v_add_u32_e32 v5, 0x3c000000, v5
	v_and_or_b32 v5, v6, s0, v5
	v_cmp_ne_u32_e32 vcc, 0, v4
	v_cndmask_b32_e32 v4, 0, v5, vcc
	s_brev_b32 s0, 1
	v_and_or_b32 v3, v3, s0, v4
	v_cvt_f16_f32_e32 v3, v3
.LBB158_191:
	s_mov_b64 s[0:1], 0
.LBB158_192:
	s_andn2_b64 vcc, exec, s[0:1]
	s_cbranch_vccnz .LBB158_194
; %bb.193:
	global_load_ubyte v3, v[0:1], off
	s_movk_i32 s0, 0x7f00
	s_brev_b32 s1, 16
	s_waitcnt vmcnt(0)
	v_lshlrev_b16_e32 v4, 8, v3
	v_lshlrev_b32_e32 v3, 25, v3
	v_lshrrev_b32_e32 v5, 4, v3
	v_and_or_b32 v6, v4, s0, 0.5
	v_or_b32_e32 v5, 0x70000000, v5
	v_add_f32_e32 v6, -0.5, v6
	v_mul_f32_e32 v5, 0x7800000, v5
	v_cmp_gt_u32_e32 vcc, s1, v3
	v_bfe_i32 v4, v4, 0, 16
	v_cndmask_b32_e32 v3, v5, v6, vcc
	s_brev_b32 s0, 1
	v_and_or_b32 v3, v4, s0, v3
	v_cvt_f16_f32_e32 v3, v3
.LBB158_194:
	s_mov_b64 s[0:1], -1
	s_cbranch_execnz .LBB158_207
.LBB158_195:
	s_cmp_gt_i32 s26, 14
	s_cbranch_scc0 .LBB158_198
; %bb.196:
	s_cmp_eq_u32 s26, 15
	s_cbranch_scc0 .LBB158_201
; %bb.197:
	global_load_ushort v3, v[0:1], off
	s_mov_b64 s[0:1], -1
	s_mov_b64 s[18:19], 0
	s_waitcnt vmcnt(0)
	v_lshlrev_b32_e32 v3, 16, v3
	v_cvt_f16_f32_e32 v3, v3
	s_branch .LBB158_202
.LBB158_198:
	s_mov_b64 s[16:17], -1
                                        ; implicit-def: $vgpr3
	s_branch .LBB158_203
.LBB158_199:
	s_or_saveexec_b64 s[16:17], s[16:17]
	v_mov_b32_e32 v3, 0x7e00
	s_xor_b64 exec, exec, s[16:17]
	s_cbranch_execz .LBB158_181
.LBB158_200:
	v_cmp_ne_u16_e32 vcc, 0, v4
	s_andn2_b64 s[0:1], s[0:1], exec
	s_and_b64 s[22:23], vcc, exec
	s_or_b64 s[0:1], s[0:1], s[22:23]
	v_mov_b32_e32 v3, v4
	s_or_b64 exec, exec, s[16:17]
	s_and_saveexec_b64 s[16:17], s[0:1]
	s_cbranch_execnz .LBB158_182
	s_branch .LBB158_183
.LBB158_201:
	s_mov_b64 s[18:19], -1
                                        ; implicit-def: $vgpr3
.LBB158_202:
	s_mov_b64 s[16:17], 0
.LBB158_203:
	s_and_b64 vcc, exec, s[16:17]
	s_cbranch_vccz .LBB158_207
; %bb.204:
	s_cmp_eq_u32 s26, 11
	s_cbranch_scc0 .LBB158_206
; %bb.205:
	global_load_ubyte v3, v[0:1], off
	v_mov_b32_e32 v4, 0x3c00
	s_mov_b64 s[0:1], -1
	s_mov_b64 s[18:19], 0
	s_waitcnt vmcnt(0)
	v_cmp_ne_u16_e32 vcc, 0, v3
	v_cndmask_b32_e32 v3, 0, v4, vcc
	s_branch .LBB158_207
.LBB158_206:
	s_mov_b64 s[18:19], -1
                                        ; implicit-def: $vgpr3
.LBB158_207:
	v_mov_b32_e32 v4, 0
.LBB158_208:
	s_branch .LBB158_10
.LBB158_209:
	s_cmp_lt_i32 s26, 5
	s_cbranch_scc1 .LBB158_214
; %bb.210:
	s_cmp_lt_i32 s26, 8
	s_cbranch_scc1 .LBB158_215
; %bb.211:
	;; [unrolled: 3-line block ×3, first 2 shown]
	s_cmp_gt_i32 s26, 9
	s_cbranch_scc0 .LBB158_217
; %bb.213:
	global_load_dwordx4 v[3:6], v[0:1], off
	s_movk_i32 s0, 0x1ff
	s_movk_i32 s1, 0xffe
	v_mov_b32_e32 v7, 0x7c00
	v_mov_b32_e32 v8, 0x7e00
	s_movk_i32 s16, 0x40f
	s_mov_b32 s17, 0x8000
	s_waitcnt vmcnt(0)
	v_and_or_b32 v3, v4, s0, v3
	v_and_or_b32 v5, v6, s0, v5
	v_cmp_ne_u32_e32 vcc, 0, v3
	v_lshrrev_b32_e32 v9, 8, v4
	v_cndmask_b32_e64 v3, 0, 1, vcc
	v_cmp_ne_u32_e32 vcc, 0, v5
	v_bfe_u32 v10, v4, 20, 11
	v_lshrrev_b32_e32 v11, 8, v6
	v_bfe_u32 v12, v6, 20, 11
	v_cndmask_b32_e64 v5, 0, 1, vcc
	v_and_or_b32 v3, v9, s1, v3
	v_sub_u32_e32 v13, 0x3f1, v10
	v_add_u32_e32 v10, 0xfffffc10, v10
	v_sub_u32_e32 v14, 0x3f1, v12
	v_and_or_b32 v5, v11, s1, v5
	v_cmp_ne_u32_e32 vcc, 0, v3
	v_add_u32_e32 v12, 0xfffffc10, v12
	v_med3_i32 v9, v13, 0, 13
	v_med3_i32 v11, v14, 0, 13
	v_or_b32_e32 v13, 0x1000, v3
	v_lshl_or_b32 v14, v10, 12, v3
	v_cndmask_b32_e32 v3, v7, v8, vcc
	v_cmp_ne_u32_e32 vcc, 0, v5
	v_or_b32_e32 v15, 0x1000, v5
	v_lshl_or_b32 v16, v12, 12, v5
	v_cndmask_b32_e32 v5, v7, v8, vcc
	v_lshrrev_b32_e32 v8, v9, v13
	v_lshrrev_b32_e32 v17, v11, v15
	v_lshlrev_b32_e32 v9, v9, v8
	v_lshlrev_b32_e32 v11, v11, v17
	v_cmp_ne_u32_e32 vcc, v9, v13
	v_cndmask_b32_e64 v9, 0, 1, vcc
	v_cmp_ne_u32_e32 vcc, v11, v15
	v_cndmask_b32_e64 v11, 0, 1, vcc
	v_or_b32_e32 v8, v8, v9
	v_cmp_gt_i32_e32 vcc, 1, v10
	v_cndmask_b32_e32 v8, v14, v8, vcc
	v_or_b32_e32 v9, v17, v11
	v_cmp_gt_i32_e32 vcc, 1, v12
	v_and_b32_e32 v11, 7, v8
	v_cndmask_b32_e32 v9, v16, v9, vcc
	v_cmp_lt_i32_e32 vcc, 5, v11
	v_and_b32_e32 v13, 7, v9
	v_cndmask_b32_e64 v14, 0, 1, vcc
	v_cmp_eq_u32_e32 vcc, 3, v11
	v_cndmask_b32_e64 v11, 0, 1, vcc
	v_cmp_lt_i32_e32 vcc, 5, v13
	v_cndmask_b32_e64 v15, 0, 1, vcc
	v_cmp_eq_u32_e32 vcc, 3, v13
	v_lshrrev_b32_e32 v8, 2, v8
	v_cndmask_b32_e64 v13, 0, 1, vcc
	v_or_b32_e32 v11, v11, v14
	v_lshrrev_b32_e32 v9, 2, v9
	v_or_b32_e32 v13, v13, v15
	v_add_u32_e32 v8, v8, v11
	v_cmp_gt_i32_e32 vcc, 31, v10
	v_add_u32_e32 v9, v9, v13
	v_cndmask_b32_e32 v8, v7, v8, vcc
	v_cmp_gt_i32_e32 vcc, 31, v12
	v_cndmask_b32_e32 v7, v7, v9, vcc
	v_cmp_eq_u32_e32 vcc, s16, v10
	v_cndmask_b32_e32 v3, v8, v3, vcc
	v_cmp_eq_u32_e32 vcc, s16, v12
	v_lshrrev_b32_e32 v4, 16, v4
	v_lshrrev_b32_e32 v6, 16, v6
	v_cndmask_b32_e32 v5, v7, v5, vcc
	v_and_or_b32 v3, v4, s17, v3
	v_and_or_b32 v4, v6, s17, v5
	s_mov_b64 s[0:1], 0
	s_branch .LBB158_218
.LBB158_214:
                                        ; implicit-def: $vgpr4
                                        ; implicit-def: $vgpr3
	s_branch .LBB158_237
.LBB158_215:
	s_mov_b64 s[0:1], -1
                                        ; implicit-def: $vgpr4
                                        ; implicit-def: $vgpr3
	s_branch .LBB158_224
.LBB158_216:
	s_mov_b64 s[0:1], -1
                                        ; implicit-def: $vgpr4
                                        ; implicit-def: $vgpr3
	s_branch .LBB158_221
.LBB158_217:
	s_mov_b64 s[0:1], -1
                                        ; implicit-def: $vgpr4
                                        ; implicit-def: $vgpr3
.LBB158_218:
	s_andn2_b64 vcc, exec, s[0:1]
	s_cbranch_vccnz .LBB158_220
; %bb.219:
	global_load_dwordx2 v[3:4], v[0:1], off
	s_waitcnt vmcnt(0)
	v_cvt_f16_f32_e32 v3, v3
	v_cvt_f16_f32_e32 v4, v4
.LBB158_220:
	s_mov_b64 s[0:1], 0
.LBB158_221:
	s_andn2_b64 vcc, exec, s[0:1]
	s_cbranch_vccnz .LBB158_223
; %bb.222:
	global_load_dword v3, v[0:1], off
	s_waitcnt vmcnt(0)
	v_lshrrev_b32_e32 v4, 16, v3
.LBB158_223:
	s_mov_b64 s[0:1], 0
.LBB158_224:
	s_andn2_b64 vcc, exec, s[0:1]
	s_cbranch_vccnz .LBB158_236
; %bb.225:
	s_cmp_lt_i32 s26, 6
	s_cbranch_scc1 .LBB158_228
; %bb.226:
	s_cmp_gt_i32 s26, 6
	s_cbranch_scc0 .LBB158_229
; %bb.227:
	global_load_dwordx2 v[3:4], v[0:1], off
	s_movk_i32 s0, 0x1ff
	s_movk_i32 s1, 0xffe
	v_mov_b32_e32 v5, 0x7c00
	v_mov_b32_e32 v6, 0x7e00
	s_movk_i32 s16, 0x40f
	s_mov_b32 s17, 0x8000
	s_waitcnt vmcnt(0)
	v_and_or_b32 v3, v4, s0, v3
	v_cmp_ne_u32_e32 vcc, 0, v3
	v_lshrrev_b32_e32 v7, 8, v4
	v_bfe_u32 v8, v4, 20, 11
	v_cndmask_b32_e64 v3, 0, 1, vcc
	v_sub_u32_e32 v9, 0x3f1, v8
	v_and_or_b32 v3, v7, s1, v3
	v_add_u32_e32 v8, 0xfffffc10, v8
	v_med3_i32 v7, v9, 0, 13
	v_or_b32_e32 v9, 0x1000, v3
	v_cmp_ne_u32_e32 vcc, 0, v3
	v_lshl_or_b32 v10, v8, 12, v3
	v_cndmask_b32_e32 v3, v5, v6, vcc
	v_lshrrev_b32_e32 v6, v7, v9
	v_lshlrev_b32_e32 v7, v7, v6
	v_cmp_ne_u32_e32 vcc, v7, v9
	v_cndmask_b32_e64 v7, 0, 1, vcc
	v_or_b32_e32 v6, v6, v7
	v_cmp_gt_i32_e32 vcc, 1, v8
	v_cndmask_b32_e32 v6, v10, v6, vcc
	v_and_b32_e32 v7, 7, v6
	v_cmp_lt_i32_e32 vcc, 5, v7
	v_cndmask_b32_e64 v9, 0, 1, vcc
	v_cmp_eq_u32_e32 vcc, 3, v7
	v_cndmask_b32_e64 v7, 0, 1, vcc
	v_lshrrev_b32_e32 v6, 2, v6
	v_or_b32_e32 v7, v7, v9
	v_add_u32_e32 v6, v6, v7
	v_cmp_gt_i32_e32 vcc, 31, v8
	v_cndmask_b32_e32 v5, v5, v6, vcc
	v_cmp_eq_u32_e32 vcc, s16, v8
	v_lshrrev_b32_e32 v4, 16, v4
	v_cndmask_b32_e32 v3, v5, v3, vcc
	v_and_or_b32 v3, v4, s17, v3
	s_mov_b64 s[0:1], 0
	s_branch .LBB158_230
.LBB158_228:
	s_mov_b64 s[0:1], -1
                                        ; implicit-def: $vgpr3
	s_branch .LBB158_233
.LBB158_229:
	s_mov_b64 s[0:1], -1
                                        ; implicit-def: $vgpr3
.LBB158_230:
	s_andn2_b64 vcc, exec, s[0:1]
	s_cbranch_vccnz .LBB158_232
; %bb.231:
	global_load_dword v3, v[0:1], off
	s_waitcnt vmcnt(0)
	v_cvt_f16_f32_e32 v3, v3
.LBB158_232:
	s_mov_b64 s[0:1], 0
.LBB158_233:
	s_andn2_b64 vcc, exec, s[0:1]
	s_cbranch_vccnz .LBB158_235
; %bb.234:
	global_load_ushort v3, v[0:1], off
.LBB158_235:
	v_mov_b32_e32 v4, 0
.LBB158_236:
	s_cbranch_execnz .LBB158_257
.LBB158_237:
	s_cmp_lt_i32 s26, 2
	s_cbranch_scc1 .LBB158_241
; %bb.238:
	s_cmp_lt_i32 s26, 3
	s_cbranch_scc1 .LBB158_242
; %bb.239:
	s_cmp_gt_i32 s26, 3
	s_cbranch_scc0 .LBB158_243
; %bb.240:
	global_load_dwordx2 v[3:4], v[0:1], off
	s_mov_b64 s[0:1], 0
	s_waitcnt vmcnt(0)
	v_xor_b32_e32 v6, v3, v4
	v_ffbh_i32_e32 v5, v4
	v_ashrrev_i32_e32 v6, 31, v6
	v_add_u32_e32 v5, -1, v5
	v_add_u32_e32 v6, 32, v6
	v_min_u32_e32 v5, v5, v6
	v_lshlrev_b64 v[3:4], v5, v[3:4]
	v_min_u32_e32 v3, 1, v3
	v_or_b32_e32 v3, v4, v3
	v_cvt_f32_i32_e32 v3, v3
	v_sub_u32_e32 v4, 32, v5
	v_ldexp_f32 v3, v3, v4
	v_cvt_f16_f32_e32 v3, v3
	s_branch .LBB158_244
.LBB158_241:
	s_mov_b64 s[0:1], -1
                                        ; implicit-def: $vgpr3
	s_branch .LBB158_250
.LBB158_242:
	s_mov_b64 s[0:1], -1
                                        ; implicit-def: $vgpr3
	s_branch .LBB158_247
.LBB158_243:
	s_mov_b64 s[0:1], -1
                                        ; implicit-def: $vgpr3
.LBB158_244:
	s_andn2_b64 vcc, exec, s[0:1]
	s_cbranch_vccnz .LBB158_246
; %bb.245:
	global_load_dword v3, v[0:1], off
	s_waitcnt vmcnt(0)
	v_cvt_f32_i32_e32 v3, v3
	v_cvt_f16_f32_e32 v3, v3
.LBB158_246:
	s_mov_b64 s[0:1], 0
.LBB158_247:
	s_andn2_b64 vcc, exec, s[0:1]
	s_cbranch_vccnz .LBB158_249
; %bb.248:
	global_load_ushort v3, v[0:1], off
	s_waitcnt vmcnt(0)
	v_cvt_f16_i16_e32 v3, v3
.LBB158_249:
	s_mov_b64 s[0:1], 0
.LBB158_250:
	s_andn2_b64 vcc, exec, s[0:1]
	s_cbranch_vccnz .LBB158_256
; %bb.251:
	s_cmp_gt_i32 s26, 0
	s_cbranch_scc0 .LBB158_253
; %bb.252:
	global_load_sbyte v3, v[0:1], off
	s_mov_b64 s[0:1], 0
	s_waitcnt vmcnt(0)
	v_cvt_f16_i16_e32 v3, v3
	s_branch .LBB158_254
.LBB158_253:
	s_mov_b64 s[0:1], -1
                                        ; implicit-def: $vgpr3
.LBB158_254:
	s_andn2_b64 vcc, exec, s[0:1]
	s_cbranch_vccnz .LBB158_256
; %bb.255:
	global_load_ubyte v0, v[0:1], off
	s_waitcnt vmcnt(0)
	v_cvt_f16_u16_e32 v3, v0
.LBB158_256:
	v_mov_b32_e32 v4, 0
.LBB158_257:
	s_branch .LBB158_11
.LBB158_258:
	s_mov_b64 s[0:1], 0
                                        ; implicit-def: $vgpr2
	s_mov_b64 s[22:23], 0
.LBB158_259:
	s_and_b64 s[16:17], s[0:1], exec
	s_and_b64 s[18:19], s[18:19], exec
	s_orn2_b64 s[22:23], s[22:23], exec
.LBB158_260:
	s_or_b64 exec, exec, s[20:21]
	s_mov_b64 s[26:27], 0
	s_mov_b64 s[0:1], 0
                                        ; implicit-def: $vgpr0_vgpr1
                                        ; implicit-def: $vgpr4
                                        ; implicit-def: $vgpr3
	s_and_saveexec_b64 s[20:21], s[22:23]
	s_cbranch_execz .LBB158_269
; %bb.261:
	v_cmp_gt_i32_e32 vcc, s42, v2
	s_mov_b64 s[0:1], -1
	s_mov_b64 s[22:23], s[18:19]
	s_mov_b64 s[24:25], s[16:17]
	s_and_saveexec_b64 s[26:27], vcc
	s_cbranch_execz .LBB158_530
; %bb.262:
	v_mul_lo_u32 v0, v2, s13
	v_mov_b32_e32 v1, s11
	s_and_b32 s30, 0xffff, s46
	s_cmp_lt_i32 s30, 11
	s_waitcnt vmcnt(0)
	v_ashrrev_i32_e32 v3, 31, v0
	v_add_co_u32_e32 v0, vcc, s10, v0
	v_addc_co_u32_e32 v1, vcc, v1, v3, vcc
	s_cbranch_scc1 .LBB158_272
; %bb.263:
	s_cmp_gt_i32 s30, 25
	s_cbranch_scc0 .LBB158_284
; %bb.264:
	s_cmp_gt_i32 s30, 28
	s_cbranch_scc0 .LBB158_287
	;; [unrolled: 3-line block ×4, first 2 shown]
; %bb.267:
	s_cmp_eq_u32 s30, 46
	s_mov_b64 s[24:25], 0
	s_cbranch_scc0 .LBB158_297
; %bb.268:
	global_load_dword v3, v[0:1], off
	s_mov_b64 s[22:23], 0
	s_waitcnt vmcnt(0)
	v_and_b32_e32 v4, 0xffff0000, v3
	v_lshlrev_b32_e32 v3, 16, v3
	v_cvt_f16_f32_e32 v3, v3
	v_cvt_f16_f32_e32 v4, v4
	s_branch .LBB158_298
.LBB158_269:
	s_or_b64 exec, exec, s[20:21]
	s_mov_b64 s[20:21], 0
	s_and_saveexec_b64 s[22:23], s[18:19]
	s_cbranch_execnz .LBB158_889
.LBB158_270:
	s_or_b64 exec, exec, s[22:23]
	s_and_saveexec_b64 s[18:19], s[24:25]
	s_xor_b64 s[18:19], exec, s[18:19]
	s_cbranch_execz .LBB158_890
.LBB158_271:
	global_load_ubyte v3, v[0:1], off
	v_mov_b32_e32 v5, 0x3c00
	v_mov_b32_e32 v4, 0
	s_or_b64 s[0:1], s[0:1], exec
	s_waitcnt vmcnt(0)
	v_cmp_ne_u16_e32 vcc, 0, v3
	v_cndmask_b32_e32 v3, 0, v5, vcc
	s_or_b64 exec, exec, s[18:19]
	s_and_saveexec_b64 s[18:19], s[26:27]
	s_cbranch_execz .LBB158_938
	s_branch .LBB158_891
.LBB158_272:
	s_mov_b64 s[0:1], 0
                                        ; implicit-def: $vgpr4
                                        ; implicit-def: $vgpr3
	s_mov_b64 s[22:23], s[18:19]
	s_cbranch_execnz .LBB158_478
.LBB158_273:
	s_andn2_b64 vcc, exec, s[0:1]
	s_cbranch_vccnz .LBB158_528
.LBB158_274:
	s_andn2_b64 vcc, exec, s[6:7]
	s_cbranch_vccnz .LBB158_286
; %bb.275:
	s_waitcnt vmcnt(0)
	v_cmp_neq_f16_e32 vcc, s15, v3
	v_cmp_neq_f16_e64 s[0:1], s47, v4
	s_or_b64 s[24:25], vcc, s[0:1]
	s_cbranch_execnz .LBB158_277
.LBB158_276:
	s_waitcnt vmcnt(0)
	v_cmp_eq_f16_e32 vcc, s15, v3
	v_cmp_eq_f16_e64 s[0:1], s47, v4
	s_and_b64 s[0:1], vcc, s[0:1]
	s_andn2_b64 s[24:25], s[24:25], exec
	s_and_b64 s[0:1], s[0:1], exec
	s_or_b64 s[24:25], s[24:25], s[0:1]
.LBB158_277:
	v_mul_lo_u32 v0, v2, s12
	v_mov_b32_e32 v1, s9
	s_and_b32 s36, s33, 0xff
	s_cmp_lt_i32 s36, 11
	s_waitcnt vmcnt(0)
	v_ashrrev_i32_e32 v3, 31, v0
	v_add_co_u32_e32 v0, vcc, s8, v0
	v_addc_co_u32_e32 v1, vcc, v1, v3, vcc
	s_cbranch_scc1 .LBB158_285
; %bb.278:
	s_and_b32 s37, 0xffff, s36
	s_cmp_gt_i32 s37, 25
	s_cbranch_scc0 .LBB158_288
; %bb.279:
	s_cmp_gt_i32 s37, 28
	s_cbranch_scc0 .LBB158_290
; %bb.280:
	;; [unrolled: 3-line block ×4, first 2 shown]
	s_mov_b64 s[30:31], 0
	s_mov_b64 s[0:1], -1
	s_cmp_eq_u32 s37, 46
	s_mov_b64 s[28:29], 0
	s_cbranch_scc0 .LBB158_302
; %bb.283:
	v_cndmask_b32_e64 v3, 0, 1.0, s[24:25]
	v_bfe_u32 v4, v3, 16, 1
	s_movk_i32 s0, 0x7fff
	v_add3_u32 v3, v3, v4, s0
	v_lshrrev_b32_e32 v3, 16, v3
	global_store_dword v[0:1], v3, off
	s_mov_b64 s[28:29], -1
	s_mov_b64 s[0:1], 0
	s_branch .LBB158_302
.LBB158_284:
	s_mov_b64 s[24:25], -1
	s_mov_b64 s[0:1], 0
	s_mov_b64 s[22:23], s[18:19]
                                        ; implicit-def: $vgpr4
                                        ; implicit-def: $vgpr3
	s_branch .LBB158_441
.LBB158_285:
	s_mov_b64 s[30:31], -1
	s_mov_b64 s[28:29], 0
	s_mov_b64 s[0:1], s[16:17]
	s_branch .LBB158_371
.LBB158_286:
                                        ; implicit-def: $sgpr24_sgpr25
	s_branch .LBB158_276
.LBB158_287:
	s_mov_b64 s[24:25], -1
	s_mov_b64 s[0:1], 0
	s_mov_b64 s[22:23], s[18:19]
                                        ; implicit-def: $vgpr4
                                        ; implicit-def: $vgpr3
	s_branch .LBB158_422
.LBB158_288:
	s_mov_b64 s[30:31], -1
	s_mov_b64 s[28:29], 0
	s_mov_b64 s[0:1], s[16:17]
	s_branch .LBB158_329
.LBB158_289:
	s_mov_b64 s[24:25], -1
	s_mov_b64 s[0:1], 0
	s_mov_b64 s[22:23], s[18:19]
                                        ; implicit-def: $vgpr4
                                        ; implicit-def: $vgpr3
	s_branch .LBB158_416
.LBB158_290:
	s_mov_b64 s[30:31], -1
	s_mov_b64 s[28:29], 0
	s_mov_b64 s[0:1], s[16:17]
	s_branch .LBB158_312
.LBB158_291:
	s_andn2_saveexec_b64 s[28:29], s[28:29]
	s_cbranch_execz .LBB158_59
.LBB158_292:
	v_add_f32_e32 v3, 0x46000000, v4
	v_and_b32_e32 v3, 0xff, v3
	v_cmp_ne_u32_e32 vcc, 0, v3
	s_andn2_b64 s[26:27], s[26:27], exec
	s_and_b64 s[34:35], vcc, exec
	s_or_b64 s[26:27], s[26:27], s[34:35]
	s_or_b64 exec, exec, s[28:29]
	v_mov_b32_e32 v5, 0
	s_and_saveexec_b64 s[28:29], s[26:27]
	s_cbranch_execnz .LBB158_60
	s_branch .LBB158_61
.LBB158_293:
	s_mov_b64 s[24:25], -1
	s_mov_b64 s[0:1], 0
	s_mov_b64 s[22:23], s[18:19]
                                        ; implicit-def: $vgpr4
                                        ; implicit-def: $vgpr3
	s_branch .LBB158_298
.LBB158_294:
	s_mov_b64 s[30:31], -1
	s_mov_b64 s[28:29], 0
	s_mov_b64 s[0:1], s[16:17]
	s_branch .LBB158_308
.LBB158_295:
	s_andn2_saveexec_b64 s[28:29], s[28:29]
	s_cbranch_execz .LBB158_72
.LBB158_296:
	v_add_f32_e32 v3, 0x42800000, v4
	v_and_b32_e32 v3, 0xff, v3
	v_cmp_ne_u32_e32 vcc, 0, v3
	s_andn2_b64 s[26:27], s[26:27], exec
	s_and_b64 s[34:35], vcc, exec
	s_or_b64 s[26:27], s[26:27], s[34:35]
	s_or_b64 exec, exec, s[28:29]
	v_mov_b32_e32 v5, 0
	s_and_saveexec_b64 s[28:29], s[26:27]
	s_cbranch_execnz .LBB158_73
	s_branch .LBB158_74
.LBB158_297:
	s_mov_b64 s[22:23], -1
                                        ; implicit-def: $vgpr4
                                        ; implicit-def: $vgpr3
	s_mov_b64 s[0:1], 0
.LBB158_298:
	s_and_b64 vcc, exec, s[24:25]
	s_cbranch_vccz .LBB158_415
; %bb.299:
	s_cmp_eq_u32 s30, 44
	s_cbranch_scc0 .LBB158_413
; %bb.300:
	global_load_ubyte v3, v[0:1], off
	s_movk_i32 s22, 0xff
	v_mov_b32_e32 v5, 0x7e00
	s_mov_b64 s[0:1], -1
	s_waitcnt vmcnt(0)
	v_lshlrev_b32_e32 v4, 23, v3
	v_cvt_f16_f32_e32 v4, v4
	v_cmp_ne_u32_e32 vcc, s22, v3
	s_mov_b64 s[22:23], 0
	v_cndmask_b32_e32 v4, v5, v4, vcc
	v_cmp_ne_u32_e32 vcc, 0, v3
	v_cndmask_b32_e32 v3, 0, v4, vcc
	s_branch .LBB158_414
.LBB158_301:
	s_mov_b64 s[30:31], -1
	s_mov_b64 s[28:29], 0
	s_mov_b64 s[0:1], s[16:17]
.LBB158_302:
	s_and_b64 vcc, exec, s[30:31]
	s_cbranch_vccz .LBB158_307
; %bb.303:
	s_cmp_eq_u32 s37, 44
	s_mov_b64 s[0:1], -1
	s_cbranch_scc0 .LBB158_307
; %bb.304:
	v_cndmask_b32_e64 v4, 0, 1.0, s[24:25]
	v_lshrrev_b32_e32 v3, 23, v4
	s_movk_i32 s0, 0xff
	v_cmp_ne_u32_e32 vcc, s0, v3
	v_mov_b32_e32 v5, 0xff
	s_and_saveexec_b64 s[28:29], vcc
; %bb.305:
	s_mov_b32 s0, 0x3fffff
	v_and_b32_e32 v5, 0x400000, v4
	v_and_or_b32 v4, v4, s0, v3
	v_cmp_ne_u32_e32 vcc, 0, v5
	v_cmp_ne_u32_e64 s[0:1], 0, v4
	s_and_b64 s[0:1], vcc, s[0:1]
	v_cndmask_b32_e64 v4, 0, 1, s[0:1]
	v_add_u32_e32 v5, v3, v4
; %bb.306:
	s_or_b64 exec, exec, s[28:29]
	s_mov_b64 s[28:29], -1
	s_mov_b64 s[0:1], 0
	global_store_byte v[0:1], v5, off
.LBB158_307:
	s_mov_b64 s[30:31], 0
.LBB158_308:
	s_and_b64 vcc, exec, s[30:31]
	s_cbranch_vccz .LBB158_311
; %bb.309:
	s_cmp_eq_u32 s37, 29
	s_mov_b64 s[0:1], -1
	s_cbranch_scc0 .LBB158_311
; %bb.310:
	s_mov_b32 s0, 0
	v_cndmask_b32_e64 v3, 0, 1, s[24:25]
	v_mov_b32_e32 v4, s0
	global_store_dwordx2 v[0:1], v[3:4], off
	s_mov_b64 s[28:29], -1
	s_mov_b64 s[0:1], 0
.LBB158_311:
	s_mov_b64 s[30:31], 0
.LBB158_312:
	s_and_b64 vcc, exec, s[30:31]
	s_cbranch_vccz .LBB158_328
; %bb.313:
	s_cmp_lt_i32 s37, 27
	s_mov_b64 s[28:29], -1
	s_cbranch_scc1 .LBB158_319
; %bb.314:
	s_cmp_gt_i32 s37, 27
	s_cbranch_scc0 .LBB158_316
; %bb.315:
	v_cndmask_b32_e64 v3, 0, 1, s[24:25]
	s_mov_b64 s[28:29], 0
	global_store_dword v[0:1], v3, off
.LBB158_316:
	s_andn2_b64 vcc, exec, s[28:29]
	s_cbranch_vccnz .LBB158_318
; %bb.317:
	v_cndmask_b32_e64 v3, 0, 1, s[24:25]
	global_store_short v[0:1], v3, off
.LBB158_318:
	s_mov_b64 s[28:29], 0
.LBB158_319:
	s_andn2_b64 vcc, exec, s[28:29]
	s_cbranch_vccnz .LBB158_327
; %bb.320:
	v_cndmask_b32_e64 v4, 0, 1.0, s[24:25]
	s_mov_b32 s28, 0x43800000
	v_cmp_gt_u32_e32 vcc, s28, v4
	v_mov_b32_e32 v5, 0x80
	s_and_saveexec_b64 s[28:29], vcc
	s_cbranch_execz .LBB158_326
; %bb.321:
	s_mov_b32 s30, 0x3bffffff
	v_cmp_lt_u32_e32 vcc, s30, v4
	s_mov_b64 s[30:31], 0
                                        ; implicit-def: $vgpr3
	s_and_saveexec_b64 s[34:35], vcc
	s_xor_b64 s[34:35], exec, s[34:35]
	s_cbranch_execz .LBB158_543
; %bb.322:
	v_bfe_u32 v3, v4, 20, 1
	s_mov_b32 s38, 0x487ffff
	v_add3_u32 v3, v4, v3, s38
	s_mov_b64 s[30:31], exec
	v_lshrrev_b32_e32 v3, 20, v3
                                        ; implicit-def: $vgpr4
	s_andn2_saveexec_b64 s[34:35], s[34:35]
	s_cbranch_execnz .LBB158_544
.LBB158_323:
	s_or_b64 exec, exec, s[34:35]
	v_mov_b32_e32 v5, 0
	s_and_saveexec_b64 s[34:35], s[30:31]
.LBB158_324:
	v_mov_b32_e32 v5, v3
.LBB158_325:
	s_or_b64 exec, exec, s[34:35]
.LBB158_326:
	s_or_b64 exec, exec, s[28:29]
	global_store_byte v[0:1], v5, off
.LBB158_327:
	s_mov_b64 s[28:29], -1
.LBB158_328:
	s_mov_b64 s[30:31], 0
.LBB158_329:
	s_and_b64 vcc, exec, s[30:31]
	s_cbranch_vccz .LBB158_370
; %bb.330:
	s_cmp_gt_i32 s37, 22
	s_mov_b64 s[30:31], -1
	s_cbranch_scc0 .LBB158_362
; %bb.331:
	s_cmp_lt_i32 s37, 24
	s_mov_b64 s[28:29], -1
	s_cbranch_scc1 .LBB158_351
; %bb.332:
	s_cmp_gt_i32 s37, 24
	s_cbranch_scc0 .LBB158_340
; %bb.333:
	v_cndmask_b32_e64 v4, 0, 1.0, s[24:25]
	s_mov_b32 s28, 0x47800000
	v_cmp_gt_u32_e32 vcc, s28, v4
	v_mov_b32_e32 v5, 0x80
	s_and_saveexec_b64 s[28:29], vcc
	s_cbranch_execz .LBB158_339
; %bb.334:
	s_mov_b32 s30, 0x37ffffff
	v_cmp_lt_u32_e32 vcc, s30, v4
	s_mov_b64 s[30:31], 0
                                        ; implicit-def: $vgpr3
	s_and_saveexec_b64 s[34:35], vcc
	s_xor_b64 s[34:35], exec, s[34:35]
	s_cbranch_execz .LBB158_546
; %bb.335:
	v_bfe_u32 v3, v4, 21, 1
	s_mov_b32 s38, 0x88fffff
	v_add3_u32 v3, v4, v3, s38
	s_mov_b64 s[30:31], exec
	v_lshrrev_b32_e32 v3, 21, v3
                                        ; implicit-def: $vgpr4
	s_andn2_saveexec_b64 s[34:35], s[34:35]
	s_cbranch_execnz .LBB158_547
.LBB158_336:
	s_or_b64 exec, exec, s[34:35]
	v_mov_b32_e32 v5, 0
	s_and_saveexec_b64 s[34:35], s[30:31]
.LBB158_337:
	v_mov_b32_e32 v5, v3
.LBB158_338:
	s_or_b64 exec, exec, s[34:35]
.LBB158_339:
	s_or_b64 exec, exec, s[28:29]
	s_mov_b64 s[28:29], 0
	global_store_byte v[0:1], v5, off
.LBB158_340:
	s_and_b64 vcc, exec, s[28:29]
	s_cbranch_vccz .LBB158_350
; %bb.341:
	v_cndmask_b32_e64 v3, 0, 1.0, s[24:25]
	s_mov_b32 s28, 0x43f00000
	v_cmp_gt_u32_e32 vcc, s28, v3
                                        ; implicit-def: $vgpr4
	s_and_saveexec_b64 s[28:29], vcc
	s_xor_b64 s[28:29], exec, s[28:29]
	s_cbranch_execz .LBB158_347
; %bb.342:
	s_mov_b32 s30, 0x3c7fffff
	v_cmp_lt_u32_e32 vcc, s30, v3
                                        ; implicit-def: $vgpr4
	s_and_saveexec_b64 s[30:31], vcc
	s_xor_b64 s[30:31], exec, s[30:31]
; %bb.343:
	v_bfe_u32 v4, v3, 20, 1
	s_mov_b32 s34, 0x407ffff
	v_add3_u32 v3, v3, v4, s34
	v_lshrrev_b32_e32 v4, 20, v3
	v_and_b32_e32 v3, 0xff00000, v3
	s_mov_b32 s34, 0x7f00000
	v_mov_b32_e32 v5, 0x7e
	v_cmp_ne_u32_e32 vcc, s34, v3
	v_cndmask_b32_e32 v4, v5, v4, vcc
                                        ; implicit-def: $vgpr3
; %bb.344:
	s_andn2_saveexec_b64 s[30:31], s[30:31]
; %bb.345:
	v_add_f32_e32 v4, 0x46800000, v3
; %bb.346:
	s_or_b64 exec, exec, s[30:31]
                                        ; implicit-def: $vgpr3
.LBB158_347:
	s_andn2_saveexec_b64 s[28:29], s[28:29]
; %bb.348:
	s_mov_b32 s30, 0x7f800000
	v_mov_b32_e32 v4, 0x7e
	v_mov_b32_e32 v5, 0x7f
	v_cmp_lt_u32_e32 vcc, s30, v3
	v_cndmask_b32_e32 v4, v4, v5, vcc
; %bb.349:
	s_or_b64 exec, exec, s[28:29]
	global_store_byte v[0:1], v4, off
.LBB158_350:
	s_mov_b64 s[28:29], 0
.LBB158_351:
	s_andn2_b64 vcc, exec, s[28:29]
	s_cbranch_vccnz .LBB158_361
; %bb.352:
	v_cndmask_b32_e64 v3, 0, 1.0, s[24:25]
	s_mov_b32 s28, 0x47800000
	v_cmp_gt_u32_e32 vcc, s28, v3
                                        ; implicit-def: $vgpr4
	s_and_saveexec_b64 s[28:29], vcc
	s_xor_b64 s[28:29], exec, s[28:29]
	s_cbranch_execz .LBB158_358
; %bb.353:
	s_mov_b32 s30, 0x387fffff
	v_cmp_lt_u32_e32 vcc, s30, v3
                                        ; implicit-def: $vgpr4
	s_and_saveexec_b64 s[30:31], vcc
	s_xor_b64 s[30:31], exec, s[30:31]
; %bb.354:
	v_bfe_u32 v4, v3, 21, 1
	s_mov_b32 s34, 0x80fffff
	v_add3_u32 v3, v3, v4, s34
	v_lshrrev_b32_e32 v4, 21, v3
                                        ; implicit-def: $vgpr3
; %bb.355:
	s_andn2_saveexec_b64 s[30:31], s[30:31]
; %bb.356:
	v_add_f32_e32 v4, 0x43000000, v3
; %bb.357:
	s_or_b64 exec, exec, s[30:31]
                                        ; implicit-def: $vgpr3
.LBB158_358:
	s_andn2_saveexec_b64 s[28:29], s[28:29]
; %bb.359:
	s_mov_b32 s30, 0x7f800000
	v_mov_b32_e32 v4, 0x7c
	v_mov_b32_e32 v5, 0x7f
	v_cmp_lt_u32_e32 vcc, s30, v3
	v_cndmask_b32_e32 v4, v4, v5, vcc
; %bb.360:
	s_or_b64 exec, exec, s[28:29]
	global_store_byte v[0:1], v4, off
.LBB158_361:
	s_mov_b64 s[30:31], 0
	s_mov_b64 s[28:29], -1
.LBB158_362:
	s_andn2_b64 vcc, exec, s[30:31]
	s_cbranch_vccnz .LBB158_370
; %bb.363:
	s_cmp_gt_i32 s37, 14
	s_mov_b64 s[30:31], -1
	s_cbranch_scc0 .LBB158_367
; %bb.364:
	s_cmp_eq_u32 s37, 15
	s_mov_b64 s[0:1], -1
	s_cbranch_scc0 .LBB158_366
; %bb.365:
	v_cndmask_b32_e64 v3, 0, 1.0, s[24:25]
	v_bfe_u32 v4, v3, 16, 1
	s_movk_i32 s0, 0x7fff
	v_add3_u32 v3, v3, v4, s0
	global_store_short_d16_hi v[0:1], v3, off
	s_mov_b64 s[28:29], -1
	s_mov_b64 s[0:1], 0
.LBB158_366:
	s_mov_b64 s[30:31], 0
.LBB158_367:
	s_and_b64 vcc, exec, s[30:31]
	s_cbranch_vccz .LBB158_370
; %bb.368:
	s_cmp_eq_u32 s37, 11
	s_mov_b64 s[0:1], -1
	s_cbranch_scc0 .LBB158_370
; %bb.369:
	v_cndmask_b32_e64 v3, 0, 1, s[24:25]
	s_mov_b64 s[28:29], -1
	s_mov_b64 s[0:1], 0
	global_store_byte v[0:1], v3, off
.LBB158_370:
	s_mov_b64 s[30:31], 0
.LBB158_371:
	s_and_b64 vcc, exec, s[30:31]
	s_cbranch_vccz .LBB158_410
; %bb.372:
	s_and_b32 s30, 0xffff, s36
	s_cmp_lt_i32 s30, 5
	s_mov_b64 s[28:29], -1
	s_cbranch_scc1 .LBB158_393
; %bb.373:
	s_cmp_lt_i32 s30, 8
	s_cbranch_scc1 .LBB158_383
; %bb.374:
	s_cmp_lt_i32 s30, 9
	s_cbranch_scc1 .LBB158_380
; %bb.375:
	s_cmp_gt_i32 s30, 9
	s_cbranch_scc0 .LBB158_377
; %bb.376:
	v_cndmask_b32_e64 v3, 0, 1, s[24:25]
	v_cvt_f64_u32_e32 v[3:4], v3
	v_mov_b32_e32 v5, 0
	v_mov_b32_e32 v6, v5
	s_mov_b64 s[28:29], 0
	global_store_dwordx4 v[0:1], v[3:6], off
.LBB158_377:
	s_andn2_b64 vcc, exec, s[28:29]
	s_cbranch_vccnz .LBB158_379
; %bb.378:
	v_cndmask_b32_e64 v3, 0, 1.0, s[24:25]
	v_mov_b32_e32 v4, 0
	global_store_dwordx2 v[0:1], v[3:4], off
.LBB158_379:
	s_mov_b64 s[28:29], 0
.LBB158_380:
	s_andn2_b64 vcc, exec, s[28:29]
	s_cbranch_vccnz .LBB158_382
; %bb.381:
	v_cndmask_b32_e64 v3, 0, 1.0, s[24:25]
	v_cvt_f16_f32_e32 v3, v3
	global_store_dword v[0:1], v3, off
.LBB158_382:
	s_mov_b64 s[28:29], 0
.LBB158_383:
	s_andn2_b64 vcc, exec, s[28:29]
	s_cbranch_vccnz .LBB158_392
; %bb.384:
	s_cmp_lt_i32 s30, 6
	s_mov_b64 s[28:29], -1
	s_cbranch_scc1 .LBB158_390
; %bb.385:
	s_cmp_gt_i32 s30, 6
	s_cbranch_scc0 .LBB158_387
; %bb.386:
	v_cndmask_b32_e64 v3, 0, 1, s[24:25]
	v_cvt_f64_u32_e32 v[3:4], v3
	s_mov_b64 s[28:29], 0
	global_store_dwordx2 v[0:1], v[3:4], off
.LBB158_387:
	s_andn2_b64 vcc, exec, s[28:29]
	s_cbranch_vccnz .LBB158_389
; %bb.388:
	v_cndmask_b32_e64 v3, 0, 1.0, s[24:25]
	global_store_dword v[0:1], v3, off
.LBB158_389:
	s_mov_b64 s[28:29], 0
.LBB158_390:
	s_andn2_b64 vcc, exec, s[28:29]
	s_cbranch_vccnz .LBB158_392
; %bb.391:
	v_cndmask_b32_e64 v3, 0, 1.0, s[24:25]
	v_cvt_f16_f32_e32 v3, v3
	global_store_short v[0:1], v3, off
.LBB158_392:
	s_mov_b64 s[28:29], 0
.LBB158_393:
	s_andn2_b64 vcc, exec, s[28:29]
	s_cbranch_vccnz .LBB158_409
; %bb.394:
	s_cmp_lt_i32 s30, 2
	s_mov_b64 s[28:29], -1
	s_cbranch_scc1 .LBB158_404
; %bb.395:
	s_cmp_lt_i32 s30, 3
	s_cbranch_scc1 .LBB158_401
; %bb.396:
	s_cmp_gt_i32 s30, 3
	s_cbranch_scc0 .LBB158_398
; %bb.397:
	s_mov_b32 s28, 0
	v_cndmask_b32_e64 v3, 0, 1, s[24:25]
	v_mov_b32_e32 v4, s28
	s_mov_b64 s[28:29], 0
	global_store_dwordx2 v[0:1], v[3:4], off
.LBB158_398:
	s_andn2_b64 vcc, exec, s[28:29]
	s_cbranch_vccnz .LBB158_400
; %bb.399:
	v_cndmask_b32_e64 v3, 0, 1, s[24:25]
	global_store_dword v[0:1], v3, off
.LBB158_400:
	s_mov_b64 s[28:29], 0
.LBB158_401:
	s_andn2_b64 vcc, exec, s[28:29]
	s_cbranch_vccnz .LBB158_403
; %bb.402:
	v_cndmask_b32_e64 v3, 0, 1, s[24:25]
	global_store_short v[0:1], v3, off
.LBB158_403:
	s_mov_b64 s[28:29], 0
.LBB158_404:
	s_andn2_b64 vcc, exec, s[28:29]
	s_cbranch_vccnz .LBB158_409
; %bb.405:
	s_mov_b64 s[28:29], -1
	s_cmp_gt_i32 s30, 0
	v_cndmask_b32_e64 v3, 0, 1, s[24:25]
	s_cbranch_scc0 .LBB158_407
; %bb.406:
	s_mov_b64 s[28:29], 0
	global_store_byte v[0:1], v3, off
.LBB158_407:
	s_andn2_b64 vcc, exec, s[28:29]
	s_cbranch_vccnz .LBB158_409
; %bb.408:
	global_store_byte v[0:1], v3, off
.LBB158_409:
	s_mov_b64 s[28:29], -1
.LBB158_410:
	s_andn2_b64 vcc, exec, s[28:29]
	s_cbranch_vccnz .LBB158_412
; %bb.411:
	v_add_u32_e32 v2, 0x80, v2
	s_mov_b64 s[28:29], -1
	s_branch .LBB158_529
.LBB158_412:
	s_mov_b64 s[28:29], 0
                                        ; implicit-def: $vgpr2
	s_branch .LBB158_529
.LBB158_413:
	s_mov_b64 s[22:23], -1
                                        ; implicit-def: $vgpr3
.LBB158_414:
	v_mov_b32_e32 v4, 0
.LBB158_415:
	s_mov_b64 s[24:25], 0
.LBB158_416:
	s_and_b64 vcc, exec, s[24:25]
	s_cbranch_vccz .LBB158_421
; %bb.417:
	s_cmp_eq_u32 s30, 29
	s_cbranch_scc0 .LBB158_419
; %bb.418:
	global_load_dwordx2 v[3:4], v[0:1], off
	s_mov_b64 s[0:1], -1
	s_mov_b64 s[22:23], 0
	s_waitcnt vmcnt(0)
	v_ffbh_u32_e32 v5, v4
	v_min_u32_e32 v5, 32, v5
	v_lshlrev_b64 v[3:4], v5, v[3:4]
	v_min_u32_e32 v3, 1, v3
	v_or_b32_e32 v3, v4, v3
	v_cvt_f32_u32_e32 v3, v3
	v_sub_u32_e32 v4, 32, v5
	v_ldexp_f32 v3, v3, v4
	v_cvt_f16_f32_e32 v3, v3
	s_branch .LBB158_420
.LBB158_419:
	s_mov_b64 s[22:23], -1
                                        ; implicit-def: $vgpr3
.LBB158_420:
	v_mov_b32_e32 v4, 0
.LBB158_421:
	s_mov_b64 s[24:25], 0
.LBB158_422:
	s_and_b64 vcc, exec, s[24:25]
	s_cbranch_vccz .LBB158_440
; %bb.423:
	s_cmp_lt_i32 s30, 27
	s_cbranch_scc1 .LBB158_426
; %bb.424:
	s_cmp_gt_i32 s30, 27
	s_cbranch_scc0 .LBB158_427
; %bb.425:
	global_load_dword v3, v[0:1], off
	s_mov_b64 s[0:1], 0
	s_waitcnt vmcnt(0)
	v_cvt_f32_u32_e32 v3, v3
	v_cvt_f16_f32_e32 v3, v3
	s_branch .LBB158_428
.LBB158_426:
	s_mov_b64 s[0:1], -1
                                        ; implicit-def: $vgpr3
	s_branch .LBB158_431
.LBB158_427:
	s_mov_b64 s[0:1], -1
                                        ; implicit-def: $vgpr3
.LBB158_428:
	s_andn2_b64 vcc, exec, s[0:1]
	s_cbranch_vccnz .LBB158_430
; %bb.429:
	global_load_ushort v3, v[0:1], off
	s_waitcnt vmcnt(0)
	v_cvt_f16_u16_e32 v3, v3
.LBB158_430:
	s_mov_b64 s[0:1], 0
.LBB158_431:
	s_andn2_b64 vcc, exec, s[0:1]
	s_cbranch_vccnz .LBB158_439
; %bb.432:
	global_load_ubyte v4, v[0:1], off
	s_movk_i32 s0, 0x7f
	s_waitcnt vmcnt(0)
	v_cmp_lt_i16_e32 vcc, s0, v4
	s_mov_b64 s[0:1], 0
	s_and_saveexec_b64 s[24:25], vcc
	s_xor_b64 s[24:25], exec, s[24:25]
	s_cbranch_execz .LBB158_453
; %bb.433:
	s_movk_i32 s0, 0x80
	v_cmp_eq_u16_e32 vcc, s0, v4
	s_mov_b64 s[0:1], -1
	s_and_saveexec_b64 s[28:29], vcc
; %bb.434:
	s_xor_b64 s[0:1], exec, -1
; %bb.435:
	s_or_b64 exec, exec, s[28:29]
	s_and_b64 s[0:1], s[0:1], exec
	s_or_saveexec_b64 s[24:25], s[24:25]
	v_mov_b32_e32 v3, 0x7e00
	s_xor_b64 exec, exec, s[24:25]
	s_cbranch_execnz .LBB158_454
.LBB158_436:
	s_or_b64 exec, exec, s[24:25]
	s_and_saveexec_b64 s[24:25], s[0:1]
	s_cbranch_execz .LBB158_438
.LBB158_437:
	v_lshlrev_b32_e32 v3, 24, v4
	v_and_b32_e32 v4, 0xffff, v4
	v_and_b32_e32 v5, 7, v4
	v_ffbh_u32_e32 v7, v5
	v_min_u32_e32 v7, 32, v7
	v_subrev_u32_e32 v8, 28, v7
	v_bfe_u32 v6, v4, 3, 4
	v_lshlrev_b32_e32 v4, v8, v4
	v_sub_u32_e32 v7, 29, v7
	v_and_b32_e32 v4, 7, v4
	v_cmp_eq_u32_e32 vcc, 0, v6
	v_cndmask_b32_e32 v6, v6, v7, vcc
	v_cndmask_b32_e32 v4, v5, v4, vcc
	v_mov_b32_e32 v5, 0x3b800000
	v_lshlrev_b32_e32 v4, 20, v4
	v_and_b32_e32 v3, 0x80000000, v3
	v_lshl_add_u32 v5, v6, 23, v5
	v_or3_b32 v3, v3, v5, v4
	v_cvt_f16_f32_e32 v3, v3
.LBB158_438:
	s_or_b64 exec, exec, s[24:25]
.LBB158_439:
	s_mov_b64 s[0:1], -1
	v_mov_b32_e32 v4, 0
.LBB158_440:
	s_mov_b64 s[24:25], 0
.LBB158_441:
	s_and_b64 vcc, exec, s[24:25]
	s_cbranch_vccz .LBB158_477
; %bb.442:
	s_cmp_gt_i32 s30, 22
	s_cbranch_scc0 .LBB158_452
; %bb.443:
	s_cmp_lt_i32 s30, 24
	s_cbranch_scc1 .LBB158_455
; %bb.444:
	s_cmp_gt_i32 s30, 24
	s_cbranch_scc0 .LBB158_456
; %bb.445:
	global_load_ubyte v4, v[0:1], off
	s_movk_i32 s0, 0x7f
	s_waitcnt vmcnt(0)
	v_cmp_lt_i16_e32 vcc, s0, v4
	s_mov_b64 s[0:1], 0
	s_and_saveexec_b64 s[24:25], vcc
	s_xor_b64 s[24:25], exec, s[24:25]
	s_cbranch_execz .LBB158_468
; %bb.446:
	s_movk_i32 s0, 0x80
	v_cmp_eq_u16_e32 vcc, s0, v4
	s_mov_b64 s[0:1], -1
	s_and_saveexec_b64 s[28:29], vcc
; %bb.447:
	s_xor_b64 s[0:1], exec, -1
; %bb.448:
	s_or_b64 exec, exec, s[28:29]
	s_and_b64 s[0:1], s[0:1], exec
	s_or_saveexec_b64 s[24:25], s[24:25]
	v_mov_b32_e32 v3, 0x7e00
	s_xor_b64 exec, exec, s[24:25]
	s_cbranch_execnz .LBB158_469
.LBB158_449:
	s_or_b64 exec, exec, s[24:25]
	s_and_saveexec_b64 s[24:25], s[0:1]
	s_cbranch_execz .LBB158_451
.LBB158_450:
	v_lshlrev_b32_e32 v3, 24, v4
	v_and_b32_e32 v4, 0xffff, v4
	v_and_b32_e32 v5, 3, v4
	v_ffbh_u32_e32 v7, v5
	v_min_u32_e32 v7, 32, v7
	v_subrev_u32_e32 v8, 29, v7
	v_bfe_u32 v6, v4, 2, 5
	v_lshlrev_b32_e32 v4, v8, v4
	v_sub_u32_e32 v7, 30, v7
	v_and_b32_e32 v4, 3, v4
	v_cmp_eq_u32_e32 vcc, 0, v6
	v_cndmask_b32_e32 v6, v6, v7, vcc
	v_cndmask_b32_e32 v4, v5, v4, vcc
	v_mov_b32_e32 v5, 0x37800000
	v_lshlrev_b32_e32 v4, 21, v4
	v_and_b32_e32 v3, 0x80000000, v3
	v_lshl_add_u32 v5, v6, 23, v5
	v_or3_b32 v3, v3, v5, v4
	v_cvt_f16_f32_e32 v3, v3
.LBB158_451:
	s_or_b64 exec, exec, s[24:25]
	s_mov_b64 s[0:1], 0
	s_branch .LBB158_457
.LBB158_452:
	s_mov_b64 s[24:25], -1
                                        ; implicit-def: $vgpr3
	s_branch .LBB158_463
.LBB158_453:
	s_or_saveexec_b64 s[24:25], s[24:25]
	v_mov_b32_e32 v3, 0x7e00
	s_xor_b64 exec, exec, s[24:25]
	s_cbranch_execz .LBB158_436
.LBB158_454:
	v_cmp_ne_u16_e32 vcc, 0, v4
	s_andn2_b64 s[0:1], s[0:1], exec
	s_and_b64 s[28:29], vcc, exec
	s_or_b64 s[0:1], s[0:1], s[28:29]
	v_mov_b32_e32 v3, v4
	s_or_b64 exec, exec, s[24:25]
	s_and_saveexec_b64 s[24:25], s[0:1]
	s_cbranch_execnz .LBB158_437
	s_branch .LBB158_438
.LBB158_455:
	s_mov_b64 s[0:1], -1
                                        ; implicit-def: $vgpr3
	s_branch .LBB158_460
.LBB158_456:
	s_mov_b64 s[0:1], -1
                                        ; implicit-def: $vgpr3
.LBB158_457:
	s_and_b64 vcc, exec, s[0:1]
	s_cbranch_vccz .LBB158_459
; %bb.458:
	global_load_ubyte v3, v[0:1], off
	s_mov_b32 s0, 0x7f800000
	s_waitcnt vmcnt(0)
	v_lshlrev_b32_e32 v3, 24, v3
	v_and_b32_e32 v4, 0x7f000000, v3
	v_ffbh_u32_e32 v5, v4
	v_min_u32_e32 v5, 32, v5
	v_sub_u32_e64 v5, v5, 4 clamp
	v_lshlrev_b32_e32 v7, v5, v4
	v_lshlrev_b32_e32 v5, 23, v5
	v_lshrrev_b32_e32 v7, 4, v7
	v_add_u32_e32 v6, 0x1000000, v4
	v_sub_u32_e32 v5, v7, v5
	v_ashrrev_i32_e32 v6, 8, v6
	v_add_u32_e32 v5, 0x3c000000, v5
	v_and_or_b32 v5, v6, s0, v5
	v_cmp_ne_u32_e32 vcc, 0, v4
	v_cndmask_b32_e32 v4, 0, v5, vcc
	s_brev_b32 s0, 1
	v_and_or_b32 v3, v3, s0, v4
	v_cvt_f16_f32_e32 v3, v3
.LBB158_459:
	s_mov_b64 s[0:1], 0
.LBB158_460:
	s_andn2_b64 vcc, exec, s[0:1]
	s_cbranch_vccnz .LBB158_462
; %bb.461:
	global_load_ubyte v3, v[0:1], off
	s_movk_i32 s0, 0x7f00
	s_brev_b32 s1, 16
	s_waitcnt vmcnt(0)
	v_lshlrev_b16_e32 v4, 8, v3
	v_lshlrev_b32_e32 v3, 25, v3
	v_lshrrev_b32_e32 v5, 4, v3
	v_and_or_b32 v6, v4, s0, 0.5
	v_or_b32_e32 v5, 0x70000000, v5
	v_add_f32_e32 v6, -0.5, v6
	v_mul_f32_e32 v5, 0x7800000, v5
	v_cmp_gt_u32_e32 vcc, s1, v3
	v_bfe_i32 v4, v4, 0, 16
	v_cndmask_b32_e32 v3, v5, v6, vcc
	s_brev_b32 s0, 1
	v_and_or_b32 v3, v4, s0, v3
	v_cvt_f16_f32_e32 v3, v3
.LBB158_462:
	s_mov_b64 s[24:25], 0
	s_mov_b64 s[0:1], -1
.LBB158_463:
	s_andn2_b64 vcc, exec, s[24:25]
	s_cbranch_vccnz .LBB158_476
; %bb.464:
	s_cmp_gt_i32 s30, 14
	s_cbranch_scc0 .LBB158_467
; %bb.465:
	s_cmp_eq_u32 s30, 15
	s_cbranch_scc0 .LBB158_470
; %bb.466:
	global_load_ushort v3, v[0:1], off
	s_mov_b64 s[0:1], -1
	s_mov_b64 s[22:23], 0
	s_waitcnt vmcnt(0)
	v_lshlrev_b32_e32 v3, 16, v3
	v_cvt_f16_f32_e32 v3, v3
	s_branch .LBB158_471
.LBB158_467:
	s_mov_b64 s[24:25], -1
                                        ; implicit-def: $vgpr3
	s_branch .LBB158_472
.LBB158_468:
	s_or_saveexec_b64 s[24:25], s[24:25]
	v_mov_b32_e32 v3, 0x7e00
	s_xor_b64 exec, exec, s[24:25]
	s_cbranch_execz .LBB158_449
.LBB158_469:
	v_cmp_ne_u16_e32 vcc, 0, v4
	s_andn2_b64 s[0:1], s[0:1], exec
	s_and_b64 s[28:29], vcc, exec
	s_or_b64 s[0:1], s[0:1], s[28:29]
	v_mov_b32_e32 v3, v4
	s_or_b64 exec, exec, s[24:25]
	s_and_saveexec_b64 s[24:25], s[0:1]
	s_cbranch_execnz .LBB158_450
	s_branch .LBB158_451
.LBB158_470:
	s_mov_b64 s[22:23], -1
                                        ; implicit-def: $vgpr3
.LBB158_471:
	s_mov_b64 s[24:25], 0
.LBB158_472:
	s_and_b64 vcc, exec, s[24:25]
	s_cbranch_vccz .LBB158_476
; %bb.473:
	s_cmp_eq_u32 s30, 11
	s_cbranch_scc0 .LBB158_475
; %bb.474:
	global_load_ubyte v3, v[0:1], off
	v_mov_b32_e32 v4, 0x3c00
	s_mov_b64 s[0:1], -1
	s_mov_b64 s[22:23], 0
	s_waitcnt vmcnt(0)
	v_cmp_ne_u16_e32 vcc, 0, v3
	v_cndmask_b32_e32 v3, 0, v4, vcc
	s_branch .LBB158_476
.LBB158_475:
	s_mov_b64 s[22:23], -1
                                        ; implicit-def: $vgpr3
.LBB158_476:
	v_mov_b32_e32 v4, 0
.LBB158_477:
	s_branch .LBB158_273
.LBB158_478:
	s_cmp_lt_i32 s30, 5
	s_cbranch_scc1 .LBB158_483
; %bb.479:
	s_cmp_lt_i32 s30, 8
	s_cbranch_scc1 .LBB158_484
; %bb.480:
	;; [unrolled: 3-line block ×3, first 2 shown]
	s_cmp_gt_i32 s30, 9
	s_cbranch_scc0 .LBB158_486
; %bb.482:
	global_load_dwordx4 v[3:6], v[0:1], off
	s_movk_i32 s0, 0x1ff
	s_movk_i32 s1, 0xffe
	v_mov_b32_e32 v7, 0x7c00
	v_mov_b32_e32 v8, 0x7e00
	s_movk_i32 s24, 0x40f
	s_mov_b32 s25, 0x8000
	s_waitcnt vmcnt(0)
	v_and_or_b32 v3, v4, s0, v3
	v_and_or_b32 v5, v6, s0, v5
	v_cmp_ne_u32_e32 vcc, 0, v3
	v_lshrrev_b32_e32 v9, 8, v4
	v_cndmask_b32_e64 v3, 0, 1, vcc
	v_cmp_ne_u32_e32 vcc, 0, v5
	v_bfe_u32 v10, v4, 20, 11
	v_lshrrev_b32_e32 v11, 8, v6
	v_bfe_u32 v12, v6, 20, 11
	v_cndmask_b32_e64 v5, 0, 1, vcc
	v_and_or_b32 v3, v9, s1, v3
	v_sub_u32_e32 v13, 0x3f1, v10
	v_add_u32_e32 v10, 0xfffffc10, v10
	v_sub_u32_e32 v14, 0x3f1, v12
	v_and_or_b32 v5, v11, s1, v5
	v_cmp_ne_u32_e32 vcc, 0, v3
	v_add_u32_e32 v12, 0xfffffc10, v12
	v_med3_i32 v9, v13, 0, 13
	v_med3_i32 v11, v14, 0, 13
	v_or_b32_e32 v13, 0x1000, v3
	v_lshl_or_b32 v14, v10, 12, v3
	v_cndmask_b32_e32 v3, v7, v8, vcc
	v_cmp_ne_u32_e32 vcc, 0, v5
	v_or_b32_e32 v15, 0x1000, v5
	v_lshl_or_b32 v16, v12, 12, v5
	v_cndmask_b32_e32 v5, v7, v8, vcc
	v_lshrrev_b32_e32 v8, v9, v13
	v_lshrrev_b32_e32 v17, v11, v15
	v_lshlrev_b32_e32 v9, v9, v8
	v_lshlrev_b32_e32 v11, v11, v17
	v_cmp_ne_u32_e32 vcc, v9, v13
	v_cndmask_b32_e64 v9, 0, 1, vcc
	v_cmp_ne_u32_e32 vcc, v11, v15
	v_cndmask_b32_e64 v11, 0, 1, vcc
	v_or_b32_e32 v8, v8, v9
	v_cmp_gt_i32_e32 vcc, 1, v10
	v_cndmask_b32_e32 v8, v14, v8, vcc
	v_or_b32_e32 v9, v17, v11
	v_cmp_gt_i32_e32 vcc, 1, v12
	v_and_b32_e32 v11, 7, v8
	v_cndmask_b32_e32 v9, v16, v9, vcc
	v_cmp_lt_i32_e32 vcc, 5, v11
	v_and_b32_e32 v13, 7, v9
	v_cndmask_b32_e64 v14, 0, 1, vcc
	v_cmp_eq_u32_e32 vcc, 3, v11
	v_cndmask_b32_e64 v11, 0, 1, vcc
	v_cmp_lt_i32_e32 vcc, 5, v13
	v_cndmask_b32_e64 v15, 0, 1, vcc
	v_cmp_eq_u32_e32 vcc, 3, v13
	v_lshrrev_b32_e32 v8, 2, v8
	v_cndmask_b32_e64 v13, 0, 1, vcc
	v_or_b32_e32 v11, v11, v14
	v_lshrrev_b32_e32 v9, 2, v9
	v_or_b32_e32 v13, v13, v15
	v_add_u32_e32 v8, v8, v11
	v_cmp_gt_i32_e32 vcc, 31, v10
	v_add_u32_e32 v9, v9, v13
	v_cndmask_b32_e32 v8, v7, v8, vcc
	v_cmp_gt_i32_e32 vcc, 31, v12
	v_cndmask_b32_e32 v7, v7, v9, vcc
	v_cmp_eq_u32_e32 vcc, s24, v10
	v_cndmask_b32_e32 v3, v8, v3, vcc
	v_cmp_eq_u32_e32 vcc, s24, v12
	v_lshrrev_b32_e32 v4, 16, v4
	v_lshrrev_b32_e32 v6, 16, v6
	v_cndmask_b32_e32 v5, v7, v5, vcc
	v_and_or_b32 v3, v4, s25, v3
	v_and_or_b32 v4, v6, s25, v5
	s_mov_b64 s[0:1], 0
	s_branch .LBB158_487
.LBB158_483:
	s_mov_b64 s[0:1], -1
                                        ; implicit-def: $vgpr4
                                        ; implicit-def: $vgpr3
	s_branch .LBB158_506
.LBB158_484:
	s_mov_b64 s[0:1], -1
                                        ; implicit-def: $vgpr4
                                        ; implicit-def: $vgpr3
	s_branch .LBB158_493
.LBB158_485:
	s_mov_b64 s[0:1], -1
                                        ; implicit-def: $vgpr4
                                        ; implicit-def: $vgpr3
	s_branch .LBB158_490
.LBB158_486:
	s_mov_b64 s[0:1], -1
                                        ; implicit-def: $vgpr4
                                        ; implicit-def: $vgpr3
.LBB158_487:
	s_andn2_b64 vcc, exec, s[0:1]
	s_cbranch_vccnz .LBB158_489
; %bb.488:
	global_load_dwordx2 v[3:4], v[0:1], off
	s_waitcnt vmcnt(0)
	v_cvt_f16_f32_e32 v3, v3
	v_cvt_f16_f32_e32 v4, v4
.LBB158_489:
	s_mov_b64 s[0:1], 0
.LBB158_490:
	s_andn2_b64 vcc, exec, s[0:1]
	s_cbranch_vccnz .LBB158_492
; %bb.491:
	global_load_dword v3, v[0:1], off
	s_waitcnt vmcnt(0)
	v_lshrrev_b32_e32 v4, 16, v3
.LBB158_492:
	s_mov_b64 s[0:1], 0
.LBB158_493:
	s_andn2_b64 vcc, exec, s[0:1]
	s_cbranch_vccnz .LBB158_505
; %bb.494:
	s_cmp_lt_i32 s30, 6
	s_cbranch_scc1 .LBB158_497
; %bb.495:
	s_cmp_gt_i32 s30, 6
	s_cbranch_scc0 .LBB158_498
; %bb.496:
	global_load_dwordx2 v[3:4], v[0:1], off
	s_movk_i32 s0, 0x1ff
	s_movk_i32 s1, 0xffe
	v_mov_b32_e32 v5, 0x7c00
	v_mov_b32_e32 v6, 0x7e00
	s_movk_i32 s24, 0x40f
	s_mov_b32 s25, 0x8000
	s_waitcnt vmcnt(0)
	v_and_or_b32 v3, v4, s0, v3
	v_cmp_ne_u32_e32 vcc, 0, v3
	v_lshrrev_b32_e32 v7, 8, v4
	v_bfe_u32 v8, v4, 20, 11
	v_cndmask_b32_e64 v3, 0, 1, vcc
	v_sub_u32_e32 v9, 0x3f1, v8
	v_and_or_b32 v3, v7, s1, v3
	v_add_u32_e32 v8, 0xfffffc10, v8
	v_med3_i32 v7, v9, 0, 13
	v_or_b32_e32 v9, 0x1000, v3
	v_cmp_ne_u32_e32 vcc, 0, v3
	v_lshl_or_b32 v10, v8, 12, v3
	v_cndmask_b32_e32 v3, v5, v6, vcc
	v_lshrrev_b32_e32 v6, v7, v9
	v_lshlrev_b32_e32 v7, v7, v6
	v_cmp_ne_u32_e32 vcc, v7, v9
	v_cndmask_b32_e64 v7, 0, 1, vcc
	v_or_b32_e32 v6, v6, v7
	v_cmp_gt_i32_e32 vcc, 1, v8
	v_cndmask_b32_e32 v6, v10, v6, vcc
	v_and_b32_e32 v7, 7, v6
	v_cmp_lt_i32_e32 vcc, 5, v7
	v_cndmask_b32_e64 v9, 0, 1, vcc
	v_cmp_eq_u32_e32 vcc, 3, v7
	v_cndmask_b32_e64 v7, 0, 1, vcc
	v_lshrrev_b32_e32 v6, 2, v6
	v_or_b32_e32 v7, v7, v9
	v_add_u32_e32 v6, v6, v7
	v_cmp_gt_i32_e32 vcc, 31, v8
	v_cndmask_b32_e32 v5, v5, v6, vcc
	v_cmp_eq_u32_e32 vcc, s24, v8
	v_lshrrev_b32_e32 v4, 16, v4
	v_cndmask_b32_e32 v3, v5, v3, vcc
	v_and_or_b32 v3, v4, s25, v3
	s_mov_b64 s[0:1], 0
	s_branch .LBB158_499
.LBB158_497:
	s_mov_b64 s[0:1], -1
                                        ; implicit-def: $vgpr3
	s_branch .LBB158_502
.LBB158_498:
	s_mov_b64 s[0:1], -1
                                        ; implicit-def: $vgpr3
.LBB158_499:
	s_andn2_b64 vcc, exec, s[0:1]
	s_cbranch_vccnz .LBB158_501
; %bb.500:
	global_load_dword v3, v[0:1], off
	s_waitcnt vmcnt(0)
	v_cvt_f16_f32_e32 v3, v3
.LBB158_501:
	s_mov_b64 s[0:1], 0
.LBB158_502:
	s_andn2_b64 vcc, exec, s[0:1]
	s_cbranch_vccnz .LBB158_504
; %bb.503:
	global_load_ushort v3, v[0:1], off
.LBB158_504:
	v_mov_b32_e32 v4, 0
.LBB158_505:
	s_mov_b64 s[0:1], 0
.LBB158_506:
	s_andn2_b64 vcc, exec, s[0:1]
	s_cbranch_vccnz .LBB158_527
; %bb.507:
	s_cmp_lt_i32 s30, 2
	s_cbranch_scc1 .LBB158_511
; %bb.508:
	s_cmp_lt_i32 s30, 3
	s_cbranch_scc1 .LBB158_512
; %bb.509:
	s_cmp_gt_i32 s30, 3
	s_cbranch_scc0 .LBB158_513
; %bb.510:
	global_load_dwordx2 v[3:4], v[0:1], off
	s_mov_b64 s[0:1], 0
	s_waitcnt vmcnt(0)
	v_xor_b32_e32 v6, v3, v4
	v_ffbh_i32_e32 v5, v4
	v_ashrrev_i32_e32 v6, 31, v6
	v_add_u32_e32 v5, -1, v5
	v_add_u32_e32 v6, 32, v6
	v_min_u32_e32 v5, v5, v6
	v_lshlrev_b64 v[3:4], v5, v[3:4]
	v_min_u32_e32 v3, 1, v3
	v_or_b32_e32 v3, v4, v3
	v_cvt_f32_i32_e32 v3, v3
	v_sub_u32_e32 v4, 32, v5
	v_ldexp_f32 v3, v3, v4
	v_cvt_f16_f32_e32 v3, v3
	s_branch .LBB158_514
.LBB158_511:
	s_mov_b64 s[0:1], -1
                                        ; implicit-def: $vgpr3
	s_branch .LBB158_520
.LBB158_512:
	s_mov_b64 s[0:1], -1
                                        ; implicit-def: $vgpr3
	s_branch .LBB158_517
.LBB158_513:
	s_mov_b64 s[0:1], -1
                                        ; implicit-def: $vgpr3
.LBB158_514:
	s_andn2_b64 vcc, exec, s[0:1]
	s_cbranch_vccnz .LBB158_516
; %bb.515:
	global_load_dword v3, v[0:1], off
	s_waitcnt vmcnt(0)
	v_cvt_f32_i32_e32 v3, v3
	v_cvt_f16_f32_e32 v3, v3
.LBB158_516:
	s_mov_b64 s[0:1], 0
.LBB158_517:
	s_andn2_b64 vcc, exec, s[0:1]
	s_cbranch_vccnz .LBB158_519
; %bb.518:
	global_load_ushort v3, v[0:1], off
	s_waitcnt vmcnt(0)
	v_cvt_f16_i16_e32 v3, v3
.LBB158_519:
	s_mov_b64 s[0:1], 0
.LBB158_520:
	s_andn2_b64 vcc, exec, s[0:1]
	s_cbranch_vccnz .LBB158_526
; %bb.521:
	s_cmp_gt_i32 s30, 0
	s_cbranch_scc0 .LBB158_523
; %bb.522:
	global_load_sbyte v3, v[0:1], off
	s_mov_b64 s[0:1], 0
	s_waitcnt vmcnt(0)
	v_cvt_f16_i16_e32 v3, v3
	s_branch .LBB158_524
.LBB158_523:
	s_mov_b64 s[0:1], -1
                                        ; implicit-def: $vgpr3
.LBB158_524:
	s_andn2_b64 vcc, exec, s[0:1]
	s_cbranch_vccnz .LBB158_526
; %bb.525:
	global_load_ubyte v0, v[0:1], off
	s_waitcnt vmcnt(0)
	v_cvt_f16_u16_e32 v3, v0
.LBB158_526:
	v_mov_b32_e32 v4, 0
.LBB158_527:
	s_branch .LBB158_274
.LBB158_528:
	s_mov_b64 s[28:29], 0
                                        ; implicit-def: $vgpr2
	s_mov_b64 s[0:1], s[16:17]
.LBB158_529:
	s_andn2_b64 s[24:25], s[16:17], exec
	s_and_b64 s[0:1], s[0:1], exec
	s_or_b64 s[24:25], s[24:25], s[0:1]
	s_andn2_b64 s[0:1], s[18:19], exec
	s_and_b64 s[22:23], s[22:23], exec
	s_or_b64 s[22:23], s[0:1], s[22:23]
	s_orn2_b64 s[0:1], s[28:29], exec
.LBB158_530:
	s_or_b64 exec, exec, s[26:27]
	s_mov_b64 s[28:29], 0
	s_mov_b64 s[30:31], 0
	;; [unrolled: 1-line block ×3, first 2 shown]
                                        ; implicit-def: $vgpr0_vgpr1
                                        ; implicit-def: $vgpr4
                                        ; implicit-def: $vgpr3
	s_and_saveexec_b64 s[26:27], s[0:1]
	s_cbranch_execz .LBB158_888
; %bb.531:
	v_cmp_gt_i32_e32 vcc, s42, v2
	s_mov_b64 s[38:39], -1
	s_mov_b64 s[0:1], s[22:23]
	s_mov_b64 s[34:35], s[24:25]
	s_and_saveexec_b64 s[28:29], vcc
	s_cbranch_execz .LBB158_799
; %bb.532:
	v_mul_lo_u32 v0, v2, s13
	v_mov_b32_e32 v1, s11
	s_and_b32 s38, 0xffff, s46
	s_cmp_lt_i32 s38, 11
	s_waitcnt vmcnt(0)
	v_ashrrev_i32_e32 v3, 31, v0
	v_add_co_u32_e32 v0, vcc, s10, v0
	v_addc_co_u32_e32 v1, vcc, v1, v3, vcc
	s_cbranch_scc1 .LBB158_539
; %bb.533:
	s_cmp_gt_i32 s38, 25
	s_cbranch_scc0 .LBB158_540
; %bb.534:
	s_cmp_gt_i32 s38, 28
	s_cbranch_scc0 .LBB158_541
	;; [unrolled: 3-line block ×4, first 2 shown]
; %bb.537:
	s_cmp_eq_u32 s38, 46
	s_mov_b64 s[34:35], 0
	s_cbranch_scc0 .LBB158_548
; %bb.538:
	global_load_dword v3, v[0:1], off
	s_mov_b64 s[0:1], -1
	s_waitcnt vmcnt(0)
	v_and_b32_e32 v4, 0xffff0000, v3
	v_lshlrev_b32_e32 v3, 16, v3
	v_cvt_f16_f32_e32 v3, v3
	v_cvt_f16_f32_e32 v4, v4
	s_branch .LBB158_549
.LBB158_539:
	s_mov_b64 s[34:35], -1
	s_mov_b64 s[0:1], 0
                                        ; implicit-def: $vgpr4
                                        ; implicit-def: $vgpr3
	s_mov_b64 s[30:31], s[22:23]
	s_branch .LBB158_617
.LBB158_540:
	s_mov_b64 s[34:35], -1
	s_mov_b64 s[0:1], 0
	s_mov_b64 s[30:31], s[22:23]
                                        ; implicit-def: $vgpr4
                                        ; implicit-def: $vgpr3
	s_branch .LBB158_580
.LBB158_541:
	s_mov_b64 s[34:35], -1
	s_mov_b64 s[0:1], 0
	s_mov_b64 s[30:31], s[22:23]
                                        ; implicit-def: $vgpr4
                                        ; implicit-def: $vgpr3
	s_branch .LBB158_561
.LBB158_542:
	s_mov_b64 s[34:35], -1
	s_mov_b64 s[0:1], 0
	s_mov_b64 s[30:31], s[22:23]
                                        ; implicit-def: $vgpr4
                                        ; implicit-def: $vgpr3
	s_branch .LBB158_555
.LBB158_543:
	s_andn2_saveexec_b64 s[34:35], s[34:35]
	s_cbranch_execz .LBB158_323
.LBB158_544:
	v_add_f32_e32 v3, 0x46000000, v4
	v_and_b32_e32 v3, 0xff, v3
	v_cmp_ne_u32_e32 vcc, 0, v3
	s_andn2_b64 s[30:31], s[30:31], exec
	s_and_b64 s[38:39], vcc, exec
	s_or_b64 s[30:31], s[30:31], s[38:39]
	s_or_b64 exec, exec, s[34:35]
	v_mov_b32_e32 v5, 0
	s_and_saveexec_b64 s[34:35], s[30:31]
	s_cbranch_execnz .LBB158_324
	s_branch .LBB158_325
.LBB158_545:
	s_mov_b64 s[34:35], -1
	s_mov_b64 s[0:1], 0
	s_mov_b64 s[30:31], s[22:23]
                                        ; implicit-def: $vgpr4
                                        ; implicit-def: $vgpr3
	s_branch .LBB158_549
.LBB158_546:
	s_andn2_saveexec_b64 s[34:35], s[34:35]
	s_cbranch_execz .LBB158_336
.LBB158_547:
	v_add_f32_e32 v3, 0x42800000, v4
	v_and_b32_e32 v3, 0xff, v3
	v_cmp_ne_u32_e32 vcc, 0, v3
	s_andn2_b64 s[30:31], s[30:31], exec
	s_and_b64 s[38:39], vcc, exec
	s_or_b64 s[30:31], s[30:31], s[38:39]
	s_or_b64 exec, exec, s[34:35]
	v_mov_b32_e32 v5, 0
	s_and_saveexec_b64 s[34:35], s[30:31]
	s_cbranch_execnz .LBB158_337
	s_branch .LBB158_338
.LBB158_548:
	s_mov_b64 s[30:31], -1
                                        ; implicit-def: $vgpr4
                                        ; implicit-def: $vgpr3
	s_mov_b64 s[0:1], 0
.LBB158_549:
	s_and_b64 vcc, exec, s[34:35]
	s_cbranch_vccz .LBB158_554
; %bb.550:
	s_cmp_eq_u32 s38, 44
	s_cbranch_scc0 .LBB158_552
; %bb.551:
	global_load_ubyte v3, v[0:1], off
	s_movk_i32 s30, 0xff
	v_mov_b32_e32 v5, 0x7e00
	s_mov_b64 s[0:1], -1
	s_waitcnt vmcnt(0)
	v_lshlrev_b32_e32 v4, 23, v3
	v_cvt_f16_f32_e32 v4, v4
	v_cmp_ne_u32_e32 vcc, s30, v3
	s_mov_b64 s[30:31], 0
	v_cndmask_b32_e32 v4, v5, v4, vcc
	v_cmp_ne_u32_e32 vcc, 0, v3
	v_cndmask_b32_e32 v3, 0, v4, vcc
	s_branch .LBB158_553
.LBB158_552:
	s_mov_b64 s[30:31], -1
                                        ; implicit-def: $vgpr3
.LBB158_553:
	v_mov_b32_e32 v4, 0
.LBB158_554:
	s_mov_b64 s[34:35], 0
.LBB158_555:
	s_and_b64 vcc, exec, s[34:35]
	s_cbranch_vccz .LBB158_560
; %bb.556:
	s_cmp_eq_u32 s38, 29
	s_cbranch_scc0 .LBB158_558
; %bb.557:
	global_load_dwordx2 v[3:4], v[0:1], off
	s_mov_b64 s[0:1], -1
	s_mov_b64 s[30:31], 0
	s_waitcnt vmcnt(0)
	v_ffbh_u32_e32 v5, v4
	v_min_u32_e32 v5, 32, v5
	v_lshlrev_b64 v[3:4], v5, v[3:4]
	v_min_u32_e32 v3, 1, v3
	v_or_b32_e32 v3, v4, v3
	v_cvt_f32_u32_e32 v3, v3
	v_sub_u32_e32 v4, 32, v5
	v_ldexp_f32 v3, v3, v4
	v_cvt_f16_f32_e32 v3, v3
	s_branch .LBB158_559
.LBB158_558:
	s_mov_b64 s[30:31], -1
                                        ; implicit-def: $vgpr3
.LBB158_559:
	v_mov_b32_e32 v4, 0
.LBB158_560:
	s_mov_b64 s[34:35], 0
.LBB158_561:
	s_and_b64 vcc, exec, s[34:35]
	s_cbranch_vccz .LBB158_579
; %bb.562:
	s_cmp_lt_i32 s38, 27
	s_cbranch_scc1 .LBB158_565
; %bb.563:
	s_cmp_gt_i32 s38, 27
	s_cbranch_scc0 .LBB158_566
; %bb.564:
	global_load_dword v3, v[0:1], off
	s_mov_b64 s[0:1], 0
	s_waitcnt vmcnt(0)
	v_cvt_f32_u32_e32 v3, v3
	v_cvt_f16_f32_e32 v3, v3
	s_branch .LBB158_567
.LBB158_565:
	s_mov_b64 s[0:1], -1
                                        ; implicit-def: $vgpr3
	s_branch .LBB158_570
.LBB158_566:
	s_mov_b64 s[0:1], -1
                                        ; implicit-def: $vgpr3
.LBB158_567:
	s_andn2_b64 vcc, exec, s[0:1]
	s_cbranch_vccnz .LBB158_569
; %bb.568:
	global_load_ushort v3, v[0:1], off
	s_waitcnt vmcnt(0)
	v_cvt_f16_u16_e32 v3, v3
.LBB158_569:
	s_mov_b64 s[0:1], 0
.LBB158_570:
	s_andn2_b64 vcc, exec, s[0:1]
	s_cbranch_vccnz .LBB158_578
; %bb.571:
	global_load_ubyte v4, v[0:1], off
	s_movk_i32 s0, 0x7f
	s_waitcnt vmcnt(0)
	v_cmp_lt_i16_e32 vcc, s0, v4
	s_mov_b64 s[0:1], 0
	s_and_saveexec_b64 s[34:35], vcc
	s_xor_b64 s[34:35], exec, s[34:35]
	s_cbranch_execz .LBB158_592
; %bb.572:
	s_movk_i32 s0, 0x80
	v_cmp_eq_u16_e32 vcc, s0, v4
	s_mov_b64 s[0:1], -1
	s_and_saveexec_b64 s[36:37], vcc
; %bb.573:
	s_xor_b64 s[0:1], exec, -1
; %bb.574:
	s_or_b64 exec, exec, s[36:37]
	s_and_b64 s[0:1], s[0:1], exec
	s_or_saveexec_b64 s[34:35], s[34:35]
	v_mov_b32_e32 v3, 0x7e00
	s_xor_b64 exec, exec, s[34:35]
	s_cbranch_execnz .LBB158_593
.LBB158_575:
	s_or_b64 exec, exec, s[34:35]
	s_and_saveexec_b64 s[34:35], s[0:1]
	s_cbranch_execz .LBB158_577
.LBB158_576:
	v_lshlrev_b32_e32 v3, 24, v4
	v_and_b32_e32 v4, 0xffff, v4
	v_and_b32_e32 v5, 7, v4
	v_ffbh_u32_e32 v7, v5
	v_min_u32_e32 v7, 32, v7
	v_subrev_u32_e32 v8, 28, v7
	v_bfe_u32 v6, v4, 3, 4
	v_lshlrev_b32_e32 v4, v8, v4
	v_sub_u32_e32 v7, 29, v7
	v_and_b32_e32 v4, 7, v4
	v_cmp_eq_u32_e32 vcc, 0, v6
	v_cndmask_b32_e32 v6, v6, v7, vcc
	v_cndmask_b32_e32 v4, v5, v4, vcc
	v_mov_b32_e32 v5, 0x3b800000
	v_lshlrev_b32_e32 v4, 20, v4
	v_and_b32_e32 v3, 0x80000000, v3
	v_lshl_add_u32 v5, v6, 23, v5
	v_or3_b32 v3, v3, v5, v4
	v_cvt_f16_f32_e32 v3, v3
.LBB158_577:
	s_or_b64 exec, exec, s[34:35]
.LBB158_578:
	s_mov_b64 s[0:1], -1
	v_mov_b32_e32 v4, 0
.LBB158_579:
	s_mov_b64 s[34:35], 0
.LBB158_580:
	s_and_b64 vcc, exec, s[34:35]
	s_cbranch_vccz .LBB158_616
; %bb.581:
	s_cmp_gt_i32 s38, 22
	s_cbranch_scc0 .LBB158_591
; %bb.582:
	s_cmp_lt_i32 s38, 24
	s_cbranch_scc1 .LBB158_594
; %bb.583:
	s_cmp_gt_i32 s38, 24
	s_cbranch_scc0 .LBB158_595
; %bb.584:
	global_load_ubyte v4, v[0:1], off
	s_movk_i32 s0, 0x7f
	s_waitcnt vmcnt(0)
	v_cmp_lt_i16_e32 vcc, s0, v4
	s_mov_b64 s[0:1], 0
	s_and_saveexec_b64 s[34:35], vcc
	s_xor_b64 s[34:35], exec, s[34:35]
	s_cbranch_execz .LBB158_607
; %bb.585:
	s_movk_i32 s0, 0x80
	v_cmp_eq_u16_e32 vcc, s0, v4
	s_mov_b64 s[0:1], -1
	s_and_saveexec_b64 s[36:37], vcc
; %bb.586:
	s_xor_b64 s[0:1], exec, -1
; %bb.587:
	s_or_b64 exec, exec, s[36:37]
	s_and_b64 s[0:1], s[0:1], exec
	s_or_saveexec_b64 s[34:35], s[34:35]
	v_mov_b32_e32 v3, 0x7e00
	s_xor_b64 exec, exec, s[34:35]
	s_cbranch_execnz .LBB158_608
.LBB158_588:
	s_or_b64 exec, exec, s[34:35]
	s_and_saveexec_b64 s[34:35], s[0:1]
	s_cbranch_execz .LBB158_590
.LBB158_589:
	v_lshlrev_b32_e32 v3, 24, v4
	v_and_b32_e32 v4, 0xffff, v4
	v_and_b32_e32 v5, 3, v4
	v_ffbh_u32_e32 v7, v5
	v_min_u32_e32 v7, 32, v7
	v_subrev_u32_e32 v8, 29, v7
	v_bfe_u32 v6, v4, 2, 5
	v_lshlrev_b32_e32 v4, v8, v4
	v_sub_u32_e32 v7, 30, v7
	v_and_b32_e32 v4, 3, v4
	v_cmp_eq_u32_e32 vcc, 0, v6
	v_cndmask_b32_e32 v6, v6, v7, vcc
	v_cndmask_b32_e32 v4, v5, v4, vcc
	v_mov_b32_e32 v5, 0x37800000
	v_lshlrev_b32_e32 v4, 21, v4
	v_and_b32_e32 v3, 0x80000000, v3
	v_lshl_add_u32 v5, v6, 23, v5
	v_or3_b32 v3, v3, v5, v4
	v_cvt_f16_f32_e32 v3, v3
.LBB158_590:
	s_or_b64 exec, exec, s[34:35]
	s_mov_b64 s[0:1], 0
	s_branch .LBB158_596
.LBB158_591:
	s_mov_b64 s[34:35], -1
                                        ; implicit-def: $vgpr3
	s_branch .LBB158_602
.LBB158_592:
	s_or_saveexec_b64 s[34:35], s[34:35]
	v_mov_b32_e32 v3, 0x7e00
	s_xor_b64 exec, exec, s[34:35]
	s_cbranch_execz .LBB158_575
.LBB158_593:
	v_cmp_ne_u16_e32 vcc, 0, v4
	s_andn2_b64 s[0:1], s[0:1], exec
	s_and_b64 s[36:37], vcc, exec
	s_or_b64 s[0:1], s[0:1], s[36:37]
	v_mov_b32_e32 v3, v4
	s_or_b64 exec, exec, s[34:35]
	s_and_saveexec_b64 s[34:35], s[0:1]
	s_cbranch_execnz .LBB158_576
	s_branch .LBB158_577
.LBB158_594:
	s_mov_b64 s[0:1], -1
                                        ; implicit-def: $vgpr3
	s_branch .LBB158_599
.LBB158_595:
	s_mov_b64 s[0:1], -1
                                        ; implicit-def: $vgpr3
.LBB158_596:
	s_and_b64 vcc, exec, s[0:1]
	s_cbranch_vccz .LBB158_598
; %bb.597:
	global_load_ubyte v3, v[0:1], off
	s_mov_b32 s0, 0x7f800000
	s_waitcnt vmcnt(0)
	v_lshlrev_b32_e32 v3, 24, v3
	v_and_b32_e32 v4, 0x7f000000, v3
	v_ffbh_u32_e32 v5, v4
	v_min_u32_e32 v5, 32, v5
	v_sub_u32_e64 v5, v5, 4 clamp
	v_lshlrev_b32_e32 v7, v5, v4
	v_lshlrev_b32_e32 v5, 23, v5
	v_lshrrev_b32_e32 v7, 4, v7
	v_add_u32_e32 v6, 0x1000000, v4
	v_sub_u32_e32 v5, v7, v5
	v_ashrrev_i32_e32 v6, 8, v6
	v_add_u32_e32 v5, 0x3c000000, v5
	v_and_or_b32 v5, v6, s0, v5
	v_cmp_ne_u32_e32 vcc, 0, v4
	v_cndmask_b32_e32 v4, 0, v5, vcc
	s_brev_b32 s0, 1
	v_and_or_b32 v3, v3, s0, v4
	v_cvt_f16_f32_e32 v3, v3
.LBB158_598:
	s_mov_b64 s[0:1], 0
.LBB158_599:
	s_andn2_b64 vcc, exec, s[0:1]
	s_cbranch_vccnz .LBB158_601
; %bb.600:
	global_load_ubyte v3, v[0:1], off
	s_movk_i32 s0, 0x7f00
	s_brev_b32 s1, 16
	s_waitcnt vmcnt(0)
	v_lshlrev_b16_e32 v4, 8, v3
	v_lshlrev_b32_e32 v3, 25, v3
	v_lshrrev_b32_e32 v5, 4, v3
	v_and_or_b32 v6, v4, s0, 0.5
	v_or_b32_e32 v5, 0x70000000, v5
	v_add_f32_e32 v6, -0.5, v6
	v_mul_f32_e32 v5, 0x7800000, v5
	v_cmp_gt_u32_e32 vcc, s1, v3
	v_bfe_i32 v4, v4, 0, 16
	v_cndmask_b32_e32 v3, v5, v6, vcc
	s_brev_b32 s0, 1
	v_and_or_b32 v3, v4, s0, v3
	v_cvt_f16_f32_e32 v3, v3
.LBB158_601:
	s_mov_b64 s[34:35], 0
	s_mov_b64 s[0:1], -1
.LBB158_602:
	s_andn2_b64 vcc, exec, s[34:35]
	s_cbranch_vccnz .LBB158_615
; %bb.603:
	s_cmp_gt_i32 s38, 14
	s_cbranch_scc0 .LBB158_606
; %bb.604:
	s_cmp_eq_u32 s38, 15
	s_cbranch_scc0 .LBB158_609
; %bb.605:
	global_load_ushort v3, v[0:1], off
	s_mov_b64 s[0:1], -1
	s_mov_b64 s[30:31], 0
	s_waitcnt vmcnt(0)
	v_lshlrev_b32_e32 v3, 16, v3
	v_cvt_f16_f32_e32 v3, v3
	s_branch .LBB158_610
.LBB158_606:
	s_mov_b64 s[34:35], -1
                                        ; implicit-def: $vgpr3
	s_branch .LBB158_611
.LBB158_607:
	s_or_saveexec_b64 s[34:35], s[34:35]
	v_mov_b32_e32 v3, 0x7e00
	s_xor_b64 exec, exec, s[34:35]
	s_cbranch_execz .LBB158_588
.LBB158_608:
	v_cmp_ne_u16_e32 vcc, 0, v4
	s_andn2_b64 s[0:1], s[0:1], exec
	s_and_b64 s[36:37], vcc, exec
	s_or_b64 s[0:1], s[0:1], s[36:37]
	v_mov_b32_e32 v3, v4
	s_or_b64 exec, exec, s[34:35]
	s_and_saveexec_b64 s[34:35], s[0:1]
	s_cbranch_execnz .LBB158_589
	s_branch .LBB158_590
.LBB158_609:
	s_mov_b64 s[30:31], -1
                                        ; implicit-def: $vgpr3
.LBB158_610:
	s_mov_b64 s[34:35], 0
.LBB158_611:
	s_and_b64 vcc, exec, s[34:35]
	s_cbranch_vccz .LBB158_615
; %bb.612:
	s_cmp_eq_u32 s38, 11
	s_cbranch_scc0 .LBB158_614
; %bb.613:
	global_load_ubyte v3, v[0:1], off
	v_mov_b32_e32 v4, 0x3c00
	s_mov_b64 s[0:1], -1
	s_mov_b64 s[30:31], 0
	s_waitcnt vmcnt(0)
	v_cmp_ne_u16_e32 vcc, 0, v3
	v_cndmask_b32_e32 v3, 0, v4, vcc
	s_branch .LBB158_615
.LBB158_614:
	s_mov_b64 s[30:31], -1
                                        ; implicit-def: $vgpr3
.LBB158_615:
	v_mov_b32_e32 v4, 0
.LBB158_616:
	s_mov_b64 s[34:35], 0
.LBB158_617:
	s_and_b64 vcc, exec, s[34:35]
	s_cbranch_vccz .LBB158_668
; %bb.618:
	s_cmp_lt_i32 s38, 5
	s_cbranch_scc1 .LBB158_623
; %bb.619:
	s_cmp_lt_i32 s38, 8
	s_cbranch_scc1 .LBB158_624
	;; [unrolled: 3-line block ×3, first 2 shown]
; %bb.621:
	s_cmp_gt_i32 s38, 9
	s_cbranch_scc0 .LBB158_626
; %bb.622:
	global_load_dwordx4 v[3:6], v[0:1], off
	s_movk_i32 s0, 0x1ff
	s_movk_i32 s1, 0xffe
	v_mov_b32_e32 v7, 0x7c00
	v_mov_b32_e32 v8, 0x7e00
	s_movk_i32 s34, 0x40f
	s_mov_b32 s35, 0x8000
	s_waitcnt vmcnt(0)
	v_and_or_b32 v3, v4, s0, v3
	v_and_or_b32 v5, v6, s0, v5
	v_cmp_ne_u32_e32 vcc, 0, v3
	v_lshrrev_b32_e32 v9, 8, v4
	v_cndmask_b32_e64 v3, 0, 1, vcc
	v_cmp_ne_u32_e32 vcc, 0, v5
	v_bfe_u32 v10, v4, 20, 11
	v_lshrrev_b32_e32 v11, 8, v6
	v_bfe_u32 v12, v6, 20, 11
	v_cndmask_b32_e64 v5, 0, 1, vcc
	v_and_or_b32 v3, v9, s1, v3
	v_sub_u32_e32 v13, 0x3f1, v10
	v_add_u32_e32 v10, 0xfffffc10, v10
	v_sub_u32_e32 v14, 0x3f1, v12
	v_and_or_b32 v5, v11, s1, v5
	v_cmp_ne_u32_e32 vcc, 0, v3
	v_add_u32_e32 v12, 0xfffffc10, v12
	v_med3_i32 v9, v13, 0, 13
	v_med3_i32 v11, v14, 0, 13
	v_or_b32_e32 v13, 0x1000, v3
	v_lshl_or_b32 v14, v10, 12, v3
	v_cndmask_b32_e32 v3, v7, v8, vcc
	v_cmp_ne_u32_e32 vcc, 0, v5
	v_or_b32_e32 v15, 0x1000, v5
	v_lshl_or_b32 v16, v12, 12, v5
	v_cndmask_b32_e32 v5, v7, v8, vcc
	v_lshrrev_b32_e32 v8, v9, v13
	v_lshrrev_b32_e32 v17, v11, v15
	v_lshlrev_b32_e32 v9, v9, v8
	v_lshlrev_b32_e32 v11, v11, v17
	v_cmp_ne_u32_e32 vcc, v9, v13
	v_cndmask_b32_e64 v9, 0, 1, vcc
	v_cmp_ne_u32_e32 vcc, v11, v15
	v_cndmask_b32_e64 v11, 0, 1, vcc
	v_or_b32_e32 v8, v8, v9
	v_cmp_gt_i32_e32 vcc, 1, v10
	v_cndmask_b32_e32 v8, v14, v8, vcc
	v_or_b32_e32 v9, v17, v11
	v_cmp_gt_i32_e32 vcc, 1, v12
	v_and_b32_e32 v11, 7, v8
	v_cndmask_b32_e32 v9, v16, v9, vcc
	v_cmp_lt_i32_e32 vcc, 5, v11
	v_and_b32_e32 v13, 7, v9
	v_cndmask_b32_e64 v14, 0, 1, vcc
	v_cmp_eq_u32_e32 vcc, 3, v11
	v_cndmask_b32_e64 v11, 0, 1, vcc
	v_cmp_lt_i32_e32 vcc, 5, v13
	v_cndmask_b32_e64 v15, 0, 1, vcc
	v_cmp_eq_u32_e32 vcc, 3, v13
	v_lshrrev_b32_e32 v8, 2, v8
	v_cndmask_b32_e64 v13, 0, 1, vcc
	v_or_b32_e32 v11, v11, v14
	v_lshrrev_b32_e32 v9, 2, v9
	v_or_b32_e32 v13, v13, v15
	v_add_u32_e32 v8, v8, v11
	v_cmp_gt_i32_e32 vcc, 31, v10
	v_add_u32_e32 v9, v9, v13
	v_cndmask_b32_e32 v8, v7, v8, vcc
	v_cmp_gt_i32_e32 vcc, 31, v12
	v_cndmask_b32_e32 v7, v7, v9, vcc
	v_cmp_eq_u32_e32 vcc, s34, v10
	v_cndmask_b32_e32 v3, v8, v3, vcc
	v_cmp_eq_u32_e32 vcc, s34, v12
	v_lshrrev_b32_e32 v4, 16, v4
	v_lshrrev_b32_e32 v6, 16, v6
	v_cndmask_b32_e32 v5, v7, v5, vcc
	v_and_or_b32 v3, v4, s35, v3
	v_and_or_b32 v4, v6, s35, v5
	s_mov_b64 s[0:1], 0
	s_branch .LBB158_627
.LBB158_623:
	s_mov_b64 s[0:1], -1
                                        ; implicit-def: $vgpr4
                                        ; implicit-def: $vgpr3
	s_branch .LBB158_646
.LBB158_624:
	s_mov_b64 s[0:1], -1
                                        ; implicit-def: $vgpr4
                                        ; implicit-def: $vgpr3
	s_branch .LBB158_633
.LBB158_625:
	s_mov_b64 s[0:1], -1
                                        ; implicit-def: $vgpr4
                                        ; implicit-def: $vgpr3
	s_branch .LBB158_630
.LBB158_626:
	s_mov_b64 s[0:1], -1
                                        ; implicit-def: $vgpr4
                                        ; implicit-def: $vgpr3
.LBB158_627:
	s_andn2_b64 vcc, exec, s[0:1]
	s_cbranch_vccnz .LBB158_629
; %bb.628:
	global_load_dwordx2 v[3:4], v[0:1], off
	s_waitcnt vmcnt(0)
	v_cvt_f16_f32_e32 v3, v3
	v_cvt_f16_f32_e32 v4, v4
.LBB158_629:
	s_mov_b64 s[0:1], 0
.LBB158_630:
	s_andn2_b64 vcc, exec, s[0:1]
	s_cbranch_vccnz .LBB158_632
; %bb.631:
	global_load_dword v3, v[0:1], off
	s_waitcnt vmcnt(0)
	v_lshrrev_b32_e32 v4, 16, v3
.LBB158_632:
	s_mov_b64 s[0:1], 0
.LBB158_633:
	s_andn2_b64 vcc, exec, s[0:1]
	s_cbranch_vccnz .LBB158_645
; %bb.634:
	s_cmp_lt_i32 s38, 6
	s_cbranch_scc1 .LBB158_637
; %bb.635:
	s_cmp_gt_i32 s38, 6
	s_cbranch_scc0 .LBB158_638
; %bb.636:
	global_load_dwordx2 v[3:4], v[0:1], off
	s_movk_i32 s0, 0x1ff
	s_movk_i32 s1, 0xffe
	v_mov_b32_e32 v5, 0x7c00
	v_mov_b32_e32 v6, 0x7e00
	s_movk_i32 s34, 0x40f
	s_mov_b32 s35, 0x8000
	s_waitcnt vmcnt(0)
	v_and_or_b32 v3, v4, s0, v3
	v_cmp_ne_u32_e32 vcc, 0, v3
	v_lshrrev_b32_e32 v7, 8, v4
	v_bfe_u32 v8, v4, 20, 11
	v_cndmask_b32_e64 v3, 0, 1, vcc
	v_sub_u32_e32 v9, 0x3f1, v8
	v_and_or_b32 v3, v7, s1, v3
	v_add_u32_e32 v8, 0xfffffc10, v8
	v_med3_i32 v7, v9, 0, 13
	v_or_b32_e32 v9, 0x1000, v3
	v_cmp_ne_u32_e32 vcc, 0, v3
	v_lshl_or_b32 v10, v8, 12, v3
	v_cndmask_b32_e32 v3, v5, v6, vcc
	v_lshrrev_b32_e32 v6, v7, v9
	v_lshlrev_b32_e32 v7, v7, v6
	v_cmp_ne_u32_e32 vcc, v7, v9
	v_cndmask_b32_e64 v7, 0, 1, vcc
	v_or_b32_e32 v6, v6, v7
	v_cmp_gt_i32_e32 vcc, 1, v8
	v_cndmask_b32_e32 v6, v10, v6, vcc
	v_and_b32_e32 v7, 7, v6
	v_cmp_lt_i32_e32 vcc, 5, v7
	v_cndmask_b32_e64 v9, 0, 1, vcc
	v_cmp_eq_u32_e32 vcc, 3, v7
	v_cndmask_b32_e64 v7, 0, 1, vcc
	v_lshrrev_b32_e32 v6, 2, v6
	v_or_b32_e32 v7, v7, v9
	v_add_u32_e32 v6, v6, v7
	v_cmp_gt_i32_e32 vcc, 31, v8
	v_cndmask_b32_e32 v5, v5, v6, vcc
	v_cmp_eq_u32_e32 vcc, s34, v8
	v_lshrrev_b32_e32 v4, 16, v4
	v_cndmask_b32_e32 v3, v5, v3, vcc
	v_and_or_b32 v3, v4, s35, v3
	s_mov_b64 s[0:1], 0
	s_branch .LBB158_639
.LBB158_637:
	s_mov_b64 s[0:1], -1
                                        ; implicit-def: $vgpr3
	s_branch .LBB158_642
.LBB158_638:
	s_mov_b64 s[0:1], -1
                                        ; implicit-def: $vgpr3
.LBB158_639:
	s_andn2_b64 vcc, exec, s[0:1]
	s_cbranch_vccnz .LBB158_641
; %bb.640:
	global_load_dword v3, v[0:1], off
	s_waitcnt vmcnt(0)
	v_cvt_f16_f32_e32 v3, v3
.LBB158_641:
	s_mov_b64 s[0:1], 0
.LBB158_642:
	s_andn2_b64 vcc, exec, s[0:1]
	s_cbranch_vccnz .LBB158_644
; %bb.643:
	global_load_ushort v3, v[0:1], off
.LBB158_644:
	v_mov_b32_e32 v4, 0
.LBB158_645:
	s_mov_b64 s[0:1], 0
.LBB158_646:
	s_andn2_b64 vcc, exec, s[0:1]
	s_cbranch_vccnz .LBB158_667
; %bb.647:
	s_cmp_lt_i32 s38, 2
	s_cbranch_scc1 .LBB158_651
; %bb.648:
	s_cmp_lt_i32 s38, 3
	s_cbranch_scc1 .LBB158_652
; %bb.649:
	s_cmp_gt_i32 s38, 3
	s_cbranch_scc0 .LBB158_653
; %bb.650:
	global_load_dwordx2 v[3:4], v[0:1], off
	s_mov_b64 s[0:1], 0
	s_waitcnt vmcnt(0)
	v_xor_b32_e32 v6, v3, v4
	v_ffbh_i32_e32 v5, v4
	v_ashrrev_i32_e32 v6, 31, v6
	v_add_u32_e32 v5, -1, v5
	v_add_u32_e32 v6, 32, v6
	v_min_u32_e32 v5, v5, v6
	v_lshlrev_b64 v[3:4], v5, v[3:4]
	v_min_u32_e32 v3, 1, v3
	v_or_b32_e32 v3, v4, v3
	v_cvt_f32_i32_e32 v3, v3
	v_sub_u32_e32 v4, 32, v5
	v_ldexp_f32 v3, v3, v4
	v_cvt_f16_f32_e32 v3, v3
	s_branch .LBB158_654
.LBB158_651:
	s_mov_b64 s[0:1], -1
                                        ; implicit-def: $vgpr3
	s_branch .LBB158_660
.LBB158_652:
	s_mov_b64 s[0:1], -1
                                        ; implicit-def: $vgpr3
	s_branch .LBB158_657
.LBB158_653:
	s_mov_b64 s[0:1], -1
                                        ; implicit-def: $vgpr3
.LBB158_654:
	s_andn2_b64 vcc, exec, s[0:1]
	s_cbranch_vccnz .LBB158_656
; %bb.655:
	global_load_dword v3, v[0:1], off
	s_waitcnt vmcnt(0)
	v_cvt_f32_i32_e32 v3, v3
	v_cvt_f16_f32_e32 v3, v3
.LBB158_656:
	s_mov_b64 s[0:1], 0
.LBB158_657:
	s_andn2_b64 vcc, exec, s[0:1]
	s_cbranch_vccnz .LBB158_659
; %bb.658:
	global_load_ushort v3, v[0:1], off
	s_waitcnt vmcnt(0)
	v_cvt_f16_i16_e32 v3, v3
.LBB158_659:
	s_mov_b64 s[0:1], 0
.LBB158_660:
	s_andn2_b64 vcc, exec, s[0:1]
	s_cbranch_vccnz .LBB158_666
; %bb.661:
	s_cmp_gt_i32 s38, 0
	s_cbranch_scc0 .LBB158_663
; %bb.662:
	global_load_sbyte v3, v[0:1], off
	s_mov_b64 s[0:1], 0
	s_waitcnt vmcnt(0)
	v_cvt_f16_i16_e32 v3, v3
	s_branch .LBB158_664
.LBB158_663:
	s_mov_b64 s[0:1], -1
                                        ; implicit-def: $vgpr3
.LBB158_664:
	s_andn2_b64 vcc, exec, s[0:1]
	s_cbranch_vccnz .LBB158_666
; %bb.665:
	global_load_ubyte v0, v[0:1], off
	s_waitcnt vmcnt(0)
	v_cvt_f16_u16_e32 v3, v0
.LBB158_666:
	v_mov_b32_e32 v4, 0
.LBB158_667:
	s_mov_b64 s[0:1], -1
.LBB158_668:
	s_andn2_b64 vcc, exec, s[0:1]
	s_cbranch_vccnz .LBB158_671
; %bb.669:
	s_andn2_b64 vcc, exec, s[6:7]
	s_cbranch_vccnz .LBB158_672
; %bb.670:
	s_waitcnt vmcnt(0)
	v_cmp_neq_f16_e32 vcc, s15, v3
	v_cmp_neq_f16_e64 s[0:1], s47, v4
	s_or_b64 s[34:35], vcc, s[0:1]
	s_mov_b64 s[0:1], 0
	s_branch .LBB158_673
.LBB158_671:
	s_mov_b64 s[36:37], 0
                                        ; implicit-def: $vgpr2
	s_mov_b64 s[0:1], s[24:25]
	s_branch .LBB158_798
.LBB158_672:
	s_mov_b64 s[0:1], -1
                                        ; implicit-def: $sgpr34_sgpr35
.LBB158_673:
	s_andn2_b64 vcc, exec, s[0:1]
	s_cbranch_vccnz .LBB158_675
; %bb.674:
	s_waitcnt vmcnt(0)
	v_cmp_eq_f16_e32 vcc, s15, v3
	v_cmp_eq_f16_e64 s[0:1], s47, v4
	s_and_b64 s[0:1], vcc, s[0:1]
	s_andn2_b64 s[34:35], s[34:35], exec
	s_and_b64 s[0:1], s[0:1], exec
	s_or_b64 s[34:35], s[34:35], s[0:1]
.LBB158_675:
	v_mul_lo_u32 v0, v2, s12
	v_mov_b32_e32 v1, s9
	s_and_b32 s43, s33, 0xff
	s_cmp_lt_i32 s43, 11
	s_waitcnt vmcnt(0)
	v_ashrrev_i32_e32 v3, 31, v0
	v_add_co_u32_e32 v0, vcc, s8, v0
	v_addc_co_u32_e32 v1, vcc, v1, v3, vcc
	s_cbranch_scc1 .LBB158_682
; %bb.676:
	s_and_b32 s44, 0xffff, s43
	s_cmp_gt_i32 s44, 25
	s_cbranch_scc0 .LBB158_683
; %bb.677:
	s_cmp_gt_i32 s44, 28
	s_cbranch_scc0 .LBB158_684
; %bb.678:
	;; [unrolled: 3-line block ×4, first 2 shown]
	s_mov_b64 s[38:39], 0
	s_mov_b64 s[0:1], -1
	s_cmp_eq_u32 s44, 46
	s_mov_b64 s[36:37], 0
	s_cbranch_scc0 .LBB158_687
; %bb.681:
	v_cndmask_b32_e64 v3, 0, 1.0, s[34:35]
	v_bfe_u32 v4, v3, 16, 1
	s_movk_i32 s0, 0x7fff
	v_add3_u32 v3, v3, v4, s0
	v_lshrrev_b32_e32 v3, 16, v3
	global_store_dword v[0:1], v3, off
	s_mov_b64 s[36:37], -1
	s_mov_b64 s[0:1], 0
	s_branch .LBB158_687
.LBB158_682:
	s_mov_b64 s[38:39], -1
	s_mov_b64 s[36:37], 0
	s_mov_b64 s[0:1], s[24:25]
	s_branch .LBB158_756
.LBB158_683:
	s_mov_b64 s[38:39], -1
	s_mov_b64 s[36:37], 0
	s_mov_b64 s[0:1], s[24:25]
	s_branch .LBB158_714
.LBB158_684:
	s_mov_b64 s[38:39], -1
	s_mov_b64 s[36:37], 0
	s_mov_b64 s[0:1], s[24:25]
	s_branch .LBB158_697
.LBB158_685:
	s_mov_b64 s[38:39], -1
	s_mov_b64 s[36:37], 0
	s_mov_b64 s[0:1], s[24:25]
	s_branch .LBB158_693
.LBB158_686:
	s_mov_b64 s[38:39], -1
	s_mov_b64 s[36:37], 0
	s_mov_b64 s[0:1], s[24:25]
.LBB158_687:
	s_and_b64 vcc, exec, s[38:39]
	s_cbranch_vccz .LBB158_692
; %bb.688:
	s_cmp_eq_u32 s44, 44
	s_mov_b64 s[0:1], -1
	s_cbranch_scc0 .LBB158_692
; %bb.689:
	v_cndmask_b32_e64 v4, 0, 1.0, s[34:35]
	v_lshrrev_b32_e32 v3, 23, v4
	s_movk_i32 s0, 0xff
	v_cmp_ne_u32_e32 vcc, s0, v3
	v_mov_b32_e32 v5, 0xff
	s_and_saveexec_b64 s[36:37], vcc
; %bb.690:
	s_mov_b32 s0, 0x3fffff
	v_and_b32_e32 v5, 0x400000, v4
	v_and_or_b32 v4, v4, s0, v3
	v_cmp_ne_u32_e32 vcc, 0, v5
	v_cmp_ne_u32_e64 s[0:1], 0, v4
	s_and_b64 s[0:1], vcc, s[0:1]
	v_cndmask_b32_e64 v4, 0, 1, s[0:1]
	v_add_u32_e32 v5, v3, v4
; %bb.691:
	s_or_b64 exec, exec, s[36:37]
	s_mov_b64 s[36:37], -1
	s_mov_b64 s[0:1], 0
	global_store_byte v[0:1], v5, off
.LBB158_692:
	s_mov_b64 s[38:39], 0
.LBB158_693:
	s_and_b64 vcc, exec, s[38:39]
	s_cbranch_vccz .LBB158_696
; %bb.694:
	s_cmp_eq_u32 s44, 29
	s_mov_b64 s[0:1], -1
	s_cbranch_scc0 .LBB158_696
; %bb.695:
	s_mov_b32 s0, 0
	v_cndmask_b32_e64 v3, 0, 1, s[34:35]
	v_mov_b32_e32 v4, s0
	global_store_dwordx2 v[0:1], v[3:4], off
	s_mov_b64 s[36:37], -1
	s_mov_b64 s[0:1], 0
.LBB158_696:
	s_mov_b64 s[38:39], 0
.LBB158_697:
	s_and_b64 vcc, exec, s[38:39]
	s_cbranch_vccz .LBB158_713
; %bb.698:
	s_cmp_lt_i32 s44, 27
	s_mov_b64 s[36:37], -1
	s_cbranch_scc1 .LBB158_704
; %bb.699:
	s_cmp_gt_i32 s44, 27
	s_cbranch_scc0 .LBB158_701
; %bb.700:
	v_cndmask_b32_e64 v3, 0, 1, s[34:35]
	s_mov_b64 s[36:37], 0
	global_store_dword v[0:1], v3, off
.LBB158_701:
	s_andn2_b64 vcc, exec, s[36:37]
	s_cbranch_vccnz .LBB158_703
; %bb.702:
	v_cndmask_b32_e64 v3, 0, 1, s[34:35]
	global_store_short v[0:1], v3, off
.LBB158_703:
	s_mov_b64 s[36:37], 0
.LBB158_704:
	s_andn2_b64 vcc, exec, s[36:37]
	s_cbranch_vccnz .LBB158_712
; %bb.705:
	v_cndmask_b32_e64 v4, 0, 1.0, s[34:35]
	s_mov_b32 s36, 0x43800000
	v_cmp_gt_u32_e32 vcc, s36, v4
	v_mov_b32_e32 v5, 0x80
	s_and_saveexec_b64 s[36:37], vcc
	s_cbranch_execz .LBB158_711
; %bb.706:
	s_mov_b32 s38, 0x3bffffff
	v_cmp_lt_u32_e32 vcc, s38, v4
	s_mov_b64 s[38:39], 0
                                        ; implicit-def: $vgpr3
	s_and_saveexec_b64 s[40:41], vcc
	s_xor_b64 s[40:41], exec, s[40:41]
	s_cbranch_execz .LBB158_812
; %bb.707:
	v_bfe_u32 v3, v4, 20, 1
	s_mov_b32 s45, 0x487ffff
	v_add3_u32 v3, v4, v3, s45
	s_mov_b64 s[38:39], exec
	v_lshrrev_b32_e32 v3, 20, v3
                                        ; implicit-def: $vgpr4
	s_andn2_saveexec_b64 s[40:41], s[40:41]
	s_cbranch_execnz .LBB158_813
.LBB158_708:
	s_or_b64 exec, exec, s[40:41]
	v_mov_b32_e32 v5, 0
	s_and_saveexec_b64 s[40:41], s[38:39]
.LBB158_709:
	v_mov_b32_e32 v5, v3
.LBB158_710:
	s_or_b64 exec, exec, s[40:41]
.LBB158_711:
	s_or_b64 exec, exec, s[36:37]
	global_store_byte v[0:1], v5, off
.LBB158_712:
	s_mov_b64 s[36:37], -1
.LBB158_713:
	s_mov_b64 s[38:39], 0
.LBB158_714:
	s_and_b64 vcc, exec, s[38:39]
	s_cbranch_vccz .LBB158_755
; %bb.715:
	s_cmp_gt_i32 s44, 22
	s_mov_b64 s[38:39], -1
	s_cbranch_scc0 .LBB158_747
; %bb.716:
	s_cmp_lt_i32 s44, 24
	s_mov_b64 s[36:37], -1
	s_cbranch_scc1 .LBB158_736
; %bb.717:
	s_cmp_gt_i32 s44, 24
	s_cbranch_scc0 .LBB158_725
; %bb.718:
	v_cndmask_b32_e64 v4, 0, 1.0, s[34:35]
	s_mov_b32 s36, 0x47800000
	v_cmp_gt_u32_e32 vcc, s36, v4
	v_mov_b32_e32 v5, 0x80
	s_and_saveexec_b64 s[36:37], vcc
	s_cbranch_execz .LBB158_724
; %bb.719:
	s_mov_b32 s38, 0x37ffffff
	v_cmp_lt_u32_e32 vcc, s38, v4
	s_mov_b64 s[38:39], 0
                                        ; implicit-def: $vgpr3
	s_and_saveexec_b64 s[40:41], vcc
	s_xor_b64 s[40:41], exec, s[40:41]
	s_cbranch_execz .LBB158_815
; %bb.720:
	v_bfe_u32 v3, v4, 21, 1
	s_mov_b32 s45, 0x88fffff
	v_add3_u32 v3, v4, v3, s45
	s_mov_b64 s[38:39], exec
	v_lshrrev_b32_e32 v3, 21, v3
                                        ; implicit-def: $vgpr4
	s_andn2_saveexec_b64 s[40:41], s[40:41]
	s_cbranch_execnz .LBB158_816
.LBB158_721:
	s_or_b64 exec, exec, s[40:41]
	v_mov_b32_e32 v5, 0
	s_and_saveexec_b64 s[40:41], s[38:39]
.LBB158_722:
	v_mov_b32_e32 v5, v3
.LBB158_723:
	s_or_b64 exec, exec, s[40:41]
.LBB158_724:
	s_or_b64 exec, exec, s[36:37]
	s_mov_b64 s[36:37], 0
	global_store_byte v[0:1], v5, off
.LBB158_725:
	s_and_b64 vcc, exec, s[36:37]
	s_cbranch_vccz .LBB158_735
; %bb.726:
	v_cndmask_b32_e64 v3, 0, 1.0, s[34:35]
	s_mov_b32 s36, 0x43f00000
	v_cmp_gt_u32_e32 vcc, s36, v3
                                        ; implicit-def: $vgpr4
	s_and_saveexec_b64 s[36:37], vcc
	s_xor_b64 s[36:37], exec, s[36:37]
	s_cbranch_execz .LBB158_732
; %bb.727:
	s_mov_b32 s38, 0x3c7fffff
	v_cmp_lt_u32_e32 vcc, s38, v3
                                        ; implicit-def: $vgpr4
	s_and_saveexec_b64 s[38:39], vcc
	s_xor_b64 s[38:39], exec, s[38:39]
; %bb.728:
	v_bfe_u32 v4, v3, 20, 1
	s_mov_b32 s40, 0x407ffff
	v_add3_u32 v3, v3, v4, s40
	v_lshrrev_b32_e32 v4, 20, v3
	v_and_b32_e32 v3, 0xff00000, v3
	s_mov_b32 s40, 0x7f00000
	v_mov_b32_e32 v5, 0x7e
	v_cmp_ne_u32_e32 vcc, s40, v3
	v_cndmask_b32_e32 v4, v5, v4, vcc
                                        ; implicit-def: $vgpr3
; %bb.729:
	s_andn2_saveexec_b64 s[38:39], s[38:39]
; %bb.730:
	v_add_f32_e32 v4, 0x46800000, v3
; %bb.731:
	s_or_b64 exec, exec, s[38:39]
                                        ; implicit-def: $vgpr3
.LBB158_732:
	s_andn2_saveexec_b64 s[36:37], s[36:37]
; %bb.733:
	s_mov_b32 s38, 0x7f800000
	v_mov_b32_e32 v4, 0x7e
	v_mov_b32_e32 v5, 0x7f
	v_cmp_lt_u32_e32 vcc, s38, v3
	v_cndmask_b32_e32 v4, v4, v5, vcc
; %bb.734:
	s_or_b64 exec, exec, s[36:37]
	global_store_byte v[0:1], v4, off
.LBB158_735:
	s_mov_b64 s[36:37], 0
.LBB158_736:
	s_andn2_b64 vcc, exec, s[36:37]
	s_cbranch_vccnz .LBB158_746
; %bb.737:
	v_cndmask_b32_e64 v3, 0, 1.0, s[34:35]
	s_mov_b32 s36, 0x47800000
	v_cmp_gt_u32_e32 vcc, s36, v3
                                        ; implicit-def: $vgpr4
	s_and_saveexec_b64 s[36:37], vcc
	s_xor_b64 s[36:37], exec, s[36:37]
	s_cbranch_execz .LBB158_743
; %bb.738:
	s_mov_b32 s38, 0x387fffff
	v_cmp_lt_u32_e32 vcc, s38, v3
                                        ; implicit-def: $vgpr4
	s_and_saveexec_b64 s[38:39], vcc
	s_xor_b64 s[38:39], exec, s[38:39]
; %bb.739:
	v_bfe_u32 v4, v3, 21, 1
	s_mov_b32 s40, 0x80fffff
	v_add3_u32 v3, v3, v4, s40
	v_lshrrev_b32_e32 v4, 21, v3
                                        ; implicit-def: $vgpr3
; %bb.740:
	s_andn2_saveexec_b64 s[38:39], s[38:39]
; %bb.741:
	v_add_f32_e32 v4, 0x43000000, v3
; %bb.742:
	s_or_b64 exec, exec, s[38:39]
                                        ; implicit-def: $vgpr3
.LBB158_743:
	s_andn2_saveexec_b64 s[36:37], s[36:37]
; %bb.744:
	s_mov_b32 s38, 0x7f800000
	v_mov_b32_e32 v4, 0x7c
	v_mov_b32_e32 v5, 0x7f
	v_cmp_lt_u32_e32 vcc, s38, v3
	v_cndmask_b32_e32 v4, v4, v5, vcc
; %bb.745:
	s_or_b64 exec, exec, s[36:37]
	global_store_byte v[0:1], v4, off
.LBB158_746:
	s_mov_b64 s[38:39], 0
	s_mov_b64 s[36:37], -1
.LBB158_747:
	s_andn2_b64 vcc, exec, s[38:39]
	s_cbranch_vccnz .LBB158_755
; %bb.748:
	s_cmp_gt_i32 s44, 14
	s_mov_b64 s[38:39], -1
	s_cbranch_scc0 .LBB158_752
; %bb.749:
	s_cmp_eq_u32 s44, 15
	s_mov_b64 s[0:1], -1
	s_cbranch_scc0 .LBB158_751
; %bb.750:
	v_cndmask_b32_e64 v3, 0, 1.0, s[34:35]
	v_bfe_u32 v4, v3, 16, 1
	s_movk_i32 s0, 0x7fff
	v_add3_u32 v3, v3, v4, s0
	global_store_short_d16_hi v[0:1], v3, off
	s_mov_b64 s[36:37], -1
	s_mov_b64 s[0:1], 0
.LBB158_751:
	s_mov_b64 s[38:39], 0
.LBB158_752:
	s_and_b64 vcc, exec, s[38:39]
	s_cbranch_vccz .LBB158_755
; %bb.753:
	s_cmp_eq_u32 s44, 11
	s_mov_b64 s[0:1], -1
	s_cbranch_scc0 .LBB158_755
; %bb.754:
	v_cndmask_b32_e64 v3, 0, 1, s[34:35]
	s_mov_b64 s[36:37], -1
	s_mov_b64 s[0:1], 0
	global_store_byte v[0:1], v3, off
.LBB158_755:
	s_mov_b64 s[38:39], 0
.LBB158_756:
	s_and_b64 vcc, exec, s[38:39]
	s_cbranch_vccz .LBB158_795
; %bb.757:
	s_and_b32 s38, 0xffff, s43
	s_cmp_lt_i32 s38, 5
	s_mov_b64 s[36:37], -1
	s_cbranch_scc1 .LBB158_778
; %bb.758:
	s_cmp_lt_i32 s38, 8
	s_cbranch_scc1 .LBB158_768
; %bb.759:
	s_cmp_lt_i32 s38, 9
	s_cbranch_scc1 .LBB158_765
; %bb.760:
	s_cmp_gt_i32 s38, 9
	s_cbranch_scc0 .LBB158_762
; %bb.761:
	v_cndmask_b32_e64 v3, 0, 1, s[34:35]
	v_cvt_f64_u32_e32 v[3:4], v3
	v_mov_b32_e32 v5, 0
	v_mov_b32_e32 v6, v5
	s_mov_b64 s[36:37], 0
	global_store_dwordx4 v[0:1], v[3:6], off
.LBB158_762:
	s_andn2_b64 vcc, exec, s[36:37]
	s_cbranch_vccnz .LBB158_764
; %bb.763:
	v_cndmask_b32_e64 v3, 0, 1.0, s[34:35]
	v_mov_b32_e32 v4, 0
	global_store_dwordx2 v[0:1], v[3:4], off
.LBB158_764:
	s_mov_b64 s[36:37], 0
.LBB158_765:
	s_andn2_b64 vcc, exec, s[36:37]
	s_cbranch_vccnz .LBB158_767
; %bb.766:
	v_cndmask_b32_e64 v3, 0, 1.0, s[34:35]
	v_cvt_f16_f32_e32 v3, v3
	global_store_dword v[0:1], v3, off
.LBB158_767:
	s_mov_b64 s[36:37], 0
.LBB158_768:
	s_andn2_b64 vcc, exec, s[36:37]
	s_cbranch_vccnz .LBB158_777
; %bb.769:
	s_cmp_lt_i32 s38, 6
	s_mov_b64 s[36:37], -1
	s_cbranch_scc1 .LBB158_775
; %bb.770:
	s_cmp_gt_i32 s38, 6
	s_cbranch_scc0 .LBB158_772
; %bb.771:
	v_cndmask_b32_e64 v3, 0, 1, s[34:35]
	v_cvt_f64_u32_e32 v[3:4], v3
	s_mov_b64 s[36:37], 0
	global_store_dwordx2 v[0:1], v[3:4], off
.LBB158_772:
	s_andn2_b64 vcc, exec, s[36:37]
	s_cbranch_vccnz .LBB158_774
; %bb.773:
	v_cndmask_b32_e64 v3, 0, 1.0, s[34:35]
	global_store_dword v[0:1], v3, off
.LBB158_774:
	s_mov_b64 s[36:37], 0
.LBB158_775:
	s_andn2_b64 vcc, exec, s[36:37]
	s_cbranch_vccnz .LBB158_777
; %bb.776:
	v_cndmask_b32_e64 v3, 0, 1.0, s[34:35]
	v_cvt_f16_f32_e32 v3, v3
	global_store_short v[0:1], v3, off
.LBB158_777:
	s_mov_b64 s[36:37], 0
.LBB158_778:
	s_andn2_b64 vcc, exec, s[36:37]
	s_cbranch_vccnz .LBB158_794
; %bb.779:
	s_cmp_lt_i32 s38, 2
	s_mov_b64 s[36:37], -1
	s_cbranch_scc1 .LBB158_789
; %bb.780:
	s_cmp_lt_i32 s38, 3
	s_cbranch_scc1 .LBB158_786
; %bb.781:
	s_cmp_gt_i32 s38, 3
	s_cbranch_scc0 .LBB158_783
; %bb.782:
	s_mov_b32 s36, 0
	v_cndmask_b32_e64 v3, 0, 1, s[34:35]
	v_mov_b32_e32 v4, s36
	s_mov_b64 s[36:37], 0
	global_store_dwordx2 v[0:1], v[3:4], off
.LBB158_783:
	s_andn2_b64 vcc, exec, s[36:37]
	s_cbranch_vccnz .LBB158_785
; %bb.784:
	v_cndmask_b32_e64 v3, 0, 1, s[34:35]
	global_store_dword v[0:1], v3, off
.LBB158_785:
	s_mov_b64 s[36:37], 0
.LBB158_786:
	s_andn2_b64 vcc, exec, s[36:37]
	s_cbranch_vccnz .LBB158_788
; %bb.787:
	v_cndmask_b32_e64 v3, 0, 1, s[34:35]
	global_store_short v[0:1], v3, off
.LBB158_788:
	s_mov_b64 s[36:37], 0
.LBB158_789:
	s_andn2_b64 vcc, exec, s[36:37]
	s_cbranch_vccnz .LBB158_794
; %bb.790:
	s_mov_b64 s[36:37], -1
	s_cmp_gt_i32 s38, 0
	v_cndmask_b32_e64 v3, 0, 1, s[34:35]
	s_cbranch_scc0 .LBB158_792
; %bb.791:
	s_mov_b64 s[36:37], 0
	global_store_byte v[0:1], v3, off
.LBB158_792:
	s_andn2_b64 vcc, exec, s[36:37]
	s_cbranch_vccnz .LBB158_794
; %bb.793:
	global_store_byte v[0:1], v3, off
.LBB158_794:
	s_mov_b64 s[36:37], -1
.LBB158_795:
	s_andn2_b64 vcc, exec, s[36:37]
	s_cbranch_vccnz .LBB158_797
; %bb.796:
	v_add_u32_e32 v2, 0x80, v2
	s_mov_b64 s[36:37], -1
	s_branch .LBB158_798
.LBB158_797:
	s_mov_b64 s[36:37], 0
                                        ; implicit-def: $vgpr2
.LBB158_798:
	s_andn2_b64 s[34:35], s[24:25], exec
	s_and_b64 s[0:1], s[0:1], exec
	s_or_b64 s[34:35], s[34:35], s[0:1]
	s_andn2_b64 s[0:1], s[22:23], exec
	s_and_b64 s[30:31], s[30:31], exec
	s_or_b64 s[0:1], s[0:1], s[30:31]
	s_orn2_b64 s[38:39], s[36:37], exec
.LBB158_799:
	s_or_b64 exec, exec, s[28:29]
	s_mov_b64 s[36:37], 0
	s_mov_b64 s[30:31], 0
	;; [unrolled: 1-line block ×3, first 2 shown]
                                        ; implicit-def: $vgpr0_vgpr1
                                        ; implicit-def: $vgpr4
                                        ; implicit-def: $vgpr3
	s_and_saveexec_b64 s[28:29], s[38:39]
	s_cbranch_execz .LBB158_887
; %bb.800:
	v_cmp_gt_i32_e32 vcc, s42, v2
	s_mov_b64 s[38:39], 0
	s_mov_b64 s[42:43], s[0:1]
	;; [unrolled: 1-line block ×3, first 2 shown]
                                        ; implicit-def: $vgpr0_vgpr1
                                        ; implicit-def: $vgpr4
                                        ; implicit-def: $vgpr3
	s_and_saveexec_b64 s[30:31], vcc
	s_cbranch_execz .LBB158_886
; %bb.801:
	v_mul_lo_u32 v0, v2, s13
	v_mov_b32_e32 v1, s11
	s_and_b32 s48, 0xffff, s46
	s_cmp_lt_i32 s48, 11
	s_waitcnt vmcnt(0)
	v_ashrrev_i32_e32 v3, 31, v0
	v_add_co_u32_e32 v0, vcc, s10, v0
	v_addc_co_u32_e32 v1, vcc, v1, v3, vcc
	s_cbranch_scc1 .LBB158_808
; %bb.802:
	s_cmp_gt_i32 s48, 25
	s_cbranch_scc0 .LBB158_809
; %bb.803:
	s_cmp_gt_i32 s48, 28
	s_cbranch_scc0 .LBB158_810
	;; [unrolled: 3-line block ×4, first 2 shown]
; %bb.806:
	s_cmp_eq_u32 s48, 46
	s_mov_b64 s[42:43], 0
	s_cbranch_scc0 .LBB158_817
; %bb.807:
	global_load_dword v3, v[0:1], off
	s_mov_b64 s[40:41], -1
	s_waitcnt vmcnt(0)
	v_and_b32_e32 v4, 0xffff0000, v3
	v_lshlrev_b32_e32 v3, 16, v3
	v_cvt_f16_f32_e32 v3, v3
	v_cvt_f16_f32_e32 v4, v4
	s_branch .LBB158_819
.LBB158_808:
	s_mov_b64 s[42:43], -1
                                        ; implicit-def: $vgpr4
                                        ; implicit-def: $vgpr3
	s_mov_b64 s[36:37], s[0:1]
	s_branch .LBB158_885
.LBB158_809:
	s_mov_b64 s[42:43], -1
	s_mov_b64 s[36:37], s[0:1]
                                        ; implicit-def: $vgpr4
                                        ; implicit-def: $vgpr3
	s_branch .LBB158_850
.LBB158_810:
	s_mov_b64 s[42:43], -1
	s_mov_b64 s[36:37], s[0:1]
                                        ; implicit-def: $vgpr4
                                        ; implicit-def: $vgpr3
	s_branch .LBB158_831
.LBB158_811:
	s_mov_b64 s[42:43], -1
	s_mov_b64 s[36:37], s[0:1]
                                        ; implicit-def: $vgpr4
                                        ; implicit-def: $vgpr3
	s_branch .LBB158_825
.LBB158_812:
	s_andn2_saveexec_b64 s[40:41], s[40:41]
	s_cbranch_execz .LBB158_708
.LBB158_813:
	v_add_f32_e32 v3, 0x46000000, v4
	v_and_b32_e32 v3, 0xff, v3
	v_cmp_ne_u32_e32 vcc, 0, v3
	s_andn2_b64 s[38:39], s[38:39], exec
	s_and_b64 s[48:49], vcc, exec
	s_or_b64 s[38:39], s[38:39], s[48:49]
	s_or_b64 exec, exec, s[40:41]
	v_mov_b32_e32 v5, 0
	s_and_saveexec_b64 s[40:41], s[38:39]
	s_cbranch_execnz .LBB158_709
	s_branch .LBB158_710
.LBB158_814:
	s_mov_b64 s[42:43], -1
	s_mov_b64 s[36:37], s[0:1]
	s_branch .LBB158_818
.LBB158_815:
	s_andn2_saveexec_b64 s[40:41], s[40:41]
	s_cbranch_execz .LBB158_721
.LBB158_816:
	v_add_f32_e32 v3, 0x42800000, v4
	v_and_b32_e32 v3, 0xff, v3
	v_cmp_ne_u32_e32 vcc, 0, v3
	s_andn2_b64 s[38:39], s[38:39], exec
	s_and_b64 s[48:49], vcc, exec
	s_or_b64 s[38:39], s[38:39], s[48:49]
	s_or_b64 exec, exec, s[40:41]
	v_mov_b32_e32 v5, 0
	s_and_saveexec_b64 s[40:41], s[38:39]
	s_cbranch_execnz .LBB158_722
	s_branch .LBB158_723
.LBB158_817:
	s_mov_b64 s[36:37], -1
.LBB158_818:
                                        ; implicit-def: $vgpr4
                                        ; implicit-def: $vgpr3
.LBB158_819:
	s_and_b64 vcc, exec, s[42:43]
	s_cbranch_vccz .LBB158_824
; %bb.820:
	s_cmp_eq_u32 s48, 44
	s_cbranch_scc0 .LBB158_822
; %bb.821:
	global_load_ubyte v3, v[0:1], off
	s_movk_i32 s40, 0xff
	v_mov_b32_e32 v5, 0x7e00
	s_mov_b64 s[36:37], 0
	s_waitcnt vmcnt(0)
	v_lshlrev_b32_e32 v4, 23, v3
	v_cvt_f16_f32_e32 v4, v4
	v_cmp_ne_u32_e32 vcc, s40, v3
	s_mov_b64 s[40:41], -1
	v_cndmask_b32_e32 v4, v5, v4, vcc
	v_cmp_ne_u32_e32 vcc, 0, v3
	v_cndmask_b32_e32 v3, 0, v4, vcc
	s_branch .LBB158_823
.LBB158_822:
	s_mov_b64 s[36:37], -1
                                        ; implicit-def: $vgpr3
.LBB158_823:
	v_mov_b32_e32 v4, 0
.LBB158_824:
	s_mov_b64 s[42:43], 0
.LBB158_825:
	s_and_b64 vcc, exec, s[42:43]
	s_cbranch_vccz .LBB158_830
; %bb.826:
	s_cmp_eq_u32 s48, 29
	s_cbranch_scc0 .LBB158_828
; %bb.827:
	global_load_dwordx2 v[3:4], v[0:1], off
	s_mov_b64 s[36:37], 0
	s_mov_b64 s[40:41], -1
	s_waitcnt vmcnt(0)
	v_ffbh_u32_e32 v5, v4
	v_min_u32_e32 v5, 32, v5
	v_lshlrev_b64 v[3:4], v5, v[3:4]
	v_min_u32_e32 v3, 1, v3
	v_or_b32_e32 v3, v4, v3
	v_cvt_f32_u32_e32 v3, v3
	v_sub_u32_e32 v4, 32, v5
	v_ldexp_f32 v3, v3, v4
	v_cvt_f16_f32_e32 v3, v3
	s_branch .LBB158_829
.LBB158_828:
	s_mov_b64 s[36:37], -1
                                        ; implicit-def: $vgpr3
.LBB158_829:
	v_mov_b32_e32 v4, 0
.LBB158_830:
	s_mov_b64 s[42:43], 0
.LBB158_831:
	s_and_b64 vcc, exec, s[42:43]
	s_cbranch_vccz .LBB158_849
; %bb.832:
	s_cmp_lt_i32 s48, 27
	s_cbranch_scc1 .LBB158_835
; %bb.833:
	s_cmp_gt_i32 s48, 27
	s_cbranch_scc0 .LBB158_836
; %bb.834:
	global_load_dword v3, v[0:1], off
	s_mov_b64 s[40:41], 0
	s_waitcnt vmcnt(0)
	v_cvt_f32_u32_e32 v3, v3
	v_cvt_f16_f32_e32 v3, v3
	s_branch .LBB158_837
.LBB158_835:
	s_mov_b64 s[40:41], -1
                                        ; implicit-def: $vgpr3
	s_branch .LBB158_840
.LBB158_836:
	s_mov_b64 s[40:41], -1
                                        ; implicit-def: $vgpr3
.LBB158_837:
	s_andn2_b64 vcc, exec, s[40:41]
	s_cbranch_vccnz .LBB158_839
; %bb.838:
	global_load_ushort v3, v[0:1], off
	s_waitcnt vmcnt(0)
	v_cvt_f16_u16_e32 v3, v3
.LBB158_839:
	s_mov_b64 s[40:41], 0
.LBB158_840:
	s_andn2_b64 vcc, exec, s[40:41]
	s_cbranch_vccnz .LBB158_848
; %bb.841:
	global_load_ubyte v4, v[0:1], off
	s_movk_i32 s40, 0x7f
	s_waitcnt vmcnt(0)
	v_cmp_lt_i16_e32 vcc, s40, v4
	s_mov_b64 s[40:41], 0
	s_and_saveexec_b64 s[42:43], vcc
	s_xor_b64 s[42:43], exec, s[42:43]
	s_cbranch_execz .LBB158_862
; %bb.842:
	s_movk_i32 s40, 0x80
	v_cmp_eq_u16_e32 vcc, s40, v4
	s_mov_b64 s[40:41], -1
	s_and_saveexec_b64 s[44:45], vcc
; %bb.843:
	s_xor_b64 s[40:41], exec, -1
; %bb.844:
	s_or_b64 exec, exec, s[44:45]
	s_and_b64 s[40:41], s[40:41], exec
	s_or_saveexec_b64 s[42:43], s[42:43]
	v_mov_b32_e32 v3, 0x7e00
	s_xor_b64 exec, exec, s[42:43]
	s_cbranch_execnz .LBB158_863
.LBB158_845:
	s_or_b64 exec, exec, s[42:43]
	s_and_saveexec_b64 s[42:43], s[40:41]
	s_cbranch_execz .LBB158_847
.LBB158_846:
	v_lshlrev_b32_e32 v3, 24, v4
	v_and_b32_e32 v4, 0xffff, v4
	v_and_b32_e32 v5, 7, v4
	v_ffbh_u32_e32 v7, v5
	v_min_u32_e32 v7, 32, v7
	v_subrev_u32_e32 v8, 28, v7
	v_bfe_u32 v6, v4, 3, 4
	v_lshlrev_b32_e32 v4, v8, v4
	v_sub_u32_e32 v7, 29, v7
	v_and_b32_e32 v4, 7, v4
	v_cmp_eq_u32_e32 vcc, 0, v6
	v_cndmask_b32_e32 v6, v6, v7, vcc
	v_cndmask_b32_e32 v4, v5, v4, vcc
	v_mov_b32_e32 v5, 0x3b800000
	v_lshlrev_b32_e32 v4, 20, v4
	v_and_b32_e32 v3, 0x80000000, v3
	v_lshl_add_u32 v5, v6, 23, v5
	v_or3_b32 v3, v3, v5, v4
	v_cvt_f16_f32_e32 v3, v3
.LBB158_847:
	s_or_b64 exec, exec, s[42:43]
.LBB158_848:
	s_mov_b64 s[40:41], -1
	v_mov_b32_e32 v4, 0
.LBB158_849:
	s_mov_b64 s[42:43], 0
.LBB158_850:
	s_and_b64 vcc, exec, s[42:43]
	s_cbranch_vccz .LBB158_884
; %bb.851:
	s_cmp_gt_i32 s48, 22
	s_cbranch_scc0 .LBB158_861
; %bb.852:
	s_cmp_lt_i32 s48, 24
	s_cbranch_scc1 .LBB158_864
; %bb.853:
	s_cmp_gt_i32 s48, 24
	s_cbranch_scc0 .LBB158_865
; %bb.854:
	global_load_ubyte v4, v[0:1], off
	s_movk_i32 s38, 0x7f
	s_waitcnt vmcnt(0)
	v_cmp_lt_i16_e32 vcc, s38, v4
	s_mov_b64 s[38:39], 0
	s_and_saveexec_b64 s[40:41], vcc
	s_xor_b64 s[40:41], exec, s[40:41]
	s_cbranch_execz .LBB158_877
; %bb.855:
	s_movk_i32 s38, 0x80
	v_cmp_eq_u16_e32 vcc, s38, v4
	s_mov_b64 s[38:39], -1
	s_and_saveexec_b64 s[42:43], vcc
; %bb.856:
	s_xor_b64 s[38:39], exec, -1
; %bb.857:
	s_or_b64 exec, exec, s[42:43]
	s_and_b64 s[38:39], s[38:39], exec
	s_or_saveexec_b64 s[40:41], s[40:41]
	v_mov_b32_e32 v3, 0x7e00
	s_xor_b64 exec, exec, s[40:41]
	s_cbranch_execnz .LBB158_878
.LBB158_858:
	s_or_b64 exec, exec, s[40:41]
	s_and_saveexec_b64 s[40:41], s[38:39]
	s_cbranch_execz .LBB158_860
.LBB158_859:
	v_lshlrev_b32_e32 v3, 24, v4
	v_and_b32_e32 v4, 0xffff, v4
	v_and_b32_e32 v5, 3, v4
	v_ffbh_u32_e32 v7, v5
	v_min_u32_e32 v7, 32, v7
	v_subrev_u32_e32 v8, 29, v7
	v_bfe_u32 v6, v4, 2, 5
	v_lshlrev_b32_e32 v4, v8, v4
	v_sub_u32_e32 v7, 30, v7
	v_and_b32_e32 v4, 3, v4
	v_cmp_eq_u32_e32 vcc, 0, v6
	v_cndmask_b32_e32 v6, v6, v7, vcc
	v_cndmask_b32_e32 v4, v5, v4, vcc
	v_mov_b32_e32 v5, 0x37800000
	v_lshlrev_b32_e32 v4, 21, v4
	v_and_b32_e32 v3, 0x80000000, v3
	v_lshl_add_u32 v5, v6, 23, v5
	v_or3_b32 v3, v3, v5, v4
	v_cvt_f16_f32_e32 v3, v3
.LBB158_860:
	s_or_b64 exec, exec, s[40:41]
	s_mov_b64 s[38:39], 0
	s_branch .LBB158_866
.LBB158_861:
	s_mov_b64 s[38:39], -1
                                        ; implicit-def: $vgpr3
	s_branch .LBB158_872
.LBB158_862:
	s_or_saveexec_b64 s[42:43], s[42:43]
	v_mov_b32_e32 v3, 0x7e00
	s_xor_b64 exec, exec, s[42:43]
	s_cbranch_execz .LBB158_845
.LBB158_863:
	v_cmp_ne_u16_e32 vcc, 0, v4
	s_andn2_b64 s[40:41], s[40:41], exec
	s_and_b64 s[44:45], vcc, exec
	s_or_b64 s[40:41], s[40:41], s[44:45]
	v_mov_b32_e32 v3, v4
	s_or_b64 exec, exec, s[42:43]
	s_and_saveexec_b64 s[42:43], s[40:41]
	s_cbranch_execnz .LBB158_846
	s_branch .LBB158_847
.LBB158_864:
	s_mov_b64 s[38:39], -1
                                        ; implicit-def: $vgpr3
	s_branch .LBB158_869
.LBB158_865:
	s_mov_b64 s[38:39], -1
                                        ; implicit-def: $vgpr3
.LBB158_866:
	s_and_b64 vcc, exec, s[38:39]
	s_cbranch_vccz .LBB158_868
; %bb.867:
	global_load_ubyte v3, v[0:1], off
	s_mov_b32 s38, 0x7f800000
	s_waitcnt vmcnt(0)
	v_lshlrev_b32_e32 v3, 24, v3
	v_and_b32_e32 v4, 0x7f000000, v3
	v_ffbh_u32_e32 v5, v4
	v_min_u32_e32 v5, 32, v5
	v_sub_u32_e64 v5, v5, 4 clamp
	v_lshlrev_b32_e32 v7, v5, v4
	v_lshlrev_b32_e32 v5, 23, v5
	v_lshrrev_b32_e32 v7, 4, v7
	v_add_u32_e32 v6, 0x1000000, v4
	v_sub_u32_e32 v5, v7, v5
	v_ashrrev_i32_e32 v6, 8, v6
	v_add_u32_e32 v5, 0x3c000000, v5
	v_and_or_b32 v5, v6, s38, v5
	v_cmp_ne_u32_e32 vcc, 0, v4
	v_cndmask_b32_e32 v4, 0, v5, vcc
	s_brev_b32 s38, 1
	v_and_or_b32 v3, v3, s38, v4
	v_cvt_f16_f32_e32 v3, v3
.LBB158_868:
	s_mov_b64 s[38:39], 0
.LBB158_869:
	s_andn2_b64 vcc, exec, s[38:39]
	s_cbranch_vccnz .LBB158_871
; %bb.870:
	global_load_ubyte v3, v[0:1], off
	s_movk_i32 s38, 0x7f00
	s_brev_b32 s39, 16
	s_waitcnt vmcnt(0)
	v_lshlrev_b16_e32 v4, 8, v3
	v_lshlrev_b32_e32 v3, 25, v3
	v_lshrrev_b32_e32 v5, 4, v3
	v_and_or_b32 v6, v4, s38, 0.5
	v_or_b32_e32 v5, 0x70000000, v5
	v_add_f32_e32 v6, -0.5, v6
	v_mul_f32_e32 v5, 0x7800000, v5
	v_cmp_gt_u32_e32 vcc, s39, v3
	v_bfe_i32 v4, v4, 0, 16
	v_cndmask_b32_e32 v3, v5, v6, vcc
	s_brev_b32 s38, 1
	v_and_or_b32 v3, v4, s38, v3
	v_cvt_f16_f32_e32 v3, v3
.LBB158_871:
	s_mov_b64 s[38:39], 0
	s_mov_b64 s[40:41], -1
.LBB158_872:
	s_andn2_b64 vcc, exec, s[38:39]
	s_mov_b64 s[38:39], 0
	s_cbranch_vccnz .LBB158_883
; %bb.873:
	s_cmp_gt_i32 s48, 14
	s_cbranch_scc0 .LBB158_876
; %bb.874:
	s_cmp_eq_u32 s48, 15
	s_cbranch_scc0 .LBB158_879
; %bb.875:
	global_load_ushort v3, v[0:1], off
	s_mov_b64 s[36:37], 0
	s_mov_b64 s[40:41], -1
	s_waitcnt vmcnt(0)
	v_lshlrev_b32_e32 v3, 16, v3
	v_cvt_f16_f32_e32 v3, v3
	s_branch .LBB158_880
.LBB158_876:
	s_mov_b64 s[42:43], -1
                                        ; implicit-def: $vgpr3
	s_branch .LBB158_881
.LBB158_877:
	s_or_saveexec_b64 s[40:41], s[40:41]
	v_mov_b32_e32 v3, 0x7e00
	s_xor_b64 exec, exec, s[40:41]
	s_cbranch_execz .LBB158_858
.LBB158_878:
	v_cmp_ne_u16_e32 vcc, 0, v4
	s_andn2_b64 s[38:39], s[38:39], exec
	s_and_b64 s[42:43], vcc, exec
	s_or_b64 s[38:39], s[38:39], s[42:43]
	v_mov_b32_e32 v3, v4
	s_or_b64 exec, exec, s[40:41]
	s_and_saveexec_b64 s[40:41], s[38:39]
	s_cbranch_execnz .LBB158_859
	s_branch .LBB158_860
.LBB158_879:
	s_mov_b64 s[36:37], -1
                                        ; implicit-def: $vgpr3
.LBB158_880:
	s_mov_b64 s[42:43], 0
.LBB158_881:
	s_and_b64 vcc, exec, s[42:43]
	s_cbranch_vccz .LBB158_883
; %bb.882:
	s_cmp_lg_u32 s48, 11
	s_cselect_b64 s[42:43], -1, 0
	s_andn2_b64 s[36:37], s[36:37], exec
	s_and_b64 s[42:43], s[42:43], exec
	s_mov_b64 s[38:39], -1
	s_or_b64 s[36:37], s[36:37], s[42:43]
.LBB158_883:
	v_mov_b32_e32 v4, 0
.LBB158_884:
	s_mov_b64 s[42:43], 0
.LBB158_885:
	s_and_b64 s[44:45], s[42:43], exec
	s_andn2_b64 s[42:43], s[0:1], exec
	s_and_b64 s[36:37], s[36:37], exec
	s_and_b64 s[40:41], s[40:41], exec
	;; [unrolled: 1-line block ×3, first 2 shown]
	s_or_b64 s[42:43], s[42:43], s[36:37]
.LBB158_886:
	s_or_b64 exec, exec, s[30:31]
	s_and_b64 s[36:37], s[38:39], exec
	s_andn2_b64 s[0:1], s[0:1], exec
	s_and_b64 s[38:39], s[42:43], exec
	s_and_b64 s[40:41], s[40:41], exec
	;; [unrolled: 1-line block ×3, first 2 shown]
	s_or_b64 s[0:1], s[0:1], s[38:39]
.LBB158_887:
	s_or_b64 exec, exec, s[28:29]
	s_andn2_b64 s[24:25], s[24:25], exec
	s_and_b64 s[28:29], s[34:35], exec
	s_andn2_b64 s[22:23], s[22:23], exec
	s_and_b64 s[0:1], s[0:1], exec
	s_or_b64 s[24:25], s[24:25], s[28:29]
	s_and_b64 s[34:35], s[40:41], exec
	s_and_b64 s[30:31], s[30:31], exec
	;; [unrolled: 1-line block ×3, first 2 shown]
	s_or_b64 s[22:23], s[22:23], s[0:1]
.LBB158_888:
	s_or_b64 exec, exec, s[26:27]
	s_andn2_b64 s[0:1], s[16:17], exec
	s_and_b64 s[16:17], s[24:25], exec
	s_andn2_b64 s[18:19], s[18:19], exec
	s_and_b64 s[22:23], s[22:23], exec
	s_or_b64 s[16:17], s[0:1], s[16:17]
	s_and_b64 s[0:1], s[34:35], exec
	s_and_b64 s[26:27], s[30:31], exec
	s_and_b64 s[24:25], s[28:29], exec
	s_or_b64 s[18:19], s[18:19], s[22:23]
	s_or_b64 exec, exec, s[20:21]
	s_mov_b64 s[20:21], 0
	s_and_saveexec_b64 s[22:23], s[18:19]
	s_cbranch_execz .LBB158_270
.LBB158_889:
	s_mov_b64 s[20:21], exec
	s_andn2_b64 s[24:25], s[24:25], exec
	s_trap 2
	s_or_b64 exec, exec, s[22:23]
	s_and_saveexec_b64 s[18:19], s[24:25]
	s_xor_b64 s[18:19], exec, s[18:19]
	s_cbranch_execnz .LBB158_271
.LBB158_890:
	s_or_b64 exec, exec, s[18:19]
	s_and_saveexec_b64 s[18:19], s[26:27]
	s_cbranch_execz .LBB158_938
.LBB158_891:
	s_sext_i32_i16 s22, s46
	s_cmp_lt_i32 s22, 5
	s_cbranch_scc1 .LBB158_896
; %bb.892:
	s_cmp_lt_i32 s22, 8
	s_cbranch_scc1 .LBB158_897
; %bb.893:
	;; [unrolled: 3-line block ×3, first 2 shown]
	s_cmp_gt_i32 s22, 9
	s_cbranch_scc0 .LBB158_899
; %bb.895:
	global_load_dwordx4 v[3:6], v[0:1], off
	s_movk_i32 s22, 0x1ff
	s_movk_i32 s23, 0xffe
	v_mov_b32_e32 v7, 0x7c00
	v_mov_b32_e32 v8, 0x7e00
	s_movk_i32 s24, 0x40f
	s_mov_b32 s25, 0x8000
	s_waitcnt vmcnt(0)
	v_and_or_b32 v3, v4, s22, v3
	v_and_or_b32 v5, v6, s22, v5
	v_cmp_ne_u32_e32 vcc, 0, v3
	v_lshrrev_b32_e32 v9, 8, v4
	v_cndmask_b32_e64 v3, 0, 1, vcc
	v_cmp_ne_u32_e32 vcc, 0, v5
	v_bfe_u32 v10, v4, 20, 11
	v_lshrrev_b32_e32 v11, 8, v6
	v_bfe_u32 v12, v6, 20, 11
	v_cndmask_b32_e64 v5, 0, 1, vcc
	v_and_or_b32 v3, v9, s23, v3
	v_sub_u32_e32 v13, 0x3f1, v10
	v_add_u32_e32 v10, 0xfffffc10, v10
	v_sub_u32_e32 v14, 0x3f1, v12
	v_and_or_b32 v5, v11, s23, v5
	v_cmp_ne_u32_e32 vcc, 0, v3
	v_add_u32_e32 v12, 0xfffffc10, v12
	v_med3_i32 v9, v13, 0, 13
	v_med3_i32 v11, v14, 0, 13
	v_or_b32_e32 v13, 0x1000, v3
	v_lshl_or_b32 v14, v10, 12, v3
	v_cndmask_b32_e32 v3, v7, v8, vcc
	v_cmp_ne_u32_e32 vcc, 0, v5
	v_or_b32_e32 v15, 0x1000, v5
	v_lshl_or_b32 v16, v12, 12, v5
	v_cndmask_b32_e32 v5, v7, v8, vcc
	v_lshrrev_b32_e32 v8, v9, v13
	v_lshrrev_b32_e32 v17, v11, v15
	v_lshlrev_b32_e32 v9, v9, v8
	v_lshlrev_b32_e32 v11, v11, v17
	v_cmp_ne_u32_e32 vcc, v9, v13
	v_cndmask_b32_e64 v9, 0, 1, vcc
	v_cmp_ne_u32_e32 vcc, v11, v15
	v_cndmask_b32_e64 v11, 0, 1, vcc
	v_or_b32_e32 v8, v8, v9
	v_cmp_gt_i32_e32 vcc, 1, v10
	v_cndmask_b32_e32 v8, v14, v8, vcc
	v_or_b32_e32 v9, v17, v11
	v_cmp_gt_i32_e32 vcc, 1, v12
	v_and_b32_e32 v11, 7, v8
	v_cndmask_b32_e32 v9, v16, v9, vcc
	v_cmp_lt_i32_e32 vcc, 5, v11
	v_and_b32_e32 v13, 7, v9
	v_cndmask_b32_e64 v14, 0, 1, vcc
	v_cmp_eq_u32_e32 vcc, 3, v11
	v_cndmask_b32_e64 v11, 0, 1, vcc
	v_cmp_lt_i32_e32 vcc, 5, v13
	v_cndmask_b32_e64 v15, 0, 1, vcc
	v_cmp_eq_u32_e32 vcc, 3, v13
	v_lshrrev_b32_e32 v8, 2, v8
	v_cndmask_b32_e64 v13, 0, 1, vcc
	v_or_b32_e32 v11, v11, v14
	v_lshrrev_b32_e32 v9, 2, v9
	v_or_b32_e32 v13, v13, v15
	v_add_u32_e32 v8, v8, v11
	v_cmp_gt_i32_e32 vcc, 31, v10
	v_add_u32_e32 v9, v9, v13
	v_cndmask_b32_e32 v8, v7, v8, vcc
	v_cmp_gt_i32_e32 vcc, 31, v12
	v_cndmask_b32_e32 v7, v7, v9, vcc
	v_cmp_eq_u32_e32 vcc, s24, v10
	v_cndmask_b32_e32 v3, v8, v3, vcc
	v_cmp_eq_u32_e32 vcc, s24, v12
	v_lshrrev_b32_e32 v4, 16, v4
	v_lshrrev_b32_e32 v6, 16, v6
	v_cndmask_b32_e32 v5, v7, v5, vcc
	v_and_or_b32 v3, v4, s25, v3
	v_and_or_b32 v4, v6, s25, v5
	s_mov_b64 s[22:23], 0
	s_branch .LBB158_900
.LBB158_896:
                                        ; implicit-def: $vgpr4
                                        ; implicit-def: $vgpr3
	s_branch .LBB158_918
.LBB158_897:
                                        ; implicit-def: $vgpr4
                                        ; implicit-def: $vgpr3
	s_branch .LBB158_906
.LBB158_898:
	s_mov_b64 s[22:23], -1
                                        ; implicit-def: $vgpr4
                                        ; implicit-def: $vgpr3
	s_branch .LBB158_903
.LBB158_899:
	s_mov_b64 s[22:23], -1
                                        ; implicit-def: $vgpr4
                                        ; implicit-def: $vgpr3
.LBB158_900:
	s_andn2_b64 vcc, exec, s[22:23]
	s_cbranch_vccnz .LBB158_902
; %bb.901:
	global_load_dwordx2 v[3:4], v[0:1], off
	s_waitcnt vmcnt(0)
	v_cvt_f16_f32_e32 v3, v3
	v_cvt_f16_f32_e32 v4, v4
.LBB158_902:
	s_mov_b64 s[22:23], 0
.LBB158_903:
	s_andn2_b64 vcc, exec, s[22:23]
	s_cbranch_vccnz .LBB158_905
; %bb.904:
	global_load_dword v3, v[0:1], off
	s_waitcnt vmcnt(0)
	v_lshrrev_b32_e32 v4, 16, v3
.LBB158_905:
	s_cbranch_execnz .LBB158_917
.LBB158_906:
	s_sext_i32_i16 s22, s46
	s_cmp_lt_i32 s22, 6
	s_cbranch_scc1 .LBB158_909
; %bb.907:
	s_cmp_gt_i32 s22, 6
	s_cbranch_scc0 .LBB158_910
; %bb.908:
	global_load_dwordx2 v[3:4], v[0:1], off
	s_movk_i32 s22, 0x1ff
	s_movk_i32 s23, 0xffe
	v_mov_b32_e32 v5, 0x7c00
	v_mov_b32_e32 v6, 0x7e00
	s_movk_i32 s24, 0x40f
	s_mov_b32 s25, 0x8000
	s_waitcnt vmcnt(0)
	v_and_or_b32 v3, v4, s22, v3
	v_cmp_ne_u32_e32 vcc, 0, v3
	v_lshrrev_b32_e32 v7, 8, v4
	v_bfe_u32 v8, v4, 20, 11
	v_cndmask_b32_e64 v3, 0, 1, vcc
	v_sub_u32_e32 v9, 0x3f1, v8
	v_and_or_b32 v3, v7, s23, v3
	v_add_u32_e32 v8, 0xfffffc10, v8
	v_med3_i32 v7, v9, 0, 13
	v_or_b32_e32 v9, 0x1000, v3
	v_cmp_ne_u32_e32 vcc, 0, v3
	v_lshl_or_b32 v10, v8, 12, v3
	v_cndmask_b32_e32 v3, v5, v6, vcc
	v_lshrrev_b32_e32 v6, v7, v9
	v_lshlrev_b32_e32 v7, v7, v6
	v_cmp_ne_u32_e32 vcc, v7, v9
	v_cndmask_b32_e64 v7, 0, 1, vcc
	v_or_b32_e32 v6, v6, v7
	v_cmp_gt_i32_e32 vcc, 1, v8
	v_cndmask_b32_e32 v6, v10, v6, vcc
	v_and_b32_e32 v7, 7, v6
	v_cmp_lt_i32_e32 vcc, 5, v7
	v_cndmask_b32_e64 v9, 0, 1, vcc
	v_cmp_eq_u32_e32 vcc, 3, v7
	v_cndmask_b32_e64 v7, 0, 1, vcc
	v_lshrrev_b32_e32 v6, 2, v6
	v_or_b32_e32 v7, v7, v9
	v_add_u32_e32 v6, v6, v7
	v_cmp_gt_i32_e32 vcc, 31, v8
	v_cndmask_b32_e32 v5, v5, v6, vcc
	v_cmp_eq_u32_e32 vcc, s24, v8
	v_lshrrev_b32_e32 v4, 16, v4
	v_cndmask_b32_e32 v3, v5, v3, vcc
	v_and_or_b32 v3, v4, s25, v3
	s_mov_b64 s[22:23], 0
	s_branch .LBB158_911
.LBB158_909:
	s_mov_b64 s[22:23], -1
                                        ; implicit-def: $vgpr3
	s_branch .LBB158_914
.LBB158_910:
	s_mov_b64 s[22:23], -1
                                        ; implicit-def: $vgpr3
.LBB158_911:
	s_andn2_b64 vcc, exec, s[22:23]
	s_cbranch_vccnz .LBB158_913
; %bb.912:
	global_load_dword v3, v[0:1], off
	s_waitcnt vmcnt(0)
	v_cvt_f16_f32_e32 v3, v3
.LBB158_913:
	s_mov_b64 s[22:23], 0
.LBB158_914:
	s_andn2_b64 vcc, exec, s[22:23]
	s_cbranch_vccnz .LBB158_916
; %bb.915:
	global_load_ushort v3, v[0:1], off
.LBB158_916:
	v_mov_b32_e32 v4, 0
.LBB158_917:
	s_cbranch_execnz .LBB158_937
.LBB158_918:
	s_sext_i32_i16 s22, s46
	s_cmp_lt_i32 s22, 2
	s_cbranch_scc1 .LBB158_922
; %bb.919:
	s_cmp_lt_i32 s22, 3
	s_cbranch_scc1 .LBB158_923
; %bb.920:
	s_cmp_gt_i32 s22, 3
	s_cbranch_scc0 .LBB158_924
; %bb.921:
	global_load_dwordx2 v[3:4], v[0:1], off
	s_mov_b64 s[22:23], 0
	s_waitcnt vmcnt(0)
	v_xor_b32_e32 v6, v3, v4
	v_ffbh_i32_e32 v5, v4
	v_ashrrev_i32_e32 v6, 31, v6
	v_add_u32_e32 v5, -1, v5
	v_add_u32_e32 v6, 32, v6
	v_min_u32_e32 v5, v5, v6
	v_lshlrev_b64 v[3:4], v5, v[3:4]
	v_min_u32_e32 v3, 1, v3
	v_or_b32_e32 v3, v4, v3
	v_cvt_f32_i32_e32 v3, v3
	v_sub_u32_e32 v4, 32, v5
	v_ldexp_f32 v3, v3, v4
	v_cvt_f16_f32_e32 v3, v3
	s_branch .LBB158_925
.LBB158_922:
                                        ; implicit-def: $vgpr3
	s_branch .LBB158_931
.LBB158_923:
	s_mov_b64 s[22:23], -1
                                        ; implicit-def: $vgpr3
	s_branch .LBB158_928
.LBB158_924:
	s_mov_b64 s[22:23], -1
                                        ; implicit-def: $vgpr3
.LBB158_925:
	s_andn2_b64 vcc, exec, s[22:23]
	s_cbranch_vccnz .LBB158_927
; %bb.926:
	global_load_dword v3, v[0:1], off
	s_waitcnt vmcnt(0)
	v_cvt_f32_i32_e32 v3, v3
	v_cvt_f16_f32_e32 v3, v3
.LBB158_927:
	s_mov_b64 s[22:23], 0
.LBB158_928:
	s_andn2_b64 vcc, exec, s[22:23]
	s_cbranch_vccnz .LBB158_930
; %bb.929:
	global_load_ushort v3, v[0:1], off
	s_waitcnt vmcnt(0)
	v_cvt_f16_i16_e32 v3, v3
.LBB158_930:
	s_cbranch_execnz .LBB158_936
.LBB158_931:
	s_sext_i32_i16 s22, s46
	s_cmp_gt_i32 s22, 0
	s_cbranch_scc0 .LBB158_933
; %bb.932:
	global_load_sbyte v3, v[0:1], off
	s_mov_b64 s[22:23], 0
	s_waitcnt vmcnt(0)
	v_cvt_f16_i16_e32 v3, v3
	s_branch .LBB158_934
.LBB158_933:
	s_mov_b64 s[22:23], -1
                                        ; implicit-def: $vgpr3
.LBB158_934:
	s_andn2_b64 vcc, exec, s[22:23]
	s_cbranch_vccnz .LBB158_936
; %bb.935:
	global_load_ubyte v0, v[0:1], off
	s_waitcnt vmcnt(0)
	v_cvt_f16_u16_e32 v3, v0
.LBB158_936:
	v_mov_b32_e32 v4, 0
.LBB158_937:
	s_or_b64 s[0:1], s[0:1], exec
.LBB158_938:
	s_or_b64 exec, exec, s[18:19]
	s_mov_b64 s[26:27], 0
	s_mov_b64 s[24:25], 0
                                        ; implicit-def: $sgpr18_sgpr19
                                        ; implicit-def: $sgpr30
                                        ; implicit-def: $vgpr0_vgpr1
	s_and_saveexec_b64 s[22:23], s[0:1]
	s_cbranch_execz .LBB158_1016
; %bb.939:
	s_andn2_b64 vcc, exec, s[6:7]
	s_cbranch_vccnz .LBB158_1020
; %bb.940:
	s_waitcnt vmcnt(0)
	v_cmp_neq_f16_e32 vcc, s15, v3
	v_cmp_neq_f16_e64 s[0:1], s47, v4
	s_or_b64 s[18:19], vcc, s[0:1]
	s_cbranch_execnz .LBB158_942
.LBB158_941:
	s_waitcnt vmcnt(0)
	v_cmp_eq_f16_e32 vcc, s15, v3
	v_cmp_eq_f16_e64 s[0:1], s47, v4
	s_and_b64 s[0:1], vcc, s[0:1]
	s_andn2_b64 s[6:7], s[18:19], exec
	s_and_b64 s[0:1], s[0:1], exec
	s_or_b64 s[18:19], s[6:7], s[0:1]
.LBB158_942:
	v_mul_lo_u32 v0, v2, s12
	v_mov_b32_e32 v1, s9
	s_and_b32 s30, s33, 0xff
	s_cmp_lt_i32 s30, 11
	v_ashrrev_i32_e32 v2, 31, v0
	v_add_co_u32_e32 v0, vcc, s8, v0
	v_addc_co_u32_e32 v1, vcc, v1, v2, vcc
	s_cbranch_scc1 .LBB158_1019
; %bb.943:
	s_and_b32 s31, 0xffff, s30
	s_mov_b64 s[24:25], -1
	s_cmp_gt_i32 s31, 25
	s_mov_b64 s[0:1], s[16:17]
	s_cbranch_scc0 .LBB158_976
; %bb.944:
	s_mov_b64 s[6:7], -1
	s_cmp_gt_i32 s31, 28
	s_mov_b64 s[0:1], s[16:17]
	s_cbranch_scc0 .LBB158_960
; %bb.945:
	s_cmp_gt_i32 s31, 43
	s_mov_b64 s[0:1], s[16:17]
	s_cbranch_scc0 .LBB158_956
; %bb.946:
	;; [unrolled: 4-line block ×3, first 2 shown]
	s_cmp_eq_u32 s31, 46
	s_mov_b64 s[0:1], -1
	s_cbranch_scc0 .LBB158_949
; %bb.948:
	v_cndmask_b32_e64 v2, 0, 1.0, s[18:19]
	s_waitcnt vmcnt(0)
	v_bfe_u32 v3, v2, 16, 1
	s_movk_i32 s0, 0x7fff
	v_add3_u32 v2, v2, v3, s0
	v_lshrrev_b32_e32 v2, 16, v2
	global_store_dword v[0:1], v2, off
	s_mov_b64 s[0:1], 0
.LBB158_949:
	s_mov_b64 s[6:7], 0
.LBB158_950:
	s_and_b64 vcc, exec, s[6:7]
	s_cbranch_vccz .LBB158_955
; %bb.951:
	s_cmp_eq_u32 s31, 44
	s_mov_b64 s[0:1], -1
	s_cbranch_scc0 .LBB158_955
; %bb.952:
	s_waitcnt vmcnt(0)
	v_cndmask_b32_e64 v3, 0, 1.0, s[18:19]
	v_lshrrev_b32_e32 v2, 23, v3
	s_movk_i32 s0, 0xff
	v_cmp_ne_u32_e32 vcc, s0, v2
	v_mov_b32_e32 v4, 0xff
	s_and_saveexec_b64 s[6:7], vcc
; %bb.953:
	s_mov_b32 s0, 0x3fffff
	v_and_b32_e32 v4, 0x400000, v3
	v_and_or_b32 v3, v3, s0, v2
	v_cmp_ne_u32_e32 vcc, 0, v4
	v_cmp_ne_u32_e64 s[0:1], 0, v3
	s_and_b64 s[0:1], vcc, s[0:1]
	v_cndmask_b32_e64 v3, 0, 1, s[0:1]
	v_add_u32_e32 v4, v2, v3
; %bb.954:
	s_or_b64 exec, exec, s[6:7]
	s_mov_b64 s[0:1], 0
	global_store_byte v[0:1], v4, off
.LBB158_955:
	s_mov_b64 s[6:7], 0
.LBB158_956:
	s_and_b64 vcc, exec, s[6:7]
	s_cbranch_vccz .LBB158_959
; %bb.957:
	s_cmp_eq_u32 s31, 29
	s_mov_b64 s[0:1], -1
	s_cbranch_scc0 .LBB158_959
; %bb.958:
	s_mov_b32 s0, 0
	v_cndmask_b32_e64 v2, 0, 1, s[18:19]
	s_waitcnt vmcnt(0)
	v_mov_b32_e32 v3, s0
	global_store_dwordx2 v[0:1], v[2:3], off
	s_mov_b64 s[0:1], 0
.LBB158_959:
	s_mov_b64 s[6:7], 0
.LBB158_960:
	s_and_b64 vcc, exec, s[6:7]
	s_cbranch_vccz .LBB158_975
; %bb.961:
	s_cmp_lt_i32 s31, 27
	s_mov_b64 s[6:7], -1
	s_cbranch_scc1 .LBB158_967
; %bb.962:
	s_cmp_gt_i32 s31, 27
	v_cndmask_b32_e64 v2, 0, 1, s[18:19]
	s_cbranch_scc0 .LBB158_964
; %bb.963:
	s_mov_b64 s[6:7], 0
	global_store_dword v[0:1], v2, off
.LBB158_964:
	s_andn2_b64 vcc, exec, s[6:7]
	s_cbranch_vccnz .LBB158_966
; %bb.965:
	global_store_short v[0:1], v2, off
.LBB158_966:
	s_mov_b64 s[6:7], 0
.LBB158_967:
	s_andn2_b64 vcc, exec, s[6:7]
	s_cbranch_vccnz .LBB158_975
; %bb.968:
	s_waitcnt vmcnt(0)
	v_cndmask_b32_e64 v3, 0, 1.0, s[18:19]
	s_mov_b32 s6, 0x43800000
	v_cmp_gt_u32_e32 vcc, s6, v3
	v_mov_b32_e32 v4, 0x80
	s_and_saveexec_b64 s[6:7], vcc
	s_cbranch_execz .LBB158_974
; %bb.969:
	s_mov_b32 s24, 0x3bffffff
	v_cmp_lt_u32_e32 vcc, s24, v3
	s_mov_b64 s[24:25], 0
                                        ; implicit-def: $vgpr2
	s_and_saveexec_b64 s[26:27], vcc
	s_xor_b64 s[26:27], exec, s[26:27]
	s_cbranch_execz .LBB158_1077
; %bb.970:
	v_bfe_u32 v2, v3, 20, 1
	s_mov_b32 s28, 0x487ffff
	v_add3_u32 v2, v3, v2, s28
	s_mov_b64 s[24:25], exec
	v_lshrrev_b32_e32 v2, 20, v2
                                        ; implicit-def: $vgpr3
	s_andn2_saveexec_b64 s[26:27], s[26:27]
	s_cbranch_execnz .LBB158_1078
.LBB158_971:
	s_or_b64 exec, exec, s[26:27]
	v_mov_b32_e32 v4, 0
	s_and_saveexec_b64 s[26:27], s[24:25]
.LBB158_972:
	v_mov_b32_e32 v4, v2
.LBB158_973:
	s_or_b64 exec, exec, s[26:27]
.LBB158_974:
	s_or_b64 exec, exec, s[6:7]
	global_store_byte v[0:1], v4, off
.LBB158_975:
	s_mov_b64 s[24:25], 0
.LBB158_976:
	s_mov_b64 s[6:7], 0
	s_and_b64 vcc, exec, s[24:25]
	s_cbranch_vccz .LBB158_1021
; %bb.977:
	s_cmp_gt_i32 s31, 22
	s_mov_b64 s[24:25], -1
	s_cbranch_scc0 .LBB158_1009
; %bb.978:
	s_cmp_lt_i32 s31, 24
	s_cbranch_scc1 .LBB158_998
; %bb.979:
	s_cmp_gt_i32 s31, 24
	s_cbranch_scc0 .LBB158_987
; %bb.980:
	s_waitcnt vmcnt(0)
	v_cndmask_b32_e64 v3, 0, 1.0, s[18:19]
	s_mov_b32 s24, 0x47800000
	v_cmp_gt_u32_e32 vcc, s24, v3
	v_mov_b32_e32 v4, 0x80
	s_and_saveexec_b64 s[24:25], vcc
	s_cbranch_execz .LBB158_986
; %bb.981:
	s_mov_b32 s26, 0x37ffffff
	v_cmp_lt_u32_e32 vcc, s26, v3
	s_mov_b64 s[26:27], 0
                                        ; implicit-def: $vgpr2
	s_and_saveexec_b64 s[28:29], vcc
	s_xor_b64 s[28:29], exec, s[28:29]
	s_cbranch_execz .LBB158_1211
; %bb.982:
	v_bfe_u32 v2, v3, 21, 1
	s_mov_b32 s34, 0x88fffff
	v_add3_u32 v2, v3, v2, s34
	s_mov_b64 s[26:27], exec
	v_lshrrev_b32_e32 v2, 21, v2
                                        ; implicit-def: $vgpr3
	s_andn2_saveexec_b64 s[28:29], s[28:29]
	s_cbranch_execnz .LBB158_1212
.LBB158_983:
	s_or_b64 exec, exec, s[28:29]
	v_mov_b32_e32 v4, 0
	s_and_saveexec_b64 s[28:29], s[26:27]
.LBB158_984:
	v_mov_b32_e32 v4, v2
.LBB158_985:
	s_or_b64 exec, exec, s[28:29]
.LBB158_986:
	s_or_b64 exec, exec, s[24:25]
	s_mov_b64 s[24:25], 0
	global_store_byte v[0:1], v4, off
.LBB158_987:
	s_and_b64 vcc, exec, s[24:25]
	s_cbranch_vccz .LBB158_997
; %bb.988:
	v_cndmask_b32_e64 v2, 0, 1.0, s[18:19]
	s_mov_b32 s24, 0x43f00000
	v_cmp_gt_u32_e32 vcc, s24, v2
                                        ; implicit-def: $vgpr3
	s_and_saveexec_b64 s[24:25], vcc
	s_xor_b64 s[24:25], exec, s[24:25]
	s_cbranch_execz .LBB158_994
; %bb.989:
	s_mov_b32 s26, 0x3c7fffff
	v_cmp_lt_u32_e32 vcc, s26, v2
                                        ; implicit-def: $vgpr3
	s_and_saveexec_b64 s[26:27], vcc
	s_xor_b64 s[26:27], exec, s[26:27]
	s_cbranch_execz .LBB158_991
; %bb.990:
	s_waitcnt vmcnt(0)
	v_bfe_u32 v3, v2, 20, 1
	s_mov_b32 s28, 0x407ffff
	v_add3_u32 v2, v2, v3, s28
	v_lshrrev_b32_e32 v3, 20, v2
	v_and_b32_e32 v2, 0xff00000, v2
	s_mov_b32 s28, 0x7f00000
	v_mov_b32_e32 v4, 0x7e
	v_cmp_ne_u32_e32 vcc, s28, v2
	v_cndmask_b32_e32 v3, v4, v3, vcc
                                        ; implicit-def: $vgpr2
.LBB158_991:
	s_andn2_saveexec_b64 s[26:27], s[26:27]
	s_cbranch_execz .LBB158_993
; %bb.992:
	s_waitcnt vmcnt(0)
	v_add_f32_e32 v3, 0x46800000, v2
.LBB158_993:
	s_or_b64 exec, exec, s[26:27]
                                        ; implicit-def: $vgpr2
.LBB158_994:
	s_andn2_saveexec_b64 s[24:25], s[24:25]
	s_cbranch_execz .LBB158_996
; %bb.995:
	s_mov_b32 s26, 0x7f800000
	s_waitcnt vmcnt(0)
	v_mov_b32_e32 v3, 0x7e
	v_mov_b32_e32 v4, 0x7f
	v_cmp_lt_u32_e32 vcc, s26, v2
	v_cndmask_b32_e32 v3, v3, v4, vcc
.LBB158_996:
	s_or_b64 exec, exec, s[24:25]
	s_waitcnt vmcnt(0)
	global_store_byte v[0:1], v3, off
.LBB158_997:
	s_mov_b64 s[24:25], 0
.LBB158_998:
	s_andn2_b64 vcc, exec, s[24:25]
	s_cbranch_vccnz .LBB158_1008
; %bb.999:
	v_cndmask_b32_e64 v2, 0, 1.0, s[18:19]
	s_mov_b32 s24, 0x47800000
	v_cmp_gt_u32_e32 vcc, s24, v2
                                        ; implicit-def: $vgpr3
	s_and_saveexec_b64 s[24:25], vcc
	s_xor_b64 s[24:25], exec, s[24:25]
	s_cbranch_execz .LBB158_1005
; %bb.1000:
	s_mov_b32 s26, 0x387fffff
	v_cmp_lt_u32_e32 vcc, s26, v2
                                        ; implicit-def: $vgpr3
	s_and_saveexec_b64 s[26:27], vcc
	s_xor_b64 s[26:27], exec, s[26:27]
	s_cbranch_execz .LBB158_1002
; %bb.1001:
	s_waitcnt vmcnt(0)
	v_bfe_u32 v3, v2, 21, 1
	s_mov_b32 s28, 0x80fffff
	v_add3_u32 v2, v2, v3, s28
	v_lshrrev_b32_e32 v3, 21, v2
                                        ; implicit-def: $vgpr2
.LBB158_1002:
	s_andn2_saveexec_b64 s[26:27], s[26:27]
	s_cbranch_execz .LBB158_1004
; %bb.1003:
	s_waitcnt vmcnt(0)
	v_add_f32_e32 v3, 0x43000000, v2
.LBB158_1004:
	s_or_b64 exec, exec, s[26:27]
                                        ; implicit-def: $vgpr2
.LBB158_1005:
	s_andn2_saveexec_b64 s[24:25], s[24:25]
	s_cbranch_execz .LBB158_1007
; %bb.1006:
	s_mov_b32 s26, 0x7f800000
	s_waitcnt vmcnt(0)
	v_mov_b32_e32 v3, 0x7c
	v_mov_b32_e32 v4, 0x7f
	v_cmp_lt_u32_e32 vcc, s26, v2
	v_cndmask_b32_e32 v3, v3, v4, vcc
.LBB158_1007:
	s_or_b64 exec, exec, s[24:25]
	s_waitcnt vmcnt(0)
	global_store_byte v[0:1], v3, off
.LBB158_1008:
	s_mov_b64 s[24:25], 0
.LBB158_1009:
	s_andn2_b64 vcc, exec, s[24:25]
	s_mov_b64 s[26:27], 0
	s_cbranch_vccnz .LBB158_1022
; %bb.1010:
	s_cmp_gt_i32 s31, 14
	s_mov_b64 s[24:25], -1
	s_cbranch_scc0 .LBB158_1014
; %bb.1011:
	s_cmp_eq_u32 s31, 15
	s_mov_b64 s[0:1], -1
	s_cbranch_scc0 .LBB158_1013
; %bb.1012:
	v_cndmask_b32_e64 v2, 0, 1.0, s[18:19]
	s_waitcnt vmcnt(0)
	v_bfe_u32 v3, v2, 16, 1
	s_movk_i32 s0, 0x7fff
	v_add3_u32 v2, v2, v3, s0
	global_store_short_d16_hi v[0:1], v2, off
	s_mov_b64 s[0:1], 0
.LBB158_1013:
	s_mov_b64 s[24:25], 0
.LBB158_1014:
	s_and_b64 vcc, exec, s[24:25]
	s_cbranch_vccz .LBB158_1022
; %bb.1015:
	s_cmp_lg_u32 s31, 11
	s_cselect_b64 s[24:25], -1, 0
	s_andn2_b64 s[0:1], s[0:1], exec
	s_and_b64 s[24:25], s[24:25], exec
	s_mov_b64 s[26:27], -1
	s_or_b64 s[0:1], s[0:1], s[24:25]
	s_branch .LBB158_1022
.LBB158_1016:
	s_or_b64 exec, exec, s[22:23]
	s_and_saveexec_b64 s[0:1], s[16:17]
	s_cbranch_execnz .LBB158_1023
.LBB158_1017:
	s_or_b64 exec, exec, s[0:1]
	s_and_saveexec_b64 s[0:1], s[26:27]
	s_xor_b64 s[0:1], exec, s[0:1]
	s_cbranch_execz .LBB158_1024
.LBB158_1018:
	v_cndmask_b32_e64 v2, 0, 1, s[18:19]
	global_store_byte v[0:1], v2, off
	s_or_b64 exec, exec, s[0:1]
	s_and_saveexec_b64 s[0:1], s[24:25]
	s_xor_b64 s[0:1], exec, s[0:1]
	s_cbranch_execz .LBB158_1062
	s_branch .LBB158_1025
.LBB158_1019:
	s_mov_b64 s[6:7], -1
	s_mov_b64 s[0:1], s[16:17]
	s_branch .LBB158_1022
.LBB158_1020:
                                        ; implicit-def: $sgpr18_sgpr19
	s_branch .LBB158_941
.LBB158_1021:
	s_mov_b64 s[26:27], 0
.LBB158_1022:
	s_and_b64 s[24:25], s[6:7], exec
	s_andn2_b64 s[6:7], s[16:17], exec
	s_and_b64 s[0:1], s[0:1], exec
	s_and_b64 s[26:27], s[26:27], exec
	s_or_b64 s[16:17], s[6:7], s[0:1]
	s_or_b64 exec, exec, s[22:23]
	s_and_saveexec_b64 s[0:1], s[16:17]
	s_cbranch_execz .LBB158_1017
.LBB158_1023:
	s_or_b64 s[20:21], s[20:21], exec
	s_andn2_b64 s[26:27], s[26:27], exec
	s_trap 2
	s_or_b64 exec, exec, s[0:1]
	s_and_saveexec_b64 s[0:1], s[26:27]
	s_xor_b64 s[0:1], exec, s[0:1]
	s_cbranch_execnz .LBB158_1018
.LBB158_1024:
	s_or_b64 exec, exec, s[0:1]
	s_and_saveexec_b64 s[0:1], s[24:25]
	s_xor_b64 s[0:1], exec, s[0:1]
	s_cbranch_execz .LBB158_1062
.LBB158_1025:
	s_sext_i32_i16 s16, s30
	s_cmp_lt_i32 s16, 5
	s_mov_b64 s[6:7], -1
	s_cbranch_scc1 .LBB158_1046
; %bb.1026:
	s_cmp_lt_i32 s16, 8
	s_cbranch_scc1 .LBB158_1036
; %bb.1027:
	s_cmp_lt_i32 s16, 9
	s_cbranch_scc1 .LBB158_1033
; %bb.1028:
	s_cmp_gt_i32 s16, 9
	s_cbranch_scc0 .LBB158_1030
; %bb.1029:
	v_cndmask_b32_e64 v2, 0, 1, s[18:19]
	s_waitcnt vmcnt(0)
	v_cvt_f64_u32_e32 v[2:3], v2
	v_mov_b32_e32 v4, 0
	v_mov_b32_e32 v5, v4
	s_mov_b64 s[6:7], 0
	global_store_dwordx4 v[0:1], v[2:5], off
.LBB158_1030:
	s_andn2_b64 vcc, exec, s[6:7]
	s_cbranch_vccnz .LBB158_1032
; %bb.1031:
	v_cndmask_b32_e64 v2, 0, 1.0, s[18:19]
	s_waitcnt vmcnt(0)
	v_mov_b32_e32 v3, 0
	global_store_dwordx2 v[0:1], v[2:3], off
.LBB158_1032:
	s_mov_b64 s[6:7], 0
.LBB158_1033:
	s_andn2_b64 vcc, exec, s[6:7]
	s_cbranch_vccnz .LBB158_1035
; %bb.1034:
	v_cndmask_b32_e64 v2, 0, 1.0, s[18:19]
	v_cvt_f16_f32_e32 v2, v2
	global_store_dword v[0:1], v2, off
.LBB158_1035:
	s_mov_b64 s[6:7], 0
.LBB158_1036:
	s_andn2_b64 vcc, exec, s[6:7]
	s_cbranch_vccnz .LBB158_1045
; %bb.1037:
	s_sext_i32_i16 s16, s30
	s_cmp_lt_i32 s16, 6
	s_mov_b64 s[6:7], -1
	s_cbranch_scc1 .LBB158_1043
; %bb.1038:
	s_cmp_gt_i32 s16, 6
	s_cbranch_scc0 .LBB158_1040
; %bb.1039:
	v_cndmask_b32_e64 v2, 0, 1, s[18:19]
	s_waitcnt vmcnt(0)
	v_cvt_f64_u32_e32 v[2:3], v2
	s_mov_b64 s[6:7], 0
	global_store_dwordx2 v[0:1], v[2:3], off
.LBB158_1040:
	s_andn2_b64 vcc, exec, s[6:7]
	s_cbranch_vccnz .LBB158_1042
; %bb.1041:
	v_cndmask_b32_e64 v2, 0, 1.0, s[18:19]
	global_store_dword v[0:1], v2, off
.LBB158_1042:
	s_mov_b64 s[6:7], 0
.LBB158_1043:
	s_andn2_b64 vcc, exec, s[6:7]
	s_cbranch_vccnz .LBB158_1045
; %bb.1044:
	v_cndmask_b32_e64 v2, 0, 1.0, s[18:19]
	v_cvt_f16_f32_e32 v2, v2
	global_store_short v[0:1], v2, off
.LBB158_1045:
	s_mov_b64 s[6:7], 0
.LBB158_1046:
	s_andn2_b64 vcc, exec, s[6:7]
	s_cbranch_vccnz .LBB158_1062
; %bb.1047:
	s_sext_i32_i16 s16, s30
	s_cmp_lt_i32 s16, 2
	s_mov_b64 s[6:7], -1
	s_cbranch_scc1 .LBB158_1057
; %bb.1048:
	s_cmp_lt_i32 s16, 3
	s_cbranch_scc1 .LBB158_1054
; %bb.1049:
	s_cmp_gt_i32 s16, 3
	s_cbranch_scc0 .LBB158_1051
; %bb.1050:
	s_mov_b32 s6, 0
	v_cndmask_b32_e64 v2, 0, 1, s[18:19]
	s_waitcnt vmcnt(0)
	v_mov_b32_e32 v3, s6
	s_mov_b64 s[6:7], 0
	global_store_dwordx2 v[0:1], v[2:3], off
.LBB158_1051:
	s_andn2_b64 vcc, exec, s[6:7]
	s_cbranch_vccnz .LBB158_1053
; %bb.1052:
	v_cndmask_b32_e64 v2, 0, 1, s[18:19]
	global_store_dword v[0:1], v2, off
.LBB158_1053:
	s_mov_b64 s[6:7], 0
.LBB158_1054:
	s_andn2_b64 vcc, exec, s[6:7]
	s_cbranch_vccnz .LBB158_1056
; %bb.1055:
	v_cndmask_b32_e64 v2, 0, 1, s[18:19]
	global_store_short v[0:1], v2, off
.LBB158_1056:
	s_mov_b64 s[6:7], 0
.LBB158_1057:
	s_andn2_b64 vcc, exec, s[6:7]
	s_cbranch_vccnz .LBB158_1062
; %bb.1058:
	s_sext_i32_i16 s16, s30
	s_mov_b64 s[6:7], -1
	s_cmp_gt_i32 s16, 0
	v_cndmask_b32_e64 v2, 0, 1, s[18:19]
	s_cbranch_scc0 .LBB158_1060
; %bb.1059:
	s_mov_b64 s[6:7], 0
	global_store_byte v[0:1], v2, off
.LBB158_1060:
	s_andn2_b64 vcc, exec, s[6:7]
	s_cbranch_vccnz .LBB158_1062
; %bb.1061:
	global_store_byte v[0:1], v2, off
.LBB158_1062:
	s_or_b64 exec, exec, s[0:1]
	s_and_b64 s[6:7], s[20:21], exec
                                        ; implicit-def: $vgpr2
.LBB158_1063:
	s_or_saveexec_b64 s[4:5], s[4:5]
	s_mov_b64 s[0:1], 0
                                        ; implicit-def: $sgpr22_sgpr23
                                        ; implicit-def: $sgpr28
                                        ; implicit-def: $vgpr0_vgpr1
	s_xor_b64 exec, exec, s[4:5]
	s_cbranch_execz .LBB158_1613
; %bb.1064:
	s_waitcnt vmcnt(0)
	v_mul_lo_u32 v3, s13, v2
	v_mov_b32_e32 v1, s11
	s_and_b32 s30, 0xffff, s46
	s_cmp_lt_i32 s30, 11
	v_ashrrev_i32_e32 v4, 31, v3
	v_add_co_u32_e32 v0, vcc, s10, v3
	v_addc_co_u32_e32 v1, vcc, v1, v4, vcc
	s_cbranch_scc1 .LBB158_1071
; %bb.1065:
	s_cmp_gt_i32 s30, 25
	s_cbranch_scc0 .LBB158_1073
; %bb.1066:
	s_cmp_gt_i32 s30, 28
	s_cbranch_scc0 .LBB158_1074
	;; [unrolled: 3-line block ×4, first 2 shown]
; %bb.1069:
	s_cmp_eq_u32 s30, 46
	s_mov_b64 s[16:17], 0
	s_cbranch_scc0 .LBB158_1079
; %bb.1070:
	global_load_dword v4, v[0:1], off
	s_mov_b64 s[18:19], -1
	s_waitcnt vmcnt(0)
	v_and_b32_e32 v5, 0xffff0000, v4
	v_lshlrev_b32_e32 v4, 16, v4
	v_cvt_f16_f32_e32 v4, v4
	v_cvt_f16_f32_e32 v5, v5
	s_branch .LBB158_1080
.LBB158_1071:
	s_mov_b64 s[18:19], 0
                                        ; implicit-def: $vgpr5
                                        ; implicit-def: $vgpr4
	s_mov_b64 s[16:17], s[6:7]
	s_cbranch_execnz .LBB158_1146
.LBB158_1072:
	s_andn2_b64 vcc, exec, s[18:19]
	s_cbranch_vccz .LBB158_1193
	s_branch .LBB158_1610
.LBB158_1073:
	s_mov_b64 s[18:19], 0
                                        ; implicit-def: $vgpr5
                                        ; implicit-def: $vgpr4
	s_cbranch_execnz .LBB158_1110
	s_branch .LBB158_1142
.LBB158_1074:
	s_mov_b64 s[18:19], 0
                                        ; implicit-def: $vgpr5
                                        ; implicit-def: $vgpr4
	s_cbranch_execnz .LBB158_1092
	s_branch .LBB158_1109
.LBB158_1075:
	s_mov_b64 s[16:17], -1
	s_mov_b64 s[18:19], 0
                                        ; implicit-def: $vgpr5
                                        ; implicit-def: $vgpr4
	s_branch .LBB158_1086
.LBB158_1076:
	s_mov_b64 s[16:17], -1
	s_mov_b64 s[18:19], 0
                                        ; implicit-def: $vgpr5
                                        ; implicit-def: $vgpr4
	s_branch .LBB158_1080
.LBB158_1077:
	s_andn2_saveexec_b64 s[26:27], s[26:27]
	s_cbranch_execz .LBB158_971
.LBB158_1078:
	v_add_f32_e32 v2, 0x46000000, v3
	v_and_b32_e32 v2, 0xff, v2
	v_cmp_ne_u32_e32 vcc, 0, v2
	s_andn2_b64 s[24:25], s[24:25], exec
	s_and_b64 s[28:29], vcc, exec
	s_or_b64 s[24:25], s[24:25], s[28:29]
	s_or_b64 exec, exec, s[26:27]
	v_mov_b32_e32 v4, 0
	s_and_saveexec_b64 s[26:27], s[24:25]
	s_cbranch_execnz .LBB158_972
	s_branch .LBB158_973
.LBB158_1079:
	s_mov_b64 s[0:1], -1
                                        ; implicit-def: $vgpr5
                                        ; implicit-def: $vgpr4
	s_mov_b64 s[18:19], 0
.LBB158_1080:
	s_and_b64 vcc, exec, s[16:17]
	s_cbranch_vccz .LBB158_1085
; %bb.1081:
	s_cmp_eq_u32 s30, 44
	s_cbranch_scc0 .LBB158_1083
; %bb.1082:
	global_load_ubyte v4, v[0:1], off
	s_movk_i32 s16, 0xff
	v_mov_b32_e32 v6, 0x7e00
	s_mov_b64 s[0:1], 0
	s_mov_b64 s[18:19], -1
	s_waitcnt vmcnt(0)
	v_lshlrev_b32_e32 v5, 23, v4
	v_cvt_f16_f32_e32 v5, v5
	v_cmp_ne_u32_e32 vcc, s16, v4
	v_cndmask_b32_e32 v5, v6, v5, vcc
	v_cmp_ne_u32_e32 vcc, 0, v4
	v_cndmask_b32_e32 v4, 0, v5, vcc
	s_branch .LBB158_1084
.LBB158_1083:
	s_mov_b64 s[0:1], -1
                                        ; implicit-def: $vgpr4
.LBB158_1084:
	v_mov_b32_e32 v5, 0
.LBB158_1085:
	s_mov_b64 s[16:17], 0
.LBB158_1086:
	s_and_b64 vcc, exec, s[16:17]
	s_cbranch_vccz .LBB158_1091
; %bb.1087:
	s_cmp_eq_u32 s30, 29
	s_cbranch_scc0 .LBB158_1089
; %bb.1088:
	global_load_dwordx2 v[4:5], v[0:1], off
	s_mov_b64 s[0:1], 0
	s_mov_b64 s[18:19], -1
	s_waitcnt vmcnt(0)
	v_ffbh_u32_e32 v6, v5
	v_min_u32_e32 v6, 32, v6
	v_lshlrev_b64 v[4:5], v6, v[4:5]
	v_min_u32_e32 v4, 1, v4
	v_or_b32_e32 v4, v5, v4
	v_cvt_f32_u32_e32 v4, v4
	v_sub_u32_e32 v5, 32, v6
	v_ldexp_f32 v4, v4, v5
	v_cvt_f16_f32_e32 v4, v4
	s_branch .LBB158_1090
.LBB158_1089:
	s_mov_b64 s[0:1], -1
                                        ; implicit-def: $vgpr4
.LBB158_1090:
	v_mov_b32_e32 v5, 0
.LBB158_1091:
	s_branch .LBB158_1109
.LBB158_1092:
	s_cmp_lt_i32 s30, 27
	s_cbranch_scc1 .LBB158_1095
; %bb.1093:
	s_cmp_gt_i32 s30, 27
	s_cbranch_scc0 .LBB158_1096
; %bb.1094:
	global_load_dword v4, v[0:1], off
	s_mov_b64 s[16:17], 0
	s_waitcnt vmcnt(0)
	v_cvt_f32_u32_e32 v4, v4
	v_cvt_f16_f32_e32 v4, v4
	s_branch .LBB158_1097
.LBB158_1095:
	s_mov_b64 s[16:17], -1
                                        ; implicit-def: $vgpr4
	s_branch .LBB158_1100
.LBB158_1096:
	s_mov_b64 s[16:17], -1
                                        ; implicit-def: $vgpr4
.LBB158_1097:
	s_andn2_b64 vcc, exec, s[16:17]
	s_cbranch_vccnz .LBB158_1099
; %bb.1098:
	global_load_ushort v4, v[0:1], off
	s_waitcnt vmcnt(0)
	v_cvt_f16_u16_e32 v4, v4
.LBB158_1099:
	s_mov_b64 s[16:17], 0
.LBB158_1100:
	s_andn2_b64 vcc, exec, s[16:17]
	s_cbranch_vccnz .LBB158_1108
; %bb.1101:
	global_load_ubyte v5, v[0:1], off
	s_movk_i32 s16, 0x7f
	s_waitcnt vmcnt(0)
	v_cmp_lt_i16_e32 vcc, s16, v5
	s_mov_b64 s[16:17], 0
	s_and_saveexec_b64 s[18:19], vcc
	s_xor_b64 s[18:19], exec, s[18:19]
	s_cbranch_execz .LBB158_1121
; %bb.1102:
	s_movk_i32 s16, 0x80
	v_cmp_eq_u16_e32 vcc, s16, v5
	s_mov_b64 s[16:17], -1
	s_and_saveexec_b64 s[20:21], vcc
; %bb.1103:
	s_xor_b64 s[16:17], exec, -1
; %bb.1104:
	s_or_b64 exec, exec, s[20:21]
	s_and_b64 s[16:17], s[16:17], exec
	s_or_saveexec_b64 s[18:19], s[18:19]
	v_mov_b32_e32 v4, 0x7e00
	s_xor_b64 exec, exec, s[18:19]
	s_cbranch_execnz .LBB158_1122
.LBB158_1105:
	s_or_b64 exec, exec, s[18:19]
	s_and_saveexec_b64 s[18:19], s[16:17]
	s_cbranch_execz .LBB158_1107
.LBB158_1106:
	v_lshlrev_b32_e32 v4, 24, v5
	v_and_b32_e32 v5, 0xffff, v5
	v_and_b32_e32 v6, 7, v5
	v_ffbh_u32_e32 v8, v6
	v_min_u32_e32 v8, 32, v8
	v_subrev_u32_e32 v9, 28, v8
	v_bfe_u32 v7, v5, 3, 4
	v_lshlrev_b32_e32 v5, v9, v5
	v_sub_u32_e32 v8, 29, v8
	v_and_b32_e32 v5, 7, v5
	v_cmp_eq_u32_e32 vcc, 0, v7
	v_cndmask_b32_e32 v7, v7, v8, vcc
	v_cndmask_b32_e32 v5, v6, v5, vcc
	v_mov_b32_e32 v6, 0x3b800000
	v_lshlrev_b32_e32 v5, 20, v5
	v_and_b32_e32 v4, 0x80000000, v4
	v_lshl_add_u32 v6, v7, 23, v6
	v_or3_b32 v4, v4, v6, v5
	v_cvt_f16_f32_e32 v4, v4
.LBB158_1107:
	s_or_b64 exec, exec, s[18:19]
.LBB158_1108:
	s_mov_b64 s[18:19], -1
	v_mov_b32_e32 v5, 0
.LBB158_1109:
	s_branch .LBB158_1142
.LBB158_1110:
	s_cmp_gt_i32 s30, 22
	s_cbranch_scc0 .LBB158_1120
; %bb.1111:
	s_cmp_lt_i32 s30, 24
	s_cbranch_scc1 .LBB158_1123
; %bb.1112:
	s_cmp_gt_i32 s30, 24
	s_cbranch_scc0 .LBB158_1124
; %bb.1113:
	global_load_ubyte v5, v[0:1], off
	s_movk_i32 s2, 0x7f
	s_waitcnt vmcnt(0)
	v_cmp_lt_i16_e32 vcc, s2, v5
	s_mov_b64 s[2:3], 0
	s_and_saveexec_b64 s[16:17], vcc
	s_xor_b64 s[16:17], exec, s[16:17]
	s_cbranch_execz .LBB158_1135
; %bb.1114:
	s_movk_i32 s2, 0x80
	v_cmp_eq_u16_e32 vcc, s2, v5
	s_mov_b64 s[2:3], -1
	s_and_saveexec_b64 s[18:19], vcc
; %bb.1115:
	s_xor_b64 s[2:3], exec, -1
; %bb.1116:
	s_or_b64 exec, exec, s[18:19]
	s_and_b64 s[2:3], s[2:3], exec
	s_or_saveexec_b64 s[16:17], s[16:17]
	v_mov_b32_e32 v4, 0x7e00
	s_xor_b64 exec, exec, s[16:17]
	s_cbranch_execnz .LBB158_1136
.LBB158_1117:
	s_or_b64 exec, exec, s[16:17]
	s_and_saveexec_b64 s[16:17], s[2:3]
	s_cbranch_execz .LBB158_1119
.LBB158_1118:
	v_lshlrev_b32_e32 v4, 24, v5
	v_and_b32_e32 v5, 0xffff, v5
	v_and_b32_e32 v6, 3, v5
	v_ffbh_u32_e32 v8, v6
	v_min_u32_e32 v8, 32, v8
	v_subrev_u32_e32 v9, 29, v8
	v_bfe_u32 v7, v5, 2, 5
	v_lshlrev_b32_e32 v5, v9, v5
	v_sub_u32_e32 v8, 30, v8
	v_and_b32_e32 v5, 3, v5
	v_cmp_eq_u32_e32 vcc, 0, v7
	v_cndmask_b32_e32 v7, v7, v8, vcc
	v_cndmask_b32_e32 v5, v6, v5, vcc
	v_mov_b32_e32 v6, 0x37800000
	v_lshlrev_b32_e32 v5, 21, v5
	v_and_b32_e32 v4, 0x80000000, v4
	v_lshl_add_u32 v6, v7, 23, v6
	v_or3_b32 v4, v4, v6, v5
	v_cvt_f16_f32_e32 v4, v4
.LBB158_1119:
	s_or_b64 exec, exec, s[16:17]
	s_mov_b64 s[2:3], 0
	s_branch .LBB158_1125
.LBB158_1120:
                                        ; implicit-def: $vgpr4
	s_mov_b64 s[2:3], 0
	s_branch .LBB158_1131
.LBB158_1121:
	s_or_saveexec_b64 s[18:19], s[18:19]
	v_mov_b32_e32 v4, 0x7e00
	s_xor_b64 exec, exec, s[18:19]
	s_cbranch_execz .LBB158_1105
.LBB158_1122:
	v_cmp_ne_u16_e32 vcc, 0, v5
	s_andn2_b64 s[16:17], s[16:17], exec
	s_and_b64 s[20:21], vcc, exec
	s_or_b64 s[16:17], s[16:17], s[20:21]
	v_mov_b32_e32 v4, v5
	s_or_b64 exec, exec, s[18:19]
	s_and_saveexec_b64 s[18:19], s[16:17]
	s_cbranch_execnz .LBB158_1106
	s_branch .LBB158_1107
.LBB158_1123:
	s_mov_b64 s[2:3], -1
                                        ; implicit-def: $vgpr4
	s_branch .LBB158_1128
.LBB158_1124:
	s_mov_b64 s[2:3], -1
                                        ; implicit-def: $vgpr4
.LBB158_1125:
	s_and_b64 vcc, exec, s[2:3]
	s_cbranch_vccz .LBB158_1127
; %bb.1126:
	global_load_ubyte v4, v[0:1], off
	s_mov_b32 s2, 0x7f800000
	s_waitcnt vmcnt(0)
	v_lshlrev_b32_e32 v4, 24, v4
	v_and_b32_e32 v5, 0x7f000000, v4
	v_ffbh_u32_e32 v6, v5
	v_min_u32_e32 v6, 32, v6
	v_sub_u32_e64 v6, v6, 4 clamp
	v_lshlrev_b32_e32 v8, v6, v5
	v_lshlrev_b32_e32 v6, 23, v6
	v_lshrrev_b32_e32 v8, 4, v8
	v_add_u32_e32 v7, 0x1000000, v5
	v_sub_u32_e32 v6, v8, v6
	v_ashrrev_i32_e32 v7, 8, v7
	v_add_u32_e32 v6, 0x3c000000, v6
	v_and_or_b32 v6, v7, s2, v6
	v_cmp_ne_u32_e32 vcc, 0, v5
	v_cndmask_b32_e32 v5, 0, v6, vcc
	s_brev_b32 s2, 1
	v_and_or_b32 v4, v4, s2, v5
	v_cvt_f16_f32_e32 v4, v4
.LBB158_1127:
	s_mov_b64 s[2:3], 0
.LBB158_1128:
	s_andn2_b64 vcc, exec, s[2:3]
	s_cbranch_vccnz .LBB158_1130
; %bb.1129:
	global_load_ubyte v4, v[0:1], off
	s_movk_i32 s2, 0x7f00
	s_brev_b32 s3, 16
	s_waitcnt vmcnt(0)
	v_lshlrev_b16_e32 v5, 8, v4
	v_lshlrev_b32_e32 v4, 25, v4
	v_lshrrev_b32_e32 v6, 4, v4
	v_and_or_b32 v7, v5, s2, 0.5
	v_or_b32_e32 v6, 0x70000000, v6
	v_add_f32_e32 v7, -0.5, v7
	v_mul_f32_e32 v6, 0x7800000, v6
	v_cmp_gt_u32_e32 vcc, s3, v4
	v_bfe_i32 v5, v5, 0, 16
	v_cndmask_b32_e32 v4, v6, v7, vcc
	s_brev_b32 s2, 1
	v_and_or_b32 v4, v5, s2, v4
	v_cvt_f16_f32_e32 v4, v4
.LBB158_1130:
	s_mov_b64 s[18:19], -1
	s_mov_b64 s[2:3], 0
	s_cbranch_execnz .LBB158_1141
.LBB158_1131:
	s_cmp_gt_i32 s30, 14
	s_cbranch_scc0 .LBB158_1134
; %bb.1132:
	s_cmp_eq_u32 s30, 15
	s_cbranch_scc0 .LBB158_1137
; %bb.1133:
	global_load_ushort v4, v[0:1], off
	s_mov_b64 s[0:1], 0
	s_mov_b64 s[18:19], -1
	s_waitcnt vmcnt(0)
	v_lshlrev_b32_e32 v4, 16, v4
	v_cvt_f16_f32_e32 v4, v4
	s_branch .LBB158_1138
.LBB158_1134:
	s_mov_b64 s[16:17], -1
                                        ; implicit-def: $vgpr4
	s_branch .LBB158_1139
.LBB158_1135:
	s_or_saveexec_b64 s[16:17], s[16:17]
	v_mov_b32_e32 v4, 0x7e00
	s_xor_b64 exec, exec, s[16:17]
	s_cbranch_execz .LBB158_1117
.LBB158_1136:
	v_cmp_ne_u16_e32 vcc, 0, v5
	s_andn2_b64 s[2:3], s[2:3], exec
	s_and_b64 s[18:19], vcc, exec
	s_or_b64 s[2:3], s[2:3], s[18:19]
	v_mov_b32_e32 v4, v5
	s_or_b64 exec, exec, s[16:17]
	s_and_saveexec_b64 s[16:17], s[2:3]
	s_cbranch_execnz .LBB158_1118
	s_branch .LBB158_1119
.LBB158_1137:
	s_mov_b64 s[0:1], -1
                                        ; implicit-def: $vgpr4
.LBB158_1138:
	s_mov_b64 s[16:17], 0
.LBB158_1139:
	s_and_b64 vcc, exec, s[16:17]
	s_cbranch_vccz .LBB158_1141
; %bb.1140:
	s_cmp_lg_u32 s30, 11
	s_mov_b64 s[2:3], -1
	s_cselect_b64 s[0:1], -1, 0
.LBB158_1141:
	v_mov_b32_e32 v5, 0
.LBB158_1142:
	s_and_b64 vcc, exec, s[0:1]
	s_mov_b64 s[16:17], s[6:7]
	s_cbranch_vccnz .LBB158_1209
; %bb.1143:
	s_andn2_b64 vcc, exec, s[2:3]
	s_cbranch_vccnz .LBB158_1145
.LBB158_1144:
	global_load_ubyte v4, v[0:1], off
	v_mov_b32_e32 v6, 0x3c00
	v_mov_b32_e32 v5, 0
	s_mov_b64 s[18:19], -1
	s_waitcnt vmcnt(0)
	v_cmp_ne_u16_e32 vcc, 0, v4
	v_cndmask_b32_e32 v4, 0, v6, vcc
.LBB158_1145:
	s_branch .LBB158_1072
.LBB158_1146:
	s_cmp_lt_i32 s30, 5
	s_cbranch_scc1 .LBB158_1151
; %bb.1147:
	s_cmp_lt_i32 s30, 8
	s_cbranch_scc1 .LBB158_1153
; %bb.1148:
	;; [unrolled: 3-line block ×3, first 2 shown]
	s_cmp_gt_i32 s30, 9
	s_cbranch_scc0 .LBB158_1155
; %bb.1150:
	global_load_dwordx4 v[4:7], v[0:1], off
	s_movk_i32 s0, 0x1ff
	s_movk_i32 s1, 0xffe
	v_mov_b32_e32 v8, 0x7c00
	v_mov_b32_e32 v9, 0x7e00
	s_movk_i32 s2, 0x40f
	s_mov_b32 s3, 0x8000
	s_waitcnt vmcnt(0)
	v_and_or_b32 v4, v5, s0, v4
	v_and_or_b32 v6, v7, s0, v6
	v_cmp_ne_u32_e32 vcc, 0, v4
	v_lshrrev_b32_e32 v10, 8, v5
	v_cndmask_b32_e64 v4, 0, 1, vcc
	v_cmp_ne_u32_e32 vcc, 0, v6
	v_bfe_u32 v11, v5, 20, 11
	v_lshrrev_b32_e32 v12, 8, v7
	v_bfe_u32 v13, v7, 20, 11
	v_cndmask_b32_e64 v6, 0, 1, vcc
	v_and_or_b32 v4, v10, s1, v4
	v_sub_u32_e32 v14, 0x3f1, v11
	v_add_u32_e32 v11, 0xfffffc10, v11
	v_sub_u32_e32 v15, 0x3f1, v13
	v_and_or_b32 v6, v12, s1, v6
	v_cmp_ne_u32_e32 vcc, 0, v4
	v_add_u32_e32 v13, 0xfffffc10, v13
	v_med3_i32 v10, v14, 0, 13
	v_med3_i32 v12, v15, 0, 13
	v_or_b32_e32 v14, 0x1000, v4
	v_lshl_or_b32 v15, v11, 12, v4
	v_cndmask_b32_e32 v4, v8, v9, vcc
	v_cmp_ne_u32_e32 vcc, 0, v6
	v_or_b32_e32 v16, 0x1000, v6
	v_lshl_or_b32 v17, v13, 12, v6
	v_cndmask_b32_e32 v6, v8, v9, vcc
	v_lshrrev_b32_e32 v9, v10, v14
	v_lshrrev_b32_e32 v18, v12, v16
	v_lshlrev_b32_e32 v10, v10, v9
	v_lshlrev_b32_e32 v12, v12, v18
	v_cmp_ne_u32_e32 vcc, v10, v14
	v_cndmask_b32_e64 v10, 0, 1, vcc
	v_cmp_ne_u32_e32 vcc, v12, v16
	v_cndmask_b32_e64 v12, 0, 1, vcc
	v_or_b32_e32 v9, v9, v10
	v_cmp_gt_i32_e32 vcc, 1, v11
	v_cndmask_b32_e32 v9, v15, v9, vcc
	v_or_b32_e32 v10, v18, v12
	v_cmp_gt_i32_e32 vcc, 1, v13
	v_and_b32_e32 v12, 7, v9
	v_cndmask_b32_e32 v10, v17, v10, vcc
	v_cmp_lt_i32_e32 vcc, 5, v12
	v_and_b32_e32 v14, 7, v10
	v_cndmask_b32_e64 v15, 0, 1, vcc
	v_cmp_eq_u32_e32 vcc, 3, v12
	v_cndmask_b32_e64 v12, 0, 1, vcc
	v_cmp_lt_i32_e32 vcc, 5, v14
	v_cndmask_b32_e64 v16, 0, 1, vcc
	v_cmp_eq_u32_e32 vcc, 3, v14
	v_lshrrev_b32_e32 v9, 2, v9
	v_cndmask_b32_e64 v14, 0, 1, vcc
	v_or_b32_e32 v12, v12, v15
	v_lshrrev_b32_e32 v10, 2, v10
	v_or_b32_e32 v14, v14, v16
	v_add_u32_e32 v9, v9, v12
	v_cmp_gt_i32_e32 vcc, 31, v11
	v_add_u32_e32 v10, v10, v14
	v_cndmask_b32_e32 v9, v8, v9, vcc
	v_cmp_gt_i32_e32 vcc, 31, v13
	v_cndmask_b32_e32 v8, v8, v10, vcc
	v_cmp_eq_u32_e32 vcc, s2, v11
	v_cndmask_b32_e32 v4, v9, v4, vcc
	v_cmp_eq_u32_e32 vcc, s2, v13
	v_lshrrev_b32_e32 v5, 16, v5
	v_lshrrev_b32_e32 v7, 16, v7
	v_cndmask_b32_e32 v6, v8, v6, vcc
	v_and_or_b32 v4, v5, s3, v4
	v_and_or_b32 v5, v7, s3, v6
	s_mov_b64 s[0:1], 0
	s_branch .LBB158_1156
.LBB158_1151:
                                        ; implicit-def: $vgpr5
                                        ; implicit-def: $vgpr4
	s_branch .LBB158_1174
.LBB158_1152:
	s_branch .LBB158_1193
.LBB158_1153:
                                        ; implicit-def: $vgpr5
                                        ; implicit-def: $vgpr4
	s_branch .LBB158_1162
.LBB158_1154:
	s_mov_b64 s[0:1], -1
                                        ; implicit-def: $vgpr5
                                        ; implicit-def: $vgpr4
	s_branch .LBB158_1159
.LBB158_1155:
	s_mov_b64 s[0:1], -1
                                        ; implicit-def: $vgpr5
                                        ; implicit-def: $vgpr4
.LBB158_1156:
	s_andn2_b64 vcc, exec, s[0:1]
	s_cbranch_vccnz .LBB158_1158
; %bb.1157:
	global_load_dwordx2 v[4:5], v[0:1], off
	s_waitcnt vmcnt(0)
	v_cvt_f16_f32_e32 v4, v4
	v_cvt_f16_f32_e32 v5, v5
.LBB158_1158:
	s_mov_b64 s[0:1], 0
.LBB158_1159:
	s_andn2_b64 vcc, exec, s[0:1]
	s_cbranch_vccnz .LBB158_1161
; %bb.1160:
	global_load_dword v4, v[0:1], off
	s_waitcnt vmcnt(0)
	v_lshrrev_b32_e32 v5, 16, v4
.LBB158_1161:
	s_cbranch_execnz .LBB158_1173
.LBB158_1162:
	s_cmp_lt_i32 s30, 6
	s_cbranch_scc1 .LBB158_1165
; %bb.1163:
	s_cmp_gt_i32 s30, 6
	s_cbranch_scc0 .LBB158_1166
; %bb.1164:
	global_load_dwordx2 v[4:5], v[0:1], off
	s_movk_i32 s0, 0x1ff
	s_movk_i32 s1, 0xffe
	v_mov_b32_e32 v6, 0x7c00
	v_mov_b32_e32 v7, 0x7e00
	s_movk_i32 s2, 0x40f
	s_mov_b32 s3, 0x8000
	s_waitcnt vmcnt(0)
	v_and_or_b32 v4, v5, s0, v4
	v_cmp_ne_u32_e32 vcc, 0, v4
	v_lshrrev_b32_e32 v8, 8, v5
	v_bfe_u32 v9, v5, 20, 11
	v_cndmask_b32_e64 v4, 0, 1, vcc
	v_sub_u32_e32 v10, 0x3f1, v9
	v_and_or_b32 v4, v8, s1, v4
	v_add_u32_e32 v9, 0xfffffc10, v9
	v_med3_i32 v8, v10, 0, 13
	v_or_b32_e32 v10, 0x1000, v4
	v_cmp_ne_u32_e32 vcc, 0, v4
	v_lshl_or_b32 v11, v9, 12, v4
	v_cndmask_b32_e32 v4, v6, v7, vcc
	v_lshrrev_b32_e32 v7, v8, v10
	v_lshlrev_b32_e32 v8, v8, v7
	v_cmp_ne_u32_e32 vcc, v8, v10
	v_cndmask_b32_e64 v8, 0, 1, vcc
	v_or_b32_e32 v7, v7, v8
	v_cmp_gt_i32_e32 vcc, 1, v9
	v_cndmask_b32_e32 v7, v11, v7, vcc
	v_and_b32_e32 v8, 7, v7
	v_cmp_lt_i32_e32 vcc, 5, v8
	v_cndmask_b32_e64 v10, 0, 1, vcc
	v_cmp_eq_u32_e32 vcc, 3, v8
	v_cndmask_b32_e64 v8, 0, 1, vcc
	v_lshrrev_b32_e32 v7, 2, v7
	v_or_b32_e32 v8, v8, v10
	v_add_u32_e32 v7, v7, v8
	v_cmp_gt_i32_e32 vcc, 31, v9
	v_cndmask_b32_e32 v6, v6, v7, vcc
	v_cmp_eq_u32_e32 vcc, s2, v9
	v_lshrrev_b32_e32 v5, 16, v5
	v_cndmask_b32_e32 v4, v6, v4, vcc
	v_and_or_b32 v4, v5, s3, v4
	s_mov_b64 s[0:1], 0
	s_branch .LBB158_1167
.LBB158_1165:
	s_mov_b64 s[0:1], -1
                                        ; implicit-def: $vgpr4
	s_branch .LBB158_1170
.LBB158_1166:
	s_mov_b64 s[0:1], -1
                                        ; implicit-def: $vgpr4
.LBB158_1167:
	s_andn2_b64 vcc, exec, s[0:1]
	s_cbranch_vccnz .LBB158_1169
; %bb.1168:
	global_load_dword v4, v[0:1], off
	s_waitcnt vmcnt(0)
	v_cvt_f16_f32_e32 v4, v4
.LBB158_1169:
	s_mov_b64 s[0:1], 0
.LBB158_1170:
	s_andn2_b64 vcc, exec, s[0:1]
	s_cbranch_vccnz .LBB158_1172
; %bb.1171:
	global_load_ushort v4, v[0:1], off
.LBB158_1172:
	v_mov_b32_e32 v5, 0
.LBB158_1173:
	s_cbranch_execnz .LBB158_1152
.LBB158_1174:
	s_cmp_lt_i32 s30, 2
	s_cbranch_scc1 .LBB158_1178
; %bb.1175:
	s_cmp_lt_i32 s30, 3
	s_cbranch_scc1 .LBB158_1179
; %bb.1176:
	s_cmp_gt_i32 s30, 3
	s_cbranch_scc0 .LBB158_1180
; %bb.1177:
	global_load_dwordx2 v[4:5], v[0:1], off
	s_mov_b64 s[0:1], 0
	s_waitcnt vmcnt(0)
	v_xor_b32_e32 v7, v4, v5
	v_ffbh_i32_e32 v6, v5
	v_ashrrev_i32_e32 v7, 31, v7
	v_add_u32_e32 v6, -1, v6
	v_add_u32_e32 v7, 32, v7
	v_min_u32_e32 v6, v6, v7
	v_lshlrev_b64 v[4:5], v6, v[4:5]
	v_min_u32_e32 v4, 1, v4
	v_or_b32_e32 v4, v5, v4
	v_cvt_f32_i32_e32 v4, v4
	v_sub_u32_e32 v5, 32, v6
	v_ldexp_f32 v4, v4, v5
	v_cvt_f16_f32_e32 v4, v4
	s_branch .LBB158_1181
.LBB158_1178:
                                        ; implicit-def: $vgpr4
	s_branch .LBB158_1187
.LBB158_1179:
	s_mov_b64 s[0:1], -1
                                        ; implicit-def: $vgpr4
	s_branch .LBB158_1184
.LBB158_1180:
	s_mov_b64 s[0:1], -1
                                        ; implicit-def: $vgpr4
.LBB158_1181:
	s_andn2_b64 vcc, exec, s[0:1]
	s_cbranch_vccnz .LBB158_1183
; %bb.1182:
	global_load_dword v4, v[0:1], off
	s_waitcnt vmcnt(0)
	v_cvt_f32_i32_e32 v4, v4
	v_cvt_f16_f32_e32 v4, v4
.LBB158_1183:
	s_mov_b64 s[0:1], 0
.LBB158_1184:
	s_andn2_b64 vcc, exec, s[0:1]
	s_cbranch_vccnz .LBB158_1186
; %bb.1185:
	global_load_ushort v4, v[0:1], off
	s_waitcnt vmcnt(0)
	v_cvt_f16_i16_e32 v4, v4
.LBB158_1186:
	s_cbranch_execnz .LBB158_1192
.LBB158_1187:
	s_cmp_gt_i32 s30, 0
	s_cbranch_scc0 .LBB158_1189
; %bb.1188:
	global_load_sbyte v4, v[0:1], off
	s_mov_b64 s[0:1], 0
	s_waitcnt vmcnt(0)
	v_cvt_f16_i16_e32 v4, v4
	s_branch .LBB158_1190
.LBB158_1189:
	s_mov_b64 s[0:1], -1
                                        ; implicit-def: $vgpr4
.LBB158_1190:
	s_andn2_b64 vcc, exec, s[0:1]
	s_cbranch_vccnz .LBB158_1192
; %bb.1191:
	global_load_ubyte v0, v[0:1], off
	s_waitcnt vmcnt(0)
	v_cvt_f16_u16_e32 v4, v0
.LBB158_1192:
	v_mov_b32_e32 v5, 0
.LBB158_1193:
	s_lshr_b32 s31, s15, 16
	s_cmp_lg_u32 s14, 0
	s_cselect_b64 s[22:23], -1, 0
	s_and_b64 vcc, exec, s[22:23]
	s_cbranch_vccz .LBB158_1205
; %bb.1194:
	s_waitcnt vmcnt(0)
	v_cmp_neq_f16_e32 vcc, s15, v4
	v_cmp_neq_f16_e64 s[0:1], s31, v5
	s_or_b64 s[2:3], vcc, s[0:1]
	s_cbranch_execnz .LBB158_1196
.LBB158_1195:
	s_waitcnt vmcnt(0)
	v_cmp_eq_f16_e32 vcc, s15, v4
	v_cmp_eq_f16_e64 s[0:1], s31, v5
	s_and_b64 s[0:1], vcc, s[0:1]
	s_andn2_b64 s[2:3], s[2:3], exec
	s_and_b64 s[0:1], s[0:1], exec
	s_or_b64 s[2:3], s[2:3], s[0:1]
.LBB158_1196:
	s_lshl_b32 s13, s13, 7
	v_add_u32_e32 v3, s13, v3
	v_ashrrev_i32_e32 v1, 31, v3
	s_waitcnt vmcnt(0)
	v_mov_b32_e32 v4, s11
	v_add_co_u32_e32 v0, vcc, s10, v3
	s_cmp_lt_i32 s30, 11
	v_addc_co_u32_e32 v1, vcc, v4, v1, vcc
	s_cbranch_scc1 .LBB158_1203
; %bb.1197:
	s_cmp_gt_i32 s30, 25
	s_mov_b64 s[18:19], 0
	s_cbranch_scc0 .LBB158_1206
; %bb.1198:
	s_cmp_gt_i32 s30, 28
	s_cbranch_scc0 .LBB158_1207
; %bb.1199:
	s_cmp_gt_i32 s30, 43
	;; [unrolled: 3-line block ×3, first 2 shown]
	s_cbranch_scc0 .LBB158_1210
; %bb.1201:
	s_cmp_eq_u32 s30, 46
	s_mov_b64 s[24:25], 0
	s_cbranch_scc0 .LBB158_1213
; %bb.1202:
	global_load_dword v4, v[0:1], off
	s_mov_b64 s[0:1], 0
	s_mov_b64 s[20:21], -1
	s_waitcnt vmcnt(0)
	v_and_b32_e32 v5, 0xffff0000, v4
	v_lshlrev_b32_e32 v4, 16, v4
	v_cvt_f16_f32_e32 v4, v4
	v_cvt_f16_f32_e32 v5, v5
	s_branch .LBB158_1214
.LBB158_1203:
	s_mov_b64 s[20:21], 0
                                        ; implicit-def: $vgpr5
                                        ; implicit-def: $vgpr4
	s_cbranch_execnz .LBB158_1282
.LBB158_1204:
	s_andn2_b64 vcc, exec, s[20:21]
	s_cbranch_vccnz .LBB158_1610
	s_branch .LBB158_1331
.LBB158_1205:
                                        ; implicit-def: $sgpr2_sgpr3
	s_branch .LBB158_1195
.LBB158_1206:
	s_mov_b64 s[20:21], 0
	s_mov_b64 s[0:1], 0
                                        ; implicit-def: $vgpr5
                                        ; implicit-def: $vgpr4
	s_cbranch_execnz .LBB158_1245
	s_branch .LBB158_1278
.LBB158_1207:
	s_mov_b64 s[24:25], -1
	s_mov_b64 s[20:21], 0
	s_mov_b64 s[0:1], 0
                                        ; implicit-def: $vgpr5
                                        ; implicit-def: $vgpr4
	s_branch .LBB158_1226
.LBB158_1208:
	s_mov_b64 s[24:25], -1
	s_mov_b64 s[20:21], 0
	s_mov_b64 s[0:1], 0
                                        ; implicit-def: $vgpr5
                                        ; implicit-def: $vgpr4
	s_branch .LBB158_1220
.LBB158_1209:
	s_trap 2
	s_or_b64 s[16:17], s[6:7], exec
	s_cbranch_execz .LBB158_1144
	s_branch .LBB158_1145
.LBB158_1210:
	s_mov_b64 s[24:25], -1
	s_mov_b64 s[20:21], 0
	s_mov_b64 s[0:1], 0
                                        ; implicit-def: $vgpr5
                                        ; implicit-def: $vgpr4
	s_branch .LBB158_1214
.LBB158_1211:
	s_andn2_saveexec_b64 s[28:29], s[28:29]
	s_cbranch_execz .LBB158_983
.LBB158_1212:
	v_add_f32_e32 v2, 0x42800000, v3
	v_and_b32_e32 v2, 0xff, v2
	v_cmp_ne_u32_e32 vcc, 0, v2
	s_andn2_b64 s[26:27], s[26:27], exec
	s_and_b64 s[34:35], vcc, exec
	s_or_b64 s[26:27], s[26:27], s[34:35]
	s_or_b64 exec, exec, s[28:29]
	v_mov_b32_e32 v4, 0
	s_and_saveexec_b64 s[28:29], s[26:27]
	s_cbranch_execnz .LBB158_984
	s_branch .LBB158_985
.LBB158_1213:
	s_mov_b64 s[0:1], -1
                                        ; implicit-def: $vgpr5
                                        ; implicit-def: $vgpr4
	s_mov_b64 s[20:21], 0
.LBB158_1214:
	s_and_b64 vcc, exec, s[24:25]
	s_cbranch_vccz .LBB158_1219
; %bb.1215:
	s_cmp_eq_u32 s30, 44
	s_cbranch_scc0 .LBB158_1217
; %bb.1216:
	global_load_ubyte v4, v[0:1], off
	s_movk_i32 s14, 0xff
	v_mov_b32_e32 v6, 0x7e00
	s_mov_b64 s[0:1], 0
	s_mov_b64 s[20:21], -1
	s_waitcnt vmcnt(0)
	v_lshlrev_b32_e32 v5, 23, v4
	v_cvt_f16_f32_e32 v5, v5
	v_cmp_ne_u32_e32 vcc, s14, v4
	v_cndmask_b32_e32 v5, v6, v5, vcc
	v_cmp_ne_u32_e32 vcc, 0, v4
	v_cndmask_b32_e32 v4, 0, v5, vcc
	s_branch .LBB158_1218
.LBB158_1217:
	s_mov_b64 s[0:1], -1
                                        ; implicit-def: $vgpr4
.LBB158_1218:
	v_mov_b32_e32 v5, 0
.LBB158_1219:
	s_mov_b64 s[24:25], 0
.LBB158_1220:
	s_and_b64 vcc, exec, s[24:25]
	s_cbranch_vccz .LBB158_1225
; %bb.1221:
	s_cmp_eq_u32 s30, 29
	s_cbranch_scc0 .LBB158_1223
; %bb.1222:
	global_load_dwordx2 v[4:5], v[0:1], off
	s_mov_b64 s[0:1], 0
	s_mov_b64 s[20:21], -1
	s_waitcnt vmcnt(0)
	v_ffbh_u32_e32 v6, v5
	v_min_u32_e32 v6, 32, v6
	v_lshlrev_b64 v[4:5], v6, v[4:5]
	v_min_u32_e32 v4, 1, v4
	v_or_b32_e32 v4, v5, v4
	v_cvt_f32_u32_e32 v4, v4
	v_sub_u32_e32 v5, 32, v6
	v_ldexp_f32 v4, v4, v5
	v_cvt_f16_f32_e32 v4, v4
	s_branch .LBB158_1224
.LBB158_1223:
	s_mov_b64 s[0:1], -1
                                        ; implicit-def: $vgpr4
.LBB158_1224:
	v_mov_b32_e32 v5, 0
.LBB158_1225:
	s_mov_b64 s[24:25], 0
.LBB158_1226:
	s_and_b64 vcc, exec, s[24:25]
	s_cbranch_vccz .LBB158_1244
; %bb.1227:
	s_cmp_lt_i32 s30, 27
	s_cbranch_scc1 .LBB158_1230
; %bb.1228:
	s_cmp_gt_i32 s30, 27
	s_cbranch_scc0 .LBB158_1231
; %bb.1229:
	global_load_dword v4, v[0:1], off
	s_mov_b64 s[20:21], 0
	s_waitcnt vmcnt(0)
	v_cvt_f32_u32_e32 v4, v4
	v_cvt_f16_f32_e32 v4, v4
	s_branch .LBB158_1232
.LBB158_1230:
	s_mov_b64 s[20:21], -1
                                        ; implicit-def: $vgpr4
	s_branch .LBB158_1235
.LBB158_1231:
	s_mov_b64 s[20:21], -1
                                        ; implicit-def: $vgpr4
.LBB158_1232:
	s_andn2_b64 vcc, exec, s[20:21]
	s_cbranch_vccnz .LBB158_1234
; %bb.1233:
	global_load_ushort v4, v[0:1], off
	s_waitcnt vmcnt(0)
	v_cvt_f16_u16_e32 v4, v4
.LBB158_1234:
	s_mov_b64 s[20:21], 0
.LBB158_1235:
	s_andn2_b64 vcc, exec, s[20:21]
	s_cbranch_vccnz .LBB158_1243
; %bb.1236:
	global_load_ubyte v5, v[0:1], off
	s_movk_i32 s14, 0x7f
	s_mov_b64 s[20:21], 0
	s_waitcnt vmcnt(0)
	v_cmp_lt_i16_e32 vcc, s14, v5
	s_and_saveexec_b64 s[24:25], vcc
	s_xor_b64 s[24:25], exec, s[24:25]
	s_cbranch_execz .LBB158_1256
; %bb.1237:
	s_movk_i32 s14, 0x80
	v_cmp_eq_u16_e32 vcc, s14, v5
	s_mov_b64 s[20:21], -1
	s_and_saveexec_b64 s[26:27], vcc
; %bb.1238:
	s_xor_b64 s[20:21], exec, -1
; %bb.1239:
	s_or_b64 exec, exec, s[26:27]
	s_and_b64 s[20:21], s[20:21], exec
	s_or_saveexec_b64 s[24:25], s[24:25]
	v_mov_b32_e32 v4, 0x7e00
	s_xor_b64 exec, exec, s[24:25]
	s_cbranch_execnz .LBB158_1257
.LBB158_1240:
	s_or_b64 exec, exec, s[24:25]
	s_and_saveexec_b64 s[24:25], s[20:21]
	s_cbranch_execz .LBB158_1242
.LBB158_1241:
	v_lshlrev_b32_e32 v4, 24, v5
	v_and_b32_e32 v5, 0xffff, v5
	v_and_b32_e32 v6, 7, v5
	v_ffbh_u32_e32 v8, v6
	v_min_u32_e32 v8, 32, v8
	v_subrev_u32_e32 v9, 28, v8
	v_bfe_u32 v7, v5, 3, 4
	v_lshlrev_b32_e32 v5, v9, v5
	v_sub_u32_e32 v8, 29, v8
	v_and_b32_e32 v5, 7, v5
	v_cmp_eq_u32_e32 vcc, 0, v7
	v_cndmask_b32_e32 v7, v7, v8, vcc
	v_cndmask_b32_e32 v5, v6, v5, vcc
	v_mov_b32_e32 v6, 0x3b800000
	v_lshlrev_b32_e32 v5, 20, v5
	v_and_b32_e32 v4, 0x80000000, v4
	v_lshl_add_u32 v6, v7, 23, v6
	v_or3_b32 v4, v4, v6, v5
	v_cvt_f16_f32_e32 v4, v4
.LBB158_1242:
	s_or_b64 exec, exec, s[24:25]
.LBB158_1243:
	s_mov_b64 s[20:21], -1
	v_mov_b32_e32 v5, 0
.LBB158_1244:
	s_branch .LBB158_1278
.LBB158_1245:
	s_cmp_gt_i32 s30, 22
	s_cbranch_scc0 .LBB158_1255
; %bb.1246:
	s_cmp_lt_i32 s30, 24
	s_cbranch_scc1 .LBB158_1258
; %bb.1247:
	s_cmp_gt_i32 s30, 24
	s_cbranch_scc0 .LBB158_1259
; %bb.1248:
	global_load_ubyte v5, v[0:1], off
	s_movk_i32 s14, 0x7f
	s_waitcnt vmcnt(0)
	v_cmp_lt_i16_e32 vcc, s14, v5
	s_and_saveexec_b64 s[20:21], vcc
	s_xor_b64 s[20:21], exec, s[20:21]
	s_cbranch_execz .LBB158_1271
; %bb.1249:
	s_movk_i32 s14, 0x80
	v_cmp_eq_u16_e32 vcc, s14, v5
	s_mov_b64 s[18:19], -1
	s_and_saveexec_b64 s[24:25], vcc
; %bb.1250:
	s_xor_b64 s[18:19], exec, -1
; %bb.1251:
	s_or_b64 exec, exec, s[24:25]
	s_and_b64 s[18:19], s[18:19], exec
	s_or_saveexec_b64 s[20:21], s[20:21]
	v_mov_b32_e32 v4, 0x7e00
	s_xor_b64 exec, exec, s[20:21]
	s_cbranch_execnz .LBB158_1272
.LBB158_1252:
	s_or_b64 exec, exec, s[20:21]
	s_and_saveexec_b64 s[20:21], s[18:19]
	s_cbranch_execz .LBB158_1254
.LBB158_1253:
	v_lshlrev_b32_e32 v4, 24, v5
	v_and_b32_e32 v5, 0xffff, v5
	v_and_b32_e32 v6, 3, v5
	v_ffbh_u32_e32 v8, v6
	v_min_u32_e32 v8, 32, v8
	v_subrev_u32_e32 v9, 29, v8
	v_bfe_u32 v7, v5, 2, 5
	v_lshlrev_b32_e32 v5, v9, v5
	v_sub_u32_e32 v8, 30, v8
	v_and_b32_e32 v5, 3, v5
	v_cmp_eq_u32_e32 vcc, 0, v7
	v_cndmask_b32_e32 v7, v7, v8, vcc
	v_cndmask_b32_e32 v5, v6, v5, vcc
	v_mov_b32_e32 v6, 0x37800000
	v_lshlrev_b32_e32 v5, 21, v5
	v_and_b32_e32 v4, 0x80000000, v4
	v_lshl_add_u32 v6, v7, 23, v6
	v_or3_b32 v4, v4, v6, v5
	v_cvt_f16_f32_e32 v4, v4
.LBB158_1254:
	s_or_b64 exec, exec, s[20:21]
	s_mov_b64 s[18:19], 0
	s_branch .LBB158_1260
.LBB158_1255:
	s_mov_b64 s[18:19], -1
                                        ; implicit-def: $vgpr4
	s_branch .LBB158_1266
.LBB158_1256:
	s_or_saveexec_b64 s[24:25], s[24:25]
	v_mov_b32_e32 v4, 0x7e00
	s_xor_b64 exec, exec, s[24:25]
	s_cbranch_execz .LBB158_1240
.LBB158_1257:
	v_cmp_ne_u16_e32 vcc, 0, v5
	s_andn2_b64 s[20:21], s[20:21], exec
	s_and_b64 s[26:27], vcc, exec
	s_or_b64 s[20:21], s[20:21], s[26:27]
	v_mov_b32_e32 v4, v5
	s_or_b64 exec, exec, s[24:25]
	s_and_saveexec_b64 s[24:25], s[20:21]
	s_cbranch_execnz .LBB158_1241
	s_branch .LBB158_1242
.LBB158_1258:
	s_mov_b64 s[18:19], -1
                                        ; implicit-def: $vgpr4
	s_branch .LBB158_1263
.LBB158_1259:
	s_mov_b64 s[18:19], -1
                                        ; implicit-def: $vgpr4
.LBB158_1260:
	s_and_b64 vcc, exec, s[18:19]
	s_cbranch_vccz .LBB158_1262
; %bb.1261:
	global_load_ubyte v4, v[0:1], off
	s_mov_b32 s14, 0x7f800000
	s_waitcnt vmcnt(0)
	v_lshlrev_b32_e32 v4, 24, v4
	v_and_b32_e32 v5, 0x7f000000, v4
	v_ffbh_u32_e32 v6, v5
	v_min_u32_e32 v6, 32, v6
	v_sub_u32_e64 v6, v6, 4 clamp
	v_lshlrev_b32_e32 v8, v6, v5
	v_lshlrev_b32_e32 v6, 23, v6
	v_lshrrev_b32_e32 v8, 4, v8
	v_add_u32_e32 v7, 0x1000000, v5
	v_sub_u32_e32 v6, v8, v6
	v_ashrrev_i32_e32 v7, 8, v7
	v_add_u32_e32 v6, 0x3c000000, v6
	v_and_or_b32 v6, v7, s14, v6
	v_cmp_ne_u32_e32 vcc, 0, v5
	v_cndmask_b32_e32 v5, 0, v6, vcc
	s_brev_b32 s14, 1
	v_and_or_b32 v4, v4, s14, v5
	v_cvt_f16_f32_e32 v4, v4
.LBB158_1262:
	s_mov_b64 s[18:19], 0
.LBB158_1263:
	s_andn2_b64 vcc, exec, s[18:19]
	s_cbranch_vccnz .LBB158_1265
; %bb.1264:
	global_load_ubyte v4, v[0:1], off
	s_movk_i32 s14, 0x7f00
	s_brev_b32 s18, 16
	s_waitcnt vmcnt(0)
	v_lshlrev_b16_e32 v5, 8, v4
	v_lshlrev_b32_e32 v4, 25, v4
	v_lshrrev_b32_e32 v6, 4, v4
	v_and_or_b32 v7, v5, s14, 0.5
	v_or_b32_e32 v6, 0x70000000, v6
	v_add_f32_e32 v7, -0.5, v7
	v_mul_f32_e32 v6, 0x7800000, v6
	v_cmp_gt_u32_e32 vcc, s18, v4
	v_bfe_i32 v5, v5, 0, 16
	v_cndmask_b32_e32 v4, v6, v7, vcc
	s_brev_b32 s14, 1
	v_and_or_b32 v4, v5, s14, v4
	v_cvt_f16_f32_e32 v4, v4
.LBB158_1265:
	s_mov_b64 s[18:19], 0
	s_mov_b64 s[20:21], -1
.LBB158_1266:
	s_andn2_b64 vcc, exec, s[18:19]
	s_mov_b64 s[18:19], 0
	s_cbranch_vccnz .LBB158_1277
; %bb.1267:
	s_cmp_gt_i32 s30, 14
	s_cbranch_scc0 .LBB158_1270
; %bb.1268:
	s_cmp_eq_u32 s30, 15
	s_cbranch_scc0 .LBB158_1273
; %bb.1269:
	global_load_ushort v4, v[0:1], off
	s_mov_b64 s[0:1], 0
	s_mov_b64 s[20:21], -1
	s_waitcnt vmcnt(0)
	v_lshlrev_b32_e32 v4, 16, v4
	v_cvt_f16_f32_e32 v4, v4
	s_branch .LBB158_1274
.LBB158_1270:
	s_mov_b64 s[24:25], -1
                                        ; implicit-def: $vgpr4
	s_branch .LBB158_1275
.LBB158_1271:
	s_or_saveexec_b64 s[20:21], s[20:21]
	v_mov_b32_e32 v4, 0x7e00
	s_xor_b64 exec, exec, s[20:21]
	s_cbranch_execz .LBB158_1252
.LBB158_1272:
	v_cmp_ne_u16_e32 vcc, 0, v5
	s_andn2_b64 s[18:19], s[18:19], exec
	s_and_b64 s[24:25], vcc, exec
	s_or_b64 s[18:19], s[18:19], s[24:25]
	v_mov_b32_e32 v4, v5
	s_or_b64 exec, exec, s[20:21]
	s_and_saveexec_b64 s[20:21], s[18:19]
	s_cbranch_execnz .LBB158_1253
	s_branch .LBB158_1254
.LBB158_1273:
	s_mov_b64 s[0:1], -1
                                        ; implicit-def: $vgpr4
.LBB158_1274:
	s_mov_b64 s[24:25], 0
.LBB158_1275:
	s_and_b64 vcc, exec, s[24:25]
	s_cbranch_vccz .LBB158_1277
; %bb.1276:
	s_cmp_lg_u32 s30, 11
	s_mov_b64 s[18:19], -1
	s_cselect_b64 s[0:1], -1, 0
.LBB158_1277:
	v_mov_b32_e32 v5, 0
.LBB158_1278:
	s_and_b64 vcc, exec, s[0:1]
	s_cbranch_vccnz .LBB158_1359
; %bb.1279:
	s_andn2_b64 vcc, exec, s[18:19]
	s_cbranch_vccnz .LBB158_1281
.LBB158_1280:
	global_load_ubyte v4, v[0:1], off
	v_mov_b32_e32 v6, 0x3c00
	v_mov_b32_e32 v5, 0
	s_mov_b64 s[20:21], -1
	s_waitcnt vmcnt(0)
	v_cmp_ne_u16_e32 vcc, 0, v4
	v_cndmask_b32_e32 v4, 0, v6, vcc
.LBB158_1281:
	s_branch .LBB158_1204
.LBB158_1282:
	s_cmp_lt_i32 s30, 5
	s_cbranch_scc1 .LBB158_1287
; %bb.1283:
	s_cmp_lt_i32 s30, 8
	s_cbranch_scc1 .LBB158_1289
; %bb.1284:
	;; [unrolled: 3-line block ×3, first 2 shown]
	s_cmp_gt_i32 s30, 9
	s_cbranch_scc0 .LBB158_1291
; %bb.1286:
	global_load_dwordx4 v[4:7], v[0:1], off
	s_movk_i32 s0, 0x1ff
	s_movk_i32 s1, 0xffe
	v_mov_b32_e32 v8, 0x7c00
	v_mov_b32_e32 v9, 0x7e00
	s_movk_i32 s14, 0x40f
	s_mov_b32 s18, 0x8000
	s_waitcnt vmcnt(0)
	v_and_or_b32 v4, v5, s0, v4
	v_and_or_b32 v6, v7, s0, v6
	v_cmp_ne_u32_e32 vcc, 0, v4
	v_lshrrev_b32_e32 v10, 8, v5
	v_cndmask_b32_e64 v4, 0, 1, vcc
	v_cmp_ne_u32_e32 vcc, 0, v6
	v_bfe_u32 v11, v5, 20, 11
	v_lshrrev_b32_e32 v12, 8, v7
	v_bfe_u32 v13, v7, 20, 11
	v_cndmask_b32_e64 v6, 0, 1, vcc
	v_and_or_b32 v4, v10, s1, v4
	v_sub_u32_e32 v14, 0x3f1, v11
	v_add_u32_e32 v11, 0xfffffc10, v11
	v_sub_u32_e32 v15, 0x3f1, v13
	v_and_or_b32 v6, v12, s1, v6
	v_cmp_ne_u32_e32 vcc, 0, v4
	v_add_u32_e32 v13, 0xfffffc10, v13
	v_med3_i32 v10, v14, 0, 13
	v_med3_i32 v12, v15, 0, 13
	v_or_b32_e32 v14, 0x1000, v4
	v_lshl_or_b32 v15, v11, 12, v4
	v_cndmask_b32_e32 v4, v8, v9, vcc
	v_cmp_ne_u32_e32 vcc, 0, v6
	v_or_b32_e32 v16, 0x1000, v6
	v_lshl_or_b32 v17, v13, 12, v6
	v_cndmask_b32_e32 v6, v8, v9, vcc
	v_lshrrev_b32_e32 v9, v10, v14
	v_lshrrev_b32_e32 v18, v12, v16
	v_lshlrev_b32_e32 v10, v10, v9
	v_lshlrev_b32_e32 v12, v12, v18
	v_cmp_ne_u32_e32 vcc, v10, v14
	v_cndmask_b32_e64 v10, 0, 1, vcc
	v_cmp_ne_u32_e32 vcc, v12, v16
	v_cndmask_b32_e64 v12, 0, 1, vcc
	v_or_b32_e32 v9, v9, v10
	v_cmp_gt_i32_e32 vcc, 1, v11
	v_cndmask_b32_e32 v9, v15, v9, vcc
	v_or_b32_e32 v10, v18, v12
	v_cmp_gt_i32_e32 vcc, 1, v13
	v_and_b32_e32 v12, 7, v9
	v_cndmask_b32_e32 v10, v17, v10, vcc
	v_cmp_lt_i32_e32 vcc, 5, v12
	v_and_b32_e32 v14, 7, v10
	v_cndmask_b32_e64 v15, 0, 1, vcc
	v_cmp_eq_u32_e32 vcc, 3, v12
	v_cndmask_b32_e64 v12, 0, 1, vcc
	v_cmp_lt_i32_e32 vcc, 5, v14
	v_cndmask_b32_e64 v16, 0, 1, vcc
	v_cmp_eq_u32_e32 vcc, 3, v14
	v_lshrrev_b32_e32 v9, 2, v9
	v_cndmask_b32_e64 v14, 0, 1, vcc
	v_or_b32_e32 v12, v12, v15
	v_lshrrev_b32_e32 v10, 2, v10
	v_or_b32_e32 v14, v14, v16
	v_add_u32_e32 v9, v9, v12
	v_cmp_gt_i32_e32 vcc, 31, v11
	v_add_u32_e32 v10, v10, v14
	v_cndmask_b32_e32 v9, v8, v9, vcc
	v_cmp_gt_i32_e32 vcc, 31, v13
	v_cndmask_b32_e32 v8, v8, v10, vcc
	v_cmp_eq_u32_e32 vcc, s14, v11
	v_cndmask_b32_e32 v4, v9, v4, vcc
	v_cmp_eq_u32_e32 vcc, s14, v13
	v_lshrrev_b32_e32 v5, 16, v5
	v_lshrrev_b32_e32 v7, 16, v7
	v_cndmask_b32_e32 v6, v8, v6, vcc
	v_and_or_b32 v4, v5, s18, v4
	v_and_or_b32 v5, v7, s18, v6
	s_mov_b64 s[0:1], 0
	s_branch .LBB158_1292
.LBB158_1287:
                                        ; implicit-def: $vgpr5
                                        ; implicit-def: $vgpr4
	s_branch .LBB158_1311
.LBB158_1288:
	s_branch .LBB158_1331
.LBB158_1289:
	s_mov_b64 s[0:1], -1
                                        ; implicit-def: $vgpr5
                                        ; implicit-def: $vgpr4
	s_branch .LBB158_1298
.LBB158_1290:
	s_mov_b64 s[0:1], -1
                                        ; implicit-def: $vgpr5
                                        ; implicit-def: $vgpr4
	s_branch .LBB158_1295
.LBB158_1291:
	s_mov_b64 s[0:1], -1
                                        ; implicit-def: $vgpr5
                                        ; implicit-def: $vgpr4
.LBB158_1292:
	s_andn2_b64 vcc, exec, s[0:1]
	s_cbranch_vccnz .LBB158_1294
; %bb.1293:
	global_load_dwordx2 v[4:5], v[0:1], off
	s_waitcnt vmcnt(0)
	v_cvt_f16_f32_e32 v4, v4
	v_cvt_f16_f32_e32 v5, v5
.LBB158_1294:
	s_mov_b64 s[0:1], 0
.LBB158_1295:
	s_andn2_b64 vcc, exec, s[0:1]
	s_cbranch_vccnz .LBB158_1297
; %bb.1296:
	global_load_dword v4, v[0:1], off
	s_waitcnt vmcnt(0)
	v_lshrrev_b32_e32 v5, 16, v4
.LBB158_1297:
	s_mov_b64 s[0:1], 0
.LBB158_1298:
	s_andn2_b64 vcc, exec, s[0:1]
	s_cbranch_vccnz .LBB158_1310
; %bb.1299:
	s_cmp_lt_i32 s30, 6
	s_cbranch_scc1 .LBB158_1302
; %bb.1300:
	s_cmp_gt_i32 s30, 6
	s_cbranch_scc0 .LBB158_1303
; %bb.1301:
	global_load_dwordx2 v[4:5], v[0:1], off
	s_movk_i32 s0, 0x1ff
	s_movk_i32 s1, 0xffe
	v_mov_b32_e32 v6, 0x7c00
	v_mov_b32_e32 v7, 0x7e00
	s_movk_i32 s14, 0x40f
	s_mov_b32 s18, 0x8000
	s_waitcnt vmcnt(0)
	v_and_or_b32 v4, v5, s0, v4
	v_cmp_ne_u32_e32 vcc, 0, v4
	v_lshrrev_b32_e32 v8, 8, v5
	v_bfe_u32 v9, v5, 20, 11
	v_cndmask_b32_e64 v4, 0, 1, vcc
	v_sub_u32_e32 v10, 0x3f1, v9
	v_and_or_b32 v4, v8, s1, v4
	v_add_u32_e32 v9, 0xfffffc10, v9
	v_med3_i32 v8, v10, 0, 13
	v_or_b32_e32 v10, 0x1000, v4
	v_cmp_ne_u32_e32 vcc, 0, v4
	v_lshl_or_b32 v11, v9, 12, v4
	v_cndmask_b32_e32 v4, v6, v7, vcc
	v_lshrrev_b32_e32 v7, v8, v10
	v_lshlrev_b32_e32 v8, v8, v7
	v_cmp_ne_u32_e32 vcc, v8, v10
	v_cndmask_b32_e64 v8, 0, 1, vcc
	v_or_b32_e32 v7, v7, v8
	v_cmp_gt_i32_e32 vcc, 1, v9
	v_cndmask_b32_e32 v7, v11, v7, vcc
	v_and_b32_e32 v8, 7, v7
	v_cmp_lt_i32_e32 vcc, 5, v8
	v_cndmask_b32_e64 v10, 0, 1, vcc
	v_cmp_eq_u32_e32 vcc, 3, v8
	v_cndmask_b32_e64 v8, 0, 1, vcc
	v_lshrrev_b32_e32 v7, 2, v7
	v_or_b32_e32 v8, v8, v10
	v_add_u32_e32 v7, v7, v8
	v_cmp_gt_i32_e32 vcc, 31, v9
	v_cndmask_b32_e32 v6, v6, v7, vcc
	v_cmp_eq_u32_e32 vcc, s14, v9
	v_lshrrev_b32_e32 v5, 16, v5
	v_cndmask_b32_e32 v4, v6, v4, vcc
	v_and_or_b32 v4, v5, s18, v4
	s_mov_b64 s[0:1], 0
	s_branch .LBB158_1304
.LBB158_1302:
	s_mov_b64 s[0:1], -1
                                        ; implicit-def: $vgpr4
	s_branch .LBB158_1307
.LBB158_1303:
	s_mov_b64 s[0:1], -1
                                        ; implicit-def: $vgpr4
.LBB158_1304:
	s_andn2_b64 vcc, exec, s[0:1]
	s_cbranch_vccnz .LBB158_1306
; %bb.1305:
	global_load_dword v4, v[0:1], off
	s_waitcnt vmcnt(0)
	v_cvt_f16_f32_e32 v4, v4
.LBB158_1306:
	s_mov_b64 s[0:1], 0
.LBB158_1307:
	s_andn2_b64 vcc, exec, s[0:1]
	s_cbranch_vccnz .LBB158_1309
; %bb.1308:
	global_load_ushort v4, v[0:1], off
.LBB158_1309:
	v_mov_b32_e32 v5, 0
.LBB158_1310:
	s_cbranch_execnz .LBB158_1288
.LBB158_1311:
	s_cmp_lt_i32 s30, 2
	s_cbranch_scc1 .LBB158_1315
; %bb.1312:
	s_cmp_lt_i32 s30, 3
	s_cbranch_scc1 .LBB158_1316
; %bb.1313:
	s_cmp_gt_i32 s30, 3
	s_cbranch_scc0 .LBB158_1317
; %bb.1314:
	global_load_dwordx2 v[4:5], v[0:1], off
	s_mov_b64 s[0:1], 0
	s_waitcnt vmcnt(0)
	v_xor_b32_e32 v7, v4, v5
	v_ffbh_i32_e32 v6, v5
	v_ashrrev_i32_e32 v7, 31, v7
	v_add_u32_e32 v6, -1, v6
	v_add_u32_e32 v7, 32, v7
	v_min_u32_e32 v6, v6, v7
	v_lshlrev_b64 v[4:5], v6, v[4:5]
	v_min_u32_e32 v4, 1, v4
	v_or_b32_e32 v4, v5, v4
	v_cvt_f32_i32_e32 v4, v4
	v_sub_u32_e32 v5, 32, v6
	v_ldexp_f32 v4, v4, v5
	v_cvt_f16_f32_e32 v4, v4
	s_branch .LBB158_1318
.LBB158_1315:
	s_mov_b64 s[0:1], -1
                                        ; implicit-def: $vgpr4
	s_branch .LBB158_1324
.LBB158_1316:
	s_mov_b64 s[0:1], -1
                                        ; implicit-def: $vgpr4
	s_branch .LBB158_1321
.LBB158_1317:
	s_mov_b64 s[0:1], -1
                                        ; implicit-def: $vgpr4
.LBB158_1318:
	s_andn2_b64 vcc, exec, s[0:1]
	s_cbranch_vccnz .LBB158_1320
; %bb.1319:
	global_load_dword v4, v[0:1], off
	s_waitcnt vmcnt(0)
	v_cvt_f32_i32_e32 v4, v4
	v_cvt_f16_f32_e32 v4, v4
.LBB158_1320:
	s_mov_b64 s[0:1], 0
.LBB158_1321:
	s_andn2_b64 vcc, exec, s[0:1]
	s_cbranch_vccnz .LBB158_1323
; %bb.1322:
	global_load_ushort v4, v[0:1], off
	s_waitcnt vmcnt(0)
	v_cvt_f16_i16_e32 v4, v4
.LBB158_1323:
	s_mov_b64 s[0:1], 0
.LBB158_1324:
	s_andn2_b64 vcc, exec, s[0:1]
	s_cbranch_vccnz .LBB158_1330
; %bb.1325:
	s_cmp_gt_i32 s30, 0
	s_cbranch_scc0 .LBB158_1327
; %bb.1326:
	global_load_sbyte v4, v[0:1], off
	s_mov_b64 s[0:1], 0
	s_waitcnt vmcnt(0)
	v_cvt_f16_i16_e32 v4, v4
	s_branch .LBB158_1328
.LBB158_1327:
	s_mov_b64 s[0:1], -1
                                        ; implicit-def: $vgpr4
.LBB158_1328:
	s_andn2_b64 vcc, exec, s[0:1]
	s_cbranch_vccnz .LBB158_1330
; %bb.1329:
	global_load_ubyte v0, v[0:1], off
	s_waitcnt vmcnt(0)
	v_cvt_f16_u16_e32 v4, v0
.LBB158_1330:
	v_mov_b32_e32 v5, 0
.LBB158_1331:
	s_and_b64 vcc, exec, s[22:23]
	s_cbranch_vccz .LBB158_1343
; %bb.1332:
	s_waitcnt vmcnt(0)
	v_cmp_neq_f16_e32 vcc, s15, v4
	v_cmp_neq_f16_e64 s[0:1], s31, v5
	s_or_b64 s[18:19], vcc, s[0:1]
	s_cbranch_execnz .LBB158_1334
.LBB158_1333:
	s_waitcnt vmcnt(0)
	v_cmp_eq_f16_e32 vcc, s15, v4
	v_cmp_eq_f16_e64 s[0:1], s31, v5
	s_and_b64 s[0:1], vcc, s[0:1]
	s_andn2_b64 s[18:19], s[18:19], exec
	s_and_b64 s[0:1], s[0:1], exec
	s_or_b64 s[18:19], s[18:19], s[0:1]
.LBB158_1334:
	v_add_u32_e32 v3, s13, v3
	v_ashrrev_i32_e32 v1, 31, v3
	s_waitcnt vmcnt(0)
	v_mov_b32_e32 v4, s11
	v_add_co_u32_e32 v0, vcc, s10, v3
	s_cmp_lt_i32 s30, 11
	v_addc_co_u32_e32 v1, vcc, v4, v1, vcc
	s_cbranch_scc1 .LBB158_1341
; %bb.1335:
	s_cmp_gt_i32 s30, 25
	s_mov_b64 s[20:21], 0
	s_cbranch_scc0 .LBB158_1344
; %bb.1336:
	s_cmp_gt_i32 s30, 28
	s_cbranch_scc0 .LBB158_1355
; %bb.1337:
	s_cmp_gt_i32 s30, 43
	;; [unrolled: 3-line block ×3, first 2 shown]
	s_cbranch_scc0 .LBB158_1360
; %bb.1339:
	s_cmp_eq_u32 s30, 46
	s_mov_b64 s[26:27], 0
	s_cbranch_scc0 .LBB158_1418
; %bb.1340:
	global_load_dword v4, v[0:1], off
	s_mov_b64 s[0:1], 0
	s_mov_b64 s[24:25], -1
	s_waitcnt vmcnt(0)
	v_and_b32_e32 v5, 0xffff0000, v4
	v_lshlrev_b32_e32 v4, 16, v4
	v_cvt_f16_f32_e32 v4, v4
	v_cvt_f16_f32_e32 v5, v5
	s_branch .LBB158_1419
.LBB158_1341:
	s_mov_b64 s[24:25], 0
                                        ; implicit-def: $vgpr5
                                        ; implicit-def: $vgpr4
	s_cbranch_execnz .LBB158_1349
.LBB158_1342:
	s_andn2_b64 vcc, exec, s[24:25]
	s_cbranch_vccnz .LBB158_1610
	s_branch .LBB158_1403
.LBB158_1343:
                                        ; implicit-def: $sgpr18_sgpr19
	s_branch .LBB158_1333
.LBB158_1344:
	s_mov_b64 s[24:25], 0
	s_mov_b64 s[0:1], 0
                                        ; implicit-def: $vgpr5
                                        ; implicit-def: $vgpr4
	s_cbranch_execnz .LBB158_1451
.LBB158_1345:
	s_and_b64 vcc, exec, s[0:1]
	s_cbranch_vccnz .LBB158_1484
.LBB158_1346:
	s_andn2_b64 vcc, exec, s[20:21]
	s_cbranch_vccnz .LBB158_1348
.LBB158_1347:
	global_load_ubyte v4, v[0:1], off
	v_mov_b32_e32 v6, 0x3c00
	v_mov_b32_e32 v5, 0
	s_mov_b64 s[24:25], -1
	s_waitcnt vmcnt(0)
	v_cmp_ne_u16_e32 vcc, 0, v4
	v_cndmask_b32_e32 v4, 0, v6, vcc
.LBB158_1348:
	s_branch .LBB158_1342
.LBB158_1349:
	s_cmp_lt_i32 s30, 5
	s_cbranch_scc1 .LBB158_1354
; %bb.1350:
	s_cmp_lt_i32 s30, 8
	s_cbranch_scc1 .LBB158_1356
; %bb.1351:
	;; [unrolled: 3-line block ×3, first 2 shown]
	s_cmp_gt_i32 s30, 9
	s_cbranch_scc0 .LBB158_1361
; %bb.1353:
	global_load_dwordx4 v[4:7], v[0:1], off
	s_movk_i32 s0, 0x1ff
	s_movk_i32 s1, 0xffe
	v_mov_b32_e32 v8, 0x7c00
	v_mov_b32_e32 v9, 0x7e00
	s_movk_i32 s14, 0x40f
	s_mov_b32 s20, 0x8000
	s_waitcnt vmcnt(0)
	v_and_or_b32 v4, v5, s0, v4
	v_and_or_b32 v6, v7, s0, v6
	v_cmp_ne_u32_e32 vcc, 0, v4
	v_lshrrev_b32_e32 v10, 8, v5
	v_cndmask_b32_e64 v4, 0, 1, vcc
	v_cmp_ne_u32_e32 vcc, 0, v6
	v_bfe_u32 v11, v5, 20, 11
	v_lshrrev_b32_e32 v12, 8, v7
	v_bfe_u32 v13, v7, 20, 11
	v_cndmask_b32_e64 v6, 0, 1, vcc
	v_and_or_b32 v4, v10, s1, v4
	v_sub_u32_e32 v14, 0x3f1, v11
	v_add_u32_e32 v11, 0xfffffc10, v11
	v_sub_u32_e32 v15, 0x3f1, v13
	v_and_or_b32 v6, v12, s1, v6
	v_cmp_ne_u32_e32 vcc, 0, v4
	v_add_u32_e32 v13, 0xfffffc10, v13
	v_med3_i32 v10, v14, 0, 13
	v_med3_i32 v12, v15, 0, 13
	v_or_b32_e32 v14, 0x1000, v4
	v_lshl_or_b32 v15, v11, 12, v4
	v_cndmask_b32_e32 v4, v8, v9, vcc
	v_cmp_ne_u32_e32 vcc, 0, v6
	v_or_b32_e32 v16, 0x1000, v6
	v_lshl_or_b32 v17, v13, 12, v6
	v_cndmask_b32_e32 v6, v8, v9, vcc
	v_lshrrev_b32_e32 v9, v10, v14
	v_lshrrev_b32_e32 v18, v12, v16
	v_lshlrev_b32_e32 v10, v10, v9
	v_lshlrev_b32_e32 v12, v12, v18
	v_cmp_ne_u32_e32 vcc, v10, v14
	v_cndmask_b32_e64 v10, 0, 1, vcc
	v_cmp_ne_u32_e32 vcc, v12, v16
	v_cndmask_b32_e64 v12, 0, 1, vcc
	v_or_b32_e32 v9, v9, v10
	v_cmp_gt_i32_e32 vcc, 1, v11
	v_cndmask_b32_e32 v9, v15, v9, vcc
	v_or_b32_e32 v10, v18, v12
	v_cmp_gt_i32_e32 vcc, 1, v13
	v_and_b32_e32 v12, 7, v9
	v_cndmask_b32_e32 v10, v17, v10, vcc
	v_cmp_lt_i32_e32 vcc, 5, v12
	v_and_b32_e32 v14, 7, v10
	v_cndmask_b32_e64 v15, 0, 1, vcc
	v_cmp_eq_u32_e32 vcc, 3, v12
	v_cndmask_b32_e64 v12, 0, 1, vcc
	v_cmp_lt_i32_e32 vcc, 5, v14
	v_cndmask_b32_e64 v16, 0, 1, vcc
	v_cmp_eq_u32_e32 vcc, 3, v14
	v_lshrrev_b32_e32 v9, 2, v9
	v_cndmask_b32_e64 v14, 0, 1, vcc
	v_or_b32_e32 v12, v12, v15
	v_lshrrev_b32_e32 v10, 2, v10
	v_or_b32_e32 v14, v14, v16
	v_add_u32_e32 v9, v9, v12
	v_cmp_gt_i32_e32 vcc, 31, v11
	v_add_u32_e32 v10, v10, v14
	v_cndmask_b32_e32 v9, v8, v9, vcc
	v_cmp_gt_i32_e32 vcc, 31, v13
	v_cndmask_b32_e32 v8, v8, v10, vcc
	v_cmp_eq_u32_e32 vcc, s14, v11
	v_cndmask_b32_e32 v4, v9, v4, vcc
	v_cmp_eq_u32_e32 vcc, s14, v13
	v_lshrrev_b32_e32 v5, 16, v5
	v_lshrrev_b32_e32 v7, 16, v7
	v_cndmask_b32_e32 v6, v8, v6, vcc
	v_and_or_b32 v4, v5, s20, v4
	v_and_or_b32 v5, v7, s20, v6
	s_mov_b64 s[0:1], 0
	s_branch .LBB158_1362
.LBB158_1354:
	s_mov_b64 s[0:1], -1
                                        ; implicit-def: $vgpr5
                                        ; implicit-def: $vgpr4
	s_branch .LBB158_1381
.LBB158_1355:
	s_mov_b64 s[26:27], -1
	s_mov_b64 s[24:25], 0
	s_mov_b64 s[0:1], 0
                                        ; implicit-def: $vgpr5
                                        ; implicit-def: $vgpr4
	s_branch .LBB158_1432
.LBB158_1356:
	s_mov_b64 s[0:1], -1
                                        ; implicit-def: $vgpr5
                                        ; implicit-def: $vgpr4
	s_branch .LBB158_1368
.LBB158_1357:
	s_mov_b64 s[26:27], -1
	s_mov_b64 s[24:25], 0
	s_mov_b64 s[0:1], 0
                                        ; implicit-def: $vgpr5
                                        ; implicit-def: $vgpr4
	s_branch .LBB158_1426
.LBB158_1358:
	s_mov_b64 s[0:1], -1
                                        ; implicit-def: $vgpr5
                                        ; implicit-def: $vgpr4
	s_branch .LBB158_1365
.LBB158_1359:
	s_trap 2
	s_or_b64 s[16:17], s[16:17], exec
	s_cbranch_execz .LBB158_1280
	s_branch .LBB158_1281
.LBB158_1360:
	s_mov_b64 s[26:27], -1
	s_mov_b64 s[24:25], 0
	s_mov_b64 s[0:1], 0
                                        ; implicit-def: $vgpr5
                                        ; implicit-def: $vgpr4
	s_branch .LBB158_1419
.LBB158_1361:
	s_mov_b64 s[0:1], -1
                                        ; implicit-def: $vgpr5
                                        ; implicit-def: $vgpr4
.LBB158_1362:
	s_andn2_b64 vcc, exec, s[0:1]
	s_cbranch_vccnz .LBB158_1364
; %bb.1363:
	global_load_dwordx2 v[4:5], v[0:1], off
	s_waitcnt vmcnt(0)
	v_cvt_f16_f32_e32 v4, v4
	v_cvt_f16_f32_e32 v5, v5
.LBB158_1364:
	s_mov_b64 s[0:1], 0
.LBB158_1365:
	s_andn2_b64 vcc, exec, s[0:1]
	s_cbranch_vccnz .LBB158_1367
; %bb.1366:
	global_load_dword v4, v[0:1], off
	s_waitcnt vmcnt(0)
	v_lshrrev_b32_e32 v5, 16, v4
.LBB158_1367:
	s_mov_b64 s[0:1], 0
.LBB158_1368:
	s_andn2_b64 vcc, exec, s[0:1]
	s_cbranch_vccnz .LBB158_1380
; %bb.1369:
	s_cmp_lt_i32 s30, 6
	s_cbranch_scc1 .LBB158_1372
; %bb.1370:
	s_cmp_gt_i32 s30, 6
	s_cbranch_scc0 .LBB158_1373
; %bb.1371:
	global_load_dwordx2 v[4:5], v[0:1], off
	s_movk_i32 s0, 0x1ff
	s_movk_i32 s1, 0xffe
	v_mov_b32_e32 v6, 0x7c00
	v_mov_b32_e32 v7, 0x7e00
	s_movk_i32 s14, 0x40f
	s_mov_b32 s20, 0x8000
	s_waitcnt vmcnt(0)
	v_and_or_b32 v4, v5, s0, v4
	v_cmp_ne_u32_e32 vcc, 0, v4
	v_lshrrev_b32_e32 v8, 8, v5
	v_bfe_u32 v9, v5, 20, 11
	v_cndmask_b32_e64 v4, 0, 1, vcc
	v_sub_u32_e32 v10, 0x3f1, v9
	v_and_or_b32 v4, v8, s1, v4
	v_add_u32_e32 v9, 0xfffffc10, v9
	v_med3_i32 v8, v10, 0, 13
	v_or_b32_e32 v10, 0x1000, v4
	v_cmp_ne_u32_e32 vcc, 0, v4
	v_lshl_or_b32 v11, v9, 12, v4
	v_cndmask_b32_e32 v4, v6, v7, vcc
	v_lshrrev_b32_e32 v7, v8, v10
	v_lshlrev_b32_e32 v8, v8, v7
	v_cmp_ne_u32_e32 vcc, v8, v10
	v_cndmask_b32_e64 v8, 0, 1, vcc
	v_or_b32_e32 v7, v7, v8
	v_cmp_gt_i32_e32 vcc, 1, v9
	v_cndmask_b32_e32 v7, v11, v7, vcc
	v_and_b32_e32 v8, 7, v7
	v_cmp_lt_i32_e32 vcc, 5, v8
	v_cndmask_b32_e64 v10, 0, 1, vcc
	v_cmp_eq_u32_e32 vcc, 3, v8
	v_cndmask_b32_e64 v8, 0, 1, vcc
	v_lshrrev_b32_e32 v7, 2, v7
	v_or_b32_e32 v8, v8, v10
	v_add_u32_e32 v7, v7, v8
	v_cmp_gt_i32_e32 vcc, 31, v9
	v_cndmask_b32_e32 v6, v6, v7, vcc
	v_cmp_eq_u32_e32 vcc, s14, v9
	v_lshrrev_b32_e32 v5, 16, v5
	v_cndmask_b32_e32 v4, v6, v4, vcc
	v_and_or_b32 v4, v5, s20, v4
	s_mov_b64 s[0:1], 0
	s_branch .LBB158_1374
.LBB158_1372:
	s_mov_b64 s[0:1], -1
                                        ; implicit-def: $vgpr4
	s_branch .LBB158_1377
.LBB158_1373:
	s_mov_b64 s[0:1], -1
                                        ; implicit-def: $vgpr4
.LBB158_1374:
	s_andn2_b64 vcc, exec, s[0:1]
	s_cbranch_vccnz .LBB158_1376
; %bb.1375:
	global_load_dword v4, v[0:1], off
	s_waitcnt vmcnt(0)
	v_cvt_f16_f32_e32 v4, v4
.LBB158_1376:
	s_mov_b64 s[0:1], 0
.LBB158_1377:
	s_andn2_b64 vcc, exec, s[0:1]
	s_cbranch_vccnz .LBB158_1379
; %bb.1378:
	global_load_ushort v4, v[0:1], off
.LBB158_1379:
	v_mov_b32_e32 v5, 0
.LBB158_1380:
	s_mov_b64 s[0:1], 0
.LBB158_1381:
	s_andn2_b64 vcc, exec, s[0:1]
	s_cbranch_vccnz .LBB158_1402
; %bb.1382:
	s_cmp_lt_i32 s30, 2
	s_cbranch_scc1 .LBB158_1386
; %bb.1383:
	s_cmp_lt_i32 s30, 3
	s_cbranch_scc1 .LBB158_1387
; %bb.1384:
	s_cmp_gt_i32 s30, 3
	s_cbranch_scc0 .LBB158_1388
; %bb.1385:
	global_load_dwordx2 v[4:5], v[0:1], off
	s_mov_b64 s[0:1], 0
	s_waitcnt vmcnt(0)
	v_xor_b32_e32 v7, v4, v5
	v_ffbh_i32_e32 v6, v5
	v_ashrrev_i32_e32 v7, 31, v7
	v_add_u32_e32 v6, -1, v6
	v_add_u32_e32 v7, 32, v7
	v_min_u32_e32 v6, v6, v7
	v_lshlrev_b64 v[4:5], v6, v[4:5]
	v_min_u32_e32 v4, 1, v4
	v_or_b32_e32 v4, v5, v4
	v_cvt_f32_i32_e32 v4, v4
	v_sub_u32_e32 v5, 32, v6
	v_ldexp_f32 v4, v4, v5
	v_cvt_f16_f32_e32 v4, v4
	s_branch .LBB158_1389
.LBB158_1386:
	s_mov_b64 s[0:1], -1
                                        ; implicit-def: $vgpr4
	s_branch .LBB158_1395
.LBB158_1387:
	s_mov_b64 s[0:1], -1
                                        ; implicit-def: $vgpr4
	s_branch .LBB158_1392
.LBB158_1388:
	s_mov_b64 s[0:1], -1
                                        ; implicit-def: $vgpr4
.LBB158_1389:
	s_andn2_b64 vcc, exec, s[0:1]
	s_cbranch_vccnz .LBB158_1391
; %bb.1390:
	global_load_dword v4, v[0:1], off
	s_waitcnt vmcnt(0)
	v_cvt_f32_i32_e32 v4, v4
	v_cvt_f16_f32_e32 v4, v4
.LBB158_1391:
	s_mov_b64 s[0:1], 0
.LBB158_1392:
	s_andn2_b64 vcc, exec, s[0:1]
	s_cbranch_vccnz .LBB158_1394
; %bb.1393:
	global_load_ushort v4, v[0:1], off
	s_waitcnt vmcnt(0)
	v_cvt_f16_i16_e32 v4, v4
.LBB158_1394:
	s_mov_b64 s[0:1], 0
.LBB158_1395:
	s_andn2_b64 vcc, exec, s[0:1]
	s_cbranch_vccnz .LBB158_1401
; %bb.1396:
	s_cmp_gt_i32 s30, 0
	s_cbranch_scc0 .LBB158_1398
; %bb.1397:
	global_load_sbyte v4, v[0:1], off
	s_mov_b64 s[0:1], 0
	s_waitcnt vmcnt(0)
	v_cvt_f16_i16_e32 v4, v4
	s_branch .LBB158_1399
.LBB158_1398:
	s_mov_b64 s[0:1], -1
                                        ; implicit-def: $vgpr4
.LBB158_1399:
	s_andn2_b64 vcc, exec, s[0:1]
	s_cbranch_vccnz .LBB158_1401
; %bb.1400:
	global_load_ubyte v0, v[0:1], off
	s_waitcnt vmcnt(0)
	v_cvt_f16_u16_e32 v4, v0
.LBB158_1401:
	v_mov_b32_e32 v5, 0
.LBB158_1402:
.LBB158_1403:
	s_and_b64 vcc, exec, s[22:23]
	s_cbranch_vccz .LBB158_1414
; %bb.1404:
	s_waitcnt vmcnt(0)
	v_cmp_neq_f16_e32 vcc, s15, v4
	v_cmp_neq_f16_e64 s[0:1], s31, v5
	s_or_b64 s[20:21], vcc, s[0:1]
	s_cbranch_execnz .LBB158_1406
.LBB158_1405:
	s_waitcnt vmcnt(0)
	v_cmp_eq_f16_e32 vcc, s15, v4
	v_cmp_eq_f16_e64 s[0:1], s31, v5
	s_and_b64 s[0:1], vcc, s[0:1]
	s_andn2_b64 s[20:21], s[20:21], exec
	s_and_b64 s[0:1], s[0:1], exec
	s_or_b64 s[20:21], s[20:21], s[0:1]
.LBB158_1406:
	v_add_u32_e32 v0, s13, v3
	v_ashrrev_i32_e32 v1, 31, v0
	v_mov_b32_e32 v3, s11
	v_add_co_u32_e32 v0, vcc, s10, v0
	s_cmp_lt_i32 s30, 11
	v_addc_co_u32_e32 v1, vcc, v3, v1, vcc
	s_cbranch_scc1 .LBB158_1413
; %bb.1407:
	s_cmp_gt_i32 s30, 25
	s_mov_b64 s[10:11], 0
	s_cbranch_scc0 .LBB158_1415
; %bb.1408:
	s_cmp_gt_i32 s30, 28
	s_cbranch_scc0 .LBB158_1416
; %bb.1409:
	s_cmp_gt_i32 s30, 43
	;; [unrolled: 3-line block ×3, first 2 shown]
	s_cbranch_scc0 .LBB158_1422
; %bb.1411:
	s_cmp_eq_u32 s30, 46
	s_mov_b64 s[26:27], 0
	s_cbranch_scc0 .LBB158_1485
; %bb.1412:
	global_load_dword v3, v[0:1], off
	s_mov_b64 s[0:1], 0
	s_mov_b64 s[24:25], -1
	s_waitcnt vmcnt(0)
	v_and_b32_e32 v4, 0xffff0000, v3
	v_lshlrev_b32_e32 v3, 16, v3
	v_cvt_f16_f32_e32 v3, v3
	v_cvt_f16_f32_e32 v4, v4
	s_branch .LBB158_1486
.LBB158_1413:
	s_mov_b64 s[0:1], -1
	s_mov_b64 s[24:25], 0
                                        ; implicit-def: $vgpr4
                                        ; implicit-def: $vgpr3
	s_branch .LBB158_1532
.LBB158_1414:
                                        ; implicit-def: $sgpr20_sgpr21
	s_branch .LBB158_1405
.LBB158_1415:
	s_mov_b64 s[26:27], -1
	s_mov_b64 s[24:25], 0
	s_mov_b64 s[0:1], 0
                                        ; implicit-def: $vgpr4
                                        ; implicit-def: $vgpr3
	s_branch .LBB158_1517
.LBB158_1416:
	s_mov_b64 s[26:27], -1
	s_mov_b64 s[24:25], 0
	s_mov_b64 s[0:1], 0
                                        ; implicit-def: $vgpr4
                                        ; implicit-def: $vgpr3
	s_branch .LBB158_1498
.LBB158_1417:
	s_mov_b64 s[26:27], -1
	s_mov_b64 s[24:25], 0
	s_mov_b64 s[0:1], 0
                                        ; implicit-def: $vgpr4
                                        ; implicit-def: $vgpr3
	s_branch .LBB158_1492
.LBB158_1418:
	s_mov_b64 s[0:1], -1
                                        ; implicit-def: $vgpr5
                                        ; implicit-def: $vgpr4
	s_mov_b64 s[24:25], 0
.LBB158_1419:
	s_and_b64 vcc, exec, s[26:27]
	s_cbranch_vccz .LBB158_1425
; %bb.1420:
	s_cmp_eq_u32 s30, 44
	s_cbranch_scc0 .LBB158_1423
; %bb.1421:
	global_load_ubyte v4, v[0:1], off
	s_movk_i32 s14, 0xff
	v_mov_b32_e32 v6, 0x7e00
	s_mov_b64 s[0:1], 0
	s_mov_b64 s[24:25], -1
	s_waitcnt vmcnt(0)
	v_lshlrev_b32_e32 v5, 23, v4
	v_cvt_f16_f32_e32 v5, v5
	v_cmp_ne_u32_e32 vcc, s14, v4
	v_cndmask_b32_e32 v5, v6, v5, vcc
	v_cmp_ne_u32_e32 vcc, 0, v4
	v_cndmask_b32_e32 v4, 0, v5, vcc
	s_branch .LBB158_1424
.LBB158_1422:
	s_mov_b64 s[26:27], -1
	s_mov_b64 s[24:25], 0
	s_mov_b64 s[0:1], 0
                                        ; implicit-def: $vgpr4
                                        ; implicit-def: $vgpr3
	s_branch .LBB158_1486
.LBB158_1423:
	s_mov_b64 s[0:1], -1
                                        ; implicit-def: $vgpr4
.LBB158_1424:
	v_mov_b32_e32 v5, 0
.LBB158_1425:
	s_mov_b64 s[26:27], 0
.LBB158_1426:
	s_and_b64 vcc, exec, s[26:27]
	s_cbranch_vccz .LBB158_1431
; %bb.1427:
	s_cmp_eq_u32 s30, 29
	s_cbranch_scc0 .LBB158_1429
; %bb.1428:
	global_load_dwordx2 v[4:5], v[0:1], off
	s_mov_b64 s[0:1], 0
	s_mov_b64 s[24:25], -1
	s_waitcnt vmcnt(0)
	v_ffbh_u32_e32 v6, v5
	v_min_u32_e32 v6, 32, v6
	v_lshlrev_b64 v[4:5], v6, v[4:5]
	v_min_u32_e32 v4, 1, v4
	v_or_b32_e32 v4, v5, v4
	v_cvt_f32_u32_e32 v4, v4
	v_sub_u32_e32 v5, 32, v6
	v_ldexp_f32 v4, v4, v5
	v_cvt_f16_f32_e32 v4, v4
	s_branch .LBB158_1430
.LBB158_1429:
	s_mov_b64 s[0:1], -1
                                        ; implicit-def: $vgpr4
.LBB158_1430:
	v_mov_b32_e32 v5, 0
.LBB158_1431:
	s_mov_b64 s[26:27], 0
.LBB158_1432:
	s_and_b64 vcc, exec, s[26:27]
	s_cbranch_vccz .LBB158_1450
; %bb.1433:
	s_cmp_lt_i32 s30, 27
	s_cbranch_scc1 .LBB158_1436
; %bb.1434:
	s_cmp_gt_i32 s30, 27
	s_cbranch_scc0 .LBB158_1437
; %bb.1435:
	global_load_dword v4, v[0:1], off
	s_mov_b64 s[24:25], 0
	s_waitcnt vmcnt(0)
	v_cvt_f32_u32_e32 v4, v4
	v_cvt_f16_f32_e32 v4, v4
	s_branch .LBB158_1438
.LBB158_1436:
	s_mov_b64 s[24:25], -1
                                        ; implicit-def: $vgpr4
	s_branch .LBB158_1441
.LBB158_1437:
	s_mov_b64 s[24:25], -1
                                        ; implicit-def: $vgpr4
.LBB158_1438:
	s_andn2_b64 vcc, exec, s[24:25]
	s_cbranch_vccnz .LBB158_1440
; %bb.1439:
	global_load_ushort v4, v[0:1], off
	s_waitcnt vmcnt(0)
	v_cvt_f16_u16_e32 v4, v4
.LBB158_1440:
	s_mov_b64 s[24:25], 0
.LBB158_1441:
	s_andn2_b64 vcc, exec, s[24:25]
	s_cbranch_vccnz .LBB158_1449
; %bb.1442:
	global_load_ubyte v5, v[0:1], off
	s_movk_i32 s14, 0x7f
	s_mov_b64 s[24:25], 0
	s_waitcnt vmcnt(0)
	v_cmp_lt_i16_e32 vcc, s14, v5
	s_and_saveexec_b64 s[26:27], vcc
	s_xor_b64 s[26:27], exec, s[26:27]
	s_cbranch_execz .LBB158_1462
; %bb.1443:
	s_movk_i32 s14, 0x80
	v_cmp_eq_u16_e32 vcc, s14, v5
	s_mov_b64 s[24:25], -1
	s_and_saveexec_b64 s[28:29], vcc
; %bb.1444:
	s_xor_b64 s[24:25], exec, -1
; %bb.1445:
	s_or_b64 exec, exec, s[28:29]
	s_and_b64 s[24:25], s[24:25], exec
	s_or_saveexec_b64 s[26:27], s[26:27]
	v_mov_b32_e32 v4, 0x7e00
	s_xor_b64 exec, exec, s[26:27]
	s_cbranch_execnz .LBB158_1463
.LBB158_1446:
	s_or_b64 exec, exec, s[26:27]
	s_and_saveexec_b64 s[26:27], s[24:25]
	s_cbranch_execz .LBB158_1448
.LBB158_1447:
	v_lshlrev_b32_e32 v4, 24, v5
	v_and_b32_e32 v5, 0xffff, v5
	v_and_b32_e32 v6, 7, v5
	v_ffbh_u32_e32 v8, v6
	v_min_u32_e32 v8, 32, v8
	v_subrev_u32_e32 v9, 28, v8
	v_bfe_u32 v7, v5, 3, 4
	v_lshlrev_b32_e32 v5, v9, v5
	v_sub_u32_e32 v8, 29, v8
	v_and_b32_e32 v5, 7, v5
	v_cmp_eq_u32_e32 vcc, 0, v7
	v_cndmask_b32_e32 v7, v7, v8, vcc
	v_cndmask_b32_e32 v5, v6, v5, vcc
	v_mov_b32_e32 v6, 0x3b800000
	v_lshlrev_b32_e32 v5, 20, v5
	v_and_b32_e32 v4, 0x80000000, v4
	v_lshl_add_u32 v6, v7, 23, v6
	v_or3_b32 v4, v4, v6, v5
	v_cvt_f16_f32_e32 v4, v4
.LBB158_1448:
	s_or_b64 exec, exec, s[26:27]
.LBB158_1449:
	s_mov_b64 s[24:25], -1
	v_mov_b32_e32 v5, 0
.LBB158_1450:
	s_branch .LBB158_1345
.LBB158_1451:
	s_cmp_gt_i32 s30, 22
	s_cbranch_scc0 .LBB158_1461
; %bb.1452:
	s_cmp_lt_i32 s30, 24
	s_cbranch_scc1 .LBB158_1464
; %bb.1453:
	s_cmp_gt_i32 s30, 24
	s_cbranch_scc0 .LBB158_1465
; %bb.1454:
	global_load_ubyte v5, v[0:1], off
	s_movk_i32 s14, 0x7f
	s_waitcnt vmcnt(0)
	v_cmp_lt_i16_e32 vcc, s14, v5
	s_and_saveexec_b64 s[24:25], vcc
	s_xor_b64 s[24:25], exec, s[24:25]
	s_cbranch_execz .LBB158_1477
; %bb.1455:
	s_movk_i32 s14, 0x80
	v_cmp_eq_u16_e32 vcc, s14, v5
	s_mov_b64 s[20:21], -1
	s_and_saveexec_b64 s[26:27], vcc
; %bb.1456:
	s_xor_b64 s[20:21], exec, -1
; %bb.1457:
	s_or_b64 exec, exec, s[26:27]
	s_and_b64 s[20:21], s[20:21], exec
	s_or_saveexec_b64 s[24:25], s[24:25]
	v_mov_b32_e32 v4, 0x7e00
	s_xor_b64 exec, exec, s[24:25]
	s_cbranch_execnz .LBB158_1478
.LBB158_1458:
	s_or_b64 exec, exec, s[24:25]
	s_and_saveexec_b64 s[24:25], s[20:21]
	s_cbranch_execz .LBB158_1460
.LBB158_1459:
	v_lshlrev_b32_e32 v4, 24, v5
	v_and_b32_e32 v5, 0xffff, v5
	v_and_b32_e32 v6, 3, v5
	v_ffbh_u32_e32 v8, v6
	v_min_u32_e32 v8, 32, v8
	v_subrev_u32_e32 v9, 29, v8
	v_bfe_u32 v7, v5, 2, 5
	v_lshlrev_b32_e32 v5, v9, v5
	v_sub_u32_e32 v8, 30, v8
	v_and_b32_e32 v5, 3, v5
	v_cmp_eq_u32_e32 vcc, 0, v7
	v_cndmask_b32_e32 v7, v7, v8, vcc
	v_cndmask_b32_e32 v5, v6, v5, vcc
	v_mov_b32_e32 v6, 0x37800000
	v_lshlrev_b32_e32 v5, 21, v5
	v_and_b32_e32 v4, 0x80000000, v4
	v_lshl_add_u32 v6, v7, 23, v6
	v_or3_b32 v4, v4, v6, v5
	v_cvt_f16_f32_e32 v4, v4
.LBB158_1460:
	s_or_b64 exec, exec, s[24:25]
	s_mov_b64 s[20:21], 0
	s_branch .LBB158_1466
.LBB158_1461:
	s_mov_b64 s[20:21], -1
                                        ; implicit-def: $vgpr4
	s_branch .LBB158_1472
.LBB158_1462:
	s_or_saveexec_b64 s[26:27], s[26:27]
	v_mov_b32_e32 v4, 0x7e00
	s_xor_b64 exec, exec, s[26:27]
	s_cbranch_execz .LBB158_1446
.LBB158_1463:
	v_cmp_ne_u16_e32 vcc, 0, v5
	s_andn2_b64 s[24:25], s[24:25], exec
	s_and_b64 s[28:29], vcc, exec
	s_or_b64 s[24:25], s[24:25], s[28:29]
	v_mov_b32_e32 v4, v5
	s_or_b64 exec, exec, s[26:27]
	s_and_saveexec_b64 s[26:27], s[24:25]
	s_cbranch_execnz .LBB158_1447
	s_branch .LBB158_1448
.LBB158_1464:
	s_mov_b64 s[20:21], -1
                                        ; implicit-def: $vgpr4
	s_branch .LBB158_1469
.LBB158_1465:
	s_mov_b64 s[20:21], -1
                                        ; implicit-def: $vgpr4
.LBB158_1466:
	s_and_b64 vcc, exec, s[20:21]
	s_cbranch_vccz .LBB158_1468
; %bb.1467:
	global_load_ubyte v4, v[0:1], off
	s_mov_b32 s14, 0x7f800000
	s_waitcnt vmcnt(0)
	v_lshlrev_b32_e32 v4, 24, v4
	v_and_b32_e32 v5, 0x7f000000, v4
	v_ffbh_u32_e32 v6, v5
	v_min_u32_e32 v6, 32, v6
	v_sub_u32_e64 v6, v6, 4 clamp
	v_lshlrev_b32_e32 v8, v6, v5
	v_lshlrev_b32_e32 v6, 23, v6
	v_lshrrev_b32_e32 v8, 4, v8
	v_add_u32_e32 v7, 0x1000000, v5
	v_sub_u32_e32 v6, v8, v6
	v_ashrrev_i32_e32 v7, 8, v7
	v_add_u32_e32 v6, 0x3c000000, v6
	v_and_or_b32 v6, v7, s14, v6
	v_cmp_ne_u32_e32 vcc, 0, v5
	v_cndmask_b32_e32 v5, 0, v6, vcc
	s_brev_b32 s14, 1
	v_and_or_b32 v4, v4, s14, v5
	v_cvt_f16_f32_e32 v4, v4
.LBB158_1468:
	s_mov_b64 s[20:21], 0
.LBB158_1469:
	s_andn2_b64 vcc, exec, s[20:21]
	s_cbranch_vccnz .LBB158_1471
; %bb.1470:
	global_load_ubyte v4, v[0:1], off
	s_movk_i32 s14, 0x7f00
	s_brev_b32 s20, 16
	s_waitcnt vmcnt(0)
	v_lshlrev_b16_e32 v5, 8, v4
	v_lshlrev_b32_e32 v4, 25, v4
	v_lshrrev_b32_e32 v6, 4, v4
	v_and_or_b32 v7, v5, s14, 0.5
	v_or_b32_e32 v6, 0x70000000, v6
	v_add_f32_e32 v7, -0.5, v7
	v_mul_f32_e32 v6, 0x7800000, v6
	v_cmp_gt_u32_e32 vcc, s20, v4
	v_bfe_i32 v5, v5, 0, 16
	v_cndmask_b32_e32 v4, v6, v7, vcc
	s_brev_b32 s14, 1
	v_and_or_b32 v4, v5, s14, v4
	v_cvt_f16_f32_e32 v4, v4
.LBB158_1471:
	s_mov_b64 s[20:21], 0
	s_mov_b64 s[24:25], -1
.LBB158_1472:
	s_andn2_b64 vcc, exec, s[20:21]
	s_mov_b64 s[20:21], 0
	s_cbranch_vccnz .LBB158_1483
; %bb.1473:
	s_cmp_gt_i32 s30, 14
	s_cbranch_scc0 .LBB158_1476
; %bb.1474:
	s_cmp_eq_u32 s30, 15
	s_cbranch_scc0 .LBB158_1479
; %bb.1475:
	global_load_ushort v4, v[0:1], off
	s_mov_b64 s[0:1], 0
	s_mov_b64 s[24:25], -1
	s_waitcnt vmcnt(0)
	v_lshlrev_b32_e32 v4, 16, v4
	v_cvt_f16_f32_e32 v4, v4
	s_branch .LBB158_1480
.LBB158_1476:
	s_mov_b64 s[26:27], -1
                                        ; implicit-def: $vgpr4
	s_branch .LBB158_1481
.LBB158_1477:
	s_or_saveexec_b64 s[24:25], s[24:25]
	v_mov_b32_e32 v4, 0x7e00
	s_xor_b64 exec, exec, s[24:25]
	s_cbranch_execz .LBB158_1458
.LBB158_1478:
	v_cmp_ne_u16_e32 vcc, 0, v5
	s_andn2_b64 s[20:21], s[20:21], exec
	s_and_b64 s[26:27], vcc, exec
	s_or_b64 s[20:21], s[20:21], s[26:27]
	v_mov_b32_e32 v4, v5
	s_or_b64 exec, exec, s[24:25]
	s_and_saveexec_b64 s[24:25], s[20:21]
	s_cbranch_execnz .LBB158_1459
	s_branch .LBB158_1460
.LBB158_1479:
	s_mov_b64 s[0:1], -1
                                        ; implicit-def: $vgpr4
.LBB158_1480:
	s_mov_b64 s[26:27], 0
.LBB158_1481:
	s_and_b64 vcc, exec, s[26:27]
	s_cbranch_vccz .LBB158_1483
; %bb.1482:
	s_cmp_lg_u32 s30, 11
	s_mov_b64 s[20:21], -1
	s_cselect_b64 s[0:1], -1, 0
.LBB158_1483:
	v_mov_b32_e32 v5, 0
	s_and_b64 vcc, exec, s[0:1]
	s_cbranch_vccz .LBB158_1346
.LBB158_1484:
	s_trap 2
	s_or_b64 s[16:17], s[16:17], exec
	s_cbranch_execz .LBB158_1347
	s_branch .LBB158_1348
.LBB158_1485:
	s_mov_b64 s[0:1], -1
                                        ; implicit-def: $vgpr4
                                        ; implicit-def: $vgpr3
	s_mov_b64 s[24:25], 0
.LBB158_1486:
	s_and_b64 vcc, exec, s[26:27]
	s_cbranch_vccz .LBB158_1491
; %bb.1487:
	s_cmp_eq_u32 s30, 44
	s_cbranch_scc0 .LBB158_1489
; %bb.1488:
	global_load_ubyte v3, v[0:1], off
	s_movk_i32 s13, 0xff
	v_mov_b32_e32 v5, 0x7e00
	s_mov_b64 s[0:1], 0
	s_mov_b64 s[24:25], -1
	s_waitcnt vmcnt(0)
	v_lshlrev_b32_e32 v4, 23, v3
	v_cvt_f16_f32_e32 v4, v4
	v_cmp_ne_u32_e32 vcc, s13, v3
	v_cndmask_b32_e32 v4, v5, v4, vcc
	v_cmp_ne_u32_e32 vcc, 0, v3
	v_cndmask_b32_e32 v3, 0, v4, vcc
	s_branch .LBB158_1490
.LBB158_1489:
	s_mov_b64 s[0:1], -1
                                        ; implicit-def: $vgpr3
.LBB158_1490:
	s_waitcnt vmcnt(0)
	v_mov_b32_e32 v4, 0
.LBB158_1491:
	s_mov_b64 s[26:27], 0
.LBB158_1492:
	s_and_b64 vcc, exec, s[26:27]
	s_cbranch_vccz .LBB158_1497
; %bb.1493:
	s_cmp_eq_u32 s30, 29
	s_cbranch_scc0 .LBB158_1495
; %bb.1494:
	global_load_dwordx2 v[3:4], v[0:1], off
	s_mov_b64 s[0:1], 0
	s_mov_b64 s[24:25], -1
	s_waitcnt vmcnt(0)
	v_ffbh_u32_e32 v5, v4
	v_min_u32_e32 v5, 32, v5
	v_lshlrev_b64 v[3:4], v5, v[3:4]
	v_min_u32_e32 v3, 1, v3
	v_or_b32_e32 v3, v4, v3
	v_cvt_f32_u32_e32 v3, v3
	v_sub_u32_e32 v4, 32, v5
	v_ldexp_f32 v3, v3, v4
	v_cvt_f16_f32_e32 v3, v3
	s_branch .LBB158_1496
.LBB158_1495:
	s_mov_b64 s[0:1], -1
                                        ; implicit-def: $vgpr3
.LBB158_1496:
	s_waitcnt vmcnt(0)
	v_mov_b32_e32 v4, 0
.LBB158_1497:
	s_mov_b64 s[26:27], 0
.LBB158_1498:
	s_and_b64 vcc, exec, s[26:27]
	s_cbranch_vccz .LBB158_1516
; %bb.1499:
	s_cmp_lt_i32 s30, 27
	s_cbranch_scc1 .LBB158_1502
; %bb.1500:
	s_cmp_gt_i32 s30, 27
	s_cbranch_scc0 .LBB158_1503
; %bb.1501:
	global_load_dword v3, v[0:1], off
	s_mov_b64 s[24:25], 0
	s_waitcnt vmcnt(0)
	v_cvt_f32_u32_e32 v3, v3
	v_cvt_f16_f32_e32 v3, v3
	s_branch .LBB158_1504
.LBB158_1502:
	s_mov_b64 s[24:25], -1
                                        ; implicit-def: $vgpr3
	s_branch .LBB158_1507
.LBB158_1503:
	s_mov_b64 s[24:25], -1
                                        ; implicit-def: $vgpr3
.LBB158_1504:
	s_andn2_b64 vcc, exec, s[24:25]
	s_cbranch_vccnz .LBB158_1506
; %bb.1505:
	global_load_ushort v3, v[0:1], off
	s_waitcnt vmcnt(0)
	v_cvt_f16_u16_e32 v3, v3
.LBB158_1506:
	s_mov_b64 s[24:25], 0
.LBB158_1507:
	s_andn2_b64 vcc, exec, s[24:25]
	s_cbranch_vccnz .LBB158_1515
; %bb.1508:
	global_load_ubyte v4, v[0:1], off
	s_movk_i32 s13, 0x7f
	s_mov_b64 s[24:25], 0
	s_waitcnt vmcnt(0)
	v_cmp_lt_i16_e32 vcc, s13, v4
	s_and_saveexec_b64 s[26:27], vcc
	s_xor_b64 s[26:27], exec, s[26:27]
	s_cbranch_execz .LBB158_1541
; %bb.1509:
	s_movk_i32 s13, 0x80
	v_cmp_eq_u16_e32 vcc, s13, v4
	s_mov_b64 s[24:25], -1
	s_and_saveexec_b64 s[28:29], vcc
; %bb.1510:
	s_xor_b64 s[24:25], exec, -1
; %bb.1511:
	s_or_b64 exec, exec, s[28:29]
	s_and_b64 s[24:25], s[24:25], exec
	s_or_saveexec_b64 s[26:27], s[26:27]
	v_mov_b32_e32 v3, 0x7e00
	s_xor_b64 exec, exec, s[26:27]
	s_cbranch_execnz .LBB158_1542
.LBB158_1512:
	s_or_b64 exec, exec, s[26:27]
	s_and_saveexec_b64 s[26:27], s[24:25]
	s_cbranch_execz .LBB158_1514
.LBB158_1513:
	v_lshlrev_b32_e32 v3, 24, v4
	v_and_b32_e32 v4, 0xffff, v4
	v_and_b32_e32 v5, 7, v4
	v_ffbh_u32_e32 v7, v5
	v_min_u32_e32 v7, 32, v7
	v_subrev_u32_e32 v8, 28, v7
	v_bfe_u32 v6, v4, 3, 4
	v_lshlrev_b32_e32 v4, v8, v4
	v_sub_u32_e32 v7, 29, v7
	v_and_b32_e32 v4, 7, v4
	v_cmp_eq_u32_e32 vcc, 0, v6
	v_cndmask_b32_e32 v6, v6, v7, vcc
	v_cndmask_b32_e32 v4, v5, v4, vcc
	v_mov_b32_e32 v5, 0x3b800000
	v_lshlrev_b32_e32 v4, 20, v4
	v_and_b32_e32 v3, 0x80000000, v3
	v_lshl_add_u32 v5, v6, 23, v5
	v_or3_b32 v3, v3, v5, v4
	v_cvt_f16_f32_e32 v3, v3
.LBB158_1514:
	s_or_b64 exec, exec, s[26:27]
.LBB158_1515:
	s_mov_b64 s[24:25], -1
	s_waitcnt vmcnt(0)
	v_mov_b32_e32 v4, 0
.LBB158_1516:
	s_mov_b64 s[26:27], 0
.LBB158_1517:
	s_and_b64 vcc, exec, s[26:27]
	s_cbranch_vccz .LBB158_1528
; %bb.1518:
	s_cmp_gt_i32 s30, 22
	s_cbranch_scc0 .LBB158_1539
; %bb.1519:
	s_cmp_lt_i32 s30, 24
	s_cbranch_scc1 .LBB158_1543
; %bb.1520:
	s_cmp_gt_i32 s30, 24
	s_cbranch_scc0 .LBB158_1545
; %bb.1521:
	global_load_ubyte v4, v[0:1], off
	s_movk_i32 s10, 0x7f
	s_waitcnt vmcnt(0)
	v_cmp_lt_i16_e32 vcc, s10, v4
	s_mov_b64 s[10:11], 0
	s_and_saveexec_b64 s[24:25], vcc
	s_xor_b64 s[24:25], exec, s[24:25]
	s_cbranch_execz .LBB158_1557
; %bb.1522:
	s_movk_i32 s10, 0x80
	v_cmp_eq_u16_e32 vcc, s10, v4
	s_mov_b64 s[10:11], -1
	s_and_saveexec_b64 s[26:27], vcc
; %bb.1523:
	s_xor_b64 s[10:11], exec, -1
; %bb.1524:
	s_or_b64 exec, exec, s[26:27]
	s_and_b64 s[10:11], s[10:11], exec
	s_or_saveexec_b64 s[24:25], s[24:25]
	v_mov_b32_e32 v3, 0x7e00
	s_xor_b64 exec, exec, s[24:25]
	s_cbranch_execnz .LBB158_1558
.LBB158_1525:
	s_or_b64 exec, exec, s[24:25]
	s_and_saveexec_b64 s[24:25], s[10:11]
	s_cbranch_execz .LBB158_1527
.LBB158_1526:
	v_lshlrev_b32_e32 v3, 24, v4
	v_and_b32_e32 v4, 0xffff, v4
	v_and_b32_e32 v5, 3, v4
	v_ffbh_u32_e32 v7, v5
	v_min_u32_e32 v7, 32, v7
	v_subrev_u32_e32 v8, 29, v7
	v_bfe_u32 v6, v4, 2, 5
	v_lshlrev_b32_e32 v4, v8, v4
	v_sub_u32_e32 v7, 30, v7
	v_and_b32_e32 v4, 3, v4
	v_cmp_eq_u32_e32 vcc, 0, v6
	v_cndmask_b32_e32 v6, v6, v7, vcc
	v_cndmask_b32_e32 v4, v5, v4, vcc
	v_mov_b32_e32 v5, 0x37800000
	v_lshlrev_b32_e32 v4, 21, v4
	v_and_b32_e32 v3, 0x80000000, v3
	v_lshl_add_u32 v5, v6, 23, v5
	v_or3_b32 v3, v3, v5, v4
	v_cvt_f16_f32_e32 v3, v3
.LBB158_1527:
	s_or_b64 exec, exec, s[24:25]
	s_mov_b64 s[10:11], 0
	s_branch .LBB158_1546
.LBB158_1528:
	s_and_b64 vcc, exec, s[0:1]
	s_cbranch_vccnz .LBB158_1576
.LBB158_1529:
	s_andn2_b64 vcc, exec, s[10:11]
	s_cbranch_vccnz .LBB158_1531
.LBB158_1530:
	global_load_ubyte v3, v[0:1], off
	v_mov_b32_e32 v5, 0x3c00
	s_waitcnt vmcnt(1)
	v_mov_b32_e32 v4, 0
	s_mov_b64 s[24:25], -1
	s_waitcnt vmcnt(0)
	v_cmp_ne_u16_e32 vcc, 0, v3
	v_cndmask_b32_e32 v3, 0, v5, vcc
.LBB158_1531:
	s_mov_b64 s[0:1], 0
.LBB158_1532:
	s_and_b64 vcc, exec, s[0:1]
	s_cbranch_vccz .LBB158_1607
; %bb.1533:
	s_cmp_lt_i32 s30, 5
	s_cbranch_scc1 .LBB158_1538
; %bb.1534:
	s_cmp_lt_i32 s30, 8
	s_cbranch_scc1 .LBB158_1540
; %bb.1535:
	s_cmp_lt_i32 s30, 9
	s_cbranch_scc1 .LBB158_1544
; %bb.1536:
	s_cmp_gt_i32 s30, 9
	s_cbranch_scc0 .LBB158_1559
; %bb.1537:
	global_load_dwordx4 v[3:6], v[0:1], off
	s_movk_i32 s0, 0x1ff
	s_movk_i32 s1, 0xffe
	v_mov_b32_e32 v7, 0x7c00
	v_mov_b32_e32 v8, 0x7e00
	s_movk_i32 s10, 0x40f
	s_mov_b32 s11, 0x8000
	s_waitcnt vmcnt(0)
	v_and_or_b32 v3, v4, s0, v3
	v_and_or_b32 v5, v6, s0, v5
	v_cmp_ne_u32_e32 vcc, 0, v3
	v_lshrrev_b32_e32 v9, 8, v4
	v_cndmask_b32_e64 v3, 0, 1, vcc
	v_cmp_ne_u32_e32 vcc, 0, v5
	v_bfe_u32 v10, v4, 20, 11
	v_lshrrev_b32_e32 v11, 8, v6
	v_bfe_u32 v12, v6, 20, 11
	v_cndmask_b32_e64 v5, 0, 1, vcc
	v_and_or_b32 v3, v9, s1, v3
	v_sub_u32_e32 v13, 0x3f1, v10
	v_add_u32_e32 v10, 0xfffffc10, v10
	v_sub_u32_e32 v14, 0x3f1, v12
	v_and_or_b32 v5, v11, s1, v5
	v_cmp_ne_u32_e32 vcc, 0, v3
	v_add_u32_e32 v12, 0xfffffc10, v12
	v_med3_i32 v9, v13, 0, 13
	v_med3_i32 v11, v14, 0, 13
	v_or_b32_e32 v13, 0x1000, v3
	v_lshl_or_b32 v14, v10, 12, v3
	v_cndmask_b32_e32 v3, v7, v8, vcc
	v_cmp_ne_u32_e32 vcc, 0, v5
	v_or_b32_e32 v15, 0x1000, v5
	v_lshl_or_b32 v16, v12, 12, v5
	v_cndmask_b32_e32 v5, v7, v8, vcc
	v_lshrrev_b32_e32 v8, v9, v13
	v_lshrrev_b32_e32 v17, v11, v15
	v_lshlrev_b32_e32 v9, v9, v8
	v_lshlrev_b32_e32 v11, v11, v17
	v_cmp_ne_u32_e32 vcc, v9, v13
	v_cndmask_b32_e64 v9, 0, 1, vcc
	v_cmp_ne_u32_e32 vcc, v11, v15
	v_cndmask_b32_e64 v11, 0, 1, vcc
	v_or_b32_e32 v8, v8, v9
	v_cmp_gt_i32_e32 vcc, 1, v10
	v_cndmask_b32_e32 v8, v14, v8, vcc
	v_or_b32_e32 v9, v17, v11
	v_cmp_gt_i32_e32 vcc, 1, v12
	v_and_b32_e32 v11, 7, v8
	v_cndmask_b32_e32 v9, v16, v9, vcc
	v_cmp_lt_i32_e32 vcc, 5, v11
	v_and_b32_e32 v13, 7, v9
	v_cndmask_b32_e64 v14, 0, 1, vcc
	v_cmp_eq_u32_e32 vcc, 3, v11
	v_cndmask_b32_e64 v11, 0, 1, vcc
	v_cmp_lt_i32_e32 vcc, 5, v13
	v_cndmask_b32_e64 v15, 0, 1, vcc
	v_cmp_eq_u32_e32 vcc, 3, v13
	v_lshrrev_b32_e32 v8, 2, v8
	v_cndmask_b32_e64 v13, 0, 1, vcc
	v_or_b32_e32 v11, v11, v14
	v_lshrrev_b32_e32 v9, 2, v9
	v_or_b32_e32 v13, v13, v15
	v_add_u32_e32 v8, v8, v11
	v_cmp_gt_i32_e32 vcc, 31, v10
	v_add_u32_e32 v9, v9, v13
	v_cndmask_b32_e32 v8, v7, v8, vcc
	v_cmp_gt_i32_e32 vcc, 31, v12
	v_cndmask_b32_e32 v7, v7, v9, vcc
	v_cmp_eq_u32_e32 vcc, s10, v10
	v_cndmask_b32_e32 v3, v8, v3, vcc
	v_cmp_eq_u32_e32 vcc, s10, v12
	v_lshrrev_b32_e32 v4, 16, v4
	v_lshrrev_b32_e32 v6, 16, v6
	v_cndmask_b32_e32 v5, v7, v5, vcc
	v_and_or_b32 v3, v4, s11, v3
	v_and_or_b32 v4, v6, s11, v5
	s_mov_b64 s[0:1], 0
	s_branch .LBB158_1560
.LBB158_1538:
	s_mov_b64 s[0:1], -1
                                        ; implicit-def: $vgpr4
                                        ; implicit-def: $vgpr3
	s_branch .LBB158_1585
.LBB158_1539:
	s_mov_b64 s[10:11], -1
                                        ; implicit-def: $vgpr3
	s_branch .LBB158_1552
.LBB158_1540:
	s_mov_b64 s[0:1], -1
                                        ; implicit-def: $vgpr4
                                        ; implicit-def: $vgpr3
	s_branch .LBB158_1566
.LBB158_1541:
	s_or_saveexec_b64 s[26:27], s[26:27]
	v_mov_b32_e32 v3, 0x7e00
	s_xor_b64 exec, exec, s[26:27]
	s_cbranch_execz .LBB158_1512
.LBB158_1542:
	v_cmp_ne_u16_e32 vcc, 0, v4
	s_andn2_b64 s[24:25], s[24:25], exec
	s_and_b64 s[28:29], vcc, exec
	s_or_b64 s[24:25], s[24:25], s[28:29]
	v_mov_b32_e32 v3, v4
	s_or_b64 exec, exec, s[26:27]
	s_and_saveexec_b64 s[26:27], s[24:25]
	s_cbranch_execnz .LBB158_1513
	s_branch .LBB158_1514
.LBB158_1543:
	s_mov_b64 s[10:11], -1
                                        ; implicit-def: $vgpr3
	s_branch .LBB158_1549
.LBB158_1544:
	s_mov_b64 s[0:1], -1
                                        ; implicit-def: $vgpr4
                                        ; implicit-def: $vgpr3
	s_branch .LBB158_1563
.LBB158_1545:
	s_mov_b64 s[10:11], -1
                                        ; implicit-def: $vgpr3
.LBB158_1546:
	s_and_b64 vcc, exec, s[10:11]
	s_cbranch_vccz .LBB158_1548
; %bb.1547:
	global_load_ubyte v3, v[0:1], off
	s_mov_b32 s10, 0x7f800000
	s_waitcnt vmcnt(0)
	v_lshlrev_b32_e32 v3, 24, v3
	v_and_b32_e32 v4, 0x7f000000, v3
	v_ffbh_u32_e32 v5, v4
	v_min_u32_e32 v5, 32, v5
	v_sub_u32_e64 v5, v5, 4 clamp
	v_lshlrev_b32_e32 v7, v5, v4
	v_lshlrev_b32_e32 v5, 23, v5
	v_lshrrev_b32_e32 v7, 4, v7
	v_add_u32_e32 v6, 0x1000000, v4
	v_sub_u32_e32 v5, v7, v5
	v_ashrrev_i32_e32 v6, 8, v6
	v_add_u32_e32 v5, 0x3c000000, v5
	v_and_or_b32 v5, v6, s10, v5
	v_cmp_ne_u32_e32 vcc, 0, v4
	v_cndmask_b32_e32 v4, 0, v5, vcc
	s_brev_b32 s10, 1
	v_and_or_b32 v3, v3, s10, v4
	v_cvt_f16_f32_e32 v3, v3
.LBB158_1548:
	s_mov_b64 s[10:11], 0
.LBB158_1549:
	s_andn2_b64 vcc, exec, s[10:11]
	s_cbranch_vccnz .LBB158_1551
; %bb.1550:
	global_load_ubyte v3, v[0:1], off
	s_movk_i32 s10, 0x7f00
	s_brev_b32 s11, 16
	s_waitcnt vmcnt(0)
	v_lshlrev_b16_e32 v4, 8, v3
	v_lshlrev_b32_e32 v3, 25, v3
	v_lshrrev_b32_e32 v5, 4, v3
	v_and_or_b32 v6, v4, s10, 0.5
	v_or_b32_e32 v5, 0x70000000, v5
	v_add_f32_e32 v6, -0.5, v6
	v_mul_f32_e32 v5, 0x7800000, v5
	v_cmp_gt_u32_e32 vcc, s11, v3
	v_bfe_i32 v4, v4, 0, 16
	v_cndmask_b32_e32 v3, v5, v6, vcc
	s_brev_b32 s10, 1
	v_and_or_b32 v3, v4, s10, v3
	v_cvt_f16_f32_e32 v3, v3
.LBB158_1551:
	s_mov_b64 s[10:11], 0
	s_mov_b64 s[24:25], -1
.LBB158_1552:
	s_andn2_b64 vcc, exec, s[10:11]
	s_mov_b64 s[10:11], 0
	s_cbranch_vccnz .LBB158_1575
; %bb.1553:
	s_cmp_gt_i32 s30, 14
	s_cbranch_scc0 .LBB158_1556
; %bb.1554:
	s_cmp_eq_u32 s30, 15
	s_cbranch_scc0 .LBB158_1571
; %bb.1555:
	global_load_ushort v3, v[0:1], off
	s_mov_b64 s[0:1], 0
	s_mov_b64 s[24:25], -1
	s_waitcnt vmcnt(0)
	v_lshlrev_b32_e32 v3, 16, v3
	v_cvt_f16_f32_e32 v3, v3
	s_branch .LBB158_1572
.LBB158_1556:
	s_mov_b64 s[26:27], -1
                                        ; implicit-def: $vgpr3
	s_branch .LBB158_1573
.LBB158_1557:
	s_or_saveexec_b64 s[24:25], s[24:25]
	v_mov_b32_e32 v3, 0x7e00
	s_xor_b64 exec, exec, s[24:25]
	s_cbranch_execz .LBB158_1525
.LBB158_1558:
	v_cmp_ne_u16_e32 vcc, 0, v4
	s_andn2_b64 s[10:11], s[10:11], exec
	s_and_b64 s[26:27], vcc, exec
	s_or_b64 s[10:11], s[10:11], s[26:27]
	v_mov_b32_e32 v3, v4
	s_or_b64 exec, exec, s[24:25]
	s_and_saveexec_b64 s[24:25], s[10:11]
	s_cbranch_execnz .LBB158_1526
	s_branch .LBB158_1527
.LBB158_1559:
	s_mov_b64 s[0:1], -1
                                        ; implicit-def: $vgpr4
                                        ; implicit-def: $vgpr3
.LBB158_1560:
	s_andn2_b64 vcc, exec, s[0:1]
	s_cbranch_vccnz .LBB158_1562
; %bb.1561:
	global_load_dwordx2 v[3:4], v[0:1], off
	s_waitcnt vmcnt(0)
	v_cvt_f16_f32_e32 v3, v3
	v_cvt_f16_f32_e32 v4, v4
.LBB158_1562:
	s_mov_b64 s[0:1], 0
.LBB158_1563:
	s_andn2_b64 vcc, exec, s[0:1]
	s_cbranch_vccnz .LBB158_1565
; %bb.1564:
	global_load_dword v3, v[0:1], off
	s_waitcnt vmcnt(0)
	v_lshrrev_b32_e32 v4, 16, v3
.LBB158_1565:
	s_mov_b64 s[0:1], 0
.LBB158_1566:
	s_andn2_b64 vcc, exec, s[0:1]
	s_cbranch_vccnz .LBB158_1584
; %bb.1567:
	s_cmp_lt_i32 s30, 6
	s_cbranch_scc1 .LBB158_1570
; %bb.1568:
	s_cmp_gt_i32 s30, 6
	s_cbranch_scc0 .LBB158_1577
; %bb.1569:
	global_load_dwordx2 v[3:4], v[0:1], off
	s_movk_i32 s0, 0x1ff
	s_movk_i32 s1, 0xffe
	v_mov_b32_e32 v5, 0x7c00
	v_mov_b32_e32 v6, 0x7e00
	s_movk_i32 s10, 0x40f
	s_mov_b32 s11, 0x8000
	s_waitcnt vmcnt(0)
	v_and_or_b32 v3, v4, s0, v3
	v_cmp_ne_u32_e32 vcc, 0, v3
	v_lshrrev_b32_e32 v7, 8, v4
	v_bfe_u32 v8, v4, 20, 11
	v_cndmask_b32_e64 v3, 0, 1, vcc
	v_sub_u32_e32 v9, 0x3f1, v8
	v_and_or_b32 v3, v7, s1, v3
	v_add_u32_e32 v8, 0xfffffc10, v8
	v_med3_i32 v7, v9, 0, 13
	v_or_b32_e32 v9, 0x1000, v3
	v_cmp_ne_u32_e32 vcc, 0, v3
	v_lshl_or_b32 v10, v8, 12, v3
	v_cndmask_b32_e32 v3, v5, v6, vcc
	v_lshrrev_b32_e32 v6, v7, v9
	v_lshlrev_b32_e32 v7, v7, v6
	v_cmp_ne_u32_e32 vcc, v7, v9
	v_cndmask_b32_e64 v7, 0, 1, vcc
	v_or_b32_e32 v6, v6, v7
	v_cmp_gt_i32_e32 vcc, 1, v8
	v_cndmask_b32_e32 v6, v10, v6, vcc
	v_and_b32_e32 v7, 7, v6
	v_cmp_lt_i32_e32 vcc, 5, v7
	v_cndmask_b32_e64 v9, 0, 1, vcc
	v_cmp_eq_u32_e32 vcc, 3, v7
	v_cndmask_b32_e64 v7, 0, 1, vcc
	v_lshrrev_b32_e32 v6, 2, v6
	v_or_b32_e32 v7, v7, v9
	v_add_u32_e32 v6, v6, v7
	v_cmp_gt_i32_e32 vcc, 31, v8
	v_cndmask_b32_e32 v5, v5, v6, vcc
	v_cmp_eq_u32_e32 vcc, s10, v8
	v_lshrrev_b32_e32 v4, 16, v4
	v_cndmask_b32_e32 v3, v5, v3, vcc
	v_and_or_b32 v3, v4, s11, v3
	s_mov_b64 s[0:1], 0
	s_branch .LBB158_1578
.LBB158_1570:
	s_mov_b64 s[0:1], -1
                                        ; implicit-def: $vgpr3
	s_branch .LBB158_1581
.LBB158_1571:
	s_mov_b64 s[0:1], -1
                                        ; implicit-def: $vgpr3
.LBB158_1572:
	s_mov_b64 s[26:27], 0
.LBB158_1573:
	s_and_b64 vcc, exec, s[26:27]
	s_cbranch_vccz .LBB158_1575
; %bb.1574:
	s_cmp_lg_u32 s30, 11
	s_mov_b64 s[10:11], -1
	s_cselect_b64 s[0:1], -1, 0
.LBB158_1575:
	s_waitcnt vmcnt(0)
	v_mov_b32_e32 v4, 0
	s_and_b64 vcc, exec, s[0:1]
	s_cbranch_vccz .LBB158_1529
.LBB158_1576:
	s_trap 2
	s_or_b64 s[16:17], s[16:17], exec
	s_cbranch_execz .LBB158_1530
	s_branch .LBB158_1531
.LBB158_1577:
	s_mov_b64 s[0:1], -1
                                        ; implicit-def: $vgpr3
.LBB158_1578:
	s_andn2_b64 vcc, exec, s[0:1]
	s_cbranch_vccnz .LBB158_1580
; %bb.1579:
	global_load_dword v3, v[0:1], off
	s_waitcnt vmcnt(0)
	v_cvt_f16_f32_e32 v3, v3
.LBB158_1580:
	s_mov_b64 s[0:1], 0
.LBB158_1581:
	s_andn2_b64 vcc, exec, s[0:1]
	s_cbranch_vccnz .LBB158_1583
; %bb.1582:
	global_load_ushort v3, v[0:1], off
.LBB158_1583:
	s_waitcnt vmcnt(0)
	v_mov_b32_e32 v4, 0
.LBB158_1584:
	s_mov_b64 s[0:1], 0
.LBB158_1585:
	s_andn2_b64 vcc, exec, s[0:1]
	s_cbranch_vccnz .LBB158_1606
; %bb.1586:
	s_cmp_lt_i32 s30, 2
	s_cbranch_scc1 .LBB158_1590
; %bb.1587:
	s_cmp_lt_i32 s30, 3
	s_cbranch_scc1 .LBB158_1591
; %bb.1588:
	s_cmp_gt_i32 s30, 3
	s_cbranch_scc0 .LBB158_1592
; %bb.1589:
	global_load_dwordx2 v[3:4], v[0:1], off
	s_mov_b64 s[0:1], 0
	s_waitcnt vmcnt(0)
	v_xor_b32_e32 v6, v3, v4
	v_ffbh_i32_e32 v5, v4
	v_ashrrev_i32_e32 v6, 31, v6
	v_add_u32_e32 v5, -1, v5
	v_add_u32_e32 v6, 32, v6
	v_min_u32_e32 v5, v5, v6
	v_lshlrev_b64 v[3:4], v5, v[3:4]
	v_min_u32_e32 v3, 1, v3
	v_or_b32_e32 v3, v4, v3
	v_cvt_f32_i32_e32 v3, v3
	v_sub_u32_e32 v4, 32, v5
	v_ldexp_f32 v3, v3, v4
	v_cvt_f16_f32_e32 v3, v3
	s_branch .LBB158_1593
.LBB158_1590:
	s_mov_b64 s[0:1], -1
                                        ; implicit-def: $vgpr3
	s_branch .LBB158_1599
.LBB158_1591:
	s_mov_b64 s[0:1], -1
                                        ; implicit-def: $vgpr3
	s_branch .LBB158_1596
.LBB158_1592:
	s_mov_b64 s[0:1], -1
                                        ; implicit-def: $vgpr3
.LBB158_1593:
	s_andn2_b64 vcc, exec, s[0:1]
	s_cbranch_vccnz .LBB158_1595
; %bb.1594:
	global_load_dword v3, v[0:1], off
	s_waitcnt vmcnt(0)
	v_cvt_f32_i32_e32 v3, v3
	v_cvt_f16_f32_e32 v3, v3
.LBB158_1595:
	s_mov_b64 s[0:1], 0
.LBB158_1596:
	s_andn2_b64 vcc, exec, s[0:1]
	s_cbranch_vccnz .LBB158_1598
; %bb.1597:
	global_load_ushort v3, v[0:1], off
	s_waitcnt vmcnt(0)
	v_cvt_f16_i16_e32 v3, v3
.LBB158_1598:
	s_mov_b64 s[0:1], 0
.LBB158_1599:
	s_andn2_b64 vcc, exec, s[0:1]
	s_cbranch_vccnz .LBB158_1605
; %bb.1600:
	s_cmp_gt_i32 s30, 0
	s_cbranch_scc0 .LBB158_1602
; %bb.1601:
	global_load_sbyte v3, v[0:1], off
	s_mov_b64 s[0:1], 0
	s_waitcnt vmcnt(0)
	v_cvt_f16_i16_e32 v3, v3
	s_branch .LBB158_1603
.LBB158_1602:
	s_mov_b64 s[0:1], -1
                                        ; implicit-def: $vgpr3
.LBB158_1603:
	s_andn2_b64 vcc, exec, s[0:1]
	s_cbranch_vccnz .LBB158_1605
; %bb.1604:
	global_load_ubyte v0, v[0:1], off
	s_waitcnt vmcnt(0)
	v_cvt_f16_u16_e32 v3, v0
.LBB158_1605:
	s_waitcnt vmcnt(0)
	v_mov_b32_e32 v4, 0
.LBB158_1606:
	s_mov_b64 s[24:25], -1
.LBB158_1607:
	s_andn2_b64 vcc, exec, s[24:25]
	s_cbranch_vccnz .LBB158_1610
; %bb.1608:
	s_and_b64 vcc, exec, s[22:23]
	s_cbranch_vccz .LBB158_1656
; %bb.1609:
	v_cmp_neq_f16_e32 vcc, s15, v3
	s_waitcnt vmcnt(0)
	v_cmp_neq_f16_e64 s[0:1], s31, v4
	s_or_b64 s[22:23], vcc, s[0:1]
	s_mov_b64 s[0:1], 0
	s_branch .LBB158_1657
.LBB158_1610:
	s_mov_b64 s[0:1], 0
                                        ; implicit-def: $sgpr22_sgpr23
.LBB158_1611:
                                        ; implicit-def: $sgpr28
                                        ; implicit-def: $vgpr0_vgpr1
	s_mov_b64 s[2:3], 0
.LBB158_1612:
	s_andn2_b64 s[6:7], s[6:7], exec
	s_and_b64 s[8:9], s[16:17], exec
	s_and_b64 s[0:1], s[0:1], exec
	;; [unrolled: 1-line block ×3, first 2 shown]
	s_or_b64 s[6:7], s[6:7], s[8:9]
.LBB158_1613:
	s_or_b64 exec, exec, s[4:5]
	s_and_saveexec_b64 s[4:5], s[6:7]
	s_cbranch_execz .LBB158_1616
; %bb.1614:
	; divergent unreachable
	s_or_b64 exec, exec, s[4:5]
	s_and_saveexec_b64 s[4:5], s[2:3]
	s_xor_b64 s[2:3], exec, s[4:5]
	s_cbranch_execnz .LBB158_1617
.LBB158_1615:
	s_or_b64 exec, exec, s[2:3]
	s_and_saveexec_b64 s[2:3], s[0:1]
	s_cbranch_execnz .LBB158_1618
	s_branch .LBB158_1655
.LBB158_1616:
	s_or_b64 exec, exec, s[4:5]
	s_and_saveexec_b64 s[4:5], s[2:3]
	s_xor_b64 s[2:3], exec, s[4:5]
	s_cbranch_execz .LBB158_1615
.LBB158_1617:
	v_cndmask_b32_e64 v2, 0, 1, s[22:23]
	global_store_byte v[0:1], v2, off
	s_or_b64 exec, exec, s[2:3]
	s_and_saveexec_b64 s[2:3], s[0:1]
	s_cbranch_execz .LBB158_1655
.LBB158_1618:
	s_sext_i32_i16 s2, s28
	s_cmp_lt_i32 s2, 5
	s_mov_b64 s[0:1], -1
	s_cbranch_scc1 .LBB158_1639
; %bb.1619:
	s_cmp_lt_i32 s2, 8
	s_cbranch_scc1 .LBB158_1629
; %bb.1620:
	s_cmp_lt_i32 s2, 9
	s_cbranch_scc1 .LBB158_1626
; %bb.1621:
	s_cmp_gt_i32 s2, 9
	s_cbranch_scc0 .LBB158_1623
; %bb.1622:
	v_cndmask_b32_e64 v2, 0, 1, s[22:23]
	s_waitcnt vmcnt(0)
	v_cvt_f64_u32_e32 v[2:3], v2
	v_mov_b32_e32 v4, 0
	v_mov_b32_e32 v5, v4
	s_mov_b64 s[0:1], 0
	global_store_dwordx4 v[0:1], v[2:5], off
.LBB158_1623:
	s_andn2_b64 vcc, exec, s[0:1]
	s_cbranch_vccnz .LBB158_1625
; %bb.1624:
	v_cndmask_b32_e64 v2, 0, 1.0, s[22:23]
	s_waitcnt vmcnt(0)
	v_mov_b32_e32 v3, 0
	global_store_dwordx2 v[0:1], v[2:3], off
.LBB158_1625:
	s_mov_b64 s[0:1], 0
.LBB158_1626:
	s_andn2_b64 vcc, exec, s[0:1]
	s_cbranch_vccnz .LBB158_1628
; %bb.1627:
	v_cndmask_b32_e64 v2, 0, 1.0, s[22:23]
	v_cvt_f16_f32_e32 v2, v2
	global_store_dword v[0:1], v2, off
.LBB158_1628:
	s_mov_b64 s[0:1], 0
.LBB158_1629:
	s_andn2_b64 vcc, exec, s[0:1]
	s_cbranch_vccnz .LBB158_1638
; %bb.1630:
	s_sext_i32_i16 s2, s28
	s_cmp_lt_i32 s2, 6
	s_mov_b64 s[0:1], -1
	s_cbranch_scc1 .LBB158_1636
; %bb.1631:
	s_cmp_gt_i32 s2, 6
	s_cbranch_scc0 .LBB158_1633
; %bb.1632:
	v_cndmask_b32_e64 v2, 0, 1, s[22:23]
	s_waitcnt vmcnt(0)
	v_cvt_f64_u32_e32 v[2:3], v2
	s_mov_b64 s[0:1], 0
	global_store_dwordx2 v[0:1], v[2:3], off
.LBB158_1633:
	s_andn2_b64 vcc, exec, s[0:1]
	s_cbranch_vccnz .LBB158_1635
; %bb.1634:
	v_cndmask_b32_e64 v2, 0, 1.0, s[22:23]
	global_store_dword v[0:1], v2, off
.LBB158_1635:
	s_mov_b64 s[0:1], 0
.LBB158_1636:
	s_andn2_b64 vcc, exec, s[0:1]
	s_cbranch_vccnz .LBB158_1638
; %bb.1637:
	v_cndmask_b32_e64 v2, 0, 1.0, s[22:23]
	v_cvt_f16_f32_e32 v2, v2
	global_store_short v[0:1], v2, off
.LBB158_1638:
	s_mov_b64 s[0:1], 0
.LBB158_1639:
	s_andn2_b64 vcc, exec, s[0:1]
	s_cbranch_vccnz .LBB158_1655
; %bb.1640:
	s_sext_i32_i16 s2, s28
	s_cmp_lt_i32 s2, 2
	s_mov_b64 s[0:1], -1
	s_cbranch_scc1 .LBB158_1650
; %bb.1641:
	s_cmp_lt_i32 s2, 3
	s_cbranch_scc1 .LBB158_1647
; %bb.1642:
	s_cmp_gt_i32 s2, 3
	s_cbranch_scc0 .LBB158_1644
; %bb.1643:
	s_mov_b32 s0, 0
	v_cndmask_b32_e64 v2, 0, 1, s[22:23]
	s_waitcnt vmcnt(0)
	v_mov_b32_e32 v3, s0
	global_store_dwordx2 v[0:1], v[2:3], off
	s_mov_b64 s[0:1], 0
.LBB158_1644:
	s_andn2_b64 vcc, exec, s[0:1]
	s_cbranch_vccnz .LBB158_1646
; %bb.1645:
	v_cndmask_b32_e64 v2, 0, 1, s[22:23]
	global_store_dword v[0:1], v2, off
.LBB158_1646:
	s_mov_b64 s[0:1], 0
.LBB158_1647:
	s_andn2_b64 vcc, exec, s[0:1]
	s_cbranch_vccnz .LBB158_1649
; %bb.1648:
	v_cndmask_b32_e64 v2, 0, 1, s[22:23]
	global_store_short v[0:1], v2, off
.LBB158_1649:
	s_mov_b64 s[0:1], 0
.LBB158_1650:
	s_andn2_b64 vcc, exec, s[0:1]
	s_cbranch_vccnz .LBB158_1655
; %bb.1651:
	s_sext_i32_i16 s2, s28
	s_mov_b64 s[0:1], -1
	s_cmp_gt_i32 s2, 0
	v_cndmask_b32_e64 v2, 0, 1, s[22:23]
	s_cbranch_scc0 .LBB158_1653
; %bb.1652:
	global_store_byte v[0:1], v2, off
	s_mov_b64 s[0:1], 0
.LBB158_1653:
	s_andn2_b64 vcc, exec, s[0:1]
	s_cbranch_vccnz .LBB158_1655
; %bb.1654:
	global_store_byte v[0:1], v2, off
	s_endpgm
.LBB158_1655:
	s_endpgm
.LBB158_1656:
	s_mov_b64 s[0:1], -1
                                        ; implicit-def: $sgpr22_sgpr23
.LBB158_1657:
	s_andn2_b64 vcc, exec, s[0:1]
	s_cbranch_vccnz .LBB158_1659
; %bb.1658:
	v_cmp_eq_f16_e32 vcc, s15, v3
	s_waitcnt vmcnt(0)
	v_cmp_eq_f16_e64 s[0:1], s31, v4
	s_and_b64 s[0:1], vcc, s[0:1]
	s_andn2_b64 s[10:11], s[22:23], exec
	s_and_b64 s[0:1], s[0:1], exec
	s_or_b64 s[22:23], s[10:11], s[0:1]
.LBB158_1659:
	v_mul_lo_u32 v2, s12, v2
	v_mov_b32_e32 v1, s9
	s_and_b32 s28, s33, 0xff
	s_cmp_lt_i32 s28, 11
	v_ashrrev_i32_e32 v3, 31, v2
	v_add_co_u32_e32 v0, vcc, s8, v2
	v_addc_co_u32_e32 v1, vcc, v1, v3, vcc
	s_cbranch_scc1 .LBB158_1737
; %bb.1660:
	s_and_b32 s13, 0xffff, s28
	s_mov_b64 s[24:25], -1
	s_mov_b64 s[10:11], 0
	s_cmp_gt_i32 s13, 25
	s_mov_b64 s[14:15], 0
	s_mov_b64 s[0:1], 0
	s_cbranch_scc0 .LBB158_1693
; %bb.1661:
	s_cmp_gt_i32 s13, 28
	s_cbranch_scc0 .LBB158_1676
; %bb.1662:
	s_cmp_gt_i32 s13, 43
	;; [unrolled: 3-line block ×3, first 2 shown]
	s_cbranch_scc0 .LBB158_1666
; %bb.1664:
	s_mov_b64 s[0:1], -1
	s_mov_b64 s[24:25], 0
	s_cmp_eq_u32 s13, 46
	s_cbranch_scc0 .LBB158_1666
; %bb.1665:
	v_cndmask_b32_e64 v3, 0, 1.0, s[2:3]
	s_waitcnt vmcnt(0)
	v_bfe_u32 v4, v3, 16, 1
	s_movk_i32 s0, 0x7fff
	v_add3_u32 v3, v3, v4, s0
	v_lshrrev_b32_e32 v3, 16, v3
	global_store_dword v[0:1], v3, off
	s_mov_b64 s[0:1], 0
	s_mov_b64 s[14:15], -1
.LBB158_1666:
	s_and_b64 vcc, exec, s[24:25]
	s_cbranch_vccz .LBB158_1671
; %bb.1667:
	s_cmp_eq_u32 s13, 44
	s_mov_b64 s[0:1], -1
	s_cbranch_scc0 .LBB158_1671
; %bb.1668:
	s_waitcnt vmcnt(0)
	v_cndmask_b32_e64 v4, 0, 1.0, s[2:3]
	v_lshrrev_b32_e32 v3, 23, v4
	s_movk_i32 s0, 0xff
	v_cmp_ne_u32_e32 vcc, s0, v3
	v_mov_b32_e32 v5, 0xff
	s_and_saveexec_b64 s[14:15], vcc
; %bb.1669:
	s_mov_b32 s0, 0x3fffff
	v_and_b32_e32 v5, 0x400000, v4
	v_and_or_b32 v4, v4, s0, v3
	v_cmp_ne_u32_e32 vcc, 0, v5
	v_cmp_ne_u32_e64 s[0:1], 0, v4
	s_and_b64 s[0:1], vcc, s[0:1]
	v_cndmask_b32_e64 v4, 0, 1, s[0:1]
	v_add_u32_e32 v5, v3, v4
; %bb.1670:
	s_or_b64 exec, exec, s[14:15]
	s_mov_b64 s[0:1], 0
	s_mov_b64 s[14:15], -1
	global_store_byte v[0:1], v5, off
.LBB158_1671:
	s_mov_b64 s[24:25], 0
.LBB158_1672:
	s_and_b64 vcc, exec, s[24:25]
	s_cbranch_vccz .LBB158_1675
; %bb.1673:
	s_cmp_eq_u32 s13, 29
	s_mov_b64 s[0:1], -1
	s_cbranch_scc0 .LBB158_1675
; %bb.1674:
	s_mov_b32 s0, 0
	v_cndmask_b32_e64 v3, 0, 1, s[2:3]
	s_waitcnt vmcnt(0)
	v_mov_b32_e32 v4, s0
	global_store_dwordx2 v[0:1], v[3:4], off
	s_mov_b64 s[0:1], 0
	s_mov_b64 s[14:15], -1
.LBB158_1675:
	s_mov_b64 s[24:25], 0
.LBB158_1676:
	s_and_b64 vcc, exec, s[24:25]
	s_cbranch_vccz .LBB158_1692
; %bb.1677:
	s_cmp_lt_i32 s13, 27
	s_mov_b64 s[14:15], -1
	s_cbranch_scc1 .LBB158_1683
; %bb.1678:
	s_cmp_gt_i32 s13, 27
	s_cbranch_scc0 .LBB158_1680
; %bb.1679:
	v_cndmask_b32_e64 v3, 0, 1, s[2:3]
	s_mov_b64 s[14:15], 0
	global_store_dword v[0:1], v3, off
.LBB158_1680:
	s_andn2_b64 vcc, exec, s[14:15]
	s_cbranch_vccnz .LBB158_1682
; %bb.1681:
	v_cndmask_b32_e64 v3, 0, 1, s[2:3]
	global_store_short v[0:1], v3, off
.LBB158_1682:
	s_mov_b64 s[14:15], 0
.LBB158_1683:
	s_andn2_b64 vcc, exec, s[14:15]
	s_cbranch_vccnz .LBB158_1691
; %bb.1684:
	s_waitcnt vmcnt(0)
	v_cndmask_b32_e64 v4, 0, 1.0, s[2:3]
	s_mov_b32 s14, 0x43800000
	v_cmp_gt_u32_e32 vcc, s14, v4
	v_mov_b32_e32 v5, 0x80
	s_and_saveexec_b64 s[14:15], vcc
	s_cbranch_execz .LBB158_1690
; %bb.1685:
	s_mov_b32 s24, 0x3bffffff
	v_cmp_lt_u32_e32 vcc, s24, v4
	s_mov_b64 s[24:25], 0
                                        ; implicit-def: $vgpr3
	s_and_saveexec_b64 s[26:27], vcc
	s_xor_b64 s[26:27], exec, s[26:27]
	s_cbranch_execz .LBB158_2094
; %bb.1686:
	v_bfe_u32 v3, v4, 20, 1
	s_mov_b32 s29, 0x487ffff
	v_add3_u32 v3, v4, v3, s29
	s_mov_b64 s[24:25], exec
	v_lshrrev_b32_e32 v3, 20, v3
                                        ; implicit-def: $vgpr4
	s_andn2_saveexec_b64 s[26:27], s[26:27]
	s_cbranch_execnz .LBB158_2095
.LBB158_1687:
	s_or_b64 exec, exec, s[26:27]
	v_mov_b32_e32 v5, 0
	s_and_saveexec_b64 s[26:27], s[24:25]
.LBB158_1688:
	v_mov_b32_e32 v5, v3
.LBB158_1689:
	s_or_b64 exec, exec, s[26:27]
.LBB158_1690:
	s_or_b64 exec, exec, s[14:15]
	global_store_byte v[0:1], v5, off
.LBB158_1691:
	s_mov_b64 s[14:15], -1
.LBB158_1692:
	s_mov_b64 s[24:25], 0
.LBB158_1693:
	s_and_b64 vcc, exec, s[24:25]
	s_cbranch_vccz .LBB158_1733
; %bb.1694:
	s_cmp_gt_i32 s13, 22
	s_mov_b64 s[10:11], -1
	s_cbranch_scc0 .LBB158_1726
; %bb.1695:
	s_cmp_lt_i32 s13, 24
	s_cbranch_scc1 .LBB158_1715
; %bb.1696:
	s_cmp_gt_i32 s13, 24
	s_cbranch_scc0 .LBB158_1704
; %bb.1697:
	s_waitcnt vmcnt(0)
	v_cndmask_b32_e64 v4, 0, 1.0, s[2:3]
	s_mov_b32 s10, 0x47800000
	v_cmp_gt_u32_e32 vcc, s10, v4
	v_mov_b32_e32 v5, 0x80
	s_and_saveexec_b64 s[10:11], vcc
	s_cbranch_execz .LBB158_1703
; %bb.1698:
	s_mov_b32 s14, 0x37ffffff
	v_cmp_lt_u32_e32 vcc, s14, v4
	s_mov_b64 s[14:15], 0
                                        ; implicit-def: $vgpr3
	s_and_saveexec_b64 s[24:25], vcc
	s_xor_b64 s[24:25], exec, s[24:25]
	s_cbranch_execz .LBB158_2097
; %bb.1699:
	v_bfe_u32 v3, v4, 21, 1
	s_mov_b32 s26, 0x88fffff
	v_add3_u32 v3, v4, v3, s26
	s_mov_b64 s[14:15], exec
	v_lshrrev_b32_e32 v3, 21, v3
                                        ; implicit-def: $vgpr4
	s_andn2_saveexec_b64 s[24:25], s[24:25]
	s_cbranch_execnz .LBB158_2098
.LBB158_1700:
	s_or_b64 exec, exec, s[24:25]
	v_mov_b32_e32 v5, 0
	s_and_saveexec_b64 s[24:25], s[14:15]
.LBB158_1701:
	v_mov_b32_e32 v5, v3
.LBB158_1702:
	s_or_b64 exec, exec, s[24:25]
.LBB158_1703:
	s_or_b64 exec, exec, s[10:11]
	s_mov_b64 s[10:11], 0
	global_store_byte v[0:1], v5, off
.LBB158_1704:
	s_and_b64 vcc, exec, s[10:11]
	s_cbranch_vccz .LBB158_1714
; %bb.1705:
	v_cndmask_b32_e64 v3, 0, 1.0, s[2:3]
	s_mov_b32 s10, 0x43f00000
	v_cmp_gt_u32_e32 vcc, s10, v3
                                        ; implicit-def: $vgpr4
	s_and_saveexec_b64 s[10:11], vcc
	s_xor_b64 s[10:11], exec, s[10:11]
	s_cbranch_execz .LBB158_1711
; %bb.1706:
	s_mov_b32 s14, 0x3c7fffff
	v_cmp_lt_u32_e32 vcc, s14, v3
                                        ; implicit-def: $vgpr4
	s_and_saveexec_b64 s[14:15], vcc
	s_xor_b64 s[14:15], exec, s[14:15]
	s_cbranch_execz .LBB158_1708
; %bb.1707:
	s_waitcnt vmcnt(0)
	v_bfe_u32 v4, v3, 20, 1
	s_mov_b32 s24, 0x407ffff
	v_add3_u32 v3, v3, v4, s24
	v_lshrrev_b32_e32 v4, 20, v3
	v_and_b32_e32 v3, 0xff00000, v3
	s_mov_b32 s24, 0x7f00000
	v_mov_b32_e32 v5, 0x7e
	v_cmp_ne_u32_e32 vcc, s24, v3
	v_cndmask_b32_e32 v4, v5, v4, vcc
                                        ; implicit-def: $vgpr3
.LBB158_1708:
	s_andn2_saveexec_b64 s[14:15], s[14:15]
	s_cbranch_execz .LBB158_1710
; %bb.1709:
	s_waitcnt vmcnt(0)
	v_add_f32_e32 v4, 0x46800000, v3
.LBB158_1710:
	s_or_b64 exec, exec, s[14:15]
                                        ; implicit-def: $vgpr3
.LBB158_1711:
	s_andn2_saveexec_b64 s[10:11], s[10:11]
	s_cbranch_execz .LBB158_1713
; %bb.1712:
	s_mov_b32 s14, 0x7f800000
	s_waitcnt vmcnt(0)
	v_mov_b32_e32 v4, 0x7e
	v_mov_b32_e32 v5, 0x7f
	v_cmp_lt_u32_e32 vcc, s14, v3
	v_cndmask_b32_e32 v4, v4, v5, vcc
.LBB158_1713:
	s_or_b64 exec, exec, s[10:11]
	s_waitcnt vmcnt(0)
	global_store_byte v[0:1], v4, off
.LBB158_1714:
	s_mov_b64 s[10:11], 0
.LBB158_1715:
	s_andn2_b64 vcc, exec, s[10:11]
	s_cbranch_vccnz .LBB158_1725
; %bb.1716:
	v_cndmask_b32_e64 v3, 0, 1.0, s[2:3]
	s_mov_b32 s10, 0x47800000
	v_cmp_gt_u32_e32 vcc, s10, v3
                                        ; implicit-def: $vgpr4
	s_and_saveexec_b64 s[10:11], vcc
	s_xor_b64 s[10:11], exec, s[10:11]
	s_cbranch_execz .LBB158_1722
; %bb.1717:
	s_mov_b32 s14, 0x387fffff
	v_cmp_lt_u32_e32 vcc, s14, v3
                                        ; implicit-def: $vgpr4
	s_and_saveexec_b64 s[14:15], vcc
	s_xor_b64 s[14:15], exec, s[14:15]
	s_cbranch_execz .LBB158_1719
; %bb.1718:
	s_waitcnt vmcnt(0)
	v_bfe_u32 v4, v3, 21, 1
	s_mov_b32 s24, 0x80fffff
	v_add3_u32 v3, v3, v4, s24
	v_lshrrev_b32_e32 v4, 21, v3
                                        ; implicit-def: $vgpr3
.LBB158_1719:
	s_andn2_saveexec_b64 s[14:15], s[14:15]
	s_cbranch_execz .LBB158_1721
; %bb.1720:
	s_waitcnt vmcnt(0)
	v_add_f32_e32 v4, 0x43000000, v3
.LBB158_1721:
	s_or_b64 exec, exec, s[14:15]
                                        ; implicit-def: $vgpr3
.LBB158_1722:
	s_andn2_saveexec_b64 s[10:11], s[10:11]
	s_cbranch_execz .LBB158_1724
; %bb.1723:
	s_mov_b32 s14, 0x7f800000
	s_waitcnt vmcnt(0)
	v_mov_b32_e32 v4, 0x7c
	v_mov_b32_e32 v5, 0x7f
	v_cmp_lt_u32_e32 vcc, s14, v3
	v_cndmask_b32_e32 v4, v4, v5, vcc
.LBB158_1724:
	s_or_b64 exec, exec, s[10:11]
	s_waitcnt vmcnt(0)
	global_store_byte v[0:1], v4, off
.LBB158_1725:
	s_mov_b64 s[10:11], 0
	s_mov_b64 s[14:15], -1
.LBB158_1726:
	s_andn2_b64 vcc, exec, s[10:11]
	s_mov_b64 s[10:11], 0
	s_cbranch_vccnz .LBB158_1733
; %bb.1727:
	s_cmp_gt_i32 s13, 14
	s_mov_b64 s[24:25], -1
	s_cbranch_scc0 .LBB158_1731
; %bb.1728:
	s_cmp_eq_u32 s13, 15
	s_mov_b64 s[0:1], -1
	s_cbranch_scc0 .LBB158_1730
; %bb.1729:
	v_cndmask_b32_e64 v3, 0, 1.0, s[2:3]
	s_waitcnt vmcnt(0)
	v_bfe_u32 v4, v3, 16, 1
	s_movk_i32 s0, 0x7fff
	v_add3_u32 v3, v3, v4, s0
	global_store_short_d16_hi v[0:1], v3, off
	s_mov_b64 s[0:1], 0
	s_mov_b64 s[14:15], -1
.LBB158_1730:
	s_mov_b64 s[24:25], 0
.LBB158_1731:
	s_and_b64 vcc, exec, s[24:25]
	s_cbranch_vccz .LBB158_1733
; %bb.1732:
	s_cmp_lg_u32 s13, 11
	s_mov_b64 s[10:11], -1
	s_cselect_b64 s[0:1], -1, 0
.LBB158_1733:
	s_and_b64 vcc, exec, s[0:1]
	s_cbranch_vccnz .LBB158_2096
; %bb.1734:
	s_andn2_b64 vcc, exec, s[10:11]
	s_cbranch_vccnz .LBB158_1736
.LBB158_1735:
	v_cndmask_b32_e64 v3, 0, 1, s[2:3]
	s_mov_b64 s[14:15], -1
	global_store_byte v[0:1], v3, off
.LBB158_1736:
	s_mov_b64 s[0:1], 0
	s_branch .LBB158_1738
.LBB158_1737:
	s_mov_b64 s[0:1], -1
	s_mov_b64 s[14:15], 0
.LBB158_1738:
	s_and_b64 vcc, exec, s[0:1]
	s_cbranch_vccz .LBB158_1777
; %bb.1739:
	s_and_b32 s10, 0xffff, s28
	s_cmp_lt_i32 s10, 5
	s_mov_b64 s[0:1], -1
	s_cbranch_scc1 .LBB158_1760
; %bb.1740:
	s_cmp_lt_i32 s10, 8
	s_cbranch_scc1 .LBB158_1750
; %bb.1741:
	s_cmp_lt_i32 s10, 9
	s_cbranch_scc1 .LBB158_1747
; %bb.1742:
	s_cmp_gt_i32 s10, 9
	s_cbranch_scc0 .LBB158_1744
; %bb.1743:
	v_cndmask_b32_e64 v3, 0, 1, s[2:3]
	s_waitcnt vmcnt(0)
	v_cvt_f64_u32_e32 v[3:4], v3
	v_mov_b32_e32 v5, 0
	v_mov_b32_e32 v6, v5
	s_mov_b64 s[0:1], 0
	global_store_dwordx4 v[0:1], v[3:6], off
.LBB158_1744:
	s_andn2_b64 vcc, exec, s[0:1]
	s_cbranch_vccnz .LBB158_1746
; %bb.1745:
	v_cndmask_b32_e64 v3, 0, 1.0, s[2:3]
	s_waitcnt vmcnt(0)
	v_mov_b32_e32 v4, 0
	global_store_dwordx2 v[0:1], v[3:4], off
.LBB158_1746:
	s_mov_b64 s[0:1], 0
.LBB158_1747:
	s_andn2_b64 vcc, exec, s[0:1]
	s_cbranch_vccnz .LBB158_1749
; %bb.1748:
	v_cndmask_b32_e64 v3, 0, 1.0, s[2:3]
	v_cvt_f16_f32_e32 v3, v3
	global_store_dword v[0:1], v3, off
.LBB158_1749:
	s_mov_b64 s[0:1], 0
.LBB158_1750:
	s_andn2_b64 vcc, exec, s[0:1]
	s_cbranch_vccnz .LBB158_1759
; %bb.1751:
	s_cmp_lt_i32 s10, 6
	s_mov_b64 s[0:1], -1
	s_cbranch_scc1 .LBB158_1757
; %bb.1752:
	s_cmp_gt_i32 s10, 6
	s_cbranch_scc0 .LBB158_1754
; %bb.1753:
	v_cndmask_b32_e64 v3, 0, 1, s[2:3]
	s_waitcnt vmcnt(0)
	v_cvt_f64_u32_e32 v[3:4], v3
	s_mov_b64 s[0:1], 0
	global_store_dwordx2 v[0:1], v[3:4], off
.LBB158_1754:
	s_andn2_b64 vcc, exec, s[0:1]
	s_cbranch_vccnz .LBB158_1756
; %bb.1755:
	v_cndmask_b32_e64 v3, 0, 1.0, s[2:3]
	global_store_dword v[0:1], v3, off
.LBB158_1756:
	s_mov_b64 s[0:1], 0
.LBB158_1757:
	s_andn2_b64 vcc, exec, s[0:1]
	s_cbranch_vccnz .LBB158_1759
; %bb.1758:
	v_cndmask_b32_e64 v3, 0, 1.0, s[2:3]
	v_cvt_f16_f32_e32 v3, v3
	global_store_short v[0:1], v3, off
.LBB158_1759:
	s_mov_b64 s[0:1], 0
.LBB158_1760:
	s_andn2_b64 vcc, exec, s[0:1]
	s_cbranch_vccnz .LBB158_1776
; %bb.1761:
	s_cmp_lt_i32 s10, 2
	s_mov_b64 s[0:1], -1
	s_cbranch_scc1 .LBB158_1771
; %bb.1762:
	s_cmp_lt_i32 s10, 3
	s_cbranch_scc1 .LBB158_1768
; %bb.1763:
	s_cmp_gt_i32 s10, 3
	s_cbranch_scc0 .LBB158_1765
; %bb.1764:
	s_mov_b32 s0, 0
	v_cndmask_b32_e64 v3, 0, 1, s[2:3]
	s_waitcnt vmcnt(0)
	v_mov_b32_e32 v4, s0
	global_store_dwordx2 v[0:1], v[3:4], off
	s_mov_b64 s[0:1], 0
.LBB158_1765:
	s_andn2_b64 vcc, exec, s[0:1]
	s_cbranch_vccnz .LBB158_1767
; %bb.1766:
	v_cndmask_b32_e64 v3, 0, 1, s[2:3]
	global_store_dword v[0:1], v3, off
.LBB158_1767:
	s_mov_b64 s[0:1], 0
.LBB158_1768:
	s_andn2_b64 vcc, exec, s[0:1]
	s_cbranch_vccnz .LBB158_1770
; %bb.1769:
	v_cndmask_b32_e64 v3, 0, 1, s[2:3]
	global_store_short v[0:1], v3, off
.LBB158_1770:
	s_mov_b64 s[0:1], 0
.LBB158_1771:
	s_andn2_b64 vcc, exec, s[0:1]
	s_cbranch_vccnz .LBB158_1776
; %bb.1772:
	s_mov_b64 s[0:1], -1
	s_cmp_gt_i32 s10, 0
	v_cndmask_b32_e64 v3, 0, 1, s[2:3]
	s_cbranch_scc0 .LBB158_1774
; %bb.1773:
	global_store_byte v[0:1], v3, off
	s_mov_b64 s[0:1], 0
.LBB158_1774:
	s_andn2_b64 vcc, exec, s[0:1]
	s_cbranch_vccnz .LBB158_1776
; %bb.1775:
	global_store_byte v[0:1], v3, off
.LBB158_1776:
	s_mov_b64 s[14:15], -1
.LBB158_1777:
	s_andn2_b64 vcc, exec, s[14:15]
	s_cbranch_vccnz .LBB158_2092
; %bb.1778:
	s_lshl_b32 s24, s12, 7
	v_add_u32_e32 v2, s24, v2
	v_ashrrev_i32_e32 v1, 31, v2
	v_mov_b32_e32 v3, s9
	v_add_co_u32_e32 v0, vcc, s8, v2
	s_cmp_lt_i32 s28, 11
	v_addc_co_u32_e32 v1, vcc, v3, v1, vcc
	s_cbranch_scc1 .LBB158_1856
; %bb.1779:
	s_and_b32 s25, 0xffff, s28
	s_mov_b64 s[12:13], -1
	s_mov_b64 s[2:3], 0
	s_cmp_gt_i32 s25, 25
	s_mov_b64 s[10:11], 0
	s_mov_b64 s[0:1], 0
	s_cbranch_scc0 .LBB158_1812
; %bb.1780:
	s_cmp_gt_i32 s25, 28
	s_cbranch_scc0 .LBB158_1795
; %bb.1781:
	s_cmp_gt_i32 s25, 43
	;; [unrolled: 3-line block ×3, first 2 shown]
	s_cbranch_scc0 .LBB158_1785
; %bb.1783:
	s_mov_b64 s[0:1], -1
	s_mov_b64 s[12:13], 0
	s_cmp_eq_u32 s25, 46
	s_cbranch_scc0 .LBB158_1785
; %bb.1784:
	v_cndmask_b32_e64 v3, 0, 1.0, s[18:19]
	s_waitcnt vmcnt(0)
	v_bfe_u32 v4, v3, 16, 1
	s_movk_i32 s0, 0x7fff
	v_add3_u32 v3, v3, v4, s0
	v_lshrrev_b32_e32 v3, 16, v3
	global_store_dword v[0:1], v3, off
	s_mov_b64 s[0:1], 0
	s_mov_b64 s[10:11], -1
.LBB158_1785:
	s_and_b64 vcc, exec, s[12:13]
	s_cbranch_vccz .LBB158_1790
; %bb.1786:
	s_cmp_eq_u32 s25, 44
	s_mov_b64 s[0:1], -1
	s_cbranch_scc0 .LBB158_1790
; %bb.1787:
	s_waitcnt vmcnt(0)
	v_cndmask_b32_e64 v4, 0, 1.0, s[18:19]
	v_lshrrev_b32_e32 v3, 23, v4
	s_movk_i32 s0, 0xff
	v_cmp_ne_u32_e32 vcc, s0, v3
	v_mov_b32_e32 v5, 0xff
	s_and_saveexec_b64 s[10:11], vcc
; %bb.1788:
	s_mov_b32 s0, 0x3fffff
	v_and_b32_e32 v5, 0x400000, v4
	v_and_or_b32 v4, v4, s0, v3
	v_cmp_ne_u32_e32 vcc, 0, v5
	v_cmp_ne_u32_e64 s[0:1], 0, v4
	s_and_b64 s[0:1], vcc, s[0:1]
	v_cndmask_b32_e64 v4, 0, 1, s[0:1]
	v_add_u32_e32 v5, v3, v4
; %bb.1789:
	s_or_b64 exec, exec, s[10:11]
	s_mov_b64 s[0:1], 0
	s_mov_b64 s[10:11], -1
	global_store_byte v[0:1], v5, off
.LBB158_1790:
	s_mov_b64 s[12:13], 0
.LBB158_1791:
	s_and_b64 vcc, exec, s[12:13]
	s_cbranch_vccz .LBB158_1794
; %bb.1792:
	s_cmp_eq_u32 s25, 29
	s_mov_b64 s[0:1], -1
	s_cbranch_scc0 .LBB158_1794
; %bb.1793:
	s_mov_b32 s0, 0
	v_cndmask_b32_e64 v3, 0, 1, s[18:19]
	s_waitcnt vmcnt(0)
	v_mov_b32_e32 v4, s0
	global_store_dwordx2 v[0:1], v[3:4], off
	s_mov_b64 s[0:1], 0
	s_mov_b64 s[10:11], -1
.LBB158_1794:
	s_mov_b64 s[12:13], 0
.LBB158_1795:
	s_and_b64 vcc, exec, s[12:13]
	s_cbranch_vccz .LBB158_1811
; %bb.1796:
	s_cmp_lt_i32 s25, 27
	s_mov_b64 s[10:11], -1
	s_cbranch_scc1 .LBB158_1802
; %bb.1797:
	s_cmp_gt_i32 s25, 27
	s_cbranch_scc0 .LBB158_1799
; %bb.1798:
	v_cndmask_b32_e64 v3, 0, 1, s[18:19]
	s_mov_b64 s[10:11], 0
	global_store_dword v[0:1], v3, off
.LBB158_1799:
	s_andn2_b64 vcc, exec, s[10:11]
	s_cbranch_vccnz .LBB158_1801
; %bb.1800:
	v_cndmask_b32_e64 v3, 0, 1, s[18:19]
	global_store_short v[0:1], v3, off
.LBB158_1801:
	s_mov_b64 s[10:11], 0
.LBB158_1802:
	s_andn2_b64 vcc, exec, s[10:11]
	s_cbranch_vccnz .LBB158_1810
; %bb.1803:
	s_waitcnt vmcnt(0)
	v_cndmask_b32_e64 v4, 0, 1.0, s[18:19]
	s_mov_b32 s10, 0x43800000
	v_cmp_gt_u32_e32 vcc, s10, v4
	v_mov_b32_e32 v5, 0x80
	s_and_saveexec_b64 s[10:11], vcc
	s_cbranch_execz .LBB158_1809
; %bb.1804:
	s_mov_b32 s12, 0x3bffffff
	v_cmp_lt_u32_e32 vcc, s12, v4
	s_mov_b64 s[12:13], 0
                                        ; implicit-def: $vgpr3
	s_and_saveexec_b64 s[14:15], vcc
	s_xor_b64 s[14:15], exec, s[14:15]
	s_cbranch_execz .LBB158_2099
; %bb.1805:
	v_bfe_u32 v3, v4, 20, 1
	s_mov_b32 s26, 0x487ffff
	v_add3_u32 v3, v4, v3, s26
	s_mov_b64 s[12:13], exec
	v_lshrrev_b32_e32 v3, 20, v3
                                        ; implicit-def: $vgpr4
	s_andn2_saveexec_b64 s[14:15], s[14:15]
	s_cbranch_execnz .LBB158_2100
.LBB158_1806:
	s_or_b64 exec, exec, s[14:15]
	v_mov_b32_e32 v5, 0
	s_and_saveexec_b64 s[14:15], s[12:13]
.LBB158_1807:
	v_mov_b32_e32 v5, v3
.LBB158_1808:
	s_or_b64 exec, exec, s[14:15]
.LBB158_1809:
	s_or_b64 exec, exec, s[10:11]
	global_store_byte v[0:1], v5, off
.LBB158_1810:
	s_mov_b64 s[10:11], -1
.LBB158_1811:
	s_mov_b64 s[12:13], 0
.LBB158_1812:
	s_and_b64 vcc, exec, s[12:13]
	s_cbranch_vccz .LBB158_1852
; %bb.1813:
	s_cmp_gt_i32 s25, 22
	s_mov_b64 s[2:3], -1
	s_cbranch_scc0 .LBB158_1845
; %bb.1814:
	s_cmp_lt_i32 s25, 24
	s_cbranch_scc1 .LBB158_1834
; %bb.1815:
	s_cmp_gt_i32 s25, 24
	s_cbranch_scc0 .LBB158_1823
; %bb.1816:
	s_waitcnt vmcnt(0)
	v_cndmask_b32_e64 v4, 0, 1.0, s[18:19]
	s_mov_b32 s2, 0x47800000
	v_cmp_gt_u32_e32 vcc, s2, v4
	v_mov_b32_e32 v5, 0x80
	s_and_saveexec_b64 s[2:3], vcc
	s_cbranch_execz .LBB158_1822
; %bb.1817:
	s_mov_b32 s10, 0x37ffffff
	v_cmp_lt_u32_e32 vcc, s10, v4
	s_mov_b64 s[10:11], 0
                                        ; implicit-def: $vgpr3
	s_and_saveexec_b64 s[12:13], vcc
	s_xor_b64 s[12:13], exec, s[12:13]
	s_cbranch_execz .LBB158_2102
; %bb.1818:
	v_bfe_u32 v3, v4, 21, 1
	s_mov_b32 s14, 0x88fffff
	v_add3_u32 v3, v4, v3, s14
	s_mov_b64 s[10:11], exec
	v_lshrrev_b32_e32 v3, 21, v3
                                        ; implicit-def: $vgpr4
	s_andn2_saveexec_b64 s[12:13], s[12:13]
	s_cbranch_execnz .LBB158_2103
.LBB158_1819:
	s_or_b64 exec, exec, s[12:13]
	v_mov_b32_e32 v5, 0
	s_and_saveexec_b64 s[12:13], s[10:11]
.LBB158_1820:
	v_mov_b32_e32 v5, v3
.LBB158_1821:
	s_or_b64 exec, exec, s[12:13]
.LBB158_1822:
	s_or_b64 exec, exec, s[2:3]
	s_mov_b64 s[2:3], 0
	global_store_byte v[0:1], v5, off
.LBB158_1823:
	s_and_b64 vcc, exec, s[2:3]
	s_cbranch_vccz .LBB158_1833
; %bb.1824:
	v_cndmask_b32_e64 v3, 0, 1.0, s[18:19]
	s_mov_b32 s2, 0x43f00000
	v_cmp_gt_u32_e32 vcc, s2, v3
                                        ; implicit-def: $vgpr4
	s_and_saveexec_b64 s[2:3], vcc
	s_xor_b64 s[2:3], exec, s[2:3]
	s_cbranch_execz .LBB158_1830
; %bb.1825:
	s_mov_b32 s10, 0x3c7fffff
	v_cmp_lt_u32_e32 vcc, s10, v3
                                        ; implicit-def: $vgpr4
	s_and_saveexec_b64 s[10:11], vcc
	s_xor_b64 s[10:11], exec, s[10:11]
	s_cbranch_execz .LBB158_1827
; %bb.1826:
	s_waitcnt vmcnt(0)
	v_bfe_u32 v4, v3, 20, 1
	s_mov_b32 s12, 0x407ffff
	v_add3_u32 v3, v3, v4, s12
	v_lshrrev_b32_e32 v4, 20, v3
	v_and_b32_e32 v3, 0xff00000, v3
	s_mov_b32 s12, 0x7f00000
	v_mov_b32_e32 v5, 0x7e
	v_cmp_ne_u32_e32 vcc, s12, v3
	v_cndmask_b32_e32 v4, v5, v4, vcc
                                        ; implicit-def: $vgpr3
.LBB158_1827:
	s_andn2_saveexec_b64 s[10:11], s[10:11]
	s_cbranch_execz .LBB158_1829
; %bb.1828:
	s_waitcnt vmcnt(0)
	v_add_f32_e32 v4, 0x46800000, v3
.LBB158_1829:
	s_or_b64 exec, exec, s[10:11]
                                        ; implicit-def: $vgpr3
.LBB158_1830:
	s_andn2_saveexec_b64 s[2:3], s[2:3]
	s_cbranch_execz .LBB158_1832
; %bb.1831:
	s_mov_b32 s10, 0x7f800000
	s_waitcnt vmcnt(0)
	v_mov_b32_e32 v4, 0x7e
	v_mov_b32_e32 v5, 0x7f
	v_cmp_lt_u32_e32 vcc, s10, v3
	v_cndmask_b32_e32 v4, v4, v5, vcc
.LBB158_1832:
	s_or_b64 exec, exec, s[2:3]
	s_waitcnt vmcnt(0)
	global_store_byte v[0:1], v4, off
.LBB158_1833:
	s_mov_b64 s[2:3], 0
.LBB158_1834:
	s_andn2_b64 vcc, exec, s[2:3]
	s_cbranch_vccnz .LBB158_1844
; %bb.1835:
	v_cndmask_b32_e64 v3, 0, 1.0, s[18:19]
	s_mov_b32 s2, 0x47800000
	v_cmp_gt_u32_e32 vcc, s2, v3
                                        ; implicit-def: $vgpr4
	s_and_saveexec_b64 s[2:3], vcc
	s_xor_b64 s[2:3], exec, s[2:3]
	s_cbranch_execz .LBB158_1841
; %bb.1836:
	s_mov_b32 s10, 0x387fffff
	v_cmp_lt_u32_e32 vcc, s10, v3
                                        ; implicit-def: $vgpr4
	s_and_saveexec_b64 s[10:11], vcc
	s_xor_b64 s[10:11], exec, s[10:11]
	s_cbranch_execz .LBB158_1838
; %bb.1837:
	s_waitcnt vmcnt(0)
	v_bfe_u32 v4, v3, 21, 1
	s_mov_b32 s12, 0x80fffff
	v_add3_u32 v3, v3, v4, s12
	v_lshrrev_b32_e32 v4, 21, v3
                                        ; implicit-def: $vgpr3
.LBB158_1838:
	s_andn2_saveexec_b64 s[10:11], s[10:11]
	s_cbranch_execz .LBB158_1840
; %bb.1839:
	s_waitcnt vmcnt(0)
	v_add_f32_e32 v4, 0x43000000, v3
.LBB158_1840:
	s_or_b64 exec, exec, s[10:11]
                                        ; implicit-def: $vgpr3
.LBB158_1841:
	s_andn2_saveexec_b64 s[2:3], s[2:3]
	s_cbranch_execz .LBB158_1843
; %bb.1842:
	s_mov_b32 s10, 0x7f800000
	s_waitcnt vmcnt(0)
	v_mov_b32_e32 v4, 0x7c
	v_mov_b32_e32 v5, 0x7f
	v_cmp_lt_u32_e32 vcc, s10, v3
	v_cndmask_b32_e32 v4, v4, v5, vcc
.LBB158_1843:
	s_or_b64 exec, exec, s[2:3]
	s_waitcnt vmcnt(0)
	global_store_byte v[0:1], v4, off
.LBB158_1844:
	s_mov_b64 s[2:3], 0
	s_mov_b64 s[10:11], -1
.LBB158_1845:
	s_andn2_b64 vcc, exec, s[2:3]
	s_mov_b64 s[2:3], 0
	s_cbranch_vccnz .LBB158_1852
; %bb.1846:
	s_cmp_gt_i32 s25, 14
	s_mov_b64 s[12:13], -1
	s_cbranch_scc0 .LBB158_1850
; %bb.1847:
	s_cmp_eq_u32 s25, 15
	s_mov_b64 s[0:1], -1
	s_cbranch_scc0 .LBB158_1849
; %bb.1848:
	v_cndmask_b32_e64 v3, 0, 1.0, s[18:19]
	s_waitcnt vmcnt(0)
	v_bfe_u32 v4, v3, 16, 1
	s_movk_i32 s0, 0x7fff
	v_add3_u32 v3, v3, v4, s0
	global_store_short_d16_hi v[0:1], v3, off
	s_mov_b64 s[0:1], 0
	s_mov_b64 s[10:11], -1
.LBB158_1849:
	s_mov_b64 s[12:13], 0
.LBB158_1850:
	s_and_b64 vcc, exec, s[12:13]
	s_cbranch_vccz .LBB158_1852
; %bb.1851:
	s_cmp_lg_u32 s25, 11
	s_mov_b64 s[2:3], -1
	s_cselect_b64 s[0:1], -1, 0
.LBB158_1852:
	s_and_b64 vcc, exec, s[0:1]
	s_cbranch_vccnz .LBB158_2101
; %bb.1853:
	s_andn2_b64 vcc, exec, s[2:3]
	s_cbranch_vccnz .LBB158_1855
.LBB158_1854:
	v_cndmask_b32_e64 v3, 0, 1, s[18:19]
	s_mov_b64 s[10:11], -1
	global_store_byte v[0:1], v3, off
.LBB158_1855:
	s_mov_b64 s[0:1], 0
	s_branch .LBB158_1857
.LBB158_1856:
	s_mov_b64 s[0:1], -1
	s_mov_b64 s[10:11], 0
.LBB158_1857:
	s_and_b64 vcc, exec, s[0:1]
	s_cbranch_vccz .LBB158_1896
; %bb.1858:
	s_and_b32 s2, 0xffff, s28
	s_cmp_lt_i32 s2, 5
	s_mov_b64 s[0:1], -1
	s_cbranch_scc1 .LBB158_1879
; %bb.1859:
	s_cmp_lt_i32 s2, 8
	s_cbranch_scc1 .LBB158_1869
; %bb.1860:
	s_cmp_lt_i32 s2, 9
	s_cbranch_scc1 .LBB158_1866
; %bb.1861:
	s_cmp_gt_i32 s2, 9
	s_cbranch_scc0 .LBB158_1863
; %bb.1862:
	v_cndmask_b32_e64 v3, 0, 1, s[18:19]
	s_waitcnt vmcnt(0)
	v_cvt_f64_u32_e32 v[3:4], v3
	v_mov_b32_e32 v5, 0
	v_mov_b32_e32 v6, v5
	s_mov_b64 s[0:1], 0
	global_store_dwordx4 v[0:1], v[3:6], off
.LBB158_1863:
	s_andn2_b64 vcc, exec, s[0:1]
	s_cbranch_vccnz .LBB158_1865
; %bb.1864:
	v_cndmask_b32_e64 v3, 0, 1.0, s[18:19]
	s_waitcnt vmcnt(0)
	v_mov_b32_e32 v4, 0
	global_store_dwordx2 v[0:1], v[3:4], off
.LBB158_1865:
	s_mov_b64 s[0:1], 0
.LBB158_1866:
	s_andn2_b64 vcc, exec, s[0:1]
	s_cbranch_vccnz .LBB158_1868
; %bb.1867:
	v_cndmask_b32_e64 v3, 0, 1.0, s[18:19]
	v_cvt_f16_f32_e32 v3, v3
	global_store_dword v[0:1], v3, off
.LBB158_1868:
	s_mov_b64 s[0:1], 0
.LBB158_1869:
	s_andn2_b64 vcc, exec, s[0:1]
	s_cbranch_vccnz .LBB158_1878
; %bb.1870:
	s_cmp_lt_i32 s2, 6
	s_mov_b64 s[0:1], -1
	s_cbranch_scc1 .LBB158_1876
; %bb.1871:
	s_cmp_gt_i32 s2, 6
	s_cbranch_scc0 .LBB158_1873
; %bb.1872:
	v_cndmask_b32_e64 v3, 0, 1, s[18:19]
	s_waitcnt vmcnt(0)
	v_cvt_f64_u32_e32 v[3:4], v3
	s_mov_b64 s[0:1], 0
	global_store_dwordx2 v[0:1], v[3:4], off
.LBB158_1873:
	s_andn2_b64 vcc, exec, s[0:1]
	s_cbranch_vccnz .LBB158_1875
; %bb.1874:
	v_cndmask_b32_e64 v3, 0, 1.0, s[18:19]
	global_store_dword v[0:1], v3, off
.LBB158_1875:
	s_mov_b64 s[0:1], 0
.LBB158_1876:
	s_andn2_b64 vcc, exec, s[0:1]
	s_cbranch_vccnz .LBB158_1878
; %bb.1877:
	v_cndmask_b32_e64 v3, 0, 1.0, s[18:19]
	v_cvt_f16_f32_e32 v3, v3
	global_store_short v[0:1], v3, off
.LBB158_1878:
	s_mov_b64 s[0:1], 0
.LBB158_1879:
	s_andn2_b64 vcc, exec, s[0:1]
	s_cbranch_vccnz .LBB158_1895
; %bb.1880:
	s_cmp_lt_i32 s2, 2
	s_mov_b64 s[0:1], -1
	s_cbranch_scc1 .LBB158_1890
; %bb.1881:
	s_cmp_lt_i32 s2, 3
	s_cbranch_scc1 .LBB158_1887
; %bb.1882:
	s_cmp_gt_i32 s2, 3
	s_cbranch_scc0 .LBB158_1884
; %bb.1883:
	s_mov_b32 s0, 0
	v_cndmask_b32_e64 v3, 0, 1, s[18:19]
	s_waitcnt vmcnt(0)
	v_mov_b32_e32 v4, s0
	global_store_dwordx2 v[0:1], v[3:4], off
	s_mov_b64 s[0:1], 0
.LBB158_1884:
	s_andn2_b64 vcc, exec, s[0:1]
	s_cbranch_vccnz .LBB158_1886
; %bb.1885:
	v_cndmask_b32_e64 v3, 0, 1, s[18:19]
	global_store_dword v[0:1], v3, off
.LBB158_1886:
	s_mov_b64 s[0:1], 0
.LBB158_1887:
	s_andn2_b64 vcc, exec, s[0:1]
	s_cbranch_vccnz .LBB158_1889
; %bb.1888:
	v_cndmask_b32_e64 v3, 0, 1, s[18:19]
	global_store_short v[0:1], v3, off
.LBB158_1889:
	s_mov_b64 s[0:1], 0
.LBB158_1890:
	s_andn2_b64 vcc, exec, s[0:1]
	s_cbranch_vccnz .LBB158_1895
; %bb.1891:
	s_mov_b64 s[0:1], -1
	s_cmp_gt_i32 s2, 0
	v_cndmask_b32_e64 v3, 0, 1, s[18:19]
	s_cbranch_scc0 .LBB158_1893
; %bb.1892:
	global_store_byte v[0:1], v3, off
	s_mov_b64 s[0:1], 0
.LBB158_1893:
	s_andn2_b64 vcc, exec, s[0:1]
	s_cbranch_vccnz .LBB158_1895
; %bb.1894:
	global_store_byte v[0:1], v3, off
.LBB158_1895:
	s_mov_b64 s[10:11], -1
.LBB158_1896:
	s_andn2_b64 vcc, exec, s[10:11]
	s_cbranch_vccnz .LBB158_2092
; %bb.1897:
	v_add_u32_e32 v2, s24, v2
	v_ashrrev_i32_e32 v1, 31, v2
	v_mov_b32_e32 v3, s9
	v_add_co_u32_e32 v0, vcc, s8, v2
	s_cmp_lt_i32 s28, 11
	v_addc_co_u32_e32 v1, vcc, v3, v1, vcc
	s_cbranch_scc1 .LBB158_1975
; %bb.1898:
	s_and_b32 s18, 0xffff, s28
	s_mov_b64 s[12:13], -1
	s_mov_b64 s[2:3], 0
	s_cmp_gt_i32 s18, 25
	s_mov_b64 s[10:11], 0
	s_mov_b64 s[0:1], 0
	s_cbranch_scc0 .LBB158_1931
; %bb.1899:
	s_cmp_gt_i32 s18, 28
	s_cbranch_scc0 .LBB158_1914
; %bb.1900:
	s_cmp_gt_i32 s18, 43
	;; [unrolled: 3-line block ×3, first 2 shown]
	s_cbranch_scc0 .LBB158_1904
; %bb.1902:
	s_mov_b64 s[0:1], -1
	s_mov_b64 s[12:13], 0
	s_cmp_eq_u32 s18, 46
	s_cbranch_scc0 .LBB158_1904
; %bb.1903:
	v_cndmask_b32_e64 v3, 0, 1.0, s[20:21]
	s_waitcnt vmcnt(0)
	v_bfe_u32 v4, v3, 16, 1
	s_movk_i32 s0, 0x7fff
	v_add3_u32 v3, v3, v4, s0
	v_lshrrev_b32_e32 v3, 16, v3
	global_store_dword v[0:1], v3, off
	s_mov_b64 s[0:1], 0
	s_mov_b64 s[10:11], -1
.LBB158_1904:
	s_and_b64 vcc, exec, s[12:13]
	s_cbranch_vccz .LBB158_1909
; %bb.1905:
	s_cmp_eq_u32 s18, 44
	s_mov_b64 s[0:1], -1
	s_cbranch_scc0 .LBB158_1909
; %bb.1906:
	s_waitcnt vmcnt(0)
	v_cndmask_b32_e64 v4, 0, 1.0, s[20:21]
	v_lshrrev_b32_e32 v3, 23, v4
	s_movk_i32 s0, 0xff
	v_cmp_ne_u32_e32 vcc, s0, v3
	v_mov_b32_e32 v5, 0xff
	s_and_saveexec_b64 s[10:11], vcc
; %bb.1907:
	s_mov_b32 s0, 0x3fffff
	v_and_b32_e32 v5, 0x400000, v4
	v_and_or_b32 v4, v4, s0, v3
	v_cmp_ne_u32_e32 vcc, 0, v5
	v_cmp_ne_u32_e64 s[0:1], 0, v4
	s_and_b64 s[0:1], vcc, s[0:1]
	v_cndmask_b32_e64 v4, 0, 1, s[0:1]
	v_add_u32_e32 v5, v3, v4
; %bb.1908:
	s_or_b64 exec, exec, s[10:11]
	s_mov_b64 s[0:1], 0
	s_mov_b64 s[10:11], -1
	global_store_byte v[0:1], v5, off
.LBB158_1909:
	s_mov_b64 s[12:13], 0
.LBB158_1910:
	s_and_b64 vcc, exec, s[12:13]
	s_cbranch_vccz .LBB158_1913
; %bb.1911:
	s_cmp_eq_u32 s18, 29
	s_mov_b64 s[0:1], -1
	s_cbranch_scc0 .LBB158_1913
; %bb.1912:
	s_mov_b32 s0, 0
	v_cndmask_b32_e64 v3, 0, 1, s[20:21]
	s_waitcnt vmcnt(0)
	v_mov_b32_e32 v4, s0
	global_store_dwordx2 v[0:1], v[3:4], off
	s_mov_b64 s[0:1], 0
	s_mov_b64 s[10:11], -1
.LBB158_1913:
	s_mov_b64 s[12:13], 0
.LBB158_1914:
	s_and_b64 vcc, exec, s[12:13]
	s_cbranch_vccz .LBB158_1930
; %bb.1915:
	s_cmp_lt_i32 s18, 27
	s_mov_b64 s[10:11], -1
	s_cbranch_scc1 .LBB158_1921
; %bb.1916:
	s_cmp_gt_i32 s18, 27
	s_cbranch_scc0 .LBB158_1918
; %bb.1917:
	v_cndmask_b32_e64 v3, 0, 1, s[20:21]
	s_mov_b64 s[10:11], 0
	global_store_dword v[0:1], v3, off
.LBB158_1918:
	s_andn2_b64 vcc, exec, s[10:11]
	s_cbranch_vccnz .LBB158_1920
; %bb.1919:
	v_cndmask_b32_e64 v3, 0, 1, s[20:21]
	global_store_short v[0:1], v3, off
.LBB158_1920:
	s_mov_b64 s[10:11], 0
.LBB158_1921:
	s_andn2_b64 vcc, exec, s[10:11]
	s_cbranch_vccnz .LBB158_1929
; %bb.1922:
	s_waitcnt vmcnt(0)
	v_cndmask_b32_e64 v4, 0, 1.0, s[20:21]
	s_mov_b32 s10, 0x43800000
	v_cmp_gt_u32_e32 vcc, s10, v4
	v_mov_b32_e32 v5, 0x80
	s_and_saveexec_b64 s[10:11], vcc
	s_cbranch_execz .LBB158_1928
; %bb.1923:
	s_mov_b32 s12, 0x3bffffff
	v_cmp_lt_u32_e32 vcc, s12, v4
	s_mov_b64 s[12:13], 0
                                        ; implicit-def: $vgpr3
	s_and_saveexec_b64 s[14:15], vcc
	s_xor_b64 s[14:15], exec, s[14:15]
	s_cbranch_execz .LBB158_2104
; %bb.1924:
	v_bfe_u32 v3, v4, 20, 1
	s_mov_b32 s19, 0x487ffff
	v_add3_u32 v3, v4, v3, s19
	s_mov_b64 s[12:13], exec
	v_lshrrev_b32_e32 v3, 20, v3
                                        ; implicit-def: $vgpr4
	s_andn2_saveexec_b64 s[14:15], s[14:15]
	s_cbranch_execnz .LBB158_2105
.LBB158_1925:
	s_or_b64 exec, exec, s[14:15]
	v_mov_b32_e32 v5, 0
	s_and_saveexec_b64 s[14:15], s[12:13]
.LBB158_1926:
	v_mov_b32_e32 v5, v3
.LBB158_1927:
	s_or_b64 exec, exec, s[14:15]
.LBB158_1928:
	s_or_b64 exec, exec, s[10:11]
	global_store_byte v[0:1], v5, off
.LBB158_1929:
	s_mov_b64 s[10:11], -1
.LBB158_1930:
	s_mov_b64 s[12:13], 0
.LBB158_1931:
	s_and_b64 vcc, exec, s[12:13]
	s_cbranch_vccz .LBB158_1971
; %bb.1932:
	s_cmp_gt_i32 s18, 22
	s_mov_b64 s[2:3], -1
	s_cbranch_scc0 .LBB158_1964
; %bb.1933:
	s_cmp_lt_i32 s18, 24
	s_cbranch_scc1 .LBB158_1953
; %bb.1934:
	s_cmp_gt_i32 s18, 24
	s_cbranch_scc0 .LBB158_1942
; %bb.1935:
	s_waitcnt vmcnt(0)
	v_cndmask_b32_e64 v4, 0, 1.0, s[20:21]
	s_mov_b32 s2, 0x47800000
	v_cmp_gt_u32_e32 vcc, s2, v4
	v_mov_b32_e32 v5, 0x80
	s_and_saveexec_b64 s[2:3], vcc
	s_cbranch_execz .LBB158_1941
; %bb.1936:
	s_mov_b32 s10, 0x37ffffff
	v_cmp_lt_u32_e32 vcc, s10, v4
	s_mov_b64 s[10:11], 0
                                        ; implicit-def: $vgpr3
	s_and_saveexec_b64 s[12:13], vcc
	s_xor_b64 s[12:13], exec, s[12:13]
	s_cbranch_execz .LBB158_2107
; %bb.1937:
	v_bfe_u32 v3, v4, 21, 1
	s_mov_b32 s14, 0x88fffff
	v_add3_u32 v3, v4, v3, s14
	s_mov_b64 s[10:11], exec
	v_lshrrev_b32_e32 v3, 21, v3
                                        ; implicit-def: $vgpr4
	s_andn2_saveexec_b64 s[12:13], s[12:13]
	s_cbranch_execnz .LBB158_2108
.LBB158_1938:
	s_or_b64 exec, exec, s[12:13]
	v_mov_b32_e32 v5, 0
	s_and_saveexec_b64 s[12:13], s[10:11]
.LBB158_1939:
	v_mov_b32_e32 v5, v3
.LBB158_1940:
	s_or_b64 exec, exec, s[12:13]
.LBB158_1941:
	s_or_b64 exec, exec, s[2:3]
	s_mov_b64 s[2:3], 0
	global_store_byte v[0:1], v5, off
.LBB158_1942:
	s_and_b64 vcc, exec, s[2:3]
	s_cbranch_vccz .LBB158_1952
; %bb.1943:
	v_cndmask_b32_e64 v3, 0, 1.0, s[20:21]
	s_mov_b32 s2, 0x43f00000
	v_cmp_gt_u32_e32 vcc, s2, v3
                                        ; implicit-def: $vgpr4
	s_and_saveexec_b64 s[2:3], vcc
	s_xor_b64 s[2:3], exec, s[2:3]
	s_cbranch_execz .LBB158_1949
; %bb.1944:
	s_mov_b32 s10, 0x3c7fffff
	v_cmp_lt_u32_e32 vcc, s10, v3
                                        ; implicit-def: $vgpr4
	s_and_saveexec_b64 s[10:11], vcc
	s_xor_b64 s[10:11], exec, s[10:11]
	s_cbranch_execz .LBB158_1946
; %bb.1945:
	s_waitcnt vmcnt(0)
	v_bfe_u32 v4, v3, 20, 1
	s_mov_b32 s12, 0x407ffff
	v_add3_u32 v3, v3, v4, s12
	v_lshrrev_b32_e32 v4, 20, v3
	v_and_b32_e32 v3, 0xff00000, v3
	s_mov_b32 s12, 0x7f00000
	v_mov_b32_e32 v5, 0x7e
	v_cmp_ne_u32_e32 vcc, s12, v3
	v_cndmask_b32_e32 v4, v5, v4, vcc
                                        ; implicit-def: $vgpr3
.LBB158_1946:
	s_andn2_saveexec_b64 s[10:11], s[10:11]
	s_cbranch_execz .LBB158_1948
; %bb.1947:
	s_waitcnt vmcnt(0)
	v_add_f32_e32 v4, 0x46800000, v3
.LBB158_1948:
	s_or_b64 exec, exec, s[10:11]
                                        ; implicit-def: $vgpr3
.LBB158_1949:
	s_andn2_saveexec_b64 s[2:3], s[2:3]
	s_cbranch_execz .LBB158_1951
; %bb.1950:
	s_mov_b32 s10, 0x7f800000
	s_waitcnt vmcnt(0)
	v_mov_b32_e32 v4, 0x7e
	v_mov_b32_e32 v5, 0x7f
	v_cmp_lt_u32_e32 vcc, s10, v3
	v_cndmask_b32_e32 v4, v4, v5, vcc
.LBB158_1951:
	s_or_b64 exec, exec, s[2:3]
	s_waitcnt vmcnt(0)
	global_store_byte v[0:1], v4, off
.LBB158_1952:
	s_mov_b64 s[2:3], 0
.LBB158_1953:
	s_andn2_b64 vcc, exec, s[2:3]
	s_cbranch_vccnz .LBB158_1963
; %bb.1954:
	v_cndmask_b32_e64 v3, 0, 1.0, s[20:21]
	s_mov_b32 s2, 0x47800000
	v_cmp_gt_u32_e32 vcc, s2, v3
                                        ; implicit-def: $vgpr4
	s_and_saveexec_b64 s[2:3], vcc
	s_xor_b64 s[2:3], exec, s[2:3]
	s_cbranch_execz .LBB158_1960
; %bb.1955:
	s_mov_b32 s10, 0x387fffff
	v_cmp_lt_u32_e32 vcc, s10, v3
                                        ; implicit-def: $vgpr4
	s_and_saveexec_b64 s[10:11], vcc
	s_xor_b64 s[10:11], exec, s[10:11]
	s_cbranch_execz .LBB158_1957
; %bb.1956:
	s_waitcnt vmcnt(0)
	v_bfe_u32 v4, v3, 21, 1
	s_mov_b32 s12, 0x80fffff
	v_add3_u32 v3, v3, v4, s12
	v_lshrrev_b32_e32 v4, 21, v3
                                        ; implicit-def: $vgpr3
.LBB158_1957:
	s_andn2_saveexec_b64 s[10:11], s[10:11]
	s_cbranch_execz .LBB158_1959
; %bb.1958:
	s_waitcnt vmcnt(0)
	v_add_f32_e32 v4, 0x43000000, v3
.LBB158_1959:
	s_or_b64 exec, exec, s[10:11]
                                        ; implicit-def: $vgpr3
.LBB158_1960:
	s_andn2_saveexec_b64 s[2:3], s[2:3]
	s_cbranch_execz .LBB158_1962
; %bb.1961:
	s_mov_b32 s10, 0x7f800000
	s_waitcnt vmcnt(0)
	v_mov_b32_e32 v4, 0x7c
	v_mov_b32_e32 v5, 0x7f
	v_cmp_lt_u32_e32 vcc, s10, v3
	v_cndmask_b32_e32 v4, v4, v5, vcc
.LBB158_1962:
	s_or_b64 exec, exec, s[2:3]
	s_waitcnt vmcnt(0)
	global_store_byte v[0:1], v4, off
.LBB158_1963:
	s_mov_b64 s[2:3], 0
	s_mov_b64 s[10:11], -1
.LBB158_1964:
	s_andn2_b64 vcc, exec, s[2:3]
	s_mov_b64 s[2:3], 0
	s_cbranch_vccnz .LBB158_1971
; %bb.1965:
	s_cmp_gt_i32 s18, 14
	s_mov_b64 s[12:13], -1
	s_cbranch_scc0 .LBB158_1969
; %bb.1966:
	s_cmp_eq_u32 s18, 15
	s_mov_b64 s[0:1], -1
	s_cbranch_scc0 .LBB158_1968
; %bb.1967:
	v_cndmask_b32_e64 v3, 0, 1.0, s[20:21]
	s_waitcnt vmcnt(0)
	v_bfe_u32 v4, v3, 16, 1
	s_movk_i32 s0, 0x7fff
	v_add3_u32 v3, v3, v4, s0
	global_store_short_d16_hi v[0:1], v3, off
	s_mov_b64 s[0:1], 0
	s_mov_b64 s[10:11], -1
.LBB158_1968:
	s_mov_b64 s[12:13], 0
.LBB158_1969:
	s_and_b64 vcc, exec, s[12:13]
	s_cbranch_vccz .LBB158_1971
; %bb.1970:
	s_cmp_lg_u32 s18, 11
	s_mov_b64 s[2:3], -1
	s_cselect_b64 s[0:1], -1, 0
.LBB158_1971:
	s_and_b64 vcc, exec, s[0:1]
	s_cbranch_vccnz .LBB158_2106
; %bb.1972:
	s_andn2_b64 vcc, exec, s[2:3]
	s_cbranch_vccnz .LBB158_1974
.LBB158_1973:
	v_cndmask_b32_e64 v3, 0, 1, s[20:21]
	s_mov_b64 s[10:11], -1
	global_store_byte v[0:1], v3, off
.LBB158_1974:
	s_mov_b64 s[0:1], 0
	s_branch .LBB158_1976
.LBB158_1975:
	s_mov_b64 s[0:1], -1
	s_mov_b64 s[10:11], 0
.LBB158_1976:
	s_and_b64 vcc, exec, s[0:1]
	s_cbranch_vccz .LBB158_2015
; %bb.1977:
	s_and_b32 s2, 0xffff, s28
	s_cmp_lt_i32 s2, 5
	s_mov_b64 s[0:1], -1
	s_cbranch_scc1 .LBB158_1998
; %bb.1978:
	s_cmp_lt_i32 s2, 8
	s_cbranch_scc1 .LBB158_1988
; %bb.1979:
	s_cmp_lt_i32 s2, 9
	s_cbranch_scc1 .LBB158_1985
; %bb.1980:
	s_cmp_gt_i32 s2, 9
	s_cbranch_scc0 .LBB158_1982
; %bb.1981:
	v_cndmask_b32_e64 v3, 0, 1, s[20:21]
	s_waitcnt vmcnt(0)
	v_cvt_f64_u32_e32 v[3:4], v3
	v_mov_b32_e32 v5, 0
	v_mov_b32_e32 v6, v5
	s_mov_b64 s[0:1], 0
	global_store_dwordx4 v[0:1], v[3:6], off
.LBB158_1982:
	s_andn2_b64 vcc, exec, s[0:1]
	s_cbranch_vccnz .LBB158_1984
; %bb.1983:
	v_cndmask_b32_e64 v3, 0, 1.0, s[20:21]
	s_waitcnt vmcnt(0)
	v_mov_b32_e32 v4, 0
	global_store_dwordx2 v[0:1], v[3:4], off
.LBB158_1984:
	s_mov_b64 s[0:1], 0
.LBB158_1985:
	s_andn2_b64 vcc, exec, s[0:1]
	s_cbranch_vccnz .LBB158_1987
; %bb.1986:
	v_cndmask_b32_e64 v3, 0, 1.0, s[20:21]
	v_cvt_f16_f32_e32 v3, v3
	global_store_dword v[0:1], v3, off
.LBB158_1987:
	s_mov_b64 s[0:1], 0
.LBB158_1988:
	s_andn2_b64 vcc, exec, s[0:1]
	s_cbranch_vccnz .LBB158_1997
; %bb.1989:
	s_cmp_lt_i32 s2, 6
	s_mov_b64 s[0:1], -1
	s_cbranch_scc1 .LBB158_1995
; %bb.1990:
	s_cmp_gt_i32 s2, 6
	s_cbranch_scc0 .LBB158_1992
; %bb.1991:
	v_cndmask_b32_e64 v3, 0, 1, s[20:21]
	s_waitcnt vmcnt(0)
	v_cvt_f64_u32_e32 v[3:4], v3
	s_mov_b64 s[0:1], 0
	global_store_dwordx2 v[0:1], v[3:4], off
.LBB158_1992:
	s_andn2_b64 vcc, exec, s[0:1]
	s_cbranch_vccnz .LBB158_1994
; %bb.1993:
	v_cndmask_b32_e64 v3, 0, 1.0, s[20:21]
	global_store_dword v[0:1], v3, off
.LBB158_1994:
	s_mov_b64 s[0:1], 0
.LBB158_1995:
	s_andn2_b64 vcc, exec, s[0:1]
	s_cbranch_vccnz .LBB158_1997
; %bb.1996:
	v_cndmask_b32_e64 v3, 0, 1.0, s[20:21]
	v_cvt_f16_f32_e32 v3, v3
	global_store_short v[0:1], v3, off
.LBB158_1997:
	s_mov_b64 s[0:1], 0
.LBB158_1998:
	s_andn2_b64 vcc, exec, s[0:1]
	s_cbranch_vccnz .LBB158_2014
; %bb.1999:
	s_cmp_lt_i32 s2, 2
	s_mov_b64 s[0:1], -1
	s_cbranch_scc1 .LBB158_2009
; %bb.2000:
	s_cmp_lt_i32 s2, 3
	s_cbranch_scc1 .LBB158_2006
; %bb.2001:
	s_cmp_gt_i32 s2, 3
	s_cbranch_scc0 .LBB158_2003
; %bb.2002:
	s_mov_b32 s0, 0
	v_cndmask_b32_e64 v3, 0, 1, s[20:21]
	s_waitcnt vmcnt(0)
	v_mov_b32_e32 v4, s0
	global_store_dwordx2 v[0:1], v[3:4], off
	s_mov_b64 s[0:1], 0
.LBB158_2003:
	s_andn2_b64 vcc, exec, s[0:1]
	s_cbranch_vccnz .LBB158_2005
; %bb.2004:
	v_cndmask_b32_e64 v3, 0, 1, s[20:21]
	global_store_dword v[0:1], v3, off
.LBB158_2005:
	s_mov_b64 s[0:1], 0
.LBB158_2006:
	s_andn2_b64 vcc, exec, s[0:1]
	s_cbranch_vccnz .LBB158_2008
; %bb.2007:
	v_cndmask_b32_e64 v3, 0, 1, s[20:21]
	global_store_short v[0:1], v3, off
.LBB158_2008:
	s_mov_b64 s[0:1], 0
.LBB158_2009:
	s_andn2_b64 vcc, exec, s[0:1]
	s_cbranch_vccnz .LBB158_2014
; %bb.2010:
	s_mov_b64 s[0:1], -1
	s_cmp_gt_i32 s2, 0
	v_cndmask_b32_e64 v3, 0, 1, s[20:21]
	s_cbranch_scc0 .LBB158_2012
; %bb.2011:
	global_store_byte v[0:1], v3, off
	s_mov_b64 s[0:1], 0
.LBB158_2012:
	s_andn2_b64 vcc, exec, s[0:1]
	s_cbranch_vccnz .LBB158_2014
; %bb.2013:
	global_store_byte v[0:1], v3, off
.LBB158_2014:
	s_mov_b64 s[10:11], -1
.LBB158_2015:
	s_andn2_b64 vcc, exec, s[10:11]
	s_cbranch_vccnz .LBB158_2092
; %bb.2016:
	v_add_u32_e32 v0, s24, v2
	v_ashrrev_i32_e32 v1, 31, v0
	v_mov_b32_e32 v2, s9
	v_add_co_u32_e32 v0, vcc, s8, v0
	s_cmp_lt_i32 s28, 11
	v_addc_co_u32_e32 v1, vcc, v2, v1, vcc
	s_cbranch_scc1 .LBB158_2093
; %bb.2017:
	s_and_b32 s14, 0xffff, s28
	s_mov_b64 s[8:9], -1
	s_mov_b64 s[2:3], 0
	s_cmp_gt_i32 s14, 25
	s_mov_b64 s[0:1], 0
	s_cbranch_scc0 .LBB158_2050
; %bb.2018:
	s_cmp_gt_i32 s14, 28
	s_cbranch_scc0 .LBB158_2034
; %bb.2019:
	s_cmp_gt_i32 s14, 43
	;; [unrolled: 3-line block ×3, first 2 shown]
	s_cbranch_scc0 .LBB158_2024
; %bb.2021:
	s_cmp_eq_u32 s14, 46
	s_mov_b64 s[0:1], -1
	s_cbranch_scc0 .LBB158_2023
; %bb.2022:
	v_cndmask_b32_e64 v2, 0, 1.0, s[22:23]
	v_bfe_u32 v3, v2, 16, 1
	s_movk_i32 s0, 0x7fff
	v_add3_u32 v2, v2, v3, s0
	v_lshrrev_b32_e32 v2, 16, v2
	global_store_dword v[0:1], v2, off
	s_mov_b64 s[0:1], 0
.LBB158_2023:
	s_mov_b64 s[8:9], 0
.LBB158_2024:
	s_and_b64 vcc, exec, s[8:9]
	s_cbranch_vccz .LBB158_2029
; %bb.2025:
	s_cmp_eq_u32 s14, 44
	s_mov_b64 s[0:1], -1
	s_cbranch_scc0 .LBB158_2029
; %bb.2026:
	v_cndmask_b32_e64 v3, 0, 1.0, s[22:23]
	v_lshrrev_b32_e32 v2, 23, v3
	s_movk_i32 s0, 0xff
	v_cmp_ne_u32_e32 vcc, s0, v2
	s_waitcnt vmcnt(0)
	v_mov_b32_e32 v4, 0xff
	s_and_saveexec_b64 s[8:9], vcc
; %bb.2027:
	s_mov_b32 s0, 0x3fffff
	v_and_b32_e32 v4, 0x400000, v3
	v_and_or_b32 v3, v3, s0, v2
	v_cmp_ne_u32_e32 vcc, 0, v4
	v_cmp_ne_u32_e64 s[0:1], 0, v3
	s_and_b64 s[0:1], vcc, s[0:1]
	v_cndmask_b32_e64 v3, 0, 1, s[0:1]
	v_add_u32_e32 v4, v2, v3
; %bb.2028:
	s_or_b64 exec, exec, s[8:9]
	s_mov_b64 s[0:1], 0
	global_store_byte v[0:1], v4, off
.LBB158_2029:
	s_mov_b64 s[8:9], 0
.LBB158_2030:
	s_and_b64 vcc, exec, s[8:9]
	s_cbranch_vccz .LBB158_2033
; %bb.2031:
	s_cmp_eq_u32 s14, 29
	s_mov_b64 s[0:1], -1
	s_cbranch_scc0 .LBB158_2033
; %bb.2032:
	s_mov_b32 s0, 0
	v_cndmask_b32_e64 v2, 0, 1, s[22:23]
	v_mov_b32_e32 v3, s0
	global_store_dwordx2 v[0:1], v[2:3], off
	s_mov_b64 s[0:1], 0
.LBB158_2033:
	s_mov_b64 s[8:9], 0
.LBB158_2034:
	s_and_b64 vcc, exec, s[8:9]
	s_cbranch_vccz .LBB158_2049
; %bb.2035:
	s_cmp_lt_i32 s14, 27
	s_mov_b64 s[8:9], -1
	s_cbranch_scc1 .LBB158_2041
; %bb.2036:
	s_cmp_gt_i32 s14, 27
	v_cndmask_b32_e64 v2, 0, 1, s[22:23]
	s_cbranch_scc0 .LBB158_2038
; %bb.2037:
	global_store_dword v[0:1], v2, off
	s_mov_b64 s[8:9], 0
.LBB158_2038:
	s_andn2_b64 vcc, exec, s[8:9]
	s_cbranch_vccnz .LBB158_2040
; %bb.2039:
	global_store_short v[0:1], v2, off
.LBB158_2040:
	s_mov_b64 s[8:9], 0
.LBB158_2041:
	s_andn2_b64 vcc, exec, s[8:9]
	s_cbranch_vccnz .LBB158_2049
; %bb.2042:
	v_cndmask_b32_e64 v3, 0, 1.0, s[22:23]
	s_mov_b32 s8, 0x43800000
	v_cmp_gt_u32_e32 vcc, s8, v3
	s_waitcnt vmcnt(0)
	v_mov_b32_e32 v4, 0x80
	s_and_saveexec_b64 s[8:9], vcc
	s_cbranch_execz .LBB158_2048
; %bb.2043:
	s_mov_b32 s10, 0x3bffffff
	v_cmp_lt_u32_e32 vcc, s10, v3
	s_mov_b64 s[10:11], 0
                                        ; implicit-def: $vgpr2
	s_and_saveexec_b64 s[12:13], vcc
	s_xor_b64 s[12:13], exec, s[12:13]
	s_cbranch_execz .LBB158_2109
; %bb.2044:
	v_bfe_u32 v2, v3, 20, 1
	s_mov_b32 s15, 0x487ffff
	v_add3_u32 v2, v3, v2, s15
	s_mov_b64 s[10:11], exec
	v_lshrrev_b32_e32 v2, 20, v2
                                        ; implicit-def: $vgpr3
	s_andn2_saveexec_b64 s[12:13], s[12:13]
	s_cbranch_execnz .LBB158_2110
.LBB158_2045:
	s_or_b64 exec, exec, s[12:13]
	v_mov_b32_e32 v4, 0
	s_and_saveexec_b64 s[12:13], s[10:11]
.LBB158_2046:
	v_mov_b32_e32 v4, v2
.LBB158_2047:
	s_or_b64 exec, exec, s[12:13]
.LBB158_2048:
	s_or_b64 exec, exec, s[8:9]
	global_store_byte v[0:1], v4, off
.LBB158_2049:
	s_mov_b64 s[8:9], 0
.LBB158_2050:
	s_and_b64 vcc, exec, s[8:9]
	s_cbranch_vccz .LBB158_2090
; %bb.2051:
	s_cmp_gt_i32 s14, 22
	s_mov_b64 s[2:3], -1
	s_cbranch_scc0 .LBB158_2083
; %bb.2052:
	s_cmp_lt_i32 s14, 24
	s_cbranch_scc1 .LBB158_2072
; %bb.2053:
	s_cmp_gt_i32 s14, 24
	s_cbranch_scc0 .LBB158_2061
; %bb.2054:
	v_cndmask_b32_e64 v3, 0, 1.0, s[22:23]
	s_mov_b32 s2, 0x47800000
	v_cmp_gt_u32_e32 vcc, s2, v3
	s_waitcnt vmcnt(0)
	v_mov_b32_e32 v4, 0x80
	s_and_saveexec_b64 s[2:3], vcc
	s_cbranch_execz .LBB158_2060
; %bb.2055:
	s_mov_b32 s8, 0x37ffffff
	v_cmp_lt_u32_e32 vcc, s8, v3
	s_mov_b64 s[8:9], 0
                                        ; implicit-def: $vgpr2
	s_and_saveexec_b64 s[10:11], vcc
	s_xor_b64 s[10:11], exec, s[10:11]
	s_cbranch_execz .LBB158_2112
; %bb.2056:
	v_bfe_u32 v2, v3, 21, 1
	s_mov_b32 s12, 0x88fffff
	v_add3_u32 v2, v3, v2, s12
	s_mov_b64 s[8:9], exec
	v_lshrrev_b32_e32 v2, 21, v2
                                        ; implicit-def: $vgpr3
	s_andn2_saveexec_b64 s[10:11], s[10:11]
	s_cbranch_execnz .LBB158_2113
.LBB158_2057:
	s_or_b64 exec, exec, s[10:11]
	v_mov_b32_e32 v4, 0
	s_and_saveexec_b64 s[10:11], s[8:9]
.LBB158_2058:
	v_mov_b32_e32 v4, v2
.LBB158_2059:
	s_or_b64 exec, exec, s[10:11]
.LBB158_2060:
	s_or_b64 exec, exec, s[2:3]
	s_mov_b64 s[2:3], 0
	global_store_byte v[0:1], v4, off
.LBB158_2061:
	s_and_b64 vcc, exec, s[2:3]
	s_cbranch_vccz .LBB158_2071
; %bb.2062:
	v_cndmask_b32_e64 v2, 0, 1.0, s[22:23]
	s_mov_b32 s2, 0x43f00000
	v_cmp_gt_u32_e32 vcc, s2, v2
                                        ; implicit-def: $vgpr3
	s_and_saveexec_b64 s[2:3], vcc
	s_xor_b64 s[2:3], exec, s[2:3]
	s_cbranch_execz .LBB158_2068
; %bb.2063:
	s_mov_b32 s8, 0x3c7fffff
	v_cmp_lt_u32_e32 vcc, s8, v2
                                        ; implicit-def: $vgpr3
	s_and_saveexec_b64 s[8:9], vcc
	s_xor_b64 s[8:9], exec, s[8:9]
	s_cbranch_execz .LBB158_2065
; %bb.2064:
	v_bfe_u32 v3, v2, 20, 1
	s_mov_b32 s10, 0x407ffff
	v_add3_u32 v2, v2, v3, s10
	v_lshrrev_b32_e32 v3, 20, v2
	v_and_b32_e32 v2, 0xff00000, v2
	s_mov_b32 s10, 0x7f00000
	s_waitcnt vmcnt(0)
	v_mov_b32_e32 v4, 0x7e
	v_cmp_ne_u32_e32 vcc, s10, v2
	v_cndmask_b32_e32 v3, v4, v3, vcc
                                        ; implicit-def: $vgpr2
.LBB158_2065:
	s_andn2_saveexec_b64 s[8:9], s[8:9]
; %bb.2066:
	v_add_f32_e32 v3, 0x46800000, v2
; %bb.2067:
	s_or_b64 exec, exec, s[8:9]
                                        ; implicit-def: $vgpr2
.LBB158_2068:
	s_andn2_saveexec_b64 s[2:3], s[2:3]
	s_cbranch_execz .LBB158_2070
; %bb.2069:
	s_mov_b32 s8, 0x7f800000
	v_mov_b32_e32 v3, 0x7e
	s_waitcnt vmcnt(0)
	v_mov_b32_e32 v4, 0x7f
	v_cmp_lt_u32_e32 vcc, s8, v2
	v_cndmask_b32_e32 v3, v3, v4, vcc
.LBB158_2070:
	s_or_b64 exec, exec, s[2:3]
	global_store_byte v[0:1], v3, off
.LBB158_2071:
	s_mov_b64 s[2:3], 0
.LBB158_2072:
	s_andn2_b64 vcc, exec, s[2:3]
	s_cbranch_vccnz .LBB158_2082
; %bb.2073:
	v_cndmask_b32_e64 v2, 0, 1.0, s[22:23]
	s_mov_b32 s2, 0x47800000
	v_cmp_gt_u32_e32 vcc, s2, v2
                                        ; implicit-def: $vgpr3
	s_and_saveexec_b64 s[2:3], vcc
	s_xor_b64 s[2:3], exec, s[2:3]
	s_cbranch_execz .LBB158_2079
; %bb.2074:
	s_mov_b32 s8, 0x387fffff
	v_cmp_lt_u32_e32 vcc, s8, v2
                                        ; implicit-def: $vgpr3
	s_and_saveexec_b64 s[8:9], vcc
	s_xor_b64 s[8:9], exec, s[8:9]
; %bb.2075:
	v_bfe_u32 v3, v2, 21, 1
	s_mov_b32 s10, 0x80fffff
	v_add3_u32 v2, v2, v3, s10
	v_lshrrev_b32_e32 v3, 21, v2
                                        ; implicit-def: $vgpr2
; %bb.2076:
	s_andn2_saveexec_b64 s[8:9], s[8:9]
; %bb.2077:
	v_add_f32_e32 v3, 0x43000000, v2
; %bb.2078:
	s_or_b64 exec, exec, s[8:9]
                                        ; implicit-def: $vgpr2
.LBB158_2079:
	s_andn2_saveexec_b64 s[2:3], s[2:3]
	s_cbranch_execz .LBB158_2081
; %bb.2080:
	s_mov_b32 s8, 0x7f800000
	v_mov_b32_e32 v3, 0x7c
	s_waitcnt vmcnt(0)
	v_mov_b32_e32 v4, 0x7f
	v_cmp_lt_u32_e32 vcc, s8, v2
	v_cndmask_b32_e32 v3, v3, v4, vcc
.LBB158_2081:
	s_or_b64 exec, exec, s[2:3]
	global_store_byte v[0:1], v3, off
.LBB158_2082:
	s_mov_b64 s[2:3], 0
.LBB158_2083:
	s_andn2_b64 vcc, exec, s[2:3]
	s_mov_b64 s[2:3], 0
	s_cbranch_vccnz .LBB158_2090
; %bb.2084:
	s_cmp_gt_i32 s14, 14
	s_mov_b64 s[8:9], -1
	s_cbranch_scc0 .LBB158_2088
; %bb.2085:
	s_cmp_eq_u32 s14, 15
	s_mov_b64 s[0:1], -1
	s_cbranch_scc0 .LBB158_2087
; %bb.2086:
	v_cndmask_b32_e64 v2, 0, 1.0, s[22:23]
	v_bfe_u32 v3, v2, 16, 1
	s_movk_i32 s0, 0x7fff
	v_add3_u32 v2, v2, v3, s0
	global_store_short_d16_hi v[0:1], v2, off
	s_mov_b64 s[0:1], 0
.LBB158_2087:
	s_mov_b64 s[8:9], 0
.LBB158_2088:
	s_and_b64 vcc, exec, s[8:9]
	s_cbranch_vccz .LBB158_2090
; %bb.2089:
	s_cmp_lg_u32 s14, 11
	s_mov_b64 s[2:3], -1
	s_cselect_b64 s[0:1], -1, 0
.LBB158_2090:
	s_and_b64 vcc, exec, s[0:1]
	s_cbranch_vccnz .LBB158_2111
.LBB158_2091:
	s_mov_b64 s[0:1], 0
	s_branch .LBB158_1612
.LBB158_2092:
	s_mov_b64 s[0:1], 0
	s_branch .LBB158_1611
.LBB158_2093:
	s_mov_b64 s[2:3], 0
	s_mov_b64 s[0:1], -1
	s_branch .LBB158_1612
.LBB158_2094:
	s_andn2_saveexec_b64 s[26:27], s[26:27]
	s_cbranch_execz .LBB158_1687
.LBB158_2095:
	v_add_f32_e32 v3, 0x46000000, v4
	v_and_b32_e32 v3, 0xff, v3
	v_cmp_ne_u32_e32 vcc, 0, v3
	s_andn2_b64 s[24:25], s[24:25], exec
	s_and_b64 s[30:31], vcc, exec
	s_or_b64 s[24:25], s[24:25], s[30:31]
	s_or_b64 exec, exec, s[26:27]
	v_mov_b32_e32 v5, 0
	s_and_saveexec_b64 s[26:27], s[24:25]
	s_cbranch_execnz .LBB158_1688
	s_branch .LBB158_1689
.LBB158_2096:
	s_trap 2
	s_or_b64 s[16:17], s[16:17], exec
	s_cbranch_execz .LBB158_1735
	s_branch .LBB158_1736
.LBB158_2097:
	s_andn2_saveexec_b64 s[24:25], s[24:25]
	s_cbranch_execz .LBB158_1700
.LBB158_2098:
	v_add_f32_e32 v3, 0x42800000, v4
	v_and_b32_e32 v3, 0xff, v3
	v_cmp_ne_u32_e32 vcc, 0, v3
	s_andn2_b64 s[14:15], s[14:15], exec
	s_and_b64 s[26:27], vcc, exec
	s_or_b64 s[14:15], s[14:15], s[26:27]
	s_or_b64 exec, exec, s[24:25]
	v_mov_b32_e32 v5, 0
	s_and_saveexec_b64 s[24:25], s[14:15]
	s_cbranch_execnz .LBB158_1701
	s_branch .LBB158_1702
.LBB158_2099:
	s_andn2_saveexec_b64 s[14:15], s[14:15]
	s_cbranch_execz .LBB158_1806
.LBB158_2100:
	v_add_f32_e32 v3, 0x46000000, v4
	v_and_b32_e32 v3, 0xff, v3
	v_cmp_ne_u32_e32 vcc, 0, v3
	s_andn2_b64 s[12:13], s[12:13], exec
	s_and_b64 s[26:27], vcc, exec
	s_or_b64 s[12:13], s[12:13], s[26:27]
	s_or_b64 exec, exec, s[14:15]
	v_mov_b32_e32 v5, 0
	s_and_saveexec_b64 s[14:15], s[12:13]
	s_cbranch_execnz .LBB158_1807
	s_branch .LBB158_1808
.LBB158_2101:
	s_trap 2
	s_or_b64 s[16:17], s[16:17], exec
	s_cbranch_execz .LBB158_1854
	s_branch .LBB158_1855
.LBB158_2102:
	s_andn2_saveexec_b64 s[12:13], s[12:13]
	s_cbranch_execz .LBB158_1819
.LBB158_2103:
	v_add_f32_e32 v3, 0x42800000, v4
	v_and_b32_e32 v3, 0xff, v3
	v_cmp_ne_u32_e32 vcc, 0, v3
	s_andn2_b64 s[10:11], s[10:11], exec
	s_and_b64 s[14:15], vcc, exec
	s_or_b64 s[10:11], s[10:11], s[14:15]
	s_or_b64 exec, exec, s[12:13]
	v_mov_b32_e32 v5, 0
	s_and_saveexec_b64 s[12:13], s[10:11]
	s_cbranch_execnz .LBB158_1820
	s_branch .LBB158_1821
.LBB158_2104:
	s_andn2_saveexec_b64 s[14:15], s[14:15]
	s_cbranch_execz .LBB158_1925
.LBB158_2105:
	v_add_f32_e32 v3, 0x46000000, v4
	v_and_b32_e32 v3, 0xff, v3
	v_cmp_ne_u32_e32 vcc, 0, v3
	s_andn2_b64 s[12:13], s[12:13], exec
	s_and_b64 s[26:27], vcc, exec
	s_or_b64 s[12:13], s[12:13], s[26:27]
	s_or_b64 exec, exec, s[14:15]
	v_mov_b32_e32 v5, 0
	s_and_saveexec_b64 s[14:15], s[12:13]
	s_cbranch_execnz .LBB158_1926
	s_branch .LBB158_1927
.LBB158_2106:
	s_trap 2
	s_or_b64 s[16:17], s[16:17], exec
	s_cbranch_execz .LBB158_1973
	s_branch .LBB158_1974
.LBB158_2107:
	s_andn2_saveexec_b64 s[12:13], s[12:13]
	s_cbranch_execz .LBB158_1938
.LBB158_2108:
	v_add_f32_e32 v3, 0x42800000, v4
	v_and_b32_e32 v3, 0xff, v3
	v_cmp_ne_u32_e32 vcc, 0, v3
	s_andn2_b64 s[10:11], s[10:11], exec
	s_and_b64 s[14:15], vcc, exec
	s_or_b64 s[10:11], s[10:11], s[14:15]
	s_or_b64 exec, exec, s[12:13]
	v_mov_b32_e32 v5, 0
	s_and_saveexec_b64 s[12:13], s[10:11]
	s_cbranch_execnz .LBB158_1939
	s_branch .LBB158_1940
.LBB158_2109:
	s_andn2_saveexec_b64 s[12:13], s[12:13]
	s_cbranch_execz .LBB158_2045
.LBB158_2110:
	v_add_f32_e32 v2, 0x46000000, v3
	v_and_b32_e32 v2, 0xff, v2
	v_cmp_ne_u32_e32 vcc, 0, v2
	s_andn2_b64 s[10:11], s[10:11], exec
	s_and_b64 s[18:19], vcc, exec
	s_or_b64 s[10:11], s[10:11], s[18:19]
	s_or_b64 exec, exec, s[12:13]
	v_mov_b32_e32 v4, 0
	s_and_saveexec_b64 s[12:13], s[10:11]
	s_cbranch_execnz .LBB158_2046
	s_branch .LBB158_2047
.LBB158_2111:
	s_mov_b64 s[2:3], 0
	s_or_b64 s[16:17], s[16:17], exec
	s_trap 2
	s_branch .LBB158_2091
.LBB158_2112:
	s_andn2_saveexec_b64 s[10:11], s[10:11]
	s_cbranch_execz .LBB158_2057
.LBB158_2113:
	v_add_f32_e32 v2, 0x42800000, v3
	v_and_b32_e32 v2, 0xff, v2
	v_cmp_ne_u32_e32 vcc, 0, v2
	s_andn2_b64 s[8:9], s[8:9], exec
	s_and_b64 s[12:13], vcc, exec
	s_or_b64 s[8:9], s[8:9], s[12:13]
	s_or_b64 exec, exec, s[10:11]
	v_mov_b32_e32 v4, 0
	s_and_saveexec_b64 s[10:11], s[8:9]
	s_cbranch_execnz .LBB158_2058
	s_branch .LBB158_2059
	.section	.rodata,"a",@progbits
	.p2align	6, 0x0
	.amdhsa_kernel _ZN2at6native32elementwise_kernel_manual_unrollILi128ELi4EZNS0_15gpu_kernel_implINS0_13AUnaryFunctorIN3c107complexINS4_4HalfEEES7_bNS0_12_GLOBAL__N_116CompareEqFunctorIS7_EEEEEEvRNS_18TensorIteratorBaseERKT_EUlibE_EEviT1_
		.amdhsa_group_segment_fixed_size 0
		.amdhsa_private_segment_fixed_size 0
		.amdhsa_kernarg_size 48
		.amdhsa_user_sgpr_count 6
		.amdhsa_user_sgpr_private_segment_buffer 1
		.amdhsa_user_sgpr_dispatch_ptr 0
		.amdhsa_user_sgpr_queue_ptr 0
		.amdhsa_user_sgpr_kernarg_segment_ptr 1
		.amdhsa_user_sgpr_dispatch_id 0
		.amdhsa_user_sgpr_flat_scratch_init 0
		.amdhsa_user_sgpr_private_segment_size 0
		.amdhsa_uses_dynamic_stack 0
		.amdhsa_system_sgpr_private_segment_wavefront_offset 0
		.amdhsa_system_sgpr_workgroup_id_x 1
		.amdhsa_system_sgpr_workgroup_id_y 0
		.amdhsa_system_sgpr_workgroup_id_z 0
		.amdhsa_system_sgpr_workgroup_info 0
		.amdhsa_system_vgpr_workitem_id 0
		.amdhsa_next_free_vgpr 19
		.amdhsa_next_free_sgpr 50
		.amdhsa_reserve_vcc 1
		.amdhsa_reserve_flat_scratch 0
		.amdhsa_float_round_mode_32 0
		.amdhsa_float_round_mode_16_64 0
		.amdhsa_float_denorm_mode_32 3
		.amdhsa_float_denorm_mode_16_64 3
		.amdhsa_dx10_clamp 1
		.amdhsa_ieee_mode 1
		.amdhsa_fp16_overflow 0
		.amdhsa_exception_fp_ieee_invalid_op 0
		.amdhsa_exception_fp_denorm_src 0
		.amdhsa_exception_fp_ieee_div_zero 0
		.amdhsa_exception_fp_ieee_overflow 0
		.amdhsa_exception_fp_ieee_underflow 0
		.amdhsa_exception_fp_ieee_inexact 0
		.amdhsa_exception_int_div_zero 0
	.end_amdhsa_kernel
	.section	.text._ZN2at6native32elementwise_kernel_manual_unrollILi128ELi4EZNS0_15gpu_kernel_implINS0_13AUnaryFunctorIN3c107complexINS4_4HalfEEES7_bNS0_12_GLOBAL__N_116CompareEqFunctorIS7_EEEEEEvRNS_18TensorIteratorBaseERKT_EUlibE_EEviT1_,"axG",@progbits,_ZN2at6native32elementwise_kernel_manual_unrollILi128ELi4EZNS0_15gpu_kernel_implINS0_13AUnaryFunctorIN3c107complexINS4_4HalfEEES7_bNS0_12_GLOBAL__N_116CompareEqFunctorIS7_EEEEEEvRNS_18TensorIteratorBaseERKT_EUlibE_EEviT1_,comdat
.Lfunc_end158:
	.size	_ZN2at6native32elementwise_kernel_manual_unrollILi128ELi4EZNS0_15gpu_kernel_implINS0_13AUnaryFunctorIN3c107complexINS4_4HalfEEES7_bNS0_12_GLOBAL__N_116CompareEqFunctorIS7_EEEEEEvRNS_18TensorIteratorBaseERKT_EUlibE_EEviT1_, .Lfunc_end158-_ZN2at6native32elementwise_kernel_manual_unrollILi128ELi4EZNS0_15gpu_kernel_implINS0_13AUnaryFunctorIN3c107complexINS4_4HalfEEES7_bNS0_12_GLOBAL__N_116CompareEqFunctorIS7_EEEEEEvRNS_18TensorIteratorBaseERKT_EUlibE_EEviT1_
                                        ; -- End function
	.set _ZN2at6native32elementwise_kernel_manual_unrollILi128ELi4EZNS0_15gpu_kernel_implINS0_13AUnaryFunctorIN3c107complexINS4_4HalfEEES7_bNS0_12_GLOBAL__N_116CompareEqFunctorIS7_EEEEEEvRNS_18TensorIteratorBaseERKT_EUlibE_EEviT1_.num_vgpr, 19
	.set _ZN2at6native32elementwise_kernel_manual_unrollILi128ELi4EZNS0_15gpu_kernel_implINS0_13AUnaryFunctorIN3c107complexINS4_4HalfEEES7_bNS0_12_GLOBAL__N_116CompareEqFunctorIS7_EEEEEEvRNS_18TensorIteratorBaseERKT_EUlibE_EEviT1_.num_agpr, 0
	.set _ZN2at6native32elementwise_kernel_manual_unrollILi128ELi4EZNS0_15gpu_kernel_implINS0_13AUnaryFunctorIN3c107complexINS4_4HalfEEES7_bNS0_12_GLOBAL__N_116CompareEqFunctorIS7_EEEEEEvRNS_18TensorIteratorBaseERKT_EUlibE_EEviT1_.numbered_sgpr, 50
	.set _ZN2at6native32elementwise_kernel_manual_unrollILi128ELi4EZNS0_15gpu_kernel_implINS0_13AUnaryFunctorIN3c107complexINS4_4HalfEEES7_bNS0_12_GLOBAL__N_116CompareEqFunctorIS7_EEEEEEvRNS_18TensorIteratorBaseERKT_EUlibE_EEviT1_.num_named_barrier, 0
	.set _ZN2at6native32elementwise_kernel_manual_unrollILi128ELi4EZNS0_15gpu_kernel_implINS0_13AUnaryFunctorIN3c107complexINS4_4HalfEEES7_bNS0_12_GLOBAL__N_116CompareEqFunctorIS7_EEEEEEvRNS_18TensorIteratorBaseERKT_EUlibE_EEviT1_.private_seg_size, 0
	.set _ZN2at6native32elementwise_kernel_manual_unrollILi128ELi4EZNS0_15gpu_kernel_implINS0_13AUnaryFunctorIN3c107complexINS4_4HalfEEES7_bNS0_12_GLOBAL__N_116CompareEqFunctorIS7_EEEEEEvRNS_18TensorIteratorBaseERKT_EUlibE_EEviT1_.uses_vcc, 1
	.set _ZN2at6native32elementwise_kernel_manual_unrollILi128ELi4EZNS0_15gpu_kernel_implINS0_13AUnaryFunctorIN3c107complexINS4_4HalfEEES7_bNS0_12_GLOBAL__N_116CompareEqFunctorIS7_EEEEEEvRNS_18TensorIteratorBaseERKT_EUlibE_EEviT1_.uses_flat_scratch, 0
	.set _ZN2at6native32elementwise_kernel_manual_unrollILi128ELi4EZNS0_15gpu_kernel_implINS0_13AUnaryFunctorIN3c107complexINS4_4HalfEEES7_bNS0_12_GLOBAL__N_116CompareEqFunctorIS7_EEEEEEvRNS_18TensorIteratorBaseERKT_EUlibE_EEviT1_.has_dyn_sized_stack, 0
	.set _ZN2at6native32elementwise_kernel_manual_unrollILi128ELi4EZNS0_15gpu_kernel_implINS0_13AUnaryFunctorIN3c107complexINS4_4HalfEEES7_bNS0_12_GLOBAL__N_116CompareEqFunctorIS7_EEEEEEvRNS_18TensorIteratorBaseERKT_EUlibE_EEviT1_.has_recursion, 0
	.set _ZN2at6native32elementwise_kernel_manual_unrollILi128ELi4EZNS0_15gpu_kernel_implINS0_13AUnaryFunctorIN3c107complexINS4_4HalfEEES7_bNS0_12_GLOBAL__N_116CompareEqFunctorIS7_EEEEEEvRNS_18TensorIteratorBaseERKT_EUlibE_EEviT1_.has_indirect_call, 0
	.section	.AMDGPU.csdata,"",@progbits
; Kernel info:
; codeLenInByte = 37484
; TotalNumSgprs: 54
; NumVgprs: 19
; ScratchSize: 0
; MemoryBound: 0
; FloatMode: 240
; IeeeMode: 1
; LDSByteSize: 0 bytes/workgroup (compile time only)
; SGPRBlocks: 6
; VGPRBlocks: 4
; NumSGPRsForWavesPerEU: 54
; NumVGPRsForWavesPerEU: 19
; Occupancy: 10
; WaveLimiterHint : 0
; COMPUTE_PGM_RSRC2:SCRATCH_EN: 0
; COMPUTE_PGM_RSRC2:USER_SGPR: 6
; COMPUTE_PGM_RSRC2:TRAP_HANDLER: 0
; COMPUTE_PGM_RSRC2:TGID_X_EN: 1
; COMPUTE_PGM_RSRC2:TGID_Y_EN: 0
; COMPUTE_PGM_RSRC2:TGID_Z_EN: 0
; COMPUTE_PGM_RSRC2:TIDIG_COMP_CNT: 0
	.section	.text._ZN2at6native32elementwise_kernel_manual_unrollILi128ELi4EZNS0_15gpu_kernel_implINS0_13AUnaryFunctorIN3c107complexINS4_4HalfEEES7_bNS0_12_GLOBAL__N_116CompareEqFunctorIS7_EEEEEEvRNS_18TensorIteratorBaseERKT_EUlibE0_EEviT1_,"axG",@progbits,_ZN2at6native32elementwise_kernel_manual_unrollILi128ELi4EZNS0_15gpu_kernel_implINS0_13AUnaryFunctorIN3c107complexINS4_4HalfEEES7_bNS0_12_GLOBAL__N_116CompareEqFunctorIS7_EEEEEEvRNS_18TensorIteratorBaseERKT_EUlibE0_EEviT1_,comdat
	.globl	_ZN2at6native32elementwise_kernel_manual_unrollILi128ELi4EZNS0_15gpu_kernel_implINS0_13AUnaryFunctorIN3c107complexINS4_4HalfEEES7_bNS0_12_GLOBAL__N_116CompareEqFunctorIS7_EEEEEEvRNS_18TensorIteratorBaseERKT_EUlibE0_EEviT1_ ; -- Begin function _ZN2at6native32elementwise_kernel_manual_unrollILi128ELi4EZNS0_15gpu_kernel_implINS0_13AUnaryFunctorIN3c107complexINS4_4HalfEEES7_bNS0_12_GLOBAL__N_116CompareEqFunctorIS7_EEEEEEvRNS_18TensorIteratorBaseERKT_EUlibE0_EEviT1_
	.p2align	8
	.type	_ZN2at6native32elementwise_kernel_manual_unrollILi128ELi4EZNS0_15gpu_kernel_implINS0_13AUnaryFunctorIN3c107complexINS4_4HalfEEES7_bNS0_12_GLOBAL__N_116CompareEqFunctorIS7_EEEEEEvRNS_18TensorIteratorBaseERKT_EUlibE0_EEviT1_,@function
_ZN2at6native32elementwise_kernel_manual_unrollILi128ELi4EZNS0_15gpu_kernel_implINS0_13AUnaryFunctorIN3c107complexINS4_4HalfEEES7_bNS0_12_GLOBAL__N_116CompareEqFunctorIS7_EEEEEEvRNS_18TensorIteratorBaseERKT_EUlibE0_EEviT1_: ; @_ZN2at6native32elementwise_kernel_manual_unrollILi128ELi4EZNS0_15gpu_kernel_implINS0_13AUnaryFunctorIN3c107complexINS4_4HalfEEES7_bNS0_12_GLOBAL__N_116CompareEqFunctorIS7_EEEEEEvRNS_18TensorIteratorBaseERKT_EUlibE0_EEviT1_
; %bb.0:
	s_load_dword s74, s[4:5], 0x0
	s_load_dword s33, s[4:5], 0x8
	s_add_u32 s34, s4, 8
	s_addc_u32 s35, s5, 0
	v_lshl_or_b32 v8, s6, 9, v0
	v_or_b32_e32 v15, 0x180, v8
	s_waitcnt lgkmcnt(0)
	s_add_i32 s76, s33, -1
	s_cmp_gt_u32 s76, 1
	v_cmp_le_i32_e32 vcc, s74, v15
	s_cselect_b64 s[40:41], -1, 0
	s_mov_b64 s[6:7], 0
	s_mov_b64 s[28:29], 0
	s_and_saveexec_b64 s[0:1], vcc
	s_xor_b64 s[42:43], exec, s[0:1]
	s_cbranch_execz .LBB159_1122
; %bb.1:
	s_load_dwordx4 s[28:31], s[34:35], 0x4
	s_load_dwordx2 s[48:49], s[34:35], 0x14
	s_load_dwordx2 s[44:45], s[34:35], 0x158
	s_load_dword s77, s[34:35], 0x160
	s_cmp_lg_u32 s33, 0
	s_cselect_b64 s[54:55], -1, 0
	s_add_u32 s52, s34, 0xc4
	s_addc_u32 s53, s35, 0
	s_min_u32 s80, s76, 15
	s_load_dwordx4 s[36:39], s[34:35], 0xc4
	s_load_dwordx4 s[24:27], s[34:35], 0x148
	s_cmp_gt_u32 s33, 1
	s_cselect_b64 s[50:51], -1, 0
	s_waitcnt lgkmcnt(0)
	s_bfe_u32 s79, s77, 0x80008
	s_lshr_b32 s78, s45, 16
	s_cmp_lg_u32 s44, 0
	s_cselect_b64 s[46:47], -1, 0
	v_cmp_gt_i32_e32 vcc, s74, v8
	s_mov_b64 s[2:3], -1
	s_mov_b64 s[64:65], 0
	s_mov_b64 s[58:59], 0
	;; [unrolled: 1-line block ×3, first 2 shown]
	s_and_saveexec_b64 s[60:61], vcc
	s_cbranch_execz .LBB159_274
; %bb.2:
	s_andn2_b64 vcc, exec, s[40:41]
	s_cbranch_vccnz .LBB159_7
; %bb.3:
	s_andn2_b64 vcc, exec, s[54:55]
	s_cbranch_vccnz .LBB159_8
; %bb.4:
	s_add_i32 s62, s80, 1
	s_cmp_eq_u32 s76, 2
	s_cbranch_scc1 .LBB159_9
; %bb.5:
	s_and_b32 s44, s62, 28
	v_mov_b32_e32 v2, 0
	s_mov_b32 s63, 0
	s_mov_b64 s[56:57], s[34:35]
	s_mov_b64 s[58:59], s[52:53]
	v_mov_b32_e32 v0, 0
	v_mov_b32_e32 v1, v8
.LBB159_6:                              ; =>This Inner Loop Header: Depth=1
	s_load_dwordx8 s[16:23], s[56:57], 0x4
	s_load_dwordx4 s[0:3], s[56:57], 0x24
	s_load_dwordx8 s[8:15], s[58:59], 0x0
	s_add_u32 s56, s56, 48
	s_addc_u32 s57, s57, 0
	s_waitcnt lgkmcnt(0)
	v_mul_hi_u32 v3, s17, v1
	s_add_i32 s63, s63, 4
	s_add_u32 s58, s58, 32
	s_addc_u32 s59, s59, 0
	v_add_u32_e32 v3, v1, v3
	v_lshrrev_b32_e32 v3, s18, v3
	v_mul_lo_u32 v4, v3, s16
	v_mul_hi_u32 v5, s20, v3
	s_cmp_lg_u32 s44, s63
	v_sub_u32_e32 v1, v1, v4
	v_add_u32_e32 v4, v3, v5
	v_mul_lo_u32 v5, v1, s8
	v_mul_lo_u32 v6, v1, s9
	v_lshrrev_b32_e32 v1, s21, v4
	v_mul_lo_u32 v4, v1, s19
	v_mul_hi_u32 v7, s23, v1
	v_sub_u32_e32 v3, v3, v4
	v_add_u32_e32 v4, v1, v7
	v_lshrrev_b32_e32 v4, s0, v4
	v_mul_hi_u32 v9, s2, v4
	v_mul_lo_u32 v10, v4, s22
	v_mul_lo_u32 v7, v3, s10
	;; [unrolled: 1-line block ×3, first 2 shown]
	v_sub_u32_e32 v10, v1, v10
	v_add_u32_e32 v1, v4, v9
	v_lshrrev_b32_e32 v1, s3, v1
	v_mul_lo_u32 v9, v1, s1
	v_mul_lo_u32 v11, v10, s12
	;; [unrolled: 1-line block ×3, first 2 shown]
	v_add3_u32 v0, v5, v0, v7
	v_sub_u32_e32 v4, v4, v9
	v_mul_lo_u32 v9, v4, s14
	v_mul_lo_u32 v4, v4, s15
	v_add3_u32 v2, v6, v2, v3
	v_add3_u32 v0, v11, v0, v9
	;; [unrolled: 1-line block ×3, first 2 shown]
	s_cbranch_scc1 .LBB159_6
	s_branch .LBB159_10
.LBB159_7:
                                        ; implicit-def: $vgpr0
                                        ; implicit-def: $vgpr2
	s_branch .LBB159_14
.LBB159_8:
	v_mov_b32_e32 v0, 0
	v_mov_b32_e32 v2, 0
	s_branch .LBB159_13
.LBB159_9:
	s_mov_b32 s44, 0
	v_mov_b32_e32 v0, 0
	v_mov_b32_e32 v2, 0
	;; [unrolled: 1-line block ×3, first 2 shown]
.LBB159_10:
	s_and_b32 s8, s62, 3
	s_cmp_eq_u32 s8, 0
	s_cbranch_scc1 .LBB159_13
; %bb.11:
	s_lshl_b32 s0, s44, 3
	s_add_u32 s0, s34, s0
	s_addc_u32 s1, s35, 0
	s_add_u32 s0, s0, 0xc4
	s_addc_u32 s1, s1, 0
	s_mul_i32 s2, s44, 12
	s_add_u32 s2, s34, s2
	s_addc_u32 s3, s35, 0
.LBB159_12:                             ; =>This Inner Loop Header: Depth=1
	s_load_dwordx2 s[10:11], s[2:3], 0x4
	s_load_dword s9, s[2:3], 0xc
	s_load_dwordx2 s[12:13], s[0:1], 0x0
	s_add_u32 s2, s2, 12
	s_addc_u32 s3, s3, 0
	s_waitcnt lgkmcnt(0)
	v_mul_hi_u32 v3, s11, v1
	s_add_u32 s0, s0, 8
	s_addc_u32 s1, s1, 0
	s_add_i32 s8, s8, -1
	v_add_u32_e32 v3, v1, v3
	v_lshrrev_b32_e32 v4, s9, v3
	v_mul_lo_u32 v3, v4, s10
	s_cmp_lg_u32 s8, 0
	v_sub_u32_e32 v3, v1, v3
	v_mad_u64_u32 v[0:1], s[10:11], v3, s12, v[0:1]
	v_mad_u64_u32 v[2:3], s[10:11], v3, s13, v[2:3]
	v_mov_b32_e32 v1, v4
	s_cbranch_scc1 .LBB159_12
.LBB159_13:
	s_cbranch_execnz .LBB159_16
.LBB159_14:
	v_mul_hi_u32 v0, s29, v8
	s_andn2_b64 vcc, exec, s[50:51]
	v_add_u32_e32 v0, v8, v0
	v_lshrrev_b32_e32 v1, s30, v0
	v_mul_lo_u32 v0, v1, s28
	v_sub_u32_e32 v2, v8, v0
	v_mul_lo_u32 v0, v2, s36
	v_mul_lo_u32 v2, v2, s37
	s_cbranch_vccnz .LBB159_16
; %bb.15:
	v_mul_hi_u32 v3, s48, v1
	v_add_u32_e32 v3, v1, v3
	v_lshrrev_b32_e32 v3, s49, v3
	v_mul_lo_u32 v3, v3, s31
	v_sub_u32_e32 v3, v1, v3
	v_mad_u64_u32 v[0:1], s[0:1], v3, s38, v[0:1]
	v_mad_u64_u32 v[2:3], s[0:1], v3, s39, v[2:3]
.LBB159_16:
	v_mov_b32_e32 v3, s27
	s_and_b32 s12, 0xffff, s79
	v_add_co_u32_e32 v1, vcc, s26, v2
	s_cmp_lt_i32 s12, 11
	v_addc_co_u32_e32 v2, vcc, 0, v3, vcc
	s_cbranch_scc1 .LBB159_23
; %bb.17:
	s_cmp_gt_i32 s12, 25
	s_cbranch_scc0 .LBB159_35
; %bb.18:
	s_cmp_gt_i32 s12, 28
	s_cbranch_scc0 .LBB159_39
	;; [unrolled: 3-line block ×4, first 2 shown]
; %bb.21:
	s_cmp_eq_u32 s12, 46
	s_mov_b64 s[8:9], 0
	s_cbranch_scc0 .LBB159_45
; %bb.22:
	global_load_dword v3, v[1:2], off
	s_mov_b64 s[0:1], -1
	s_mov_b64 s[2:3], 0
	s_waitcnt vmcnt(0)
	v_and_b32_e32 v4, 0xffff0000, v3
	v_lshlrev_b32_e32 v3, 16, v3
	v_cvt_f16_f32_e32 v3, v3
	v_cvt_f16_f32_e32 v4, v4
	s_branch .LBB159_47
.LBB159_23:
	s_mov_b64 s[2:3], 0
                                        ; implicit-def: $vgpr4
                                        ; implicit-def: $vgpr3
	s_mov_b64 s[0:1], 0
	s_cbranch_execnz .LBB159_222
.LBB159_24:
	s_andn2_b64 vcc, exec, s[0:1]
	s_cbranch_vccnz .LBB159_271
.LBB159_25:
	s_and_b64 vcc, exec, s[46:47]
	s_cbranch_vccz .LBB159_38
; %bb.26:
	s_waitcnt vmcnt(0)
	v_cmp_neq_f16_e32 vcc, s45, v3
	v_cmp_neq_f16_e64 s[0:1], s78, v4
	s_or_b64 s[8:9], vcc, s[0:1]
	s_cbranch_execnz .LBB159_28
.LBB159_27:
	s_waitcnt vmcnt(0)
	v_cmp_eq_f16_e32 vcc, s45, v3
	v_cmp_eq_f16_e64 s[0:1], s78, v4
	s_and_b64 s[0:1], vcc, s[0:1]
	s_andn2_b64 s[8:9], s[8:9], exec
	s_and_b64 s[0:1], s[0:1], exec
	s_or_b64 s[8:9], s[8:9], s[0:1]
.LBB159_28:
	v_mov_b32_e32 v1, s25
	s_and_b32 s16, s77, 0xff
	v_add_co_u32_e32 v0, vcc, s24, v0
	s_cmp_lt_i32 s16, 11
	v_addc_co_u32_e32 v1, vcc, 0, v1, vcc
	s_cbranch_scc1 .LBB159_36
; %bb.29:
	s_and_b32 s17, 0xffff, s16
	s_cmp_gt_i32 s17, 25
	s_cbranch_scc0 .LBB159_40
; %bb.30:
	s_cmp_gt_i32 s17, 28
	s_cbranch_scc0 .LBB159_42
; %bb.31:
	;; [unrolled: 3-line block ×4, first 2 shown]
	s_mov_b64 s[12:13], 0
	s_mov_b64 s[0:1], -1
	s_cmp_eq_u32 s17, 46
	s_mov_b64 s[10:11], 0
	s_cbranch_scc0 .LBB159_51
; %bb.34:
	v_cndmask_b32_e64 v2, 0, 1.0, s[8:9]
	s_waitcnt vmcnt(0)
	v_bfe_u32 v3, v2, 16, 1
	s_movk_i32 s0, 0x7fff
	v_add3_u32 v2, v2, v3, s0
	v_lshrrev_b32_e32 v2, 16, v2
	global_store_dword v[0:1], v2, off
	s_mov_b64 s[10:11], -1
	s_mov_b64 s[0:1], 0
	s_branch .LBB159_51
.LBB159_35:
	s_mov_b64 s[2:3], 0
	s_mov_b64 s[0:1], 0
                                        ; implicit-def: $vgpr4
                                        ; implicit-def: $vgpr3
	s_cbranch_execnz .LBB159_187
	s_branch .LBB159_221
.LBB159_36:
	s_mov_b64 s[0:1], 0
	s_mov_b64 s[10:11], 0
	s_cbranch_execnz .LBB159_120
.LBB159_37:
	s_andn2_b64 vcc, exec, s[10:11]
	s_cbranch_vccnz .LBB159_272
	s_branch .LBB159_158
.LBB159_38:
                                        ; implicit-def: $sgpr8_sgpr9
	s_branch .LBB159_27
.LBB159_39:
	s_mov_b64 s[8:9], -1
	s_mov_b64 s[2:3], 0
	s_mov_b64 s[0:1], 0
                                        ; implicit-def: $vgpr4
                                        ; implicit-def: $vgpr3
	s_branch .LBB159_168
.LBB159_40:
	s_mov_b64 s[12:13], -1
	s_mov_b64 s[0:1], 0
	s_mov_b64 s[10:11], 0
	s_branch .LBB159_78
.LBB159_41:
	s_mov_b64 s[8:9], -1
	s_mov_b64 s[2:3], 0
	s_mov_b64 s[0:1], 0
                                        ; implicit-def: $vgpr4
                                        ; implicit-def: $vgpr3
	s_branch .LBB159_162
.LBB159_42:
	s_mov_b64 s[12:13], -1
	s_mov_b64 s[0:1], 0
	s_mov_b64 s[10:11], 0
	s_branch .LBB159_61
.LBB159_43:
	s_mov_b64 s[8:9], -1
	s_mov_b64 s[2:3], 0
	s_branch .LBB159_46
.LBB159_44:
	s_mov_b64 s[12:13], -1
	s_mov_b64 s[0:1], 0
	s_mov_b64 s[10:11], 0
	s_branch .LBB159_57
.LBB159_45:
	s_mov_b64 s[2:3], -1
.LBB159_46:
	s_mov_b64 s[0:1], 0
                                        ; implicit-def: $vgpr4
                                        ; implicit-def: $vgpr3
.LBB159_47:
	s_and_b64 vcc, exec, s[8:9]
	s_cbranch_vccz .LBB159_161
; %bb.48:
	s_cmp_eq_u32 s12, 44
	s_cbranch_scc0 .LBB159_159
; %bb.49:
	global_load_ubyte v3, v[1:2], off
	s_movk_i32 s2, 0xff
	v_mov_b32_e32 v5, 0x7e00
	s_mov_b64 s[0:1], -1
	s_waitcnt vmcnt(0)
	v_lshlrev_b32_e32 v4, 23, v3
	v_cvt_f16_f32_e32 v4, v4
	v_cmp_ne_u32_e32 vcc, s2, v3
	s_mov_b64 s[2:3], 0
	v_cndmask_b32_e32 v4, v5, v4, vcc
	v_cmp_ne_u32_e32 vcc, 0, v3
	v_cndmask_b32_e32 v3, 0, v4, vcc
	s_branch .LBB159_160
.LBB159_50:
	s_mov_b64 s[12:13], -1
	s_mov_b64 s[0:1], 0
	s_mov_b64 s[10:11], 0
.LBB159_51:
	s_and_b64 vcc, exec, s[12:13]
	s_cbranch_vccz .LBB159_56
; %bb.52:
	s_cmp_eq_u32 s17, 44
	s_mov_b64 s[0:1], -1
	s_cbranch_scc0 .LBB159_56
; %bb.53:
	s_waitcnt vmcnt(0)
	v_cndmask_b32_e64 v3, 0, 1.0, s[8:9]
	v_lshrrev_b32_e32 v2, 23, v3
	s_movk_i32 s0, 0xff
	v_cmp_ne_u32_e32 vcc, s0, v2
	v_mov_b32_e32 v4, 0xff
	s_and_saveexec_b64 s[10:11], vcc
; %bb.54:
	s_mov_b32 s0, 0x3fffff
	v_and_b32_e32 v4, 0x400000, v3
	v_and_or_b32 v3, v3, s0, v2
	v_cmp_ne_u32_e32 vcc, 0, v4
	v_cmp_ne_u32_e64 s[0:1], 0, v3
	s_and_b64 s[0:1], vcc, s[0:1]
	v_cndmask_b32_e64 v3, 0, 1, s[0:1]
	v_add_u32_e32 v4, v2, v3
; %bb.55:
	s_or_b64 exec, exec, s[10:11]
	s_mov_b64 s[10:11], -1
	s_mov_b64 s[0:1], 0
	global_store_byte v[0:1], v4, off
.LBB159_56:
	s_mov_b64 s[12:13], 0
.LBB159_57:
	s_and_b64 vcc, exec, s[12:13]
	s_cbranch_vccz .LBB159_60
; %bb.58:
	s_cmp_eq_u32 s17, 29
	s_mov_b64 s[0:1], -1
	s_cbranch_scc0 .LBB159_60
; %bb.59:
	s_mov_b32 s0, 0
	v_cndmask_b32_e64 v2, 0, 1, s[8:9]
	s_waitcnt vmcnt(0)
	v_mov_b32_e32 v3, s0
	global_store_dwordx2 v[0:1], v[2:3], off
	s_mov_b64 s[10:11], -1
	s_mov_b64 s[0:1], 0
.LBB159_60:
	s_mov_b64 s[12:13], 0
.LBB159_61:
	s_and_b64 vcc, exec, s[12:13]
	s_cbranch_vccz .LBB159_77
; %bb.62:
	s_cmp_lt_i32 s17, 27
	s_mov_b64 s[10:11], -1
	s_cbranch_scc1 .LBB159_68
; %bb.63:
	s_cmp_gt_i32 s17, 27
	s_cbranch_scc0 .LBB159_65
; %bb.64:
	v_cndmask_b32_e64 v2, 0, 1, s[8:9]
	s_mov_b64 s[10:11], 0
	global_store_dword v[0:1], v2, off
.LBB159_65:
	s_andn2_b64 vcc, exec, s[10:11]
	s_cbranch_vccnz .LBB159_67
; %bb.66:
	v_cndmask_b32_e64 v2, 0, 1, s[8:9]
	global_store_short v[0:1], v2, off
.LBB159_67:
	s_mov_b64 s[10:11], 0
.LBB159_68:
	s_andn2_b64 vcc, exec, s[10:11]
	s_cbranch_vccnz .LBB159_76
; %bb.69:
	s_waitcnt vmcnt(0)
	v_cndmask_b32_e64 v3, 0, 1.0, s[8:9]
	s_mov_b32 s10, 0x43800000
	v_cmp_gt_u32_e32 vcc, s10, v3
	v_mov_b32_e32 v4, 0x80
	s_and_saveexec_b64 s[10:11], vcc
	s_cbranch_execz .LBB159_75
; %bb.70:
	s_mov_b32 s12, 0x3bffffff
	v_cmp_lt_u32_e32 vcc, s12, v3
	s_mov_b64 s[12:13], 0
                                        ; implicit-def: $vgpr2
	s_and_saveexec_b64 s[14:15], vcc
	s_xor_b64 s[14:15], exec, s[14:15]
	s_cbranch_execz .LBB159_319
; %bb.71:
	v_bfe_u32 v2, v3, 20, 1
	s_mov_b32 s18, 0x487ffff
	v_add3_u32 v2, v3, v2, s18
	s_mov_b64 s[12:13], exec
	v_lshrrev_b32_e32 v2, 20, v2
                                        ; implicit-def: $vgpr3
	s_andn2_saveexec_b64 s[14:15], s[14:15]
	s_cbranch_execnz .LBB159_320
.LBB159_72:
	s_or_b64 exec, exec, s[14:15]
	v_mov_b32_e32 v4, 0
	s_and_saveexec_b64 s[14:15], s[12:13]
.LBB159_73:
	v_mov_b32_e32 v4, v2
.LBB159_74:
	s_or_b64 exec, exec, s[14:15]
.LBB159_75:
	s_or_b64 exec, exec, s[10:11]
	global_store_byte v[0:1], v4, off
.LBB159_76:
	s_mov_b64 s[10:11], -1
.LBB159_77:
	s_mov_b64 s[12:13], 0
.LBB159_78:
	s_and_b64 vcc, exec, s[12:13]
	s_cbranch_vccz .LBB159_119
; %bb.79:
	s_cmp_gt_i32 s17, 22
	s_mov_b64 s[12:13], -1
	s_cbranch_scc0 .LBB159_111
; %bb.80:
	s_cmp_lt_i32 s17, 24
	s_mov_b64 s[10:11], -1
	s_cbranch_scc1 .LBB159_100
; %bb.81:
	s_cmp_gt_i32 s17, 24
	s_cbranch_scc0 .LBB159_89
; %bb.82:
	s_waitcnt vmcnt(0)
	v_cndmask_b32_e64 v3, 0, 1.0, s[8:9]
	s_mov_b32 s10, 0x47800000
	v_cmp_gt_u32_e32 vcc, s10, v3
	v_mov_b32_e32 v4, 0x80
	s_and_saveexec_b64 s[10:11], vcc
	s_cbranch_execz .LBB159_88
; %bb.83:
	s_mov_b32 s12, 0x37ffffff
	v_cmp_lt_u32_e32 vcc, s12, v3
	s_mov_b64 s[12:13], 0
                                        ; implicit-def: $vgpr2
	s_and_saveexec_b64 s[14:15], vcc
	s_xor_b64 s[14:15], exec, s[14:15]
	s_cbranch_execz .LBB159_323
; %bb.84:
	v_bfe_u32 v2, v3, 21, 1
	s_mov_b32 s18, 0x88fffff
	v_add3_u32 v2, v3, v2, s18
	s_mov_b64 s[12:13], exec
	v_lshrrev_b32_e32 v2, 21, v2
                                        ; implicit-def: $vgpr3
	s_andn2_saveexec_b64 s[14:15], s[14:15]
	s_cbranch_execnz .LBB159_324
.LBB159_85:
	s_or_b64 exec, exec, s[14:15]
	v_mov_b32_e32 v4, 0
	s_and_saveexec_b64 s[14:15], s[12:13]
.LBB159_86:
	v_mov_b32_e32 v4, v2
.LBB159_87:
	s_or_b64 exec, exec, s[14:15]
.LBB159_88:
	s_or_b64 exec, exec, s[10:11]
	s_mov_b64 s[10:11], 0
	global_store_byte v[0:1], v4, off
.LBB159_89:
	s_and_b64 vcc, exec, s[10:11]
	s_cbranch_vccz .LBB159_99
; %bb.90:
	v_cndmask_b32_e64 v2, 0, 1.0, s[8:9]
	s_mov_b32 s10, 0x43f00000
	v_cmp_gt_u32_e32 vcc, s10, v2
                                        ; implicit-def: $vgpr3
	s_and_saveexec_b64 s[10:11], vcc
	s_xor_b64 s[10:11], exec, s[10:11]
	s_cbranch_execz .LBB159_96
; %bb.91:
	s_mov_b32 s12, 0x3c7fffff
	v_cmp_lt_u32_e32 vcc, s12, v2
                                        ; implicit-def: $vgpr3
	s_and_saveexec_b64 s[12:13], vcc
	s_xor_b64 s[12:13], exec, s[12:13]
	s_cbranch_execz .LBB159_93
; %bb.92:
	s_waitcnt vmcnt(0)
	v_bfe_u32 v3, v2, 20, 1
	s_mov_b32 s14, 0x407ffff
	v_add3_u32 v2, v2, v3, s14
	v_lshrrev_b32_e32 v3, 20, v2
	v_and_b32_e32 v2, 0xff00000, v2
	s_mov_b32 s14, 0x7f00000
	v_mov_b32_e32 v4, 0x7e
	v_cmp_ne_u32_e32 vcc, s14, v2
	v_cndmask_b32_e32 v3, v4, v3, vcc
                                        ; implicit-def: $vgpr2
.LBB159_93:
	s_andn2_saveexec_b64 s[12:13], s[12:13]
	s_cbranch_execz .LBB159_95
; %bb.94:
	s_waitcnt vmcnt(0)
	v_add_f32_e32 v3, 0x46800000, v2
.LBB159_95:
	s_or_b64 exec, exec, s[12:13]
                                        ; implicit-def: $vgpr2
.LBB159_96:
	s_andn2_saveexec_b64 s[10:11], s[10:11]
	s_cbranch_execz .LBB159_98
; %bb.97:
	s_mov_b32 s12, 0x7f800000
	s_waitcnt vmcnt(0)
	v_mov_b32_e32 v3, 0x7e
	v_mov_b32_e32 v4, 0x7f
	v_cmp_lt_u32_e32 vcc, s12, v2
	v_cndmask_b32_e32 v3, v3, v4, vcc
.LBB159_98:
	s_or_b64 exec, exec, s[10:11]
	s_waitcnt vmcnt(0)
	global_store_byte v[0:1], v3, off
.LBB159_99:
	s_mov_b64 s[10:11], 0
.LBB159_100:
	s_andn2_b64 vcc, exec, s[10:11]
	s_cbranch_vccnz .LBB159_110
; %bb.101:
	v_cndmask_b32_e64 v2, 0, 1.0, s[8:9]
	s_mov_b32 s10, 0x47800000
	v_cmp_gt_u32_e32 vcc, s10, v2
                                        ; implicit-def: $vgpr3
	s_and_saveexec_b64 s[10:11], vcc
	s_xor_b64 s[10:11], exec, s[10:11]
	s_cbranch_execz .LBB159_107
; %bb.102:
	s_mov_b32 s12, 0x387fffff
	v_cmp_lt_u32_e32 vcc, s12, v2
                                        ; implicit-def: $vgpr3
	s_and_saveexec_b64 s[12:13], vcc
	s_xor_b64 s[12:13], exec, s[12:13]
	s_cbranch_execz .LBB159_104
; %bb.103:
	s_waitcnt vmcnt(0)
	v_bfe_u32 v3, v2, 21, 1
	s_mov_b32 s14, 0x80fffff
	v_add3_u32 v2, v2, v3, s14
	v_lshrrev_b32_e32 v3, 21, v2
                                        ; implicit-def: $vgpr2
.LBB159_104:
	s_andn2_saveexec_b64 s[12:13], s[12:13]
	s_cbranch_execz .LBB159_106
; %bb.105:
	s_waitcnt vmcnt(0)
	v_add_f32_e32 v3, 0x43000000, v2
.LBB159_106:
	s_or_b64 exec, exec, s[12:13]
                                        ; implicit-def: $vgpr2
.LBB159_107:
	s_andn2_saveexec_b64 s[10:11], s[10:11]
	s_cbranch_execz .LBB159_109
; %bb.108:
	s_mov_b32 s12, 0x7f800000
	s_waitcnt vmcnt(0)
	v_mov_b32_e32 v3, 0x7c
	v_mov_b32_e32 v4, 0x7f
	v_cmp_lt_u32_e32 vcc, s12, v2
	v_cndmask_b32_e32 v3, v3, v4, vcc
.LBB159_109:
	s_or_b64 exec, exec, s[10:11]
	s_waitcnt vmcnt(0)
	global_store_byte v[0:1], v3, off
.LBB159_110:
	s_mov_b64 s[12:13], 0
	s_mov_b64 s[10:11], -1
.LBB159_111:
	s_andn2_b64 vcc, exec, s[12:13]
	s_cbranch_vccnz .LBB159_119
; %bb.112:
	s_cmp_gt_i32 s17, 14
	s_mov_b64 s[12:13], -1
	s_cbranch_scc0 .LBB159_116
; %bb.113:
	s_cmp_eq_u32 s17, 15
	s_mov_b64 s[0:1], -1
	s_cbranch_scc0 .LBB159_115
; %bb.114:
	v_cndmask_b32_e64 v2, 0, 1.0, s[8:9]
	s_waitcnt vmcnt(0)
	v_bfe_u32 v3, v2, 16, 1
	s_movk_i32 s0, 0x7fff
	v_add3_u32 v2, v2, v3, s0
	global_store_short_d16_hi v[0:1], v2, off
	s_mov_b64 s[10:11], -1
	s_mov_b64 s[0:1], 0
.LBB159_115:
	s_mov_b64 s[12:13], 0
.LBB159_116:
	s_and_b64 vcc, exec, s[12:13]
	s_cbranch_vccz .LBB159_119
; %bb.117:
	s_cmp_eq_u32 s17, 11
	s_mov_b64 s[0:1], -1
	s_cbranch_scc0 .LBB159_119
; %bb.118:
	v_cndmask_b32_e64 v2, 0, 1, s[8:9]
	s_mov_b64 s[10:11], -1
	s_mov_b64 s[0:1], 0
	global_store_byte v[0:1], v2, off
.LBB159_119:
	s_branch .LBB159_37
.LBB159_120:
	s_and_b32 s12, 0xffff, s16
	s_cmp_lt_i32 s12, 5
	s_mov_b64 s[10:11], -1
	s_cbranch_scc1 .LBB159_141
; %bb.121:
	s_cmp_lt_i32 s12, 8
	s_cbranch_scc1 .LBB159_131
; %bb.122:
	s_cmp_lt_i32 s12, 9
	s_cbranch_scc1 .LBB159_128
; %bb.123:
	s_cmp_gt_i32 s12, 9
	s_cbranch_scc0 .LBB159_125
; %bb.124:
	v_cndmask_b32_e64 v2, 0, 1, s[8:9]
	s_waitcnt vmcnt(0)
	v_cvt_f64_u32_e32 v[2:3], v2
	v_mov_b32_e32 v4, 0
	v_mov_b32_e32 v5, v4
	s_mov_b64 s[10:11], 0
	global_store_dwordx4 v[0:1], v[2:5], off
.LBB159_125:
	s_andn2_b64 vcc, exec, s[10:11]
	s_cbranch_vccnz .LBB159_127
; %bb.126:
	v_cndmask_b32_e64 v2, 0, 1.0, s[8:9]
	s_waitcnt vmcnt(0)
	v_mov_b32_e32 v3, 0
	global_store_dwordx2 v[0:1], v[2:3], off
.LBB159_127:
	s_mov_b64 s[10:11], 0
.LBB159_128:
	s_andn2_b64 vcc, exec, s[10:11]
	s_cbranch_vccnz .LBB159_130
; %bb.129:
	v_cndmask_b32_e64 v2, 0, 1.0, s[8:9]
	v_cvt_f16_f32_e32 v2, v2
	global_store_dword v[0:1], v2, off
.LBB159_130:
	s_mov_b64 s[10:11], 0
.LBB159_131:
	s_andn2_b64 vcc, exec, s[10:11]
	s_cbranch_vccnz .LBB159_140
; %bb.132:
	s_cmp_lt_i32 s12, 6
	s_mov_b64 s[10:11], -1
	s_cbranch_scc1 .LBB159_138
; %bb.133:
	s_cmp_gt_i32 s12, 6
	s_cbranch_scc0 .LBB159_135
; %bb.134:
	v_cndmask_b32_e64 v2, 0, 1, s[8:9]
	s_waitcnt vmcnt(0)
	v_cvt_f64_u32_e32 v[2:3], v2
	s_mov_b64 s[10:11], 0
	global_store_dwordx2 v[0:1], v[2:3], off
.LBB159_135:
	s_andn2_b64 vcc, exec, s[10:11]
	s_cbranch_vccnz .LBB159_137
; %bb.136:
	v_cndmask_b32_e64 v2, 0, 1.0, s[8:9]
	global_store_dword v[0:1], v2, off
.LBB159_137:
	s_mov_b64 s[10:11], 0
.LBB159_138:
	s_andn2_b64 vcc, exec, s[10:11]
	s_cbranch_vccnz .LBB159_140
; %bb.139:
	v_cndmask_b32_e64 v2, 0, 1.0, s[8:9]
	v_cvt_f16_f32_e32 v2, v2
	global_store_short v[0:1], v2, off
.LBB159_140:
	s_mov_b64 s[10:11], 0
.LBB159_141:
	s_andn2_b64 vcc, exec, s[10:11]
	s_cbranch_vccnz .LBB159_157
; %bb.142:
	s_cmp_lt_i32 s12, 2
	s_mov_b64 s[10:11], -1
	s_cbranch_scc1 .LBB159_152
; %bb.143:
	s_cmp_lt_i32 s12, 3
	s_cbranch_scc1 .LBB159_149
; %bb.144:
	s_cmp_gt_i32 s12, 3
	s_cbranch_scc0 .LBB159_146
; %bb.145:
	s_mov_b32 s10, 0
	v_cndmask_b32_e64 v2, 0, 1, s[8:9]
	s_waitcnt vmcnt(0)
	v_mov_b32_e32 v3, s10
	global_store_dwordx2 v[0:1], v[2:3], off
	s_mov_b64 s[10:11], 0
.LBB159_146:
	s_andn2_b64 vcc, exec, s[10:11]
	s_cbranch_vccnz .LBB159_148
; %bb.147:
	v_cndmask_b32_e64 v2, 0, 1, s[8:9]
	global_store_dword v[0:1], v2, off
.LBB159_148:
	s_mov_b64 s[10:11], 0
.LBB159_149:
	s_andn2_b64 vcc, exec, s[10:11]
	s_cbranch_vccnz .LBB159_151
; %bb.150:
	v_cndmask_b32_e64 v2, 0, 1, s[8:9]
	global_store_short v[0:1], v2, off
.LBB159_151:
	s_mov_b64 s[10:11], 0
.LBB159_152:
	s_andn2_b64 vcc, exec, s[10:11]
	s_cbranch_vccnz .LBB159_157
; %bb.153:
	s_cmp_gt_i32 s12, 0
	s_mov_b64 s[10:11], -1
	s_cbranch_scc0 .LBB159_155
; %bb.154:
	v_cndmask_b32_e64 v2, 0, 1, s[8:9]
	global_store_byte v[0:1], v2, off
	s_mov_b64 s[10:11], 0
.LBB159_155:
	s_andn2_b64 vcc, exec, s[10:11]
	s_cbranch_vccnz .LBB159_157
; %bb.156:
	v_cndmask_b32_e64 v2, 0, 1, s[8:9]
	global_store_byte v[0:1], v2, off
.LBB159_157:
.LBB159_158:
	v_add_u32_e32 v8, 0x80, v8
	s_mov_b64 s[8:9], -1
	s_branch .LBB159_273
.LBB159_159:
	s_mov_b64 s[2:3], -1
                                        ; implicit-def: $vgpr3
.LBB159_160:
	v_mov_b32_e32 v4, 0
.LBB159_161:
	s_mov_b64 s[8:9], 0
.LBB159_162:
	s_and_b64 vcc, exec, s[8:9]
	s_cbranch_vccz .LBB159_167
; %bb.163:
	s_cmp_eq_u32 s12, 29
	s_cbranch_scc0 .LBB159_165
; %bb.164:
	global_load_dwordx2 v[3:4], v[1:2], off
	s_mov_b64 s[0:1], -1
	s_mov_b64 s[2:3], 0
	s_waitcnt vmcnt(0)
	v_ffbh_u32_e32 v5, v4
	v_min_u32_e32 v5, 32, v5
	v_lshlrev_b64 v[3:4], v5, v[3:4]
	v_min_u32_e32 v3, 1, v3
	v_or_b32_e32 v3, v4, v3
	v_cvt_f32_u32_e32 v3, v3
	v_sub_u32_e32 v4, 32, v5
	v_ldexp_f32 v3, v3, v4
	v_cvt_f16_f32_e32 v3, v3
	s_branch .LBB159_166
.LBB159_165:
	s_mov_b64 s[2:3], -1
                                        ; implicit-def: $vgpr3
.LBB159_166:
	v_mov_b32_e32 v4, 0
.LBB159_167:
	s_mov_b64 s[8:9], 0
.LBB159_168:
	s_and_b64 vcc, exec, s[8:9]
	s_cbranch_vccz .LBB159_186
; %bb.169:
	s_cmp_lt_i32 s12, 27
	s_cbranch_scc1 .LBB159_172
; %bb.170:
	s_cmp_gt_i32 s12, 27
	s_cbranch_scc0 .LBB159_173
; %bb.171:
	global_load_dword v3, v[1:2], off
	s_mov_b64 s[0:1], 0
	s_waitcnt vmcnt(0)
	v_cvt_f32_u32_e32 v3, v3
	v_cvt_f16_f32_e32 v3, v3
	s_branch .LBB159_174
.LBB159_172:
	s_mov_b64 s[0:1], -1
                                        ; implicit-def: $vgpr3
	s_branch .LBB159_177
.LBB159_173:
	s_mov_b64 s[0:1], -1
                                        ; implicit-def: $vgpr3
.LBB159_174:
	s_andn2_b64 vcc, exec, s[0:1]
	s_cbranch_vccnz .LBB159_176
; %bb.175:
	global_load_ushort v3, v[1:2], off
	s_waitcnt vmcnt(0)
	v_cvt_f16_u16_e32 v3, v3
.LBB159_176:
	s_mov_b64 s[0:1], 0
.LBB159_177:
	s_andn2_b64 vcc, exec, s[0:1]
	s_cbranch_vccnz .LBB159_185
; %bb.178:
	global_load_ubyte v4, v[1:2], off
	s_movk_i32 s0, 0x7f
	s_waitcnt vmcnt(0)
	v_cmp_lt_i16_e32 vcc, s0, v4
	s_mov_b64 s[0:1], 0
	s_and_saveexec_b64 s[8:9], vcc
	s_xor_b64 s[8:9], exec, s[8:9]
	s_cbranch_execz .LBB159_198
; %bb.179:
	s_movk_i32 s0, 0x80
	v_cmp_eq_u16_e32 vcc, s0, v4
	s_mov_b64 s[0:1], -1
	s_and_saveexec_b64 s[10:11], vcc
; %bb.180:
	s_xor_b64 s[0:1], exec, -1
; %bb.181:
	s_or_b64 exec, exec, s[10:11]
	s_and_b64 s[0:1], s[0:1], exec
	s_or_saveexec_b64 s[8:9], s[8:9]
	v_mov_b32_e32 v3, 0x7e00
	s_xor_b64 exec, exec, s[8:9]
	s_cbranch_execnz .LBB159_199
.LBB159_182:
	s_or_b64 exec, exec, s[8:9]
	s_and_saveexec_b64 s[8:9], s[0:1]
	s_cbranch_execz .LBB159_184
.LBB159_183:
	v_lshlrev_b32_e32 v3, 24, v4
	v_and_b32_e32 v4, 0xffff, v4
	v_and_b32_e32 v5, 7, v4
	v_ffbh_u32_e32 v7, v5
	v_min_u32_e32 v7, 32, v7
	v_subrev_u32_e32 v9, 28, v7
	v_bfe_u32 v6, v4, 3, 4
	v_lshlrev_b32_e32 v4, v9, v4
	v_sub_u32_e32 v7, 29, v7
	v_and_b32_e32 v4, 7, v4
	v_cmp_eq_u32_e32 vcc, 0, v6
	v_cndmask_b32_e32 v6, v6, v7, vcc
	v_cndmask_b32_e32 v4, v5, v4, vcc
	v_mov_b32_e32 v5, 0x3b800000
	v_lshlrev_b32_e32 v4, 20, v4
	v_and_b32_e32 v3, 0x80000000, v3
	v_lshl_add_u32 v5, v6, 23, v5
	v_or3_b32 v3, v3, v5, v4
	v_cvt_f16_f32_e32 v3, v3
.LBB159_184:
	s_or_b64 exec, exec, s[8:9]
.LBB159_185:
	s_mov_b64 s[0:1], -1
	v_mov_b32_e32 v4, 0
.LBB159_186:
	s_branch .LBB159_221
.LBB159_187:
	s_cmp_gt_i32 s12, 22
	s_cbranch_scc0 .LBB159_197
; %bb.188:
	s_cmp_lt_i32 s12, 24
	s_cbranch_scc1 .LBB159_200
; %bb.189:
	s_cmp_gt_i32 s12, 24
	s_cbranch_scc0 .LBB159_201
; %bb.190:
	global_load_ubyte v4, v[1:2], off
	s_movk_i32 s0, 0x7f
	s_waitcnt vmcnt(0)
	v_cmp_lt_i16_e32 vcc, s0, v4
	s_mov_b64 s[0:1], 0
	s_and_saveexec_b64 s[8:9], vcc
	s_xor_b64 s[8:9], exec, s[8:9]
	s_cbranch_execz .LBB159_212
; %bb.191:
	s_movk_i32 s0, 0x80
	v_cmp_eq_u16_e32 vcc, s0, v4
	s_mov_b64 s[0:1], -1
	s_and_saveexec_b64 s[10:11], vcc
; %bb.192:
	s_xor_b64 s[0:1], exec, -1
; %bb.193:
	s_or_b64 exec, exec, s[10:11]
	s_and_b64 s[0:1], s[0:1], exec
	s_or_saveexec_b64 s[8:9], s[8:9]
	v_mov_b32_e32 v3, 0x7e00
	s_xor_b64 exec, exec, s[8:9]
	s_cbranch_execnz .LBB159_213
.LBB159_194:
	s_or_b64 exec, exec, s[8:9]
	s_and_saveexec_b64 s[8:9], s[0:1]
	s_cbranch_execz .LBB159_196
.LBB159_195:
	v_lshlrev_b32_e32 v3, 24, v4
	v_and_b32_e32 v4, 0xffff, v4
	v_and_b32_e32 v5, 3, v4
	v_ffbh_u32_e32 v7, v5
	v_min_u32_e32 v7, 32, v7
	v_subrev_u32_e32 v9, 29, v7
	v_bfe_u32 v6, v4, 2, 5
	v_lshlrev_b32_e32 v4, v9, v4
	v_sub_u32_e32 v7, 30, v7
	v_and_b32_e32 v4, 3, v4
	v_cmp_eq_u32_e32 vcc, 0, v6
	v_cndmask_b32_e32 v6, v6, v7, vcc
	v_cndmask_b32_e32 v4, v5, v4, vcc
	v_mov_b32_e32 v5, 0x37800000
	v_lshlrev_b32_e32 v4, 21, v4
	v_and_b32_e32 v3, 0x80000000, v3
	v_lshl_add_u32 v5, v6, 23, v5
	v_or3_b32 v3, v3, v5, v4
	v_cvt_f16_f32_e32 v3, v3
.LBB159_196:
	s_or_b64 exec, exec, s[8:9]
	s_mov_b64 s[0:1], 0
	s_branch .LBB159_202
.LBB159_197:
                                        ; implicit-def: $vgpr3
	s_branch .LBB159_208
.LBB159_198:
	s_or_saveexec_b64 s[8:9], s[8:9]
	v_mov_b32_e32 v3, 0x7e00
	s_xor_b64 exec, exec, s[8:9]
	s_cbranch_execz .LBB159_182
.LBB159_199:
	v_cmp_ne_u16_e32 vcc, 0, v4
	s_andn2_b64 s[0:1], s[0:1], exec
	s_and_b64 s[10:11], vcc, exec
	s_or_b64 s[0:1], s[0:1], s[10:11]
	v_mov_b32_e32 v3, v4
	s_or_b64 exec, exec, s[8:9]
	s_and_saveexec_b64 s[8:9], s[0:1]
	s_cbranch_execnz .LBB159_183
	s_branch .LBB159_184
.LBB159_200:
	s_mov_b64 s[0:1], -1
                                        ; implicit-def: $vgpr3
	s_branch .LBB159_205
.LBB159_201:
	s_mov_b64 s[0:1], -1
                                        ; implicit-def: $vgpr3
.LBB159_202:
	s_and_b64 vcc, exec, s[0:1]
	s_cbranch_vccz .LBB159_204
; %bb.203:
	global_load_ubyte v3, v[1:2], off
	s_mov_b32 s0, 0x7f800000
	s_waitcnt vmcnt(0)
	v_lshlrev_b32_e32 v3, 24, v3
	v_and_b32_e32 v4, 0x7f000000, v3
	v_ffbh_u32_e32 v5, v4
	v_min_u32_e32 v5, 32, v5
	v_sub_u32_e64 v5, v5, 4 clamp
	v_lshlrev_b32_e32 v7, v5, v4
	v_lshlrev_b32_e32 v5, 23, v5
	v_lshrrev_b32_e32 v7, 4, v7
	v_add_u32_e32 v6, 0x1000000, v4
	v_sub_u32_e32 v5, v7, v5
	v_ashrrev_i32_e32 v6, 8, v6
	v_add_u32_e32 v5, 0x3c000000, v5
	v_and_or_b32 v5, v6, s0, v5
	v_cmp_ne_u32_e32 vcc, 0, v4
	v_cndmask_b32_e32 v4, 0, v5, vcc
	s_brev_b32 s0, 1
	v_and_or_b32 v3, v3, s0, v4
	v_cvt_f16_f32_e32 v3, v3
.LBB159_204:
	s_mov_b64 s[0:1], 0
.LBB159_205:
	s_andn2_b64 vcc, exec, s[0:1]
	s_cbranch_vccnz .LBB159_207
; %bb.206:
	global_load_ubyte v3, v[1:2], off
	s_movk_i32 s0, 0x7f00
	s_brev_b32 s1, 16
	s_waitcnt vmcnt(0)
	v_lshlrev_b16_e32 v4, 8, v3
	v_lshlrev_b32_e32 v3, 25, v3
	v_lshrrev_b32_e32 v5, 4, v3
	v_and_or_b32 v6, v4, s0, 0.5
	v_or_b32_e32 v5, 0x70000000, v5
	v_add_f32_e32 v6, -0.5, v6
	v_mul_f32_e32 v5, 0x7800000, v5
	v_cmp_gt_u32_e32 vcc, s1, v3
	v_bfe_i32 v4, v4, 0, 16
	v_cndmask_b32_e32 v3, v5, v6, vcc
	s_brev_b32 s0, 1
	v_and_or_b32 v3, v4, s0, v3
	v_cvt_f16_f32_e32 v3, v3
.LBB159_207:
	s_mov_b64 s[0:1], -1
	s_cbranch_execnz .LBB159_220
.LBB159_208:
	s_cmp_gt_i32 s12, 14
	s_cbranch_scc0 .LBB159_211
; %bb.209:
	s_cmp_eq_u32 s12, 15
	s_cbranch_scc0 .LBB159_214
; %bb.210:
	global_load_ushort v3, v[1:2], off
	s_mov_b64 s[0:1], -1
	s_mov_b64 s[2:3], 0
	s_waitcnt vmcnt(0)
	v_lshlrev_b32_e32 v3, 16, v3
	v_cvt_f16_f32_e32 v3, v3
	s_branch .LBB159_215
.LBB159_211:
	s_mov_b64 s[8:9], -1
                                        ; implicit-def: $vgpr3
	s_branch .LBB159_216
.LBB159_212:
	s_or_saveexec_b64 s[8:9], s[8:9]
	v_mov_b32_e32 v3, 0x7e00
	s_xor_b64 exec, exec, s[8:9]
	s_cbranch_execz .LBB159_194
.LBB159_213:
	v_cmp_ne_u16_e32 vcc, 0, v4
	s_andn2_b64 s[0:1], s[0:1], exec
	s_and_b64 s[10:11], vcc, exec
	s_or_b64 s[0:1], s[0:1], s[10:11]
	v_mov_b32_e32 v3, v4
	s_or_b64 exec, exec, s[8:9]
	s_and_saveexec_b64 s[8:9], s[0:1]
	s_cbranch_execnz .LBB159_195
	s_branch .LBB159_196
.LBB159_214:
	s_mov_b64 s[2:3], -1
                                        ; implicit-def: $vgpr3
.LBB159_215:
	s_mov_b64 s[8:9], 0
.LBB159_216:
	s_and_b64 vcc, exec, s[8:9]
	s_cbranch_vccz .LBB159_220
; %bb.217:
	s_cmp_eq_u32 s12, 11
	s_cbranch_scc0 .LBB159_219
; %bb.218:
	global_load_ubyte v3, v[1:2], off
	v_mov_b32_e32 v4, 0x3c00
	s_mov_b64 s[0:1], -1
	s_mov_b64 s[2:3], 0
	s_waitcnt vmcnt(0)
	v_cmp_ne_u16_e32 vcc, 0, v3
	v_cndmask_b32_e32 v3, 0, v4, vcc
	s_branch .LBB159_220
.LBB159_219:
	s_mov_b64 s[2:3], -1
                                        ; implicit-def: $vgpr3
.LBB159_220:
	v_mov_b32_e32 v4, 0
.LBB159_221:
	s_branch .LBB159_24
.LBB159_222:
	s_cmp_lt_i32 s12, 5
	s_cbranch_scc1 .LBB159_227
; %bb.223:
	s_cmp_lt_i32 s12, 8
	s_cbranch_scc1 .LBB159_228
; %bb.224:
	;; [unrolled: 3-line block ×3, first 2 shown]
	s_cmp_gt_i32 s12, 9
	s_cbranch_scc0 .LBB159_230
; %bb.226:
	global_load_dwordx4 v[3:6], v[1:2], off
	s_movk_i32 s0, 0x1ff
	s_movk_i32 s1, 0xffe
	v_mov_b32_e32 v7, 0x7c00
	v_mov_b32_e32 v9, 0x7e00
	s_movk_i32 s8, 0x40f
	s_mov_b32 s9, 0x8000
	s_waitcnt vmcnt(0)
	v_and_or_b32 v3, v4, s0, v3
	v_and_or_b32 v5, v6, s0, v5
	v_cmp_ne_u32_e32 vcc, 0, v3
	v_lshrrev_b32_e32 v10, 8, v4
	v_cndmask_b32_e64 v3, 0, 1, vcc
	v_cmp_ne_u32_e32 vcc, 0, v5
	v_bfe_u32 v11, v4, 20, 11
	v_lshrrev_b32_e32 v12, 8, v6
	v_bfe_u32 v13, v6, 20, 11
	v_cndmask_b32_e64 v5, 0, 1, vcc
	v_and_or_b32 v3, v10, s1, v3
	v_sub_u32_e32 v14, 0x3f1, v11
	v_add_u32_e32 v11, 0xfffffc10, v11
	v_sub_u32_e32 v15, 0x3f1, v13
	v_and_or_b32 v5, v12, s1, v5
	v_cmp_ne_u32_e32 vcc, 0, v3
	v_add_u32_e32 v13, 0xfffffc10, v13
	v_med3_i32 v10, v14, 0, 13
	v_med3_i32 v12, v15, 0, 13
	v_or_b32_e32 v14, 0x1000, v3
	v_lshl_or_b32 v15, v11, 12, v3
	v_cndmask_b32_e32 v3, v7, v9, vcc
	v_cmp_ne_u32_e32 vcc, 0, v5
	v_or_b32_e32 v16, 0x1000, v5
	v_lshl_or_b32 v17, v13, 12, v5
	v_cndmask_b32_e32 v5, v7, v9, vcc
	v_lshrrev_b32_e32 v9, v10, v14
	v_lshrrev_b32_e32 v18, v12, v16
	v_lshlrev_b32_e32 v10, v10, v9
	v_lshlrev_b32_e32 v12, v12, v18
	v_cmp_ne_u32_e32 vcc, v10, v14
	v_cndmask_b32_e64 v10, 0, 1, vcc
	v_cmp_ne_u32_e32 vcc, v12, v16
	v_cndmask_b32_e64 v12, 0, 1, vcc
	v_or_b32_e32 v9, v9, v10
	v_cmp_gt_i32_e32 vcc, 1, v11
	v_cndmask_b32_e32 v9, v15, v9, vcc
	v_or_b32_e32 v10, v18, v12
	v_cmp_gt_i32_e32 vcc, 1, v13
	v_and_b32_e32 v12, 7, v9
	v_cndmask_b32_e32 v10, v17, v10, vcc
	v_cmp_lt_i32_e32 vcc, 5, v12
	v_and_b32_e32 v14, 7, v10
	v_cndmask_b32_e64 v15, 0, 1, vcc
	v_cmp_eq_u32_e32 vcc, 3, v12
	v_cndmask_b32_e64 v12, 0, 1, vcc
	v_cmp_lt_i32_e32 vcc, 5, v14
	v_cndmask_b32_e64 v16, 0, 1, vcc
	v_cmp_eq_u32_e32 vcc, 3, v14
	v_lshrrev_b32_e32 v9, 2, v9
	v_cndmask_b32_e64 v14, 0, 1, vcc
	v_or_b32_e32 v12, v12, v15
	v_lshrrev_b32_e32 v10, 2, v10
	v_or_b32_e32 v14, v14, v16
	v_add_u32_e32 v9, v9, v12
	v_cmp_gt_i32_e32 vcc, 31, v11
	v_add_u32_e32 v10, v10, v14
	v_cndmask_b32_e32 v9, v7, v9, vcc
	v_cmp_gt_i32_e32 vcc, 31, v13
	v_cndmask_b32_e32 v7, v7, v10, vcc
	v_cmp_eq_u32_e32 vcc, s8, v11
	v_cndmask_b32_e32 v3, v9, v3, vcc
	v_cmp_eq_u32_e32 vcc, s8, v13
	v_lshrrev_b32_e32 v4, 16, v4
	v_lshrrev_b32_e32 v6, 16, v6
	v_cndmask_b32_e32 v5, v7, v5, vcc
	v_and_or_b32 v3, v4, s9, v3
	v_and_or_b32 v4, v6, s9, v5
	s_mov_b64 s[0:1], 0
	s_branch .LBB159_231
.LBB159_227:
                                        ; implicit-def: $vgpr4
                                        ; implicit-def: $vgpr3
	s_branch .LBB159_250
.LBB159_228:
	s_mov_b64 s[0:1], -1
                                        ; implicit-def: $vgpr4
                                        ; implicit-def: $vgpr3
	s_branch .LBB159_237
.LBB159_229:
	s_mov_b64 s[0:1], -1
                                        ; implicit-def: $vgpr4
                                        ; implicit-def: $vgpr3
	s_branch .LBB159_234
.LBB159_230:
	s_mov_b64 s[0:1], -1
                                        ; implicit-def: $vgpr4
                                        ; implicit-def: $vgpr3
.LBB159_231:
	s_andn2_b64 vcc, exec, s[0:1]
	s_cbranch_vccnz .LBB159_233
; %bb.232:
	global_load_dwordx2 v[3:4], v[1:2], off
	s_waitcnt vmcnt(0)
	v_cvt_f16_f32_e32 v3, v3
	v_cvt_f16_f32_e32 v4, v4
.LBB159_233:
	s_mov_b64 s[0:1], 0
.LBB159_234:
	s_andn2_b64 vcc, exec, s[0:1]
	s_cbranch_vccnz .LBB159_236
; %bb.235:
	global_load_dword v3, v[1:2], off
	s_waitcnt vmcnt(0)
	v_lshrrev_b32_e32 v4, 16, v3
.LBB159_236:
	s_mov_b64 s[0:1], 0
.LBB159_237:
	s_andn2_b64 vcc, exec, s[0:1]
	s_cbranch_vccnz .LBB159_249
; %bb.238:
	s_cmp_lt_i32 s12, 6
	s_cbranch_scc1 .LBB159_241
; %bb.239:
	s_cmp_gt_i32 s12, 6
	s_cbranch_scc0 .LBB159_242
; %bb.240:
	global_load_dwordx2 v[3:4], v[1:2], off
	s_movk_i32 s0, 0x1ff
	s_movk_i32 s1, 0xffe
	v_mov_b32_e32 v5, 0x7c00
	v_mov_b32_e32 v6, 0x7e00
	s_movk_i32 s8, 0x40f
	s_mov_b32 s9, 0x8000
	s_waitcnt vmcnt(0)
	v_and_or_b32 v3, v4, s0, v3
	v_cmp_ne_u32_e32 vcc, 0, v3
	v_lshrrev_b32_e32 v7, 8, v4
	v_bfe_u32 v9, v4, 20, 11
	v_cndmask_b32_e64 v3, 0, 1, vcc
	v_sub_u32_e32 v10, 0x3f1, v9
	v_and_or_b32 v3, v7, s1, v3
	v_add_u32_e32 v9, 0xfffffc10, v9
	v_med3_i32 v7, v10, 0, 13
	v_or_b32_e32 v10, 0x1000, v3
	v_cmp_ne_u32_e32 vcc, 0, v3
	v_lshl_or_b32 v11, v9, 12, v3
	v_cndmask_b32_e32 v3, v5, v6, vcc
	v_lshrrev_b32_e32 v6, v7, v10
	v_lshlrev_b32_e32 v7, v7, v6
	v_cmp_ne_u32_e32 vcc, v7, v10
	v_cndmask_b32_e64 v7, 0, 1, vcc
	v_or_b32_e32 v6, v6, v7
	v_cmp_gt_i32_e32 vcc, 1, v9
	v_cndmask_b32_e32 v6, v11, v6, vcc
	v_and_b32_e32 v7, 7, v6
	v_cmp_lt_i32_e32 vcc, 5, v7
	v_cndmask_b32_e64 v10, 0, 1, vcc
	v_cmp_eq_u32_e32 vcc, 3, v7
	v_cndmask_b32_e64 v7, 0, 1, vcc
	v_lshrrev_b32_e32 v6, 2, v6
	v_or_b32_e32 v7, v7, v10
	v_add_u32_e32 v6, v6, v7
	v_cmp_gt_i32_e32 vcc, 31, v9
	v_cndmask_b32_e32 v5, v5, v6, vcc
	v_cmp_eq_u32_e32 vcc, s8, v9
	v_lshrrev_b32_e32 v4, 16, v4
	v_cndmask_b32_e32 v3, v5, v3, vcc
	v_and_or_b32 v3, v4, s9, v3
	s_mov_b64 s[0:1], 0
	s_branch .LBB159_243
.LBB159_241:
	s_mov_b64 s[0:1], -1
                                        ; implicit-def: $vgpr3
	s_branch .LBB159_246
.LBB159_242:
	s_mov_b64 s[0:1], -1
                                        ; implicit-def: $vgpr3
.LBB159_243:
	s_andn2_b64 vcc, exec, s[0:1]
	s_cbranch_vccnz .LBB159_245
; %bb.244:
	global_load_dword v3, v[1:2], off
	s_waitcnt vmcnt(0)
	v_cvt_f16_f32_e32 v3, v3
.LBB159_245:
	s_mov_b64 s[0:1], 0
.LBB159_246:
	s_andn2_b64 vcc, exec, s[0:1]
	s_cbranch_vccnz .LBB159_248
; %bb.247:
	global_load_ushort v3, v[1:2], off
.LBB159_248:
	v_mov_b32_e32 v4, 0
.LBB159_249:
	s_cbranch_execnz .LBB159_270
.LBB159_250:
	s_cmp_lt_i32 s12, 2
	s_cbranch_scc1 .LBB159_254
; %bb.251:
	s_cmp_lt_i32 s12, 3
	s_cbranch_scc1 .LBB159_255
; %bb.252:
	s_cmp_gt_i32 s12, 3
	s_cbranch_scc0 .LBB159_256
; %bb.253:
	global_load_dwordx2 v[3:4], v[1:2], off
	s_mov_b64 s[0:1], 0
	s_waitcnt vmcnt(0)
	v_xor_b32_e32 v6, v3, v4
	v_ffbh_i32_e32 v5, v4
	v_ashrrev_i32_e32 v6, 31, v6
	v_add_u32_e32 v5, -1, v5
	v_add_u32_e32 v6, 32, v6
	v_min_u32_e32 v5, v5, v6
	v_lshlrev_b64 v[3:4], v5, v[3:4]
	v_min_u32_e32 v3, 1, v3
	v_or_b32_e32 v3, v4, v3
	v_cvt_f32_i32_e32 v3, v3
	v_sub_u32_e32 v4, 32, v5
	v_ldexp_f32 v3, v3, v4
	v_cvt_f16_f32_e32 v3, v3
	s_branch .LBB159_257
.LBB159_254:
	s_mov_b64 s[0:1], -1
                                        ; implicit-def: $vgpr3
	s_branch .LBB159_263
.LBB159_255:
	s_mov_b64 s[0:1], -1
                                        ; implicit-def: $vgpr3
	s_branch .LBB159_260
.LBB159_256:
	s_mov_b64 s[0:1], -1
                                        ; implicit-def: $vgpr3
.LBB159_257:
	s_andn2_b64 vcc, exec, s[0:1]
	s_cbranch_vccnz .LBB159_259
; %bb.258:
	global_load_dword v3, v[1:2], off
	s_waitcnt vmcnt(0)
	v_cvt_f32_i32_e32 v3, v3
	v_cvt_f16_f32_e32 v3, v3
.LBB159_259:
	s_mov_b64 s[0:1], 0
.LBB159_260:
	s_andn2_b64 vcc, exec, s[0:1]
	s_cbranch_vccnz .LBB159_262
; %bb.261:
	global_load_ushort v3, v[1:2], off
	s_waitcnt vmcnt(0)
	v_cvt_f16_i16_e32 v3, v3
.LBB159_262:
	s_mov_b64 s[0:1], 0
.LBB159_263:
	s_andn2_b64 vcc, exec, s[0:1]
	s_cbranch_vccnz .LBB159_269
; %bb.264:
	s_cmp_gt_i32 s12, 0
	s_cbranch_scc0 .LBB159_266
; %bb.265:
	global_load_sbyte v3, v[1:2], off
	s_mov_b64 s[0:1], 0
	s_waitcnt vmcnt(0)
	v_cvt_f16_i16_e32 v3, v3
	s_branch .LBB159_267
.LBB159_266:
	s_mov_b64 s[0:1], -1
                                        ; implicit-def: $vgpr3
.LBB159_267:
	s_andn2_b64 vcc, exec, s[0:1]
	s_cbranch_vccnz .LBB159_269
; %bb.268:
	global_load_ubyte v1, v[1:2], off
	s_waitcnt vmcnt(0)
	v_cvt_f16_u16_e32 v3, v1
.LBB159_269:
	v_mov_b32_e32 v4, 0
.LBB159_270:
	s_branch .LBB159_25
.LBB159_271:
	s_mov_b64 s[0:1], 0
.LBB159_272:
	s_mov_b64 s[8:9], 0
                                        ; implicit-def: $vgpr8
.LBB159_273:
	s_and_b64 s[56:57], s[0:1], exec
	s_and_b64 s[58:59], s[2:3], exec
	s_orn2_b64 s[2:3], s[8:9], exec
.LBB159_274:
	s_or_b64 exec, exec, s[60:61]
	s_mov_b64 s[10:11], 0
	s_mov_b64 s[0:1], 0
                                        ; implicit-def: $vgpr1_vgpr2
                                        ; implicit-def: $vgpr0
                                        ; implicit-def: $vgpr4
                                        ; implicit-def: $vgpr3
	s_and_saveexec_b64 s[60:61], s[2:3]
	s_cbranch_execz .LBB159_281
; %bb.275:
	v_cmp_gt_i32_e32 vcc, s74, v8
	s_mov_b64 s[0:1], -1
	s_mov_b64 s[62:63], s[58:59]
	s_mov_b64 s[64:65], s[56:57]
	s_and_saveexec_b64 s[66:67], vcc
	s_cbranch_execz .LBB159_559
; %bb.276:
	s_andn2_b64 vcc, exec, s[40:41]
	s_cbranch_vccnz .LBB159_284
; %bb.277:
	s_andn2_b64 vcc, exec, s[54:55]
	s_cbranch_vccnz .LBB159_285
; %bb.278:
	s_add_i32 s68, s80, 1
	s_cmp_eq_u32 s76, 2
	s_cbranch_scc1 .LBB159_286
; %bb.279:
	s_and_b32 s44, s68, 28
	v_mov_b32_e32 v2, 0
	s_mov_b32 s69, 0
	s_mov_b64 s[62:63], s[34:35]
	s_mov_b64 s[64:65], s[52:53]
	v_mov_b32_e32 v0, 0
	v_mov_b32_e32 v1, v8
.LBB159_280:                            ; =>This Inner Loop Header: Depth=1
	s_load_dwordx8 s[16:23], s[62:63], 0x4
	s_load_dwordx4 s[0:3], s[62:63], 0x24
	s_load_dwordx8 s[8:15], s[64:65], 0x0
	s_add_u32 s62, s62, 48
	s_addc_u32 s63, s63, 0
	s_waitcnt vmcnt(0) lgkmcnt(0)
	v_mul_hi_u32 v3, s17, v1
	s_add_i32 s69, s69, 4
	s_add_u32 s64, s64, 32
	s_addc_u32 s65, s65, 0
	v_add_u32_e32 v3, v1, v3
	v_lshrrev_b32_e32 v3, s18, v3
	v_mul_lo_u32 v4, v3, s16
	v_mul_hi_u32 v5, s20, v3
	s_cmp_eq_u32 s44, s69
	v_sub_u32_e32 v1, v1, v4
	v_add_u32_e32 v4, v3, v5
	v_mul_lo_u32 v5, v1, s8
	v_mul_lo_u32 v6, v1, s9
	v_lshrrev_b32_e32 v1, s21, v4
	v_mul_lo_u32 v4, v1, s19
	v_mul_hi_u32 v7, s23, v1
	v_sub_u32_e32 v3, v3, v4
	v_add_u32_e32 v4, v1, v7
	v_lshrrev_b32_e32 v4, s0, v4
	v_mul_hi_u32 v9, s2, v4
	v_mul_lo_u32 v10, v4, s22
	v_mul_lo_u32 v7, v3, s10
	;; [unrolled: 1-line block ×3, first 2 shown]
	v_sub_u32_e32 v10, v1, v10
	v_add_u32_e32 v1, v4, v9
	v_lshrrev_b32_e32 v1, s3, v1
	v_mul_lo_u32 v9, v1, s1
	v_mul_lo_u32 v11, v10, s12
	;; [unrolled: 1-line block ×3, first 2 shown]
	v_add3_u32 v0, v5, v0, v7
	v_sub_u32_e32 v4, v4, v9
	v_mul_lo_u32 v9, v4, s14
	v_mul_lo_u32 v4, v4, s15
	v_add3_u32 v2, v6, v2, v3
	v_add3_u32 v0, v11, v0, v9
	;; [unrolled: 1-line block ×3, first 2 shown]
	s_cbranch_scc0 .LBB159_280
	s_branch .LBB159_287
.LBB159_281:
	s_or_b64 exec, exec, s[60:61]
	s_mov_b64 s[2:3], 0
	s_and_saveexec_b64 s[8:9], s[58:59]
	s_cbranch_execnz .LBB159_948
.LBB159_282:
	s_or_b64 exec, exec, s[8:9]
	s_and_saveexec_b64 s[8:9], s[64:65]
	s_xor_b64 s[8:9], exec, s[8:9]
	s_cbranch_execz .LBB159_949
.LBB159_283:
	global_load_ubyte v3, v[1:2], off
	v_mov_b32_e32 v5, 0x3c00
	v_mov_b32_e32 v4, 0
	s_or_b64 s[0:1], s[0:1], exec
	s_waitcnt vmcnt(0)
	v_cmp_ne_u16_e32 vcc, 0, v3
	v_cndmask_b32_e32 v3, 0, v5, vcc
	s_or_b64 exec, exec, s[8:9]
	s_and_saveexec_b64 s[8:9], s[10:11]
	s_cbranch_execz .LBB159_997
	s_branch .LBB159_950
.LBB159_284:
                                        ; implicit-def: $vgpr0
                                        ; implicit-def: $vgpr2
	s_andn2_b64 vcc, exec, s[0:1]
	s_cbranch_vccz .LBB159_291
	s_branch .LBB159_293
.LBB159_285:
	v_mov_b32_e32 v0, 0
	v_mov_b32_e32 v2, 0
	s_branch .LBB159_290
.LBB159_286:
	s_mov_b32 s44, 0
	v_mov_b32_e32 v0, 0
	v_mov_b32_e32 v2, 0
	;; [unrolled: 1-line block ×3, first 2 shown]
.LBB159_287:
	s_and_b32 s8, s68, 3
	s_cmp_eq_u32 s8, 0
	s_cbranch_scc1 .LBB159_290
; %bb.288:
	s_lshl_b32 s0, s44, 3
	s_add_u32 s0, s34, s0
	s_addc_u32 s1, s35, 0
	s_add_u32 s0, s0, 0xc4
	s_addc_u32 s1, s1, 0
	s_mul_i32 s2, s44, 12
	s_add_u32 s2, s34, s2
	s_addc_u32 s3, s35, 0
.LBB159_289:                            ; =>This Inner Loop Header: Depth=1
	s_load_dwordx2 s[10:11], s[2:3], 0x4
	s_load_dword s9, s[2:3], 0xc
	s_load_dwordx2 s[12:13], s[0:1], 0x0
	s_add_u32 s2, s2, 12
	s_addc_u32 s3, s3, 0
	s_waitcnt vmcnt(0) lgkmcnt(0)
	v_mul_hi_u32 v3, s11, v1
	s_add_u32 s0, s0, 8
	s_addc_u32 s1, s1, 0
	s_add_i32 s8, s8, -1
	v_add_u32_e32 v3, v1, v3
	v_lshrrev_b32_e32 v4, s9, v3
	v_mul_lo_u32 v3, v4, s10
	s_cmp_lg_u32 s8, 0
	v_sub_u32_e32 v3, v1, v3
	v_mad_u64_u32 v[0:1], s[10:11], v3, s12, v[0:1]
	v_mad_u64_u32 v[2:3], s[10:11], v3, s13, v[2:3]
	v_mov_b32_e32 v1, v4
	s_cbranch_scc1 .LBB159_289
.LBB159_290:
	s_cbranch_execnz .LBB159_293
.LBB159_291:
	v_mul_hi_u32 v0, s29, v8
	s_andn2_b64 vcc, exec, s[50:51]
	v_add_u32_e32 v0, v8, v0
	v_lshrrev_b32_e32 v1, s30, v0
	v_mul_lo_u32 v0, v1, s28
	v_sub_u32_e32 v2, v8, v0
	v_mul_lo_u32 v0, v2, s36
	v_mul_lo_u32 v2, v2, s37
	s_cbranch_vccnz .LBB159_293
; %bb.292:
	s_waitcnt vmcnt(0)
	v_mul_hi_u32 v3, s48, v1
	v_add_u32_e32 v3, v1, v3
	v_lshrrev_b32_e32 v3, s49, v3
	v_mul_lo_u32 v3, v3, s31
	v_sub_u32_e32 v3, v1, v3
	v_mad_u64_u32 v[0:1], s[0:1], v3, s38, v[0:1]
	v_mad_u64_u32 v[2:3], s[0:1], v3, s39, v[2:3]
.LBB159_293:
	s_waitcnt vmcnt(0)
	v_mov_b32_e32 v3, s27
	s_and_b32 s12, 0xffff, s79
	v_add_co_u32_e32 v1, vcc, s26, v2
	s_cmp_lt_i32 s12, 11
	v_addc_co_u32_e32 v2, vcc, 0, v3, vcc
	s_cbranch_scc1 .LBB159_300
; %bb.294:
	s_cmp_gt_i32 s12, 25
	s_cbranch_scc0 .LBB159_312
; %bb.295:
	s_cmp_gt_i32 s12, 28
	s_cbranch_scc0 .LBB159_315
	;; [unrolled: 3-line block ×4, first 2 shown]
; %bb.298:
	s_cmp_eq_u32 s12, 46
	s_mov_b64 s[8:9], 0
	s_cbranch_scc0 .LBB159_325
; %bb.299:
	global_load_dword v3, v[1:2], off
	s_mov_b64 s[0:1], -1
	s_mov_b64 s[2:3], 0
	s_waitcnt vmcnt(0)
	v_and_b32_e32 v4, 0xffff0000, v3
	v_lshlrev_b32_e32 v3, 16, v3
	v_cvt_f16_f32_e32 v3, v3
	v_cvt_f16_f32_e32 v4, v4
	s_branch .LBB159_326
.LBB159_300:
	s_mov_b64 s[0:1], 0
                                        ; implicit-def: $vgpr4
                                        ; implicit-def: $vgpr3
	s_mov_b64 s[2:3], s[58:59]
	s_cbranch_execnz .LBB159_506
.LBB159_301:
	s_andn2_b64 vcc, exec, s[0:1]
	s_cbranch_vccnz .LBB159_556
.LBB159_302:
	s_andn2_b64 vcc, exec, s[46:47]
	s_cbranch_vccnz .LBB159_314
; %bb.303:
	s_waitcnt vmcnt(0)
	v_cmp_neq_f16_e32 vcc, s45, v3
	v_cmp_neq_f16_e64 s[0:1], s78, v4
	s_or_b64 s[8:9], vcc, s[0:1]
	s_cbranch_execnz .LBB159_305
.LBB159_304:
	s_waitcnt vmcnt(0)
	v_cmp_eq_f16_e32 vcc, s45, v3
	v_cmp_eq_f16_e64 s[0:1], s78, v4
	s_and_b64 s[0:1], vcc, s[0:1]
	s_andn2_b64 s[8:9], s[8:9], exec
	s_and_b64 s[0:1], s[0:1], exec
	s_or_b64 s[8:9], s[8:9], s[0:1]
.LBB159_305:
	v_mov_b32_e32 v1, s25
	s_and_b32 s16, s77, 0xff
	v_add_co_u32_e32 v0, vcc, s24, v0
	s_cmp_lt_i32 s16, 11
	v_addc_co_u32_e32 v1, vcc, 0, v1, vcc
	s_cbranch_scc1 .LBB159_313
; %bb.306:
	s_and_b32 s17, 0xffff, s16
	s_cmp_gt_i32 s17, 25
	s_cbranch_scc0 .LBB159_316
; %bb.307:
	s_cmp_gt_i32 s17, 28
	s_cbranch_scc0 .LBB159_318
; %bb.308:
	;; [unrolled: 3-line block ×4, first 2 shown]
	s_mov_b64 s[12:13], 0
	s_mov_b64 s[0:1], -1
	s_cmp_eq_u32 s17, 46
	s_mov_b64 s[10:11], 0
	s_cbranch_scc0 .LBB159_330
; %bb.311:
	v_cndmask_b32_e64 v2, 0, 1.0, s[8:9]
	s_waitcnt vmcnt(0)
	v_bfe_u32 v3, v2, 16, 1
	s_movk_i32 s0, 0x7fff
	v_add3_u32 v2, v2, v3, s0
	v_lshrrev_b32_e32 v2, 16, v2
	global_store_dword v[0:1], v2, off
	s_mov_b64 s[10:11], -1
	s_mov_b64 s[0:1], 0
	s_branch .LBB159_330
.LBB159_312:
	s_mov_b64 s[8:9], -1
	s_mov_b64 s[0:1], 0
	s_mov_b64 s[2:3], s[58:59]
                                        ; implicit-def: $vgpr4
                                        ; implicit-def: $vgpr3
	s_branch .LBB159_469
.LBB159_313:
	s_mov_b64 s[12:13], -1
	s_mov_b64 s[10:11], 0
	s_mov_b64 s[0:1], s[56:57]
	s_branch .LBB159_399
.LBB159_314:
                                        ; implicit-def: $sgpr8_sgpr9
	s_branch .LBB159_304
.LBB159_315:
	s_mov_b64 s[8:9], -1
	s_mov_b64 s[0:1], 0
	s_mov_b64 s[2:3], s[58:59]
                                        ; implicit-def: $vgpr4
                                        ; implicit-def: $vgpr3
	s_branch .LBB159_450
.LBB159_316:
	s_mov_b64 s[12:13], -1
	s_mov_b64 s[10:11], 0
	s_mov_b64 s[0:1], s[56:57]
	s_branch .LBB159_357
.LBB159_317:
	s_mov_b64 s[8:9], -1
	s_mov_b64 s[0:1], 0
	s_mov_b64 s[2:3], s[58:59]
                                        ; implicit-def: $vgpr4
                                        ; implicit-def: $vgpr3
	s_branch .LBB159_444
.LBB159_318:
	s_mov_b64 s[12:13], -1
	s_mov_b64 s[10:11], 0
	s_mov_b64 s[0:1], s[56:57]
	s_branch .LBB159_340
.LBB159_319:
	s_andn2_saveexec_b64 s[14:15], s[14:15]
	s_cbranch_execz .LBB159_72
.LBB159_320:
	v_add_f32_e32 v2, 0x46000000, v3
	v_and_b32_e32 v2, 0xff, v2
	v_cmp_ne_u32_e32 vcc, 0, v2
	s_andn2_b64 s[12:13], s[12:13], exec
	s_and_b64 s[18:19], vcc, exec
	s_or_b64 s[12:13], s[12:13], s[18:19]
	s_or_b64 exec, exec, s[14:15]
	v_mov_b32_e32 v4, 0
	s_and_saveexec_b64 s[14:15], s[12:13]
	s_cbranch_execnz .LBB159_73
	s_branch .LBB159_74
.LBB159_321:
	s_mov_b64 s[8:9], -1
	s_mov_b64 s[0:1], 0
	s_mov_b64 s[2:3], s[58:59]
                                        ; implicit-def: $vgpr4
                                        ; implicit-def: $vgpr3
	s_branch .LBB159_326
.LBB159_322:
	s_mov_b64 s[12:13], -1
	s_mov_b64 s[10:11], 0
	s_mov_b64 s[0:1], s[56:57]
	s_branch .LBB159_336
.LBB159_323:
	s_andn2_saveexec_b64 s[14:15], s[14:15]
	s_cbranch_execz .LBB159_85
.LBB159_324:
	v_add_f32_e32 v2, 0x42800000, v3
	v_and_b32_e32 v2, 0xff, v2
	v_cmp_ne_u32_e32 vcc, 0, v2
	s_andn2_b64 s[12:13], s[12:13], exec
	s_and_b64 s[18:19], vcc, exec
	s_or_b64 s[12:13], s[12:13], s[18:19]
	s_or_b64 exec, exec, s[14:15]
	v_mov_b32_e32 v4, 0
	s_and_saveexec_b64 s[14:15], s[12:13]
	s_cbranch_execnz .LBB159_86
	s_branch .LBB159_87
.LBB159_325:
	s_mov_b64 s[2:3], -1
                                        ; implicit-def: $vgpr4
                                        ; implicit-def: $vgpr3
	s_mov_b64 s[0:1], 0
.LBB159_326:
	s_and_b64 vcc, exec, s[8:9]
	s_cbranch_vccz .LBB159_443
; %bb.327:
	s_cmp_eq_u32 s12, 44
	s_cbranch_scc0 .LBB159_441
; %bb.328:
	global_load_ubyte v3, v[1:2], off
	s_movk_i32 s2, 0xff
	v_mov_b32_e32 v5, 0x7e00
	s_mov_b64 s[0:1], -1
	s_waitcnt vmcnt(0)
	v_lshlrev_b32_e32 v4, 23, v3
	v_cvt_f16_f32_e32 v4, v4
	v_cmp_ne_u32_e32 vcc, s2, v3
	s_mov_b64 s[2:3], 0
	v_cndmask_b32_e32 v4, v5, v4, vcc
	v_cmp_ne_u32_e32 vcc, 0, v3
	v_cndmask_b32_e32 v3, 0, v4, vcc
	s_branch .LBB159_442
.LBB159_329:
	s_mov_b64 s[12:13], -1
	s_mov_b64 s[10:11], 0
	s_mov_b64 s[0:1], s[56:57]
.LBB159_330:
	s_and_b64 vcc, exec, s[12:13]
	s_cbranch_vccz .LBB159_335
; %bb.331:
	s_cmp_eq_u32 s17, 44
	s_mov_b64 s[0:1], -1
	s_cbranch_scc0 .LBB159_335
; %bb.332:
	s_waitcnt vmcnt(0)
	v_cndmask_b32_e64 v3, 0, 1.0, s[8:9]
	v_lshrrev_b32_e32 v2, 23, v3
	s_movk_i32 s0, 0xff
	v_cmp_ne_u32_e32 vcc, s0, v2
	v_mov_b32_e32 v4, 0xff
	s_and_saveexec_b64 s[10:11], vcc
; %bb.333:
	s_mov_b32 s0, 0x3fffff
	v_and_b32_e32 v4, 0x400000, v3
	v_and_or_b32 v3, v3, s0, v2
	v_cmp_ne_u32_e32 vcc, 0, v4
	v_cmp_ne_u32_e64 s[0:1], 0, v3
	s_and_b64 s[0:1], vcc, s[0:1]
	v_cndmask_b32_e64 v3, 0, 1, s[0:1]
	v_add_u32_e32 v4, v2, v3
; %bb.334:
	s_or_b64 exec, exec, s[10:11]
	s_mov_b64 s[10:11], -1
	s_mov_b64 s[0:1], 0
	global_store_byte v[0:1], v4, off
.LBB159_335:
	s_mov_b64 s[12:13], 0
.LBB159_336:
	s_and_b64 vcc, exec, s[12:13]
	s_cbranch_vccz .LBB159_339
; %bb.337:
	s_cmp_eq_u32 s17, 29
	s_mov_b64 s[0:1], -1
	s_cbranch_scc0 .LBB159_339
; %bb.338:
	s_mov_b32 s0, 0
	v_cndmask_b32_e64 v2, 0, 1, s[8:9]
	s_waitcnt vmcnt(0)
	v_mov_b32_e32 v3, s0
	global_store_dwordx2 v[0:1], v[2:3], off
	s_mov_b64 s[10:11], -1
	s_mov_b64 s[0:1], 0
.LBB159_339:
	s_mov_b64 s[12:13], 0
.LBB159_340:
	s_and_b64 vcc, exec, s[12:13]
	s_cbranch_vccz .LBB159_356
; %bb.341:
	s_cmp_lt_i32 s17, 27
	s_mov_b64 s[10:11], -1
	s_cbranch_scc1 .LBB159_347
; %bb.342:
	s_cmp_gt_i32 s17, 27
	s_cbranch_scc0 .LBB159_344
; %bb.343:
	v_cndmask_b32_e64 v2, 0, 1, s[8:9]
	s_mov_b64 s[10:11], 0
	global_store_dword v[0:1], v2, off
.LBB159_344:
	s_andn2_b64 vcc, exec, s[10:11]
	s_cbranch_vccnz .LBB159_346
; %bb.345:
	v_cndmask_b32_e64 v2, 0, 1, s[8:9]
	global_store_short v[0:1], v2, off
.LBB159_346:
	s_mov_b64 s[10:11], 0
.LBB159_347:
	s_andn2_b64 vcc, exec, s[10:11]
	s_cbranch_vccnz .LBB159_355
; %bb.348:
	s_waitcnt vmcnt(0)
	v_cndmask_b32_e64 v3, 0, 1.0, s[8:9]
	s_mov_b32 s10, 0x43800000
	v_cmp_gt_u32_e32 vcc, s10, v3
	v_mov_b32_e32 v4, 0x80
	s_and_saveexec_b64 s[10:11], vcc
	s_cbranch_execz .LBB159_354
; %bb.349:
	s_mov_b32 s12, 0x3bffffff
	v_cmp_lt_u32_e32 vcc, s12, v3
	s_mov_b64 s[12:13], 0
                                        ; implicit-def: $vgpr2
	s_and_saveexec_b64 s[14:15], vcc
	s_xor_b64 s[14:15], exec, s[14:15]
	s_cbranch_execz .LBB159_587
; %bb.350:
	v_bfe_u32 v2, v3, 20, 1
	s_mov_b32 s18, 0x487ffff
	v_add3_u32 v2, v3, v2, s18
	s_mov_b64 s[12:13], exec
	v_lshrrev_b32_e32 v2, 20, v2
                                        ; implicit-def: $vgpr3
	s_andn2_saveexec_b64 s[14:15], s[14:15]
	s_cbranch_execnz .LBB159_588
.LBB159_351:
	s_or_b64 exec, exec, s[14:15]
	v_mov_b32_e32 v4, 0
	s_and_saveexec_b64 s[14:15], s[12:13]
.LBB159_352:
	v_mov_b32_e32 v4, v2
.LBB159_353:
	s_or_b64 exec, exec, s[14:15]
.LBB159_354:
	s_or_b64 exec, exec, s[10:11]
	global_store_byte v[0:1], v4, off
.LBB159_355:
	s_mov_b64 s[10:11], -1
.LBB159_356:
	s_mov_b64 s[12:13], 0
.LBB159_357:
	s_and_b64 vcc, exec, s[12:13]
	s_cbranch_vccz .LBB159_398
; %bb.358:
	s_cmp_gt_i32 s17, 22
	s_mov_b64 s[12:13], -1
	s_cbranch_scc0 .LBB159_390
; %bb.359:
	s_cmp_lt_i32 s17, 24
	s_mov_b64 s[10:11], -1
	s_cbranch_scc1 .LBB159_379
; %bb.360:
	s_cmp_gt_i32 s17, 24
	s_cbranch_scc0 .LBB159_368
; %bb.361:
	s_waitcnt vmcnt(0)
	v_cndmask_b32_e64 v3, 0, 1.0, s[8:9]
	s_mov_b32 s10, 0x47800000
	v_cmp_gt_u32_e32 vcc, s10, v3
	v_mov_b32_e32 v4, 0x80
	s_and_saveexec_b64 s[10:11], vcc
	s_cbranch_execz .LBB159_367
; %bb.362:
	s_mov_b32 s12, 0x37ffffff
	v_cmp_lt_u32_e32 vcc, s12, v3
	s_mov_b64 s[12:13], 0
                                        ; implicit-def: $vgpr2
	s_and_saveexec_b64 s[14:15], vcc
	s_xor_b64 s[14:15], exec, s[14:15]
	s_cbranch_execz .LBB159_590
; %bb.363:
	v_bfe_u32 v2, v3, 21, 1
	s_mov_b32 s18, 0x88fffff
	v_add3_u32 v2, v3, v2, s18
	s_mov_b64 s[12:13], exec
	v_lshrrev_b32_e32 v2, 21, v2
                                        ; implicit-def: $vgpr3
	s_andn2_saveexec_b64 s[14:15], s[14:15]
	s_cbranch_execnz .LBB159_591
.LBB159_364:
	s_or_b64 exec, exec, s[14:15]
	v_mov_b32_e32 v4, 0
	s_and_saveexec_b64 s[14:15], s[12:13]
.LBB159_365:
	v_mov_b32_e32 v4, v2
.LBB159_366:
	s_or_b64 exec, exec, s[14:15]
.LBB159_367:
	s_or_b64 exec, exec, s[10:11]
	s_mov_b64 s[10:11], 0
	global_store_byte v[0:1], v4, off
.LBB159_368:
	s_and_b64 vcc, exec, s[10:11]
	s_cbranch_vccz .LBB159_378
; %bb.369:
	v_cndmask_b32_e64 v2, 0, 1.0, s[8:9]
	s_mov_b32 s10, 0x43f00000
	v_cmp_gt_u32_e32 vcc, s10, v2
                                        ; implicit-def: $vgpr3
	s_and_saveexec_b64 s[10:11], vcc
	s_xor_b64 s[10:11], exec, s[10:11]
	s_cbranch_execz .LBB159_375
; %bb.370:
	s_mov_b32 s12, 0x3c7fffff
	v_cmp_lt_u32_e32 vcc, s12, v2
                                        ; implicit-def: $vgpr3
	s_and_saveexec_b64 s[12:13], vcc
	s_xor_b64 s[12:13], exec, s[12:13]
	s_cbranch_execz .LBB159_372
; %bb.371:
	s_waitcnt vmcnt(0)
	v_bfe_u32 v3, v2, 20, 1
	s_mov_b32 s14, 0x407ffff
	v_add3_u32 v2, v2, v3, s14
	v_lshrrev_b32_e32 v3, 20, v2
	v_and_b32_e32 v2, 0xff00000, v2
	s_mov_b32 s14, 0x7f00000
	v_mov_b32_e32 v4, 0x7e
	v_cmp_ne_u32_e32 vcc, s14, v2
	v_cndmask_b32_e32 v3, v4, v3, vcc
                                        ; implicit-def: $vgpr2
.LBB159_372:
	s_andn2_saveexec_b64 s[12:13], s[12:13]
	s_cbranch_execz .LBB159_374
; %bb.373:
	s_waitcnt vmcnt(0)
	v_add_f32_e32 v3, 0x46800000, v2
.LBB159_374:
	s_or_b64 exec, exec, s[12:13]
                                        ; implicit-def: $vgpr2
.LBB159_375:
	s_andn2_saveexec_b64 s[10:11], s[10:11]
	s_cbranch_execz .LBB159_377
; %bb.376:
	s_mov_b32 s12, 0x7f800000
	s_waitcnt vmcnt(0)
	v_mov_b32_e32 v3, 0x7e
	v_mov_b32_e32 v4, 0x7f
	v_cmp_lt_u32_e32 vcc, s12, v2
	v_cndmask_b32_e32 v3, v3, v4, vcc
.LBB159_377:
	s_or_b64 exec, exec, s[10:11]
	s_waitcnt vmcnt(0)
	global_store_byte v[0:1], v3, off
.LBB159_378:
	s_mov_b64 s[10:11], 0
.LBB159_379:
	s_andn2_b64 vcc, exec, s[10:11]
	s_cbranch_vccnz .LBB159_389
; %bb.380:
	v_cndmask_b32_e64 v2, 0, 1.0, s[8:9]
	s_mov_b32 s10, 0x47800000
	v_cmp_gt_u32_e32 vcc, s10, v2
                                        ; implicit-def: $vgpr3
	s_and_saveexec_b64 s[10:11], vcc
	s_xor_b64 s[10:11], exec, s[10:11]
	s_cbranch_execz .LBB159_386
; %bb.381:
	s_mov_b32 s12, 0x387fffff
	v_cmp_lt_u32_e32 vcc, s12, v2
                                        ; implicit-def: $vgpr3
	s_and_saveexec_b64 s[12:13], vcc
	s_xor_b64 s[12:13], exec, s[12:13]
	s_cbranch_execz .LBB159_383
; %bb.382:
	s_waitcnt vmcnt(0)
	v_bfe_u32 v3, v2, 21, 1
	s_mov_b32 s14, 0x80fffff
	v_add3_u32 v2, v2, v3, s14
	v_lshrrev_b32_e32 v3, 21, v2
                                        ; implicit-def: $vgpr2
.LBB159_383:
	s_andn2_saveexec_b64 s[12:13], s[12:13]
	s_cbranch_execz .LBB159_385
; %bb.384:
	s_waitcnt vmcnt(0)
	v_add_f32_e32 v3, 0x43000000, v2
.LBB159_385:
	s_or_b64 exec, exec, s[12:13]
                                        ; implicit-def: $vgpr2
.LBB159_386:
	s_andn2_saveexec_b64 s[10:11], s[10:11]
	s_cbranch_execz .LBB159_388
; %bb.387:
	s_mov_b32 s12, 0x7f800000
	s_waitcnt vmcnt(0)
	v_mov_b32_e32 v3, 0x7c
	v_mov_b32_e32 v4, 0x7f
	v_cmp_lt_u32_e32 vcc, s12, v2
	v_cndmask_b32_e32 v3, v3, v4, vcc
.LBB159_388:
	s_or_b64 exec, exec, s[10:11]
	s_waitcnt vmcnt(0)
	global_store_byte v[0:1], v3, off
.LBB159_389:
	s_mov_b64 s[12:13], 0
	s_mov_b64 s[10:11], -1
.LBB159_390:
	s_andn2_b64 vcc, exec, s[12:13]
	s_cbranch_vccnz .LBB159_398
; %bb.391:
	s_cmp_gt_i32 s17, 14
	s_mov_b64 s[12:13], -1
	s_cbranch_scc0 .LBB159_395
; %bb.392:
	s_cmp_eq_u32 s17, 15
	s_mov_b64 s[0:1], -1
	s_cbranch_scc0 .LBB159_394
; %bb.393:
	v_cndmask_b32_e64 v2, 0, 1.0, s[8:9]
	s_waitcnt vmcnt(0)
	v_bfe_u32 v3, v2, 16, 1
	s_movk_i32 s0, 0x7fff
	v_add3_u32 v2, v2, v3, s0
	global_store_short_d16_hi v[0:1], v2, off
	s_mov_b64 s[10:11], -1
	s_mov_b64 s[0:1], 0
.LBB159_394:
	s_mov_b64 s[12:13], 0
.LBB159_395:
	s_and_b64 vcc, exec, s[12:13]
	s_cbranch_vccz .LBB159_398
; %bb.396:
	s_cmp_eq_u32 s17, 11
	s_mov_b64 s[0:1], -1
	s_cbranch_scc0 .LBB159_398
; %bb.397:
	v_cndmask_b32_e64 v2, 0, 1, s[8:9]
	s_mov_b64 s[10:11], -1
	s_mov_b64 s[0:1], 0
	global_store_byte v[0:1], v2, off
.LBB159_398:
	s_mov_b64 s[12:13], 0
.LBB159_399:
	s_and_b64 vcc, exec, s[12:13]
	s_cbranch_vccz .LBB159_438
; %bb.400:
	s_and_b32 s12, 0xffff, s16
	s_cmp_lt_i32 s12, 5
	s_mov_b64 s[10:11], -1
	s_cbranch_scc1 .LBB159_421
; %bb.401:
	s_cmp_lt_i32 s12, 8
	s_cbranch_scc1 .LBB159_411
; %bb.402:
	s_cmp_lt_i32 s12, 9
	s_cbranch_scc1 .LBB159_408
; %bb.403:
	s_cmp_gt_i32 s12, 9
	s_cbranch_scc0 .LBB159_405
; %bb.404:
	v_cndmask_b32_e64 v2, 0, 1, s[8:9]
	s_waitcnt vmcnt(0)
	v_cvt_f64_u32_e32 v[2:3], v2
	v_mov_b32_e32 v4, 0
	v_mov_b32_e32 v5, v4
	s_mov_b64 s[10:11], 0
	global_store_dwordx4 v[0:1], v[2:5], off
.LBB159_405:
	s_andn2_b64 vcc, exec, s[10:11]
	s_cbranch_vccnz .LBB159_407
; %bb.406:
	v_cndmask_b32_e64 v2, 0, 1.0, s[8:9]
	s_waitcnt vmcnt(0)
	v_mov_b32_e32 v3, 0
	global_store_dwordx2 v[0:1], v[2:3], off
.LBB159_407:
	s_mov_b64 s[10:11], 0
.LBB159_408:
	s_andn2_b64 vcc, exec, s[10:11]
	s_cbranch_vccnz .LBB159_410
; %bb.409:
	v_cndmask_b32_e64 v2, 0, 1.0, s[8:9]
	v_cvt_f16_f32_e32 v2, v2
	global_store_dword v[0:1], v2, off
.LBB159_410:
	s_mov_b64 s[10:11], 0
.LBB159_411:
	s_andn2_b64 vcc, exec, s[10:11]
	s_cbranch_vccnz .LBB159_420
; %bb.412:
	s_cmp_lt_i32 s12, 6
	s_mov_b64 s[10:11], -1
	s_cbranch_scc1 .LBB159_418
; %bb.413:
	s_cmp_gt_i32 s12, 6
	s_cbranch_scc0 .LBB159_415
; %bb.414:
	v_cndmask_b32_e64 v2, 0, 1, s[8:9]
	s_waitcnt vmcnt(0)
	v_cvt_f64_u32_e32 v[2:3], v2
	s_mov_b64 s[10:11], 0
	global_store_dwordx2 v[0:1], v[2:3], off
.LBB159_415:
	s_andn2_b64 vcc, exec, s[10:11]
	s_cbranch_vccnz .LBB159_417
; %bb.416:
	v_cndmask_b32_e64 v2, 0, 1.0, s[8:9]
	global_store_dword v[0:1], v2, off
.LBB159_417:
	s_mov_b64 s[10:11], 0
.LBB159_418:
	s_andn2_b64 vcc, exec, s[10:11]
	s_cbranch_vccnz .LBB159_420
; %bb.419:
	v_cndmask_b32_e64 v2, 0, 1.0, s[8:9]
	v_cvt_f16_f32_e32 v2, v2
	global_store_short v[0:1], v2, off
.LBB159_420:
	s_mov_b64 s[10:11], 0
.LBB159_421:
	s_andn2_b64 vcc, exec, s[10:11]
	s_cbranch_vccnz .LBB159_437
; %bb.422:
	s_cmp_lt_i32 s12, 2
	s_mov_b64 s[10:11], -1
	s_cbranch_scc1 .LBB159_432
; %bb.423:
	s_cmp_lt_i32 s12, 3
	s_cbranch_scc1 .LBB159_429
; %bb.424:
	s_cmp_gt_i32 s12, 3
	s_cbranch_scc0 .LBB159_426
; %bb.425:
	s_mov_b32 s10, 0
	v_cndmask_b32_e64 v2, 0, 1, s[8:9]
	s_waitcnt vmcnt(0)
	v_mov_b32_e32 v3, s10
	s_mov_b64 s[10:11], 0
	global_store_dwordx2 v[0:1], v[2:3], off
.LBB159_426:
	s_andn2_b64 vcc, exec, s[10:11]
	s_cbranch_vccnz .LBB159_428
; %bb.427:
	v_cndmask_b32_e64 v2, 0, 1, s[8:9]
	global_store_dword v[0:1], v2, off
.LBB159_428:
	s_mov_b64 s[10:11], 0
.LBB159_429:
	s_andn2_b64 vcc, exec, s[10:11]
	s_cbranch_vccnz .LBB159_431
; %bb.430:
	v_cndmask_b32_e64 v2, 0, 1, s[8:9]
	global_store_short v[0:1], v2, off
.LBB159_431:
	s_mov_b64 s[10:11], 0
.LBB159_432:
	s_andn2_b64 vcc, exec, s[10:11]
	s_cbranch_vccnz .LBB159_437
; %bb.433:
	s_mov_b64 s[10:11], -1
	s_cmp_gt_i32 s12, 0
	v_cndmask_b32_e64 v2, 0, 1, s[8:9]
	s_cbranch_scc0 .LBB159_435
; %bb.434:
	s_mov_b64 s[10:11], 0
	global_store_byte v[0:1], v2, off
.LBB159_435:
	s_andn2_b64 vcc, exec, s[10:11]
	s_cbranch_vccnz .LBB159_437
; %bb.436:
	global_store_byte v[0:1], v2, off
.LBB159_437:
	s_mov_b64 s[10:11], -1
.LBB159_438:
	s_andn2_b64 vcc, exec, s[10:11]
	s_cbranch_vccnz .LBB159_440
; %bb.439:
	v_add_u32_e32 v8, 0x80, v8
	s_mov_b64 s[8:9], -1
	s_branch .LBB159_558
.LBB159_440:
	s_mov_b64 s[8:9], 0
	s_branch .LBB159_557
.LBB159_441:
	s_mov_b64 s[2:3], -1
                                        ; implicit-def: $vgpr3
.LBB159_442:
	v_mov_b32_e32 v4, 0
.LBB159_443:
	s_mov_b64 s[8:9], 0
.LBB159_444:
	s_and_b64 vcc, exec, s[8:9]
	s_cbranch_vccz .LBB159_449
; %bb.445:
	s_cmp_eq_u32 s12, 29
	s_cbranch_scc0 .LBB159_447
; %bb.446:
	global_load_dwordx2 v[3:4], v[1:2], off
	s_mov_b64 s[0:1], -1
	s_mov_b64 s[2:3], 0
	s_waitcnt vmcnt(0)
	v_ffbh_u32_e32 v5, v4
	v_min_u32_e32 v5, 32, v5
	v_lshlrev_b64 v[3:4], v5, v[3:4]
	v_min_u32_e32 v3, 1, v3
	v_or_b32_e32 v3, v4, v3
	v_cvt_f32_u32_e32 v3, v3
	v_sub_u32_e32 v4, 32, v5
	v_ldexp_f32 v3, v3, v4
	v_cvt_f16_f32_e32 v3, v3
	s_branch .LBB159_448
.LBB159_447:
	s_mov_b64 s[2:3], -1
                                        ; implicit-def: $vgpr3
.LBB159_448:
	v_mov_b32_e32 v4, 0
.LBB159_449:
	s_mov_b64 s[8:9], 0
.LBB159_450:
	s_and_b64 vcc, exec, s[8:9]
	s_cbranch_vccz .LBB159_468
; %bb.451:
	s_cmp_lt_i32 s12, 27
	s_cbranch_scc1 .LBB159_454
; %bb.452:
	s_cmp_gt_i32 s12, 27
	s_cbranch_scc0 .LBB159_455
; %bb.453:
	global_load_dword v3, v[1:2], off
	s_mov_b64 s[0:1], 0
	s_waitcnt vmcnt(0)
	v_cvt_f32_u32_e32 v3, v3
	v_cvt_f16_f32_e32 v3, v3
	s_branch .LBB159_456
.LBB159_454:
	s_mov_b64 s[0:1], -1
                                        ; implicit-def: $vgpr3
	s_branch .LBB159_459
.LBB159_455:
	s_mov_b64 s[0:1], -1
                                        ; implicit-def: $vgpr3
.LBB159_456:
	s_andn2_b64 vcc, exec, s[0:1]
	s_cbranch_vccnz .LBB159_458
; %bb.457:
	global_load_ushort v3, v[1:2], off
	s_waitcnt vmcnt(0)
	v_cvt_f16_u16_e32 v3, v3
.LBB159_458:
	s_mov_b64 s[0:1], 0
.LBB159_459:
	s_andn2_b64 vcc, exec, s[0:1]
	s_cbranch_vccnz .LBB159_467
; %bb.460:
	global_load_ubyte v4, v[1:2], off
	s_movk_i32 s0, 0x7f
	s_waitcnt vmcnt(0)
	v_cmp_lt_i16_e32 vcc, s0, v4
	s_mov_b64 s[0:1], 0
	s_and_saveexec_b64 s[8:9], vcc
	s_xor_b64 s[8:9], exec, s[8:9]
	s_cbranch_execz .LBB159_481
; %bb.461:
	s_movk_i32 s0, 0x80
	v_cmp_eq_u16_e32 vcc, s0, v4
	s_mov_b64 s[0:1], -1
	s_and_saveexec_b64 s[10:11], vcc
; %bb.462:
	s_xor_b64 s[0:1], exec, -1
; %bb.463:
	s_or_b64 exec, exec, s[10:11]
	s_and_b64 s[0:1], s[0:1], exec
	s_or_saveexec_b64 s[8:9], s[8:9]
	v_mov_b32_e32 v3, 0x7e00
	s_xor_b64 exec, exec, s[8:9]
	s_cbranch_execnz .LBB159_482
.LBB159_464:
	s_or_b64 exec, exec, s[8:9]
	s_and_saveexec_b64 s[8:9], s[0:1]
	s_cbranch_execz .LBB159_466
.LBB159_465:
	v_lshlrev_b32_e32 v3, 24, v4
	v_and_b32_e32 v4, 0xffff, v4
	v_and_b32_e32 v5, 7, v4
	v_ffbh_u32_e32 v7, v5
	v_min_u32_e32 v7, 32, v7
	v_subrev_u32_e32 v9, 28, v7
	v_bfe_u32 v6, v4, 3, 4
	v_lshlrev_b32_e32 v4, v9, v4
	v_sub_u32_e32 v7, 29, v7
	v_and_b32_e32 v4, 7, v4
	v_cmp_eq_u32_e32 vcc, 0, v6
	v_cndmask_b32_e32 v6, v6, v7, vcc
	v_cndmask_b32_e32 v4, v5, v4, vcc
	v_mov_b32_e32 v5, 0x3b800000
	v_lshlrev_b32_e32 v4, 20, v4
	v_and_b32_e32 v3, 0x80000000, v3
	v_lshl_add_u32 v5, v6, 23, v5
	v_or3_b32 v3, v3, v5, v4
	v_cvt_f16_f32_e32 v3, v3
.LBB159_466:
	s_or_b64 exec, exec, s[8:9]
.LBB159_467:
	s_mov_b64 s[0:1], -1
	v_mov_b32_e32 v4, 0
.LBB159_468:
	s_mov_b64 s[8:9], 0
.LBB159_469:
	s_and_b64 vcc, exec, s[8:9]
	s_cbranch_vccz .LBB159_505
; %bb.470:
	s_cmp_gt_i32 s12, 22
	s_cbranch_scc0 .LBB159_480
; %bb.471:
	s_cmp_lt_i32 s12, 24
	s_cbranch_scc1 .LBB159_483
; %bb.472:
	s_cmp_gt_i32 s12, 24
	s_cbranch_scc0 .LBB159_484
; %bb.473:
	global_load_ubyte v4, v[1:2], off
	s_movk_i32 s0, 0x7f
	s_waitcnt vmcnt(0)
	v_cmp_lt_i16_e32 vcc, s0, v4
	s_mov_b64 s[0:1], 0
	s_and_saveexec_b64 s[8:9], vcc
	s_xor_b64 s[8:9], exec, s[8:9]
	s_cbranch_execz .LBB159_496
; %bb.474:
	s_movk_i32 s0, 0x80
	v_cmp_eq_u16_e32 vcc, s0, v4
	s_mov_b64 s[0:1], -1
	s_and_saveexec_b64 s[10:11], vcc
; %bb.475:
	s_xor_b64 s[0:1], exec, -1
; %bb.476:
	s_or_b64 exec, exec, s[10:11]
	s_and_b64 s[0:1], s[0:1], exec
	s_or_saveexec_b64 s[8:9], s[8:9]
	v_mov_b32_e32 v3, 0x7e00
	s_xor_b64 exec, exec, s[8:9]
	s_cbranch_execnz .LBB159_497
.LBB159_477:
	s_or_b64 exec, exec, s[8:9]
	s_and_saveexec_b64 s[8:9], s[0:1]
	s_cbranch_execz .LBB159_479
.LBB159_478:
	v_lshlrev_b32_e32 v3, 24, v4
	v_and_b32_e32 v4, 0xffff, v4
	v_and_b32_e32 v5, 3, v4
	v_ffbh_u32_e32 v7, v5
	v_min_u32_e32 v7, 32, v7
	v_subrev_u32_e32 v9, 29, v7
	v_bfe_u32 v6, v4, 2, 5
	v_lshlrev_b32_e32 v4, v9, v4
	v_sub_u32_e32 v7, 30, v7
	v_and_b32_e32 v4, 3, v4
	v_cmp_eq_u32_e32 vcc, 0, v6
	v_cndmask_b32_e32 v6, v6, v7, vcc
	v_cndmask_b32_e32 v4, v5, v4, vcc
	v_mov_b32_e32 v5, 0x37800000
	v_lshlrev_b32_e32 v4, 21, v4
	v_and_b32_e32 v3, 0x80000000, v3
	v_lshl_add_u32 v5, v6, 23, v5
	v_or3_b32 v3, v3, v5, v4
	v_cvt_f16_f32_e32 v3, v3
.LBB159_479:
	s_or_b64 exec, exec, s[8:9]
	s_mov_b64 s[0:1], 0
	s_branch .LBB159_485
.LBB159_480:
	s_mov_b64 s[8:9], -1
                                        ; implicit-def: $vgpr3
	s_branch .LBB159_491
.LBB159_481:
	s_or_saveexec_b64 s[8:9], s[8:9]
	v_mov_b32_e32 v3, 0x7e00
	s_xor_b64 exec, exec, s[8:9]
	s_cbranch_execz .LBB159_464
.LBB159_482:
	v_cmp_ne_u16_e32 vcc, 0, v4
	s_andn2_b64 s[0:1], s[0:1], exec
	s_and_b64 s[10:11], vcc, exec
	s_or_b64 s[0:1], s[0:1], s[10:11]
	v_mov_b32_e32 v3, v4
	s_or_b64 exec, exec, s[8:9]
	s_and_saveexec_b64 s[8:9], s[0:1]
	s_cbranch_execnz .LBB159_465
	s_branch .LBB159_466
.LBB159_483:
	s_mov_b64 s[0:1], -1
                                        ; implicit-def: $vgpr3
	s_branch .LBB159_488
.LBB159_484:
	s_mov_b64 s[0:1], -1
                                        ; implicit-def: $vgpr3
.LBB159_485:
	s_and_b64 vcc, exec, s[0:1]
	s_cbranch_vccz .LBB159_487
; %bb.486:
	global_load_ubyte v3, v[1:2], off
	s_mov_b32 s0, 0x7f800000
	s_waitcnt vmcnt(0)
	v_lshlrev_b32_e32 v3, 24, v3
	v_and_b32_e32 v4, 0x7f000000, v3
	v_ffbh_u32_e32 v5, v4
	v_min_u32_e32 v5, 32, v5
	v_sub_u32_e64 v5, v5, 4 clamp
	v_lshlrev_b32_e32 v7, v5, v4
	v_lshlrev_b32_e32 v5, 23, v5
	v_lshrrev_b32_e32 v7, 4, v7
	v_add_u32_e32 v6, 0x1000000, v4
	v_sub_u32_e32 v5, v7, v5
	v_ashrrev_i32_e32 v6, 8, v6
	v_add_u32_e32 v5, 0x3c000000, v5
	v_and_or_b32 v5, v6, s0, v5
	v_cmp_ne_u32_e32 vcc, 0, v4
	v_cndmask_b32_e32 v4, 0, v5, vcc
	s_brev_b32 s0, 1
	v_and_or_b32 v3, v3, s0, v4
	v_cvt_f16_f32_e32 v3, v3
.LBB159_487:
	s_mov_b64 s[0:1], 0
.LBB159_488:
	s_andn2_b64 vcc, exec, s[0:1]
	s_cbranch_vccnz .LBB159_490
; %bb.489:
	global_load_ubyte v3, v[1:2], off
	s_movk_i32 s0, 0x7f00
	s_brev_b32 s1, 16
	s_waitcnt vmcnt(0)
	v_lshlrev_b16_e32 v4, 8, v3
	v_lshlrev_b32_e32 v3, 25, v3
	v_lshrrev_b32_e32 v5, 4, v3
	v_and_or_b32 v6, v4, s0, 0.5
	v_or_b32_e32 v5, 0x70000000, v5
	v_add_f32_e32 v6, -0.5, v6
	v_mul_f32_e32 v5, 0x7800000, v5
	v_cmp_gt_u32_e32 vcc, s1, v3
	v_bfe_i32 v4, v4, 0, 16
	v_cndmask_b32_e32 v3, v5, v6, vcc
	s_brev_b32 s0, 1
	v_and_or_b32 v3, v4, s0, v3
	v_cvt_f16_f32_e32 v3, v3
.LBB159_490:
	s_mov_b64 s[8:9], 0
	s_mov_b64 s[0:1], -1
.LBB159_491:
	s_andn2_b64 vcc, exec, s[8:9]
	s_cbranch_vccnz .LBB159_504
; %bb.492:
	s_cmp_gt_i32 s12, 14
	s_cbranch_scc0 .LBB159_495
; %bb.493:
	s_cmp_eq_u32 s12, 15
	s_cbranch_scc0 .LBB159_498
; %bb.494:
	global_load_ushort v3, v[1:2], off
	s_mov_b64 s[0:1], -1
	s_mov_b64 s[2:3], 0
	s_waitcnt vmcnt(0)
	v_lshlrev_b32_e32 v3, 16, v3
	v_cvt_f16_f32_e32 v3, v3
	s_branch .LBB159_499
.LBB159_495:
	s_mov_b64 s[8:9], -1
                                        ; implicit-def: $vgpr3
	s_branch .LBB159_500
.LBB159_496:
	s_or_saveexec_b64 s[8:9], s[8:9]
	v_mov_b32_e32 v3, 0x7e00
	s_xor_b64 exec, exec, s[8:9]
	s_cbranch_execz .LBB159_477
.LBB159_497:
	v_cmp_ne_u16_e32 vcc, 0, v4
	s_andn2_b64 s[0:1], s[0:1], exec
	s_and_b64 s[10:11], vcc, exec
	s_or_b64 s[0:1], s[0:1], s[10:11]
	v_mov_b32_e32 v3, v4
	s_or_b64 exec, exec, s[8:9]
	s_and_saveexec_b64 s[8:9], s[0:1]
	s_cbranch_execnz .LBB159_478
	s_branch .LBB159_479
.LBB159_498:
	s_mov_b64 s[2:3], -1
                                        ; implicit-def: $vgpr3
.LBB159_499:
	s_mov_b64 s[8:9], 0
.LBB159_500:
	s_and_b64 vcc, exec, s[8:9]
	s_cbranch_vccz .LBB159_504
; %bb.501:
	s_cmp_eq_u32 s12, 11
	s_cbranch_scc0 .LBB159_503
; %bb.502:
	global_load_ubyte v3, v[1:2], off
	v_mov_b32_e32 v4, 0x3c00
	s_mov_b64 s[0:1], -1
	s_mov_b64 s[2:3], 0
	s_waitcnt vmcnt(0)
	v_cmp_ne_u16_e32 vcc, 0, v3
	v_cndmask_b32_e32 v3, 0, v4, vcc
	s_branch .LBB159_504
.LBB159_503:
	s_mov_b64 s[2:3], -1
                                        ; implicit-def: $vgpr3
.LBB159_504:
	v_mov_b32_e32 v4, 0
.LBB159_505:
	s_branch .LBB159_301
.LBB159_506:
	s_cmp_lt_i32 s12, 5
	s_cbranch_scc1 .LBB159_511
; %bb.507:
	s_cmp_lt_i32 s12, 8
	s_cbranch_scc1 .LBB159_512
; %bb.508:
	;; [unrolled: 3-line block ×3, first 2 shown]
	s_cmp_gt_i32 s12, 9
	s_cbranch_scc0 .LBB159_514
; %bb.510:
	global_load_dwordx4 v[3:6], v[1:2], off
	s_movk_i32 s0, 0x1ff
	s_movk_i32 s1, 0xffe
	v_mov_b32_e32 v7, 0x7c00
	v_mov_b32_e32 v9, 0x7e00
	s_movk_i32 s8, 0x40f
	s_mov_b32 s9, 0x8000
	s_waitcnt vmcnt(0)
	v_and_or_b32 v3, v4, s0, v3
	v_and_or_b32 v5, v6, s0, v5
	v_cmp_ne_u32_e32 vcc, 0, v3
	v_lshrrev_b32_e32 v10, 8, v4
	v_cndmask_b32_e64 v3, 0, 1, vcc
	v_cmp_ne_u32_e32 vcc, 0, v5
	v_bfe_u32 v11, v4, 20, 11
	v_lshrrev_b32_e32 v12, 8, v6
	v_bfe_u32 v13, v6, 20, 11
	v_cndmask_b32_e64 v5, 0, 1, vcc
	v_and_or_b32 v3, v10, s1, v3
	v_sub_u32_e32 v14, 0x3f1, v11
	v_add_u32_e32 v11, 0xfffffc10, v11
	v_sub_u32_e32 v15, 0x3f1, v13
	v_and_or_b32 v5, v12, s1, v5
	v_cmp_ne_u32_e32 vcc, 0, v3
	v_add_u32_e32 v13, 0xfffffc10, v13
	v_med3_i32 v10, v14, 0, 13
	v_med3_i32 v12, v15, 0, 13
	v_or_b32_e32 v14, 0x1000, v3
	v_lshl_or_b32 v15, v11, 12, v3
	v_cndmask_b32_e32 v3, v7, v9, vcc
	v_cmp_ne_u32_e32 vcc, 0, v5
	v_or_b32_e32 v16, 0x1000, v5
	v_lshl_or_b32 v17, v13, 12, v5
	v_cndmask_b32_e32 v5, v7, v9, vcc
	v_lshrrev_b32_e32 v9, v10, v14
	v_lshrrev_b32_e32 v18, v12, v16
	v_lshlrev_b32_e32 v10, v10, v9
	v_lshlrev_b32_e32 v12, v12, v18
	v_cmp_ne_u32_e32 vcc, v10, v14
	v_cndmask_b32_e64 v10, 0, 1, vcc
	v_cmp_ne_u32_e32 vcc, v12, v16
	v_cndmask_b32_e64 v12, 0, 1, vcc
	v_or_b32_e32 v9, v9, v10
	v_cmp_gt_i32_e32 vcc, 1, v11
	v_cndmask_b32_e32 v9, v15, v9, vcc
	v_or_b32_e32 v10, v18, v12
	v_cmp_gt_i32_e32 vcc, 1, v13
	v_and_b32_e32 v12, 7, v9
	v_cndmask_b32_e32 v10, v17, v10, vcc
	v_cmp_lt_i32_e32 vcc, 5, v12
	v_and_b32_e32 v14, 7, v10
	v_cndmask_b32_e64 v15, 0, 1, vcc
	v_cmp_eq_u32_e32 vcc, 3, v12
	v_cndmask_b32_e64 v12, 0, 1, vcc
	v_cmp_lt_i32_e32 vcc, 5, v14
	v_cndmask_b32_e64 v16, 0, 1, vcc
	v_cmp_eq_u32_e32 vcc, 3, v14
	v_lshrrev_b32_e32 v9, 2, v9
	v_cndmask_b32_e64 v14, 0, 1, vcc
	v_or_b32_e32 v12, v12, v15
	v_lshrrev_b32_e32 v10, 2, v10
	v_or_b32_e32 v14, v14, v16
	v_add_u32_e32 v9, v9, v12
	v_cmp_gt_i32_e32 vcc, 31, v11
	v_add_u32_e32 v10, v10, v14
	v_cndmask_b32_e32 v9, v7, v9, vcc
	v_cmp_gt_i32_e32 vcc, 31, v13
	v_cndmask_b32_e32 v7, v7, v10, vcc
	v_cmp_eq_u32_e32 vcc, s8, v11
	v_cndmask_b32_e32 v3, v9, v3, vcc
	v_cmp_eq_u32_e32 vcc, s8, v13
	v_lshrrev_b32_e32 v4, 16, v4
	v_lshrrev_b32_e32 v6, 16, v6
	v_cndmask_b32_e32 v5, v7, v5, vcc
	v_and_or_b32 v3, v4, s9, v3
	v_and_or_b32 v4, v6, s9, v5
	s_mov_b64 s[0:1], 0
	s_branch .LBB159_515
.LBB159_511:
	s_mov_b64 s[0:1], -1
                                        ; implicit-def: $vgpr4
                                        ; implicit-def: $vgpr3
	s_branch .LBB159_534
.LBB159_512:
	s_mov_b64 s[0:1], -1
                                        ; implicit-def: $vgpr4
                                        ; implicit-def: $vgpr3
	s_branch .LBB159_521
.LBB159_513:
	s_mov_b64 s[0:1], -1
                                        ; implicit-def: $vgpr4
                                        ; implicit-def: $vgpr3
	s_branch .LBB159_518
.LBB159_514:
	s_mov_b64 s[0:1], -1
                                        ; implicit-def: $vgpr4
                                        ; implicit-def: $vgpr3
.LBB159_515:
	s_andn2_b64 vcc, exec, s[0:1]
	s_cbranch_vccnz .LBB159_517
; %bb.516:
	global_load_dwordx2 v[3:4], v[1:2], off
	s_waitcnt vmcnt(0)
	v_cvt_f16_f32_e32 v3, v3
	v_cvt_f16_f32_e32 v4, v4
.LBB159_517:
	s_mov_b64 s[0:1], 0
.LBB159_518:
	s_andn2_b64 vcc, exec, s[0:1]
	s_cbranch_vccnz .LBB159_520
; %bb.519:
	global_load_dword v3, v[1:2], off
	s_waitcnt vmcnt(0)
	v_lshrrev_b32_e32 v4, 16, v3
.LBB159_520:
	s_mov_b64 s[0:1], 0
.LBB159_521:
	s_andn2_b64 vcc, exec, s[0:1]
	s_cbranch_vccnz .LBB159_533
; %bb.522:
	s_cmp_lt_i32 s12, 6
	s_cbranch_scc1 .LBB159_525
; %bb.523:
	s_cmp_gt_i32 s12, 6
	s_cbranch_scc0 .LBB159_526
; %bb.524:
	global_load_dwordx2 v[3:4], v[1:2], off
	s_movk_i32 s0, 0x1ff
	s_movk_i32 s1, 0xffe
	v_mov_b32_e32 v5, 0x7c00
	v_mov_b32_e32 v6, 0x7e00
	s_movk_i32 s8, 0x40f
	s_mov_b32 s9, 0x8000
	s_waitcnt vmcnt(0)
	v_and_or_b32 v3, v4, s0, v3
	v_cmp_ne_u32_e32 vcc, 0, v3
	v_lshrrev_b32_e32 v7, 8, v4
	v_bfe_u32 v9, v4, 20, 11
	v_cndmask_b32_e64 v3, 0, 1, vcc
	v_sub_u32_e32 v10, 0x3f1, v9
	v_and_or_b32 v3, v7, s1, v3
	v_add_u32_e32 v9, 0xfffffc10, v9
	v_med3_i32 v7, v10, 0, 13
	v_or_b32_e32 v10, 0x1000, v3
	v_cmp_ne_u32_e32 vcc, 0, v3
	v_lshl_or_b32 v11, v9, 12, v3
	v_cndmask_b32_e32 v3, v5, v6, vcc
	v_lshrrev_b32_e32 v6, v7, v10
	v_lshlrev_b32_e32 v7, v7, v6
	v_cmp_ne_u32_e32 vcc, v7, v10
	v_cndmask_b32_e64 v7, 0, 1, vcc
	v_or_b32_e32 v6, v6, v7
	v_cmp_gt_i32_e32 vcc, 1, v9
	v_cndmask_b32_e32 v6, v11, v6, vcc
	v_and_b32_e32 v7, 7, v6
	v_cmp_lt_i32_e32 vcc, 5, v7
	v_cndmask_b32_e64 v10, 0, 1, vcc
	v_cmp_eq_u32_e32 vcc, 3, v7
	v_cndmask_b32_e64 v7, 0, 1, vcc
	v_lshrrev_b32_e32 v6, 2, v6
	v_or_b32_e32 v7, v7, v10
	v_add_u32_e32 v6, v6, v7
	v_cmp_gt_i32_e32 vcc, 31, v9
	v_cndmask_b32_e32 v5, v5, v6, vcc
	v_cmp_eq_u32_e32 vcc, s8, v9
	v_lshrrev_b32_e32 v4, 16, v4
	v_cndmask_b32_e32 v3, v5, v3, vcc
	v_and_or_b32 v3, v4, s9, v3
	s_mov_b64 s[0:1], 0
	s_branch .LBB159_527
.LBB159_525:
	s_mov_b64 s[0:1], -1
                                        ; implicit-def: $vgpr3
	s_branch .LBB159_530
.LBB159_526:
	s_mov_b64 s[0:1], -1
                                        ; implicit-def: $vgpr3
.LBB159_527:
	s_andn2_b64 vcc, exec, s[0:1]
	s_cbranch_vccnz .LBB159_529
; %bb.528:
	global_load_dword v3, v[1:2], off
	s_waitcnt vmcnt(0)
	v_cvt_f16_f32_e32 v3, v3
.LBB159_529:
	s_mov_b64 s[0:1], 0
.LBB159_530:
	s_andn2_b64 vcc, exec, s[0:1]
	s_cbranch_vccnz .LBB159_532
; %bb.531:
	global_load_ushort v3, v[1:2], off
.LBB159_532:
	v_mov_b32_e32 v4, 0
.LBB159_533:
	s_mov_b64 s[0:1], 0
.LBB159_534:
	s_andn2_b64 vcc, exec, s[0:1]
	s_cbranch_vccnz .LBB159_555
; %bb.535:
	s_cmp_lt_i32 s12, 2
	s_cbranch_scc1 .LBB159_539
; %bb.536:
	s_cmp_lt_i32 s12, 3
	s_cbranch_scc1 .LBB159_540
; %bb.537:
	s_cmp_gt_i32 s12, 3
	s_cbranch_scc0 .LBB159_541
; %bb.538:
	global_load_dwordx2 v[3:4], v[1:2], off
	s_mov_b64 s[0:1], 0
	s_waitcnt vmcnt(0)
	v_xor_b32_e32 v6, v3, v4
	v_ffbh_i32_e32 v5, v4
	v_ashrrev_i32_e32 v6, 31, v6
	v_add_u32_e32 v5, -1, v5
	v_add_u32_e32 v6, 32, v6
	v_min_u32_e32 v5, v5, v6
	v_lshlrev_b64 v[3:4], v5, v[3:4]
	v_min_u32_e32 v3, 1, v3
	v_or_b32_e32 v3, v4, v3
	v_cvt_f32_i32_e32 v3, v3
	v_sub_u32_e32 v4, 32, v5
	v_ldexp_f32 v3, v3, v4
	v_cvt_f16_f32_e32 v3, v3
	s_branch .LBB159_542
.LBB159_539:
	s_mov_b64 s[0:1], -1
                                        ; implicit-def: $vgpr3
	s_branch .LBB159_548
.LBB159_540:
	s_mov_b64 s[0:1], -1
                                        ; implicit-def: $vgpr3
	s_branch .LBB159_545
.LBB159_541:
	s_mov_b64 s[0:1], -1
                                        ; implicit-def: $vgpr3
.LBB159_542:
	s_andn2_b64 vcc, exec, s[0:1]
	s_cbranch_vccnz .LBB159_544
; %bb.543:
	global_load_dword v3, v[1:2], off
	s_waitcnt vmcnt(0)
	v_cvt_f32_i32_e32 v3, v3
	v_cvt_f16_f32_e32 v3, v3
.LBB159_544:
	s_mov_b64 s[0:1], 0
.LBB159_545:
	s_andn2_b64 vcc, exec, s[0:1]
	s_cbranch_vccnz .LBB159_547
; %bb.546:
	global_load_ushort v3, v[1:2], off
	s_waitcnt vmcnt(0)
	v_cvt_f16_i16_e32 v3, v3
.LBB159_547:
	s_mov_b64 s[0:1], 0
.LBB159_548:
	s_andn2_b64 vcc, exec, s[0:1]
	s_cbranch_vccnz .LBB159_554
; %bb.549:
	s_cmp_gt_i32 s12, 0
	s_cbranch_scc0 .LBB159_551
; %bb.550:
	global_load_sbyte v3, v[1:2], off
	s_mov_b64 s[0:1], 0
	s_waitcnt vmcnt(0)
	v_cvt_f16_i16_e32 v3, v3
	s_branch .LBB159_552
.LBB159_551:
	s_mov_b64 s[0:1], -1
                                        ; implicit-def: $vgpr3
.LBB159_552:
	s_andn2_b64 vcc, exec, s[0:1]
	s_cbranch_vccnz .LBB159_554
; %bb.553:
	global_load_ubyte v1, v[1:2], off
	s_waitcnt vmcnt(0)
	v_cvt_f16_u16_e32 v3, v1
.LBB159_554:
	v_mov_b32_e32 v4, 0
.LBB159_555:
	s_branch .LBB159_302
.LBB159_556:
	s_mov_b64 s[8:9], 0
	s_mov_b64 s[0:1], s[56:57]
.LBB159_557:
                                        ; implicit-def: $vgpr8
.LBB159_558:
	s_andn2_b64 s[10:11], s[56:57], exec
	s_and_b64 s[0:1], s[0:1], exec
	s_or_b64 s[64:65], s[10:11], s[0:1]
	s_andn2_b64 s[0:1], s[58:59], exec
	s_and_b64 s[2:3], s[2:3], exec
	s_or_b64 s[62:63], s[0:1], s[2:3]
	s_orn2_b64 s[0:1], s[8:9], exec
.LBB159_559:
	s_or_b64 exec, exec, s[66:67]
	s_mov_b64 s[2:3], 0
	s_mov_b64 s[8:9], 0
	;; [unrolled: 1-line block ×3, first 2 shown]
                                        ; implicit-def: $vgpr1_vgpr2
                                        ; implicit-def: $vgpr0
                                        ; implicit-def: $vgpr4
                                        ; implicit-def: $vgpr3
	s_and_saveexec_b64 s[66:67], s[0:1]
	s_cbranch_execz .LBB159_947
; %bb.560:
	v_cmp_gt_i32_e32 vcc, s74, v8
	s_mov_b64 s[2:3], -1
	s_mov_b64 s[70:71], s[62:63]
	s_mov_b64 s[72:73], s[64:65]
	s_and_saveexec_b64 s[68:69], vcc
	s_cbranch_execz .LBB159_844
; %bb.561:
	s_andn2_b64 vcc, exec, s[40:41]
	s_cbranch_vccnz .LBB159_566
; %bb.562:
	s_andn2_b64 vcc, exec, s[54:55]
	s_cbranch_vccnz .LBB159_567
; %bb.563:
	s_add_i32 s75, s80, 1
	s_cmp_eq_u32 s76, 2
	s_cbranch_scc1 .LBB159_568
; %bb.564:
	s_and_b32 s44, s75, 28
	v_mov_b32_e32 v2, 0
	s_mov_b32 s81, 0
	s_mov_b64 s[70:71], s[34:35]
	s_mov_b64 s[72:73], s[52:53]
	v_mov_b32_e32 v0, 0
	v_mov_b32_e32 v1, v8
.LBB159_565:                            ; =>This Inner Loop Header: Depth=1
	s_load_dwordx8 s[16:23], s[70:71], 0x4
	s_load_dwordx4 s[0:3], s[70:71], 0x24
	s_load_dwordx8 s[8:15], s[72:73], 0x0
	s_add_u32 s70, s70, 48
	s_addc_u32 s71, s71, 0
	s_waitcnt vmcnt(0) lgkmcnt(0)
	v_mul_hi_u32 v3, s17, v1
	s_add_i32 s81, s81, 4
	s_add_u32 s72, s72, 32
	s_addc_u32 s73, s73, 0
	v_add_u32_e32 v3, v1, v3
	v_lshrrev_b32_e32 v3, s18, v3
	v_mul_lo_u32 v4, v3, s16
	v_mul_hi_u32 v5, s20, v3
	s_cmp_eq_u32 s44, s81
	v_sub_u32_e32 v1, v1, v4
	v_add_u32_e32 v4, v3, v5
	v_mul_lo_u32 v5, v1, s8
	v_mul_lo_u32 v6, v1, s9
	v_lshrrev_b32_e32 v1, s21, v4
	v_mul_lo_u32 v4, v1, s19
	v_mul_hi_u32 v7, s23, v1
	v_sub_u32_e32 v3, v3, v4
	v_add_u32_e32 v4, v1, v7
	v_lshrrev_b32_e32 v4, s0, v4
	v_mul_hi_u32 v9, s2, v4
	v_mul_lo_u32 v10, v4, s22
	v_mul_lo_u32 v7, v3, s10
	;; [unrolled: 1-line block ×3, first 2 shown]
	v_sub_u32_e32 v10, v1, v10
	v_add_u32_e32 v1, v4, v9
	v_lshrrev_b32_e32 v1, s3, v1
	v_mul_lo_u32 v9, v1, s1
	v_mul_lo_u32 v11, v10, s12
	;; [unrolled: 1-line block ×3, first 2 shown]
	v_add3_u32 v0, v5, v0, v7
	v_sub_u32_e32 v4, v4, v9
	v_mul_lo_u32 v9, v4, s14
	v_mul_lo_u32 v4, v4, s15
	v_add3_u32 v2, v6, v2, v3
	v_add3_u32 v0, v11, v0, v9
	;; [unrolled: 1-line block ×3, first 2 shown]
	s_cbranch_scc0 .LBB159_565
	s_branch .LBB159_569
.LBB159_566:
	s_mov_b64 s[0:1], -1
                                        ; implicit-def: $vgpr0
                                        ; implicit-def: $vgpr2
	s_branch .LBB159_573
.LBB159_567:
	v_mov_b32_e32 v0, 0
	v_mov_b32_e32 v2, 0
	s_branch .LBB159_572
.LBB159_568:
	s_mov_b32 s44, 0
	v_mov_b32_e32 v0, 0
	v_mov_b32_e32 v2, 0
	;; [unrolled: 1-line block ×3, first 2 shown]
.LBB159_569:
	s_and_b32 s8, s75, 3
	s_cmp_eq_u32 s8, 0
	s_cbranch_scc1 .LBB159_572
; %bb.570:
	s_lshl_b32 s0, s44, 3
	s_add_u32 s0, s34, s0
	s_addc_u32 s1, s35, 0
	s_add_u32 s0, s0, 0xc4
	s_addc_u32 s1, s1, 0
	s_mul_i32 s2, s44, 12
	s_add_u32 s2, s34, s2
	s_addc_u32 s3, s35, 0
.LBB159_571:                            ; =>This Inner Loop Header: Depth=1
	s_load_dwordx2 s[10:11], s[2:3], 0x4
	s_load_dword s9, s[2:3], 0xc
	s_load_dwordx2 s[12:13], s[0:1], 0x0
	s_add_u32 s2, s2, 12
	s_addc_u32 s3, s3, 0
	s_waitcnt vmcnt(0) lgkmcnt(0)
	v_mul_hi_u32 v3, s11, v1
	s_add_u32 s0, s0, 8
	s_addc_u32 s1, s1, 0
	s_add_i32 s8, s8, -1
	v_add_u32_e32 v3, v1, v3
	v_lshrrev_b32_e32 v4, s9, v3
	v_mul_lo_u32 v3, v4, s10
	s_cmp_lg_u32 s8, 0
	v_sub_u32_e32 v3, v1, v3
	v_mad_u64_u32 v[0:1], s[10:11], v3, s12, v[0:1]
	v_mad_u64_u32 v[2:3], s[10:11], v3, s13, v[2:3]
	v_mov_b32_e32 v1, v4
	s_cbranch_scc1 .LBB159_571
.LBB159_572:
	s_mov_b64 s[0:1], 0
.LBB159_573:
	s_andn2_b64 vcc, exec, s[0:1]
	s_cbranch_vccnz .LBB159_576
; %bb.574:
	v_mul_hi_u32 v0, s29, v8
	s_andn2_b64 vcc, exec, s[50:51]
	v_add_u32_e32 v0, v8, v0
	v_lshrrev_b32_e32 v1, s30, v0
	v_mul_lo_u32 v0, v1, s28
	v_sub_u32_e32 v2, v8, v0
	v_mul_lo_u32 v0, v2, s36
	v_mul_lo_u32 v2, v2, s37
	s_cbranch_vccnz .LBB159_576
; %bb.575:
	s_waitcnt vmcnt(0)
	v_mul_hi_u32 v3, s48, v1
	v_add_u32_e32 v3, v1, v3
	v_lshrrev_b32_e32 v3, s49, v3
	v_mul_lo_u32 v3, v3, s31
	v_sub_u32_e32 v3, v1, v3
	v_mad_u64_u32 v[0:1], s[0:1], v3, s38, v[0:1]
	v_mad_u64_u32 v[2:3], s[0:1], v3, s39, v[2:3]
.LBB159_576:
	s_waitcnt vmcnt(0)
	v_mov_b32_e32 v3, s27
	s_and_b32 s12, 0xffff, s79
	v_add_co_u32_e32 v1, vcc, s26, v2
	s_cmp_lt_i32 s12, 11
	v_addc_co_u32_e32 v2, vcc, 0, v3, vcc
	s_cbranch_scc1 .LBB159_583
; %bb.577:
	s_cmp_gt_i32 s12, 25
	s_cbranch_scc0 .LBB159_584
; %bb.578:
	s_cmp_gt_i32 s12, 28
	s_cbranch_scc0 .LBB159_585
	;; [unrolled: 3-line block ×4, first 2 shown]
; %bb.581:
	s_cmp_eq_u32 s12, 46
	s_mov_b64 s[8:9], 0
	s_cbranch_scc0 .LBB159_592
; %bb.582:
	global_load_dword v3, v[1:2], off
	s_mov_b64 s[0:1], -1
	s_mov_b64 s[2:3], 0
	s_waitcnt vmcnt(0)
	v_and_b32_e32 v4, 0xffff0000, v3
	v_lshlrev_b32_e32 v3, 16, v3
	v_cvt_f16_f32_e32 v3, v3
	v_cvt_f16_f32_e32 v4, v4
	s_branch .LBB159_593
.LBB159_583:
	s_mov_b64 s[8:9], -1
	s_mov_b64 s[0:1], 0
                                        ; implicit-def: $vgpr4
                                        ; implicit-def: $vgpr3
	s_mov_b64 s[2:3], s[62:63]
	s_branch .LBB159_661
.LBB159_584:
	s_mov_b64 s[8:9], -1
	s_mov_b64 s[0:1], 0
	s_mov_b64 s[2:3], s[62:63]
                                        ; implicit-def: $vgpr4
                                        ; implicit-def: $vgpr3
	s_branch .LBB159_624
.LBB159_585:
	s_mov_b64 s[8:9], -1
	s_mov_b64 s[0:1], 0
	s_mov_b64 s[2:3], s[62:63]
                                        ; implicit-def: $vgpr4
                                        ; implicit-def: $vgpr3
	s_branch .LBB159_605
.LBB159_586:
	s_mov_b64 s[8:9], -1
	s_mov_b64 s[0:1], 0
	s_mov_b64 s[2:3], s[62:63]
                                        ; implicit-def: $vgpr4
                                        ; implicit-def: $vgpr3
	s_branch .LBB159_599
.LBB159_587:
	s_andn2_saveexec_b64 s[14:15], s[14:15]
	s_cbranch_execz .LBB159_351
.LBB159_588:
	v_add_f32_e32 v2, 0x46000000, v3
	v_and_b32_e32 v2, 0xff, v2
	v_cmp_ne_u32_e32 vcc, 0, v2
	s_andn2_b64 s[12:13], s[12:13], exec
	s_and_b64 s[18:19], vcc, exec
	s_or_b64 s[12:13], s[12:13], s[18:19]
	s_or_b64 exec, exec, s[14:15]
	v_mov_b32_e32 v4, 0
	s_and_saveexec_b64 s[14:15], s[12:13]
	s_cbranch_execnz .LBB159_352
	s_branch .LBB159_353
.LBB159_589:
	s_mov_b64 s[8:9], -1
	s_mov_b64 s[0:1], 0
	s_mov_b64 s[2:3], s[62:63]
                                        ; implicit-def: $vgpr4
                                        ; implicit-def: $vgpr3
	s_branch .LBB159_593
.LBB159_590:
	s_andn2_saveexec_b64 s[14:15], s[14:15]
	s_cbranch_execz .LBB159_364
.LBB159_591:
	v_add_f32_e32 v2, 0x42800000, v3
	v_and_b32_e32 v2, 0xff, v2
	v_cmp_ne_u32_e32 vcc, 0, v2
	s_andn2_b64 s[12:13], s[12:13], exec
	s_and_b64 s[18:19], vcc, exec
	s_or_b64 s[12:13], s[12:13], s[18:19]
	s_or_b64 exec, exec, s[14:15]
	v_mov_b32_e32 v4, 0
	s_and_saveexec_b64 s[14:15], s[12:13]
	s_cbranch_execnz .LBB159_365
	s_branch .LBB159_366
.LBB159_592:
	s_mov_b64 s[2:3], -1
                                        ; implicit-def: $vgpr4
                                        ; implicit-def: $vgpr3
	s_mov_b64 s[0:1], 0
.LBB159_593:
	s_and_b64 vcc, exec, s[8:9]
	s_cbranch_vccz .LBB159_598
; %bb.594:
	s_cmp_eq_u32 s12, 44
	s_cbranch_scc0 .LBB159_596
; %bb.595:
	global_load_ubyte v3, v[1:2], off
	s_movk_i32 s2, 0xff
	v_mov_b32_e32 v5, 0x7e00
	s_mov_b64 s[0:1], -1
	s_waitcnt vmcnt(0)
	v_lshlrev_b32_e32 v4, 23, v3
	v_cvt_f16_f32_e32 v4, v4
	v_cmp_ne_u32_e32 vcc, s2, v3
	s_mov_b64 s[2:3], 0
	v_cndmask_b32_e32 v4, v5, v4, vcc
	v_cmp_ne_u32_e32 vcc, 0, v3
	v_cndmask_b32_e32 v3, 0, v4, vcc
	s_branch .LBB159_597
.LBB159_596:
	s_mov_b64 s[2:3], -1
                                        ; implicit-def: $vgpr3
.LBB159_597:
	v_mov_b32_e32 v4, 0
.LBB159_598:
	s_mov_b64 s[8:9], 0
.LBB159_599:
	s_and_b64 vcc, exec, s[8:9]
	s_cbranch_vccz .LBB159_604
; %bb.600:
	s_cmp_eq_u32 s12, 29
	s_cbranch_scc0 .LBB159_602
; %bb.601:
	global_load_dwordx2 v[3:4], v[1:2], off
	s_mov_b64 s[0:1], -1
	s_mov_b64 s[2:3], 0
	s_waitcnt vmcnt(0)
	v_ffbh_u32_e32 v5, v4
	v_min_u32_e32 v5, 32, v5
	v_lshlrev_b64 v[3:4], v5, v[3:4]
	v_min_u32_e32 v3, 1, v3
	v_or_b32_e32 v3, v4, v3
	v_cvt_f32_u32_e32 v3, v3
	v_sub_u32_e32 v4, 32, v5
	v_ldexp_f32 v3, v3, v4
	v_cvt_f16_f32_e32 v3, v3
	s_branch .LBB159_603
.LBB159_602:
	s_mov_b64 s[2:3], -1
                                        ; implicit-def: $vgpr3
.LBB159_603:
	v_mov_b32_e32 v4, 0
.LBB159_604:
	s_mov_b64 s[8:9], 0
.LBB159_605:
	s_and_b64 vcc, exec, s[8:9]
	s_cbranch_vccz .LBB159_623
; %bb.606:
	s_cmp_lt_i32 s12, 27
	s_cbranch_scc1 .LBB159_609
; %bb.607:
	s_cmp_gt_i32 s12, 27
	s_cbranch_scc0 .LBB159_610
; %bb.608:
	global_load_dword v3, v[1:2], off
	s_mov_b64 s[0:1], 0
	s_waitcnt vmcnt(0)
	v_cvt_f32_u32_e32 v3, v3
	v_cvt_f16_f32_e32 v3, v3
	s_branch .LBB159_611
.LBB159_609:
	s_mov_b64 s[0:1], -1
                                        ; implicit-def: $vgpr3
	s_branch .LBB159_614
.LBB159_610:
	s_mov_b64 s[0:1], -1
                                        ; implicit-def: $vgpr3
.LBB159_611:
	s_andn2_b64 vcc, exec, s[0:1]
	s_cbranch_vccnz .LBB159_613
; %bb.612:
	global_load_ushort v3, v[1:2], off
	s_waitcnt vmcnt(0)
	v_cvt_f16_u16_e32 v3, v3
.LBB159_613:
	s_mov_b64 s[0:1], 0
.LBB159_614:
	s_andn2_b64 vcc, exec, s[0:1]
	s_cbranch_vccnz .LBB159_622
; %bb.615:
	global_load_ubyte v4, v[1:2], off
	s_movk_i32 s0, 0x7f
	s_waitcnt vmcnt(0)
	v_cmp_lt_i16_e32 vcc, s0, v4
	s_mov_b64 s[0:1], 0
	s_and_saveexec_b64 s[8:9], vcc
	s_xor_b64 s[8:9], exec, s[8:9]
	s_cbranch_execz .LBB159_636
; %bb.616:
	s_movk_i32 s0, 0x80
	v_cmp_eq_u16_e32 vcc, s0, v4
	s_mov_b64 s[0:1], -1
	s_and_saveexec_b64 s[10:11], vcc
; %bb.617:
	s_xor_b64 s[0:1], exec, -1
; %bb.618:
	s_or_b64 exec, exec, s[10:11]
	s_and_b64 s[0:1], s[0:1], exec
	s_or_saveexec_b64 s[8:9], s[8:9]
	v_mov_b32_e32 v3, 0x7e00
	s_xor_b64 exec, exec, s[8:9]
	s_cbranch_execnz .LBB159_637
.LBB159_619:
	s_or_b64 exec, exec, s[8:9]
	s_and_saveexec_b64 s[8:9], s[0:1]
	s_cbranch_execz .LBB159_621
.LBB159_620:
	v_lshlrev_b32_e32 v3, 24, v4
	v_and_b32_e32 v4, 0xffff, v4
	v_and_b32_e32 v5, 7, v4
	v_ffbh_u32_e32 v7, v5
	v_min_u32_e32 v7, 32, v7
	v_subrev_u32_e32 v9, 28, v7
	v_bfe_u32 v6, v4, 3, 4
	v_lshlrev_b32_e32 v4, v9, v4
	v_sub_u32_e32 v7, 29, v7
	v_and_b32_e32 v4, 7, v4
	v_cmp_eq_u32_e32 vcc, 0, v6
	v_cndmask_b32_e32 v6, v6, v7, vcc
	v_cndmask_b32_e32 v4, v5, v4, vcc
	v_mov_b32_e32 v5, 0x3b800000
	v_lshlrev_b32_e32 v4, 20, v4
	v_and_b32_e32 v3, 0x80000000, v3
	v_lshl_add_u32 v5, v6, 23, v5
	v_or3_b32 v3, v3, v5, v4
	v_cvt_f16_f32_e32 v3, v3
.LBB159_621:
	s_or_b64 exec, exec, s[8:9]
.LBB159_622:
	s_mov_b64 s[0:1], -1
	v_mov_b32_e32 v4, 0
.LBB159_623:
	s_mov_b64 s[8:9], 0
.LBB159_624:
	s_and_b64 vcc, exec, s[8:9]
	s_cbranch_vccz .LBB159_660
; %bb.625:
	s_cmp_gt_i32 s12, 22
	s_cbranch_scc0 .LBB159_635
; %bb.626:
	s_cmp_lt_i32 s12, 24
	s_cbranch_scc1 .LBB159_638
; %bb.627:
	s_cmp_gt_i32 s12, 24
	s_cbranch_scc0 .LBB159_639
; %bb.628:
	global_load_ubyte v4, v[1:2], off
	s_movk_i32 s0, 0x7f
	s_waitcnt vmcnt(0)
	v_cmp_lt_i16_e32 vcc, s0, v4
	s_mov_b64 s[0:1], 0
	s_and_saveexec_b64 s[8:9], vcc
	s_xor_b64 s[8:9], exec, s[8:9]
	s_cbranch_execz .LBB159_651
; %bb.629:
	s_movk_i32 s0, 0x80
	v_cmp_eq_u16_e32 vcc, s0, v4
	s_mov_b64 s[0:1], -1
	s_and_saveexec_b64 s[10:11], vcc
; %bb.630:
	s_xor_b64 s[0:1], exec, -1
; %bb.631:
	s_or_b64 exec, exec, s[10:11]
	s_and_b64 s[0:1], s[0:1], exec
	s_or_saveexec_b64 s[8:9], s[8:9]
	v_mov_b32_e32 v3, 0x7e00
	s_xor_b64 exec, exec, s[8:9]
	s_cbranch_execnz .LBB159_652
.LBB159_632:
	s_or_b64 exec, exec, s[8:9]
	s_and_saveexec_b64 s[8:9], s[0:1]
	s_cbranch_execz .LBB159_634
.LBB159_633:
	v_lshlrev_b32_e32 v3, 24, v4
	v_and_b32_e32 v4, 0xffff, v4
	v_and_b32_e32 v5, 3, v4
	v_ffbh_u32_e32 v7, v5
	v_min_u32_e32 v7, 32, v7
	v_subrev_u32_e32 v9, 29, v7
	v_bfe_u32 v6, v4, 2, 5
	v_lshlrev_b32_e32 v4, v9, v4
	v_sub_u32_e32 v7, 30, v7
	v_and_b32_e32 v4, 3, v4
	v_cmp_eq_u32_e32 vcc, 0, v6
	v_cndmask_b32_e32 v6, v6, v7, vcc
	v_cndmask_b32_e32 v4, v5, v4, vcc
	v_mov_b32_e32 v5, 0x37800000
	v_lshlrev_b32_e32 v4, 21, v4
	v_and_b32_e32 v3, 0x80000000, v3
	v_lshl_add_u32 v5, v6, 23, v5
	v_or3_b32 v3, v3, v5, v4
	v_cvt_f16_f32_e32 v3, v3
.LBB159_634:
	s_or_b64 exec, exec, s[8:9]
	s_mov_b64 s[0:1], 0
	s_branch .LBB159_640
.LBB159_635:
	s_mov_b64 s[8:9], -1
                                        ; implicit-def: $vgpr3
	s_branch .LBB159_646
.LBB159_636:
	s_or_saveexec_b64 s[8:9], s[8:9]
	v_mov_b32_e32 v3, 0x7e00
	s_xor_b64 exec, exec, s[8:9]
	s_cbranch_execz .LBB159_619
.LBB159_637:
	v_cmp_ne_u16_e32 vcc, 0, v4
	s_andn2_b64 s[0:1], s[0:1], exec
	s_and_b64 s[10:11], vcc, exec
	s_or_b64 s[0:1], s[0:1], s[10:11]
	v_mov_b32_e32 v3, v4
	s_or_b64 exec, exec, s[8:9]
	s_and_saveexec_b64 s[8:9], s[0:1]
	s_cbranch_execnz .LBB159_620
	s_branch .LBB159_621
.LBB159_638:
	s_mov_b64 s[0:1], -1
                                        ; implicit-def: $vgpr3
	s_branch .LBB159_643
.LBB159_639:
	s_mov_b64 s[0:1], -1
                                        ; implicit-def: $vgpr3
.LBB159_640:
	s_and_b64 vcc, exec, s[0:1]
	s_cbranch_vccz .LBB159_642
; %bb.641:
	global_load_ubyte v3, v[1:2], off
	s_mov_b32 s0, 0x7f800000
	s_waitcnt vmcnt(0)
	v_lshlrev_b32_e32 v3, 24, v3
	v_and_b32_e32 v4, 0x7f000000, v3
	v_ffbh_u32_e32 v5, v4
	v_min_u32_e32 v5, 32, v5
	v_sub_u32_e64 v5, v5, 4 clamp
	v_lshlrev_b32_e32 v7, v5, v4
	v_lshlrev_b32_e32 v5, 23, v5
	v_lshrrev_b32_e32 v7, 4, v7
	v_add_u32_e32 v6, 0x1000000, v4
	v_sub_u32_e32 v5, v7, v5
	v_ashrrev_i32_e32 v6, 8, v6
	v_add_u32_e32 v5, 0x3c000000, v5
	v_and_or_b32 v5, v6, s0, v5
	v_cmp_ne_u32_e32 vcc, 0, v4
	v_cndmask_b32_e32 v4, 0, v5, vcc
	s_brev_b32 s0, 1
	v_and_or_b32 v3, v3, s0, v4
	v_cvt_f16_f32_e32 v3, v3
.LBB159_642:
	s_mov_b64 s[0:1], 0
.LBB159_643:
	s_andn2_b64 vcc, exec, s[0:1]
	s_cbranch_vccnz .LBB159_645
; %bb.644:
	global_load_ubyte v3, v[1:2], off
	s_movk_i32 s0, 0x7f00
	s_brev_b32 s1, 16
	s_waitcnt vmcnt(0)
	v_lshlrev_b16_e32 v4, 8, v3
	v_lshlrev_b32_e32 v3, 25, v3
	v_lshrrev_b32_e32 v5, 4, v3
	v_and_or_b32 v6, v4, s0, 0.5
	v_or_b32_e32 v5, 0x70000000, v5
	v_add_f32_e32 v6, -0.5, v6
	v_mul_f32_e32 v5, 0x7800000, v5
	v_cmp_gt_u32_e32 vcc, s1, v3
	v_bfe_i32 v4, v4, 0, 16
	v_cndmask_b32_e32 v3, v5, v6, vcc
	s_brev_b32 s0, 1
	v_and_or_b32 v3, v4, s0, v3
	v_cvt_f16_f32_e32 v3, v3
.LBB159_645:
	s_mov_b64 s[8:9], 0
	s_mov_b64 s[0:1], -1
.LBB159_646:
	s_andn2_b64 vcc, exec, s[8:9]
	s_cbranch_vccnz .LBB159_659
; %bb.647:
	s_cmp_gt_i32 s12, 14
	s_cbranch_scc0 .LBB159_650
; %bb.648:
	s_cmp_eq_u32 s12, 15
	s_cbranch_scc0 .LBB159_653
; %bb.649:
	global_load_ushort v3, v[1:2], off
	s_mov_b64 s[0:1], -1
	s_mov_b64 s[2:3], 0
	s_waitcnt vmcnt(0)
	v_lshlrev_b32_e32 v3, 16, v3
	v_cvt_f16_f32_e32 v3, v3
	s_branch .LBB159_654
.LBB159_650:
	s_mov_b64 s[8:9], -1
                                        ; implicit-def: $vgpr3
	s_branch .LBB159_655
.LBB159_651:
	s_or_saveexec_b64 s[8:9], s[8:9]
	v_mov_b32_e32 v3, 0x7e00
	s_xor_b64 exec, exec, s[8:9]
	s_cbranch_execz .LBB159_632
.LBB159_652:
	v_cmp_ne_u16_e32 vcc, 0, v4
	s_andn2_b64 s[0:1], s[0:1], exec
	s_and_b64 s[10:11], vcc, exec
	s_or_b64 s[0:1], s[0:1], s[10:11]
	v_mov_b32_e32 v3, v4
	s_or_b64 exec, exec, s[8:9]
	s_and_saveexec_b64 s[8:9], s[0:1]
	s_cbranch_execnz .LBB159_633
	s_branch .LBB159_634
.LBB159_653:
	s_mov_b64 s[2:3], -1
                                        ; implicit-def: $vgpr3
.LBB159_654:
	s_mov_b64 s[8:9], 0
.LBB159_655:
	s_and_b64 vcc, exec, s[8:9]
	s_cbranch_vccz .LBB159_659
; %bb.656:
	s_cmp_eq_u32 s12, 11
	s_cbranch_scc0 .LBB159_658
; %bb.657:
	global_load_ubyte v3, v[1:2], off
	v_mov_b32_e32 v4, 0x3c00
	s_mov_b64 s[0:1], -1
	s_mov_b64 s[2:3], 0
	s_waitcnt vmcnt(0)
	v_cmp_ne_u16_e32 vcc, 0, v3
	v_cndmask_b32_e32 v3, 0, v4, vcc
	s_branch .LBB159_659
.LBB159_658:
	s_mov_b64 s[2:3], -1
                                        ; implicit-def: $vgpr3
.LBB159_659:
	v_mov_b32_e32 v4, 0
.LBB159_660:
	s_mov_b64 s[8:9], 0
.LBB159_661:
	s_and_b64 vcc, exec, s[8:9]
	s_cbranch_vccz .LBB159_712
; %bb.662:
	s_cmp_lt_i32 s12, 5
	s_cbranch_scc1 .LBB159_667
; %bb.663:
	s_cmp_lt_i32 s12, 8
	s_cbranch_scc1 .LBB159_668
	;; [unrolled: 3-line block ×3, first 2 shown]
; %bb.665:
	s_cmp_gt_i32 s12, 9
	s_cbranch_scc0 .LBB159_670
; %bb.666:
	global_load_dwordx4 v[3:6], v[1:2], off
	s_movk_i32 s0, 0x1ff
	s_movk_i32 s1, 0xffe
	v_mov_b32_e32 v7, 0x7c00
	v_mov_b32_e32 v9, 0x7e00
	s_movk_i32 s8, 0x40f
	s_mov_b32 s9, 0x8000
	s_waitcnt vmcnt(0)
	v_and_or_b32 v3, v4, s0, v3
	v_and_or_b32 v5, v6, s0, v5
	v_cmp_ne_u32_e32 vcc, 0, v3
	v_lshrrev_b32_e32 v10, 8, v4
	v_cndmask_b32_e64 v3, 0, 1, vcc
	v_cmp_ne_u32_e32 vcc, 0, v5
	v_bfe_u32 v11, v4, 20, 11
	v_lshrrev_b32_e32 v12, 8, v6
	v_bfe_u32 v13, v6, 20, 11
	v_cndmask_b32_e64 v5, 0, 1, vcc
	v_and_or_b32 v3, v10, s1, v3
	v_sub_u32_e32 v14, 0x3f1, v11
	v_add_u32_e32 v11, 0xfffffc10, v11
	v_sub_u32_e32 v15, 0x3f1, v13
	v_and_or_b32 v5, v12, s1, v5
	v_cmp_ne_u32_e32 vcc, 0, v3
	v_add_u32_e32 v13, 0xfffffc10, v13
	v_med3_i32 v10, v14, 0, 13
	v_med3_i32 v12, v15, 0, 13
	v_or_b32_e32 v14, 0x1000, v3
	v_lshl_or_b32 v15, v11, 12, v3
	v_cndmask_b32_e32 v3, v7, v9, vcc
	v_cmp_ne_u32_e32 vcc, 0, v5
	v_or_b32_e32 v16, 0x1000, v5
	v_lshl_or_b32 v17, v13, 12, v5
	v_cndmask_b32_e32 v5, v7, v9, vcc
	v_lshrrev_b32_e32 v9, v10, v14
	v_lshrrev_b32_e32 v18, v12, v16
	v_lshlrev_b32_e32 v10, v10, v9
	v_lshlrev_b32_e32 v12, v12, v18
	v_cmp_ne_u32_e32 vcc, v10, v14
	v_cndmask_b32_e64 v10, 0, 1, vcc
	v_cmp_ne_u32_e32 vcc, v12, v16
	v_cndmask_b32_e64 v12, 0, 1, vcc
	v_or_b32_e32 v9, v9, v10
	v_cmp_gt_i32_e32 vcc, 1, v11
	v_cndmask_b32_e32 v9, v15, v9, vcc
	v_or_b32_e32 v10, v18, v12
	v_cmp_gt_i32_e32 vcc, 1, v13
	v_and_b32_e32 v12, 7, v9
	v_cndmask_b32_e32 v10, v17, v10, vcc
	v_cmp_lt_i32_e32 vcc, 5, v12
	v_and_b32_e32 v14, 7, v10
	v_cndmask_b32_e64 v15, 0, 1, vcc
	v_cmp_eq_u32_e32 vcc, 3, v12
	v_cndmask_b32_e64 v12, 0, 1, vcc
	v_cmp_lt_i32_e32 vcc, 5, v14
	v_cndmask_b32_e64 v16, 0, 1, vcc
	v_cmp_eq_u32_e32 vcc, 3, v14
	v_lshrrev_b32_e32 v9, 2, v9
	v_cndmask_b32_e64 v14, 0, 1, vcc
	v_or_b32_e32 v12, v12, v15
	v_lshrrev_b32_e32 v10, 2, v10
	v_or_b32_e32 v14, v14, v16
	v_add_u32_e32 v9, v9, v12
	v_cmp_gt_i32_e32 vcc, 31, v11
	v_add_u32_e32 v10, v10, v14
	v_cndmask_b32_e32 v9, v7, v9, vcc
	v_cmp_gt_i32_e32 vcc, 31, v13
	v_cndmask_b32_e32 v7, v7, v10, vcc
	v_cmp_eq_u32_e32 vcc, s8, v11
	v_cndmask_b32_e32 v3, v9, v3, vcc
	v_cmp_eq_u32_e32 vcc, s8, v13
	v_lshrrev_b32_e32 v4, 16, v4
	v_lshrrev_b32_e32 v6, 16, v6
	v_cndmask_b32_e32 v5, v7, v5, vcc
	v_and_or_b32 v3, v4, s9, v3
	v_and_or_b32 v4, v6, s9, v5
	s_mov_b64 s[0:1], 0
	s_branch .LBB159_671
.LBB159_667:
	s_mov_b64 s[0:1], -1
                                        ; implicit-def: $vgpr4
                                        ; implicit-def: $vgpr3
	s_branch .LBB159_690
.LBB159_668:
	s_mov_b64 s[0:1], -1
                                        ; implicit-def: $vgpr4
                                        ; implicit-def: $vgpr3
	s_branch .LBB159_677
.LBB159_669:
	s_mov_b64 s[0:1], -1
                                        ; implicit-def: $vgpr4
                                        ; implicit-def: $vgpr3
	s_branch .LBB159_674
.LBB159_670:
	s_mov_b64 s[0:1], -1
                                        ; implicit-def: $vgpr4
                                        ; implicit-def: $vgpr3
.LBB159_671:
	s_andn2_b64 vcc, exec, s[0:1]
	s_cbranch_vccnz .LBB159_673
; %bb.672:
	global_load_dwordx2 v[3:4], v[1:2], off
	s_waitcnt vmcnt(0)
	v_cvt_f16_f32_e32 v3, v3
	v_cvt_f16_f32_e32 v4, v4
.LBB159_673:
	s_mov_b64 s[0:1], 0
.LBB159_674:
	s_andn2_b64 vcc, exec, s[0:1]
	s_cbranch_vccnz .LBB159_676
; %bb.675:
	global_load_dword v3, v[1:2], off
	s_waitcnt vmcnt(0)
	v_lshrrev_b32_e32 v4, 16, v3
.LBB159_676:
	s_mov_b64 s[0:1], 0
.LBB159_677:
	s_andn2_b64 vcc, exec, s[0:1]
	s_cbranch_vccnz .LBB159_689
; %bb.678:
	s_cmp_lt_i32 s12, 6
	s_cbranch_scc1 .LBB159_681
; %bb.679:
	s_cmp_gt_i32 s12, 6
	s_cbranch_scc0 .LBB159_682
; %bb.680:
	global_load_dwordx2 v[3:4], v[1:2], off
	s_movk_i32 s0, 0x1ff
	s_movk_i32 s1, 0xffe
	v_mov_b32_e32 v5, 0x7c00
	v_mov_b32_e32 v6, 0x7e00
	s_movk_i32 s8, 0x40f
	s_mov_b32 s9, 0x8000
	s_waitcnt vmcnt(0)
	v_and_or_b32 v3, v4, s0, v3
	v_cmp_ne_u32_e32 vcc, 0, v3
	v_lshrrev_b32_e32 v7, 8, v4
	v_bfe_u32 v9, v4, 20, 11
	v_cndmask_b32_e64 v3, 0, 1, vcc
	v_sub_u32_e32 v10, 0x3f1, v9
	v_and_or_b32 v3, v7, s1, v3
	v_add_u32_e32 v9, 0xfffffc10, v9
	v_med3_i32 v7, v10, 0, 13
	v_or_b32_e32 v10, 0x1000, v3
	v_cmp_ne_u32_e32 vcc, 0, v3
	v_lshl_or_b32 v11, v9, 12, v3
	v_cndmask_b32_e32 v3, v5, v6, vcc
	v_lshrrev_b32_e32 v6, v7, v10
	v_lshlrev_b32_e32 v7, v7, v6
	v_cmp_ne_u32_e32 vcc, v7, v10
	v_cndmask_b32_e64 v7, 0, 1, vcc
	v_or_b32_e32 v6, v6, v7
	v_cmp_gt_i32_e32 vcc, 1, v9
	v_cndmask_b32_e32 v6, v11, v6, vcc
	v_and_b32_e32 v7, 7, v6
	v_cmp_lt_i32_e32 vcc, 5, v7
	v_cndmask_b32_e64 v10, 0, 1, vcc
	v_cmp_eq_u32_e32 vcc, 3, v7
	v_cndmask_b32_e64 v7, 0, 1, vcc
	v_lshrrev_b32_e32 v6, 2, v6
	v_or_b32_e32 v7, v7, v10
	v_add_u32_e32 v6, v6, v7
	v_cmp_gt_i32_e32 vcc, 31, v9
	v_cndmask_b32_e32 v5, v5, v6, vcc
	v_cmp_eq_u32_e32 vcc, s8, v9
	v_lshrrev_b32_e32 v4, 16, v4
	v_cndmask_b32_e32 v3, v5, v3, vcc
	v_and_or_b32 v3, v4, s9, v3
	s_mov_b64 s[0:1], 0
	s_branch .LBB159_683
.LBB159_681:
	s_mov_b64 s[0:1], -1
                                        ; implicit-def: $vgpr3
	s_branch .LBB159_686
.LBB159_682:
	s_mov_b64 s[0:1], -1
                                        ; implicit-def: $vgpr3
.LBB159_683:
	s_andn2_b64 vcc, exec, s[0:1]
	s_cbranch_vccnz .LBB159_685
; %bb.684:
	global_load_dword v3, v[1:2], off
	s_waitcnt vmcnt(0)
	v_cvt_f16_f32_e32 v3, v3
.LBB159_685:
	s_mov_b64 s[0:1], 0
.LBB159_686:
	s_andn2_b64 vcc, exec, s[0:1]
	s_cbranch_vccnz .LBB159_688
; %bb.687:
	global_load_ushort v3, v[1:2], off
.LBB159_688:
	v_mov_b32_e32 v4, 0
.LBB159_689:
	s_mov_b64 s[0:1], 0
.LBB159_690:
	s_andn2_b64 vcc, exec, s[0:1]
	s_cbranch_vccnz .LBB159_711
; %bb.691:
	s_cmp_lt_i32 s12, 2
	s_cbranch_scc1 .LBB159_695
; %bb.692:
	s_cmp_lt_i32 s12, 3
	s_cbranch_scc1 .LBB159_696
; %bb.693:
	s_cmp_gt_i32 s12, 3
	s_cbranch_scc0 .LBB159_697
; %bb.694:
	global_load_dwordx2 v[3:4], v[1:2], off
	s_mov_b64 s[0:1], 0
	s_waitcnt vmcnt(0)
	v_xor_b32_e32 v6, v3, v4
	v_ffbh_i32_e32 v5, v4
	v_ashrrev_i32_e32 v6, 31, v6
	v_add_u32_e32 v5, -1, v5
	v_add_u32_e32 v6, 32, v6
	v_min_u32_e32 v5, v5, v6
	v_lshlrev_b64 v[3:4], v5, v[3:4]
	v_min_u32_e32 v3, 1, v3
	v_or_b32_e32 v3, v4, v3
	v_cvt_f32_i32_e32 v3, v3
	v_sub_u32_e32 v4, 32, v5
	v_ldexp_f32 v3, v3, v4
	v_cvt_f16_f32_e32 v3, v3
	s_branch .LBB159_698
.LBB159_695:
	s_mov_b64 s[0:1], -1
                                        ; implicit-def: $vgpr3
	s_branch .LBB159_704
.LBB159_696:
	s_mov_b64 s[0:1], -1
                                        ; implicit-def: $vgpr3
	s_branch .LBB159_701
.LBB159_697:
	s_mov_b64 s[0:1], -1
                                        ; implicit-def: $vgpr3
.LBB159_698:
	s_andn2_b64 vcc, exec, s[0:1]
	s_cbranch_vccnz .LBB159_700
; %bb.699:
	global_load_dword v3, v[1:2], off
	s_waitcnt vmcnt(0)
	v_cvt_f32_i32_e32 v3, v3
	v_cvt_f16_f32_e32 v3, v3
.LBB159_700:
	s_mov_b64 s[0:1], 0
.LBB159_701:
	s_andn2_b64 vcc, exec, s[0:1]
	s_cbranch_vccnz .LBB159_703
; %bb.702:
	global_load_ushort v3, v[1:2], off
	s_waitcnt vmcnt(0)
	v_cvt_f16_i16_e32 v3, v3
.LBB159_703:
	s_mov_b64 s[0:1], 0
.LBB159_704:
	s_andn2_b64 vcc, exec, s[0:1]
	s_cbranch_vccnz .LBB159_710
; %bb.705:
	s_cmp_gt_i32 s12, 0
	s_cbranch_scc0 .LBB159_707
; %bb.706:
	global_load_sbyte v3, v[1:2], off
	s_mov_b64 s[0:1], 0
	s_waitcnt vmcnt(0)
	v_cvt_f16_i16_e32 v3, v3
	s_branch .LBB159_708
.LBB159_707:
	s_mov_b64 s[0:1], -1
                                        ; implicit-def: $vgpr3
.LBB159_708:
	s_andn2_b64 vcc, exec, s[0:1]
	s_cbranch_vccnz .LBB159_710
; %bb.709:
	global_load_ubyte v1, v[1:2], off
	s_waitcnt vmcnt(0)
	v_cvt_f16_u16_e32 v3, v1
.LBB159_710:
	v_mov_b32_e32 v4, 0
.LBB159_711:
	s_mov_b64 s[0:1], -1
.LBB159_712:
	s_andn2_b64 vcc, exec, s[0:1]
	s_cbranch_vccnz .LBB159_715
; %bb.713:
	s_andn2_b64 vcc, exec, s[46:47]
	s_cbranch_vccnz .LBB159_716
; %bb.714:
	s_waitcnt vmcnt(0)
	v_cmp_neq_f16_e32 vcc, s45, v3
	v_cmp_neq_f16_e64 s[0:1], s78, v4
	s_or_b64 s[8:9], vcc, s[0:1]
	s_mov_b64 s[0:1], 0
	s_branch .LBB159_717
.LBB159_715:
	s_mov_b64 s[8:9], 0
	s_mov_b64 s[0:1], s[64:65]
	s_branch .LBB159_842
.LBB159_716:
	s_mov_b64 s[0:1], -1
                                        ; implicit-def: $sgpr8_sgpr9
.LBB159_717:
	s_andn2_b64 vcc, exec, s[0:1]
	s_cbranch_vccnz .LBB159_719
; %bb.718:
	s_waitcnt vmcnt(0)
	v_cmp_eq_f16_e32 vcc, s45, v3
	v_cmp_eq_f16_e64 s[0:1], s78, v4
	s_and_b64 s[0:1], vcc, s[0:1]
	s_andn2_b64 s[8:9], s[8:9], exec
	s_and_b64 s[0:1], s[0:1], exec
	s_or_b64 s[8:9], s[8:9], s[0:1]
.LBB159_719:
	v_mov_b32_e32 v1, s25
	s_and_b32 s16, s77, 0xff
	v_add_co_u32_e32 v0, vcc, s24, v0
	s_cmp_lt_i32 s16, 11
	v_addc_co_u32_e32 v1, vcc, 0, v1, vcc
	s_cbranch_scc1 .LBB159_726
; %bb.720:
	s_and_b32 s17, 0xffff, s16
	s_cmp_gt_i32 s17, 25
	s_cbranch_scc0 .LBB159_727
; %bb.721:
	s_cmp_gt_i32 s17, 28
	s_cbranch_scc0 .LBB159_728
; %bb.722:
	;; [unrolled: 3-line block ×4, first 2 shown]
	s_mov_b64 s[12:13], 0
	s_mov_b64 s[0:1], -1
	s_cmp_eq_u32 s17, 46
	s_mov_b64 s[10:11], 0
	s_cbranch_scc0 .LBB159_731
; %bb.725:
	v_cndmask_b32_e64 v2, 0, 1.0, s[8:9]
	s_waitcnt vmcnt(0)
	v_bfe_u32 v3, v2, 16, 1
	s_movk_i32 s0, 0x7fff
	v_add3_u32 v2, v2, v3, s0
	v_lshrrev_b32_e32 v2, 16, v2
	global_store_dword v[0:1], v2, off
	s_mov_b64 s[10:11], -1
	s_mov_b64 s[0:1], 0
	s_branch .LBB159_731
.LBB159_726:
	s_mov_b64 s[12:13], -1
	s_mov_b64 s[10:11], 0
	s_mov_b64 s[0:1], s[64:65]
	s_branch .LBB159_800
.LBB159_727:
	s_mov_b64 s[12:13], -1
	s_mov_b64 s[10:11], 0
	s_mov_b64 s[0:1], s[64:65]
	s_branch .LBB159_758
.LBB159_728:
	s_mov_b64 s[12:13], -1
	s_mov_b64 s[10:11], 0
	s_mov_b64 s[0:1], s[64:65]
	s_branch .LBB159_741
.LBB159_729:
	s_mov_b64 s[12:13], -1
	s_mov_b64 s[10:11], 0
	s_mov_b64 s[0:1], s[64:65]
	s_branch .LBB159_737
.LBB159_730:
	s_mov_b64 s[12:13], -1
	s_mov_b64 s[10:11], 0
	s_mov_b64 s[0:1], s[64:65]
.LBB159_731:
	s_and_b64 vcc, exec, s[12:13]
	s_cbranch_vccz .LBB159_736
; %bb.732:
	s_cmp_eq_u32 s17, 44
	s_mov_b64 s[0:1], -1
	s_cbranch_scc0 .LBB159_736
; %bb.733:
	s_waitcnt vmcnt(0)
	v_cndmask_b32_e64 v3, 0, 1.0, s[8:9]
	v_lshrrev_b32_e32 v2, 23, v3
	s_movk_i32 s0, 0xff
	v_cmp_ne_u32_e32 vcc, s0, v2
	v_mov_b32_e32 v4, 0xff
	s_and_saveexec_b64 s[10:11], vcc
; %bb.734:
	s_mov_b32 s0, 0x3fffff
	v_and_b32_e32 v4, 0x400000, v3
	v_and_or_b32 v3, v3, s0, v2
	v_cmp_ne_u32_e32 vcc, 0, v4
	v_cmp_ne_u32_e64 s[0:1], 0, v3
	s_and_b64 s[0:1], vcc, s[0:1]
	v_cndmask_b32_e64 v3, 0, 1, s[0:1]
	v_add_u32_e32 v4, v2, v3
; %bb.735:
	s_or_b64 exec, exec, s[10:11]
	s_mov_b64 s[10:11], -1
	s_mov_b64 s[0:1], 0
	global_store_byte v[0:1], v4, off
.LBB159_736:
	s_mov_b64 s[12:13], 0
.LBB159_737:
	s_and_b64 vcc, exec, s[12:13]
	s_cbranch_vccz .LBB159_740
; %bb.738:
	s_cmp_eq_u32 s17, 29
	s_mov_b64 s[0:1], -1
	s_cbranch_scc0 .LBB159_740
; %bb.739:
	s_mov_b32 s0, 0
	v_cndmask_b32_e64 v2, 0, 1, s[8:9]
	s_waitcnt vmcnt(0)
	v_mov_b32_e32 v3, s0
	global_store_dwordx2 v[0:1], v[2:3], off
	s_mov_b64 s[10:11], -1
	s_mov_b64 s[0:1], 0
.LBB159_740:
	s_mov_b64 s[12:13], 0
.LBB159_741:
	s_and_b64 vcc, exec, s[12:13]
	s_cbranch_vccz .LBB159_757
; %bb.742:
	s_cmp_lt_i32 s17, 27
	s_mov_b64 s[10:11], -1
	s_cbranch_scc1 .LBB159_748
; %bb.743:
	s_cmp_gt_i32 s17, 27
	s_cbranch_scc0 .LBB159_745
; %bb.744:
	v_cndmask_b32_e64 v2, 0, 1, s[8:9]
	s_mov_b64 s[10:11], 0
	global_store_dword v[0:1], v2, off
.LBB159_745:
	s_andn2_b64 vcc, exec, s[10:11]
	s_cbranch_vccnz .LBB159_747
; %bb.746:
	v_cndmask_b32_e64 v2, 0, 1, s[8:9]
	global_store_short v[0:1], v2, off
.LBB159_747:
	s_mov_b64 s[10:11], 0
.LBB159_748:
	s_andn2_b64 vcc, exec, s[10:11]
	s_cbranch_vccnz .LBB159_756
; %bb.749:
	s_waitcnt vmcnt(0)
	v_cndmask_b32_e64 v3, 0, 1.0, s[8:9]
	s_mov_b32 s10, 0x43800000
	v_cmp_gt_u32_e32 vcc, s10, v3
	v_mov_b32_e32 v4, 0x80
	s_and_saveexec_b64 s[10:11], vcc
	s_cbranch_execz .LBB159_755
; %bb.750:
	s_mov_b32 s12, 0x3bffffff
	v_cmp_lt_u32_e32 vcc, s12, v3
	s_mov_b64 s[12:13], 0
                                        ; implicit-def: $vgpr2
	s_and_saveexec_b64 s[14:15], vcc
	s_xor_b64 s[14:15], exec, s[14:15]
	s_cbranch_execz .LBB159_872
; %bb.751:
	v_bfe_u32 v2, v3, 20, 1
	s_mov_b32 s18, 0x487ffff
	v_add3_u32 v2, v3, v2, s18
	s_mov_b64 s[12:13], exec
	v_lshrrev_b32_e32 v2, 20, v2
                                        ; implicit-def: $vgpr3
	s_andn2_saveexec_b64 s[14:15], s[14:15]
	s_cbranch_execnz .LBB159_873
.LBB159_752:
	s_or_b64 exec, exec, s[14:15]
	v_mov_b32_e32 v4, 0
	s_and_saveexec_b64 s[14:15], s[12:13]
.LBB159_753:
	v_mov_b32_e32 v4, v2
.LBB159_754:
	s_or_b64 exec, exec, s[14:15]
.LBB159_755:
	s_or_b64 exec, exec, s[10:11]
	global_store_byte v[0:1], v4, off
.LBB159_756:
	s_mov_b64 s[10:11], -1
.LBB159_757:
	s_mov_b64 s[12:13], 0
.LBB159_758:
	s_and_b64 vcc, exec, s[12:13]
	s_cbranch_vccz .LBB159_799
; %bb.759:
	s_cmp_gt_i32 s17, 22
	s_mov_b64 s[12:13], -1
	s_cbranch_scc0 .LBB159_791
; %bb.760:
	s_cmp_lt_i32 s17, 24
	s_mov_b64 s[10:11], -1
	s_cbranch_scc1 .LBB159_780
; %bb.761:
	s_cmp_gt_i32 s17, 24
	s_cbranch_scc0 .LBB159_769
; %bb.762:
	s_waitcnt vmcnt(0)
	v_cndmask_b32_e64 v3, 0, 1.0, s[8:9]
	s_mov_b32 s10, 0x47800000
	v_cmp_gt_u32_e32 vcc, s10, v3
	v_mov_b32_e32 v4, 0x80
	s_and_saveexec_b64 s[10:11], vcc
	s_cbranch_execz .LBB159_768
; %bb.763:
	s_mov_b32 s12, 0x37ffffff
	v_cmp_lt_u32_e32 vcc, s12, v3
	s_mov_b64 s[12:13], 0
                                        ; implicit-def: $vgpr2
	s_and_saveexec_b64 s[14:15], vcc
	s_xor_b64 s[14:15], exec, s[14:15]
	s_cbranch_execz .LBB159_875
; %bb.764:
	v_bfe_u32 v2, v3, 21, 1
	s_mov_b32 s18, 0x88fffff
	v_add3_u32 v2, v3, v2, s18
	s_mov_b64 s[12:13], exec
	v_lshrrev_b32_e32 v2, 21, v2
                                        ; implicit-def: $vgpr3
	s_andn2_saveexec_b64 s[14:15], s[14:15]
	s_cbranch_execnz .LBB159_876
.LBB159_765:
	s_or_b64 exec, exec, s[14:15]
	v_mov_b32_e32 v4, 0
	s_and_saveexec_b64 s[14:15], s[12:13]
.LBB159_766:
	v_mov_b32_e32 v4, v2
.LBB159_767:
	s_or_b64 exec, exec, s[14:15]
.LBB159_768:
	s_or_b64 exec, exec, s[10:11]
	s_mov_b64 s[10:11], 0
	global_store_byte v[0:1], v4, off
.LBB159_769:
	s_and_b64 vcc, exec, s[10:11]
	s_cbranch_vccz .LBB159_779
; %bb.770:
	v_cndmask_b32_e64 v2, 0, 1.0, s[8:9]
	s_mov_b32 s10, 0x43f00000
	v_cmp_gt_u32_e32 vcc, s10, v2
                                        ; implicit-def: $vgpr3
	s_and_saveexec_b64 s[10:11], vcc
	s_xor_b64 s[10:11], exec, s[10:11]
	s_cbranch_execz .LBB159_776
; %bb.771:
	s_mov_b32 s12, 0x3c7fffff
	v_cmp_lt_u32_e32 vcc, s12, v2
                                        ; implicit-def: $vgpr3
	s_and_saveexec_b64 s[12:13], vcc
	s_xor_b64 s[12:13], exec, s[12:13]
	s_cbranch_execz .LBB159_773
; %bb.772:
	s_waitcnt vmcnt(0)
	v_bfe_u32 v3, v2, 20, 1
	s_mov_b32 s14, 0x407ffff
	v_add3_u32 v2, v2, v3, s14
	v_lshrrev_b32_e32 v3, 20, v2
	v_and_b32_e32 v2, 0xff00000, v2
	s_mov_b32 s14, 0x7f00000
	v_mov_b32_e32 v4, 0x7e
	v_cmp_ne_u32_e32 vcc, s14, v2
	v_cndmask_b32_e32 v3, v4, v3, vcc
                                        ; implicit-def: $vgpr2
.LBB159_773:
	s_andn2_saveexec_b64 s[12:13], s[12:13]
	s_cbranch_execz .LBB159_775
; %bb.774:
	s_waitcnt vmcnt(0)
	v_add_f32_e32 v3, 0x46800000, v2
.LBB159_775:
	s_or_b64 exec, exec, s[12:13]
                                        ; implicit-def: $vgpr2
.LBB159_776:
	s_andn2_saveexec_b64 s[10:11], s[10:11]
	s_cbranch_execz .LBB159_778
; %bb.777:
	s_mov_b32 s12, 0x7f800000
	s_waitcnt vmcnt(0)
	v_mov_b32_e32 v3, 0x7e
	v_mov_b32_e32 v4, 0x7f
	v_cmp_lt_u32_e32 vcc, s12, v2
	v_cndmask_b32_e32 v3, v3, v4, vcc
.LBB159_778:
	s_or_b64 exec, exec, s[10:11]
	s_waitcnt vmcnt(0)
	global_store_byte v[0:1], v3, off
.LBB159_779:
	s_mov_b64 s[10:11], 0
.LBB159_780:
	s_andn2_b64 vcc, exec, s[10:11]
	s_cbranch_vccnz .LBB159_790
; %bb.781:
	v_cndmask_b32_e64 v2, 0, 1.0, s[8:9]
	s_mov_b32 s10, 0x47800000
	v_cmp_gt_u32_e32 vcc, s10, v2
                                        ; implicit-def: $vgpr3
	s_and_saveexec_b64 s[10:11], vcc
	s_xor_b64 s[10:11], exec, s[10:11]
	s_cbranch_execz .LBB159_787
; %bb.782:
	s_mov_b32 s12, 0x387fffff
	v_cmp_lt_u32_e32 vcc, s12, v2
                                        ; implicit-def: $vgpr3
	s_and_saveexec_b64 s[12:13], vcc
	s_xor_b64 s[12:13], exec, s[12:13]
	s_cbranch_execz .LBB159_784
; %bb.783:
	s_waitcnt vmcnt(0)
	v_bfe_u32 v3, v2, 21, 1
	s_mov_b32 s14, 0x80fffff
	v_add3_u32 v2, v2, v3, s14
	v_lshrrev_b32_e32 v3, 21, v2
                                        ; implicit-def: $vgpr2
.LBB159_784:
	s_andn2_saveexec_b64 s[12:13], s[12:13]
	s_cbranch_execz .LBB159_786
; %bb.785:
	s_waitcnt vmcnt(0)
	v_add_f32_e32 v3, 0x43000000, v2
.LBB159_786:
	s_or_b64 exec, exec, s[12:13]
                                        ; implicit-def: $vgpr2
.LBB159_787:
	s_andn2_saveexec_b64 s[10:11], s[10:11]
	s_cbranch_execz .LBB159_789
; %bb.788:
	s_mov_b32 s12, 0x7f800000
	s_waitcnt vmcnt(0)
	v_mov_b32_e32 v3, 0x7c
	v_mov_b32_e32 v4, 0x7f
	v_cmp_lt_u32_e32 vcc, s12, v2
	v_cndmask_b32_e32 v3, v3, v4, vcc
.LBB159_789:
	s_or_b64 exec, exec, s[10:11]
	s_waitcnt vmcnt(0)
	global_store_byte v[0:1], v3, off
.LBB159_790:
	s_mov_b64 s[12:13], 0
	s_mov_b64 s[10:11], -1
.LBB159_791:
	s_andn2_b64 vcc, exec, s[12:13]
	s_cbranch_vccnz .LBB159_799
; %bb.792:
	s_cmp_gt_i32 s17, 14
	s_mov_b64 s[12:13], -1
	s_cbranch_scc0 .LBB159_796
; %bb.793:
	s_cmp_eq_u32 s17, 15
	s_mov_b64 s[0:1], -1
	s_cbranch_scc0 .LBB159_795
; %bb.794:
	v_cndmask_b32_e64 v2, 0, 1.0, s[8:9]
	s_waitcnt vmcnt(0)
	v_bfe_u32 v3, v2, 16, 1
	s_movk_i32 s0, 0x7fff
	v_add3_u32 v2, v2, v3, s0
	global_store_short_d16_hi v[0:1], v2, off
	s_mov_b64 s[10:11], -1
	s_mov_b64 s[0:1], 0
.LBB159_795:
	s_mov_b64 s[12:13], 0
.LBB159_796:
	s_and_b64 vcc, exec, s[12:13]
	s_cbranch_vccz .LBB159_799
; %bb.797:
	s_cmp_eq_u32 s17, 11
	s_mov_b64 s[0:1], -1
	s_cbranch_scc0 .LBB159_799
; %bb.798:
	v_cndmask_b32_e64 v2, 0, 1, s[8:9]
	s_mov_b64 s[10:11], -1
	s_mov_b64 s[0:1], 0
	global_store_byte v[0:1], v2, off
.LBB159_799:
	s_mov_b64 s[12:13], 0
.LBB159_800:
	s_and_b64 vcc, exec, s[12:13]
	s_cbranch_vccz .LBB159_839
; %bb.801:
	s_and_b32 s12, 0xffff, s16
	s_cmp_lt_i32 s12, 5
	s_mov_b64 s[10:11], -1
	s_cbranch_scc1 .LBB159_822
; %bb.802:
	s_cmp_lt_i32 s12, 8
	s_cbranch_scc1 .LBB159_812
; %bb.803:
	s_cmp_lt_i32 s12, 9
	s_cbranch_scc1 .LBB159_809
; %bb.804:
	s_cmp_gt_i32 s12, 9
	s_cbranch_scc0 .LBB159_806
; %bb.805:
	v_cndmask_b32_e64 v2, 0, 1, s[8:9]
	s_waitcnt vmcnt(0)
	v_cvt_f64_u32_e32 v[2:3], v2
	v_mov_b32_e32 v4, 0
	v_mov_b32_e32 v5, v4
	s_mov_b64 s[10:11], 0
	global_store_dwordx4 v[0:1], v[2:5], off
.LBB159_806:
	s_andn2_b64 vcc, exec, s[10:11]
	s_cbranch_vccnz .LBB159_808
; %bb.807:
	v_cndmask_b32_e64 v2, 0, 1.0, s[8:9]
	s_waitcnt vmcnt(0)
	v_mov_b32_e32 v3, 0
	global_store_dwordx2 v[0:1], v[2:3], off
.LBB159_808:
	s_mov_b64 s[10:11], 0
.LBB159_809:
	s_andn2_b64 vcc, exec, s[10:11]
	s_cbranch_vccnz .LBB159_811
; %bb.810:
	v_cndmask_b32_e64 v2, 0, 1.0, s[8:9]
	v_cvt_f16_f32_e32 v2, v2
	global_store_dword v[0:1], v2, off
.LBB159_811:
	s_mov_b64 s[10:11], 0
.LBB159_812:
	s_andn2_b64 vcc, exec, s[10:11]
	s_cbranch_vccnz .LBB159_821
; %bb.813:
	s_cmp_lt_i32 s12, 6
	s_mov_b64 s[10:11], -1
	s_cbranch_scc1 .LBB159_819
; %bb.814:
	s_cmp_gt_i32 s12, 6
	s_cbranch_scc0 .LBB159_816
; %bb.815:
	v_cndmask_b32_e64 v2, 0, 1, s[8:9]
	s_waitcnt vmcnt(0)
	v_cvt_f64_u32_e32 v[2:3], v2
	s_mov_b64 s[10:11], 0
	global_store_dwordx2 v[0:1], v[2:3], off
.LBB159_816:
	s_andn2_b64 vcc, exec, s[10:11]
	s_cbranch_vccnz .LBB159_818
; %bb.817:
	v_cndmask_b32_e64 v2, 0, 1.0, s[8:9]
	global_store_dword v[0:1], v2, off
.LBB159_818:
	s_mov_b64 s[10:11], 0
.LBB159_819:
	s_andn2_b64 vcc, exec, s[10:11]
	s_cbranch_vccnz .LBB159_821
; %bb.820:
	v_cndmask_b32_e64 v2, 0, 1.0, s[8:9]
	v_cvt_f16_f32_e32 v2, v2
	global_store_short v[0:1], v2, off
.LBB159_821:
	s_mov_b64 s[10:11], 0
.LBB159_822:
	s_andn2_b64 vcc, exec, s[10:11]
	s_cbranch_vccnz .LBB159_838
; %bb.823:
	s_cmp_lt_i32 s12, 2
	s_mov_b64 s[10:11], -1
	s_cbranch_scc1 .LBB159_833
; %bb.824:
	s_cmp_lt_i32 s12, 3
	s_cbranch_scc1 .LBB159_830
; %bb.825:
	s_cmp_gt_i32 s12, 3
	s_cbranch_scc0 .LBB159_827
; %bb.826:
	s_mov_b32 s10, 0
	v_cndmask_b32_e64 v2, 0, 1, s[8:9]
	s_waitcnt vmcnt(0)
	v_mov_b32_e32 v3, s10
	s_mov_b64 s[10:11], 0
	global_store_dwordx2 v[0:1], v[2:3], off
.LBB159_827:
	s_andn2_b64 vcc, exec, s[10:11]
	s_cbranch_vccnz .LBB159_829
; %bb.828:
	v_cndmask_b32_e64 v2, 0, 1, s[8:9]
	global_store_dword v[0:1], v2, off
.LBB159_829:
	s_mov_b64 s[10:11], 0
.LBB159_830:
	s_andn2_b64 vcc, exec, s[10:11]
	s_cbranch_vccnz .LBB159_832
; %bb.831:
	v_cndmask_b32_e64 v2, 0, 1, s[8:9]
	global_store_short v[0:1], v2, off
.LBB159_832:
	s_mov_b64 s[10:11], 0
.LBB159_833:
	s_andn2_b64 vcc, exec, s[10:11]
	s_cbranch_vccnz .LBB159_838
; %bb.834:
	s_mov_b64 s[10:11], -1
	s_cmp_gt_i32 s12, 0
	v_cndmask_b32_e64 v2, 0, 1, s[8:9]
	s_cbranch_scc0 .LBB159_836
; %bb.835:
	s_mov_b64 s[10:11], 0
	global_store_byte v[0:1], v2, off
.LBB159_836:
	s_andn2_b64 vcc, exec, s[10:11]
	s_cbranch_vccnz .LBB159_838
; %bb.837:
	global_store_byte v[0:1], v2, off
.LBB159_838:
	s_mov_b64 s[10:11], -1
.LBB159_839:
	s_andn2_b64 vcc, exec, s[10:11]
	s_cbranch_vccnz .LBB159_841
; %bb.840:
	v_add_u32_e32 v8, 0x80, v8
	s_mov_b64 s[8:9], -1
	s_branch .LBB159_843
.LBB159_841:
	s_mov_b64 s[8:9], 0
.LBB159_842:
                                        ; implicit-def: $vgpr8
.LBB159_843:
	s_andn2_b64 s[10:11], s[64:65], exec
	s_and_b64 s[0:1], s[0:1], exec
	s_or_b64 s[72:73], s[10:11], s[0:1]
	s_andn2_b64 s[0:1], s[62:63], exec
	s_and_b64 s[2:3], s[2:3], exec
	s_or_b64 s[70:71], s[0:1], s[2:3]
	s_orn2_b64 s[2:3], s[8:9], exec
.LBB159_844:
	s_or_b64 exec, exec, s[68:69]
	s_mov_b64 s[0:1], 0
	s_mov_b64 s[8:9], 0
	;; [unrolled: 1-line block ×3, first 2 shown]
                                        ; implicit-def: $vgpr1_vgpr2
                                        ; implicit-def: $vgpr0
                                        ; implicit-def: $vgpr4
                                        ; implicit-def: $vgpr3
	s_and_saveexec_b64 s[68:69], s[2:3]
	s_cbranch_execz .LBB159_946
; %bb.845:
	v_cmp_gt_i32_e32 vcc, s74, v8
	s_mov_b64 s[2:3], 0
	s_mov_b64 s[12:13], s[70:71]
                                        ; implicit-def: $vgpr1_vgpr2
                                        ; implicit-def: $vgpr0
                                        ; implicit-def: $vgpr4
                                        ; implicit-def: $vgpr3
	s_and_saveexec_b64 s[74:75], vcc
	s_cbranch_execz .LBB159_945
; %bb.846:
	s_andn2_b64 vcc, exec, s[40:41]
	s_cbranch_vccnz .LBB159_851
; %bb.847:
	s_andn2_b64 vcc, exec, s[54:55]
	s_cbranch_vccnz .LBB159_852
; %bb.848:
	s_add_i32 s80, s80, 1
	s_cmp_eq_u32 s76, 2
	s_cbranch_scc1 .LBB159_853
; %bb.849:
	s_and_b32 s44, s80, 28
	v_mov_b32_e32 v2, 0
	s_mov_b32 s81, 0
	s_mov_b64 s[54:55], s[34:35]
	v_mov_b32_e32 v0, 0
	v_mov_b32_e32 v1, v8
.LBB159_850:                            ; =>This Inner Loop Header: Depth=1
	s_load_dwordx8 s[16:23], s[54:55], 0x4
	s_load_dwordx4 s[0:3], s[54:55], 0x24
	s_load_dwordx8 s[8:15], s[52:53], 0x0
	s_add_u32 s54, s54, 48
	s_addc_u32 s55, s55, 0
	s_waitcnt vmcnt(0) lgkmcnt(0)
	v_mul_hi_u32 v3, s17, v1
	s_add_i32 s81, s81, 4
	s_add_u32 s52, s52, 32
	s_addc_u32 s53, s53, 0
	v_add_u32_e32 v3, v1, v3
	v_lshrrev_b32_e32 v3, s18, v3
	v_mul_lo_u32 v4, v3, s16
	v_mul_hi_u32 v5, s20, v3
	s_cmp_eq_u32 s44, s81
	v_sub_u32_e32 v1, v1, v4
	v_add_u32_e32 v4, v3, v5
	v_mul_lo_u32 v5, v1, s8
	v_mul_lo_u32 v6, v1, s9
	v_lshrrev_b32_e32 v1, s21, v4
	v_mul_lo_u32 v4, v1, s19
	v_mul_hi_u32 v7, s23, v1
	v_sub_u32_e32 v3, v3, v4
	v_add_u32_e32 v4, v1, v7
	v_lshrrev_b32_e32 v4, s0, v4
	v_mul_hi_u32 v9, s2, v4
	v_mul_lo_u32 v10, v4, s22
	v_mul_lo_u32 v7, v3, s10
	v_mul_lo_u32 v3, v3, s11
	v_sub_u32_e32 v10, v1, v10
	v_add_u32_e32 v1, v4, v9
	v_lshrrev_b32_e32 v1, s3, v1
	v_mul_lo_u32 v9, v1, s1
	v_mul_lo_u32 v11, v10, s12
	;; [unrolled: 1-line block ×3, first 2 shown]
	v_add3_u32 v0, v5, v0, v7
	v_sub_u32_e32 v4, v4, v9
	v_mul_lo_u32 v9, v4, s14
	v_mul_lo_u32 v4, v4, s15
	v_add3_u32 v2, v6, v2, v3
	v_add3_u32 v0, v11, v0, v9
	;; [unrolled: 1-line block ×3, first 2 shown]
	s_cbranch_scc0 .LBB159_850
	s_branch .LBB159_854
.LBB159_851:
	s_mov_b64 s[0:1], -1
                                        ; implicit-def: $vgpr0
                                        ; implicit-def: $vgpr2
	s_branch .LBB159_858
.LBB159_852:
	v_mov_b32_e32 v0, 0
	v_mov_b32_e32 v2, 0
	s_branch .LBB159_857
.LBB159_853:
	s_mov_b32 s44, 0
	v_mov_b32_e32 v0, 0
	v_mov_b32_e32 v2, 0
	;; [unrolled: 1-line block ×3, first 2 shown]
.LBB159_854:
	s_and_b32 s8, s80, 3
	s_cmp_eq_u32 s8, 0
	s_cbranch_scc1 .LBB159_857
; %bb.855:
	s_lshl_b32 s0, s44, 3
	s_add_u32 s0, s34, s0
	s_addc_u32 s1, s35, 0
	s_add_u32 s0, s0, 0xc4
	s_addc_u32 s1, s1, 0
	s_mul_i32 s2, s44, 12
	s_add_u32 s2, s34, s2
	s_addc_u32 s3, s35, 0
.LBB159_856:                            ; =>This Inner Loop Header: Depth=1
	s_load_dwordx2 s[10:11], s[2:3], 0x4
	s_load_dword s9, s[2:3], 0xc
	s_load_dwordx2 s[12:13], s[0:1], 0x0
	s_add_u32 s2, s2, 12
	s_addc_u32 s3, s3, 0
	s_waitcnt vmcnt(0) lgkmcnt(0)
	v_mul_hi_u32 v3, s11, v1
	s_add_u32 s0, s0, 8
	s_addc_u32 s1, s1, 0
	s_add_i32 s8, s8, -1
	v_add_u32_e32 v3, v1, v3
	v_lshrrev_b32_e32 v4, s9, v3
	v_mul_lo_u32 v3, v4, s10
	s_cmp_lg_u32 s8, 0
	v_sub_u32_e32 v3, v1, v3
	v_mad_u64_u32 v[0:1], s[10:11], v3, s12, v[0:1]
	v_mad_u64_u32 v[2:3], s[10:11], v3, s13, v[2:3]
	v_mov_b32_e32 v1, v4
	s_cbranch_scc1 .LBB159_856
.LBB159_857:
	s_mov_b64 s[0:1], 0
.LBB159_858:
	s_andn2_b64 vcc, exec, s[0:1]
	s_cbranch_vccnz .LBB159_861
; %bb.859:
	v_mul_hi_u32 v0, s29, v8
	s_andn2_b64 vcc, exec, s[50:51]
	v_add_u32_e32 v0, v8, v0
	v_lshrrev_b32_e32 v1, s30, v0
	v_mul_lo_u32 v0, v1, s28
	v_sub_u32_e32 v2, v8, v0
	v_mul_lo_u32 v0, v2, s36
	v_mul_lo_u32 v2, v2, s37
	s_cbranch_vccnz .LBB159_861
; %bb.860:
	s_waitcnt vmcnt(0)
	v_mul_hi_u32 v3, s48, v1
	v_add_u32_e32 v3, v1, v3
	v_lshrrev_b32_e32 v3, s49, v3
	v_mul_lo_u32 v3, v3, s31
	v_sub_u32_e32 v3, v1, v3
	v_mad_u64_u32 v[0:1], s[0:1], v3, s38, v[0:1]
	v_mad_u64_u32 v[2:3], s[0:1], v3, s39, v[2:3]
.LBB159_861:
	s_waitcnt vmcnt(0)
	v_mov_b32_e32 v3, s27
	s_and_b32 s14, 0xffff, s79
	v_add_co_u32_e32 v1, vcc, s26, v2
	s_cmp_lt_i32 s14, 11
	v_addc_co_u32_e32 v2, vcc, 0, v3, vcc
	s_cbranch_scc1 .LBB159_868
; %bb.862:
	s_cmp_gt_i32 s14, 25
	s_mov_b64 s[2:3], 0
	s_cbranch_scc0 .LBB159_869
; %bb.863:
	s_cmp_gt_i32 s14, 28
	s_cbranch_scc0 .LBB159_870
; %bb.864:
	s_cmp_gt_i32 s14, 43
	;; [unrolled: 3-line block ×3, first 2 shown]
	s_cbranch_scc0 .LBB159_874
; %bb.866:
	s_cmp_eq_u32 s14, 46
	s_mov_b64 s[10:11], 0
	s_cbranch_scc0 .LBB159_877
; %bb.867:
	global_load_dword v3, v[1:2], off
	s_mov_b64 s[0:1], 0
	s_mov_b64 s[8:9], -1
	s_waitcnt vmcnt(0)
	v_and_b32_e32 v4, 0xffff0000, v3
	v_lshlrev_b32_e32 v3, 16, v3
	v_cvt_f16_f32_e32 v3, v3
	v_cvt_f16_f32_e32 v4, v4
	s_branch .LBB159_878
.LBB159_868:
	s_mov_b64 s[12:13], -1
	s_mov_b64 s[8:9], 0
	s_mov_b64 s[2:3], 0
	;; [unrolled: 1-line block ×3, first 2 shown]
                                        ; implicit-def: $vgpr4
                                        ; implicit-def: $vgpr3
	s_branch .LBB159_944
.LBB159_869:
	s_mov_b64 s[10:11], -1
	s_mov_b64 s[8:9], 0
	s_mov_b64 s[0:1], s[70:71]
                                        ; implicit-def: $vgpr4
                                        ; implicit-def: $vgpr3
	s_branch .LBB159_909
.LBB159_870:
	s_mov_b64 s[10:11], -1
	s_mov_b64 s[8:9], 0
	s_mov_b64 s[0:1], s[70:71]
                                        ; implicit-def: $vgpr4
                                        ; implicit-def: $vgpr3
	s_branch .LBB159_890
.LBB159_871:
	s_mov_b64 s[10:11], -1
	s_mov_b64 s[8:9], 0
	s_mov_b64 s[0:1], s[70:71]
                                        ; implicit-def: $vgpr4
                                        ; implicit-def: $vgpr3
	s_branch .LBB159_884
.LBB159_872:
	s_andn2_saveexec_b64 s[14:15], s[14:15]
	s_cbranch_execz .LBB159_752
.LBB159_873:
	v_add_f32_e32 v2, 0x46000000, v3
	v_and_b32_e32 v2, 0xff, v2
	v_cmp_ne_u32_e32 vcc, 0, v2
	s_andn2_b64 s[12:13], s[12:13], exec
	s_and_b64 s[18:19], vcc, exec
	s_or_b64 s[12:13], s[12:13], s[18:19]
	s_or_b64 exec, exec, s[14:15]
	v_mov_b32_e32 v4, 0
	s_and_saveexec_b64 s[14:15], s[12:13]
	s_cbranch_execnz .LBB159_753
	s_branch .LBB159_754
.LBB159_874:
	s_mov_b64 s[10:11], -1
	s_mov_b64 s[8:9], 0
	s_mov_b64 s[0:1], s[70:71]
                                        ; implicit-def: $vgpr4
                                        ; implicit-def: $vgpr3
	s_branch .LBB159_878
.LBB159_875:
	s_andn2_saveexec_b64 s[14:15], s[14:15]
	s_cbranch_execz .LBB159_765
.LBB159_876:
	v_add_f32_e32 v2, 0x42800000, v3
	v_and_b32_e32 v2, 0xff, v2
	v_cmp_ne_u32_e32 vcc, 0, v2
	s_andn2_b64 s[12:13], s[12:13], exec
	s_and_b64 s[18:19], vcc, exec
	s_or_b64 s[12:13], s[12:13], s[18:19]
	s_or_b64 exec, exec, s[14:15]
	v_mov_b32_e32 v4, 0
	s_and_saveexec_b64 s[14:15], s[12:13]
	s_cbranch_execnz .LBB159_766
	s_branch .LBB159_767
.LBB159_877:
	s_mov_b64 s[0:1], -1
                                        ; implicit-def: $vgpr4
                                        ; implicit-def: $vgpr3
	s_mov_b64 s[8:9], 0
.LBB159_878:
	s_and_b64 vcc, exec, s[10:11]
	s_cbranch_vccz .LBB159_883
; %bb.879:
	s_cmp_eq_u32 s14, 44
	s_cbranch_scc0 .LBB159_881
; %bb.880:
	global_load_ubyte v3, v[1:2], off
	s_movk_i32 s8, 0xff
	v_mov_b32_e32 v5, 0x7e00
	s_mov_b64 s[0:1], 0
	s_waitcnt vmcnt(0)
	v_lshlrev_b32_e32 v4, 23, v3
	v_cvt_f16_f32_e32 v4, v4
	v_cmp_ne_u32_e32 vcc, s8, v3
	s_mov_b64 s[8:9], -1
	v_cndmask_b32_e32 v4, v5, v4, vcc
	v_cmp_ne_u32_e32 vcc, 0, v3
	v_cndmask_b32_e32 v3, 0, v4, vcc
	s_branch .LBB159_882
.LBB159_881:
	s_mov_b64 s[0:1], -1
                                        ; implicit-def: $vgpr3
.LBB159_882:
	v_mov_b32_e32 v4, 0
.LBB159_883:
	s_mov_b64 s[10:11], 0
.LBB159_884:
	s_and_b64 vcc, exec, s[10:11]
	s_cbranch_vccz .LBB159_889
; %bb.885:
	s_cmp_eq_u32 s14, 29
	s_cbranch_scc0 .LBB159_887
; %bb.886:
	global_load_dwordx2 v[3:4], v[1:2], off
	s_mov_b64 s[0:1], 0
	s_mov_b64 s[8:9], -1
	s_waitcnt vmcnt(0)
	v_ffbh_u32_e32 v5, v4
	v_min_u32_e32 v5, 32, v5
	v_lshlrev_b64 v[3:4], v5, v[3:4]
	v_min_u32_e32 v3, 1, v3
	v_or_b32_e32 v3, v4, v3
	v_cvt_f32_u32_e32 v3, v3
	v_sub_u32_e32 v4, 32, v5
	v_ldexp_f32 v3, v3, v4
	v_cvt_f16_f32_e32 v3, v3
	s_branch .LBB159_888
.LBB159_887:
	s_mov_b64 s[0:1], -1
                                        ; implicit-def: $vgpr3
.LBB159_888:
	v_mov_b32_e32 v4, 0
.LBB159_889:
	s_mov_b64 s[10:11], 0
.LBB159_890:
	s_and_b64 vcc, exec, s[10:11]
	s_cbranch_vccz .LBB159_908
; %bb.891:
	s_cmp_lt_i32 s14, 27
	s_cbranch_scc1 .LBB159_894
; %bb.892:
	s_cmp_gt_i32 s14, 27
	s_cbranch_scc0 .LBB159_895
; %bb.893:
	global_load_dword v3, v[1:2], off
	s_mov_b64 s[8:9], 0
	s_waitcnt vmcnt(0)
	v_cvt_f32_u32_e32 v3, v3
	v_cvt_f16_f32_e32 v3, v3
	s_branch .LBB159_896
.LBB159_894:
	s_mov_b64 s[8:9], -1
                                        ; implicit-def: $vgpr3
	s_branch .LBB159_899
.LBB159_895:
	s_mov_b64 s[8:9], -1
                                        ; implicit-def: $vgpr3
.LBB159_896:
	s_andn2_b64 vcc, exec, s[8:9]
	s_cbranch_vccnz .LBB159_898
; %bb.897:
	global_load_ushort v3, v[1:2], off
	s_waitcnt vmcnt(0)
	v_cvt_f16_u16_e32 v3, v3
.LBB159_898:
	s_mov_b64 s[8:9], 0
.LBB159_899:
	s_andn2_b64 vcc, exec, s[8:9]
	s_cbranch_vccnz .LBB159_907
; %bb.900:
	global_load_ubyte v4, v[1:2], off
	s_movk_i32 s8, 0x7f
	s_waitcnt vmcnt(0)
	v_cmp_lt_i16_e32 vcc, s8, v4
	s_mov_b64 s[8:9], 0
	s_and_saveexec_b64 s[10:11], vcc
	s_xor_b64 s[10:11], exec, s[10:11]
	s_cbranch_execz .LBB159_921
; %bb.901:
	s_movk_i32 s8, 0x80
	v_cmp_eq_u16_e32 vcc, s8, v4
	s_mov_b64 s[8:9], -1
	s_and_saveexec_b64 s[12:13], vcc
; %bb.902:
	s_xor_b64 s[8:9], exec, -1
; %bb.903:
	s_or_b64 exec, exec, s[12:13]
	s_and_b64 s[8:9], s[8:9], exec
	s_or_saveexec_b64 s[10:11], s[10:11]
	v_mov_b32_e32 v3, 0x7e00
	s_xor_b64 exec, exec, s[10:11]
	s_cbranch_execnz .LBB159_922
.LBB159_904:
	s_or_b64 exec, exec, s[10:11]
	s_and_saveexec_b64 s[10:11], s[8:9]
	s_cbranch_execz .LBB159_906
.LBB159_905:
	v_lshlrev_b32_e32 v3, 24, v4
	v_and_b32_e32 v4, 0xffff, v4
	v_and_b32_e32 v5, 7, v4
	v_ffbh_u32_e32 v7, v5
	v_min_u32_e32 v7, 32, v7
	v_subrev_u32_e32 v8, 28, v7
	v_bfe_u32 v6, v4, 3, 4
	v_lshlrev_b32_e32 v4, v8, v4
	v_sub_u32_e32 v7, 29, v7
	v_and_b32_e32 v4, 7, v4
	v_cmp_eq_u32_e32 vcc, 0, v6
	v_cndmask_b32_e32 v6, v6, v7, vcc
	v_cndmask_b32_e32 v4, v5, v4, vcc
	v_mov_b32_e32 v5, 0x3b800000
	v_lshlrev_b32_e32 v4, 20, v4
	v_and_b32_e32 v3, 0x80000000, v3
	v_lshl_add_u32 v5, v6, 23, v5
	v_or3_b32 v3, v3, v5, v4
	v_cvt_f16_f32_e32 v3, v3
.LBB159_906:
	s_or_b64 exec, exec, s[10:11]
.LBB159_907:
	s_mov_b64 s[8:9], -1
	v_mov_b32_e32 v4, 0
.LBB159_908:
	s_mov_b64 s[10:11], 0
.LBB159_909:
	s_and_b64 vcc, exec, s[10:11]
	s_cbranch_vccz .LBB159_943
; %bb.910:
	s_cmp_gt_i32 s14, 22
	s_cbranch_scc0 .LBB159_920
; %bb.911:
	s_cmp_lt_i32 s14, 24
	s_cbranch_scc1 .LBB159_923
; %bb.912:
	s_cmp_gt_i32 s14, 24
	s_cbranch_scc0 .LBB159_924
; %bb.913:
	global_load_ubyte v4, v[1:2], off
	s_movk_i32 s2, 0x7f
	s_waitcnt vmcnt(0)
	v_cmp_lt_i16_e32 vcc, s2, v4
	s_mov_b64 s[2:3], 0
	s_and_saveexec_b64 s[8:9], vcc
	s_xor_b64 s[8:9], exec, s[8:9]
	s_cbranch_execz .LBB159_936
; %bb.914:
	s_movk_i32 s2, 0x80
	v_cmp_eq_u16_e32 vcc, s2, v4
	s_mov_b64 s[2:3], -1
	s_and_saveexec_b64 s[10:11], vcc
; %bb.915:
	s_xor_b64 s[2:3], exec, -1
; %bb.916:
	s_or_b64 exec, exec, s[10:11]
	s_and_b64 s[2:3], s[2:3], exec
	s_or_saveexec_b64 s[8:9], s[8:9]
	v_mov_b32_e32 v3, 0x7e00
	s_xor_b64 exec, exec, s[8:9]
	s_cbranch_execnz .LBB159_937
.LBB159_917:
	s_or_b64 exec, exec, s[8:9]
	s_and_saveexec_b64 s[8:9], s[2:3]
	s_cbranch_execz .LBB159_919
.LBB159_918:
	v_lshlrev_b32_e32 v3, 24, v4
	v_and_b32_e32 v4, 0xffff, v4
	v_and_b32_e32 v5, 3, v4
	v_ffbh_u32_e32 v7, v5
	v_min_u32_e32 v7, 32, v7
	v_subrev_u32_e32 v8, 29, v7
	v_bfe_u32 v6, v4, 2, 5
	v_lshlrev_b32_e32 v4, v8, v4
	v_sub_u32_e32 v7, 30, v7
	v_and_b32_e32 v4, 3, v4
	v_cmp_eq_u32_e32 vcc, 0, v6
	v_cndmask_b32_e32 v6, v6, v7, vcc
	v_cndmask_b32_e32 v4, v5, v4, vcc
	v_mov_b32_e32 v5, 0x37800000
	v_lshlrev_b32_e32 v4, 21, v4
	v_and_b32_e32 v3, 0x80000000, v3
	v_lshl_add_u32 v5, v6, 23, v5
	v_or3_b32 v3, v3, v5, v4
	v_cvt_f16_f32_e32 v3, v3
.LBB159_919:
	s_or_b64 exec, exec, s[8:9]
	s_mov_b64 s[2:3], 0
	s_branch .LBB159_925
.LBB159_920:
	s_mov_b64 s[2:3], -1
                                        ; implicit-def: $vgpr3
	s_branch .LBB159_931
.LBB159_921:
	s_or_saveexec_b64 s[10:11], s[10:11]
	v_mov_b32_e32 v3, 0x7e00
	s_xor_b64 exec, exec, s[10:11]
	s_cbranch_execz .LBB159_904
.LBB159_922:
	v_cmp_ne_u16_e32 vcc, 0, v4
	s_andn2_b64 s[8:9], s[8:9], exec
	s_and_b64 s[12:13], vcc, exec
	s_or_b64 s[8:9], s[8:9], s[12:13]
	v_mov_b32_e32 v3, v4
	s_or_b64 exec, exec, s[10:11]
	s_and_saveexec_b64 s[10:11], s[8:9]
	s_cbranch_execnz .LBB159_905
	s_branch .LBB159_906
.LBB159_923:
	s_mov_b64 s[2:3], -1
                                        ; implicit-def: $vgpr3
	s_branch .LBB159_928
.LBB159_924:
	s_mov_b64 s[2:3], -1
                                        ; implicit-def: $vgpr3
.LBB159_925:
	s_and_b64 vcc, exec, s[2:3]
	s_cbranch_vccz .LBB159_927
; %bb.926:
	global_load_ubyte v3, v[1:2], off
	s_mov_b32 s2, 0x7f800000
	s_waitcnt vmcnt(0)
	v_lshlrev_b32_e32 v3, 24, v3
	v_and_b32_e32 v4, 0x7f000000, v3
	v_ffbh_u32_e32 v5, v4
	v_min_u32_e32 v5, 32, v5
	v_sub_u32_e64 v5, v5, 4 clamp
	v_lshlrev_b32_e32 v7, v5, v4
	v_lshlrev_b32_e32 v5, 23, v5
	v_lshrrev_b32_e32 v7, 4, v7
	v_add_u32_e32 v6, 0x1000000, v4
	v_sub_u32_e32 v5, v7, v5
	v_ashrrev_i32_e32 v6, 8, v6
	v_add_u32_e32 v5, 0x3c000000, v5
	v_and_or_b32 v5, v6, s2, v5
	v_cmp_ne_u32_e32 vcc, 0, v4
	v_cndmask_b32_e32 v4, 0, v5, vcc
	s_brev_b32 s2, 1
	v_and_or_b32 v3, v3, s2, v4
	v_cvt_f16_f32_e32 v3, v3
.LBB159_927:
	s_mov_b64 s[2:3], 0
.LBB159_928:
	s_andn2_b64 vcc, exec, s[2:3]
	s_cbranch_vccnz .LBB159_930
; %bb.929:
	global_load_ubyte v3, v[1:2], off
	s_movk_i32 s2, 0x7f00
	s_brev_b32 s3, 16
	s_waitcnt vmcnt(0)
	v_lshlrev_b16_e32 v4, 8, v3
	v_lshlrev_b32_e32 v3, 25, v3
	v_lshrrev_b32_e32 v5, 4, v3
	v_and_or_b32 v6, v4, s2, 0.5
	v_or_b32_e32 v5, 0x70000000, v5
	v_add_f32_e32 v6, -0.5, v6
	v_mul_f32_e32 v5, 0x7800000, v5
	v_cmp_gt_u32_e32 vcc, s3, v3
	v_bfe_i32 v4, v4, 0, 16
	v_cndmask_b32_e32 v3, v5, v6, vcc
	s_brev_b32 s2, 1
	v_and_or_b32 v3, v4, s2, v3
	v_cvt_f16_f32_e32 v3, v3
.LBB159_930:
	s_mov_b64 s[2:3], 0
	s_mov_b64 s[8:9], -1
.LBB159_931:
	s_andn2_b64 vcc, exec, s[2:3]
	s_mov_b64 s[2:3], 0
	s_cbranch_vccnz .LBB159_942
; %bb.932:
	s_cmp_gt_i32 s14, 14
	s_cbranch_scc0 .LBB159_935
; %bb.933:
	s_cmp_eq_u32 s14, 15
	s_cbranch_scc0 .LBB159_938
; %bb.934:
	global_load_ushort v3, v[1:2], off
	s_mov_b64 s[0:1], 0
	s_mov_b64 s[8:9], -1
	s_waitcnt vmcnt(0)
	v_lshlrev_b32_e32 v3, 16, v3
	v_cvt_f16_f32_e32 v3, v3
	s_branch .LBB159_939
.LBB159_935:
	s_mov_b64 s[10:11], -1
                                        ; implicit-def: $vgpr3
	s_branch .LBB159_940
.LBB159_936:
	s_or_saveexec_b64 s[8:9], s[8:9]
	v_mov_b32_e32 v3, 0x7e00
	s_xor_b64 exec, exec, s[8:9]
	s_cbranch_execz .LBB159_917
.LBB159_937:
	v_cmp_ne_u16_e32 vcc, 0, v4
	s_andn2_b64 s[2:3], s[2:3], exec
	s_and_b64 s[10:11], vcc, exec
	s_or_b64 s[2:3], s[2:3], s[10:11]
	v_mov_b32_e32 v3, v4
	s_or_b64 exec, exec, s[8:9]
	s_and_saveexec_b64 s[8:9], s[2:3]
	s_cbranch_execnz .LBB159_918
	s_branch .LBB159_919
.LBB159_938:
	s_mov_b64 s[0:1], -1
                                        ; implicit-def: $vgpr3
.LBB159_939:
	s_mov_b64 s[10:11], 0
.LBB159_940:
	s_and_b64 vcc, exec, s[10:11]
	s_cbranch_vccz .LBB159_942
; %bb.941:
	s_cmp_lg_u32 s14, 11
	s_cselect_b64 s[10:11], -1, 0
	s_andn2_b64 s[0:1], s[0:1], exec
	s_and_b64 s[10:11], s[10:11], exec
	s_mov_b64 s[2:3], -1
	s_or_b64 s[0:1], s[0:1], s[10:11]
.LBB159_942:
	v_mov_b32_e32 v4, 0
.LBB159_943:
	s_mov_b64 s[12:13], 0
.LBB159_944:
	s_and_b64 s[10:11], s[8:9], exec
	s_and_b64 s[8:9], s[12:13], exec
	s_andn2_b64 s[12:13], s[70:71], exec
	s_and_b64 s[0:1], s[0:1], exec
	s_and_b64 s[2:3], s[2:3], exec
	s_or_b64 s[12:13], s[12:13], s[0:1]
.LBB159_945:
	s_or_b64 exec, exec, s[74:75]
	s_and_b64 s[0:1], s[2:3], exec
	s_andn2_b64 s[2:3], s[70:71], exec
	s_and_b64 s[12:13], s[12:13], exec
	s_and_b64 s[10:11], s[10:11], exec
	s_and_b64 s[8:9], s[8:9], exec
	s_or_b64 s[70:71], s[2:3], s[12:13]
.LBB159_946:
	s_or_b64 exec, exec, s[68:69]
	s_andn2_b64 s[2:3], s[64:65], exec
	s_and_b64 s[12:13], s[72:73], exec
	s_or_b64 s[64:65], s[2:3], s[12:13]
	s_and_b64 s[2:3], s[0:1], exec
	s_andn2_b64 s[0:1], s[62:63], exec
	s_and_b64 s[12:13], s[70:71], exec
	s_and_b64 s[10:11], s[10:11], exec
	;; [unrolled: 1-line block ×3, first 2 shown]
	s_or_b64 s[62:63], s[0:1], s[12:13]
.LBB159_947:
	s_or_b64 exec, exec, s[66:67]
	s_andn2_b64 s[0:1], s[56:57], exec
	s_and_b64 s[12:13], s[64:65], exec
	s_or_b64 s[56:57], s[0:1], s[12:13]
	s_and_b64 s[0:1], s[10:11], exec
	s_and_b64 s[10:11], s[8:9], exec
	;; [unrolled: 1-line block ×3, first 2 shown]
	s_andn2_b64 s[2:3], s[58:59], exec
	s_and_b64 s[8:9], s[62:63], exec
	s_or_b64 s[58:59], s[2:3], s[8:9]
	s_or_b64 exec, exec, s[60:61]
	s_mov_b64 s[2:3], 0
	s_and_saveexec_b64 s[8:9], s[58:59]
	s_cbranch_execz .LBB159_282
.LBB159_948:
	s_mov_b64 s[2:3], exec
	s_andn2_b64 s[64:65], s[64:65], exec
	s_trap 2
	s_or_b64 exec, exec, s[8:9]
	s_and_saveexec_b64 s[8:9], s[64:65]
	s_xor_b64 s[8:9], exec, s[8:9]
	s_cbranch_execnz .LBB159_283
.LBB159_949:
	s_or_b64 exec, exec, s[8:9]
	s_and_saveexec_b64 s[8:9], s[10:11]
	s_cbranch_execz .LBB159_997
.LBB159_950:
	s_sext_i32_i16 s10, s79
	s_cmp_lt_i32 s10, 5
	s_cbranch_scc1 .LBB159_955
; %bb.951:
	s_cmp_lt_i32 s10, 8
	s_cbranch_scc1 .LBB159_956
; %bb.952:
	;; [unrolled: 3-line block ×3, first 2 shown]
	s_cmp_gt_i32 s10, 9
	s_cbranch_scc0 .LBB159_958
; %bb.954:
	global_load_dwordx4 v[3:6], v[1:2], off
	s_movk_i32 s10, 0x1ff
	s_movk_i32 s11, 0xffe
	v_mov_b32_e32 v7, 0x7c00
	v_mov_b32_e32 v8, 0x7e00
	s_movk_i32 s12, 0x40f
	s_mov_b32 s13, 0x8000
	s_waitcnt vmcnt(0)
	v_and_or_b32 v3, v4, s10, v3
	v_and_or_b32 v5, v6, s10, v5
	v_cmp_ne_u32_e32 vcc, 0, v3
	v_lshrrev_b32_e32 v9, 8, v4
	v_cndmask_b32_e64 v3, 0, 1, vcc
	v_cmp_ne_u32_e32 vcc, 0, v5
	v_bfe_u32 v10, v4, 20, 11
	v_lshrrev_b32_e32 v11, 8, v6
	v_bfe_u32 v12, v6, 20, 11
	v_cndmask_b32_e64 v5, 0, 1, vcc
	v_and_or_b32 v3, v9, s11, v3
	v_sub_u32_e32 v13, 0x3f1, v10
	v_add_u32_e32 v10, 0xfffffc10, v10
	v_sub_u32_e32 v14, 0x3f1, v12
	v_and_or_b32 v5, v11, s11, v5
	v_cmp_ne_u32_e32 vcc, 0, v3
	v_add_u32_e32 v12, 0xfffffc10, v12
	v_med3_i32 v9, v13, 0, 13
	v_med3_i32 v11, v14, 0, 13
	v_or_b32_e32 v13, 0x1000, v3
	v_lshl_or_b32 v14, v10, 12, v3
	v_cndmask_b32_e32 v3, v7, v8, vcc
	v_cmp_ne_u32_e32 vcc, 0, v5
	v_or_b32_e32 v15, 0x1000, v5
	v_lshl_or_b32 v16, v12, 12, v5
	v_cndmask_b32_e32 v5, v7, v8, vcc
	v_lshrrev_b32_e32 v8, v9, v13
	v_lshrrev_b32_e32 v17, v11, v15
	v_lshlrev_b32_e32 v9, v9, v8
	v_lshlrev_b32_e32 v11, v11, v17
	v_cmp_ne_u32_e32 vcc, v9, v13
	v_cndmask_b32_e64 v9, 0, 1, vcc
	v_cmp_ne_u32_e32 vcc, v11, v15
	v_cndmask_b32_e64 v11, 0, 1, vcc
	v_or_b32_e32 v8, v8, v9
	v_cmp_gt_i32_e32 vcc, 1, v10
	v_cndmask_b32_e32 v8, v14, v8, vcc
	v_or_b32_e32 v9, v17, v11
	v_cmp_gt_i32_e32 vcc, 1, v12
	v_and_b32_e32 v11, 7, v8
	v_cndmask_b32_e32 v9, v16, v9, vcc
	v_cmp_lt_i32_e32 vcc, 5, v11
	v_and_b32_e32 v13, 7, v9
	v_cndmask_b32_e64 v14, 0, 1, vcc
	v_cmp_eq_u32_e32 vcc, 3, v11
	v_cndmask_b32_e64 v11, 0, 1, vcc
	v_cmp_lt_i32_e32 vcc, 5, v13
	v_cndmask_b32_e64 v15, 0, 1, vcc
	v_cmp_eq_u32_e32 vcc, 3, v13
	v_lshrrev_b32_e32 v8, 2, v8
	v_cndmask_b32_e64 v13, 0, 1, vcc
	v_or_b32_e32 v11, v11, v14
	v_lshrrev_b32_e32 v9, 2, v9
	v_or_b32_e32 v13, v13, v15
	v_add_u32_e32 v8, v8, v11
	v_cmp_gt_i32_e32 vcc, 31, v10
	v_add_u32_e32 v9, v9, v13
	v_cndmask_b32_e32 v8, v7, v8, vcc
	v_cmp_gt_i32_e32 vcc, 31, v12
	v_cndmask_b32_e32 v7, v7, v9, vcc
	v_cmp_eq_u32_e32 vcc, s12, v10
	v_cndmask_b32_e32 v3, v8, v3, vcc
	v_cmp_eq_u32_e32 vcc, s12, v12
	v_lshrrev_b32_e32 v4, 16, v4
	v_lshrrev_b32_e32 v6, 16, v6
	v_cndmask_b32_e32 v5, v7, v5, vcc
	v_and_or_b32 v3, v4, s13, v3
	v_and_or_b32 v4, v6, s13, v5
	s_mov_b64 s[10:11], 0
	s_branch .LBB159_959
.LBB159_955:
                                        ; implicit-def: $vgpr4
                                        ; implicit-def: $vgpr3
	s_branch .LBB159_977
.LBB159_956:
                                        ; implicit-def: $vgpr4
                                        ; implicit-def: $vgpr3
	s_branch .LBB159_965
.LBB159_957:
	s_mov_b64 s[10:11], -1
                                        ; implicit-def: $vgpr4
                                        ; implicit-def: $vgpr3
	s_branch .LBB159_962
.LBB159_958:
	s_mov_b64 s[10:11], -1
                                        ; implicit-def: $vgpr4
                                        ; implicit-def: $vgpr3
.LBB159_959:
	s_andn2_b64 vcc, exec, s[10:11]
	s_cbranch_vccnz .LBB159_961
; %bb.960:
	global_load_dwordx2 v[3:4], v[1:2], off
	s_waitcnt vmcnt(0)
	v_cvt_f16_f32_e32 v3, v3
	v_cvt_f16_f32_e32 v4, v4
.LBB159_961:
	s_mov_b64 s[10:11], 0
.LBB159_962:
	s_andn2_b64 vcc, exec, s[10:11]
	s_cbranch_vccnz .LBB159_964
; %bb.963:
	global_load_dword v3, v[1:2], off
	s_waitcnt vmcnt(0)
	v_lshrrev_b32_e32 v4, 16, v3
.LBB159_964:
	s_cbranch_execnz .LBB159_976
.LBB159_965:
	s_sext_i32_i16 s10, s79
	s_cmp_lt_i32 s10, 6
	s_cbranch_scc1 .LBB159_968
; %bb.966:
	s_cmp_gt_i32 s10, 6
	s_cbranch_scc0 .LBB159_969
; %bb.967:
	global_load_dwordx2 v[3:4], v[1:2], off
	s_movk_i32 s10, 0x1ff
	s_movk_i32 s11, 0xffe
	v_mov_b32_e32 v5, 0x7c00
	v_mov_b32_e32 v6, 0x7e00
	s_movk_i32 s12, 0x40f
	s_mov_b32 s13, 0x8000
	s_waitcnt vmcnt(0)
	v_and_or_b32 v3, v4, s10, v3
	v_cmp_ne_u32_e32 vcc, 0, v3
	v_lshrrev_b32_e32 v7, 8, v4
	v_bfe_u32 v8, v4, 20, 11
	v_cndmask_b32_e64 v3, 0, 1, vcc
	v_sub_u32_e32 v9, 0x3f1, v8
	v_and_or_b32 v3, v7, s11, v3
	v_add_u32_e32 v8, 0xfffffc10, v8
	v_med3_i32 v7, v9, 0, 13
	v_or_b32_e32 v9, 0x1000, v3
	v_cmp_ne_u32_e32 vcc, 0, v3
	v_lshl_or_b32 v10, v8, 12, v3
	v_cndmask_b32_e32 v3, v5, v6, vcc
	v_lshrrev_b32_e32 v6, v7, v9
	v_lshlrev_b32_e32 v7, v7, v6
	v_cmp_ne_u32_e32 vcc, v7, v9
	v_cndmask_b32_e64 v7, 0, 1, vcc
	v_or_b32_e32 v6, v6, v7
	v_cmp_gt_i32_e32 vcc, 1, v8
	v_cndmask_b32_e32 v6, v10, v6, vcc
	v_and_b32_e32 v7, 7, v6
	v_cmp_lt_i32_e32 vcc, 5, v7
	v_cndmask_b32_e64 v9, 0, 1, vcc
	v_cmp_eq_u32_e32 vcc, 3, v7
	v_cndmask_b32_e64 v7, 0, 1, vcc
	v_lshrrev_b32_e32 v6, 2, v6
	v_or_b32_e32 v7, v7, v9
	v_add_u32_e32 v6, v6, v7
	v_cmp_gt_i32_e32 vcc, 31, v8
	v_cndmask_b32_e32 v5, v5, v6, vcc
	v_cmp_eq_u32_e32 vcc, s12, v8
	v_lshrrev_b32_e32 v4, 16, v4
	v_cndmask_b32_e32 v3, v5, v3, vcc
	v_and_or_b32 v3, v4, s13, v3
	s_mov_b64 s[10:11], 0
	s_branch .LBB159_970
.LBB159_968:
	s_mov_b64 s[10:11], -1
                                        ; implicit-def: $vgpr3
	s_branch .LBB159_973
.LBB159_969:
	s_mov_b64 s[10:11], -1
                                        ; implicit-def: $vgpr3
.LBB159_970:
	s_andn2_b64 vcc, exec, s[10:11]
	s_cbranch_vccnz .LBB159_972
; %bb.971:
	global_load_dword v3, v[1:2], off
	s_waitcnt vmcnt(0)
	v_cvt_f16_f32_e32 v3, v3
.LBB159_972:
	s_mov_b64 s[10:11], 0
.LBB159_973:
	s_andn2_b64 vcc, exec, s[10:11]
	s_cbranch_vccnz .LBB159_975
; %bb.974:
	global_load_ushort v3, v[1:2], off
.LBB159_975:
	v_mov_b32_e32 v4, 0
.LBB159_976:
	s_cbranch_execnz .LBB159_996
.LBB159_977:
	s_sext_i32_i16 s10, s79
	s_cmp_lt_i32 s10, 2
	s_cbranch_scc1 .LBB159_981
; %bb.978:
	s_cmp_lt_i32 s10, 3
	s_cbranch_scc1 .LBB159_982
; %bb.979:
	s_cmp_gt_i32 s10, 3
	s_cbranch_scc0 .LBB159_983
; %bb.980:
	global_load_dwordx2 v[3:4], v[1:2], off
	s_mov_b64 s[10:11], 0
	s_waitcnt vmcnt(0)
	v_xor_b32_e32 v6, v3, v4
	v_ffbh_i32_e32 v5, v4
	v_ashrrev_i32_e32 v6, 31, v6
	v_add_u32_e32 v5, -1, v5
	v_add_u32_e32 v6, 32, v6
	v_min_u32_e32 v5, v5, v6
	v_lshlrev_b64 v[3:4], v5, v[3:4]
	v_min_u32_e32 v3, 1, v3
	v_or_b32_e32 v3, v4, v3
	v_cvt_f32_i32_e32 v3, v3
	v_sub_u32_e32 v4, 32, v5
	v_ldexp_f32 v3, v3, v4
	v_cvt_f16_f32_e32 v3, v3
	s_branch .LBB159_984
.LBB159_981:
                                        ; implicit-def: $vgpr3
	s_branch .LBB159_990
.LBB159_982:
	s_mov_b64 s[10:11], -1
                                        ; implicit-def: $vgpr3
	s_branch .LBB159_987
.LBB159_983:
	s_mov_b64 s[10:11], -1
                                        ; implicit-def: $vgpr3
.LBB159_984:
	s_andn2_b64 vcc, exec, s[10:11]
	s_cbranch_vccnz .LBB159_986
; %bb.985:
	global_load_dword v3, v[1:2], off
	s_waitcnt vmcnt(0)
	v_cvt_f32_i32_e32 v3, v3
	v_cvt_f16_f32_e32 v3, v3
.LBB159_986:
	s_mov_b64 s[10:11], 0
.LBB159_987:
	s_andn2_b64 vcc, exec, s[10:11]
	s_cbranch_vccnz .LBB159_989
; %bb.988:
	global_load_ushort v3, v[1:2], off
	s_waitcnt vmcnt(0)
	v_cvt_f16_i16_e32 v3, v3
.LBB159_989:
	s_cbranch_execnz .LBB159_995
.LBB159_990:
	s_sext_i32_i16 s10, s79
	s_cmp_gt_i32 s10, 0
	s_cbranch_scc0 .LBB159_992
; %bb.991:
	global_load_sbyte v3, v[1:2], off
	s_mov_b64 s[10:11], 0
	s_waitcnt vmcnt(0)
	v_cvt_f16_i16_e32 v3, v3
	s_branch .LBB159_993
.LBB159_992:
	s_mov_b64 s[10:11], -1
                                        ; implicit-def: $vgpr3
.LBB159_993:
	s_andn2_b64 vcc, exec, s[10:11]
	s_cbranch_vccnz .LBB159_995
; %bb.994:
	global_load_ubyte v1, v[1:2], off
	s_waitcnt vmcnt(0)
	v_cvt_f16_u16_e32 v3, v1
.LBB159_995:
	v_mov_b32_e32 v4, 0
.LBB159_996:
	s_or_b64 s[0:1], s[0:1], exec
.LBB159_997:
	s_or_b64 exec, exec, s[8:9]
	s_mov_b64 s[14:15], 0
	s_mov_b64 s[12:13], 0
                                        ; implicit-def: $sgpr8_sgpr9
                                        ; implicit-def: $sgpr20
                                        ; implicit-def: $vgpr1_vgpr2
	s_and_saveexec_b64 s[10:11], s[0:1]
	s_cbranch_execz .LBB159_1075
; %bb.998:
	s_andn2_b64 vcc, exec, s[46:47]
	s_cbranch_vccnz .LBB159_1079
; %bb.999:
	s_waitcnt vmcnt(0)
	v_cmp_neq_f16_e32 vcc, s45, v3
	v_cmp_neq_f16_e64 s[0:1], s78, v4
	s_or_b64 s[8:9], vcc, s[0:1]
	s_cbranch_execnz .LBB159_1001
.LBB159_1000:
	s_waitcnt vmcnt(0)
	v_cmp_eq_f16_e32 vcc, s45, v3
	v_cmp_eq_f16_e64 s[0:1], s78, v4
	s_and_b64 s[0:1], vcc, s[0:1]
	s_andn2_b64 s[8:9], s[8:9], exec
	s_and_b64 s[0:1], s[0:1], exec
	s_or_b64 s[8:9], s[8:9], s[0:1]
.LBB159_1001:
	v_mov_b32_e32 v2, s25
	s_and_b32 s20, s77, 0xff
	v_add_co_u32_e32 v1, vcc, s24, v0
	s_cmp_lt_i32 s20, 11
	v_addc_co_u32_e32 v2, vcc, 0, v2, vcc
	s_cbranch_scc1 .LBB159_1078
; %bb.1002:
	s_and_b32 s21, 0xffff, s20
	s_mov_b64 s[14:15], -1
	s_cmp_gt_i32 s21, 25
	s_mov_b64 s[0:1], s[56:57]
	s_cbranch_scc0 .LBB159_1035
; %bb.1003:
	s_mov_b64 s[12:13], -1
	s_cmp_gt_i32 s21, 28
	s_mov_b64 s[0:1], s[56:57]
	s_cbranch_scc0 .LBB159_1019
; %bb.1004:
	s_cmp_gt_i32 s21, 43
	s_mov_b64 s[0:1], s[56:57]
	s_cbranch_scc0 .LBB159_1015
; %bb.1005:
	;; [unrolled: 4-line block ×3, first 2 shown]
	s_cmp_eq_u32 s21, 46
	s_mov_b64 s[0:1], -1
	s_cbranch_scc0 .LBB159_1008
; %bb.1007:
	v_cndmask_b32_e64 v0, 0, 1.0, s[8:9]
	s_waitcnt vmcnt(0)
	v_bfe_u32 v3, v0, 16, 1
	s_movk_i32 s0, 0x7fff
	v_add3_u32 v0, v0, v3, s0
	v_lshrrev_b32_e32 v0, 16, v0
	global_store_dword v[1:2], v0, off
	s_mov_b64 s[0:1], 0
.LBB159_1008:
	s_mov_b64 s[12:13], 0
.LBB159_1009:
	s_and_b64 vcc, exec, s[12:13]
	s_cbranch_vccz .LBB159_1014
; %bb.1010:
	s_cmp_eq_u32 s21, 44
	s_mov_b64 s[0:1], -1
	s_cbranch_scc0 .LBB159_1014
; %bb.1011:
	s_waitcnt vmcnt(0)
	v_cndmask_b32_e64 v3, 0, 1.0, s[8:9]
	v_lshrrev_b32_e32 v0, 23, v3
	s_movk_i32 s0, 0xff
	v_cmp_ne_u32_e32 vcc, s0, v0
	v_mov_b32_e32 v4, 0xff
	s_and_saveexec_b64 s[12:13], vcc
; %bb.1012:
	s_mov_b32 s0, 0x3fffff
	v_and_b32_e32 v4, 0x400000, v3
	v_and_or_b32 v3, v3, s0, v0
	v_cmp_ne_u32_e32 vcc, 0, v4
	v_cmp_ne_u32_e64 s[0:1], 0, v3
	s_and_b64 s[0:1], vcc, s[0:1]
	v_cndmask_b32_e64 v3, 0, 1, s[0:1]
	v_add_u32_e32 v4, v0, v3
; %bb.1013:
	s_or_b64 exec, exec, s[12:13]
	s_mov_b64 s[0:1], 0
	global_store_byte v[1:2], v4, off
.LBB159_1014:
	s_mov_b64 s[12:13], 0
.LBB159_1015:
	s_and_b64 vcc, exec, s[12:13]
	s_cbranch_vccz .LBB159_1018
; %bb.1016:
	s_cmp_eq_u32 s21, 29
	s_mov_b64 s[0:1], -1
	s_cbranch_scc0 .LBB159_1018
; %bb.1017:
	s_mov_b32 s0, 0
	s_waitcnt vmcnt(0)
	v_cndmask_b32_e64 v3, 0, 1, s[8:9]
	v_mov_b32_e32 v4, s0
	global_store_dwordx2 v[1:2], v[3:4], off
	s_mov_b64 s[0:1], 0
.LBB159_1018:
	s_mov_b64 s[12:13], 0
.LBB159_1019:
	s_and_b64 vcc, exec, s[12:13]
	s_cbranch_vccz .LBB159_1034
; %bb.1020:
	s_cmp_lt_i32 s21, 27
	s_mov_b64 s[12:13], -1
	s_cbranch_scc1 .LBB159_1026
; %bb.1021:
	s_cmp_gt_i32 s21, 27
	s_cbranch_scc0 .LBB159_1023
; %bb.1022:
	v_cndmask_b32_e64 v0, 0, 1, s[8:9]
	s_mov_b64 s[12:13], 0
	global_store_dword v[1:2], v0, off
.LBB159_1023:
	s_andn2_b64 vcc, exec, s[12:13]
	s_cbranch_vccnz .LBB159_1025
; %bb.1024:
	v_cndmask_b32_e64 v0, 0, 1, s[8:9]
	global_store_short v[1:2], v0, off
.LBB159_1025:
	s_mov_b64 s[12:13], 0
.LBB159_1026:
	s_andn2_b64 vcc, exec, s[12:13]
	s_cbranch_vccnz .LBB159_1034
; %bb.1027:
	s_waitcnt vmcnt(0)
	v_cndmask_b32_e64 v3, 0, 1.0, s[8:9]
	s_mov_b32 s12, 0x43800000
	v_cmp_gt_u32_e32 vcc, s12, v3
	v_mov_b32_e32 v4, 0x80
	s_and_saveexec_b64 s[12:13], vcc
	s_cbranch_execz .LBB159_1033
; %bb.1028:
	s_mov_b32 s14, 0x3bffffff
	v_cmp_lt_u32_e32 vcc, s14, v3
	s_mov_b64 s[14:15], 0
                                        ; implicit-def: $vgpr0
	s_and_saveexec_b64 s[16:17], vcc
	s_xor_b64 s[16:17], exec, s[16:17]
	s_cbranch_execz .LBB159_1192
; %bb.1029:
	v_bfe_u32 v0, v3, 20, 1
	s_mov_b32 s18, 0x487ffff
	v_add3_u32 v0, v3, v0, s18
	s_mov_b64 s[14:15], exec
	v_lshrrev_b32_e32 v0, 20, v0
                                        ; implicit-def: $vgpr3
	s_andn2_saveexec_b64 s[16:17], s[16:17]
	s_cbranch_execnz .LBB159_1193
.LBB159_1030:
	s_or_b64 exec, exec, s[16:17]
	v_mov_b32_e32 v4, 0
	s_and_saveexec_b64 s[16:17], s[14:15]
.LBB159_1031:
	v_mov_b32_e32 v4, v0
.LBB159_1032:
	s_or_b64 exec, exec, s[16:17]
.LBB159_1033:
	s_or_b64 exec, exec, s[12:13]
	global_store_byte v[1:2], v4, off
.LBB159_1034:
	s_mov_b64 s[14:15], 0
.LBB159_1035:
	s_mov_b64 s[12:13], 0
	s_and_b64 vcc, exec, s[14:15]
	s_cbranch_vccz .LBB159_1080
; %bb.1036:
	s_cmp_gt_i32 s21, 22
	s_mov_b64 s[14:15], -1
	s_cbranch_scc0 .LBB159_1068
; %bb.1037:
	s_cmp_lt_i32 s21, 24
	s_cbranch_scc1 .LBB159_1057
; %bb.1038:
	s_cmp_gt_i32 s21, 24
	s_cbranch_scc0 .LBB159_1046
; %bb.1039:
	s_waitcnt vmcnt(0)
	v_cndmask_b32_e64 v3, 0, 1.0, s[8:9]
	s_mov_b32 s14, 0x47800000
	v_cmp_gt_u32_e32 vcc, s14, v3
	v_mov_b32_e32 v4, 0x80
	s_and_saveexec_b64 s[14:15], vcc
	s_cbranch_execz .LBB159_1045
; %bb.1040:
	s_mov_b32 s16, 0x37ffffff
	v_cmp_lt_u32_e32 vcc, s16, v3
	s_mov_b64 s[16:17], 0
                                        ; implicit-def: $vgpr0
	s_and_saveexec_b64 s[18:19], vcc
	s_xor_b64 s[18:19], exec, s[18:19]
	s_cbranch_execz .LBB159_1326
; %bb.1041:
	v_bfe_u32 v0, v3, 21, 1
	s_mov_b32 s22, 0x88fffff
	v_add3_u32 v0, v3, v0, s22
	s_mov_b64 s[16:17], exec
	v_lshrrev_b32_e32 v0, 21, v0
                                        ; implicit-def: $vgpr3
	s_andn2_saveexec_b64 s[18:19], s[18:19]
	s_cbranch_execnz .LBB159_1327
.LBB159_1042:
	s_or_b64 exec, exec, s[18:19]
	v_mov_b32_e32 v4, 0
	s_and_saveexec_b64 s[18:19], s[16:17]
.LBB159_1043:
	v_mov_b32_e32 v4, v0
.LBB159_1044:
	s_or_b64 exec, exec, s[18:19]
.LBB159_1045:
	s_or_b64 exec, exec, s[14:15]
	s_mov_b64 s[14:15], 0
	global_store_byte v[1:2], v4, off
.LBB159_1046:
	s_and_b64 vcc, exec, s[14:15]
	s_cbranch_vccz .LBB159_1056
; %bb.1047:
	v_cndmask_b32_e64 v0, 0, 1.0, s[8:9]
	s_mov_b32 s14, 0x43f00000
	v_cmp_gt_u32_e32 vcc, s14, v0
                                        ; implicit-def: $vgpr3
	s_and_saveexec_b64 s[14:15], vcc
	s_xor_b64 s[14:15], exec, s[14:15]
	s_cbranch_execz .LBB159_1053
; %bb.1048:
	s_mov_b32 s16, 0x3c7fffff
	v_cmp_lt_u32_e32 vcc, s16, v0
                                        ; implicit-def: $vgpr3
	s_and_saveexec_b64 s[16:17], vcc
	s_xor_b64 s[16:17], exec, s[16:17]
	s_cbranch_execz .LBB159_1050
; %bb.1049:
	s_waitcnt vmcnt(0)
	v_bfe_u32 v3, v0, 20, 1
	s_mov_b32 s18, 0x407ffff
	v_add3_u32 v0, v0, v3, s18
	v_lshrrev_b32_e32 v3, 20, v0
	v_and_b32_e32 v0, 0xff00000, v0
	s_mov_b32 s18, 0x7f00000
	v_mov_b32_e32 v4, 0x7e
	v_cmp_ne_u32_e32 vcc, s18, v0
	v_cndmask_b32_e32 v3, v4, v3, vcc
                                        ; implicit-def: $vgpr0
.LBB159_1050:
	s_andn2_saveexec_b64 s[16:17], s[16:17]
	s_cbranch_execz .LBB159_1052
; %bb.1051:
	s_waitcnt vmcnt(0)
	v_add_f32_e32 v3, 0x46800000, v0
.LBB159_1052:
	s_or_b64 exec, exec, s[16:17]
                                        ; implicit-def: $vgpr0
.LBB159_1053:
	s_andn2_saveexec_b64 s[14:15], s[14:15]
	s_cbranch_execz .LBB159_1055
; %bb.1054:
	s_mov_b32 s16, 0x7f800000
	s_waitcnt vmcnt(0)
	v_mov_b32_e32 v3, 0x7e
	v_mov_b32_e32 v4, 0x7f
	v_cmp_lt_u32_e32 vcc, s16, v0
	v_cndmask_b32_e32 v3, v3, v4, vcc
.LBB159_1055:
	s_or_b64 exec, exec, s[14:15]
	s_waitcnt vmcnt(0)
	global_store_byte v[1:2], v3, off
.LBB159_1056:
	s_mov_b64 s[14:15], 0
.LBB159_1057:
	s_andn2_b64 vcc, exec, s[14:15]
	s_cbranch_vccnz .LBB159_1067
; %bb.1058:
	v_cndmask_b32_e64 v0, 0, 1.0, s[8:9]
	s_mov_b32 s14, 0x47800000
	v_cmp_gt_u32_e32 vcc, s14, v0
                                        ; implicit-def: $vgpr3
	s_and_saveexec_b64 s[14:15], vcc
	s_xor_b64 s[14:15], exec, s[14:15]
	s_cbranch_execz .LBB159_1064
; %bb.1059:
	s_mov_b32 s16, 0x387fffff
	v_cmp_lt_u32_e32 vcc, s16, v0
                                        ; implicit-def: $vgpr3
	s_and_saveexec_b64 s[16:17], vcc
	s_xor_b64 s[16:17], exec, s[16:17]
	s_cbranch_execz .LBB159_1061
; %bb.1060:
	s_waitcnt vmcnt(0)
	v_bfe_u32 v3, v0, 21, 1
	s_mov_b32 s18, 0x80fffff
	v_add3_u32 v0, v0, v3, s18
	v_lshrrev_b32_e32 v3, 21, v0
                                        ; implicit-def: $vgpr0
.LBB159_1061:
	s_andn2_saveexec_b64 s[16:17], s[16:17]
	s_cbranch_execz .LBB159_1063
; %bb.1062:
	s_waitcnt vmcnt(0)
	v_add_f32_e32 v3, 0x43000000, v0
.LBB159_1063:
	s_or_b64 exec, exec, s[16:17]
                                        ; implicit-def: $vgpr0
.LBB159_1064:
	s_andn2_saveexec_b64 s[14:15], s[14:15]
	s_cbranch_execz .LBB159_1066
; %bb.1065:
	s_mov_b32 s16, 0x7f800000
	s_waitcnt vmcnt(0)
	v_mov_b32_e32 v3, 0x7c
	v_mov_b32_e32 v4, 0x7f
	v_cmp_lt_u32_e32 vcc, s16, v0
	v_cndmask_b32_e32 v3, v3, v4, vcc
.LBB159_1066:
	s_or_b64 exec, exec, s[14:15]
	s_waitcnt vmcnt(0)
	global_store_byte v[1:2], v3, off
.LBB159_1067:
	s_mov_b64 s[14:15], 0
.LBB159_1068:
	s_andn2_b64 vcc, exec, s[14:15]
	s_mov_b64 s[14:15], 0
	s_cbranch_vccnz .LBB159_1081
; %bb.1069:
	s_cmp_gt_i32 s21, 14
	s_mov_b64 s[16:17], -1
	s_cbranch_scc0 .LBB159_1073
; %bb.1070:
	s_cmp_eq_u32 s21, 15
	s_mov_b64 s[0:1], -1
	s_cbranch_scc0 .LBB159_1072
; %bb.1071:
	v_cndmask_b32_e64 v0, 0, 1.0, s[8:9]
	s_waitcnt vmcnt(0)
	v_bfe_u32 v3, v0, 16, 1
	s_movk_i32 s0, 0x7fff
	v_add3_u32 v0, v0, v3, s0
	global_store_short_d16_hi v[1:2], v0, off
	s_mov_b64 s[0:1], 0
.LBB159_1072:
	s_mov_b64 s[16:17], 0
.LBB159_1073:
	s_and_b64 vcc, exec, s[16:17]
	s_cbranch_vccz .LBB159_1081
; %bb.1074:
	s_cmp_lg_u32 s21, 11
	s_cselect_b64 s[16:17], -1, 0
	s_andn2_b64 s[0:1], s[0:1], exec
	s_and_b64 s[16:17], s[16:17], exec
	s_mov_b64 s[14:15], -1
	s_or_b64 s[0:1], s[0:1], s[16:17]
	s_branch .LBB159_1081
.LBB159_1075:
	s_or_b64 exec, exec, s[10:11]
	s_and_saveexec_b64 s[0:1], s[56:57]
	s_cbranch_execnz .LBB159_1082
.LBB159_1076:
	s_or_b64 exec, exec, s[0:1]
	s_and_saveexec_b64 s[0:1], s[14:15]
	s_xor_b64 s[0:1], exec, s[0:1]
	s_cbranch_execz .LBB159_1083
.LBB159_1077:
	v_cndmask_b32_e64 v0, 0, 1, s[8:9]
	global_store_byte v[1:2], v0, off
	s_or_b64 exec, exec, s[0:1]
	s_and_saveexec_b64 s[0:1], s[12:13]
	s_xor_b64 s[0:1], exec, s[0:1]
	s_cbranch_execz .LBB159_1121
	s_branch .LBB159_1084
.LBB159_1078:
	s_mov_b64 s[12:13], -1
	s_mov_b64 s[0:1], s[56:57]
	s_branch .LBB159_1081
.LBB159_1079:
                                        ; implicit-def: $sgpr8_sgpr9
	s_branch .LBB159_1000
.LBB159_1080:
	s_mov_b64 s[14:15], 0
.LBB159_1081:
	s_andn2_b64 s[16:17], s[56:57], exec
	s_and_b64 s[0:1], s[0:1], exec
	s_and_b64 s[12:13], s[12:13], exec
	;; [unrolled: 1-line block ×3, first 2 shown]
	s_or_b64 s[56:57], s[16:17], s[0:1]
	s_or_b64 exec, exec, s[10:11]
	s_and_saveexec_b64 s[0:1], s[56:57]
	s_cbranch_execz .LBB159_1076
.LBB159_1082:
	s_or_b64 s[2:3], s[2:3], exec
	s_andn2_b64 s[14:15], s[14:15], exec
	s_trap 2
	s_or_b64 exec, exec, s[0:1]
	s_and_saveexec_b64 s[0:1], s[14:15]
	s_xor_b64 s[0:1], exec, s[0:1]
	s_cbranch_execnz .LBB159_1077
.LBB159_1083:
	s_or_b64 exec, exec, s[0:1]
	s_and_saveexec_b64 s[0:1], s[12:13]
	s_xor_b64 s[0:1], exec, s[0:1]
	s_cbranch_execz .LBB159_1121
.LBB159_1084:
	s_sext_i32_i16 s12, s20
	s_cmp_lt_i32 s12, 5
	s_mov_b64 s[10:11], -1
	s_cbranch_scc1 .LBB159_1105
; %bb.1085:
	s_cmp_lt_i32 s12, 8
	s_cbranch_scc1 .LBB159_1095
; %bb.1086:
	s_cmp_lt_i32 s12, 9
	s_cbranch_scc1 .LBB159_1092
; %bb.1087:
	s_cmp_gt_i32 s12, 9
	s_cbranch_scc0 .LBB159_1089
; %bb.1088:
	v_cndmask_b32_e64 v0, 0, 1, s[8:9]
	s_waitcnt vmcnt(0)
	v_cvt_f64_u32_e32 v[3:4], v0
	v_mov_b32_e32 v5, 0
	v_mov_b32_e32 v6, v5
	s_mov_b64 s[10:11], 0
	global_store_dwordx4 v[1:2], v[3:6], off
.LBB159_1089:
	s_andn2_b64 vcc, exec, s[10:11]
	s_cbranch_vccnz .LBB159_1091
; %bb.1090:
	s_waitcnt vmcnt(0)
	v_cndmask_b32_e64 v3, 0, 1.0, s[8:9]
	v_mov_b32_e32 v4, 0
	global_store_dwordx2 v[1:2], v[3:4], off
.LBB159_1091:
	s_mov_b64 s[10:11], 0
.LBB159_1092:
	s_andn2_b64 vcc, exec, s[10:11]
	s_cbranch_vccnz .LBB159_1094
; %bb.1093:
	v_cndmask_b32_e64 v0, 0, 1.0, s[8:9]
	v_cvt_f16_f32_e32 v0, v0
	global_store_dword v[1:2], v0, off
.LBB159_1094:
	s_mov_b64 s[10:11], 0
.LBB159_1095:
	s_andn2_b64 vcc, exec, s[10:11]
	s_cbranch_vccnz .LBB159_1104
; %bb.1096:
	s_sext_i32_i16 s12, s20
	s_cmp_lt_i32 s12, 6
	s_mov_b64 s[10:11], -1
	s_cbranch_scc1 .LBB159_1102
; %bb.1097:
	s_cmp_gt_i32 s12, 6
	s_cbranch_scc0 .LBB159_1099
; %bb.1098:
	v_cndmask_b32_e64 v0, 0, 1, s[8:9]
	s_waitcnt vmcnt(0)
	v_cvt_f64_u32_e32 v[3:4], v0
	s_mov_b64 s[10:11], 0
	global_store_dwordx2 v[1:2], v[3:4], off
.LBB159_1099:
	s_andn2_b64 vcc, exec, s[10:11]
	s_cbranch_vccnz .LBB159_1101
; %bb.1100:
	v_cndmask_b32_e64 v0, 0, 1.0, s[8:9]
	global_store_dword v[1:2], v0, off
.LBB159_1101:
	s_mov_b64 s[10:11], 0
.LBB159_1102:
	s_andn2_b64 vcc, exec, s[10:11]
	s_cbranch_vccnz .LBB159_1104
; %bb.1103:
	v_cndmask_b32_e64 v0, 0, 1.0, s[8:9]
	v_cvt_f16_f32_e32 v0, v0
	global_store_short v[1:2], v0, off
.LBB159_1104:
	s_mov_b64 s[10:11], 0
.LBB159_1105:
	s_andn2_b64 vcc, exec, s[10:11]
	s_cbranch_vccnz .LBB159_1121
; %bb.1106:
	s_sext_i32_i16 s12, s20
	s_cmp_lt_i32 s12, 2
	s_mov_b64 s[10:11], -1
	s_cbranch_scc1 .LBB159_1116
; %bb.1107:
	s_cmp_lt_i32 s12, 3
	s_cbranch_scc1 .LBB159_1113
; %bb.1108:
	s_cmp_gt_i32 s12, 3
	s_cbranch_scc0 .LBB159_1110
; %bb.1109:
	s_mov_b32 s10, 0
	s_waitcnt vmcnt(0)
	v_cndmask_b32_e64 v3, 0, 1, s[8:9]
	v_mov_b32_e32 v4, s10
	s_mov_b64 s[10:11], 0
	global_store_dwordx2 v[1:2], v[3:4], off
.LBB159_1110:
	s_andn2_b64 vcc, exec, s[10:11]
	s_cbranch_vccnz .LBB159_1112
; %bb.1111:
	v_cndmask_b32_e64 v0, 0, 1, s[8:9]
	global_store_dword v[1:2], v0, off
.LBB159_1112:
	s_mov_b64 s[10:11], 0
.LBB159_1113:
	s_andn2_b64 vcc, exec, s[10:11]
	s_cbranch_vccnz .LBB159_1115
; %bb.1114:
	v_cndmask_b32_e64 v0, 0, 1, s[8:9]
	global_store_short v[1:2], v0, off
.LBB159_1115:
	s_mov_b64 s[10:11], 0
.LBB159_1116:
	s_andn2_b64 vcc, exec, s[10:11]
	s_cbranch_vccnz .LBB159_1121
; %bb.1117:
	s_sext_i32_i16 s10, s20
	s_cmp_gt_i32 s10, 0
	s_mov_b64 s[10:11], -1
	s_cbranch_scc0 .LBB159_1119
; %bb.1118:
	v_cndmask_b32_e64 v0, 0, 1, s[8:9]
	s_mov_b64 s[10:11], 0
	global_store_byte v[1:2], v0, off
.LBB159_1119:
	s_andn2_b64 vcc, exec, s[10:11]
	s_cbranch_vccnz .LBB159_1121
; %bb.1120:
	v_cndmask_b32_e64 v0, 0, 1, s[8:9]
	global_store_byte v[1:2], v0, off
.LBB159_1121:
	s_or_b64 exec, exec, s[0:1]
	s_and_b64 s[28:29], s[2:3], exec
                                        ; implicit-def: $vgpr15
                                        ; implicit-def: $vgpr8
.LBB159_1122:
	s_or_saveexec_b64 s[30:31], s[42:43]
	s_mov_b64 s[0:1], 0
                                        ; implicit-def: $sgpr10_sgpr11
                                        ; implicit-def: $vgpr0_vgpr1
                                        ; implicit-def: $sgpr22
	s_xor_b64 exec, exec, s[30:31]
	s_cbranch_execz .LBB159_1728
; %bb.1123:
	v_cndmask_b32_e64 v0, 0, 1, s[40:41]
	v_cmp_ne_u32_e64 s[0:1], 1, v0
	s_andn2_b64 vcc, exec, s[40:41]
	s_cbranch_vccnz .LBB159_1129
; %bb.1124:
	s_cmp_lg_u32 s33, 0
	s_mov_b32 s36, 0
	s_cbranch_scc0 .LBB159_1130
; %bb.1125:
	s_min_u32 s37, s76, 15
	s_add_i32 s37, s37, 1
	s_cmp_eq_u32 s76, 2
	s_cbranch_scc1 .LBB159_1131
; %bb.1126:
	s_and_b32 s36, s37, 28
	s_add_u32 s2, s34, 0xc4
	s_addc_u32 s3, s35, 0
	v_mov_b32_e32 v13, 0
	s_mov_b32 s38, 0
	s_mov_b64 s[6:7], s[34:35]
	v_mov_b32_e32 v6, 0
	v_mov_b32_e32 v0, v8
.LBB159_1127:                           ; =>This Inner Loop Header: Depth=1
	s_load_dwordx8 s[16:23], s[6:7], 0x4
	s_load_dwordx4 s[24:27], s[6:7], 0x24
	s_load_dwordx8 s[8:15], s[2:3], 0x0
	s_add_u32 s6, s6, 48
	s_addc_u32 s7, s7, 0
	s_waitcnt lgkmcnt(0)
	v_mul_hi_u32 v1, s17, v0
	s_add_i32 s38, s38, 4
	s_add_u32 s2, s2, 32
	s_addc_u32 s3, s3, 0
	v_add_u32_e32 v1, v0, v1
	v_lshrrev_b32_e32 v1, s18, v1
	v_mul_lo_u32 v2, v1, s16
	s_waitcnt vmcnt(0)
	v_mul_hi_u32 v3, s20, v1
	s_cmp_lg_u32 s36, s38
	v_sub_u32_e32 v0, v0, v2
	v_add_u32_e32 v2, v1, v3
	v_mul_lo_u32 v3, v0, s8
	v_mul_lo_u32 v4, v0, s9
	v_lshrrev_b32_e32 v0, s21, v2
	v_mul_lo_u32 v2, v0, s19
	v_mul_hi_u32 v5, s23, v0
	v_sub_u32_e32 v1, v1, v2
	v_add_u32_e32 v2, v0, v5
	v_lshrrev_b32_e32 v2, s24, v2
	v_mul_hi_u32 v7, s26, v2
	v_mul_lo_u32 v9, v2, s22
	v_mul_lo_u32 v5, v1, s10
	;; [unrolled: 1-line block ×3, first 2 shown]
	v_sub_u32_e32 v9, v0, v9
	v_add_u32_e32 v0, v2, v7
	v_lshrrev_b32_e32 v0, s27, v0
	v_mul_lo_u32 v7, v0, s25
	v_mul_lo_u32 v10, v9, s12
	;; [unrolled: 1-line block ×3, first 2 shown]
	v_add3_u32 v3, v3, v6, v5
	v_sub_u32_e32 v2, v2, v7
	v_mul_lo_u32 v7, v2, s14
	v_mul_lo_u32 v2, v2, s15
	v_add3_u32 v1, v4, v13, v1
	v_add3_u32 v6, v10, v3, v7
	;; [unrolled: 1-line block ×3, first 2 shown]
	s_cbranch_scc1 .LBB159_1127
; %bb.1128:
	s_and_b32 s8, s37, 3
	s_cmp_eq_u32 s8, 0
	s_cbranch_scc0 .LBB159_1132
	s_branch .LBB159_1134
.LBB159_1129:
                                        ; implicit-def: $vgpr6
                                        ; implicit-def: $vgpr13
	s_branch .LBB159_1135
.LBB159_1130:
	v_mov_b32_e32 v6, 0
	v_mov_b32_e32 v13, 0
	s_branch .LBB159_1134
.LBB159_1131:
	v_mov_b32_e32 v6, 0
	v_mov_b32_e32 v13, 0
	;; [unrolled: 1-line block ×3, first 2 shown]
	s_and_b32 s8, s37, 3
	s_cmp_eq_u32 s8, 0
	s_cbranch_scc1 .LBB159_1134
.LBB159_1132:
	s_lshl_b32 s2, s36, 3
	s_add_u32 s2, s34, s2
	s_addc_u32 s3, s35, 0
	s_add_u32 s2, s2, 0xc4
	s_addc_u32 s3, s3, 0
	s_mul_i32 s6, s36, 12
	s_add_u32 s6, s34, s6
	s_addc_u32 s7, s35, 0
.LBB159_1133:                           ; =>This Inner Loop Header: Depth=1
	s_load_dwordx2 s[10:11], s[6:7], 0x4
	s_load_dword s9, s[6:7], 0xc
	s_load_dwordx2 s[12:13], s[2:3], 0x0
	s_add_u32 s6, s6, 12
	s_addc_u32 s7, s7, 0
	s_waitcnt lgkmcnt(0)
	v_mul_hi_u32 v1, s11, v0
	s_add_u32 s2, s2, 8
	s_addc_u32 s3, s3, 0
	s_add_i32 s8, s8, -1
	v_add_u32_e32 v1, v0, v1
	v_lshrrev_b32_e32 v1, s9, v1
	v_mul_lo_u32 v2, v1, s10
	s_cmp_lg_u32 s8, 0
	v_sub_u32_e32 v0, v0, v2
	v_mad_u64_u32 v[6:7], s[10:11], v0, s12, v[6:7]
	v_mad_u64_u32 v[13:14], s[10:11], v0, s13, v[13:14]
	v_mov_b32_e32 v0, v1
	s_cbranch_scc1 .LBB159_1133
.LBB159_1134:
	s_cbranch_execnz .LBB159_1137
.LBB159_1135:
	s_load_dwordx4 s[8:11], s[34:35], 0x4
	s_load_dwordx2 s[2:3], s[34:35], 0xc4
	s_cmp_lt_u32 s33, 2
	s_waitcnt lgkmcnt(0)
	v_mul_hi_u32 v0, s9, v8
	v_add_u32_e32 v0, v8, v0
	v_lshrrev_b32_e32 v0, s10, v0
	v_mul_lo_u32 v1, v0, s8
	v_sub_u32_e32 v1, v8, v1
	v_mul_lo_u32 v6, v1, s2
	v_mul_lo_u32 v13, v1, s3
	s_cbranch_scc1 .LBB159_1137
; %bb.1136:
	s_load_dwordx4 s[8:11], s[34:35], 0x10
	s_load_dwordx2 s[2:3], s[34:35], 0xcc
	s_waitcnt lgkmcnt(0)
	v_mul_hi_u32 v1, s9, v0
	v_add_u32_e32 v1, v0, v1
	v_lshrrev_b32_e32 v1, s10, v1
	v_mul_lo_u32 v1, v1, s8
	v_sub_u32_e32 v0, v0, v1
	v_mad_u64_u32 v[6:7], s[6:7], v0, s2, v[6:7]
	v_mad_u64_u32 v[13:14], s[2:3], v0, s3, v[13:14]
.LBB159_1137:
	s_and_b64 vcc, exec, s[0:1]
	v_add_u32_e32 v0, 0x80, v8
	s_cbranch_vccnz .LBB159_1143
; %bb.1138:
	s_cmp_lg_u32 s33, 0
	s_mov_b32 s36, 0
	s_cbranch_scc0 .LBB159_1144
; %bb.1139:
	s_min_u32 s37, s76, 15
	s_add_i32 s37, s37, 1
	s_cmp_eq_u32 s76, 2
	s_cbranch_scc1 .LBB159_1145
; %bb.1140:
	s_and_b32 s36, s37, 28
	s_add_u32 s2, s34, 0xc4
	s_addc_u32 s3, s35, 0
	v_mov_b32_e32 v11, 0
	s_mov_b32 s38, 0
	s_mov_b64 s[6:7], s[34:35]
	v_mov_b32_e32 v4, 0
	v_mov_b32_e32 v1, v0
.LBB159_1141:                           ; =>This Inner Loop Header: Depth=1
	s_load_dwordx8 s[16:23], s[6:7], 0x4
	s_load_dwordx4 s[24:27], s[6:7], 0x24
	s_load_dwordx8 s[8:15], s[2:3], 0x0
	s_add_u32 s6, s6, 48
	s_addc_u32 s7, s7, 0
	s_waitcnt lgkmcnt(0)
	v_mul_hi_u32 v2, s17, v1
	s_add_i32 s38, s38, 4
	s_add_u32 s2, s2, 32
	s_addc_u32 s3, s3, 0
	v_add_u32_e32 v2, v1, v2
	v_lshrrev_b32_e32 v2, s18, v2
	s_waitcnt vmcnt(0)
	v_mul_lo_u32 v3, v2, s16
	v_mul_hi_u32 v5, s20, v2
	s_cmp_lg_u32 s36, s38
	v_sub_u32_e32 v1, v1, v3
	v_add_u32_e32 v3, v2, v5
	v_mul_lo_u32 v5, v1, s8
	v_mul_lo_u32 v7, v1, s9
	v_lshrrev_b32_e32 v1, s21, v3
	v_mul_lo_u32 v3, v1, s19
	v_mul_hi_u32 v9, s23, v1
	v_sub_u32_e32 v2, v2, v3
	v_add_u32_e32 v3, v1, v9
	v_lshrrev_b32_e32 v3, s24, v3
	v_mul_hi_u32 v10, s26, v3
	v_mul_lo_u32 v12, v3, s22
	v_mul_lo_u32 v9, v2, s10
	;; [unrolled: 1-line block ×3, first 2 shown]
	v_sub_u32_e32 v12, v1, v12
	v_add_u32_e32 v1, v3, v10
	v_lshrrev_b32_e32 v1, s27, v1
	v_mul_lo_u32 v10, v1, s25
	v_mul_lo_u32 v14, v12, s12
	;; [unrolled: 1-line block ×3, first 2 shown]
	v_add3_u32 v4, v5, v4, v9
	v_sub_u32_e32 v3, v3, v10
	v_mul_lo_u32 v10, v3, s14
	v_mul_lo_u32 v3, v3, s15
	v_add3_u32 v2, v7, v11, v2
	v_add3_u32 v4, v14, v4, v10
	v_add3_u32 v11, v12, v2, v3
	s_cbranch_scc1 .LBB159_1141
; %bb.1142:
	s_and_b32 s8, s37, 3
	s_cmp_eq_u32 s8, 0
	s_cbranch_scc0 .LBB159_1146
	s_branch .LBB159_1148
.LBB159_1143:
                                        ; implicit-def: $vgpr4
                                        ; implicit-def: $vgpr11
	s_branch .LBB159_1149
.LBB159_1144:
	v_mov_b32_e32 v4, 0
	v_mov_b32_e32 v11, 0
	s_branch .LBB159_1148
.LBB159_1145:
	v_mov_b32_e32 v4, 0
	v_mov_b32_e32 v11, 0
	v_mov_b32_e32 v1, v0
	s_and_b32 s8, s37, 3
	s_cmp_eq_u32 s8, 0
	s_cbranch_scc1 .LBB159_1148
.LBB159_1146:
	s_lshl_b32 s2, s36, 3
	s_add_u32 s2, s34, s2
	s_addc_u32 s3, s35, 0
	s_add_u32 s2, s2, 0xc4
	s_addc_u32 s3, s3, 0
	s_mul_i32 s6, s36, 12
	s_add_u32 s6, s34, s6
	s_addc_u32 s7, s35, 0
.LBB159_1147:                           ; =>This Inner Loop Header: Depth=1
	s_load_dwordx2 s[10:11], s[6:7], 0x4
	s_load_dword s9, s[6:7], 0xc
	s_load_dwordx2 s[12:13], s[2:3], 0x0
	s_add_u32 s6, s6, 12
	s_addc_u32 s7, s7, 0
	s_waitcnt lgkmcnt(0)
	v_mul_hi_u32 v2, s11, v1
	s_add_u32 s2, s2, 8
	s_addc_u32 s3, s3, 0
	s_add_i32 s8, s8, -1
	v_add_u32_e32 v2, v1, v2
	v_lshrrev_b32_e32 v2, s9, v2
	s_waitcnt vmcnt(0)
	v_mul_lo_u32 v3, v2, s10
	s_cmp_lg_u32 s8, 0
	v_sub_u32_e32 v1, v1, v3
	v_mad_u64_u32 v[4:5], s[10:11], v1, s12, v[4:5]
	v_mad_u64_u32 v[11:12], s[10:11], v1, s13, v[11:12]
	v_mov_b32_e32 v1, v2
	s_cbranch_scc1 .LBB159_1147
.LBB159_1148:
	s_cbranch_execnz .LBB159_1151
.LBB159_1149:
	s_load_dwordx4 s[8:11], s[34:35], 0x4
	s_load_dwordx2 s[2:3], s[34:35], 0xc4
	s_cmp_lt_u32 s33, 2
	s_waitcnt lgkmcnt(0)
	v_mul_hi_u32 v1, s9, v0
	v_add_u32_e32 v1, v0, v1
	v_lshrrev_b32_e32 v1, s10, v1
	v_mul_lo_u32 v2, v1, s8
	v_sub_u32_e32 v0, v0, v2
	v_mul_lo_u32 v4, v0, s2
	v_mul_lo_u32 v11, v0, s3
	s_cbranch_scc1 .LBB159_1151
; %bb.1150:
	s_load_dwordx4 s[8:11], s[34:35], 0x10
	s_load_dwordx2 s[2:3], s[34:35], 0xcc
	s_waitcnt lgkmcnt(0)
	v_mul_hi_u32 v0, s9, v1
	v_add_u32_e32 v0, v1, v0
	v_lshrrev_b32_e32 v0, s10, v0
	v_mul_lo_u32 v0, v0, s8
	v_sub_u32_e32 v0, v1, v0
	v_mad_u64_u32 v[4:5], s[6:7], v0, s2, v[4:5]
	v_mad_u64_u32 v[11:12], s[2:3], v0, s3, v[11:12]
.LBB159_1151:
	s_and_b64 vcc, exec, s[0:1]
	v_add_u32_e32 v0, 0x100, v8
	s_cbranch_vccnz .LBB159_1157
; %bb.1152:
	s_cmp_lg_u32 s33, 0
	s_mov_b32 s36, 0
	s_cbranch_scc0 .LBB159_1158
; %bb.1153:
	s_min_u32 s37, s76, 15
	s_add_i32 s37, s37, 1
	s_cmp_eq_u32 s76, 2
	s_cbranch_scc1 .LBB159_1159
; %bb.1154:
	s_and_b32 s36, s37, 28
	s_add_u32 s2, s34, 0xc4
	s_addc_u32 s3, s35, 0
	v_mov_b32_e32 v9, 0
	s_mov_b32 s38, 0
	s_mov_b64 s[6:7], s[34:35]
	v_mov_b32_e32 v2, 0
	v_mov_b32_e32 v1, v0
.LBB159_1155:                           ; =>This Inner Loop Header: Depth=1
	s_load_dwordx8 s[16:23], s[6:7], 0x4
	s_load_dwordx4 s[24:27], s[6:7], 0x24
	s_load_dwordx8 s[8:15], s[2:3], 0x0
	s_add_u32 s6, s6, 48
	s_addc_u32 s7, s7, 0
	s_waitcnt vmcnt(0) lgkmcnt(0)
	v_mul_hi_u32 v3, s17, v1
	s_add_i32 s38, s38, 4
	s_add_u32 s2, s2, 32
	s_addc_u32 s3, s3, 0
	v_add_u32_e32 v3, v1, v3
	v_lshrrev_b32_e32 v3, s18, v3
	v_mul_lo_u32 v5, v3, s16
	v_mul_hi_u32 v7, s20, v3
	s_cmp_lg_u32 s36, s38
	v_sub_u32_e32 v1, v1, v5
	v_add_u32_e32 v5, v3, v7
	v_mul_lo_u32 v7, v1, s8
	v_mul_lo_u32 v8, v1, s9
	v_lshrrev_b32_e32 v1, s21, v5
	v_mul_lo_u32 v5, v1, s19
	v_mul_hi_u32 v10, s23, v1
	v_sub_u32_e32 v3, v3, v5
	v_add_u32_e32 v5, v1, v10
	v_lshrrev_b32_e32 v5, s24, v5
	v_mul_hi_u32 v12, s26, v5
	v_mul_lo_u32 v14, v5, s22
	v_mul_lo_u32 v10, v3, s10
	v_mul_lo_u32 v3, v3, s11
	v_sub_u32_e32 v14, v1, v14
	v_add_u32_e32 v1, v5, v12
	v_lshrrev_b32_e32 v1, s27, v1
	v_mul_lo_u32 v12, v1, s25
	v_mul_lo_u32 v16, v14, s12
	;; [unrolled: 1-line block ×3, first 2 shown]
	v_add3_u32 v2, v7, v2, v10
	v_sub_u32_e32 v5, v5, v12
	v_mul_lo_u32 v12, v5, s14
	v_mul_lo_u32 v5, v5, s15
	v_add3_u32 v3, v8, v9, v3
	v_add3_u32 v2, v16, v2, v12
	;; [unrolled: 1-line block ×3, first 2 shown]
	s_cbranch_scc1 .LBB159_1155
; %bb.1156:
	s_and_b32 s8, s37, 3
	s_cmp_eq_u32 s8, 0
	s_cbranch_scc0 .LBB159_1160
	s_branch .LBB159_1162
.LBB159_1157:
                                        ; implicit-def: $vgpr2
                                        ; implicit-def: $vgpr9
	s_branch .LBB159_1163
.LBB159_1158:
	v_mov_b32_e32 v2, 0
	v_mov_b32_e32 v9, 0
	s_branch .LBB159_1162
.LBB159_1159:
	v_mov_b32_e32 v2, 0
	v_mov_b32_e32 v9, 0
	;; [unrolled: 1-line block ×3, first 2 shown]
	s_and_b32 s8, s37, 3
	s_cmp_eq_u32 s8, 0
	s_cbranch_scc1 .LBB159_1162
.LBB159_1160:
	s_lshl_b32 s2, s36, 3
	s_add_u32 s2, s34, s2
	s_addc_u32 s3, s35, 0
	s_add_u32 s2, s2, 0xc4
	s_addc_u32 s3, s3, 0
	s_mul_i32 s6, s36, 12
	s_add_u32 s6, s34, s6
	s_addc_u32 s7, s35, 0
.LBB159_1161:                           ; =>This Inner Loop Header: Depth=1
	s_load_dwordx2 s[10:11], s[6:7], 0x4
	s_load_dword s9, s[6:7], 0xc
	s_load_dwordx2 s[12:13], s[2:3], 0x0
	s_add_u32 s6, s6, 12
	s_addc_u32 s7, s7, 0
	s_waitcnt vmcnt(0) lgkmcnt(0)
	v_mul_hi_u32 v3, s11, v1
	s_add_u32 s2, s2, 8
	s_addc_u32 s3, s3, 0
	s_add_i32 s8, s8, -1
	v_add_u32_e32 v3, v1, v3
	v_lshrrev_b32_e32 v5, s9, v3
	v_mul_lo_u32 v3, v5, s10
	s_cmp_lg_u32 s8, 0
	v_sub_u32_e32 v1, v1, v3
	v_mad_u64_u32 v[2:3], s[10:11], v1, s12, v[2:3]
	v_mad_u64_u32 v[9:10], s[10:11], v1, s13, v[9:10]
	v_mov_b32_e32 v1, v5
	s_cbranch_scc1 .LBB159_1161
.LBB159_1162:
	s_cbranch_execnz .LBB159_1165
.LBB159_1163:
	s_load_dwordx4 s[8:11], s[34:35], 0x4
	s_load_dwordx2 s[2:3], s[34:35], 0xc4
	s_cmp_lt_u32 s33, 2
	s_waitcnt lgkmcnt(0)
	v_mul_hi_u32 v1, s9, v0
	v_add_u32_e32 v1, v0, v1
	v_lshrrev_b32_e32 v1, s10, v1
	v_mul_lo_u32 v2, v1, s8
	v_sub_u32_e32 v0, v0, v2
	v_mul_lo_u32 v2, v0, s2
	v_mul_lo_u32 v9, v0, s3
	s_cbranch_scc1 .LBB159_1165
; %bb.1164:
	s_load_dwordx4 s[8:11], s[34:35], 0x10
	s_load_dwordx2 s[2:3], s[34:35], 0xcc
	s_waitcnt lgkmcnt(0)
	v_mul_hi_u32 v0, s9, v1
	v_add_u32_e32 v0, v1, v0
	v_lshrrev_b32_e32 v0, s10, v0
	v_mul_lo_u32 v0, v0, s8
	v_sub_u32_e32 v0, v1, v0
	s_waitcnt vmcnt(0)
	v_mad_u64_u32 v[2:3], s[6:7], v0, s2, v[2:3]
	v_mad_u64_u32 v[9:10], s[2:3], v0, s3, v[9:10]
.LBB159_1165:
	s_and_b64 vcc, exec, s[0:1]
	s_cbranch_vccnz .LBB159_1171
; %bb.1166:
	s_cmp_lg_u32 s33, 0
	s_mov_b32 s26, 0
	s_cbranch_scc0 .LBB159_1172
; %bb.1167:
	s_min_u32 s27, s76, 15
	s_add_i32 s27, s27, 1
	s_cmp_eq_u32 s76, 2
	s_cbranch_scc1 .LBB159_1173
; %bb.1168:
	s_and_b32 s26, s27, 28
	s_add_u32 s6, s34, 0xc4
	s_addc_u32 s7, s35, 0
	v_mov_b32_e32 v7, 0
	s_mov_b32 s36, 0
	s_mov_b64 s[24:25], s[34:35]
	v_mov_b32_e32 v0, 0
	v_mov_b32_e32 v1, v15
.LBB159_1169:                           ; =>This Inner Loop Header: Depth=1
	s_load_dwordx8 s[16:23], s[24:25], 0x4
	s_load_dwordx4 s[0:3], s[24:25], 0x24
	s_load_dwordx8 s[8:15], s[6:7], 0x0
	s_add_u32 s24, s24, 48
	s_addc_u32 s25, s25, 0
	s_waitcnt vmcnt(0) lgkmcnt(0)
	v_mul_hi_u32 v3, s17, v1
	s_add_i32 s36, s36, 4
	s_add_u32 s6, s6, 32
	s_addc_u32 s7, s7, 0
	v_add_u32_e32 v3, v1, v3
	v_lshrrev_b32_e32 v3, s18, v3
	v_mul_lo_u32 v5, v3, s16
	v_mul_hi_u32 v8, s20, v3
	s_cmp_lg_u32 s26, s36
	v_sub_u32_e32 v1, v1, v5
	v_add_u32_e32 v5, v3, v8
	v_mul_lo_u32 v8, v1, s8
	v_mul_lo_u32 v10, v1, s9
	v_lshrrev_b32_e32 v1, s21, v5
	v_mul_lo_u32 v5, v1, s19
	v_mul_hi_u32 v12, s23, v1
	v_sub_u32_e32 v3, v3, v5
	v_add_u32_e32 v5, v1, v12
	v_lshrrev_b32_e32 v5, s0, v5
	v_mul_hi_u32 v14, s2, v5
	v_mul_lo_u32 v16, v5, s22
	v_mul_lo_u32 v12, v3, s10
	;; [unrolled: 1-line block ×3, first 2 shown]
	v_sub_u32_e32 v16, v1, v16
	v_add_u32_e32 v1, v5, v14
	v_lshrrev_b32_e32 v1, s3, v1
	v_mul_lo_u32 v14, v1, s1
	v_mul_lo_u32 v17, v16, s12
	;; [unrolled: 1-line block ×3, first 2 shown]
	v_add3_u32 v0, v8, v0, v12
	v_sub_u32_e32 v5, v5, v14
	v_mul_lo_u32 v14, v5, s14
	v_mul_lo_u32 v5, v5, s15
	v_add3_u32 v3, v10, v7, v3
	v_add3_u32 v0, v17, v0, v14
	;; [unrolled: 1-line block ×3, first 2 shown]
	s_cbranch_scc1 .LBB159_1169
; %bb.1170:
	s_and_b32 s6, s27, 3
	s_cmp_eq_u32 s6, 0
	s_cbranch_scc0 .LBB159_1174
	s_branch .LBB159_1176
.LBB159_1171:
                                        ; implicit-def: $vgpr0
                                        ; implicit-def: $vgpr7
	s_branch .LBB159_1177
.LBB159_1172:
	v_mov_b32_e32 v0, 0
	v_mov_b32_e32 v7, 0
	s_branch .LBB159_1176
.LBB159_1173:
	v_mov_b32_e32 v0, 0
	v_mov_b32_e32 v7, 0
	;; [unrolled: 1-line block ×3, first 2 shown]
	s_and_b32 s6, s27, 3
	s_cmp_eq_u32 s6, 0
	s_cbranch_scc1 .LBB159_1176
.LBB159_1174:
	s_lshl_b32 s0, s26, 3
	s_add_u32 s0, s34, s0
	s_addc_u32 s1, s35, 0
	s_add_u32 s0, s0, 0xc4
	s_addc_u32 s1, s1, 0
	s_mul_i32 s2, s26, 12
	s_add_u32 s2, s34, s2
	s_addc_u32 s3, s35, 0
.LBB159_1175:                           ; =>This Inner Loop Header: Depth=1
	s_load_dwordx2 s[8:9], s[2:3], 0x4
	s_load_dword s7, s[2:3], 0xc
	s_load_dwordx2 s[10:11], s[0:1], 0x0
	s_add_u32 s2, s2, 12
	s_addc_u32 s3, s3, 0
	s_waitcnt vmcnt(0) lgkmcnt(0)
	v_mul_hi_u32 v3, s9, v1
	s_add_u32 s0, s0, 8
	s_addc_u32 s1, s1, 0
	s_add_i32 s6, s6, -1
	v_add_u32_e32 v3, v1, v3
	v_lshrrev_b32_e32 v3, s7, v3
	v_mul_lo_u32 v5, v3, s8
	s_cmp_lg_u32 s6, 0
	v_sub_u32_e32 v5, v1, v5
	v_mad_u64_u32 v[0:1], s[8:9], v5, s10, v[0:1]
	v_mad_u64_u32 v[7:8], s[8:9], v5, s11, v[7:8]
	v_mov_b32_e32 v1, v3
	s_cbranch_scc1 .LBB159_1175
.LBB159_1176:
	s_cbranch_execnz .LBB159_1179
.LBB159_1177:
	s_load_dwordx4 s[0:3], s[34:35], 0x4
	s_load_dwordx2 s[6:7], s[34:35], 0xc4
	s_cmp_lt_u32 s33, 2
	s_waitcnt lgkmcnt(0)
	v_mul_hi_u32 v0, s1, v15
	v_add_u32_e32 v0, v15, v0
	v_lshrrev_b32_e32 v1, s2, v0
	v_mul_lo_u32 v0, v1, s0
	s_waitcnt vmcnt(0)
	v_sub_u32_e32 v3, v15, v0
	v_mul_lo_u32 v0, v3, s6
	v_mul_lo_u32 v7, v3, s7
	s_cbranch_scc1 .LBB159_1179
; %bb.1178:
	s_load_dwordx4 s[0:3], s[34:35], 0x10
	s_load_dwordx2 s[6:7], s[34:35], 0xcc
	s_waitcnt lgkmcnt(0)
	v_mul_hi_u32 v3, s1, v1
	v_add_u32_e32 v3, v1, v3
	v_lshrrev_b32_e32 v3, s2, v3
	v_mul_lo_u32 v3, v3, s0
	v_sub_u32_e32 v3, v1, v3
	v_mad_u64_u32 v[0:1], s[0:1], v3, s6, v[0:1]
	v_mad_u64_u32 v[7:8], s[0:1], v3, s7, v[7:8]
.LBB159_1179:
	s_load_dwordx4 s[8:11], s[34:35], 0x148
	s_load_dword s18, s[4:5], 0x168
	s_waitcnt lgkmcnt(0)
	v_mov_b32_e32 v1, s11
	s_bfe_u32 s14, s18, 0x80008
	v_add_co_u32_e32 v12, vcc, s10, v13
	s_cmp_lt_i32 s14, 11
	v_addc_co_u32_e32 v13, vcc, 0, v1, vcc
	s_cbranch_scc1 .LBB159_1186
; %bb.1180:
	s_and_b32 s15, 0xffff, s14
	s_cmp_gt_i32 s15, 25
	s_mov_b64 s[4:5], 0
	s_cbranch_scc0 .LBB159_1188
; %bb.1181:
	s_cmp_gt_i32 s15, 28
	s_cbranch_scc0 .LBB159_1189
; %bb.1182:
	s_cmp_gt_i32 s15, 43
	;; [unrolled: 3-line block ×3, first 2 shown]
	s_cbranch_scc0 .LBB159_1191
; %bb.1184:
	s_cmp_eq_u32 s15, 46
	s_mov_b64 s[2:3], 0
	s_cbranch_scc0 .LBB159_1194
; %bb.1185:
	global_load_dword v1, v[12:13], off
	s_mov_b64 s[0:1], 0
	s_mov_b64 s[6:7], -1
	s_waitcnt vmcnt(0)
	v_and_b32_e32 v3, 0xffff0000, v1
	v_lshlrev_b32_e32 v1, 16, v1
	v_cvt_f16_f32_e32 v1, v1
	v_cvt_f16_f32_e32 v3, v3
	s_branch .LBB159_1195
.LBB159_1186:
	s_mov_b64 s[6:7], 0
                                        ; implicit-def: $vgpr3
                                        ; implicit-def: $vgpr1
	s_mov_b64 s[2:3], s[28:29]
	s_cbranch_execnz .LBB159_1261
.LBB159_1187:
	s_andn2_b64 vcc, exec, s[6:7]
	s_cbranch_vccz .LBB159_1308
	s_branch .LBB159_1725
.LBB159_1188:
	s_mov_b64 s[6:7], 0
	s_mov_b64 s[0:1], 0
                                        ; implicit-def: $vgpr3
                                        ; implicit-def: $vgpr1
	s_cbranch_execnz .LBB159_1225
	s_branch .LBB159_1257
.LBB159_1189:
	s_mov_b64 s[6:7], 0
	s_mov_b64 s[0:1], 0
                                        ; implicit-def: $vgpr3
                                        ; implicit-def: $vgpr1
	s_cbranch_execnz .LBB159_1207
	s_branch .LBB159_1224
.LBB159_1190:
	s_mov_b64 s[2:3], -1
	s_mov_b64 s[6:7], 0
	s_mov_b64 s[0:1], 0
                                        ; implicit-def: $vgpr3
                                        ; implicit-def: $vgpr1
	s_branch .LBB159_1201
.LBB159_1191:
	s_mov_b64 s[2:3], -1
	s_mov_b64 s[6:7], 0
	s_mov_b64 s[0:1], 0
                                        ; implicit-def: $vgpr3
                                        ; implicit-def: $vgpr1
	s_branch .LBB159_1195
.LBB159_1192:
	s_andn2_saveexec_b64 s[16:17], s[16:17]
	s_cbranch_execz .LBB159_1030
.LBB159_1193:
	v_add_f32_e32 v0, 0x46000000, v3
	v_and_b32_e32 v0, 0xff, v0
	v_cmp_ne_u32_e32 vcc, 0, v0
	s_andn2_b64 s[14:15], s[14:15], exec
	s_and_b64 s[18:19], vcc, exec
	s_or_b64 s[14:15], s[14:15], s[18:19]
	s_or_b64 exec, exec, s[16:17]
	v_mov_b32_e32 v4, 0
	s_and_saveexec_b64 s[16:17], s[14:15]
	s_cbranch_execnz .LBB159_1031
	s_branch .LBB159_1032
.LBB159_1194:
	s_mov_b64 s[0:1], -1
                                        ; implicit-def: $vgpr3
                                        ; implicit-def: $vgpr1
	s_mov_b64 s[6:7], 0
.LBB159_1195:
	s_and_b64 vcc, exec, s[2:3]
	s_cbranch_vccz .LBB159_1200
; %bb.1196:
	s_cmp_eq_u32 s15, 44
	s_cbranch_scc0 .LBB159_1198
; %bb.1197:
	global_load_ubyte v1, v[12:13], off
	s_movk_i32 s2, 0xff
	v_mov_b32_e32 v5, 0x7e00
	s_mov_b64 s[0:1], 0
	s_mov_b64 s[6:7], -1
	s_waitcnt vmcnt(0)
	v_lshlrev_b32_e32 v3, 23, v1
	v_cvt_f16_f32_e32 v3, v3
	v_cmp_ne_u32_e32 vcc, s2, v1
	v_cndmask_b32_e32 v3, v5, v3, vcc
	v_cmp_ne_u32_e32 vcc, 0, v1
	v_cndmask_b32_e32 v1, 0, v3, vcc
	s_branch .LBB159_1199
.LBB159_1198:
	s_mov_b64 s[0:1], -1
                                        ; implicit-def: $vgpr1
.LBB159_1199:
	s_waitcnt vmcnt(0)
	v_mov_b32_e32 v3, 0
.LBB159_1200:
	s_mov_b64 s[2:3], 0
.LBB159_1201:
	s_and_b64 vcc, exec, s[2:3]
	s_cbranch_vccz .LBB159_1206
; %bb.1202:
	s_cmp_eq_u32 s15, 29
	s_cbranch_scc0 .LBB159_1204
; %bb.1203:
	global_load_dwordx2 v[14:15], v[12:13], off
	s_mov_b64 s[0:1], 0
	s_mov_b64 s[6:7], -1
	s_waitcnt vmcnt(0)
	v_ffbh_u32_e32 v1, v15
	v_min_u32_e32 v1, 32, v1
	v_lshlrev_b64 v[14:15], v1, v[14:15]
	v_sub_u32_e32 v1, 32, v1
	v_min_u32_e32 v3, 1, v14
	v_or_b32_e32 v3, v15, v3
	v_cvt_f32_u32_e32 v3, v3
	v_ldexp_f32 v1, v3, v1
	v_cvt_f16_f32_e32 v1, v1
	s_branch .LBB159_1205
.LBB159_1204:
	s_mov_b64 s[0:1], -1
                                        ; implicit-def: $vgpr1
.LBB159_1205:
	s_waitcnt vmcnt(0)
	v_mov_b32_e32 v3, 0
.LBB159_1206:
	s_branch .LBB159_1224
.LBB159_1207:
	s_cmp_lt_i32 s15, 27
	s_cbranch_scc1 .LBB159_1210
; %bb.1208:
	s_cmp_gt_i32 s15, 27
	s_cbranch_scc0 .LBB159_1211
; %bb.1209:
	global_load_dword v1, v[12:13], off
	s_mov_b64 s[2:3], 0
	s_waitcnt vmcnt(0)
	v_cvt_f32_u32_e32 v1, v1
	v_cvt_f16_f32_e32 v1, v1
	s_branch .LBB159_1212
.LBB159_1210:
	s_mov_b64 s[2:3], -1
                                        ; implicit-def: $vgpr1
	s_branch .LBB159_1215
.LBB159_1211:
	s_mov_b64 s[2:3], -1
                                        ; implicit-def: $vgpr1
.LBB159_1212:
	s_andn2_b64 vcc, exec, s[2:3]
	s_cbranch_vccnz .LBB159_1214
; %bb.1213:
	global_load_ushort v1, v[12:13], off
	s_waitcnt vmcnt(0)
	v_cvt_f16_u16_e32 v1, v1
.LBB159_1214:
	s_mov_b64 s[2:3], 0
.LBB159_1215:
	s_andn2_b64 vcc, exec, s[2:3]
	s_cbranch_vccnz .LBB159_1223
; %bb.1216:
	global_load_ubyte v3, v[12:13], off
	s_movk_i32 s2, 0x7f
	s_waitcnt vmcnt(0)
	v_cmp_lt_i16_e32 vcc, s2, v3
	s_mov_b64 s[2:3], 0
	s_and_saveexec_b64 s[6:7], vcc
	s_xor_b64 s[6:7], exec, s[6:7]
	s_cbranch_execz .LBB159_1236
; %bb.1217:
	s_movk_i32 s2, 0x80
	v_cmp_eq_u16_e32 vcc, s2, v3
	s_mov_b64 s[2:3], -1
	s_and_saveexec_b64 s[12:13], vcc
; %bb.1218:
	s_xor_b64 s[2:3], exec, -1
; %bb.1219:
	s_or_b64 exec, exec, s[12:13]
	s_and_b64 s[2:3], s[2:3], exec
	s_or_saveexec_b64 s[6:7], s[6:7]
	v_mov_b32_e32 v1, 0x7e00
	s_xor_b64 exec, exec, s[6:7]
	s_cbranch_execnz .LBB159_1237
.LBB159_1220:
	s_or_b64 exec, exec, s[6:7]
	s_and_saveexec_b64 s[6:7], s[2:3]
	s_cbranch_execz .LBB159_1222
.LBB159_1221:
	v_lshlrev_b32_e32 v1, 24, v3
	v_and_b32_e32 v3, 0xffff, v3
	v_and_b32_e32 v5, 7, v3
	v_ffbh_u32_e32 v10, v5
	v_min_u32_e32 v10, 32, v10
	v_subrev_u32_e32 v14, 28, v10
	v_bfe_u32 v8, v3, 3, 4
	v_lshlrev_b32_e32 v3, v14, v3
	v_sub_u32_e32 v10, 29, v10
	v_and_b32_e32 v3, 7, v3
	v_cmp_eq_u32_e32 vcc, 0, v8
	v_cndmask_b32_e32 v8, v8, v10, vcc
	v_cndmask_b32_e32 v3, v5, v3, vcc
	v_mov_b32_e32 v5, 0x3b800000
	v_lshlrev_b32_e32 v3, 20, v3
	v_and_b32_e32 v1, 0x80000000, v1
	v_lshl_add_u32 v5, v8, 23, v5
	v_or3_b32 v1, v1, v5, v3
	v_cvt_f16_f32_e32 v1, v1
.LBB159_1222:
	s_or_b64 exec, exec, s[6:7]
.LBB159_1223:
	s_mov_b64 s[6:7], -1
	s_waitcnt vmcnt(0)
	v_mov_b32_e32 v3, 0
.LBB159_1224:
	s_branch .LBB159_1257
.LBB159_1225:
	s_cmp_gt_i32 s15, 22
	s_cbranch_scc0 .LBB159_1235
; %bb.1226:
	s_cmp_lt_i32 s15, 24
	s_cbranch_scc1 .LBB159_1238
; %bb.1227:
	s_cmp_gt_i32 s15, 24
	s_cbranch_scc0 .LBB159_1239
; %bb.1228:
	global_load_ubyte v3, v[12:13], off
	s_movk_i32 s2, 0x7f
	s_waitcnt vmcnt(0)
	v_cmp_lt_i16_e32 vcc, s2, v3
	s_mov_b64 s[2:3], 0
	s_and_saveexec_b64 s[4:5], vcc
	s_xor_b64 s[4:5], exec, s[4:5]
	s_cbranch_execz .LBB159_1250
; %bb.1229:
	s_movk_i32 s2, 0x80
	v_cmp_eq_u16_e32 vcc, s2, v3
	s_mov_b64 s[2:3], -1
	s_and_saveexec_b64 s[6:7], vcc
; %bb.1230:
	s_xor_b64 s[2:3], exec, -1
; %bb.1231:
	s_or_b64 exec, exec, s[6:7]
	s_and_b64 s[2:3], s[2:3], exec
	s_or_saveexec_b64 s[4:5], s[4:5]
	v_mov_b32_e32 v1, 0x7e00
	s_xor_b64 exec, exec, s[4:5]
	s_cbranch_execnz .LBB159_1251
.LBB159_1232:
	s_or_b64 exec, exec, s[4:5]
	s_and_saveexec_b64 s[4:5], s[2:3]
	s_cbranch_execz .LBB159_1234
.LBB159_1233:
	v_lshlrev_b32_e32 v1, 24, v3
	v_and_b32_e32 v3, 0xffff, v3
	v_and_b32_e32 v5, 3, v3
	v_ffbh_u32_e32 v10, v5
	v_min_u32_e32 v10, 32, v10
	v_subrev_u32_e32 v14, 29, v10
	v_bfe_u32 v8, v3, 2, 5
	v_lshlrev_b32_e32 v3, v14, v3
	v_sub_u32_e32 v10, 30, v10
	v_and_b32_e32 v3, 3, v3
	v_cmp_eq_u32_e32 vcc, 0, v8
	v_cndmask_b32_e32 v8, v8, v10, vcc
	v_cndmask_b32_e32 v3, v5, v3, vcc
	v_mov_b32_e32 v5, 0x37800000
	v_lshlrev_b32_e32 v3, 21, v3
	v_and_b32_e32 v1, 0x80000000, v1
	v_lshl_add_u32 v5, v8, 23, v5
	v_or3_b32 v1, v1, v5, v3
	v_cvt_f16_f32_e32 v1, v1
.LBB159_1234:
	s_or_b64 exec, exec, s[4:5]
	s_mov_b64 s[2:3], 0
	s_branch .LBB159_1240
.LBB159_1235:
                                        ; implicit-def: $vgpr1
	s_mov_b64 s[4:5], 0
	s_branch .LBB159_1246
.LBB159_1236:
	s_or_saveexec_b64 s[6:7], s[6:7]
	v_mov_b32_e32 v1, 0x7e00
	s_xor_b64 exec, exec, s[6:7]
	s_cbranch_execz .LBB159_1220
.LBB159_1237:
	v_cmp_ne_u16_e32 vcc, 0, v3
	s_andn2_b64 s[2:3], s[2:3], exec
	s_and_b64 s[12:13], vcc, exec
	s_or_b64 s[2:3], s[2:3], s[12:13]
	v_mov_b32_e32 v1, v3
	s_or_b64 exec, exec, s[6:7]
	s_and_saveexec_b64 s[6:7], s[2:3]
	s_cbranch_execnz .LBB159_1221
	s_branch .LBB159_1222
.LBB159_1238:
	s_mov_b64 s[2:3], -1
                                        ; implicit-def: $vgpr1
	s_branch .LBB159_1243
.LBB159_1239:
	s_mov_b64 s[2:3], -1
                                        ; implicit-def: $vgpr1
.LBB159_1240:
	s_and_b64 vcc, exec, s[2:3]
	s_cbranch_vccz .LBB159_1242
; %bb.1241:
	global_load_ubyte v1, v[12:13], off
	s_mov_b32 s2, 0x7f800000
	s_waitcnt vmcnt(0)
	v_lshlrev_b32_e32 v1, 24, v1
	v_and_b32_e32 v3, 0x7f000000, v1
	v_ffbh_u32_e32 v5, v3
	v_min_u32_e32 v5, 32, v5
	v_sub_u32_e64 v5, v5, 4 clamp
	v_lshlrev_b32_e32 v10, v5, v3
	v_lshlrev_b32_e32 v5, 23, v5
	v_lshrrev_b32_e32 v10, 4, v10
	v_add_u32_e32 v8, 0x1000000, v3
	v_sub_u32_e32 v5, v10, v5
	v_ashrrev_i32_e32 v8, 8, v8
	v_add_u32_e32 v5, 0x3c000000, v5
	v_and_or_b32 v5, v8, s2, v5
	v_cmp_ne_u32_e32 vcc, 0, v3
	v_cndmask_b32_e32 v3, 0, v5, vcc
	s_brev_b32 s2, 1
	v_and_or_b32 v1, v1, s2, v3
	v_cvt_f16_f32_e32 v1, v1
.LBB159_1242:
	s_mov_b64 s[2:3], 0
.LBB159_1243:
	s_andn2_b64 vcc, exec, s[2:3]
	s_cbranch_vccnz .LBB159_1245
; %bb.1244:
	global_load_ubyte v1, v[12:13], off
	s_movk_i32 s2, 0x7f00
	s_brev_b32 s3, 16
	s_waitcnt vmcnt(0)
	v_lshlrev_b16_e32 v3, 8, v1
	v_lshlrev_b32_e32 v1, 25, v1
	v_lshrrev_b32_e32 v5, 4, v1
	v_and_or_b32 v8, v3, s2, 0.5
	v_or_b32_e32 v5, 0x70000000, v5
	v_add_f32_e32 v8, -0.5, v8
	v_mul_f32_e32 v5, 0x7800000, v5
	v_cmp_gt_u32_e32 vcc, s3, v1
	v_bfe_i32 v3, v3, 0, 16
	v_cndmask_b32_e32 v1, v5, v8, vcc
	s_brev_b32 s2, 1
	v_and_or_b32 v1, v3, s2, v1
	v_cvt_f16_f32_e32 v1, v1
.LBB159_1245:
	s_mov_b64 s[6:7], -1
	s_mov_b64 s[4:5], 0
	s_cbranch_execnz .LBB159_1256
.LBB159_1246:
	s_cmp_gt_i32 s15, 14
	s_cbranch_scc0 .LBB159_1249
; %bb.1247:
	s_cmp_eq_u32 s15, 15
	s_cbranch_scc0 .LBB159_1252
; %bb.1248:
	global_load_ushort v1, v[12:13], off
	s_mov_b64 s[0:1], 0
	s_mov_b64 s[6:7], -1
	s_waitcnt vmcnt(0)
	v_lshlrev_b32_e32 v1, 16, v1
	v_cvt_f16_f32_e32 v1, v1
	s_branch .LBB159_1253
.LBB159_1249:
	s_mov_b64 s[2:3], -1
                                        ; implicit-def: $vgpr1
	s_branch .LBB159_1254
.LBB159_1250:
	s_or_saveexec_b64 s[4:5], s[4:5]
	v_mov_b32_e32 v1, 0x7e00
	s_xor_b64 exec, exec, s[4:5]
	s_cbranch_execz .LBB159_1232
.LBB159_1251:
	v_cmp_ne_u16_e32 vcc, 0, v3
	s_andn2_b64 s[2:3], s[2:3], exec
	s_and_b64 s[6:7], vcc, exec
	s_or_b64 s[2:3], s[2:3], s[6:7]
	v_mov_b32_e32 v1, v3
	s_or_b64 exec, exec, s[4:5]
	s_and_saveexec_b64 s[4:5], s[2:3]
	s_cbranch_execnz .LBB159_1233
	s_branch .LBB159_1234
.LBB159_1252:
	s_mov_b64 s[0:1], -1
                                        ; implicit-def: $vgpr1
.LBB159_1253:
	s_mov_b64 s[2:3], 0
.LBB159_1254:
	s_and_b64 vcc, exec, s[2:3]
	s_cbranch_vccz .LBB159_1256
; %bb.1255:
	s_cmp_lg_u32 s15, 11
	s_mov_b64 s[4:5], -1
	s_cselect_b64 s[0:1], -1, 0
.LBB159_1256:
	s_waitcnt vmcnt(0)
	v_mov_b32_e32 v3, 0
.LBB159_1257:
	s_and_b64 vcc, exec, s[0:1]
	s_mov_b64 s[2:3], s[28:29]
	s_cbranch_vccnz .LBB159_1324
; %bb.1258:
	s_andn2_b64 vcc, exec, s[4:5]
	s_cbranch_vccnz .LBB159_1260
.LBB159_1259:
	global_load_ubyte v1, v[12:13], off
	v_mov_b32_e32 v5, 0x3c00
	s_waitcnt vmcnt(1)
	v_mov_b32_e32 v3, 0
	s_mov_b64 s[6:7], -1
	s_waitcnt vmcnt(0)
	v_cmp_ne_u16_e32 vcc, 0, v1
	v_cndmask_b32_e32 v1, 0, v5, vcc
.LBB159_1260:
	s_branch .LBB159_1187
.LBB159_1261:
	s_and_b32 s4, 0xffff, s14
	s_cmp_lt_i32 s4, 5
	s_cbranch_scc1 .LBB159_1266
; %bb.1262:
	s_cmp_lt_i32 s4, 8
	s_cbranch_scc1 .LBB159_1268
; %bb.1263:
	;; [unrolled: 3-line block ×3, first 2 shown]
	s_cmp_gt_i32 s4, 9
	s_cbranch_scc0 .LBB159_1270
; %bb.1265:
	global_load_dwordx4 v[14:17], v[12:13], off
	s_movk_i32 s0, 0x1ff
	s_movk_i32 s1, 0xffe
	v_mov_b32_e32 v1, 0x7c00
	s_waitcnt vmcnt(1)
	v_mov_b32_e32 v3, 0x7e00
	s_movk_i32 s5, 0x40f
	s_mov_b32 s6, 0x8000
	s_waitcnt vmcnt(0)
	v_and_or_b32 v5, v15, s0, v14
	v_lshrrev_b32_e32 v8, 8, v15
	v_bfe_u32 v10, v15, 20, 11
	v_lshrrev_b32_e32 v14, 16, v15
	v_and_or_b32 v15, v17, s0, v16
	v_cmp_ne_u32_e32 vcc, 0, v5
	v_cndmask_b32_e64 v5, 0, 1, vcc
	v_cmp_ne_u32_e32 vcc, 0, v15
	v_lshrrev_b32_e32 v16, 8, v17
	v_bfe_u32 v18, v17, 20, 11
	v_sub_u32_e32 v19, 0x3f1, v10
	v_cndmask_b32_e64 v15, 0, 1, vcc
	v_and_or_b32 v5, v8, s1, v5
	v_add_u32_e32 v10, 0xfffffc10, v10
	v_sub_u32_e32 v20, 0x3f1, v18
	v_add_u32_e32 v18, 0xfffffc10, v18
	v_med3_i32 v8, v19, 0, 13
	v_and_or_b32 v15, v16, s1, v15
	v_or_b32_e32 v19, 0x1000, v5
	v_cmp_ne_u32_e32 vcc, 0, v5
	v_med3_i32 v16, v20, 0, 13
	v_lshl_or_b32 v20, v10, 12, v5
	v_cndmask_b32_e32 v5, v1, v3, vcc
	v_or_b32_e32 v21, 0x1000, v15
	v_lshl_or_b32 v22, v18, 12, v15
	v_cmp_ne_u32_e32 vcc, 0, v15
	v_lshrrev_b32_e32 v15, v8, v19
	v_lshrrev_b32_e32 v23, v16, v21
	v_lshlrev_b32_e32 v8, v8, v15
	v_cndmask_b32_e32 v3, v1, v3, vcc
	v_lshlrev_b32_e32 v16, v16, v23
	v_cmp_ne_u32_e32 vcc, v8, v19
	v_cndmask_b32_e64 v8, 0, 1, vcc
	v_cmp_ne_u32_e32 vcc, v16, v21
	v_cndmask_b32_e64 v16, 0, 1, vcc
	v_or_b32_e32 v8, v15, v8
	v_cmp_gt_i32_e32 vcc, 1, v10
	v_cndmask_b32_e32 v8, v20, v8, vcc
	v_or_b32_e32 v15, v23, v16
	v_cmp_gt_i32_e32 vcc, 1, v18
	v_and_b32_e32 v16, 7, v8
	v_cndmask_b32_e32 v15, v22, v15, vcc
	v_cmp_lt_i32_e32 vcc, 5, v16
	v_and_b32_e32 v19, 7, v15
	v_cndmask_b32_e64 v20, 0, 1, vcc
	v_cmp_eq_u32_e32 vcc, 3, v16
	v_cndmask_b32_e64 v16, 0, 1, vcc
	v_cmp_lt_i32_e32 vcc, 5, v19
	v_cndmask_b32_e64 v21, 0, 1, vcc
	v_cmp_eq_u32_e32 vcc, 3, v19
	v_lshrrev_b32_e32 v8, 2, v8
	v_cndmask_b32_e64 v19, 0, 1, vcc
	v_or_b32_e32 v16, v16, v20
	v_lshrrev_b32_e32 v15, 2, v15
	v_or_b32_e32 v19, v19, v21
	v_add_u32_e32 v8, v8, v16
	v_cmp_gt_i32_e32 vcc, 31, v10
	v_add_u32_e32 v15, v15, v19
	v_cndmask_b32_e32 v8, v1, v8, vcc
	v_cmp_gt_i32_e32 vcc, 31, v18
	v_cndmask_b32_e32 v1, v1, v15, vcc
	v_cmp_eq_u32_e32 vcc, s5, v10
	v_cndmask_b32_e32 v5, v8, v5, vcc
	v_cmp_eq_u32_e32 vcc, s5, v18
	v_lshrrev_b32_e32 v17, 16, v17
	v_cndmask_b32_e32 v3, v1, v3, vcc
	v_and_or_b32 v1, v14, s6, v5
	v_and_or_b32 v3, v17, s6, v3
	s_mov_b64 s[0:1], 0
	s_branch .LBB159_1271
.LBB159_1266:
                                        ; implicit-def: $vgpr3
                                        ; implicit-def: $vgpr1
	s_branch .LBB159_1289
.LBB159_1267:
	s_branch .LBB159_1308
.LBB159_1268:
                                        ; implicit-def: $vgpr3
                                        ; implicit-def: $vgpr1
	s_branch .LBB159_1277
.LBB159_1269:
	s_mov_b64 s[0:1], -1
                                        ; implicit-def: $vgpr3
                                        ; implicit-def: $vgpr1
	s_branch .LBB159_1274
.LBB159_1270:
	s_mov_b64 s[0:1], -1
                                        ; implicit-def: $vgpr3
                                        ; implicit-def: $vgpr1
.LBB159_1271:
	s_andn2_b64 vcc, exec, s[0:1]
	s_cbranch_vccnz .LBB159_1273
; %bb.1272:
	global_load_dwordx2 v[14:15], v[12:13], off
	s_waitcnt vmcnt(0)
	v_cvt_f16_f32_e32 v1, v14
	v_cvt_f16_f32_e32 v3, v15
.LBB159_1273:
	s_mov_b64 s[0:1], 0
.LBB159_1274:
	s_andn2_b64 vcc, exec, s[0:1]
	s_cbranch_vccnz .LBB159_1276
; %bb.1275:
	global_load_dword v1, v[12:13], off
	s_waitcnt vmcnt(0)
	v_lshrrev_b32_e32 v3, 16, v1
.LBB159_1276:
	s_cbranch_execnz .LBB159_1288
.LBB159_1277:
	s_cmp_lt_i32 s4, 6
	s_cbranch_scc1 .LBB159_1280
; %bb.1278:
	s_cmp_gt_i32 s4, 6
	s_cbranch_scc0 .LBB159_1281
; %bb.1279:
	global_load_dwordx2 v[14:15], v[12:13], off
	s_movk_i32 s0, 0x1ff
	s_movk_i32 s1, 0xffe
	v_mov_b32_e32 v1, 0x7c00
	s_waitcnt vmcnt(1)
	v_mov_b32_e32 v3, 0x7e00
	s_movk_i32 s5, 0x40f
	s_mov_b32 s6, 0x8000
	s_waitcnt vmcnt(0)
	v_and_or_b32 v5, v15, s0, v14
	v_cmp_ne_u32_e32 vcc, 0, v5
	v_lshrrev_b32_e32 v8, 8, v15
	v_bfe_u32 v10, v15, 20, 11
	v_cndmask_b32_e64 v5, 0, 1, vcc
	v_lshrrev_b32_e32 v14, 16, v15
	v_sub_u32_e32 v15, 0x3f1, v10
	v_and_or_b32 v5, v8, s1, v5
	v_add_u32_e32 v10, 0xfffffc10, v10
	v_med3_i32 v8, v15, 0, 13
	v_or_b32_e32 v15, 0x1000, v5
	v_lshl_or_b32 v16, v10, 12, v5
	v_cmp_ne_u32_e32 vcc, 0, v5
	v_lshrrev_b32_e32 v5, v8, v15
	v_lshlrev_b32_e32 v8, v8, v5
	v_cndmask_b32_e32 v3, v1, v3, vcc
	v_cmp_ne_u32_e32 vcc, v8, v15
	v_cndmask_b32_e64 v8, 0, 1, vcc
	v_or_b32_e32 v5, v5, v8
	v_cmp_gt_i32_e32 vcc, 1, v10
	v_cndmask_b32_e32 v5, v16, v5, vcc
	v_and_b32_e32 v8, 7, v5
	v_cmp_lt_i32_e32 vcc, 5, v8
	v_cndmask_b32_e64 v15, 0, 1, vcc
	v_cmp_eq_u32_e32 vcc, 3, v8
	v_cndmask_b32_e64 v8, 0, 1, vcc
	v_lshrrev_b32_e32 v5, 2, v5
	v_or_b32_e32 v8, v8, v15
	v_add_u32_e32 v5, v5, v8
	v_cmp_gt_i32_e32 vcc, 31, v10
	v_cndmask_b32_e32 v1, v1, v5, vcc
	v_cmp_eq_u32_e32 vcc, s5, v10
	v_cndmask_b32_e32 v1, v1, v3, vcc
	v_and_or_b32 v1, v14, s6, v1
	s_mov_b64 s[0:1], 0
	s_branch .LBB159_1282
.LBB159_1280:
	s_mov_b64 s[0:1], -1
                                        ; implicit-def: $vgpr1
	s_branch .LBB159_1285
.LBB159_1281:
	s_mov_b64 s[0:1], -1
                                        ; implicit-def: $vgpr1
.LBB159_1282:
	s_andn2_b64 vcc, exec, s[0:1]
	s_cbranch_vccnz .LBB159_1284
; %bb.1283:
	global_load_dword v1, v[12:13], off
	s_waitcnt vmcnt(0)
	v_cvt_f16_f32_e32 v1, v1
.LBB159_1284:
	s_mov_b64 s[0:1], 0
.LBB159_1285:
	s_andn2_b64 vcc, exec, s[0:1]
	s_cbranch_vccnz .LBB159_1287
; %bb.1286:
	global_load_ushort v1, v[12:13], off
.LBB159_1287:
	s_waitcnt vmcnt(0)
	v_mov_b32_e32 v3, 0
.LBB159_1288:
	s_cbranch_execnz .LBB159_1267
.LBB159_1289:
	s_cmp_lt_i32 s4, 2
	s_cbranch_scc1 .LBB159_1293
; %bb.1290:
	s_cmp_lt_i32 s4, 3
	s_cbranch_scc1 .LBB159_1294
; %bb.1291:
	s_cmp_gt_i32 s4, 3
	s_cbranch_scc0 .LBB159_1295
; %bb.1292:
	global_load_dwordx2 v[14:15], v[12:13], off
	s_mov_b64 s[0:1], 0
	s_waitcnt vmcnt(0)
	v_xor_b32_e32 v3, v14, v15
	v_ffbh_i32_e32 v1, v15
	v_ashrrev_i32_e32 v3, 31, v3
	v_add_u32_e32 v1, -1, v1
	v_add_u32_e32 v3, 32, v3
	v_min_u32_e32 v1, v1, v3
	v_lshlrev_b64 v[14:15], v1, v[14:15]
	v_sub_u32_e32 v1, 32, v1
	v_min_u32_e32 v3, 1, v14
	v_or_b32_e32 v3, v15, v3
	v_cvt_f32_i32_e32 v3, v3
	v_ldexp_f32 v1, v3, v1
	v_cvt_f16_f32_e32 v1, v1
	s_branch .LBB159_1296
.LBB159_1293:
                                        ; implicit-def: $vgpr1
	s_branch .LBB159_1302
.LBB159_1294:
	s_mov_b64 s[0:1], -1
                                        ; implicit-def: $vgpr1
	s_branch .LBB159_1299
.LBB159_1295:
	s_mov_b64 s[0:1], -1
                                        ; implicit-def: $vgpr1
.LBB159_1296:
	s_andn2_b64 vcc, exec, s[0:1]
	s_cbranch_vccnz .LBB159_1298
; %bb.1297:
	global_load_dword v1, v[12:13], off
	s_waitcnt vmcnt(0)
	v_cvt_f32_i32_e32 v1, v1
	v_cvt_f16_f32_e32 v1, v1
.LBB159_1298:
	s_mov_b64 s[0:1], 0
.LBB159_1299:
	s_andn2_b64 vcc, exec, s[0:1]
	s_cbranch_vccnz .LBB159_1301
; %bb.1300:
	global_load_ushort v1, v[12:13], off
	s_waitcnt vmcnt(0)
	v_cvt_f16_i16_e32 v1, v1
.LBB159_1301:
	s_cbranch_execnz .LBB159_1307
.LBB159_1302:
	s_cmp_gt_i32 s4, 0
	s_cbranch_scc0 .LBB159_1304
; %bb.1303:
	global_load_sbyte v1, v[12:13], off
	s_mov_b64 s[0:1], 0
	s_waitcnt vmcnt(0)
	v_cvt_f16_i16_e32 v1, v1
	s_branch .LBB159_1305
.LBB159_1304:
	s_mov_b64 s[0:1], -1
                                        ; implicit-def: $vgpr1
.LBB159_1305:
	s_andn2_b64 vcc, exec, s[0:1]
	s_cbranch_vccnz .LBB159_1307
; %bb.1306:
	global_load_ubyte v1, v[12:13], off
	s_waitcnt vmcnt(0)
	v_cvt_f16_u16_e32 v1, v1
.LBB159_1307:
	s_waitcnt vmcnt(0)
	v_mov_b32_e32 v3, 0
.LBB159_1308:
	s_load_dwordx2 s[14:15], s[34:35], 0x158
	s_waitcnt lgkmcnt(0)
	s_lshr_b32 s24, s15, 16
	s_cmp_lg_u32 s14, 0
	s_cselect_b64 s[16:17], -1, 0
	s_and_b64 vcc, exec, s[16:17]
	s_cbranch_vccz .LBB159_1320
; %bb.1309:
	v_cmp_neq_f16_e32 vcc, s15, v1
	s_waitcnt vmcnt(0)
	v_cmp_neq_f16_e64 s[0:1], s24, v3
	s_or_b64 s[4:5], vcc, s[0:1]
	s_cbranch_execnz .LBB159_1311
.LBB159_1310:
	v_cmp_eq_f16_e32 vcc, s15, v1
	s_waitcnt vmcnt(0)
	v_cmp_eq_f16_e64 s[0:1], s24, v3
	s_and_b64 s[0:1], vcc, s[0:1]
	s_andn2_b64 s[4:5], s[4:5], exec
	s_and_b64 s[0:1], s[0:1], exec
	s_or_b64 s[4:5], s[4:5], s[0:1]
.LBB159_1311:
	s_lshr_b32 s0, s18, 8
	v_mov_b32_e32 v1, s11
	s_and_b32 s14, s0, 0xff
	v_add_co_u32_e32 v10, vcc, s10, v11
	s_cmp_lt_i32 s14, 11
	v_addc_co_u32_e32 v11, vcc, 0, v1, vcc
	s_cbranch_scc1 .LBB159_1318
; %bb.1312:
	s_and_b32 s22, 0xffff, s14
	s_cmp_gt_i32 s22, 25
	s_mov_b64 s[6:7], 0
	s_cbranch_scc0 .LBB159_1321
; %bb.1313:
	s_cmp_gt_i32 s22, 28
	s_cbranch_scc0 .LBB159_1322
; %bb.1314:
	s_cmp_gt_i32 s22, 43
	;; [unrolled: 3-line block ×3, first 2 shown]
	s_cbranch_scc0 .LBB159_1325
; %bb.1316:
	s_cmp_eq_u32 s22, 46
	s_mov_b64 s[18:19], 0
	s_cbranch_scc0 .LBB159_1328
; %bb.1317:
	global_load_dword v1, v[10:11], off
	s_mov_b64 s[0:1], 0
	s_mov_b64 s[12:13], -1
	s_waitcnt vmcnt(0)
	v_and_b32_e32 v3, 0xffff0000, v1
	v_lshlrev_b32_e32 v1, 16, v1
	v_cvt_f16_f32_e32 v1, v1
	v_cvt_f16_f32_e32 v3, v3
	s_branch .LBB159_1329
.LBB159_1318:
	s_mov_b64 s[12:13], 0
                                        ; implicit-def: $vgpr3
                                        ; implicit-def: $vgpr1
	s_cbranch_execnz .LBB159_1397
.LBB159_1319:
	s_andn2_b64 vcc, exec, s[12:13]
	s_cbranch_vccnz .LBB159_1725
	s_branch .LBB159_1446
.LBB159_1320:
                                        ; implicit-def: $sgpr4_sgpr5
	s_branch .LBB159_1310
.LBB159_1321:
	s_mov_b64 s[12:13], 0
	s_mov_b64 s[0:1], 0
                                        ; implicit-def: $vgpr3
                                        ; implicit-def: $vgpr1
	s_cbranch_execnz .LBB159_1360
	s_branch .LBB159_1393
.LBB159_1322:
	s_mov_b64 s[18:19], -1
	s_mov_b64 s[12:13], 0
	s_mov_b64 s[0:1], 0
                                        ; implicit-def: $vgpr3
                                        ; implicit-def: $vgpr1
	s_branch .LBB159_1341
.LBB159_1323:
	s_mov_b64 s[18:19], -1
	s_mov_b64 s[12:13], 0
	s_mov_b64 s[0:1], 0
                                        ; implicit-def: $vgpr3
                                        ; implicit-def: $vgpr1
	s_branch .LBB159_1335
.LBB159_1324:
	s_trap 2
	s_or_b64 s[2:3], s[28:29], exec
	s_cbranch_execz .LBB159_1259
	s_branch .LBB159_1260
.LBB159_1325:
	s_mov_b64 s[18:19], -1
	s_mov_b64 s[12:13], 0
	s_mov_b64 s[0:1], 0
                                        ; implicit-def: $vgpr3
                                        ; implicit-def: $vgpr1
	s_branch .LBB159_1329
.LBB159_1326:
	s_andn2_saveexec_b64 s[18:19], s[18:19]
	s_cbranch_execz .LBB159_1042
.LBB159_1327:
	v_add_f32_e32 v0, 0x42800000, v3
	v_and_b32_e32 v0, 0xff, v0
	v_cmp_ne_u32_e32 vcc, 0, v0
	s_andn2_b64 s[16:17], s[16:17], exec
	s_and_b64 s[22:23], vcc, exec
	s_or_b64 s[16:17], s[16:17], s[22:23]
	s_or_b64 exec, exec, s[18:19]
	v_mov_b32_e32 v4, 0
	s_and_saveexec_b64 s[18:19], s[16:17]
	s_cbranch_execnz .LBB159_1043
	s_branch .LBB159_1044
.LBB159_1328:
	s_mov_b64 s[0:1], -1
                                        ; implicit-def: $vgpr3
                                        ; implicit-def: $vgpr1
	s_mov_b64 s[12:13], 0
.LBB159_1329:
	s_and_b64 vcc, exec, s[18:19]
	s_cbranch_vccz .LBB159_1334
; %bb.1330:
	s_cmp_eq_u32 s22, 44
	s_cbranch_scc0 .LBB159_1332
; %bb.1331:
	global_load_ubyte v1, v[10:11], off
	s_movk_i32 s12, 0xff
	v_mov_b32_e32 v5, 0x7e00
	s_mov_b64 s[0:1], 0
	s_waitcnt vmcnt(0)
	v_lshlrev_b32_e32 v3, 23, v1
	v_cvt_f16_f32_e32 v3, v3
	v_cmp_ne_u32_e32 vcc, s12, v1
	s_mov_b64 s[12:13], -1
	v_cndmask_b32_e32 v3, v5, v3, vcc
	v_cmp_ne_u32_e32 vcc, 0, v1
	v_cndmask_b32_e32 v1, 0, v3, vcc
	s_branch .LBB159_1333
.LBB159_1332:
	s_mov_b64 s[0:1], -1
                                        ; implicit-def: $vgpr1
.LBB159_1333:
	s_waitcnt vmcnt(0)
	v_mov_b32_e32 v3, 0
.LBB159_1334:
	s_mov_b64 s[18:19], 0
.LBB159_1335:
	s_and_b64 vcc, exec, s[18:19]
	s_cbranch_vccz .LBB159_1340
; %bb.1336:
	s_cmp_eq_u32 s22, 29
	s_cbranch_scc0 .LBB159_1338
; %bb.1337:
	global_load_dwordx2 v[12:13], v[10:11], off
	s_mov_b64 s[0:1], 0
	s_mov_b64 s[12:13], -1
	s_waitcnt vmcnt(0)
	v_ffbh_u32_e32 v1, v13
	v_min_u32_e32 v1, 32, v1
	v_lshlrev_b64 v[12:13], v1, v[12:13]
	v_sub_u32_e32 v1, 32, v1
	v_min_u32_e32 v3, 1, v12
	v_or_b32_e32 v3, v13, v3
	v_cvt_f32_u32_e32 v3, v3
	v_ldexp_f32 v1, v3, v1
	v_cvt_f16_f32_e32 v1, v1
	s_branch .LBB159_1339
.LBB159_1338:
	s_mov_b64 s[0:1], -1
                                        ; implicit-def: $vgpr1
.LBB159_1339:
	s_waitcnt vmcnt(0)
	v_mov_b32_e32 v3, 0
.LBB159_1340:
	s_mov_b64 s[18:19], 0
.LBB159_1341:
	s_and_b64 vcc, exec, s[18:19]
	s_cbranch_vccz .LBB159_1359
; %bb.1342:
	s_cmp_lt_i32 s22, 27
	s_cbranch_scc1 .LBB159_1345
; %bb.1343:
	s_cmp_gt_i32 s22, 27
	s_cbranch_scc0 .LBB159_1346
; %bb.1344:
	global_load_dword v1, v[10:11], off
	s_mov_b64 s[12:13], 0
	s_waitcnt vmcnt(0)
	v_cvt_f32_u32_e32 v1, v1
	v_cvt_f16_f32_e32 v1, v1
	s_branch .LBB159_1347
.LBB159_1345:
	s_mov_b64 s[12:13], -1
                                        ; implicit-def: $vgpr1
	s_branch .LBB159_1350
.LBB159_1346:
	s_mov_b64 s[12:13], -1
                                        ; implicit-def: $vgpr1
.LBB159_1347:
	s_andn2_b64 vcc, exec, s[12:13]
	s_cbranch_vccnz .LBB159_1349
; %bb.1348:
	global_load_ushort v1, v[10:11], off
	s_waitcnt vmcnt(0)
	v_cvt_f16_u16_e32 v1, v1
.LBB159_1349:
	s_mov_b64 s[12:13], 0
.LBB159_1350:
	s_andn2_b64 vcc, exec, s[12:13]
	s_cbranch_vccnz .LBB159_1358
; %bb.1351:
	global_load_ubyte v3, v[10:11], off
	s_movk_i32 s12, 0x7f
	s_waitcnt vmcnt(0)
	v_cmp_lt_i16_e32 vcc, s12, v3
	s_mov_b64 s[12:13], 0
	s_and_saveexec_b64 s[18:19], vcc
	s_xor_b64 s[18:19], exec, s[18:19]
	s_cbranch_execz .LBB159_1371
; %bb.1352:
	s_movk_i32 s12, 0x80
	v_cmp_eq_u16_e32 vcc, s12, v3
	s_mov_b64 s[12:13], -1
	s_and_saveexec_b64 s[20:21], vcc
; %bb.1353:
	s_xor_b64 s[12:13], exec, -1
; %bb.1354:
	s_or_b64 exec, exec, s[20:21]
	s_and_b64 s[12:13], s[12:13], exec
	s_or_saveexec_b64 s[18:19], s[18:19]
	v_mov_b32_e32 v1, 0x7e00
	s_xor_b64 exec, exec, s[18:19]
	s_cbranch_execnz .LBB159_1372
.LBB159_1355:
	s_or_b64 exec, exec, s[18:19]
	s_and_saveexec_b64 s[18:19], s[12:13]
	s_cbranch_execz .LBB159_1357
.LBB159_1356:
	v_lshlrev_b32_e32 v1, 24, v3
	v_and_b32_e32 v3, 0xffff, v3
	v_and_b32_e32 v5, 7, v3
	v_ffbh_u32_e32 v12, v5
	v_min_u32_e32 v12, 32, v12
	v_subrev_u32_e32 v13, 28, v12
	v_bfe_u32 v8, v3, 3, 4
	v_lshlrev_b32_e32 v3, v13, v3
	v_sub_u32_e32 v12, 29, v12
	v_and_b32_e32 v3, 7, v3
	v_cmp_eq_u32_e32 vcc, 0, v8
	v_cndmask_b32_e32 v8, v8, v12, vcc
	v_cndmask_b32_e32 v3, v5, v3, vcc
	v_mov_b32_e32 v5, 0x3b800000
	v_lshlrev_b32_e32 v3, 20, v3
	v_and_b32_e32 v1, 0x80000000, v1
	v_lshl_add_u32 v5, v8, 23, v5
	v_or3_b32 v1, v1, v5, v3
	v_cvt_f16_f32_e32 v1, v1
.LBB159_1357:
	s_or_b64 exec, exec, s[18:19]
.LBB159_1358:
	s_mov_b64 s[12:13], -1
	s_waitcnt vmcnt(0)
	v_mov_b32_e32 v3, 0
.LBB159_1359:
	s_branch .LBB159_1393
.LBB159_1360:
	s_cmp_gt_i32 s22, 22
	s_cbranch_scc0 .LBB159_1370
; %bb.1361:
	s_cmp_lt_i32 s22, 24
	s_cbranch_scc1 .LBB159_1373
; %bb.1362:
	s_cmp_gt_i32 s22, 24
	s_cbranch_scc0 .LBB159_1374
; %bb.1363:
	global_load_ubyte v3, v[10:11], off
	s_movk_i32 s6, 0x7f
	s_waitcnt vmcnt(0)
	v_cmp_lt_i16_e32 vcc, s6, v3
	s_mov_b64 s[6:7], 0
	s_and_saveexec_b64 s[12:13], vcc
	s_xor_b64 s[12:13], exec, s[12:13]
	s_cbranch_execz .LBB159_1386
; %bb.1364:
	s_movk_i32 s6, 0x80
	v_cmp_eq_u16_e32 vcc, s6, v3
	s_mov_b64 s[6:7], -1
	s_and_saveexec_b64 s[18:19], vcc
; %bb.1365:
	s_xor_b64 s[6:7], exec, -1
; %bb.1366:
	s_or_b64 exec, exec, s[18:19]
	s_and_b64 s[6:7], s[6:7], exec
	s_or_saveexec_b64 s[12:13], s[12:13]
	v_mov_b32_e32 v1, 0x7e00
	s_xor_b64 exec, exec, s[12:13]
	s_cbranch_execnz .LBB159_1387
.LBB159_1367:
	s_or_b64 exec, exec, s[12:13]
	s_and_saveexec_b64 s[12:13], s[6:7]
	s_cbranch_execz .LBB159_1369
.LBB159_1368:
	v_lshlrev_b32_e32 v1, 24, v3
	v_and_b32_e32 v3, 0xffff, v3
	v_and_b32_e32 v5, 3, v3
	v_ffbh_u32_e32 v12, v5
	v_min_u32_e32 v12, 32, v12
	v_subrev_u32_e32 v13, 29, v12
	v_bfe_u32 v8, v3, 2, 5
	v_lshlrev_b32_e32 v3, v13, v3
	v_sub_u32_e32 v12, 30, v12
	v_and_b32_e32 v3, 3, v3
	v_cmp_eq_u32_e32 vcc, 0, v8
	v_cndmask_b32_e32 v8, v8, v12, vcc
	v_cndmask_b32_e32 v3, v5, v3, vcc
	v_mov_b32_e32 v5, 0x37800000
	v_lshlrev_b32_e32 v3, 21, v3
	v_and_b32_e32 v1, 0x80000000, v1
	v_lshl_add_u32 v5, v8, 23, v5
	v_or3_b32 v1, v1, v5, v3
	v_cvt_f16_f32_e32 v1, v1
.LBB159_1369:
	s_or_b64 exec, exec, s[12:13]
	s_mov_b64 s[6:7], 0
	s_branch .LBB159_1375
.LBB159_1370:
	s_mov_b64 s[6:7], -1
                                        ; implicit-def: $vgpr1
	s_branch .LBB159_1381
.LBB159_1371:
	s_or_saveexec_b64 s[18:19], s[18:19]
	v_mov_b32_e32 v1, 0x7e00
	s_xor_b64 exec, exec, s[18:19]
	s_cbranch_execz .LBB159_1355
.LBB159_1372:
	v_cmp_ne_u16_e32 vcc, 0, v3
	s_andn2_b64 s[12:13], s[12:13], exec
	s_and_b64 s[20:21], vcc, exec
	s_or_b64 s[12:13], s[12:13], s[20:21]
	v_mov_b32_e32 v1, v3
	s_or_b64 exec, exec, s[18:19]
	s_and_saveexec_b64 s[18:19], s[12:13]
	s_cbranch_execnz .LBB159_1356
	s_branch .LBB159_1357
.LBB159_1373:
	s_mov_b64 s[6:7], -1
                                        ; implicit-def: $vgpr1
	s_branch .LBB159_1378
.LBB159_1374:
	s_mov_b64 s[6:7], -1
                                        ; implicit-def: $vgpr1
.LBB159_1375:
	s_and_b64 vcc, exec, s[6:7]
	s_cbranch_vccz .LBB159_1377
; %bb.1376:
	global_load_ubyte v1, v[10:11], off
	s_mov_b32 s6, 0x7f800000
	s_waitcnt vmcnt(0)
	v_lshlrev_b32_e32 v1, 24, v1
	v_and_b32_e32 v3, 0x7f000000, v1
	v_ffbh_u32_e32 v5, v3
	v_min_u32_e32 v5, 32, v5
	v_sub_u32_e64 v5, v5, 4 clamp
	v_lshlrev_b32_e32 v12, v5, v3
	v_lshlrev_b32_e32 v5, 23, v5
	v_lshrrev_b32_e32 v12, 4, v12
	v_add_u32_e32 v8, 0x1000000, v3
	v_sub_u32_e32 v5, v12, v5
	v_ashrrev_i32_e32 v8, 8, v8
	v_add_u32_e32 v5, 0x3c000000, v5
	v_and_or_b32 v5, v8, s6, v5
	v_cmp_ne_u32_e32 vcc, 0, v3
	v_cndmask_b32_e32 v3, 0, v5, vcc
	s_brev_b32 s6, 1
	v_and_or_b32 v1, v1, s6, v3
	v_cvt_f16_f32_e32 v1, v1
.LBB159_1377:
	s_mov_b64 s[6:7], 0
.LBB159_1378:
	s_andn2_b64 vcc, exec, s[6:7]
	s_cbranch_vccnz .LBB159_1380
; %bb.1379:
	global_load_ubyte v1, v[10:11], off
	s_movk_i32 s6, 0x7f00
	s_brev_b32 s7, 16
	s_waitcnt vmcnt(0)
	v_lshlrev_b16_e32 v3, 8, v1
	v_lshlrev_b32_e32 v1, 25, v1
	v_lshrrev_b32_e32 v5, 4, v1
	v_and_or_b32 v8, v3, s6, 0.5
	v_or_b32_e32 v5, 0x70000000, v5
	v_add_f32_e32 v8, -0.5, v8
	v_mul_f32_e32 v5, 0x7800000, v5
	v_cmp_gt_u32_e32 vcc, s7, v1
	v_bfe_i32 v3, v3, 0, 16
	v_cndmask_b32_e32 v1, v5, v8, vcc
	s_brev_b32 s6, 1
	v_and_or_b32 v1, v3, s6, v1
	v_cvt_f16_f32_e32 v1, v1
.LBB159_1380:
	s_mov_b64 s[6:7], 0
	s_mov_b64 s[12:13], -1
.LBB159_1381:
	s_andn2_b64 vcc, exec, s[6:7]
	s_mov_b64 s[6:7], 0
	s_cbranch_vccnz .LBB159_1392
; %bb.1382:
	s_cmp_gt_i32 s22, 14
	s_cbranch_scc0 .LBB159_1385
; %bb.1383:
	s_cmp_eq_u32 s22, 15
	s_cbranch_scc0 .LBB159_1388
; %bb.1384:
	global_load_ushort v1, v[10:11], off
	s_mov_b64 s[0:1], 0
	s_mov_b64 s[12:13], -1
	s_waitcnt vmcnt(0)
	v_lshlrev_b32_e32 v1, 16, v1
	v_cvt_f16_f32_e32 v1, v1
	s_branch .LBB159_1389
.LBB159_1385:
	s_mov_b64 s[18:19], -1
                                        ; implicit-def: $vgpr1
	s_branch .LBB159_1390
.LBB159_1386:
	s_or_saveexec_b64 s[12:13], s[12:13]
	v_mov_b32_e32 v1, 0x7e00
	s_xor_b64 exec, exec, s[12:13]
	s_cbranch_execz .LBB159_1367
.LBB159_1387:
	v_cmp_ne_u16_e32 vcc, 0, v3
	s_andn2_b64 s[6:7], s[6:7], exec
	s_and_b64 s[18:19], vcc, exec
	s_or_b64 s[6:7], s[6:7], s[18:19]
	v_mov_b32_e32 v1, v3
	s_or_b64 exec, exec, s[12:13]
	s_and_saveexec_b64 s[12:13], s[6:7]
	s_cbranch_execnz .LBB159_1368
	s_branch .LBB159_1369
.LBB159_1388:
	s_mov_b64 s[0:1], -1
                                        ; implicit-def: $vgpr1
.LBB159_1389:
	s_mov_b64 s[18:19], 0
.LBB159_1390:
	s_and_b64 vcc, exec, s[18:19]
	s_cbranch_vccz .LBB159_1392
; %bb.1391:
	s_cmp_lg_u32 s22, 11
	s_mov_b64 s[6:7], -1
	s_cselect_b64 s[0:1], -1, 0
.LBB159_1392:
	s_waitcnt vmcnt(0)
	v_mov_b32_e32 v3, 0
.LBB159_1393:
	s_and_b64 vcc, exec, s[0:1]
	s_cbranch_vccnz .LBB159_1474
; %bb.1394:
	s_andn2_b64 vcc, exec, s[6:7]
	s_cbranch_vccnz .LBB159_1396
.LBB159_1395:
	global_load_ubyte v1, v[10:11], off
	v_mov_b32_e32 v5, 0x3c00
	s_waitcnt vmcnt(1)
	v_mov_b32_e32 v3, 0
	s_mov_b64 s[12:13], -1
	s_waitcnt vmcnt(0)
	v_cmp_ne_u16_e32 vcc, 0, v1
	v_cndmask_b32_e32 v1, 0, v5, vcc
.LBB159_1396:
	s_branch .LBB159_1319
.LBB159_1397:
	s_and_b32 s6, 0xffff, s14
	s_cmp_lt_i32 s6, 5
	s_cbranch_scc1 .LBB159_1402
; %bb.1398:
	s_cmp_lt_i32 s6, 8
	s_cbranch_scc1 .LBB159_1404
; %bb.1399:
	;; [unrolled: 3-line block ×3, first 2 shown]
	s_cmp_gt_i32 s6, 9
	s_cbranch_scc0 .LBB159_1406
; %bb.1401:
	global_load_dwordx4 v[12:15], v[10:11], off
	s_movk_i32 s0, 0x1ff
	s_movk_i32 s1, 0xffe
	v_mov_b32_e32 v1, 0x7c00
	s_waitcnt vmcnt(1)
	v_mov_b32_e32 v3, 0x7e00
	s_movk_i32 s7, 0x40f
	s_mov_b32 s12, 0x8000
	s_waitcnt vmcnt(0)
	v_and_or_b32 v5, v13, s0, v12
	v_and_or_b32 v14, v15, s0, v14
	v_cmp_ne_u32_e32 vcc, 0, v5
	v_lshrrev_b32_e32 v8, 8, v13
	v_bfe_u32 v12, v13, 20, 11
	v_cndmask_b32_e64 v5, 0, 1, vcc
	v_cmp_ne_u32_e32 vcc, 0, v14
	v_lshrrev_b32_e32 v16, 8, v15
	v_bfe_u32 v17, v15, 20, 11
	v_sub_u32_e32 v18, 0x3f1, v12
	v_cndmask_b32_e64 v14, 0, 1, vcc
	v_and_or_b32 v5, v8, s1, v5
	v_add_u32_e32 v12, 0xfffffc10, v12
	v_sub_u32_e32 v19, 0x3f1, v17
	v_add_u32_e32 v17, 0xfffffc10, v17
	v_med3_i32 v8, v18, 0, 13
	v_and_or_b32 v14, v16, s1, v14
	v_or_b32_e32 v18, 0x1000, v5
	v_cmp_ne_u32_e32 vcc, 0, v5
	v_med3_i32 v16, v19, 0, 13
	v_lshl_or_b32 v19, v12, 12, v5
	v_cndmask_b32_e32 v5, v1, v3, vcc
	v_or_b32_e32 v20, 0x1000, v14
	v_lshl_or_b32 v21, v17, 12, v14
	v_cmp_ne_u32_e32 vcc, 0, v14
	v_lshrrev_b32_e32 v14, v8, v18
	v_lshrrev_b32_e32 v22, v16, v20
	v_lshlrev_b32_e32 v8, v8, v14
	v_cndmask_b32_e32 v3, v1, v3, vcc
	v_lshlrev_b32_e32 v16, v16, v22
	v_cmp_ne_u32_e32 vcc, v8, v18
	v_cndmask_b32_e64 v8, 0, 1, vcc
	v_cmp_ne_u32_e32 vcc, v16, v20
	v_cndmask_b32_e64 v16, 0, 1, vcc
	v_or_b32_e32 v8, v14, v8
	v_cmp_gt_i32_e32 vcc, 1, v12
	v_cndmask_b32_e32 v8, v19, v8, vcc
	v_or_b32_e32 v14, v22, v16
	v_cmp_gt_i32_e32 vcc, 1, v17
	v_and_b32_e32 v16, 7, v8
	v_cndmask_b32_e32 v14, v21, v14, vcc
	v_cmp_lt_i32_e32 vcc, 5, v16
	v_and_b32_e32 v18, 7, v14
	v_cndmask_b32_e64 v19, 0, 1, vcc
	v_cmp_eq_u32_e32 vcc, 3, v16
	v_cndmask_b32_e64 v16, 0, 1, vcc
	v_cmp_lt_i32_e32 vcc, 5, v18
	v_cndmask_b32_e64 v20, 0, 1, vcc
	v_cmp_eq_u32_e32 vcc, 3, v18
	v_lshrrev_b32_e32 v8, 2, v8
	v_cndmask_b32_e64 v18, 0, 1, vcc
	v_or_b32_e32 v16, v16, v19
	v_lshrrev_b32_e32 v14, 2, v14
	v_or_b32_e32 v18, v18, v20
	v_add_u32_e32 v8, v8, v16
	v_cmp_gt_i32_e32 vcc, 31, v12
	v_add_u32_e32 v14, v14, v18
	v_cndmask_b32_e32 v8, v1, v8, vcc
	v_cmp_gt_i32_e32 vcc, 31, v17
	v_cndmask_b32_e32 v1, v1, v14, vcc
	v_cmp_eq_u32_e32 vcc, s7, v12
	v_cndmask_b32_e32 v5, v8, v5, vcc
	v_cmp_eq_u32_e32 vcc, s7, v17
	v_lshrrev_b32_e32 v13, 16, v13
	v_lshrrev_b32_e32 v15, 16, v15
	v_cndmask_b32_e32 v3, v1, v3, vcc
	v_and_or_b32 v1, v13, s12, v5
	v_and_or_b32 v3, v15, s12, v3
	s_mov_b64 s[0:1], 0
	s_branch .LBB159_1407
.LBB159_1402:
                                        ; implicit-def: $vgpr3
                                        ; implicit-def: $vgpr1
	s_branch .LBB159_1426
.LBB159_1403:
	s_branch .LBB159_1446
.LBB159_1404:
	s_mov_b64 s[0:1], -1
                                        ; implicit-def: $vgpr3
                                        ; implicit-def: $vgpr1
	s_branch .LBB159_1413
.LBB159_1405:
	s_mov_b64 s[0:1], -1
                                        ; implicit-def: $vgpr3
                                        ; implicit-def: $vgpr1
	s_branch .LBB159_1410
.LBB159_1406:
	s_mov_b64 s[0:1], -1
                                        ; implicit-def: $vgpr3
                                        ; implicit-def: $vgpr1
.LBB159_1407:
	s_andn2_b64 vcc, exec, s[0:1]
	s_cbranch_vccnz .LBB159_1409
; %bb.1408:
	global_load_dwordx2 v[12:13], v[10:11], off
	s_waitcnt vmcnt(0)
	v_cvt_f16_f32_e32 v1, v12
	v_cvt_f16_f32_e32 v3, v13
.LBB159_1409:
	s_mov_b64 s[0:1], 0
.LBB159_1410:
	s_andn2_b64 vcc, exec, s[0:1]
	s_cbranch_vccnz .LBB159_1412
; %bb.1411:
	global_load_dword v1, v[10:11], off
	s_waitcnt vmcnt(0)
	v_lshrrev_b32_e32 v3, 16, v1
.LBB159_1412:
	s_mov_b64 s[0:1], 0
.LBB159_1413:
	s_andn2_b64 vcc, exec, s[0:1]
	s_cbranch_vccnz .LBB159_1425
; %bb.1414:
	s_cmp_lt_i32 s6, 6
	s_cbranch_scc1 .LBB159_1417
; %bb.1415:
	s_cmp_gt_i32 s6, 6
	s_cbranch_scc0 .LBB159_1418
; %bb.1416:
	global_load_dwordx2 v[12:13], v[10:11], off
	s_movk_i32 s0, 0x1ff
	s_movk_i32 s1, 0xffe
	v_mov_b32_e32 v1, 0x7c00
	s_waitcnt vmcnt(1)
	v_mov_b32_e32 v3, 0x7e00
	s_movk_i32 s7, 0x40f
	s_mov_b32 s12, 0x8000
	s_waitcnt vmcnt(0)
	v_and_or_b32 v5, v13, s0, v12
	v_cmp_ne_u32_e32 vcc, 0, v5
	v_lshrrev_b32_e32 v8, 8, v13
	v_bfe_u32 v12, v13, 20, 11
	v_cndmask_b32_e64 v5, 0, 1, vcc
	v_sub_u32_e32 v14, 0x3f1, v12
	v_and_or_b32 v5, v8, s1, v5
	v_add_u32_e32 v12, 0xfffffc10, v12
	v_med3_i32 v8, v14, 0, 13
	v_or_b32_e32 v14, 0x1000, v5
	v_lshl_or_b32 v15, v12, 12, v5
	v_cmp_ne_u32_e32 vcc, 0, v5
	v_lshrrev_b32_e32 v5, v8, v14
	v_lshlrev_b32_e32 v8, v8, v5
	v_cndmask_b32_e32 v3, v1, v3, vcc
	v_cmp_ne_u32_e32 vcc, v8, v14
	v_cndmask_b32_e64 v8, 0, 1, vcc
	v_or_b32_e32 v5, v5, v8
	v_cmp_gt_i32_e32 vcc, 1, v12
	v_cndmask_b32_e32 v5, v15, v5, vcc
	v_and_b32_e32 v8, 7, v5
	v_cmp_lt_i32_e32 vcc, 5, v8
	v_cndmask_b32_e64 v14, 0, 1, vcc
	v_cmp_eq_u32_e32 vcc, 3, v8
	v_cndmask_b32_e64 v8, 0, 1, vcc
	v_lshrrev_b32_e32 v5, 2, v5
	v_or_b32_e32 v8, v8, v14
	v_add_u32_e32 v5, v5, v8
	v_cmp_gt_i32_e32 vcc, 31, v12
	v_cndmask_b32_e32 v1, v1, v5, vcc
	v_cmp_eq_u32_e32 vcc, s7, v12
	v_lshrrev_b32_e32 v13, 16, v13
	v_cndmask_b32_e32 v1, v1, v3, vcc
	v_and_or_b32 v1, v13, s12, v1
	s_mov_b64 s[0:1], 0
	s_branch .LBB159_1419
.LBB159_1417:
	s_mov_b64 s[0:1], -1
                                        ; implicit-def: $vgpr1
	s_branch .LBB159_1422
.LBB159_1418:
	s_mov_b64 s[0:1], -1
                                        ; implicit-def: $vgpr1
.LBB159_1419:
	s_andn2_b64 vcc, exec, s[0:1]
	s_cbranch_vccnz .LBB159_1421
; %bb.1420:
	global_load_dword v1, v[10:11], off
	s_waitcnt vmcnt(0)
	v_cvt_f16_f32_e32 v1, v1
.LBB159_1421:
	s_mov_b64 s[0:1], 0
.LBB159_1422:
	s_andn2_b64 vcc, exec, s[0:1]
	s_cbranch_vccnz .LBB159_1424
; %bb.1423:
	global_load_ushort v1, v[10:11], off
.LBB159_1424:
	s_waitcnt vmcnt(0)
	v_mov_b32_e32 v3, 0
.LBB159_1425:
	s_cbranch_execnz .LBB159_1403
.LBB159_1426:
	s_cmp_lt_i32 s6, 2
	s_cbranch_scc1 .LBB159_1430
; %bb.1427:
	s_cmp_lt_i32 s6, 3
	s_cbranch_scc1 .LBB159_1431
; %bb.1428:
	s_cmp_gt_i32 s6, 3
	s_cbranch_scc0 .LBB159_1432
; %bb.1429:
	global_load_dwordx2 v[12:13], v[10:11], off
	s_mov_b64 s[0:1], 0
	s_waitcnt vmcnt(0)
	v_xor_b32_e32 v3, v12, v13
	v_ffbh_i32_e32 v1, v13
	v_ashrrev_i32_e32 v3, 31, v3
	v_add_u32_e32 v1, -1, v1
	v_add_u32_e32 v3, 32, v3
	v_min_u32_e32 v1, v1, v3
	v_lshlrev_b64 v[12:13], v1, v[12:13]
	v_sub_u32_e32 v1, 32, v1
	v_min_u32_e32 v3, 1, v12
	v_or_b32_e32 v3, v13, v3
	v_cvt_f32_i32_e32 v3, v3
	v_ldexp_f32 v1, v3, v1
	v_cvt_f16_f32_e32 v1, v1
	s_branch .LBB159_1433
.LBB159_1430:
	s_mov_b64 s[0:1], -1
                                        ; implicit-def: $vgpr1
	s_branch .LBB159_1439
.LBB159_1431:
	s_mov_b64 s[0:1], -1
                                        ; implicit-def: $vgpr1
	s_branch .LBB159_1436
.LBB159_1432:
	s_mov_b64 s[0:1], -1
                                        ; implicit-def: $vgpr1
.LBB159_1433:
	s_andn2_b64 vcc, exec, s[0:1]
	s_cbranch_vccnz .LBB159_1435
; %bb.1434:
	global_load_dword v1, v[10:11], off
	s_waitcnt vmcnt(0)
	v_cvt_f32_i32_e32 v1, v1
	v_cvt_f16_f32_e32 v1, v1
.LBB159_1435:
	s_mov_b64 s[0:1], 0
.LBB159_1436:
	s_andn2_b64 vcc, exec, s[0:1]
	s_cbranch_vccnz .LBB159_1438
; %bb.1437:
	global_load_ushort v1, v[10:11], off
	s_waitcnt vmcnt(0)
	v_cvt_f16_i16_e32 v1, v1
.LBB159_1438:
	s_mov_b64 s[0:1], 0
.LBB159_1439:
	s_andn2_b64 vcc, exec, s[0:1]
	s_cbranch_vccnz .LBB159_1445
; %bb.1440:
	s_cmp_gt_i32 s6, 0
	s_cbranch_scc0 .LBB159_1442
; %bb.1441:
	global_load_sbyte v1, v[10:11], off
	s_mov_b64 s[0:1], 0
	s_waitcnt vmcnt(0)
	v_cvt_f16_i16_e32 v1, v1
	s_branch .LBB159_1443
.LBB159_1442:
	s_mov_b64 s[0:1], -1
                                        ; implicit-def: $vgpr1
.LBB159_1443:
	s_andn2_b64 vcc, exec, s[0:1]
	s_cbranch_vccnz .LBB159_1445
; %bb.1444:
	global_load_ubyte v1, v[10:11], off
	s_waitcnt vmcnt(0)
	v_cvt_f16_u16_e32 v1, v1
.LBB159_1445:
	s_waitcnt vmcnt(0)
	v_mov_b32_e32 v3, 0
.LBB159_1446:
	s_and_b64 vcc, exec, s[16:17]
	s_cbranch_vccz .LBB159_1458
; %bb.1447:
	v_cmp_neq_f16_e32 vcc, s15, v1
	s_waitcnt vmcnt(0)
	v_cmp_neq_f16_e64 s[0:1], s24, v3
	s_or_b64 s[6:7], vcc, s[0:1]
	s_cbranch_execnz .LBB159_1449
.LBB159_1448:
	v_cmp_eq_f16_e32 vcc, s15, v1
	s_waitcnt vmcnt(0)
	v_cmp_eq_f16_e64 s[0:1], s24, v3
	s_and_b64 s[0:1], vcc, s[0:1]
	s_andn2_b64 s[6:7], s[6:7], exec
	s_and_b64 s[0:1], s[0:1], exec
	s_or_b64 s[6:7], s[6:7], s[0:1]
.LBB159_1449:
	v_mov_b32_e32 v1, s11
	v_add_co_u32_e32 v8, vcc, s10, v9
	s_cmp_lt_i32 s14, 11
	v_addc_co_u32_e32 v9, vcc, 0, v1, vcc
	s_cbranch_scc1 .LBB159_1456
; %bb.1450:
	s_and_b32 s25, 0xffff, s14
	s_cmp_gt_i32 s25, 25
	s_mov_b64 s[12:13], 0
	s_cbranch_scc0 .LBB159_1459
; %bb.1451:
	s_cmp_gt_i32 s25, 28
	s_cbranch_scc0 .LBB159_1470
; %bb.1452:
	s_cmp_gt_i32 s25, 43
	;; [unrolled: 3-line block ×3, first 2 shown]
	s_cbranch_scc0 .LBB159_1475
; %bb.1454:
	s_cmp_eq_u32 s25, 46
	s_mov_b64 s[20:21], 0
	s_cbranch_scc0 .LBB159_1533
; %bb.1455:
	global_load_dword v1, v[8:9], off
	s_mov_b64 s[0:1], 0
	s_mov_b64 s[18:19], -1
	s_waitcnt vmcnt(0)
	v_and_b32_e32 v3, 0xffff0000, v1
	v_lshlrev_b32_e32 v1, 16, v1
	v_cvt_f16_f32_e32 v1, v1
	v_cvt_f16_f32_e32 v3, v3
	s_branch .LBB159_1534
.LBB159_1456:
	s_mov_b64 s[18:19], 0
                                        ; implicit-def: $vgpr3
                                        ; implicit-def: $vgpr1
	s_cbranch_execnz .LBB159_1464
.LBB159_1457:
	s_andn2_b64 vcc, exec, s[18:19]
	s_cbranch_vccnz .LBB159_1725
	s_branch .LBB159_1518
.LBB159_1458:
                                        ; implicit-def: $sgpr6_sgpr7
	s_branch .LBB159_1448
.LBB159_1459:
	s_mov_b64 s[18:19], 0
	s_mov_b64 s[0:1], 0
                                        ; implicit-def: $vgpr3
                                        ; implicit-def: $vgpr1
	s_cbranch_execnz .LBB159_1566
.LBB159_1460:
	s_and_b64 vcc, exec, s[0:1]
	s_cbranch_vccnz .LBB159_1599
.LBB159_1461:
	s_andn2_b64 vcc, exec, s[12:13]
	s_cbranch_vccnz .LBB159_1463
.LBB159_1462:
	global_load_ubyte v1, v[8:9], off
	v_mov_b32_e32 v5, 0x3c00
	s_waitcnt vmcnt(1)
	v_mov_b32_e32 v3, 0
	s_mov_b64 s[18:19], -1
	s_waitcnt vmcnt(0)
	v_cmp_ne_u16_e32 vcc, 0, v1
	v_cndmask_b32_e32 v1, 0, v5, vcc
.LBB159_1463:
	s_branch .LBB159_1457
.LBB159_1464:
	s_and_b32 s12, 0xffff, s14
	s_cmp_lt_i32 s12, 5
	s_cbranch_scc1 .LBB159_1469
; %bb.1465:
	s_cmp_lt_i32 s12, 8
	s_cbranch_scc1 .LBB159_1471
; %bb.1466:
	;; [unrolled: 3-line block ×3, first 2 shown]
	s_cmp_gt_i32 s12, 9
	s_cbranch_scc0 .LBB159_1476
; %bb.1468:
	global_load_dwordx4 v[10:13], v[8:9], off
	s_movk_i32 s0, 0x1ff
	s_movk_i32 s1, 0xffe
	v_mov_b32_e32 v1, 0x7c00
	s_waitcnt vmcnt(1)
	v_mov_b32_e32 v3, 0x7e00
	s_movk_i32 s13, 0x40f
	s_mov_b32 s18, 0x8000
	s_waitcnt vmcnt(0)
	v_and_or_b32 v5, v11, s0, v10
	v_and_or_b32 v12, v13, s0, v12
	v_cmp_ne_u32_e32 vcc, 0, v5
	v_lshrrev_b32_e32 v10, 8, v11
	v_bfe_u32 v14, v11, 20, 11
	v_cndmask_b32_e64 v5, 0, 1, vcc
	v_cmp_ne_u32_e32 vcc, 0, v12
	v_lshrrev_b32_e32 v15, 8, v13
	v_bfe_u32 v16, v13, 20, 11
	v_sub_u32_e32 v17, 0x3f1, v14
	v_cndmask_b32_e64 v12, 0, 1, vcc
	v_and_or_b32 v5, v10, s1, v5
	v_add_u32_e32 v14, 0xfffffc10, v14
	v_sub_u32_e32 v18, 0x3f1, v16
	v_add_u32_e32 v16, 0xfffffc10, v16
	v_med3_i32 v10, v17, 0, 13
	v_and_or_b32 v12, v15, s1, v12
	v_or_b32_e32 v17, 0x1000, v5
	v_cmp_ne_u32_e32 vcc, 0, v5
	v_med3_i32 v15, v18, 0, 13
	v_lshl_or_b32 v18, v14, 12, v5
	v_cndmask_b32_e32 v5, v1, v3, vcc
	v_or_b32_e32 v19, 0x1000, v12
	v_lshl_or_b32 v20, v16, 12, v12
	v_cmp_ne_u32_e32 vcc, 0, v12
	v_lshrrev_b32_e32 v12, v10, v17
	v_lshrrev_b32_e32 v21, v15, v19
	v_lshlrev_b32_e32 v10, v10, v12
	v_cndmask_b32_e32 v3, v1, v3, vcc
	v_lshlrev_b32_e32 v15, v15, v21
	v_cmp_ne_u32_e32 vcc, v10, v17
	v_cndmask_b32_e64 v10, 0, 1, vcc
	v_cmp_ne_u32_e32 vcc, v15, v19
	v_cndmask_b32_e64 v15, 0, 1, vcc
	v_or_b32_e32 v10, v12, v10
	v_cmp_gt_i32_e32 vcc, 1, v14
	v_cndmask_b32_e32 v10, v18, v10, vcc
	v_or_b32_e32 v12, v21, v15
	v_cmp_gt_i32_e32 vcc, 1, v16
	v_and_b32_e32 v15, 7, v10
	v_cndmask_b32_e32 v12, v20, v12, vcc
	v_cmp_lt_i32_e32 vcc, 5, v15
	v_and_b32_e32 v17, 7, v12
	v_cndmask_b32_e64 v18, 0, 1, vcc
	v_cmp_eq_u32_e32 vcc, 3, v15
	v_cndmask_b32_e64 v15, 0, 1, vcc
	v_cmp_lt_i32_e32 vcc, 5, v17
	v_cndmask_b32_e64 v19, 0, 1, vcc
	v_cmp_eq_u32_e32 vcc, 3, v17
	v_lshrrev_b32_e32 v10, 2, v10
	v_cndmask_b32_e64 v17, 0, 1, vcc
	v_or_b32_e32 v15, v15, v18
	v_lshrrev_b32_e32 v12, 2, v12
	v_or_b32_e32 v17, v17, v19
	v_add_u32_e32 v10, v10, v15
	v_cmp_gt_i32_e32 vcc, 31, v14
	v_add_u32_e32 v12, v12, v17
	v_cndmask_b32_e32 v10, v1, v10, vcc
	v_cmp_gt_i32_e32 vcc, 31, v16
	v_cndmask_b32_e32 v1, v1, v12, vcc
	v_cmp_eq_u32_e32 vcc, s13, v14
	v_cndmask_b32_e32 v5, v10, v5, vcc
	v_cmp_eq_u32_e32 vcc, s13, v16
	v_lshrrev_b32_e32 v11, 16, v11
	v_lshrrev_b32_e32 v13, 16, v13
	v_cndmask_b32_e32 v3, v1, v3, vcc
	v_and_or_b32 v1, v11, s18, v5
	v_and_or_b32 v3, v13, s18, v3
	s_mov_b64 s[0:1], 0
	s_branch .LBB159_1477
.LBB159_1469:
	s_mov_b64 s[0:1], -1
                                        ; implicit-def: $vgpr3
                                        ; implicit-def: $vgpr1
	s_branch .LBB159_1496
.LBB159_1470:
	s_mov_b64 s[20:21], -1
	s_mov_b64 s[18:19], 0
	s_mov_b64 s[0:1], 0
                                        ; implicit-def: $vgpr3
                                        ; implicit-def: $vgpr1
	s_branch .LBB159_1547
.LBB159_1471:
	s_mov_b64 s[0:1], -1
                                        ; implicit-def: $vgpr3
                                        ; implicit-def: $vgpr1
	s_branch .LBB159_1483
.LBB159_1472:
	s_mov_b64 s[20:21], -1
	s_mov_b64 s[18:19], 0
	s_mov_b64 s[0:1], 0
                                        ; implicit-def: $vgpr3
                                        ; implicit-def: $vgpr1
	s_branch .LBB159_1541
.LBB159_1473:
	s_mov_b64 s[0:1], -1
                                        ; implicit-def: $vgpr3
                                        ; implicit-def: $vgpr1
	s_branch .LBB159_1480
.LBB159_1474:
	s_trap 2
	s_or_b64 s[2:3], s[2:3], exec
	s_cbranch_execz .LBB159_1395
	s_branch .LBB159_1396
.LBB159_1475:
	s_mov_b64 s[20:21], -1
	s_mov_b64 s[18:19], 0
	s_mov_b64 s[0:1], 0
                                        ; implicit-def: $vgpr3
                                        ; implicit-def: $vgpr1
	s_branch .LBB159_1534
.LBB159_1476:
	s_mov_b64 s[0:1], -1
                                        ; implicit-def: $vgpr3
                                        ; implicit-def: $vgpr1
.LBB159_1477:
	s_andn2_b64 vcc, exec, s[0:1]
	s_cbranch_vccnz .LBB159_1479
; %bb.1478:
	global_load_dwordx2 v[10:11], v[8:9], off
	s_waitcnt vmcnt(0)
	v_cvt_f16_f32_e32 v1, v10
	v_cvt_f16_f32_e32 v3, v11
.LBB159_1479:
	s_mov_b64 s[0:1], 0
.LBB159_1480:
	s_andn2_b64 vcc, exec, s[0:1]
	s_cbranch_vccnz .LBB159_1482
; %bb.1481:
	global_load_dword v1, v[8:9], off
	s_waitcnt vmcnt(0)
	v_lshrrev_b32_e32 v3, 16, v1
.LBB159_1482:
	s_mov_b64 s[0:1], 0
.LBB159_1483:
	s_andn2_b64 vcc, exec, s[0:1]
	s_cbranch_vccnz .LBB159_1495
; %bb.1484:
	s_cmp_lt_i32 s12, 6
	s_cbranch_scc1 .LBB159_1487
; %bb.1485:
	s_cmp_gt_i32 s12, 6
	s_cbranch_scc0 .LBB159_1488
; %bb.1486:
	global_load_dwordx2 v[10:11], v[8:9], off
	s_movk_i32 s0, 0x1ff
	s_movk_i32 s1, 0xffe
	v_mov_b32_e32 v1, 0x7c00
	s_waitcnt vmcnt(1)
	v_mov_b32_e32 v3, 0x7e00
	s_movk_i32 s13, 0x40f
	s_mov_b32 s18, 0x8000
	s_waitcnt vmcnt(0)
	v_and_or_b32 v5, v11, s0, v10
	v_cmp_ne_u32_e32 vcc, 0, v5
	v_lshrrev_b32_e32 v10, 8, v11
	v_bfe_u32 v12, v11, 20, 11
	v_cndmask_b32_e64 v5, 0, 1, vcc
	v_sub_u32_e32 v13, 0x3f1, v12
	v_and_or_b32 v5, v10, s1, v5
	v_add_u32_e32 v12, 0xfffffc10, v12
	v_med3_i32 v10, v13, 0, 13
	v_or_b32_e32 v13, 0x1000, v5
	v_lshl_or_b32 v14, v12, 12, v5
	v_cmp_ne_u32_e32 vcc, 0, v5
	v_lshrrev_b32_e32 v5, v10, v13
	v_lshlrev_b32_e32 v10, v10, v5
	v_cndmask_b32_e32 v3, v1, v3, vcc
	v_cmp_ne_u32_e32 vcc, v10, v13
	v_cndmask_b32_e64 v10, 0, 1, vcc
	v_or_b32_e32 v5, v5, v10
	v_cmp_gt_i32_e32 vcc, 1, v12
	v_cndmask_b32_e32 v5, v14, v5, vcc
	v_and_b32_e32 v10, 7, v5
	v_cmp_lt_i32_e32 vcc, 5, v10
	v_cndmask_b32_e64 v13, 0, 1, vcc
	v_cmp_eq_u32_e32 vcc, 3, v10
	v_cndmask_b32_e64 v10, 0, 1, vcc
	v_lshrrev_b32_e32 v5, 2, v5
	v_or_b32_e32 v10, v10, v13
	v_add_u32_e32 v5, v5, v10
	v_cmp_gt_i32_e32 vcc, 31, v12
	v_cndmask_b32_e32 v1, v1, v5, vcc
	v_cmp_eq_u32_e32 vcc, s13, v12
	v_lshrrev_b32_e32 v11, 16, v11
	v_cndmask_b32_e32 v1, v1, v3, vcc
	v_and_or_b32 v1, v11, s18, v1
	s_mov_b64 s[0:1], 0
	s_branch .LBB159_1489
.LBB159_1487:
	s_mov_b64 s[0:1], -1
                                        ; implicit-def: $vgpr1
	s_branch .LBB159_1492
.LBB159_1488:
	s_mov_b64 s[0:1], -1
                                        ; implicit-def: $vgpr1
.LBB159_1489:
	s_andn2_b64 vcc, exec, s[0:1]
	s_cbranch_vccnz .LBB159_1491
; %bb.1490:
	global_load_dword v1, v[8:9], off
	s_waitcnt vmcnt(0)
	v_cvt_f16_f32_e32 v1, v1
.LBB159_1491:
	s_mov_b64 s[0:1], 0
.LBB159_1492:
	s_andn2_b64 vcc, exec, s[0:1]
	s_cbranch_vccnz .LBB159_1494
; %bb.1493:
	global_load_ushort v1, v[8:9], off
.LBB159_1494:
	s_waitcnt vmcnt(0)
	v_mov_b32_e32 v3, 0
.LBB159_1495:
	s_mov_b64 s[0:1], 0
.LBB159_1496:
	s_andn2_b64 vcc, exec, s[0:1]
	s_cbranch_vccnz .LBB159_1517
; %bb.1497:
	s_cmp_lt_i32 s12, 2
	s_cbranch_scc1 .LBB159_1501
; %bb.1498:
	s_cmp_lt_i32 s12, 3
	s_cbranch_scc1 .LBB159_1502
; %bb.1499:
	s_cmp_gt_i32 s12, 3
	s_cbranch_scc0 .LBB159_1503
; %bb.1500:
	global_load_dwordx2 v[10:11], v[8:9], off
	s_mov_b64 s[0:1], 0
	s_waitcnt vmcnt(0)
	v_xor_b32_e32 v3, v10, v11
	v_ffbh_i32_e32 v1, v11
	v_ashrrev_i32_e32 v3, 31, v3
	v_add_u32_e32 v1, -1, v1
	v_add_u32_e32 v3, 32, v3
	v_min_u32_e32 v1, v1, v3
	v_lshlrev_b64 v[10:11], v1, v[10:11]
	v_sub_u32_e32 v1, 32, v1
	v_min_u32_e32 v3, 1, v10
	v_or_b32_e32 v3, v11, v3
	v_cvt_f32_i32_e32 v3, v3
	v_ldexp_f32 v1, v3, v1
	v_cvt_f16_f32_e32 v1, v1
	s_branch .LBB159_1504
.LBB159_1501:
	s_mov_b64 s[0:1], -1
                                        ; implicit-def: $vgpr1
	s_branch .LBB159_1510
.LBB159_1502:
	s_mov_b64 s[0:1], -1
                                        ; implicit-def: $vgpr1
	s_branch .LBB159_1507
.LBB159_1503:
	s_mov_b64 s[0:1], -1
                                        ; implicit-def: $vgpr1
.LBB159_1504:
	s_andn2_b64 vcc, exec, s[0:1]
	s_cbranch_vccnz .LBB159_1506
; %bb.1505:
	global_load_dword v1, v[8:9], off
	s_waitcnt vmcnt(0)
	v_cvt_f32_i32_e32 v1, v1
	v_cvt_f16_f32_e32 v1, v1
.LBB159_1506:
	s_mov_b64 s[0:1], 0
.LBB159_1507:
	s_andn2_b64 vcc, exec, s[0:1]
	s_cbranch_vccnz .LBB159_1509
; %bb.1508:
	global_load_ushort v1, v[8:9], off
	s_waitcnt vmcnt(0)
	v_cvt_f16_i16_e32 v1, v1
.LBB159_1509:
	s_mov_b64 s[0:1], 0
.LBB159_1510:
	s_andn2_b64 vcc, exec, s[0:1]
	s_cbranch_vccnz .LBB159_1516
; %bb.1511:
	s_cmp_gt_i32 s12, 0
	s_cbranch_scc0 .LBB159_1513
; %bb.1512:
	global_load_sbyte v1, v[8:9], off
	s_mov_b64 s[0:1], 0
	s_waitcnt vmcnt(0)
	v_cvt_f16_i16_e32 v1, v1
	s_branch .LBB159_1514
.LBB159_1513:
	s_mov_b64 s[0:1], -1
                                        ; implicit-def: $vgpr1
.LBB159_1514:
	s_andn2_b64 vcc, exec, s[0:1]
	s_cbranch_vccnz .LBB159_1516
; %bb.1515:
	global_load_ubyte v1, v[8:9], off
	s_waitcnt vmcnt(0)
	v_cvt_f16_u16_e32 v1, v1
.LBB159_1516:
	s_waitcnt vmcnt(0)
	v_mov_b32_e32 v3, 0
.LBB159_1517:
.LBB159_1518:
	s_and_b64 vcc, exec, s[16:17]
	s_cbranch_vccz .LBB159_1529
; %bb.1519:
	v_cmp_neq_f16_e32 vcc, s15, v1
	s_waitcnt vmcnt(0)
	v_cmp_neq_f16_e64 s[0:1], s24, v3
	s_or_b64 s[12:13], vcc, s[0:1]
	s_cbranch_execnz .LBB159_1521
.LBB159_1520:
	v_cmp_eq_f16_e32 vcc, s15, v1
	s_waitcnt vmcnt(0)
	v_cmp_eq_f16_e64 s[0:1], s24, v3
	s_and_b64 s[0:1], vcc, s[0:1]
	s_andn2_b64 s[12:13], s[12:13], exec
	s_and_b64 s[0:1], s[0:1], exec
	s_or_b64 s[12:13], s[12:13], s[0:1]
.LBB159_1521:
	v_mov_b32_e32 v1, s11
	v_add_co_u32_e32 v7, vcc, s10, v7
	s_cmp_lt_i32 s14, 11
	v_addc_co_u32_e32 v8, vcc, 0, v1, vcc
	s_cbranch_scc1 .LBB159_1528
; %bb.1522:
	s_and_b32 s25, 0xffff, s14
	s_cmp_gt_i32 s25, 25
	s_mov_b64 s[10:11], 0
	s_cbranch_scc0 .LBB159_1530
; %bb.1523:
	s_cmp_gt_i32 s25, 28
	s_cbranch_scc0 .LBB159_1531
; %bb.1524:
	s_cmp_gt_i32 s25, 43
	;; [unrolled: 3-line block ×3, first 2 shown]
	s_cbranch_scc0 .LBB159_1537
; %bb.1526:
	s_cmp_eq_u32 s25, 46
	s_mov_b64 s[20:21], 0
	s_cbranch_scc0 .LBB159_1600
; %bb.1527:
	global_load_dword v1, v[7:8], off
	s_mov_b64 s[0:1], 0
	s_mov_b64 s[18:19], -1
	s_waitcnt vmcnt(0)
	v_and_b32_e32 v3, 0xffff0000, v1
	v_lshlrev_b32_e32 v1, 16, v1
	v_cvt_f16_f32_e32 v1, v1
	v_cvt_f16_f32_e32 v3, v3
	s_branch .LBB159_1601
.LBB159_1528:
	s_mov_b64 s[0:1], -1
	s_mov_b64 s[18:19], 0
                                        ; implicit-def: $vgpr3
                                        ; implicit-def: $vgpr1
	s_branch .LBB159_1647
.LBB159_1529:
                                        ; implicit-def: $sgpr12_sgpr13
	s_branch .LBB159_1520
.LBB159_1530:
	s_mov_b64 s[20:21], -1
	s_mov_b64 s[18:19], 0
	s_mov_b64 s[0:1], 0
                                        ; implicit-def: $vgpr3
                                        ; implicit-def: $vgpr1
	s_branch .LBB159_1632
.LBB159_1531:
	s_mov_b64 s[20:21], -1
	s_mov_b64 s[18:19], 0
	s_mov_b64 s[0:1], 0
                                        ; implicit-def: $vgpr3
                                        ; implicit-def: $vgpr1
	s_branch .LBB159_1613
.LBB159_1532:
	s_mov_b64 s[20:21], -1
	s_mov_b64 s[18:19], 0
	s_mov_b64 s[0:1], 0
                                        ; implicit-def: $vgpr3
                                        ; implicit-def: $vgpr1
	s_branch .LBB159_1607
.LBB159_1533:
	s_mov_b64 s[0:1], -1
                                        ; implicit-def: $vgpr3
                                        ; implicit-def: $vgpr1
	s_mov_b64 s[18:19], 0
.LBB159_1534:
	s_and_b64 vcc, exec, s[20:21]
	s_cbranch_vccz .LBB159_1540
; %bb.1535:
	s_cmp_eq_u32 s25, 44
	s_cbranch_scc0 .LBB159_1538
; %bb.1536:
	global_load_ubyte v1, v[8:9], off
	s_movk_i32 s18, 0xff
	v_mov_b32_e32 v5, 0x7e00
	s_mov_b64 s[0:1], 0
	s_waitcnt vmcnt(0)
	v_lshlrev_b32_e32 v3, 23, v1
	v_cvt_f16_f32_e32 v3, v3
	v_cmp_ne_u32_e32 vcc, s18, v1
	s_mov_b64 s[18:19], -1
	v_cndmask_b32_e32 v3, v5, v3, vcc
	v_cmp_ne_u32_e32 vcc, 0, v1
	v_cndmask_b32_e32 v1, 0, v3, vcc
	s_branch .LBB159_1539
.LBB159_1537:
	s_mov_b64 s[20:21], -1
	s_mov_b64 s[18:19], 0
	s_mov_b64 s[0:1], 0
                                        ; implicit-def: $vgpr3
                                        ; implicit-def: $vgpr1
	s_branch .LBB159_1601
.LBB159_1538:
	s_mov_b64 s[0:1], -1
                                        ; implicit-def: $vgpr1
.LBB159_1539:
	s_waitcnt vmcnt(0)
	v_mov_b32_e32 v3, 0
.LBB159_1540:
	s_mov_b64 s[20:21], 0
.LBB159_1541:
	s_and_b64 vcc, exec, s[20:21]
	s_cbranch_vccz .LBB159_1546
; %bb.1542:
	s_cmp_eq_u32 s25, 29
	s_cbranch_scc0 .LBB159_1544
; %bb.1543:
	global_load_dwordx2 v[10:11], v[8:9], off
	s_mov_b64 s[0:1], 0
	s_mov_b64 s[18:19], -1
	s_waitcnt vmcnt(0)
	v_ffbh_u32_e32 v1, v11
	v_min_u32_e32 v1, 32, v1
	v_lshlrev_b64 v[10:11], v1, v[10:11]
	v_sub_u32_e32 v1, 32, v1
	v_min_u32_e32 v3, 1, v10
	v_or_b32_e32 v3, v11, v3
	v_cvt_f32_u32_e32 v3, v3
	v_ldexp_f32 v1, v3, v1
	v_cvt_f16_f32_e32 v1, v1
	s_branch .LBB159_1545
.LBB159_1544:
	s_mov_b64 s[0:1], -1
                                        ; implicit-def: $vgpr1
.LBB159_1545:
	s_waitcnt vmcnt(0)
	v_mov_b32_e32 v3, 0
.LBB159_1546:
	s_mov_b64 s[20:21], 0
.LBB159_1547:
	s_and_b64 vcc, exec, s[20:21]
	s_cbranch_vccz .LBB159_1565
; %bb.1548:
	s_cmp_lt_i32 s25, 27
	s_cbranch_scc1 .LBB159_1551
; %bb.1549:
	s_cmp_gt_i32 s25, 27
	s_cbranch_scc0 .LBB159_1552
; %bb.1550:
	global_load_dword v1, v[8:9], off
	s_mov_b64 s[18:19], 0
	s_waitcnt vmcnt(0)
	v_cvt_f32_u32_e32 v1, v1
	v_cvt_f16_f32_e32 v1, v1
	s_branch .LBB159_1553
.LBB159_1551:
	s_mov_b64 s[18:19], -1
                                        ; implicit-def: $vgpr1
	s_branch .LBB159_1556
.LBB159_1552:
	s_mov_b64 s[18:19], -1
                                        ; implicit-def: $vgpr1
.LBB159_1553:
	s_andn2_b64 vcc, exec, s[18:19]
	s_cbranch_vccnz .LBB159_1555
; %bb.1554:
	global_load_ushort v1, v[8:9], off
	s_waitcnt vmcnt(0)
	v_cvt_f16_u16_e32 v1, v1
.LBB159_1555:
	s_mov_b64 s[18:19], 0
.LBB159_1556:
	s_andn2_b64 vcc, exec, s[18:19]
	s_cbranch_vccnz .LBB159_1564
; %bb.1557:
	global_load_ubyte v3, v[8:9], off
	s_movk_i32 s18, 0x7f
	s_waitcnt vmcnt(0)
	v_cmp_lt_i16_e32 vcc, s18, v3
	s_mov_b64 s[18:19], 0
	s_and_saveexec_b64 s[20:21], vcc
	s_xor_b64 s[20:21], exec, s[20:21]
	s_cbranch_execz .LBB159_1577
; %bb.1558:
	s_movk_i32 s18, 0x80
	v_cmp_eq_u16_e32 vcc, s18, v3
	s_mov_b64 s[18:19], -1
	s_and_saveexec_b64 s[22:23], vcc
; %bb.1559:
	s_xor_b64 s[18:19], exec, -1
; %bb.1560:
	s_or_b64 exec, exec, s[22:23]
	s_and_b64 s[18:19], s[18:19], exec
	s_or_saveexec_b64 s[20:21], s[20:21]
	v_mov_b32_e32 v1, 0x7e00
	s_xor_b64 exec, exec, s[20:21]
	s_cbranch_execnz .LBB159_1578
.LBB159_1561:
	s_or_b64 exec, exec, s[20:21]
	s_and_saveexec_b64 s[20:21], s[18:19]
	s_cbranch_execz .LBB159_1563
.LBB159_1562:
	v_lshlrev_b32_e32 v1, 24, v3
	v_and_b32_e32 v3, 0xffff, v3
	v_and_b32_e32 v5, 7, v3
	v_ffbh_u32_e32 v11, v5
	v_min_u32_e32 v11, 32, v11
	v_subrev_u32_e32 v12, 28, v11
	v_bfe_u32 v10, v3, 3, 4
	v_lshlrev_b32_e32 v3, v12, v3
	v_sub_u32_e32 v11, 29, v11
	v_and_b32_e32 v3, 7, v3
	v_cmp_eq_u32_e32 vcc, 0, v10
	v_cndmask_b32_e32 v10, v10, v11, vcc
	v_cndmask_b32_e32 v3, v5, v3, vcc
	v_mov_b32_e32 v5, 0x3b800000
	v_lshlrev_b32_e32 v3, 20, v3
	v_and_b32_e32 v1, 0x80000000, v1
	v_lshl_add_u32 v5, v10, 23, v5
	v_or3_b32 v1, v1, v5, v3
	v_cvt_f16_f32_e32 v1, v1
.LBB159_1563:
	s_or_b64 exec, exec, s[20:21]
.LBB159_1564:
	s_mov_b64 s[18:19], -1
	s_waitcnt vmcnt(0)
	v_mov_b32_e32 v3, 0
.LBB159_1565:
	s_branch .LBB159_1460
.LBB159_1566:
	s_cmp_gt_i32 s25, 22
	s_cbranch_scc0 .LBB159_1576
; %bb.1567:
	s_cmp_lt_i32 s25, 24
	s_cbranch_scc1 .LBB159_1579
; %bb.1568:
	s_cmp_gt_i32 s25, 24
	s_cbranch_scc0 .LBB159_1580
; %bb.1569:
	global_load_ubyte v3, v[8:9], off
	s_movk_i32 s12, 0x7f
	s_waitcnt vmcnt(0)
	v_cmp_lt_i16_e32 vcc, s12, v3
	s_mov_b64 s[12:13], 0
	s_and_saveexec_b64 s[18:19], vcc
	s_xor_b64 s[18:19], exec, s[18:19]
	s_cbranch_execz .LBB159_1592
; %bb.1570:
	s_movk_i32 s12, 0x80
	v_cmp_eq_u16_e32 vcc, s12, v3
	s_mov_b64 s[12:13], -1
	s_and_saveexec_b64 s[20:21], vcc
; %bb.1571:
	s_xor_b64 s[12:13], exec, -1
; %bb.1572:
	s_or_b64 exec, exec, s[20:21]
	s_and_b64 s[12:13], s[12:13], exec
	s_or_saveexec_b64 s[18:19], s[18:19]
	v_mov_b32_e32 v1, 0x7e00
	s_xor_b64 exec, exec, s[18:19]
	s_cbranch_execnz .LBB159_1593
.LBB159_1573:
	s_or_b64 exec, exec, s[18:19]
	s_and_saveexec_b64 s[18:19], s[12:13]
	s_cbranch_execz .LBB159_1575
.LBB159_1574:
	v_lshlrev_b32_e32 v1, 24, v3
	v_and_b32_e32 v3, 0xffff, v3
	v_and_b32_e32 v5, 3, v3
	v_ffbh_u32_e32 v11, v5
	v_min_u32_e32 v11, 32, v11
	v_subrev_u32_e32 v12, 29, v11
	v_bfe_u32 v10, v3, 2, 5
	v_lshlrev_b32_e32 v3, v12, v3
	v_sub_u32_e32 v11, 30, v11
	v_and_b32_e32 v3, 3, v3
	v_cmp_eq_u32_e32 vcc, 0, v10
	v_cndmask_b32_e32 v10, v10, v11, vcc
	v_cndmask_b32_e32 v3, v5, v3, vcc
	v_mov_b32_e32 v5, 0x37800000
	v_lshlrev_b32_e32 v3, 21, v3
	v_and_b32_e32 v1, 0x80000000, v1
	v_lshl_add_u32 v5, v10, 23, v5
	v_or3_b32 v1, v1, v5, v3
	v_cvt_f16_f32_e32 v1, v1
.LBB159_1575:
	s_or_b64 exec, exec, s[18:19]
	s_mov_b64 s[12:13], 0
	s_branch .LBB159_1581
.LBB159_1576:
	s_mov_b64 s[12:13], -1
                                        ; implicit-def: $vgpr1
	s_branch .LBB159_1587
.LBB159_1577:
	s_or_saveexec_b64 s[20:21], s[20:21]
	v_mov_b32_e32 v1, 0x7e00
	s_xor_b64 exec, exec, s[20:21]
	s_cbranch_execz .LBB159_1561
.LBB159_1578:
	v_cmp_ne_u16_e32 vcc, 0, v3
	s_andn2_b64 s[18:19], s[18:19], exec
	s_and_b64 s[22:23], vcc, exec
	s_or_b64 s[18:19], s[18:19], s[22:23]
	v_mov_b32_e32 v1, v3
	s_or_b64 exec, exec, s[20:21]
	s_and_saveexec_b64 s[20:21], s[18:19]
	s_cbranch_execnz .LBB159_1562
	s_branch .LBB159_1563
.LBB159_1579:
	s_mov_b64 s[12:13], -1
                                        ; implicit-def: $vgpr1
	s_branch .LBB159_1584
.LBB159_1580:
	s_mov_b64 s[12:13], -1
                                        ; implicit-def: $vgpr1
.LBB159_1581:
	s_and_b64 vcc, exec, s[12:13]
	s_cbranch_vccz .LBB159_1583
; %bb.1582:
	global_load_ubyte v1, v[8:9], off
	s_mov_b32 s12, 0x7f800000
	s_waitcnt vmcnt(0)
	v_lshlrev_b32_e32 v1, 24, v1
	v_and_b32_e32 v3, 0x7f000000, v1
	v_ffbh_u32_e32 v5, v3
	v_min_u32_e32 v5, 32, v5
	v_sub_u32_e64 v5, v5, 4 clamp
	v_lshlrev_b32_e32 v11, v5, v3
	v_lshlrev_b32_e32 v5, 23, v5
	v_lshrrev_b32_e32 v11, 4, v11
	v_add_u32_e32 v10, 0x1000000, v3
	v_sub_u32_e32 v5, v11, v5
	v_ashrrev_i32_e32 v10, 8, v10
	v_add_u32_e32 v5, 0x3c000000, v5
	v_and_or_b32 v5, v10, s12, v5
	v_cmp_ne_u32_e32 vcc, 0, v3
	v_cndmask_b32_e32 v3, 0, v5, vcc
	s_brev_b32 s12, 1
	v_and_or_b32 v1, v1, s12, v3
	v_cvt_f16_f32_e32 v1, v1
.LBB159_1583:
	s_mov_b64 s[12:13], 0
.LBB159_1584:
	s_andn2_b64 vcc, exec, s[12:13]
	s_cbranch_vccnz .LBB159_1586
; %bb.1585:
	global_load_ubyte v1, v[8:9], off
	s_movk_i32 s12, 0x7f00
	s_brev_b32 s13, 16
	s_waitcnt vmcnt(0)
	v_lshlrev_b16_e32 v3, 8, v1
	v_lshlrev_b32_e32 v1, 25, v1
	v_lshrrev_b32_e32 v5, 4, v1
	v_and_or_b32 v10, v3, s12, 0.5
	v_or_b32_e32 v5, 0x70000000, v5
	v_add_f32_e32 v10, -0.5, v10
	v_mul_f32_e32 v5, 0x7800000, v5
	v_cmp_gt_u32_e32 vcc, s13, v1
	v_bfe_i32 v3, v3, 0, 16
	v_cndmask_b32_e32 v1, v5, v10, vcc
	s_brev_b32 s12, 1
	v_and_or_b32 v1, v3, s12, v1
	v_cvt_f16_f32_e32 v1, v1
.LBB159_1586:
	s_mov_b64 s[12:13], 0
	s_mov_b64 s[18:19], -1
.LBB159_1587:
	s_andn2_b64 vcc, exec, s[12:13]
	s_mov_b64 s[12:13], 0
	s_cbranch_vccnz .LBB159_1598
; %bb.1588:
	s_cmp_gt_i32 s25, 14
	s_cbranch_scc0 .LBB159_1591
; %bb.1589:
	s_cmp_eq_u32 s25, 15
	s_cbranch_scc0 .LBB159_1594
; %bb.1590:
	global_load_ushort v1, v[8:9], off
	s_mov_b64 s[0:1], 0
	s_mov_b64 s[18:19], -1
	s_waitcnt vmcnt(0)
	v_lshlrev_b32_e32 v1, 16, v1
	v_cvt_f16_f32_e32 v1, v1
	s_branch .LBB159_1595
.LBB159_1591:
	s_mov_b64 s[20:21], -1
                                        ; implicit-def: $vgpr1
	s_branch .LBB159_1596
.LBB159_1592:
	s_or_saveexec_b64 s[18:19], s[18:19]
	v_mov_b32_e32 v1, 0x7e00
	s_xor_b64 exec, exec, s[18:19]
	s_cbranch_execz .LBB159_1573
.LBB159_1593:
	v_cmp_ne_u16_e32 vcc, 0, v3
	s_andn2_b64 s[12:13], s[12:13], exec
	s_and_b64 s[20:21], vcc, exec
	s_or_b64 s[12:13], s[12:13], s[20:21]
	v_mov_b32_e32 v1, v3
	s_or_b64 exec, exec, s[18:19]
	s_and_saveexec_b64 s[18:19], s[12:13]
	s_cbranch_execnz .LBB159_1574
	s_branch .LBB159_1575
.LBB159_1594:
	s_mov_b64 s[0:1], -1
                                        ; implicit-def: $vgpr1
.LBB159_1595:
	s_mov_b64 s[20:21], 0
.LBB159_1596:
	s_and_b64 vcc, exec, s[20:21]
	s_cbranch_vccz .LBB159_1598
; %bb.1597:
	s_cmp_lg_u32 s25, 11
	s_mov_b64 s[12:13], -1
	s_cselect_b64 s[0:1], -1, 0
.LBB159_1598:
	s_waitcnt vmcnt(0)
	v_mov_b32_e32 v3, 0
	s_and_b64 vcc, exec, s[0:1]
	s_cbranch_vccz .LBB159_1461
.LBB159_1599:
	s_trap 2
	s_or_b64 s[2:3], s[2:3], exec
	s_cbranch_execz .LBB159_1462
	s_branch .LBB159_1463
.LBB159_1600:
	s_mov_b64 s[0:1], -1
                                        ; implicit-def: $vgpr3
                                        ; implicit-def: $vgpr1
	s_mov_b64 s[18:19], 0
.LBB159_1601:
	s_and_b64 vcc, exec, s[20:21]
	s_cbranch_vccz .LBB159_1606
; %bb.1602:
	s_cmp_eq_u32 s25, 44
	s_cbranch_scc0 .LBB159_1604
; %bb.1603:
	global_load_ubyte v1, v[7:8], off
	s_movk_i32 s18, 0xff
	v_mov_b32_e32 v5, 0x7e00
	s_mov_b64 s[0:1], 0
	s_waitcnt vmcnt(0)
	v_lshlrev_b32_e32 v3, 23, v1
	v_cvt_f16_f32_e32 v3, v3
	v_cmp_ne_u32_e32 vcc, s18, v1
	s_mov_b64 s[18:19], -1
	v_cndmask_b32_e32 v3, v5, v3, vcc
	v_cmp_ne_u32_e32 vcc, 0, v1
	v_cndmask_b32_e32 v1, 0, v3, vcc
	s_branch .LBB159_1605
.LBB159_1604:
	s_mov_b64 s[0:1], -1
                                        ; implicit-def: $vgpr1
.LBB159_1605:
	s_waitcnt vmcnt(0)
	v_mov_b32_e32 v3, 0
.LBB159_1606:
	s_mov_b64 s[20:21], 0
.LBB159_1607:
	s_and_b64 vcc, exec, s[20:21]
	s_cbranch_vccz .LBB159_1612
; %bb.1608:
	s_cmp_eq_u32 s25, 29
	s_cbranch_scc0 .LBB159_1610
; %bb.1609:
	global_load_dwordx2 v[9:10], v[7:8], off
	s_mov_b64 s[0:1], 0
	s_mov_b64 s[18:19], -1
	s_waitcnt vmcnt(0)
	v_ffbh_u32_e32 v1, v10
	v_min_u32_e32 v1, 32, v1
	v_lshlrev_b64 v[9:10], v1, v[9:10]
	v_sub_u32_e32 v1, 32, v1
	v_min_u32_e32 v3, 1, v9
	v_or_b32_e32 v3, v10, v3
	v_cvt_f32_u32_e32 v3, v3
	v_ldexp_f32 v1, v3, v1
	v_cvt_f16_f32_e32 v1, v1
	s_branch .LBB159_1611
.LBB159_1610:
	s_mov_b64 s[0:1], -1
                                        ; implicit-def: $vgpr1
.LBB159_1611:
	s_waitcnt vmcnt(0)
	v_mov_b32_e32 v3, 0
.LBB159_1612:
	s_mov_b64 s[20:21], 0
.LBB159_1613:
	s_and_b64 vcc, exec, s[20:21]
	s_cbranch_vccz .LBB159_1631
; %bb.1614:
	s_cmp_lt_i32 s25, 27
	s_cbranch_scc1 .LBB159_1617
; %bb.1615:
	s_cmp_gt_i32 s25, 27
	s_cbranch_scc0 .LBB159_1618
; %bb.1616:
	global_load_dword v1, v[7:8], off
	s_mov_b64 s[18:19], 0
	s_waitcnt vmcnt(0)
	v_cvt_f32_u32_e32 v1, v1
	v_cvt_f16_f32_e32 v1, v1
	s_branch .LBB159_1619
.LBB159_1617:
	s_mov_b64 s[18:19], -1
                                        ; implicit-def: $vgpr1
	s_branch .LBB159_1622
.LBB159_1618:
	s_mov_b64 s[18:19], -1
                                        ; implicit-def: $vgpr1
.LBB159_1619:
	s_andn2_b64 vcc, exec, s[18:19]
	s_cbranch_vccnz .LBB159_1621
; %bb.1620:
	global_load_ushort v1, v[7:8], off
	s_waitcnt vmcnt(0)
	v_cvt_f16_u16_e32 v1, v1
.LBB159_1621:
	s_mov_b64 s[18:19], 0
.LBB159_1622:
	s_andn2_b64 vcc, exec, s[18:19]
	s_cbranch_vccnz .LBB159_1630
; %bb.1623:
	global_load_ubyte v3, v[7:8], off
	s_movk_i32 s18, 0x7f
	s_waitcnt vmcnt(0)
	v_cmp_lt_i16_e32 vcc, s18, v3
	s_mov_b64 s[18:19], 0
	s_and_saveexec_b64 s[20:21], vcc
	s_xor_b64 s[20:21], exec, s[20:21]
	s_cbranch_execz .LBB159_1656
; %bb.1624:
	s_movk_i32 s18, 0x80
	v_cmp_eq_u16_e32 vcc, s18, v3
	s_mov_b64 s[18:19], -1
	s_and_saveexec_b64 s[22:23], vcc
; %bb.1625:
	s_xor_b64 s[18:19], exec, -1
; %bb.1626:
	s_or_b64 exec, exec, s[22:23]
	s_and_b64 s[18:19], s[18:19], exec
	s_or_saveexec_b64 s[20:21], s[20:21]
	v_mov_b32_e32 v1, 0x7e00
	s_xor_b64 exec, exec, s[20:21]
	s_cbranch_execnz .LBB159_1657
.LBB159_1627:
	s_or_b64 exec, exec, s[20:21]
	s_and_saveexec_b64 s[20:21], s[18:19]
	s_cbranch_execz .LBB159_1629
.LBB159_1628:
	v_lshlrev_b32_e32 v1, 24, v3
	v_and_b32_e32 v3, 0xffff, v3
	v_and_b32_e32 v5, 7, v3
	v_ffbh_u32_e32 v10, v5
	v_min_u32_e32 v10, 32, v10
	v_subrev_u32_e32 v11, 28, v10
	v_bfe_u32 v9, v3, 3, 4
	v_lshlrev_b32_e32 v3, v11, v3
	v_sub_u32_e32 v10, 29, v10
	v_and_b32_e32 v3, 7, v3
	v_cmp_eq_u32_e32 vcc, 0, v9
	v_cndmask_b32_e32 v9, v9, v10, vcc
	v_cndmask_b32_e32 v3, v5, v3, vcc
	v_mov_b32_e32 v5, 0x3b800000
	v_lshlrev_b32_e32 v3, 20, v3
	v_and_b32_e32 v1, 0x80000000, v1
	v_lshl_add_u32 v5, v9, 23, v5
	v_or3_b32 v1, v1, v5, v3
	v_cvt_f16_f32_e32 v1, v1
.LBB159_1629:
	s_or_b64 exec, exec, s[20:21]
.LBB159_1630:
	s_mov_b64 s[18:19], -1
	s_waitcnt vmcnt(0)
	v_mov_b32_e32 v3, 0
.LBB159_1631:
	s_mov_b64 s[20:21], 0
.LBB159_1632:
	s_and_b64 vcc, exec, s[20:21]
	s_cbranch_vccz .LBB159_1643
; %bb.1633:
	s_cmp_gt_i32 s25, 22
	s_cbranch_scc0 .LBB159_1654
; %bb.1634:
	s_cmp_lt_i32 s25, 24
	s_cbranch_scc1 .LBB159_1658
; %bb.1635:
	s_cmp_gt_i32 s25, 24
	s_cbranch_scc0 .LBB159_1660
; %bb.1636:
	global_load_ubyte v3, v[7:8], off
	s_movk_i32 s10, 0x7f
	s_waitcnt vmcnt(0)
	v_cmp_lt_i16_e32 vcc, s10, v3
	s_mov_b64 s[10:11], 0
	s_and_saveexec_b64 s[18:19], vcc
	s_xor_b64 s[18:19], exec, s[18:19]
	s_cbranch_execz .LBB159_1672
; %bb.1637:
	s_movk_i32 s10, 0x80
	v_cmp_eq_u16_e32 vcc, s10, v3
	s_mov_b64 s[10:11], -1
	s_and_saveexec_b64 s[20:21], vcc
; %bb.1638:
	s_xor_b64 s[10:11], exec, -1
; %bb.1639:
	s_or_b64 exec, exec, s[20:21]
	s_and_b64 s[10:11], s[10:11], exec
	s_or_saveexec_b64 s[18:19], s[18:19]
	v_mov_b32_e32 v1, 0x7e00
	s_xor_b64 exec, exec, s[18:19]
	s_cbranch_execnz .LBB159_1673
.LBB159_1640:
	s_or_b64 exec, exec, s[18:19]
	s_and_saveexec_b64 s[18:19], s[10:11]
	s_cbranch_execz .LBB159_1642
.LBB159_1641:
	v_lshlrev_b32_e32 v1, 24, v3
	v_and_b32_e32 v3, 0xffff, v3
	v_and_b32_e32 v5, 3, v3
	v_ffbh_u32_e32 v10, v5
	v_min_u32_e32 v10, 32, v10
	v_subrev_u32_e32 v11, 29, v10
	v_bfe_u32 v9, v3, 2, 5
	v_lshlrev_b32_e32 v3, v11, v3
	v_sub_u32_e32 v10, 30, v10
	v_and_b32_e32 v3, 3, v3
	v_cmp_eq_u32_e32 vcc, 0, v9
	v_cndmask_b32_e32 v9, v9, v10, vcc
	v_cndmask_b32_e32 v3, v5, v3, vcc
	v_mov_b32_e32 v5, 0x37800000
	v_lshlrev_b32_e32 v3, 21, v3
	v_and_b32_e32 v1, 0x80000000, v1
	v_lshl_add_u32 v5, v9, 23, v5
	v_or3_b32 v1, v1, v5, v3
	v_cvt_f16_f32_e32 v1, v1
.LBB159_1642:
	s_or_b64 exec, exec, s[18:19]
	s_mov_b64 s[10:11], 0
	s_branch .LBB159_1661
.LBB159_1643:
	s_and_b64 vcc, exec, s[0:1]
	s_cbranch_vccnz .LBB159_1691
.LBB159_1644:
	s_andn2_b64 vcc, exec, s[10:11]
	s_cbranch_vccnz .LBB159_1646
.LBB159_1645:
	global_load_ubyte v1, v[7:8], off
	v_mov_b32_e32 v5, 0x3c00
	s_waitcnt vmcnt(1)
	v_mov_b32_e32 v3, 0
	s_mov_b64 s[18:19], -1
	s_waitcnt vmcnt(0)
	v_cmp_ne_u16_e32 vcc, 0, v1
	v_cndmask_b32_e32 v1, 0, v5, vcc
.LBB159_1646:
	s_mov_b64 s[0:1], 0
.LBB159_1647:
	s_and_b64 vcc, exec, s[0:1]
	s_cbranch_vccz .LBB159_1722
; %bb.1648:
	s_and_b32 s10, 0xffff, s14
	s_cmp_lt_i32 s10, 5
	s_cbranch_scc1 .LBB159_1653
; %bb.1649:
	s_cmp_lt_i32 s10, 8
	s_cbranch_scc1 .LBB159_1655
; %bb.1650:
	;; [unrolled: 3-line block ×3, first 2 shown]
	s_cmp_gt_i32 s10, 9
	s_cbranch_scc0 .LBB159_1674
; %bb.1652:
	global_load_dwordx4 v[9:12], v[7:8], off
	s_movk_i32 s0, 0x1ff
	s_movk_i32 s1, 0xffe
	v_mov_b32_e32 v1, 0x7c00
	s_waitcnt vmcnt(1)
	v_mov_b32_e32 v3, 0x7e00
	s_movk_i32 s11, 0x40f
	s_mov_b32 s14, 0x8000
	s_waitcnt vmcnt(0)
	v_and_or_b32 v5, v10, s0, v9
	v_and_or_b32 v11, v12, s0, v11
	v_cmp_ne_u32_e32 vcc, 0, v5
	v_lshrrev_b32_e32 v9, 8, v10
	v_bfe_u32 v13, v10, 20, 11
	v_cndmask_b32_e64 v5, 0, 1, vcc
	v_cmp_ne_u32_e32 vcc, 0, v11
	v_lshrrev_b32_e32 v14, 8, v12
	v_bfe_u32 v15, v12, 20, 11
	v_sub_u32_e32 v16, 0x3f1, v13
	v_cndmask_b32_e64 v11, 0, 1, vcc
	v_and_or_b32 v5, v9, s1, v5
	v_add_u32_e32 v13, 0xfffffc10, v13
	v_sub_u32_e32 v17, 0x3f1, v15
	v_add_u32_e32 v15, 0xfffffc10, v15
	v_med3_i32 v9, v16, 0, 13
	v_and_or_b32 v11, v14, s1, v11
	v_or_b32_e32 v16, 0x1000, v5
	v_cmp_ne_u32_e32 vcc, 0, v5
	v_med3_i32 v14, v17, 0, 13
	v_lshl_or_b32 v17, v13, 12, v5
	v_cndmask_b32_e32 v5, v1, v3, vcc
	v_or_b32_e32 v18, 0x1000, v11
	v_lshl_or_b32 v19, v15, 12, v11
	v_cmp_ne_u32_e32 vcc, 0, v11
	v_lshrrev_b32_e32 v11, v9, v16
	v_lshrrev_b32_e32 v20, v14, v18
	v_lshlrev_b32_e32 v9, v9, v11
	v_cndmask_b32_e32 v3, v1, v3, vcc
	v_lshlrev_b32_e32 v14, v14, v20
	v_cmp_ne_u32_e32 vcc, v9, v16
	v_cndmask_b32_e64 v9, 0, 1, vcc
	v_cmp_ne_u32_e32 vcc, v14, v18
	v_cndmask_b32_e64 v14, 0, 1, vcc
	v_or_b32_e32 v9, v11, v9
	v_cmp_gt_i32_e32 vcc, 1, v13
	v_cndmask_b32_e32 v9, v17, v9, vcc
	v_or_b32_e32 v11, v20, v14
	v_cmp_gt_i32_e32 vcc, 1, v15
	v_and_b32_e32 v14, 7, v9
	v_cndmask_b32_e32 v11, v19, v11, vcc
	v_cmp_lt_i32_e32 vcc, 5, v14
	v_and_b32_e32 v16, 7, v11
	v_cndmask_b32_e64 v17, 0, 1, vcc
	v_cmp_eq_u32_e32 vcc, 3, v14
	v_cndmask_b32_e64 v14, 0, 1, vcc
	v_cmp_lt_i32_e32 vcc, 5, v16
	v_cndmask_b32_e64 v18, 0, 1, vcc
	v_cmp_eq_u32_e32 vcc, 3, v16
	v_lshrrev_b32_e32 v9, 2, v9
	v_cndmask_b32_e64 v16, 0, 1, vcc
	v_or_b32_e32 v14, v14, v17
	v_lshrrev_b32_e32 v11, 2, v11
	v_or_b32_e32 v16, v16, v18
	v_add_u32_e32 v9, v9, v14
	v_cmp_gt_i32_e32 vcc, 31, v13
	v_add_u32_e32 v11, v11, v16
	v_cndmask_b32_e32 v9, v1, v9, vcc
	v_cmp_gt_i32_e32 vcc, 31, v15
	v_cndmask_b32_e32 v1, v1, v11, vcc
	v_cmp_eq_u32_e32 vcc, s11, v13
	v_cndmask_b32_e32 v5, v9, v5, vcc
	v_cmp_eq_u32_e32 vcc, s11, v15
	v_lshrrev_b32_e32 v10, 16, v10
	v_lshrrev_b32_e32 v12, 16, v12
	v_cndmask_b32_e32 v3, v1, v3, vcc
	v_and_or_b32 v1, v10, s14, v5
	v_and_or_b32 v3, v12, s14, v3
	s_mov_b64 s[0:1], 0
	s_branch .LBB159_1675
.LBB159_1653:
	s_mov_b64 s[0:1], -1
                                        ; implicit-def: $vgpr3
                                        ; implicit-def: $vgpr1
	s_branch .LBB159_1700
.LBB159_1654:
	s_mov_b64 s[10:11], -1
                                        ; implicit-def: $vgpr1
	s_branch .LBB159_1667
.LBB159_1655:
	s_mov_b64 s[0:1], -1
                                        ; implicit-def: $vgpr3
                                        ; implicit-def: $vgpr1
	s_branch .LBB159_1681
.LBB159_1656:
	s_or_saveexec_b64 s[20:21], s[20:21]
	v_mov_b32_e32 v1, 0x7e00
	s_xor_b64 exec, exec, s[20:21]
	s_cbranch_execz .LBB159_1627
.LBB159_1657:
	v_cmp_ne_u16_e32 vcc, 0, v3
	s_andn2_b64 s[18:19], s[18:19], exec
	s_and_b64 s[22:23], vcc, exec
	s_or_b64 s[18:19], s[18:19], s[22:23]
	v_mov_b32_e32 v1, v3
	s_or_b64 exec, exec, s[20:21]
	s_and_saveexec_b64 s[20:21], s[18:19]
	s_cbranch_execnz .LBB159_1628
	s_branch .LBB159_1629
.LBB159_1658:
	s_mov_b64 s[10:11], -1
                                        ; implicit-def: $vgpr1
	s_branch .LBB159_1664
.LBB159_1659:
	s_mov_b64 s[0:1], -1
                                        ; implicit-def: $vgpr3
                                        ; implicit-def: $vgpr1
	s_branch .LBB159_1678
.LBB159_1660:
	s_mov_b64 s[10:11], -1
                                        ; implicit-def: $vgpr1
.LBB159_1661:
	s_and_b64 vcc, exec, s[10:11]
	s_cbranch_vccz .LBB159_1663
; %bb.1662:
	global_load_ubyte v1, v[7:8], off
	s_mov_b32 s10, 0x7f800000
	s_waitcnt vmcnt(0)
	v_lshlrev_b32_e32 v1, 24, v1
	v_and_b32_e32 v3, 0x7f000000, v1
	v_ffbh_u32_e32 v5, v3
	v_min_u32_e32 v5, 32, v5
	v_sub_u32_e64 v5, v5, 4 clamp
	v_lshlrev_b32_e32 v10, v5, v3
	v_lshlrev_b32_e32 v5, 23, v5
	v_lshrrev_b32_e32 v10, 4, v10
	v_add_u32_e32 v9, 0x1000000, v3
	v_sub_u32_e32 v5, v10, v5
	v_ashrrev_i32_e32 v9, 8, v9
	v_add_u32_e32 v5, 0x3c000000, v5
	v_and_or_b32 v5, v9, s10, v5
	v_cmp_ne_u32_e32 vcc, 0, v3
	v_cndmask_b32_e32 v3, 0, v5, vcc
	s_brev_b32 s10, 1
	v_and_or_b32 v1, v1, s10, v3
	v_cvt_f16_f32_e32 v1, v1
.LBB159_1663:
	s_mov_b64 s[10:11], 0
.LBB159_1664:
	s_andn2_b64 vcc, exec, s[10:11]
	s_cbranch_vccnz .LBB159_1666
; %bb.1665:
	global_load_ubyte v1, v[7:8], off
	s_movk_i32 s10, 0x7f00
	s_brev_b32 s11, 16
	s_waitcnt vmcnt(0)
	v_lshlrev_b16_e32 v3, 8, v1
	v_lshlrev_b32_e32 v1, 25, v1
	v_lshrrev_b32_e32 v5, 4, v1
	v_and_or_b32 v9, v3, s10, 0.5
	v_or_b32_e32 v5, 0x70000000, v5
	v_add_f32_e32 v9, -0.5, v9
	v_mul_f32_e32 v5, 0x7800000, v5
	v_cmp_gt_u32_e32 vcc, s11, v1
	v_bfe_i32 v3, v3, 0, 16
	v_cndmask_b32_e32 v1, v5, v9, vcc
	s_brev_b32 s10, 1
	v_and_or_b32 v1, v3, s10, v1
	v_cvt_f16_f32_e32 v1, v1
.LBB159_1666:
	s_mov_b64 s[10:11], 0
	s_mov_b64 s[18:19], -1
.LBB159_1667:
	s_andn2_b64 vcc, exec, s[10:11]
	s_mov_b64 s[10:11], 0
	s_cbranch_vccnz .LBB159_1690
; %bb.1668:
	s_cmp_gt_i32 s25, 14
	s_cbranch_scc0 .LBB159_1671
; %bb.1669:
	s_cmp_eq_u32 s25, 15
	s_cbranch_scc0 .LBB159_1686
; %bb.1670:
	global_load_ushort v1, v[7:8], off
	s_mov_b64 s[0:1], 0
	s_mov_b64 s[18:19], -1
	s_waitcnt vmcnt(0)
	v_lshlrev_b32_e32 v1, 16, v1
	v_cvt_f16_f32_e32 v1, v1
	s_branch .LBB159_1687
.LBB159_1671:
	s_mov_b64 s[20:21], -1
                                        ; implicit-def: $vgpr1
	s_branch .LBB159_1688
.LBB159_1672:
	s_or_saveexec_b64 s[18:19], s[18:19]
	v_mov_b32_e32 v1, 0x7e00
	s_xor_b64 exec, exec, s[18:19]
	s_cbranch_execz .LBB159_1640
.LBB159_1673:
	v_cmp_ne_u16_e32 vcc, 0, v3
	s_andn2_b64 s[10:11], s[10:11], exec
	s_and_b64 s[20:21], vcc, exec
	s_or_b64 s[10:11], s[10:11], s[20:21]
	v_mov_b32_e32 v1, v3
	s_or_b64 exec, exec, s[18:19]
	s_and_saveexec_b64 s[18:19], s[10:11]
	s_cbranch_execnz .LBB159_1641
	s_branch .LBB159_1642
.LBB159_1674:
	s_mov_b64 s[0:1], -1
                                        ; implicit-def: $vgpr3
                                        ; implicit-def: $vgpr1
.LBB159_1675:
	s_andn2_b64 vcc, exec, s[0:1]
	s_cbranch_vccnz .LBB159_1677
; %bb.1676:
	global_load_dwordx2 v[9:10], v[7:8], off
	s_waitcnt vmcnt(0)
	v_cvt_f16_f32_e32 v1, v9
	v_cvt_f16_f32_e32 v3, v10
.LBB159_1677:
	s_mov_b64 s[0:1], 0
.LBB159_1678:
	s_andn2_b64 vcc, exec, s[0:1]
	s_cbranch_vccnz .LBB159_1680
; %bb.1679:
	global_load_dword v1, v[7:8], off
	s_waitcnt vmcnt(0)
	v_lshrrev_b32_e32 v3, 16, v1
.LBB159_1680:
	s_mov_b64 s[0:1], 0
.LBB159_1681:
	s_andn2_b64 vcc, exec, s[0:1]
	s_cbranch_vccnz .LBB159_1699
; %bb.1682:
	s_cmp_lt_i32 s10, 6
	s_cbranch_scc1 .LBB159_1685
; %bb.1683:
	s_cmp_gt_i32 s10, 6
	s_cbranch_scc0 .LBB159_1692
; %bb.1684:
	global_load_dwordx2 v[9:10], v[7:8], off
	s_movk_i32 s0, 0x1ff
	s_movk_i32 s1, 0xffe
	v_mov_b32_e32 v1, 0x7c00
	s_waitcnt vmcnt(1)
	v_mov_b32_e32 v3, 0x7e00
	s_movk_i32 s11, 0x40f
	s_mov_b32 s14, 0x8000
	s_waitcnt vmcnt(0)
	v_and_or_b32 v5, v10, s0, v9
	v_cmp_ne_u32_e32 vcc, 0, v5
	v_lshrrev_b32_e32 v9, 8, v10
	v_bfe_u32 v11, v10, 20, 11
	v_cndmask_b32_e64 v5, 0, 1, vcc
	v_sub_u32_e32 v12, 0x3f1, v11
	v_and_or_b32 v5, v9, s1, v5
	v_add_u32_e32 v11, 0xfffffc10, v11
	v_med3_i32 v9, v12, 0, 13
	v_or_b32_e32 v12, 0x1000, v5
	v_lshl_or_b32 v13, v11, 12, v5
	v_cmp_ne_u32_e32 vcc, 0, v5
	v_lshrrev_b32_e32 v5, v9, v12
	v_lshlrev_b32_e32 v9, v9, v5
	v_cndmask_b32_e32 v3, v1, v3, vcc
	v_cmp_ne_u32_e32 vcc, v9, v12
	v_cndmask_b32_e64 v9, 0, 1, vcc
	v_or_b32_e32 v5, v5, v9
	v_cmp_gt_i32_e32 vcc, 1, v11
	v_cndmask_b32_e32 v5, v13, v5, vcc
	v_and_b32_e32 v9, 7, v5
	v_cmp_lt_i32_e32 vcc, 5, v9
	v_cndmask_b32_e64 v12, 0, 1, vcc
	v_cmp_eq_u32_e32 vcc, 3, v9
	v_cndmask_b32_e64 v9, 0, 1, vcc
	v_lshrrev_b32_e32 v5, 2, v5
	v_or_b32_e32 v9, v9, v12
	v_add_u32_e32 v5, v5, v9
	v_cmp_gt_i32_e32 vcc, 31, v11
	v_cndmask_b32_e32 v1, v1, v5, vcc
	v_cmp_eq_u32_e32 vcc, s11, v11
	v_lshrrev_b32_e32 v10, 16, v10
	v_cndmask_b32_e32 v1, v1, v3, vcc
	v_and_or_b32 v1, v10, s14, v1
	s_mov_b64 s[0:1], 0
	s_branch .LBB159_1693
.LBB159_1685:
	s_mov_b64 s[0:1], -1
                                        ; implicit-def: $vgpr1
	s_branch .LBB159_1696
.LBB159_1686:
	s_mov_b64 s[0:1], -1
                                        ; implicit-def: $vgpr1
.LBB159_1687:
	s_mov_b64 s[20:21], 0
.LBB159_1688:
	s_and_b64 vcc, exec, s[20:21]
	s_cbranch_vccz .LBB159_1690
; %bb.1689:
	s_cmp_lg_u32 s25, 11
	s_mov_b64 s[10:11], -1
	s_cselect_b64 s[0:1], -1, 0
.LBB159_1690:
	s_waitcnt vmcnt(0)
	v_mov_b32_e32 v3, 0
	s_and_b64 vcc, exec, s[0:1]
	s_cbranch_vccz .LBB159_1644
.LBB159_1691:
	s_trap 2
	s_or_b64 s[2:3], s[2:3], exec
	s_cbranch_execz .LBB159_1645
	s_branch .LBB159_1646
.LBB159_1692:
	s_mov_b64 s[0:1], -1
                                        ; implicit-def: $vgpr1
.LBB159_1693:
	s_andn2_b64 vcc, exec, s[0:1]
	s_cbranch_vccnz .LBB159_1695
; %bb.1694:
	global_load_dword v1, v[7:8], off
	s_waitcnt vmcnt(0)
	v_cvt_f16_f32_e32 v1, v1
.LBB159_1695:
	s_mov_b64 s[0:1], 0
.LBB159_1696:
	s_andn2_b64 vcc, exec, s[0:1]
	s_cbranch_vccnz .LBB159_1698
; %bb.1697:
	global_load_ushort v1, v[7:8], off
.LBB159_1698:
	s_waitcnt vmcnt(0)
	v_mov_b32_e32 v3, 0
.LBB159_1699:
	s_mov_b64 s[0:1], 0
.LBB159_1700:
	s_andn2_b64 vcc, exec, s[0:1]
	s_cbranch_vccnz .LBB159_1721
; %bb.1701:
	s_cmp_lt_i32 s10, 2
	s_cbranch_scc1 .LBB159_1705
; %bb.1702:
	s_cmp_lt_i32 s10, 3
	s_cbranch_scc1 .LBB159_1706
; %bb.1703:
	s_cmp_gt_i32 s10, 3
	s_cbranch_scc0 .LBB159_1707
; %bb.1704:
	global_load_dwordx2 v[9:10], v[7:8], off
	s_mov_b64 s[0:1], 0
	s_waitcnt vmcnt(0)
	v_xor_b32_e32 v3, v9, v10
	v_ffbh_i32_e32 v1, v10
	v_ashrrev_i32_e32 v3, 31, v3
	v_add_u32_e32 v1, -1, v1
	v_add_u32_e32 v3, 32, v3
	v_min_u32_e32 v1, v1, v3
	v_lshlrev_b64 v[9:10], v1, v[9:10]
	v_sub_u32_e32 v1, 32, v1
	v_min_u32_e32 v3, 1, v9
	v_or_b32_e32 v3, v10, v3
	v_cvt_f32_i32_e32 v3, v3
	v_ldexp_f32 v1, v3, v1
	v_cvt_f16_f32_e32 v1, v1
	s_branch .LBB159_1708
.LBB159_1705:
	s_mov_b64 s[0:1], -1
                                        ; implicit-def: $vgpr1
	s_branch .LBB159_1714
.LBB159_1706:
	s_mov_b64 s[0:1], -1
                                        ; implicit-def: $vgpr1
	s_branch .LBB159_1711
.LBB159_1707:
	s_mov_b64 s[0:1], -1
                                        ; implicit-def: $vgpr1
.LBB159_1708:
	s_andn2_b64 vcc, exec, s[0:1]
	s_cbranch_vccnz .LBB159_1710
; %bb.1709:
	global_load_dword v1, v[7:8], off
	s_waitcnt vmcnt(0)
	v_cvt_f32_i32_e32 v1, v1
	v_cvt_f16_f32_e32 v1, v1
.LBB159_1710:
	s_mov_b64 s[0:1], 0
.LBB159_1711:
	s_andn2_b64 vcc, exec, s[0:1]
	s_cbranch_vccnz .LBB159_1713
; %bb.1712:
	global_load_ushort v1, v[7:8], off
	s_waitcnt vmcnt(0)
	v_cvt_f16_i16_e32 v1, v1
.LBB159_1713:
	s_mov_b64 s[0:1], 0
.LBB159_1714:
	s_andn2_b64 vcc, exec, s[0:1]
	s_cbranch_vccnz .LBB159_1720
; %bb.1715:
	s_cmp_gt_i32 s10, 0
	s_cbranch_scc0 .LBB159_1717
; %bb.1716:
	global_load_sbyte v1, v[7:8], off
	s_mov_b64 s[0:1], 0
	s_waitcnt vmcnt(0)
	v_cvt_f16_i16_e32 v1, v1
	s_branch .LBB159_1718
.LBB159_1717:
	s_mov_b64 s[0:1], -1
                                        ; implicit-def: $vgpr1
.LBB159_1718:
	s_andn2_b64 vcc, exec, s[0:1]
	s_cbranch_vccnz .LBB159_1720
; %bb.1719:
	global_load_ubyte v1, v[7:8], off
	s_waitcnt vmcnt(0)
	v_cvt_f16_u16_e32 v1, v1
.LBB159_1720:
	s_waitcnt vmcnt(0)
	v_mov_b32_e32 v3, 0
.LBB159_1721:
	s_mov_b64 s[18:19], -1
.LBB159_1722:
	s_andn2_b64 vcc, exec, s[18:19]
	s_cbranch_vccnz .LBB159_1725
; %bb.1723:
	s_and_b64 vcc, exec, s[16:17]
	s_cbranch_vccz .LBB159_1771
; %bb.1724:
	v_cmp_neq_f16_e32 vcc, s15, v1
	s_waitcnt vmcnt(0)
	v_cmp_neq_f16_e64 s[0:1], s24, v3
	s_or_b64 s[10:11], vcc, s[0:1]
	s_mov_b64 s[0:1], 0
	s_branch .LBB159_1772
.LBB159_1725:
	s_mov_b64 s[0:1], 0
                                        ; implicit-def: $sgpr10_sgpr11
.LBB159_1726:
                                        ; implicit-def: $vgpr0_vgpr1
                                        ; implicit-def: $sgpr22
	s_mov_b64 s[4:5], 0
.LBB159_1727:
	s_and_b64 s[6:7], s[4:5], exec
	s_andn2_b64 s[4:5], s[28:29], exec
	s_and_b64 s[2:3], s[2:3], exec
	s_and_b64 s[0:1], s[0:1], exec
	s_or_b64 s[28:29], s[4:5], s[2:3]
.LBB159_1728:
	s_or_b64 exec, exec, s[30:31]
	s_and_saveexec_b64 s[2:3], s[28:29]
	s_cbranch_execz .LBB159_1731
; %bb.1729:
	; divergent unreachable
	s_or_b64 exec, exec, s[2:3]
	s_and_saveexec_b64 s[2:3], s[6:7]
	s_xor_b64 s[2:3], exec, s[2:3]
	s_cbranch_execnz .LBB159_1732
.LBB159_1730:
	s_or_b64 exec, exec, s[2:3]
	s_and_saveexec_b64 s[2:3], s[0:1]
	s_cbranch_execnz .LBB159_1733
	s_branch .LBB159_1770
.LBB159_1731:
	s_or_b64 exec, exec, s[2:3]
	s_and_saveexec_b64 s[2:3], s[6:7]
	s_xor_b64 s[2:3], exec, s[2:3]
	s_cbranch_execz .LBB159_1730
.LBB159_1732:
	v_cndmask_b32_e64 v2, 0, 1, s[10:11]
	global_store_byte v[0:1], v2, off
	s_or_b64 exec, exec, s[2:3]
	s_and_saveexec_b64 s[2:3], s[0:1]
	s_cbranch_execz .LBB159_1770
.LBB159_1733:
	s_sext_i32_i16 s2, s22
	s_cmp_lt_i32 s2, 5
	s_mov_b64 s[0:1], -1
	s_cbranch_scc1 .LBB159_1754
; %bb.1734:
	s_cmp_lt_i32 s2, 8
	s_cbranch_scc1 .LBB159_1744
; %bb.1735:
	s_cmp_lt_i32 s2, 9
	s_cbranch_scc1 .LBB159_1741
; %bb.1736:
	s_cmp_gt_i32 s2, 9
	s_cbranch_scc0 .LBB159_1738
; %bb.1737:
	v_cndmask_b32_e64 v2, 0, 1, s[10:11]
	s_waitcnt vmcnt(0)
	v_cvt_f64_u32_e32 v[2:3], v2
	v_mov_b32_e32 v4, 0
	v_mov_b32_e32 v5, v4
	s_mov_b64 s[0:1], 0
	global_store_dwordx4 v[0:1], v[2:5], off
.LBB159_1738:
	s_andn2_b64 vcc, exec, s[0:1]
	s_cbranch_vccnz .LBB159_1740
; %bb.1739:
	v_cndmask_b32_e64 v2, 0, 1.0, s[10:11]
	s_waitcnt vmcnt(0)
	v_mov_b32_e32 v3, 0
	global_store_dwordx2 v[0:1], v[2:3], off
.LBB159_1740:
	s_mov_b64 s[0:1], 0
.LBB159_1741:
	s_andn2_b64 vcc, exec, s[0:1]
	s_cbranch_vccnz .LBB159_1743
; %bb.1742:
	v_cndmask_b32_e64 v2, 0, 1.0, s[10:11]
	v_cvt_f16_f32_e32 v2, v2
	global_store_dword v[0:1], v2, off
.LBB159_1743:
	s_mov_b64 s[0:1], 0
.LBB159_1744:
	s_andn2_b64 vcc, exec, s[0:1]
	s_cbranch_vccnz .LBB159_1753
; %bb.1745:
	s_sext_i32_i16 s2, s22
	s_cmp_lt_i32 s2, 6
	s_mov_b64 s[0:1], -1
	s_cbranch_scc1 .LBB159_1751
; %bb.1746:
	s_cmp_gt_i32 s2, 6
	s_cbranch_scc0 .LBB159_1748
; %bb.1747:
	v_cndmask_b32_e64 v2, 0, 1, s[10:11]
	s_waitcnt vmcnt(0)
	v_cvt_f64_u32_e32 v[2:3], v2
	s_mov_b64 s[0:1], 0
	global_store_dwordx2 v[0:1], v[2:3], off
.LBB159_1748:
	s_andn2_b64 vcc, exec, s[0:1]
	s_cbranch_vccnz .LBB159_1750
; %bb.1749:
	v_cndmask_b32_e64 v2, 0, 1.0, s[10:11]
	global_store_dword v[0:1], v2, off
.LBB159_1750:
	s_mov_b64 s[0:1], 0
.LBB159_1751:
	s_andn2_b64 vcc, exec, s[0:1]
	s_cbranch_vccnz .LBB159_1753
; %bb.1752:
	v_cndmask_b32_e64 v2, 0, 1.0, s[10:11]
	v_cvt_f16_f32_e32 v2, v2
	global_store_short v[0:1], v2, off
.LBB159_1753:
	s_mov_b64 s[0:1], 0
.LBB159_1754:
	s_andn2_b64 vcc, exec, s[0:1]
	s_cbranch_vccnz .LBB159_1770
; %bb.1755:
	s_sext_i32_i16 s2, s22
	s_cmp_lt_i32 s2, 2
	s_mov_b64 s[0:1], -1
	s_cbranch_scc1 .LBB159_1765
; %bb.1756:
	s_cmp_lt_i32 s2, 3
	s_cbranch_scc1 .LBB159_1762
; %bb.1757:
	s_cmp_gt_i32 s2, 3
	s_cbranch_scc0 .LBB159_1759
; %bb.1758:
	s_mov_b32 s0, 0
	v_cndmask_b32_e64 v2, 0, 1, s[10:11]
	s_waitcnt vmcnt(0)
	v_mov_b32_e32 v3, s0
	global_store_dwordx2 v[0:1], v[2:3], off
	s_mov_b64 s[0:1], 0
.LBB159_1759:
	s_andn2_b64 vcc, exec, s[0:1]
	s_cbranch_vccnz .LBB159_1761
; %bb.1760:
	v_cndmask_b32_e64 v2, 0, 1, s[10:11]
	global_store_dword v[0:1], v2, off
.LBB159_1761:
	s_mov_b64 s[0:1], 0
.LBB159_1762:
	s_andn2_b64 vcc, exec, s[0:1]
	s_cbranch_vccnz .LBB159_1764
; %bb.1763:
	v_cndmask_b32_e64 v2, 0, 1, s[10:11]
	global_store_short v[0:1], v2, off
.LBB159_1764:
	s_mov_b64 s[0:1], 0
.LBB159_1765:
	s_andn2_b64 vcc, exec, s[0:1]
	s_cbranch_vccnz .LBB159_1770
; %bb.1766:
	s_sext_i32_i16 s0, s22
	s_cmp_gt_i32 s0, 0
	s_mov_b64 s[0:1], -1
	s_cbranch_scc0 .LBB159_1768
; %bb.1767:
	v_cndmask_b32_e64 v2, 0, 1, s[10:11]
	global_store_byte v[0:1], v2, off
	s_mov_b64 s[0:1], 0
.LBB159_1768:
	s_andn2_b64 vcc, exec, s[0:1]
	s_cbranch_vccnz .LBB159_1770
; %bb.1769:
	v_cndmask_b32_e64 v2, 0, 1, s[10:11]
	global_store_byte v[0:1], v2, off
	s_endpgm
.LBB159_1770:
	s_endpgm
.LBB159_1771:
	s_mov_b64 s[0:1], -1
                                        ; implicit-def: $sgpr10_sgpr11
.LBB159_1772:
	s_andn2_b64 vcc, exec, s[0:1]
	s_cbranch_vccnz .LBB159_1774
; %bb.1773:
	v_cmp_eq_f16_e32 vcc, s15, v1
	s_waitcnt vmcnt(0)
	v_cmp_eq_f16_e64 s[0:1], s24, v3
	s_and_b64 s[0:1], vcc, s[0:1]
	s_andn2_b64 s[10:11], s[10:11], exec
	s_and_b64 s[0:1], s[0:1], exec
	s_or_b64 s[10:11], s[10:11], s[0:1]
.LBB159_1774:
	s_load_dword s0, s[34:35], 0x160
	v_mov_b32_e32 v1, s9
	v_add_co_u32_e32 v5, vcc, s8, v6
	v_addc_co_u32_e32 v6, vcc, 0, v1, vcc
	s_waitcnt lgkmcnt(0)
	s_and_b32 s22, s0, 0xff
	s_cmp_lt_i32 s22, 11
	s_cbranch_scc1 .LBB159_1852
; %bb.1775:
	s_and_b32 s23, 0xffff, s22
	s_mov_b64 s[18:19], -1
	s_mov_b64 s[14:15], 0
	s_cmp_gt_i32 s23, 25
	s_mov_b64 s[16:17], 0
	s_mov_b64 s[0:1], 0
	s_cbranch_scc0 .LBB159_1808
; %bb.1776:
	s_cmp_gt_i32 s23, 28
	s_cbranch_scc0 .LBB159_1791
; %bb.1777:
	s_cmp_gt_i32 s23, 43
	;; [unrolled: 3-line block ×3, first 2 shown]
	s_cbranch_scc0 .LBB159_1781
; %bb.1779:
	s_mov_b64 s[0:1], -1
	s_mov_b64 s[18:19], 0
	s_cmp_eq_u32 s23, 46
	s_cbranch_scc0 .LBB159_1781
; %bb.1780:
	v_cndmask_b32_e64 v1, 0, 1.0, s[4:5]
	s_waitcnt vmcnt(0)
	v_bfe_u32 v3, v1, 16, 1
	s_movk_i32 s0, 0x7fff
	v_add3_u32 v1, v1, v3, s0
	v_lshrrev_b32_e32 v1, 16, v1
	global_store_dword v[5:6], v1, off
	s_mov_b64 s[0:1], 0
	s_mov_b64 s[16:17], -1
.LBB159_1781:
	s_and_b64 vcc, exec, s[18:19]
	s_cbranch_vccz .LBB159_1786
; %bb.1782:
	s_cmp_eq_u32 s23, 44
	s_mov_b64 s[0:1], -1
	s_cbranch_scc0 .LBB159_1786
; %bb.1783:
	s_waitcnt vmcnt(0)
	v_cndmask_b32_e64 v3, 0, 1.0, s[4:5]
	v_lshrrev_b32_e32 v1, 23, v3
	s_movk_i32 s0, 0xff
	v_cmp_ne_u32_e32 vcc, s0, v1
	v_mov_b32_e32 v7, 0xff
	s_and_saveexec_b64 s[16:17], vcc
; %bb.1784:
	s_mov_b32 s0, 0x3fffff
	v_and_b32_e32 v7, 0x400000, v3
	v_and_or_b32 v3, v3, s0, v1
	v_cmp_ne_u32_e32 vcc, 0, v7
	v_cmp_ne_u32_e64 s[0:1], 0, v3
	s_and_b64 s[0:1], vcc, s[0:1]
	v_cndmask_b32_e64 v3, 0, 1, s[0:1]
	v_add_u32_e32 v7, v1, v3
; %bb.1785:
	s_or_b64 exec, exec, s[16:17]
	s_mov_b64 s[0:1], 0
	s_mov_b64 s[16:17], -1
	global_store_byte v[5:6], v7, off
.LBB159_1786:
	s_mov_b64 s[18:19], 0
.LBB159_1787:
	s_and_b64 vcc, exec, s[18:19]
	s_cbranch_vccz .LBB159_1790
; %bb.1788:
	s_cmp_eq_u32 s23, 29
	s_mov_b64 s[0:1], -1
	s_cbranch_scc0 .LBB159_1790
; %bb.1789:
	s_mov_b32 s0, 0
	v_cndmask_b32_e64 v7, 0, 1, s[4:5]
	v_mov_b32_e32 v8, s0
	global_store_dwordx2 v[5:6], v[7:8], off
	s_mov_b64 s[0:1], 0
	s_mov_b64 s[16:17], -1
.LBB159_1790:
	s_mov_b64 s[18:19], 0
.LBB159_1791:
	s_and_b64 vcc, exec, s[18:19]
	s_cbranch_vccz .LBB159_1807
; %bb.1792:
	s_cmp_lt_i32 s23, 27
	s_mov_b64 s[16:17], -1
	s_cbranch_scc1 .LBB159_1798
; %bb.1793:
	s_cmp_gt_i32 s23, 27
	s_cbranch_scc0 .LBB159_1795
; %bb.1794:
	v_cndmask_b32_e64 v1, 0, 1, s[4:5]
	s_mov_b64 s[16:17], 0
	global_store_dword v[5:6], v1, off
.LBB159_1795:
	s_andn2_b64 vcc, exec, s[16:17]
	s_cbranch_vccnz .LBB159_1797
; %bb.1796:
	v_cndmask_b32_e64 v1, 0, 1, s[4:5]
	global_store_short v[5:6], v1, off
.LBB159_1797:
	s_mov_b64 s[16:17], 0
.LBB159_1798:
	s_andn2_b64 vcc, exec, s[16:17]
	s_cbranch_vccnz .LBB159_1806
; %bb.1799:
	s_waitcnt vmcnt(0)
	v_cndmask_b32_e64 v3, 0, 1.0, s[4:5]
	s_mov_b32 s16, 0x43800000
	v_cmp_gt_u32_e32 vcc, s16, v3
	v_mov_b32_e32 v7, 0x80
	s_and_saveexec_b64 s[16:17], vcc
	s_cbranch_execz .LBB159_1805
; %bb.1800:
	s_mov_b32 s18, 0x3bffffff
	v_cmp_lt_u32_e32 vcc, s18, v3
	s_mov_b64 s[18:19], 0
                                        ; implicit-def: $vgpr1
	s_and_saveexec_b64 s[20:21], vcc
	s_xor_b64 s[20:21], exec, s[20:21]
	s_cbranch_execz .LBB159_2209
; %bb.1801:
	v_bfe_u32 v1, v3, 20, 1
	s_mov_b32 s24, 0x487ffff
	v_add3_u32 v1, v3, v1, s24
	s_mov_b64 s[18:19], exec
	v_lshrrev_b32_e32 v1, 20, v1
                                        ; implicit-def: $vgpr3
	s_andn2_saveexec_b64 s[20:21], s[20:21]
	s_cbranch_execnz .LBB159_2210
.LBB159_1802:
	s_or_b64 exec, exec, s[20:21]
	v_mov_b32_e32 v7, 0
	s_and_saveexec_b64 s[20:21], s[18:19]
.LBB159_1803:
	v_mov_b32_e32 v7, v1
.LBB159_1804:
	s_or_b64 exec, exec, s[20:21]
.LBB159_1805:
	s_or_b64 exec, exec, s[16:17]
	global_store_byte v[5:6], v7, off
.LBB159_1806:
	s_mov_b64 s[16:17], -1
.LBB159_1807:
	s_mov_b64 s[18:19], 0
.LBB159_1808:
	s_and_b64 vcc, exec, s[18:19]
	s_cbranch_vccz .LBB159_1848
; %bb.1809:
	s_cmp_gt_i32 s23, 22
	s_mov_b64 s[14:15], -1
	s_cbranch_scc0 .LBB159_1841
; %bb.1810:
	s_cmp_lt_i32 s23, 24
	s_cbranch_scc1 .LBB159_1830
; %bb.1811:
	s_cmp_gt_i32 s23, 24
	s_cbranch_scc0 .LBB159_1819
; %bb.1812:
	s_waitcnt vmcnt(0)
	v_cndmask_b32_e64 v3, 0, 1.0, s[4:5]
	s_mov_b32 s14, 0x47800000
	v_cmp_gt_u32_e32 vcc, s14, v3
	v_mov_b32_e32 v7, 0x80
	s_and_saveexec_b64 s[14:15], vcc
	s_cbranch_execz .LBB159_1818
; %bb.1813:
	s_mov_b32 s16, 0x37ffffff
	v_cmp_lt_u32_e32 vcc, s16, v3
	s_mov_b64 s[16:17], 0
                                        ; implicit-def: $vgpr1
	s_and_saveexec_b64 s[18:19], vcc
	s_xor_b64 s[18:19], exec, s[18:19]
	s_cbranch_execz .LBB159_2212
; %bb.1814:
	v_bfe_u32 v1, v3, 21, 1
	s_mov_b32 s20, 0x88fffff
	v_add3_u32 v1, v3, v1, s20
	s_mov_b64 s[16:17], exec
	v_lshrrev_b32_e32 v1, 21, v1
                                        ; implicit-def: $vgpr3
	s_andn2_saveexec_b64 s[18:19], s[18:19]
	s_cbranch_execnz .LBB159_2213
.LBB159_1815:
	s_or_b64 exec, exec, s[18:19]
	v_mov_b32_e32 v7, 0
	s_and_saveexec_b64 s[18:19], s[16:17]
.LBB159_1816:
	v_mov_b32_e32 v7, v1
.LBB159_1817:
	s_or_b64 exec, exec, s[18:19]
.LBB159_1818:
	s_or_b64 exec, exec, s[14:15]
	s_mov_b64 s[14:15], 0
	global_store_byte v[5:6], v7, off
.LBB159_1819:
	s_and_b64 vcc, exec, s[14:15]
	s_cbranch_vccz .LBB159_1829
; %bb.1820:
	v_cndmask_b32_e64 v1, 0, 1.0, s[4:5]
	s_mov_b32 s14, 0x43f00000
	v_cmp_gt_u32_e32 vcc, s14, v1
                                        ; implicit-def: $vgpr3
	s_and_saveexec_b64 s[14:15], vcc
	s_xor_b64 s[14:15], exec, s[14:15]
	s_cbranch_execz .LBB159_1826
; %bb.1821:
	s_mov_b32 s16, 0x3c7fffff
	v_cmp_lt_u32_e32 vcc, s16, v1
                                        ; implicit-def: $vgpr3
	s_and_saveexec_b64 s[16:17], vcc
	s_xor_b64 s[16:17], exec, s[16:17]
	s_cbranch_execz .LBB159_1823
; %bb.1822:
	s_waitcnt vmcnt(0)
	v_bfe_u32 v3, v1, 20, 1
	s_mov_b32 s18, 0x407ffff
	v_add3_u32 v1, v1, v3, s18
	v_lshrrev_b32_e32 v3, 20, v1
	v_and_b32_e32 v1, 0xff00000, v1
	s_mov_b32 s18, 0x7f00000
	v_mov_b32_e32 v7, 0x7e
	v_cmp_ne_u32_e32 vcc, s18, v1
	v_cndmask_b32_e32 v3, v7, v3, vcc
                                        ; implicit-def: $vgpr1
.LBB159_1823:
	s_andn2_saveexec_b64 s[16:17], s[16:17]
	s_cbranch_execz .LBB159_1825
; %bb.1824:
	s_waitcnt vmcnt(0)
	v_add_f32_e32 v3, 0x46800000, v1
.LBB159_1825:
	s_or_b64 exec, exec, s[16:17]
                                        ; implicit-def: $vgpr1
.LBB159_1826:
	s_andn2_saveexec_b64 s[14:15], s[14:15]
	s_cbranch_execz .LBB159_1828
; %bb.1827:
	s_mov_b32 s16, 0x7f800000
	s_waitcnt vmcnt(0)
	v_mov_b32_e32 v3, 0x7e
	v_mov_b32_e32 v7, 0x7f
	v_cmp_lt_u32_e32 vcc, s16, v1
	v_cndmask_b32_e32 v3, v3, v7, vcc
.LBB159_1828:
	s_or_b64 exec, exec, s[14:15]
	s_waitcnt vmcnt(0)
	global_store_byte v[5:6], v3, off
.LBB159_1829:
	s_mov_b64 s[14:15], 0
.LBB159_1830:
	s_andn2_b64 vcc, exec, s[14:15]
	s_cbranch_vccnz .LBB159_1840
; %bb.1831:
	v_cndmask_b32_e64 v1, 0, 1.0, s[4:5]
	s_mov_b32 s14, 0x47800000
	v_cmp_gt_u32_e32 vcc, s14, v1
                                        ; implicit-def: $vgpr3
	s_and_saveexec_b64 s[14:15], vcc
	s_xor_b64 s[14:15], exec, s[14:15]
	s_cbranch_execz .LBB159_1837
; %bb.1832:
	s_mov_b32 s16, 0x387fffff
	v_cmp_lt_u32_e32 vcc, s16, v1
                                        ; implicit-def: $vgpr3
	s_and_saveexec_b64 s[16:17], vcc
	s_xor_b64 s[16:17], exec, s[16:17]
	s_cbranch_execz .LBB159_1834
; %bb.1833:
	s_waitcnt vmcnt(0)
	v_bfe_u32 v3, v1, 21, 1
	s_mov_b32 s18, 0x80fffff
	v_add3_u32 v1, v1, v3, s18
	v_lshrrev_b32_e32 v3, 21, v1
                                        ; implicit-def: $vgpr1
.LBB159_1834:
	s_andn2_saveexec_b64 s[16:17], s[16:17]
	s_cbranch_execz .LBB159_1836
; %bb.1835:
	s_waitcnt vmcnt(0)
	v_add_f32_e32 v3, 0x43000000, v1
.LBB159_1836:
	s_or_b64 exec, exec, s[16:17]
                                        ; implicit-def: $vgpr1
.LBB159_1837:
	s_andn2_saveexec_b64 s[14:15], s[14:15]
	s_cbranch_execz .LBB159_1839
; %bb.1838:
	s_mov_b32 s16, 0x7f800000
	s_waitcnt vmcnt(0)
	v_mov_b32_e32 v3, 0x7c
	v_mov_b32_e32 v7, 0x7f
	v_cmp_lt_u32_e32 vcc, s16, v1
	v_cndmask_b32_e32 v3, v3, v7, vcc
.LBB159_1839:
	s_or_b64 exec, exec, s[14:15]
	s_waitcnt vmcnt(0)
	global_store_byte v[5:6], v3, off
.LBB159_1840:
	s_mov_b64 s[14:15], 0
	s_mov_b64 s[16:17], -1
.LBB159_1841:
	s_andn2_b64 vcc, exec, s[14:15]
	s_mov_b64 s[14:15], 0
	s_cbranch_vccnz .LBB159_1848
; %bb.1842:
	s_cmp_gt_i32 s23, 14
	s_mov_b64 s[18:19], -1
	s_cbranch_scc0 .LBB159_1846
; %bb.1843:
	s_cmp_eq_u32 s23, 15
	s_mov_b64 s[0:1], -1
	s_cbranch_scc0 .LBB159_1845
; %bb.1844:
	v_cndmask_b32_e64 v1, 0, 1.0, s[4:5]
	s_waitcnt vmcnt(0)
	v_bfe_u32 v3, v1, 16, 1
	s_movk_i32 s0, 0x7fff
	v_add3_u32 v1, v1, v3, s0
	global_store_short_d16_hi v[5:6], v1, off
	s_mov_b64 s[0:1], 0
	s_mov_b64 s[16:17], -1
.LBB159_1845:
	s_mov_b64 s[18:19], 0
.LBB159_1846:
	s_and_b64 vcc, exec, s[18:19]
	s_cbranch_vccz .LBB159_1848
; %bb.1847:
	s_cmp_lg_u32 s23, 11
	s_mov_b64 s[14:15], -1
	s_cselect_b64 s[0:1], -1, 0
.LBB159_1848:
	s_and_b64 vcc, exec, s[0:1]
	s_cbranch_vccnz .LBB159_2211
; %bb.1849:
	s_andn2_b64 vcc, exec, s[14:15]
	s_cbranch_vccnz .LBB159_1851
.LBB159_1850:
	v_cndmask_b32_e64 v1, 0, 1, s[4:5]
	s_mov_b64 s[16:17], -1
	global_store_byte v[5:6], v1, off
.LBB159_1851:
	s_mov_b64 s[0:1], 0
	s_branch .LBB159_1853
.LBB159_1852:
	s_mov_b64 s[0:1], -1
	s_mov_b64 s[16:17], 0
.LBB159_1853:
	s_and_b64 vcc, exec, s[0:1]
	s_cbranch_vccz .LBB159_1892
; %bb.1854:
	s_and_b32 s14, 0xffff, s22
	s_cmp_lt_i32 s14, 5
	s_mov_b64 s[0:1], -1
	s_cbranch_scc1 .LBB159_1875
; %bb.1855:
	s_cmp_lt_i32 s14, 8
	s_cbranch_scc1 .LBB159_1865
; %bb.1856:
	s_cmp_lt_i32 s14, 9
	s_cbranch_scc1 .LBB159_1862
; %bb.1857:
	s_cmp_gt_i32 s14, 9
	s_cbranch_scc0 .LBB159_1859
; %bb.1858:
	v_cndmask_b32_e64 v1, 0, 1, s[4:5]
	v_cvt_f64_u32_e32 v[7:8], v1
	v_mov_b32_e32 v9, 0
	v_mov_b32_e32 v10, v9
	s_mov_b64 s[0:1], 0
	global_store_dwordx4 v[5:6], v[7:10], off
.LBB159_1859:
	s_andn2_b64 vcc, exec, s[0:1]
	s_cbranch_vccnz .LBB159_1861
; %bb.1860:
	v_cndmask_b32_e64 v7, 0, 1.0, s[4:5]
	v_mov_b32_e32 v8, 0
	global_store_dwordx2 v[5:6], v[7:8], off
.LBB159_1861:
	s_mov_b64 s[0:1], 0
.LBB159_1862:
	s_andn2_b64 vcc, exec, s[0:1]
	s_cbranch_vccnz .LBB159_1864
; %bb.1863:
	v_cndmask_b32_e64 v1, 0, 1.0, s[4:5]
	v_cvt_f16_f32_e32 v1, v1
	global_store_dword v[5:6], v1, off
.LBB159_1864:
	s_mov_b64 s[0:1], 0
.LBB159_1865:
	s_andn2_b64 vcc, exec, s[0:1]
	s_cbranch_vccnz .LBB159_1874
; %bb.1866:
	s_cmp_lt_i32 s14, 6
	s_mov_b64 s[0:1], -1
	s_cbranch_scc1 .LBB159_1872
; %bb.1867:
	s_cmp_gt_i32 s14, 6
	s_cbranch_scc0 .LBB159_1869
; %bb.1868:
	v_cndmask_b32_e64 v1, 0, 1, s[4:5]
	v_cvt_f64_u32_e32 v[7:8], v1
	s_mov_b64 s[0:1], 0
	global_store_dwordx2 v[5:6], v[7:8], off
.LBB159_1869:
	s_andn2_b64 vcc, exec, s[0:1]
	s_cbranch_vccnz .LBB159_1871
; %bb.1870:
	v_cndmask_b32_e64 v1, 0, 1.0, s[4:5]
	global_store_dword v[5:6], v1, off
.LBB159_1871:
	s_mov_b64 s[0:1], 0
.LBB159_1872:
	s_andn2_b64 vcc, exec, s[0:1]
	s_cbranch_vccnz .LBB159_1874
; %bb.1873:
	v_cndmask_b32_e64 v1, 0, 1.0, s[4:5]
	v_cvt_f16_f32_e32 v1, v1
	global_store_short v[5:6], v1, off
.LBB159_1874:
	s_mov_b64 s[0:1], 0
.LBB159_1875:
	s_andn2_b64 vcc, exec, s[0:1]
	s_cbranch_vccnz .LBB159_1891
; %bb.1876:
	s_cmp_lt_i32 s14, 2
	s_mov_b64 s[0:1], -1
	s_cbranch_scc1 .LBB159_1886
; %bb.1877:
	s_cmp_lt_i32 s14, 3
	s_cbranch_scc1 .LBB159_1883
; %bb.1878:
	s_cmp_gt_i32 s14, 3
	s_cbranch_scc0 .LBB159_1880
; %bb.1879:
	s_mov_b32 s0, 0
	v_cndmask_b32_e64 v7, 0, 1, s[4:5]
	v_mov_b32_e32 v8, s0
	global_store_dwordx2 v[5:6], v[7:8], off
	s_mov_b64 s[0:1], 0
.LBB159_1880:
	s_andn2_b64 vcc, exec, s[0:1]
	s_cbranch_vccnz .LBB159_1882
; %bb.1881:
	v_cndmask_b32_e64 v1, 0, 1, s[4:5]
	global_store_dword v[5:6], v1, off
.LBB159_1882:
	s_mov_b64 s[0:1], 0
.LBB159_1883:
	s_andn2_b64 vcc, exec, s[0:1]
	s_cbranch_vccnz .LBB159_1885
; %bb.1884:
	v_cndmask_b32_e64 v1, 0, 1, s[4:5]
	global_store_short v[5:6], v1, off
.LBB159_1885:
	s_mov_b64 s[0:1], 0
.LBB159_1886:
	s_andn2_b64 vcc, exec, s[0:1]
	s_cbranch_vccnz .LBB159_1891
; %bb.1887:
	s_mov_b64 s[0:1], -1
	s_cmp_gt_i32 s14, 0
	v_cndmask_b32_e64 v1, 0, 1, s[4:5]
	s_cbranch_scc0 .LBB159_1889
; %bb.1888:
	global_store_byte v[5:6], v1, off
	s_mov_b64 s[0:1], 0
.LBB159_1889:
	s_andn2_b64 vcc, exec, s[0:1]
	s_cbranch_vccnz .LBB159_1891
; %bb.1890:
	global_store_byte v[5:6], v1, off
.LBB159_1891:
	s_mov_b64 s[16:17], -1
.LBB159_1892:
	s_andn2_b64 vcc, exec, s[16:17]
	s_cbranch_vccnz .LBB159_2207
; %bb.1893:
	v_mov_b32_e32 v1, s9
	s_and_b32 s20, 0xffff, s22
	s_waitcnt vmcnt(0)
	v_add_co_u32_e32 v3, vcc, s8, v4
	s_cmp_lt_i32 s20, 11
	v_addc_co_u32_e32 v4, vcc, 0, v1, vcc
	s_cbranch_scc1 .LBB159_1971
; %bb.1894:
	s_mov_b64 s[16:17], -1
	s_mov_b64 s[4:5], 0
	s_cmp_gt_i32 s20, 25
	s_mov_b64 s[14:15], 0
	s_mov_b64 s[0:1], 0
	s_cbranch_scc0 .LBB159_1927
; %bb.1895:
	s_cmp_gt_i32 s20, 28
	s_cbranch_scc0 .LBB159_1910
; %bb.1896:
	s_cmp_gt_i32 s20, 43
	;; [unrolled: 3-line block ×3, first 2 shown]
	s_cbranch_scc0 .LBB159_1900
; %bb.1898:
	s_mov_b64 s[0:1], -1
	s_mov_b64 s[16:17], 0
	s_cmp_eq_u32 s20, 46
	s_cbranch_scc0 .LBB159_1900
; %bb.1899:
	v_cndmask_b32_e64 v1, 0, 1.0, s[6:7]
	v_bfe_u32 v5, v1, 16, 1
	s_movk_i32 s0, 0x7fff
	v_add3_u32 v1, v1, v5, s0
	v_lshrrev_b32_e32 v1, 16, v1
	global_store_dword v[3:4], v1, off
	s_mov_b64 s[0:1], 0
	s_mov_b64 s[14:15], -1
.LBB159_1900:
	s_and_b64 vcc, exec, s[16:17]
	s_cbranch_vccz .LBB159_1905
; %bb.1901:
	s_cmp_eq_u32 s20, 44
	s_mov_b64 s[0:1], -1
	s_cbranch_scc0 .LBB159_1905
; %bb.1902:
	v_cndmask_b32_e64 v5, 0, 1.0, s[6:7]
	v_lshrrev_b32_e32 v1, 23, v5
	s_movk_i32 s0, 0xff
	v_cmp_ne_u32_e32 vcc, s0, v1
	v_mov_b32_e32 v6, 0xff
	s_and_saveexec_b64 s[14:15], vcc
; %bb.1903:
	s_mov_b32 s0, 0x3fffff
	v_and_b32_e32 v6, 0x400000, v5
	v_and_or_b32 v5, v5, s0, v1
	v_cmp_ne_u32_e32 vcc, 0, v6
	v_cmp_ne_u32_e64 s[0:1], 0, v5
	s_and_b64 s[0:1], vcc, s[0:1]
	v_cndmask_b32_e64 v5, 0, 1, s[0:1]
	v_add_u32_e32 v6, v1, v5
; %bb.1904:
	s_or_b64 exec, exec, s[14:15]
	s_mov_b64 s[0:1], 0
	s_mov_b64 s[14:15], -1
	global_store_byte v[3:4], v6, off
.LBB159_1905:
	s_mov_b64 s[16:17], 0
.LBB159_1906:
	s_and_b64 vcc, exec, s[16:17]
	s_cbranch_vccz .LBB159_1909
; %bb.1907:
	s_cmp_eq_u32 s20, 29
	s_mov_b64 s[0:1], -1
	s_cbranch_scc0 .LBB159_1909
; %bb.1908:
	s_mov_b32 s0, 0
	v_cndmask_b32_e64 v5, 0, 1, s[6:7]
	v_mov_b32_e32 v6, s0
	global_store_dwordx2 v[3:4], v[5:6], off
	s_mov_b64 s[0:1], 0
	s_mov_b64 s[14:15], -1
.LBB159_1909:
	s_mov_b64 s[16:17], 0
.LBB159_1910:
	s_and_b64 vcc, exec, s[16:17]
	s_cbranch_vccz .LBB159_1926
; %bb.1911:
	s_cmp_lt_i32 s20, 27
	s_mov_b64 s[14:15], -1
	s_cbranch_scc1 .LBB159_1917
; %bb.1912:
	s_cmp_gt_i32 s20, 27
	s_cbranch_scc0 .LBB159_1914
; %bb.1913:
	v_cndmask_b32_e64 v1, 0, 1, s[6:7]
	s_mov_b64 s[14:15], 0
	global_store_dword v[3:4], v1, off
.LBB159_1914:
	s_andn2_b64 vcc, exec, s[14:15]
	s_cbranch_vccnz .LBB159_1916
; %bb.1915:
	v_cndmask_b32_e64 v1, 0, 1, s[6:7]
	global_store_short v[3:4], v1, off
.LBB159_1916:
	s_mov_b64 s[14:15], 0
.LBB159_1917:
	s_andn2_b64 vcc, exec, s[14:15]
	s_cbranch_vccnz .LBB159_1925
; %bb.1918:
	v_cndmask_b32_e64 v5, 0, 1.0, s[6:7]
	s_mov_b32 s14, 0x43800000
	v_cmp_gt_u32_e32 vcc, s14, v5
	v_mov_b32_e32 v6, 0x80
	s_and_saveexec_b64 s[14:15], vcc
	s_cbranch_execz .LBB159_1924
; %bb.1919:
	s_mov_b32 s16, 0x3bffffff
	v_cmp_lt_u32_e32 vcc, s16, v5
	s_mov_b64 s[16:17], 0
                                        ; implicit-def: $vgpr1
	s_and_saveexec_b64 s[18:19], vcc
	s_xor_b64 s[18:19], exec, s[18:19]
	s_cbranch_execz .LBB159_2214
; %bb.1920:
	v_bfe_u32 v1, v5, 20, 1
	s_mov_b32 s21, 0x487ffff
	v_add3_u32 v1, v5, v1, s21
	s_mov_b64 s[16:17], exec
	v_lshrrev_b32_e32 v1, 20, v1
                                        ; implicit-def: $vgpr5
	s_andn2_saveexec_b64 s[18:19], s[18:19]
	s_cbranch_execnz .LBB159_2215
.LBB159_1921:
	s_or_b64 exec, exec, s[18:19]
	v_mov_b32_e32 v6, 0
	s_and_saveexec_b64 s[18:19], s[16:17]
.LBB159_1922:
	v_mov_b32_e32 v6, v1
.LBB159_1923:
	s_or_b64 exec, exec, s[18:19]
.LBB159_1924:
	s_or_b64 exec, exec, s[14:15]
	global_store_byte v[3:4], v6, off
.LBB159_1925:
	s_mov_b64 s[14:15], -1
.LBB159_1926:
	s_mov_b64 s[16:17], 0
.LBB159_1927:
	s_and_b64 vcc, exec, s[16:17]
	s_cbranch_vccz .LBB159_1967
; %bb.1928:
	s_cmp_gt_i32 s20, 22
	s_mov_b64 s[4:5], -1
	s_cbranch_scc0 .LBB159_1960
; %bb.1929:
	s_cmp_lt_i32 s20, 24
	s_cbranch_scc1 .LBB159_1949
; %bb.1930:
	s_cmp_gt_i32 s20, 24
	s_cbranch_scc0 .LBB159_1938
; %bb.1931:
	v_cndmask_b32_e64 v5, 0, 1.0, s[6:7]
	s_mov_b32 s4, 0x47800000
	v_cmp_gt_u32_e32 vcc, s4, v5
	v_mov_b32_e32 v6, 0x80
	s_and_saveexec_b64 s[4:5], vcc
	s_cbranch_execz .LBB159_1937
; %bb.1932:
	s_mov_b32 s14, 0x37ffffff
	v_cmp_lt_u32_e32 vcc, s14, v5
	s_mov_b64 s[14:15], 0
                                        ; implicit-def: $vgpr1
	s_and_saveexec_b64 s[16:17], vcc
	s_xor_b64 s[16:17], exec, s[16:17]
	s_cbranch_execz .LBB159_2217
; %bb.1933:
	v_bfe_u32 v1, v5, 21, 1
	s_mov_b32 s18, 0x88fffff
	v_add3_u32 v1, v5, v1, s18
	s_mov_b64 s[14:15], exec
	v_lshrrev_b32_e32 v1, 21, v1
                                        ; implicit-def: $vgpr5
	s_andn2_saveexec_b64 s[16:17], s[16:17]
	s_cbranch_execnz .LBB159_2218
.LBB159_1934:
	s_or_b64 exec, exec, s[16:17]
	v_mov_b32_e32 v6, 0
	s_and_saveexec_b64 s[16:17], s[14:15]
.LBB159_1935:
	v_mov_b32_e32 v6, v1
.LBB159_1936:
	s_or_b64 exec, exec, s[16:17]
.LBB159_1937:
	s_or_b64 exec, exec, s[4:5]
	s_mov_b64 s[4:5], 0
	global_store_byte v[3:4], v6, off
.LBB159_1938:
	s_and_b64 vcc, exec, s[4:5]
	s_cbranch_vccz .LBB159_1948
; %bb.1939:
	v_cndmask_b32_e64 v1, 0, 1.0, s[6:7]
	s_mov_b32 s4, 0x43f00000
	v_cmp_gt_u32_e32 vcc, s4, v1
                                        ; implicit-def: $vgpr5
	s_and_saveexec_b64 s[4:5], vcc
	s_xor_b64 s[4:5], exec, s[4:5]
	s_cbranch_execz .LBB159_1945
; %bb.1940:
	s_mov_b32 s14, 0x3c7fffff
	v_cmp_lt_u32_e32 vcc, s14, v1
                                        ; implicit-def: $vgpr5
	s_and_saveexec_b64 s[14:15], vcc
	s_xor_b64 s[14:15], exec, s[14:15]
; %bb.1941:
	v_bfe_u32 v5, v1, 20, 1
	s_mov_b32 s16, 0x407ffff
	v_add3_u32 v1, v1, v5, s16
	v_lshrrev_b32_e32 v5, 20, v1
	v_and_b32_e32 v1, 0xff00000, v1
	s_mov_b32 s16, 0x7f00000
	v_mov_b32_e32 v6, 0x7e
	v_cmp_ne_u32_e32 vcc, s16, v1
	v_cndmask_b32_e32 v5, v6, v5, vcc
                                        ; implicit-def: $vgpr1
; %bb.1942:
	s_andn2_saveexec_b64 s[14:15], s[14:15]
; %bb.1943:
	v_add_f32_e32 v5, 0x46800000, v1
; %bb.1944:
	s_or_b64 exec, exec, s[14:15]
                                        ; implicit-def: $vgpr1
.LBB159_1945:
	s_andn2_saveexec_b64 s[4:5], s[4:5]
; %bb.1946:
	s_mov_b32 s14, 0x7f800000
	v_mov_b32_e32 v5, 0x7e
	v_mov_b32_e32 v6, 0x7f
	v_cmp_lt_u32_e32 vcc, s14, v1
	v_cndmask_b32_e32 v5, v5, v6, vcc
; %bb.1947:
	s_or_b64 exec, exec, s[4:5]
	global_store_byte v[3:4], v5, off
.LBB159_1948:
	s_mov_b64 s[4:5], 0
.LBB159_1949:
	s_andn2_b64 vcc, exec, s[4:5]
	s_cbranch_vccnz .LBB159_1959
; %bb.1950:
	v_cndmask_b32_e64 v1, 0, 1.0, s[6:7]
	s_mov_b32 s4, 0x47800000
	v_cmp_gt_u32_e32 vcc, s4, v1
                                        ; implicit-def: $vgpr5
	s_and_saveexec_b64 s[4:5], vcc
	s_xor_b64 s[4:5], exec, s[4:5]
	s_cbranch_execz .LBB159_1956
; %bb.1951:
	s_mov_b32 s14, 0x387fffff
	v_cmp_lt_u32_e32 vcc, s14, v1
                                        ; implicit-def: $vgpr5
	s_and_saveexec_b64 s[14:15], vcc
	s_xor_b64 s[14:15], exec, s[14:15]
; %bb.1952:
	v_bfe_u32 v5, v1, 21, 1
	s_mov_b32 s16, 0x80fffff
	v_add3_u32 v1, v1, v5, s16
	v_lshrrev_b32_e32 v5, 21, v1
                                        ; implicit-def: $vgpr1
; %bb.1953:
	s_andn2_saveexec_b64 s[14:15], s[14:15]
; %bb.1954:
	v_add_f32_e32 v5, 0x43000000, v1
; %bb.1955:
	s_or_b64 exec, exec, s[14:15]
                                        ; implicit-def: $vgpr1
.LBB159_1956:
	s_andn2_saveexec_b64 s[4:5], s[4:5]
; %bb.1957:
	s_mov_b32 s14, 0x7f800000
	v_mov_b32_e32 v5, 0x7c
	v_mov_b32_e32 v6, 0x7f
	v_cmp_lt_u32_e32 vcc, s14, v1
	v_cndmask_b32_e32 v5, v5, v6, vcc
; %bb.1958:
	s_or_b64 exec, exec, s[4:5]
	global_store_byte v[3:4], v5, off
.LBB159_1959:
	s_mov_b64 s[4:5], 0
	s_mov_b64 s[14:15], -1
.LBB159_1960:
	s_andn2_b64 vcc, exec, s[4:5]
	s_mov_b64 s[4:5], 0
	s_cbranch_vccnz .LBB159_1967
; %bb.1961:
	s_cmp_gt_i32 s20, 14
	s_mov_b64 s[16:17], -1
	s_cbranch_scc0 .LBB159_1965
; %bb.1962:
	s_cmp_eq_u32 s20, 15
	s_mov_b64 s[0:1], -1
	s_cbranch_scc0 .LBB159_1964
; %bb.1963:
	v_cndmask_b32_e64 v1, 0, 1.0, s[6:7]
	v_bfe_u32 v5, v1, 16, 1
	s_movk_i32 s0, 0x7fff
	v_add3_u32 v1, v1, v5, s0
	global_store_short_d16_hi v[3:4], v1, off
	s_mov_b64 s[0:1], 0
	s_mov_b64 s[14:15], -1
.LBB159_1964:
	s_mov_b64 s[16:17], 0
.LBB159_1965:
	s_and_b64 vcc, exec, s[16:17]
	s_cbranch_vccz .LBB159_1967
; %bb.1966:
	s_cmp_lg_u32 s20, 11
	s_mov_b64 s[4:5], -1
	s_cselect_b64 s[0:1], -1, 0
.LBB159_1967:
	s_and_b64 vcc, exec, s[0:1]
	s_cbranch_vccnz .LBB159_2216
; %bb.1968:
	s_andn2_b64 vcc, exec, s[4:5]
	s_cbranch_vccnz .LBB159_1970
.LBB159_1969:
	v_cndmask_b32_e64 v1, 0, 1, s[6:7]
	s_mov_b64 s[14:15], -1
	global_store_byte v[3:4], v1, off
.LBB159_1970:
	s_mov_b64 s[0:1], 0
	s_branch .LBB159_1972
.LBB159_1971:
	s_mov_b64 s[0:1], -1
	s_mov_b64 s[14:15], 0
.LBB159_1972:
	s_and_b64 vcc, exec, s[0:1]
	s_cbranch_vccz .LBB159_2011
; %bb.1973:
	s_cmp_lt_i32 s20, 5
	s_mov_b64 s[0:1], -1
	s_cbranch_scc1 .LBB159_1994
; %bb.1974:
	s_cmp_lt_i32 s20, 8
	s_cbranch_scc1 .LBB159_1984
; %bb.1975:
	s_cmp_lt_i32 s20, 9
	s_cbranch_scc1 .LBB159_1981
; %bb.1976:
	s_cmp_gt_i32 s20, 9
	s_cbranch_scc0 .LBB159_1978
; %bb.1977:
	v_cndmask_b32_e64 v1, 0, 1, s[6:7]
	v_cvt_f64_u32_e32 v[5:6], v1
	v_mov_b32_e32 v7, 0
	v_mov_b32_e32 v8, v7
	s_mov_b64 s[0:1], 0
	global_store_dwordx4 v[3:4], v[5:8], off
.LBB159_1978:
	s_andn2_b64 vcc, exec, s[0:1]
	s_cbranch_vccnz .LBB159_1980
; %bb.1979:
	v_cndmask_b32_e64 v5, 0, 1.0, s[6:7]
	v_mov_b32_e32 v6, 0
	global_store_dwordx2 v[3:4], v[5:6], off
.LBB159_1980:
	s_mov_b64 s[0:1], 0
.LBB159_1981:
	s_andn2_b64 vcc, exec, s[0:1]
	s_cbranch_vccnz .LBB159_1983
; %bb.1982:
	v_cndmask_b32_e64 v1, 0, 1.0, s[6:7]
	v_cvt_f16_f32_e32 v1, v1
	global_store_dword v[3:4], v1, off
.LBB159_1983:
	s_mov_b64 s[0:1], 0
.LBB159_1984:
	s_andn2_b64 vcc, exec, s[0:1]
	s_cbranch_vccnz .LBB159_1993
; %bb.1985:
	s_cmp_lt_i32 s20, 6
	s_mov_b64 s[0:1], -1
	s_cbranch_scc1 .LBB159_1991
; %bb.1986:
	s_cmp_gt_i32 s20, 6
	s_cbranch_scc0 .LBB159_1988
; %bb.1987:
	v_cndmask_b32_e64 v1, 0, 1, s[6:7]
	v_cvt_f64_u32_e32 v[5:6], v1
	s_mov_b64 s[0:1], 0
	global_store_dwordx2 v[3:4], v[5:6], off
.LBB159_1988:
	s_andn2_b64 vcc, exec, s[0:1]
	s_cbranch_vccnz .LBB159_1990
; %bb.1989:
	v_cndmask_b32_e64 v1, 0, 1.0, s[6:7]
	global_store_dword v[3:4], v1, off
.LBB159_1990:
	s_mov_b64 s[0:1], 0
.LBB159_1991:
	s_andn2_b64 vcc, exec, s[0:1]
	s_cbranch_vccnz .LBB159_1993
; %bb.1992:
	v_cndmask_b32_e64 v1, 0, 1.0, s[6:7]
	v_cvt_f16_f32_e32 v1, v1
	global_store_short v[3:4], v1, off
.LBB159_1993:
	s_mov_b64 s[0:1], 0
.LBB159_1994:
	s_andn2_b64 vcc, exec, s[0:1]
	s_cbranch_vccnz .LBB159_2010
; %bb.1995:
	s_cmp_lt_i32 s20, 2
	s_mov_b64 s[0:1], -1
	s_cbranch_scc1 .LBB159_2005
; %bb.1996:
	s_cmp_lt_i32 s20, 3
	s_cbranch_scc1 .LBB159_2002
; %bb.1997:
	s_cmp_gt_i32 s20, 3
	s_cbranch_scc0 .LBB159_1999
; %bb.1998:
	s_mov_b32 s0, 0
	v_cndmask_b32_e64 v5, 0, 1, s[6:7]
	v_mov_b32_e32 v6, s0
	global_store_dwordx2 v[3:4], v[5:6], off
	s_mov_b64 s[0:1], 0
.LBB159_1999:
	s_andn2_b64 vcc, exec, s[0:1]
	s_cbranch_vccnz .LBB159_2001
; %bb.2000:
	v_cndmask_b32_e64 v1, 0, 1, s[6:7]
	global_store_dword v[3:4], v1, off
.LBB159_2001:
	s_mov_b64 s[0:1], 0
.LBB159_2002:
	s_andn2_b64 vcc, exec, s[0:1]
	s_cbranch_vccnz .LBB159_2004
; %bb.2003:
	v_cndmask_b32_e64 v1, 0, 1, s[6:7]
	global_store_short v[3:4], v1, off
.LBB159_2004:
	s_mov_b64 s[0:1], 0
.LBB159_2005:
	s_andn2_b64 vcc, exec, s[0:1]
	s_cbranch_vccnz .LBB159_2010
; %bb.2006:
	s_mov_b64 s[0:1], -1
	s_cmp_gt_i32 s20, 0
	v_cndmask_b32_e64 v1, 0, 1, s[6:7]
	s_cbranch_scc0 .LBB159_2008
; %bb.2007:
	global_store_byte v[3:4], v1, off
	s_mov_b64 s[0:1], 0
.LBB159_2008:
	s_andn2_b64 vcc, exec, s[0:1]
	s_cbranch_vccnz .LBB159_2010
; %bb.2009:
	global_store_byte v[3:4], v1, off
.LBB159_2010:
	s_mov_b64 s[14:15], -1
.LBB159_2011:
	s_andn2_b64 vcc, exec, s[14:15]
	s_cbranch_vccnz .LBB159_2207
; %bb.2012:
	v_mov_b32_e32 v3, s9
	v_add_co_u32_e32 v1, vcc, s8, v2
	s_cmp_lt_i32 s20, 11
	v_addc_co_u32_e32 v2, vcc, 0, v3, vcc
	s_cbranch_scc1 .LBB159_2090
; %bb.2013:
	s_mov_b64 s[14:15], -1
	s_mov_b64 s[4:5], 0
	s_cmp_gt_i32 s20, 25
	s_mov_b64 s[6:7], 0
	s_mov_b64 s[0:1], 0
	s_cbranch_scc0 .LBB159_2046
; %bb.2014:
	s_cmp_gt_i32 s20, 28
	s_cbranch_scc0 .LBB159_2029
; %bb.2015:
	s_cmp_gt_i32 s20, 43
	;; [unrolled: 3-line block ×3, first 2 shown]
	s_cbranch_scc0 .LBB159_2019
; %bb.2017:
	s_mov_b64 s[0:1], -1
	s_mov_b64 s[14:15], 0
	s_cmp_eq_u32 s20, 46
	s_cbranch_scc0 .LBB159_2019
; %bb.2018:
	v_cndmask_b32_e64 v3, 0, 1.0, s[12:13]
	v_bfe_u32 v4, v3, 16, 1
	s_movk_i32 s0, 0x7fff
	v_add3_u32 v3, v3, v4, s0
	v_lshrrev_b32_e32 v3, 16, v3
	global_store_dword v[1:2], v3, off
	s_mov_b64 s[0:1], 0
	s_mov_b64 s[6:7], -1
.LBB159_2019:
	s_and_b64 vcc, exec, s[14:15]
	s_cbranch_vccz .LBB159_2024
; %bb.2020:
	s_cmp_eq_u32 s20, 44
	s_mov_b64 s[0:1], -1
	s_cbranch_scc0 .LBB159_2024
; %bb.2021:
	v_cndmask_b32_e64 v4, 0, 1.0, s[12:13]
	v_lshrrev_b32_e32 v3, 23, v4
	s_movk_i32 s0, 0xff
	v_cmp_ne_u32_e32 vcc, s0, v3
	v_mov_b32_e32 v5, 0xff
	s_and_saveexec_b64 s[6:7], vcc
; %bb.2022:
	s_mov_b32 s0, 0x3fffff
	v_and_b32_e32 v5, 0x400000, v4
	v_and_or_b32 v4, v4, s0, v3
	v_cmp_ne_u32_e32 vcc, 0, v5
	v_cmp_ne_u32_e64 s[0:1], 0, v4
	s_and_b64 s[0:1], vcc, s[0:1]
	v_cndmask_b32_e64 v4, 0, 1, s[0:1]
	v_add_u32_e32 v5, v3, v4
; %bb.2023:
	s_or_b64 exec, exec, s[6:7]
	s_mov_b64 s[0:1], 0
	s_mov_b64 s[6:7], -1
	global_store_byte v[1:2], v5, off
.LBB159_2024:
	s_mov_b64 s[14:15], 0
.LBB159_2025:
	s_and_b64 vcc, exec, s[14:15]
	s_cbranch_vccz .LBB159_2028
; %bb.2026:
	s_cmp_eq_u32 s20, 29
	s_mov_b64 s[0:1], -1
	s_cbranch_scc0 .LBB159_2028
; %bb.2027:
	s_mov_b32 s0, 0
	v_cndmask_b32_e64 v3, 0, 1, s[12:13]
	v_mov_b32_e32 v4, s0
	global_store_dwordx2 v[1:2], v[3:4], off
	s_mov_b64 s[0:1], 0
	s_mov_b64 s[6:7], -1
.LBB159_2028:
	s_mov_b64 s[14:15], 0
.LBB159_2029:
	s_and_b64 vcc, exec, s[14:15]
	s_cbranch_vccz .LBB159_2045
; %bb.2030:
	s_cmp_lt_i32 s20, 27
	s_mov_b64 s[6:7], -1
	s_cbranch_scc1 .LBB159_2036
; %bb.2031:
	s_cmp_gt_i32 s20, 27
	s_cbranch_scc0 .LBB159_2033
; %bb.2032:
	v_cndmask_b32_e64 v3, 0, 1, s[12:13]
	s_mov_b64 s[6:7], 0
	global_store_dword v[1:2], v3, off
.LBB159_2033:
	s_andn2_b64 vcc, exec, s[6:7]
	s_cbranch_vccnz .LBB159_2035
; %bb.2034:
	v_cndmask_b32_e64 v3, 0, 1, s[12:13]
	global_store_short v[1:2], v3, off
.LBB159_2035:
	s_mov_b64 s[6:7], 0
.LBB159_2036:
	s_andn2_b64 vcc, exec, s[6:7]
	s_cbranch_vccnz .LBB159_2044
; %bb.2037:
	v_cndmask_b32_e64 v4, 0, 1.0, s[12:13]
	s_mov_b32 s6, 0x43800000
	v_cmp_gt_u32_e32 vcc, s6, v4
	v_mov_b32_e32 v5, 0x80
	s_and_saveexec_b64 s[6:7], vcc
	s_cbranch_execz .LBB159_2043
; %bb.2038:
	s_mov_b32 s14, 0x3bffffff
	v_cmp_lt_u32_e32 vcc, s14, v4
	s_mov_b64 s[14:15], 0
                                        ; implicit-def: $vgpr3
	s_and_saveexec_b64 s[16:17], vcc
	s_xor_b64 s[16:17], exec, s[16:17]
	s_cbranch_execz .LBB159_2219
; %bb.2039:
	v_bfe_u32 v3, v4, 20, 1
	s_mov_b32 s18, 0x487ffff
	v_add3_u32 v3, v4, v3, s18
	s_mov_b64 s[14:15], exec
	v_lshrrev_b32_e32 v3, 20, v3
                                        ; implicit-def: $vgpr4
	s_andn2_saveexec_b64 s[16:17], s[16:17]
	s_cbranch_execnz .LBB159_2220
.LBB159_2040:
	s_or_b64 exec, exec, s[16:17]
	v_mov_b32_e32 v5, 0
	s_and_saveexec_b64 s[16:17], s[14:15]
.LBB159_2041:
	v_mov_b32_e32 v5, v3
.LBB159_2042:
	s_or_b64 exec, exec, s[16:17]
.LBB159_2043:
	s_or_b64 exec, exec, s[6:7]
	global_store_byte v[1:2], v5, off
.LBB159_2044:
	s_mov_b64 s[6:7], -1
.LBB159_2045:
	s_mov_b64 s[14:15], 0
.LBB159_2046:
	s_and_b64 vcc, exec, s[14:15]
	s_cbranch_vccz .LBB159_2086
; %bb.2047:
	s_cmp_gt_i32 s20, 22
	s_mov_b64 s[4:5], -1
	s_cbranch_scc0 .LBB159_2079
; %bb.2048:
	s_cmp_lt_i32 s20, 24
	s_cbranch_scc1 .LBB159_2068
; %bb.2049:
	s_cmp_gt_i32 s20, 24
	s_cbranch_scc0 .LBB159_2057
; %bb.2050:
	v_cndmask_b32_e64 v4, 0, 1.0, s[12:13]
	s_mov_b32 s4, 0x47800000
	v_cmp_gt_u32_e32 vcc, s4, v4
	v_mov_b32_e32 v5, 0x80
	s_and_saveexec_b64 s[4:5], vcc
	s_cbranch_execz .LBB159_2056
; %bb.2051:
	s_mov_b32 s6, 0x37ffffff
	v_cmp_lt_u32_e32 vcc, s6, v4
	s_mov_b64 s[6:7], 0
                                        ; implicit-def: $vgpr3
	s_and_saveexec_b64 s[14:15], vcc
	s_xor_b64 s[14:15], exec, s[14:15]
	s_cbranch_execz .LBB159_2222
; %bb.2052:
	v_bfe_u32 v3, v4, 21, 1
	s_mov_b32 s16, 0x88fffff
	v_add3_u32 v3, v4, v3, s16
	s_mov_b64 s[6:7], exec
	v_lshrrev_b32_e32 v3, 21, v3
                                        ; implicit-def: $vgpr4
	s_andn2_saveexec_b64 s[14:15], s[14:15]
	s_cbranch_execnz .LBB159_2223
.LBB159_2053:
	s_or_b64 exec, exec, s[14:15]
	v_mov_b32_e32 v5, 0
	s_and_saveexec_b64 s[14:15], s[6:7]
.LBB159_2054:
	v_mov_b32_e32 v5, v3
.LBB159_2055:
	s_or_b64 exec, exec, s[14:15]
.LBB159_2056:
	s_or_b64 exec, exec, s[4:5]
	s_mov_b64 s[4:5], 0
	global_store_byte v[1:2], v5, off
.LBB159_2057:
	s_and_b64 vcc, exec, s[4:5]
	s_cbranch_vccz .LBB159_2067
; %bb.2058:
	v_cndmask_b32_e64 v3, 0, 1.0, s[12:13]
	s_mov_b32 s4, 0x43f00000
	v_cmp_gt_u32_e32 vcc, s4, v3
                                        ; implicit-def: $vgpr4
	s_and_saveexec_b64 s[4:5], vcc
	s_xor_b64 s[4:5], exec, s[4:5]
	s_cbranch_execz .LBB159_2064
; %bb.2059:
	s_mov_b32 s6, 0x3c7fffff
	v_cmp_lt_u32_e32 vcc, s6, v3
                                        ; implicit-def: $vgpr4
	s_and_saveexec_b64 s[6:7], vcc
	s_xor_b64 s[6:7], exec, s[6:7]
; %bb.2060:
	v_bfe_u32 v4, v3, 20, 1
	s_mov_b32 s14, 0x407ffff
	v_add3_u32 v3, v3, v4, s14
	v_lshrrev_b32_e32 v4, 20, v3
	v_and_b32_e32 v3, 0xff00000, v3
	s_mov_b32 s14, 0x7f00000
	v_mov_b32_e32 v5, 0x7e
	v_cmp_ne_u32_e32 vcc, s14, v3
	v_cndmask_b32_e32 v4, v5, v4, vcc
                                        ; implicit-def: $vgpr3
; %bb.2061:
	s_andn2_saveexec_b64 s[6:7], s[6:7]
; %bb.2062:
	v_add_f32_e32 v4, 0x46800000, v3
; %bb.2063:
	s_or_b64 exec, exec, s[6:7]
                                        ; implicit-def: $vgpr3
.LBB159_2064:
	s_andn2_saveexec_b64 s[4:5], s[4:5]
; %bb.2065:
	s_mov_b32 s6, 0x7f800000
	v_mov_b32_e32 v4, 0x7e
	v_mov_b32_e32 v5, 0x7f
	v_cmp_lt_u32_e32 vcc, s6, v3
	v_cndmask_b32_e32 v4, v4, v5, vcc
; %bb.2066:
	s_or_b64 exec, exec, s[4:5]
	global_store_byte v[1:2], v4, off
.LBB159_2067:
	s_mov_b64 s[4:5], 0
.LBB159_2068:
	s_andn2_b64 vcc, exec, s[4:5]
	s_cbranch_vccnz .LBB159_2078
; %bb.2069:
	v_cndmask_b32_e64 v3, 0, 1.0, s[12:13]
	s_mov_b32 s4, 0x47800000
	v_cmp_gt_u32_e32 vcc, s4, v3
                                        ; implicit-def: $vgpr4
	s_and_saveexec_b64 s[4:5], vcc
	s_xor_b64 s[4:5], exec, s[4:5]
	s_cbranch_execz .LBB159_2075
; %bb.2070:
	s_mov_b32 s6, 0x387fffff
	v_cmp_lt_u32_e32 vcc, s6, v3
                                        ; implicit-def: $vgpr4
	s_and_saveexec_b64 s[6:7], vcc
	s_xor_b64 s[6:7], exec, s[6:7]
; %bb.2071:
	v_bfe_u32 v4, v3, 21, 1
	s_mov_b32 s14, 0x80fffff
	v_add3_u32 v3, v3, v4, s14
	v_lshrrev_b32_e32 v4, 21, v3
                                        ; implicit-def: $vgpr3
; %bb.2072:
	s_andn2_saveexec_b64 s[6:7], s[6:7]
; %bb.2073:
	v_add_f32_e32 v4, 0x43000000, v3
; %bb.2074:
	s_or_b64 exec, exec, s[6:7]
                                        ; implicit-def: $vgpr3
.LBB159_2075:
	s_andn2_saveexec_b64 s[4:5], s[4:5]
; %bb.2076:
	s_mov_b32 s6, 0x7f800000
	v_mov_b32_e32 v4, 0x7c
	v_mov_b32_e32 v5, 0x7f
	v_cmp_lt_u32_e32 vcc, s6, v3
	v_cndmask_b32_e32 v4, v4, v5, vcc
; %bb.2077:
	s_or_b64 exec, exec, s[4:5]
	global_store_byte v[1:2], v4, off
.LBB159_2078:
	s_mov_b64 s[4:5], 0
	s_mov_b64 s[6:7], -1
.LBB159_2079:
	s_andn2_b64 vcc, exec, s[4:5]
	s_mov_b64 s[4:5], 0
	s_cbranch_vccnz .LBB159_2086
; %bb.2080:
	s_cmp_gt_i32 s20, 14
	s_mov_b64 s[14:15], -1
	s_cbranch_scc0 .LBB159_2084
; %bb.2081:
	s_cmp_eq_u32 s20, 15
	s_mov_b64 s[0:1], -1
	s_cbranch_scc0 .LBB159_2083
; %bb.2082:
	v_cndmask_b32_e64 v3, 0, 1.0, s[12:13]
	v_bfe_u32 v4, v3, 16, 1
	s_movk_i32 s0, 0x7fff
	v_add3_u32 v3, v3, v4, s0
	global_store_short_d16_hi v[1:2], v3, off
	s_mov_b64 s[0:1], 0
	s_mov_b64 s[6:7], -1
.LBB159_2083:
	s_mov_b64 s[14:15], 0
.LBB159_2084:
	s_and_b64 vcc, exec, s[14:15]
	s_cbranch_vccz .LBB159_2086
; %bb.2085:
	s_cmp_lg_u32 s20, 11
	s_mov_b64 s[4:5], -1
	s_cselect_b64 s[0:1], -1, 0
.LBB159_2086:
	s_and_b64 vcc, exec, s[0:1]
	s_cbranch_vccnz .LBB159_2221
; %bb.2087:
	s_andn2_b64 vcc, exec, s[4:5]
	s_cbranch_vccnz .LBB159_2089
.LBB159_2088:
	v_cndmask_b32_e64 v3, 0, 1, s[12:13]
	s_mov_b64 s[6:7], -1
	global_store_byte v[1:2], v3, off
.LBB159_2089:
	s_mov_b64 s[0:1], 0
	s_branch .LBB159_2091
.LBB159_2090:
	s_mov_b64 s[0:1], -1
	s_mov_b64 s[6:7], 0
.LBB159_2091:
	s_and_b64 vcc, exec, s[0:1]
	s_cbranch_vccz .LBB159_2130
; %bb.2092:
	s_cmp_lt_i32 s20, 5
	s_mov_b64 s[0:1], -1
	s_cbranch_scc1 .LBB159_2113
; %bb.2093:
	s_cmp_lt_i32 s20, 8
	s_cbranch_scc1 .LBB159_2103
; %bb.2094:
	s_cmp_lt_i32 s20, 9
	s_cbranch_scc1 .LBB159_2100
; %bb.2095:
	s_cmp_gt_i32 s20, 9
	s_cbranch_scc0 .LBB159_2097
; %bb.2096:
	v_cndmask_b32_e64 v3, 0, 1, s[12:13]
	v_cvt_f64_u32_e32 v[3:4], v3
	v_mov_b32_e32 v5, 0
	v_mov_b32_e32 v6, v5
	s_mov_b64 s[0:1], 0
	global_store_dwordx4 v[1:2], v[3:6], off
.LBB159_2097:
	s_andn2_b64 vcc, exec, s[0:1]
	s_cbranch_vccnz .LBB159_2099
; %bb.2098:
	v_cndmask_b32_e64 v3, 0, 1.0, s[12:13]
	v_mov_b32_e32 v4, 0
	global_store_dwordx2 v[1:2], v[3:4], off
.LBB159_2099:
	s_mov_b64 s[0:1], 0
.LBB159_2100:
	s_andn2_b64 vcc, exec, s[0:1]
	s_cbranch_vccnz .LBB159_2102
; %bb.2101:
	v_cndmask_b32_e64 v3, 0, 1.0, s[12:13]
	v_cvt_f16_f32_e32 v3, v3
	global_store_dword v[1:2], v3, off
.LBB159_2102:
	s_mov_b64 s[0:1], 0
.LBB159_2103:
	s_andn2_b64 vcc, exec, s[0:1]
	s_cbranch_vccnz .LBB159_2112
; %bb.2104:
	s_cmp_lt_i32 s20, 6
	s_mov_b64 s[0:1], -1
	s_cbranch_scc1 .LBB159_2110
; %bb.2105:
	s_cmp_gt_i32 s20, 6
	s_cbranch_scc0 .LBB159_2107
; %bb.2106:
	v_cndmask_b32_e64 v3, 0, 1, s[12:13]
	v_cvt_f64_u32_e32 v[3:4], v3
	s_mov_b64 s[0:1], 0
	global_store_dwordx2 v[1:2], v[3:4], off
.LBB159_2107:
	s_andn2_b64 vcc, exec, s[0:1]
	s_cbranch_vccnz .LBB159_2109
; %bb.2108:
	v_cndmask_b32_e64 v3, 0, 1.0, s[12:13]
	global_store_dword v[1:2], v3, off
.LBB159_2109:
	s_mov_b64 s[0:1], 0
.LBB159_2110:
	s_andn2_b64 vcc, exec, s[0:1]
	s_cbranch_vccnz .LBB159_2112
; %bb.2111:
	v_cndmask_b32_e64 v3, 0, 1.0, s[12:13]
	v_cvt_f16_f32_e32 v3, v3
	global_store_short v[1:2], v3, off
.LBB159_2112:
	s_mov_b64 s[0:1], 0
.LBB159_2113:
	s_andn2_b64 vcc, exec, s[0:1]
	s_cbranch_vccnz .LBB159_2129
; %bb.2114:
	s_cmp_lt_i32 s20, 2
	s_mov_b64 s[0:1], -1
	s_cbranch_scc1 .LBB159_2124
; %bb.2115:
	s_cmp_lt_i32 s20, 3
	s_cbranch_scc1 .LBB159_2121
; %bb.2116:
	s_cmp_gt_i32 s20, 3
	s_cbranch_scc0 .LBB159_2118
; %bb.2117:
	s_mov_b32 s0, 0
	v_cndmask_b32_e64 v3, 0, 1, s[12:13]
	v_mov_b32_e32 v4, s0
	global_store_dwordx2 v[1:2], v[3:4], off
	s_mov_b64 s[0:1], 0
.LBB159_2118:
	s_andn2_b64 vcc, exec, s[0:1]
	s_cbranch_vccnz .LBB159_2120
; %bb.2119:
	v_cndmask_b32_e64 v3, 0, 1, s[12:13]
	global_store_dword v[1:2], v3, off
.LBB159_2120:
	s_mov_b64 s[0:1], 0
.LBB159_2121:
	s_andn2_b64 vcc, exec, s[0:1]
	s_cbranch_vccnz .LBB159_2123
; %bb.2122:
	v_cndmask_b32_e64 v3, 0, 1, s[12:13]
	global_store_short v[1:2], v3, off
.LBB159_2123:
	s_mov_b64 s[0:1], 0
.LBB159_2124:
	s_andn2_b64 vcc, exec, s[0:1]
	s_cbranch_vccnz .LBB159_2129
; %bb.2125:
	s_cmp_gt_i32 s20, 0
	s_mov_b64 s[0:1], -1
	s_cbranch_scc0 .LBB159_2127
; %bb.2126:
	v_cndmask_b32_e64 v3, 0, 1, s[12:13]
	global_store_byte v[1:2], v3, off
	s_mov_b64 s[0:1], 0
.LBB159_2127:
	s_andn2_b64 vcc, exec, s[0:1]
	s_cbranch_vccnz .LBB159_2129
; %bb.2128:
	v_cndmask_b32_e64 v3, 0, 1, s[12:13]
	global_store_byte v[1:2], v3, off
.LBB159_2129:
	s_mov_b64 s[6:7], -1
.LBB159_2130:
	s_andn2_b64 vcc, exec, s[6:7]
	s_cbranch_vccnz .LBB159_2207
; %bb.2131:
	v_mov_b32_e32 v1, s9
	v_add_co_u32_e32 v0, vcc, s8, v0
	s_cmp_lt_i32 s20, 11
	v_addc_co_u32_e32 v1, vcc, 0, v1, vcc
	s_cbranch_scc1 .LBB159_2208
; %bb.2132:
	s_mov_b64 s[6:7], -1
	s_mov_b64 s[4:5], 0
	s_cmp_gt_i32 s20, 25
	s_mov_b64 s[0:1], 0
	s_cbranch_scc0 .LBB159_2165
; %bb.2133:
	s_cmp_gt_i32 s20, 28
	s_cbranch_scc0 .LBB159_2149
; %bb.2134:
	s_cmp_gt_i32 s20, 43
	;; [unrolled: 3-line block ×3, first 2 shown]
	s_cbranch_scc0 .LBB159_2139
; %bb.2136:
	s_cmp_eq_u32 s20, 46
	s_mov_b64 s[0:1], -1
	s_cbranch_scc0 .LBB159_2138
; %bb.2137:
	v_cndmask_b32_e64 v2, 0, 1.0, s[10:11]
	v_bfe_u32 v3, v2, 16, 1
	s_movk_i32 s0, 0x7fff
	v_add3_u32 v2, v2, v3, s0
	v_lshrrev_b32_e32 v2, 16, v2
	global_store_dword v[0:1], v2, off
	s_mov_b64 s[0:1], 0
.LBB159_2138:
	s_mov_b64 s[6:7], 0
.LBB159_2139:
	s_and_b64 vcc, exec, s[6:7]
	s_cbranch_vccz .LBB159_2144
; %bb.2140:
	s_cmp_eq_u32 s20, 44
	s_mov_b64 s[0:1], -1
	s_cbranch_scc0 .LBB159_2144
; %bb.2141:
	v_cndmask_b32_e64 v3, 0, 1.0, s[10:11]
	v_lshrrev_b32_e32 v2, 23, v3
	s_movk_i32 s0, 0xff
	v_cmp_ne_u32_e32 vcc, s0, v2
	v_mov_b32_e32 v4, 0xff
	s_and_saveexec_b64 s[6:7], vcc
; %bb.2142:
	s_mov_b32 s0, 0x3fffff
	v_and_b32_e32 v4, 0x400000, v3
	v_and_or_b32 v3, v3, s0, v2
	v_cmp_ne_u32_e32 vcc, 0, v4
	v_cmp_ne_u32_e64 s[0:1], 0, v3
	s_and_b64 s[0:1], vcc, s[0:1]
	v_cndmask_b32_e64 v3, 0, 1, s[0:1]
	v_add_u32_e32 v4, v2, v3
; %bb.2143:
	s_or_b64 exec, exec, s[6:7]
	s_mov_b64 s[0:1], 0
	global_store_byte v[0:1], v4, off
.LBB159_2144:
	s_mov_b64 s[6:7], 0
.LBB159_2145:
	s_and_b64 vcc, exec, s[6:7]
	s_cbranch_vccz .LBB159_2148
; %bb.2146:
	s_cmp_eq_u32 s20, 29
	s_mov_b64 s[0:1], -1
	s_cbranch_scc0 .LBB159_2148
; %bb.2147:
	s_mov_b32 s0, 0
	v_cndmask_b32_e64 v2, 0, 1, s[10:11]
	v_mov_b32_e32 v3, s0
	global_store_dwordx2 v[0:1], v[2:3], off
	s_mov_b64 s[0:1], 0
.LBB159_2148:
	s_mov_b64 s[6:7], 0
.LBB159_2149:
	s_and_b64 vcc, exec, s[6:7]
	s_cbranch_vccz .LBB159_2164
; %bb.2150:
	s_cmp_lt_i32 s20, 27
	s_mov_b64 s[6:7], -1
	s_cbranch_scc1 .LBB159_2156
; %bb.2151:
	s_cmp_gt_i32 s20, 27
	s_cbranch_scc0 .LBB159_2153
; %bb.2152:
	v_cndmask_b32_e64 v2, 0, 1, s[10:11]
	global_store_dword v[0:1], v2, off
	s_mov_b64 s[6:7], 0
.LBB159_2153:
	s_andn2_b64 vcc, exec, s[6:7]
	s_cbranch_vccnz .LBB159_2155
; %bb.2154:
	v_cndmask_b32_e64 v2, 0, 1, s[10:11]
	global_store_short v[0:1], v2, off
.LBB159_2155:
	s_mov_b64 s[6:7], 0
.LBB159_2156:
	s_andn2_b64 vcc, exec, s[6:7]
	s_cbranch_vccnz .LBB159_2164
; %bb.2157:
	v_cndmask_b32_e64 v3, 0, 1.0, s[10:11]
	s_mov_b32 s6, 0x43800000
	v_cmp_gt_u32_e32 vcc, s6, v3
	v_mov_b32_e32 v4, 0x80
	s_and_saveexec_b64 s[6:7], vcc
	s_cbranch_execz .LBB159_2163
; %bb.2158:
	s_mov_b32 s8, 0x3bffffff
	v_cmp_lt_u32_e32 vcc, s8, v3
	s_mov_b64 s[8:9], 0
                                        ; implicit-def: $vgpr2
	s_and_saveexec_b64 s[12:13], vcc
	s_xor_b64 s[12:13], exec, s[12:13]
	s_cbranch_execz .LBB159_2224
; %bb.2159:
	v_bfe_u32 v2, v3, 20, 1
	s_mov_b32 s14, 0x487ffff
	v_add3_u32 v2, v3, v2, s14
	s_mov_b64 s[8:9], exec
	v_lshrrev_b32_e32 v2, 20, v2
                                        ; implicit-def: $vgpr3
	s_andn2_saveexec_b64 s[12:13], s[12:13]
	s_cbranch_execnz .LBB159_2225
.LBB159_2160:
	s_or_b64 exec, exec, s[12:13]
	v_mov_b32_e32 v4, 0
	s_and_saveexec_b64 s[12:13], s[8:9]
.LBB159_2161:
	v_mov_b32_e32 v4, v2
.LBB159_2162:
	s_or_b64 exec, exec, s[12:13]
.LBB159_2163:
	s_or_b64 exec, exec, s[6:7]
	global_store_byte v[0:1], v4, off
.LBB159_2164:
	s_mov_b64 s[6:7], 0
.LBB159_2165:
	s_and_b64 vcc, exec, s[6:7]
	s_cbranch_vccz .LBB159_2205
; %bb.2166:
	s_cmp_gt_i32 s20, 22
	s_mov_b64 s[4:5], -1
	s_cbranch_scc0 .LBB159_2198
; %bb.2167:
	s_cmp_lt_i32 s20, 24
	s_cbranch_scc1 .LBB159_2187
; %bb.2168:
	s_cmp_gt_i32 s20, 24
	s_cbranch_scc0 .LBB159_2176
; %bb.2169:
	v_cndmask_b32_e64 v3, 0, 1.0, s[10:11]
	s_mov_b32 s4, 0x47800000
	v_cmp_gt_u32_e32 vcc, s4, v3
	v_mov_b32_e32 v4, 0x80
	s_and_saveexec_b64 s[4:5], vcc
	s_cbranch_execz .LBB159_2175
; %bb.2170:
	s_mov_b32 s6, 0x37ffffff
	v_cmp_lt_u32_e32 vcc, s6, v3
	s_mov_b64 s[6:7], 0
                                        ; implicit-def: $vgpr2
	s_and_saveexec_b64 s[8:9], vcc
	s_xor_b64 s[8:9], exec, s[8:9]
	s_cbranch_execz .LBB159_2227
; %bb.2171:
	v_bfe_u32 v2, v3, 21, 1
	s_mov_b32 s12, 0x88fffff
	v_add3_u32 v2, v3, v2, s12
	s_mov_b64 s[6:7], exec
	v_lshrrev_b32_e32 v2, 21, v2
                                        ; implicit-def: $vgpr3
	s_andn2_saveexec_b64 s[8:9], s[8:9]
	s_cbranch_execnz .LBB159_2228
.LBB159_2172:
	s_or_b64 exec, exec, s[8:9]
	v_mov_b32_e32 v4, 0
	s_and_saveexec_b64 s[8:9], s[6:7]
.LBB159_2173:
	v_mov_b32_e32 v4, v2
.LBB159_2174:
	s_or_b64 exec, exec, s[8:9]
.LBB159_2175:
	s_or_b64 exec, exec, s[4:5]
	s_mov_b64 s[4:5], 0
	global_store_byte v[0:1], v4, off
.LBB159_2176:
	s_and_b64 vcc, exec, s[4:5]
	s_cbranch_vccz .LBB159_2186
; %bb.2177:
	v_cndmask_b32_e64 v2, 0, 1.0, s[10:11]
	s_mov_b32 s4, 0x43f00000
	v_cmp_gt_u32_e32 vcc, s4, v2
                                        ; implicit-def: $vgpr3
	s_and_saveexec_b64 s[4:5], vcc
	s_xor_b64 s[4:5], exec, s[4:5]
	s_cbranch_execz .LBB159_2183
; %bb.2178:
	s_mov_b32 s6, 0x3c7fffff
	v_cmp_lt_u32_e32 vcc, s6, v2
                                        ; implicit-def: $vgpr3
	s_and_saveexec_b64 s[6:7], vcc
	s_xor_b64 s[6:7], exec, s[6:7]
; %bb.2179:
	v_bfe_u32 v3, v2, 20, 1
	s_mov_b32 s8, 0x407ffff
	v_add3_u32 v2, v2, v3, s8
	v_lshrrev_b32_e32 v3, 20, v2
	v_and_b32_e32 v2, 0xff00000, v2
	s_mov_b32 s8, 0x7f00000
	v_mov_b32_e32 v4, 0x7e
	v_cmp_ne_u32_e32 vcc, s8, v2
	v_cndmask_b32_e32 v3, v4, v3, vcc
                                        ; implicit-def: $vgpr2
; %bb.2180:
	s_andn2_saveexec_b64 s[6:7], s[6:7]
; %bb.2181:
	v_add_f32_e32 v3, 0x46800000, v2
; %bb.2182:
	s_or_b64 exec, exec, s[6:7]
                                        ; implicit-def: $vgpr2
.LBB159_2183:
	s_andn2_saveexec_b64 s[4:5], s[4:5]
; %bb.2184:
	s_mov_b32 s6, 0x7f800000
	v_mov_b32_e32 v3, 0x7e
	v_mov_b32_e32 v4, 0x7f
	v_cmp_lt_u32_e32 vcc, s6, v2
	v_cndmask_b32_e32 v3, v3, v4, vcc
; %bb.2185:
	s_or_b64 exec, exec, s[4:5]
	global_store_byte v[0:1], v3, off
.LBB159_2186:
	s_mov_b64 s[4:5], 0
.LBB159_2187:
	s_andn2_b64 vcc, exec, s[4:5]
	s_cbranch_vccnz .LBB159_2197
; %bb.2188:
	v_cndmask_b32_e64 v2, 0, 1.0, s[10:11]
	s_mov_b32 s4, 0x47800000
	v_cmp_gt_u32_e32 vcc, s4, v2
                                        ; implicit-def: $vgpr3
	s_and_saveexec_b64 s[4:5], vcc
	s_xor_b64 s[4:5], exec, s[4:5]
	s_cbranch_execz .LBB159_2194
; %bb.2189:
	s_mov_b32 s6, 0x387fffff
	v_cmp_lt_u32_e32 vcc, s6, v2
                                        ; implicit-def: $vgpr3
	s_and_saveexec_b64 s[6:7], vcc
	s_xor_b64 s[6:7], exec, s[6:7]
; %bb.2190:
	v_bfe_u32 v3, v2, 21, 1
	s_mov_b32 s8, 0x80fffff
	v_add3_u32 v2, v2, v3, s8
	v_lshrrev_b32_e32 v3, 21, v2
                                        ; implicit-def: $vgpr2
; %bb.2191:
	s_andn2_saveexec_b64 s[6:7], s[6:7]
; %bb.2192:
	v_add_f32_e32 v3, 0x43000000, v2
; %bb.2193:
	s_or_b64 exec, exec, s[6:7]
                                        ; implicit-def: $vgpr2
.LBB159_2194:
	s_andn2_saveexec_b64 s[4:5], s[4:5]
; %bb.2195:
	s_mov_b32 s6, 0x7f800000
	v_mov_b32_e32 v3, 0x7c
	v_mov_b32_e32 v4, 0x7f
	v_cmp_lt_u32_e32 vcc, s6, v2
	v_cndmask_b32_e32 v3, v3, v4, vcc
; %bb.2196:
	s_or_b64 exec, exec, s[4:5]
	global_store_byte v[0:1], v3, off
.LBB159_2197:
	s_mov_b64 s[4:5], 0
.LBB159_2198:
	s_andn2_b64 vcc, exec, s[4:5]
	s_mov_b64 s[4:5], 0
	s_cbranch_vccnz .LBB159_2205
; %bb.2199:
	s_cmp_gt_i32 s20, 14
	s_mov_b64 s[6:7], -1
	s_cbranch_scc0 .LBB159_2203
; %bb.2200:
	s_cmp_eq_u32 s20, 15
	s_mov_b64 s[0:1], -1
	s_cbranch_scc0 .LBB159_2202
; %bb.2201:
	v_cndmask_b32_e64 v2, 0, 1.0, s[10:11]
	v_bfe_u32 v3, v2, 16, 1
	s_movk_i32 s0, 0x7fff
	v_add3_u32 v2, v2, v3, s0
	global_store_short_d16_hi v[0:1], v2, off
	s_mov_b64 s[0:1], 0
.LBB159_2202:
	s_mov_b64 s[6:7], 0
.LBB159_2203:
	s_and_b64 vcc, exec, s[6:7]
	s_cbranch_vccz .LBB159_2205
; %bb.2204:
	s_cmp_lg_u32 s20, 11
	s_mov_b64 s[4:5], -1
	s_cselect_b64 s[0:1], -1, 0
.LBB159_2205:
	s_and_b64 vcc, exec, s[0:1]
	s_cbranch_vccnz .LBB159_2226
.LBB159_2206:
	s_mov_b64 s[0:1], 0
	s_branch .LBB159_1727
.LBB159_2207:
	s_mov_b64 s[0:1], 0
	s_branch .LBB159_1726
.LBB159_2208:
	s_mov_b64 s[4:5], 0
	s_mov_b64 s[0:1], -1
	s_branch .LBB159_1727
.LBB159_2209:
	s_andn2_saveexec_b64 s[20:21], s[20:21]
	s_cbranch_execz .LBB159_1802
.LBB159_2210:
	v_add_f32_e32 v1, 0x46000000, v3
	v_and_b32_e32 v1, 0xff, v1
	v_cmp_ne_u32_e32 vcc, 0, v1
	s_andn2_b64 s[18:19], s[18:19], exec
	s_and_b64 s[24:25], vcc, exec
	s_or_b64 s[18:19], s[18:19], s[24:25]
	s_or_b64 exec, exec, s[20:21]
	v_mov_b32_e32 v7, 0
	s_and_saveexec_b64 s[20:21], s[18:19]
	s_cbranch_execnz .LBB159_1803
	s_branch .LBB159_1804
.LBB159_2211:
	s_trap 2
	s_or_b64 s[2:3], s[2:3], exec
	s_cbranch_execz .LBB159_1850
	s_branch .LBB159_1851
.LBB159_2212:
	s_andn2_saveexec_b64 s[18:19], s[18:19]
	s_cbranch_execz .LBB159_1815
.LBB159_2213:
	v_add_f32_e32 v1, 0x42800000, v3
	v_and_b32_e32 v1, 0xff, v1
	v_cmp_ne_u32_e32 vcc, 0, v1
	s_andn2_b64 s[16:17], s[16:17], exec
	s_and_b64 s[20:21], vcc, exec
	s_or_b64 s[16:17], s[16:17], s[20:21]
	s_or_b64 exec, exec, s[18:19]
	v_mov_b32_e32 v7, 0
	s_and_saveexec_b64 s[18:19], s[16:17]
	s_cbranch_execnz .LBB159_1816
	s_branch .LBB159_1817
.LBB159_2214:
	s_andn2_saveexec_b64 s[18:19], s[18:19]
	s_cbranch_execz .LBB159_1921
.LBB159_2215:
	v_add_f32_e32 v1, 0x46000000, v5
	v_and_b32_e32 v1, 0xff, v1
	v_cmp_ne_u32_e32 vcc, 0, v1
	s_andn2_b64 s[16:17], s[16:17], exec
	s_and_b64 s[24:25], vcc, exec
	s_or_b64 s[16:17], s[16:17], s[24:25]
	s_or_b64 exec, exec, s[18:19]
	v_mov_b32_e32 v6, 0
	s_and_saveexec_b64 s[18:19], s[16:17]
	s_cbranch_execnz .LBB159_1922
	s_branch .LBB159_1923
.LBB159_2216:
	s_trap 2
	s_or_b64 s[2:3], s[2:3], exec
	s_cbranch_execz .LBB159_1969
	s_branch .LBB159_1970
.LBB159_2217:
	s_andn2_saveexec_b64 s[16:17], s[16:17]
	s_cbranch_execz .LBB159_1934
.LBB159_2218:
	v_add_f32_e32 v1, 0x42800000, v5
	v_and_b32_e32 v1, 0xff, v1
	v_cmp_ne_u32_e32 vcc, 0, v1
	s_andn2_b64 s[14:15], s[14:15], exec
	s_and_b64 s[18:19], vcc, exec
	s_or_b64 s[14:15], s[14:15], s[18:19]
	s_or_b64 exec, exec, s[16:17]
	v_mov_b32_e32 v6, 0
	s_and_saveexec_b64 s[16:17], s[14:15]
	s_cbranch_execnz .LBB159_1935
	s_branch .LBB159_1936
.LBB159_2219:
	s_andn2_saveexec_b64 s[16:17], s[16:17]
	s_cbranch_execz .LBB159_2040
.LBB159_2220:
	v_add_f32_e32 v3, 0x46000000, v4
	v_and_b32_e32 v3, 0xff, v3
	v_cmp_ne_u32_e32 vcc, 0, v3
	s_andn2_b64 s[14:15], s[14:15], exec
	s_and_b64 s[18:19], vcc, exec
	s_or_b64 s[14:15], s[14:15], s[18:19]
	s_or_b64 exec, exec, s[16:17]
	v_mov_b32_e32 v5, 0
	s_and_saveexec_b64 s[16:17], s[14:15]
	s_cbranch_execnz .LBB159_2041
	s_branch .LBB159_2042
.LBB159_2221:
	s_trap 2
	s_or_b64 s[2:3], s[2:3], exec
	s_cbranch_execz .LBB159_2088
	s_branch .LBB159_2089
.LBB159_2222:
	s_andn2_saveexec_b64 s[14:15], s[14:15]
	s_cbranch_execz .LBB159_2053
.LBB159_2223:
	v_add_f32_e32 v3, 0x42800000, v4
	v_and_b32_e32 v3, 0xff, v3
	v_cmp_ne_u32_e32 vcc, 0, v3
	s_andn2_b64 s[6:7], s[6:7], exec
	s_and_b64 s[16:17], vcc, exec
	s_or_b64 s[6:7], s[6:7], s[16:17]
	s_or_b64 exec, exec, s[14:15]
	v_mov_b32_e32 v5, 0
	s_and_saveexec_b64 s[14:15], s[6:7]
	s_cbranch_execnz .LBB159_2054
	s_branch .LBB159_2055
.LBB159_2224:
	s_andn2_saveexec_b64 s[12:13], s[12:13]
	s_cbranch_execz .LBB159_2160
.LBB159_2225:
	v_add_f32_e32 v2, 0x46000000, v3
	v_and_b32_e32 v2, 0xff, v2
	v_cmp_ne_u32_e32 vcc, 0, v2
	s_andn2_b64 s[8:9], s[8:9], exec
	s_and_b64 s[14:15], vcc, exec
	s_or_b64 s[8:9], s[8:9], s[14:15]
	s_or_b64 exec, exec, s[12:13]
	v_mov_b32_e32 v4, 0
	s_and_saveexec_b64 s[12:13], s[8:9]
	s_cbranch_execnz .LBB159_2161
	s_branch .LBB159_2162
.LBB159_2226:
	s_mov_b64 s[4:5], 0
	s_or_b64 s[2:3], s[2:3], exec
	s_trap 2
	s_branch .LBB159_2206
.LBB159_2227:
	s_andn2_saveexec_b64 s[8:9], s[8:9]
	s_cbranch_execz .LBB159_2172
.LBB159_2228:
	v_add_f32_e32 v2, 0x42800000, v3
	v_and_b32_e32 v2, 0xff, v2
	v_cmp_ne_u32_e32 vcc, 0, v2
	s_andn2_b64 s[6:7], s[6:7], exec
	s_and_b64 s[12:13], vcc, exec
	s_or_b64 s[6:7], s[6:7], s[12:13]
	s_or_b64 exec, exec, s[8:9]
	v_mov_b32_e32 v4, 0
	s_and_saveexec_b64 s[8:9], s[6:7]
	s_cbranch_execnz .LBB159_2173
	s_branch .LBB159_2174
	.section	.rodata,"a",@progbits
	.p2align	6, 0x0
	.amdhsa_kernel _ZN2at6native32elementwise_kernel_manual_unrollILi128ELi4EZNS0_15gpu_kernel_implINS0_13AUnaryFunctorIN3c107complexINS4_4HalfEEES7_bNS0_12_GLOBAL__N_116CompareEqFunctorIS7_EEEEEEvRNS_18TensorIteratorBaseERKT_EUlibE0_EEviT1_
		.amdhsa_group_segment_fixed_size 0
		.amdhsa_private_segment_fixed_size 0
		.amdhsa_kernarg_size 368
		.amdhsa_user_sgpr_count 6
		.amdhsa_user_sgpr_private_segment_buffer 1
		.amdhsa_user_sgpr_dispatch_ptr 0
		.amdhsa_user_sgpr_queue_ptr 0
		.amdhsa_user_sgpr_kernarg_segment_ptr 1
		.amdhsa_user_sgpr_dispatch_id 0
		.amdhsa_user_sgpr_flat_scratch_init 0
		.amdhsa_user_sgpr_private_segment_size 0
		.amdhsa_uses_dynamic_stack 0
		.amdhsa_system_sgpr_private_segment_wavefront_offset 0
		.amdhsa_system_sgpr_workgroup_id_x 1
		.amdhsa_system_sgpr_workgroup_id_y 0
		.amdhsa_system_sgpr_workgroup_id_z 0
		.amdhsa_system_sgpr_workgroup_info 0
		.amdhsa_system_vgpr_workitem_id 0
		.amdhsa_next_free_vgpr 24
		.amdhsa_next_free_sgpr 82
		.amdhsa_reserve_vcc 1
		.amdhsa_reserve_flat_scratch 0
		.amdhsa_float_round_mode_32 0
		.amdhsa_float_round_mode_16_64 0
		.amdhsa_float_denorm_mode_32 3
		.amdhsa_float_denorm_mode_16_64 3
		.amdhsa_dx10_clamp 1
		.amdhsa_ieee_mode 1
		.amdhsa_fp16_overflow 0
		.amdhsa_exception_fp_ieee_invalid_op 0
		.amdhsa_exception_fp_denorm_src 0
		.amdhsa_exception_fp_ieee_div_zero 0
		.amdhsa_exception_fp_ieee_overflow 0
		.amdhsa_exception_fp_ieee_underflow 0
		.amdhsa_exception_fp_ieee_inexact 0
		.amdhsa_exception_int_div_zero 0
	.end_amdhsa_kernel
	.section	.text._ZN2at6native32elementwise_kernel_manual_unrollILi128ELi4EZNS0_15gpu_kernel_implINS0_13AUnaryFunctorIN3c107complexINS4_4HalfEEES7_bNS0_12_GLOBAL__N_116CompareEqFunctorIS7_EEEEEEvRNS_18TensorIteratorBaseERKT_EUlibE0_EEviT1_,"axG",@progbits,_ZN2at6native32elementwise_kernel_manual_unrollILi128ELi4EZNS0_15gpu_kernel_implINS0_13AUnaryFunctorIN3c107complexINS4_4HalfEEES7_bNS0_12_GLOBAL__N_116CompareEqFunctorIS7_EEEEEEvRNS_18TensorIteratorBaseERKT_EUlibE0_EEviT1_,comdat
.Lfunc_end159:
	.size	_ZN2at6native32elementwise_kernel_manual_unrollILi128ELi4EZNS0_15gpu_kernel_implINS0_13AUnaryFunctorIN3c107complexINS4_4HalfEEES7_bNS0_12_GLOBAL__N_116CompareEqFunctorIS7_EEEEEEvRNS_18TensorIteratorBaseERKT_EUlibE0_EEviT1_, .Lfunc_end159-_ZN2at6native32elementwise_kernel_manual_unrollILi128ELi4EZNS0_15gpu_kernel_implINS0_13AUnaryFunctorIN3c107complexINS4_4HalfEEES7_bNS0_12_GLOBAL__N_116CompareEqFunctorIS7_EEEEEEvRNS_18TensorIteratorBaseERKT_EUlibE0_EEviT1_
                                        ; -- End function
	.set _ZN2at6native32elementwise_kernel_manual_unrollILi128ELi4EZNS0_15gpu_kernel_implINS0_13AUnaryFunctorIN3c107complexINS4_4HalfEEES7_bNS0_12_GLOBAL__N_116CompareEqFunctorIS7_EEEEEEvRNS_18TensorIteratorBaseERKT_EUlibE0_EEviT1_.num_vgpr, 24
	.set _ZN2at6native32elementwise_kernel_manual_unrollILi128ELi4EZNS0_15gpu_kernel_implINS0_13AUnaryFunctorIN3c107complexINS4_4HalfEEES7_bNS0_12_GLOBAL__N_116CompareEqFunctorIS7_EEEEEEvRNS_18TensorIteratorBaseERKT_EUlibE0_EEviT1_.num_agpr, 0
	.set _ZN2at6native32elementwise_kernel_manual_unrollILi128ELi4EZNS0_15gpu_kernel_implINS0_13AUnaryFunctorIN3c107complexINS4_4HalfEEES7_bNS0_12_GLOBAL__N_116CompareEqFunctorIS7_EEEEEEvRNS_18TensorIteratorBaseERKT_EUlibE0_EEviT1_.numbered_sgpr, 82
	.set _ZN2at6native32elementwise_kernel_manual_unrollILi128ELi4EZNS0_15gpu_kernel_implINS0_13AUnaryFunctorIN3c107complexINS4_4HalfEEES7_bNS0_12_GLOBAL__N_116CompareEqFunctorIS7_EEEEEEvRNS_18TensorIteratorBaseERKT_EUlibE0_EEviT1_.num_named_barrier, 0
	.set _ZN2at6native32elementwise_kernel_manual_unrollILi128ELi4EZNS0_15gpu_kernel_implINS0_13AUnaryFunctorIN3c107complexINS4_4HalfEEES7_bNS0_12_GLOBAL__N_116CompareEqFunctorIS7_EEEEEEvRNS_18TensorIteratorBaseERKT_EUlibE0_EEviT1_.private_seg_size, 0
	.set _ZN2at6native32elementwise_kernel_manual_unrollILi128ELi4EZNS0_15gpu_kernel_implINS0_13AUnaryFunctorIN3c107complexINS4_4HalfEEES7_bNS0_12_GLOBAL__N_116CompareEqFunctorIS7_EEEEEEvRNS_18TensorIteratorBaseERKT_EUlibE0_EEviT1_.uses_vcc, 1
	.set _ZN2at6native32elementwise_kernel_manual_unrollILi128ELi4EZNS0_15gpu_kernel_implINS0_13AUnaryFunctorIN3c107complexINS4_4HalfEEES7_bNS0_12_GLOBAL__N_116CompareEqFunctorIS7_EEEEEEvRNS_18TensorIteratorBaseERKT_EUlibE0_EEviT1_.uses_flat_scratch, 0
	.set _ZN2at6native32elementwise_kernel_manual_unrollILi128ELi4EZNS0_15gpu_kernel_implINS0_13AUnaryFunctorIN3c107complexINS4_4HalfEEES7_bNS0_12_GLOBAL__N_116CompareEqFunctorIS7_EEEEEEvRNS_18TensorIteratorBaseERKT_EUlibE0_EEviT1_.has_dyn_sized_stack, 0
	.set _ZN2at6native32elementwise_kernel_manual_unrollILi128ELi4EZNS0_15gpu_kernel_implINS0_13AUnaryFunctorIN3c107complexINS4_4HalfEEES7_bNS0_12_GLOBAL__N_116CompareEqFunctorIS7_EEEEEEvRNS_18TensorIteratorBaseERKT_EUlibE0_EEviT1_.has_recursion, 0
	.set _ZN2at6native32elementwise_kernel_manual_unrollILi128ELi4EZNS0_15gpu_kernel_implINS0_13AUnaryFunctorIN3c107complexINS4_4HalfEEES7_bNS0_12_GLOBAL__N_116CompareEqFunctorIS7_EEEEEEvRNS_18TensorIteratorBaseERKT_EUlibE0_EEviT1_.has_indirect_call, 0
	.section	.AMDGPU.csdata,"",@progbits
; Kernel info:
; codeLenInByte = 42980
; TotalNumSgprs: 86
; NumVgprs: 24
; ScratchSize: 0
; MemoryBound: 0
; FloatMode: 240
; IeeeMode: 1
; LDSByteSize: 0 bytes/workgroup (compile time only)
; SGPRBlocks: 10
; VGPRBlocks: 5
; NumSGPRsForWavesPerEU: 86
; NumVGPRsForWavesPerEU: 24
; Occupancy: 9
; WaveLimiterHint : 1
; COMPUTE_PGM_RSRC2:SCRATCH_EN: 0
; COMPUTE_PGM_RSRC2:USER_SGPR: 6
; COMPUTE_PGM_RSRC2:TRAP_HANDLER: 0
; COMPUTE_PGM_RSRC2:TGID_X_EN: 1
; COMPUTE_PGM_RSRC2:TGID_Y_EN: 0
; COMPUTE_PGM_RSRC2:TGID_Z_EN: 0
; COMPUTE_PGM_RSRC2:TIDIG_COMP_CNT: 0
	.section	.text._ZN2at6native29vectorized_elementwise_kernelILi16ENS0_13BinaryFunctorIN3c107complexINS3_8BFloat16EEES6_bNS0_12_GLOBAL__N_116CompareEqFunctorIS6_EEEESt5arrayIPcLm3EEEEviT0_T1_,"axG",@progbits,_ZN2at6native29vectorized_elementwise_kernelILi16ENS0_13BinaryFunctorIN3c107complexINS3_8BFloat16EEES6_bNS0_12_GLOBAL__N_116CompareEqFunctorIS6_EEEESt5arrayIPcLm3EEEEviT0_T1_,comdat
	.globl	_ZN2at6native29vectorized_elementwise_kernelILi16ENS0_13BinaryFunctorIN3c107complexINS3_8BFloat16EEES6_bNS0_12_GLOBAL__N_116CompareEqFunctorIS6_EEEESt5arrayIPcLm3EEEEviT0_T1_ ; -- Begin function _ZN2at6native29vectorized_elementwise_kernelILi16ENS0_13BinaryFunctorIN3c107complexINS3_8BFloat16EEES6_bNS0_12_GLOBAL__N_116CompareEqFunctorIS6_EEEESt5arrayIPcLm3EEEEviT0_T1_
	.p2align	8
	.type	_ZN2at6native29vectorized_elementwise_kernelILi16ENS0_13BinaryFunctorIN3c107complexINS3_8BFloat16EEES6_bNS0_12_GLOBAL__N_116CompareEqFunctorIS6_EEEESt5arrayIPcLm3EEEEviT0_T1_,@function
_ZN2at6native29vectorized_elementwise_kernelILi16ENS0_13BinaryFunctorIN3c107complexINS3_8BFloat16EEES6_bNS0_12_GLOBAL__N_116CompareEqFunctorIS6_EEEESt5arrayIPcLm3EEEEviT0_T1_: ; @_ZN2at6native29vectorized_elementwise_kernelILi16ENS0_13BinaryFunctorIN3c107complexINS3_8BFloat16EEES6_bNS0_12_GLOBAL__N_116CompareEqFunctorIS6_EEEESt5arrayIPcLm3EEEEviT0_T1_
; %bb.0:
	s_load_dwordx2 s[12:13], s[4:5], 0x0
	s_load_dwordx4 s[8:11], s[4:5], 0x8
	s_load_dwordx2 s[14:15], s[4:5], 0x18
	s_lshl_b32 s6, s6, 12
	s_mov_b64 s[0:1], -1
	s_waitcnt lgkmcnt(0)
	s_sub_i32 s33, s12, s6
	s_cmpk_gt_i32 s33, 0xfff
	s_cbranch_scc0 .LBB160_50
; %bb.1:
	s_ashr_i32 s7, s6, 31
	s_lshl_b64 s[0:1], s[6:7], 2
	s_add_u32 s2, s10, s0
	s_addc_u32 s3, s11, s1
	v_lshlrev_b32_e32 v33, 6, v0
	global_load_dwordx4 v[17:20], v33, s[2:3] offset:16
	global_load_dwordx4 v[25:28], v33, s[2:3]
	s_add_u32 s0, s14, s0
	s_addc_u32 s1, s15, s1
	global_load_dwordx4 v[21:24], v33, s[0:1] offset:16
	global_load_dwordx4 v[29:32], v33, s[0:1]
	global_load_dwordx4 v[1:4], v33, s[2:3] offset:48
	global_load_dwordx4 v[9:12], v33, s[2:3] offset:32
	;; [unrolled: 1-line block ×4, first 2 shown]
	s_cmp_lg_u32 s13, 0
	s_cselect_b64 s[2:3], -1, 0
	s_and_b64 vcc, exec, s[2:3]
	s_waitcnt vmcnt(4)
	v_lshlrev_b32_e32 v34, 16, v29
	v_lshlrev_b32_e32 v33, 16, v25
	s_cbranch_vccz .LBB160_196
; %bb.2:
	v_and_b32_e32 v35, 0xffff0000, v25
	v_and_b32_e32 v36, 0xffff0000, v29
	v_cmp_neq_f32_e32 vcc, v33, v34
	v_cmp_neq_f32_e64 s[0:1], v35, v36
	s_or_b64 s[4:5], vcc, s[0:1]
	s_cbranch_execnz .LBB160_4
.LBB160_3:
	v_and_b32_e32 v29, 0xffff0000, v29
	v_and_b32_e32 v25, 0xffff0000, v25
	v_cmp_eq_f32_e32 vcc, v33, v34
	v_cmp_eq_f32_e64 s[0:1], v25, v29
	s_and_b64 s[0:1], vcc, s[0:1]
	s_andn2_b64 s[4:5], s[4:5], exec
	s_and_b64 s[0:1], s[0:1], exec
	s_or_b64 s[4:5], s[4:5], s[0:1]
.LBB160_4:
	v_cndmask_b32_e64 v25, 0, 1, s[2:3]
	v_cmp_ne_u32_e64 s[0:1], 1, v25
	s_andn2_b64 vcc, exec, s[2:3]
	v_lshlrev_b32_e32 v25, 16, v26
	v_lshlrev_b32_e32 v29, 16, v30
	s_cbranch_vccnz .LBB160_197
; %bb.5:
	v_and_b32_e32 v33, 0xffff0000, v26
	v_and_b32_e32 v34, 0xffff0000, v30
	v_cmp_neq_f32_e32 vcc, v25, v29
	v_cmp_neq_f32_e64 s[2:3], v33, v34
	s_or_b64 s[16:17], vcc, s[2:3]
	s_cbranch_execnz .LBB160_7
.LBB160_6:
	v_and_b32_e32 v30, 0xffff0000, v30
	v_and_b32_e32 v26, 0xffff0000, v26
	v_cmp_eq_f32_e32 vcc, v25, v29
	v_cmp_eq_f32_e64 s[2:3], v26, v30
	s_and_b64 s[2:3], vcc, s[2:3]
	s_andn2_b64 s[16:17], s[16:17], exec
	s_and_b64 s[2:3], s[2:3], exec
	s_or_b64 s[16:17], s[16:17], s[2:3]
.LBB160_7:
	s_and_b64 vcc, exec, s[0:1]
	v_lshlrev_b32_e32 v25, 16, v27
	v_lshlrev_b32_e32 v26, 16, v31
	s_cbranch_vccnz .LBB160_198
; %bb.8:
	v_and_b32_e32 v29, 0xffff0000, v27
	v_and_b32_e32 v30, 0xffff0000, v31
	v_cmp_neq_f32_e32 vcc, v25, v26
	v_cmp_neq_f32_e64 s[2:3], v29, v30
	s_or_b64 s[18:19], vcc, s[2:3]
	s_cbranch_execnz .LBB160_10
.LBB160_9:
	v_and_b32_e32 v29, 0xffff0000, v31
	v_and_b32_e32 v27, 0xffff0000, v27
	v_cmp_eq_f32_e32 vcc, v25, v26
	v_cmp_eq_f32_e64 s[2:3], v27, v29
	s_and_b64 s[2:3], vcc, s[2:3]
	s_andn2_b64 s[18:19], s[18:19], exec
	s_and_b64 s[2:3], s[2:3], exec
	s_or_b64 s[18:19], s[18:19], s[2:3]
.LBB160_10:
	s_and_b64 vcc, exec, s[0:1]
	v_lshlrev_b32_e32 v25, 16, v28
	v_lshlrev_b32_e32 v26, 16, v32
	s_cbranch_vccnz .LBB160_199
; %bb.11:
	v_and_b32_e32 v27, 0xffff0000, v28
	v_and_b32_e32 v29, 0xffff0000, v32
	v_cmp_neq_f32_e32 vcc, v25, v26
	v_cmp_neq_f32_e64 s[2:3], v27, v29
	s_or_b64 s[20:21], vcc, s[2:3]
	s_cbranch_execnz .LBB160_13
.LBB160_12:
	v_and_b32_e32 v27, 0xffff0000, v32
	v_and_b32_e32 v28, 0xffff0000, v28
	v_cmp_eq_f32_e32 vcc, v25, v26
	v_cmp_eq_f32_e64 s[2:3], v28, v27
	s_and_b64 s[2:3], vcc, s[2:3]
	s_andn2_b64 s[20:21], s[20:21], exec
	s_and_b64 s[2:3], s[2:3], exec
	s_or_b64 s[20:21], s[20:21], s[2:3]
.LBB160_13:
	s_and_b64 vcc, exec, s[0:1]
	v_lshlrev_b32_e32 v25, 16, v17
	v_lshlrev_b32_e32 v26, 16, v21
	s_cbranch_vccnz .LBB160_200
; %bb.14:
	v_and_b32_e32 v27, 0xffff0000, v17
	v_and_b32_e32 v28, 0xffff0000, v21
	v_cmp_neq_f32_e32 vcc, v25, v26
	v_cmp_neq_f32_e64 s[2:3], v27, v28
	s_or_b64 s[22:23], vcc, s[2:3]
	s_cbranch_execnz .LBB160_16
.LBB160_15:
	v_and_b32_e32 v21, 0xffff0000, v21
	v_and_b32_e32 v17, 0xffff0000, v17
	v_cmp_eq_f32_e32 vcc, v25, v26
	v_cmp_eq_f32_e64 s[2:3], v17, v21
	s_and_b64 s[2:3], vcc, s[2:3]
	s_andn2_b64 s[22:23], s[22:23], exec
	s_and_b64 s[2:3], s[2:3], exec
	s_or_b64 s[22:23], s[22:23], s[2:3]
.LBB160_16:
	s_and_b64 vcc, exec, s[0:1]
	v_lshlrev_b32_e32 v17, 16, v18
	v_lshlrev_b32_e32 v21, 16, v22
	s_cbranch_vccnz .LBB160_201
; %bb.17:
	v_and_b32_e32 v25, 0xffff0000, v18
	v_and_b32_e32 v26, 0xffff0000, v22
	v_cmp_neq_f32_e32 vcc, v17, v21
	v_cmp_neq_f32_e64 s[2:3], v25, v26
	s_or_b64 s[24:25], vcc, s[2:3]
	s_cbranch_execnz .LBB160_19
.LBB160_18:
	v_and_b32_e32 v22, 0xffff0000, v22
	v_and_b32_e32 v18, 0xffff0000, v18
	v_cmp_eq_f32_e32 vcc, v17, v21
	v_cmp_eq_f32_e64 s[2:3], v18, v22
	s_and_b64 s[2:3], vcc, s[2:3]
	s_andn2_b64 s[24:25], s[24:25], exec
	s_and_b64 s[2:3], s[2:3], exec
	s_or_b64 s[24:25], s[24:25], s[2:3]
.LBB160_19:
	s_and_b64 vcc, exec, s[0:1]
	v_lshlrev_b32_e32 v17, 16, v19
	v_lshlrev_b32_e32 v18, 16, v23
	s_cbranch_vccnz .LBB160_202
; %bb.20:
	v_and_b32_e32 v21, 0xffff0000, v19
	v_and_b32_e32 v22, 0xffff0000, v23
	v_cmp_neq_f32_e32 vcc, v17, v18
	v_cmp_neq_f32_e64 s[2:3], v21, v22
	s_or_b64 s[26:27], vcc, s[2:3]
	s_cbranch_execnz .LBB160_22
.LBB160_21:
	v_and_b32_e32 v21, 0xffff0000, v23
	v_and_b32_e32 v19, 0xffff0000, v19
	v_cmp_eq_f32_e32 vcc, v17, v18
	v_cmp_eq_f32_e64 s[2:3], v19, v21
	s_and_b64 s[2:3], vcc, s[2:3]
	s_andn2_b64 s[26:27], s[26:27], exec
	s_and_b64 s[2:3], s[2:3], exec
	s_or_b64 s[26:27], s[26:27], s[2:3]
.LBB160_22:
	s_and_b64 vcc, exec, s[0:1]
	v_lshlrev_b32_e32 v17, 16, v20
	v_lshlrev_b32_e32 v18, 16, v24
	s_cbranch_vccnz .LBB160_203
; %bb.23:
	v_and_b32_e32 v19, 0xffff0000, v20
	v_and_b32_e32 v21, 0xffff0000, v24
	v_cmp_neq_f32_e32 vcc, v17, v18
	v_cmp_neq_f32_e64 s[2:3], v19, v21
	s_or_b64 s[28:29], vcc, s[2:3]
	s_cbranch_execnz .LBB160_25
.LBB160_24:
	v_and_b32_e32 v19, 0xffff0000, v24
	v_and_b32_e32 v20, 0xffff0000, v20
	v_cmp_eq_f32_e32 vcc, v17, v18
	v_cmp_eq_f32_e64 s[2:3], v20, v19
	s_and_b64 s[2:3], vcc, s[2:3]
	s_andn2_b64 s[28:29], s[28:29], exec
	s_and_b64 s[2:3], s[2:3], exec
	s_or_b64 s[28:29], s[28:29], s[2:3]
.LBB160_25:
	s_and_b64 vcc, exec, s[0:1]
	s_waitcnt vmcnt(2)
	v_lshlrev_b32_e32 v17, 16, v9
	s_waitcnt vmcnt(0)
	v_lshlrev_b32_e32 v18, 16, v13
	s_cbranch_vccnz .LBB160_204
; %bb.26:
	v_and_b32_e32 v19, 0xffff0000, v9
	v_and_b32_e32 v20, 0xffff0000, v13
	v_cmp_neq_f32_e32 vcc, v17, v18
	v_cmp_neq_f32_e64 s[2:3], v19, v20
	s_or_b64 s[30:31], vcc, s[2:3]
	s_cbranch_execnz .LBB160_28
.LBB160_27:
	v_and_b32_e32 v13, 0xffff0000, v13
	v_and_b32_e32 v9, 0xffff0000, v9
	v_cmp_eq_f32_e32 vcc, v17, v18
	v_cmp_eq_f32_e64 s[2:3], v9, v13
	s_and_b64 s[2:3], vcc, s[2:3]
	s_andn2_b64 s[30:31], s[30:31], exec
	s_and_b64 s[2:3], s[2:3], exec
	s_or_b64 s[30:31], s[30:31], s[2:3]
.LBB160_28:
	s_and_b64 vcc, exec, s[0:1]
	v_lshlrev_b32_e32 v9, 16, v10
	v_lshlrev_b32_e32 v13, 16, v14
	s_cbranch_vccnz .LBB160_205
; %bb.29:
	v_and_b32_e32 v17, 0xffff0000, v10
	v_and_b32_e32 v18, 0xffff0000, v14
	v_cmp_neq_f32_e32 vcc, v9, v13
	v_cmp_neq_f32_e64 s[2:3], v17, v18
	s_or_b64 s[34:35], vcc, s[2:3]
	s_cbranch_execnz .LBB160_31
.LBB160_30:
	v_and_b32_e32 v14, 0xffff0000, v14
	v_and_b32_e32 v10, 0xffff0000, v10
	v_cmp_eq_f32_e32 vcc, v9, v13
	v_cmp_eq_f32_e64 s[2:3], v10, v14
	s_and_b64 s[2:3], vcc, s[2:3]
	s_andn2_b64 s[34:35], s[34:35], exec
	s_and_b64 s[2:3], s[2:3], exec
	s_or_b64 s[34:35], s[34:35], s[2:3]
.LBB160_31:
	s_and_b64 vcc, exec, s[0:1]
	v_lshlrev_b32_e32 v9, 16, v11
	v_lshlrev_b32_e32 v10, 16, v15
	s_cbranch_vccnz .LBB160_206
; %bb.32:
	v_and_b32_e32 v13, 0xffff0000, v11
	v_and_b32_e32 v14, 0xffff0000, v15
	v_cmp_neq_f32_e32 vcc, v9, v10
	v_cmp_neq_f32_e64 s[2:3], v13, v14
	s_or_b64 s[36:37], vcc, s[2:3]
	s_cbranch_execnz .LBB160_34
.LBB160_33:
	v_and_b32_e32 v13, 0xffff0000, v15
	v_and_b32_e32 v11, 0xffff0000, v11
	v_cmp_eq_f32_e32 vcc, v9, v10
	v_cmp_eq_f32_e64 s[2:3], v11, v13
	s_and_b64 s[2:3], vcc, s[2:3]
	s_andn2_b64 s[36:37], s[36:37], exec
	s_and_b64 s[2:3], s[2:3], exec
	s_or_b64 s[36:37], s[36:37], s[2:3]
.LBB160_34:
	s_and_b64 vcc, exec, s[0:1]
	v_lshlrev_b32_e32 v9, 16, v12
	v_lshlrev_b32_e32 v10, 16, v16
	s_cbranch_vccnz .LBB160_207
; %bb.35:
	v_and_b32_e32 v11, 0xffff0000, v12
	v_and_b32_e32 v13, 0xffff0000, v16
	v_cmp_neq_f32_e32 vcc, v9, v10
	v_cmp_neq_f32_e64 s[2:3], v11, v13
	s_or_b64 s[38:39], vcc, s[2:3]
	s_cbranch_execnz .LBB160_37
.LBB160_36:
	v_and_b32_e32 v11, 0xffff0000, v16
	v_and_b32_e32 v12, 0xffff0000, v12
	v_cmp_eq_f32_e32 vcc, v9, v10
	v_cmp_eq_f32_e64 s[2:3], v12, v11
	s_and_b64 s[2:3], vcc, s[2:3]
	s_andn2_b64 s[38:39], s[38:39], exec
	s_and_b64 s[2:3], s[2:3], exec
	s_or_b64 s[38:39], s[38:39], s[2:3]
.LBB160_37:
	s_and_b64 vcc, exec, s[0:1]
	v_lshlrev_b32_e32 v9, 16, v1
	v_lshlrev_b32_e32 v10, 16, v5
	s_cbranch_vccnz .LBB160_208
; %bb.38:
	v_and_b32_e32 v11, 0xffff0000, v1
	v_and_b32_e32 v12, 0xffff0000, v5
	v_cmp_neq_f32_e32 vcc, v9, v10
	v_cmp_neq_f32_e64 s[2:3], v11, v12
	s_or_b64 s[40:41], vcc, s[2:3]
	s_cbranch_execnz .LBB160_40
.LBB160_39:
	v_and_b32_e32 v5, 0xffff0000, v5
	v_and_b32_e32 v1, 0xffff0000, v1
	v_cmp_eq_f32_e32 vcc, v9, v10
	v_cmp_eq_f32_e64 s[2:3], v1, v5
	s_and_b64 s[2:3], vcc, s[2:3]
	s_andn2_b64 s[40:41], s[40:41], exec
	s_and_b64 s[2:3], s[2:3], exec
	s_or_b64 s[40:41], s[40:41], s[2:3]
.LBB160_40:
	s_and_b64 vcc, exec, s[0:1]
	v_lshlrev_b32_e32 v1, 16, v2
	v_lshlrev_b32_e32 v5, 16, v6
	s_cbranch_vccnz .LBB160_209
; %bb.41:
	v_and_b32_e32 v9, 0xffff0000, v2
	v_and_b32_e32 v10, 0xffff0000, v6
	v_cmp_neq_f32_e32 vcc, v1, v5
	v_cmp_neq_f32_e64 s[2:3], v9, v10
	s_or_b64 s[42:43], vcc, s[2:3]
	s_cbranch_execnz .LBB160_43
.LBB160_42:
	v_and_b32_e32 v6, 0xffff0000, v6
	v_and_b32_e32 v2, 0xffff0000, v2
	v_cmp_eq_f32_e32 vcc, v1, v5
	v_cmp_eq_f32_e64 s[2:3], v2, v6
	s_and_b64 s[2:3], vcc, s[2:3]
	s_andn2_b64 s[42:43], s[42:43], exec
	s_and_b64 s[2:3], s[2:3], exec
	s_or_b64 s[42:43], s[42:43], s[2:3]
.LBB160_43:
	s_and_b64 vcc, exec, s[0:1]
	v_lshlrev_b32_e32 v1, 16, v3
	v_lshlrev_b32_e32 v2, 16, v7
	s_cbranch_vccnz .LBB160_210
; %bb.44:
	v_and_b32_e32 v5, 0xffff0000, v3
	v_and_b32_e32 v6, 0xffff0000, v7
	v_cmp_neq_f32_e32 vcc, v1, v2
	v_cmp_neq_f32_e64 s[2:3], v5, v6
	s_or_b64 s[44:45], vcc, s[2:3]
	s_cbranch_execnz .LBB160_46
.LBB160_45:
	v_and_b32_e32 v5, 0xffff0000, v7
	v_and_b32_e32 v3, 0xffff0000, v3
	v_cmp_eq_f32_e32 vcc, v1, v2
	v_cmp_eq_f32_e64 s[2:3], v3, v5
	s_and_b64 s[2:3], vcc, s[2:3]
	s_andn2_b64 s[44:45], s[44:45], exec
	s_and_b64 s[2:3], s[2:3], exec
	s_or_b64 s[44:45], s[44:45], s[2:3]
.LBB160_46:
	s_and_b64 vcc, exec, s[0:1]
	v_lshlrev_b32_e32 v1, 16, v4
	v_lshlrev_b32_e32 v2, 16, v8
	s_cbranch_vccnz .LBB160_211
; %bb.47:
	v_and_b32_e32 v3, 0xffff0000, v4
	v_and_b32_e32 v5, 0xffff0000, v8
	v_cmp_neq_f32_e32 vcc, v1, v2
	v_cmp_neq_f32_e64 s[0:1], v3, v5
	s_or_b64 s[2:3], vcc, s[0:1]
	s_cbranch_execnz .LBB160_49
.LBB160_48:
	v_and_b32_e32 v3, 0xffff0000, v8
	v_and_b32_e32 v4, 0xffff0000, v4
	v_cmp_eq_f32_e32 vcc, v1, v2
	v_cmp_eq_f32_e64 s[0:1], v4, v3
	s_and_b64 s[0:1], vcc, s[0:1]
	s_andn2_b64 s[2:3], s[2:3], exec
	s_and_b64 s[0:1], s[0:1], exec
	s_or_b64 s[2:3], s[2:3], s[0:1]
.LBB160_49:
	v_cndmask_b32_e64 v1, 0, 1, s[16:17]
	v_lshlrev_b16_e32 v1, 8, v1
	v_cndmask_b32_e64 v2, 0, 1, s[4:5]
	v_or_b32_e32 v1, v2, v1
	v_cndmask_b32_e64 v2, 0, 1, s[20:21]
	v_lshlrev_b16_e32 v2, 8, v2
	v_cndmask_b32_e64 v3, 0, 1, s[18:19]
	v_or_b32_sdwa v2, v3, v2 dst_sel:WORD_1 dst_unused:UNUSED_PAD src0_sel:DWORD src1_sel:DWORD
	v_or_b32_sdwa v1, v1, v2 dst_sel:DWORD dst_unused:UNUSED_PAD src0_sel:WORD_0 src1_sel:DWORD
	v_cndmask_b32_e64 v2, 0, 1, s[24:25]
	v_lshlrev_b16_e32 v2, 8, v2
	v_cndmask_b32_e64 v3, 0, 1, s[22:23]
	v_or_b32_e32 v2, v3, v2
	v_cndmask_b32_e64 v3, 0, 1, s[28:29]
	v_lshlrev_b16_e32 v3, 8, v3
	v_cndmask_b32_e64 v4, 0, 1, s[26:27]
	v_or_b32_sdwa v3, v4, v3 dst_sel:WORD_1 dst_unused:UNUSED_PAD src0_sel:DWORD src1_sel:DWORD
	v_or_b32_sdwa v2, v2, v3 dst_sel:DWORD dst_unused:UNUSED_PAD src0_sel:WORD_0 src1_sel:DWORD
	;; [unrolled: 9-line block ×3, first 2 shown]
	v_cndmask_b32_e64 v4, 0, 1, s[42:43]
	v_lshlrev_b16_e32 v4, 8, v4
	v_cndmask_b32_e64 v6, 0, 1, s[40:41]
	v_or_b32_e32 v4, v6, v4
	v_cndmask_b32_e64 v6, 0, 1, s[2:3]
	v_lshlrev_b16_e32 v6, 8, v6
	v_cndmask_b32_e64 v7, 0, 1, s[44:45]
	s_add_u32 s0, s8, s6
	v_or_b32_sdwa v6, v7, v6 dst_sel:WORD_1 dst_unused:UNUSED_PAD src0_sel:DWORD src1_sel:DWORD
	s_addc_u32 s1, s9, s7
	v_lshlrev_b32_e32 v5, 4, v0
	v_or_b32_sdwa v4, v4, v6 dst_sel:DWORD dst_unused:UNUSED_PAD src0_sel:WORD_0 src1_sel:DWORD
	global_store_dwordx4 v5, v[1:4], s[0:1]
	s_mov_b64 s[0:1], 0
.LBB160_50:
	s_and_b64 vcc, exec, s[0:1]
	s_cbranch_vccz .LBB160_195
; %bb.51:
	v_cmp_gt_i32_e64 s[0:1], s33, v0
	v_mov_b32_e32 v3, 0
	v_or_b32_e32 v1, s6, v0
	v_mov_b32_e32 v20, 0
	v_mov_b32_e32 v21, 0
	;; [unrolled: 1-line block ×31, first 2 shown]
	s_and_saveexec_b64 s[2:3], s[0:1]
	s_cbranch_execz .LBB160_83
; %bb.52:
	v_mov_b32_e32 v2, 0
	v_lshlrev_b64 v[3:4], 2, v[1:2]
	v_mov_b32_e32 v6, s11
	v_add_co_u32_e32 v5, vcc, s10, v3
	v_addc_co_u32_e32 v6, vcc, v6, v4, vcc
	global_load_dword v36, v[5:6], off
	v_mov_b32_e32 v5, s15
	v_add_co_u32_e32 v3, vcc, s14, v3
	v_addc_co_u32_e32 v4, vcc, v5, v4, vcc
	global_load_dword v37, v[3:4], off
	v_or_b32_e32 v3, 0x100, v0
	v_cmp_gt_u32_e32 vcc, s33, v3
	v_mov_b32_e32 v35, v2
	v_mov_b32_e32 v15, v2
	v_mov_b32_e32 v34, v2
	v_mov_b32_e32 v32, v2
	v_mov_b32_e32 v33, v2
	v_mov_b32_e32 v31, v2
	v_mov_b32_e32 v30, v2
	v_mov_b32_e32 v14, v2
	v_mov_b32_e32 v29, v2
	v_mov_b32_e32 v13, v2
	v_mov_b32_e32 v28, v2
	v_mov_b32_e32 v12, v2
	v_mov_b32_e32 v27, v2
	v_mov_b32_e32 v11, v2
	v_mov_b32_e32 v26, v2
	v_mov_b32_e32 v25, v2
	v_mov_b32_e32 v24, v2
	v_mov_b32_e32 v23, v2
	v_mov_b32_e32 v22, v2
	v_mov_b32_e32 v21, v2
	v_mov_b32_e32 v20, v2
	v_mov_b32_e32 v3, v2
	v_mov_b32_e32 v10, v2
	v_mov_b32_e32 v9, v2
	v_mov_b32_e32 v8, v2
	v_mov_b32_e32 v7, v2
	v_mov_b32_e32 v6, v2
	v_mov_b32_e32 v5, v2
	v_mov_b32_e32 v4, v2
	s_and_saveexec_b64 s[4:5], vcc
	s_cbranch_execz .LBB160_82
; %bb.53:
	v_add_u32_e32 v14, s6, v0
	v_mov_b32_e32 v15, 0
	v_lshlrev_b64 v[2:3], 2, v[14:15]
	v_mov_b32_e32 v4, s11
	v_add_co_u32_e32 v16, vcc, s10, v2
	v_addc_co_u32_e32 v17, vcc, v4, v3, vcc
	v_mov_b32_e32 v4, s15
	v_add_co_u32_e32 v18, vcc, s14, v2
	v_addc_co_u32_e32 v19, vcc, v4, v3, vcc
	global_load_dword v35, v[16:17], off offset:1024
	global_load_dword v2, v[18:19], off offset:1024
	v_or_b32_e32 v3, 0x200, v0
	v_cmp_gt_u32_e32 vcc, s33, v3
	v_mov_b32_e32 v34, v15
	v_mov_b32_e32 v32, v15
	;; [unrolled: 1-line block ×27, first 2 shown]
	s_and_saveexec_b64 s[16:17], vcc
	s_cbranch_execz .LBB160_81
; %bb.54:
	global_load_dword v34, v[16:17], off offset:2048
	global_load_dword v15, v[18:19], off offset:2048
	v_or_b32_e32 v3, 0x300, v0
	v_cmp_gt_u32_e32 vcc, s33, v3
	v_mov_b32_e32 v32, 0
	v_mov_b32_e32 v33, 0
	;; [unrolled: 1-line block ×26, first 2 shown]
	s_and_saveexec_b64 s[18:19], vcc
	s_cbranch_execz .LBB160_80
; %bb.55:
	global_load_dword v33, v[16:17], off offset:3072
	global_load_dword v32, v[18:19], off offset:3072
	v_or_b32_e32 v16, 0x400, v0
	v_cmp_gt_u32_e32 vcc, s33, v16
	v_mov_b32_e32 v31, 0
	v_mov_b32_e32 v30, 0
	;; [unrolled: 1-line block ×24, first 2 shown]
	s_and_saveexec_b64 s[20:21], vcc
	s_cbranch_execz .LBB160_79
; %bb.56:
	v_or_b32_e32 v13, s6, v16
	v_mov_b32_e32 v14, 0
	v_lshlrev_b64 v[3:4], 2, v[13:14]
	v_mov_b32_e32 v6, s11
	v_add_co_u32_e32 v5, vcc, s10, v3
	v_addc_co_u32_e32 v6, vcc, v6, v4, vcc
	global_load_dword v30, v[5:6], off
	v_mov_b32_e32 v5, s15
	v_add_co_u32_e32 v3, vcc, s14, v3
	v_addc_co_u32_e32 v4, vcc, v5, v4, vcc
	global_load_dword v31, v[3:4], off
	v_or_b32_e32 v16, 0x500, v0
	v_cmp_gt_u32_e32 vcc, s33, v16
	v_mov_b32_e32 v29, v14
	v_mov_b32_e32 v13, v14
	v_mov_b32_e32 v28, v14
	v_mov_b32_e32 v12, v14
	v_mov_b32_e32 v27, v14
	v_mov_b32_e32 v11, v14
	v_mov_b32_e32 v26, v14
	v_mov_b32_e32 v10, v14
	v_mov_b32_e32 v25, v14
	v_mov_b32_e32 v9, v14
	v_mov_b32_e32 v24, v14
	v_mov_b32_e32 v8, v14
	v_mov_b32_e32 v23, v14
	v_mov_b32_e32 v7, v14
	v_mov_b32_e32 v22, v14
	v_mov_b32_e32 v6, v14
	v_mov_b32_e32 v21, v14
	v_mov_b32_e32 v5, v14
	v_mov_b32_e32 v20, v14
	v_mov_b32_e32 v4, v14
	v_mov_b32_e32 v3, v14
	s_and_saveexec_b64 s[22:23], vcc
	s_cbranch_execz .LBB160_78
; %bb.57:
	v_or_b32_e32 v12, s6, v16
	v_mov_b32_e32 v13, 0
	v_lshlrev_b64 v[3:4], 2, v[12:13]
	v_mov_b32_e32 v6, s11
	v_add_co_u32_e32 v5, vcc, s10, v3
	v_addc_co_u32_e32 v6, vcc, v6, v4, vcc
	global_load_dword v29, v[5:6], off
	v_mov_b32_e32 v5, s15
	v_add_co_u32_e32 v3, vcc, s14, v3
	v_addc_co_u32_e32 v4, vcc, v5, v4, vcc
	global_load_dword v14, v[3:4], off
	v_or_b32_e32 v16, 0x600, v0
	v_cmp_gt_u32_e32 vcc, s33, v16
	v_mov_b32_e32 v28, v13
	v_mov_b32_e32 v12, v13
	;; [unrolled: 1-line block ×19, first 2 shown]
	s_and_saveexec_b64 s[24:25], vcc
	s_cbranch_execz .LBB160_77
; %bb.58:
	v_or_b32_e32 v11, s6, v16
	v_mov_b32_e32 v12, 0
	v_lshlrev_b64 v[3:4], 2, v[11:12]
	v_mov_b32_e32 v6, s11
	v_add_co_u32_e32 v5, vcc, s10, v3
	v_addc_co_u32_e32 v6, vcc, v6, v4, vcc
	global_load_dword v28, v[5:6], off
	v_mov_b32_e32 v5, s15
	v_add_co_u32_e32 v3, vcc, s14, v3
	v_addc_co_u32_e32 v4, vcc, v5, v4, vcc
	global_load_dword v13, v[3:4], off
	v_or_b32_e32 v16, 0x700, v0
	v_cmp_gt_u32_e32 vcc, s33, v16
	v_mov_b32_e32 v27, v12
	v_mov_b32_e32 v11, v12
	;; [unrolled: 1-line block ×17, first 2 shown]
	s_and_saveexec_b64 s[26:27], vcc
	s_cbranch_execz .LBB160_76
; %bb.59:
	v_or_b32_e32 v10, s6, v16
	v_mov_b32_e32 v11, 0
	v_lshlrev_b64 v[3:4], 2, v[10:11]
	v_mov_b32_e32 v6, s11
	v_add_co_u32_e32 v5, vcc, s10, v3
	v_addc_co_u32_e32 v6, vcc, v6, v4, vcc
	global_load_dword v27, v[5:6], off
	v_mov_b32_e32 v5, s15
	v_add_co_u32_e32 v3, vcc, s14, v3
	v_addc_co_u32_e32 v4, vcc, v5, v4, vcc
	global_load_dword v12, v[3:4], off
	v_or_b32_e32 v16, 0x800, v0
	v_cmp_gt_u32_e32 vcc, s33, v16
	v_mov_b32_e32 v26, v11
	v_mov_b32_e32 v10, v11
	;; [unrolled: 1-line block ×15, first 2 shown]
	s_and_saveexec_b64 s[28:29], vcc
	s_cbranch_execz .LBB160_75
; %bb.60:
	v_or_b32_e32 v9, s6, v16
	v_mov_b32_e32 v10, 0
	v_lshlrev_b64 v[3:4], 2, v[9:10]
	v_mov_b32_e32 v6, s11
	v_add_co_u32_e32 v5, vcc, s10, v3
	v_addc_co_u32_e32 v6, vcc, v6, v4, vcc
	global_load_dword v26, v[5:6], off
	v_mov_b32_e32 v5, s15
	v_add_co_u32_e32 v3, vcc, s14, v3
	v_addc_co_u32_e32 v4, vcc, v5, v4, vcc
	global_load_dword v11, v[3:4], off
	v_or_b32_e32 v16, 0x900, v0
	v_cmp_gt_u32_e32 vcc, s33, v16
	v_mov_b32_e32 v25, v10
	v_mov_b32_e32 v9, v10
	v_mov_b32_e32 v24, v10
	v_mov_b32_e32 v8, v10
	v_mov_b32_e32 v23, v10
	v_mov_b32_e32 v7, v10
	v_mov_b32_e32 v22, v10
	v_mov_b32_e32 v6, v10
	v_mov_b32_e32 v21, v10
	v_mov_b32_e32 v5, v10
	v_mov_b32_e32 v20, v10
	v_mov_b32_e32 v4, v10
	v_mov_b32_e32 v3, v10
	s_and_saveexec_b64 s[30:31], vcc
	s_cbranch_execz .LBB160_74
; %bb.61:
	v_or_b32_e32 v8, s6, v16
	v_mov_b32_e32 v9, 0
	v_lshlrev_b64 v[3:4], 2, v[8:9]
	v_mov_b32_e32 v6, s11
	v_add_co_u32_e32 v5, vcc, s10, v3
	v_addc_co_u32_e32 v6, vcc, v6, v4, vcc
	global_load_dword v25, v[5:6], off
	v_mov_b32_e32 v5, s15
	v_add_co_u32_e32 v3, vcc, s14, v3
	v_addc_co_u32_e32 v4, vcc, v5, v4, vcc
	global_load_dword v10, v[3:4], off
	v_or_b32_e32 v16, 0xa00, v0
	v_cmp_gt_u32_e32 vcc, s33, v16
	v_mov_b32_e32 v24, v9
	v_mov_b32_e32 v8, v9
	;; [unrolled: 1-line block ×11, first 2 shown]
	s_and_saveexec_b64 s[34:35], vcc
	s_cbranch_execz .LBB160_73
; %bb.62:
	v_or_b32_e32 v7, s6, v16
	v_mov_b32_e32 v8, 0
	v_lshlrev_b64 v[3:4], 2, v[7:8]
	v_mov_b32_e32 v6, s11
	v_add_co_u32_e32 v5, vcc, s10, v3
	v_addc_co_u32_e32 v6, vcc, v6, v4, vcc
	global_load_dword v24, v[5:6], off
	v_mov_b32_e32 v5, s15
	v_add_co_u32_e32 v3, vcc, s14, v3
	v_addc_co_u32_e32 v4, vcc, v5, v4, vcc
	global_load_dword v9, v[3:4], off
	v_or_b32_e32 v16, 0xb00, v0
	v_cmp_gt_u32_e32 vcc, s33, v16
	v_mov_b32_e32 v23, v8
	v_mov_b32_e32 v7, v8
	;; [unrolled: 1-line block ×9, first 2 shown]
	s_and_saveexec_b64 s[36:37], vcc
	s_cbranch_execz .LBB160_72
; %bb.63:
	v_or_b32_e32 v6, s6, v16
	v_mov_b32_e32 v7, 0
	v_lshlrev_b64 v[3:4], 2, v[6:7]
	v_mov_b32_e32 v6, s11
	v_add_co_u32_e32 v5, vcc, s10, v3
	v_addc_co_u32_e32 v6, vcc, v6, v4, vcc
	global_load_dword v23, v[5:6], off
	v_mov_b32_e32 v5, s15
	v_add_co_u32_e32 v3, vcc, s14, v3
	v_addc_co_u32_e32 v4, vcc, v5, v4, vcc
	global_load_dword v8, v[3:4], off
	v_or_b32_e32 v16, 0xc00, v0
	v_cmp_gt_u32_e32 vcc, s33, v16
	v_mov_b32_e32 v22, v7
	v_mov_b32_e32 v6, v7
	;; [unrolled: 1-line block ×7, first 2 shown]
	s_and_saveexec_b64 s[38:39], vcc
	s_cbranch_execz .LBB160_71
; %bb.64:
	v_or_b32_e32 v5, s6, v16
	v_mov_b32_e32 v6, 0
	v_lshlrev_b64 v[3:4], 2, v[5:6]
	v_mov_b32_e32 v5, s11
	v_add_co_u32_e32 v16, vcc, s10, v3
	v_addc_co_u32_e32 v17, vcc, v5, v4, vcc
	v_mov_b32_e32 v5, s15
	v_add_co_u32_e32 v3, vcc, s14, v3
	v_addc_co_u32_e32 v4, vcc, v5, v4, vcc
	global_load_dword v22, v[16:17], off
	global_load_dword v7, v[3:4], off
	v_or_b32_e32 v16, 0xd00, v0
	v_cmp_gt_u32_e32 vcc, s33, v16
	v_mov_b32_e32 v21, v6
	v_mov_b32_e32 v5, v6
	;; [unrolled: 1-line block ×5, first 2 shown]
	s_and_saveexec_b64 s[40:41], vcc
	s_cbranch_execz .LBB160_70
; %bb.65:
	v_add_u32_e32 v4, s6, v16
	v_mov_b32_e32 v5, 0
	v_lshlrev_b64 v[3:4], 2, v[4:5]
	v_mov_b32_e32 v6, s11
	v_add_co_u32_e32 v16, vcc, s10, v3
	v_addc_co_u32_e32 v17, vcc, v6, v4, vcc
	v_mov_b32_e32 v6, s15
	v_add_co_u32_e32 v3, vcc, s14, v3
	v_addc_co_u32_e32 v4, vcc, v6, v4, vcc
	global_load_dword v21, v[16:17], off
	global_load_dword v6, v[3:4], off
	v_or_b32_e32 v16, 0xe00, v0
	v_cmp_gt_u32_e32 vcc, s33, v16
	v_mov_b32_e32 v20, v5
	v_mov_b32_e32 v4, v5
	;; [unrolled: 1-line block ×3, first 2 shown]
	s_and_saveexec_b64 s[42:43], vcc
	s_cbranch_execz .LBB160_69
; %bb.66:
	v_add_u32_e32 v3, s6, v16
	v_mov_b32_e32 v4, 0
	v_lshlrev_b64 v[16:17], 2, v[3:4]
	v_mov_b32_e32 v3, s11
	v_add_co_u32_e32 v18, vcc, s10, v16
	v_addc_co_u32_e32 v19, vcc, v3, v17, vcc
	v_mov_b32_e32 v3, s15
	v_add_co_u32_e32 v16, vcc, s14, v16
	v_addc_co_u32_e32 v17, vcc, v3, v17, vcc
	global_load_dword v20, v[18:19], off
	global_load_dword v5, v[16:17], off
	v_or_b32_e32 v16, 0xf00, v0
	v_cmp_gt_u32_e32 vcc, s33, v16
	v_mov_b32_e32 v3, v4
	s_and_saveexec_b64 s[44:45], vcc
	s_cbranch_execz .LBB160_68
; %bb.67:
	v_add_u32_e32 v3, s6, v16
	v_mov_b32_e32 v4, 0
	v_lshlrev_b64 v[3:4], 2, v[3:4]
	v_mov_b32_e32 v17, s15
	v_add_co_u32_e32 v16, vcc, s14, v3
	v_addc_co_u32_e32 v17, vcc, v17, v4, vcc
	v_mov_b32_e32 v19, s11
	v_add_co_u32_e32 v18, vcc, s10, v3
	v_addc_co_u32_e32 v19, vcc, v19, v4, vcc
	global_load_dword v3, v[18:19], off
	global_load_dword v4, v[16:17], off
.LBB160_68:
	s_or_b64 exec, exec, s[44:45]
.LBB160_69:
	s_or_b64 exec, exec, s[42:43]
.LBB160_70:
	s_or_b64 exec, exec, s[40:41]
.LBB160_71:
	s_or_b64 exec, exec, s[38:39]
.LBB160_72:
	s_or_b64 exec, exec, s[36:37]
.LBB160_73:
	s_or_b64 exec, exec, s[34:35]
.LBB160_74:
	s_or_b64 exec, exec, s[30:31]
.LBB160_75:
	s_or_b64 exec, exec, s[28:29]
.LBB160_76:
	s_or_b64 exec, exec, s[26:27]
.LBB160_77:
	s_or_b64 exec, exec, s[24:25]
.LBB160_78:
	s_or_b64 exec, exec, s[22:23]
.LBB160_79:
	s_or_b64 exec, exec, s[20:21]
.LBB160_80:
	s_or_b64 exec, exec, s[18:19]
.LBB160_81:
	s_or_b64 exec, exec, s[16:17]
.LBB160_82:
	s_or_b64 exec, exec, s[4:5]
.LBB160_83:
	s_or_b64 exec, exec, s[2:3]
	s_cmp_lg_u32 s13, 0
	s_cselect_b64 s[4:5], -1, 0
                                        ; implicit-def: $vgpr16
	s_and_saveexec_b64 s[10:11], s[0:1]
	s_cbranch_execz .LBB160_88
; %bb.84:
	s_and_b64 vcc, exec, s[4:5]
	s_waitcnt vmcnt(1)
	v_lshlrev_b32_e32 v16, 16, v36
	s_waitcnt vmcnt(0)
	v_lshlrev_b32_e32 v17, 16, v37
	s_cbranch_vccz .LBB160_212
; %bb.85:
	v_and_b32_e32 v18, 0xffff0000, v36
	v_and_b32_e32 v19, 0xffff0000, v37
	v_cmp_neq_f32_e32 vcc, v16, v17
	v_cmp_neq_f32_e64 s[2:3], v18, v19
	s_or_b64 s[12:13], vcc, s[2:3]
	s_cbranch_execnz .LBB160_87
.LBB160_86:
	v_and_b32_e32 v18, 0xffff0000, v37
	v_and_b32_e32 v19, 0xffff0000, v36
	v_cmp_eq_f32_e32 vcc, v16, v17
	v_cmp_eq_f32_e64 s[2:3], v19, v18
	s_and_b64 s[2:3], vcc, s[2:3]
	s_andn2_b64 s[12:13], s[12:13], exec
	s_and_b64 s[2:3], s[2:3], exec
	s_or_b64 s[12:13], s[12:13], s[2:3]
.LBB160_87:
	v_cndmask_b32_e64 v16, 0, 1, s[12:13]
.LBB160_88:
	s_or_b64 exec, exec, s[10:11]
	v_or_b32_e32 v17, 0x100, v0
	v_cndmask_b32_e64 v18, 0, 1, s[4:5]
	v_cmp_gt_i32_e32 vcc, s33, v17
	v_cmp_ne_u32_e64 s[2:3], 1, v18
                                        ; implicit-def: $vgpr18
	s_and_saveexec_b64 s[10:11], vcc
	s_cbranch_execz .LBB160_93
; %bb.89:
	s_and_b64 vcc, exec, s[2:3]
	s_waitcnt vmcnt(1)
	v_lshlrev_b32_e32 v18, 16, v35
	s_waitcnt vmcnt(0)
	v_lshlrev_b32_e32 v19, 16, v2
	s_cbranch_vccnz .LBB160_213
; %bb.90:
	v_and_b32_e32 v36, 0xffff0000, v35
	v_and_b32_e32 v37, 0xffff0000, v2
	v_cmp_neq_f32_e32 vcc, v18, v19
	v_cmp_neq_f32_e64 s[4:5], v36, v37
	s_or_b64 s[12:13], vcc, s[4:5]
	s_cbranch_execnz .LBB160_92
.LBB160_91:
	v_and_b32_e32 v2, 0xffff0000, v2
	v_and_b32_e32 v35, 0xffff0000, v35
	v_cmp_eq_f32_e32 vcc, v18, v19
	v_cmp_eq_f32_e64 s[4:5], v35, v2
	s_and_b64 s[4:5], vcc, s[4:5]
	s_andn2_b64 s[12:13], s[12:13], exec
	s_and_b64 s[4:5], s[4:5], exec
	s_or_b64 s[12:13], s[12:13], s[4:5]
.LBB160_92:
	v_cndmask_b32_e64 v18, 0, 1, s[12:13]
.LBB160_93:
	s_or_b64 exec, exec, s[10:11]
	s_waitcnt vmcnt(0)
	v_or_b32_e32 v2, 0x200, v0
	v_cmp_gt_i32_e32 vcc, s33, v2
                                        ; implicit-def: $vgpr2
	s_and_saveexec_b64 s[10:11], vcc
	s_cbranch_execz .LBB160_98
; %bb.94:
	s_and_b64 vcc, exec, s[2:3]
	v_lshlrev_b32_e32 v2, 16, v34
	v_lshlrev_b32_e32 v19, 16, v15
	s_cbranch_vccnz .LBB160_214
; %bb.95:
	v_and_b32_e32 v35, 0xffff0000, v34
	v_and_b32_e32 v36, 0xffff0000, v15
	v_cmp_neq_f32_e32 vcc, v2, v19
	v_cmp_neq_f32_e64 s[4:5], v35, v36
	s_or_b64 s[12:13], vcc, s[4:5]
	s_cbranch_execnz .LBB160_97
.LBB160_96:
	v_and_b32_e32 v15, 0xffff0000, v15
	v_and_b32_e32 v34, 0xffff0000, v34
	v_cmp_eq_f32_e32 vcc, v2, v19
	v_cmp_eq_f32_e64 s[4:5], v34, v15
	s_and_b64 s[4:5], vcc, s[4:5]
	s_andn2_b64 s[12:13], s[12:13], exec
	s_and_b64 s[4:5], s[4:5], exec
	s_or_b64 s[12:13], s[12:13], s[4:5]
.LBB160_97:
	v_cndmask_b32_e64 v2, 0, 1, s[12:13]
.LBB160_98:
	s_or_b64 exec, exec, s[10:11]
	v_or_b32_e32 v15, 0x300, v0
	v_cmp_gt_i32_e32 vcc, s33, v15
                                        ; implicit-def: $vgpr15
	s_and_saveexec_b64 s[10:11], vcc
	s_cbranch_execz .LBB160_103
; %bb.99:
	s_and_b64 vcc, exec, s[2:3]
	v_lshlrev_b32_e32 v15, 16, v33
	v_lshlrev_b32_e32 v19, 16, v32
	s_cbranch_vccnz .LBB160_215
; %bb.100:
	v_and_b32_e32 v34, 0xffff0000, v33
	v_and_b32_e32 v35, 0xffff0000, v32
	v_cmp_neq_f32_e32 vcc, v15, v19
	v_cmp_neq_f32_e64 s[4:5], v34, v35
	s_or_b64 s[12:13], vcc, s[4:5]
	s_cbranch_execnz .LBB160_102
.LBB160_101:
	v_and_b32_e32 v32, 0xffff0000, v32
	v_and_b32_e32 v33, 0xffff0000, v33
	v_cmp_eq_f32_e32 vcc, v15, v19
	v_cmp_eq_f32_e64 s[4:5], v33, v32
	s_and_b64 s[4:5], vcc, s[4:5]
	s_andn2_b64 s[12:13], s[12:13], exec
	s_and_b64 s[4:5], s[4:5], exec
	s_or_b64 s[12:13], s[12:13], s[4:5]
.LBB160_102:
	v_cndmask_b32_e64 v15, 0, 1, s[12:13]
.LBB160_103:
	s_or_b64 exec, exec, s[10:11]
	v_or_b32_e32 v19, 0x400, v0
	v_cmp_gt_i32_e32 vcc, s33, v19
                                        ; implicit-def: $vgpr19
	s_and_saveexec_b64 s[10:11], vcc
	s_cbranch_execz .LBB160_108
; %bb.104:
	s_and_b64 vcc, exec, s[2:3]
	v_lshlrev_b32_e32 v19, 16, v30
	v_lshlrev_b32_e32 v32, 16, v31
	s_cbranch_vccnz .LBB160_216
; %bb.105:
	v_and_b32_e32 v33, 0xffff0000, v30
	v_and_b32_e32 v34, 0xffff0000, v31
	v_cmp_neq_f32_e32 vcc, v19, v32
	v_cmp_neq_f32_e64 s[4:5], v33, v34
	s_or_b64 s[12:13], vcc, s[4:5]
	s_cbranch_execnz .LBB160_107
.LBB160_106:
	v_and_b32_e32 v31, 0xffff0000, v31
	v_and_b32_e32 v30, 0xffff0000, v30
	v_cmp_eq_f32_e32 vcc, v19, v32
	v_cmp_eq_f32_e64 s[4:5], v30, v31
	s_and_b64 s[4:5], vcc, s[4:5]
	s_andn2_b64 s[12:13], s[12:13], exec
	s_and_b64 s[4:5], s[4:5], exec
	s_or_b64 s[12:13], s[12:13], s[4:5]
.LBB160_107:
	v_cndmask_b32_e64 v19, 0, 1, s[12:13]
.LBB160_108:
	s_or_b64 exec, exec, s[10:11]
	v_or_b32_e32 v30, 0x500, v0
	v_cmp_gt_i32_e32 vcc, s33, v30
                                        ; implicit-def: $vgpr30
	s_and_saveexec_b64 s[10:11], vcc
	s_cbranch_execz .LBB160_113
; %bb.109:
	s_and_b64 vcc, exec, s[2:3]
	v_lshlrev_b32_e32 v30, 16, v29
	v_lshlrev_b32_e32 v31, 16, v14
	s_cbranch_vccnz .LBB160_217
; %bb.110:
	v_and_b32_e32 v32, 0xffff0000, v29
	v_and_b32_e32 v33, 0xffff0000, v14
	v_cmp_neq_f32_e32 vcc, v30, v31
	v_cmp_neq_f32_e64 s[4:5], v32, v33
	s_or_b64 s[12:13], vcc, s[4:5]
	s_cbranch_execnz .LBB160_112
.LBB160_111:
	v_and_b32_e32 v14, 0xffff0000, v14
	v_and_b32_e32 v29, 0xffff0000, v29
	v_cmp_eq_f32_e32 vcc, v30, v31
	v_cmp_eq_f32_e64 s[4:5], v29, v14
	s_and_b64 s[4:5], vcc, s[4:5]
	s_andn2_b64 s[12:13], s[12:13], exec
	s_and_b64 s[4:5], s[4:5], exec
	s_or_b64 s[12:13], s[12:13], s[4:5]
.LBB160_112:
	v_cndmask_b32_e64 v30, 0, 1, s[12:13]
.LBB160_113:
	s_or_b64 exec, exec, s[10:11]
	v_or_b32_e32 v14, 0x600, v0
	v_cmp_gt_i32_e32 vcc, s33, v14
                                        ; implicit-def: $vgpr14
	s_and_saveexec_b64 s[10:11], vcc
	s_cbranch_execz .LBB160_118
; %bb.114:
	s_and_b64 vcc, exec, s[2:3]
	v_lshlrev_b32_e32 v14, 16, v28
	v_lshlrev_b32_e32 v29, 16, v13
	s_cbranch_vccnz .LBB160_218
; %bb.115:
	v_and_b32_e32 v31, 0xffff0000, v28
	v_and_b32_e32 v32, 0xffff0000, v13
	v_cmp_neq_f32_e32 vcc, v14, v29
	v_cmp_neq_f32_e64 s[4:5], v31, v32
	s_or_b64 s[12:13], vcc, s[4:5]
	s_cbranch_execnz .LBB160_117
.LBB160_116:
	v_and_b32_e32 v13, 0xffff0000, v13
	v_and_b32_e32 v28, 0xffff0000, v28
	v_cmp_eq_f32_e32 vcc, v14, v29
	v_cmp_eq_f32_e64 s[4:5], v28, v13
	s_and_b64 s[4:5], vcc, s[4:5]
	s_andn2_b64 s[12:13], s[12:13], exec
	s_and_b64 s[4:5], s[4:5], exec
	s_or_b64 s[12:13], s[12:13], s[4:5]
.LBB160_117:
	v_cndmask_b32_e64 v14, 0, 1, s[12:13]
.LBB160_118:
	s_or_b64 exec, exec, s[10:11]
	v_or_b32_e32 v13, 0x700, v0
	v_cmp_gt_i32_e32 vcc, s33, v13
                                        ; implicit-def: $vgpr13
	s_and_saveexec_b64 s[10:11], vcc
	s_cbranch_execz .LBB160_123
; %bb.119:
	s_and_b64 vcc, exec, s[2:3]
	v_lshlrev_b32_e32 v13, 16, v27
	v_lshlrev_b32_e32 v28, 16, v12
	s_cbranch_vccnz .LBB160_219
; %bb.120:
	v_and_b32_e32 v29, 0xffff0000, v27
	v_and_b32_e32 v31, 0xffff0000, v12
	v_cmp_neq_f32_e32 vcc, v13, v28
	v_cmp_neq_f32_e64 s[4:5], v29, v31
	s_or_b64 s[12:13], vcc, s[4:5]
	s_cbranch_execnz .LBB160_122
.LBB160_121:
	v_and_b32_e32 v12, 0xffff0000, v12
	v_and_b32_e32 v27, 0xffff0000, v27
	v_cmp_eq_f32_e32 vcc, v13, v28
	v_cmp_eq_f32_e64 s[4:5], v27, v12
	s_and_b64 s[4:5], vcc, s[4:5]
	s_andn2_b64 s[12:13], s[12:13], exec
	s_and_b64 s[4:5], s[4:5], exec
	s_or_b64 s[12:13], s[12:13], s[4:5]
.LBB160_122:
	v_cndmask_b32_e64 v13, 0, 1, s[12:13]
.LBB160_123:
	s_or_b64 exec, exec, s[10:11]
	v_or_b32_e32 v12, 0x800, v0
	v_cmp_gt_i32_e32 vcc, s33, v12
                                        ; implicit-def: $vgpr12
	s_and_saveexec_b64 s[10:11], vcc
	s_cbranch_execz .LBB160_128
; %bb.124:
	s_and_b64 vcc, exec, s[2:3]
	v_lshlrev_b32_e32 v12, 16, v26
	v_lshlrev_b32_e32 v27, 16, v11
	s_cbranch_vccnz .LBB160_220
; %bb.125:
	v_and_b32_e32 v28, 0xffff0000, v26
	v_and_b32_e32 v29, 0xffff0000, v11
	v_cmp_neq_f32_e32 vcc, v12, v27
	v_cmp_neq_f32_e64 s[4:5], v28, v29
	s_or_b64 s[12:13], vcc, s[4:5]
	s_cbranch_execnz .LBB160_127
.LBB160_126:
	v_and_b32_e32 v11, 0xffff0000, v11
	v_and_b32_e32 v26, 0xffff0000, v26
	v_cmp_eq_f32_e32 vcc, v12, v27
	v_cmp_eq_f32_e64 s[4:5], v26, v11
	s_and_b64 s[4:5], vcc, s[4:5]
	s_andn2_b64 s[12:13], s[12:13], exec
	s_and_b64 s[4:5], s[4:5], exec
	s_or_b64 s[12:13], s[12:13], s[4:5]
.LBB160_127:
	v_cndmask_b32_e64 v12, 0, 1, s[12:13]
.LBB160_128:
	s_or_b64 exec, exec, s[10:11]
	v_or_b32_e32 v11, 0x900, v0
	v_cmp_gt_i32_e32 vcc, s33, v11
                                        ; implicit-def: $vgpr11
	s_and_saveexec_b64 s[10:11], vcc
	s_cbranch_execz .LBB160_133
; %bb.129:
	s_and_b64 vcc, exec, s[2:3]
	v_lshlrev_b32_e32 v11, 16, v25
	v_lshlrev_b32_e32 v26, 16, v10
	s_cbranch_vccnz .LBB160_221
; %bb.130:
	v_and_b32_e32 v27, 0xffff0000, v25
	v_and_b32_e32 v28, 0xffff0000, v10
	v_cmp_neq_f32_e32 vcc, v11, v26
	v_cmp_neq_f32_e64 s[4:5], v27, v28
	s_or_b64 s[12:13], vcc, s[4:5]
	s_cbranch_execnz .LBB160_132
.LBB160_131:
	v_and_b32_e32 v10, 0xffff0000, v10
	v_and_b32_e32 v25, 0xffff0000, v25
	v_cmp_eq_f32_e32 vcc, v11, v26
	v_cmp_eq_f32_e64 s[4:5], v25, v10
	s_and_b64 s[4:5], vcc, s[4:5]
	s_andn2_b64 s[12:13], s[12:13], exec
	s_and_b64 s[4:5], s[4:5], exec
	s_or_b64 s[12:13], s[12:13], s[4:5]
.LBB160_132:
	v_cndmask_b32_e64 v11, 0, 1, s[12:13]
.LBB160_133:
	s_or_b64 exec, exec, s[10:11]
	v_or_b32_e32 v10, 0xa00, v0
	v_cmp_gt_i32_e32 vcc, s33, v10
                                        ; implicit-def: $vgpr10
	s_and_saveexec_b64 s[10:11], vcc
	s_cbranch_execz .LBB160_138
; %bb.134:
	s_and_b64 vcc, exec, s[2:3]
	v_lshlrev_b32_e32 v10, 16, v24
	v_lshlrev_b32_e32 v25, 16, v9
	s_cbranch_vccnz .LBB160_222
; %bb.135:
	v_and_b32_e32 v26, 0xffff0000, v24
	v_and_b32_e32 v27, 0xffff0000, v9
	v_cmp_neq_f32_e32 vcc, v10, v25
	v_cmp_neq_f32_e64 s[4:5], v26, v27
	s_or_b64 s[12:13], vcc, s[4:5]
	s_cbranch_execnz .LBB160_137
.LBB160_136:
	v_and_b32_e32 v9, 0xffff0000, v9
	v_and_b32_e32 v24, 0xffff0000, v24
	v_cmp_eq_f32_e32 vcc, v10, v25
	v_cmp_eq_f32_e64 s[4:5], v24, v9
	s_and_b64 s[4:5], vcc, s[4:5]
	s_andn2_b64 s[12:13], s[12:13], exec
	s_and_b64 s[4:5], s[4:5], exec
	s_or_b64 s[12:13], s[12:13], s[4:5]
.LBB160_137:
	v_cndmask_b32_e64 v10, 0, 1, s[12:13]
.LBB160_138:
	s_or_b64 exec, exec, s[10:11]
	v_or_b32_e32 v9, 0xb00, v0
	v_cmp_gt_i32_e32 vcc, s33, v9
                                        ; implicit-def: $vgpr9
	s_and_saveexec_b64 s[10:11], vcc
	s_cbranch_execz .LBB160_143
; %bb.139:
	s_and_b64 vcc, exec, s[2:3]
	v_lshlrev_b32_e32 v9, 16, v23
	v_lshlrev_b32_e32 v24, 16, v8
	s_cbranch_vccnz .LBB160_223
; %bb.140:
	v_and_b32_e32 v25, 0xffff0000, v23
	v_and_b32_e32 v26, 0xffff0000, v8
	v_cmp_neq_f32_e32 vcc, v9, v24
	v_cmp_neq_f32_e64 s[4:5], v25, v26
	s_or_b64 s[12:13], vcc, s[4:5]
	s_cbranch_execnz .LBB160_142
.LBB160_141:
	v_and_b32_e32 v8, 0xffff0000, v8
	v_and_b32_e32 v23, 0xffff0000, v23
	v_cmp_eq_f32_e32 vcc, v9, v24
	v_cmp_eq_f32_e64 s[4:5], v23, v8
	s_and_b64 s[4:5], vcc, s[4:5]
	s_andn2_b64 s[12:13], s[12:13], exec
	s_and_b64 s[4:5], s[4:5], exec
	s_or_b64 s[12:13], s[12:13], s[4:5]
.LBB160_142:
	v_cndmask_b32_e64 v9, 0, 1, s[12:13]
.LBB160_143:
	s_or_b64 exec, exec, s[10:11]
	v_or_b32_e32 v8, 0xc00, v0
	v_cmp_gt_i32_e32 vcc, s33, v8
                                        ; implicit-def: $vgpr8
	s_and_saveexec_b64 s[10:11], vcc
	s_cbranch_execz .LBB160_148
; %bb.144:
	s_and_b64 vcc, exec, s[2:3]
	v_lshlrev_b32_e32 v8, 16, v22
	v_lshlrev_b32_e32 v23, 16, v7
	s_cbranch_vccnz .LBB160_224
; %bb.145:
	v_and_b32_e32 v24, 0xffff0000, v22
	v_and_b32_e32 v25, 0xffff0000, v7
	v_cmp_neq_f32_e32 vcc, v8, v23
	v_cmp_neq_f32_e64 s[4:5], v24, v25
	s_or_b64 s[12:13], vcc, s[4:5]
	s_cbranch_execnz .LBB160_147
.LBB160_146:
	v_and_b32_e32 v7, 0xffff0000, v7
	v_and_b32_e32 v22, 0xffff0000, v22
	v_cmp_eq_f32_e32 vcc, v8, v23
	v_cmp_eq_f32_e64 s[4:5], v22, v7
	s_and_b64 s[4:5], vcc, s[4:5]
	s_andn2_b64 s[12:13], s[12:13], exec
	s_and_b64 s[4:5], s[4:5], exec
	s_or_b64 s[12:13], s[12:13], s[4:5]
.LBB160_147:
	v_cndmask_b32_e64 v8, 0, 1, s[12:13]
.LBB160_148:
	s_or_b64 exec, exec, s[10:11]
	v_or_b32_e32 v7, 0xd00, v0
	v_cmp_gt_i32_e32 vcc, s33, v7
                                        ; implicit-def: $vgpr7
	s_and_saveexec_b64 s[10:11], vcc
	s_cbranch_execz .LBB160_153
; %bb.149:
	s_and_b64 vcc, exec, s[2:3]
	v_lshlrev_b32_e32 v7, 16, v21
	v_lshlrev_b32_e32 v22, 16, v6
	s_cbranch_vccnz .LBB160_225
; %bb.150:
	v_and_b32_e32 v23, 0xffff0000, v21
	v_and_b32_e32 v24, 0xffff0000, v6
	v_cmp_neq_f32_e32 vcc, v7, v22
	v_cmp_neq_f32_e64 s[4:5], v23, v24
	s_or_b64 s[12:13], vcc, s[4:5]
	s_cbranch_execnz .LBB160_152
.LBB160_151:
	v_and_b32_e32 v6, 0xffff0000, v6
	v_and_b32_e32 v21, 0xffff0000, v21
	v_cmp_eq_f32_e32 vcc, v7, v22
	v_cmp_eq_f32_e64 s[4:5], v21, v6
	s_and_b64 s[4:5], vcc, s[4:5]
	s_andn2_b64 s[12:13], s[12:13], exec
	s_and_b64 s[4:5], s[4:5], exec
	s_or_b64 s[12:13], s[12:13], s[4:5]
.LBB160_152:
	v_cndmask_b32_e64 v7, 0, 1, s[12:13]
.LBB160_153:
	s_or_b64 exec, exec, s[10:11]
	v_or_b32_e32 v6, 0xe00, v0
	v_cmp_gt_i32_e32 vcc, s33, v6
                                        ; implicit-def: $vgpr6
	s_and_saveexec_b64 s[10:11], vcc
	s_cbranch_execz .LBB160_158
; %bb.154:
	s_and_b64 vcc, exec, s[2:3]
	v_lshlrev_b32_e32 v6, 16, v20
	v_lshlrev_b32_e32 v21, 16, v5
	s_cbranch_vccnz .LBB160_226
; %bb.155:
	v_and_b32_e32 v22, 0xffff0000, v20
	v_and_b32_e32 v23, 0xffff0000, v5
	v_cmp_neq_f32_e32 vcc, v6, v21
	v_cmp_neq_f32_e64 s[4:5], v22, v23
	s_or_b64 s[12:13], vcc, s[4:5]
	s_cbranch_execnz .LBB160_157
.LBB160_156:
	v_and_b32_e32 v5, 0xffff0000, v5
	v_and_b32_e32 v20, 0xffff0000, v20
	v_cmp_eq_f32_e32 vcc, v6, v21
	v_cmp_eq_f32_e64 s[4:5], v20, v5
	s_and_b64 s[4:5], vcc, s[4:5]
	s_andn2_b64 s[12:13], s[12:13], exec
	s_and_b64 s[4:5], s[4:5], exec
	s_or_b64 s[12:13], s[12:13], s[4:5]
.LBB160_157:
	v_cndmask_b32_e64 v6, 0, 1, s[12:13]
.LBB160_158:
	s_or_b64 exec, exec, s[10:11]
	v_or_b32_e32 v5, 0xf00, v0
	v_cmp_gt_i32_e32 vcc, s33, v5
                                        ; implicit-def: $vgpr5
	s_and_saveexec_b64 s[4:5], vcc
	s_cbranch_execz .LBB160_163
; %bb.159:
	s_and_b64 vcc, exec, s[2:3]
	v_lshlrev_b32_e32 v5, 16, v3
	v_lshlrev_b32_e32 v20, 16, v4
	s_cbranch_vccnz .LBB160_227
; %bb.160:
	v_and_b32_e32 v21, 0xffff0000, v3
	v_and_b32_e32 v22, 0xffff0000, v4
	v_cmp_neq_f32_e32 vcc, v5, v20
	v_cmp_neq_f32_e64 s[2:3], v21, v22
	s_or_b64 s[10:11], vcc, s[2:3]
	s_cbranch_execnz .LBB160_162
.LBB160_161:
	v_and_b32_e32 v4, 0xffff0000, v4
	v_and_b32_e32 v3, 0xffff0000, v3
	v_cmp_eq_f32_e32 vcc, v5, v20
	v_cmp_eq_f32_e64 s[2:3], v3, v4
	s_and_b64 s[2:3], vcc, s[2:3]
	s_andn2_b64 s[10:11], s[10:11], exec
	s_and_b64 s[2:3], s[2:3], exec
	s_or_b64 s[10:11], s[10:11], s[2:3]
.LBB160_162:
	v_cndmask_b32_e64 v5, 0, 1, s[10:11]
.LBB160_163:
	s_or_b64 exec, exec, s[4:5]
	s_and_saveexec_b64 s[2:3], s[0:1]
	s_xor_b64 s[0:1], exec, s[2:3]
	s_cbranch_execz .LBB160_165
; %bb.164:
	v_mov_b32_e32 v0, v17
	global_store_byte v1, v16, s[8:9]
.LBB160_165:
	s_or_b64 exec, exec, s[0:1]
	v_cmp_gt_i32_e32 vcc, s33, v0
	s_and_saveexec_b64 s[0:1], vcc
	s_cbranch_execnz .LBB160_181
; %bb.166:
	s_or_b64 exec, exec, s[0:1]
	v_cmp_gt_i32_e32 vcc, s33, v0
	s_and_saveexec_b64 s[0:1], vcc
	s_cbranch_execnz .LBB160_182
.LBB160_167:
	s_or_b64 exec, exec, s[0:1]
	v_cmp_gt_i32_e32 vcc, s33, v0
	s_and_saveexec_b64 s[0:1], vcc
	s_cbranch_execnz .LBB160_183
.LBB160_168:
	s_or_b64 exec, exec, s[0:1]
	v_cmp_gt_i32_e32 vcc, s33, v0
	s_and_saveexec_b64 s[0:1], vcc
	s_cbranch_execnz .LBB160_184
.LBB160_169:
	s_or_b64 exec, exec, s[0:1]
	v_cmp_gt_i32_e32 vcc, s33, v0
	s_and_saveexec_b64 s[0:1], vcc
	s_cbranch_execnz .LBB160_185
.LBB160_170:
	s_or_b64 exec, exec, s[0:1]
	v_cmp_gt_i32_e32 vcc, s33, v0
	s_and_saveexec_b64 s[0:1], vcc
	s_cbranch_execnz .LBB160_186
.LBB160_171:
	s_or_b64 exec, exec, s[0:1]
	v_cmp_gt_i32_e32 vcc, s33, v0
	s_and_saveexec_b64 s[0:1], vcc
	s_cbranch_execnz .LBB160_187
.LBB160_172:
	s_or_b64 exec, exec, s[0:1]
	v_cmp_gt_i32_e32 vcc, s33, v0
	s_and_saveexec_b64 s[0:1], vcc
	s_cbranch_execnz .LBB160_188
.LBB160_173:
	s_or_b64 exec, exec, s[0:1]
	v_cmp_gt_i32_e32 vcc, s33, v0
	s_and_saveexec_b64 s[0:1], vcc
	s_cbranch_execnz .LBB160_189
.LBB160_174:
	s_or_b64 exec, exec, s[0:1]
	v_cmp_gt_i32_e32 vcc, s33, v0
	s_and_saveexec_b64 s[0:1], vcc
	s_cbranch_execnz .LBB160_190
.LBB160_175:
	s_or_b64 exec, exec, s[0:1]
	v_cmp_gt_i32_e32 vcc, s33, v0
	s_and_saveexec_b64 s[0:1], vcc
	s_cbranch_execnz .LBB160_191
.LBB160_176:
	s_or_b64 exec, exec, s[0:1]
	v_cmp_gt_i32_e32 vcc, s33, v0
	s_and_saveexec_b64 s[0:1], vcc
	s_cbranch_execnz .LBB160_192
.LBB160_177:
	s_or_b64 exec, exec, s[0:1]
	v_cmp_gt_i32_e32 vcc, s33, v0
	s_and_saveexec_b64 s[0:1], vcc
	s_cbranch_execnz .LBB160_193
.LBB160_178:
	s_or_b64 exec, exec, s[0:1]
	v_cmp_gt_i32_e32 vcc, s33, v0
	s_and_saveexec_b64 s[0:1], vcc
	s_cbranch_execnz .LBB160_194
.LBB160_179:
	s_or_b64 exec, exec, s[0:1]
	v_cmp_gt_i32_e32 vcc, s33, v0
	s_and_saveexec_b64 s[0:1], vcc
	s_cbranch_execz .LBB160_195
.LBB160_180:
	v_add_u32_e32 v0, s6, v0
	global_store_byte v0, v5, s[8:9]
	s_endpgm
.LBB160_181:
	v_add_u32_e32 v1, s6, v0
	v_add_u32_e32 v0, 0x100, v0
	global_store_byte v1, v18, s[8:9]
	s_or_b64 exec, exec, s[0:1]
	v_cmp_gt_i32_e32 vcc, s33, v0
	s_and_saveexec_b64 s[0:1], vcc
	s_cbranch_execz .LBB160_167
.LBB160_182:
	v_add_u32_e32 v1, s6, v0
	v_add_u32_e32 v0, 0x100, v0
	global_store_byte v1, v2, s[8:9]
	s_or_b64 exec, exec, s[0:1]
	v_cmp_gt_i32_e32 vcc, s33, v0
	s_and_saveexec_b64 s[0:1], vcc
	s_cbranch_execz .LBB160_168
.LBB160_183:
	v_add_u32_e32 v1, s6, v0
	v_add_u32_e32 v0, 0x100, v0
	global_store_byte v1, v15, s[8:9]
	s_or_b64 exec, exec, s[0:1]
	v_cmp_gt_i32_e32 vcc, s33, v0
	s_and_saveexec_b64 s[0:1], vcc
	s_cbranch_execz .LBB160_169
.LBB160_184:
	v_add_u32_e32 v1, s6, v0
	v_add_u32_e32 v0, 0x100, v0
	global_store_byte v1, v19, s[8:9]
	s_or_b64 exec, exec, s[0:1]
	v_cmp_gt_i32_e32 vcc, s33, v0
	s_and_saveexec_b64 s[0:1], vcc
	s_cbranch_execz .LBB160_170
.LBB160_185:
	v_add_u32_e32 v1, s6, v0
	v_add_u32_e32 v0, 0x100, v0
	global_store_byte v1, v30, s[8:9]
	s_or_b64 exec, exec, s[0:1]
	v_cmp_gt_i32_e32 vcc, s33, v0
	s_and_saveexec_b64 s[0:1], vcc
	s_cbranch_execz .LBB160_171
.LBB160_186:
	v_add_u32_e32 v1, s6, v0
	v_add_u32_e32 v0, 0x100, v0
	global_store_byte v1, v14, s[8:9]
	s_or_b64 exec, exec, s[0:1]
	v_cmp_gt_i32_e32 vcc, s33, v0
	s_and_saveexec_b64 s[0:1], vcc
	s_cbranch_execz .LBB160_172
.LBB160_187:
	v_add_u32_e32 v1, s6, v0
	v_add_u32_e32 v0, 0x100, v0
	global_store_byte v1, v13, s[8:9]
	s_or_b64 exec, exec, s[0:1]
	v_cmp_gt_i32_e32 vcc, s33, v0
	s_and_saveexec_b64 s[0:1], vcc
	s_cbranch_execz .LBB160_173
.LBB160_188:
	v_add_u32_e32 v1, s6, v0
	v_add_u32_e32 v0, 0x100, v0
	global_store_byte v1, v12, s[8:9]
	s_or_b64 exec, exec, s[0:1]
	v_cmp_gt_i32_e32 vcc, s33, v0
	s_and_saveexec_b64 s[0:1], vcc
	s_cbranch_execz .LBB160_174
.LBB160_189:
	v_add_u32_e32 v1, s6, v0
	v_add_u32_e32 v0, 0x100, v0
	global_store_byte v1, v11, s[8:9]
	s_or_b64 exec, exec, s[0:1]
	v_cmp_gt_i32_e32 vcc, s33, v0
	s_and_saveexec_b64 s[0:1], vcc
	s_cbranch_execz .LBB160_175
.LBB160_190:
	v_add_u32_e32 v1, s6, v0
	v_add_u32_e32 v0, 0x100, v0
	global_store_byte v1, v10, s[8:9]
	s_or_b64 exec, exec, s[0:1]
	v_cmp_gt_i32_e32 vcc, s33, v0
	s_and_saveexec_b64 s[0:1], vcc
	s_cbranch_execz .LBB160_176
.LBB160_191:
	v_add_u32_e32 v1, s6, v0
	v_add_u32_e32 v0, 0x100, v0
	global_store_byte v1, v9, s[8:9]
	s_or_b64 exec, exec, s[0:1]
	v_cmp_gt_i32_e32 vcc, s33, v0
	s_and_saveexec_b64 s[0:1], vcc
	s_cbranch_execz .LBB160_177
.LBB160_192:
	v_add_u32_e32 v1, s6, v0
	v_add_u32_e32 v0, 0x100, v0
	global_store_byte v1, v8, s[8:9]
	s_or_b64 exec, exec, s[0:1]
	v_cmp_gt_i32_e32 vcc, s33, v0
	s_and_saveexec_b64 s[0:1], vcc
	s_cbranch_execz .LBB160_178
.LBB160_193:
	v_add_u32_e32 v1, s6, v0
	v_add_u32_e32 v0, 0x100, v0
	global_store_byte v1, v7, s[8:9]
	s_or_b64 exec, exec, s[0:1]
	v_cmp_gt_i32_e32 vcc, s33, v0
	s_and_saveexec_b64 s[0:1], vcc
	s_cbranch_execz .LBB160_179
.LBB160_194:
	v_add_u32_e32 v1, s6, v0
	v_add_u32_e32 v0, 0x100, v0
	global_store_byte v1, v6, s[8:9]
	s_or_b64 exec, exec, s[0:1]
	v_cmp_gt_i32_e32 vcc, s33, v0
	s_and_saveexec_b64 s[0:1], vcc
	s_cbranch_execnz .LBB160_180
.LBB160_195:
	s_endpgm
.LBB160_196:
                                        ; implicit-def: $sgpr4_sgpr5
	s_branch .LBB160_3
.LBB160_197:
                                        ; implicit-def: $sgpr16_sgpr17
	s_branch .LBB160_6
.LBB160_198:
                                        ; implicit-def: $sgpr18_sgpr19
	s_branch .LBB160_9
.LBB160_199:
                                        ; implicit-def: $sgpr20_sgpr21
	s_branch .LBB160_12
.LBB160_200:
                                        ; implicit-def: $sgpr22_sgpr23
	s_branch .LBB160_15
.LBB160_201:
                                        ; implicit-def: $sgpr24_sgpr25
	s_branch .LBB160_18
.LBB160_202:
                                        ; implicit-def: $sgpr26_sgpr27
	s_branch .LBB160_21
.LBB160_203:
                                        ; implicit-def: $sgpr28_sgpr29
	s_branch .LBB160_24
.LBB160_204:
                                        ; implicit-def: $sgpr30_sgpr31
	s_branch .LBB160_27
.LBB160_205:
                                        ; implicit-def: $sgpr34_sgpr35
	s_branch .LBB160_30
.LBB160_206:
                                        ; implicit-def: $sgpr36_sgpr37
	s_branch .LBB160_33
.LBB160_207:
                                        ; implicit-def: $sgpr38_sgpr39
	s_branch .LBB160_36
.LBB160_208:
                                        ; implicit-def: $sgpr40_sgpr41
	s_branch .LBB160_39
.LBB160_209:
                                        ; implicit-def: $sgpr42_sgpr43
	s_branch .LBB160_42
.LBB160_210:
                                        ; implicit-def: $sgpr44_sgpr45
	s_branch .LBB160_45
.LBB160_211:
                                        ; implicit-def: $sgpr2_sgpr3
	s_branch .LBB160_48
.LBB160_212:
                                        ; implicit-def: $sgpr12_sgpr13
	s_branch .LBB160_86
.LBB160_213:
                                        ; implicit-def: $sgpr12_sgpr13
	s_branch .LBB160_91
.LBB160_214:
                                        ; implicit-def: $sgpr12_sgpr13
	s_branch .LBB160_96
.LBB160_215:
                                        ; implicit-def: $sgpr12_sgpr13
	s_branch .LBB160_101
.LBB160_216:
                                        ; implicit-def: $sgpr12_sgpr13
	s_branch .LBB160_106
.LBB160_217:
                                        ; implicit-def: $sgpr12_sgpr13
	s_branch .LBB160_111
.LBB160_218:
                                        ; implicit-def: $sgpr12_sgpr13
	s_branch .LBB160_116
.LBB160_219:
                                        ; implicit-def: $sgpr12_sgpr13
	s_branch .LBB160_121
.LBB160_220:
                                        ; implicit-def: $sgpr12_sgpr13
	s_branch .LBB160_126
.LBB160_221:
                                        ; implicit-def: $sgpr12_sgpr13
	s_branch .LBB160_131
.LBB160_222:
                                        ; implicit-def: $sgpr12_sgpr13
	s_branch .LBB160_136
.LBB160_223:
                                        ; implicit-def: $sgpr12_sgpr13
	s_branch .LBB160_141
.LBB160_224:
                                        ; implicit-def: $sgpr12_sgpr13
	s_branch .LBB160_146
.LBB160_225:
                                        ; implicit-def: $sgpr12_sgpr13
	s_branch .LBB160_151
.LBB160_226:
                                        ; implicit-def: $sgpr12_sgpr13
	s_branch .LBB160_156
.LBB160_227:
                                        ; implicit-def: $sgpr10_sgpr11
	s_branch .LBB160_161
	.section	.rodata,"a",@progbits
	.p2align	6, 0x0
	.amdhsa_kernel _ZN2at6native29vectorized_elementwise_kernelILi16ENS0_13BinaryFunctorIN3c107complexINS3_8BFloat16EEES6_bNS0_12_GLOBAL__N_116CompareEqFunctorIS6_EEEESt5arrayIPcLm3EEEEviT0_T1_
		.amdhsa_group_segment_fixed_size 0
		.amdhsa_private_segment_fixed_size 0
		.amdhsa_kernarg_size 32
		.amdhsa_user_sgpr_count 6
		.amdhsa_user_sgpr_private_segment_buffer 1
		.amdhsa_user_sgpr_dispatch_ptr 0
		.amdhsa_user_sgpr_queue_ptr 0
		.amdhsa_user_sgpr_kernarg_segment_ptr 1
		.amdhsa_user_sgpr_dispatch_id 0
		.amdhsa_user_sgpr_flat_scratch_init 0
		.amdhsa_user_sgpr_private_segment_size 0
		.amdhsa_uses_dynamic_stack 0
		.amdhsa_system_sgpr_private_segment_wavefront_offset 0
		.amdhsa_system_sgpr_workgroup_id_x 1
		.amdhsa_system_sgpr_workgroup_id_y 0
		.amdhsa_system_sgpr_workgroup_id_z 0
		.amdhsa_system_sgpr_workgroup_info 0
		.amdhsa_system_vgpr_workitem_id 0
		.amdhsa_next_free_vgpr 38
		.amdhsa_next_free_sgpr 46
		.amdhsa_reserve_vcc 1
		.amdhsa_reserve_flat_scratch 0
		.amdhsa_float_round_mode_32 0
		.amdhsa_float_round_mode_16_64 0
		.amdhsa_float_denorm_mode_32 3
		.amdhsa_float_denorm_mode_16_64 3
		.amdhsa_dx10_clamp 1
		.amdhsa_ieee_mode 1
		.amdhsa_fp16_overflow 0
		.amdhsa_exception_fp_ieee_invalid_op 0
		.amdhsa_exception_fp_denorm_src 0
		.amdhsa_exception_fp_ieee_div_zero 0
		.amdhsa_exception_fp_ieee_overflow 0
		.amdhsa_exception_fp_ieee_underflow 0
		.amdhsa_exception_fp_ieee_inexact 0
		.amdhsa_exception_int_div_zero 0
	.end_amdhsa_kernel
	.section	.text._ZN2at6native29vectorized_elementwise_kernelILi16ENS0_13BinaryFunctorIN3c107complexINS3_8BFloat16EEES6_bNS0_12_GLOBAL__N_116CompareEqFunctorIS6_EEEESt5arrayIPcLm3EEEEviT0_T1_,"axG",@progbits,_ZN2at6native29vectorized_elementwise_kernelILi16ENS0_13BinaryFunctorIN3c107complexINS3_8BFloat16EEES6_bNS0_12_GLOBAL__N_116CompareEqFunctorIS6_EEEESt5arrayIPcLm3EEEEviT0_T1_,comdat
.Lfunc_end160:
	.size	_ZN2at6native29vectorized_elementwise_kernelILi16ENS0_13BinaryFunctorIN3c107complexINS3_8BFloat16EEES6_bNS0_12_GLOBAL__N_116CompareEqFunctorIS6_EEEESt5arrayIPcLm3EEEEviT0_T1_, .Lfunc_end160-_ZN2at6native29vectorized_elementwise_kernelILi16ENS0_13BinaryFunctorIN3c107complexINS3_8BFloat16EEES6_bNS0_12_GLOBAL__N_116CompareEqFunctorIS6_EEEESt5arrayIPcLm3EEEEviT0_T1_
                                        ; -- End function
	.set _ZN2at6native29vectorized_elementwise_kernelILi16ENS0_13BinaryFunctorIN3c107complexINS3_8BFloat16EEES6_bNS0_12_GLOBAL__N_116CompareEqFunctorIS6_EEEESt5arrayIPcLm3EEEEviT0_T1_.num_vgpr, 38
	.set _ZN2at6native29vectorized_elementwise_kernelILi16ENS0_13BinaryFunctorIN3c107complexINS3_8BFloat16EEES6_bNS0_12_GLOBAL__N_116CompareEqFunctorIS6_EEEESt5arrayIPcLm3EEEEviT0_T1_.num_agpr, 0
	.set _ZN2at6native29vectorized_elementwise_kernelILi16ENS0_13BinaryFunctorIN3c107complexINS3_8BFloat16EEES6_bNS0_12_GLOBAL__N_116CompareEqFunctorIS6_EEEESt5arrayIPcLm3EEEEviT0_T1_.numbered_sgpr, 46
	.set _ZN2at6native29vectorized_elementwise_kernelILi16ENS0_13BinaryFunctorIN3c107complexINS3_8BFloat16EEES6_bNS0_12_GLOBAL__N_116CompareEqFunctorIS6_EEEESt5arrayIPcLm3EEEEviT0_T1_.num_named_barrier, 0
	.set _ZN2at6native29vectorized_elementwise_kernelILi16ENS0_13BinaryFunctorIN3c107complexINS3_8BFloat16EEES6_bNS0_12_GLOBAL__N_116CompareEqFunctorIS6_EEEESt5arrayIPcLm3EEEEviT0_T1_.private_seg_size, 0
	.set _ZN2at6native29vectorized_elementwise_kernelILi16ENS0_13BinaryFunctorIN3c107complexINS3_8BFloat16EEES6_bNS0_12_GLOBAL__N_116CompareEqFunctorIS6_EEEESt5arrayIPcLm3EEEEviT0_T1_.uses_vcc, 1
	.set _ZN2at6native29vectorized_elementwise_kernelILi16ENS0_13BinaryFunctorIN3c107complexINS3_8BFloat16EEES6_bNS0_12_GLOBAL__N_116CompareEqFunctorIS6_EEEESt5arrayIPcLm3EEEEviT0_T1_.uses_flat_scratch, 0
	.set _ZN2at6native29vectorized_elementwise_kernelILi16ENS0_13BinaryFunctorIN3c107complexINS3_8BFloat16EEES6_bNS0_12_GLOBAL__N_116CompareEqFunctorIS6_EEEESt5arrayIPcLm3EEEEviT0_T1_.has_dyn_sized_stack, 0
	.set _ZN2at6native29vectorized_elementwise_kernelILi16ENS0_13BinaryFunctorIN3c107complexINS3_8BFloat16EEES6_bNS0_12_GLOBAL__N_116CompareEqFunctorIS6_EEEESt5arrayIPcLm3EEEEviT0_T1_.has_recursion, 0
	.set _ZN2at6native29vectorized_elementwise_kernelILi16ENS0_13BinaryFunctorIN3c107complexINS3_8BFloat16EEES6_bNS0_12_GLOBAL__N_116CompareEqFunctorIS6_EEEESt5arrayIPcLm3EEEEviT0_T1_.has_indirect_call, 0
	.section	.AMDGPU.csdata,"",@progbits
; Kernel info:
; codeLenInByte = 7212
; TotalNumSgprs: 50
; NumVgprs: 38
; ScratchSize: 0
; MemoryBound: 1
; FloatMode: 240
; IeeeMode: 1
; LDSByteSize: 0 bytes/workgroup (compile time only)
; SGPRBlocks: 6
; VGPRBlocks: 9
; NumSGPRsForWavesPerEU: 50
; NumVGPRsForWavesPerEU: 38
; Occupancy: 6
; WaveLimiterHint : 0
; COMPUTE_PGM_RSRC2:SCRATCH_EN: 0
; COMPUTE_PGM_RSRC2:USER_SGPR: 6
; COMPUTE_PGM_RSRC2:TRAP_HANDLER: 0
; COMPUTE_PGM_RSRC2:TGID_X_EN: 1
; COMPUTE_PGM_RSRC2:TGID_Y_EN: 0
; COMPUTE_PGM_RSRC2:TGID_Z_EN: 0
; COMPUTE_PGM_RSRC2:TIDIG_COMP_CNT: 0
	.section	.text._ZN2at6native29vectorized_elementwise_kernelILi8ENS0_13BinaryFunctorIN3c107complexINS3_8BFloat16EEES6_bNS0_12_GLOBAL__N_116CompareEqFunctorIS6_EEEESt5arrayIPcLm3EEEEviT0_T1_,"axG",@progbits,_ZN2at6native29vectorized_elementwise_kernelILi8ENS0_13BinaryFunctorIN3c107complexINS3_8BFloat16EEES6_bNS0_12_GLOBAL__N_116CompareEqFunctorIS6_EEEESt5arrayIPcLm3EEEEviT0_T1_,comdat
	.globl	_ZN2at6native29vectorized_elementwise_kernelILi8ENS0_13BinaryFunctorIN3c107complexINS3_8BFloat16EEES6_bNS0_12_GLOBAL__N_116CompareEqFunctorIS6_EEEESt5arrayIPcLm3EEEEviT0_T1_ ; -- Begin function _ZN2at6native29vectorized_elementwise_kernelILi8ENS0_13BinaryFunctorIN3c107complexINS3_8BFloat16EEES6_bNS0_12_GLOBAL__N_116CompareEqFunctorIS6_EEEESt5arrayIPcLm3EEEEviT0_T1_
	.p2align	8
	.type	_ZN2at6native29vectorized_elementwise_kernelILi8ENS0_13BinaryFunctorIN3c107complexINS3_8BFloat16EEES6_bNS0_12_GLOBAL__N_116CompareEqFunctorIS6_EEEESt5arrayIPcLm3EEEEviT0_T1_,@function
_ZN2at6native29vectorized_elementwise_kernelILi8ENS0_13BinaryFunctorIN3c107complexINS3_8BFloat16EEES6_bNS0_12_GLOBAL__N_116CompareEqFunctorIS6_EEEESt5arrayIPcLm3EEEEviT0_T1_: ; @_ZN2at6native29vectorized_elementwise_kernelILi8ENS0_13BinaryFunctorIN3c107complexINS3_8BFloat16EEES6_bNS0_12_GLOBAL__N_116CompareEqFunctorIS6_EEEESt5arrayIPcLm3EEEEviT0_T1_
; %bb.0:
	s_load_dwordx2 s[12:13], s[4:5], 0x0
	s_load_dwordx4 s[8:11], s[4:5], 0x8
	s_load_dwordx2 s[14:15], s[4:5], 0x18
	s_lshl_b32 s6, s6, 12
	s_mov_b64 s[0:1], -1
	s_waitcnt lgkmcnt(0)
	s_sub_i32 s33, s12, s6
	s_cmpk_gt_i32 s33, 0xfff
	s_cbranch_scc0 .LBB161_50
; %bb.1:
	s_ashr_i32 s7, s6, 31
	s_lshl_b64 s[2:3], s[6:7], 2
	s_add_u32 s0, s10, s2
	s_addc_u32 s1, s11, s3
	v_lshlrev_b32_e32 v13, 5, v0
	v_mov_b32_e32 v1, s1
	v_add_co_u32_e32 v2, vcc, s0, v13
	v_addc_co_u32_e32 v1, vcc, 0, v1, vcc
	v_add_co_u32_e32 v5, vcc, 0x2000, v2
	global_load_dwordx4 v[17:20], v13, s[0:1] offset:16
	global_load_dwordx4 v[25:28], v13, s[0:1]
	v_addc_co_u32_e64 v6, s[0:1], 0, v1, vcc
	s_add_u32 s0, s14, s2
	v_addc_co_u32_e32 v8, vcc, 0, v1, vcc
	v_mov_b32_e32 v7, v5
	s_addc_u32 s1, s15, s3
	global_load_dwordx4 v[9:12], v[7:8], off
	global_load_dwordx4 v[1:4], v[5:6], off offset:16
	v_mov_b32_e32 v5, s1
	v_add_co_u32_e32 v6, vcc, s0, v13
	v_addc_co_u32_e32 v5, vcc, 0, v5, vcc
	v_add_co_u32_e32 v33, vcc, 0x2000, v6
	global_load_dwordx4 v[21:24], v13, s[0:1] offset:16
	global_load_dwordx4 v[29:32], v13, s[0:1]
	v_addc_co_u32_e64 v34, s[0:1], 0, v5, vcc
	v_addc_co_u32_e32 v36, vcc, 0, v5, vcc
	v_mov_b32_e32 v35, v33
	global_load_dwordx4 v[13:16], v[35:36], off
	global_load_dwordx4 v[5:8], v[33:34], off offset:16
	s_cmp_lg_u32 s13, 0
	s_cselect_b64 s[2:3], -1, 0
	s_and_b64 vcc, exec, s[2:3]
	s_waitcnt vmcnt(6)
	v_lshlrev_b32_e32 v33, 16, v25
	s_waitcnt vmcnt(2)
	v_lshlrev_b32_e32 v34, 16, v29
	s_cbranch_vccz .LBB161_196
; %bb.2:
	v_and_b32_e32 v35, 0xffff0000, v25
	v_and_b32_e32 v36, 0xffff0000, v29
	v_cmp_neq_f32_e32 vcc, v33, v34
	v_cmp_neq_f32_e64 s[0:1], v35, v36
	s_or_b64 s[4:5], vcc, s[0:1]
	s_cbranch_execnz .LBB161_4
.LBB161_3:
	v_and_b32_e32 v29, 0xffff0000, v29
	v_and_b32_e32 v25, 0xffff0000, v25
	v_cmp_eq_f32_e32 vcc, v33, v34
	v_cmp_eq_f32_e64 s[0:1], v25, v29
	s_and_b64 s[0:1], vcc, s[0:1]
	s_andn2_b64 s[4:5], s[4:5], exec
	s_and_b64 s[0:1], s[0:1], exec
	s_or_b64 s[4:5], s[4:5], s[0:1]
.LBB161_4:
	v_cndmask_b32_e64 v25, 0, 1, s[2:3]
	v_cmp_ne_u32_e64 s[0:1], 1, v25
	s_andn2_b64 vcc, exec, s[2:3]
	v_lshlrev_b32_e32 v25, 16, v26
	v_lshlrev_b32_e32 v29, 16, v30
	s_cbranch_vccnz .LBB161_197
; %bb.5:
	v_and_b32_e32 v33, 0xffff0000, v26
	v_and_b32_e32 v34, 0xffff0000, v30
	v_cmp_neq_f32_e32 vcc, v25, v29
	v_cmp_neq_f32_e64 s[2:3], v33, v34
	s_or_b64 s[16:17], vcc, s[2:3]
	s_cbranch_execnz .LBB161_7
.LBB161_6:
	v_and_b32_e32 v30, 0xffff0000, v30
	v_and_b32_e32 v26, 0xffff0000, v26
	v_cmp_eq_f32_e32 vcc, v25, v29
	v_cmp_eq_f32_e64 s[2:3], v26, v30
	s_and_b64 s[2:3], vcc, s[2:3]
	s_andn2_b64 s[16:17], s[16:17], exec
	s_and_b64 s[2:3], s[2:3], exec
	s_or_b64 s[16:17], s[16:17], s[2:3]
.LBB161_7:
	s_and_b64 vcc, exec, s[0:1]
	v_lshlrev_b32_e32 v25, 16, v27
	v_lshlrev_b32_e32 v26, 16, v31
	s_cbranch_vccnz .LBB161_198
; %bb.8:
	v_and_b32_e32 v29, 0xffff0000, v27
	v_and_b32_e32 v30, 0xffff0000, v31
	v_cmp_neq_f32_e32 vcc, v25, v26
	v_cmp_neq_f32_e64 s[2:3], v29, v30
	s_or_b64 s[18:19], vcc, s[2:3]
	s_cbranch_execnz .LBB161_10
.LBB161_9:
	v_and_b32_e32 v29, 0xffff0000, v31
	v_and_b32_e32 v27, 0xffff0000, v27
	v_cmp_eq_f32_e32 vcc, v25, v26
	v_cmp_eq_f32_e64 s[2:3], v27, v29
	s_and_b64 s[2:3], vcc, s[2:3]
	s_andn2_b64 s[18:19], s[18:19], exec
	s_and_b64 s[2:3], s[2:3], exec
	s_or_b64 s[18:19], s[18:19], s[2:3]
.LBB161_10:
	s_and_b64 vcc, exec, s[0:1]
	v_lshlrev_b32_e32 v25, 16, v28
	v_lshlrev_b32_e32 v26, 16, v32
	s_cbranch_vccnz .LBB161_199
; %bb.11:
	v_and_b32_e32 v27, 0xffff0000, v28
	v_and_b32_e32 v29, 0xffff0000, v32
	v_cmp_neq_f32_e32 vcc, v25, v26
	v_cmp_neq_f32_e64 s[2:3], v27, v29
	s_or_b64 s[20:21], vcc, s[2:3]
	s_cbranch_execnz .LBB161_13
.LBB161_12:
	v_and_b32_e32 v27, 0xffff0000, v32
	v_and_b32_e32 v28, 0xffff0000, v28
	v_cmp_eq_f32_e32 vcc, v25, v26
	v_cmp_eq_f32_e64 s[2:3], v28, v27
	s_and_b64 s[2:3], vcc, s[2:3]
	s_andn2_b64 s[20:21], s[20:21], exec
	s_and_b64 s[2:3], s[2:3], exec
	s_or_b64 s[20:21], s[20:21], s[2:3]
.LBB161_13:
	s_and_b64 vcc, exec, s[0:1]
	v_lshlrev_b32_e32 v25, 16, v17
	v_lshlrev_b32_e32 v26, 16, v21
	s_cbranch_vccnz .LBB161_200
; %bb.14:
	v_and_b32_e32 v27, 0xffff0000, v17
	v_and_b32_e32 v28, 0xffff0000, v21
	v_cmp_neq_f32_e32 vcc, v25, v26
	v_cmp_neq_f32_e64 s[2:3], v27, v28
	s_or_b64 s[22:23], vcc, s[2:3]
	s_cbranch_execnz .LBB161_16
.LBB161_15:
	v_and_b32_e32 v21, 0xffff0000, v21
	v_and_b32_e32 v17, 0xffff0000, v17
	v_cmp_eq_f32_e32 vcc, v25, v26
	v_cmp_eq_f32_e64 s[2:3], v17, v21
	s_and_b64 s[2:3], vcc, s[2:3]
	s_andn2_b64 s[22:23], s[22:23], exec
	s_and_b64 s[2:3], s[2:3], exec
	s_or_b64 s[22:23], s[22:23], s[2:3]
.LBB161_16:
	s_and_b64 vcc, exec, s[0:1]
	v_lshlrev_b32_e32 v17, 16, v18
	v_lshlrev_b32_e32 v21, 16, v22
	s_cbranch_vccnz .LBB161_201
; %bb.17:
	v_and_b32_e32 v25, 0xffff0000, v18
	v_and_b32_e32 v26, 0xffff0000, v22
	v_cmp_neq_f32_e32 vcc, v17, v21
	v_cmp_neq_f32_e64 s[2:3], v25, v26
	s_or_b64 s[24:25], vcc, s[2:3]
	s_cbranch_execnz .LBB161_19
.LBB161_18:
	v_and_b32_e32 v22, 0xffff0000, v22
	v_and_b32_e32 v18, 0xffff0000, v18
	v_cmp_eq_f32_e32 vcc, v17, v21
	v_cmp_eq_f32_e64 s[2:3], v18, v22
	s_and_b64 s[2:3], vcc, s[2:3]
	s_andn2_b64 s[24:25], s[24:25], exec
	s_and_b64 s[2:3], s[2:3], exec
	s_or_b64 s[24:25], s[24:25], s[2:3]
.LBB161_19:
	s_and_b64 vcc, exec, s[0:1]
	v_lshlrev_b32_e32 v17, 16, v19
	v_lshlrev_b32_e32 v18, 16, v23
	s_cbranch_vccnz .LBB161_202
; %bb.20:
	v_and_b32_e32 v21, 0xffff0000, v19
	v_and_b32_e32 v22, 0xffff0000, v23
	v_cmp_neq_f32_e32 vcc, v17, v18
	v_cmp_neq_f32_e64 s[2:3], v21, v22
	s_or_b64 s[26:27], vcc, s[2:3]
	s_cbranch_execnz .LBB161_22
.LBB161_21:
	v_and_b32_e32 v21, 0xffff0000, v23
	v_and_b32_e32 v19, 0xffff0000, v19
	v_cmp_eq_f32_e32 vcc, v17, v18
	v_cmp_eq_f32_e64 s[2:3], v19, v21
	s_and_b64 s[2:3], vcc, s[2:3]
	s_andn2_b64 s[26:27], s[26:27], exec
	s_and_b64 s[2:3], s[2:3], exec
	s_or_b64 s[26:27], s[26:27], s[2:3]
.LBB161_22:
	s_and_b64 vcc, exec, s[0:1]
	v_lshlrev_b32_e32 v17, 16, v20
	v_lshlrev_b32_e32 v18, 16, v24
	s_cbranch_vccnz .LBB161_203
; %bb.23:
	v_and_b32_e32 v19, 0xffff0000, v20
	v_and_b32_e32 v21, 0xffff0000, v24
	v_cmp_neq_f32_e32 vcc, v17, v18
	v_cmp_neq_f32_e64 s[2:3], v19, v21
	s_or_b64 s[28:29], vcc, s[2:3]
	s_cbranch_execnz .LBB161_25
.LBB161_24:
	v_and_b32_e32 v19, 0xffff0000, v24
	v_and_b32_e32 v20, 0xffff0000, v20
	v_cmp_eq_f32_e32 vcc, v17, v18
	v_cmp_eq_f32_e64 s[2:3], v20, v19
	s_and_b64 s[2:3], vcc, s[2:3]
	s_andn2_b64 s[28:29], s[28:29], exec
	s_and_b64 s[2:3], s[2:3], exec
	s_or_b64 s[28:29], s[28:29], s[2:3]
.LBB161_25:
	s_and_b64 vcc, exec, s[0:1]
	v_lshlrev_b32_e32 v17, 16, v9
	s_waitcnt vmcnt(1)
	v_lshlrev_b32_e32 v18, 16, v13
	s_cbranch_vccnz .LBB161_204
; %bb.26:
	v_and_b32_e32 v19, 0xffff0000, v9
	v_and_b32_e32 v20, 0xffff0000, v13
	v_cmp_neq_f32_e32 vcc, v17, v18
	v_cmp_neq_f32_e64 s[2:3], v19, v20
	s_or_b64 s[30:31], vcc, s[2:3]
	s_cbranch_execnz .LBB161_28
.LBB161_27:
	v_and_b32_e32 v13, 0xffff0000, v13
	v_and_b32_e32 v9, 0xffff0000, v9
	v_cmp_eq_f32_e32 vcc, v17, v18
	v_cmp_eq_f32_e64 s[2:3], v9, v13
	s_and_b64 s[2:3], vcc, s[2:3]
	s_andn2_b64 s[30:31], s[30:31], exec
	s_and_b64 s[2:3], s[2:3], exec
	s_or_b64 s[30:31], s[30:31], s[2:3]
.LBB161_28:
	s_and_b64 vcc, exec, s[0:1]
	v_lshlrev_b32_e32 v9, 16, v10
	v_lshlrev_b32_e32 v13, 16, v14
	s_cbranch_vccnz .LBB161_205
; %bb.29:
	v_and_b32_e32 v17, 0xffff0000, v10
	v_and_b32_e32 v18, 0xffff0000, v14
	v_cmp_neq_f32_e32 vcc, v9, v13
	v_cmp_neq_f32_e64 s[2:3], v17, v18
	s_or_b64 s[34:35], vcc, s[2:3]
	s_cbranch_execnz .LBB161_31
.LBB161_30:
	v_and_b32_e32 v14, 0xffff0000, v14
	v_and_b32_e32 v10, 0xffff0000, v10
	v_cmp_eq_f32_e32 vcc, v9, v13
	v_cmp_eq_f32_e64 s[2:3], v10, v14
	s_and_b64 s[2:3], vcc, s[2:3]
	s_andn2_b64 s[34:35], s[34:35], exec
	s_and_b64 s[2:3], s[2:3], exec
	s_or_b64 s[34:35], s[34:35], s[2:3]
.LBB161_31:
	s_and_b64 vcc, exec, s[0:1]
	v_lshlrev_b32_e32 v9, 16, v11
	v_lshlrev_b32_e32 v10, 16, v15
	s_cbranch_vccnz .LBB161_206
; %bb.32:
	v_and_b32_e32 v13, 0xffff0000, v11
	v_and_b32_e32 v14, 0xffff0000, v15
	v_cmp_neq_f32_e32 vcc, v9, v10
	v_cmp_neq_f32_e64 s[2:3], v13, v14
	s_or_b64 s[36:37], vcc, s[2:3]
	s_cbranch_execnz .LBB161_34
.LBB161_33:
	v_and_b32_e32 v13, 0xffff0000, v15
	v_and_b32_e32 v11, 0xffff0000, v11
	v_cmp_eq_f32_e32 vcc, v9, v10
	v_cmp_eq_f32_e64 s[2:3], v11, v13
	s_and_b64 s[2:3], vcc, s[2:3]
	s_andn2_b64 s[36:37], s[36:37], exec
	s_and_b64 s[2:3], s[2:3], exec
	s_or_b64 s[36:37], s[36:37], s[2:3]
.LBB161_34:
	s_and_b64 vcc, exec, s[0:1]
	v_lshlrev_b32_e32 v9, 16, v12
	v_lshlrev_b32_e32 v10, 16, v16
	s_cbranch_vccnz .LBB161_207
; %bb.35:
	v_and_b32_e32 v11, 0xffff0000, v12
	v_and_b32_e32 v13, 0xffff0000, v16
	v_cmp_neq_f32_e32 vcc, v9, v10
	v_cmp_neq_f32_e64 s[2:3], v11, v13
	s_or_b64 s[38:39], vcc, s[2:3]
	s_cbranch_execnz .LBB161_37
.LBB161_36:
	v_and_b32_e32 v11, 0xffff0000, v16
	v_and_b32_e32 v12, 0xffff0000, v12
	v_cmp_eq_f32_e32 vcc, v9, v10
	v_cmp_eq_f32_e64 s[2:3], v12, v11
	s_and_b64 s[2:3], vcc, s[2:3]
	s_andn2_b64 s[38:39], s[38:39], exec
	s_and_b64 s[2:3], s[2:3], exec
	s_or_b64 s[38:39], s[38:39], s[2:3]
.LBB161_37:
	s_and_b64 vcc, exec, s[0:1]
	v_lshlrev_b32_e32 v9, 16, v1
	s_waitcnt vmcnt(0)
	v_lshlrev_b32_e32 v10, 16, v5
	s_cbranch_vccnz .LBB161_208
; %bb.38:
	v_and_b32_e32 v11, 0xffff0000, v1
	v_and_b32_e32 v12, 0xffff0000, v5
	v_cmp_neq_f32_e32 vcc, v9, v10
	v_cmp_neq_f32_e64 s[2:3], v11, v12
	s_or_b64 s[40:41], vcc, s[2:3]
	s_cbranch_execnz .LBB161_40
.LBB161_39:
	v_and_b32_e32 v5, 0xffff0000, v5
	v_and_b32_e32 v1, 0xffff0000, v1
	v_cmp_eq_f32_e32 vcc, v9, v10
	v_cmp_eq_f32_e64 s[2:3], v1, v5
	s_and_b64 s[2:3], vcc, s[2:3]
	s_andn2_b64 s[40:41], s[40:41], exec
	s_and_b64 s[2:3], s[2:3], exec
	s_or_b64 s[40:41], s[40:41], s[2:3]
.LBB161_40:
	s_and_b64 vcc, exec, s[0:1]
	v_lshlrev_b32_e32 v1, 16, v2
	v_lshlrev_b32_e32 v5, 16, v6
	s_cbranch_vccnz .LBB161_209
; %bb.41:
	v_and_b32_e32 v9, 0xffff0000, v2
	v_and_b32_e32 v10, 0xffff0000, v6
	v_cmp_neq_f32_e32 vcc, v1, v5
	v_cmp_neq_f32_e64 s[2:3], v9, v10
	s_or_b64 s[42:43], vcc, s[2:3]
	s_cbranch_execnz .LBB161_43
.LBB161_42:
	v_and_b32_e32 v6, 0xffff0000, v6
	v_and_b32_e32 v2, 0xffff0000, v2
	v_cmp_eq_f32_e32 vcc, v1, v5
	v_cmp_eq_f32_e64 s[2:3], v2, v6
	s_and_b64 s[2:3], vcc, s[2:3]
	s_andn2_b64 s[42:43], s[42:43], exec
	s_and_b64 s[2:3], s[2:3], exec
	s_or_b64 s[42:43], s[42:43], s[2:3]
.LBB161_43:
	s_and_b64 vcc, exec, s[0:1]
	v_lshlrev_b32_e32 v1, 16, v3
	v_lshlrev_b32_e32 v2, 16, v7
	s_cbranch_vccnz .LBB161_210
; %bb.44:
	v_and_b32_e32 v5, 0xffff0000, v3
	v_and_b32_e32 v6, 0xffff0000, v7
	v_cmp_neq_f32_e32 vcc, v1, v2
	v_cmp_neq_f32_e64 s[2:3], v5, v6
	s_or_b64 s[44:45], vcc, s[2:3]
	s_cbranch_execnz .LBB161_46
.LBB161_45:
	v_and_b32_e32 v5, 0xffff0000, v7
	v_and_b32_e32 v3, 0xffff0000, v3
	v_cmp_eq_f32_e32 vcc, v1, v2
	v_cmp_eq_f32_e64 s[2:3], v3, v5
	s_and_b64 s[2:3], vcc, s[2:3]
	s_andn2_b64 s[44:45], s[44:45], exec
	s_and_b64 s[2:3], s[2:3], exec
	s_or_b64 s[44:45], s[44:45], s[2:3]
.LBB161_46:
	s_and_b64 vcc, exec, s[0:1]
	v_lshlrev_b32_e32 v1, 16, v4
	v_lshlrev_b32_e32 v2, 16, v8
	s_cbranch_vccnz .LBB161_211
; %bb.47:
	v_and_b32_e32 v3, 0xffff0000, v4
	v_and_b32_e32 v5, 0xffff0000, v8
	v_cmp_neq_f32_e32 vcc, v1, v2
	v_cmp_neq_f32_e64 s[0:1], v3, v5
	s_or_b64 s[2:3], vcc, s[0:1]
	s_cbranch_execnz .LBB161_49
.LBB161_48:
	v_and_b32_e32 v3, 0xffff0000, v8
	v_and_b32_e32 v4, 0xffff0000, v4
	v_cmp_eq_f32_e32 vcc, v1, v2
	v_cmp_eq_f32_e64 s[0:1], v4, v3
	s_and_b64 s[0:1], vcc, s[0:1]
	s_andn2_b64 s[2:3], s[2:3], exec
	s_and_b64 s[0:1], s[0:1], exec
	s_or_b64 s[2:3], s[2:3], s[0:1]
.LBB161_49:
	v_mov_b32_e32 v1, 0x100
	v_cndmask_b32_e64 v2, 0, v1, s[34:35]
	v_cndmask_b32_e64 v3, 0, 1, s[30:31]
	v_or_b32_e32 v2, v2, v3
	v_mov_b32_e32 v3, 0x10000
	v_mov_b32_e32 v5, 0x1000000
	v_cndmask_b32_e64 v4, 0, v3, s[36:37]
	v_cndmask_b32_e64 v6, 0, v5, s[38:39]
	v_or3_b32 v7, 0, 0, 0
	v_or3_b32 v2, v2, v4, v6
	v_cndmask_b32_e64 v4, 0, 1, s[40:41]
	v_cndmask_b32_e64 v6, 0, v1, s[42:43]
	v_or3_b32 v4, v7, v4, v6
	v_or3_b32 v6, v2, 0, 0
	v_cndmask_b32_e64 v2, 0, v1, s[16:17]
	v_cndmask_b32_e64 v9, 0, 1, s[4:5]
	v_or_b32_e32 v2, v2, v9
	v_cndmask_b32_e64 v9, 0, v3, s[18:19]
	v_cndmask_b32_e64 v10, 0, v5, s[20:21]
	v_or3_b32 v2, v2, v9, v10
	v_cndmask_b32_e64 v9, 0, 1, s[22:23]
	v_cndmask_b32_e64 v1, 0, v1, s[24:25]
	v_cndmask_b32_e64 v8, 0, v3, s[44:45]
	v_or3_b32 v1, v7, v9, v1
	v_or3_b32 v7, v2, 0, 0
	v_cndmask_b32_e64 v2, 0, v3, s[26:27]
	v_cndmask_b32_e64 v3, 0, v5, s[28:29]
	s_add_u32 s0, s8, s6
	v_or3_b32 v2, v1, v2, v3
	v_or3_b32 v1, v7, 0, 0
	v_cndmask_b32_e64 v3, 0, v5, s[2:3]
	s_addc_u32 s1, s9, s7
	v_lshlrev_b32_e32 v5, 3, v0
	v_or3_b32 v4, v4, v8, v3
	v_or3_b32 v3, v6, 0, 0
	global_store_dwordx2 v5, v[1:2], s[0:1]
	global_store_dwordx2 v5, v[3:4], s[0:1] offset:2048
	s_mov_b64 s[0:1], 0
.LBB161_50:
	s_and_b64 vcc, exec, s[0:1]
	s_cbranch_vccz .LBB161_195
; %bb.51:
	v_cmp_gt_i32_e64 s[0:1], s33, v0
	v_mov_b32_e32 v3, 0
	v_or_b32_e32 v1, s6, v0
	v_mov_b32_e32 v20, 0
	v_mov_b32_e32 v21, 0
	v_mov_b32_e32 v22, 0
	v_mov_b32_e32 v23, 0
	v_mov_b32_e32 v24, 0
	v_mov_b32_e32 v25, 0
	v_mov_b32_e32 v26, 0
	v_mov_b32_e32 v27, 0
	v_mov_b32_e32 v28, 0
	v_mov_b32_e32 v29, 0
	v_mov_b32_e32 v30, 0
	v_mov_b32_e32 v31, 0
	v_mov_b32_e32 v33, 0
	v_mov_b32_e32 v32, 0
	v_mov_b32_e32 v34, 0
	v_mov_b32_e32 v35, 0
	v_mov_b32_e32 v2, 0
	v_mov_b32_e32 v36, 0
	v_mov_b32_e32 v37, 0
	v_mov_b32_e32 v4, 0
	v_mov_b32_e32 v5, 0
	v_mov_b32_e32 v6, 0
	v_mov_b32_e32 v7, 0
	v_mov_b32_e32 v8, 0
	v_mov_b32_e32 v9, 0
	v_mov_b32_e32 v10, 0
	v_mov_b32_e32 v11, 0
	v_mov_b32_e32 v12, 0
	v_mov_b32_e32 v13, 0
	v_mov_b32_e32 v14, 0
	v_mov_b32_e32 v15, 0
	s_and_saveexec_b64 s[2:3], s[0:1]
	s_cbranch_execz .LBB161_83
; %bb.52:
	v_mov_b32_e32 v2, 0
	v_lshlrev_b64 v[3:4], 2, v[1:2]
	v_mov_b32_e32 v6, s11
	v_add_co_u32_e32 v5, vcc, s10, v3
	v_addc_co_u32_e32 v6, vcc, v6, v4, vcc
	global_load_dword v36, v[5:6], off
	v_mov_b32_e32 v5, s15
	v_add_co_u32_e32 v3, vcc, s14, v3
	v_addc_co_u32_e32 v4, vcc, v5, v4, vcc
	global_load_dword v37, v[3:4], off
	v_or_b32_e32 v3, 0x100, v0
	v_cmp_gt_u32_e32 vcc, s33, v3
	v_mov_b32_e32 v35, v2
	v_mov_b32_e32 v15, v2
	;; [unrolled: 1-line block ×29, first 2 shown]
	s_and_saveexec_b64 s[4:5], vcc
	s_cbranch_execz .LBB161_82
; %bb.53:
	v_add_u32_e32 v14, s6, v0
	v_mov_b32_e32 v15, 0
	v_lshlrev_b64 v[2:3], 2, v[14:15]
	v_mov_b32_e32 v4, s11
	v_add_co_u32_e32 v16, vcc, s10, v2
	v_addc_co_u32_e32 v17, vcc, v4, v3, vcc
	v_mov_b32_e32 v4, s15
	v_add_co_u32_e32 v18, vcc, s14, v2
	v_addc_co_u32_e32 v19, vcc, v4, v3, vcc
	global_load_dword v35, v[16:17], off offset:1024
	global_load_dword v2, v[18:19], off offset:1024
	v_or_b32_e32 v3, 0x200, v0
	v_cmp_gt_u32_e32 vcc, s33, v3
	v_mov_b32_e32 v34, v15
	v_mov_b32_e32 v32, v15
	;; [unrolled: 1-line block ×27, first 2 shown]
	s_and_saveexec_b64 s[16:17], vcc
	s_cbranch_execz .LBB161_81
; %bb.54:
	global_load_dword v34, v[16:17], off offset:2048
	global_load_dword v15, v[18:19], off offset:2048
	v_or_b32_e32 v3, 0x300, v0
	v_cmp_gt_u32_e32 vcc, s33, v3
	v_mov_b32_e32 v32, 0
	v_mov_b32_e32 v33, 0
	;; [unrolled: 1-line block ×26, first 2 shown]
	s_and_saveexec_b64 s[18:19], vcc
	s_cbranch_execz .LBB161_80
; %bb.55:
	global_load_dword v33, v[16:17], off offset:3072
	global_load_dword v32, v[18:19], off offset:3072
	v_or_b32_e32 v16, 0x400, v0
	v_cmp_gt_u32_e32 vcc, s33, v16
	v_mov_b32_e32 v31, 0
	v_mov_b32_e32 v30, 0
	;; [unrolled: 1-line block ×24, first 2 shown]
	s_and_saveexec_b64 s[20:21], vcc
	s_cbranch_execz .LBB161_79
; %bb.56:
	v_or_b32_e32 v13, s6, v16
	v_mov_b32_e32 v14, 0
	v_lshlrev_b64 v[3:4], 2, v[13:14]
	v_mov_b32_e32 v6, s11
	v_add_co_u32_e32 v5, vcc, s10, v3
	v_addc_co_u32_e32 v6, vcc, v6, v4, vcc
	global_load_dword v30, v[5:6], off
	v_mov_b32_e32 v5, s15
	v_add_co_u32_e32 v3, vcc, s14, v3
	v_addc_co_u32_e32 v4, vcc, v5, v4, vcc
	global_load_dword v31, v[3:4], off
	v_or_b32_e32 v16, 0x500, v0
	v_cmp_gt_u32_e32 vcc, s33, v16
	v_mov_b32_e32 v29, v14
	v_mov_b32_e32 v13, v14
	;; [unrolled: 1-line block ×21, first 2 shown]
	s_and_saveexec_b64 s[22:23], vcc
	s_cbranch_execz .LBB161_78
; %bb.57:
	v_or_b32_e32 v12, s6, v16
	v_mov_b32_e32 v13, 0
	v_lshlrev_b64 v[3:4], 2, v[12:13]
	v_mov_b32_e32 v6, s11
	v_add_co_u32_e32 v5, vcc, s10, v3
	v_addc_co_u32_e32 v6, vcc, v6, v4, vcc
	global_load_dword v29, v[5:6], off
	v_mov_b32_e32 v5, s15
	v_add_co_u32_e32 v3, vcc, s14, v3
	v_addc_co_u32_e32 v4, vcc, v5, v4, vcc
	global_load_dword v14, v[3:4], off
	v_or_b32_e32 v16, 0x600, v0
	v_cmp_gt_u32_e32 vcc, s33, v16
	v_mov_b32_e32 v28, v13
	v_mov_b32_e32 v12, v13
	;; [unrolled: 1-line block ×19, first 2 shown]
	s_and_saveexec_b64 s[24:25], vcc
	s_cbranch_execz .LBB161_77
; %bb.58:
	v_or_b32_e32 v11, s6, v16
	v_mov_b32_e32 v12, 0
	v_lshlrev_b64 v[3:4], 2, v[11:12]
	v_mov_b32_e32 v6, s11
	v_add_co_u32_e32 v5, vcc, s10, v3
	v_addc_co_u32_e32 v6, vcc, v6, v4, vcc
	global_load_dword v28, v[5:6], off
	v_mov_b32_e32 v5, s15
	v_add_co_u32_e32 v3, vcc, s14, v3
	v_addc_co_u32_e32 v4, vcc, v5, v4, vcc
	global_load_dword v13, v[3:4], off
	v_or_b32_e32 v16, 0x700, v0
	v_cmp_gt_u32_e32 vcc, s33, v16
	v_mov_b32_e32 v27, v12
	v_mov_b32_e32 v11, v12
	;; [unrolled: 1-line block ×17, first 2 shown]
	s_and_saveexec_b64 s[26:27], vcc
	s_cbranch_execz .LBB161_76
; %bb.59:
	v_or_b32_e32 v10, s6, v16
	v_mov_b32_e32 v11, 0
	v_lshlrev_b64 v[3:4], 2, v[10:11]
	v_mov_b32_e32 v6, s11
	v_add_co_u32_e32 v5, vcc, s10, v3
	v_addc_co_u32_e32 v6, vcc, v6, v4, vcc
	global_load_dword v27, v[5:6], off
	v_mov_b32_e32 v5, s15
	v_add_co_u32_e32 v3, vcc, s14, v3
	v_addc_co_u32_e32 v4, vcc, v5, v4, vcc
	global_load_dword v12, v[3:4], off
	v_or_b32_e32 v16, 0x800, v0
	v_cmp_gt_u32_e32 vcc, s33, v16
	v_mov_b32_e32 v26, v11
	v_mov_b32_e32 v10, v11
	;; [unrolled: 1-line block ×15, first 2 shown]
	s_and_saveexec_b64 s[28:29], vcc
	s_cbranch_execz .LBB161_75
; %bb.60:
	v_or_b32_e32 v9, s6, v16
	v_mov_b32_e32 v10, 0
	v_lshlrev_b64 v[3:4], 2, v[9:10]
	v_mov_b32_e32 v6, s11
	v_add_co_u32_e32 v5, vcc, s10, v3
	v_addc_co_u32_e32 v6, vcc, v6, v4, vcc
	global_load_dword v26, v[5:6], off
	v_mov_b32_e32 v5, s15
	v_add_co_u32_e32 v3, vcc, s14, v3
	v_addc_co_u32_e32 v4, vcc, v5, v4, vcc
	global_load_dword v11, v[3:4], off
	v_or_b32_e32 v16, 0x900, v0
	v_cmp_gt_u32_e32 vcc, s33, v16
	v_mov_b32_e32 v25, v10
	v_mov_b32_e32 v9, v10
	;; [unrolled: 1-line block ×13, first 2 shown]
	s_and_saveexec_b64 s[30:31], vcc
	s_cbranch_execz .LBB161_74
; %bb.61:
	v_or_b32_e32 v8, s6, v16
	v_mov_b32_e32 v9, 0
	v_lshlrev_b64 v[3:4], 2, v[8:9]
	v_mov_b32_e32 v6, s11
	v_add_co_u32_e32 v5, vcc, s10, v3
	v_addc_co_u32_e32 v6, vcc, v6, v4, vcc
	global_load_dword v25, v[5:6], off
	v_mov_b32_e32 v5, s15
	v_add_co_u32_e32 v3, vcc, s14, v3
	v_addc_co_u32_e32 v4, vcc, v5, v4, vcc
	global_load_dword v10, v[3:4], off
	v_or_b32_e32 v16, 0xa00, v0
	v_cmp_gt_u32_e32 vcc, s33, v16
	v_mov_b32_e32 v24, v9
	v_mov_b32_e32 v8, v9
	;; [unrolled: 1-line block ×11, first 2 shown]
	s_and_saveexec_b64 s[34:35], vcc
	s_cbranch_execz .LBB161_73
; %bb.62:
	v_or_b32_e32 v7, s6, v16
	v_mov_b32_e32 v8, 0
	v_lshlrev_b64 v[3:4], 2, v[7:8]
	v_mov_b32_e32 v6, s11
	v_add_co_u32_e32 v5, vcc, s10, v3
	v_addc_co_u32_e32 v6, vcc, v6, v4, vcc
	global_load_dword v24, v[5:6], off
	v_mov_b32_e32 v5, s15
	v_add_co_u32_e32 v3, vcc, s14, v3
	v_addc_co_u32_e32 v4, vcc, v5, v4, vcc
	global_load_dword v9, v[3:4], off
	v_or_b32_e32 v16, 0xb00, v0
	v_cmp_gt_u32_e32 vcc, s33, v16
	v_mov_b32_e32 v23, v8
	v_mov_b32_e32 v7, v8
	;; [unrolled: 1-line block ×9, first 2 shown]
	s_and_saveexec_b64 s[36:37], vcc
	s_cbranch_execz .LBB161_72
; %bb.63:
	v_or_b32_e32 v6, s6, v16
	v_mov_b32_e32 v7, 0
	v_lshlrev_b64 v[3:4], 2, v[6:7]
	v_mov_b32_e32 v6, s11
	v_add_co_u32_e32 v5, vcc, s10, v3
	v_addc_co_u32_e32 v6, vcc, v6, v4, vcc
	global_load_dword v23, v[5:6], off
	v_mov_b32_e32 v5, s15
	v_add_co_u32_e32 v3, vcc, s14, v3
	v_addc_co_u32_e32 v4, vcc, v5, v4, vcc
	global_load_dword v8, v[3:4], off
	v_or_b32_e32 v16, 0xc00, v0
	v_cmp_gt_u32_e32 vcc, s33, v16
	v_mov_b32_e32 v22, v7
	v_mov_b32_e32 v6, v7
	;; [unrolled: 1-line block ×7, first 2 shown]
	s_and_saveexec_b64 s[38:39], vcc
	s_cbranch_execz .LBB161_71
; %bb.64:
	v_or_b32_e32 v5, s6, v16
	v_mov_b32_e32 v6, 0
	v_lshlrev_b64 v[3:4], 2, v[5:6]
	v_mov_b32_e32 v5, s11
	v_add_co_u32_e32 v16, vcc, s10, v3
	v_addc_co_u32_e32 v17, vcc, v5, v4, vcc
	v_mov_b32_e32 v5, s15
	v_add_co_u32_e32 v3, vcc, s14, v3
	v_addc_co_u32_e32 v4, vcc, v5, v4, vcc
	global_load_dword v22, v[16:17], off
	global_load_dword v7, v[3:4], off
	v_or_b32_e32 v16, 0xd00, v0
	v_cmp_gt_u32_e32 vcc, s33, v16
	v_mov_b32_e32 v21, v6
	v_mov_b32_e32 v5, v6
	;; [unrolled: 1-line block ×5, first 2 shown]
	s_and_saveexec_b64 s[40:41], vcc
	s_cbranch_execz .LBB161_70
; %bb.65:
	v_add_u32_e32 v4, s6, v16
	v_mov_b32_e32 v5, 0
	v_lshlrev_b64 v[3:4], 2, v[4:5]
	v_mov_b32_e32 v6, s11
	v_add_co_u32_e32 v16, vcc, s10, v3
	v_addc_co_u32_e32 v17, vcc, v6, v4, vcc
	v_mov_b32_e32 v6, s15
	v_add_co_u32_e32 v3, vcc, s14, v3
	v_addc_co_u32_e32 v4, vcc, v6, v4, vcc
	global_load_dword v21, v[16:17], off
	global_load_dword v6, v[3:4], off
	v_or_b32_e32 v16, 0xe00, v0
	v_cmp_gt_u32_e32 vcc, s33, v16
	v_mov_b32_e32 v20, v5
	v_mov_b32_e32 v4, v5
	v_mov_b32_e32 v3, v5
	s_and_saveexec_b64 s[42:43], vcc
	s_cbranch_execz .LBB161_69
; %bb.66:
	v_add_u32_e32 v3, s6, v16
	v_mov_b32_e32 v4, 0
	v_lshlrev_b64 v[16:17], 2, v[3:4]
	v_mov_b32_e32 v3, s11
	v_add_co_u32_e32 v18, vcc, s10, v16
	v_addc_co_u32_e32 v19, vcc, v3, v17, vcc
	v_mov_b32_e32 v3, s15
	v_add_co_u32_e32 v16, vcc, s14, v16
	v_addc_co_u32_e32 v17, vcc, v3, v17, vcc
	global_load_dword v20, v[18:19], off
	global_load_dword v5, v[16:17], off
	v_or_b32_e32 v16, 0xf00, v0
	v_cmp_gt_u32_e32 vcc, s33, v16
	v_mov_b32_e32 v3, v4
	s_and_saveexec_b64 s[44:45], vcc
	s_cbranch_execz .LBB161_68
; %bb.67:
	v_add_u32_e32 v3, s6, v16
	v_mov_b32_e32 v4, 0
	v_lshlrev_b64 v[3:4], 2, v[3:4]
	v_mov_b32_e32 v17, s15
	v_add_co_u32_e32 v16, vcc, s14, v3
	v_addc_co_u32_e32 v17, vcc, v17, v4, vcc
	v_mov_b32_e32 v19, s11
	v_add_co_u32_e32 v18, vcc, s10, v3
	v_addc_co_u32_e32 v19, vcc, v19, v4, vcc
	global_load_dword v3, v[18:19], off
	global_load_dword v4, v[16:17], off
.LBB161_68:
	s_or_b64 exec, exec, s[44:45]
.LBB161_69:
	s_or_b64 exec, exec, s[42:43]
.LBB161_70:
	s_or_b64 exec, exec, s[40:41]
.LBB161_71:
	s_or_b64 exec, exec, s[38:39]
.LBB161_72:
	s_or_b64 exec, exec, s[36:37]
.LBB161_73:
	s_or_b64 exec, exec, s[34:35]
.LBB161_74:
	s_or_b64 exec, exec, s[30:31]
.LBB161_75:
	s_or_b64 exec, exec, s[28:29]
.LBB161_76:
	s_or_b64 exec, exec, s[26:27]
.LBB161_77:
	s_or_b64 exec, exec, s[24:25]
.LBB161_78:
	s_or_b64 exec, exec, s[22:23]
.LBB161_79:
	s_or_b64 exec, exec, s[20:21]
.LBB161_80:
	s_or_b64 exec, exec, s[18:19]
.LBB161_81:
	s_or_b64 exec, exec, s[16:17]
.LBB161_82:
	s_or_b64 exec, exec, s[4:5]
.LBB161_83:
	s_or_b64 exec, exec, s[2:3]
	s_cmp_lg_u32 s13, 0
	s_cselect_b64 s[4:5], -1, 0
                                        ; implicit-def: $vgpr16
	s_and_saveexec_b64 s[10:11], s[0:1]
	s_cbranch_execz .LBB161_88
; %bb.84:
	s_and_b64 vcc, exec, s[4:5]
	s_waitcnt vmcnt(1)
	v_lshlrev_b32_e32 v16, 16, v36
	s_waitcnt vmcnt(0)
	v_lshlrev_b32_e32 v17, 16, v37
	s_cbranch_vccz .LBB161_212
; %bb.85:
	v_and_b32_e32 v18, 0xffff0000, v36
	v_and_b32_e32 v19, 0xffff0000, v37
	v_cmp_neq_f32_e32 vcc, v16, v17
	v_cmp_neq_f32_e64 s[2:3], v18, v19
	s_or_b64 s[12:13], vcc, s[2:3]
	s_cbranch_execnz .LBB161_87
.LBB161_86:
	v_and_b32_e32 v18, 0xffff0000, v37
	v_and_b32_e32 v19, 0xffff0000, v36
	v_cmp_eq_f32_e32 vcc, v16, v17
	v_cmp_eq_f32_e64 s[2:3], v19, v18
	s_and_b64 s[2:3], vcc, s[2:3]
	s_andn2_b64 s[12:13], s[12:13], exec
	s_and_b64 s[2:3], s[2:3], exec
	s_or_b64 s[12:13], s[12:13], s[2:3]
.LBB161_87:
	v_cndmask_b32_e64 v16, 0, 1, s[12:13]
.LBB161_88:
	s_or_b64 exec, exec, s[10:11]
	v_or_b32_e32 v17, 0x100, v0
	v_cndmask_b32_e64 v18, 0, 1, s[4:5]
	v_cmp_gt_i32_e32 vcc, s33, v17
	v_cmp_ne_u32_e64 s[2:3], 1, v18
                                        ; implicit-def: $vgpr18
	s_and_saveexec_b64 s[10:11], vcc
	s_cbranch_execz .LBB161_93
; %bb.89:
	s_and_b64 vcc, exec, s[2:3]
	s_waitcnt vmcnt(1)
	v_lshlrev_b32_e32 v18, 16, v35
	s_waitcnt vmcnt(0)
	v_lshlrev_b32_e32 v19, 16, v2
	s_cbranch_vccnz .LBB161_213
; %bb.90:
	v_and_b32_e32 v36, 0xffff0000, v35
	v_and_b32_e32 v37, 0xffff0000, v2
	v_cmp_neq_f32_e32 vcc, v18, v19
	v_cmp_neq_f32_e64 s[4:5], v36, v37
	s_or_b64 s[12:13], vcc, s[4:5]
	s_cbranch_execnz .LBB161_92
.LBB161_91:
	v_and_b32_e32 v2, 0xffff0000, v2
	v_and_b32_e32 v35, 0xffff0000, v35
	v_cmp_eq_f32_e32 vcc, v18, v19
	v_cmp_eq_f32_e64 s[4:5], v35, v2
	s_and_b64 s[4:5], vcc, s[4:5]
	s_andn2_b64 s[12:13], s[12:13], exec
	s_and_b64 s[4:5], s[4:5], exec
	s_or_b64 s[12:13], s[12:13], s[4:5]
.LBB161_92:
	v_cndmask_b32_e64 v18, 0, 1, s[12:13]
.LBB161_93:
	s_or_b64 exec, exec, s[10:11]
	s_waitcnt vmcnt(0)
	v_or_b32_e32 v2, 0x200, v0
	v_cmp_gt_i32_e32 vcc, s33, v2
                                        ; implicit-def: $vgpr2
	s_and_saveexec_b64 s[10:11], vcc
	s_cbranch_execz .LBB161_98
; %bb.94:
	s_and_b64 vcc, exec, s[2:3]
	v_lshlrev_b32_e32 v2, 16, v34
	v_lshlrev_b32_e32 v19, 16, v15
	s_cbranch_vccnz .LBB161_214
; %bb.95:
	v_and_b32_e32 v35, 0xffff0000, v34
	v_and_b32_e32 v36, 0xffff0000, v15
	v_cmp_neq_f32_e32 vcc, v2, v19
	v_cmp_neq_f32_e64 s[4:5], v35, v36
	s_or_b64 s[12:13], vcc, s[4:5]
	s_cbranch_execnz .LBB161_97
.LBB161_96:
	v_and_b32_e32 v15, 0xffff0000, v15
	v_and_b32_e32 v34, 0xffff0000, v34
	v_cmp_eq_f32_e32 vcc, v2, v19
	v_cmp_eq_f32_e64 s[4:5], v34, v15
	s_and_b64 s[4:5], vcc, s[4:5]
	s_andn2_b64 s[12:13], s[12:13], exec
	s_and_b64 s[4:5], s[4:5], exec
	s_or_b64 s[12:13], s[12:13], s[4:5]
.LBB161_97:
	v_cndmask_b32_e64 v2, 0, 1, s[12:13]
.LBB161_98:
	s_or_b64 exec, exec, s[10:11]
	v_or_b32_e32 v15, 0x300, v0
	v_cmp_gt_i32_e32 vcc, s33, v15
                                        ; implicit-def: $vgpr15
	s_and_saveexec_b64 s[10:11], vcc
	s_cbranch_execz .LBB161_103
; %bb.99:
	s_and_b64 vcc, exec, s[2:3]
	v_lshlrev_b32_e32 v15, 16, v33
	v_lshlrev_b32_e32 v19, 16, v32
	s_cbranch_vccnz .LBB161_215
; %bb.100:
	v_and_b32_e32 v34, 0xffff0000, v33
	v_and_b32_e32 v35, 0xffff0000, v32
	v_cmp_neq_f32_e32 vcc, v15, v19
	v_cmp_neq_f32_e64 s[4:5], v34, v35
	s_or_b64 s[12:13], vcc, s[4:5]
	s_cbranch_execnz .LBB161_102
.LBB161_101:
	v_and_b32_e32 v32, 0xffff0000, v32
	v_and_b32_e32 v33, 0xffff0000, v33
	v_cmp_eq_f32_e32 vcc, v15, v19
	v_cmp_eq_f32_e64 s[4:5], v33, v32
	s_and_b64 s[4:5], vcc, s[4:5]
	s_andn2_b64 s[12:13], s[12:13], exec
	s_and_b64 s[4:5], s[4:5], exec
	s_or_b64 s[12:13], s[12:13], s[4:5]
.LBB161_102:
	v_cndmask_b32_e64 v15, 0, 1, s[12:13]
.LBB161_103:
	s_or_b64 exec, exec, s[10:11]
	v_or_b32_e32 v19, 0x400, v0
	v_cmp_gt_i32_e32 vcc, s33, v19
                                        ; implicit-def: $vgpr19
	s_and_saveexec_b64 s[10:11], vcc
	s_cbranch_execz .LBB161_108
; %bb.104:
	s_and_b64 vcc, exec, s[2:3]
	v_lshlrev_b32_e32 v19, 16, v30
	v_lshlrev_b32_e32 v32, 16, v31
	s_cbranch_vccnz .LBB161_216
; %bb.105:
	v_and_b32_e32 v33, 0xffff0000, v30
	v_and_b32_e32 v34, 0xffff0000, v31
	v_cmp_neq_f32_e32 vcc, v19, v32
	v_cmp_neq_f32_e64 s[4:5], v33, v34
	s_or_b64 s[12:13], vcc, s[4:5]
	s_cbranch_execnz .LBB161_107
.LBB161_106:
	v_and_b32_e32 v31, 0xffff0000, v31
	v_and_b32_e32 v30, 0xffff0000, v30
	v_cmp_eq_f32_e32 vcc, v19, v32
	v_cmp_eq_f32_e64 s[4:5], v30, v31
	s_and_b64 s[4:5], vcc, s[4:5]
	s_andn2_b64 s[12:13], s[12:13], exec
	s_and_b64 s[4:5], s[4:5], exec
	s_or_b64 s[12:13], s[12:13], s[4:5]
.LBB161_107:
	v_cndmask_b32_e64 v19, 0, 1, s[12:13]
.LBB161_108:
	s_or_b64 exec, exec, s[10:11]
	v_or_b32_e32 v30, 0x500, v0
	v_cmp_gt_i32_e32 vcc, s33, v30
                                        ; implicit-def: $vgpr30
	s_and_saveexec_b64 s[10:11], vcc
	s_cbranch_execz .LBB161_113
; %bb.109:
	s_and_b64 vcc, exec, s[2:3]
	v_lshlrev_b32_e32 v30, 16, v29
	v_lshlrev_b32_e32 v31, 16, v14
	s_cbranch_vccnz .LBB161_217
; %bb.110:
	v_and_b32_e32 v32, 0xffff0000, v29
	v_and_b32_e32 v33, 0xffff0000, v14
	v_cmp_neq_f32_e32 vcc, v30, v31
	v_cmp_neq_f32_e64 s[4:5], v32, v33
	s_or_b64 s[12:13], vcc, s[4:5]
	s_cbranch_execnz .LBB161_112
.LBB161_111:
	v_and_b32_e32 v14, 0xffff0000, v14
	v_and_b32_e32 v29, 0xffff0000, v29
	v_cmp_eq_f32_e32 vcc, v30, v31
	v_cmp_eq_f32_e64 s[4:5], v29, v14
	s_and_b64 s[4:5], vcc, s[4:5]
	s_andn2_b64 s[12:13], s[12:13], exec
	s_and_b64 s[4:5], s[4:5], exec
	s_or_b64 s[12:13], s[12:13], s[4:5]
.LBB161_112:
	v_cndmask_b32_e64 v30, 0, 1, s[12:13]
.LBB161_113:
	s_or_b64 exec, exec, s[10:11]
	v_or_b32_e32 v14, 0x600, v0
	v_cmp_gt_i32_e32 vcc, s33, v14
                                        ; implicit-def: $vgpr14
	s_and_saveexec_b64 s[10:11], vcc
	s_cbranch_execz .LBB161_118
; %bb.114:
	s_and_b64 vcc, exec, s[2:3]
	v_lshlrev_b32_e32 v14, 16, v28
	v_lshlrev_b32_e32 v29, 16, v13
	s_cbranch_vccnz .LBB161_218
; %bb.115:
	v_and_b32_e32 v31, 0xffff0000, v28
	v_and_b32_e32 v32, 0xffff0000, v13
	v_cmp_neq_f32_e32 vcc, v14, v29
	v_cmp_neq_f32_e64 s[4:5], v31, v32
	s_or_b64 s[12:13], vcc, s[4:5]
	s_cbranch_execnz .LBB161_117
.LBB161_116:
	v_and_b32_e32 v13, 0xffff0000, v13
	v_and_b32_e32 v28, 0xffff0000, v28
	v_cmp_eq_f32_e32 vcc, v14, v29
	v_cmp_eq_f32_e64 s[4:5], v28, v13
	s_and_b64 s[4:5], vcc, s[4:5]
	s_andn2_b64 s[12:13], s[12:13], exec
	s_and_b64 s[4:5], s[4:5], exec
	s_or_b64 s[12:13], s[12:13], s[4:5]
.LBB161_117:
	v_cndmask_b32_e64 v14, 0, 1, s[12:13]
.LBB161_118:
	s_or_b64 exec, exec, s[10:11]
	v_or_b32_e32 v13, 0x700, v0
	v_cmp_gt_i32_e32 vcc, s33, v13
                                        ; implicit-def: $vgpr13
	s_and_saveexec_b64 s[10:11], vcc
	s_cbranch_execz .LBB161_123
; %bb.119:
	s_and_b64 vcc, exec, s[2:3]
	v_lshlrev_b32_e32 v13, 16, v27
	v_lshlrev_b32_e32 v28, 16, v12
	s_cbranch_vccnz .LBB161_219
; %bb.120:
	v_and_b32_e32 v29, 0xffff0000, v27
	v_and_b32_e32 v31, 0xffff0000, v12
	v_cmp_neq_f32_e32 vcc, v13, v28
	v_cmp_neq_f32_e64 s[4:5], v29, v31
	s_or_b64 s[12:13], vcc, s[4:5]
	s_cbranch_execnz .LBB161_122
.LBB161_121:
	v_and_b32_e32 v12, 0xffff0000, v12
	v_and_b32_e32 v27, 0xffff0000, v27
	v_cmp_eq_f32_e32 vcc, v13, v28
	v_cmp_eq_f32_e64 s[4:5], v27, v12
	s_and_b64 s[4:5], vcc, s[4:5]
	s_andn2_b64 s[12:13], s[12:13], exec
	s_and_b64 s[4:5], s[4:5], exec
	s_or_b64 s[12:13], s[12:13], s[4:5]
.LBB161_122:
	v_cndmask_b32_e64 v13, 0, 1, s[12:13]
.LBB161_123:
	s_or_b64 exec, exec, s[10:11]
	v_or_b32_e32 v12, 0x800, v0
	v_cmp_gt_i32_e32 vcc, s33, v12
                                        ; implicit-def: $vgpr12
	s_and_saveexec_b64 s[10:11], vcc
	s_cbranch_execz .LBB161_128
; %bb.124:
	s_and_b64 vcc, exec, s[2:3]
	v_lshlrev_b32_e32 v12, 16, v26
	v_lshlrev_b32_e32 v27, 16, v11
	s_cbranch_vccnz .LBB161_220
; %bb.125:
	v_and_b32_e32 v28, 0xffff0000, v26
	v_and_b32_e32 v29, 0xffff0000, v11
	v_cmp_neq_f32_e32 vcc, v12, v27
	v_cmp_neq_f32_e64 s[4:5], v28, v29
	s_or_b64 s[12:13], vcc, s[4:5]
	s_cbranch_execnz .LBB161_127
.LBB161_126:
	v_and_b32_e32 v11, 0xffff0000, v11
	v_and_b32_e32 v26, 0xffff0000, v26
	v_cmp_eq_f32_e32 vcc, v12, v27
	v_cmp_eq_f32_e64 s[4:5], v26, v11
	s_and_b64 s[4:5], vcc, s[4:5]
	s_andn2_b64 s[12:13], s[12:13], exec
	s_and_b64 s[4:5], s[4:5], exec
	s_or_b64 s[12:13], s[12:13], s[4:5]
.LBB161_127:
	v_cndmask_b32_e64 v12, 0, 1, s[12:13]
.LBB161_128:
	s_or_b64 exec, exec, s[10:11]
	v_or_b32_e32 v11, 0x900, v0
	v_cmp_gt_i32_e32 vcc, s33, v11
                                        ; implicit-def: $vgpr11
	s_and_saveexec_b64 s[10:11], vcc
	s_cbranch_execz .LBB161_133
; %bb.129:
	s_and_b64 vcc, exec, s[2:3]
	v_lshlrev_b32_e32 v11, 16, v25
	v_lshlrev_b32_e32 v26, 16, v10
	s_cbranch_vccnz .LBB161_221
; %bb.130:
	v_and_b32_e32 v27, 0xffff0000, v25
	v_and_b32_e32 v28, 0xffff0000, v10
	v_cmp_neq_f32_e32 vcc, v11, v26
	v_cmp_neq_f32_e64 s[4:5], v27, v28
	s_or_b64 s[12:13], vcc, s[4:5]
	s_cbranch_execnz .LBB161_132
.LBB161_131:
	v_and_b32_e32 v10, 0xffff0000, v10
	v_and_b32_e32 v25, 0xffff0000, v25
	v_cmp_eq_f32_e32 vcc, v11, v26
	v_cmp_eq_f32_e64 s[4:5], v25, v10
	s_and_b64 s[4:5], vcc, s[4:5]
	s_andn2_b64 s[12:13], s[12:13], exec
	s_and_b64 s[4:5], s[4:5], exec
	s_or_b64 s[12:13], s[12:13], s[4:5]
.LBB161_132:
	v_cndmask_b32_e64 v11, 0, 1, s[12:13]
.LBB161_133:
	s_or_b64 exec, exec, s[10:11]
	v_or_b32_e32 v10, 0xa00, v0
	v_cmp_gt_i32_e32 vcc, s33, v10
                                        ; implicit-def: $vgpr10
	s_and_saveexec_b64 s[10:11], vcc
	s_cbranch_execz .LBB161_138
; %bb.134:
	s_and_b64 vcc, exec, s[2:3]
	v_lshlrev_b32_e32 v10, 16, v24
	v_lshlrev_b32_e32 v25, 16, v9
	s_cbranch_vccnz .LBB161_222
; %bb.135:
	v_and_b32_e32 v26, 0xffff0000, v24
	v_and_b32_e32 v27, 0xffff0000, v9
	v_cmp_neq_f32_e32 vcc, v10, v25
	v_cmp_neq_f32_e64 s[4:5], v26, v27
	s_or_b64 s[12:13], vcc, s[4:5]
	s_cbranch_execnz .LBB161_137
.LBB161_136:
	v_and_b32_e32 v9, 0xffff0000, v9
	v_and_b32_e32 v24, 0xffff0000, v24
	v_cmp_eq_f32_e32 vcc, v10, v25
	v_cmp_eq_f32_e64 s[4:5], v24, v9
	s_and_b64 s[4:5], vcc, s[4:5]
	s_andn2_b64 s[12:13], s[12:13], exec
	s_and_b64 s[4:5], s[4:5], exec
	s_or_b64 s[12:13], s[12:13], s[4:5]
.LBB161_137:
	v_cndmask_b32_e64 v10, 0, 1, s[12:13]
.LBB161_138:
	s_or_b64 exec, exec, s[10:11]
	v_or_b32_e32 v9, 0xb00, v0
	v_cmp_gt_i32_e32 vcc, s33, v9
                                        ; implicit-def: $vgpr9
	s_and_saveexec_b64 s[10:11], vcc
	s_cbranch_execz .LBB161_143
; %bb.139:
	s_and_b64 vcc, exec, s[2:3]
	v_lshlrev_b32_e32 v9, 16, v23
	v_lshlrev_b32_e32 v24, 16, v8
	s_cbranch_vccnz .LBB161_223
; %bb.140:
	v_and_b32_e32 v25, 0xffff0000, v23
	v_and_b32_e32 v26, 0xffff0000, v8
	v_cmp_neq_f32_e32 vcc, v9, v24
	v_cmp_neq_f32_e64 s[4:5], v25, v26
	s_or_b64 s[12:13], vcc, s[4:5]
	s_cbranch_execnz .LBB161_142
.LBB161_141:
	v_and_b32_e32 v8, 0xffff0000, v8
	v_and_b32_e32 v23, 0xffff0000, v23
	v_cmp_eq_f32_e32 vcc, v9, v24
	v_cmp_eq_f32_e64 s[4:5], v23, v8
	s_and_b64 s[4:5], vcc, s[4:5]
	s_andn2_b64 s[12:13], s[12:13], exec
	s_and_b64 s[4:5], s[4:5], exec
	s_or_b64 s[12:13], s[12:13], s[4:5]
.LBB161_142:
	v_cndmask_b32_e64 v9, 0, 1, s[12:13]
.LBB161_143:
	s_or_b64 exec, exec, s[10:11]
	v_or_b32_e32 v8, 0xc00, v0
	v_cmp_gt_i32_e32 vcc, s33, v8
                                        ; implicit-def: $vgpr8
	s_and_saveexec_b64 s[10:11], vcc
	s_cbranch_execz .LBB161_148
; %bb.144:
	s_and_b64 vcc, exec, s[2:3]
	v_lshlrev_b32_e32 v8, 16, v22
	v_lshlrev_b32_e32 v23, 16, v7
	s_cbranch_vccnz .LBB161_224
; %bb.145:
	v_and_b32_e32 v24, 0xffff0000, v22
	v_and_b32_e32 v25, 0xffff0000, v7
	v_cmp_neq_f32_e32 vcc, v8, v23
	v_cmp_neq_f32_e64 s[4:5], v24, v25
	s_or_b64 s[12:13], vcc, s[4:5]
	s_cbranch_execnz .LBB161_147
.LBB161_146:
	v_and_b32_e32 v7, 0xffff0000, v7
	v_and_b32_e32 v22, 0xffff0000, v22
	v_cmp_eq_f32_e32 vcc, v8, v23
	v_cmp_eq_f32_e64 s[4:5], v22, v7
	s_and_b64 s[4:5], vcc, s[4:5]
	s_andn2_b64 s[12:13], s[12:13], exec
	s_and_b64 s[4:5], s[4:5], exec
	s_or_b64 s[12:13], s[12:13], s[4:5]
.LBB161_147:
	v_cndmask_b32_e64 v8, 0, 1, s[12:13]
.LBB161_148:
	s_or_b64 exec, exec, s[10:11]
	v_or_b32_e32 v7, 0xd00, v0
	v_cmp_gt_i32_e32 vcc, s33, v7
                                        ; implicit-def: $vgpr7
	s_and_saveexec_b64 s[10:11], vcc
	s_cbranch_execz .LBB161_153
; %bb.149:
	s_and_b64 vcc, exec, s[2:3]
	v_lshlrev_b32_e32 v7, 16, v21
	v_lshlrev_b32_e32 v22, 16, v6
	s_cbranch_vccnz .LBB161_225
; %bb.150:
	v_and_b32_e32 v23, 0xffff0000, v21
	v_and_b32_e32 v24, 0xffff0000, v6
	v_cmp_neq_f32_e32 vcc, v7, v22
	v_cmp_neq_f32_e64 s[4:5], v23, v24
	s_or_b64 s[12:13], vcc, s[4:5]
	s_cbranch_execnz .LBB161_152
.LBB161_151:
	v_and_b32_e32 v6, 0xffff0000, v6
	v_and_b32_e32 v21, 0xffff0000, v21
	v_cmp_eq_f32_e32 vcc, v7, v22
	v_cmp_eq_f32_e64 s[4:5], v21, v6
	s_and_b64 s[4:5], vcc, s[4:5]
	s_andn2_b64 s[12:13], s[12:13], exec
	s_and_b64 s[4:5], s[4:5], exec
	s_or_b64 s[12:13], s[12:13], s[4:5]
.LBB161_152:
	v_cndmask_b32_e64 v7, 0, 1, s[12:13]
.LBB161_153:
	s_or_b64 exec, exec, s[10:11]
	v_or_b32_e32 v6, 0xe00, v0
	v_cmp_gt_i32_e32 vcc, s33, v6
                                        ; implicit-def: $vgpr6
	s_and_saveexec_b64 s[10:11], vcc
	s_cbranch_execz .LBB161_158
; %bb.154:
	s_and_b64 vcc, exec, s[2:3]
	v_lshlrev_b32_e32 v6, 16, v20
	v_lshlrev_b32_e32 v21, 16, v5
	s_cbranch_vccnz .LBB161_226
; %bb.155:
	v_and_b32_e32 v22, 0xffff0000, v20
	v_and_b32_e32 v23, 0xffff0000, v5
	v_cmp_neq_f32_e32 vcc, v6, v21
	v_cmp_neq_f32_e64 s[4:5], v22, v23
	s_or_b64 s[12:13], vcc, s[4:5]
	s_cbranch_execnz .LBB161_157
.LBB161_156:
	v_and_b32_e32 v5, 0xffff0000, v5
	v_and_b32_e32 v20, 0xffff0000, v20
	v_cmp_eq_f32_e32 vcc, v6, v21
	v_cmp_eq_f32_e64 s[4:5], v20, v5
	s_and_b64 s[4:5], vcc, s[4:5]
	s_andn2_b64 s[12:13], s[12:13], exec
	s_and_b64 s[4:5], s[4:5], exec
	s_or_b64 s[12:13], s[12:13], s[4:5]
.LBB161_157:
	v_cndmask_b32_e64 v6, 0, 1, s[12:13]
.LBB161_158:
	s_or_b64 exec, exec, s[10:11]
	v_or_b32_e32 v5, 0xf00, v0
	v_cmp_gt_i32_e32 vcc, s33, v5
                                        ; implicit-def: $vgpr5
	s_and_saveexec_b64 s[4:5], vcc
	s_cbranch_execz .LBB161_163
; %bb.159:
	s_and_b64 vcc, exec, s[2:3]
	v_lshlrev_b32_e32 v5, 16, v3
	v_lshlrev_b32_e32 v20, 16, v4
	s_cbranch_vccnz .LBB161_227
; %bb.160:
	v_and_b32_e32 v21, 0xffff0000, v3
	v_and_b32_e32 v22, 0xffff0000, v4
	v_cmp_neq_f32_e32 vcc, v5, v20
	v_cmp_neq_f32_e64 s[2:3], v21, v22
	s_or_b64 s[10:11], vcc, s[2:3]
	s_cbranch_execnz .LBB161_162
.LBB161_161:
	v_and_b32_e32 v4, 0xffff0000, v4
	v_and_b32_e32 v3, 0xffff0000, v3
	v_cmp_eq_f32_e32 vcc, v5, v20
	v_cmp_eq_f32_e64 s[2:3], v3, v4
	s_and_b64 s[2:3], vcc, s[2:3]
	s_andn2_b64 s[10:11], s[10:11], exec
	s_and_b64 s[2:3], s[2:3], exec
	s_or_b64 s[10:11], s[10:11], s[2:3]
.LBB161_162:
	v_cndmask_b32_e64 v5, 0, 1, s[10:11]
.LBB161_163:
	s_or_b64 exec, exec, s[4:5]
	s_and_saveexec_b64 s[2:3], s[0:1]
	s_xor_b64 s[0:1], exec, s[2:3]
	s_cbranch_execz .LBB161_165
; %bb.164:
	v_mov_b32_e32 v0, v17
	global_store_byte v1, v16, s[8:9]
.LBB161_165:
	s_or_b64 exec, exec, s[0:1]
	v_cmp_gt_i32_e32 vcc, s33, v0
	s_and_saveexec_b64 s[0:1], vcc
	s_cbranch_execnz .LBB161_181
; %bb.166:
	s_or_b64 exec, exec, s[0:1]
	v_cmp_gt_i32_e32 vcc, s33, v0
	s_and_saveexec_b64 s[0:1], vcc
	s_cbranch_execnz .LBB161_182
.LBB161_167:
	s_or_b64 exec, exec, s[0:1]
	v_cmp_gt_i32_e32 vcc, s33, v0
	s_and_saveexec_b64 s[0:1], vcc
	s_cbranch_execnz .LBB161_183
.LBB161_168:
	s_or_b64 exec, exec, s[0:1]
	v_cmp_gt_i32_e32 vcc, s33, v0
	s_and_saveexec_b64 s[0:1], vcc
	s_cbranch_execnz .LBB161_184
.LBB161_169:
	s_or_b64 exec, exec, s[0:1]
	v_cmp_gt_i32_e32 vcc, s33, v0
	s_and_saveexec_b64 s[0:1], vcc
	s_cbranch_execnz .LBB161_185
.LBB161_170:
	s_or_b64 exec, exec, s[0:1]
	v_cmp_gt_i32_e32 vcc, s33, v0
	s_and_saveexec_b64 s[0:1], vcc
	s_cbranch_execnz .LBB161_186
.LBB161_171:
	s_or_b64 exec, exec, s[0:1]
	v_cmp_gt_i32_e32 vcc, s33, v0
	s_and_saveexec_b64 s[0:1], vcc
	s_cbranch_execnz .LBB161_187
.LBB161_172:
	s_or_b64 exec, exec, s[0:1]
	v_cmp_gt_i32_e32 vcc, s33, v0
	s_and_saveexec_b64 s[0:1], vcc
	s_cbranch_execnz .LBB161_188
.LBB161_173:
	s_or_b64 exec, exec, s[0:1]
	v_cmp_gt_i32_e32 vcc, s33, v0
	s_and_saveexec_b64 s[0:1], vcc
	s_cbranch_execnz .LBB161_189
.LBB161_174:
	s_or_b64 exec, exec, s[0:1]
	v_cmp_gt_i32_e32 vcc, s33, v0
	s_and_saveexec_b64 s[0:1], vcc
	s_cbranch_execnz .LBB161_190
.LBB161_175:
	s_or_b64 exec, exec, s[0:1]
	v_cmp_gt_i32_e32 vcc, s33, v0
	s_and_saveexec_b64 s[0:1], vcc
	s_cbranch_execnz .LBB161_191
.LBB161_176:
	s_or_b64 exec, exec, s[0:1]
	v_cmp_gt_i32_e32 vcc, s33, v0
	s_and_saveexec_b64 s[0:1], vcc
	s_cbranch_execnz .LBB161_192
.LBB161_177:
	s_or_b64 exec, exec, s[0:1]
	v_cmp_gt_i32_e32 vcc, s33, v0
	s_and_saveexec_b64 s[0:1], vcc
	s_cbranch_execnz .LBB161_193
.LBB161_178:
	s_or_b64 exec, exec, s[0:1]
	v_cmp_gt_i32_e32 vcc, s33, v0
	s_and_saveexec_b64 s[0:1], vcc
	s_cbranch_execnz .LBB161_194
.LBB161_179:
	s_or_b64 exec, exec, s[0:1]
	v_cmp_gt_i32_e32 vcc, s33, v0
	s_and_saveexec_b64 s[0:1], vcc
	s_cbranch_execz .LBB161_195
.LBB161_180:
	v_add_u32_e32 v0, s6, v0
	global_store_byte v0, v5, s[8:9]
	s_endpgm
.LBB161_181:
	v_add_u32_e32 v1, s6, v0
	v_add_u32_e32 v0, 0x100, v0
	global_store_byte v1, v18, s[8:9]
	s_or_b64 exec, exec, s[0:1]
	v_cmp_gt_i32_e32 vcc, s33, v0
	s_and_saveexec_b64 s[0:1], vcc
	s_cbranch_execz .LBB161_167
.LBB161_182:
	v_add_u32_e32 v1, s6, v0
	v_add_u32_e32 v0, 0x100, v0
	global_store_byte v1, v2, s[8:9]
	s_or_b64 exec, exec, s[0:1]
	v_cmp_gt_i32_e32 vcc, s33, v0
	s_and_saveexec_b64 s[0:1], vcc
	s_cbranch_execz .LBB161_168
.LBB161_183:
	v_add_u32_e32 v1, s6, v0
	v_add_u32_e32 v0, 0x100, v0
	global_store_byte v1, v15, s[8:9]
	s_or_b64 exec, exec, s[0:1]
	v_cmp_gt_i32_e32 vcc, s33, v0
	s_and_saveexec_b64 s[0:1], vcc
	s_cbranch_execz .LBB161_169
.LBB161_184:
	v_add_u32_e32 v1, s6, v0
	v_add_u32_e32 v0, 0x100, v0
	global_store_byte v1, v19, s[8:9]
	s_or_b64 exec, exec, s[0:1]
	v_cmp_gt_i32_e32 vcc, s33, v0
	s_and_saveexec_b64 s[0:1], vcc
	s_cbranch_execz .LBB161_170
.LBB161_185:
	v_add_u32_e32 v1, s6, v0
	v_add_u32_e32 v0, 0x100, v0
	global_store_byte v1, v30, s[8:9]
	s_or_b64 exec, exec, s[0:1]
	v_cmp_gt_i32_e32 vcc, s33, v0
	s_and_saveexec_b64 s[0:1], vcc
	s_cbranch_execz .LBB161_171
.LBB161_186:
	v_add_u32_e32 v1, s6, v0
	v_add_u32_e32 v0, 0x100, v0
	global_store_byte v1, v14, s[8:9]
	s_or_b64 exec, exec, s[0:1]
	v_cmp_gt_i32_e32 vcc, s33, v0
	s_and_saveexec_b64 s[0:1], vcc
	s_cbranch_execz .LBB161_172
.LBB161_187:
	v_add_u32_e32 v1, s6, v0
	v_add_u32_e32 v0, 0x100, v0
	global_store_byte v1, v13, s[8:9]
	s_or_b64 exec, exec, s[0:1]
	v_cmp_gt_i32_e32 vcc, s33, v0
	s_and_saveexec_b64 s[0:1], vcc
	s_cbranch_execz .LBB161_173
.LBB161_188:
	v_add_u32_e32 v1, s6, v0
	v_add_u32_e32 v0, 0x100, v0
	global_store_byte v1, v12, s[8:9]
	s_or_b64 exec, exec, s[0:1]
	v_cmp_gt_i32_e32 vcc, s33, v0
	s_and_saveexec_b64 s[0:1], vcc
	s_cbranch_execz .LBB161_174
.LBB161_189:
	v_add_u32_e32 v1, s6, v0
	v_add_u32_e32 v0, 0x100, v0
	global_store_byte v1, v11, s[8:9]
	s_or_b64 exec, exec, s[0:1]
	v_cmp_gt_i32_e32 vcc, s33, v0
	s_and_saveexec_b64 s[0:1], vcc
	s_cbranch_execz .LBB161_175
.LBB161_190:
	v_add_u32_e32 v1, s6, v0
	v_add_u32_e32 v0, 0x100, v0
	global_store_byte v1, v10, s[8:9]
	s_or_b64 exec, exec, s[0:1]
	v_cmp_gt_i32_e32 vcc, s33, v0
	s_and_saveexec_b64 s[0:1], vcc
	s_cbranch_execz .LBB161_176
.LBB161_191:
	v_add_u32_e32 v1, s6, v0
	v_add_u32_e32 v0, 0x100, v0
	global_store_byte v1, v9, s[8:9]
	s_or_b64 exec, exec, s[0:1]
	v_cmp_gt_i32_e32 vcc, s33, v0
	s_and_saveexec_b64 s[0:1], vcc
	s_cbranch_execz .LBB161_177
.LBB161_192:
	v_add_u32_e32 v1, s6, v0
	v_add_u32_e32 v0, 0x100, v0
	global_store_byte v1, v8, s[8:9]
	s_or_b64 exec, exec, s[0:1]
	v_cmp_gt_i32_e32 vcc, s33, v0
	s_and_saveexec_b64 s[0:1], vcc
	s_cbranch_execz .LBB161_178
.LBB161_193:
	v_add_u32_e32 v1, s6, v0
	v_add_u32_e32 v0, 0x100, v0
	global_store_byte v1, v7, s[8:9]
	s_or_b64 exec, exec, s[0:1]
	v_cmp_gt_i32_e32 vcc, s33, v0
	s_and_saveexec_b64 s[0:1], vcc
	s_cbranch_execz .LBB161_179
.LBB161_194:
	v_add_u32_e32 v1, s6, v0
	v_add_u32_e32 v0, 0x100, v0
	global_store_byte v1, v6, s[8:9]
	s_or_b64 exec, exec, s[0:1]
	v_cmp_gt_i32_e32 vcc, s33, v0
	s_and_saveexec_b64 s[0:1], vcc
	s_cbranch_execnz .LBB161_180
.LBB161_195:
	s_endpgm
.LBB161_196:
                                        ; implicit-def: $sgpr4_sgpr5
	s_branch .LBB161_3
.LBB161_197:
                                        ; implicit-def: $sgpr16_sgpr17
	s_branch .LBB161_6
.LBB161_198:
                                        ; implicit-def: $sgpr18_sgpr19
	s_branch .LBB161_9
.LBB161_199:
                                        ; implicit-def: $sgpr20_sgpr21
	s_branch .LBB161_12
.LBB161_200:
                                        ; implicit-def: $sgpr22_sgpr23
	s_branch .LBB161_15
.LBB161_201:
                                        ; implicit-def: $sgpr24_sgpr25
	s_branch .LBB161_18
.LBB161_202:
                                        ; implicit-def: $sgpr26_sgpr27
	s_branch .LBB161_21
.LBB161_203:
                                        ; implicit-def: $sgpr28_sgpr29
	s_branch .LBB161_24
.LBB161_204:
                                        ; implicit-def: $sgpr30_sgpr31
	s_branch .LBB161_27
.LBB161_205:
                                        ; implicit-def: $sgpr34_sgpr35
	s_branch .LBB161_30
.LBB161_206:
                                        ; implicit-def: $sgpr36_sgpr37
	s_branch .LBB161_33
.LBB161_207:
                                        ; implicit-def: $sgpr38_sgpr39
	s_branch .LBB161_36
.LBB161_208:
                                        ; implicit-def: $sgpr40_sgpr41
	s_branch .LBB161_39
.LBB161_209:
                                        ; implicit-def: $sgpr42_sgpr43
	s_branch .LBB161_42
.LBB161_210:
                                        ; implicit-def: $sgpr44_sgpr45
	s_branch .LBB161_45
.LBB161_211:
                                        ; implicit-def: $sgpr2_sgpr3
	s_branch .LBB161_48
.LBB161_212:
                                        ; implicit-def: $sgpr12_sgpr13
	s_branch .LBB161_86
.LBB161_213:
                                        ; implicit-def: $sgpr12_sgpr13
	s_branch .LBB161_91
.LBB161_214:
                                        ; implicit-def: $sgpr12_sgpr13
	s_branch .LBB161_96
.LBB161_215:
                                        ; implicit-def: $sgpr12_sgpr13
	s_branch .LBB161_101
.LBB161_216:
                                        ; implicit-def: $sgpr12_sgpr13
	s_branch .LBB161_106
.LBB161_217:
                                        ; implicit-def: $sgpr12_sgpr13
	s_branch .LBB161_111
.LBB161_218:
                                        ; implicit-def: $sgpr12_sgpr13
	s_branch .LBB161_116
.LBB161_219:
                                        ; implicit-def: $sgpr12_sgpr13
	s_branch .LBB161_121
.LBB161_220:
                                        ; implicit-def: $sgpr12_sgpr13
	s_branch .LBB161_126
.LBB161_221:
                                        ; implicit-def: $sgpr12_sgpr13
	s_branch .LBB161_131
.LBB161_222:
                                        ; implicit-def: $sgpr12_sgpr13
	s_branch .LBB161_136
.LBB161_223:
                                        ; implicit-def: $sgpr12_sgpr13
	s_branch .LBB161_141
.LBB161_224:
                                        ; implicit-def: $sgpr12_sgpr13
	s_branch .LBB161_146
.LBB161_225:
                                        ; implicit-def: $sgpr12_sgpr13
	s_branch .LBB161_151
.LBB161_226:
                                        ; implicit-def: $sgpr12_sgpr13
	s_branch .LBB161_156
.LBB161_227:
                                        ; implicit-def: $sgpr10_sgpr11
	s_branch .LBB161_161
	.section	.rodata,"a",@progbits
	.p2align	6, 0x0
	.amdhsa_kernel _ZN2at6native29vectorized_elementwise_kernelILi8ENS0_13BinaryFunctorIN3c107complexINS3_8BFloat16EEES6_bNS0_12_GLOBAL__N_116CompareEqFunctorIS6_EEEESt5arrayIPcLm3EEEEviT0_T1_
		.amdhsa_group_segment_fixed_size 0
		.amdhsa_private_segment_fixed_size 0
		.amdhsa_kernarg_size 32
		.amdhsa_user_sgpr_count 6
		.amdhsa_user_sgpr_private_segment_buffer 1
		.amdhsa_user_sgpr_dispatch_ptr 0
		.amdhsa_user_sgpr_queue_ptr 0
		.amdhsa_user_sgpr_kernarg_segment_ptr 1
		.amdhsa_user_sgpr_dispatch_id 0
		.amdhsa_user_sgpr_flat_scratch_init 0
		.amdhsa_user_sgpr_private_segment_size 0
		.amdhsa_uses_dynamic_stack 0
		.amdhsa_system_sgpr_private_segment_wavefront_offset 0
		.amdhsa_system_sgpr_workgroup_id_x 1
		.amdhsa_system_sgpr_workgroup_id_y 0
		.amdhsa_system_sgpr_workgroup_id_z 0
		.amdhsa_system_sgpr_workgroup_info 0
		.amdhsa_system_vgpr_workitem_id 0
		.amdhsa_next_free_vgpr 38
		.amdhsa_next_free_sgpr 46
		.amdhsa_reserve_vcc 1
		.amdhsa_reserve_flat_scratch 0
		.amdhsa_float_round_mode_32 0
		.amdhsa_float_round_mode_16_64 0
		.amdhsa_float_denorm_mode_32 3
		.amdhsa_float_denorm_mode_16_64 3
		.amdhsa_dx10_clamp 1
		.amdhsa_ieee_mode 1
		.amdhsa_fp16_overflow 0
		.amdhsa_exception_fp_ieee_invalid_op 0
		.amdhsa_exception_fp_denorm_src 0
		.amdhsa_exception_fp_ieee_div_zero 0
		.amdhsa_exception_fp_ieee_overflow 0
		.amdhsa_exception_fp_ieee_underflow 0
		.amdhsa_exception_fp_ieee_inexact 0
		.amdhsa_exception_int_div_zero 0
	.end_amdhsa_kernel
	.section	.text._ZN2at6native29vectorized_elementwise_kernelILi8ENS0_13BinaryFunctorIN3c107complexINS3_8BFloat16EEES6_bNS0_12_GLOBAL__N_116CompareEqFunctorIS6_EEEESt5arrayIPcLm3EEEEviT0_T1_,"axG",@progbits,_ZN2at6native29vectorized_elementwise_kernelILi8ENS0_13BinaryFunctorIN3c107complexINS3_8BFloat16EEES6_bNS0_12_GLOBAL__N_116CompareEqFunctorIS6_EEEESt5arrayIPcLm3EEEEviT0_T1_,comdat
.Lfunc_end161:
	.size	_ZN2at6native29vectorized_elementwise_kernelILi8ENS0_13BinaryFunctorIN3c107complexINS3_8BFloat16EEES6_bNS0_12_GLOBAL__N_116CompareEqFunctorIS6_EEEESt5arrayIPcLm3EEEEviT0_T1_, .Lfunc_end161-_ZN2at6native29vectorized_elementwise_kernelILi8ENS0_13BinaryFunctorIN3c107complexINS3_8BFloat16EEES6_bNS0_12_GLOBAL__N_116CompareEqFunctorIS6_EEEESt5arrayIPcLm3EEEEviT0_T1_
                                        ; -- End function
	.set _ZN2at6native29vectorized_elementwise_kernelILi8ENS0_13BinaryFunctorIN3c107complexINS3_8BFloat16EEES6_bNS0_12_GLOBAL__N_116CompareEqFunctorIS6_EEEESt5arrayIPcLm3EEEEviT0_T1_.num_vgpr, 38
	.set _ZN2at6native29vectorized_elementwise_kernelILi8ENS0_13BinaryFunctorIN3c107complexINS3_8BFloat16EEES6_bNS0_12_GLOBAL__N_116CompareEqFunctorIS6_EEEESt5arrayIPcLm3EEEEviT0_T1_.num_agpr, 0
	.set _ZN2at6native29vectorized_elementwise_kernelILi8ENS0_13BinaryFunctorIN3c107complexINS3_8BFloat16EEES6_bNS0_12_GLOBAL__N_116CompareEqFunctorIS6_EEEESt5arrayIPcLm3EEEEviT0_T1_.numbered_sgpr, 46
	.set _ZN2at6native29vectorized_elementwise_kernelILi8ENS0_13BinaryFunctorIN3c107complexINS3_8BFloat16EEES6_bNS0_12_GLOBAL__N_116CompareEqFunctorIS6_EEEESt5arrayIPcLm3EEEEviT0_T1_.num_named_barrier, 0
	.set _ZN2at6native29vectorized_elementwise_kernelILi8ENS0_13BinaryFunctorIN3c107complexINS3_8BFloat16EEES6_bNS0_12_GLOBAL__N_116CompareEqFunctorIS6_EEEESt5arrayIPcLm3EEEEviT0_T1_.private_seg_size, 0
	.set _ZN2at6native29vectorized_elementwise_kernelILi8ENS0_13BinaryFunctorIN3c107complexINS3_8BFloat16EEES6_bNS0_12_GLOBAL__N_116CompareEqFunctorIS6_EEEESt5arrayIPcLm3EEEEviT0_T1_.uses_vcc, 1
	.set _ZN2at6native29vectorized_elementwise_kernelILi8ENS0_13BinaryFunctorIN3c107complexINS3_8BFloat16EEES6_bNS0_12_GLOBAL__N_116CompareEqFunctorIS6_EEEESt5arrayIPcLm3EEEEviT0_T1_.uses_flat_scratch, 0
	.set _ZN2at6native29vectorized_elementwise_kernelILi8ENS0_13BinaryFunctorIN3c107complexINS3_8BFloat16EEES6_bNS0_12_GLOBAL__N_116CompareEqFunctorIS6_EEEESt5arrayIPcLm3EEEEviT0_T1_.has_dyn_sized_stack, 0
	.set _ZN2at6native29vectorized_elementwise_kernelILi8ENS0_13BinaryFunctorIN3c107complexINS3_8BFloat16EEES6_bNS0_12_GLOBAL__N_116CompareEqFunctorIS6_EEEESt5arrayIPcLm3EEEEviT0_T1_.has_recursion, 0
	.set _ZN2at6native29vectorized_elementwise_kernelILi8ENS0_13BinaryFunctorIN3c107complexINS3_8BFloat16EEES6_bNS0_12_GLOBAL__N_116CompareEqFunctorIS6_EEEESt5arrayIPcLm3EEEEviT0_T1_.has_indirect_call, 0
	.section	.AMDGPU.csdata,"",@progbits
; Kernel info:
; codeLenInByte = 7304
; TotalNumSgprs: 50
; NumVgprs: 38
; ScratchSize: 0
; MemoryBound: 1
; FloatMode: 240
; IeeeMode: 1
; LDSByteSize: 0 bytes/workgroup (compile time only)
; SGPRBlocks: 6
; VGPRBlocks: 9
; NumSGPRsForWavesPerEU: 50
; NumVGPRsForWavesPerEU: 38
; Occupancy: 6
; WaveLimiterHint : 1
; COMPUTE_PGM_RSRC2:SCRATCH_EN: 0
; COMPUTE_PGM_RSRC2:USER_SGPR: 6
; COMPUTE_PGM_RSRC2:TRAP_HANDLER: 0
; COMPUTE_PGM_RSRC2:TGID_X_EN: 1
; COMPUTE_PGM_RSRC2:TGID_Y_EN: 0
; COMPUTE_PGM_RSRC2:TGID_Z_EN: 0
; COMPUTE_PGM_RSRC2:TIDIG_COMP_CNT: 0
	.section	.text._ZN2at6native29vectorized_elementwise_kernelILi4ENS0_13BinaryFunctorIN3c107complexINS3_8BFloat16EEES6_bNS0_12_GLOBAL__N_116CompareEqFunctorIS6_EEEESt5arrayIPcLm3EEEEviT0_T1_,"axG",@progbits,_ZN2at6native29vectorized_elementwise_kernelILi4ENS0_13BinaryFunctorIN3c107complexINS3_8BFloat16EEES6_bNS0_12_GLOBAL__N_116CompareEqFunctorIS6_EEEESt5arrayIPcLm3EEEEviT0_T1_,comdat
	.globl	_ZN2at6native29vectorized_elementwise_kernelILi4ENS0_13BinaryFunctorIN3c107complexINS3_8BFloat16EEES6_bNS0_12_GLOBAL__N_116CompareEqFunctorIS6_EEEESt5arrayIPcLm3EEEEviT0_T1_ ; -- Begin function _ZN2at6native29vectorized_elementwise_kernelILi4ENS0_13BinaryFunctorIN3c107complexINS3_8BFloat16EEES6_bNS0_12_GLOBAL__N_116CompareEqFunctorIS6_EEEESt5arrayIPcLm3EEEEviT0_T1_
	.p2align	8
	.type	_ZN2at6native29vectorized_elementwise_kernelILi4ENS0_13BinaryFunctorIN3c107complexINS3_8BFloat16EEES6_bNS0_12_GLOBAL__N_116CompareEqFunctorIS6_EEEESt5arrayIPcLm3EEEEviT0_T1_,@function
_ZN2at6native29vectorized_elementwise_kernelILi4ENS0_13BinaryFunctorIN3c107complexINS3_8BFloat16EEES6_bNS0_12_GLOBAL__N_116CompareEqFunctorIS6_EEEESt5arrayIPcLm3EEEEviT0_T1_: ; @_ZN2at6native29vectorized_elementwise_kernelILi4ENS0_13BinaryFunctorIN3c107complexINS3_8BFloat16EEES6_bNS0_12_GLOBAL__N_116CompareEqFunctorIS6_EEEESt5arrayIPcLm3EEEEviT0_T1_
; %bb.0:
	s_load_dwordx2 s[12:13], s[4:5], 0x0
	s_load_dwordx4 s[8:11], s[4:5], 0x8
	s_load_dwordx2 s[14:15], s[4:5], 0x18
	s_lshl_b32 s6, s6, 12
	s_mov_b64 s[0:1], -1
	s_waitcnt lgkmcnt(0)
	s_sub_i32 s33, s12, s6
	s_cmpk_gt_i32 s33, 0xfff
	s_cbranch_scc0 .LBB162_50
; %bb.1:
	s_ashr_i32 s7, s6, 31
	s_lshl_b64 s[0:1], s[6:7], 2
	s_add_u32 s2, s10, s0
	s_addc_u32 s3, s11, s1
	v_lshlrev_b32_e32 v5, 4, v0
	v_mov_b32_e32 v1, s3
	v_add_co_u32_e32 v6, vcc, s2, v5
	v_addc_co_u32_e32 v7, vcc, 0, v1, vcc
	v_add_co_u32_e32 v1, vcc, 0x1000, v6
	v_addc_co_u32_e32 v2, vcc, 0, v7, vcc
	;; [unrolled: 2-line block ×3, first 2 shown]
	global_load_dwordx4 v[17:20], v[1:2], off
	global_load_dwordx4 v[9:12], v[3:4], off
	v_add_co_u32_e32 v1, vcc, 0x3000, v6
	s_add_u32 s0, s14, s0
	v_addc_co_u32_e32 v2, vcc, 0, v7, vcc
	s_addc_u32 s1, s15, s1
	v_mov_b32_e32 v6, s1
	v_add_co_u32_e32 v33, vcc, s0, v5
	s_movk_i32 s4, 0x1000
	v_addc_co_u32_e32 v34, vcc, 0, v6, vcc
	global_load_dwordx4 v[1:4], v[1:2], off
	s_nop 0
	global_load_dwordx4 v[25:28], v5, s[2:3]
	global_load_dwordx4 v[29:32], v5, s[0:1]
	v_add_co_u32_e32 v5, vcc, s4, v33
	v_addc_co_u32_e32 v6, vcc, 0, v34, vcc
	v_add_co_u32_e32 v7, vcc, 0x2000, v33
	v_addc_co_u32_e32 v8, vcc, 0, v34, vcc
	global_load_dwordx4 v[21:24], v[5:6], off
	global_load_dwordx4 v[13:16], v[7:8], off
	v_add_co_u32_e32 v5, vcc, 0x3000, v33
	v_addc_co_u32_e32 v6, vcc, 0, v34, vcc
	global_load_dwordx4 v[5:8], v[5:6], off
	s_cmp_lg_u32 s13, 0
	s_cselect_b64 s[2:3], -1, 0
	s_and_b64 vcc, exec, s[2:3]
	s_waitcnt vmcnt(4)
	v_lshlrev_b32_e32 v33, 16, v25
	s_waitcnt vmcnt(3)
	v_lshlrev_b32_e32 v34, 16, v29
	s_cbranch_vccz .LBB162_196
; %bb.2:
	v_and_b32_e32 v35, 0xffff0000, v25
	v_and_b32_e32 v36, 0xffff0000, v29
	v_cmp_neq_f32_e32 vcc, v33, v34
	v_cmp_neq_f32_e64 s[0:1], v35, v36
	s_or_b64 s[4:5], vcc, s[0:1]
	s_cbranch_execnz .LBB162_4
.LBB162_3:
	v_and_b32_e32 v29, 0xffff0000, v29
	v_and_b32_e32 v25, 0xffff0000, v25
	v_cmp_eq_f32_e32 vcc, v33, v34
	v_cmp_eq_f32_e64 s[0:1], v25, v29
	s_and_b64 s[0:1], vcc, s[0:1]
	s_andn2_b64 s[4:5], s[4:5], exec
	s_and_b64 s[0:1], s[0:1], exec
	s_or_b64 s[4:5], s[4:5], s[0:1]
.LBB162_4:
	v_cndmask_b32_e64 v25, 0, 1, s[2:3]
	v_cmp_ne_u32_e64 s[0:1], 1, v25
	s_andn2_b64 vcc, exec, s[2:3]
	v_lshlrev_b32_e32 v25, 16, v26
	v_lshlrev_b32_e32 v29, 16, v30
	s_cbranch_vccnz .LBB162_197
; %bb.5:
	v_and_b32_e32 v33, 0xffff0000, v26
	v_and_b32_e32 v34, 0xffff0000, v30
	v_cmp_neq_f32_e32 vcc, v25, v29
	v_cmp_neq_f32_e64 s[2:3], v33, v34
	s_or_b64 s[16:17], vcc, s[2:3]
	s_cbranch_execnz .LBB162_7
.LBB162_6:
	v_and_b32_e32 v30, 0xffff0000, v30
	v_and_b32_e32 v26, 0xffff0000, v26
	v_cmp_eq_f32_e32 vcc, v25, v29
	v_cmp_eq_f32_e64 s[2:3], v26, v30
	s_and_b64 s[2:3], vcc, s[2:3]
	s_andn2_b64 s[16:17], s[16:17], exec
	s_and_b64 s[2:3], s[2:3], exec
	s_or_b64 s[16:17], s[16:17], s[2:3]
.LBB162_7:
	s_and_b64 vcc, exec, s[0:1]
	v_lshlrev_b32_e32 v25, 16, v27
	v_lshlrev_b32_e32 v26, 16, v31
	s_cbranch_vccnz .LBB162_198
; %bb.8:
	v_and_b32_e32 v29, 0xffff0000, v27
	v_and_b32_e32 v30, 0xffff0000, v31
	v_cmp_neq_f32_e32 vcc, v25, v26
	v_cmp_neq_f32_e64 s[2:3], v29, v30
	s_or_b64 s[18:19], vcc, s[2:3]
	s_cbranch_execnz .LBB162_10
.LBB162_9:
	v_and_b32_e32 v29, 0xffff0000, v31
	v_and_b32_e32 v27, 0xffff0000, v27
	v_cmp_eq_f32_e32 vcc, v25, v26
	v_cmp_eq_f32_e64 s[2:3], v27, v29
	s_and_b64 s[2:3], vcc, s[2:3]
	s_andn2_b64 s[18:19], s[18:19], exec
	s_and_b64 s[2:3], s[2:3], exec
	s_or_b64 s[18:19], s[18:19], s[2:3]
.LBB162_10:
	s_and_b64 vcc, exec, s[0:1]
	v_lshlrev_b32_e32 v25, 16, v28
	v_lshlrev_b32_e32 v26, 16, v32
	s_cbranch_vccnz .LBB162_199
; %bb.11:
	v_and_b32_e32 v27, 0xffff0000, v28
	v_and_b32_e32 v29, 0xffff0000, v32
	v_cmp_neq_f32_e32 vcc, v25, v26
	v_cmp_neq_f32_e64 s[2:3], v27, v29
	s_or_b64 s[20:21], vcc, s[2:3]
	s_cbranch_execnz .LBB162_13
.LBB162_12:
	v_and_b32_e32 v27, 0xffff0000, v32
	v_and_b32_e32 v28, 0xffff0000, v28
	v_cmp_eq_f32_e32 vcc, v25, v26
	v_cmp_eq_f32_e64 s[2:3], v28, v27
	s_and_b64 s[2:3], vcc, s[2:3]
	s_andn2_b64 s[20:21], s[20:21], exec
	s_and_b64 s[2:3], s[2:3], exec
	s_or_b64 s[20:21], s[20:21], s[2:3]
.LBB162_13:
	s_and_b64 vcc, exec, s[0:1]
	v_lshlrev_b32_e32 v25, 16, v17
	s_waitcnt vmcnt(2)
	v_lshlrev_b32_e32 v26, 16, v21
	s_cbranch_vccnz .LBB162_200
; %bb.14:
	v_and_b32_e32 v27, 0xffff0000, v17
	v_and_b32_e32 v28, 0xffff0000, v21
	v_cmp_neq_f32_e32 vcc, v25, v26
	v_cmp_neq_f32_e64 s[2:3], v27, v28
	s_or_b64 s[22:23], vcc, s[2:3]
	s_cbranch_execnz .LBB162_16
.LBB162_15:
	v_and_b32_e32 v21, 0xffff0000, v21
	v_and_b32_e32 v17, 0xffff0000, v17
	v_cmp_eq_f32_e32 vcc, v25, v26
	v_cmp_eq_f32_e64 s[2:3], v17, v21
	s_and_b64 s[2:3], vcc, s[2:3]
	s_andn2_b64 s[22:23], s[22:23], exec
	s_and_b64 s[2:3], s[2:3], exec
	s_or_b64 s[22:23], s[22:23], s[2:3]
.LBB162_16:
	s_and_b64 vcc, exec, s[0:1]
	v_lshlrev_b32_e32 v17, 16, v18
	v_lshlrev_b32_e32 v21, 16, v22
	s_cbranch_vccnz .LBB162_201
; %bb.17:
	v_and_b32_e32 v25, 0xffff0000, v18
	v_and_b32_e32 v26, 0xffff0000, v22
	v_cmp_neq_f32_e32 vcc, v17, v21
	v_cmp_neq_f32_e64 s[2:3], v25, v26
	s_or_b64 s[24:25], vcc, s[2:3]
	s_cbranch_execnz .LBB162_19
.LBB162_18:
	v_and_b32_e32 v22, 0xffff0000, v22
	v_and_b32_e32 v18, 0xffff0000, v18
	v_cmp_eq_f32_e32 vcc, v17, v21
	v_cmp_eq_f32_e64 s[2:3], v18, v22
	s_and_b64 s[2:3], vcc, s[2:3]
	s_andn2_b64 s[24:25], s[24:25], exec
	s_and_b64 s[2:3], s[2:3], exec
	s_or_b64 s[24:25], s[24:25], s[2:3]
.LBB162_19:
	s_and_b64 vcc, exec, s[0:1]
	v_lshlrev_b32_e32 v17, 16, v19
	v_lshlrev_b32_e32 v18, 16, v23
	s_cbranch_vccnz .LBB162_202
; %bb.20:
	v_and_b32_e32 v21, 0xffff0000, v19
	v_and_b32_e32 v22, 0xffff0000, v23
	v_cmp_neq_f32_e32 vcc, v17, v18
	v_cmp_neq_f32_e64 s[2:3], v21, v22
	s_or_b64 s[26:27], vcc, s[2:3]
	s_cbranch_execnz .LBB162_22
.LBB162_21:
	v_and_b32_e32 v21, 0xffff0000, v23
	v_and_b32_e32 v19, 0xffff0000, v19
	v_cmp_eq_f32_e32 vcc, v17, v18
	v_cmp_eq_f32_e64 s[2:3], v19, v21
	s_and_b64 s[2:3], vcc, s[2:3]
	s_andn2_b64 s[26:27], s[26:27], exec
	s_and_b64 s[2:3], s[2:3], exec
	s_or_b64 s[26:27], s[26:27], s[2:3]
.LBB162_22:
	s_and_b64 vcc, exec, s[0:1]
	v_lshlrev_b32_e32 v17, 16, v20
	v_lshlrev_b32_e32 v18, 16, v24
	s_cbranch_vccnz .LBB162_203
; %bb.23:
	v_and_b32_e32 v19, 0xffff0000, v20
	v_and_b32_e32 v21, 0xffff0000, v24
	v_cmp_neq_f32_e32 vcc, v17, v18
	v_cmp_neq_f32_e64 s[2:3], v19, v21
	s_or_b64 s[28:29], vcc, s[2:3]
	s_cbranch_execnz .LBB162_25
.LBB162_24:
	v_and_b32_e32 v19, 0xffff0000, v24
	v_and_b32_e32 v20, 0xffff0000, v20
	v_cmp_eq_f32_e32 vcc, v17, v18
	v_cmp_eq_f32_e64 s[2:3], v20, v19
	s_and_b64 s[2:3], vcc, s[2:3]
	s_andn2_b64 s[28:29], s[28:29], exec
	s_and_b64 s[2:3], s[2:3], exec
	s_or_b64 s[28:29], s[28:29], s[2:3]
.LBB162_25:
	s_and_b64 vcc, exec, s[0:1]
	v_lshlrev_b32_e32 v17, 16, v9
	s_waitcnt vmcnt(1)
	v_lshlrev_b32_e32 v18, 16, v13
	s_cbranch_vccnz .LBB162_204
; %bb.26:
	v_and_b32_e32 v19, 0xffff0000, v9
	v_and_b32_e32 v20, 0xffff0000, v13
	v_cmp_neq_f32_e32 vcc, v17, v18
	v_cmp_neq_f32_e64 s[2:3], v19, v20
	s_or_b64 s[30:31], vcc, s[2:3]
	s_cbranch_execnz .LBB162_28
.LBB162_27:
	v_and_b32_e32 v13, 0xffff0000, v13
	v_and_b32_e32 v9, 0xffff0000, v9
	v_cmp_eq_f32_e32 vcc, v17, v18
	v_cmp_eq_f32_e64 s[2:3], v9, v13
	s_and_b64 s[2:3], vcc, s[2:3]
	s_andn2_b64 s[30:31], s[30:31], exec
	s_and_b64 s[2:3], s[2:3], exec
	s_or_b64 s[30:31], s[30:31], s[2:3]
.LBB162_28:
	s_and_b64 vcc, exec, s[0:1]
	v_lshlrev_b32_e32 v9, 16, v10
	v_lshlrev_b32_e32 v13, 16, v14
	s_cbranch_vccnz .LBB162_205
; %bb.29:
	v_and_b32_e32 v17, 0xffff0000, v10
	v_and_b32_e32 v18, 0xffff0000, v14
	v_cmp_neq_f32_e32 vcc, v9, v13
	v_cmp_neq_f32_e64 s[2:3], v17, v18
	s_or_b64 s[34:35], vcc, s[2:3]
	s_cbranch_execnz .LBB162_31
.LBB162_30:
	v_and_b32_e32 v14, 0xffff0000, v14
	v_and_b32_e32 v10, 0xffff0000, v10
	v_cmp_eq_f32_e32 vcc, v9, v13
	v_cmp_eq_f32_e64 s[2:3], v10, v14
	s_and_b64 s[2:3], vcc, s[2:3]
	s_andn2_b64 s[34:35], s[34:35], exec
	s_and_b64 s[2:3], s[2:3], exec
	s_or_b64 s[34:35], s[34:35], s[2:3]
.LBB162_31:
	s_and_b64 vcc, exec, s[0:1]
	v_lshlrev_b32_e32 v9, 16, v11
	v_lshlrev_b32_e32 v10, 16, v15
	s_cbranch_vccnz .LBB162_206
; %bb.32:
	v_and_b32_e32 v13, 0xffff0000, v11
	v_and_b32_e32 v14, 0xffff0000, v15
	v_cmp_neq_f32_e32 vcc, v9, v10
	v_cmp_neq_f32_e64 s[2:3], v13, v14
	s_or_b64 s[36:37], vcc, s[2:3]
	s_cbranch_execnz .LBB162_34
.LBB162_33:
	v_and_b32_e32 v13, 0xffff0000, v15
	v_and_b32_e32 v11, 0xffff0000, v11
	v_cmp_eq_f32_e32 vcc, v9, v10
	v_cmp_eq_f32_e64 s[2:3], v11, v13
	s_and_b64 s[2:3], vcc, s[2:3]
	s_andn2_b64 s[36:37], s[36:37], exec
	s_and_b64 s[2:3], s[2:3], exec
	s_or_b64 s[36:37], s[36:37], s[2:3]
.LBB162_34:
	s_and_b64 vcc, exec, s[0:1]
	v_lshlrev_b32_e32 v9, 16, v12
	v_lshlrev_b32_e32 v10, 16, v16
	s_cbranch_vccnz .LBB162_207
; %bb.35:
	v_and_b32_e32 v11, 0xffff0000, v12
	v_and_b32_e32 v13, 0xffff0000, v16
	v_cmp_neq_f32_e32 vcc, v9, v10
	v_cmp_neq_f32_e64 s[2:3], v11, v13
	s_or_b64 s[38:39], vcc, s[2:3]
	s_cbranch_execnz .LBB162_37
.LBB162_36:
	v_and_b32_e32 v11, 0xffff0000, v16
	v_and_b32_e32 v12, 0xffff0000, v12
	v_cmp_eq_f32_e32 vcc, v9, v10
	v_cmp_eq_f32_e64 s[2:3], v12, v11
	s_and_b64 s[2:3], vcc, s[2:3]
	s_andn2_b64 s[38:39], s[38:39], exec
	s_and_b64 s[2:3], s[2:3], exec
	s_or_b64 s[38:39], s[38:39], s[2:3]
.LBB162_37:
	s_and_b64 vcc, exec, s[0:1]
	v_lshlrev_b32_e32 v9, 16, v1
	s_waitcnt vmcnt(0)
	v_lshlrev_b32_e32 v10, 16, v5
	s_cbranch_vccnz .LBB162_208
; %bb.38:
	v_and_b32_e32 v11, 0xffff0000, v1
	v_and_b32_e32 v12, 0xffff0000, v5
	v_cmp_neq_f32_e32 vcc, v9, v10
	v_cmp_neq_f32_e64 s[2:3], v11, v12
	s_or_b64 s[40:41], vcc, s[2:3]
	s_cbranch_execnz .LBB162_40
.LBB162_39:
	v_and_b32_e32 v5, 0xffff0000, v5
	v_and_b32_e32 v1, 0xffff0000, v1
	v_cmp_eq_f32_e32 vcc, v9, v10
	v_cmp_eq_f32_e64 s[2:3], v1, v5
	s_and_b64 s[2:3], vcc, s[2:3]
	s_andn2_b64 s[40:41], s[40:41], exec
	s_and_b64 s[2:3], s[2:3], exec
	s_or_b64 s[40:41], s[40:41], s[2:3]
.LBB162_40:
	s_and_b64 vcc, exec, s[0:1]
	v_lshlrev_b32_e32 v1, 16, v2
	v_lshlrev_b32_e32 v5, 16, v6
	s_cbranch_vccnz .LBB162_209
; %bb.41:
	v_and_b32_e32 v9, 0xffff0000, v2
	v_and_b32_e32 v10, 0xffff0000, v6
	v_cmp_neq_f32_e32 vcc, v1, v5
	v_cmp_neq_f32_e64 s[2:3], v9, v10
	s_or_b64 s[42:43], vcc, s[2:3]
	s_cbranch_execnz .LBB162_43
.LBB162_42:
	v_and_b32_e32 v6, 0xffff0000, v6
	v_and_b32_e32 v2, 0xffff0000, v2
	v_cmp_eq_f32_e32 vcc, v1, v5
	v_cmp_eq_f32_e64 s[2:3], v2, v6
	s_and_b64 s[2:3], vcc, s[2:3]
	s_andn2_b64 s[42:43], s[42:43], exec
	s_and_b64 s[2:3], s[2:3], exec
	s_or_b64 s[42:43], s[42:43], s[2:3]
.LBB162_43:
	s_and_b64 vcc, exec, s[0:1]
	v_lshlrev_b32_e32 v1, 16, v3
	v_lshlrev_b32_e32 v2, 16, v7
	s_cbranch_vccnz .LBB162_210
; %bb.44:
	v_and_b32_e32 v5, 0xffff0000, v3
	v_and_b32_e32 v6, 0xffff0000, v7
	v_cmp_neq_f32_e32 vcc, v1, v2
	v_cmp_neq_f32_e64 s[2:3], v5, v6
	s_or_b64 s[44:45], vcc, s[2:3]
	s_cbranch_execnz .LBB162_46
.LBB162_45:
	v_and_b32_e32 v5, 0xffff0000, v7
	v_and_b32_e32 v3, 0xffff0000, v3
	v_cmp_eq_f32_e32 vcc, v1, v2
	v_cmp_eq_f32_e64 s[2:3], v3, v5
	s_and_b64 s[2:3], vcc, s[2:3]
	s_andn2_b64 s[44:45], s[44:45], exec
	s_and_b64 s[2:3], s[2:3], exec
	s_or_b64 s[44:45], s[44:45], s[2:3]
.LBB162_46:
	s_and_b64 vcc, exec, s[0:1]
	v_lshlrev_b32_e32 v1, 16, v4
	v_lshlrev_b32_e32 v2, 16, v8
	s_cbranch_vccnz .LBB162_211
; %bb.47:
	v_and_b32_e32 v3, 0xffff0000, v4
	v_and_b32_e32 v5, 0xffff0000, v8
	v_cmp_neq_f32_e32 vcc, v1, v2
	v_cmp_neq_f32_e64 s[0:1], v3, v5
	s_or_b64 s[2:3], vcc, s[0:1]
	s_cbranch_execnz .LBB162_49
.LBB162_48:
	v_and_b32_e32 v3, 0xffff0000, v8
	v_and_b32_e32 v4, 0xffff0000, v4
	v_cmp_eq_f32_e32 vcc, v1, v2
	v_cmp_eq_f32_e64 s[0:1], v4, v3
	s_and_b64 s[0:1], vcc, s[0:1]
	s_andn2_b64 s[2:3], s[2:3], exec
	s_and_b64 s[0:1], s[0:1], exec
	s_or_b64 s[2:3], s[2:3], s[0:1]
.LBB162_49:
	v_mov_b32_e32 v1, 0x100
	v_cndmask_b32_e64 v2, 0, v1, s[42:43]
	v_cndmask_b32_e64 v3, 0, 1, s[40:41]
	v_or_b32_e32 v2, v2, v3
	v_mov_b32_e32 v3, 0x10000
	v_cndmask_b32_e64 v5, 0, v1, s[34:35]
	v_cndmask_b32_e64 v6, 0, 1, s[30:31]
	v_mov_b32_e32 v7, 0x1000000
	v_or_b32_e32 v5, v5, v6
	v_cndmask_b32_e64 v6, 0, v3, s[36:37]
	v_cndmask_b32_e64 v8, 0, v7, s[38:39]
	v_or3_b32 v5, v5, v6, v8
	v_cndmask_b32_e64 v6, 0, v1, s[24:25]
	v_cndmask_b32_e64 v8, 0, 1, s[22:23]
	v_or_b32_e32 v6, v6, v8
	v_cndmask_b32_e64 v8, 0, v3, s[26:27]
	v_cndmask_b32_e64 v9, 0, v7, s[28:29]
	v_or3_b32 v6, v6, v8, v9
	v_cndmask_b32_e64 v1, 0, v1, s[16:17]
	v_cndmask_b32_e64 v8, 0, 1, s[4:5]
	;; [unrolled: 1-line block ×3, first 2 shown]
	v_or_b32_e32 v1, v1, v8
	v_cndmask_b32_e64 v3, 0, v3, s[18:19]
	v_cndmask_b32_e64 v8, 0, v7, s[20:21]
	v_or3_b32 v1, v1, v3, v8
	v_cndmask_b32_e64 v3, 0, v7, s[2:3]
	s_add_u32 s0, s8, s6
	v_or3_b32 v2, v2, v4, v3
	s_addc_u32 s1, s9, s7
	v_lshlrev_b32_e32 v3, 2, v0
	global_store_dword v3, v1, s[0:1]
	global_store_dword v3, v6, s[0:1] offset:1024
	global_store_dword v3, v5, s[0:1] offset:2048
	;; [unrolled: 1-line block ×3, first 2 shown]
	s_mov_b64 s[0:1], 0
.LBB162_50:
	s_and_b64 vcc, exec, s[0:1]
	s_cbranch_vccz .LBB162_195
; %bb.51:
	v_cmp_gt_i32_e64 s[0:1], s33, v0
	v_mov_b32_e32 v3, 0
	v_or_b32_e32 v1, s6, v0
	v_mov_b32_e32 v20, 0
	v_mov_b32_e32 v21, 0
	;; [unrolled: 1-line block ×31, first 2 shown]
	s_and_saveexec_b64 s[2:3], s[0:1]
	s_cbranch_execz .LBB162_83
; %bb.52:
	v_mov_b32_e32 v2, 0
	v_lshlrev_b64 v[3:4], 2, v[1:2]
	v_mov_b32_e32 v6, s11
	v_add_co_u32_e32 v5, vcc, s10, v3
	v_addc_co_u32_e32 v6, vcc, v6, v4, vcc
	global_load_dword v36, v[5:6], off
	v_mov_b32_e32 v5, s15
	v_add_co_u32_e32 v3, vcc, s14, v3
	v_addc_co_u32_e32 v4, vcc, v5, v4, vcc
	global_load_dword v37, v[3:4], off
	v_or_b32_e32 v3, 0x100, v0
	v_cmp_gt_u32_e32 vcc, s33, v3
	v_mov_b32_e32 v35, v2
	v_mov_b32_e32 v15, v2
	;; [unrolled: 1-line block ×29, first 2 shown]
	s_and_saveexec_b64 s[4:5], vcc
	s_cbranch_execz .LBB162_82
; %bb.53:
	v_add_u32_e32 v14, s6, v0
	v_mov_b32_e32 v15, 0
	v_lshlrev_b64 v[2:3], 2, v[14:15]
	v_mov_b32_e32 v4, s11
	v_add_co_u32_e32 v16, vcc, s10, v2
	v_addc_co_u32_e32 v17, vcc, v4, v3, vcc
	v_mov_b32_e32 v4, s15
	v_add_co_u32_e32 v18, vcc, s14, v2
	v_addc_co_u32_e32 v19, vcc, v4, v3, vcc
	global_load_dword v35, v[16:17], off offset:1024
	global_load_dword v2, v[18:19], off offset:1024
	v_or_b32_e32 v3, 0x200, v0
	v_cmp_gt_u32_e32 vcc, s33, v3
	v_mov_b32_e32 v34, v15
	v_mov_b32_e32 v32, v15
	;; [unrolled: 1-line block ×27, first 2 shown]
	s_and_saveexec_b64 s[16:17], vcc
	s_cbranch_execz .LBB162_81
; %bb.54:
	global_load_dword v34, v[16:17], off offset:2048
	global_load_dword v15, v[18:19], off offset:2048
	v_or_b32_e32 v3, 0x300, v0
	v_cmp_gt_u32_e32 vcc, s33, v3
	v_mov_b32_e32 v32, 0
	v_mov_b32_e32 v33, 0
	;; [unrolled: 1-line block ×26, first 2 shown]
	s_and_saveexec_b64 s[18:19], vcc
	s_cbranch_execz .LBB162_80
; %bb.55:
	global_load_dword v33, v[16:17], off offset:3072
	global_load_dword v32, v[18:19], off offset:3072
	v_or_b32_e32 v16, 0x400, v0
	v_cmp_gt_u32_e32 vcc, s33, v16
	v_mov_b32_e32 v31, 0
	v_mov_b32_e32 v30, 0
	;; [unrolled: 1-line block ×24, first 2 shown]
	s_and_saveexec_b64 s[20:21], vcc
	s_cbranch_execz .LBB162_79
; %bb.56:
	v_or_b32_e32 v13, s6, v16
	v_mov_b32_e32 v14, 0
	v_lshlrev_b64 v[3:4], 2, v[13:14]
	v_mov_b32_e32 v6, s11
	v_add_co_u32_e32 v5, vcc, s10, v3
	v_addc_co_u32_e32 v6, vcc, v6, v4, vcc
	global_load_dword v30, v[5:6], off
	v_mov_b32_e32 v5, s15
	v_add_co_u32_e32 v3, vcc, s14, v3
	v_addc_co_u32_e32 v4, vcc, v5, v4, vcc
	global_load_dword v31, v[3:4], off
	v_or_b32_e32 v16, 0x500, v0
	v_cmp_gt_u32_e32 vcc, s33, v16
	v_mov_b32_e32 v29, v14
	v_mov_b32_e32 v13, v14
	;; [unrolled: 1-line block ×21, first 2 shown]
	s_and_saveexec_b64 s[22:23], vcc
	s_cbranch_execz .LBB162_78
; %bb.57:
	v_or_b32_e32 v12, s6, v16
	v_mov_b32_e32 v13, 0
	v_lshlrev_b64 v[3:4], 2, v[12:13]
	v_mov_b32_e32 v6, s11
	v_add_co_u32_e32 v5, vcc, s10, v3
	v_addc_co_u32_e32 v6, vcc, v6, v4, vcc
	global_load_dword v29, v[5:6], off
	v_mov_b32_e32 v5, s15
	v_add_co_u32_e32 v3, vcc, s14, v3
	v_addc_co_u32_e32 v4, vcc, v5, v4, vcc
	global_load_dword v14, v[3:4], off
	v_or_b32_e32 v16, 0x600, v0
	v_cmp_gt_u32_e32 vcc, s33, v16
	v_mov_b32_e32 v28, v13
	v_mov_b32_e32 v12, v13
	;; [unrolled: 1-line block ×19, first 2 shown]
	s_and_saveexec_b64 s[24:25], vcc
	s_cbranch_execz .LBB162_77
; %bb.58:
	v_or_b32_e32 v11, s6, v16
	v_mov_b32_e32 v12, 0
	v_lshlrev_b64 v[3:4], 2, v[11:12]
	v_mov_b32_e32 v6, s11
	v_add_co_u32_e32 v5, vcc, s10, v3
	v_addc_co_u32_e32 v6, vcc, v6, v4, vcc
	global_load_dword v28, v[5:6], off
	v_mov_b32_e32 v5, s15
	v_add_co_u32_e32 v3, vcc, s14, v3
	v_addc_co_u32_e32 v4, vcc, v5, v4, vcc
	global_load_dword v13, v[3:4], off
	v_or_b32_e32 v16, 0x700, v0
	v_cmp_gt_u32_e32 vcc, s33, v16
	v_mov_b32_e32 v27, v12
	v_mov_b32_e32 v11, v12
	;; [unrolled: 1-line block ×17, first 2 shown]
	s_and_saveexec_b64 s[26:27], vcc
	s_cbranch_execz .LBB162_76
; %bb.59:
	v_or_b32_e32 v10, s6, v16
	v_mov_b32_e32 v11, 0
	v_lshlrev_b64 v[3:4], 2, v[10:11]
	v_mov_b32_e32 v6, s11
	v_add_co_u32_e32 v5, vcc, s10, v3
	v_addc_co_u32_e32 v6, vcc, v6, v4, vcc
	global_load_dword v27, v[5:6], off
	v_mov_b32_e32 v5, s15
	v_add_co_u32_e32 v3, vcc, s14, v3
	v_addc_co_u32_e32 v4, vcc, v5, v4, vcc
	global_load_dword v12, v[3:4], off
	v_or_b32_e32 v16, 0x800, v0
	v_cmp_gt_u32_e32 vcc, s33, v16
	v_mov_b32_e32 v26, v11
	v_mov_b32_e32 v10, v11
	;; [unrolled: 1-line block ×15, first 2 shown]
	s_and_saveexec_b64 s[28:29], vcc
	s_cbranch_execz .LBB162_75
; %bb.60:
	v_or_b32_e32 v9, s6, v16
	v_mov_b32_e32 v10, 0
	v_lshlrev_b64 v[3:4], 2, v[9:10]
	v_mov_b32_e32 v6, s11
	v_add_co_u32_e32 v5, vcc, s10, v3
	v_addc_co_u32_e32 v6, vcc, v6, v4, vcc
	global_load_dword v26, v[5:6], off
	v_mov_b32_e32 v5, s15
	v_add_co_u32_e32 v3, vcc, s14, v3
	v_addc_co_u32_e32 v4, vcc, v5, v4, vcc
	global_load_dword v11, v[3:4], off
	v_or_b32_e32 v16, 0x900, v0
	v_cmp_gt_u32_e32 vcc, s33, v16
	v_mov_b32_e32 v25, v10
	v_mov_b32_e32 v9, v10
	;; [unrolled: 1-line block ×13, first 2 shown]
	s_and_saveexec_b64 s[30:31], vcc
	s_cbranch_execz .LBB162_74
; %bb.61:
	v_or_b32_e32 v8, s6, v16
	v_mov_b32_e32 v9, 0
	v_lshlrev_b64 v[3:4], 2, v[8:9]
	v_mov_b32_e32 v6, s11
	v_add_co_u32_e32 v5, vcc, s10, v3
	v_addc_co_u32_e32 v6, vcc, v6, v4, vcc
	global_load_dword v25, v[5:6], off
	v_mov_b32_e32 v5, s15
	v_add_co_u32_e32 v3, vcc, s14, v3
	v_addc_co_u32_e32 v4, vcc, v5, v4, vcc
	global_load_dword v10, v[3:4], off
	v_or_b32_e32 v16, 0xa00, v0
	v_cmp_gt_u32_e32 vcc, s33, v16
	v_mov_b32_e32 v24, v9
	v_mov_b32_e32 v8, v9
	v_mov_b32_e32 v23, v9
	v_mov_b32_e32 v7, v9
	v_mov_b32_e32 v22, v9
	v_mov_b32_e32 v6, v9
	v_mov_b32_e32 v21, v9
	v_mov_b32_e32 v5, v9
	v_mov_b32_e32 v20, v9
	v_mov_b32_e32 v4, v9
	v_mov_b32_e32 v3, v9
	s_and_saveexec_b64 s[34:35], vcc
	s_cbranch_execz .LBB162_73
; %bb.62:
	v_or_b32_e32 v7, s6, v16
	v_mov_b32_e32 v8, 0
	v_lshlrev_b64 v[3:4], 2, v[7:8]
	v_mov_b32_e32 v6, s11
	v_add_co_u32_e32 v5, vcc, s10, v3
	v_addc_co_u32_e32 v6, vcc, v6, v4, vcc
	global_load_dword v24, v[5:6], off
	v_mov_b32_e32 v5, s15
	v_add_co_u32_e32 v3, vcc, s14, v3
	v_addc_co_u32_e32 v4, vcc, v5, v4, vcc
	global_load_dword v9, v[3:4], off
	v_or_b32_e32 v16, 0xb00, v0
	v_cmp_gt_u32_e32 vcc, s33, v16
	v_mov_b32_e32 v23, v8
	v_mov_b32_e32 v7, v8
	;; [unrolled: 1-line block ×9, first 2 shown]
	s_and_saveexec_b64 s[36:37], vcc
	s_cbranch_execz .LBB162_72
; %bb.63:
	v_or_b32_e32 v6, s6, v16
	v_mov_b32_e32 v7, 0
	v_lshlrev_b64 v[3:4], 2, v[6:7]
	v_mov_b32_e32 v6, s11
	v_add_co_u32_e32 v5, vcc, s10, v3
	v_addc_co_u32_e32 v6, vcc, v6, v4, vcc
	global_load_dword v23, v[5:6], off
	v_mov_b32_e32 v5, s15
	v_add_co_u32_e32 v3, vcc, s14, v3
	v_addc_co_u32_e32 v4, vcc, v5, v4, vcc
	global_load_dword v8, v[3:4], off
	v_or_b32_e32 v16, 0xc00, v0
	v_cmp_gt_u32_e32 vcc, s33, v16
	v_mov_b32_e32 v22, v7
	v_mov_b32_e32 v6, v7
	;; [unrolled: 1-line block ×7, first 2 shown]
	s_and_saveexec_b64 s[38:39], vcc
	s_cbranch_execz .LBB162_71
; %bb.64:
	v_or_b32_e32 v5, s6, v16
	v_mov_b32_e32 v6, 0
	v_lshlrev_b64 v[3:4], 2, v[5:6]
	v_mov_b32_e32 v5, s11
	v_add_co_u32_e32 v16, vcc, s10, v3
	v_addc_co_u32_e32 v17, vcc, v5, v4, vcc
	v_mov_b32_e32 v5, s15
	v_add_co_u32_e32 v3, vcc, s14, v3
	v_addc_co_u32_e32 v4, vcc, v5, v4, vcc
	global_load_dword v22, v[16:17], off
	global_load_dword v7, v[3:4], off
	v_or_b32_e32 v16, 0xd00, v0
	v_cmp_gt_u32_e32 vcc, s33, v16
	v_mov_b32_e32 v21, v6
	v_mov_b32_e32 v5, v6
	;; [unrolled: 1-line block ×5, first 2 shown]
	s_and_saveexec_b64 s[40:41], vcc
	s_cbranch_execz .LBB162_70
; %bb.65:
	v_add_u32_e32 v4, s6, v16
	v_mov_b32_e32 v5, 0
	v_lshlrev_b64 v[3:4], 2, v[4:5]
	v_mov_b32_e32 v6, s11
	v_add_co_u32_e32 v16, vcc, s10, v3
	v_addc_co_u32_e32 v17, vcc, v6, v4, vcc
	v_mov_b32_e32 v6, s15
	v_add_co_u32_e32 v3, vcc, s14, v3
	v_addc_co_u32_e32 v4, vcc, v6, v4, vcc
	global_load_dword v21, v[16:17], off
	global_load_dword v6, v[3:4], off
	v_or_b32_e32 v16, 0xe00, v0
	v_cmp_gt_u32_e32 vcc, s33, v16
	v_mov_b32_e32 v20, v5
	v_mov_b32_e32 v4, v5
	;; [unrolled: 1-line block ×3, first 2 shown]
	s_and_saveexec_b64 s[42:43], vcc
	s_cbranch_execz .LBB162_69
; %bb.66:
	v_add_u32_e32 v3, s6, v16
	v_mov_b32_e32 v4, 0
	v_lshlrev_b64 v[16:17], 2, v[3:4]
	v_mov_b32_e32 v3, s11
	v_add_co_u32_e32 v18, vcc, s10, v16
	v_addc_co_u32_e32 v19, vcc, v3, v17, vcc
	v_mov_b32_e32 v3, s15
	v_add_co_u32_e32 v16, vcc, s14, v16
	v_addc_co_u32_e32 v17, vcc, v3, v17, vcc
	global_load_dword v20, v[18:19], off
	global_load_dword v5, v[16:17], off
	v_or_b32_e32 v16, 0xf00, v0
	v_cmp_gt_u32_e32 vcc, s33, v16
	v_mov_b32_e32 v3, v4
	s_and_saveexec_b64 s[44:45], vcc
	s_cbranch_execz .LBB162_68
; %bb.67:
	v_add_u32_e32 v3, s6, v16
	v_mov_b32_e32 v4, 0
	v_lshlrev_b64 v[3:4], 2, v[3:4]
	v_mov_b32_e32 v17, s15
	v_add_co_u32_e32 v16, vcc, s14, v3
	v_addc_co_u32_e32 v17, vcc, v17, v4, vcc
	v_mov_b32_e32 v19, s11
	v_add_co_u32_e32 v18, vcc, s10, v3
	v_addc_co_u32_e32 v19, vcc, v19, v4, vcc
	global_load_dword v3, v[18:19], off
	global_load_dword v4, v[16:17], off
.LBB162_68:
	s_or_b64 exec, exec, s[44:45]
.LBB162_69:
	s_or_b64 exec, exec, s[42:43]
.LBB162_70:
	s_or_b64 exec, exec, s[40:41]
.LBB162_71:
	s_or_b64 exec, exec, s[38:39]
.LBB162_72:
	s_or_b64 exec, exec, s[36:37]
.LBB162_73:
	s_or_b64 exec, exec, s[34:35]
.LBB162_74:
	s_or_b64 exec, exec, s[30:31]
.LBB162_75:
	s_or_b64 exec, exec, s[28:29]
.LBB162_76:
	s_or_b64 exec, exec, s[26:27]
.LBB162_77:
	s_or_b64 exec, exec, s[24:25]
.LBB162_78:
	s_or_b64 exec, exec, s[22:23]
.LBB162_79:
	s_or_b64 exec, exec, s[20:21]
.LBB162_80:
	s_or_b64 exec, exec, s[18:19]
.LBB162_81:
	s_or_b64 exec, exec, s[16:17]
.LBB162_82:
	s_or_b64 exec, exec, s[4:5]
.LBB162_83:
	s_or_b64 exec, exec, s[2:3]
	s_cmp_lg_u32 s13, 0
	s_cselect_b64 s[4:5], -1, 0
                                        ; implicit-def: $vgpr16
	s_and_saveexec_b64 s[10:11], s[0:1]
	s_cbranch_execz .LBB162_88
; %bb.84:
	s_and_b64 vcc, exec, s[4:5]
	s_waitcnt vmcnt(1)
	v_lshlrev_b32_e32 v16, 16, v36
	s_waitcnt vmcnt(0)
	v_lshlrev_b32_e32 v17, 16, v37
	s_cbranch_vccz .LBB162_212
; %bb.85:
	v_and_b32_e32 v18, 0xffff0000, v36
	v_and_b32_e32 v19, 0xffff0000, v37
	v_cmp_neq_f32_e32 vcc, v16, v17
	v_cmp_neq_f32_e64 s[2:3], v18, v19
	s_or_b64 s[12:13], vcc, s[2:3]
	s_cbranch_execnz .LBB162_87
.LBB162_86:
	v_and_b32_e32 v18, 0xffff0000, v37
	v_and_b32_e32 v19, 0xffff0000, v36
	v_cmp_eq_f32_e32 vcc, v16, v17
	v_cmp_eq_f32_e64 s[2:3], v19, v18
	s_and_b64 s[2:3], vcc, s[2:3]
	s_andn2_b64 s[12:13], s[12:13], exec
	s_and_b64 s[2:3], s[2:3], exec
	s_or_b64 s[12:13], s[12:13], s[2:3]
.LBB162_87:
	v_cndmask_b32_e64 v16, 0, 1, s[12:13]
.LBB162_88:
	s_or_b64 exec, exec, s[10:11]
	v_or_b32_e32 v17, 0x100, v0
	v_cndmask_b32_e64 v18, 0, 1, s[4:5]
	v_cmp_gt_i32_e32 vcc, s33, v17
	v_cmp_ne_u32_e64 s[2:3], 1, v18
                                        ; implicit-def: $vgpr18
	s_and_saveexec_b64 s[10:11], vcc
	s_cbranch_execz .LBB162_93
; %bb.89:
	s_and_b64 vcc, exec, s[2:3]
	s_waitcnt vmcnt(1)
	v_lshlrev_b32_e32 v18, 16, v35
	s_waitcnt vmcnt(0)
	v_lshlrev_b32_e32 v19, 16, v2
	s_cbranch_vccnz .LBB162_213
; %bb.90:
	v_and_b32_e32 v36, 0xffff0000, v35
	v_and_b32_e32 v37, 0xffff0000, v2
	v_cmp_neq_f32_e32 vcc, v18, v19
	v_cmp_neq_f32_e64 s[4:5], v36, v37
	s_or_b64 s[12:13], vcc, s[4:5]
	s_cbranch_execnz .LBB162_92
.LBB162_91:
	v_and_b32_e32 v2, 0xffff0000, v2
	v_and_b32_e32 v35, 0xffff0000, v35
	v_cmp_eq_f32_e32 vcc, v18, v19
	v_cmp_eq_f32_e64 s[4:5], v35, v2
	s_and_b64 s[4:5], vcc, s[4:5]
	s_andn2_b64 s[12:13], s[12:13], exec
	s_and_b64 s[4:5], s[4:5], exec
	s_or_b64 s[12:13], s[12:13], s[4:5]
.LBB162_92:
	v_cndmask_b32_e64 v18, 0, 1, s[12:13]
.LBB162_93:
	s_or_b64 exec, exec, s[10:11]
	s_waitcnt vmcnt(0)
	v_or_b32_e32 v2, 0x200, v0
	v_cmp_gt_i32_e32 vcc, s33, v2
                                        ; implicit-def: $vgpr2
	s_and_saveexec_b64 s[10:11], vcc
	s_cbranch_execz .LBB162_98
; %bb.94:
	s_and_b64 vcc, exec, s[2:3]
	v_lshlrev_b32_e32 v2, 16, v34
	v_lshlrev_b32_e32 v19, 16, v15
	s_cbranch_vccnz .LBB162_214
; %bb.95:
	v_and_b32_e32 v35, 0xffff0000, v34
	v_and_b32_e32 v36, 0xffff0000, v15
	v_cmp_neq_f32_e32 vcc, v2, v19
	v_cmp_neq_f32_e64 s[4:5], v35, v36
	s_or_b64 s[12:13], vcc, s[4:5]
	s_cbranch_execnz .LBB162_97
.LBB162_96:
	v_and_b32_e32 v15, 0xffff0000, v15
	v_and_b32_e32 v34, 0xffff0000, v34
	v_cmp_eq_f32_e32 vcc, v2, v19
	v_cmp_eq_f32_e64 s[4:5], v34, v15
	s_and_b64 s[4:5], vcc, s[4:5]
	s_andn2_b64 s[12:13], s[12:13], exec
	s_and_b64 s[4:5], s[4:5], exec
	s_or_b64 s[12:13], s[12:13], s[4:5]
.LBB162_97:
	v_cndmask_b32_e64 v2, 0, 1, s[12:13]
.LBB162_98:
	s_or_b64 exec, exec, s[10:11]
	v_or_b32_e32 v15, 0x300, v0
	v_cmp_gt_i32_e32 vcc, s33, v15
                                        ; implicit-def: $vgpr15
	s_and_saveexec_b64 s[10:11], vcc
	s_cbranch_execz .LBB162_103
; %bb.99:
	s_and_b64 vcc, exec, s[2:3]
	v_lshlrev_b32_e32 v15, 16, v33
	v_lshlrev_b32_e32 v19, 16, v32
	s_cbranch_vccnz .LBB162_215
; %bb.100:
	v_and_b32_e32 v34, 0xffff0000, v33
	v_and_b32_e32 v35, 0xffff0000, v32
	v_cmp_neq_f32_e32 vcc, v15, v19
	v_cmp_neq_f32_e64 s[4:5], v34, v35
	s_or_b64 s[12:13], vcc, s[4:5]
	s_cbranch_execnz .LBB162_102
.LBB162_101:
	v_and_b32_e32 v32, 0xffff0000, v32
	v_and_b32_e32 v33, 0xffff0000, v33
	v_cmp_eq_f32_e32 vcc, v15, v19
	v_cmp_eq_f32_e64 s[4:5], v33, v32
	s_and_b64 s[4:5], vcc, s[4:5]
	s_andn2_b64 s[12:13], s[12:13], exec
	s_and_b64 s[4:5], s[4:5], exec
	s_or_b64 s[12:13], s[12:13], s[4:5]
.LBB162_102:
	v_cndmask_b32_e64 v15, 0, 1, s[12:13]
.LBB162_103:
	s_or_b64 exec, exec, s[10:11]
	v_or_b32_e32 v19, 0x400, v0
	v_cmp_gt_i32_e32 vcc, s33, v19
                                        ; implicit-def: $vgpr19
	s_and_saveexec_b64 s[10:11], vcc
	s_cbranch_execz .LBB162_108
; %bb.104:
	s_and_b64 vcc, exec, s[2:3]
	v_lshlrev_b32_e32 v19, 16, v30
	v_lshlrev_b32_e32 v32, 16, v31
	s_cbranch_vccnz .LBB162_216
; %bb.105:
	v_and_b32_e32 v33, 0xffff0000, v30
	v_and_b32_e32 v34, 0xffff0000, v31
	v_cmp_neq_f32_e32 vcc, v19, v32
	v_cmp_neq_f32_e64 s[4:5], v33, v34
	s_or_b64 s[12:13], vcc, s[4:5]
	s_cbranch_execnz .LBB162_107
.LBB162_106:
	v_and_b32_e32 v31, 0xffff0000, v31
	v_and_b32_e32 v30, 0xffff0000, v30
	v_cmp_eq_f32_e32 vcc, v19, v32
	v_cmp_eq_f32_e64 s[4:5], v30, v31
	s_and_b64 s[4:5], vcc, s[4:5]
	s_andn2_b64 s[12:13], s[12:13], exec
	s_and_b64 s[4:5], s[4:5], exec
	s_or_b64 s[12:13], s[12:13], s[4:5]
.LBB162_107:
	v_cndmask_b32_e64 v19, 0, 1, s[12:13]
.LBB162_108:
	s_or_b64 exec, exec, s[10:11]
	v_or_b32_e32 v30, 0x500, v0
	v_cmp_gt_i32_e32 vcc, s33, v30
                                        ; implicit-def: $vgpr30
	s_and_saveexec_b64 s[10:11], vcc
	s_cbranch_execz .LBB162_113
; %bb.109:
	s_and_b64 vcc, exec, s[2:3]
	v_lshlrev_b32_e32 v30, 16, v29
	v_lshlrev_b32_e32 v31, 16, v14
	s_cbranch_vccnz .LBB162_217
; %bb.110:
	v_and_b32_e32 v32, 0xffff0000, v29
	v_and_b32_e32 v33, 0xffff0000, v14
	v_cmp_neq_f32_e32 vcc, v30, v31
	v_cmp_neq_f32_e64 s[4:5], v32, v33
	s_or_b64 s[12:13], vcc, s[4:5]
	s_cbranch_execnz .LBB162_112
.LBB162_111:
	v_and_b32_e32 v14, 0xffff0000, v14
	v_and_b32_e32 v29, 0xffff0000, v29
	v_cmp_eq_f32_e32 vcc, v30, v31
	v_cmp_eq_f32_e64 s[4:5], v29, v14
	s_and_b64 s[4:5], vcc, s[4:5]
	s_andn2_b64 s[12:13], s[12:13], exec
	s_and_b64 s[4:5], s[4:5], exec
	s_or_b64 s[12:13], s[12:13], s[4:5]
.LBB162_112:
	v_cndmask_b32_e64 v30, 0, 1, s[12:13]
.LBB162_113:
	s_or_b64 exec, exec, s[10:11]
	v_or_b32_e32 v14, 0x600, v0
	v_cmp_gt_i32_e32 vcc, s33, v14
                                        ; implicit-def: $vgpr14
	s_and_saveexec_b64 s[10:11], vcc
	s_cbranch_execz .LBB162_118
; %bb.114:
	s_and_b64 vcc, exec, s[2:3]
	v_lshlrev_b32_e32 v14, 16, v28
	v_lshlrev_b32_e32 v29, 16, v13
	s_cbranch_vccnz .LBB162_218
; %bb.115:
	v_and_b32_e32 v31, 0xffff0000, v28
	v_and_b32_e32 v32, 0xffff0000, v13
	v_cmp_neq_f32_e32 vcc, v14, v29
	v_cmp_neq_f32_e64 s[4:5], v31, v32
	s_or_b64 s[12:13], vcc, s[4:5]
	s_cbranch_execnz .LBB162_117
.LBB162_116:
	v_and_b32_e32 v13, 0xffff0000, v13
	v_and_b32_e32 v28, 0xffff0000, v28
	v_cmp_eq_f32_e32 vcc, v14, v29
	v_cmp_eq_f32_e64 s[4:5], v28, v13
	s_and_b64 s[4:5], vcc, s[4:5]
	s_andn2_b64 s[12:13], s[12:13], exec
	s_and_b64 s[4:5], s[4:5], exec
	s_or_b64 s[12:13], s[12:13], s[4:5]
.LBB162_117:
	v_cndmask_b32_e64 v14, 0, 1, s[12:13]
.LBB162_118:
	s_or_b64 exec, exec, s[10:11]
	v_or_b32_e32 v13, 0x700, v0
	v_cmp_gt_i32_e32 vcc, s33, v13
                                        ; implicit-def: $vgpr13
	s_and_saveexec_b64 s[10:11], vcc
	s_cbranch_execz .LBB162_123
; %bb.119:
	s_and_b64 vcc, exec, s[2:3]
	v_lshlrev_b32_e32 v13, 16, v27
	v_lshlrev_b32_e32 v28, 16, v12
	s_cbranch_vccnz .LBB162_219
; %bb.120:
	v_and_b32_e32 v29, 0xffff0000, v27
	v_and_b32_e32 v31, 0xffff0000, v12
	v_cmp_neq_f32_e32 vcc, v13, v28
	v_cmp_neq_f32_e64 s[4:5], v29, v31
	s_or_b64 s[12:13], vcc, s[4:5]
	s_cbranch_execnz .LBB162_122
.LBB162_121:
	v_and_b32_e32 v12, 0xffff0000, v12
	v_and_b32_e32 v27, 0xffff0000, v27
	v_cmp_eq_f32_e32 vcc, v13, v28
	v_cmp_eq_f32_e64 s[4:5], v27, v12
	s_and_b64 s[4:5], vcc, s[4:5]
	s_andn2_b64 s[12:13], s[12:13], exec
	s_and_b64 s[4:5], s[4:5], exec
	s_or_b64 s[12:13], s[12:13], s[4:5]
.LBB162_122:
	v_cndmask_b32_e64 v13, 0, 1, s[12:13]
.LBB162_123:
	s_or_b64 exec, exec, s[10:11]
	v_or_b32_e32 v12, 0x800, v0
	v_cmp_gt_i32_e32 vcc, s33, v12
                                        ; implicit-def: $vgpr12
	s_and_saveexec_b64 s[10:11], vcc
	s_cbranch_execz .LBB162_128
; %bb.124:
	s_and_b64 vcc, exec, s[2:3]
	v_lshlrev_b32_e32 v12, 16, v26
	v_lshlrev_b32_e32 v27, 16, v11
	s_cbranch_vccnz .LBB162_220
; %bb.125:
	v_and_b32_e32 v28, 0xffff0000, v26
	v_and_b32_e32 v29, 0xffff0000, v11
	v_cmp_neq_f32_e32 vcc, v12, v27
	v_cmp_neq_f32_e64 s[4:5], v28, v29
	s_or_b64 s[12:13], vcc, s[4:5]
	s_cbranch_execnz .LBB162_127
.LBB162_126:
	v_and_b32_e32 v11, 0xffff0000, v11
	v_and_b32_e32 v26, 0xffff0000, v26
	v_cmp_eq_f32_e32 vcc, v12, v27
	v_cmp_eq_f32_e64 s[4:5], v26, v11
	s_and_b64 s[4:5], vcc, s[4:5]
	s_andn2_b64 s[12:13], s[12:13], exec
	s_and_b64 s[4:5], s[4:5], exec
	s_or_b64 s[12:13], s[12:13], s[4:5]
.LBB162_127:
	v_cndmask_b32_e64 v12, 0, 1, s[12:13]
.LBB162_128:
	s_or_b64 exec, exec, s[10:11]
	v_or_b32_e32 v11, 0x900, v0
	v_cmp_gt_i32_e32 vcc, s33, v11
                                        ; implicit-def: $vgpr11
	s_and_saveexec_b64 s[10:11], vcc
	s_cbranch_execz .LBB162_133
; %bb.129:
	s_and_b64 vcc, exec, s[2:3]
	v_lshlrev_b32_e32 v11, 16, v25
	v_lshlrev_b32_e32 v26, 16, v10
	s_cbranch_vccnz .LBB162_221
; %bb.130:
	v_and_b32_e32 v27, 0xffff0000, v25
	v_and_b32_e32 v28, 0xffff0000, v10
	v_cmp_neq_f32_e32 vcc, v11, v26
	v_cmp_neq_f32_e64 s[4:5], v27, v28
	s_or_b64 s[12:13], vcc, s[4:5]
	s_cbranch_execnz .LBB162_132
.LBB162_131:
	v_and_b32_e32 v10, 0xffff0000, v10
	v_and_b32_e32 v25, 0xffff0000, v25
	v_cmp_eq_f32_e32 vcc, v11, v26
	v_cmp_eq_f32_e64 s[4:5], v25, v10
	s_and_b64 s[4:5], vcc, s[4:5]
	s_andn2_b64 s[12:13], s[12:13], exec
	s_and_b64 s[4:5], s[4:5], exec
	s_or_b64 s[12:13], s[12:13], s[4:5]
.LBB162_132:
	v_cndmask_b32_e64 v11, 0, 1, s[12:13]
.LBB162_133:
	s_or_b64 exec, exec, s[10:11]
	v_or_b32_e32 v10, 0xa00, v0
	v_cmp_gt_i32_e32 vcc, s33, v10
                                        ; implicit-def: $vgpr10
	s_and_saveexec_b64 s[10:11], vcc
	s_cbranch_execz .LBB162_138
; %bb.134:
	s_and_b64 vcc, exec, s[2:3]
	v_lshlrev_b32_e32 v10, 16, v24
	v_lshlrev_b32_e32 v25, 16, v9
	s_cbranch_vccnz .LBB162_222
; %bb.135:
	v_and_b32_e32 v26, 0xffff0000, v24
	v_and_b32_e32 v27, 0xffff0000, v9
	v_cmp_neq_f32_e32 vcc, v10, v25
	v_cmp_neq_f32_e64 s[4:5], v26, v27
	s_or_b64 s[12:13], vcc, s[4:5]
	s_cbranch_execnz .LBB162_137
.LBB162_136:
	v_and_b32_e32 v9, 0xffff0000, v9
	v_and_b32_e32 v24, 0xffff0000, v24
	v_cmp_eq_f32_e32 vcc, v10, v25
	v_cmp_eq_f32_e64 s[4:5], v24, v9
	s_and_b64 s[4:5], vcc, s[4:5]
	s_andn2_b64 s[12:13], s[12:13], exec
	s_and_b64 s[4:5], s[4:5], exec
	s_or_b64 s[12:13], s[12:13], s[4:5]
.LBB162_137:
	v_cndmask_b32_e64 v10, 0, 1, s[12:13]
.LBB162_138:
	s_or_b64 exec, exec, s[10:11]
	v_or_b32_e32 v9, 0xb00, v0
	v_cmp_gt_i32_e32 vcc, s33, v9
                                        ; implicit-def: $vgpr9
	s_and_saveexec_b64 s[10:11], vcc
	s_cbranch_execz .LBB162_143
; %bb.139:
	s_and_b64 vcc, exec, s[2:3]
	v_lshlrev_b32_e32 v9, 16, v23
	v_lshlrev_b32_e32 v24, 16, v8
	s_cbranch_vccnz .LBB162_223
; %bb.140:
	v_and_b32_e32 v25, 0xffff0000, v23
	v_and_b32_e32 v26, 0xffff0000, v8
	v_cmp_neq_f32_e32 vcc, v9, v24
	v_cmp_neq_f32_e64 s[4:5], v25, v26
	s_or_b64 s[12:13], vcc, s[4:5]
	s_cbranch_execnz .LBB162_142
.LBB162_141:
	v_and_b32_e32 v8, 0xffff0000, v8
	v_and_b32_e32 v23, 0xffff0000, v23
	v_cmp_eq_f32_e32 vcc, v9, v24
	v_cmp_eq_f32_e64 s[4:5], v23, v8
	s_and_b64 s[4:5], vcc, s[4:5]
	s_andn2_b64 s[12:13], s[12:13], exec
	s_and_b64 s[4:5], s[4:5], exec
	s_or_b64 s[12:13], s[12:13], s[4:5]
.LBB162_142:
	v_cndmask_b32_e64 v9, 0, 1, s[12:13]
.LBB162_143:
	s_or_b64 exec, exec, s[10:11]
	v_or_b32_e32 v8, 0xc00, v0
	v_cmp_gt_i32_e32 vcc, s33, v8
                                        ; implicit-def: $vgpr8
	s_and_saveexec_b64 s[10:11], vcc
	s_cbranch_execz .LBB162_148
; %bb.144:
	s_and_b64 vcc, exec, s[2:3]
	v_lshlrev_b32_e32 v8, 16, v22
	v_lshlrev_b32_e32 v23, 16, v7
	s_cbranch_vccnz .LBB162_224
; %bb.145:
	v_and_b32_e32 v24, 0xffff0000, v22
	v_and_b32_e32 v25, 0xffff0000, v7
	v_cmp_neq_f32_e32 vcc, v8, v23
	v_cmp_neq_f32_e64 s[4:5], v24, v25
	s_or_b64 s[12:13], vcc, s[4:5]
	s_cbranch_execnz .LBB162_147
.LBB162_146:
	v_and_b32_e32 v7, 0xffff0000, v7
	v_and_b32_e32 v22, 0xffff0000, v22
	v_cmp_eq_f32_e32 vcc, v8, v23
	v_cmp_eq_f32_e64 s[4:5], v22, v7
	s_and_b64 s[4:5], vcc, s[4:5]
	s_andn2_b64 s[12:13], s[12:13], exec
	s_and_b64 s[4:5], s[4:5], exec
	s_or_b64 s[12:13], s[12:13], s[4:5]
.LBB162_147:
	v_cndmask_b32_e64 v8, 0, 1, s[12:13]
.LBB162_148:
	s_or_b64 exec, exec, s[10:11]
	v_or_b32_e32 v7, 0xd00, v0
	v_cmp_gt_i32_e32 vcc, s33, v7
                                        ; implicit-def: $vgpr7
	s_and_saveexec_b64 s[10:11], vcc
	s_cbranch_execz .LBB162_153
; %bb.149:
	s_and_b64 vcc, exec, s[2:3]
	v_lshlrev_b32_e32 v7, 16, v21
	v_lshlrev_b32_e32 v22, 16, v6
	s_cbranch_vccnz .LBB162_225
; %bb.150:
	v_and_b32_e32 v23, 0xffff0000, v21
	v_and_b32_e32 v24, 0xffff0000, v6
	v_cmp_neq_f32_e32 vcc, v7, v22
	v_cmp_neq_f32_e64 s[4:5], v23, v24
	s_or_b64 s[12:13], vcc, s[4:5]
	s_cbranch_execnz .LBB162_152
.LBB162_151:
	v_and_b32_e32 v6, 0xffff0000, v6
	v_and_b32_e32 v21, 0xffff0000, v21
	v_cmp_eq_f32_e32 vcc, v7, v22
	v_cmp_eq_f32_e64 s[4:5], v21, v6
	s_and_b64 s[4:5], vcc, s[4:5]
	s_andn2_b64 s[12:13], s[12:13], exec
	s_and_b64 s[4:5], s[4:5], exec
	s_or_b64 s[12:13], s[12:13], s[4:5]
.LBB162_152:
	v_cndmask_b32_e64 v7, 0, 1, s[12:13]
.LBB162_153:
	s_or_b64 exec, exec, s[10:11]
	v_or_b32_e32 v6, 0xe00, v0
	v_cmp_gt_i32_e32 vcc, s33, v6
                                        ; implicit-def: $vgpr6
	s_and_saveexec_b64 s[10:11], vcc
	s_cbranch_execz .LBB162_158
; %bb.154:
	s_and_b64 vcc, exec, s[2:3]
	v_lshlrev_b32_e32 v6, 16, v20
	v_lshlrev_b32_e32 v21, 16, v5
	s_cbranch_vccnz .LBB162_226
; %bb.155:
	v_and_b32_e32 v22, 0xffff0000, v20
	v_and_b32_e32 v23, 0xffff0000, v5
	v_cmp_neq_f32_e32 vcc, v6, v21
	v_cmp_neq_f32_e64 s[4:5], v22, v23
	s_or_b64 s[12:13], vcc, s[4:5]
	s_cbranch_execnz .LBB162_157
.LBB162_156:
	v_and_b32_e32 v5, 0xffff0000, v5
	v_and_b32_e32 v20, 0xffff0000, v20
	v_cmp_eq_f32_e32 vcc, v6, v21
	v_cmp_eq_f32_e64 s[4:5], v20, v5
	s_and_b64 s[4:5], vcc, s[4:5]
	s_andn2_b64 s[12:13], s[12:13], exec
	s_and_b64 s[4:5], s[4:5], exec
	s_or_b64 s[12:13], s[12:13], s[4:5]
.LBB162_157:
	v_cndmask_b32_e64 v6, 0, 1, s[12:13]
.LBB162_158:
	s_or_b64 exec, exec, s[10:11]
	v_or_b32_e32 v5, 0xf00, v0
	v_cmp_gt_i32_e32 vcc, s33, v5
                                        ; implicit-def: $vgpr5
	s_and_saveexec_b64 s[4:5], vcc
	s_cbranch_execz .LBB162_163
; %bb.159:
	s_and_b64 vcc, exec, s[2:3]
	v_lshlrev_b32_e32 v5, 16, v3
	v_lshlrev_b32_e32 v20, 16, v4
	s_cbranch_vccnz .LBB162_227
; %bb.160:
	v_and_b32_e32 v21, 0xffff0000, v3
	v_and_b32_e32 v22, 0xffff0000, v4
	v_cmp_neq_f32_e32 vcc, v5, v20
	v_cmp_neq_f32_e64 s[2:3], v21, v22
	s_or_b64 s[10:11], vcc, s[2:3]
	s_cbranch_execnz .LBB162_162
.LBB162_161:
	v_and_b32_e32 v4, 0xffff0000, v4
	v_and_b32_e32 v3, 0xffff0000, v3
	v_cmp_eq_f32_e32 vcc, v5, v20
	v_cmp_eq_f32_e64 s[2:3], v3, v4
	s_and_b64 s[2:3], vcc, s[2:3]
	s_andn2_b64 s[10:11], s[10:11], exec
	s_and_b64 s[2:3], s[2:3], exec
	s_or_b64 s[10:11], s[10:11], s[2:3]
.LBB162_162:
	v_cndmask_b32_e64 v5, 0, 1, s[10:11]
.LBB162_163:
	s_or_b64 exec, exec, s[4:5]
	s_and_saveexec_b64 s[2:3], s[0:1]
	s_xor_b64 s[0:1], exec, s[2:3]
	s_cbranch_execz .LBB162_165
; %bb.164:
	v_mov_b32_e32 v0, v17
	global_store_byte v1, v16, s[8:9]
.LBB162_165:
	s_or_b64 exec, exec, s[0:1]
	v_cmp_gt_i32_e32 vcc, s33, v0
	s_and_saveexec_b64 s[0:1], vcc
	s_cbranch_execnz .LBB162_181
; %bb.166:
	s_or_b64 exec, exec, s[0:1]
	v_cmp_gt_i32_e32 vcc, s33, v0
	s_and_saveexec_b64 s[0:1], vcc
	s_cbranch_execnz .LBB162_182
.LBB162_167:
	s_or_b64 exec, exec, s[0:1]
	v_cmp_gt_i32_e32 vcc, s33, v0
	s_and_saveexec_b64 s[0:1], vcc
	s_cbranch_execnz .LBB162_183
.LBB162_168:
	s_or_b64 exec, exec, s[0:1]
	v_cmp_gt_i32_e32 vcc, s33, v0
	s_and_saveexec_b64 s[0:1], vcc
	s_cbranch_execnz .LBB162_184
.LBB162_169:
	s_or_b64 exec, exec, s[0:1]
	v_cmp_gt_i32_e32 vcc, s33, v0
	s_and_saveexec_b64 s[0:1], vcc
	s_cbranch_execnz .LBB162_185
.LBB162_170:
	s_or_b64 exec, exec, s[0:1]
	v_cmp_gt_i32_e32 vcc, s33, v0
	s_and_saveexec_b64 s[0:1], vcc
	s_cbranch_execnz .LBB162_186
.LBB162_171:
	s_or_b64 exec, exec, s[0:1]
	v_cmp_gt_i32_e32 vcc, s33, v0
	s_and_saveexec_b64 s[0:1], vcc
	s_cbranch_execnz .LBB162_187
.LBB162_172:
	s_or_b64 exec, exec, s[0:1]
	v_cmp_gt_i32_e32 vcc, s33, v0
	s_and_saveexec_b64 s[0:1], vcc
	s_cbranch_execnz .LBB162_188
.LBB162_173:
	s_or_b64 exec, exec, s[0:1]
	v_cmp_gt_i32_e32 vcc, s33, v0
	s_and_saveexec_b64 s[0:1], vcc
	s_cbranch_execnz .LBB162_189
.LBB162_174:
	s_or_b64 exec, exec, s[0:1]
	v_cmp_gt_i32_e32 vcc, s33, v0
	s_and_saveexec_b64 s[0:1], vcc
	s_cbranch_execnz .LBB162_190
.LBB162_175:
	s_or_b64 exec, exec, s[0:1]
	v_cmp_gt_i32_e32 vcc, s33, v0
	s_and_saveexec_b64 s[0:1], vcc
	s_cbranch_execnz .LBB162_191
.LBB162_176:
	s_or_b64 exec, exec, s[0:1]
	v_cmp_gt_i32_e32 vcc, s33, v0
	s_and_saveexec_b64 s[0:1], vcc
	s_cbranch_execnz .LBB162_192
.LBB162_177:
	s_or_b64 exec, exec, s[0:1]
	v_cmp_gt_i32_e32 vcc, s33, v0
	s_and_saveexec_b64 s[0:1], vcc
	s_cbranch_execnz .LBB162_193
.LBB162_178:
	s_or_b64 exec, exec, s[0:1]
	v_cmp_gt_i32_e32 vcc, s33, v0
	s_and_saveexec_b64 s[0:1], vcc
	s_cbranch_execnz .LBB162_194
.LBB162_179:
	s_or_b64 exec, exec, s[0:1]
	v_cmp_gt_i32_e32 vcc, s33, v0
	s_and_saveexec_b64 s[0:1], vcc
	s_cbranch_execz .LBB162_195
.LBB162_180:
	v_add_u32_e32 v0, s6, v0
	global_store_byte v0, v5, s[8:9]
	s_endpgm
.LBB162_181:
	v_add_u32_e32 v1, s6, v0
	v_add_u32_e32 v0, 0x100, v0
	global_store_byte v1, v18, s[8:9]
	s_or_b64 exec, exec, s[0:1]
	v_cmp_gt_i32_e32 vcc, s33, v0
	s_and_saveexec_b64 s[0:1], vcc
	s_cbranch_execz .LBB162_167
.LBB162_182:
	v_add_u32_e32 v1, s6, v0
	v_add_u32_e32 v0, 0x100, v0
	global_store_byte v1, v2, s[8:9]
	s_or_b64 exec, exec, s[0:1]
	v_cmp_gt_i32_e32 vcc, s33, v0
	s_and_saveexec_b64 s[0:1], vcc
	s_cbranch_execz .LBB162_168
.LBB162_183:
	v_add_u32_e32 v1, s6, v0
	v_add_u32_e32 v0, 0x100, v0
	global_store_byte v1, v15, s[8:9]
	s_or_b64 exec, exec, s[0:1]
	v_cmp_gt_i32_e32 vcc, s33, v0
	s_and_saveexec_b64 s[0:1], vcc
	s_cbranch_execz .LBB162_169
.LBB162_184:
	v_add_u32_e32 v1, s6, v0
	v_add_u32_e32 v0, 0x100, v0
	global_store_byte v1, v19, s[8:9]
	s_or_b64 exec, exec, s[0:1]
	v_cmp_gt_i32_e32 vcc, s33, v0
	s_and_saveexec_b64 s[0:1], vcc
	s_cbranch_execz .LBB162_170
.LBB162_185:
	v_add_u32_e32 v1, s6, v0
	v_add_u32_e32 v0, 0x100, v0
	global_store_byte v1, v30, s[8:9]
	s_or_b64 exec, exec, s[0:1]
	v_cmp_gt_i32_e32 vcc, s33, v0
	s_and_saveexec_b64 s[0:1], vcc
	s_cbranch_execz .LBB162_171
.LBB162_186:
	v_add_u32_e32 v1, s6, v0
	v_add_u32_e32 v0, 0x100, v0
	global_store_byte v1, v14, s[8:9]
	s_or_b64 exec, exec, s[0:1]
	v_cmp_gt_i32_e32 vcc, s33, v0
	s_and_saveexec_b64 s[0:1], vcc
	s_cbranch_execz .LBB162_172
.LBB162_187:
	v_add_u32_e32 v1, s6, v0
	v_add_u32_e32 v0, 0x100, v0
	global_store_byte v1, v13, s[8:9]
	s_or_b64 exec, exec, s[0:1]
	v_cmp_gt_i32_e32 vcc, s33, v0
	s_and_saveexec_b64 s[0:1], vcc
	s_cbranch_execz .LBB162_173
.LBB162_188:
	v_add_u32_e32 v1, s6, v0
	v_add_u32_e32 v0, 0x100, v0
	global_store_byte v1, v12, s[8:9]
	s_or_b64 exec, exec, s[0:1]
	v_cmp_gt_i32_e32 vcc, s33, v0
	s_and_saveexec_b64 s[0:1], vcc
	s_cbranch_execz .LBB162_174
.LBB162_189:
	v_add_u32_e32 v1, s6, v0
	v_add_u32_e32 v0, 0x100, v0
	global_store_byte v1, v11, s[8:9]
	s_or_b64 exec, exec, s[0:1]
	v_cmp_gt_i32_e32 vcc, s33, v0
	s_and_saveexec_b64 s[0:1], vcc
	s_cbranch_execz .LBB162_175
.LBB162_190:
	v_add_u32_e32 v1, s6, v0
	v_add_u32_e32 v0, 0x100, v0
	global_store_byte v1, v10, s[8:9]
	s_or_b64 exec, exec, s[0:1]
	v_cmp_gt_i32_e32 vcc, s33, v0
	s_and_saveexec_b64 s[0:1], vcc
	s_cbranch_execz .LBB162_176
.LBB162_191:
	v_add_u32_e32 v1, s6, v0
	v_add_u32_e32 v0, 0x100, v0
	global_store_byte v1, v9, s[8:9]
	s_or_b64 exec, exec, s[0:1]
	v_cmp_gt_i32_e32 vcc, s33, v0
	s_and_saveexec_b64 s[0:1], vcc
	s_cbranch_execz .LBB162_177
.LBB162_192:
	v_add_u32_e32 v1, s6, v0
	v_add_u32_e32 v0, 0x100, v0
	global_store_byte v1, v8, s[8:9]
	s_or_b64 exec, exec, s[0:1]
	v_cmp_gt_i32_e32 vcc, s33, v0
	s_and_saveexec_b64 s[0:1], vcc
	s_cbranch_execz .LBB162_178
.LBB162_193:
	v_add_u32_e32 v1, s6, v0
	v_add_u32_e32 v0, 0x100, v0
	global_store_byte v1, v7, s[8:9]
	s_or_b64 exec, exec, s[0:1]
	v_cmp_gt_i32_e32 vcc, s33, v0
	s_and_saveexec_b64 s[0:1], vcc
	s_cbranch_execz .LBB162_179
.LBB162_194:
	v_add_u32_e32 v1, s6, v0
	v_add_u32_e32 v0, 0x100, v0
	global_store_byte v1, v6, s[8:9]
	s_or_b64 exec, exec, s[0:1]
	v_cmp_gt_i32_e32 vcc, s33, v0
	s_and_saveexec_b64 s[0:1], vcc
	s_cbranch_execnz .LBB162_180
.LBB162_195:
	s_endpgm
.LBB162_196:
                                        ; implicit-def: $sgpr4_sgpr5
	s_branch .LBB162_3
.LBB162_197:
                                        ; implicit-def: $sgpr16_sgpr17
	s_branch .LBB162_6
.LBB162_198:
                                        ; implicit-def: $sgpr18_sgpr19
	s_branch .LBB162_9
.LBB162_199:
                                        ; implicit-def: $sgpr20_sgpr21
	s_branch .LBB162_12
.LBB162_200:
                                        ; implicit-def: $sgpr22_sgpr23
	s_branch .LBB162_15
.LBB162_201:
                                        ; implicit-def: $sgpr24_sgpr25
	s_branch .LBB162_18
.LBB162_202:
                                        ; implicit-def: $sgpr26_sgpr27
	s_branch .LBB162_21
.LBB162_203:
                                        ; implicit-def: $sgpr28_sgpr29
	s_branch .LBB162_24
.LBB162_204:
                                        ; implicit-def: $sgpr30_sgpr31
	s_branch .LBB162_27
.LBB162_205:
                                        ; implicit-def: $sgpr34_sgpr35
	s_branch .LBB162_30
.LBB162_206:
                                        ; implicit-def: $sgpr36_sgpr37
	s_branch .LBB162_33
.LBB162_207:
                                        ; implicit-def: $sgpr38_sgpr39
	s_branch .LBB162_36
.LBB162_208:
                                        ; implicit-def: $sgpr40_sgpr41
	s_branch .LBB162_39
.LBB162_209:
                                        ; implicit-def: $sgpr42_sgpr43
	s_branch .LBB162_42
.LBB162_210:
                                        ; implicit-def: $sgpr44_sgpr45
	s_branch .LBB162_45
.LBB162_211:
                                        ; implicit-def: $sgpr2_sgpr3
	s_branch .LBB162_48
.LBB162_212:
                                        ; implicit-def: $sgpr12_sgpr13
	s_branch .LBB162_86
.LBB162_213:
                                        ; implicit-def: $sgpr12_sgpr13
	s_branch .LBB162_91
.LBB162_214:
                                        ; implicit-def: $sgpr12_sgpr13
	s_branch .LBB162_96
.LBB162_215:
                                        ; implicit-def: $sgpr12_sgpr13
	s_branch .LBB162_101
.LBB162_216:
                                        ; implicit-def: $sgpr12_sgpr13
	s_branch .LBB162_106
.LBB162_217:
                                        ; implicit-def: $sgpr12_sgpr13
	s_branch .LBB162_111
.LBB162_218:
                                        ; implicit-def: $sgpr12_sgpr13
	s_branch .LBB162_116
.LBB162_219:
                                        ; implicit-def: $sgpr12_sgpr13
	s_branch .LBB162_121
.LBB162_220:
                                        ; implicit-def: $sgpr12_sgpr13
	s_branch .LBB162_126
.LBB162_221:
                                        ; implicit-def: $sgpr12_sgpr13
	s_branch .LBB162_131
.LBB162_222:
                                        ; implicit-def: $sgpr12_sgpr13
	s_branch .LBB162_136
.LBB162_223:
                                        ; implicit-def: $sgpr12_sgpr13
	s_branch .LBB162_141
.LBB162_224:
                                        ; implicit-def: $sgpr12_sgpr13
	s_branch .LBB162_146
.LBB162_225:
                                        ; implicit-def: $sgpr12_sgpr13
	s_branch .LBB162_151
.LBB162_226:
                                        ; implicit-def: $sgpr12_sgpr13
	s_branch .LBB162_156
.LBB162_227:
                                        ; implicit-def: $sgpr10_sgpr11
	s_branch .LBB162_161
	.section	.rodata,"a",@progbits
	.p2align	6, 0x0
	.amdhsa_kernel _ZN2at6native29vectorized_elementwise_kernelILi4ENS0_13BinaryFunctorIN3c107complexINS3_8BFloat16EEES6_bNS0_12_GLOBAL__N_116CompareEqFunctorIS6_EEEESt5arrayIPcLm3EEEEviT0_T1_
		.amdhsa_group_segment_fixed_size 0
		.amdhsa_private_segment_fixed_size 0
		.amdhsa_kernarg_size 32
		.amdhsa_user_sgpr_count 6
		.amdhsa_user_sgpr_private_segment_buffer 1
		.amdhsa_user_sgpr_dispatch_ptr 0
		.amdhsa_user_sgpr_queue_ptr 0
		.amdhsa_user_sgpr_kernarg_segment_ptr 1
		.amdhsa_user_sgpr_dispatch_id 0
		.amdhsa_user_sgpr_flat_scratch_init 0
		.amdhsa_user_sgpr_private_segment_size 0
		.amdhsa_uses_dynamic_stack 0
		.amdhsa_system_sgpr_private_segment_wavefront_offset 0
		.amdhsa_system_sgpr_workgroup_id_x 1
		.amdhsa_system_sgpr_workgroup_id_y 0
		.amdhsa_system_sgpr_workgroup_id_z 0
		.amdhsa_system_sgpr_workgroup_info 0
		.amdhsa_system_vgpr_workitem_id 0
		.amdhsa_next_free_vgpr 38
		.amdhsa_next_free_sgpr 46
		.amdhsa_reserve_vcc 1
		.amdhsa_reserve_flat_scratch 0
		.amdhsa_float_round_mode_32 0
		.amdhsa_float_round_mode_16_64 0
		.amdhsa_float_denorm_mode_32 3
		.amdhsa_float_denorm_mode_16_64 3
		.amdhsa_dx10_clamp 1
		.amdhsa_ieee_mode 1
		.amdhsa_fp16_overflow 0
		.amdhsa_exception_fp_ieee_invalid_op 0
		.amdhsa_exception_fp_denorm_src 0
		.amdhsa_exception_fp_ieee_div_zero 0
		.amdhsa_exception_fp_ieee_overflow 0
		.amdhsa_exception_fp_ieee_underflow 0
		.amdhsa_exception_fp_ieee_inexact 0
		.amdhsa_exception_int_div_zero 0
	.end_amdhsa_kernel
	.section	.text._ZN2at6native29vectorized_elementwise_kernelILi4ENS0_13BinaryFunctorIN3c107complexINS3_8BFloat16EEES6_bNS0_12_GLOBAL__N_116CompareEqFunctorIS6_EEEESt5arrayIPcLm3EEEEviT0_T1_,"axG",@progbits,_ZN2at6native29vectorized_elementwise_kernelILi4ENS0_13BinaryFunctorIN3c107complexINS3_8BFloat16EEES6_bNS0_12_GLOBAL__N_116CompareEqFunctorIS6_EEEESt5arrayIPcLm3EEEEviT0_T1_,comdat
.Lfunc_end162:
	.size	_ZN2at6native29vectorized_elementwise_kernelILi4ENS0_13BinaryFunctorIN3c107complexINS3_8BFloat16EEES6_bNS0_12_GLOBAL__N_116CompareEqFunctorIS6_EEEESt5arrayIPcLm3EEEEviT0_T1_, .Lfunc_end162-_ZN2at6native29vectorized_elementwise_kernelILi4ENS0_13BinaryFunctorIN3c107complexINS3_8BFloat16EEES6_bNS0_12_GLOBAL__N_116CompareEqFunctorIS6_EEEESt5arrayIPcLm3EEEEviT0_T1_
                                        ; -- End function
	.set _ZN2at6native29vectorized_elementwise_kernelILi4ENS0_13BinaryFunctorIN3c107complexINS3_8BFloat16EEES6_bNS0_12_GLOBAL__N_116CompareEqFunctorIS6_EEEESt5arrayIPcLm3EEEEviT0_T1_.num_vgpr, 38
	.set _ZN2at6native29vectorized_elementwise_kernelILi4ENS0_13BinaryFunctorIN3c107complexINS3_8BFloat16EEES6_bNS0_12_GLOBAL__N_116CompareEqFunctorIS6_EEEESt5arrayIPcLm3EEEEviT0_T1_.num_agpr, 0
	.set _ZN2at6native29vectorized_elementwise_kernelILi4ENS0_13BinaryFunctorIN3c107complexINS3_8BFloat16EEES6_bNS0_12_GLOBAL__N_116CompareEqFunctorIS6_EEEESt5arrayIPcLm3EEEEviT0_T1_.numbered_sgpr, 46
	.set _ZN2at6native29vectorized_elementwise_kernelILi4ENS0_13BinaryFunctorIN3c107complexINS3_8BFloat16EEES6_bNS0_12_GLOBAL__N_116CompareEqFunctorIS6_EEEESt5arrayIPcLm3EEEEviT0_T1_.num_named_barrier, 0
	.set _ZN2at6native29vectorized_elementwise_kernelILi4ENS0_13BinaryFunctorIN3c107complexINS3_8BFloat16EEES6_bNS0_12_GLOBAL__N_116CompareEqFunctorIS6_EEEESt5arrayIPcLm3EEEEviT0_T1_.private_seg_size, 0
	.set _ZN2at6native29vectorized_elementwise_kernelILi4ENS0_13BinaryFunctorIN3c107complexINS3_8BFloat16EEES6_bNS0_12_GLOBAL__N_116CompareEqFunctorIS6_EEEESt5arrayIPcLm3EEEEviT0_T1_.uses_vcc, 1
	.set _ZN2at6native29vectorized_elementwise_kernelILi4ENS0_13BinaryFunctorIN3c107complexINS3_8BFloat16EEES6_bNS0_12_GLOBAL__N_116CompareEqFunctorIS6_EEEESt5arrayIPcLm3EEEEviT0_T1_.uses_flat_scratch, 0
	.set _ZN2at6native29vectorized_elementwise_kernelILi4ENS0_13BinaryFunctorIN3c107complexINS3_8BFloat16EEES6_bNS0_12_GLOBAL__N_116CompareEqFunctorIS6_EEEESt5arrayIPcLm3EEEEviT0_T1_.has_dyn_sized_stack, 0
	.set _ZN2at6native29vectorized_elementwise_kernelILi4ENS0_13BinaryFunctorIN3c107complexINS3_8BFloat16EEES6_bNS0_12_GLOBAL__N_116CompareEqFunctorIS6_EEEESt5arrayIPcLm3EEEEviT0_T1_.has_recursion, 0
	.set _ZN2at6native29vectorized_elementwise_kernelILi4ENS0_13BinaryFunctorIN3c107complexINS3_8BFloat16EEES6_bNS0_12_GLOBAL__N_116CompareEqFunctorIS6_EEEESt5arrayIPcLm3EEEEviT0_T1_.has_indirect_call, 0
	.section	.AMDGPU.csdata,"",@progbits
; Kernel info:
; codeLenInByte = 7304
; TotalNumSgprs: 50
; NumVgprs: 38
; ScratchSize: 0
; MemoryBound: 0
; FloatMode: 240
; IeeeMode: 1
; LDSByteSize: 0 bytes/workgroup (compile time only)
; SGPRBlocks: 6
; VGPRBlocks: 9
; NumSGPRsForWavesPerEU: 50
; NumVGPRsForWavesPerEU: 38
; Occupancy: 6
; WaveLimiterHint : 1
; COMPUTE_PGM_RSRC2:SCRATCH_EN: 0
; COMPUTE_PGM_RSRC2:USER_SGPR: 6
; COMPUTE_PGM_RSRC2:TRAP_HANDLER: 0
; COMPUTE_PGM_RSRC2:TGID_X_EN: 1
; COMPUTE_PGM_RSRC2:TGID_Y_EN: 0
; COMPUTE_PGM_RSRC2:TGID_Z_EN: 0
; COMPUTE_PGM_RSRC2:TIDIG_COMP_CNT: 0
	.section	.text._ZN2at6native29vectorized_elementwise_kernelILi2ENS0_13BinaryFunctorIN3c107complexINS3_8BFloat16EEES6_bNS0_12_GLOBAL__N_116CompareEqFunctorIS6_EEEESt5arrayIPcLm3EEEEviT0_T1_,"axG",@progbits,_ZN2at6native29vectorized_elementwise_kernelILi2ENS0_13BinaryFunctorIN3c107complexINS3_8BFloat16EEES6_bNS0_12_GLOBAL__N_116CompareEqFunctorIS6_EEEESt5arrayIPcLm3EEEEviT0_T1_,comdat
	.globl	_ZN2at6native29vectorized_elementwise_kernelILi2ENS0_13BinaryFunctorIN3c107complexINS3_8BFloat16EEES6_bNS0_12_GLOBAL__N_116CompareEqFunctorIS6_EEEESt5arrayIPcLm3EEEEviT0_T1_ ; -- Begin function _ZN2at6native29vectorized_elementwise_kernelILi2ENS0_13BinaryFunctorIN3c107complexINS3_8BFloat16EEES6_bNS0_12_GLOBAL__N_116CompareEqFunctorIS6_EEEESt5arrayIPcLm3EEEEviT0_T1_
	.p2align	8
	.type	_ZN2at6native29vectorized_elementwise_kernelILi2ENS0_13BinaryFunctorIN3c107complexINS3_8BFloat16EEES6_bNS0_12_GLOBAL__N_116CompareEqFunctorIS6_EEEESt5arrayIPcLm3EEEEviT0_T1_,@function
_ZN2at6native29vectorized_elementwise_kernelILi2ENS0_13BinaryFunctorIN3c107complexINS3_8BFloat16EEES6_bNS0_12_GLOBAL__N_116CompareEqFunctorIS6_EEEESt5arrayIPcLm3EEEEviT0_T1_: ; @_ZN2at6native29vectorized_elementwise_kernelILi2ENS0_13BinaryFunctorIN3c107complexINS3_8BFloat16EEES6_bNS0_12_GLOBAL__N_116CompareEqFunctorIS6_EEEESt5arrayIPcLm3EEEEviT0_T1_
; %bb.0:
	s_load_dwordx2 s[12:13], s[4:5], 0x0
	s_load_dwordx4 s[8:11], s[4:5], 0x8
	s_load_dwordx2 s[14:15], s[4:5], 0x18
	s_lshl_b32 s6, s6, 12
	s_mov_b64 s[0:1], -1
	s_waitcnt lgkmcnt(0)
	s_sub_i32 s33, s12, s6
	s_cmpk_gt_i32 s33, 0xfff
	s_cbranch_scc0 .LBB163_50
; %bb.1:
	s_ashr_i32 s7, s6, 31
	s_lshl_b64 s[0:1], s[6:7], 2
	s_add_u32 s2, s10, s0
	s_addc_u32 s3, s11, s1
	v_lshlrev_b32_e32 v7, 3, v0
	v_mov_b32_e32 v1, s3
	v_add_co_u32_e32 v5, vcc, s2, v7
	v_addc_co_u32_e32 v6, vcc, 0, v1, vcc
	v_add_co_u32_e32 v1, vcc, 0x1000, v5
	v_addc_co_u32_e32 v2, vcc, 0, v6, vcc
	;; [unrolled: 2-line block ×3, first 2 shown]
	global_load_dwordx2 v[21:22], v[1:2], off
	global_load_dwordx2 v[17:18], v[1:2], off offset:2048
	global_load_dwordx2 v[13:14], v[3:4], off
	global_load_dwordx2 v[9:10], v[3:4], off offset:2048
	v_add_co_u32_e32 v3, vcc, 0x3000, v5
	s_add_u32 s0, s14, s0
	v_addc_co_u32_e32 v4, vcc, 0, v6, vcc
	s_addc_u32 s1, s15, s1
	global_load_dwordx2 v[5:6], v[3:4], off
	global_load_dwordx2 v[1:2], v[3:4], off offset:2048
	v_mov_b32_e32 v3, s1
	v_add_co_u32_e32 v33, vcc, s0, v7
	s_movk_i32 s4, 0x1000
	v_addc_co_u32_e32 v34, vcc, 0, v3, vcc
	v_add_co_u32_e32 v3, vcc, s4, v33
	v_addc_co_u32_e32 v4, vcc, 0, v34, vcc
	global_load_dwordx2 v[29:30], v7, s[2:3]
	global_load_dwordx2 v[25:26], v7, s[2:3] offset:2048
	global_load_dwordx2 v[31:32], v7, s[0:1]
	global_load_dwordx2 v[27:28], v7, s[0:1] offset:2048
	v_add_co_u32_e32 v7, vcc, 0x2000, v33
	v_addc_co_u32_e32 v8, vcc, 0, v34, vcc
	global_load_dwordx2 v[23:24], v[3:4], off
	global_load_dwordx2 v[19:20], v[3:4], off offset:2048
	global_load_dwordx2 v[15:16], v[7:8], off
	global_load_dwordx2 v[11:12], v[7:8], off offset:2048
	v_add_co_u32_e32 v33, vcc, 0x3000, v33
	v_addc_co_u32_e32 v34, vcc, 0, v34, vcc
	global_load_dwordx2 v[7:8], v[33:34], off
	global_load_dwordx2 v[3:4], v[33:34], off offset:2048
	s_cmp_lg_u32 s13, 0
	s_cselect_b64 s[2:3], -1, 0
	s_and_b64 vcc, exec, s[2:3]
	s_waitcnt vmcnt(9)
	v_lshlrev_b32_e32 v33, 16, v29
	s_waitcnt vmcnt(7)
	v_lshlrev_b32_e32 v34, 16, v31
	s_cbranch_vccz .LBB163_196
; %bb.2:
	v_and_b32_e32 v35, 0xffff0000, v29
	v_and_b32_e32 v36, 0xffff0000, v31
	v_cmp_neq_f32_e32 vcc, v33, v34
	v_cmp_neq_f32_e64 s[0:1], v35, v36
	s_or_b64 s[4:5], vcc, s[0:1]
	s_cbranch_execnz .LBB163_4
.LBB163_3:
	v_and_b32_e32 v31, 0xffff0000, v31
	v_and_b32_e32 v29, 0xffff0000, v29
	v_cmp_eq_f32_e32 vcc, v33, v34
	v_cmp_eq_f32_e64 s[0:1], v29, v31
	s_and_b64 s[0:1], vcc, s[0:1]
	s_andn2_b64 s[4:5], s[4:5], exec
	s_and_b64 s[0:1], s[0:1], exec
	s_or_b64 s[4:5], s[4:5], s[0:1]
.LBB163_4:
	v_cndmask_b32_e64 v29, 0, 1, s[2:3]
	v_cmp_ne_u32_e64 s[0:1], 1, v29
	s_andn2_b64 vcc, exec, s[2:3]
	v_lshlrev_b32_e32 v29, 16, v30
	v_lshlrev_b32_e32 v31, 16, v32
	s_cbranch_vccnz .LBB163_197
; %bb.5:
	v_and_b32_e32 v33, 0xffff0000, v30
	v_and_b32_e32 v34, 0xffff0000, v32
	v_cmp_neq_f32_e32 vcc, v29, v31
	v_cmp_neq_f32_e64 s[2:3], v33, v34
	s_or_b64 s[16:17], vcc, s[2:3]
	s_cbranch_execnz .LBB163_7
.LBB163_6:
	v_and_b32_e32 v32, 0xffff0000, v32
	v_and_b32_e32 v30, 0xffff0000, v30
	v_cmp_eq_f32_e32 vcc, v29, v31
	v_cmp_eq_f32_e64 s[2:3], v30, v32
	s_and_b64 s[2:3], vcc, s[2:3]
	s_andn2_b64 s[16:17], s[16:17], exec
	s_and_b64 s[2:3], s[2:3], exec
	s_or_b64 s[16:17], s[16:17], s[2:3]
.LBB163_7:
	s_and_b64 vcc, exec, s[0:1]
	v_lshlrev_b32_e32 v29, 16, v25
	s_waitcnt vmcnt(6)
	v_lshlrev_b32_e32 v30, 16, v27
	s_cbranch_vccnz .LBB163_198
; %bb.8:
	v_and_b32_e32 v31, 0xffff0000, v25
	v_and_b32_e32 v32, 0xffff0000, v27
	v_cmp_neq_f32_e32 vcc, v29, v30
	v_cmp_neq_f32_e64 s[2:3], v31, v32
	s_or_b64 s[18:19], vcc, s[2:3]
	s_cbranch_execnz .LBB163_10
.LBB163_9:
	v_and_b32_e32 v27, 0xffff0000, v27
	v_and_b32_e32 v25, 0xffff0000, v25
	v_cmp_eq_f32_e32 vcc, v29, v30
	v_cmp_eq_f32_e64 s[2:3], v25, v27
	s_and_b64 s[2:3], vcc, s[2:3]
	s_andn2_b64 s[18:19], s[18:19], exec
	s_and_b64 s[2:3], s[2:3], exec
	s_or_b64 s[18:19], s[18:19], s[2:3]
.LBB163_10:
	s_and_b64 vcc, exec, s[0:1]
	v_lshlrev_b32_e32 v25, 16, v26
	v_lshlrev_b32_e32 v27, 16, v28
	s_cbranch_vccnz .LBB163_199
; %bb.11:
	v_and_b32_e32 v29, 0xffff0000, v26
	v_and_b32_e32 v30, 0xffff0000, v28
	v_cmp_neq_f32_e32 vcc, v25, v27
	v_cmp_neq_f32_e64 s[2:3], v29, v30
	s_or_b64 s[20:21], vcc, s[2:3]
	s_cbranch_execnz .LBB163_13
.LBB163_12:
	v_and_b32_e32 v28, 0xffff0000, v28
	v_and_b32_e32 v26, 0xffff0000, v26
	v_cmp_eq_f32_e32 vcc, v25, v27
	v_cmp_eq_f32_e64 s[2:3], v26, v28
	s_and_b64 s[2:3], vcc, s[2:3]
	s_andn2_b64 s[20:21], s[20:21], exec
	s_and_b64 s[2:3], s[2:3], exec
	s_or_b64 s[20:21], s[20:21], s[2:3]
.LBB163_13:
	s_and_b64 vcc, exec, s[0:1]
	v_lshlrev_b32_e32 v25, 16, v21
	s_waitcnt vmcnt(5)
	v_lshlrev_b32_e32 v26, 16, v23
	s_cbranch_vccnz .LBB163_200
; %bb.14:
	v_and_b32_e32 v27, 0xffff0000, v21
	v_and_b32_e32 v28, 0xffff0000, v23
	v_cmp_neq_f32_e32 vcc, v25, v26
	v_cmp_neq_f32_e64 s[2:3], v27, v28
	s_or_b64 s[22:23], vcc, s[2:3]
	s_cbranch_execnz .LBB163_16
.LBB163_15:
	v_and_b32_e32 v23, 0xffff0000, v23
	v_and_b32_e32 v21, 0xffff0000, v21
	v_cmp_eq_f32_e32 vcc, v25, v26
	v_cmp_eq_f32_e64 s[2:3], v21, v23
	s_and_b64 s[2:3], vcc, s[2:3]
	s_andn2_b64 s[22:23], s[22:23], exec
	s_and_b64 s[2:3], s[2:3], exec
	s_or_b64 s[22:23], s[22:23], s[2:3]
.LBB163_16:
	s_and_b64 vcc, exec, s[0:1]
	v_lshlrev_b32_e32 v21, 16, v22
	v_lshlrev_b32_e32 v23, 16, v24
	s_cbranch_vccnz .LBB163_201
; %bb.17:
	v_and_b32_e32 v25, 0xffff0000, v22
	v_and_b32_e32 v26, 0xffff0000, v24
	v_cmp_neq_f32_e32 vcc, v21, v23
	v_cmp_neq_f32_e64 s[2:3], v25, v26
	s_or_b64 s[24:25], vcc, s[2:3]
	s_cbranch_execnz .LBB163_19
.LBB163_18:
	v_and_b32_e32 v24, 0xffff0000, v24
	v_and_b32_e32 v22, 0xffff0000, v22
	v_cmp_eq_f32_e32 vcc, v21, v23
	v_cmp_eq_f32_e64 s[2:3], v22, v24
	s_and_b64 s[2:3], vcc, s[2:3]
	s_andn2_b64 s[24:25], s[24:25], exec
	s_and_b64 s[2:3], s[2:3], exec
	s_or_b64 s[24:25], s[24:25], s[2:3]
.LBB163_19:
	s_and_b64 vcc, exec, s[0:1]
	v_lshlrev_b32_e32 v21, 16, v17
	s_waitcnt vmcnt(4)
	v_lshlrev_b32_e32 v22, 16, v19
	s_cbranch_vccnz .LBB163_202
; %bb.20:
	v_and_b32_e32 v23, 0xffff0000, v17
	v_and_b32_e32 v24, 0xffff0000, v19
	v_cmp_neq_f32_e32 vcc, v21, v22
	v_cmp_neq_f32_e64 s[2:3], v23, v24
	s_or_b64 s[26:27], vcc, s[2:3]
	s_cbranch_execnz .LBB163_22
.LBB163_21:
	v_and_b32_e32 v19, 0xffff0000, v19
	v_and_b32_e32 v17, 0xffff0000, v17
	v_cmp_eq_f32_e32 vcc, v21, v22
	v_cmp_eq_f32_e64 s[2:3], v17, v19
	s_and_b64 s[2:3], vcc, s[2:3]
	s_andn2_b64 s[26:27], s[26:27], exec
	s_and_b64 s[2:3], s[2:3], exec
	s_or_b64 s[26:27], s[26:27], s[2:3]
.LBB163_22:
	s_and_b64 vcc, exec, s[0:1]
	v_lshlrev_b32_e32 v17, 16, v18
	v_lshlrev_b32_e32 v19, 16, v20
	s_cbranch_vccnz .LBB163_203
; %bb.23:
	v_and_b32_e32 v21, 0xffff0000, v18
	v_and_b32_e32 v22, 0xffff0000, v20
	v_cmp_neq_f32_e32 vcc, v17, v19
	v_cmp_neq_f32_e64 s[2:3], v21, v22
	s_or_b64 s[28:29], vcc, s[2:3]
	s_cbranch_execnz .LBB163_25
.LBB163_24:
	v_and_b32_e32 v20, 0xffff0000, v20
	v_and_b32_e32 v18, 0xffff0000, v18
	v_cmp_eq_f32_e32 vcc, v17, v19
	v_cmp_eq_f32_e64 s[2:3], v18, v20
	s_and_b64 s[2:3], vcc, s[2:3]
	s_andn2_b64 s[28:29], s[28:29], exec
	s_and_b64 s[2:3], s[2:3], exec
	s_or_b64 s[28:29], s[28:29], s[2:3]
.LBB163_25:
	s_and_b64 vcc, exec, s[0:1]
	v_lshlrev_b32_e32 v17, 16, v13
	s_waitcnt vmcnt(3)
	v_lshlrev_b32_e32 v18, 16, v15
	s_cbranch_vccnz .LBB163_204
; %bb.26:
	v_and_b32_e32 v19, 0xffff0000, v13
	v_and_b32_e32 v20, 0xffff0000, v15
	v_cmp_neq_f32_e32 vcc, v17, v18
	v_cmp_neq_f32_e64 s[2:3], v19, v20
	s_or_b64 s[30:31], vcc, s[2:3]
	s_cbranch_execnz .LBB163_28
.LBB163_27:
	v_and_b32_e32 v15, 0xffff0000, v15
	v_and_b32_e32 v13, 0xffff0000, v13
	v_cmp_eq_f32_e32 vcc, v17, v18
	v_cmp_eq_f32_e64 s[2:3], v13, v15
	s_and_b64 s[2:3], vcc, s[2:3]
	s_andn2_b64 s[30:31], s[30:31], exec
	s_and_b64 s[2:3], s[2:3], exec
	s_or_b64 s[30:31], s[30:31], s[2:3]
.LBB163_28:
	s_and_b64 vcc, exec, s[0:1]
	v_lshlrev_b32_e32 v13, 16, v14
	v_lshlrev_b32_e32 v15, 16, v16
	s_cbranch_vccnz .LBB163_205
; %bb.29:
	v_and_b32_e32 v17, 0xffff0000, v14
	v_and_b32_e32 v18, 0xffff0000, v16
	v_cmp_neq_f32_e32 vcc, v13, v15
	v_cmp_neq_f32_e64 s[2:3], v17, v18
	s_or_b64 s[34:35], vcc, s[2:3]
	s_cbranch_execnz .LBB163_31
.LBB163_30:
	v_and_b32_e32 v16, 0xffff0000, v16
	v_and_b32_e32 v14, 0xffff0000, v14
	v_cmp_eq_f32_e32 vcc, v13, v15
	v_cmp_eq_f32_e64 s[2:3], v14, v16
	s_and_b64 s[2:3], vcc, s[2:3]
	s_andn2_b64 s[34:35], s[34:35], exec
	s_and_b64 s[2:3], s[2:3], exec
	s_or_b64 s[34:35], s[34:35], s[2:3]
.LBB163_31:
	s_and_b64 vcc, exec, s[0:1]
	v_lshlrev_b32_e32 v13, 16, v9
	s_waitcnt vmcnt(2)
	v_lshlrev_b32_e32 v14, 16, v11
	s_cbranch_vccnz .LBB163_206
; %bb.32:
	v_and_b32_e32 v15, 0xffff0000, v9
	v_and_b32_e32 v16, 0xffff0000, v11
	v_cmp_neq_f32_e32 vcc, v13, v14
	v_cmp_neq_f32_e64 s[2:3], v15, v16
	s_or_b64 s[36:37], vcc, s[2:3]
	s_cbranch_execnz .LBB163_34
.LBB163_33:
	v_and_b32_e32 v11, 0xffff0000, v11
	v_and_b32_e32 v9, 0xffff0000, v9
	v_cmp_eq_f32_e32 vcc, v13, v14
	v_cmp_eq_f32_e64 s[2:3], v9, v11
	s_and_b64 s[2:3], vcc, s[2:3]
	s_andn2_b64 s[36:37], s[36:37], exec
	s_and_b64 s[2:3], s[2:3], exec
	s_or_b64 s[36:37], s[36:37], s[2:3]
.LBB163_34:
	s_and_b64 vcc, exec, s[0:1]
	v_lshlrev_b32_e32 v9, 16, v10
	v_lshlrev_b32_e32 v11, 16, v12
	s_cbranch_vccnz .LBB163_207
; %bb.35:
	v_and_b32_e32 v13, 0xffff0000, v10
	v_and_b32_e32 v14, 0xffff0000, v12
	v_cmp_neq_f32_e32 vcc, v9, v11
	v_cmp_neq_f32_e64 s[2:3], v13, v14
	s_or_b64 s[38:39], vcc, s[2:3]
	s_cbranch_execnz .LBB163_37
.LBB163_36:
	v_and_b32_e32 v12, 0xffff0000, v12
	v_and_b32_e32 v10, 0xffff0000, v10
	v_cmp_eq_f32_e32 vcc, v9, v11
	v_cmp_eq_f32_e64 s[2:3], v10, v12
	s_and_b64 s[2:3], vcc, s[2:3]
	s_andn2_b64 s[38:39], s[38:39], exec
	s_and_b64 s[2:3], s[2:3], exec
	s_or_b64 s[38:39], s[38:39], s[2:3]
.LBB163_37:
	s_and_b64 vcc, exec, s[0:1]
	v_lshlrev_b32_e32 v9, 16, v5
	s_waitcnt vmcnt(1)
	v_lshlrev_b32_e32 v10, 16, v7
	s_cbranch_vccnz .LBB163_208
; %bb.38:
	v_and_b32_e32 v11, 0xffff0000, v5
	v_and_b32_e32 v12, 0xffff0000, v7
	v_cmp_neq_f32_e32 vcc, v9, v10
	v_cmp_neq_f32_e64 s[2:3], v11, v12
	s_or_b64 s[40:41], vcc, s[2:3]
	s_cbranch_execnz .LBB163_40
.LBB163_39:
	v_and_b32_e32 v7, 0xffff0000, v7
	v_and_b32_e32 v5, 0xffff0000, v5
	v_cmp_eq_f32_e32 vcc, v9, v10
	v_cmp_eq_f32_e64 s[2:3], v5, v7
	s_and_b64 s[2:3], vcc, s[2:3]
	s_andn2_b64 s[40:41], s[40:41], exec
	s_and_b64 s[2:3], s[2:3], exec
	s_or_b64 s[40:41], s[40:41], s[2:3]
.LBB163_40:
	s_and_b64 vcc, exec, s[0:1]
	v_lshlrev_b32_e32 v5, 16, v6
	v_lshlrev_b32_e32 v7, 16, v8
	s_cbranch_vccnz .LBB163_209
; %bb.41:
	v_and_b32_e32 v9, 0xffff0000, v6
	v_and_b32_e32 v10, 0xffff0000, v8
	v_cmp_neq_f32_e32 vcc, v5, v7
	v_cmp_neq_f32_e64 s[2:3], v9, v10
	s_or_b64 s[42:43], vcc, s[2:3]
	s_cbranch_execnz .LBB163_43
.LBB163_42:
	v_and_b32_e32 v8, 0xffff0000, v8
	v_and_b32_e32 v6, 0xffff0000, v6
	v_cmp_eq_f32_e32 vcc, v5, v7
	v_cmp_eq_f32_e64 s[2:3], v6, v8
	s_and_b64 s[2:3], vcc, s[2:3]
	s_andn2_b64 s[42:43], s[42:43], exec
	s_and_b64 s[2:3], s[2:3], exec
	s_or_b64 s[42:43], s[42:43], s[2:3]
.LBB163_43:
	s_and_b64 vcc, exec, s[0:1]
	v_lshlrev_b32_e32 v5, 16, v1
	s_waitcnt vmcnt(0)
	v_lshlrev_b32_e32 v6, 16, v3
	s_cbranch_vccnz .LBB163_210
; %bb.44:
	v_and_b32_e32 v7, 0xffff0000, v1
	v_and_b32_e32 v8, 0xffff0000, v3
	v_cmp_neq_f32_e32 vcc, v5, v6
	v_cmp_neq_f32_e64 s[2:3], v7, v8
	s_or_b64 s[44:45], vcc, s[2:3]
	s_cbranch_execnz .LBB163_46
.LBB163_45:
	v_and_b32_e32 v3, 0xffff0000, v3
	v_and_b32_e32 v1, 0xffff0000, v1
	v_cmp_eq_f32_e32 vcc, v5, v6
	v_cmp_eq_f32_e64 s[2:3], v1, v3
	s_and_b64 s[2:3], vcc, s[2:3]
	s_andn2_b64 s[44:45], s[44:45], exec
	s_and_b64 s[2:3], s[2:3], exec
	s_or_b64 s[44:45], s[44:45], s[2:3]
.LBB163_46:
	s_and_b64 vcc, exec, s[0:1]
	v_lshlrev_b32_e32 v1, 16, v2
	v_lshlrev_b32_e32 v3, 16, v4
	s_cbranch_vccnz .LBB163_211
; %bb.47:
	v_and_b32_e32 v5, 0xffff0000, v2
	v_and_b32_e32 v6, 0xffff0000, v4
	v_cmp_neq_f32_e32 vcc, v1, v3
	v_cmp_neq_f32_e64 s[0:1], v5, v6
	s_or_b64 s[2:3], vcc, s[0:1]
	s_cbranch_execnz .LBB163_49
.LBB163_48:
	v_and_b32_e32 v4, 0xffff0000, v4
	v_and_b32_e32 v2, 0xffff0000, v2
	v_cmp_eq_f32_e32 vcc, v1, v3
	v_cmp_eq_f32_e64 s[0:1], v2, v4
	s_and_b64 s[0:1], vcc, s[0:1]
	s_andn2_b64 s[2:3], s[2:3], exec
	s_and_b64 s[0:1], s[0:1], exec
	s_or_b64 s[2:3], s[2:3], s[0:1]
.LBB163_49:
	v_mov_b32_e32 v3, 0x100
	v_cndmask_b32_e64 v2, 0, 1, s[40:41]
	v_cndmask_b32_e64 v4, 0, v3, s[42:43]
	v_or_b32_e32 v2, v4, v2
	v_cndmask_b32_e64 v4, 0, 1, s[36:37]
	v_cndmask_b32_e64 v5, 0, v3, s[38:39]
	v_or_b32_e32 v4, v5, v4
	;; [unrolled: 3-line block ×5, first 2 shown]
	v_cndmask_b32_e64 v8, 0, 1, s[18:19]
	v_cndmask_b32_e64 v9, 0, v3, s[20:21]
	;; [unrolled: 1-line block ×3, first 2 shown]
	v_or_b32_e32 v8, v9, v8
	v_cndmask_b32_e64 v9, 0, 1, s[4:5]
	v_cndmask_b32_e64 v10, 0, v3, s[16:17]
	;; [unrolled: 1-line block ×3, first 2 shown]
	s_add_u32 s0, s8, s6
	v_or_b32_e32 v9, v10, v9
	v_or_b32_e32 v1, v3, v1
	s_addc_u32 s1, s9, s7
	v_lshlrev_b32_e32 v3, 1, v0
	global_store_short v3, v9, s[0:1]
	global_store_short v3, v8, s[0:1] offset:512
	global_store_short v3, v7, s[0:1] offset:1024
	;; [unrolled: 1-line block ×7, first 2 shown]
	s_mov_b64 s[0:1], 0
.LBB163_50:
	s_and_b64 vcc, exec, s[0:1]
	s_cbranch_vccz .LBB163_195
; %bb.51:
	v_cmp_gt_i32_e64 s[0:1], s33, v0
	v_mov_b32_e32 v3, 0
	v_or_b32_e32 v1, s6, v0
	v_mov_b32_e32 v20, 0
	v_mov_b32_e32 v21, 0
	;; [unrolled: 1-line block ×31, first 2 shown]
	s_and_saveexec_b64 s[2:3], s[0:1]
	s_cbranch_execz .LBB163_83
; %bb.52:
	v_mov_b32_e32 v2, 0
	v_lshlrev_b64 v[3:4], 2, v[1:2]
	v_mov_b32_e32 v6, s11
	v_add_co_u32_e32 v5, vcc, s10, v3
	v_addc_co_u32_e32 v6, vcc, v6, v4, vcc
	global_load_dword v36, v[5:6], off
	v_mov_b32_e32 v5, s15
	v_add_co_u32_e32 v3, vcc, s14, v3
	v_addc_co_u32_e32 v4, vcc, v5, v4, vcc
	global_load_dword v37, v[3:4], off
	v_or_b32_e32 v3, 0x100, v0
	v_cmp_gt_u32_e32 vcc, s33, v3
	v_mov_b32_e32 v35, v2
	v_mov_b32_e32 v15, v2
	;; [unrolled: 1-line block ×29, first 2 shown]
	s_and_saveexec_b64 s[4:5], vcc
	s_cbranch_execz .LBB163_82
; %bb.53:
	v_add_u32_e32 v14, s6, v0
	v_mov_b32_e32 v15, 0
	v_lshlrev_b64 v[2:3], 2, v[14:15]
	v_mov_b32_e32 v4, s11
	v_add_co_u32_e32 v16, vcc, s10, v2
	v_addc_co_u32_e32 v17, vcc, v4, v3, vcc
	v_mov_b32_e32 v4, s15
	v_add_co_u32_e32 v18, vcc, s14, v2
	v_addc_co_u32_e32 v19, vcc, v4, v3, vcc
	global_load_dword v35, v[16:17], off offset:1024
	global_load_dword v2, v[18:19], off offset:1024
	v_or_b32_e32 v3, 0x200, v0
	v_cmp_gt_u32_e32 vcc, s33, v3
	v_mov_b32_e32 v34, v15
	v_mov_b32_e32 v32, v15
	;; [unrolled: 1-line block ×27, first 2 shown]
	s_and_saveexec_b64 s[16:17], vcc
	s_cbranch_execz .LBB163_81
; %bb.54:
	global_load_dword v34, v[16:17], off offset:2048
	global_load_dword v15, v[18:19], off offset:2048
	v_or_b32_e32 v3, 0x300, v0
	v_cmp_gt_u32_e32 vcc, s33, v3
	v_mov_b32_e32 v32, 0
	v_mov_b32_e32 v33, 0
	;; [unrolled: 1-line block ×26, first 2 shown]
	s_and_saveexec_b64 s[18:19], vcc
	s_cbranch_execz .LBB163_80
; %bb.55:
	global_load_dword v33, v[16:17], off offset:3072
	global_load_dword v32, v[18:19], off offset:3072
	v_or_b32_e32 v16, 0x400, v0
	v_cmp_gt_u32_e32 vcc, s33, v16
	v_mov_b32_e32 v31, 0
	v_mov_b32_e32 v30, 0
	;; [unrolled: 1-line block ×24, first 2 shown]
	s_and_saveexec_b64 s[20:21], vcc
	s_cbranch_execz .LBB163_79
; %bb.56:
	v_or_b32_e32 v13, s6, v16
	v_mov_b32_e32 v14, 0
	v_lshlrev_b64 v[3:4], 2, v[13:14]
	v_mov_b32_e32 v6, s11
	v_add_co_u32_e32 v5, vcc, s10, v3
	v_addc_co_u32_e32 v6, vcc, v6, v4, vcc
	global_load_dword v30, v[5:6], off
	v_mov_b32_e32 v5, s15
	v_add_co_u32_e32 v3, vcc, s14, v3
	v_addc_co_u32_e32 v4, vcc, v5, v4, vcc
	global_load_dword v31, v[3:4], off
	v_or_b32_e32 v16, 0x500, v0
	v_cmp_gt_u32_e32 vcc, s33, v16
	v_mov_b32_e32 v29, v14
	v_mov_b32_e32 v13, v14
	;; [unrolled: 1-line block ×21, first 2 shown]
	s_and_saveexec_b64 s[22:23], vcc
	s_cbranch_execz .LBB163_78
; %bb.57:
	v_or_b32_e32 v12, s6, v16
	v_mov_b32_e32 v13, 0
	v_lshlrev_b64 v[3:4], 2, v[12:13]
	v_mov_b32_e32 v6, s11
	v_add_co_u32_e32 v5, vcc, s10, v3
	v_addc_co_u32_e32 v6, vcc, v6, v4, vcc
	global_load_dword v29, v[5:6], off
	v_mov_b32_e32 v5, s15
	v_add_co_u32_e32 v3, vcc, s14, v3
	v_addc_co_u32_e32 v4, vcc, v5, v4, vcc
	global_load_dword v14, v[3:4], off
	v_or_b32_e32 v16, 0x600, v0
	v_cmp_gt_u32_e32 vcc, s33, v16
	v_mov_b32_e32 v28, v13
	v_mov_b32_e32 v12, v13
	v_mov_b32_e32 v27, v13
	v_mov_b32_e32 v11, v13
	v_mov_b32_e32 v26, v13
	v_mov_b32_e32 v10, v13
	v_mov_b32_e32 v25, v13
	v_mov_b32_e32 v9, v13
	v_mov_b32_e32 v24, v13
	v_mov_b32_e32 v8, v13
	v_mov_b32_e32 v23, v13
	v_mov_b32_e32 v7, v13
	v_mov_b32_e32 v22, v13
	v_mov_b32_e32 v6, v13
	v_mov_b32_e32 v21, v13
	v_mov_b32_e32 v5, v13
	v_mov_b32_e32 v20, v13
	v_mov_b32_e32 v4, v13
	v_mov_b32_e32 v3, v13
	s_and_saveexec_b64 s[24:25], vcc
	s_cbranch_execz .LBB163_77
; %bb.58:
	v_or_b32_e32 v11, s6, v16
	v_mov_b32_e32 v12, 0
	v_lshlrev_b64 v[3:4], 2, v[11:12]
	v_mov_b32_e32 v6, s11
	v_add_co_u32_e32 v5, vcc, s10, v3
	v_addc_co_u32_e32 v6, vcc, v6, v4, vcc
	global_load_dword v28, v[5:6], off
	v_mov_b32_e32 v5, s15
	v_add_co_u32_e32 v3, vcc, s14, v3
	v_addc_co_u32_e32 v4, vcc, v5, v4, vcc
	global_load_dword v13, v[3:4], off
	v_or_b32_e32 v16, 0x700, v0
	v_cmp_gt_u32_e32 vcc, s33, v16
	v_mov_b32_e32 v27, v12
	v_mov_b32_e32 v11, v12
	;; [unrolled: 1-line block ×17, first 2 shown]
	s_and_saveexec_b64 s[26:27], vcc
	s_cbranch_execz .LBB163_76
; %bb.59:
	v_or_b32_e32 v10, s6, v16
	v_mov_b32_e32 v11, 0
	v_lshlrev_b64 v[3:4], 2, v[10:11]
	v_mov_b32_e32 v6, s11
	v_add_co_u32_e32 v5, vcc, s10, v3
	v_addc_co_u32_e32 v6, vcc, v6, v4, vcc
	global_load_dword v27, v[5:6], off
	v_mov_b32_e32 v5, s15
	v_add_co_u32_e32 v3, vcc, s14, v3
	v_addc_co_u32_e32 v4, vcc, v5, v4, vcc
	global_load_dword v12, v[3:4], off
	v_or_b32_e32 v16, 0x800, v0
	v_cmp_gt_u32_e32 vcc, s33, v16
	v_mov_b32_e32 v26, v11
	v_mov_b32_e32 v10, v11
	;; [unrolled: 1-line block ×15, first 2 shown]
	s_and_saveexec_b64 s[28:29], vcc
	s_cbranch_execz .LBB163_75
; %bb.60:
	v_or_b32_e32 v9, s6, v16
	v_mov_b32_e32 v10, 0
	v_lshlrev_b64 v[3:4], 2, v[9:10]
	v_mov_b32_e32 v6, s11
	v_add_co_u32_e32 v5, vcc, s10, v3
	v_addc_co_u32_e32 v6, vcc, v6, v4, vcc
	global_load_dword v26, v[5:6], off
	v_mov_b32_e32 v5, s15
	v_add_co_u32_e32 v3, vcc, s14, v3
	v_addc_co_u32_e32 v4, vcc, v5, v4, vcc
	global_load_dword v11, v[3:4], off
	v_or_b32_e32 v16, 0x900, v0
	v_cmp_gt_u32_e32 vcc, s33, v16
	v_mov_b32_e32 v25, v10
	v_mov_b32_e32 v9, v10
	;; [unrolled: 1-line block ×13, first 2 shown]
	s_and_saveexec_b64 s[30:31], vcc
	s_cbranch_execz .LBB163_74
; %bb.61:
	v_or_b32_e32 v8, s6, v16
	v_mov_b32_e32 v9, 0
	v_lshlrev_b64 v[3:4], 2, v[8:9]
	v_mov_b32_e32 v6, s11
	v_add_co_u32_e32 v5, vcc, s10, v3
	v_addc_co_u32_e32 v6, vcc, v6, v4, vcc
	global_load_dword v25, v[5:6], off
	v_mov_b32_e32 v5, s15
	v_add_co_u32_e32 v3, vcc, s14, v3
	v_addc_co_u32_e32 v4, vcc, v5, v4, vcc
	global_load_dword v10, v[3:4], off
	v_or_b32_e32 v16, 0xa00, v0
	v_cmp_gt_u32_e32 vcc, s33, v16
	v_mov_b32_e32 v24, v9
	v_mov_b32_e32 v8, v9
	;; [unrolled: 1-line block ×11, first 2 shown]
	s_and_saveexec_b64 s[34:35], vcc
	s_cbranch_execz .LBB163_73
; %bb.62:
	v_or_b32_e32 v7, s6, v16
	v_mov_b32_e32 v8, 0
	v_lshlrev_b64 v[3:4], 2, v[7:8]
	v_mov_b32_e32 v6, s11
	v_add_co_u32_e32 v5, vcc, s10, v3
	v_addc_co_u32_e32 v6, vcc, v6, v4, vcc
	global_load_dword v24, v[5:6], off
	v_mov_b32_e32 v5, s15
	v_add_co_u32_e32 v3, vcc, s14, v3
	v_addc_co_u32_e32 v4, vcc, v5, v4, vcc
	global_load_dword v9, v[3:4], off
	v_or_b32_e32 v16, 0xb00, v0
	v_cmp_gt_u32_e32 vcc, s33, v16
	v_mov_b32_e32 v23, v8
	v_mov_b32_e32 v7, v8
	;; [unrolled: 1-line block ×9, first 2 shown]
	s_and_saveexec_b64 s[36:37], vcc
	s_cbranch_execz .LBB163_72
; %bb.63:
	v_or_b32_e32 v6, s6, v16
	v_mov_b32_e32 v7, 0
	v_lshlrev_b64 v[3:4], 2, v[6:7]
	v_mov_b32_e32 v6, s11
	v_add_co_u32_e32 v5, vcc, s10, v3
	v_addc_co_u32_e32 v6, vcc, v6, v4, vcc
	global_load_dword v23, v[5:6], off
	v_mov_b32_e32 v5, s15
	v_add_co_u32_e32 v3, vcc, s14, v3
	v_addc_co_u32_e32 v4, vcc, v5, v4, vcc
	global_load_dword v8, v[3:4], off
	v_or_b32_e32 v16, 0xc00, v0
	v_cmp_gt_u32_e32 vcc, s33, v16
	v_mov_b32_e32 v22, v7
	v_mov_b32_e32 v6, v7
	;; [unrolled: 1-line block ×7, first 2 shown]
	s_and_saveexec_b64 s[38:39], vcc
	s_cbranch_execz .LBB163_71
; %bb.64:
	v_or_b32_e32 v5, s6, v16
	v_mov_b32_e32 v6, 0
	v_lshlrev_b64 v[3:4], 2, v[5:6]
	v_mov_b32_e32 v5, s11
	v_add_co_u32_e32 v16, vcc, s10, v3
	v_addc_co_u32_e32 v17, vcc, v5, v4, vcc
	v_mov_b32_e32 v5, s15
	v_add_co_u32_e32 v3, vcc, s14, v3
	v_addc_co_u32_e32 v4, vcc, v5, v4, vcc
	global_load_dword v22, v[16:17], off
	global_load_dword v7, v[3:4], off
	v_or_b32_e32 v16, 0xd00, v0
	v_cmp_gt_u32_e32 vcc, s33, v16
	v_mov_b32_e32 v21, v6
	v_mov_b32_e32 v5, v6
	;; [unrolled: 1-line block ×5, first 2 shown]
	s_and_saveexec_b64 s[40:41], vcc
	s_cbranch_execz .LBB163_70
; %bb.65:
	v_add_u32_e32 v4, s6, v16
	v_mov_b32_e32 v5, 0
	v_lshlrev_b64 v[3:4], 2, v[4:5]
	v_mov_b32_e32 v6, s11
	v_add_co_u32_e32 v16, vcc, s10, v3
	v_addc_co_u32_e32 v17, vcc, v6, v4, vcc
	v_mov_b32_e32 v6, s15
	v_add_co_u32_e32 v3, vcc, s14, v3
	v_addc_co_u32_e32 v4, vcc, v6, v4, vcc
	global_load_dword v21, v[16:17], off
	global_load_dword v6, v[3:4], off
	v_or_b32_e32 v16, 0xe00, v0
	v_cmp_gt_u32_e32 vcc, s33, v16
	v_mov_b32_e32 v20, v5
	v_mov_b32_e32 v4, v5
	;; [unrolled: 1-line block ×3, first 2 shown]
	s_and_saveexec_b64 s[42:43], vcc
	s_cbranch_execz .LBB163_69
; %bb.66:
	v_add_u32_e32 v3, s6, v16
	v_mov_b32_e32 v4, 0
	v_lshlrev_b64 v[16:17], 2, v[3:4]
	v_mov_b32_e32 v3, s11
	v_add_co_u32_e32 v18, vcc, s10, v16
	v_addc_co_u32_e32 v19, vcc, v3, v17, vcc
	v_mov_b32_e32 v3, s15
	v_add_co_u32_e32 v16, vcc, s14, v16
	v_addc_co_u32_e32 v17, vcc, v3, v17, vcc
	global_load_dword v20, v[18:19], off
	global_load_dword v5, v[16:17], off
	v_or_b32_e32 v16, 0xf00, v0
	v_cmp_gt_u32_e32 vcc, s33, v16
	v_mov_b32_e32 v3, v4
	s_and_saveexec_b64 s[44:45], vcc
	s_cbranch_execz .LBB163_68
; %bb.67:
	v_add_u32_e32 v3, s6, v16
	v_mov_b32_e32 v4, 0
	v_lshlrev_b64 v[3:4], 2, v[3:4]
	v_mov_b32_e32 v17, s15
	v_add_co_u32_e32 v16, vcc, s14, v3
	v_addc_co_u32_e32 v17, vcc, v17, v4, vcc
	v_mov_b32_e32 v19, s11
	v_add_co_u32_e32 v18, vcc, s10, v3
	v_addc_co_u32_e32 v19, vcc, v19, v4, vcc
	global_load_dword v3, v[18:19], off
	global_load_dword v4, v[16:17], off
.LBB163_68:
	s_or_b64 exec, exec, s[44:45]
.LBB163_69:
	s_or_b64 exec, exec, s[42:43]
.LBB163_70:
	s_or_b64 exec, exec, s[40:41]
.LBB163_71:
	s_or_b64 exec, exec, s[38:39]
.LBB163_72:
	s_or_b64 exec, exec, s[36:37]
.LBB163_73:
	s_or_b64 exec, exec, s[34:35]
.LBB163_74:
	s_or_b64 exec, exec, s[30:31]
.LBB163_75:
	s_or_b64 exec, exec, s[28:29]
.LBB163_76:
	s_or_b64 exec, exec, s[26:27]
.LBB163_77:
	s_or_b64 exec, exec, s[24:25]
.LBB163_78:
	s_or_b64 exec, exec, s[22:23]
.LBB163_79:
	s_or_b64 exec, exec, s[20:21]
.LBB163_80:
	s_or_b64 exec, exec, s[18:19]
.LBB163_81:
	s_or_b64 exec, exec, s[16:17]
.LBB163_82:
	s_or_b64 exec, exec, s[4:5]
.LBB163_83:
	s_or_b64 exec, exec, s[2:3]
	s_cmp_lg_u32 s13, 0
	s_cselect_b64 s[4:5], -1, 0
                                        ; implicit-def: $vgpr16
	s_and_saveexec_b64 s[10:11], s[0:1]
	s_cbranch_execz .LBB163_88
; %bb.84:
	s_and_b64 vcc, exec, s[4:5]
	s_waitcnt vmcnt(1)
	v_lshlrev_b32_e32 v16, 16, v36
	s_waitcnt vmcnt(0)
	v_lshlrev_b32_e32 v17, 16, v37
	s_cbranch_vccz .LBB163_212
; %bb.85:
	v_and_b32_e32 v18, 0xffff0000, v36
	v_and_b32_e32 v19, 0xffff0000, v37
	v_cmp_neq_f32_e32 vcc, v16, v17
	v_cmp_neq_f32_e64 s[2:3], v18, v19
	s_or_b64 s[12:13], vcc, s[2:3]
	s_cbranch_execnz .LBB163_87
.LBB163_86:
	v_and_b32_e32 v18, 0xffff0000, v37
	v_and_b32_e32 v19, 0xffff0000, v36
	v_cmp_eq_f32_e32 vcc, v16, v17
	v_cmp_eq_f32_e64 s[2:3], v19, v18
	s_and_b64 s[2:3], vcc, s[2:3]
	s_andn2_b64 s[12:13], s[12:13], exec
	s_and_b64 s[2:3], s[2:3], exec
	s_or_b64 s[12:13], s[12:13], s[2:3]
.LBB163_87:
	v_cndmask_b32_e64 v16, 0, 1, s[12:13]
.LBB163_88:
	s_or_b64 exec, exec, s[10:11]
	v_or_b32_e32 v17, 0x100, v0
	v_cndmask_b32_e64 v18, 0, 1, s[4:5]
	v_cmp_gt_i32_e32 vcc, s33, v17
	v_cmp_ne_u32_e64 s[2:3], 1, v18
                                        ; implicit-def: $vgpr18
	s_and_saveexec_b64 s[10:11], vcc
	s_cbranch_execz .LBB163_93
; %bb.89:
	s_and_b64 vcc, exec, s[2:3]
	s_waitcnt vmcnt(1)
	v_lshlrev_b32_e32 v18, 16, v35
	s_waitcnt vmcnt(0)
	v_lshlrev_b32_e32 v19, 16, v2
	s_cbranch_vccnz .LBB163_213
; %bb.90:
	v_and_b32_e32 v36, 0xffff0000, v35
	v_and_b32_e32 v37, 0xffff0000, v2
	v_cmp_neq_f32_e32 vcc, v18, v19
	v_cmp_neq_f32_e64 s[4:5], v36, v37
	s_or_b64 s[12:13], vcc, s[4:5]
	s_cbranch_execnz .LBB163_92
.LBB163_91:
	v_and_b32_e32 v2, 0xffff0000, v2
	v_and_b32_e32 v35, 0xffff0000, v35
	v_cmp_eq_f32_e32 vcc, v18, v19
	v_cmp_eq_f32_e64 s[4:5], v35, v2
	s_and_b64 s[4:5], vcc, s[4:5]
	s_andn2_b64 s[12:13], s[12:13], exec
	s_and_b64 s[4:5], s[4:5], exec
	s_or_b64 s[12:13], s[12:13], s[4:5]
.LBB163_92:
	v_cndmask_b32_e64 v18, 0, 1, s[12:13]
.LBB163_93:
	s_or_b64 exec, exec, s[10:11]
	s_waitcnt vmcnt(0)
	v_or_b32_e32 v2, 0x200, v0
	v_cmp_gt_i32_e32 vcc, s33, v2
                                        ; implicit-def: $vgpr2
	s_and_saveexec_b64 s[10:11], vcc
	s_cbranch_execz .LBB163_98
; %bb.94:
	s_and_b64 vcc, exec, s[2:3]
	v_lshlrev_b32_e32 v2, 16, v34
	v_lshlrev_b32_e32 v19, 16, v15
	s_cbranch_vccnz .LBB163_214
; %bb.95:
	v_and_b32_e32 v35, 0xffff0000, v34
	v_and_b32_e32 v36, 0xffff0000, v15
	v_cmp_neq_f32_e32 vcc, v2, v19
	v_cmp_neq_f32_e64 s[4:5], v35, v36
	s_or_b64 s[12:13], vcc, s[4:5]
	s_cbranch_execnz .LBB163_97
.LBB163_96:
	v_and_b32_e32 v15, 0xffff0000, v15
	v_and_b32_e32 v34, 0xffff0000, v34
	v_cmp_eq_f32_e32 vcc, v2, v19
	v_cmp_eq_f32_e64 s[4:5], v34, v15
	s_and_b64 s[4:5], vcc, s[4:5]
	s_andn2_b64 s[12:13], s[12:13], exec
	s_and_b64 s[4:5], s[4:5], exec
	s_or_b64 s[12:13], s[12:13], s[4:5]
.LBB163_97:
	v_cndmask_b32_e64 v2, 0, 1, s[12:13]
.LBB163_98:
	s_or_b64 exec, exec, s[10:11]
	v_or_b32_e32 v15, 0x300, v0
	v_cmp_gt_i32_e32 vcc, s33, v15
                                        ; implicit-def: $vgpr15
	s_and_saveexec_b64 s[10:11], vcc
	s_cbranch_execz .LBB163_103
; %bb.99:
	s_and_b64 vcc, exec, s[2:3]
	v_lshlrev_b32_e32 v15, 16, v33
	v_lshlrev_b32_e32 v19, 16, v32
	s_cbranch_vccnz .LBB163_215
; %bb.100:
	v_and_b32_e32 v34, 0xffff0000, v33
	v_and_b32_e32 v35, 0xffff0000, v32
	v_cmp_neq_f32_e32 vcc, v15, v19
	v_cmp_neq_f32_e64 s[4:5], v34, v35
	s_or_b64 s[12:13], vcc, s[4:5]
	s_cbranch_execnz .LBB163_102
.LBB163_101:
	v_and_b32_e32 v32, 0xffff0000, v32
	v_and_b32_e32 v33, 0xffff0000, v33
	v_cmp_eq_f32_e32 vcc, v15, v19
	v_cmp_eq_f32_e64 s[4:5], v33, v32
	s_and_b64 s[4:5], vcc, s[4:5]
	s_andn2_b64 s[12:13], s[12:13], exec
	s_and_b64 s[4:5], s[4:5], exec
	s_or_b64 s[12:13], s[12:13], s[4:5]
.LBB163_102:
	v_cndmask_b32_e64 v15, 0, 1, s[12:13]
.LBB163_103:
	s_or_b64 exec, exec, s[10:11]
	v_or_b32_e32 v19, 0x400, v0
	v_cmp_gt_i32_e32 vcc, s33, v19
                                        ; implicit-def: $vgpr19
	s_and_saveexec_b64 s[10:11], vcc
	s_cbranch_execz .LBB163_108
; %bb.104:
	s_and_b64 vcc, exec, s[2:3]
	v_lshlrev_b32_e32 v19, 16, v30
	v_lshlrev_b32_e32 v32, 16, v31
	s_cbranch_vccnz .LBB163_216
; %bb.105:
	v_and_b32_e32 v33, 0xffff0000, v30
	v_and_b32_e32 v34, 0xffff0000, v31
	v_cmp_neq_f32_e32 vcc, v19, v32
	v_cmp_neq_f32_e64 s[4:5], v33, v34
	s_or_b64 s[12:13], vcc, s[4:5]
	s_cbranch_execnz .LBB163_107
.LBB163_106:
	v_and_b32_e32 v31, 0xffff0000, v31
	v_and_b32_e32 v30, 0xffff0000, v30
	v_cmp_eq_f32_e32 vcc, v19, v32
	v_cmp_eq_f32_e64 s[4:5], v30, v31
	s_and_b64 s[4:5], vcc, s[4:5]
	s_andn2_b64 s[12:13], s[12:13], exec
	s_and_b64 s[4:5], s[4:5], exec
	s_or_b64 s[12:13], s[12:13], s[4:5]
.LBB163_107:
	v_cndmask_b32_e64 v19, 0, 1, s[12:13]
.LBB163_108:
	s_or_b64 exec, exec, s[10:11]
	v_or_b32_e32 v30, 0x500, v0
	v_cmp_gt_i32_e32 vcc, s33, v30
                                        ; implicit-def: $vgpr30
	s_and_saveexec_b64 s[10:11], vcc
	s_cbranch_execz .LBB163_113
; %bb.109:
	s_and_b64 vcc, exec, s[2:3]
	v_lshlrev_b32_e32 v30, 16, v29
	v_lshlrev_b32_e32 v31, 16, v14
	s_cbranch_vccnz .LBB163_217
; %bb.110:
	v_and_b32_e32 v32, 0xffff0000, v29
	v_and_b32_e32 v33, 0xffff0000, v14
	v_cmp_neq_f32_e32 vcc, v30, v31
	v_cmp_neq_f32_e64 s[4:5], v32, v33
	s_or_b64 s[12:13], vcc, s[4:5]
	s_cbranch_execnz .LBB163_112
.LBB163_111:
	v_and_b32_e32 v14, 0xffff0000, v14
	v_and_b32_e32 v29, 0xffff0000, v29
	v_cmp_eq_f32_e32 vcc, v30, v31
	v_cmp_eq_f32_e64 s[4:5], v29, v14
	s_and_b64 s[4:5], vcc, s[4:5]
	s_andn2_b64 s[12:13], s[12:13], exec
	s_and_b64 s[4:5], s[4:5], exec
	s_or_b64 s[12:13], s[12:13], s[4:5]
.LBB163_112:
	v_cndmask_b32_e64 v30, 0, 1, s[12:13]
.LBB163_113:
	s_or_b64 exec, exec, s[10:11]
	v_or_b32_e32 v14, 0x600, v0
	v_cmp_gt_i32_e32 vcc, s33, v14
                                        ; implicit-def: $vgpr14
	s_and_saveexec_b64 s[10:11], vcc
	s_cbranch_execz .LBB163_118
; %bb.114:
	s_and_b64 vcc, exec, s[2:3]
	v_lshlrev_b32_e32 v14, 16, v28
	v_lshlrev_b32_e32 v29, 16, v13
	s_cbranch_vccnz .LBB163_218
; %bb.115:
	v_and_b32_e32 v31, 0xffff0000, v28
	v_and_b32_e32 v32, 0xffff0000, v13
	v_cmp_neq_f32_e32 vcc, v14, v29
	v_cmp_neq_f32_e64 s[4:5], v31, v32
	s_or_b64 s[12:13], vcc, s[4:5]
	s_cbranch_execnz .LBB163_117
.LBB163_116:
	v_and_b32_e32 v13, 0xffff0000, v13
	v_and_b32_e32 v28, 0xffff0000, v28
	v_cmp_eq_f32_e32 vcc, v14, v29
	v_cmp_eq_f32_e64 s[4:5], v28, v13
	s_and_b64 s[4:5], vcc, s[4:5]
	s_andn2_b64 s[12:13], s[12:13], exec
	s_and_b64 s[4:5], s[4:5], exec
	s_or_b64 s[12:13], s[12:13], s[4:5]
.LBB163_117:
	v_cndmask_b32_e64 v14, 0, 1, s[12:13]
.LBB163_118:
	s_or_b64 exec, exec, s[10:11]
	v_or_b32_e32 v13, 0x700, v0
	v_cmp_gt_i32_e32 vcc, s33, v13
                                        ; implicit-def: $vgpr13
	s_and_saveexec_b64 s[10:11], vcc
	s_cbranch_execz .LBB163_123
; %bb.119:
	s_and_b64 vcc, exec, s[2:3]
	v_lshlrev_b32_e32 v13, 16, v27
	v_lshlrev_b32_e32 v28, 16, v12
	s_cbranch_vccnz .LBB163_219
; %bb.120:
	v_and_b32_e32 v29, 0xffff0000, v27
	v_and_b32_e32 v31, 0xffff0000, v12
	v_cmp_neq_f32_e32 vcc, v13, v28
	v_cmp_neq_f32_e64 s[4:5], v29, v31
	s_or_b64 s[12:13], vcc, s[4:5]
	s_cbranch_execnz .LBB163_122
.LBB163_121:
	v_and_b32_e32 v12, 0xffff0000, v12
	v_and_b32_e32 v27, 0xffff0000, v27
	v_cmp_eq_f32_e32 vcc, v13, v28
	v_cmp_eq_f32_e64 s[4:5], v27, v12
	s_and_b64 s[4:5], vcc, s[4:5]
	s_andn2_b64 s[12:13], s[12:13], exec
	s_and_b64 s[4:5], s[4:5], exec
	s_or_b64 s[12:13], s[12:13], s[4:5]
.LBB163_122:
	v_cndmask_b32_e64 v13, 0, 1, s[12:13]
.LBB163_123:
	s_or_b64 exec, exec, s[10:11]
	v_or_b32_e32 v12, 0x800, v0
	v_cmp_gt_i32_e32 vcc, s33, v12
                                        ; implicit-def: $vgpr12
	s_and_saveexec_b64 s[10:11], vcc
	s_cbranch_execz .LBB163_128
; %bb.124:
	s_and_b64 vcc, exec, s[2:3]
	v_lshlrev_b32_e32 v12, 16, v26
	v_lshlrev_b32_e32 v27, 16, v11
	s_cbranch_vccnz .LBB163_220
; %bb.125:
	v_and_b32_e32 v28, 0xffff0000, v26
	v_and_b32_e32 v29, 0xffff0000, v11
	v_cmp_neq_f32_e32 vcc, v12, v27
	v_cmp_neq_f32_e64 s[4:5], v28, v29
	s_or_b64 s[12:13], vcc, s[4:5]
	s_cbranch_execnz .LBB163_127
.LBB163_126:
	v_and_b32_e32 v11, 0xffff0000, v11
	v_and_b32_e32 v26, 0xffff0000, v26
	v_cmp_eq_f32_e32 vcc, v12, v27
	v_cmp_eq_f32_e64 s[4:5], v26, v11
	s_and_b64 s[4:5], vcc, s[4:5]
	s_andn2_b64 s[12:13], s[12:13], exec
	s_and_b64 s[4:5], s[4:5], exec
	s_or_b64 s[12:13], s[12:13], s[4:5]
.LBB163_127:
	v_cndmask_b32_e64 v12, 0, 1, s[12:13]
.LBB163_128:
	s_or_b64 exec, exec, s[10:11]
	v_or_b32_e32 v11, 0x900, v0
	v_cmp_gt_i32_e32 vcc, s33, v11
                                        ; implicit-def: $vgpr11
	s_and_saveexec_b64 s[10:11], vcc
	s_cbranch_execz .LBB163_133
; %bb.129:
	s_and_b64 vcc, exec, s[2:3]
	v_lshlrev_b32_e32 v11, 16, v25
	v_lshlrev_b32_e32 v26, 16, v10
	s_cbranch_vccnz .LBB163_221
; %bb.130:
	v_and_b32_e32 v27, 0xffff0000, v25
	v_and_b32_e32 v28, 0xffff0000, v10
	v_cmp_neq_f32_e32 vcc, v11, v26
	v_cmp_neq_f32_e64 s[4:5], v27, v28
	s_or_b64 s[12:13], vcc, s[4:5]
	s_cbranch_execnz .LBB163_132
.LBB163_131:
	v_and_b32_e32 v10, 0xffff0000, v10
	v_and_b32_e32 v25, 0xffff0000, v25
	v_cmp_eq_f32_e32 vcc, v11, v26
	v_cmp_eq_f32_e64 s[4:5], v25, v10
	s_and_b64 s[4:5], vcc, s[4:5]
	s_andn2_b64 s[12:13], s[12:13], exec
	s_and_b64 s[4:5], s[4:5], exec
	s_or_b64 s[12:13], s[12:13], s[4:5]
.LBB163_132:
	v_cndmask_b32_e64 v11, 0, 1, s[12:13]
.LBB163_133:
	s_or_b64 exec, exec, s[10:11]
	v_or_b32_e32 v10, 0xa00, v0
	v_cmp_gt_i32_e32 vcc, s33, v10
                                        ; implicit-def: $vgpr10
	s_and_saveexec_b64 s[10:11], vcc
	s_cbranch_execz .LBB163_138
; %bb.134:
	s_and_b64 vcc, exec, s[2:3]
	v_lshlrev_b32_e32 v10, 16, v24
	v_lshlrev_b32_e32 v25, 16, v9
	s_cbranch_vccnz .LBB163_222
; %bb.135:
	v_and_b32_e32 v26, 0xffff0000, v24
	v_and_b32_e32 v27, 0xffff0000, v9
	v_cmp_neq_f32_e32 vcc, v10, v25
	v_cmp_neq_f32_e64 s[4:5], v26, v27
	s_or_b64 s[12:13], vcc, s[4:5]
	s_cbranch_execnz .LBB163_137
.LBB163_136:
	v_and_b32_e32 v9, 0xffff0000, v9
	v_and_b32_e32 v24, 0xffff0000, v24
	v_cmp_eq_f32_e32 vcc, v10, v25
	v_cmp_eq_f32_e64 s[4:5], v24, v9
	s_and_b64 s[4:5], vcc, s[4:5]
	s_andn2_b64 s[12:13], s[12:13], exec
	s_and_b64 s[4:5], s[4:5], exec
	s_or_b64 s[12:13], s[12:13], s[4:5]
.LBB163_137:
	v_cndmask_b32_e64 v10, 0, 1, s[12:13]
.LBB163_138:
	s_or_b64 exec, exec, s[10:11]
	v_or_b32_e32 v9, 0xb00, v0
	v_cmp_gt_i32_e32 vcc, s33, v9
                                        ; implicit-def: $vgpr9
	s_and_saveexec_b64 s[10:11], vcc
	s_cbranch_execz .LBB163_143
; %bb.139:
	s_and_b64 vcc, exec, s[2:3]
	v_lshlrev_b32_e32 v9, 16, v23
	v_lshlrev_b32_e32 v24, 16, v8
	s_cbranch_vccnz .LBB163_223
; %bb.140:
	v_and_b32_e32 v25, 0xffff0000, v23
	v_and_b32_e32 v26, 0xffff0000, v8
	v_cmp_neq_f32_e32 vcc, v9, v24
	v_cmp_neq_f32_e64 s[4:5], v25, v26
	s_or_b64 s[12:13], vcc, s[4:5]
	s_cbranch_execnz .LBB163_142
.LBB163_141:
	v_and_b32_e32 v8, 0xffff0000, v8
	v_and_b32_e32 v23, 0xffff0000, v23
	v_cmp_eq_f32_e32 vcc, v9, v24
	v_cmp_eq_f32_e64 s[4:5], v23, v8
	s_and_b64 s[4:5], vcc, s[4:5]
	s_andn2_b64 s[12:13], s[12:13], exec
	s_and_b64 s[4:5], s[4:5], exec
	s_or_b64 s[12:13], s[12:13], s[4:5]
.LBB163_142:
	v_cndmask_b32_e64 v9, 0, 1, s[12:13]
.LBB163_143:
	s_or_b64 exec, exec, s[10:11]
	v_or_b32_e32 v8, 0xc00, v0
	v_cmp_gt_i32_e32 vcc, s33, v8
                                        ; implicit-def: $vgpr8
	s_and_saveexec_b64 s[10:11], vcc
	s_cbranch_execz .LBB163_148
; %bb.144:
	s_and_b64 vcc, exec, s[2:3]
	v_lshlrev_b32_e32 v8, 16, v22
	v_lshlrev_b32_e32 v23, 16, v7
	s_cbranch_vccnz .LBB163_224
; %bb.145:
	v_and_b32_e32 v24, 0xffff0000, v22
	v_and_b32_e32 v25, 0xffff0000, v7
	v_cmp_neq_f32_e32 vcc, v8, v23
	v_cmp_neq_f32_e64 s[4:5], v24, v25
	s_or_b64 s[12:13], vcc, s[4:5]
	s_cbranch_execnz .LBB163_147
.LBB163_146:
	v_and_b32_e32 v7, 0xffff0000, v7
	v_and_b32_e32 v22, 0xffff0000, v22
	v_cmp_eq_f32_e32 vcc, v8, v23
	v_cmp_eq_f32_e64 s[4:5], v22, v7
	s_and_b64 s[4:5], vcc, s[4:5]
	s_andn2_b64 s[12:13], s[12:13], exec
	s_and_b64 s[4:5], s[4:5], exec
	s_or_b64 s[12:13], s[12:13], s[4:5]
.LBB163_147:
	v_cndmask_b32_e64 v8, 0, 1, s[12:13]
.LBB163_148:
	s_or_b64 exec, exec, s[10:11]
	v_or_b32_e32 v7, 0xd00, v0
	v_cmp_gt_i32_e32 vcc, s33, v7
                                        ; implicit-def: $vgpr7
	s_and_saveexec_b64 s[10:11], vcc
	s_cbranch_execz .LBB163_153
; %bb.149:
	s_and_b64 vcc, exec, s[2:3]
	v_lshlrev_b32_e32 v7, 16, v21
	v_lshlrev_b32_e32 v22, 16, v6
	s_cbranch_vccnz .LBB163_225
; %bb.150:
	v_and_b32_e32 v23, 0xffff0000, v21
	v_and_b32_e32 v24, 0xffff0000, v6
	v_cmp_neq_f32_e32 vcc, v7, v22
	v_cmp_neq_f32_e64 s[4:5], v23, v24
	s_or_b64 s[12:13], vcc, s[4:5]
	s_cbranch_execnz .LBB163_152
.LBB163_151:
	v_and_b32_e32 v6, 0xffff0000, v6
	v_and_b32_e32 v21, 0xffff0000, v21
	v_cmp_eq_f32_e32 vcc, v7, v22
	v_cmp_eq_f32_e64 s[4:5], v21, v6
	s_and_b64 s[4:5], vcc, s[4:5]
	s_andn2_b64 s[12:13], s[12:13], exec
	s_and_b64 s[4:5], s[4:5], exec
	s_or_b64 s[12:13], s[12:13], s[4:5]
.LBB163_152:
	v_cndmask_b32_e64 v7, 0, 1, s[12:13]
.LBB163_153:
	s_or_b64 exec, exec, s[10:11]
	v_or_b32_e32 v6, 0xe00, v0
	v_cmp_gt_i32_e32 vcc, s33, v6
                                        ; implicit-def: $vgpr6
	s_and_saveexec_b64 s[10:11], vcc
	s_cbranch_execz .LBB163_158
; %bb.154:
	s_and_b64 vcc, exec, s[2:3]
	v_lshlrev_b32_e32 v6, 16, v20
	v_lshlrev_b32_e32 v21, 16, v5
	s_cbranch_vccnz .LBB163_226
; %bb.155:
	v_and_b32_e32 v22, 0xffff0000, v20
	v_and_b32_e32 v23, 0xffff0000, v5
	v_cmp_neq_f32_e32 vcc, v6, v21
	v_cmp_neq_f32_e64 s[4:5], v22, v23
	s_or_b64 s[12:13], vcc, s[4:5]
	s_cbranch_execnz .LBB163_157
.LBB163_156:
	v_and_b32_e32 v5, 0xffff0000, v5
	v_and_b32_e32 v20, 0xffff0000, v20
	v_cmp_eq_f32_e32 vcc, v6, v21
	v_cmp_eq_f32_e64 s[4:5], v20, v5
	s_and_b64 s[4:5], vcc, s[4:5]
	s_andn2_b64 s[12:13], s[12:13], exec
	s_and_b64 s[4:5], s[4:5], exec
	s_or_b64 s[12:13], s[12:13], s[4:5]
.LBB163_157:
	v_cndmask_b32_e64 v6, 0, 1, s[12:13]
.LBB163_158:
	s_or_b64 exec, exec, s[10:11]
	v_or_b32_e32 v5, 0xf00, v0
	v_cmp_gt_i32_e32 vcc, s33, v5
                                        ; implicit-def: $vgpr5
	s_and_saveexec_b64 s[4:5], vcc
	s_cbranch_execz .LBB163_163
; %bb.159:
	s_and_b64 vcc, exec, s[2:3]
	v_lshlrev_b32_e32 v5, 16, v3
	v_lshlrev_b32_e32 v20, 16, v4
	s_cbranch_vccnz .LBB163_227
; %bb.160:
	v_and_b32_e32 v21, 0xffff0000, v3
	v_and_b32_e32 v22, 0xffff0000, v4
	v_cmp_neq_f32_e32 vcc, v5, v20
	v_cmp_neq_f32_e64 s[2:3], v21, v22
	s_or_b64 s[10:11], vcc, s[2:3]
	s_cbranch_execnz .LBB163_162
.LBB163_161:
	v_and_b32_e32 v4, 0xffff0000, v4
	v_and_b32_e32 v3, 0xffff0000, v3
	v_cmp_eq_f32_e32 vcc, v5, v20
	v_cmp_eq_f32_e64 s[2:3], v3, v4
	s_and_b64 s[2:3], vcc, s[2:3]
	s_andn2_b64 s[10:11], s[10:11], exec
	s_and_b64 s[2:3], s[2:3], exec
	s_or_b64 s[10:11], s[10:11], s[2:3]
.LBB163_162:
	v_cndmask_b32_e64 v5, 0, 1, s[10:11]
.LBB163_163:
	s_or_b64 exec, exec, s[4:5]
	s_and_saveexec_b64 s[2:3], s[0:1]
	s_xor_b64 s[0:1], exec, s[2:3]
	s_cbranch_execz .LBB163_165
; %bb.164:
	v_mov_b32_e32 v0, v17
	global_store_byte v1, v16, s[8:9]
.LBB163_165:
	s_or_b64 exec, exec, s[0:1]
	v_cmp_gt_i32_e32 vcc, s33, v0
	s_and_saveexec_b64 s[0:1], vcc
	s_cbranch_execnz .LBB163_181
; %bb.166:
	s_or_b64 exec, exec, s[0:1]
	v_cmp_gt_i32_e32 vcc, s33, v0
	s_and_saveexec_b64 s[0:1], vcc
	s_cbranch_execnz .LBB163_182
.LBB163_167:
	s_or_b64 exec, exec, s[0:1]
	v_cmp_gt_i32_e32 vcc, s33, v0
	s_and_saveexec_b64 s[0:1], vcc
	s_cbranch_execnz .LBB163_183
.LBB163_168:
	s_or_b64 exec, exec, s[0:1]
	v_cmp_gt_i32_e32 vcc, s33, v0
	s_and_saveexec_b64 s[0:1], vcc
	s_cbranch_execnz .LBB163_184
.LBB163_169:
	s_or_b64 exec, exec, s[0:1]
	v_cmp_gt_i32_e32 vcc, s33, v0
	s_and_saveexec_b64 s[0:1], vcc
	s_cbranch_execnz .LBB163_185
.LBB163_170:
	s_or_b64 exec, exec, s[0:1]
	v_cmp_gt_i32_e32 vcc, s33, v0
	s_and_saveexec_b64 s[0:1], vcc
	s_cbranch_execnz .LBB163_186
.LBB163_171:
	s_or_b64 exec, exec, s[0:1]
	v_cmp_gt_i32_e32 vcc, s33, v0
	s_and_saveexec_b64 s[0:1], vcc
	s_cbranch_execnz .LBB163_187
.LBB163_172:
	s_or_b64 exec, exec, s[0:1]
	v_cmp_gt_i32_e32 vcc, s33, v0
	s_and_saveexec_b64 s[0:1], vcc
	s_cbranch_execnz .LBB163_188
.LBB163_173:
	s_or_b64 exec, exec, s[0:1]
	v_cmp_gt_i32_e32 vcc, s33, v0
	s_and_saveexec_b64 s[0:1], vcc
	s_cbranch_execnz .LBB163_189
.LBB163_174:
	s_or_b64 exec, exec, s[0:1]
	v_cmp_gt_i32_e32 vcc, s33, v0
	s_and_saveexec_b64 s[0:1], vcc
	s_cbranch_execnz .LBB163_190
.LBB163_175:
	s_or_b64 exec, exec, s[0:1]
	v_cmp_gt_i32_e32 vcc, s33, v0
	s_and_saveexec_b64 s[0:1], vcc
	s_cbranch_execnz .LBB163_191
.LBB163_176:
	s_or_b64 exec, exec, s[0:1]
	v_cmp_gt_i32_e32 vcc, s33, v0
	s_and_saveexec_b64 s[0:1], vcc
	s_cbranch_execnz .LBB163_192
.LBB163_177:
	s_or_b64 exec, exec, s[0:1]
	v_cmp_gt_i32_e32 vcc, s33, v0
	s_and_saveexec_b64 s[0:1], vcc
	s_cbranch_execnz .LBB163_193
.LBB163_178:
	s_or_b64 exec, exec, s[0:1]
	v_cmp_gt_i32_e32 vcc, s33, v0
	s_and_saveexec_b64 s[0:1], vcc
	s_cbranch_execnz .LBB163_194
.LBB163_179:
	s_or_b64 exec, exec, s[0:1]
	v_cmp_gt_i32_e32 vcc, s33, v0
	s_and_saveexec_b64 s[0:1], vcc
	s_cbranch_execz .LBB163_195
.LBB163_180:
	v_add_u32_e32 v0, s6, v0
	global_store_byte v0, v5, s[8:9]
	s_endpgm
.LBB163_181:
	v_add_u32_e32 v1, s6, v0
	v_add_u32_e32 v0, 0x100, v0
	global_store_byte v1, v18, s[8:9]
	s_or_b64 exec, exec, s[0:1]
	v_cmp_gt_i32_e32 vcc, s33, v0
	s_and_saveexec_b64 s[0:1], vcc
	s_cbranch_execz .LBB163_167
.LBB163_182:
	v_add_u32_e32 v1, s6, v0
	v_add_u32_e32 v0, 0x100, v0
	global_store_byte v1, v2, s[8:9]
	s_or_b64 exec, exec, s[0:1]
	v_cmp_gt_i32_e32 vcc, s33, v0
	s_and_saveexec_b64 s[0:1], vcc
	s_cbranch_execz .LBB163_168
.LBB163_183:
	v_add_u32_e32 v1, s6, v0
	v_add_u32_e32 v0, 0x100, v0
	global_store_byte v1, v15, s[8:9]
	s_or_b64 exec, exec, s[0:1]
	v_cmp_gt_i32_e32 vcc, s33, v0
	s_and_saveexec_b64 s[0:1], vcc
	s_cbranch_execz .LBB163_169
.LBB163_184:
	v_add_u32_e32 v1, s6, v0
	v_add_u32_e32 v0, 0x100, v0
	global_store_byte v1, v19, s[8:9]
	s_or_b64 exec, exec, s[0:1]
	v_cmp_gt_i32_e32 vcc, s33, v0
	s_and_saveexec_b64 s[0:1], vcc
	s_cbranch_execz .LBB163_170
.LBB163_185:
	v_add_u32_e32 v1, s6, v0
	v_add_u32_e32 v0, 0x100, v0
	global_store_byte v1, v30, s[8:9]
	s_or_b64 exec, exec, s[0:1]
	v_cmp_gt_i32_e32 vcc, s33, v0
	s_and_saveexec_b64 s[0:1], vcc
	s_cbranch_execz .LBB163_171
.LBB163_186:
	v_add_u32_e32 v1, s6, v0
	v_add_u32_e32 v0, 0x100, v0
	global_store_byte v1, v14, s[8:9]
	s_or_b64 exec, exec, s[0:1]
	v_cmp_gt_i32_e32 vcc, s33, v0
	s_and_saveexec_b64 s[0:1], vcc
	s_cbranch_execz .LBB163_172
.LBB163_187:
	v_add_u32_e32 v1, s6, v0
	v_add_u32_e32 v0, 0x100, v0
	global_store_byte v1, v13, s[8:9]
	s_or_b64 exec, exec, s[0:1]
	v_cmp_gt_i32_e32 vcc, s33, v0
	s_and_saveexec_b64 s[0:1], vcc
	s_cbranch_execz .LBB163_173
.LBB163_188:
	v_add_u32_e32 v1, s6, v0
	v_add_u32_e32 v0, 0x100, v0
	global_store_byte v1, v12, s[8:9]
	s_or_b64 exec, exec, s[0:1]
	v_cmp_gt_i32_e32 vcc, s33, v0
	s_and_saveexec_b64 s[0:1], vcc
	s_cbranch_execz .LBB163_174
.LBB163_189:
	v_add_u32_e32 v1, s6, v0
	v_add_u32_e32 v0, 0x100, v0
	global_store_byte v1, v11, s[8:9]
	s_or_b64 exec, exec, s[0:1]
	v_cmp_gt_i32_e32 vcc, s33, v0
	s_and_saveexec_b64 s[0:1], vcc
	s_cbranch_execz .LBB163_175
.LBB163_190:
	v_add_u32_e32 v1, s6, v0
	v_add_u32_e32 v0, 0x100, v0
	global_store_byte v1, v10, s[8:9]
	s_or_b64 exec, exec, s[0:1]
	v_cmp_gt_i32_e32 vcc, s33, v0
	s_and_saveexec_b64 s[0:1], vcc
	s_cbranch_execz .LBB163_176
.LBB163_191:
	v_add_u32_e32 v1, s6, v0
	v_add_u32_e32 v0, 0x100, v0
	global_store_byte v1, v9, s[8:9]
	s_or_b64 exec, exec, s[0:1]
	v_cmp_gt_i32_e32 vcc, s33, v0
	s_and_saveexec_b64 s[0:1], vcc
	s_cbranch_execz .LBB163_177
.LBB163_192:
	v_add_u32_e32 v1, s6, v0
	v_add_u32_e32 v0, 0x100, v0
	global_store_byte v1, v8, s[8:9]
	s_or_b64 exec, exec, s[0:1]
	v_cmp_gt_i32_e32 vcc, s33, v0
	s_and_saveexec_b64 s[0:1], vcc
	s_cbranch_execz .LBB163_178
.LBB163_193:
	v_add_u32_e32 v1, s6, v0
	v_add_u32_e32 v0, 0x100, v0
	global_store_byte v1, v7, s[8:9]
	s_or_b64 exec, exec, s[0:1]
	v_cmp_gt_i32_e32 vcc, s33, v0
	s_and_saveexec_b64 s[0:1], vcc
	s_cbranch_execz .LBB163_179
.LBB163_194:
	v_add_u32_e32 v1, s6, v0
	v_add_u32_e32 v0, 0x100, v0
	global_store_byte v1, v6, s[8:9]
	s_or_b64 exec, exec, s[0:1]
	v_cmp_gt_i32_e32 vcc, s33, v0
	s_and_saveexec_b64 s[0:1], vcc
	s_cbranch_execnz .LBB163_180
.LBB163_195:
	s_endpgm
.LBB163_196:
                                        ; implicit-def: $sgpr4_sgpr5
	s_branch .LBB163_3
.LBB163_197:
                                        ; implicit-def: $sgpr16_sgpr17
	s_branch .LBB163_6
.LBB163_198:
                                        ; implicit-def: $sgpr18_sgpr19
	s_branch .LBB163_9
.LBB163_199:
                                        ; implicit-def: $sgpr20_sgpr21
	s_branch .LBB163_12
.LBB163_200:
                                        ; implicit-def: $sgpr22_sgpr23
	s_branch .LBB163_15
.LBB163_201:
                                        ; implicit-def: $sgpr24_sgpr25
	s_branch .LBB163_18
.LBB163_202:
                                        ; implicit-def: $sgpr26_sgpr27
	s_branch .LBB163_21
.LBB163_203:
                                        ; implicit-def: $sgpr28_sgpr29
	s_branch .LBB163_24
.LBB163_204:
                                        ; implicit-def: $sgpr30_sgpr31
	s_branch .LBB163_27
.LBB163_205:
                                        ; implicit-def: $sgpr34_sgpr35
	s_branch .LBB163_30
.LBB163_206:
                                        ; implicit-def: $sgpr36_sgpr37
	s_branch .LBB163_33
.LBB163_207:
                                        ; implicit-def: $sgpr38_sgpr39
	s_branch .LBB163_36
.LBB163_208:
                                        ; implicit-def: $sgpr40_sgpr41
	s_branch .LBB163_39
.LBB163_209:
                                        ; implicit-def: $sgpr42_sgpr43
	s_branch .LBB163_42
.LBB163_210:
                                        ; implicit-def: $sgpr44_sgpr45
	s_branch .LBB163_45
.LBB163_211:
                                        ; implicit-def: $sgpr2_sgpr3
	s_branch .LBB163_48
.LBB163_212:
                                        ; implicit-def: $sgpr12_sgpr13
	s_branch .LBB163_86
.LBB163_213:
                                        ; implicit-def: $sgpr12_sgpr13
	s_branch .LBB163_91
.LBB163_214:
                                        ; implicit-def: $sgpr12_sgpr13
	s_branch .LBB163_96
.LBB163_215:
                                        ; implicit-def: $sgpr12_sgpr13
	s_branch .LBB163_101
.LBB163_216:
                                        ; implicit-def: $sgpr12_sgpr13
	s_branch .LBB163_106
.LBB163_217:
                                        ; implicit-def: $sgpr12_sgpr13
	s_branch .LBB163_111
.LBB163_218:
                                        ; implicit-def: $sgpr12_sgpr13
	s_branch .LBB163_116
.LBB163_219:
                                        ; implicit-def: $sgpr12_sgpr13
	s_branch .LBB163_121
.LBB163_220:
                                        ; implicit-def: $sgpr12_sgpr13
	s_branch .LBB163_126
.LBB163_221:
                                        ; implicit-def: $sgpr12_sgpr13
	s_branch .LBB163_131
.LBB163_222:
                                        ; implicit-def: $sgpr12_sgpr13
	s_branch .LBB163_136
.LBB163_223:
                                        ; implicit-def: $sgpr12_sgpr13
	s_branch .LBB163_141
.LBB163_224:
                                        ; implicit-def: $sgpr12_sgpr13
	s_branch .LBB163_146
.LBB163_225:
                                        ; implicit-def: $sgpr12_sgpr13
	s_branch .LBB163_151
.LBB163_226:
                                        ; implicit-def: $sgpr12_sgpr13
	s_branch .LBB163_156
.LBB163_227:
                                        ; implicit-def: $sgpr10_sgpr11
	s_branch .LBB163_161
	.section	.rodata,"a",@progbits
	.p2align	6, 0x0
	.amdhsa_kernel _ZN2at6native29vectorized_elementwise_kernelILi2ENS0_13BinaryFunctorIN3c107complexINS3_8BFloat16EEES6_bNS0_12_GLOBAL__N_116CompareEqFunctorIS6_EEEESt5arrayIPcLm3EEEEviT0_T1_
		.amdhsa_group_segment_fixed_size 0
		.amdhsa_private_segment_fixed_size 0
		.amdhsa_kernarg_size 32
		.amdhsa_user_sgpr_count 6
		.amdhsa_user_sgpr_private_segment_buffer 1
		.amdhsa_user_sgpr_dispatch_ptr 0
		.amdhsa_user_sgpr_queue_ptr 0
		.amdhsa_user_sgpr_kernarg_segment_ptr 1
		.amdhsa_user_sgpr_dispatch_id 0
		.amdhsa_user_sgpr_flat_scratch_init 0
		.amdhsa_user_sgpr_private_segment_size 0
		.amdhsa_uses_dynamic_stack 0
		.amdhsa_system_sgpr_private_segment_wavefront_offset 0
		.amdhsa_system_sgpr_workgroup_id_x 1
		.amdhsa_system_sgpr_workgroup_id_y 0
		.amdhsa_system_sgpr_workgroup_id_z 0
		.amdhsa_system_sgpr_workgroup_info 0
		.amdhsa_system_vgpr_workitem_id 0
		.amdhsa_next_free_vgpr 38
		.amdhsa_next_free_sgpr 46
		.amdhsa_reserve_vcc 1
		.amdhsa_reserve_flat_scratch 0
		.amdhsa_float_round_mode_32 0
		.amdhsa_float_round_mode_16_64 0
		.amdhsa_float_denorm_mode_32 3
		.amdhsa_float_denorm_mode_16_64 3
		.amdhsa_dx10_clamp 1
		.amdhsa_ieee_mode 1
		.amdhsa_fp16_overflow 0
		.amdhsa_exception_fp_ieee_invalid_op 0
		.amdhsa_exception_fp_denorm_src 0
		.amdhsa_exception_fp_ieee_div_zero 0
		.amdhsa_exception_fp_ieee_overflow 0
		.amdhsa_exception_fp_ieee_underflow 0
		.amdhsa_exception_fp_ieee_inexact 0
		.amdhsa_exception_int_div_zero 0
	.end_amdhsa_kernel
	.section	.text._ZN2at6native29vectorized_elementwise_kernelILi2ENS0_13BinaryFunctorIN3c107complexINS3_8BFloat16EEES6_bNS0_12_GLOBAL__N_116CompareEqFunctorIS6_EEEESt5arrayIPcLm3EEEEviT0_T1_,"axG",@progbits,_ZN2at6native29vectorized_elementwise_kernelILi2ENS0_13BinaryFunctorIN3c107complexINS3_8BFloat16EEES6_bNS0_12_GLOBAL__N_116CompareEqFunctorIS6_EEEESt5arrayIPcLm3EEEEviT0_T1_,comdat
.Lfunc_end163:
	.size	_ZN2at6native29vectorized_elementwise_kernelILi2ENS0_13BinaryFunctorIN3c107complexINS3_8BFloat16EEES6_bNS0_12_GLOBAL__N_116CompareEqFunctorIS6_EEEESt5arrayIPcLm3EEEEviT0_T1_, .Lfunc_end163-_ZN2at6native29vectorized_elementwise_kernelILi2ENS0_13BinaryFunctorIN3c107complexINS3_8BFloat16EEES6_bNS0_12_GLOBAL__N_116CompareEqFunctorIS6_EEEESt5arrayIPcLm3EEEEviT0_T1_
                                        ; -- End function
	.set _ZN2at6native29vectorized_elementwise_kernelILi2ENS0_13BinaryFunctorIN3c107complexINS3_8BFloat16EEES6_bNS0_12_GLOBAL__N_116CompareEqFunctorIS6_EEEESt5arrayIPcLm3EEEEviT0_T1_.num_vgpr, 38
	.set _ZN2at6native29vectorized_elementwise_kernelILi2ENS0_13BinaryFunctorIN3c107complexINS3_8BFloat16EEES6_bNS0_12_GLOBAL__N_116CompareEqFunctorIS6_EEEESt5arrayIPcLm3EEEEviT0_T1_.num_agpr, 0
	.set _ZN2at6native29vectorized_elementwise_kernelILi2ENS0_13BinaryFunctorIN3c107complexINS3_8BFloat16EEES6_bNS0_12_GLOBAL__N_116CompareEqFunctorIS6_EEEESt5arrayIPcLm3EEEEviT0_T1_.numbered_sgpr, 46
	.set _ZN2at6native29vectorized_elementwise_kernelILi2ENS0_13BinaryFunctorIN3c107complexINS3_8BFloat16EEES6_bNS0_12_GLOBAL__N_116CompareEqFunctorIS6_EEEESt5arrayIPcLm3EEEEviT0_T1_.num_named_barrier, 0
	.set _ZN2at6native29vectorized_elementwise_kernelILi2ENS0_13BinaryFunctorIN3c107complexINS3_8BFloat16EEES6_bNS0_12_GLOBAL__N_116CompareEqFunctorIS6_EEEESt5arrayIPcLm3EEEEviT0_T1_.private_seg_size, 0
	.set _ZN2at6native29vectorized_elementwise_kernelILi2ENS0_13BinaryFunctorIN3c107complexINS3_8BFloat16EEES6_bNS0_12_GLOBAL__N_116CompareEqFunctorIS6_EEEESt5arrayIPcLm3EEEEviT0_T1_.uses_vcc, 1
	.set _ZN2at6native29vectorized_elementwise_kernelILi2ENS0_13BinaryFunctorIN3c107complexINS3_8BFloat16EEES6_bNS0_12_GLOBAL__N_116CompareEqFunctorIS6_EEEESt5arrayIPcLm3EEEEviT0_T1_.uses_flat_scratch, 0
	.set _ZN2at6native29vectorized_elementwise_kernelILi2ENS0_13BinaryFunctorIN3c107complexINS3_8BFloat16EEES6_bNS0_12_GLOBAL__N_116CompareEqFunctorIS6_EEEESt5arrayIPcLm3EEEEviT0_T1_.has_dyn_sized_stack, 0
	.set _ZN2at6native29vectorized_elementwise_kernelILi2ENS0_13BinaryFunctorIN3c107complexINS3_8BFloat16EEES6_bNS0_12_GLOBAL__N_116CompareEqFunctorIS6_EEEESt5arrayIPcLm3EEEEviT0_T1_.has_recursion, 0
	.set _ZN2at6native29vectorized_elementwise_kernelILi2ENS0_13BinaryFunctorIN3c107complexINS3_8BFloat16EEES6_bNS0_12_GLOBAL__N_116CompareEqFunctorIS6_EEEESt5arrayIPcLm3EEEEviT0_T1_.has_indirect_call, 0
	.section	.AMDGPU.csdata,"",@progbits
; Kernel info:
; codeLenInByte = 7380
; TotalNumSgprs: 50
; NumVgprs: 38
; ScratchSize: 0
; MemoryBound: 0
; FloatMode: 240
; IeeeMode: 1
; LDSByteSize: 0 bytes/workgroup (compile time only)
; SGPRBlocks: 6
; VGPRBlocks: 9
; NumSGPRsForWavesPerEU: 50
; NumVGPRsForWavesPerEU: 38
; Occupancy: 6
; WaveLimiterHint : 1
; COMPUTE_PGM_RSRC2:SCRATCH_EN: 0
; COMPUTE_PGM_RSRC2:USER_SGPR: 6
; COMPUTE_PGM_RSRC2:TRAP_HANDLER: 0
; COMPUTE_PGM_RSRC2:TGID_X_EN: 1
; COMPUTE_PGM_RSRC2:TGID_Y_EN: 0
; COMPUTE_PGM_RSRC2:TGID_Z_EN: 0
; COMPUTE_PGM_RSRC2:TIDIG_COMP_CNT: 0
	.section	.text._ZN2at6native27unrolled_elementwise_kernelINS0_13BinaryFunctorIN3c107complexINS3_8BFloat16EEES6_bNS0_12_GLOBAL__N_116CompareEqFunctorIS6_EEEESt5arrayIPcLm3EELi4E23TrivialOffsetCalculatorILi2EjESE_ILi1EjENS0_6memory15LoadWithoutCastENSH_16StoreWithoutCastEEEviT_T0_T2_T3_T4_T5_,"axG",@progbits,_ZN2at6native27unrolled_elementwise_kernelINS0_13BinaryFunctorIN3c107complexINS3_8BFloat16EEES6_bNS0_12_GLOBAL__N_116CompareEqFunctorIS6_EEEESt5arrayIPcLm3EELi4E23TrivialOffsetCalculatorILi2EjESE_ILi1EjENS0_6memory15LoadWithoutCastENSH_16StoreWithoutCastEEEviT_T0_T2_T3_T4_T5_,comdat
	.globl	_ZN2at6native27unrolled_elementwise_kernelINS0_13BinaryFunctorIN3c107complexINS3_8BFloat16EEES6_bNS0_12_GLOBAL__N_116CompareEqFunctorIS6_EEEESt5arrayIPcLm3EELi4E23TrivialOffsetCalculatorILi2EjESE_ILi1EjENS0_6memory15LoadWithoutCastENSH_16StoreWithoutCastEEEviT_T0_T2_T3_T4_T5_ ; -- Begin function _ZN2at6native27unrolled_elementwise_kernelINS0_13BinaryFunctorIN3c107complexINS3_8BFloat16EEES6_bNS0_12_GLOBAL__N_116CompareEqFunctorIS6_EEEESt5arrayIPcLm3EELi4E23TrivialOffsetCalculatorILi2EjESE_ILi1EjENS0_6memory15LoadWithoutCastENSH_16StoreWithoutCastEEEviT_T0_T2_T3_T4_T5_
	.p2align	8
	.type	_ZN2at6native27unrolled_elementwise_kernelINS0_13BinaryFunctorIN3c107complexINS3_8BFloat16EEES6_bNS0_12_GLOBAL__N_116CompareEqFunctorIS6_EEEESt5arrayIPcLm3EELi4E23TrivialOffsetCalculatorILi2EjESE_ILi1EjENS0_6memory15LoadWithoutCastENSH_16StoreWithoutCastEEEviT_T0_T2_T3_T4_T5_,@function
_ZN2at6native27unrolled_elementwise_kernelINS0_13BinaryFunctorIN3c107complexINS3_8BFloat16EEES6_bNS0_12_GLOBAL__N_116CompareEqFunctorIS6_EEEESt5arrayIPcLm3EELi4E23TrivialOffsetCalculatorILi2EjESE_ILi1EjENS0_6memory15LoadWithoutCastENSH_16StoreWithoutCastEEEviT_T0_T2_T3_T4_T5_: ; @_ZN2at6native27unrolled_elementwise_kernelINS0_13BinaryFunctorIN3c107complexINS3_8BFloat16EEES6_bNS0_12_GLOBAL__N_116CompareEqFunctorIS6_EEEESt5arrayIPcLm3EELi4E23TrivialOffsetCalculatorILi2EjESE_ILi1EjENS0_6memory15LoadWithoutCastENSH_16StoreWithoutCastEEEviT_T0_T2_T3_T4_T5_
; %bb.0:
	s_load_dwordx2 s[2:3], s[4:5], 0x0
	s_load_dwordx4 s[8:11], s[4:5], 0x8
	s_load_dwordx2 s[12:13], s[4:5], 0x18
	s_lshl_b32 s18, s6, 10
	v_mov_b32_e32 v5, 0
	s_waitcnt lgkmcnt(0)
	s_sub_i32 s19, s2, s18
	v_cmp_gt_i32_e64 s[0:1], s19, v0
	v_or_b32_e32 v1, s18, v0
	v_mov_b32_e32 v6, 0
	v_mov_b32_e32 v4, 0
	;; [unrolled: 1-line block ×8, first 2 shown]
	s_and_saveexec_b64 s[4:5], s[0:1]
	s_cbranch_execz .LBB164_8
; %bb.1:
	v_mov_b32_e32 v2, 0
	v_lshlrev_b64 v[3:4], 2, v[1:2]
	v_mov_b32_e32 v7, s11
	v_add_co_u32_e32 v6, vcc, s10, v3
	v_addc_co_u32_e32 v7, vcc, v7, v4, vcc
	global_load_dword v9, v[6:7], off
	v_mov_b32_e32 v6, s13
	v_add_co_u32_e32 v3, vcc, s12, v3
	v_addc_co_u32_e32 v4, vcc, v6, v4, vcc
	global_load_dword v10, v[3:4], off
	v_or_b32_e32 v11, 0x100, v0
	v_cmp_gt_u32_e32 vcc, s19, v11
	v_mov_b32_e32 v8, v2
	v_mov_b32_e32 v3, v2
	;; [unrolled: 1-line block ×5, first 2 shown]
	s_and_saveexec_b64 s[6:7], vcc
	s_cbranch_execz .LBB164_7
; %bb.2:
	v_add_u32_e32 v2, s18, v11
	v_mov_b32_e32 v3, 0
	v_lshlrev_b64 v[6:7], 2, v[2:3]
	v_mov_b32_e32 v2, s11
	v_add_co_u32_e32 v11, vcc, s10, v6
	v_addc_co_u32_e32 v12, vcc, v2, v7, vcc
	v_mov_b32_e32 v2, s13
	v_add_co_u32_e32 v6, vcc, s12, v6
	v_addc_co_u32_e32 v7, vcc, v2, v7, vcc
	global_load_dword v8, v[11:12], off
	global_load_dword v2, v[6:7], off
	v_or_b32_e32 v11, 0x200, v0
	v_cmp_gt_u32_e32 vcc, s19, v11
	v_mov_b32_e32 v7, v3
	v_mov_b32_e32 v4, v3
	;; [unrolled: 1-line block ×3, first 2 shown]
	s_and_saveexec_b64 s[14:15], vcc
	s_cbranch_execz .LBB164_6
; %bb.3:
	v_add_u32_e32 v3, s18, v11
	v_mov_b32_e32 v4, 0
	v_lshlrev_b64 v[11:12], 2, v[3:4]
	v_mov_b32_e32 v3, s11
	v_add_co_u32_e32 v6, vcc, s10, v11
	v_addc_co_u32_e32 v7, vcc, v3, v12, vcc
	v_mov_b32_e32 v3, s13
	v_add_co_u32_e32 v11, vcc, s12, v11
	v_addc_co_u32_e32 v12, vcc, v3, v12, vcc
	global_load_dword v7, v[6:7], off
	v_mov_b32_e32 v6, v4
	global_load_dword v3, v[11:12], off
	v_or_b32_e32 v11, 0x300, v0
	v_cmp_gt_u32_e32 vcc, s19, v11
	s_and_saveexec_b64 s[16:17], vcc
	s_cbranch_execz .LBB164_5
; %bb.4:
	v_add_u32_e32 v11, s18, v11
	v_mov_b32_e32 v12, 0
	v_lshlrev_b64 v[11:12], 2, v[11:12]
	v_mov_b32_e32 v4, s11
	v_add_co_u32_e32 v13, vcc, s10, v11
	v_addc_co_u32_e32 v14, vcc, v4, v12, vcc
	v_mov_b32_e32 v4, s13
	v_add_co_u32_e32 v11, vcc, s12, v11
	v_addc_co_u32_e32 v12, vcc, v4, v12, vcc
	global_load_dword v6, v[13:14], off
	global_load_dword v4, v[11:12], off
.LBB164_5:
	s_or_b64 exec, exec, s[16:17]
.LBB164_6:
	s_or_b64 exec, exec, s[14:15]
.LBB164_7:
	s_or_b64 exec, exec, s[6:7]
.LBB164_8:
	s_or_b64 exec, exec, s[4:5]
	s_cmp_lg_u32 s3, 0
	s_cselect_b64 s[4:5], -1, 0
	s_and_saveexec_b64 s[6:7], s[0:1]
	s_cbranch_execz .LBB164_13
; %bb.9:
	s_and_b64 vcc, exec, s[4:5]
	s_waitcnt vmcnt(1)
	v_lshlrev_b32_e32 v5, 16, v9
	s_waitcnt vmcnt(0)
	v_lshlrev_b32_e32 v11, 16, v10
	s_cbranch_vccz .LBB164_37
; %bb.10:
	v_and_b32_e32 v12, 0xffff0000, v9
	v_and_b32_e32 v13, 0xffff0000, v10
	v_cmp_neq_f32_e32 vcc, v5, v11
	v_cmp_neq_f32_e64 s[2:3], v12, v13
	s_or_b64 s[10:11], vcc, s[2:3]
	s_cbranch_execnz .LBB164_12
.LBB164_11:
	v_and_b32_e32 v10, 0xffff0000, v10
	v_and_b32_e32 v9, 0xffff0000, v9
	v_cmp_eq_f32_e32 vcc, v5, v11
	v_cmp_eq_f32_e64 s[2:3], v9, v10
	s_and_b64 s[2:3], vcc, s[2:3]
	s_andn2_b64 s[10:11], s[10:11], exec
	s_and_b64 s[2:3], s[2:3], exec
	s_or_b64 s[10:11], s[10:11], s[2:3]
.LBB164_12:
	v_cndmask_b32_e64 v5, 0, 1, s[10:11]
.LBB164_13:
	s_or_b64 exec, exec, s[6:7]
	s_waitcnt vmcnt(1)
	v_or_b32_e32 v9, 0x100, v0
	s_waitcnt vmcnt(0)
	v_cndmask_b32_e64 v10, 0, 1, s[4:5]
	v_cmp_gt_i32_e32 vcc, s19, v9
	v_cmp_ne_u32_e64 s[2:3], 1, v10
	s_and_saveexec_b64 s[6:7], vcc
	s_cbranch_execz .LBB164_18
; %bb.14:
	s_and_b64 vcc, exec, s[2:3]
	v_lshlrev_b32_e32 v10, 16, v8
	v_lshlrev_b32_e32 v11, 16, v2
	s_cbranch_vccnz .LBB164_38
; %bb.15:
	v_and_b32_e32 v12, 0xffff0000, v8
	v_and_b32_e32 v13, 0xffff0000, v2
	v_cmp_neq_f32_e32 vcc, v10, v11
	v_cmp_neq_f32_e64 s[4:5], v12, v13
	s_or_b64 s[10:11], vcc, s[4:5]
	s_cbranch_execnz .LBB164_17
.LBB164_16:
	v_and_b32_e32 v2, 0xffff0000, v2
	v_and_b32_e32 v8, 0xffff0000, v8
	v_cmp_eq_f32_e32 vcc, v10, v11
	v_cmp_eq_f32_e64 s[4:5], v8, v2
	s_and_b64 s[4:5], vcc, s[4:5]
	s_andn2_b64 s[10:11], s[10:11], exec
	s_and_b64 s[4:5], s[4:5], exec
	s_or_b64 s[10:11], s[10:11], s[4:5]
.LBB164_17:
	v_cndmask_b32_e64 v2, 0, 1, s[10:11]
	v_lshlrev_b16_e32 v2, 8, v2
	v_or_b32_e32 v2, v5, v2
	v_and_b32_e32 v5, 0xffff, v2
.LBB164_18:
	s_or_b64 exec, exec, s[6:7]
	v_or_b32_e32 v2, 0x200, v0
	v_cmp_gt_i32_e32 vcc, s19, v2
	s_and_saveexec_b64 s[6:7], vcc
	s_cbranch_execz .LBB164_23
; %bb.19:
	s_and_b64 vcc, exec, s[2:3]
	v_lshlrev_b32_e32 v2, 16, v7
	v_lshlrev_b32_e32 v8, 16, v3
	s_cbranch_vccnz .LBB164_39
; %bb.20:
	v_and_b32_e32 v10, 0xffff0000, v7
	v_and_b32_e32 v11, 0xffff0000, v3
	v_cmp_neq_f32_e32 vcc, v2, v8
	v_cmp_neq_f32_e64 s[4:5], v10, v11
	s_or_b64 s[10:11], vcc, s[4:5]
	s_cbranch_execnz .LBB164_22
.LBB164_21:
	v_and_b32_e32 v3, 0xffff0000, v3
	v_and_b32_e32 v7, 0xffff0000, v7
	v_cmp_eq_f32_e32 vcc, v2, v8
	v_cmp_eq_f32_e64 s[4:5], v7, v3
	s_and_b64 s[4:5], vcc, s[4:5]
	s_andn2_b64 s[10:11], s[10:11], exec
	s_and_b64 s[4:5], s[4:5], exec
	s_or_b64 s[10:11], s[10:11], s[4:5]
.LBB164_22:
	v_cndmask_b32_e64 v2, 0, 1, s[10:11]
	v_lshl_or_b32 v5, v2, 16, v5
.LBB164_23:
	s_or_b64 exec, exec, s[6:7]
	v_or_b32_e32 v2, 0x300, v0
	v_cmp_gt_i32_e32 vcc, s19, v2
	s_and_saveexec_b64 s[4:5], vcc
	s_cbranch_execz .LBB164_28
; %bb.24:
	s_and_b64 vcc, exec, s[2:3]
	v_lshlrev_b32_e32 v2, 16, v6
	v_lshlrev_b32_e32 v3, 16, v4
	s_cbranch_vccnz .LBB164_40
; %bb.25:
	v_and_b32_e32 v7, 0xffff0000, v6
	v_and_b32_e32 v8, 0xffff0000, v4
	v_cmp_neq_f32_e32 vcc, v2, v3
	v_cmp_neq_f32_e64 s[2:3], v7, v8
	s_or_b64 s[6:7], vcc, s[2:3]
	s_cbranch_execnz .LBB164_27
.LBB164_26:
	v_and_b32_e32 v4, 0xffff0000, v4
	v_and_b32_e32 v6, 0xffff0000, v6
	v_cmp_eq_f32_e32 vcc, v2, v3
	v_cmp_eq_f32_e64 s[2:3], v6, v4
	s_and_b64 s[2:3], vcc, s[2:3]
	s_andn2_b64 s[6:7], s[6:7], exec
	s_and_b64 s[2:3], s[2:3], exec
	s_or_b64 s[6:7], s[6:7], s[2:3]
.LBB164_27:
	v_cndmask_b32_e64 v2, 0, 1, s[6:7]
	v_lshlrev_b16_e32 v2, 8, v2
	v_or_b32_sdwa v2, v5, v2 dst_sel:WORD_1 dst_unused:UNUSED_PAD src0_sel:WORD_1 src1_sel:DWORD
	s_mov_b32 s2, 0xffff
	v_and_or_b32 v5, v5, s2, v2
.LBB164_28:
	s_or_b64 exec, exec, s[4:5]
	s_and_saveexec_b64 s[2:3], s[0:1]
	s_xor_b64 s[0:1], exec, s[2:3]
	s_cbranch_execz .LBB164_30
; %bb.29:
	v_mov_b32_e32 v0, v9
	global_store_byte v1, v5, s[8:9]
.LBB164_30:
	s_or_b64 exec, exec, s[0:1]
	v_cmp_gt_i32_e32 vcc, s19, v0
	s_and_saveexec_b64 s[0:1], vcc
	s_cbranch_execnz .LBB164_34
; %bb.31:
	s_or_b64 exec, exec, s[0:1]
	v_cmp_gt_i32_e32 vcc, s19, v0
	s_and_saveexec_b64 s[0:1], vcc
	s_cbranch_execnz .LBB164_35
.LBB164_32:
	s_or_b64 exec, exec, s[0:1]
	v_cmp_gt_i32_e32 vcc, s19, v0
	s_and_saveexec_b64 s[0:1], vcc
	s_cbranch_execnz .LBB164_36
.LBB164_33:
	s_endpgm
.LBB164_34:
	v_add_u32_e32 v1, 0x100, v0
	v_add_u32_e32 v0, s18, v0
	v_lshrrev_b32_e32 v2, 8, v5
	global_store_byte v0, v2, s[8:9]
	v_mov_b32_e32 v0, v1
	s_or_b64 exec, exec, s[0:1]
	v_cmp_gt_i32_e32 vcc, s19, v0
	s_and_saveexec_b64 s[0:1], vcc
	s_cbranch_execz .LBB164_32
.LBB164_35:
	v_add_u32_e32 v1, 0x100, v0
	v_add_u32_e32 v0, s18, v0
	global_store_byte_d16_hi v0, v5, s[8:9]
	v_mov_b32_e32 v0, v1
	s_or_b64 exec, exec, s[0:1]
	v_cmp_gt_i32_e32 vcc, s19, v0
	s_and_saveexec_b64 s[0:1], vcc
	s_cbranch_execz .LBB164_33
.LBB164_36:
	v_add_u32_e32 v0, s18, v0
	v_lshrrev_b32_e32 v1, 24, v5
	global_store_byte v0, v1, s[8:9]
	s_endpgm
.LBB164_37:
                                        ; implicit-def: $sgpr10_sgpr11
	s_branch .LBB164_11
.LBB164_38:
                                        ; implicit-def: $sgpr10_sgpr11
	s_branch .LBB164_16
.LBB164_39:
                                        ; implicit-def: $sgpr10_sgpr11
	s_branch .LBB164_21
.LBB164_40:
                                        ; implicit-def: $sgpr6_sgpr7
	s_branch .LBB164_26
	.section	.rodata,"a",@progbits
	.p2align	6, 0x0
	.amdhsa_kernel _ZN2at6native27unrolled_elementwise_kernelINS0_13BinaryFunctorIN3c107complexINS3_8BFloat16EEES6_bNS0_12_GLOBAL__N_116CompareEqFunctorIS6_EEEESt5arrayIPcLm3EELi4E23TrivialOffsetCalculatorILi2EjESE_ILi1EjENS0_6memory15LoadWithoutCastENSH_16StoreWithoutCastEEEviT_T0_T2_T3_T4_T5_
		.amdhsa_group_segment_fixed_size 0
		.amdhsa_private_segment_fixed_size 0
		.amdhsa_kernarg_size 36
		.amdhsa_user_sgpr_count 6
		.amdhsa_user_sgpr_private_segment_buffer 1
		.amdhsa_user_sgpr_dispatch_ptr 0
		.amdhsa_user_sgpr_queue_ptr 0
		.amdhsa_user_sgpr_kernarg_segment_ptr 1
		.amdhsa_user_sgpr_dispatch_id 0
		.amdhsa_user_sgpr_flat_scratch_init 0
		.amdhsa_user_sgpr_private_segment_size 0
		.amdhsa_uses_dynamic_stack 0
		.amdhsa_system_sgpr_private_segment_wavefront_offset 0
		.amdhsa_system_sgpr_workgroup_id_x 1
		.amdhsa_system_sgpr_workgroup_id_y 0
		.amdhsa_system_sgpr_workgroup_id_z 0
		.amdhsa_system_sgpr_workgroup_info 0
		.amdhsa_system_vgpr_workitem_id 0
		.amdhsa_next_free_vgpr 15
		.amdhsa_next_free_sgpr 20
		.amdhsa_reserve_vcc 1
		.amdhsa_reserve_flat_scratch 0
		.amdhsa_float_round_mode_32 0
		.amdhsa_float_round_mode_16_64 0
		.amdhsa_float_denorm_mode_32 3
		.amdhsa_float_denorm_mode_16_64 3
		.amdhsa_dx10_clamp 1
		.amdhsa_ieee_mode 1
		.amdhsa_fp16_overflow 0
		.amdhsa_exception_fp_ieee_invalid_op 0
		.amdhsa_exception_fp_denorm_src 0
		.amdhsa_exception_fp_ieee_div_zero 0
		.amdhsa_exception_fp_ieee_overflow 0
		.amdhsa_exception_fp_ieee_underflow 0
		.amdhsa_exception_fp_ieee_inexact 0
		.amdhsa_exception_int_div_zero 0
	.end_amdhsa_kernel
	.section	.text._ZN2at6native27unrolled_elementwise_kernelINS0_13BinaryFunctorIN3c107complexINS3_8BFloat16EEES6_bNS0_12_GLOBAL__N_116CompareEqFunctorIS6_EEEESt5arrayIPcLm3EELi4E23TrivialOffsetCalculatorILi2EjESE_ILi1EjENS0_6memory15LoadWithoutCastENSH_16StoreWithoutCastEEEviT_T0_T2_T3_T4_T5_,"axG",@progbits,_ZN2at6native27unrolled_elementwise_kernelINS0_13BinaryFunctorIN3c107complexINS3_8BFloat16EEES6_bNS0_12_GLOBAL__N_116CompareEqFunctorIS6_EEEESt5arrayIPcLm3EELi4E23TrivialOffsetCalculatorILi2EjESE_ILi1EjENS0_6memory15LoadWithoutCastENSH_16StoreWithoutCastEEEviT_T0_T2_T3_T4_T5_,comdat
.Lfunc_end164:
	.size	_ZN2at6native27unrolled_elementwise_kernelINS0_13BinaryFunctorIN3c107complexINS3_8BFloat16EEES6_bNS0_12_GLOBAL__N_116CompareEqFunctorIS6_EEEESt5arrayIPcLm3EELi4E23TrivialOffsetCalculatorILi2EjESE_ILi1EjENS0_6memory15LoadWithoutCastENSH_16StoreWithoutCastEEEviT_T0_T2_T3_T4_T5_, .Lfunc_end164-_ZN2at6native27unrolled_elementwise_kernelINS0_13BinaryFunctorIN3c107complexINS3_8BFloat16EEES6_bNS0_12_GLOBAL__N_116CompareEqFunctorIS6_EEEESt5arrayIPcLm3EELi4E23TrivialOffsetCalculatorILi2EjESE_ILi1EjENS0_6memory15LoadWithoutCastENSH_16StoreWithoutCastEEEviT_T0_T2_T3_T4_T5_
                                        ; -- End function
	.set _ZN2at6native27unrolled_elementwise_kernelINS0_13BinaryFunctorIN3c107complexINS3_8BFloat16EEES6_bNS0_12_GLOBAL__N_116CompareEqFunctorIS6_EEEESt5arrayIPcLm3EELi4E23TrivialOffsetCalculatorILi2EjESE_ILi1EjENS0_6memory15LoadWithoutCastENSH_16StoreWithoutCastEEEviT_T0_T2_T3_T4_T5_.num_vgpr, 15
	.set _ZN2at6native27unrolled_elementwise_kernelINS0_13BinaryFunctorIN3c107complexINS3_8BFloat16EEES6_bNS0_12_GLOBAL__N_116CompareEqFunctorIS6_EEEESt5arrayIPcLm3EELi4E23TrivialOffsetCalculatorILi2EjESE_ILi1EjENS0_6memory15LoadWithoutCastENSH_16StoreWithoutCastEEEviT_T0_T2_T3_T4_T5_.num_agpr, 0
	.set _ZN2at6native27unrolled_elementwise_kernelINS0_13BinaryFunctorIN3c107complexINS3_8BFloat16EEES6_bNS0_12_GLOBAL__N_116CompareEqFunctorIS6_EEEESt5arrayIPcLm3EELi4E23TrivialOffsetCalculatorILi2EjESE_ILi1EjENS0_6memory15LoadWithoutCastENSH_16StoreWithoutCastEEEviT_T0_T2_T3_T4_T5_.numbered_sgpr, 20
	.set _ZN2at6native27unrolled_elementwise_kernelINS0_13BinaryFunctorIN3c107complexINS3_8BFloat16EEES6_bNS0_12_GLOBAL__N_116CompareEqFunctorIS6_EEEESt5arrayIPcLm3EELi4E23TrivialOffsetCalculatorILi2EjESE_ILi1EjENS0_6memory15LoadWithoutCastENSH_16StoreWithoutCastEEEviT_T0_T2_T3_T4_T5_.num_named_barrier, 0
	.set _ZN2at6native27unrolled_elementwise_kernelINS0_13BinaryFunctorIN3c107complexINS3_8BFloat16EEES6_bNS0_12_GLOBAL__N_116CompareEqFunctorIS6_EEEESt5arrayIPcLm3EELi4E23TrivialOffsetCalculatorILi2EjESE_ILi1EjENS0_6memory15LoadWithoutCastENSH_16StoreWithoutCastEEEviT_T0_T2_T3_T4_T5_.private_seg_size, 0
	.set _ZN2at6native27unrolled_elementwise_kernelINS0_13BinaryFunctorIN3c107complexINS3_8BFloat16EEES6_bNS0_12_GLOBAL__N_116CompareEqFunctorIS6_EEEESt5arrayIPcLm3EELi4E23TrivialOffsetCalculatorILi2EjESE_ILi1EjENS0_6memory15LoadWithoutCastENSH_16StoreWithoutCastEEEviT_T0_T2_T3_T4_T5_.uses_vcc, 1
	.set _ZN2at6native27unrolled_elementwise_kernelINS0_13BinaryFunctorIN3c107complexINS3_8BFloat16EEES6_bNS0_12_GLOBAL__N_116CompareEqFunctorIS6_EEEESt5arrayIPcLm3EELi4E23TrivialOffsetCalculatorILi2EjESE_ILi1EjENS0_6memory15LoadWithoutCastENSH_16StoreWithoutCastEEEviT_T0_T2_T3_T4_T5_.uses_flat_scratch, 0
	.set _ZN2at6native27unrolled_elementwise_kernelINS0_13BinaryFunctorIN3c107complexINS3_8BFloat16EEES6_bNS0_12_GLOBAL__N_116CompareEqFunctorIS6_EEEESt5arrayIPcLm3EELi4E23TrivialOffsetCalculatorILi2EjESE_ILi1EjENS0_6memory15LoadWithoutCastENSH_16StoreWithoutCastEEEviT_T0_T2_T3_T4_T5_.has_dyn_sized_stack, 0
	.set _ZN2at6native27unrolled_elementwise_kernelINS0_13BinaryFunctorIN3c107complexINS3_8BFloat16EEES6_bNS0_12_GLOBAL__N_116CompareEqFunctorIS6_EEEESt5arrayIPcLm3EELi4E23TrivialOffsetCalculatorILi2EjESE_ILi1EjENS0_6memory15LoadWithoutCastENSH_16StoreWithoutCastEEEviT_T0_T2_T3_T4_T5_.has_recursion, 0
	.set _ZN2at6native27unrolled_elementwise_kernelINS0_13BinaryFunctorIN3c107complexINS3_8BFloat16EEES6_bNS0_12_GLOBAL__N_116CompareEqFunctorIS6_EEEESt5arrayIPcLm3EELi4E23TrivialOffsetCalculatorILi2EjESE_ILi1EjENS0_6memory15LoadWithoutCastENSH_16StoreWithoutCastEEEviT_T0_T2_T3_T4_T5_.has_indirect_call, 0
	.section	.AMDGPU.csdata,"",@progbits
; Kernel info:
; codeLenInByte = 1212
; TotalNumSgprs: 24
; NumVgprs: 15
; ScratchSize: 0
; MemoryBound: 0
; FloatMode: 240
; IeeeMode: 1
; LDSByteSize: 0 bytes/workgroup (compile time only)
; SGPRBlocks: 2
; VGPRBlocks: 3
; NumSGPRsForWavesPerEU: 24
; NumVGPRsForWavesPerEU: 15
; Occupancy: 10
; WaveLimiterHint : 0
; COMPUTE_PGM_RSRC2:SCRATCH_EN: 0
; COMPUTE_PGM_RSRC2:USER_SGPR: 6
; COMPUTE_PGM_RSRC2:TRAP_HANDLER: 0
; COMPUTE_PGM_RSRC2:TGID_X_EN: 1
; COMPUTE_PGM_RSRC2:TGID_Y_EN: 0
; COMPUTE_PGM_RSRC2:TGID_Z_EN: 0
; COMPUTE_PGM_RSRC2:TIDIG_COMP_CNT: 0
	.section	.text._ZN2at6native32elementwise_kernel_manual_unrollILi128ELi8EZNS0_22gpu_kernel_impl_nocastINS0_13BinaryFunctorIN3c107complexINS4_8BFloat16EEES7_bNS0_12_GLOBAL__N_116CompareEqFunctorIS7_EEEEEEvRNS_18TensorIteratorBaseERKT_EUlibE_EEviT1_,"axG",@progbits,_ZN2at6native32elementwise_kernel_manual_unrollILi128ELi8EZNS0_22gpu_kernel_impl_nocastINS0_13BinaryFunctorIN3c107complexINS4_8BFloat16EEES7_bNS0_12_GLOBAL__N_116CompareEqFunctorIS7_EEEEEEvRNS_18TensorIteratorBaseERKT_EUlibE_EEviT1_,comdat
	.globl	_ZN2at6native32elementwise_kernel_manual_unrollILi128ELi8EZNS0_22gpu_kernel_impl_nocastINS0_13BinaryFunctorIN3c107complexINS4_8BFloat16EEES7_bNS0_12_GLOBAL__N_116CompareEqFunctorIS7_EEEEEEvRNS_18TensorIteratorBaseERKT_EUlibE_EEviT1_ ; -- Begin function _ZN2at6native32elementwise_kernel_manual_unrollILi128ELi8EZNS0_22gpu_kernel_impl_nocastINS0_13BinaryFunctorIN3c107complexINS4_8BFloat16EEES7_bNS0_12_GLOBAL__N_116CompareEqFunctorIS7_EEEEEEvRNS_18TensorIteratorBaseERKT_EUlibE_EEviT1_
	.p2align	8
	.type	_ZN2at6native32elementwise_kernel_manual_unrollILi128ELi8EZNS0_22gpu_kernel_impl_nocastINS0_13BinaryFunctorIN3c107complexINS4_8BFloat16EEES7_bNS0_12_GLOBAL__N_116CompareEqFunctorIS7_EEEEEEvRNS_18TensorIteratorBaseERKT_EUlibE_EEviT1_,@function
_ZN2at6native32elementwise_kernel_manual_unrollILi128ELi8EZNS0_22gpu_kernel_impl_nocastINS0_13BinaryFunctorIN3c107complexINS4_8BFloat16EEES7_bNS0_12_GLOBAL__N_116CompareEqFunctorIS7_EEEEEEvRNS_18TensorIteratorBaseERKT_EUlibE_EEviT1_: ; @_ZN2at6native32elementwise_kernel_manual_unrollILi128ELi8EZNS0_22gpu_kernel_impl_nocastINS0_13BinaryFunctorIN3c107complexINS4_8BFloat16EEES7_bNS0_12_GLOBAL__N_116CompareEqFunctorIS7_EEEEEEvRNS_18TensorIteratorBaseERKT_EUlibE_EEviT1_
; %bb.0:
	s_load_dword s40, s[4:5], 0x0
	s_load_dword s33, s[4:5], 0x8
	s_add_u32 s2, s4, 8
	s_addc_u32 s3, s5, 0
	v_lshl_or_b32 v30, s6, 10, v0
	v_or_b32_e32 v40, 0x380, v30
	s_waitcnt lgkmcnt(0)
	s_add_i32 s38, s33, -1
	s_cmp_gt_u32 s38, 1
	v_cmp_le_i32_e32 vcc, s40, v40
	s_cselect_b64 s[16:17], -1, 0
	s_and_saveexec_b64 s[0:1], vcc
	s_xor_b64 s[18:19], exec, s[0:1]
	s_cbranch_execz .LBB165_137
; %bb.1:
	s_load_dwordx4 s[12:15], s[2:3], 0x4
	s_load_dwordx2 s[26:27], s[2:3], 0x14
	s_load_dwordx4 s[8:11], s[2:3], 0xc4
	s_load_dwordx2 s[24:25], s[2:3], 0xd4
	s_load_dword s0, s[2:3], 0x1a0
	s_cmp_lg_u32 s33, 0
	s_load_dwordx2 s[22:23], s[2:3], 0x198
	s_load_dwordx4 s[4:7], s[2:3], 0x188
	s_cselect_b64 s[30:31], -1, 0
	s_min_u32 s39, s38, 15
	s_cmp_gt_u32 s33, 1
	s_cselect_b64 s[28:29], -1, 0
	s_waitcnt lgkmcnt(0)
	s_cmp_lg_u32 s0, 0
	s_cselect_b64 s[20:21], -1, 0
	v_cmp_gt_i32_e32 vcc, s40, v30
	s_and_saveexec_b64 s[34:35], vcc
	s_cbranch_execnz .LBB165_9
; %bb.2:
	s_or_b64 exec, exec, s[34:35]
	v_cmp_gt_i32_e32 vcc, s40, v30
	s_and_saveexec_b64 s[34:35], vcc
	s_cbranch_execnz .LBB165_24
.LBB165_3:
	s_or_b64 exec, exec, s[34:35]
	v_cmp_gt_i32_e32 vcc, s40, v30
	s_and_saveexec_b64 s[34:35], vcc
	s_cbranch_execnz .LBB165_40
.LBB165_4:
	s_or_b64 exec, exec, s[34:35]
	v_cmp_gt_i32_e32 vcc, s40, v30
	s_and_saveexec_b64 s[34:35], vcc
	s_cbranch_execnz .LBB165_56
.LBB165_5:
	s_or_b64 exec, exec, s[34:35]
	v_cmp_gt_i32_e32 vcc, s40, v30
	s_and_saveexec_b64 s[34:35], vcc
	s_cbranch_execnz .LBB165_72
.LBB165_6:
	s_or_b64 exec, exec, s[34:35]
	v_cmp_gt_i32_e32 vcc, s40, v30
	s_and_saveexec_b64 s[34:35], vcc
	s_cbranch_execnz .LBB165_88
.LBB165_7:
	s_or_b64 exec, exec, s[34:35]
	v_cmp_gt_i32_e32 vcc, s40, v30
	s_and_saveexec_b64 s[34:35], vcc
	s_cbranch_execnz .LBB165_104
.LBB165_8:
	s_or_b64 exec, exec, s[34:35]
	v_cmp_gt_i32_e32 vcc, s40, v30
	s_and_saveexec_b64 s[34:35], vcc
	s_cbranch_execnz .LBB165_120
	s_branch .LBB165_136
.LBB165_9:
	s_andn2_b64 vcc, exec, s[16:17]
	s_cbranch_vccnz .LBB165_15
; %bb.10:
	s_andn2_b64 vcc, exec, s[30:31]
	s_cbranch_vccnz .LBB165_16
; %bb.11:
	s_add_i32 s0, s39, 1
	s_and_b32 s36, s0, 30
	s_add_u32 s0, s2, 0xffffffe8
	s_addc_u32 s1, s3, -1
	v_mov_b32_e32 v2, 0
	v_mov_b32_e32 v4, 0
	;; [unrolled: 1-line block ×4, first 2 shown]
.LBB165_12:                             ; =>This Inner Loop Header: Depth=1
	s_load_dwordx4 s[44:47], s[0:1], 0x1c
	s_load_dwordx2 s[42:43], s[0:1], 0x2c
	s_load_dwordx2 s[52:53], s[0:1], 0xec
	s_load_dwordx4 s[48:51], s[0:1], 0xdc
	s_add_u32 s0, s0, 24
	s_waitcnt lgkmcnt(0)
	v_mul_hi_u32 v3, s45, v1
	s_addc_u32 s1, s1, 0
	s_add_i32 s36, s36, -2
	s_cmp_lg_u32 s36, 0
	v_add_u32_e32 v3, v1, v3
	v_lshrrev_b32_e32 v3, s46, v3
	v_mul_lo_u32 v5, v3, s44
	v_mul_hi_u32 v6, s42, v3
	v_sub_u32_e32 v5, v1, v5
	v_add_u32_e32 v1, v3, v6
	v_lshrrev_b32_e32 v1, s43, v1
	v_mul_lo_u32 v8, v1, s47
	v_mul_lo_u32 v6, v5, s48
	v_mul_lo_u32 v7, v5, s49
	v_mul_lo_u32 v5, v5, s50
	v_sub_u32_e32 v3, v3, v8
	v_mul_lo_u32 v8, v3, s51
	v_mul_lo_u32 v9, v3, s52
	;; [unrolled: 1-line block ×3, first 2 shown]
	v_add3_u32 v0, v6, v0, v8
	v_add3_u32 v4, v7, v4, v9
	v_add3_u32 v2, v5, v2, v3
	s_cbranch_scc1 .LBB165_12
; %bb.13:
	s_bitcmp1_b32 s39, 0
	s_cselect_b64 s[36:37], -1, 0
	s_and_b64 vcc, exec, s[36:37]
	s_cbranch_vccnz .LBB165_17
; %bb.14:
	s_load_dwordx2 s[36:37], s[0:1], 0x1c
	s_load_dword s41, s[0:1], 0x24
	s_load_dwordx2 s[42:43], s[0:1], 0xdc
	s_waitcnt lgkmcnt(0)
	v_mul_hi_u32 v3, s37, v1
	v_add_u32_e32 v3, v1, v3
	v_lshrrev_b32_e32 v3, s41, v3
	v_mul_lo_u32 v3, v3, s36
	s_load_dword s36, s[0:1], 0xe4
	v_sub_u32_e32 v3, v1, v3
	v_mad_u64_u32 v[0:1], s[0:1], v3, s42, v[0:1]
	v_mad_u64_u32 v[4:5], s[0:1], v3, s43, v[4:5]
	s_waitcnt lgkmcnt(0)
	v_mad_u64_u32 v[2:3], s[0:1], v3, s36, v[2:3]
	s_cbranch_execz .LBB165_18
	s_branch .LBB165_20
.LBB165_15:
                                        ; implicit-def: $vgpr0
                                        ; implicit-def: $vgpr4
                                        ; implicit-def: $vgpr2
	s_branch .LBB165_18
.LBB165_16:
	v_mov_b32_e32 v0, 0
	v_mov_b32_e32 v4, 0
	v_mov_b32_e32 v2, 0
.LBB165_17:
	s_cbranch_execnz .LBB165_20
.LBB165_18:
	v_mul_hi_u32 v0, s13, v30
	s_andn2_b64 vcc, exec, s[28:29]
	v_add_u32_e32 v0, v30, v0
	v_lshrrev_b32_e32 v1, s14, v0
	v_mul_lo_u32 v0, v1, s12
	v_sub_u32_e32 v2, v30, v0
	v_mul_lo_u32 v0, v2, s8
	v_mul_lo_u32 v4, v2, s9
	v_mul_lo_u32 v2, v2, s10
	s_cbranch_vccnz .LBB165_20
; %bb.19:
	v_mul_hi_u32 v3, s26, v1
	v_add_u32_e32 v3, v1, v3
	v_lshrrev_b32_e32 v3, s27, v3
	v_mul_lo_u32 v3, v3, s15
	v_sub_u32_e32 v3, v1, v3
	v_mad_u64_u32 v[0:1], s[0:1], v3, s11, v[0:1]
	v_mad_u64_u32 v[4:5], s[0:1], v3, s24, v[4:5]
	;; [unrolled: 1-line block ×3, first 2 shown]
.LBB165_20:
	global_load_dword v1, v4, s[6:7]
	global_load_dword v3, v2, s[22:23]
	s_and_b64 vcc, exec, s[20:21]
	s_waitcnt vmcnt(1)
	v_lshlrev_b32_e32 v2, 16, v1
	s_waitcnt vmcnt(0)
	v_lshlrev_b32_e32 v4, 16, v3
	s_cbranch_vccz .LBB165_31
; %bb.21:
	v_and_b32_e32 v5, 0xffff0000, v1
	v_and_b32_e32 v6, 0xffff0000, v3
	v_cmp_neq_f32_e32 vcc, v2, v4
	v_cmp_neq_f32_e64 s[0:1], v5, v6
	s_or_b64 s[36:37], vcc, s[0:1]
	s_cbranch_execnz .LBB165_23
.LBB165_22:
	v_and_b32_e32 v3, 0xffff0000, v3
	v_and_b32_e32 v1, 0xffff0000, v1
	v_cmp_eq_f32_e32 vcc, v2, v4
	v_cmp_eq_f32_e64 s[0:1], v1, v3
	s_and_b64 s[0:1], vcc, s[0:1]
	s_andn2_b64 s[36:37], s[36:37], exec
	s_and_b64 s[0:1], s[0:1], exec
	s_or_b64 s[36:37], s[36:37], s[0:1]
.LBB165_23:
	v_cndmask_b32_e64 v1, 0, 1, s[36:37]
	v_add_u32_e32 v30, 0x80, v30
	global_store_byte v0, v1, s[4:5]
	s_or_b64 exec, exec, s[34:35]
	v_cmp_gt_i32_e32 vcc, s40, v30
	s_and_saveexec_b64 s[34:35], vcc
	s_cbranch_execz .LBB165_3
.LBB165_24:
	s_andn2_b64 vcc, exec, s[16:17]
	s_cbranch_vccnz .LBB165_30
; %bb.25:
	s_andn2_b64 vcc, exec, s[30:31]
	s_cbranch_vccnz .LBB165_32
; %bb.26:
	s_add_i32 s0, s39, 1
	s_and_b32 s36, s0, 30
	s_add_u32 s0, s2, 0xffffffe8
	s_addc_u32 s1, s3, -1
	v_mov_b32_e32 v2, 0
	v_mov_b32_e32 v4, 0
	;; [unrolled: 1-line block ×4, first 2 shown]
.LBB165_27:                             ; =>This Inner Loop Header: Depth=1
	s_load_dwordx4 s[44:47], s[0:1], 0x1c
	s_load_dwordx2 s[42:43], s[0:1], 0x2c
	s_load_dwordx2 s[52:53], s[0:1], 0xec
	s_load_dwordx4 s[48:51], s[0:1], 0xdc
	s_add_u32 s0, s0, 24
	s_waitcnt lgkmcnt(0)
	v_mul_hi_u32 v3, s45, v1
	s_addc_u32 s1, s1, 0
	s_add_i32 s36, s36, -2
	s_cmp_eq_u32 s36, 0
	v_add_u32_e32 v3, v1, v3
	v_lshrrev_b32_e32 v3, s46, v3
	v_mul_lo_u32 v5, v3, s44
	v_mul_hi_u32 v6, s42, v3
	v_sub_u32_e32 v5, v1, v5
	v_add_u32_e32 v1, v3, v6
	v_lshrrev_b32_e32 v1, s43, v1
	v_mul_lo_u32 v8, v1, s47
	v_mul_lo_u32 v6, v5, s48
	;; [unrolled: 1-line block ×4, first 2 shown]
	v_sub_u32_e32 v3, v3, v8
	v_mul_lo_u32 v8, v3, s51
	v_mul_lo_u32 v9, v3, s52
	;; [unrolled: 1-line block ×3, first 2 shown]
	v_add3_u32 v0, v6, v0, v8
	v_add3_u32 v4, v7, v4, v9
	;; [unrolled: 1-line block ×3, first 2 shown]
	s_cbranch_scc0 .LBB165_27
; %bb.28:
	s_bitcmp1_b32 s39, 0
	s_cselect_b64 s[36:37], -1, 0
	s_and_b64 vcc, exec, s[36:37]
	s_cbranch_vccnz .LBB165_33
; %bb.29:
	s_load_dwordx2 s[36:37], s[0:1], 0x1c
	s_load_dword s41, s[0:1], 0x24
	s_load_dwordx2 s[42:43], s[0:1], 0xdc
	s_waitcnt lgkmcnt(0)
	v_mul_hi_u32 v3, s37, v1
	v_add_u32_e32 v3, v1, v3
	v_lshrrev_b32_e32 v3, s41, v3
	v_mul_lo_u32 v3, v3, s36
	s_load_dword s36, s[0:1], 0xe4
	v_sub_u32_e32 v3, v1, v3
	v_mad_u64_u32 v[0:1], s[0:1], v3, s42, v[0:1]
	v_mad_u64_u32 v[4:5], s[0:1], v3, s43, v[4:5]
	s_waitcnt lgkmcnt(0)
	v_mad_u64_u32 v[2:3], s[0:1], v3, s36, v[2:3]
	s_branch .LBB165_33
.LBB165_30:
                                        ; implicit-def: $vgpr0
                                        ; implicit-def: $vgpr4
                                        ; implicit-def: $vgpr2
	s_branch .LBB165_34
.LBB165_31:
                                        ; implicit-def: $sgpr36_sgpr37
	s_branch .LBB165_22
.LBB165_32:
	v_mov_b32_e32 v0, 0
	v_mov_b32_e32 v4, 0
	;; [unrolled: 1-line block ×3, first 2 shown]
.LBB165_33:
	s_cbranch_execnz .LBB165_36
.LBB165_34:
	v_mul_hi_u32 v0, s13, v30
	s_andn2_b64 vcc, exec, s[28:29]
	v_add_u32_e32 v0, v30, v0
	v_lshrrev_b32_e32 v1, s14, v0
	v_mul_lo_u32 v0, v1, s12
	v_sub_u32_e32 v2, v30, v0
	v_mul_lo_u32 v0, v2, s8
	v_mul_lo_u32 v4, v2, s9
	;; [unrolled: 1-line block ×3, first 2 shown]
	s_cbranch_vccnz .LBB165_36
; %bb.35:
	v_mul_hi_u32 v3, s26, v1
	v_add_u32_e32 v3, v1, v3
	v_lshrrev_b32_e32 v3, s27, v3
	v_mul_lo_u32 v3, v3, s15
	v_sub_u32_e32 v3, v1, v3
	v_mad_u64_u32 v[0:1], s[0:1], v3, s11, v[0:1]
	v_mad_u64_u32 v[4:5], s[0:1], v3, s24, v[4:5]
	;; [unrolled: 1-line block ×3, first 2 shown]
.LBB165_36:
	global_load_dword v1, v4, s[6:7]
	global_load_dword v3, v2, s[22:23]
	s_andn2_b64 vcc, exec, s[20:21]
	s_waitcnt vmcnt(1)
	v_lshlrev_b32_e32 v2, 16, v1
	s_waitcnt vmcnt(0)
	v_lshlrev_b32_e32 v4, 16, v3
	s_cbranch_vccnz .LBB165_47
; %bb.37:
	v_and_b32_e32 v5, 0xffff0000, v1
	v_and_b32_e32 v6, 0xffff0000, v3
	v_cmp_neq_f32_e32 vcc, v2, v4
	v_cmp_neq_f32_e64 s[0:1], v5, v6
	s_or_b64 s[36:37], vcc, s[0:1]
	s_cbranch_execnz .LBB165_39
.LBB165_38:
	v_and_b32_e32 v3, 0xffff0000, v3
	v_and_b32_e32 v1, 0xffff0000, v1
	v_cmp_eq_f32_e32 vcc, v2, v4
	v_cmp_eq_f32_e64 s[0:1], v1, v3
	s_and_b64 s[0:1], vcc, s[0:1]
	s_andn2_b64 s[36:37], s[36:37], exec
	s_and_b64 s[0:1], s[0:1], exec
	s_or_b64 s[36:37], s[36:37], s[0:1]
.LBB165_39:
	v_cndmask_b32_e64 v1, 0, 1, s[36:37]
	v_add_u32_e32 v30, 0x80, v30
	global_store_byte v0, v1, s[4:5]
	s_or_b64 exec, exec, s[34:35]
	v_cmp_gt_i32_e32 vcc, s40, v30
	s_and_saveexec_b64 s[34:35], vcc
	s_cbranch_execz .LBB165_4
.LBB165_40:
	s_andn2_b64 vcc, exec, s[16:17]
	s_cbranch_vccnz .LBB165_46
; %bb.41:
	s_andn2_b64 vcc, exec, s[30:31]
	s_cbranch_vccnz .LBB165_48
; %bb.42:
	s_add_i32 s0, s39, 1
	s_and_b32 s36, s0, 30
	s_add_u32 s0, s2, 0xffffffe8
	s_addc_u32 s1, s3, -1
	v_mov_b32_e32 v2, 0
	v_mov_b32_e32 v4, 0
	v_mov_b32_e32 v0, 0
	v_mov_b32_e32 v1, v30
.LBB165_43:                             ; =>This Inner Loop Header: Depth=1
	s_load_dwordx4 s[44:47], s[0:1], 0x1c
	s_load_dwordx2 s[42:43], s[0:1], 0x2c
	s_load_dwordx2 s[52:53], s[0:1], 0xec
	s_load_dwordx4 s[48:51], s[0:1], 0xdc
	s_add_u32 s0, s0, 24
	s_waitcnt lgkmcnt(0)
	v_mul_hi_u32 v3, s45, v1
	s_addc_u32 s1, s1, 0
	s_add_i32 s36, s36, -2
	s_cmp_eq_u32 s36, 0
	v_add_u32_e32 v3, v1, v3
	v_lshrrev_b32_e32 v3, s46, v3
	v_mul_lo_u32 v5, v3, s44
	v_mul_hi_u32 v6, s42, v3
	v_sub_u32_e32 v5, v1, v5
	v_add_u32_e32 v1, v3, v6
	v_lshrrev_b32_e32 v1, s43, v1
	v_mul_lo_u32 v8, v1, s47
	v_mul_lo_u32 v6, v5, s48
	;; [unrolled: 1-line block ×4, first 2 shown]
	v_sub_u32_e32 v3, v3, v8
	v_mul_lo_u32 v8, v3, s51
	v_mul_lo_u32 v9, v3, s52
	;; [unrolled: 1-line block ×3, first 2 shown]
	v_add3_u32 v0, v6, v0, v8
	v_add3_u32 v4, v7, v4, v9
	;; [unrolled: 1-line block ×3, first 2 shown]
	s_cbranch_scc0 .LBB165_43
; %bb.44:
	s_bitcmp1_b32 s39, 0
	s_cselect_b64 s[36:37], -1, 0
	s_and_b64 vcc, exec, s[36:37]
	s_cbranch_vccnz .LBB165_49
; %bb.45:
	s_load_dwordx2 s[36:37], s[0:1], 0x1c
	s_load_dword s41, s[0:1], 0x24
	s_load_dwordx2 s[42:43], s[0:1], 0xdc
	s_waitcnt lgkmcnt(0)
	v_mul_hi_u32 v3, s37, v1
	v_add_u32_e32 v3, v1, v3
	v_lshrrev_b32_e32 v3, s41, v3
	v_mul_lo_u32 v3, v3, s36
	s_load_dword s36, s[0:1], 0xe4
	v_sub_u32_e32 v3, v1, v3
	v_mad_u64_u32 v[0:1], s[0:1], v3, s42, v[0:1]
	v_mad_u64_u32 v[4:5], s[0:1], v3, s43, v[4:5]
	s_waitcnt lgkmcnt(0)
	v_mad_u64_u32 v[2:3], s[0:1], v3, s36, v[2:3]
	s_branch .LBB165_49
.LBB165_46:
                                        ; implicit-def: $vgpr0
                                        ; implicit-def: $vgpr4
                                        ; implicit-def: $vgpr2
	s_branch .LBB165_50
.LBB165_47:
                                        ; implicit-def: $sgpr36_sgpr37
	s_branch .LBB165_38
.LBB165_48:
	v_mov_b32_e32 v0, 0
	v_mov_b32_e32 v4, 0
	;; [unrolled: 1-line block ×3, first 2 shown]
.LBB165_49:
	s_cbranch_execnz .LBB165_52
.LBB165_50:
	v_mul_hi_u32 v0, s13, v30
	s_andn2_b64 vcc, exec, s[28:29]
	v_add_u32_e32 v0, v30, v0
	v_lshrrev_b32_e32 v1, s14, v0
	v_mul_lo_u32 v0, v1, s12
	v_sub_u32_e32 v2, v30, v0
	v_mul_lo_u32 v0, v2, s8
	v_mul_lo_u32 v4, v2, s9
	;; [unrolled: 1-line block ×3, first 2 shown]
	s_cbranch_vccnz .LBB165_52
; %bb.51:
	v_mul_hi_u32 v3, s26, v1
	v_add_u32_e32 v3, v1, v3
	v_lshrrev_b32_e32 v3, s27, v3
	v_mul_lo_u32 v3, v3, s15
	v_sub_u32_e32 v3, v1, v3
	v_mad_u64_u32 v[0:1], s[0:1], v3, s11, v[0:1]
	v_mad_u64_u32 v[4:5], s[0:1], v3, s24, v[4:5]
	;; [unrolled: 1-line block ×3, first 2 shown]
.LBB165_52:
	global_load_dword v1, v4, s[6:7]
	global_load_dword v3, v2, s[22:23]
	s_andn2_b64 vcc, exec, s[20:21]
	s_waitcnt vmcnt(1)
	v_lshlrev_b32_e32 v2, 16, v1
	s_waitcnt vmcnt(0)
	v_lshlrev_b32_e32 v4, 16, v3
	s_cbranch_vccnz .LBB165_63
; %bb.53:
	v_and_b32_e32 v5, 0xffff0000, v1
	v_and_b32_e32 v6, 0xffff0000, v3
	v_cmp_neq_f32_e32 vcc, v2, v4
	v_cmp_neq_f32_e64 s[0:1], v5, v6
	s_or_b64 s[36:37], vcc, s[0:1]
	s_cbranch_execnz .LBB165_55
.LBB165_54:
	v_and_b32_e32 v3, 0xffff0000, v3
	v_and_b32_e32 v1, 0xffff0000, v1
	v_cmp_eq_f32_e32 vcc, v2, v4
	v_cmp_eq_f32_e64 s[0:1], v1, v3
	s_and_b64 s[0:1], vcc, s[0:1]
	s_andn2_b64 s[36:37], s[36:37], exec
	s_and_b64 s[0:1], s[0:1], exec
	s_or_b64 s[36:37], s[36:37], s[0:1]
.LBB165_55:
	v_cndmask_b32_e64 v1, 0, 1, s[36:37]
	v_add_u32_e32 v30, 0x80, v30
	global_store_byte v0, v1, s[4:5]
	s_or_b64 exec, exec, s[34:35]
	v_cmp_gt_i32_e32 vcc, s40, v30
	s_and_saveexec_b64 s[34:35], vcc
	s_cbranch_execz .LBB165_5
.LBB165_56:
	s_andn2_b64 vcc, exec, s[16:17]
	s_cbranch_vccnz .LBB165_62
; %bb.57:
	s_andn2_b64 vcc, exec, s[30:31]
	s_cbranch_vccnz .LBB165_64
; %bb.58:
	s_add_i32 s0, s39, 1
	s_and_b32 s36, s0, 30
	s_add_u32 s0, s2, 0xffffffe8
	s_addc_u32 s1, s3, -1
	v_mov_b32_e32 v2, 0
	v_mov_b32_e32 v4, 0
	;; [unrolled: 1-line block ×4, first 2 shown]
.LBB165_59:                             ; =>This Inner Loop Header: Depth=1
	s_load_dwordx4 s[44:47], s[0:1], 0x1c
	s_load_dwordx2 s[42:43], s[0:1], 0x2c
	s_load_dwordx2 s[52:53], s[0:1], 0xec
	s_load_dwordx4 s[48:51], s[0:1], 0xdc
	s_add_u32 s0, s0, 24
	s_waitcnt lgkmcnt(0)
	v_mul_hi_u32 v3, s45, v1
	s_addc_u32 s1, s1, 0
	s_add_i32 s36, s36, -2
	s_cmp_eq_u32 s36, 0
	v_add_u32_e32 v3, v1, v3
	v_lshrrev_b32_e32 v3, s46, v3
	v_mul_lo_u32 v5, v3, s44
	v_mul_hi_u32 v6, s42, v3
	v_sub_u32_e32 v5, v1, v5
	v_add_u32_e32 v1, v3, v6
	v_lshrrev_b32_e32 v1, s43, v1
	v_mul_lo_u32 v8, v1, s47
	v_mul_lo_u32 v6, v5, s48
	;; [unrolled: 1-line block ×4, first 2 shown]
	v_sub_u32_e32 v3, v3, v8
	v_mul_lo_u32 v8, v3, s51
	v_mul_lo_u32 v9, v3, s52
	;; [unrolled: 1-line block ×3, first 2 shown]
	v_add3_u32 v0, v6, v0, v8
	v_add3_u32 v4, v7, v4, v9
	;; [unrolled: 1-line block ×3, first 2 shown]
	s_cbranch_scc0 .LBB165_59
; %bb.60:
	s_bitcmp1_b32 s39, 0
	s_cselect_b64 s[36:37], -1, 0
	s_and_b64 vcc, exec, s[36:37]
	s_cbranch_vccnz .LBB165_65
; %bb.61:
	s_load_dwordx2 s[36:37], s[0:1], 0x1c
	s_load_dword s41, s[0:1], 0x24
	s_load_dwordx2 s[42:43], s[0:1], 0xdc
	s_waitcnt lgkmcnt(0)
	v_mul_hi_u32 v3, s37, v1
	v_add_u32_e32 v3, v1, v3
	v_lshrrev_b32_e32 v3, s41, v3
	v_mul_lo_u32 v3, v3, s36
	s_load_dword s36, s[0:1], 0xe4
	v_sub_u32_e32 v3, v1, v3
	v_mad_u64_u32 v[0:1], s[0:1], v3, s42, v[0:1]
	v_mad_u64_u32 v[4:5], s[0:1], v3, s43, v[4:5]
	s_waitcnt lgkmcnt(0)
	v_mad_u64_u32 v[2:3], s[0:1], v3, s36, v[2:3]
	s_branch .LBB165_65
.LBB165_62:
                                        ; implicit-def: $vgpr0
                                        ; implicit-def: $vgpr4
                                        ; implicit-def: $vgpr2
	s_branch .LBB165_66
.LBB165_63:
                                        ; implicit-def: $sgpr36_sgpr37
	s_branch .LBB165_54
.LBB165_64:
	v_mov_b32_e32 v0, 0
	v_mov_b32_e32 v4, 0
	;; [unrolled: 1-line block ×3, first 2 shown]
.LBB165_65:
	s_cbranch_execnz .LBB165_68
.LBB165_66:
	v_mul_hi_u32 v0, s13, v30
	s_andn2_b64 vcc, exec, s[28:29]
	v_add_u32_e32 v0, v30, v0
	v_lshrrev_b32_e32 v1, s14, v0
	v_mul_lo_u32 v0, v1, s12
	v_sub_u32_e32 v2, v30, v0
	v_mul_lo_u32 v0, v2, s8
	v_mul_lo_u32 v4, v2, s9
	;; [unrolled: 1-line block ×3, first 2 shown]
	s_cbranch_vccnz .LBB165_68
; %bb.67:
	v_mul_hi_u32 v3, s26, v1
	v_add_u32_e32 v3, v1, v3
	v_lshrrev_b32_e32 v3, s27, v3
	v_mul_lo_u32 v3, v3, s15
	v_sub_u32_e32 v3, v1, v3
	v_mad_u64_u32 v[0:1], s[0:1], v3, s11, v[0:1]
	v_mad_u64_u32 v[4:5], s[0:1], v3, s24, v[4:5]
	;; [unrolled: 1-line block ×3, first 2 shown]
.LBB165_68:
	global_load_dword v1, v4, s[6:7]
	global_load_dword v3, v2, s[22:23]
	s_andn2_b64 vcc, exec, s[20:21]
	s_waitcnt vmcnt(1)
	v_lshlrev_b32_e32 v2, 16, v1
	s_waitcnt vmcnt(0)
	v_lshlrev_b32_e32 v4, 16, v3
	s_cbranch_vccnz .LBB165_79
; %bb.69:
	v_and_b32_e32 v5, 0xffff0000, v1
	v_and_b32_e32 v6, 0xffff0000, v3
	v_cmp_neq_f32_e32 vcc, v2, v4
	v_cmp_neq_f32_e64 s[0:1], v5, v6
	s_or_b64 s[36:37], vcc, s[0:1]
	s_cbranch_execnz .LBB165_71
.LBB165_70:
	v_and_b32_e32 v3, 0xffff0000, v3
	v_and_b32_e32 v1, 0xffff0000, v1
	v_cmp_eq_f32_e32 vcc, v2, v4
	v_cmp_eq_f32_e64 s[0:1], v1, v3
	s_and_b64 s[0:1], vcc, s[0:1]
	s_andn2_b64 s[36:37], s[36:37], exec
	s_and_b64 s[0:1], s[0:1], exec
	s_or_b64 s[36:37], s[36:37], s[0:1]
.LBB165_71:
	v_cndmask_b32_e64 v1, 0, 1, s[36:37]
	v_add_u32_e32 v30, 0x80, v30
	global_store_byte v0, v1, s[4:5]
	s_or_b64 exec, exec, s[34:35]
	v_cmp_gt_i32_e32 vcc, s40, v30
	s_and_saveexec_b64 s[34:35], vcc
	s_cbranch_execz .LBB165_6
.LBB165_72:
	s_andn2_b64 vcc, exec, s[16:17]
	s_cbranch_vccnz .LBB165_78
; %bb.73:
	s_andn2_b64 vcc, exec, s[30:31]
	s_cbranch_vccnz .LBB165_80
; %bb.74:
	s_add_i32 s0, s39, 1
	s_and_b32 s36, s0, 30
	s_add_u32 s0, s2, 0xffffffe8
	s_addc_u32 s1, s3, -1
	v_mov_b32_e32 v2, 0
	v_mov_b32_e32 v4, 0
	;; [unrolled: 1-line block ×4, first 2 shown]
.LBB165_75:                             ; =>This Inner Loop Header: Depth=1
	s_load_dwordx4 s[44:47], s[0:1], 0x1c
	s_load_dwordx2 s[42:43], s[0:1], 0x2c
	s_load_dwordx2 s[52:53], s[0:1], 0xec
	s_load_dwordx4 s[48:51], s[0:1], 0xdc
	s_add_u32 s0, s0, 24
	s_waitcnt lgkmcnt(0)
	v_mul_hi_u32 v3, s45, v1
	s_addc_u32 s1, s1, 0
	s_add_i32 s36, s36, -2
	s_cmp_eq_u32 s36, 0
	v_add_u32_e32 v3, v1, v3
	v_lshrrev_b32_e32 v3, s46, v3
	v_mul_lo_u32 v5, v3, s44
	v_mul_hi_u32 v6, s42, v3
	v_sub_u32_e32 v5, v1, v5
	v_add_u32_e32 v1, v3, v6
	v_lshrrev_b32_e32 v1, s43, v1
	v_mul_lo_u32 v8, v1, s47
	v_mul_lo_u32 v6, v5, s48
	;; [unrolled: 1-line block ×4, first 2 shown]
	v_sub_u32_e32 v3, v3, v8
	v_mul_lo_u32 v8, v3, s51
	v_mul_lo_u32 v9, v3, s52
	v_mul_lo_u32 v3, v3, s53
	v_add3_u32 v0, v6, v0, v8
	v_add3_u32 v4, v7, v4, v9
	;; [unrolled: 1-line block ×3, first 2 shown]
	s_cbranch_scc0 .LBB165_75
; %bb.76:
	s_bitcmp1_b32 s39, 0
	s_cselect_b64 s[36:37], -1, 0
	s_and_b64 vcc, exec, s[36:37]
	s_cbranch_vccnz .LBB165_81
; %bb.77:
	s_load_dwordx2 s[36:37], s[0:1], 0x1c
	s_load_dword s41, s[0:1], 0x24
	s_load_dwordx2 s[42:43], s[0:1], 0xdc
	s_waitcnt lgkmcnt(0)
	v_mul_hi_u32 v3, s37, v1
	v_add_u32_e32 v3, v1, v3
	v_lshrrev_b32_e32 v3, s41, v3
	v_mul_lo_u32 v3, v3, s36
	s_load_dword s36, s[0:1], 0xe4
	v_sub_u32_e32 v3, v1, v3
	v_mad_u64_u32 v[0:1], s[0:1], v3, s42, v[0:1]
	v_mad_u64_u32 v[4:5], s[0:1], v3, s43, v[4:5]
	s_waitcnt lgkmcnt(0)
	v_mad_u64_u32 v[2:3], s[0:1], v3, s36, v[2:3]
	s_branch .LBB165_81
.LBB165_78:
                                        ; implicit-def: $vgpr0
                                        ; implicit-def: $vgpr4
                                        ; implicit-def: $vgpr2
	s_branch .LBB165_82
.LBB165_79:
                                        ; implicit-def: $sgpr36_sgpr37
	s_branch .LBB165_70
.LBB165_80:
	v_mov_b32_e32 v0, 0
	v_mov_b32_e32 v4, 0
	;; [unrolled: 1-line block ×3, first 2 shown]
.LBB165_81:
	s_cbranch_execnz .LBB165_84
.LBB165_82:
	v_mul_hi_u32 v0, s13, v30
	s_andn2_b64 vcc, exec, s[28:29]
	v_add_u32_e32 v0, v30, v0
	v_lshrrev_b32_e32 v1, s14, v0
	v_mul_lo_u32 v0, v1, s12
	v_sub_u32_e32 v2, v30, v0
	v_mul_lo_u32 v0, v2, s8
	v_mul_lo_u32 v4, v2, s9
	;; [unrolled: 1-line block ×3, first 2 shown]
	s_cbranch_vccnz .LBB165_84
; %bb.83:
	v_mul_hi_u32 v3, s26, v1
	v_add_u32_e32 v3, v1, v3
	v_lshrrev_b32_e32 v3, s27, v3
	v_mul_lo_u32 v3, v3, s15
	v_sub_u32_e32 v3, v1, v3
	v_mad_u64_u32 v[0:1], s[0:1], v3, s11, v[0:1]
	v_mad_u64_u32 v[4:5], s[0:1], v3, s24, v[4:5]
	;; [unrolled: 1-line block ×3, first 2 shown]
.LBB165_84:
	global_load_dword v1, v4, s[6:7]
	global_load_dword v3, v2, s[22:23]
	s_andn2_b64 vcc, exec, s[20:21]
	s_waitcnt vmcnt(1)
	v_lshlrev_b32_e32 v2, 16, v1
	s_waitcnt vmcnt(0)
	v_lshlrev_b32_e32 v4, 16, v3
	s_cbranch_vccnz .LBB165_95
; %bb.85:
	v_and_b32_e32 v5, 0xffff0000, v1
	v_and_b32_e32 v6, 0xffff0000, v3
	v_cmp_neq_f32_e32 vcc, v2, v4
	v_cmp_neq_f32_e64 s[0:1], v5, v6
	s_or_b64 s[36:37], vcc, s[0:1]
	s_cbranch_execnz .LBB165_87
.LBB165_86:
	v_and_b32_e32 v3, 0xffff0000, v3
	v_and_b32_e32 v1, 0xffff0000, v1
	v_cmp_eq_f32_e32 vcc, v2, v4
	v_cmp_eq_f32_e64 s[0:1], v1, v3
	s_and_b64 s[0:1], vcc, s[0:1]
	s_andn2_b64 s[36:37], s[36:37], exec
	s_and_b64 s[0:1], s[0:1], exec
	s_or_b64 s[36:37], s[36:37], s[0:1]
.LBB165_87:
	v_cndmask_b32_e64 v1, 0, 1, s[36:37]
	v_add_u32_e32 v30, 0x80, v30
	global_store_byte v0, v1, s[4:5]
	s_or_b64 exec, exec, s[34:35]
	v_cmp_gt_i32_e32 vcc, s40, v30
	s_and_saveexec_b64 s[34:35], vcc
	s_cbranch_execz .LBB165_7
.LBB165_88:
	s_andn2_b64 vcc, exec, s[16:17]
	s_cbranch_vccnz .LBB165_94
; %bb.89:
	s_andn2_b64 vcc, exec, s[30:31]
	s_cbranch_vccnz .LBB165_96
; %bb.90:
	s_add_i32 s0, s39, 1
	s_and_b32 s36, s0, 30
	s_add_u32 s0, s2, 0xffffffe8
	s_addc_u32 s1, s3, -1
	v_mov_b32_e32 v2, 0
	v_mov_b32_e32 v4, 0
	;; [unrolled: 1-line block ×4, first 2 shown]
.LBB165_91:                             ; =>This Inner Loop Header: Depth=1
	s_load_dwordx4 s[44:47], s[0:1], 0x1c
	s_load_dwordx2 s[42:43], s[0:1], 0x2c
	s_load_dwordx2 s[52:53], s[0:1], 0xec
	s_load_dwordx4 s[48:51], s[0:1], 0xdc
	s_add_u32 s0, s0, 24
	s_waitcnt lgkmcnt(0)
	v_mul_hi_u32 v3, s45, v1
	s_addc_u32 s1, s1, 0
	s_add_i32 s36, s36, -2
	s_cmp_eq_u32 s36, 0
	v_add_u32_e32 v3, v1, v3
	v_lshrrev_b32_e32 v3, s46, v3
	v_mul_lo_u32 v5, v3, s44
	v_mul_hi_u32 v6, s42, v3
	v_sub_u32_e32 v5, v1, v5
	v_add_u32_e32 v1, v3, v6
	v_lshrrev_b32_e32 v1, s43, v1
	v_mul_lo_u32 v8, v1, s47
	v_mul_lo_u32 v6, v5, s48
	;; [unrolled: 1-line block ×4, first 2 shown]
	v_sub_u32_e32 v3, v3, v8
	v_mul_lo_u32 v8, v3, s51
	v_mul_lo_u32 v9, v3, s52
	;; [unrolled: 1-line block ×3, first 2 shown]
	v_add3_u32 v0, v6, v0, v8
	v_add3_u32 v4, v7, v4, v9
	;; [unrolled: 1-line block ×3, first 2 shown]
	s_cbranch_scc0 .LBB165_91
; %bb.92:
	s_bitcmp1_b32 s39, 0
	s_cselect_b64 s[36:37], -1, 0
	s_and_b64 vcc, exec, s[36:37]
	s_cbranch_vccnz .LBB165_97
; %bb.93:
	s_load_dwordx2 s[36:37], s[0:1], 0x1c
	s_load_dword s41, s[0:1], 0x24
	s_load_dwordx2 s[42:43], s[0:1], 0xdc
	s_waitcnt lgkmcnt(0)
	v_mul_hi_u32 v3, s37, v1
	v_add_u32_e32 v3, v1, v3
	v_lshrrev_b32_e32 v3, s41, v3
	v_mul_lo_u32 v3, v3, s36
	s_load_dword s36, s[0:1], 0xe4
	v_sub_u32_e32 v3, v1, v3
	v_mad_u64_u32 v[0:1], s[0:1], v3, s42, v[0:1]
	v_mad_u64_u32 v[4:5], s[0:1], v3, s43, v[4:5]
	s_waitcnt lgkmcnt(0)
	v_mad_u64_u32 v[2:3], s[0:1], v3, s36, v[2:3]
	s_branch .LBB165_97
.LBB165_94:
                                        ; implicit-def: $vgpr0
                                        ; implicit-def: $vgpr4
                                        ; implicit-def: $vgpr2
	s_branch .LBB165_98
.LBB165_95:
                                        ; implicit-def: $sgpr36_sgpr37
	s_branch .LBB165_86
.LBB165_96:
	v_mov_b32_e32 v0, 0
	v_mov_b32_e32 v4, 0
	;; [unrolled: 1-line block ×3, first 2 shown]
.LBB165_97:
	s_cbranch_execnz .LBB165_100
.LBB165_98:
	v_mul_hi_u32 v0, s13, v30
	s_andn2_b64 vcc, exec, s[28:29]
	v_add_u32_e32 v0, v30, v0
	v_lshrrev_b32_e32 v1, s14, v0
	v_mul_lo_u32 v0, v1, s12
	v_sub_u32_e32 v2, v30, v0
	v_mul_lo_u32 v0, v2, s8
	v_mul_lo_u32 v4, v2, s9
	;; [unrolled: 1-line block ×3, first 2 shown]
	s_cbranch_vccnz .LBB165_100
; %bb.99:
	v_mul_hi_u32 v3, s26, v1
	v_add_u32_e32 v3, v1, v3
	v_lshrrev_b32_e32 v3, s27, v3
	v_mul_lo_u32 v3, v3, s15
	v_sub_u32_e32 v3, v1, v3
	v_mad_u64_u32 v[0:1], s[0:1], v3, s11, v[0:1]
	v_mad_u64_u32 v[4:5], s[0:1], v3, s24, v[4:5]
	;; [unrolled: 1-line block ×3, first 2 shown]
.LBB165_100:
	global_load_dword v1, v4, s[6:7]
	global_load_dword v3, v2, s[22:23]
	s_andn2_b64 vcc, exec, s[20:21]
	s_waitcnt vmcnt(1)
	v_lshlrev_b32_e32 v2, 16, v1
	s_waitcnt vmcnt(0)
	v_lshlrev_b32_e32 v4, 16, v3
	s_cbranch_vccnz .LBB165_111
; %bb.101:
	v_and_b32_e32 v5, 0xffff0000, v1
	v_and_b32_e32 v6, 0xffff0000, v3
	v_cmp_neq_f32_e32 vcc, v2, v4
	v_cmp_neq_f32_e64 s[0:1], v5, v6
	s_or_b64 s[36:37], vcc, s[0:1]
	s_cbranch_execnz .LBB165_103
.LBB165_102:
	v_and_b32_e32 v3, 0xffff0000, v3
	v_and_b32_e32 v1, 0xffff0000, v1
	v_cmp_eq_f32_e32 vcc, v2, v4
	v_cmp_eq_f32_e64 s[0:1], v1, v3
	s_and_b64 s[0:1], vcc, s[0:1]
	s_andn2_b64 s[36:37], s[36:37], exec
	s_and_b64 s[0:1], s[0:1], exec
	s_or_b64 s[36:37], s[36:37], s[0:1]
.LBB165_103:
	v_cndmask_b32_e64 v1, 0, 1, s[36:37]
	v_add_u32_e32 v30, 0x80, v30
	global_store_byte v0, v1, s[4:5]
	s_or_b64 exec, exec, s[34:35]
	v_cmp_gt_i32_e32 vcc, s40, v30
	s_and_saveexec_b64 s[34:35], vcc
	s_cbranch_execz .LBB165_8
.LBB165_104:
	s_andn2_b64 vcc, exec, s[16:17]
	s_cbranch_vccnz .LBB165_110
; %bb.105:
	s_andn2_b64 vcc, exec, s[30:31]
	s_cbranch_vccnz .LBB165_112
; %bb.106:
	s_add_i32 s0, s39, 1
	s_and_b32 s36, s0, 30
	s_add_u32 s0, s2, 0xffffffe8
	s_addc_u32 s1, s3, -1
	v_mov_b32_e32 v2, 0
	v_mov_b32_e32 v4, 0
	;; [unrolled: 1-line block ×4, first 2 shown]
.LBB165_107:                            ; =>This Inner Loop Header: Depth=1
	s_load_dwordx4 s[44:47], s[0:1], 0x1c
	s_load_dwordx2 s[42:43], s[0:1], 0x2c
	s_load_dwordx2 s[52:53], s[0:1], 0xec
	s_load_dwordx4 s[48:51], s[0:1], 0xdc
	s_add_u32 s0, s0, 24
	s_waitcnt lgkmcnt(0)
	v_mul_hi_u32 v3, s45, v1
	s_addc_u32 s1, s1, 0
	s_add_i32 s36, s36, -2
	s_cmp_eq_u32 s36, 0
	v_add_u32_e32 v3, v1, v3
	v_lshrrev_b32_e32 v3, s46, v3
	v_mul_lo_u32 v5, v3, s44
	v_mul_hi_u32 v6, s42, v3
	v_sub_u32_e32 v5, v1, v5
	v_add_u32_e32 v1, v3, v6
	v_lshrrev_b32_e32 v1, s43, v1
	v_mul_lo_u32 v8, v1, s47
	v_mul_lo_u32 v6, v5, s48
	;; [unrolled: 1-line block ×4, first 2 shown]
	v_sub_u32_e32 v3, v3, v8
	v_mul_lo_u32 v8, v3, s51
	v_mul_lo_u32 v9, v3, s52
	;; [unrolled: 1-line block ×3, first 2 shown]
	v_add3_u32 v0, v6, v0, v8
	v_add3_u32 v4, v7, v4, v9
	v_add3_u32 v2, v5, v2, v3
	s_cbranch_scc0 .LBB165_107
; %bb.108:
	s_bitcmp1_b32 s39, 0
	s_cselect_b64 s[36:37], -1, 0
	s_and_b64 vcc, exec, s[36:37]
	s_cbranch_vccnz .LBB165_113
; %bb.109:
	s_load_dwordx2 s[36:37], s[0:1], 0x1c
	s_load_dword s41, s[0:1], 0x24
	s_load_dwordx2 s[42:43], s[0:1], 0xdc
	s_waitcnt lgkmcnt(0)
	v_mul_hi_u32 v3, s37, v1
	v_add_u32_e32 v3, v1, v3
	v_lshrrev_b32_e32 v3, s41, v3
	v_mul_lo_u32 v3, v3, s36
	s_load_dword s36, s[0:1], 0xe4
	v_sub_u32_e32 v3, v1, v3
	v_mad_u64_u32 v[0:1], s[0:1], v3, s42, v[0:1]
	v_mad_u64_u32 v[4:5], s[0:1], v3, s43, v[4:5]
	s_waitcnt lgkmcnt(0)
	v_mad_u64_u32 v[2:3], s[0:1], v3, s36, v[2:3]
	s_branch .LBB165_113
.LBB165_110:
                                        ; implicit-def: $vgpr0
                                        ; implicit-def: $vgpr4
                                        ; implicit-def: $vgpr2
	s_branch .LBB165_114
.LBB165_111:
                                        ; implicit-def: $sgpr36_sgpr37
	s_branch .LBB165_102
.LBB165_112:
	v_mov_b32_e32 v0, 0
	v_mov_b32_e32 v4, 0
	;; [unrolled: 1-line block ×3, first 2 shown]
.LBB165_113:
	s_cbranch_execnz .LBB165_116
.LBB165_114:
	v_mul_hi_u32 v0, s13, v30
	s_andn2_b64 vcc, exec, s[28:29]
	v_add_u32_e32 v0, v30, v0
	v_lshrrev_b32_e32 v1, s14, v0
	v_mul_lo_u32 v0, v1, s12
	v_sub_u32_e32 v2, v30, v0
	v_mul_lo_u32 v0, v2, s8
	v_mul_lo_u32 v4, v2, s9
	;; [unrolled: 1-line block ×3, first 2 shown]
	s_cbranch_vccnz .LBB165_116
; %bb.115:
	v_mul_hi_u32 v3, s26, v1
	v_add_u32_e32 v3, v1, v3
	v_lshrrev_b32_e32 v3, s27, v3
	v_mul_lo_u32 v3, v3, s15
	v_sub_u32_e32 v3, v1, v3
	v_mad_u64_u32 v[0:1], s[0:1], v3, s11, v[0:1]
	v_mad_u64_u32 v[4:5], s[0:1], v3, s24, v[4:5]
	;; [unrolled: 1-line block ×3, first 2 shown]
.LBB165_116:
	global_load_dword v1, v4, s[6:7]
	global_load_dword v3, v2, s[22:23]
	s_andn2_b64 vcc, exec, s[20:21]
	s_waitcnt vmcnt(1)
	v_lshlrev_b32_e32 v2, 16, v1
	s_waitcnt vmcnt(0)
	v_lshlrev_b32_e32 v4, 16, v3
	s_cbranch_vccnz .LBB165_127
; %bb.117:
	v_and_b32_e32 v5, 0xffff0000, v1
	v_and_b32_e32 v6, 0xffff0000, v3
	v_cmp_neq_f32_e32 vcc, v2, v4
	v_cmp_neq_f32_e64 s[0:1], v5, v6
	s_or_b64 s[36:37], vcc, s[0:1]
	s_cbranch_execnz .LBB165_119
.LBB165_118:
	v_and_b32_e32 v3, 0xffff0000, v3
	v_and_b32_e32 v1, 0xffff0000, v1
	v_cmp_eq_f32_e32 vcc, v2, v4
	v_cmp_eq_f32_e64 s[0:1], v1, v3
	s_and_b64 s[0:1], vcc, s[0:1]
	s_andn2_b64 s[36:37], s[36:37], exec
	s_and_b64 s[0:1], s[0:1], exec
	s_or_b64 s[36:37], s[36:37], s[0:1]
.LBB165_119:
	v_cndmask_b32_e64 v1, 0, 1, s[36:37]
	v_add_u32_e32 v30, 0x80, v30
	global_store_byte v0, v1, s[4:5]
	s_or_b64 exec, exec, s[34:35]
	v_cmp_gt_i32_e32 vcc, s40, v30
	s_and_saveexec_b64 s[34:35], vcc
	s_cbranch_execz .LBB165_136
.LBB165_120:
	s_andn2_b64 vcc, exec, s[16:17]
	s_cbranch_vccnz .LBB165_126
; %bb.121:
	s_andn2_b64 vcc, exec, s[30:31]
	s_cbranch_vccnz .LBB165_128
; %bb.122:
	s_add_i32 s0, s39, 1
	s_and_b32 s30, s0, 30
	s_add_u32 s0, s2, 0xffffffe8
	s_addc_u32 s1, s3, -1
	v_mov_b32_e32 v2, 0
	v_mov_b32_e32 v4, 0
	;; [unrolled: 1-line block ×4, first 2 shown]
.LBB165_123:                            ; =>This Inner Loop Header: Depth=1
	s_load_dwordx4 s[40:43], s[0:1], 0x1c
	s_load_dwordx2 s[36:37], s[0:1], 0x2c
	s_load_dwordx2 s[48:49], s[0:1], 0xec
	s_load_dwordx4 s[44:47], s[0:1], 0xdc
	s_add_u32 s0, s0, 24
	s_waitcnt lgkmcnt(0)
	v_mul_hi_u32 v3, s41, v1
	s_addc_u32 s1, s1, 0
	s_add_i32 s30, s30, -2
	s_cmp_eq_u32 s30, 0
	v_add_u32_e32 v3, v1, v3
	v_lshrrev_b32_e32 v3, s42, v3
	v_mul_lo_u32 v5, v3, s40
	v_mul_hi_u32 v6, s36, v3
	v_sub_u32_e32 v5, v1, v5
	v_add_u32_e32 v1, v3, v6
	v_lshrrev_b32_e32 v1, s37, v1
	v_mul_lo_u32 v8, v1, s43
	v_mul_lo_u32 v6, v5, s44
	;; [unrolled: 1-line block ×4, first 2 shown]
	v_sub_u32_e32 v3, v3, v8
	v_mul_lo_u32 v8, v3, s47
	v_mul_lo_u32 v9, v3, s48
	;; [unrolled: 1-line block ×3, first 2 shown]
	v_add3_u32 v0, v6, v0, v8
	v_add3_u32 v4, v7, v4, v9
	;; [unrolled: 1-line block ×3, first 2 shown]
	s_cbranch_scc0 .LBB165_123
; %bb.124:
	s_bitcmp1_b32 s39, 0
	s_cselect_b64 s[30:31], -1, 0
	s_and_b64 vcc, exec, s[30:31]
	s_cbranch_vccnz .LBB165_129
; %bb.125:
	s_load_dwordx2 s[30:31], s[0:1], 0x1c
	s_load_dword s39, s[0:1], 0x24
	s_load_dwordx2 s[36:37], s[0:1], 0xdc
	s_waitcnt lgkmcnt(0)
	v_mul_hi_u32 v3, s31, v1
	v_add_u32_e32 v3, v1, v3
	v_lshrrev_b32_e32 v3, s39, v3
	v_mul_lo_u32 v3, v3, s30
	s_load_dword s30, s[0:1], 0xe4
	v_sub_u32_e32 v3, v1, v3
	v_mad_u64_u32 v[0:1], s[0:1], v3, s36, v[0:1]
	v_mad_u64_u32 v[4:5], s[0:1], v3, s37, v[4:5]
	s_waitcnt lgkmcnt(0)
	v_mad_u64_u32 v[2:3], s[0:1], v3, s30, v[2:3]
	s_branch .LBB165_129
.LBB165_126:
                                        ; implicit-def: $vgpr0
                                        ; implicit-def: $vgpr4
                                        ; implicit-def: $vgpr2
	s_branch .LBB165_130
.LBB165_127:
                                        ; implicit-def: $sgpr36_sgpr37
	s_branch .LBB165_118
.LBB165_128:
	v_mov_b32_e32 v0, 0
	v_mov_b32_e32 v4, 0
	;; [unrolled: 1-line block ×3, first 2 shown]
.LBB165_129:
	s_cbranch_execnz .LBB165_132
.LBB165_130:
	v_mul_hi_u32 v0, s13, v30
	s_andn2_b64 vcc, exec, s[28:29]
	v_add_u32_e32 v0, v30, v0
	v_lshrrev_b32_e32 v1, s14, v0
	v_mul_lo_u32 v0, v1, s12
	v_sub_u32_e32 v2, v30, v0
	v_mul_lo_u32 v0, v2, s8
	v_mul_lo_u32 v4, v2, s9
	;; [unrolled: 1-line block ×3, first 2 shown]
	s_cbranch_vccnz .LBB165_132
; %bb.131:
	v_mul_hi_u32 v3, s26, v1
	v_add_u32_e32 v3, v1, v3
	v_lshrrev_b32_e32 v3, s27, v3
	v_mul_lo_u32 v3, v3, s15
	v_sub_u32_e32 v3, v1, v3
	v_mad_u64_u32 v[0:1], s[0:1], v3, s11, v[0:1]
	v_mad_u64_u32 v[4:5], s[0:1], v3, s24, v[4:5]
	;; [unrolled: 1-line block ×3, first 2 shown]
.LBB165_132:
	global_load_dword v1, v4, s[6:7]
	global_load_dword v3, v2, s[22:23]
	s_andn2_b64 vcc, exec, s[20:21]
	s_waitcnt vmcnt(1)
	v_lshlrev_b32_e32 v2, 16, v1
	s_waitcnt vmcnt(0)
	v_lshlrev_b32_e32 v4, 16, v3
	s_cbranch_vccnz .LBB165_146
; %bb.133:
	v_and_b32_e32 v5, 0xffff0000, v1
	v_and_b32_e32 v6, 0xffff0000, v3
	v_cmp_neq_f32_e32 vcc, v2, v4
	v_cmp_neq_f32_e64 s[0:1], v5, v6
	s_or_b64 s[6:7], vcc, s[0:1]
	s_cbranch_execnz .LBB165_135
.LBB165_134:
	v_and_b32_e32 v3, 0xffff0000, v3
	v_and_b32_e32 v1, 0xffff0000, v1
	v_cmp_eq_f32_e32 vcc, v2, v4
	v_cmp_eq_f32_e64 s[0:1], v1, v3
	s_and_b64 s[0:1], vcc, s[0:1]
	s_andn2_b64 s[6:7], s[6:7], exec
	s_and_b64 s[0:1], s[0:1], exec
	s_or_b64 s[6:7], s[6:7], s[0:1]
.LBB165_135:
	v_cndmask_b32_e64 v1, 0, 1, s[6:7]
	global_store_byte v0, v1, s[4:5]
.LBB165_136:
	s_or_b64 exec, exec, s[34:35]
                                        ; implicit-def: $vgpr40
                                        ; implicit-def: $vgpr30
.LBB165_137:
	s_andn2_saveexec_b64 s[0:1], s[18:19]
	s_cbranch_execz .LBB165_144
; %bb.138:
	v_cndmask_b32_e64 v0, 0, 1, s[16:17]
	v_cmp_ne_u32_e64 s[0:1], 1, v0
	s_andn2_b64 vcc, exec, s[16:17]
	s_cbranch_vccnz .LBB165_145
; %bb.139:
	s_cmp_lg_u32 s33, 0
	s_cbranch_scc0 .LBB165_147
; %bb.140:
	s_min_u32 s6, s38, 15
	s_add_i32 s4, s6, 1
	s_and_b32 s7, s4, 30
	s_add_u32 s4, s2, 0xffffffe8
	s_addc_u32 s5, s3, -1
	v_mov_b32_e32 v3, 0
	v_mov_b32_e32 v5, 0
	;; [unrolled: 1-line block ×4, first 2 shown]
.LBB165_141:                            ; =>This Inner Loop Header: Depth=1
	s_load_dwordx4 s[8:11], s[4:5], 0x1c
	s_load_dwordx2 s[16:17], s[4:5], 0x2c
	s_load_dwordx2 s[18:19], s[4:5], 0xec
	s_load_dwordx4 s[12:15], s[4:5], 0xdc
	s_add_u32 s4, s4, 24
	s_waitcnt lgkmcnt(0)
	v_mul_hi_u32 v2, s9, v1
	s_addc_u32 s5, s5, 0
	s_add_i32 s7, s7, -2
	s_cmp_lg_u32 s7, 0
	v_add_u32_e32 v2, v1, v2
	v_lshrrev_b32_e32 v2, s10, v2
	v_mul_lo_u32 v4, v2, s8
	v_mul_hi_u32 v6, s16, v2
	v_sub_u32_e32 v4, v1, v4
	v_add_u32_e32 v1, v2, v6
	v_lshrrev_b32_e32 v1, s17, v1
	v_mul_lo_u32 v8, v1, s11
	v_mul_lo_u32 v6, v4, s12
	;; [unrolled: 1-line block ×4, first 2 shown]
	v_sub_u32_e32 v2, v2, v8
	v_mul_lo_u32 v8, v2, s15
	v_mul_lo_u32 v9, v2, s18
	;; [unrolled: 1-line block ×3, first 2 shown]
	v_add3_u32 v0, v6, v0, v8
	v_add3_u32 v5, v7, v5, v9
	;; [unrolled: 1-line block ×3, first 2 shown]
	s_cbranch_scc1 .LBB165_141
; %bb.142:
	s_bitcmp1_b32 s6, 0
	s_cselect_b64 s[6:7], -1, 0
	s_and_b64 vcc, exec, s[6:7]
	s_cbranch_vccnz .LBB165_148
; %bb.143:
	s_load_dwordx2 s[6:7], s[4:5], 0x1c
	s_load_dword s10, s[4:5], 0x24
	s_load_dwordx2 s[8:9], s[4:5], 0xdc
	s_waitcnt lgkmcnt(0)
	v_mul_hi_u32 v2, s7, v1
	v_add_u32_e32 v2, v1, v2
	v_lshrrev_b32_e32 v2, s10, v2
	v_mul_lo_u32 v2, v2, s6
	s_load_dword s6, s[4:5], 0xe4
	v_sub_u32_e32 v2, v1, v2
	v_mad_u64_u32 v[0:1], s[4:5], v2, s8, v[0:1]
	v_mad_u64_u32 v[5:6], s[4:5], v2, s9, v[5:6]
	s_waitcnt lgkmcnt(0)
	v_mad_u64_u32 v[3:4], s[4:5], v2, s6, v[3:4]
	s_cbranch_execz .LBB165_149
	s_branch .LBB165_151
.LBB165_144:
	s_endpgm
.LBB165_145:
                                        ; implicit-def: $vgpr0
                                        ; implicit-def: $vgpr5
                                        ; implicit-def: $vgpr3
	s_branch .LBB165_149
.LBB165_146:
                                        ; implicit-def: $sgpr6_sgpr7
	s_branch .LBB165_134
.LBB165_147:
	v_mov_b32_e32 v0, 0
	v_mov_b32_e32 v5, 0
	;; [unrolled: 1-line block ×3, first 2 shown]
.LBB165_148:
	s_cbranch_execnz .LBB165_151
.LBB165_149:
	s_load_dwordx4 s[4:7], s[2:3], 0x4
	s_load_dwordx4 s[8:11], s[2:3], 0xc4
	s_cmp_lt_u32 s33, 2
	s_waitcnt lgkmcnt(0)
	v_mul_hi_u32 v0, s5, v30
	v_add_u32_e32 v0, v30, v0
	v_lshrrev_b32_e32 v1, s6, v0
	v_mul_lo_u32 v0, v1, s4
	v_sub_u32_e32 v2, v30, v0
	v_mul_lo_u32 v0, v2, s8
	v_mul_lo_u32 v5, v2, s9
	;; [unrolled: 1-line block ×3, first 2 shown]
	s_cbranch_scc1 .LBB165_151
; %bb.150:
	s_load_dwordx4 s[4:7], s[2:3], 0x10
	s_load_dwordx4 s[8:11], s[2:3], 0xd0
	s_waitcnt lgkmcnt(0)
	v_mul_hi_u32 v2, s5, v1
	v_add_u32_e32 v2, v1, v2
	v_lshrrev_b32_e32 v2, s6, v2
	v_mul_lo_u32 v2, v2, s4
	v_sub_u32_e32 v2, v1, v2
	v_mad_u64_u32 v[0:1], s[4:5], v2, s8, v[0:1]
	v_mad_u64_u32 v[5:6], s[4:5], v2, s9, v[5:6]
	;; [unrolled: 1-line block ×3, first 2 shown]
.LBB165_151:
	s_and_b64 vcc, exec, s[0:1]
	v_add_u32_e32 v4, 0x80, v30
	s_cbranch_vccnz .LBB165_157
; %bb.152:
	s_cmp_lg_u32 s33, 0
	s_cbranch_scc0 .LBB165_158
; %bb.153:
	s_min_u32 s6, s38, 15
	s_add_i32 s4, s6, 1
	s_and_b32 s7, s4, 30
	s_add_u32 s4, s2, 0xffffffe8
	s_addc_u32 s5, s3, -1
	v_mov_b32_e32 v8, 0
	v_mov_b32_e32 v10, 0
	;; [unrolled: 1-line block ×4, first 2 shown]
.LBB165_154:                            ; =>This Inner Loop Header: Depth=1
	s_load_dwordx4 s[8:11], s[4:5], 0x1c
	s_load_dwordx2 s[16:17], s[4:5], 0x2c
	s_load_dwordx2 s[18:19], s[4:5], 0xec
	s_load_dwordx4 s[12:15], s[4:5], 0xdc
	s_add_u32 s4, s4, 24
	s_waitcnt lgkmcnt(0)
	v_mul_hi_u32 v6, s9, v2
	s_addc_u32 s5, s5, 0
	s_add_i32 s7, s7, -2
	s_cmp_lg_u32 s7, 0
	v_add_u32_e32 v6, v2, v6
	v_lshrrev_b32_e32 v6, s10, v6
	v_mul_lo_u32 v7, v6, s8
	v_mul_hi_u32 v9, s16, v6
	v_sub_u32_e32 v7, v2, v7
	v_add_u32_e32 v2, v6, v9
	v_lshrrev_b32_e32 v2, s17, v2
	v_mul_lo_u32 v12, v2, s11
	v_mul_lo_u32 v9, v7, s12
	;; [unrolled: 1-line block ×4, first 2 shown]
	v_sub_u32_e32 v6, v6, v12
	v_mul_lo_u32 v12, v6, s15
	v_mul_lo_u32 v13, v6, s18
	;; [unrolled: 1-line block ×3, first 2 shown]
	v_add3_u32 v1, v9, v1, v12
	v_add3_u32 v10, v11, v10, v13
	;; [unrolled: 1-line block ×3, first 2 shown]
	s_cbranch_scc1 .LBB165_154
; %bb.155:
	s_bitcmp1_b32 s6, 0
	s_cselect_b64 s[6:7], -1, 0
	s_and_b64 vcc, exec, s[6:7]
	s_cbranch_vccnz .LBB165_159
; %bb.156:
	s_load_dwordx2 s[6:7], s[4:5], 0x1c
	s_load_dword s10, s[4:5], 0x24
	s_load_dwordx2 s[8:9], s[4:5], 0xdc
	s_waitcnt lgkmcnt(0)
	v_mul_hi_u32 v6, s7, v2
	v_add_u32_e32 v6, v2, v6
	v_lshrrev_b32_e32 v6, s10, v6
	v_mul_lo_u32 v6, v6, s6
	s_load_dword s6, s[4:5], 0xe4
	v_sub_u32_e32 v6, v2, v6
	v_mad_u64_u32 v[1:2], s[4:5], v6, s8, v[1:2]
	v_mad_u64_u32 v[10:11], s[4:5], v6, s9, v[10:11]
	s_waitcnt lgkmcnt(0)
	v_mad_u64_u32 v[8:9], s[4:5], v6, s6, v[8:9]
	s_cbranch_execz .LBB165_160
	s_branch .LBB165_162
.LBB165_157:
                                        ; implicit-def: $vgpr1
                                        ; implicit-def: $vgpr10
                                        ; implicit-def: $vgpr8
	s_branch .LBB165_160
.LBB165_158:
	v_mov_b32_e32 v1, 0
	v_mov_b32_e32 v10, 0
	;; [unrolled: 1-line block ×3, first 2 shown]
.LBB165_159:
	s_cbranch_execnz .LBB165_162
.LBB165_160:
	s_load_dwordx4 s[4:7], s[2:3], 0x4
	s_load_dwordx4 s[8:11], s[2:3], 0xc4
	s_cmp_lt_u32 s33, 2
	s_waitcnt lgkmcnt(0)
	v_mul_hi_u32 v1, s5, v4
	v_add_u32_e32 v1, v4, v1
	v_lshrrev_b32_e32 v2, s6, v1
	v_mul_lo_u32 v1, v2, s4
	v_sub_u32_e32 v4, v4, v1
	v_mul_lo_u32 v1, v4, s8
	v_mul_lo_u32 v10, v4, s9
	;; [unrolled: 1-line block ×3, first 2 shown]
	s_cbranch_scc1 .LBB165_162
; %bb.161:
	s_load_dwordx4 s[4:7], s[2:3], 0x10
	s_load_dwordx4 s[8:11], s[2:3], 0xd0
	s_waitcnt lgkmcnt(0)
	v_mul_hi_u32 v4, s5, v2
	v_add_u32_e32 v4, v2, v4
	v_lshrrev_b32_e32 v4, s6, v4
	v_mul_lo_u32 v4, v4, s4
	v_sub_u32_e32 v4, v2, v4
	v_mad_u64_u32 v[1:2], s[4:5], v4, s8, v[1:2]
	v_mad_u64_u32 v[10:11], s[4:5], v4, s9, v[10:11]
	;; [unrolled: 1-line block ×3, first 2 shown]
.LBB165_162:
	s_and_b64 vcc, exec, s[0:1]
	v_add_u32_e32 v2, 0x100, v30
	s_cbranch_vccnz .LBB165_168
; %bb.163:
	s_cmp_lg_u32 s33, 0
	s_cbranch_scc0 .LBB165_169
; %bb.164:
	s_min_u32 s6, s38, 15
	s_add_i32 s4, s6, 1
	s_and_b32 s7, s4, 30
	s_add_u32 s4, s2, 0xffffffe8
	s_addc_u32 s5, s3, -1
	v_mov_b32_e32 v13, 0
	v_mov_b32_e32 v15, 0
	;; [unrolled: 1-line block ×4, first 2 shown]
.LBB165_165:                            ; =>This Inner Loop Header: Depth=1
	s_load_dwordx4 s[8:11], s[4:5], 0x1c
	s_load_dwordx2 s[16:17], s[4:5], 0x2c
	s_load_dwordx2 s[18:19], s[4:5], 0xec
	s_load_dwordx4 s[12:15], s[4:5], 0xdc
	s_add_u32 s4, s4, 24
	s_waitcnt lgkmcnt(0)
	v_mul_hi_u32 v7, s9, v4
	s_addc_u32 s5, s5, 0
	s_add_i32 s7, s7, -2
	s_cmp_lg_u32 s7, 0
	v_add_u32_e32 v7, v4, v7
	v_lshrrev_b32_e32 v7, s10, v7
	v_mul_lo_u32 v9, v7, s8
	v_mul_hi_u32 v11, s16, v7
	v_sub_u32_e32 v9, v4, v9
	v_add_u32_e32 v4, v7, v11
	v_lshrrev_b32_e32 v4, s17, v4
	v_mul_lo_u32 v14, v4, s11
	v_mul_lo_u32 v11, v9, s12
	v_mul_lo_u32 v12, v9, s13
	v_mul_lo_u32 v9, v9, s14
	v_sub_u32_e32 v7, v7, v14
	v_mul_lo_u32 v14, v7, s15
	v_mul_lo_u32 v16, v7, s18
	;; [unrolled: 1-line block ×3, first 2 shown]
	v_add3_u32 v6, v11, v6, v14
	v_add3_u32 v15, v12, v15, v16
	;; [unrolled: 1-line block ×3, first 2 shown]
	s_cbranch_scc1 .LBB165_165
; %bb.166:
	s_bitcmp1_b32 s6, 0
	s_cselect_b64 s[6:7], -1, 0
	s_and_b64 vcc, exec, s[6:7]
	s_cbranch_vccnz .LBB165_170
; %bb.167:
	s_load_dwordx2 s[6:7], s[4:5], 0x1c
	s_load_dword s10, s[4:5], 0x24
	s_load_dwordx2 s[8:9], s[4:5], 0xdc
	s_waitcnt lgkmcnt(0)
	v_mul_hi_u32 v7, s7, v4
	v_add_u32_e32 v7, v4, v7
	v_lshrrev_b32_e32 v7, s10, v7
	v_mul_lo_u32 v7, v7, s6
	s_load_dword s6, s[4:5], 0xe4
	v_sub_u32_e32 v4, v4, v7
	v_mad_u64_u32 v[6:7], s[4:5], v4, s8, v[6:7]
	v_mad_u64_u32 v[15:16], s[4:5], v4, s9, v[15:16]
	s_waitcnt lgkmcnt(0)
	v_mad_u64_u32 v[13:14], s[4:5], v4, s6, v[13:14]
	s_cbranch_execz .LBB165_171
	s_branch .LBB165_173
.LBB165_168:
                                        ; implicit-def: $vgpr6
                                        ; implicit-def: $vgpr15
                                        ; implicit-def: $vgpr13
	s_branch .LBB165_171
.LBB165_169:
	v_mov_b32_e32 v6, 0
	v_mov_b32_e32 v15, 0
	v_mov_b32_e32 v13, 0
.LBB165_170:
	s_cbranch_execnz .LBB165_173
.LBB165_171:
	s_load_dwordx4 s[4:7], s[2:3], 0x4
	s_load_dwordx4 s[8:11], s[2:3], 0xc4
	s_cmp_lt_u32 s33, 2
	s_waitcnt lgkmcnt(0)
	v_mul_hi_u32 v4, s5, v2
	v_add_u32_e32 v4, v2, v4
	v_lshrrev_b32_e32 v4, s6, v4
	v_mul_lo_u32 v6, v4, s4
	v_sub_u32_e32 v2, v2, v6
	v_mul_lo_u32 v6, v2, s8
	v_mul_lo_u32 v15, v2, s9
	;; [unrolled: 1-line block ×3, first 2 shown]
	s_cbranch_scc1 .LBB165_173
; %bb.172:
	s_load_dwordx4 s[4:7], s[2:3], 0x10
	s_load_dwordx4 s[8:11], s[2:3], 0xd0
	s_waitcnt lgkmcnt(0)
	v_mul_hi_u32 v2, s5, v4
	v_add_u32_e32 v2, v4, v2
	v_lshrrev_b32_e32 v2, s6, v2
	v_mul_lo_u32 v2, v2, s4
	v_sub_u32_e32 v2, v4, v2
	v_mad_u64_u32 v[6:7], s[4:5], v2, s8, v[6:7]
	v_mad_u64_u32 v[15:16], s[4:5], v2, s9, v[15:16]
	;; [unrolled: 1-line block ×3, first 2 shown]
.LBB165_173:
	s_and_b64 vcc, exec, s[0:1]
	v_add_u32_e32 v2, 0x180, v30
	s_cbranch_vccnz .LBB165_179
; %bb.174:
	s_cmp_lg_u32 s33, 0
	s_cbranch_scc0 .LBB165_180
; %bb.175:
	s_min_u32 s6, s38, 15
	s_add_i32 s4, s6, 1
	s_and_b32 s7, s4, 30
	s_add_u32 s4, s2, 0xffffffe8
	s_addc_u32 s5, s3, -1
	v_mov_b32_e32 v18, 0
	v_mov_b32_e32 v20, 0
	;; [unrolled: 1-line block ×4, first 2 shown]
.LBB165_176:                            ; =>This Inner Loop Header: Depth=1
	s_load_dwordx4 s[8:11], s[4:5], 0x1c
	s_load_dwordx2 s[16:17], s[4:5], 0x2c
	s_load_dwordx2 s[18:19], s[4:5], 0xec
	s_load_dwordx4 s[12:15], s[4:5], 0xdc
	s_add_u32 s4, s4, 24
	s_waitcnt lgkmcnt(0)
	v_mul_hi_u32 v7, s9, v4
	s_addc_u32 s5, s5, 0
	s_add_i32 s7, s7, -2
	s_cmp_lg_u32 s7, 0
	v_add_u32_e32 v7, v4, v7
	v_lshrrev_b32_e32 v7, s10, v7
	v_mul_lo_u32 v9, v7, s8
	v_mul_hi_u32 v12, s16, v7
	v_sub_u32_e32 v9, v4, v9
	v_add_u32_e32 v4, v7, v12
	v_lshrrev_b32_e32 v4, s17, v4
	v_mul_lo_u32 v16, v4, s11
	v_mul_lo_u32 v12, v9, s12
	;; [unrolled: 1-line block ×4, first 2 shown]
	v_sub_u32_e32 v7, v7, v16
	v_mul_lo_u32 v16, v7, s15
	v_mul_lo_u32 v17, v7, s18
	;; [unrolled: 1-line block ×3, first 2 shown]
	v_add3_u32 v11, v12, v11, v16
	v_add3_u32 v20, v14, v20, v17
	;; [unrolled: 1-line block ×3, first 2 shown]
	s_cbranch_scc1 .LBB165_176
; %bb.177:
	s_bitcmp1_b32 s6, 0
	s_cselect_b64 s[6:7], -1, 0
	s_and_b64 vcc, exec, s[6:7]
	s_cbranch_vccnz .LBB165_181
; %bb.178:
	s_load_dwordx2 s[6:7], s[4:5], 0x1c
	s_load_dword s10, s[4:5], 0x24
	s_load_dwordx2 s[8:9], s[4:5], 0xdc
	s_waitcnt lgkmcnt(0)
	v_mul_hi_u32 v7, s7, v4
	v_add_u32_e32 v7, v4, v7
	v_lshrrev_b32_e32 v7, s10, v7
	v_mul_lo_u32 v7, v7, s6
	s_load_dword s6, s[4:5], 0xe4
	v_sub_u32_e32 v4, v4, v7
	v_mad_u64_u32 v[11:12], s[4:5], v4, s8, v[11:12]
	v_mad_u64_u32 v[20:21], s[4:5], v4, s9, v[20:21]
	s_waitcnt lgkmcnt(0)
	v_mad_u64_u32 v[18:19], s[4:5], v4, s6, v[18:19]
	s_cbranch_execz .LBB165_182
	s_branch .LBB165_184
.LBB165_179:
                                        ; implicit-def: $vgpr11
                                        ; implicit-def: $vgpr20
                                        ; implicit-def: $vgpr18
	s_branch .LBB165_182
.LBB165_180:
	v_mov_b32_e32 v11, 0
	v_mov_b32_e32 v20, 0
	;; [unrolled: 1-line block ×3, first 2 shown]
.LBB165_181:
	s_cbranch_execnz .LBB165_184
.LBB165_182:
	s_load_dwordx4 s[4:7], s[2:3], 0x4
	s_load_dwordx4 s[8:11], s[2:3], 0xc4
	s_cmp_lt_u32 s33, 2
	s_waitcnt lgkmcnt(0)
	v_mul_hi_u32 v4, s5, v2
	v_add_u32_e32 v4, v2, v4
	v_lshrrev_b32_e32 v4, s6, v4
	v_mul_lo_u32 v7, v4, s4
	v_sub_u32_e32 v2, v2, v7
	v_mul_lo_u32 v11, v2, s8
	v_mul_lo_u32 v20, v2, s9
	;; [unrolled: 1-line block ×3, first 2 shown]
	s_cbranch_scc1 .LBB165_184
; %bb.183:
	s_load_dwordx4 s[4:7], s[2:3], 0x10
	s_load_dwordx4 s[8:11], s[2:3], 0xd0
	s_waitcnt lgkmcnt(0)
	v_mul_hi_u32 v2, s5, v4
	v_add_u32_e32 v2, v4, v2
	v_lshrrev_b32_e32 v2, s6, v2
	v_mul_lo_u32 v2, v2, s4
	v_sub_u32_e32 v2, v4, v2
	v_mad_u64_u32 v[11:12], s[4:5], v2, s8, v[11:12]
	v_mad_u64_u32 v[20:21], s[4:5], v2, s9, v[20:21]
	;; [unrolled: 1-line block ×3, first 2 shown]
.LBB165_184:
	s_and_b64 vcc, exec, s[0:1]
	v_add_u32_e32 v2, 0x200, v30
	s_cbranch_vccnz .LBB165_190
; %bb.185:
	s_cmp_lg_u32 s33, 0
	s_cbranch_scc0 .LBB165_191
; %bb.186:
	s_min_u32 s6, s38, 15
	s_add_i32 s4, s6, 1
	s_and_b32 s7, s4, 30
	s_add_u32 s4, s2, 0xffffffe8
	s_addc_u32 s5, s3, -1
	v_mov_b32_e32 v21, 0
	v_mov_b32_e32 v23, 0
	;; [unrolled: 1-line block ×4, first 2 shown]
.LBB165_187:                            ; =>This Inner Loop Header: Depth=1
	s_load_dwordx4 s[8:11], s[4:5], 0x1c
	s_load_dwordx2 s[16:17], s[4:5], 0x2c
	s_load_dwordx2 s[18:19], s[4:5], 0xec
	s_load_dwordx4 s[12:15], s[4:5], 0xdc
	s_add_u32 s4, s4, 24
	s_waitcnt lgkmcnt(0)
	v_mul_hi_u32 v7, s9, v4
	s_addc_u32 s5, s5, 0
	s_add_i32 s7, s7, -2
	s_cmp_lg_u32 s7, 0
	v_add_u32_e32 v7, v4, v7
	v_lshrrev_b32_e32 v7, s10, v7
	v_mul_lo_u32 v9, v7, s8
	v_mul_hi_u32 v12, s16, v7
	v_sub_u32_e32 v9, v4, v9
	v_add_u32_e32 v4, v7, v12
	v_lshrrev_b32_e32 v4, s17, v4
	v_mul_lo_u32 v17, v4, s11
	v_mul_lo_u32 v12, v9, s12
	;; [unrolled: 1-line block ×4, first 2 shown]
	v_sub_u32_e32 v7, v7, v17
	v_mul_lo_u32 v17, v7, s15
	v_mul_lo_u32 v19, v7, s18
	;; [unrolled: 1-line block ×3, first 2 shown]
	v_add3_u32 v16, v12, v16, v17
	v_add3_u32 v23, v14, v23, v19
	;; [unrolled: 1-line block ×3, first 2 shown]
	s_cbranch_scc1 .LBB165_187
; %bb.188:
	s_bitcmp1_b32 s6, 0
	s_cselect_b64 s[6:7], -1, 0
	s_and_b64 vcc, exec, s[6:7]
	s_cbranch_vccnz .LBB165_192
; %bb.189:
	s_load_dwordx2 s[6:7], s[4:5], 0x1c
	s_load_dword s10, s[4:5], 0x24
	s_load_dwordx2 s[8:9], s[4:5], 0xdc
	s_waitcnt lgkmcnt(0)
	v_mul_hi_u32 v7, s7, v4
	v_add_u32_e32 v7, v4, v7
	v_lshrrev_b32_e32 v7, s10, v7
	v_mul_lo_u32 v7, v7, s6
	s_load_dword s6, s[4:5], 0xe4
	v_sub_u32_e32 v4, v4, v7
	v_mad_u64_u32 v[16:17], s[4:5], v4, s8, v[16:17]
	v_mad_u64_u32 v[23:24], s[4:5], v4, s9, v[23:24]
	s_waitcnt lgkmcnt(0)
	v_mad_u64_u32 v[21:22], s[4:5], v4, s6, v[21:22]
	s_cbranch_execz .LBB165_193
	s_branch .LBB165_195
.LBB165_190:
                                        ; implicit-def: $vgpr16
                                        ; implicit-def: $vgpr23
                                        ; implicit-def: $vgpr21
	s_branch .LBB165_193
.LBB165_191:
	v_mov_b32_e32 v16, 0
	v_mov_b32_e32 v23, 0
	;; [unrolled: 1-line block ×3, first 2 shown]
.LBB165_192:
	s_cbranch_execnz .LBB165_195
.LBB165_193:
	s_load_dwordx4 s[4:7], s[2:3], 0x4
	s_load_dwordx4 s[8:11], s[2:3], 0xc4
	s_cmp_lt_u32 s33, 2
	s_waitcnt lgkmcnt(0)
	v_mul_hi_u32 v4, s5, v2
	v_add_u32_e32 v4, v2, v4
	v_lshrrev_b32_e32 v4, s6, v4
	v_mul_lo_u32 v7, v4, s4
	v_sub_u32_e32 v2, v2, v7
	v_mul_lo_u32 v16, v2, s8
	v_mul_lo_u32 v23, v2, s9
	;; [unrolled: 1-line block ×3, first 2 shown]
	s_cbranch_scc1 .LBB165_195
; %bb.194:
	s_load_dwordx4 s[4:7], s[2:3], 0x10
	s_load_dwordx4 s[8:11], s[2:3], 0xd0
	s_waitcnt lgkmcnt(0)
	v_mul_hi_u32 v2, s5, v4
	v_add_u32_e32 v2, v4, v2
	v_lshrrev_b32_e32 v2, s6, v2
	v_mul_lo_u32 v2, v2, s4
	v_sub_u32_e32 v2, v4, v2
	v_mad_u64_u32 v[16:17], s[4:5], v2, s8, v[16:17]
	v_mad_u64_u32 v[23:24], s[4:5], v2, s9, v[23:24]
	;; [unrolled: 1-line block ×3, first 2 shown]
.LBB165_195:
	s_and_b64 vcc, exec, s[0:1]
	v_add_u32_e32 v2, 0x280, v30
	s_cbranch_vccnz .LBB165_201
; %bb.196:
	s_cmp_lg_u32 s33, 0
	s_cbranch_scc0 .LBB165_202
; %bb.197:
	s_min_u32 s6, s38, 15
	s_add_i32 s4, s6, 1
	s_and_b32 s7, s4, 30
	s_add_u32 s4, s2, 0xffffffe8
	s_addc_u32 s5, s3, -1
	v_mov_b32_e32 v26, 0
	v_mov_b32_e32 v28, 0
	;; [unrolled: 1-line block ×4, first 2 shown]
.LBB165_198:                            ; =>This Inner Loop Header: Depth=1
	s_load_dwordx4 s[8:11], s[4:5], 0x1c
	s_load_dwordx2 s[16:17], s[4:5], 0x2c
	s_load_dwordx2 s[18:19], s[4:5], 0xec
	s_load_dwordx4 s[12:15], s[4:5], 0xdc
	s_add_u32 s4, s4, 24
	s_waitcnt lgkmcnt(0)
	v_mul_hi_u32 v7, s9, v4
	s_addc_u32 s5, s5, 0
	s_add_i32 s7, s7, -2
	s_cmp_lg_u32 s7, 0
	v_add_u32_e32 v7, v4, v7
	v_lshrrev_b32_e32 v7, s10, v7
	v_mul_lo_u32 v9, v7, s8
	v_mul_hi_u32 v12, s16, v7
	v_sub_u32_e32 v9, v4, v9
	v_add_u32_e32 v4, v7, v12
	v_lshrrev_b32_e32 v4, s17, v4
	v_mul_lo_u32 v17, v4, s11
	v_mul_lo_u32 v12, v9, s12
	;; [unrolled: 1-line block ×4, first 2 shown]
	v_sub_u32_e32 v7, v7, v17
	v_mul_lo_u32 v17, v7, s15
	v_mul_lo_u32 v19, v7, s18
	v_mul_lo_u32 v7, v7, s19
	v_add3_u32 v24, v12, v24, v17
	v_add3_u32 v28, v14, v28, v19
	v_add3_u32 v26, v9, v26, v7
	s_cbranch_scc1 .LBB165_198
; %bb.199:
	s_bitcmp1_b32 s6, 0
	s_cselect_b64 s[6:7], -1, 0
	s_and_b64 vcc, exec, s[6:7]
	s_cbranch_vccnz .LBB165_203
; %bb.200:
	s_load_dwordx2 s[6:7], s[4:5], 0x1c
	s_load_dword s10, s[4:5], 0x24
	s_load_dwordx2 s[8:9], s[4:5], 0xdc
	s_waitcnt lgkmcnt(0)
	v_mul_hi_u32 v7, s7, v4
	v_add_u32_e32 v7, v4, v7
	v_lshrrev_b32_e32 v7, s10, v7
	v_mul_lo_u32 v7, v7, s6
	s_load_dword s6, s[4:5], 0xe4
	v_sub_u32_e32 v4, v4, v7
	v_mad_u64_u32 v[24:25], s[4:5], v4, s8, v[24:25]
	v_mad_u64_u32 v[28:29], s[4:5], v4, s9, v[28:29]
	s_waitcnt lgkmcnt(0)
	v_mad_u64_u32 v[26:27], s[4:5], v4, s6, v[26:27]
	s_cbranch_execz .LBB165_204
	s_branch .LBB165_206
.LBB165_201:
                                        ; implicit-def: $vgpr24
                                        ; implicit-def: $vgpr28
                                        ; implicit-def: $vgpr26
	s_branch .LBB165_204
.LBB165_202:
	v_mov_b32_e32 v24, 0
	v_mov_b32_e32 v28, 0
	;; [unrolled: 1-line block ×3, first 2 shown]
.LBB165_203:
	s_cbranch_execnz .LBB165_206
.LBB165_204:
	s_load_dwordx4 s[4:7], s[2:3], 0x4
	s_load_dwordx4 s[8:11], s[2:3], 0xc4
	s_cmp_lt_u32 s33, 2
	s_waitcnt lgkmcnt(0)
	v_mul_hi_u32 v4, s5, v2
	v_add_u32_e32 v4, v2, v4
	v_lshrrev_b32_e32 v4, s6, v4
	v_mul_lo_u32 v7, v4, s4
	v_sub_u32_e32 v2, v2, v7
	v_mul_lo_u32 v24, v2, s8
	v_mul_lo_u32 v28, v2, s9
	;; [unrolled: 1-line block ×3, first 2 shown]
	s_cbranch_scc1 .LBB165_206
; %bb.205:
	s_load_dwordx4 s[4:7], s[2:3], 0x10
	s_load_dwordx4 s[8:11], s[2:3], 0xd0
	s_waitcnt lgkmcnt(0)
	v_mul_hi_u32 v2, s5, v4
	v_add_u32_e32 v2, v4, v2
	v_lshrrev_b32_e32 v2, s6, v2
	v_mul_lo_u32 v2, v2, s4
	v_sub_u32_e32 v2, v4, v2
	v_mad_u64_u32 v[24:25], s[4:5], v2, s8, v[24:25]
	v_mad_u64_u32 v[28:29], s[4:5], v2, s9, v[28:29]
	v_mad_u64_u32 v[26:27], s[4:5], v2, s10, v[26:27]
.LBB165_206:
	s_and_b64 vcc, exec, s[0:1]
	v_add_u32_e32 v2, 0x300, v30
	s_cbranch_vccnz .LBB165_212
; %bb.207:
	s_cmp_lg_u32 s33, 0
	s_cbranch_scc0 .LBB165_213
; %bb.208:
	s_min_u32 s6, s38, 15
	s_add_i32 s4, s6, 1
	s_and_b32 s7, s4, 30
	s_add_u32 s4, s2, 0xffffffe8
	s_addc_u32 s5, s3, -1
	v_mov_b32_e32 v31, 0
	v_mov_b32_e32 v33, 0
	;; [unrolled: 1-line block ×4, first 2 shown]
.LBB165_209:                            ; =>This Inner Loop Header: Depth=1
	s_load_dwordx4 s[8:11], s[4:5], 0x1c
	s_load_dwordx2 s[16:17], s[4:5], 0x2c
	s_load_dwordx2 s[18:19], s[4:5], 0xec
	s_load_dwordx4 s[12:15], s[4:5], 0xdc
	s_add_u32 s4, s4, 24
	s_waitcnt lgkmcnt(0)
	v_mul_hi_u32 v7, s9, v4
	s_addc_u32 s5, s5, 0
	s_add_i32 s7, s7, -2
	s_cmp_lg_u32 s7, 0
	v_add_u32_e32 v7, v4, v7
	v_lshrrev_b32_e32 v7, s10, v7
	v_mul_lo_u32 v9, v7, s8
	v_mul_hi_u32 v12, s16, v7
	v_sub_u32_e32 v9, v4, v9
	v_add_u32_e32 v4, v7, v12
	v_lshrrev_b32_e32 v4, s17, v4
	v_mul_lo_u32 v17, v4, s11
	v_mul_lo_u32 v12, v9, s12
	;; [unrolled: 1-line block ×4, first 2 shown]
	v_sub_u32_e32 v7, v7, v17
	v_mul_lo_u32 v17, v7, s15
	v_mul_lo_u32 v19, v7, s18
	;; [unrolled: 1-line block ×3, first 2 shown]
	v_add3_u32 v29, v12, v29, v17
	v_add3_u32 v33, v14, v33, v19
	v_add3_u32 v31, v9, v31, v7
	s_cbranch_scc1 .LBB165_209
; %bb.210:
	s_bitcmp1_b32 s6, 0
	s_cselect_b64 s[6:7], -1, 0
	s_and_b64 vcc, exec, s[6:7]
	s_cbranch_vccnz .LBB165_214
; %bb.211:
	s_load_dwordx2 s[6:7], s[4:5], 0x1c
	s_load_dword s10, s[4:5], 0x24
	s_load_dwordx2 s[8:9], s[4:5], 0xdc
	s_waitcnt lgkmcnt(0)
	v_mul_hi_u32 v7, s7, v4
	v_add_u32_e32 v7, v4, v7
	v_lshrrev_b32_e32 v7, s10, v7
	v_mul_lo_u32 v7, v7, s6
	s_load_dword s6, s[4:5], 0xe4
	v_sub_u32_e32 v4, v4, v7
	v_mad_u64_u32 v[29:30], s[4:5], v4, s8, v[29:30]
	v_mad_u64_u32 v[33:34], s[4:5], v4, s9, v[33:34]
	s_waitcnt lgkmcnt(0)
	v_mad_u64_u32 v[31:32], s[4:5], v4, s6, v[31:32]
	s_cbranch_execz .LBB165_215
	s_branch .LBB165_217
.LBB165_212:
                                        ; implicit-def: $vgpr29
                                        ; implicit-def: $vgpr33
                                        ; implicit-def: $vgpr31
	s_branch .LBB165_215
.LBB165_213:
	v_mov_b32_e32 v29, 0
	v_mov_b32_e32 v33, 0
	;; [unrolled: 1-line block ×3, first 2 shown]
.LBB165_214:
	s_cbranch_execnz .LBB165_217
.LBB165_215:
	s_load_dwordx4 s[4:7], s[2:3], 0x4
	s_load_dwordx4 s[8:11], s[2:3], 0xc4
	s_cmp_lt_u32 s33, 2
	s_waitcnt lgkmcnt(0)
	v_mul_hi_u32 v4, s5, v2
	v_add_u32_e32 v4, v2, v4
	v_lshrrev_b32_e32 v4, s6, v4
	v_mul_lo_u32 v7, v4, s4
	v_sub_u32_e32 v2, v2, v7
	v_mul_lo_u32 v29, v2, s8
	v_mul_lo_u32 v33, v2, s9
	;; [unrolled: 1-line block ×3, first 2 shown]
	s_cbranch_scc1 .LBB165_217
; %bb.216:
	s_load_dwordx4 s[4:7], s[2:3], 0x10
	s_load_dwordx4 s[8:11], s[2:3], 0xd0
	s_waitcnt lgkmcnt(0)
	v_mul_hi_u32 v2, s5, v4
	v_add_u32_e32 v2, v4, v2
	v_lshrrev_b32_e32 v2, s6, v2
	v_mul_lo_u32 v2, v2, s4
	v_sub_u32_e32 v2, v4, v2
	v_mad_u64_u32 v[29:30], s[4:5], v2, s8, v[29:30]
	v_mad_u64_u32 v[33:34], s[4:5], v2, s9, v[33:34]
	;; [unrolled: 1-line block ×3, first 2 shown]
.LBB165_217:
	s_and_b64 vcc, exec, s[0:1]
	s_cbranch_vccnz .LBB165_223
; %bb.218:
	s_cmp_lg_u32 s33, 0
	s_cbranch_scc0 .LBB165_224
; %bb.219:
	s_min_u32 s4, s38, 15
	s_add_i32 s0, s4, 1
	s_and_b32 s5, s0, 30
	s_add_u32 s0, s2, 0xffffffe8
	s_addc_u32 s1, s3, -1
	v_mov_b32_e32 v36, 0
	v_mov_b32_e32 v38, 0
	;; [unrolled: 1-line block ×4, first 2 shown]
.LBB165_220:                            ; =>This Inner Loop Header: Depth=1
	s_load_dwordx4 s[8:11], s[0:1], 0x1c
	s_load_dwordx2 s[6:7], s[0:1], 0x2c
	s_load_dwordx2 s[16:17], s[0:1], 0xec
	s_load_dwordx4 s[12:15], s[0:1], 0xdc
	s_add_u32 s0, s0, 24
	s_waitcnt lgkmcnt(0)
	v_mul_hi_u32 v4, s9, v2
	s_addc_u32 s1, s1, 0
	s_add_i32 s5, s5, -2
	s_cmp_lg_u32 s5, 0
	v_add_u32_e32 v4, v2, v4
	v_lshrrev_b32_e32 v4, s10, v4
	v_mul_lo_u32 v7, v4, s8
	v_mul_hi_u32 v9, s6, v4
	v_sub_u32_e32 v7, v2, v7
	v_add_u32_e32 v2, v4, v9
	v_lshrrev_b32_e32 v2, s7, v2
	v_mul_lo_u32 v14, v2, s11
	v_mul_lo_u32 v9, v7, s12
	;; [unrolled: 1-line block ×4, first 2 shown]
	v_sub_u32_e32 v4, v4, v14
	v_mul_lo_u32 v14, v4, s15
	v_mul_lo_u32 v17, v4, s16
	;; [unrolled: 1-line block ×3, first 2 shown]
	v_add3_u32 v34, v9, v34, v14
	v_add3_u32 v38, v12, v38, v17
	;; [unrolled: 1-line block ×3, first 2 shown]
	s_cbranch_scc1 .LBB165_220
; %bb.221:
	s_bitcmp1_b32 s4, 0
	s_cselect_b64 s[4:5], -1, 0
	s_and_b64 vcc, exec, s[4:5]
	s_cbranch_vccnz .LBB165_225
; %bb.222:
	s_load_dwordx2 s[4:5], s[0:1], 0x1c
	s_load_dword s8, s[0:1], 0x24
	s_load_dwordx2 s[6:7], s[0:1], 0xdc
	s_waitcnt lgkmcnt(0)
	v_mul_hi_u32 v4, s5, v2
	v_add_u32_e32 v4, v2, v4
	v_lshrrev_b32_e32 v4, s8, v4
	v_mul_lo_u32 v4, v4, s4
	s_load_dword s4, s[0:1], 0xe4
	v_sub_u32_e32 v2, v2, v4
	v_mad_u64_u32 v[34:35], s[0:1], v2, s6, v[34:35]
	v_mad_u64_u32 v[38:39], s[0:1], v2, s7, v[38:39]
	s_waitcnt lgkmcnt(0)
	v_mad_u64_u32 v[36:37], s[0:1], v2, s4, v[36:37]
	s_cbranch_execz .LBB165_226
	s_branch .LBB165_228
.LBB165_223:
                                        ; implicit-def: $vgpr34
                                        ; implicit-def: $vgpr38
                                        ; implicit-def: $vgpr36
	s_branch .LBB165_226
.LBB165_224:
	v_mov_b32_e32 v34, 0
	v_mov_b32_e32 v38, 0
	;; [unrolled: 1-line block ×3, first 2 shown]
.LBB165_225:
	s_cbranch_execnz .LBB165_228
.LBB165_226:
	s_load_dwordx4 s[4:7], s[2:3], 0x4
	s_load_dwordx4 s[8:11], s[2:3], 0xc4
	s_cmp_lt_u32 s33, 2
	s_waitcnt lgkmcnt(0)
	v_mul_hi_u32 v2, s5, v40
	v_add_u32_e32 v2, v40, v2
	v_lshrrev_b32_e32 v2, s6, v2
	v_mul_lo_u32 v4, v2, s4
	v_sub_u32_e32 v4, v40, v4
	v_mul_lo_u32 v34, v4, s8
	v_mul_lo_u32 v38, v4, s9
	;; [unrolled: 1-line block ×3, first 2 shown]
	s_cbranch_scc1 .LBB165_228
; %bb.227:
	s_load_dwordx4 s[4:7], s[2:3], 0x10
	s_load_dwordx4 s[8:11], s[2:3], 0xd0
	s_waitcnt lgkmcnt(0)
	v_mul_hi_u32 v4, s5, v2
	v_add_u32_e32 v4, v2, v4
	v_lshrrev_b32_e32 v4, s6, v4
	v_mul_lo_u32 v4, v4, s4
	v_sub_u32_e32 v2, v2, v4
	v_mad_u64_u32 v[34:35], s[0:1], v2, s8, v[34:35]
	v_mad_u64_u32 v[38:39], s[0:1], v2, s9, v[38:39]
	;; [unrolled: 1-line block ×3, first 2 shown]
.LBB165_228:
	s_load_dwordx4 s[4:7], s[2:3], 0x188
	s_load_dwordx2 s[8:9], s[2:3], 0x198
	s_load_dword s0, s[2:3], 0x1a0
	s_waitcnt lgkmcnt(0)
	global_load_dword v2, v5, s[6:7]
	global_load_dword v4, v3, s[8:9]
	s_cmp_lg_u32 s0, 0
	s_cselect_b64 s[10:11], -1, 0
	s_and_b64 vcc, exec, s[10:11]
	s_waitcnt vmcnt(1)
	v_lshlrev_b32_e32 v3, 16, v2
	s_waitcnt vmcnt(0)
	v_lshlrev_b32_e32 v5, 16, v4
	s_cbranch_vccz .LBB165_253
; %bb.229:
	v_and_b32_e32 v7, 0xffff0000, v2
	v_and_b32_e32 v9, 0xffff0000, v4
	v_cmp_neq_f32_e32 vcc, v3, v5
	v_cmp_neq_f32_e64 s[0:1], v7, v9
	s_or_b64 s[2:3], vcc, s[0:1]
	s_cbranch_execnz .LBB165_231
.LBB165_230:
	v_and_b32_e32 v4, 0xffff0000, v4
	v_and_b32_e32 v2, 0xffff0000, v2
	v_cmp_eq_f32_e32 vcc, v3, v5
	v_cmp_eq_f32_e64 s[0:1], v2, v4
	s_and_b64 s[0:1], vcc, s[0:1]
	s_andn2_b64 s[2:3], s[2:3], exec
	s_and_b64 s[0:1], s[0:1], exec
	s_or_b64 s[2:3], s[2:3], s[0:1]
.LBB165_231:
	global_load_dword v2, v10, s[6:7]
	global_load_dword v3, v8, s[8:9]
	s_and_b64 vcc, exec, s[10:11]
	s_waitcnt vmcnt(1)
	v_lshlrev_b32_e32 v4, 16, v2
	s_waitcnt vmcnt(0)
	v_lshlrev_b32_e32 v5, 16, v3
	s_cbranch_vccz .LBB165_254
; %bb.232:
	v_and_b32_e32 v7, 0xffff0000, v2
	v_and_b32_e32 v8, 0xffff0000, v3
	v_cmp_neq_f32_e32 vcc, v4, v5
	v_cmp_neq_f32_e64 s[0:1], v7, v8
	s_or_b64 s[12:13], vcc, s[0:1]
	s_cbranch_execnz .LBB165_234
.LBB165_233:
	v_and_b32_e32 v3, 0xffff0000, v3
	v_and_b32_e32 v2, 0xffff0000, v2
	v_cmp_eq_f32_e32 vcc, v4, v5
	v_cmp_eq_f32_e64 s[0:1], v2, v3
	s_and_b64 s[0:1], vcc, s[0:1]
	s_andn2_b64 s[12:13], s[12:13], exec
	s_and_b64 s[0:1], s[0:1], exec
	s_or_b64 s[12:13], s[12:13], s[0:1]
.LBB165_234:
	global_load_dword v2, v15, s[6:7]
	global_load_dword v3, v13, s[8:9]
	s_and_b64 vcc, exec, s[10:11]
	s_waitcnt vmcnt(1)
	v_lshlrev_b32_e32 v4, 16, v2
	s_waitcnt vmcnt(0)
	v_lshlrev_b32_e32 v5, 16, v3
	s_cbranch_vccz .LBB165_255
; %bb.235:
	v_and_b32_e32 v7, 0xffff0000, v2
	v_and_b32_e32 v8, 0xffff0000, v3
	v_cmp_neq_f32_e32 vcc, v4, v5
	v_cmp_neq_f32_e64 s[0:1], v7, v8
	s_or_b64 s[14:15], vcc, s[0:1]
	s_cbranch_execnz .LBB165_237
.LBB165_236:
	v_and_b32_e32 v3, 0xffff0000, v3
	v_and_b32_e32 v2, 0xffff0000, v2
	v_cmp_eq_f32_e32 vcc, v4, v5
	v_cmp_eq_f32_e64 s[0:1], v2, v3
	s_and_b64 s[0:1], vcc, s[0:1]
	s_andn2_b64 s[14:15], s[14:15], exec
	s_and_b64 s[0:1], s[0:1], exec
	s_or_b64 s[14:15], s[14:15], s[0:1]
.LBB165_237:
	global_load_dword v2, v20, s[6:7]
	global_load_dword v3, v18, s[8:9]
	s_and_b64 vcc, exec, s[10:11]
	s_waitcnt vmcnt(1)
	v_lshlrev_b32_e32 v4, 16, v2
	s_waitcnt vmcnt(0)
	v_lshlrev_b32_e32 v5, 16, v3
	s_cbranch_vccz .LBB165_256
; %bb.238:
	v_and_b32_e32 v7, 0xffff0000, v2
	v_and_b32_e32 v8, 0xffff0000, v3
	v_cmp_neq_f32_e32 vcc, v4, v5
	v_cmp_neq_f32_e64 s[0:1], v7, v8
	s_or_b64 s[16:17], vcc, s[0:1]
	s_cbranch_execnz .LBB165_240
.LBB165_239:
	v_and_b32_e32 v3, 0xffff0000, v3
	v_and_b32_e32 v2, 0xffff0000, v2
	v_cmp_eq_f32_e32 vcc, v4, v5
	v_cmp_eq_f32_e64 s[0:1], v2, v3
	s_and_b64 s[0:1], vcc, s[0:1]
	s_andn2_b64 s[16:17], s[16:17], exec
	s_and_b64 s[0:1], s[0:1], exec
	s_or_b64 s[16:17], s[16:17], s[0:1]
.LBB165_240:
	global_load_dword v2, v23, s[6:7]
	global_load_dword v3, v21, s[8:9]
	s_and_b64 vcc, exec, s[10:11]
	s_waitcnt vmcnt(1)
	v_lshlrev_b32_e32 v4, 16, v2
	s_waitcnt vmcnt(0)
	v_lshlrev_b32_e32 v5, 16, v3
	s_cbranch_vccz .LBB165_257
; %bb.241:
	v_and_b32_e32 v7, 0xffff0000, v2
	v_and_b32_e32 v8, 0xffff0000, v3
	v_cmp_neq_f32_e32 vcc, v4, v5
	v_cmp_neq_f32_e64 s[0:1], v7, v8
	s_or_b64 s[18:19], vcc, s[0:1]
	s_cbranch_execnz .LBB165_243
.LBB165_242:
	v_and_b32_e32 v3, 0xffff0000, v3
	v_and_b32_e32 v2, 0xffff0000, v2
	v_cmp_eq_f32_e32 vcc, v4, v5
	v_cmp_eq_f32_e64 s[0:1], v2, v3
	s_and_b64 s[0:1], vcc, s[0:1]
	s_andn2_b64 s[18:19], s[18:19], exec
	s_and_b64 s[0:1], s[0:1], exec
	s_or_b64 s[18:19], s[18:19], s[0:1]
.LBB165_243:
	global_load_dword v2, v28, s[6:7]
	global_load_dword v3, v26, s[8:9]
	s_and_b64 vcc, exec, s[10:11]
	s_waitcnt vmcnt(1)
	v_lshlrev_b32_e32 v4, 16, v2
	s_waitcnt vmcnt(0)
	v_lshlrev_b32_e32 v5, 16, v3
	s_cbranch_vccz .LBB165_258
; %bb.244:
	v_and_b32_e32 v7, 0xffff0000, v2
	v_and_b32_e32 v8, 0xffff0000, v3
	v_cmp_neq_f32_e32 vcc, v4, v5
	v_cmp_neq_f32_e64 s[0:1], v7, v8
	s_or_b64 s[20:21], vcc, s[0:1]
	s_cbranch_execnz .LBB165_246
.LBB165_245:
	v_and_b32_e32 v3, 0xffff0000, v3
	v_and_b32_e32 v2, 0xffff0000, v2
	v_cmp_eq_f32_e32 vcc, v4, v5
	v_cmp_eq_f32_e64 s[0:1], v2, v3
	s_and_b64 s[0:1], vcc, s[0:1]
	s_andn2_b64 s[20:21], s[20:21], exec
	s_and_b64 s[0:1], s[0:1], exec
	s_or_b64 s[20:21], s[20:21], s[0:1]
.LBB165_246:
	global_load_dword v2, v33, s[6:7]
	global_load_dword v3, v31, s[8:9]
	s_and_b64 vcc, exec, s[10:11]
	s_waitcnt vmcnt(1)
	v_lshlrev_b32_e32 v4, 16, v2
	s_waitcnt vmcnt(0)
	v_lshlrev_b32_e32 v5, 16, v3
	s_cbranch_vccz .LBB165_259
; %bb.247:
	v_and_b32_e32 v7, 0xffff0000, v2
	v_and_b32_e32 v8, 0xffff0000, v3
	v_cmp_neq_f32_e32 vcc, v4, v5
	v_cmp_neq_f32_e64 s[0:1], v7, v8
	s_or_b64 s[22:23], vcc, s[0:1]
	s_cbranch_execnz .LBB165_249
.LBB165_248:
	v_and_b32_e32 v3, 0xffff0000, v3
	v_and_b32_e32 v2, 0xffff0000, v2
	v_cmp_eq_f32_e32 vcc, v4, v5
	v_cmp_eq_f32_e64 s[0:1], v2, v3
	s_and_b64 s[0:1], vcc, s[0:1]
	s_andn2_b64 s[22:23], s[22:23], exec
	s_and_b64 s[0:1], s[0:1], exec
	s_or_b64 s[22:23], s[22:23], s[0:1]
.LBB165_249:
	global_load_dword v2, v38, s[6:7]
	global_load_dword v3, v36, s[8:9]
	s_and_b64 vcc, exec, s[10:11]
	s_waitcnt vmcnt(1)
	v_lshlrev_b32_e32 v4, 16, v2
	s_waitcnt vmcnt(0)
	v_lshlrev_b32_e32 v5, 16, v3
	s_cbranch_vccz .LBB165_260
; %bb.250:
	v_and_b32_e32 v7, 0xffff0000, v2
	v_and_b32_e32 v8, 0xffff0000, v3
	v_cmp_neq_f32_e32 vcc, v4, v5
	v_cmp_neq_f32_e64 s[0:1], v7, v8
	s_or_b64 s[6:7], vcc, s[0:1]
	s_cbranch_execnz .LBB165_252
.LBB165_251:
	v_and_b32_e32 v3, 0xffff0000, v3
	v_and_b32_e32 v2, 0xffff0000, v2
	v_cmp_eq_f32_e32 vcc, v4, v5
	v_cmp_eq_f32_e64 s[0:1], v2, v3
	s_and_b64 s[0:1], vcc, s[0:1]
	s_andn2_b64 s[6:7], s[6:7], exec
	s_and_b64 s[0:1], s[0:1], exec
	s_or_b64 s[6:7], s[6:7], s[0:1]
.LBB165_252:
	v_cndmask_b32_e64 v9, 0, 1, s[2:3]
	v_cndmask_b32_e64 v2, 0, 1, s[22:23]
	;; [unrolled: 1-line block ×8, first 2 shown]
	global_store_byte v0, v9, s[4:5]
	global_store_byte v1, v8, s[4:5]
	;; [unrolled: 1-line block ×8, first 2 shown]
	s_endpgm
.LBB165_253:
                                        ; implicit-def: $sgpr2_sgpr3
	s_branch .LBB165_230
.LBB165_254:
                                        ; implicit-def: $sgpr12_sgpr13
	s_branch .LBB165_233
.LBB165_255:
                                        ; implicit-def: $sgpr14_sgpr15
	s_branch .LBB165_236
.LBB165_256:
                                        ; implicit-def: $sgpr16_sgpr17
	s_branch .LBB165_239
.LBB165_257:
                                        ; implicit-def: $sgpr18_sgpr19
	s_branch .LBB165_242
.LBB165_258:
                                        ; implicit-def: $sgpr20_sgpr21
	s_branch .LBB165_245
.LBB165_259:
                                        ; implicit-def: $sgpr22_sgpr23
	s_branch .LBB165_248
.LBB165_260:
                                        ; implicit-def: $sgpr6_sgpr7
	s_branch .LBB165_251
	.section	.rodata,"a",@progbits
	.p2align	6, 0x0
	.amdhsa_kernel _ZN2at6native32elementwise_kernel_manual_unrollILi128ELi8EZNS0_22gpu_kernel_impl_nocastINS0_13BinaryFunctorIN3c107complexINS4_8BFloat16EEES7_bNS0_12_GLOBAL__N_116CompareEqFunctorIS7_EEEEEEvRNS_18TensorIteratorBaseERKT_EUlibE_EEviT1_
		.amdhsa_group_segment_fixed_size 0
		.amdhsa_private_segment_fixed_size 0
		.amdhsa_kernarg_size 432
		.amdhsa_user_sgpr_count 6
		.amdhsa_user_sgpr_private_segment_buffer 1
		.amdhsa_user_sgpr_dispatch_ptr 0
		.amdhsa_user_sgpr_queue_ptr 0
		.amdhsa_user_sgpr_kernarg_segment_ptr 1
		.amdhsa_user_sgpr_dispatch_id 0
		.amdhsa_user_sgpr_flat_scratch_init 0
		.amdhsa_user_sgpr_private_segment_size 0
		.amdhsa_uses_dynamic_stack 0
		.amdhsa_system_sgpr_private_segment_wavefront_offset 0
		.amdhsa_system_sgpr_workgroup_id_x 1
		.amdhsa_system_sgpr_workgroup_id_y 0
		.amdhsa_system_sgpr_workgroup_id_z 0
		.amdhsa_system_sgpr_workgroup_info 0
		.amdhsa_system_vgpr_workitem_id 0
		.amdhsa_next_free_vgpr 41
		.amdhsa_next_free_sgpr 54
		.amdhsa_reserve_vcc 1
		.amdhsa_reserve_flat_scratch 0
		.amdhsa_float_round_mode_32 0
		.amdhsa_float_round_mode_16_64 0
		.amdhsa_float_denorm_mode_32 3
		.amdhsa_float_denorm_mode_16_64 3
		.amdhsa_dx10_clamp 1
		.amdhsa_ieee_mode 1
		.amdhsa_fp16_overflow 0
		.amdhsa_exception_fp_ieee_invalid_op 0
		.amdhsa_exception_fp_denorm_src 0
		.amdhsa_exception_fp_ieee_div_zero 0
		.amdhsa_exception_fp_ieee_overflow 0
		.amdhsa_exception_fp_ieee_underflow 0
		.amdhsa_exception_fp_ieee_inexact 0
		.amdhsa_exception_int_div_zero 0
	.end_amdhsa_kernel
	.section	.text._ZN2at6native32elementwise_kernel_manual_unrollILi128ELi8EZNS0_22gpu_kernel_impl_nocastINS0_13BinaryFunctorIN3c107complexINS4_8BFloat16EEES7_bNS0_12_GLOBAL__N_116CompareEqFunctorIS7_EEEEEEvRNS_18TensorIteratorBaseERKT_EUlibE_EEviT1_,"axG",@progbits,_ZN2at6native32elementwise_kernel_manual_unrollILi128ELi8EZNS0_22gpu_kernel_impl_nocastINS0_13BinaryFunctorIN3c107complexINS4_8BFloat16EEES7_bNS0_12_GLOBAL__N_116CompareEqFunctorIS7_EEEEEEvRNS_18TensorIteratorBaseERKT_EUlibE_EEviT1_,comdat
.Lfunc_end165:
	.size	_ZN2at6native32elementwise_kernel_manual_unrollILi128ELi8EZNS0_22gpu_kernel_impl_nocastINS0_13BinaryFunctorIN3c107complexINS4_8BFloat16EEES7_bNS0_12_GLOBAL__N_116CompareEqFunctorIS7_EEEEEEvRNS_18TensorIteratorBaseERKT_EUlibE_EEviT1_, .Lfunc_end165-_ZN2at6native32elementwise_kernel_manual_unrollILi128ELi8EZNS0_22gpu_kernel_impl_nocastINS0_13BinaryFunctorIN3c107complexINS4_8BFloat16EEES7_bNS0_12_GLOBAL__N_116CompareEqFunctorIS7_EEEEEEvRNS_18TensorIteratorBaseERKT_EUlibE_EEviT1_
                                        ; -- End function
	.set _ZN2at6native32elementwise_kernel_manual_unrollILi128ELi8EZNS0_22gpu_kernel_impl_nocastINS0_13BinaryFunctorIN3c107complexINS4_8BFloat16EEES7_bNS0_12_GLOBAL__N_116CompareEqFunctorIS7_EEEEEEvRNS_18TensorIteratorBaseERKT_EUlibE_EEviT1_.num_vgpr, 41
	.set _ZN2at6native32elementwise_kernel_manual_unrollILi128ELi8EZNS0_22gpu_kernel_impl_nocastINS0_13BinaryFunctorIN3c107complexINS4_8BFloat16EEES7_bNS0_12_GLOBAL__N_116CompareEqFunctorIS7_EEEEEEvRNS_18TensorIteratorBaseERKT_EUlibE_EEviT1_.num_agpr, 0
	.set _ZN2at6native32elementwise_kernel_manual_unrollILi128ELi8EZNS0_22gpu_kernel_impl_nocastINS0_13BinaryFunctorIN3c107complexINS4_8BFloat16EEES7_bNS0_12_GLOBAL__N_116CompareEqFunctorIS7_EEEEEEvRNS_18TensorIteratorBaseERKT_EUlibE_EEviT1_.numbered_sgpr, 54
	.set _ZN2at6native32elementwise_kernel_manual_unrollILi128ELi8EZNS0_22gpu_kernel_impl_nocastINS0_13BinaryFunctorIN3c107complexINS4_8BFloat16EEES7_bNS0_12_GLOBAL__N_116CompareEqFunctorIS7_EEEEEEvRNS_18TensorIteratorBaseERKT_EUlibE_EEviT1_.num_named_barrier, 0
	.set _ZN2at6native32elementwise_kernel_manual_unrollILi128ELi8EZNS0_22gpu_kernel_impl_nocastINS0_13BinaryFunctorIN3c107complexINS4_8BFloat16EEES7_bNS0_12_GLOBAL__N_116CompareEqFunctorIS7_EEEEEEvRNS_18TensorIteratorBaseERKT_EUlibE_EEviT1_.private_seg_size, 0
	.set _ZN2at6native32elementwise_kernel_manual_unrollILi128ELi8EZNS0_22gpu_kernel_impl_nocastINS0_13BinaryFunctorIN3c107complexINS4_8BFloat16EEES7_bNS0_12_GLOBAL__N_116CompareEqFunctorIS7_EEEEEEvRNS_18TensorIteratorBaseERKT_EUlibE_EEviT1_.uses_vcc, 1
	.set _ZN2at6native32elementwise_kernel_manual_unrollILi128ELi8EZNS0_22gpu_kernel_impl_nocastINS0_13BinaryFunctorIN3c107complexINS4_8BFloat16EEES7_bNS0_12_GLOBAL__N_116CompareEqFunctorIS7_EEEEEEvRNS_18TensorIteratorBaseERKT_EUlibE_EEviT1_.uses_flat_scratch, 0
	.set _ZN2at6native32elementwise_kernel_manual_unrollILi128ELi8EZNS0_22gpu_kernel_impl_nocastINS0_13BinaryFunctorIN3c107complexINS4_8BFloat16EEES7_bNS0_12_GLOBAL__N_116CompareEqFunctorIS7_EEEEEEvRNS_18TensorIteratorBaseERKT_EUlibE_EEviT1_.has_dyn_sized_stack, 0
	.set _ZN2at6native32elementwise_kernel_manual_unrollILi128ELi8EZNS0_22gpu_kernel_impl_nocastINS0_13BinaryFunctorIN3c107complexINS4_8BFloat16EEES7_bNS0_12_GLOBAL__N_116CompareEqFunctorIS7_EEEEEEvRNS_18TensorIteratorBaseERKT_EUlibE_EEviT1_.has_recursion, 0
	.set _ZN2at6native32elementwise_kernel_manual_unrollILi128ELi8EZNS0_22gpu_kernel_impl_nocastINS0_13BinaryFunctorIN3c107complexINS4_8BFloat16EEES7_bNS0_12_GLOBAL__N_116CompareEqFunctorIS7_EEEEEEvRNS_18TensorIteratorBaseERKT_EUlibE_EEviT1_.has_indirect_call, 0
	.section	.AMDGPU.csdata,"",@progbits
; Kernel info:
; codeLenInByte = 10884
; TotalNumSgprs: 58
; NumVgprs: 41
; ScratchSize: 0
; MemoryBound: 0
; FloatMode: 240
; IeeeMode: 1
; LDSByteSize: 0 bytes/workgroup (compile time only)
; SGPRBlocks: 7
; VGPRBlocks: 10
; NumSGPRsForWavesPerEU: 58
; NumVGPRsForWavesPerEU: 41
; Occupancy: 5
; WaveLimiterHint : 1
; COMPUTE_PGM_RSRC2:SCRATCH_EN: 0
; COMPUTE_PGM_RSRC2:USER_SGPR: 6
; COMPUTE_PGM_RSRC2:TRAP_HANDLER: 0
; COMPUTE_PGM_RSRC2:TGID_X_EN: 1
; COMPUTE_PGM_RSRC2:TGID_Y_EN: 0
; COMPUTE_PGM_RSRC2:TGID_Z_EN: 0
; COMPUTE_PGM_RSRC2:TIDIG_COMP_CNT: 0
	.section	.text._ZN2at6native32elementwise_kernel_manual_unrollILi128ELi4EZNS0_15gpu_kernel_implINS0_13BinaryFunctorIN3c107complexINS4_8BFloat16EEES7_bNS0_12_GLOBAL__N_116CompareEqFunctorIS7_EEEEEEvRNS_18TensorIteratorBaseERKT_EUlibE_EEviT1_,"axG",@progbits,_ZN2at6native32elementwise_kernel_manual_unrollILi128ELi4EZNS0_15gpu_kernel_implINS0_13BinaryFunctorIN3c107complexINS4_8BFloat16EEES7_bNS0_12_GLOBAL__N_116CompareEqFunctorIS7_EEEEEEvRNS_18TensorIteratorBaseERKT_EUlibE_EEviT1_,comdat
	.globl	_ZN2at6native32elementwise_kernel_manual_unrollILi128ELi4EZNS0_15gpu_kernel_implINS0_13BinaryFunctorIN3c107complexINS4_8BFloat16EEES7_bNS0_12_GLOBAL__N_116CompareEqFunctorIS7_EEEEEEvRNS_18TensorIteratorBaseERKT_EUlibE_EEviT1_ ; -- Begin function _ZN2at6native32elementwise_kernel_manual_unrollILi128ELi4EZNS0_15gpu_kernel_implINS0_13BinaryFunctorIN3c107complexINS4_8BFloat16EEES7_bNS0_12_GLOBAL__N_116CompareEqFunctorIS7_EEEEEEvRNS_18TensorIteratorBaseERKT_EUlibE_EEviT1_
	.p2align	8
	.type	_ZN2at6native32elementwise_kernel_manual_unrollILi128ELi4EZNS0_15gpu_kernel_implINS0_13BinaryFunctorIN3c107complexINS4_8BFloat16EEES7_bNS0_12_GLOBAL__N_116CompareEqFunctorIS7_EEEEEEvRNS_18TensorIteratorBaseERKT_EUlibE_EEviT1_,@function
_ZN2at6native32elementwise_kernel_manual_unrollILi128ELi4EZNS0_15gpu_kernel_implINS0_13BinaryFunctorIN3c107complexINS4_8BFloat16EEES7_bNS0_12_GLOBAL__N_116CompareEqFunctorIS7_EEEEEEvRNS_18TensorIteratorBaseERKT_EUlibE_EEviT1_: ; @_ZN2at6native32elementwise_kernel_manual_unrollILi128ELi4EZNS0_15gpu_kernel_implINS0_13BinaryFunctorIN3c107complexINS4_8BFloat16EEES7_bNS0_12_GLOBAL__N_116CompareEqFunctorIS7_EEEEEEvRNS_18TensorIteratorBaseERKT_EUlibE_EEviT1_
; %bb.0:
	s_load_dword s33, s[4:5], 0x30
	s_load_dword s50, s[4:5], 0x0
	s_load_dwordx4 s[8:11], s[4:5], 0x8
	s_load_dwordx2 s[2:3], s[4:5], 0x18
	s_load_dwordx4 s[12:15], s[4:5], 0x20
	v_lshl_or_b32 v2, s6, 9, v0
	v_or_b32_e32 v0, 0x180, v2
	s_waitcnt lgkmcnt(0)
	s_lshr_b32 s57, s33, 8
	s_lshr_b32 s56, s33, 16
	v_cmp_le_i32_e32 vcc, s50, v0
	s_mov_b64 s[4:5], 0
	s_mov_b64 s[16:17], 0
	s_and_saveexec_b64 s[0:1], vcc
	s_xor_b64 s[6:7], exec, s[0:1]
	s_cbranch_execz .LBB166_1601
; %bb.1:
	s_cmp_lg_u32 s15, 0
	s_cselect_b64 s[16:17], -1, 0
	v_cmp_gt_i32_e32 vcc, s50, v2
	s_mov_b64 s[0:1], -1
	s_mov_b64 s[28:29], 0
	s_mov_b64 s[22:23], 0
	;; [unrolled: 1-line block ×4, first 2 shown]
	s_and_saveexec_b64 s[24:25], vcc
	s_cbranch_execz .LBB166_396
; %bb.2:
	v_mul_lo_u32 v0, v2, s13
	v_mov_b32_e32 v1, s11
	s_and_b32 s26, s57, 0xff
	s_cmp_lt_i32 s26, 11
	v_ashrrev_i32_e32 v3, 31, v0
	v_add_co_u32_e32 v0, vcc, s10, v0
	v_addc_co_u32_e32 v1, vcc, v1, v3, vcc
	s_cbranch_scc1 .LBB166_9
; %bb.3:
	s_and_b32 s27, 0xffff, s26
	s_cmp_gt_i32 s27, 25
	s_cbranch_scc0 .LBB166_18
; %bb.4:
	s_cmp_gt_i32 s27, 28
	s_cbranch_scc0 .LBB166_31
; %bb.5:
	s_cmp_gt_i32 s27, 43
	s_cbranch_scc0 .LBB166_35
; %bb.6:
	s_cmp_gt_i32 s27, 45
	s_cbranch_scc0 .LBB166_38
; %bb.7:
	s_cmp_eq_u32 s27, 46
	s_cbranch_scc0 .LBB166_41
; %bb.8:
	global_load_dword v3, v[0:1], off
	s_waitcnt vmcnt(0)
	v_and_b32_e32 v4, 0xffff0000, v3
	s_branch .LBB166_43
.LBB166_9:
                                        ; implicit-def: $vgpr4
                                        ; implicit-def: $vgpr3
	s_mov_b64 s[0:1], 0
	s_cbranch_execnz .LBB166_111
.LBB166_10:
	s_andn2_b64 vcc, exec, s[0:1]
	s_cbranch_vccnz .LBB166_160
.LBB166_11:
	v_mul_lo_u32 v0, v2, s14
	v_mov_b32_e32 v1, s3
	s_and_b32 s30, s56, 0xff
	s_cmp_lt_i32 s30, 11
	v_ashrrev_i32_e32 v5, 31, v0
	v_add_co_u32_e32 v0, vcc, s2, v0
	v_addc_co_u32_e32 v1, vcc, v1, v5, vcc
	s_cbranch_scc1 .LBB166_19
; %bb.12:
	s_and_b32 s31, 0xffff, s30
	s_cmp_gt_i32 s31, 25
	s_cbranch_scc0 .LBB166_32
; %bb.13:
	s_cmp_gt_i32 s31, 28
	s_cbranch_scc0 .LBB166_36
; %bb.14:
	;; [unrolled: 3-line block ×4, first 2 shown]
	s_cmp_eq_u32 s31, 46
	s_mov_b64 s[18:19], 0
	s_cbranch_scc0 .LBB166_161
; %bb.17:
	global_load_dword v5, v[0:1], off
	s_mov_b64 s[0:1], -1
	s_mov_b64 s[20:21], 0
	s_waitcnt vmcnt(0)
	v_and_b32_e32 v6, 0xffff0000, v5
	s_branch .LBB166_163
.LBB166_18:
	s_mov_b64 s[0:1], 0
                                        ; implicit-def: $vgpr4
                                        ; implicit-def: $vgpr3
	s_cbranch_execnz .LBB166_76
	s_branch .LBB166_110
.LBB166_19:
	s_mov_b64 s[20:21], 0
                                        ; implicit-def: $vgpr6
                                        ; implicit-def: $vgpr5
	s_mov_b64 s[0:1], 0
	s_cbranch_execnz .LBB166_343
.LBB166_20:
	s_andn2_b64 vcc, exec, s[0:1]
	s_cbranch_vccnz .LBB166_393
.LBB166_21:
	s_waitcnt vmcnt(0)
	v_or_b32_sdwa v0, v4, v3 dst_sel:DWORD dst_unused:UNUSED_PAD src0_sel:DWORD src1_sel:WORD_0
	v_or_b32_sdwa v1, v6, v5 dst_sel:DWORD dst_unused:UNUSED_PAD src0_sel:DWORD src1_sel:WORD_0
	s_and_b64 vcc, exec, s[16:17]
	v_lshlrev_b32_e32 v0, 16, v0
	v_lshlrev_b32_e32 v1, 16, v1
	s_cbranch_vccz .LBB166_34
; %bb.22:
	v_and_b32_e32 v3, 0xffff0000, v4
	v_and_b32_e32 v5, 0xffff0000, v6
	v_cmp_neq_f32_e32 vcc, v0, v1
	v_cmp_neq_f32_e64 s[0:1], v3, v5
	s_or_b64 s[18:19], vcc, s[0:1]
	s_cbranch_execnz .LBB166_24
.LBB166_23:
	v_and_b32_e32 v3, 0xffff0000, v6
	v_and_b32_e32 v4, 0xffff0000, v4
	v_cmp_eq_f32_e32 vcc, v0, v1
	v_cmp_eq_f32_e64 s[0:1], v4, v3
	s_and_b64 s[0:1], vcc, s[0:1]
	s_andn2_b64 s[18:19], s[18:19], exec
	s_and_b64 s[0:1], s[0:1], exec
	s_or_b64 s[18:19], s[18:19], s[0:1]
.LBB166_24:
	v_mul_lo_u32 v0, v2, s12
	v_mov_b32_e32 v1, s9
	s_and_b32 s36, s33, 0xff
	s_cmp_lt_i32 s36, 11
	v_ashrrev_i32_e32 v3, 31, v0
	v_add_co_u32_e32 v0, vcc, s8, v0
	v_addc_co_u32_e32 v1, vcc, v1, v3, vcc
	s_cbranch_scc1 .LBB166_33
; %bb.25:
	s_and_b32 s37, 0xffff, s36
	s_cmp_gt_i32 s37, 25
	s_cbranch_scc0 .LBB166_37
; %bb.26:
	s_cmp_gt_i32 s37, 28
	s_cbranch_scc0 .LBB166_40
; %bb.27:
	;; [unrolled: 3-line block ×4, first 2 shown]
	s_mov_b64 s[30:31], 0
	s_mov_b64 s[0:1], -1
	s_cmp_eq_u32 s37, 46
	s_mov_b64 s[26:27], 0
	s_cbranch_scc0 .LBB166_167
; %bb.30:
	v_cndmask_b32_e64 v3, 0, 1.0, s[18:19]
	v_bfe_u32 v4, v3, 16, 1
	s_movk_i32 s0, 0x7fff
	v_add3_u32 v3, v3, v4, s0
	v_lshrrev_b32_e32 v3, 16, v3
	global_store_dword v[0:1], v3, off
	s_mov_b64 s[26:27], -1
	s_mov_b64 s[0:1], 0
	s_branch .LBB166_167
.LBB166_31:
	s_mov_b64 s[18:19], -1
	s_mov_b64 s[0:1], 0
                                        ; implicit-def: $vgpr4
                                        ; implicit-def: $vgpr3
	s_branch .LBB166_57
.LBB166_32:
	s_mov_b64 s[18:19], -1
	s_mov_b64 s[20:21], 0
	s_mov_b64 s[0:1], 0
                                        ; implicit-def: $vgpr6
                                        ; implicit-def: $vgpr5
	s_branch .LBB166_306
.LBB166_33:
	s_mov_b64 s[30:31], -1
	s_mov_b64 s[0:1], 0
	s_mov_b64 s[26:27], 0
	s_branch .LBB166_236
.LBB166_34:
                                        ; implicit-def: $sgpr18_sgpr19
	s_branch .LBB166_23
.LBB166_35:
	s_mov_b64 s[18:19], -1
	s_mov_b64 s[0:1], 0
                                        ; implicit-def: $vgpr4
                                        ; implicit-def: $vgpr3
	s_branch .LBB166_51
.LBB166_36:
	s_mov_b64 s[18:19], -1
	s_mov_b64 s[20:21], 0
	s_mov_b64 s[0:1], 0
                                        ; implicit-def: $vgpr6
                                        ; implicit-def: $vgpr5
	s_branch .LBB166_287
.LBB166_37:
	s_mov_b64 s[30:31], -1
	s_mov_b64 s[0:1], 0
	s_mov_b64 s[26:27], 0
	s_branch .LBB166_194
.LBB166_38:
	s_mov_b64 s[18:19], -1
	s_branch .LBB166_42
.LBB166_39:
	s_mov_b64 s[18:19], -1
	s_mov_b64 s[20:21], 0
	s_mov_b64 s[0:1], 0
                                        ; implicit-def: $vgpr6
                                        ; implicit-def: $vgpr5
	s_branch .LBB166_281
.LBB166_40:
	s_mov_b64 s[30:31], -1
	s_mov_b64 s[0:1], 0
	s_mov_b64 s[26:27], 0
	s_branch .LBB166_177
.LBB166_41:
	s_mov_b64 s[22:23], -1
.LBB166_42:
	s_mov_b64 s[0:1], 0
                                        ; implicit-def: $vgpr4
                                        ; implicit-def: $vgpr3
.LBB166_43:
	s_and_b64 vcc, exec, s[18:19]
	s_cbranch_vccz .LBB166_50
; %bb.44:
	s_cmp_eq_u32 s27, 44
	s_cbranch_scc0 .LBB166_48
; %bb.45:
	global_load_ubyte v3, v[0:1], off
	s_movk_i32 s18, 0xff
	v_mov_b32_e32 v4, 0x7f800001
	v_mov_b32_e32 v5, 0x400000
	v_mov_b32_e32 v6, 0x7fc0
	s_mov_b64 s[0:1], -1
	s_mov_b64 s[22:23], 0
	s_waitcnt vmcnt(0)
	v_lshlrev_b32_e32 v7, 23, v3
	v_cmp_ne_u32_e32 vcc, s18, v3
	v_cndmask_b32_e32 v4, v4, v7, vcc
	v_cmp_ne_u32_e32 vcc, 0, v3
	v_cndmask_b32_e32 v3, v5, v4, vcc
	v_add_u32_e32 v4, 0x7fff, v3
	v_cmp_o_f32_e32 vcc, v3, v3
	v_cndmask_b32_sdwa v3, v6, v4, vcc dst_sel:DWORD dst_unused:UNUSED_PAD src0_sel:DWORD src1_sel:WORD_1
	s_branch .LBB166_49
.LBB166_46:
	s_mov_b64 s[18:19], -1
	s_mov_b64 s[20:21], 0
	s_branch .LBB166_162
.LBB166_47:
	s_mov_b64 s[30:31], -1
	s_mov_b64 s[0:1], 0
	s_mov_b64 s[26:27], 0
	s_branch .LBB166_173
.LBB166_48:
	s_mov_b64 s[22:23], -1
                                        ; implicit-def: $vgpr3
.LBB166_49:
	v_mov_b32_e32 v4, 0
.LBB166_50:
	s_mov_b64 s[18:19], 0
.LBB166_51:
	s_and_b64 vcc, exec, s[18:19]
	s_cbranch_vccz .LBB166_56
; %bb.52:
	s_cmp_eq_u32 s27, 29
	s_cbranch_scc0 .LBB166_54
; %bb.53:
	global_load_dwordx2 v[3:4], v[0:1], off
	s_movk_i32 s18, 0x7fff
	s_mov_b64 s[0:1], -1
	s_mov_b64 s[22:23], 0
	s_waitcnt vmcnt(0)
	v_ffbh_u32_e32 v5, v4
	v_min_u32_e32 v5, 32, v5
	v_lshlrev_b64 v[3:4], v5, v[3:4]
	v_min_u32_e32 v3, 1, v3
	v_or_b32_e32 v3, v4, v3
	v_cvt_f32_u32_e32 v3, v3
	v_sub_u32_e32 v4, 32, v5
	v_ldexp_f32 v3, v3, v4
	v_bfe_u32 v4, v3, 16, 1
	v_add3_u32 v3, v3, v4, s18
	v_lshrrev_b32_e32 v3, 16, v3
	s_branch .LBB166_55
.LBB166_54:
	s_mov_b64 s[22:23], -1
                                        ; implicit-def: $vgpr3
.LBB166_55:
	v_mov_b32_e32 v4, 0
.LBB166_56:
	s_mov_b64 s[18:19], 0
.LBB166_57:
	s_and_b64 vcc, exec, s[18:19]
	s_cbranch_vccz .LBB166_75
; %bb.58:
	s_cmp_lt_i32 s27, 27
	s_cbranch_scc1 .LBB166_61
; %bb.59:
	s_cmp_gt_i32 s27, 27
	s_cbranch_scc0 .LBB166_62
; %bb.60:
	global_load_dword v3, v[0:1], off
	s_movk_i32 s0, 0x7fff
	s_waitcnt vmcnt(0)
	v_cvt_f32_u32_e32 v3, v3
	v_bfe_u32 v4, v3, 16, 1
	v_add3_u32 v3, v3, v4, s0
	v_lshrrev_b32_e32 v3, 16, v3
	s_mov_b64 s[0:1], 0
	s_branch .LBB166_63
.LBB166_61:
	s_mov_b64 s[0:1], -1
                                        ; implicit-def: $vgpr3
	s_branch .LBB166_66
.LBB166_62:
	s_mov_b64 s[0:1], -1
                                        ; implicit-def: $vgpr3
.LBB166_63:
	s_andn2_b64 vcc, exec, s[0:1]
	s_cbranch_vccnz .LBB166_65
; %bb.64:
	global_load_ushort v3, v[0:1], off
	s_movk_i32 s0, 0x7fff
	s_waitcnt vmcnt(0)
	v_cvt_f32_u32_e32 v3, v3
	v_bfe_u32 v4, v3, 16, 1
	v_add3_u32 v3, v3, v4, s0
	v_lshrrev_b32_e32 v3, 16, v3
.LBB166_65:
	s_mov_b64 s[0:1], 0
.LBB166_66:
	s_andn2_b64 vcc, exec, s[0:1]
	s_cbranch_vccnz .LBB166_74
; %bb.67:
	global_load_ubyte v3, v[0:1], off
	s_movk_i32 s0, 0x7f
	s_waitcnt vmcnt(0)
	v_cmp_lt_i16_e32 vcc, s0, v3
	s_mov_b64 s[0:1], 0
	s_and_saveexec_b64 s[18:19], vcc
	s_xor_b64 s[18:19], exec, s[18:19]
	s_cbranch_execz .LBB166_87
; %bb.68:
	s_movk_i32 s0, 0x80
	v_cmp_eq_u16_e32 vcc, s0, v3
	s_mov_b64 s[0:1], -1
	s_and_saveexec_b64 s[20:21], vcc
; %bb.69:
	s_xor_b64 s[0:1], exec, -1
; %bb.70:
	s_or_b64 exec, exec, s[20:21]
	s_and_b64 s[0:1], s[0:1], exec
	s_or_saveexec_b64 s[18:19], s[18:19]
	v_mov_b32_e32 v4, 0x7f800001
	s_xor_b64 exec, exec, s[18:19]
	s_cbranch_execnz .LBB166_88
.LBB166_71:
	s_or_b64 exec, exec, s[18:19]
	s_and_saveexec_b64 s[18:19], s[0:1]
	s_cbranch_execz .LBB166_73
.LBB166_72:
	v_lshlrev_b32_e32 v4, 24, v3
	v_and_b32_e32 v3, 0xffff, v3
	v_and_b32_e32 v5, 7, v3
	v_ffbh_u32_e32 v7, v5
	v_min_u32_e32 v7, 32, v7
	v_subrev_u32_e32 v8, 28, v7
	v_bfe_u32 v6, v3, 3, 4
	v_lshlrev_b32_e32 v3, v8, v3
	v_sub_u32_e32 v7, 29, v7
	v_and_b32_e32 v3, 7, v3
	v_cmp_eq_u32_e32 vcc, 0, v6
	v_cndmask_b32_e32 v6, v6, v7, vcc
	v_cndmask_b32_e32 v3, v5, v3, vcc
	v_mov_b32_e32 v5, 0x3b800000
	v_lshlrev_b32_e32 v3, 20, v3
	v_and_b32_e32 v4, 0x80000000, v4
	v_lshl_add_u32 v5, v6, 23, v5
	v_or3_b32 v4, v4, v5, v3
.LBB166_73:
	s_or_b64 exec, exec, s[18:19]
	v_bfe_u32 v3, v4, 16, 1
	s_movk_i32 s0, 0x7fff
	v_add3_u32 v3, v4, v3, s0
	v_cmp_o_f32_e32 vcc, v4, v4
	v_mov_b32_e32 v4, 0x7fc0
	v_cndmask_b32_sdwa v3, v4, v3, vcc dst_sel:DWORD dst_unused:UNUSED_PAD src0_sel:DWORD src1_sel:WORD_1
.LBB166_74:
	s_mov_b64 s[0:1], -1
	v_mov_b32_e32 v4, 0
.LBB166_75:
	s_branch .LBB166_110
.LBB166_76:
	s_cmp_gt_i32 s27, 22
	s_cbranch_scc0 .LBB166_86
; %bb.77:
	s_cmp_lt_i32 s27, 24
	s_cbranch_scc1 .LBB166_89
; %bb.78:
	s_cmp_gt_i32 s27, 24
	s_cbranch_scc0 .LBB166_90
; %bb.79:
	global_load_ubyte v3, v[0:1], off
	s_movk_i32 s0, 0x7f
	s_waitcnt vmcnt(0)
	v_cmp_lt_i16_e32 vcc, s0, v3
	s_mov_b64 s[0:1], 0
	s_and_saveexec_b64 s[18:19], vcc
	s_xor_b64 s[18:19], exec, s[18:19]
	s_cbranch_execz .LBB166_101
; %bb.80:
	s_movk_i32 s0, 0x80
	v_cmp_eq_u16_e32 vcc, s0, v3
	s_mov_b64 s[0:1], -1
	s_and_saveexec_b64 s[20:21], vcc
; %bb.81:
	s_xor_b64 s[0:1], exec, -1
; %bb.82:
	s_or_b64 exec, exec, s[20:21]
	s_and_b64 s[0:1], s[0:1], exec
	s_or_saveexec_b64 s[18:19], s[18:19]
	v_mov_b32_e32 v4, 0x7f800001
	s_xor_b64 exec, exec, s[18:19]
	s_cbranch_execnz .LBB166_102
.LBB166_83:
	s_or_b64 exec, exec, s[18:19]
	s_and_saveexec_b64 s[18:19], s[0:1]
	s_cbranch_execz .LBB166_85
.LBB166_84:
	v_lshlrev_b32_e32 v4, 24, v3
	v_and_b32_e32 v3, 0xffff, v3
	v_and_b32_e32 v5, 3, v3
	v_ffbh_u32_e32 v7, v5
	v_min_u32_e32 v7, 32, v7
	v_subrev_u32_e32 v8, 29, v7
	v_bfe_u32 v6, v3, 2, 5
	v_lshlrev_b32_e32 v3, v8, v3
	v_sub_u32_e32 v7, 30, v7
	v_and_b32_e32 v3, 3, v3
	v_cmp_eq_u32_e32 vcc, 0, v6
	v_cndmask_b32_e32 v6, v6, v7, vcc
	v_cndmask_b32_e32 v3, v5, v3, vcc
	v_mov_b32_e32 v5, 0x37800000
	v_lshlrev_b32_e32 v3, 21, v3
	v_and_b32_e32 v4, 0x80000000, v4
	v_lshl_add_u32 v5, v6, 23, v5
	v_or3_b32 v4, v4, v5, v3
.LBB166_85:
	s_or_b64 exec, exec, s[18:19]
	v_bfe_u32 v3, v4, 16, 1
	s_movk_i32 s0, 0x7fff
	v_add3_u32 v3, v4, v3, s0
	v_cmp_o_f32_e32 vcc, v4, v4
	v_mov_b32_e32 v4, 0x7fc0
	v_cndmask_b32_sdwa v3, v4, v3, vcc dst_sel:DWORD dst_unused:UNUSED_PAD src0_sel:DWORD src1_sel:WORD_1
	s_mov_b64 s[0:1], 0
	s_branch .LBB166_91
.LBB166_86:
                                        ; implicit-def: $vgpr3
	s_branch .LBB166_97
.LBB166_87:
	s_or_saveexec_b64 s[18:19], s[18:19]
	v_mov_b32_e32 v4, 0x7f800001
	s_xor_b64 exec, exec, s[18:19]
	s_cbranch_execz .LBB166_71
.LBB166_88:
	v_cmp_ne_u16_e32 vcc, 0, v3
	s_andn2_b64 s[0:1], s[0:1], exec
	s_and_b64 s[20:21], vcc, exec
	v_mov_b32_e32 v4, 0
	s_or_b64 s[0:1], s[0:1], s[20:21]
	s_or_b64 exec, exec, s[18:19]
	s_and_saveexec_b64 s[18:19], s[0:1]
	s_cbranch_execnz .LBB166_72
	s_branch .LBB166_73
.LBB166_89:
	s_mov_b64 s[0:1], -1
                                        ; implicit-def: $vgpr3
	s_branch .LBB166_94
.LBB166_90:
	s_mov_b64 s[0:1], -1
                                        ; implicit-def: $vgpr3
.LBB166_91:
	s_and_b64 vcc, exec, s[0:1]
	s_cbranch_vccz .LBB166_93
; %bb.92:
	global_load_ubyte v3, v[0:1], off
	s_mov_b32 s0, 0x7f800000
	s_brev_b32 s1, 1
	s_movk_i32 s18, 0x7fff
	s_waitcnt vmcnt(0)
	v_lshlrev_b32_e32 v3, 24, v3
	v_and_b32_e32 v4, 0x7f000000, v3
	v_ffbh_u32_e32 v5, v4
	v_min_u32_e32 v5, 32, v5
	v_sub_u32_e64 v5, v5, 4 clamp
	v_lshlrev_b32_e32 v7, v5, v4
	v_lshlrev_b32_e32 v5, 23, v5
	v_lshrrev_b32_e32 v7, 4, v7
	v_add_u32_e32 v6, 0x1000000, v4
	v_sub_u32_e32 v5, v7, v5
	v_ashrrev_i32_e32 v6, 8, v6
	v_add_u32_e32 v5, 0x3c000000, v5
	v_and_or_b32 v5, v6, s0, v5
	v_cmp_ne_u32_e32 vcc, 0, v4
	v_cndmask_b32_e32 v4, 0, v5, vcc
	v_and_or_b32 v3, v3, s1, v4
	v_bfe_u32 v4, v4, 16, 1
	v_add3_u32 v4, v3, v4, s18
	v_cmp_o_f32_e32 vcc, v3, v3
	v_mov_b32_e32 v3, 0x7fc0
	v_cndmask_b32_sdwa v3, v3, v4, vcc dst_sel:DWORD dst_unused:UNUSED_PAD src0_sel:DWORD src1_sel:WORD_1
.LBB166_93:
	s_mov_b64 s[0:1], 0
.LBB166_94:
	s_andn2_b64 vcc, exec, s[0:1]
	s_cbranch_vccnz .LBB166_96
; %bb.95:
	global_load_ubyte v3, v[0:1], off
	s_movk_i32 s0, 0x7f00
	s_brev_b32 s1, 16
	s_brev_b32 s18, 1
	s_movk_i32 s19, 0x7fff
	s_waitcnt vmcnt(0)
	v_lshlrev_b16_e32 v4, 8, v3
	v_lshlrev_b32_e32 v3, 25, v3
	v_lshrrev_b32_e32 v5, 4, v3
	v_and_or_b32 v6, v4, s0, 0.5
	v_or_b32_e32 v5, 0x70000000, v5
	v_add_f32_e32 v6, -0.5, v6
	v_mul_f32_e32 v5, 0x7800000, v5
	v_cmp_gt_u32_e32 vcc, s1, v3
	v_bfe_i32 v4, v4, 0, 16
	v_cndmask_b32_e32 v3, v5, v6, vcc
	v_and_or_b32 v4, v4, s18, v3
	v_bfe_u32 v3, v3, 16, 1
	v_add3_u32 v3, v4, v3, s19
	v_cmp_o_f32_e32 vcc, v4, v4
	v_mov_b32_e32 v4, 0x7fc0
	v_cndmask_b32_sdwa v3, v4, v3, vcc dst_sel:DWORD dst_unused:UNUSED_PAD src0_sel:DWORD src1_sel:WORD_1
.LBB166_96:
	s_mov_b64 s[0:1], -1
	s_cbranch_execnz .LBB166_109
.LBB166_97:
	s_cmp_gt_i32 s27, 14
	s_cbranch_scc0 .LBB166_100
; %bb.98:
	s_cmp_eq_u32 s27, 15
	s_cbranch_scc0 .LBB166_103
; %bb.99:
	global_load_ushort v3, v[0:1], off
	s_mov_b64 s[0:1], -1
	s_mov_b64 s[22:23], 0
	s_branch .LBB166_104
.LBB166_100:
	s_mov_b64 s[18:19], -1
                                        ; implicit-def: $vgpr3
	s_branch .LBB166_105
.LBB166_101:
	s_or_saveexec_b64 s[18:19], s[18:19]
	v_mov_b32_e32 v4, 0x7f800001
	s_xor_b64 exec, exec, s[18:19]
	s_cbranch_execz .LBB166_83
.LBB166_102:
	v_cmp_ne_u16_e32 vcc, 0, v3
	s_andn2_b64 s[0:1], s[0:1], exec
	s_and_b64 s[20:21], vcc, exec
	v_mov_b32_e32 v4, 0
	s_or_b64 s[0:1], s[0:1], s[20:21]
	s_or_b64 exec, exec, s[18:19]
	s_and_saveexec_b64 s[18:19], s[0:1]
	s_cbranch_execnz .LBB166_84
	s_branch .LBB166_85
.LBB166_103:
	s_mov_b64 s[22:23], -1
                                        ; implicit-def: $vgpr3
.LBB166_104:
	s_mov_b64 s[18:19], 0
.LBB166_105:
	s_and_b64 vcc, exec, s[18:19]
	s_cbranch_vccz .LBB166_109
; %bb.106:
	s_cmp_eq_u32 s27, 11
	s_cbranch_scc0 .LBB166_108
; %bb.107:
	global_load_ubyte v3, v[0:1], off
	s_mov_b64 s[0:1], -1
	s_mov_b64 s[22:23], 0
	v_mov_b32_e32 v4, 0
	s_waitcnt vmcnt(0)
	v_cmp_ne_u16_e32 vcc, 0, v3
	v_cndmask_b32_e64 v3, 0, 1.0, vcc
	v_lshrrev_b32_e32 v3, 16, v3
	s_branch .LBB166_110
.LBB166_108:
	s_mov_b64 s[22:23], -1
                                        ; implicit-def: $vgpr3
.LBB166_109:
	v_mov_b32_e32 v4, 0
.LBB166_110:
	s_branch .LBB166_10
.LBB166_111:
	s_and_b32 s18, 0xffff, s26
	s_cmp_lt_i32 s18, 5
	s_cbranch_scc1 .LBB166_116
; %bb.112:
	s_cmp_lt_i32 s18, 8
	s_cbranch_scc1 .LBB166_117
; %bb.113:
	;; [unrolled: 3-line block ×3, first 2 shown]
	s_cmp_gt_i32 s18, 9
	s_cbranch_scc0 .LBB166_119
; %bb.115:
	global_load_dwordx4 v[3:6], v[0:1], off
	s_movk_i32 s0, 0x7fff
	s_waitcnt vmcnt(0)
	v_cvt_f32_f64_e32 v3, v[3:4]
	v_cvt_f32_f64_e32 v4, v[5:6]
	v_mov_b32_e32 v5, 0x7fc0
	v_mov_b32_e32 v6, 0x7fc00000
	v_bfe_u32 v7, v3, 16, 1
	v_bfe_u32 v8, v4, 16, 1
	v_cmp_o_f32_e32 vcc, v3, v3
	v_add3_u32 v3, v3, v7, s0
	v_add3_u32 v7, v4, v8, s0
	v_cndmask_b32_sdwa v3, v5, v3, vcc dst_sel:DWORD dst_unused:UNUSED_PAD src0_sel:DWORD src1_sel:WORD_1
	v_and_b32_e32 v5, 0xffff0000, v7
	v_cmp_o_f32_e32 vcc, v4, v4
	v_cndmask_b32_e32 v4, v6, v5, vcc
	s_mov_b64 s[0:1], 0
	s_branch .LBB166_120
.LBB166_116:
                                        ; implicit-def: $vgpr4
                                        ; implicit-def: $vgpr3
	s_branch .LBB166_139
.LBB166_117:
	s_mov_b64 s[0:1], -1
                                        ; implicit-def: $vgpr4
                                        ; implicit-def: $vgpr3
	s_branch .LBB166_126
.LBB166_118:
	s_mov_b64 s[0:1], -1
                                        ; implicit-def: $vgpr4
                                        ; implicit-def: $vgpr3
	s_branch .LBB166_123
.LBB166_119:
	s_mov_b64 s[0:1], -1
                                        ; implicit-def: $vgpr4
                                        ; implicit-def: $vgpr3
.LBB166_120:
	s_andn2_b64 vcc, exec, s[0:1]
	s_cbranch_vccnz .LBB166_122
; %bb.121:
	global_load_dwordx2 v[3:4], v[0:1], off
	s_movk_i32 s0, 0x7fff
	v_mov_b32_e32 v5, 0x7fc0
	v_mov_b32_e32 v6, 0x7fc00000
	s_waitcnt vmcnt(0)
	v_bfe_u32 v7, v3, 16, 1
	v_bfe_u32 v8, v4, 16, 1
	v_cmp_o_f32_e32 vcc, v3, v3
	v_add3_u32 v3, v3, v7, s0
	v_add3_u32 v7, v4, v8, s0
	v_cndmask_b32_sdwa v3, v5, v3, vcc dst_sel:DWORD dst_unused:UNUSED_PAD src0_sel:DWORD src1_sel:WORD_1
	v_and_b32_e32 v5, 0xffff0000, v7
	v_cmp_o_f32_e32 vcc, v4, v4
	v_cndmask_b32_e32 v4, v6, v5, vcc
.LBB166_122:
	s_mov_b64 s[0:1], 0
.LBB166_123:
	s_andn2_b64 vcc, exec, s[0:1]
	s_cbranch_vccnz .LBB166_125
; %bb.124:
	global_load_dword v4, v[0:1], off
	s_movk_i32 s0, 0x7fff
	s_waitcnt vmcnt(1)
	v_mov_b32_e32 v3, 0x7fc0
	v_mov_b32_e32 v7, 0x7fc00000
	s_waitcnt vmcnt(0)
	v_cvt_f32_f16_e32 v5, v4
	v_cvt_f32_f16_sdwa v6, v4 dst_sel:DWORD dst_unused:UNUSED_PAD src0_sel:WORD_1
	v_cmp_o_f16_e32 vcc, v4, v4
	v_bfe_u32 v8, v5, 16, 1
	v_bfe_u32 v9, v6, 16, 1
	v_add3_u32 v5, v5, v8, s0
	v_add3_u32 v6, v6, v9, s0
	v_cndmask_b32_sdwa v3, v3, v5, vcc dst_sel:DWORD dst_unused:UNUSED_PAD src0_sel:DWORD src1_sel:WORD_1
	v_and_b32_e32 v5, 0xffff0000, v6
	v_cmp_o_f16_sdwa vcc, v4, v4 src0_sel:WORD_1 src1_sel:WORD_1
	v_cndmask_b32_e32 v4, v7, v5, vcc
.LBB166_125:
	s_mov_b64 s[0:1], 0
.LBB166_126:
	s_andn2_b64 vcc, exec, s[0:1]
	s_cbranch_vccnz .LBB166_138
; %bb.127:
	s_cmp_lt_i32 s18, 6
	s_cbranch_scc1 .LBB166_130
; %bb.128:
	s_cmp_gt_i32 s18, 6
	s_cbranch_scc0 .LBB166_131
; %bb.129:
	global_load_dwordx2 v[3:4], v[0:1], off
	s_movk_i32 s0, 0x7fff
	s_waitcnt vmcnt(0)
	v_cvt_f32_f64_e32 v3, v[3:4]
	v_mov_b32_e32 v4, 0x7fc0
	v_bfe_u32 v5, v3, 16, 1
	v_cmp_o_f32_e32 vcc, v3, v3
	v_add3_u32 v3, v3, v5, s0
	v_cndmask_b32_sdwa v3, v4, v3, vcc dst_sel:DWORD dst_unused:UNUSED_PAD src0_sel:DWORD src1_sel:WORD_1
	s_mov_b64 s[0:1], 0
	s_branch .LBB166_132
.LBB166_130:
	s_mov_b64 s[0:1], -1
                                        ; implicit-def: $vgpr3
	s_branch .LBB166_135
.LBB166_131:
	s_mov_b64 s[0:1], -1
                                        ; implicit-def: $vgpr3
.LBB166_132:
	s_andn2_b64 vcc, exec, s[0:1]
	s_cbranch_vccnz .LBB166_134
; %bb.133:
	global_load_dword v3, v[0:1], off
	s_movk_i32 s0, 0x7fff
	v_mov_b32_e32 v4, 0x7fc0
	s_waitcnt vmcnt(0)
	v_bfe_u32 v5, v3, 16, 1
	v_cmp_o_f32_e32 vcc, v3, v3
	v_add3_u32 v3, v3, v5, s0
	v_cndmask_b32_sdwa v3, v4, v3, vcc dst_sel:DWORD dst_unused:UNUSED_PAD src0_sel:DWORD src1_sel:WORD_1
.LBB166_134:
	s_mov_b64 s[0:1], 0
.LBB166_135:
	s_andn2_b64 vcc, exec, s[0:1]
	s_cbranch_vccnz .LBB166_137
; %bb.136:
	global_load_ushort v3, v[0:1], off
	s_movk_i32 s0, 0x7fff
	v_mov_b32_e32 v5, 0x7fc0
	s_waitcnt vmcnt(0)
	v_cvt_f32_f16_e32 v4, v3
	v_cmp_o_f16_e32 vcc, v3, v3
	v_bfe_u32 v3, v4, 16, 1
	v_add3_u32 v3, v4, v3, s0
	v_cndmask_b32_sdwa v3, v5, v3, vcc dst_sel:DWORD dst_unused:UNUSED_PAD src0_sel:DWORD src1_sel:WORD_1
.LBB166_137:
	v_mov_b32_e32 v4, 0
.LBB166_138:
	s_cbranch_execnz .LBB166_159
.LBB166_139:
	s_cmp_lt_i32 s18, 2
	s_cbranch_scc1 .LBB166_143
; %bb.140:
	s_cmp_lt_i32 s18, 3
	s_cbranch_scc1 .LBB166_144
; %bb.141:
	s_cmp_gt_i32 s18, 3
	s_cbranch_scc0 .LBB166_145
; %bb.142:
	global_load_dwordx2 v[3:4], v[0:1], off
	s_movk_i32 s0, 0x7fff
	s_waitcnt vmcnt(0)
	v_xor_b32_e32 v6, v3, v4
	v_ffbh_i32_e32 v5, v4
	v_ashrrev_i32_e32 v6, 31, v6
	v_add_u32_e32 v5, -1, v5
	v_add_u32_e32 v6, 32, v6
	v_min_u32_e32 v5, v5, v6
	v_lshlrev_b64 v[3:4], v5, v[3:4]
	v_min_u32_e32 v3, 1, v3
	v_or_b32_e32 v3, v4, v3
	v_cvt_f32_i32_e32 v3, v3
	v_sub_u32_e32 v4, 32, v5
	v_ldexp_f32 v3, v3, v4
	v_bfe_u32 v4, v3, 16, 1
	v_add3_u32 v3, v3, v4, s0
	v_lshrrev_b32_e32 v3, 16, v3
	s_mov_b64 s[0:1], 0
	s_branch .LBB166_146
.LBB166_143:
	s_mov_b64 s[0:1], -1
                                        ; implicit-def: $vgpr3
	s_branch .LBB166_152
.LBB166_144:
	s_mov_b64 s[0:1], -1
                                        ; implicit-def: $vgpr3
	s_branch .LBB166_149
.LBB166_145:
	s_mov_b64 s[0:1], -1
                                        ; implicit-def: $vgpr3
.LBB166_146:
	s_andn2_b64 vcc, exec, s[0:1]
	s_cbranch_vccnz .LBB166_148
; %bb.147:
	global_load_dword v3, v[0:1], off
	s_movk_i32 s0, 0x7fff
	s_waitcnt vmcnt(0)
	v_cvt_f32_i32_e32 v3, v3
	v_bfe_u32 v4, v3, 16, 1
	v_add3_u32 v3, v3, v4, s0
	v_lshrrev_b32_e32 v3, 16, v3
.LBB166_148:
	s_mov_b64 s[0:1], 0
.LBB166_149:
	s_andn2_b64 vcc, exec, s[0:1]
	s_cbranch_vccnz .LBB166_151
; %bb.150:
	global_load_sshort v3, v[0:1], off
	s_movk_i32 s0, 0x7fff
	s_waitcnt vmcnt(0)
	v_cvt_f32_i32_e32 v3, v3
	v_bfe_u32 v4, v3, 16, 1
	v_add3_u32 v3, v3, v4, s0
	v_lshrrev_b32_e32 v3, 16, v3
.LBB166_151:
	s_mov_b64 s[0:1], 0
.LBB166_152:
	s_andn2_b64 vcc, exec, s[0:1]
	s_cbranch_vccnz .LBB166_158
; %bb.153:
	s_cmp_gt_i32 s18, 0
	s_cbranch_scc0 .LBB166_155
; %bb.154:
	global_load_sbyte v3, v[0:1], off
	s_movk_i32 s0, 0x7fff
	s_waitcnt vmcnt(0)
	v_cvt_f32_i32_e32 v3, v3
	v_bfe_u32 v4, v3, 16, 1
	v_add3_u32 v3, v3, v4, s0
	v_lshrrev_b32_e32 v3, 16, v3
	s_mov_b64 s[0:1], 0
	s_branch .LBB166_156
.LBB166_155:
	s_mov_b64 s[0:1], -1
                                        ; implicit-def: $vgpr3
.LBB166_156:
	s_andn2_b64 vcc, exec, s[0:1]
	s_cbranch_vccnz .LBB166_158
; %bb.157:
	global_load_ubyte v0, v[0:1], off
	s_movk_i32 s0, 0x7fff
	s_waitcnt vmcnt(0)
	v_cvt_f32_ubyte0_e32 v0, v0
	v_bfe_u32 v1, v0, 16, 1
	v_add3_u32 v0, v0, v1, s0
	v_lshrrev_b32_e32 v3, 16, v0
.LBB166_158:
	v_mov_b32_e32 v4, 0
.LBB166_159:
	s_branch .LBB166_11
.LBB166_160:
	s_mov_b64 s[0:1], 0
	s_mov_b64 s[20:21], 0
	s_branch .LBB166_394
.LBB166_161:
	s_mov_b64 s[20:21], -1
.LBB166_162:
	s_mov_b64 s[0:1], 0
                                        ; implicit-def: $vgpr6
                                        ; implicit-def: $vgpr5
.LBB166_163:
	s_and_b64 vcc, exec, s[18:19]
	s_cbranch_vccz .LBB166_280
; %bb.164:
	s_cmp_eq_u32 s31, 44
	s_cbranch_scc0 .LBB166_278
; %bb.165:
	global_load_ubyte v5, v[0:1], off
	s_movk_i32 s18, 0xff
	v_mov_b32_e32 v6, 0x7f800001
	v_mov_b32_e32 v7, 0x400000
	;; [unrolled: 1-line block ×3, first 2 shown]
	s_mov_b64 s[0:1], -1
	s_mov_b64 s[20:21], 0
	s_waitcnt vmcnt(0)
	v_lshlrev_b32_e32 v9, 23, v5
	v_cmp_ne_u32_e32 vcc, s18, v5
	v_cndmask_b32_e32 v6, v6, v9, vcc
	v_cmp_ne_u32_e32 vcc, 0, v5
	v_cndmask_b32_e32 v5, v7, v6, vcc
	v_add_u32_e32 v6, 0x7fff, v5
	v_cmp_o_f32_e32 vcc, v5, v5
	v_cndmask_b32_sdwa v5, v8, v6, vcc dst_sel:DWORD dst_unused:UNUSED_PAD src0_sel:DWORD src1_sel:WORD_1
	s_branch .LBB166_279
.LBB166_166:
	s_mov_b64 s[30:31], -1
	s_mov_b64 s[0:1], 0
	s_mov_b64 s[26:27], 0
.LBB166_167:
	s_and_b64 vcc, exec, s[30:31]
	s_cbranch_vccz .LBB166_172
; %bb.168:
	s_cmp_eq_u32 s37, 44
	s_mov_b64 s[0:1], -1
	s_cbranch_scc0 .LBB166_172
; %bb.169:
	v_cndmask_b32_e64 v4, 0, 1.0, s[18:19]
	v_lshrrev_b32_e32 v3, 23, v4
	s_movk_i32 s0, 0xff
	v_cmp_ne_u32_e32 vcc, s0, v3
	v_mov_b32_e32 v5, 0xff
	s_and_saveexec_b64 s[26:27], vcc
; %bb.170:
	s_mov_b32 s0, 0x3fffff
	v_and_b32_e32 v5, 0x400000, v4
	v_and_or_b32 v4, v4, s0, v3
	v_cmp_ne_u32_e32 vcc, 0, v5
	v_cmp_ne_u32_e64 s[0:1], 0, v4
	s_and_b64 s[0:1], vcc, s[0:1]
	v_cndmask_b32_e64 v4, 0, 1, s[0:1]
	v_add_u32_e32 v5, v3, v4
; %bb.171:
	s_or_b64 exec, exec, s[26:27]
	s_mov_b64 s[26:27], -1
	s_mov_b64 s[0:1], 0
	global_store_byte v[0:1], v5, off
.LBB166_172:
	s_mov_b64 s[30:31], 0
.LBB166_173:
	s_and_b64 vcc, exec, s[30:31]
	s_cbranch_vccz .LBB166_176
; %bb.174:
	s_cmp_eq_u32 s37, 29
	s_mov_b64 s[0:1], -1
	s_cbranch_scc0 .LBB166_176
; %bb.175:
	s_mov_b32 s0, 0
	v_cndmask_b32_e64 v3, 0, 1, s[18:19]
	v_mov_b32_e32 v4, s0
	global_store_dwordx2 v[0:1], v[3:4], off
	s_mov_b64 s[26:27], -1
	s_mov_b64 s[0:1], 0
.LBB166_176:
	s_mov_b64 s[30:31], 0
.LBB166_177:
	s_and_b64 vcc, exec, s[30:31]
	s_cbranch_vccz .LBB166_193
; %bb.178:
	s_cmp_lt_i32 s37, 27
	s_mov_b64 s[26:27], -1
	s_cbranch_scc1 .LBB166_184
; %bb.179:
	s_cmp_gt_i32 s37, 27
	s_cbranch_scc0 .LBB166_181
; %bb.180:
	v_cndmask_b32_e64 v3, 0, 1, s[18:19]
	s_mov_b64 s[26:27], 0
	global_store_dword v[0:1], v3, off
.LBB166_181:
	s_andn2_b64 vcc, exec, s[26:27]
	s_cbranch_vccnz .LBB166_183
; %bb.182:
	v_cndmask_b32_e64 v3, 0, 1, s[18:19]
	global_store_short v[0:1], v3, off
.LBB166_183:
	s_mov_b64 s[26:27], 0
.LBB166_184:
	s_andn2_b64 vcc, exec, s[26:27]
	s_cbranch_vccnz .LBB166_192
; %bb.185:
	v_cndmask_b32_e64 v4, 0, 1.0, s[18:19]
	s_mov_b32 s26, 0x43800000
	v_cmp_gt_u32_e32 vcc, s26, v4
	v_mov_b32_e32 v5, 0x80
	s_and_saveexec_b64 s[26:27], vcc
	s_cbranch_execz .LBB166_191
; %bb.186:
	s_mov_b32 s30, 0x3bffffff
	v_cmp_lt_u32_e32 vcc, s30, v4
	s_mov_b64 s[30:31], 0
                                        ; implicit-def: $vgpr3
	s_and_saveexec_b64 s[34:35], vcc
	s_xor_b64 s[34:35], exec, s[34:35]
	s_cbranch_execz .LBB166_425
; %bb.187:
	v_bfe_u32 v3, v4, 20, 1
	s_mov_b32 s38, 0x487ffff
	v_add3_u32 v3, v4, v3, s38
	s_mov_b64 s[30:31], exec
	v_lshrrev_b32_e32 v3, 20, v3
                                        ; implicit-def: $vgpr4
	s_andn2_saveexec_b64 s[34:35], s[34:35]
	s_cbranch_execnz .LBB166_426
.LBB166_188:
	s_or_b64 exec, exec, s[34:35]
	v_mov_b32_e32 v5, 0
	s_and_saveexec_b64 s[34:35], s[30:31]
.LBB166_189:
	v_mov_b32_e32 v5, v3
.LBB166_190:
	s_or_b64 exec, exec, s[34:35]
.LBB166_191:
	s_or_b64 exec, exec, s[26:27]
	global_store_byte v[0:1], v5, off
.LBB166_192:
	s_mov_b64 s[26:27], -1
.LBB166_193:
	s_mov_b64 s[30:31], 0
.LBB166_194:
	s_and_b64 vcc, exec, s[30:31]
	s_cbranch_vccz .LBB166_235
; %bb.195:
	s_cmp_gt_i32 s37, 22
	s_mov_b64 s[30:31], -1
	s_cbranch_scc0 .LBB166_227
; %bb.196:
	s_cmp_lt_i32 s37, 24
	s_mov_b64 s[26:27], -1
	s_cbranch_scc1 .LBB166_216
; %bb.197:
	s_cmp_gt_i32 s37, 24
	s_cbranch_scc0 .LBB166_205
; %bb.198:
	v_cndmask_b32_e64 v4, 0, 1.0, s[18:19]
	s_mov_b32 s26, 0x47800000
	v_cmp_gt_u32_e32 vcc, s26, v4
	v_mov_b32_e32 v5, 0x80
	s_and_saveexec_b64 s[26:27], vcc
	s_cbranch_execz .LBB166_204
; %bb.199:
	s_mov_b32 s30, 0x37ffffff
	v_cmp_lt_u32_e32 vcc, s30, v4
	s_mov_b64 s[30:31], 0
                                        ; implicit-def: $vgpr3
	s_and_saveexec_b64 s[34:35], vcc
	s_xor_b64 s[34:35], exec, s[34:35]
	s_cbranch_execz .LBB166_549
; %bb.200:
	v_bfe_u32 v3, v4, 21, 1
	s_mov_b32 s38, 0x88fffff
	v_add3_u32 v3, v4, v3, s38
	s_mov_b64 s[30:31], exec
	v_lshrrev_b32_e32 v3, 21, v3
                                        ; implicit-def: $vgpr4
	s_andn2_saveexec_b64 s[34:35], s[34:35]
	s_cbranch_execnz .LBB166_550
.LBB166_201:
	s_or_b64 exec, exec, s[34:35]
	v_mov_b32_e32 v5, 0
	s_and_saveexec_b64 s[34:35], s[30:31]
.LBB166_202:
	v_mov_b32_e32 v5, v3
.LBB166_203:
	s_or_b64 exec, exec, s[34:35]
.LBB166_204:
	s_or_b64 exec, exec, s[26:27]
	s_mov_b64 s[26:27], 0
	global_store_byte v[0:1], v5, off
.LBB166_205:
	s_and_b64 vcc, exec, s[26:27]
	s_cbranch_vccz .LBB166_215
; %bb.206:
	v_cndmask_b32_e64 v3, 0, 1.0, s[18:19]
	s_mov_b32 s26, 0x43f00000
	v_cmp_gt_u32_e32 vcc, s26, v3
                                        ; implicit-def: $vgpr4
	s_and_saveexec_b64 s[26:27], vcc
	s_xor_b64 s[26:27], exec, s[26:27]
	s_cbranch_execz .LBB166_212
; %bb.207:
	s_mov_b32 s30, 0x3c7fffff
	v_cmp_lt_u32_e32 vcc, s30, v3
                                        ; implicit-def: $vgpr4
	s_and_saveexec_b64 s[30:31], vcc
	s_xor_b64 s[30:31], exec, s[30:31]
; %bb.208:
	v_bfe_u32 v4, v3, 20, 1
	s_mov_b32 s34, 0x407ffff
	v_add3_u32 v3, v3, v4, s34
	v_lshrrev_b32_e32 v4, 20, v3
	v_and_b32_e32 v3, 0xff00000, v3
	s_mov_b32 s34, 0x7f00000
	v_mov_b32_e32 v5, 0x7e
	v_cmp_ne_u32_e32 vcc, s34, v3
	v_cndmask_b32_e32 v4, v5, v4, vcc
                                        ; implicit-def: $vgpr3
; %bb.209:
	s_andn2_saveexec_b64 s[30:31], s[30:31]
; %bb.210:
	v_add_f32_e32 v4, 0x46800000, v3
; %bb.211:
	s_or_b64 exec, exec, s[30:31]
                                        ; implicit-def: $vgpr3
.LBB166_212:
	s_andn2_saveexec_b64 s[26:27], s[26:27]
; %bb.213:
	s_mov_b32 s30, 0x7f800000
	v_mov_b32_e32 v4, 0x7e
	v_mov_b32_e32 v5, 0x7f
	v_cmp_lt_u32_e32 vcc, s30, v3
	v_cndmask_b32_e32 v4, v4, v5, vcc
; %bb.214:
	s_or_b64 exec, exec, s[26:27]
	global_store_byte v[0:1], v4, off
.LBB166_215:
	s_mov_b64 s[26:27], 0
.LBB166_216:
	s_andn2_b64 vcc, exec, s[26:27]
	s_cbranch_vccnz .LBB166_226
; %bb.217:
	v_cndmask_b32_e64 v3, 0, 1.0, s[18:19]
	s_mov_b32 s26, 0x47800000
	v_cmp_gt_u32_e32 vcc, s26, v3
                                        ; implicit-def: $vgpr4
	s_and_saveexec_b64 s[26:27], vcc
	s_xor_b64 s[26:27], exec, s[26:27]
	s_cbranch_execz .LBB166_223
; %bb.218:
	s_mov_b32 s30, 0x387fffff
	v_cmp_lt_u32_e32 vcc, s30, v3
                                        ; implicit-def: $vgpr4
	s_and_saveexec_b64 s[30:31], vcc
	s_xor_b64 s[30:31], exec, s[30:31]
; %bb.219:
	v_bfe_u32 v4, v3, 21, 1
	s_mov_b32 s34, 0x80fffff
	v_add3_u32 v3, v3, v4, s34
	v_lshrrev_b32_e32 v4, 21, v3
                                        ; implicit-def: $vgpr3
; %bb.220:
	s_andn2_saveexec_b64 s[30:31], s[30:31]
; %bb.221:
	v_add_f32_e32 v4, 0x43000000, v3
; %bb.222:
	s_or_b64 exec, exec, s[30:31]
                                        ; implicit-def: $vgpr3
.LBB166_223:
	s_andn2_saveexec_b64 s[26:27], s[26:27]
; %bb.224:
	s_mov_b32 s30, 0x7f800000
	v_mov_b32_e32 v4, 0x7c
	v_mov_b32_e32 v5, 0x7f
	v_cmp_lt_u32_e32 vcc, s30, v3
	v_cndmask_b32_e32 v4, v4, v5, vcc
; %bb.225:
	s_or_b64 exec, exec, s[26:27]
	global_store_byte v[0:1], v4, off
.LBB166_226:
	s_mov_b64 s[30:31], 0
	s_mov_b64 s[26:27], -1
.LBB166_227:
	s_andn2_b64 vcc, exec, s[30:31]
	s_cbranch_vccnz .LBB166_235
; %bb.228:
	s_cmp_gt_i32 s37, 14
	s_mov_b64 s[30:31], -1
	s_cbranch_scc0 .LBB166_232
; %bb.229:
	s_cmp_eq_u32 s37, 15
	s_mov_b64 s[0:1], -1
	s_cbranch_scc0 .LBB166_231
; %bb.230:
	v_cndmask_b32_e64 v3, 0, 1.0, s[18:19]
	v_bfe_u32 v4, v3, 16, 1
	s_movk_i32 s0, 0x7fff
	v_add3_u32 v3, v3, v4, s0
	global_store_short_d16_hi v[0:1], v3, off
	s_mov_b64 s[26:27], -1
	s_mov_b64 s[0:1], 0
.LBB166_231:
	s_mov_b64 s[30:31], 0
.LBB166_232:
	s_and_b64 vcc, exec, s[30:31]
	s_cbranch_vccz .LBB166_235
; %bb.233:
	s_cmp_eq_u32 s37, 11
	s_mov_b64 s[0:1], -1
	s_cbranch_scc0 .LBB166_235
; %bb.234:
	v_cndmask_b32_e64 v3, 0, 1, s[18:19]
	s_mov_b64 s[26:27], -1
	s_mov_b64 s[0:1], 0
	global_store_byte v[0:1], v3, off
.LBB166_235:
	s_mov_b64 s[30:31], 0
.LBB166_236:
	s_and_b64 vcc, exec, s[30:31]
	s_cbranch_vccz .LBB166_275
; %bb.237:
	s_and_b32 s30, 0xffff, s36
	s_cmp_lt_i32 s30, 5
	s_mov_b64 s[26:27], -1
	s_cbranch_scc1 .LBB166_258
; %bb.238:
	s_cmp_lt_i32 s30, 8
	s_cbranch_scc1 .LBB166_248
; %bb.239:
	s_cmp_lt_i32 s30, 9
	s_cbranch_scc1 .LBB166_245
; %bb.240:
	s_cmp_gt_i32 s30, 9
	s_cbranch_scc0 .LBB166_242
; %bb.241:
	v_cndmask_b32_e64 v3, 0, 1, s[18:19]
	v_cvt_f64_u32_e32 v[3:4], v3
	v_mov_b32_e32 v5, 0
	v_mov_b32_e32 v6, v5
	s_mov_b64 s[26:27], 0
	global_store_dwordx4 v[0:1], v[3:6], off
.LBB166_242:
	s_andn2_b64 vcc, exec, s[26:27]
	s_cbranch_vccnz .LBB166_244
; %bb.243:
	v_cndmask_b32_e64 v3, 0, 1.0, s[18:19]
	v_mov_b32_e32 v4, 0
	global_store_dwordx2 v[0:1], v[3:4], off
.LBB166_244:
	s_mov_b64 s[26:27], 0
.LBB166_245:
	s_andn2_b64 vcc, exec, s[26:27]
	s_cbranch_vccnz .LBB166_247
; %bb.246:
	v_cndmask_b32_e64 v3, 0, 1.0, s[18:19]
	v_cvt_f16_f32_e32 v3, v3
	global_store_dword v[0:1], v3, off
.LBB166_247:
	s_mov_b64 s[26:27], 0
.LBB166_248:
	s_andn2_b64 vcc, exec, s[26:27]
	s_cbranch_vccnz .LBB166_257
; %bb.249:
	s_cmp_lt_i32 s30, 6
	s_mov_b64 s[26:27], -1
	s_cbranch_scc1 .LBB166_255
; %bb.250:
	s_cmp_gt_i32 s30, 6
	s_cbranch_scc0 .LBB166_252
; %bb.251:
	v_cndmask_b32_e64 v3, 0, 1, s[18:19]
	v_cvt_f64_u32_e32 v[3:4], v3
	s_mov_b64 s[26:27], 0
	global_store_dwordx2 v[0:1], v[3:4], off
.LBB166_252:
	s_andn2_b64 vcc, exec, s[26:27]
	s_cbranch_vccnz .LBB166_254
; %bb.253:
	v_cndmask_b32_e64 v3, 0, 1.0, s[18:19]
	global_store_dword v[0:1], v3, off
.LBB166_254:
	s_mov_b64 s[26:27], 0
.LBB166_255:
	s_andn2_b64 vcc, exec, s[26:27]
	s_cbranch_vccnz .LBB166_257
; %bb.256:
	v_cndmask_b32_e64 v3, 0, 1.0, s[18:19]
	v_cvt_f16_f32_e32 v3, v3
	global_store_short v[0:1], v3, off
.LBB166_257:
	s_mov_b64 s[26:27], 0
.LBB166_258:
	s_andn2_b64 vcc, exec, s[26:27]
	s_cbranch_vccnz .LBB166_274
; %bb.259:
	s_cmp_lt_i32 s30, 2
	s_mov_b64 s[26:27], -1
	s_cbranch_scc1 .LBB166_269
; %bb.260:
	s_cmp_lt_i32 s30, 3
	s_cbranch_scc1 .LBB166_266
; %bb.261:
	s_cmp_gt_i32 s30, 3
	s_cbranch_scc0 .LBB166_263
; %bb.262:
	s_mov_b32 s26, 0
	v_cndmask_b32_e64 v3, 0, 1, s[18:19]
	v_mov_b32_e32 v4, s26
	global_store_dwordx2 v[0:1], v[3:4], off
	s_mov_b64 s[26:27], 0
.LBB166_263:
	s_andn2_b64 vcc, exec, s[26:27]
	s_cbranch_vccnz .LBB166_265
; %bb.264:
	v_cndmask_b32_e64 v3, 0, 1, s[18:19]
	global_store_dword v[0:1], v3, off
.LBB166_265:
	s_mov_b64 s[26:27], 0
.LBB166_266:
	s_andn2_b64 vcc, exec, s[26:27]
	s_cbranch_vccnz .LBB166_268
; %bb.267:
	v_cndmask_b32_e64 v3, 0, 1, s[18:19]
	global_store_short v[0:1], v3, off
.LBB166_268:
	s_mov_b64 s[26:27], 0
.LBB166_269:
	s_andn2_b64 vcc, exec, s[26:27]
	s_cbranch_vccnz .LBB166_274
; %bb.270:
	s_mov_b64 s[26:27], -1
	s_cmp_gt_i32 s30, 0
	v_cndmask_b32_e64 v3, 0, 1, s[18:19]
	s_cbranch_scc0 .LBB166_272
; %bb.271:
	global_store_byte v[0:1], v3, off
	s_mov_b64 s[26:27], 0
.LBB166_272:
	s_andn2_b64 vcc, exec, s[26:27]
	s_cbranch_vccnz .LBB166_274
; %bb.273:
	global_store_byte v[0:1], v3, off
.LBB166_274:
	s_mov_b64 s[26:27], -1
.LBB166_275:
	s_andn2_b64 vcc, exec, s[26:27]
	s_cbranch_vccnz .LBB166_277
; %bb.276:
	v_add_u32_e32 v2, 0x80, v2
	s_mov_b64 s[26:27], -1
	s_branch .LBB166_395
.LBB166_277:
	s_mov_b64 s[26:27], 0
                                        ; implicit-def: $vgpr2
	s_branch .LBB166_395
.LBB166_278:
	s_mov_b64 s[20:21], -1
                                        ; implicit-def: $vgpr5
.LBB166_279:
	v_mov_b32_e32 v6, 0
.LBB166_280:
	s_mov_b64 s[18:19], 0
.LBB166_281:
	s_and_b64 vcc, exec, s[18:19]
	s_cbranch_vccz .LBB166_286
; %bb.282:
	s_cmp_eq_u32 s31, 29
	s_cbranch_scc0 .LBB166_284
; %bb.283:
	global_load_dwordx2 v[5:6], v[0:1], off
	s_movk_i32 s18, 0x7fff
	s_mov_b64 s[0:1], -1
	s_mov_b64 s[20:21], 0
	s_waitcnt vmcnt(0)
	v_ffbh_u32_e32 v7, v6
	v_min_u32_e32 v7, 32, v7
	v_lshlrev_b64 v[5:6], v7, v[5:6]
	v_min_u32_e32 v5, 1, v5
	v_or_b32_e32 v5, v6, v5
	v_cvt_f32_u32_e32 v5, v5
	v_sub_u32_e32 v6, 32, v7
	v_ldexp_f32 v5, v5, v6
	v_bfe_u32 v6, v5, 16, 1
	v_add3_u32 v5, v5, v6, s18
	v_lshrrev_b32_e32 v5, 16, v5
	s_branch .LBB166_285
.LBB166_284:
	s_mov_b64 s[20:21], -1
                                        ; implicit-def: $vgpr5
.LBB166_285:
	v_mov_b32_e32 v6, 0
.LBB166_286:
	s_mov_b64 s[18:19], 0
.LBB166_287:
	s_and_b64 vcc, exec, s[18:19]
	s_cbranch_vccz .LBB166_305
; %bb.288:
	s_cmp_lt_i32 s31, 27
	s_cbranch_scc1 .LBB166_291
; %bb.289:
	s_cmp_gt_i32 s31, 27
	s_cbranch_scc0 .LBB166_292
; %bb.290:
	global_load_dword v5, v[0:1], off
	s_movk_i32 s0, 0x7fff
	s_waitcnt vmcnt(0)
	v_cvt_f32_u32_e32 v5, v5
	v_bfe_u32 v6, v5, 16, 1
	v_add3_u32 v5, v5, v6, s0
	v_lshrrev_b32_e32 v5, 16, v5
	s_mov_b64 s[0:1], 0
	s_branch .LBB166_293
.LBB166_291:
	s_mov_b64 s[0:1], -1
                                        ; implicit-def: $vgpr5
	s_branch .LBB166_296
.LBB166_292:
	s_mov_b64 s[0:1], -1
                                        ; implicit-def: $vgpr5
.LBB166_293:
	s_andn2_b64 vcc, exec, s[0:1]
	s_cbranch_vccnz .LBB166_295
; %bb.294:
	global_load_ushort v5, v[0:1], off
	s_movk_i32 s0, 0x7fff
	s_waitcnt vmcnt(0)
	v_cvt_f32_u32_e32 v5, v5
	v_bfe_u32 v6, v5, 16, 1
	v_add3_u32 v5, v5, v6, s0
	v_lshrrev_b32_e32 v5, 16, v5
.LBB166_295:
	s_mov_b64 s[0:1], 0
.LBB166_296:
	s_andn2_b64 vcc, exec, s[0:1]
	s_cbranch_vccnz .LBB166_304
; %bb.297:
	global_load_ubyte v5, v[0:1], off
	s_movk_i32 s0, 0x7f
	s_waitcnt vmcnt(0)
	v_cmp_lt_i16_e32 vcc, s0, v5
	s_mov_b64 s[0:1], 0
	s_and_saveexec_b64 s[18:19], vcc
	s_xor_b64 s[18:19], exec, s[18:19]
	s_cbranch_execz .LBB166_318
; %bb.298:
	s_movk_i32 s0, 0x80
	v_cmp_eq_u16_e32 vcc, s0, v5
	s_mov_b64 s[0:1], -1
	s_and_saveexec_b64 s[26:27], vcc
; %bb.299:
	s_xor_b64 s[0:1], exec, -1
; %bb.300:
	s_or_b64 exec, exec, s[26:27]
	s_and_b64 s[0:1], s[0:1], exec
	s_or_saveexec_b64 s[18:19], s[18:19]
	v_mov_b32_e32 v6, 0x7f800001
	s_xor_b64 exec, exec, s[18:19]
	s_cbranch_execnz .LBB166_319
.LBB166_301:
	s_or_b64 exec, exec, s[18:19]
	s_and_saveexec_b64 s[18:19], s[0:1]
	s_cbranch_execz .LBB166_303
.LBB166_302:
	v_lshlrev_b32_e32 v6, 24, v5
	v_and_b32_e32 v5, 0xffff, v5
	v_and_b32_e32 v7, 7, v5
	v_ffbh_u32_e32 v9, v7
	v_min_u32_e32 v9, 32, v9
	v_subrev_u32_e32 v10, 28, v9
	v_bfe_u32 v8, v5, 3, 4
	v_lshlrev_b32_e32 v5, v10, v5
	v_sub_u32_e32 v9, 29, v9
	v_and_b32_e32 v5, 7, v5
	v_cmp_eq_u32_e32 vcc, 0, v8
	v_cndmask_b32_e32 v8, v8, v9, vcc
	v_cndmask_b32_e32 v5, v7, v5, vcc
	v_mov_b32_e32 v7, 0x3b800000
	v_lshlrev_b32_e32 v5, 20, v5
	v_and_b32_e32 v6, 0x80000000, v6
	v_lshl_add_u32 v7, v8, 23, v7
	v_or3_b32 v6, v6, v7, v5
.LBB166_303:
	s_or_b64 exec, exec, s[18:19]
	v_bfe_u32 v5, v6, 16, 1
	s_movk_i32 s0, 0x7fff
	v_add3_u32 v5, v6, v5, s0
	v_cmp_o_f32_e32 vcc, v6, v6
	v_mov_b32_e32 v6, 0x7fc0
	v_cndmask_b32_sdwa v5, v6, v5, vcc dst_sel:DWORD dst_unused:UNUSED_PAD src0_sel:DWORD src1_sel:WORD_1
.LBB166_304:
	s_mov_b64 s[0:1], -1
	v_mov_b32_e32 v6, 0
.LBB166_305:
	s_mov_b64 s[18:19], 0
.LBB166_306:
	s_and_b64 vcc, exec, s[18:19]
	s_cbranch_vccz .LBB166_342
; %bb.307:
	s_cmp_gt_i32 s31, 22
	s_cbranch_scc0 .LBB166_317
; %bb.308:
	s_cmp_lt_i32 s31, 24
	s_cbranch_scc1 .LBB166_320
; %bb.309:
	s_cmp_gt_i32 s31, 24
	s_cbranch_scc0 .LBB166_321
; %bb.310:
	global_load_ubyte v5, v[0:1], off
	s_movk_i32 s0, 0x7f
	s_waitcnt vmcnt(0)
	v_cmp_lt_i16_e32 vcc, s0, v5
	s_mov_b64 s[0:1], 0
	s_and_saveexec_b64 s[18:19], vcc
	s_xor_b64 s[18:19], exec, s[18:19]
	s_cbranch_execz .LBB166_333
; %bb.311:
	s_movk_i32 s0, 0x80
	v_cmp_eq_u16_e32 vcc, s0, v5
	s_mov_b64 s[0:1], -1
	s_and_saveexec_b64 s[26:27], vcc
; %bb.312:
	s_xor_b64 s[0:1], exec, -1
; %bb.313:
	s_or_b64 exec, exec, s[26:27]
	s_and_b64 s[0:1], s[0:1], exec
	s_or_saveexec_b64 s[18:19], s[18:19]
	v_mov_b32_e32 v6, 0x7f800001
	s_xor_b64 exec, exec, s[18:19]
	s_cbranch_execnz .LBB166_334
.LBB166_314:
	s_or_b64 exec, exec, s[18:19]
	s_and_saveexec_b64 s[18:19], s[0:1]
	s_cbranch_execz .LBB166_316
.LBB166_315:
	v_lshlrev_b32_e32 v6, 24, v5
	v_and_b32_e32 v5, 0xffff, v5
	v_and_b32_e32 v7, 3, v5
	v_ffbh_u32_e32 v9, v7
	v_min_u32_e32 v9, 32, v9
	v_subrev_u32_e32 v10, 29, v9
	v_bfe_u32 v8, v5, 2, 5
	v_lshlrev_b32_e32 v5, v10, v5
	v_sub_u32_e32 v9, 30, v9
	v_and_b32_e32 v5, 3, v5
	v_cmp_eq_u32_e32 vcc, 0, v8
	v_cndmask_b32_e32 v8, v8, v9, vcc
	v_cndmask_b32_e32 v5, v7, v5, vcc
	v_mov_b32_e32 v7, 0x37800000
	v_lshlrev_b32_e32 v5, 21, v5
	v_and_b32_e32 v6, 0x80000000, v6
	v_lshl_add_u32 v7, v8, 23, v7
	v_or3_b32 v6, v6, v7, v5
.LBB166_316:
	s_or_b64 exec, exec, s[18:19]
	v_bfe_u32 v5, v6, 16, 1
	s_movk_i32 s0, 0x7fff
	v_add3_u32 v5, v6, v5, s0
	v_cmp_o_f32_e32 vcc, v6, v6
	v_mov_b32_e32 v6, 0x7fc0
	v_cndmask_b32_sdwa v5, v6, v5, vcc dst_sel:DWORD dst_unused:UNUSED_PAD src0_sel:DWORD src1_sel:WORD_1
	s_mov_b64 s[0:1], 0
	s_branch .LBB166_322
.LBB166_317:
	s_mov_b64 s[18:19], -1
                                        ; implicit-def: $vgpr5
	s_branch .LBB166_328
.LBB166_318:
	s_or_saveexec_b64 s[18:19], s[18:19]
	v_mov_b32_e32 v6, 0x7f800001
	s_xor_b64 exec, exec, s[18:19]
	s_cbranch_execz .LBB166_301
.LBB166_319:
	v_cmp_ne_u16_e32 vcc, 0, v5
	s_andn2_b64 s[0:1], s[0:1], exec
	s_and_b64 s[26:27], vcc, exec
	v_mov_b32_e32 v6, 0
	s_or_b64 s[0:1], s[0:1], s[26:27]
	s_or_b64 exec, exec, s[18:19]
	s_and_saveexec_b64 s[18:19], s[0:1]
	s_cbranch_execnz .LBB166_302
	s_branch .LBB166_303
.LBB166_320:
	s_mov_b64 s[0:1], -1
                                        ; implicit-def: $vgpr5
	s_branch .LBB166_325
.LBB166_321:
	s_mov_b64 s[0:1], -1
                                        ; implicit-def: $vgpr5
.LBB166_322:
	s_and_b64 vcc, exec, s[0:1]
	s_cbranch_vccz .LBB166_324
; %bb.323:
	global_load_ubyte v5, v[0:1], off
	s_mov_b32 s0, 0x7f800000
	s_brev_b32 s1, 1
	s_movk_i32 s18, 0x7fff
	s_waitcnt vmcnt(0)
	v_lshlrev_b32_e32 v5, 24, v5
	v_and_b32_e32 v6, 0x7f000000, v5
	v_ffbh_u32_e32 v7, v6
	v_min_u32_e32 v7, 32, v7
	v_sub_u32_e64 v7, v7, 4 clamp
	v_lshlrev_b32_e32 v9, v7, v6
	v_lshlrev_b32_e32 v7, 23, v7
	v_lshrrev_b32_e32 v9, 4, v9
	v_add_u32_e32 v8, 0x1000000, v6
	v_sub_u32_e32 v7, v9, v7
	v_ashrrev_i32_e32 v8, 8, v8
	v_add_u32_e32 v7, 0x3c000000, v7
	v_and_or_b32 v7, v8, s0, v7
	v_cmp_ne_u32_e32 vcc, 0, v6
	v_cndmask_b32_e32 v6, 0, v7, vcc
	v_and_or_b32 v5, v5, s1, v6
	v_bfe_u32 v6, v6, 16, 1
	v_add3_u32 v6, v5, v6, s18
	v_cmp_o_f32_e32 vcc, v5, v5
	v_mov_b32_e32 v5, 0x7fc0
	v_cndmask_b32_sdwa v5, v5, v6, vcc dst_sel:DWORD dst_unused:UNUSED_PAD src0_sel:DWORD src1_sel:WORD_1
.LBB166_324:
	s_mov_b64 s[0:1], 0
.LBB166_325:
	s_andn2_b64 vcc, exec, s[0:1]
	s_cbranch_vccnz .LBB166_327
; %bb.326:
	global_load_ubyte v5, v[0:1], off
	s_movk_i32 s0, 0x7f00
	s_brev_b32 s1, 16
	s_brev_b32 s18, 1
	s_movk_i32 s19, 0x7fff
	s_waitcnt vmcnt(0)
	v_lshlrev_b16_e32 v6, 8, v5
	v_lshlrev_b32_e32 v5, 25, v5
	v_lshrrev_b32_e32 v7, 4, v5
	v_and_or_b32 v8, v6, s0, 0.5
	v_or_b32_e32 v7, 0x70000000, v7
	v_add_f32_e32 v8, -0.5, v8
	v_mul_f32_e32 v7, 0x7800000, v7
	v_cmp_gt_u32_e32 vcc, s1, v5
	v_bfe_i32 v6, v6, 0, 16
	v_cndmask_b32_e32 v5, v7, v8, vcc
	v_and_or_b32 v6, v6, s18, v5
	v_bfe_u32 v5, v5, 16, 1
	v_add3_u32 v5, v6, v5, s19
	v_cmp_o_f32_e32 vcc, v6, v6
	v_mov_b32_e32 v6, 0x7fc0
	v_cndmask_b32_sdwa v5, v6, v5, vcc dst_sel:DWORD dst_unused:UNUSED_PAD src0_sel:DWORD src1_sel:WORD_1
.LBB166_327:
	s_mov_b64 s[18:19], 0
	s_mov_b64 s[0:1], -1
.LBB166_328:
	s_andn2_b64 vcc, exec, s[18:19]
	s_cbranch_vccnz .LBB166_341
; %bb.329:
	s_cmp_gt_i32 s31, 14
	s_cbranch_scc0 .LBB166_332
; %bb.330:
	s_cmp_eq_u32 s31, 15
	s_cbranch_scc0 .LBB166_335
; %bb.331:
	global_load_ushort v5, v[0:1], off
	s_mov_b64 s[0:1], -1
	s_mov_b64 s[20:21], 0
	s_branch .LBB166_336
.LBB166_332:
	s_mov_b64 s[18:19], -1
                                        ; implicit-def: $vgpr5
	s_branch .LBB166_337
.LBB166_333:
	s_or_saveexec_b64 s[18:19], s[18:19]
	v_mov_b32_e32 v6, 0x7f800001
	s_xor_b64 exec, exec, s[18:19]
	s_cbranch_execz .LBB166_314
.LBB166_334:
	v_cmp_ne_u16_e32 vcc, 0, v5
	s_andn2_b64 s[0:1], s[0:1], exec
	s_and_b64 s[26:27], vcc, exec
	v_mov_b32_e32 v6, 0
	s_or_b64 s[0:1], s[0:1], s[26:27]
	s_or_b64 exec, exec, s[18:19]
	s_and_saveexec_b64 s[18:19], s[0:1]
	s_cbranch_execnz .LBB166_315
	s_branch .LBB166_316
.LBB166_335:
	s_mov_b64 s[20:21], -1
                                        ; implicit-def: $vgpr5
.LBB166_336:
	s_mov_b64 s[18:19], 0
.LBB166_337:
	s_and_b64 vcc, exec, s[18:19]
	s_cbranch_vccz .LBB166_341
; %bb.338:
	s_cmp_eq_u32 s31, 11
	s_cbranch_scc0 .LBB166_340
; %bb.339:
	global_load_ubyte v5, v[0:1], off
	s_mov_b64 s[0:1], -1
	s_mov_b64 s[20:21], 0
	v_mov_b32_e32 v6, 0
	s_waitcnt vmcnt(0)
	v_cmp_ne_u16_e32 vcc, 0, v5
	v_cndmask_b32_e64 v5, 0, 1.0, vcc
	v_lshrrev_b32_e32 v5, 16, v5
	s_branch .LBB166_342
.LBB166_340:
	s_mov_b64 s[20:21], -1
                                        ; implicit-def: $vgpr5
.LBB166_341:
	v_mov_b32_e32 v6, 0
.LBB166_342:
	s_branch .LBB166_20
.LBB166_343:
	s_and_b32 s18, 0xffff, s30
	s_cmp_lt_i32 s18, 5
	s_cbranch_scc1 .LBB166_348
; %bb.344:
	s_cmp_lt_i32 s18, 8
	s_cbranch_scc1 .LBB166_349
; %bb.345:
	;; [unrolled: 3-line block ×3, first 2 shown]
	s_cmp_gt_i32 s18, 9
	s_cbranch_scc0 .LBB166_351
; %bb.347:
	global_load_dwordx4 v[5:8], v[0:1], off
	s_movk_i32 s0, 0x7fff
	s_waitcnt vmcnt(0)
	v_cvt_f32_f64_e32 v5, v[5:6]
	v_cvt_f32_f64_e32 v6, v[7:8]
	v_mov_b32_e32 v7, 0x7fc0
	v_mov_b32_e32 v8, 0x7fc00000
	v_bfe_u32 v9, v5, 16, 1
	v_bfe_u32 v10, v6, 16, 1
	v_cmp_o_f32_e32 vcc, v5, v5
	v_add3_u32 v5, v5, v9, s0
	v_add3_u32 v9, v6, v10, s0
	v_cndmask_b32_sdwa v5, v7, v5, vcc dst_sel:DWORD dst_unused:UNUSED_PAD src0_sel:DWORD src1_sel:WORD_1
	v_and_b32_e32 v7, 0xffff0000, v9
	v_cmp_o_f32_e32 vcc, v6, v6
	v_cndmask_b32_e32 v6, v8, v7, vcc
	s_mov_b64 s[0:1], 0
	s_branch .LBB166_352
.LBB166_348:
	s_mov_b64 s[0:1], -1
                                        ; implicit-def: $vgpr6
                                        ; implicit-def: $vgpr5
	s_branch .LBB166_371
.LBB166_349:
	s_mov_b64 s[0:1], -1
                                        ; implicit-def: $vgpr6
                                        ; implicit-def: $vgpr5
	s_branch .LBB166_358
.LBB166_350:
	s_mov_b64 s[0:1], -1
                                        ; implicit-def: $vgpr6
                                        ; implicit-def: $vgpr5
	s_branch .LBB166_355
.LBB166_351:
	s_mov_b64 s[0:1], -1
                                        ; implicit-def: $vgpr6
                                        ; implicit-def: $vgpr5
.LBB166_352:
	s_andn2_b64 vcc, exec, s[0:1]
	s_cbranch_vccnz .LBB166_354
; %bb.353:
	global_load_dwordx2 v[5:6], v[0:1], off
	s_movk_i32 s0, 0x7fff
	v_mov_b32_e32 v7, 0x7fc0
	v_mov_b32_e32 v8, 0x7fc00000
	s_waitcnt vmcnt(0)
	v_bfe_u32 v9, v5, 16, 1
	v_bfe_u32 v10, v6, 16, 1
	v_cmp_o_f32_e32 vcc, v5, v5
	v_add3_u32 v5, v5, v9, s0
	v_add3_u32 v9, v6, v10, s0
	v_cndmask_b32_sdwa v5, v7, v5, vcc dst_sel:DWORD dst_unused:UNUSED_PAD src0_sel:DWORD src1_sel:WORD_1
	v_and_b32_e32 v7, 0xffff0000, v9
	v_cmp_o_f32_e32 vcc, v6, v6
	v_cndmask_b32_e32 v6, v8, v7, vcc
.LBB166_354:
	s_mov_b64 s[0:1], 0
.LBB166_355:
	s_andn2_b64 vcc, exec, s[0:1]
	s_cbranch_vccnz .LBB166_357
; %bb.356:
	global_load_dword v6, v[0:1], off
	s_movk_i32 s0, 0x7fff
	s_waitcnt vmcnt(1)
	v_mov_b32_e32 v5, 0x7fc0
	v_mov_b32_e32 v9, 0x7fc00000
	s_waitcnt vmcnt(0)
	v_cvt_f32_f16_e32 v7, v6
	v_cvt_f32_f16_sdwa v8, v6 dst_sel:DWORD dst_unused:UNUSED_PAD src0_sel:WORD_1
	v_cmp_o_f16_e32 vcc, v6, v6
	v_bfe_u32 v10, v7, 16, 1
	v_bfe_u32 v11, v8, 16, 1
	v_add3_u32 v7, v7, v10, s0
	v_add3_u32 v8, v8, v11, s0
	v_cndmask_b32_sdwa v5, v5, v7, vcc dst_sel:DWORD dst_unused:UNUSED_PAD src0_sel:DWORD src1_sel:WORD_1
	v_and_b32_e32 v7, 0xffff0000, v8
	v_cmp_o_f16_sdwa vcc, v6, v6 src0_sel:WORD_1 src1_sel:WORD_1
	v_cndmask_b32_e32 v6, v9, v7, vcc
.LBB166_357:
	s_mov_b64 s[0:1], 0
.LBB166_358:
	s_andn2_b64 vcc, exec, s[0:1]
	s_cbranch_vccnz .LBB166_370
; %bb.359:
	s_cmp_lt_i32 s18, 6
	s_cbranch_scc1 .LBB166_362
; %bb.360:
	s_cmp_gt_i32 s18, 6
	s_cbranch_scc0 .LBB166_363
; %bb.361:
	global_load_dwordx2 v[5:6], v[0:1], off
	s_movk_i32 s0, 0x7fff
	s_waitcnt vmcnt(0)
	v_cvt_f32_f64_e32 v5, v[5:6]
	v_mov_b32_e32 v6, 0x7fc0
	v_bfe_u32 v7, v5, 16, 1
	v_cmp_o_f32_e32 vcc, v5, v5
	v_add3_u32 v5, v5, v7, s0
	v_cndmask_b32_sdwa v5, v6, v5, vcc dst_sel:DWORD dst_unused:UNUSED_PAD src0_sel:DWORD src1_sel:WORD_1
	s_mov_b64 s[0:1], 0
	s_branch .LBB166_364
.LBB166_362:
	s_mov_b64 s[0:1], -1
                                        ; implicit-def: $vgpr5
	s_branch .LBB166_367
.LBB166_363:
	s_mov_b64 s[0:1], -1
                                        ; implicit-def: $vgpr5
.LBB166_364:
	s_andn2_b64 vcc, exec, s[0:1]
	s_cbranch_vccnz .LBB166_366
; %bb.365:
	global_load_dword v5, v[0:1], off
	s_movk_i32 s0, 0x7fff
	v_mov_b32_e32 v6, 0x7fc0
	s_waitcnt vmcnt(0)
	v_bfe_u32 v7, v5, 16, 1
	v_cmp_o_f32_e32 vcc, v5, v5
	v_add3_u32 v5, v5, v7, s0
	v_cndmask_b32_sdwa v5, v6, v5, vcc dst_sel:DWORD dst_unused:UNUSED_PAD src0_sel:DWORD src1_sel:WORD_1
.LBB166_366:
	s_mov_b64 s[0:1], 0
.LBB166_367:
	s_andn2_b64 vcc, exec, s[0:1]
	s_cbranch_vccnz .LBB166_369
; %bb.368:
	global_load_ushort v5, v[0:1], off
	s_movk_i32 s0, 0x7fff
	v_mov_b32_e32 v7, 0x7fc0
	s_waitcnt vmcnt(0)
	v_cvt_f32_f16_e32 v6, v5
	v_cmp_o_f16_e32 vcc, v5, v5
	v_bfe_u32 v5, v6, 16, 1
	v_add3_u32 v5, v6, v5, s0
	v_cndmask_b32_sdwa v5, v7, v5, vcc dst_sel:DWORD dst_unused:UNUSED_PAD src0_sel:DWORD src1_sel:WORD_1
.LBB166_369:
	v_mov_b32_e32 v6, 0
.LBB166_370:
	s_mov_b64 s[0:1], 0
.LBB166_371:
	s_andn2_b64 vcc, exec, s[0:1]
	s_cbranch_vccnz .LBB166_392
; %bb.372:
	s_cmp_lt_i32 s18, 2
	s_cbranch_scc1 .LBB166_376
; %bb.373:
	s_cmp_lt_i32 s18, 3
	s_cbranch_scc1 .LBB166_377
; %bb.374:
	s_cmp_gt_i32 s18, 3
	s_cbranch_scc0 .LBB166_378
; %bb.375:
	global_load_dwordx2 v[5:6], v[0:1], off
	s_movk_i32 s0, 0x7fff
	s_waitcnt vmcnt(0)
	v_xor_b32_e32 v8, v5, v6
	v_ffbh_i32_e32 v7, v6
	v_ashrrev_i32_e32 v8, 31, v8
	v_add_u32_e32 v7, -1, v7
	v_add_u32_e32 v8, 32, v8
	v_min_u32_e32 v7, v7, v8
	v_lshlrev_b64 v[5:6], v7, v[5:6]
	v_min_u32_e32 v5, 1, v5
	v_or_b32_e32 v5, v6, v5
	v_cvt_f32_i32_e32 v5, v5
	v_sub_u32_e32 v6, 32, v7
	v_ldexp_f32 v5, v5, v6
	v_bfe_u32 v6, v5, 16, 1
	v_add3_u32 v5, v5, v6, s0
	v_lshrrev_b32_e32 v5, 16, v5
	s_mov_b64 s[0:1], 0
	s_branch .LBB166_379
.LBB166_376:
	s_mov_b64 s[0:1], -1
                                        ; implicit-def: $vgpr5
	s_branch .LBB166_385
.LBB166_377:
	s_mov_b64 s[0:1], -1
                                        ; implicit-def: $vgpr5
	s_branch .LBB166_382
.LBB166_378:
	s_mov_b64 s[0:1], -1
                                        ; implicit-def: $vgpr5
.LBB166_379:
	s_andn2_b64 vcc, exec, s[0:1]
	s_cbranch_vccnz .LBB166_381
; %bb.380:
	global_load_dword v5, v[0:1], off
	s_movk_i32 s0, 0x7fff
	s_waitcnt vmcnt(0)
	v_cvt_f32_i32_e32 v5, v5
	v_bfe_u32 v6, v5, 16, 1
	v_add3_u32 v5, v5, v6, s0
	v_lshrrev_b32_e32 v5, 16, v5
.LBB166_381:
	s_mov_b64 s[0:1], 0
.LBB166_382:
	s_andn2_b64 vcc, exec, s[0:1]
	s_cbranch_vccnz .LBB166_384
; %bb.383:
	global_load_sshort v5, v[0:1], off
	s_movk_i32 s0, 0x7fff
	s_waitcnt vmcnt(0)
	v_cvt_f32_i32_e32 v5, v5
	v_bfe_u32 v6, v5, 16, 1
	v_add3_u32 v5, v5, v6, s0
	v_lshrrev_b32_e32 v5, 16, v5
.LBB166_384:
	s_mov_b64 s[0:1], 0
.LBB166_385:
	s_andn2_b64 vcc, exec, s[0:1]
	s_cbranch_vccnz .LBB166_391
; %bb.386:
	s_cmp_gt_i32 s18, 0
	s_cbranch_scc0 .LBB166_388
; %bb.387:
	global_load_sbyte v5, v[0:1], off
	s_movk_i32 s0, 0x7fff
	s_waitcnt vmcnt(0)
	v_cvt_f32_i32_e32 v5, v5
	v_bfe_u32 v6, v5, 16, 1
	v_add3_u32 v5, v5, v6, s0
	v_lshrrev_b32_e32 v5, 16, v5
	s_mov_b64 s[0:1], 0
	s_branch .LBB166_389
.LBB166_388:
	s_mov_b64 s[0:1], -1
                                        ; implicit-def: $vgpr5
.LBB166_389:
	s_andn2_b64 vcc, exec, s[0:1]
	s_cbranch_vccnz .LBB166_391
; %bb.390:
	global_load_ubyte v0, v[0:1], off
	s_movk_i32 s0, 0x7fff
	s_waitcnt vmcnt(0)
	v_cvt_f32_ubyte0_e32 v0, v0
	v_bfe_u32 v1, v0, 16, 1
	v_add3_u32 v0, v0, v1, s0
	v_lshrrev_b32_e32 v5, 16, v0
.LBB166_391:
	v_mov_b32_e32 v6, 0
.LBB166_392:
	s_branch .LBB166_21
.LBB166_393:
	s_mov_b64 s[0:1], 0
.LBB166_394:
                                        ; implicit-def: $vgpr2
	s_mov_b64 s[26:27], 0
.LBB166_395:
	s_and_b64 s[18:19], s[0:1], exec
	s_and_b64 s[20:21], s[20:21], exec
	;; [unrolled: 1-line block ×3, first 2 shown]
	s_orn2_b64 s[0:1], s[26:27], exec
.LBB166_396:
	s_or_b64 exec, exec, s[24:25]
	s_mov_b64 s[34:35], 0
	s_mov_b64 s[30:31], 0
                                        ; implicit-def: $sgpr58
                                        ; implicit-def: $vgpr0_vgpr1
                                        ; implicit-def: $vgpr4
                                        ; implicit-def: $vgpr3
	s_and_saveexec_b64 s[24:25], s[0:1]
	s_cbranch_execz .LBB166_405
; %bb.397:
	v_cmp_gt_i32_e32 vcc, s50, v2
	s_mov_b64 s[0:1], -1
	s_mov_b64 s[26:27], s[22:23]
	s_mov_b64 s[28:29], s[20:21]
	;; [unrolled: 1-line block ×3, first 2 shown]
	s_and_saveexec_b64 s[34:35], vcc
	s_cbranch_execz .LBB166_801
; %bb.398:
	v_mul_lo_u32 v0, v2, s13
	v_mov_b32_e32 v1, s11
	s_and_b32 s36, s57, 0xff
	s_cmp_lt_i32 s36, 11
	s_waitcnt vmcnt(0)
	v_ashrrev_i32_e32 v3, 31, v0
	v_add_co_u32_e32 v0, vcc, s10, v0
	v_addc_co_u32_e32 v1, vcc, v1, v3, vcc
	s_cbranch_scc1 .LBB166_408
; %bb.399:
	s_and_b32 s37, 0xffff, s36
	s_cmp_gt_i32 s37, 25
	s_cbranch_scc0 .LBB166_417
; %bb.400:
	s_cmp_gt_i32 s37, 28
	s_cbranch_scc0 .LBB166_419
; %bb.401:
	;; [unrolled: 3-line block ×4, first 2 shown]
	s_cmp_eq_u32 s37, 46
	s_mov_b64 s[28:29], 0
	s_cbranch_scc0 .LBB166_427
; %bb.404:
	global_load_dword v3, v[0:1], off
	s_mov_b64 s[26:27], 0
	s_waitcnt vmcnt(0)
	v_and_b32_e32 v4, 0xffff0000, v3
	s_branch .LBB166_428
.LBB166_405:
	s_or_b64 exec, exec, s[24:25]
	s_mov_b64 s[24:25], 0
	s_and_saveexec_b64 s[0:1], s[22:23]
	s_cbranch_execnz .LBB166_1294
.LBB166_406:
	s_or_b64 exec, exec, s[0:1]
	s_and_saveexec_b64 s[0:1], s[28:29]
	s_xor_b64 s[0:1], exec, s[0:1]
	s_cbranch_execz .LBB166_1295
.LBB166_407:
	global_load_ubyte v3, v[0:1], off
	v_mov_b32_e32 v4, 0
	s_or_b64 s[30:31], s[30:31], exec
	s_waitcnt vmcnt(0)
	v_cmp_ne_u16_e32 vcc, 0, v3
	v_cndmask_b32_e64 v3, 0, 1.0, vcc
	v_lshrrev_b32_e32 v3, 16, v3
	s_or_b64 exec, exec, s[0:1]
	s_and_saveexec_b64 s[0:1], s[34:35]
	s_cbranch_execz .LBB166_1343
	s_branch .LBB166_1296
.LBB166_408:
	s_mov_b64 s[0:1], 0
                                        ; implicit-def: $vgpr4
                                        ; implicit-def: $vgpr3
	s_mov_b64 s[26:27], s[22:23]
	s_cbranch_execnz .LBB166_497
.LBB166_409:
	s_andn2_b64 vcc, exec, s[0:1]
	s_cbranch_vccnz .LBB166_547
.LBB166_410:
	v_mul_lo_u32 v0, v2, s14
	v_mov_b32_e32 v1, s3
	s_and_b32 s38, s56, 0xff
	s_cmp_lt_i32 s38, 11
	v_ashrrev_i32_e32 v5, 31, v0
	v_add_co_u32_e32 v0, vcc, s2, v0
	v_addc_co_u32_e32 v1, vcc, v1, v5, vcc
	s_cbranch_scc1 .LBB166_418
; %bb.411:
	s_and_b32 s39, 0xffff, s38
	s_cmp_gt_i32 s39, 25
	s_cbranch_scc0 .LBB166_420
; %bb.412:
	s_cmp_gt_i32 s39, 28
	s_cbranch_scc0 .LBB166_422
; %bb.413:
	;; [unrolled: 3-line block ×4, first 2 shown]
	s_cmp_eq_u32 s39, 46
	s_mov_b64 s[30:31], 0
	s_cbranch_scc0 .LBB166_551
; %bb.416:
	global_load_dword v5, v[0:1], off
	s_mov_b64 s[0:1], -1
	s_mov_b64 s[28:29], 0
	s_waitcnt vmcnt(0)
	v_and_b32_e32 v6, 0xffff0000, v5
	s_branch .LBB166_552
.LBB166_417:
	s_mov_b64 s[28:29], -1
	s_mov_b64 s[0:1], 0
	s_mov_b64 s[26:27], s[22:23]
                                        ; implicit-def: $vgpr4
                                        ; implicit-def: $vgpr3
	s_branch .LBB166_460
.LBB166_418:
	s_mov_b64 s[30:31], -1
	s_mov_b64 s[0:1], 0
                                        ; implicit-def: $vgpr6
                                        ; implicit-def: $vgpr5
	s_mov_b64 s[28:29], s[20:21]
	s_branch .LBB166_620
.LBB166_419:
	s_mov_b64 s[28:29], -1
	s_mov_b64 s[0:1], 0
	s_mov_b64 s[26:27], s[22:23]
                                        ; implicit-def: $vgpr4
                                        ; implicit-def: $vgpr3
	s_branch .LBB166_441
.LBB166_420:
	s_mov_b64 s[30:31], -1
	s_mov_b64 s[0:1], 0
	s_mov_b64 s[28:29], s[20:21]
                                        ; implicit-def: $vgpr6
                                        ; implicit-def: $vgpr5
	s_branch .LBB166_583
.LBB166_421:
	s_mov_b64 s[28:29], -1
	s_mov_b64 s[0:1], 0
	s_mov_b64 s[26:27], s[22:23]
                                        ; implicit-def: $vgpr4
                                        ; implicit-def: $vgpr3
	s_branch .LBB166_435
.LBB166_422:
	s_mov_b64 s[30:31], -1
	s_mov_b64 s[0:1], 0
	s_mov_b64 s[28:29], s[20:21]
                                        ; implicit-def: $vgpr6
                                        ; implicit-def: $vgpr5
	s_branch .LBB166_564
.LBB166_423:
	s_mov_b64 s[28:29], -1
	s_mov_b64 s[0:1], 0
	s_mov_b64 s[26:27], s[22:23]
                                        ; implicit-def: $vgpr4
                                        ; implicit-def: $vgpr3
	s_branch .LBB166_428
.LBB166_424:
	s_mov_b64 s[30:31], -1
	s_mov_b64 s[0:1], 0
	s_mov_b64 s[28:29], s[20:21]
                                        ; implicit-def: $vgpr6
                                        ; implicit-def: $vgpr5
	s_branch .LBB166_558
.LBB166_425:
	s_andn2_saveexec_b64 s[34:35], s[34:35]
	s_cbranch_execz .LBB166_188
.LBB166_426:
	v_add_f32_e32 v3, 0x46000000, v4
	v_and_b32_e32 v3, 0xff, v3
	v_cmp_ne_u32_e32 vcc, 0, v3
	s_andn2_b64 s[30:31], s[30:31], exec
	s_and_b64 s[38:39], vcc, exec
	s_or_b64 s[30:31], s[30:31], s[38:39]
	s_or_b64 exec, exec, s[34:35]
	v_mov_b32_e32 v5, 0
	s_and_saveexec_b64 s[34:35], s[30:31]
	s_cbranch_execnz .LBB166_189
	s_branch .LBB166_190
.LBB166_427:
	s_mov_b64 s[26:27], -1
                                        ; implicit-def: $vgpr4
                                        ; implicit-def: $vgpr3
	s_mov_b64 s[0:1], 0
.LBB166_428:
	s_and_b64 vcc, exec, s[28:29]
	s_cbranch_vccz .LBB166_434
; %bb.429:
	s_cmp_eq_u32 s37, 44
	s_cbranch_scc0 .LBB166_432
; %bb.430:
	global_load_ubyte v3, v[0:1], off
	s_movk_i32 s26, 0xff
	v_mov_b32_e32 v4, 0x7f800001
	v_mov_b32_e32 v5, 0x400000
	;; [unrolled: 1-line block ×3, first 2 shown]
	s_mov_b64 s[0:1], -1
	s_waitcnt vmcnt(0)
	v_lshlrev_b32_e32 v7, 23, v3
	v_cmp_ne_u32_e32 vcc, s26, v3
	v_cndmask_b32_e32 v4, v4, v7, vcc
	v_cmp_ne_u32_e32 vcc, 0, v3
	v_cndmask_b32_e32 v3, v5, v4, vcc
	v_add_u32_e32 v4, 0x7fff, v3
	v_cmp_o_f32_e32 vcc, v3, v3
	v_cndmask_b32_sdwa v3, v6, v4, vcc dst_sel:DWORD dst_unused:UNUSED_PAD src0_sel:DWORD src1_sel:WORD_1
	s_mov_b64 s[26:27], 0
	s_branch .LBB166_433
.LBB166_431:
	s_mov_b64 s[30:31], -1
	s_mov_b64 s[0:1], 0
	s_mov_b64 s[28:29], s[20:21]
                                        ; implicit-def: $vgpr6
                                        ; implicit-def: $vgpr5
	s_branch .LBB166_552
.LBB166_432:
	s_mov_b64 s[26:27], -1
                                        ; implicit-def: $vgpr3
.LBB166_433:
	v_mov_b32_e32 v4, 0
.LBB166_434:
	s_mov_b64 s[28:29], 0
.LBB166_435:
	s_and_b64 vcc, exec, s[28:29]
	s_cbranch_vccz .LBB166_440
; %bb.436:
	s_cmp_eq_u32 s37, 29
	s_cbranch_scc0 .LBB166_438
; %bb.437:
	global_load_dwordx2 v[3:4], v[0:1], off
	s_movk_i32 s26, 0x7fff
	s_mov_b64 s[0:1], -1
	s_waitcnt vmcnt(0)
	v_ffbh_u32_e32 v5, v4
	v_min_u32_e32 v5, 32, v5
	v_lshlrev_b64 v[3:4], v5, v[3:4]
	v_min_u32_e32 v3, 1, v3
	v_or_b32_e32 v3, v4, v3
	v_cvt_f32_u32_e32 v3, v3
	v_sub_u32_e32 v4, 32, v5
	v_ldexp_f32 v3, v3, v4
	v_bfe_u32 v4, v3, 16, 1
	v_add3_u32 v3, v3, v4, s26
	v_lshrrev_b32_e32 v3, 16, v3
	s_mov_b64 s[26:27], 0
	s_branch .LBB166_439
.LBB166_438:
	s_mov_b64 s[26:27], -1
                                        ; implicit-def: $vgpr3
.LBB166_439:
	v_mov_b32_e32 v4, 0
.LBB166_440:
	s_mov_b64 s[28:29], 0
.LBB166_441:
	s_and_b64 vcc, exec, s[28:29]
	s_cbranch_vccz .LBB166_459
; %bb.442:
	s_cmp_lt_i32 s37, 27
	s_cbranch_scc1 .LBB166_445
; %bb.443:
	s_cmp_gt_i32 s37, 27
	s_cbranch_scc0 .LBB166_446
; %bb.444:
	global_load_dword v3, v[0:1], off
	s_movk_i32 s0, 0x7fff
	s_waitcnt vmcnt(0)
	v_cvt_f32_u32_e32 v3, v3
	v_bfe_u32 v4, v3, 16, 1
	v_add3_u32 v3, v3, v4, s0
	v_lshrrev_b32_e32 v3, 16, v3
	s_mov_b64 s[0:1], 0
	s_branch .LBB166_447
.LBB166_445:
	s_mov_b64 s[0:1], -1
                                        ; implicit-def: $vgpr3
	s_branch .LBB166_450
.LBB166_446:
	s_mov_b64 s[0:1], -1
                                        ; implicit-def: $vgpr3
.LBB166_447:
	s_andn2_b64 vcc, exec, s[0:1]
	s_cbranch_vccnz .LBB166_449
; %bb.448:
	global_load_ushort v3, v[0:1], off
	s_movk_i32 s0, 0x7fff
	s_waitcnt vmcnt(0)
	v_cvt_f32_u32_e32 v3, v3
	v_bfe_u32 v4, v3, 16, 1
	v_add3_u32 v3, v3, v4, s0
	v_lshrrev_b32_e32 v3, 16, v3
.LBB166_449:
	s_mov_b64 s[0:1], 0
.LBB166_450:
	s_andn2_b64 vcc, exec, s[0:1]
	s_cbranch_vccnz .LBB166_458
; %bb.451:
	global_load_ubyte v3, v[0:1], off
	s_movk_i32 s0, 0x7f
	s_waitcnt vmcnt(0)
	v_cmp_lt_i16_e32 vcc, s0, v3
	s_mov_b64 s[0:1], 0
	s_and_saveexec_b64 s[28:29], vcc
	s_xor_b64 s[28:29], exec, s[28:29]
	s_cbranch_execz .LBB166_472
; %bb.452:
	s_movk_i32 s0, 0x80
	v_cmp_eq_u16_e32 vcc, s0, v3
	s_mov_b64 s[0:1], -1
	s_and_saveexec_b64 s[30:31], vcc
; %bb.453:
	s_xor_b64 s[0:1], exec, -1
; %bb.454:
	s_or_b64 exec, exec, s[30:31]
	s_and_b64 s[0:1], s[0:1], exec
	s_or_saveexec_b64 s[28:29], s[28:29]
	v_mov_b32_e32 v4, 0x7f800001
	s_xor_b64 exec, exec, s[28:29]
	s_cbranch_execnz .LBB166_473
.LBB166_455:
	s_or_b64 exec, exec, s[28:29]
	s_and_saveexec_b64 s[28:29], s[0:1]
	s_cbranch_execz .LBB166_457
.LBB166_456:
	v_lshlrev_b32_e32 v4, 24, v3
	v_and_b32_e32 v3, 0xffff, v3
	v_and_b32_e32 v5, 7, v3
	v_ffbh_u32_e32 v7, v5
	v_min_u32_e32 v7, 32, v7
	v_subrev_u32_e32 v8, 28, v7
	v_bfe_u32 v6, v3, 3, 4
	v_lshlrev_b32_e32 v3, v8, v3
	v_sub_u32_e32 v7, 29, v7
	v_and_b32_e32 v3, 7, v3
	v_cmp_eq_u32_e32 vcc, 0, v6
	v_cndmask_b32_e32 v6, v6, v7, vcc
	v_cndmask_b32_e32 v3, v5, v3, vcc
	v_mov_b32_e32 v5, 0x3b800000
	v_lshlrev_b32_e32 v3, 20, v3
	v_and_b32_e32 v4, 0x80000000, v4
	v_lshl_add_u32 v5, v6, 23, v5
	v_or3_b32 v4, v4, v5, v3
.LBB166_457:
	s_or_b64 exec, exec, s[28:29]
	v_bfe_u32 v3, v4, 16, 1
	s_movk_i32 s0, 0x7fff
	v_add3_u32 v3, v4, v3, s0
	v_cmp_o_f32_e32 vcc, v4, v4
	v_mov_b32_e32 v4, 0x7fc0
	v_cndmask_b32_sdwa v3, v4, v3, vcc dst_sel:DWORD dst_unused:UNUSED_PAD src0_sel:DWORD src1_sel:WORD_1
.LBB166_458:
	s_mov_b64 s[0:1], -1
	v_mov_b32_e32 v4, 0
.LBB166_459:
	s_mov_b64 s[28:29], 0
.LBB166_460:
	s_and_b64 vcc, exec, s[28:29]
	s_cbranch_vccz .LBB166_496
; %bb.461:
	s_cmp_gt_i32 s37, 22
	s_cbranch_scc0 .LBB166_471
; %bb.462:
	s_cmp_lt_i32 s37, 24
	s_cbranch_scc1 .LBB166_474
; %bb.463:
	s_cmp_gt_i32 s37, 24
	s_cbranch_scc0 .LBB166_475
; %bb.464:
	global_load_ubyte v3, v[0:1], off
	s_movk_i32 s0, 0x7f
	s_waitcnt vmcnt(0)
	v_cmp_lt_i16_e32 vcc, s0, v3
	s_mov_b64 s[0:1], 0
	s_and_saveexec_b64 s[28:29], vcc
	s_xor_b64 s[28:29], exec, s[28:29]
	s_cbranch_execz .LBB166_487
; %bb.465:
	s_movk_i32 s0, 0x80
	v_cmp_eq_u16_e32 vcc, s0, v3
	s_mov_b64 s[0:1], -1
	s_and_saveexec_b64 s[30:31], vcc
; %bb.466:
	s_xor_b64 s[0:1], exec, -1
; %bb.467:
	s_or_b64 exec, exec, s[30:31]
	s_and_b64 s[0:1], s[0:1], exec
	s_or_saveexec_b64 s[28:29], s[28:29]
	v_mov_b32_e32 v4, 0x7f800001
	s_xor_b64 exec, exec, s[28:29]
	s_cbranch_execnz .LBB166_488
.LBB166_468:
	s_or_b64 exec, exec, s[28:29]
	s_and_saveexec_b64 s[28:29], s[0:1]
	s_cbranch_execz .LBB166_470
.LBB166_469:
	v_lshlrev_b32_e32 v4, 24, v3
	v_and_b32_e32 v3, 0xffff, v3
	v_and_b32_e32 v5, 3, v3
	v_ffbh_u32_e32 v7, v5
	v_min_u32_e32 v7, 32, v7
	v_subrev_u32_e32 v8, 29, v7
	v_bfe_u32 v6, v3, 2, 5
	v_lshlrev_b32_e32 v3, v8, v3
	v_sub_u32_e32 v7, 30, v7
	v_and_b32_e32 v3, 3, v3
	v_cmp_eq_u32_e32 vcc, 0, v6
	v_cndmask_b32_e32 v6, v6, v7, vcc
	v_cndmask_b32_e32 v3, v5, v3, vcc
	v_mov_b32_e32 v5, 0x37800000
	v_lshlrev_b32_e32 v3, 21, v3
	v_and_b32_e32 v4, 0x80000000, v4
	v_lshl_add_u32 v5, v6, 23, v5
	v_or3_b32 v4, v4, v5, v3
.LBB166_470:
	s_or_b64 exec, exec, s[28:29]
	v_bfe_u32 v3, v4, 16, 1
	s_movk_i32 s0, 0x7fff
	v_add3_u32 v3, v4, v3, s0
	v_cmp_o_f32_e32 vcc, v4, v4
	v_mov_b32_e32 v4, 0x7fc0
	v_cndmask_b32_sdwa v3, v4, v3, vcc dst_sel:DWORD dst_unused:UNUSED_PAD src0_sel:DWORD src1_sel:WORD_1
	s_mov_b64 s[0:1], 0
	s_branch .LBB166_476
.LBB166_471:
	s_mov_b64 s[28:29], -1
                                        ; implicit-def: $vgpr3
	s_branch .LBB166_482
.LBB166_472:
	s_or_saveexec_b64 s[28:29], s[28:29]
	v_mov_b32_e32 v4, 0x7f800001
	s_xor_b64 exec, exec, s[28:29]
	s_cbranch_execz .LBB166_455
.LBB166_473:
	v_cmp_ne_u16_e32 vcc, 0, v3
	s_andn2_b64 s[0:1], s[0:1], exec
	s_and_b64 s[30:31], vcc, exec
	v_mov_b32_e32 v4, 0
	s_or_b64 s[0:1], s[0:1], s[30:31]
	s_or_b64 exec, exec, s[28:29]
	s_and_saveexec_b64 s[28:29], s[0:1]
	s_cbranch_execnz .LBB166_456
	s_branch .LBB166_457
.LBB166_474:
	s_mov_b64 s[0:1], -1
                                        ; implicit-def: $vgpr3
	s_branch .LBB166_479
.LBB166_475:
	s_mov_b64 s[0:1], -1
                                        ; implicit-def: $vgpr3
.LBB166_476:
	s_and_b64 vcc, exec, s[0:1]
	s_cbranch_vccz .LBB166_478
; %bb.477:
	global_load_ubyte v3, v[0:1], off
	s_mov_b32 s0, 0x7f800000
	s_brev_b32 s1, 1
	s_movk_i32 s28, 0x7fff
	s_waitcnt vmcnt(0)
	v_lshlrev_b32_e32 v3, 24, v3
	v_and_b32_e32 v4, 0x7f000000, v3
	v_ffbh_u32_e32 v5, v4
	v_min_u32_e32 v5, 32, v5
	v_sub_u32_e64 v5, v5, 4 clamp
	v_lshlrev_b32_e32 v7, v5, v4
	v_lshlrev_b32_e32 v5, 23, v5
	v_lshrrev_b32_e32 v7, 4, v7
	v_add_u32_e32 v6, 0x1000000, v4
	v_sub_u32_e32 v5, v7, v5
	v_ashrrev_i32_e32 v6, 8, v6
	v_add_u32_e32 v5, 0x3c000000, v5
	v_and_or_b32 v5, v6, s0, v5
	v_cmp_ne_u32_e32 vcc, 0, v4
	v_cndmask_b32_e32 v4, 0, v5, vcc
	v_and_or_b32 v3, v3, s1, v4
	v_bfe_u32 v4, v4, 16, 1
	v_add3_u32 v4, v3, v4, s28
	v_cmp_o_f32_e32 vcc, v3, v3
	v_mov_b32_e32 v3, 0x7fc0
	v_cndmask_b32_sdwa v3, v3, v4, vcc dst_sel:DWORD dst_unused:UNUSED_PAD src0_sel:DWORD src1_sel:WORD_1
.LBB166_478:
	s_mov_b64 s[0:1], 0
.LBB166_479:
	s_andn2_b64 vcc, exec, s[0:1]
	s_cbranch_vccnz .LBB166_481
; %bb.480:
	global_load_ubyte v3, v[0:1], off
	s_movk_i32 s0, 0x7f00
	s_brev_b32 s1, 16
	s_brev_b32 s28, 1
	s_movk_i32 s29, 0x7fff
	s_waitcnt vmcnt(0)
	v_lshlrev_b16_e32 v4, 8, v3
	v_lshlrev_b32_e32 v3, 25, v3
	v_lshrrev_b32_e32 v5, 4, v3
	v_and_or_b32 v6, v4, s0, 0.5
	v_or_b32_e32 v5, 0x70000000, v5
	v_add_f32_e32 v6, -0.5, v6
	v_mul_f32_e32 v5, 0x7800000, v5
	v_cmp_gt_u32_e32 vcc, s1, v3
	v_bfe_i32 v4, v4, 0, 16
	v_cndmask_b32_e32 v3, v5, v6, vcc
	v_and_or_b32 v4, v4, s28, v3
	v_bfe_u32 v3, v3, 16, 1
	v_add3_u32 v3, v4, v3, s29
	v_cmp_o_f32_e32 vcc, v4, v4
	v_mov_b32_e32 v4, 0x7fc0
	v_cndmask_b32_sdwa v3, v4, v3, vcc dst_sel:DWORD dst_unused:UNUSED_PAD src0_sel:DWORD src1_sel:WORD_1
.LBB166_481:
	s_mov_b64 s[28:29], 0
	s_mov_b64 s[0:1], -1
.LBB166_482:
	s_andn2_b64 vcc, exec, s[28:29]
	s_cbranch_vccnz .LBB166_495
; %bb.483:
	s_cmp_gt_i32 s37, 14
	s_cbranch_scc0 .LBB166_486
; %bb.484:
	s_cmp_eq_u32 s37, 15
	s_cbranch_scc0 .LBB166_489
; %bb.485:
	global_load_ushort v3, v[0:1], off
	s_mov_b64 s[0:1], -1
	s_mov_b64 s[26:27], 0
	s_branch .LBB166_490
.LBB166_486:
	s_mov_b64 s[28:29], -1
                                        ; implicit-def: $vgpr3
	s_branch .LBB166_491
.LBB166_487:
	s_or_saveexec_b64 s[28:29], s[28:29]
	v_mov_b32_e32 v4, 0x7f800001
	s_xor_b64 exec, exec, s[28:29]
	s_cbranch_execz .LBB166_468
.LBB166_488:
	v_cmp_ne_u16_e32 vcc, 0, v3
	s_andn2_b64 s[0:1], s[0:1], exec
	s_and_b64 s[30:31], vcc, exec
	v_mov_b32_e32 v4, 0
	s_or_b64 s[0:1], s[0:1], s[30:31]
	s_or_b64 exec, exec, s[28:29]
	s_and_saveexec_b64 s[28:29], s[0:1]
	s_cbranch_execnz .LBB166_469
	s_branch .LBB166_470
.LBB166_489:
	s_mov_b64 s[26:27], -1
                                        ; implicit-def: $vgpr3
.LBB166_490:
	s_mov_b64 s[28:29], 0
.LBB166_491:
	s_and_b64 vcc, exec, s[28:29]
	s_cbranch_vccz .LBB166_495
; %bb.492:
	s_cmp_eq_u32 s37, 11
	s_cbranch_scc0 .LBB166_494
; %bb.493:
	global_load_ubyte v3, v[0:1], off
	s_mov_b64 s[0:1], -1
	s_mov_b64 s[26:27], 0
	v_mov_b32_e32 v4, 0
	s_waitcnt vmcnt(0)
	v_cmp_ne_u16_e32 vcc, 0, v3
	v_cndmask_b32_e64 v3, 0, 1.0, vcc
	v_lshrrev_b32_e32 v3, 16, v3
	s_branch .LBB166_496
.LBB166_494:
	s_mov_b64 s[26:27], -1
                                        ; implicit-def: $vgpr3
.LBB166_495:
	v_mov_b32_e32 v4, 0
.LBB166_496:
	s_branch .LBB166_409
.LBB166_497:
	s_and_b32 s28, 0xffff, s36
	s_cmp_lt_i32 s28, 5
	s_cbranch_scc1 .LBB166_502
; %bb.498:
	s_cmp_lt_i32 s28, 8
	s_cbranch_scc1 .LBB166_503
; %bb.499:
	;; [unrolled: 3-line block ×3, first 2 shown]
	s_cmp_gt_i32 s28, 9
	s_cbranch_scc0 .LBB166_505
; %bb.501:
	global_load_dwordx4 v[3:6], v[0:1], off
	s_movk_i32 s0, 0x7fff
	s_waitcnt vmcnt(0)
	v_cvt_f32_f64_e32 v3, v[3:4]
	v_cvt_f32_f64_e32 v4, v[5:6]
	v_mov_b32_e32 v5, 0x7fc0
	v_mov_b32_e32 v6, 0x7fc00000
	v_bfe_u32 v7, v3, 16, 1
	v_bfe_u32 v8, v4, 16, 1
	v_cmp_o_f32_e32 vcc, v3, v3
	v_add3_u32 v3, v3, v7, s0
	v_add3_u32 v7, v4, v8, s0
	v_cndmask_b32_sdwa v3, v5, v3, vcc dst_sel:DWORD dst_unused:UNUSED_PAD src0_sel:DWORD src1_sel:WORD_1
	v_and_b32_e32 v5, 0xffff0000, v7
	v_cmp_o_f32_e32 vcc, v4, v4
	v_cndmask_b32_e32 v4, v6, v5, vcc
	s_mov_b64 s[0:1], 0
	s_branch .LBB166_506
.LBB166_502:
	s_mov_b64 s[0:1], -1
                                        ; implicit-def: $vgpr4
                                        ; implicit-def: $vgpr3
	s_branch .LBB166_525
.LBB166_503:
	s_mov_b64 s[0:1], -1
                                        ; implicit-def: $vgpr4
                                        ; implicit-def: $vgpr3
	s_branch .LBB166_512
.LBB166_504:
	s_mov_b64 s[0:1], -1
                                        ; implicit-def: $vgpr4
                                        ; implicit-def: $vgpr3
	s_branch .LBB166_509
.LBB166_505:
	s_mov_b64 s[0:1], -1
                                        ; implicit-def: $vgpr4
                                        ; implicit-def: $vgpr3
.LBB166_506:
	s_andn2_b64 vcc, exec, s[0:1]
	s_cbranch_vccnz .LBB166_508
; %bb.507:
	global_load_dwordx2 v[3:4], v[0:1], off
	s_movk_i32 s0, 0x7fff
	v_mov_b32_e32 v5, 0x7fc0
	v_mov_b32_e32 v6, 0x7fc00000
	s_waitcnt vmcnt(0)
	v_bfe_u32 v7, v3, 16, 1
	v_bfe_u32 v8, v4, 16, 1
	v_cmp_o_f32_e32 vcc, v3, v3
	v_add3_u32 v3, v3, v7, s0
	v_add3_u32 v7, v4, v8, s0
	v_cndmask_b32_sdwa v3, v5, v3, vcc dst_sel:DWORD dst_unused:UNUSED_PAD src0_sel:DWORD src1_sel:WORD_1
	v_and_b32_e32 v5, 0xffff0000, v7
	v_cmp_o_f32_e32 vcc, v4, v4
	v_cndmask_b32_e32 v4, v6, v5, vcc
.LBB166_508:
	s_mov_b64 s[0:1], 0
.LBB166_509:
	s_andn2_b64 vcc, exec, s[0:1]
	s_cbranch_vccnz .LBB166_511
; %bb.510:
	global_load_dword v4, v[0:1], off
	s_movk_i32 s0, 0x7fff
	s_waitcnt vmcnt(1)
	v_mov_b32_e32 v3, 0x7fc0
	v_mov_b32_e32 v7, 0x7fc00000
	s_waitcnt vmcnt(0)
	v_cvt_f32_f16_e32 v5, v4
	v_cvt_f32_f16_sdwa v6, v4 dst_sel:DWORD dst_unused:UNUSED_PAD src0_sel:WORD_1
	v_cmp_o_f16_e32 vcc, v4, v4
	v_bfe_u32 v8, v5, 16, 1
	v_bfe_u32 v9, v6, 16, 1
	v_add3_u32 v5, v5, v8, s0
	v_add3_u32 v6, v6, v9, s0
	v_cndmask_b32_sdwa v3, v3, v5, vcc dst_sel:DWORD dst_unused:UNUSED_PAD src0_sel:DWORD src1_sel:WORD_1
	v_and_b32_e32 v5, 0xffff0000, v6
	v_cmp_o_f16_sdwa vcc, v4, v4 src0_sel:WORD_1 src1_sel:WORD_1
	v_cndmask_b32_e32 v4, v7, v5, vcc
.LBB166_511:
	s_mov_b64 s[0:1], 0
.LBB166_512:
	s_andn2_b64 vcc, exec, s[0:1]
	s_cbranch_vccnz .LBB166_524
; %bb.513:
	s_cmp_lt_i32 s28, 6
	s_cbranch_scc1 .LBB166_516
; %bb.514:
	s_cmp_gt_i32 s28, 6
	s_cbranch_scc0 .LBB166_517
; %bb.515:
	global_load_dwordx2 v[3:4], v[0:1], off
	s_movk_i32 s0, 0x7fff
	s_waitcnt vmcnt(0)
	v_cvt_f32_f64_e32 v3, v[3:4]
	v_mov_b32_e32 v4, 0x7fc0
	v_bfe_u32 v5, v3, 16, 1
	v_cmp_o_f32_e32 vcc, v3, v3
	v_add3_u32 v3, v3, v5, s0
	v_cndmask_b32_sdwa v3, v4, v3, vcc dst_sel:DWORD dst_unused:UNUSED_PAD src0_sel:DWORD src1_sel:WORD_1
	s_mov_b64 s[0:1], 0
	s_branch .LBB166_518
.LBB166_516:
	s_mov_b64 s[0:1], -1
                                        ; implicit-def: $vgpr3
	s_branch .LBB166_521
.LBB166_517:
	s_mov_b64 s[0:1], -1
                                        ; implicit-def: $vgpr3
.LBB166_518:
	s_andn2_b64 vcc, exec, s[0:1]
	s_cbranch_vccnz .LBB166_520
; %bb.519:
	global_load_dword v3, v[0:1], off
	s_movk_i32 s0, 0x7fff
	v_mov_b32_e32 v4, 0x7fc0
	s_waitcnt vmcnt(0)
	v_bfe_u32 v5, v3, 16, 1
	v_cmp_o_f32_e32 vcc, v3, v3
	v_add3_u32 v3, v3, v5, s0
	v_cndmask_b32_sdwa v3, v4, v3, vcc dst_sel:DWORD dst_unused:UNUSED_PAD src0_sel:DWORD src1_sel:WORD_1
.LBB166_520:
	s_mov_b64 s[0:1], 0
.LBB166_521:
	s_andn2_b64 vcc, exec, s[0:1]
	s_cbranch_vccnz .LBB166_523
; %bb.522:
	global_load_ushort v3, v[0:1], off
	s_movk_i32 s0, 0x7fff
	v_mov_b32_e32 v5, 0x7fc0
	s_waitcnt vmcnt(0)
	v_cvt_f32_f16_e32 v4, v3
	v_cmp_o_f16_e32 vcc, v3, v3
	v_bfe_u32 v3, v4, 16, 1
	v_add3_u32 v3, v4, v3, s0
	v_cndmask_b32_sdwa v3, v5, v3, vcc dst_sel:DWORD dst_unused:UNUSED_PAD src0_sel:DWORD src1_sel:WORD_1
.LBB166_523:
	v_mov_b32_e32 v4, 0
.LBB166_524:
	s_mov_b64 s[0:1], 0
.LBB166_525:
	s_andn2_b64 vcc, exec, s[0:1]
	s_cbranch_vccnz .LBB166_546
; %bb.526:
	s_cmp_lt_i32 s28, 2
	s_cbranch_scc1 .LBB166_530
; %bb.527:
	s_cmp_lt_i32 s28, 3
	s_cbranch_scc1 .LBB166_531
; %bb.528:
	s_cmp_gt_i32 s28, 3
	s_cbranch_scc0 .LBB166_532
; %bb.529:
	global_load_dwordx2 v[3:4], v[0:1], off
	s_movk_i32 s0, 0x7fff
	s_waitcnt vmcnt(0)
	v_xor_b32_e32 v6, v3, v4
	v_ffbh_i32_e32 v5, v4
	v_ashrrev_i32_e32 v6, 31, v6
	v_add_u32_e32 v5, -1, v5
	v_add_u32_e32 v6, 32, v6
	v_min_u32_e32 v5, v5, v6
	v_lshlrev_b64 v[3:4], v5, v[3:4]
	v_min_u32_e32 v3, 1, v3
	v_or_b32_e32 v3, v4, v3
	v_cvt_f32_i32_e32 v3, v3
	v_sub_u32_e32 v4, 32, v5
	v_ldexp_f32 v3, v3, v4
	v_bfe_u32 v4, v3, 16, 1
	v_add3_u32 v3, v3, v4, s0
	v_lshrrev_b32_e32 v3, 16, v3
	s_mov_b64 s[0:1], 0
	s_branch .LBB166_533
.LBB166_530:
	s_mov_b64 s[0:1], -1
                                        ; implicit-def: $vgpr3
	s_branch .LBB166_539
.LBB166_531:
	s_mov_b64 s[0:1], -1
                                        ; implicit-def: $vgpr3
	s_branch .LBB166_536
.LBB166_532:
	s_mov_b64 s[0:1], -1
                                        ; implicit-def: $vgpr3
.LBB166_533:
	s_andn2_b64 vcc, exec, s[0:1]
	s_cbranch_vccnz .LBB166_535
; %bb.534:
	global_load_dword v3, v[0:1], off
	s_movk_i32 s0, 0x7fff
	s_waitcnt vmcnt(0)
	v_cvt_f32_i32_e32 v3, v3
	v_bfe_u32 v4, v3, 16, 1
	v_add3_u32 v3, v3, v4, s0
	v_lshrrev_b32_e32 v3, 16, v3
.LBB166_535:
	s_mov_b64 s[0:1], 0
.LBB166_536:
	s_andn2_b64 vcc, exec, s[0:1]
	s_cbranch_vccnz .LBB166_538
; %bb.537:
	global_load_sshort v3, v[0:1], off
	s_movk_i32 s0, 0x7fff
	s_waitcnt vmcnt(0)
	v_cvt_f32_i32_e32 v3, v3
	v_bfe_u32 v4, v3, 16, 1
	v_add3_u32 v3, v3, v4, s0
	v_lshrrev_b32_e32 v3, 16, v3
.LBB166_538:
	s_mov_b64 s[0:1], 0
.LBB166_539:
	s_andn2_b64 vcc, exec, s[0:1]
	s_cbranch_vccnz .LBB166_545
; %bb.540:
	s_cmp_gt_i32 s28, 0
	s_cbranch_scc0 .LBB166_542
; %bb.541:
	global_load_sbyte v3, v[0:1], off
	s_movk_i32 s0, 0x7fff
	s_waitcnt vmcnt(0)
	v_cvt_f32_i32_e32 v3, v3
	v_bfe_u32 v4, v3, 16, 1
	v_add3_u32 v3, v3, v4, s0
	v_lshrrev_b32_e32 v3, 16, v3
	s_mov_b64 s[0:1], 0
	s_branch .LBB166_543
.LBB166_542:
	s_mov_b64 s[0:1], -1
                                        ; implicit-def: $vgpr3
.LBB166_543:
	s_andn2_b64 vcc, exec, s[0:1]
	s_cbranch_vccnz .LBB166_545
; %bb.544:
	global_load_ubyte v0, v[0:1], off
	s_movk_i32 s0, 0x7fff
	s_waitcnt vmcnt(0)
	v_cvt_f32_ubyte0_e32 v0, v0
	v_bfe_u32 v1, v0, 16, 1
	v_add3_u32 v0, v0, v1, s0
	v_lshrrev_b32_e32 v3, 16, v0
.LBB166_545:
	v_mov_b32_e32 v4, 0
.LBB166_546:
	s_branch .LBB166_410
.LBB166_547:
	s_mov_b64 s[36:37], 0
	s_mov_b64 s[0:1], s[18:19]
	s_mov_b64 s[28:29], s[20:21]
.LBB166_548:
                                        ; implicit-def: $vgpr2
	s_branch .LBB166_800
.LBB166_549:
	s_andn2_saveexec_b64 s[34:35], s[34:35]
	s_cbranch_execz .LBB166_201
.LBB166_550:
	v_add_f32_e32 v3, 0x42800000, v4
	v_and_b32_e32 v3, 0xff, v3
	v_cmp_ne_u32_e32 vcc, 0, v3
	s_andn2_b64 s[30:31], s[30:31], exec
	s_and_b64 s[38:39], vcc, exec
	s_or_b64 s[30:31], s[30:31], s[38:39]
	s_or_b64 exec, exec, s[34:35]
	v_mov_b32_e32 v5, 0
	s_and_saveexec_b64 s[34:35], s[30:31]
	s_cbranch_execnz .LBB166_202
	s_branch .LBB166_203
.LBB166_551:
	s_mov_b64 s[28:29], -1
                                        ; implicit-def: $vgpr6
                                        ; implicit-def: $vgpr5
	s_mov_b64 s[0:1], 0
.LBB166_552:
	s_and_b64 vcc, exec, s[30:31]
	s_cbranch_vccz .LBB166_557
; %bb.553:
	s_cmp_eq_u32 s39, 44
	s_cbranch_scc0 .LBB166_555
; %bb.554:
	global_load_ubyte v5, v[0:1], off
	s_movk_i32 s28, 0xff
	v_mov_b32_e32 v6, 0x7f800001
	v_mov_b32_e32 v7, 0x400000
	;; [unrolled: 1-line block ×3, first 2 shown]
	s_mov_b64 s[0:1], -1
	s_waitcnt vmcnt(0)
	v_lshlrev_b32_e32 v9, 23, v5
	v_cmp_ne_u32_e32 vcc, s28, v5
	v_cndmask_b32_e32 v6, v6, v9, vcc
	v_cmp_ne_u32_e32 vcc, 0, v5
	v_cndmask_b32_e32 v5, v7, v6, vcc
	v_add_u32_e32 v6, 0x7fff, v5
	v_cmp_o_f32_e32 vcc, v5, v5
	v_cndmask_b32_sdwa v5, v8, v6, vcc dst_sel:DWORD dst_unused:UNUSED_PAD src0_sel:DWORD src1_sel:WORD_1
	s_mov_b64 s[28:29], 0
	s_branch .LBB166_556
.LBB166_555:
	s_mov_b64 s[28:29], -1
                                        ; implicit-def: $vgpr5
.LBB166_556:
	v_mov_b32_e32 v6, 0
.LBB166_557:
	s_mov_b64 s[30:31], 0
.LBB166_558:
	s_and_b64 vcc, exec, s[30:31]
	s_cbranch_vccz .LBB166_563
; %bb.559:
	s_cmp_eq_u32 s39, 29
	s_cbranch_scc0 .LBB166_561
; %bb.560:
	global_load_dwordx2 v[5:6], v[0:1], off
	s_movk_i32 s28, 0x7fff
	s_mov_b64 s[0:1], -1
	s_waitcnt vmcnt(0)
	v_ffbh_u32_e32 v7, v6
	v_min_u32_e32 v7, 32, v7
	v_lshlrev_b64 v[5:6], v7, v[5:6]
	v_min_u32_e32 v5, 1, v5
	v_or_b32_e32 v5, v6, v5
	v_cvt_f32_u32_e32 v5, v5
	v_sub_u32_e32 v6, 32, v7
	v_ldexp_f32 v5, v5, v6
	v_bfe_u32 v6, v5, 16, 1
	v_add3_u32 v5, v5, v6, s28
	v_lshrrev_b32_e32 v5, 16, v5
	s_mov_b64 s[28:29], 0
	s_branch .LBB166_562
.LBB166_561:
	s_mov_b64 s[28:29], -1
                                        ; implicit-def: $vgpr5
.LBB166_562:
	v_mov_b32_e32 v6, 0
.LBB166_563:
	s_mov_b64 s[30:31], 0
.LBB166_564:
	s_and_b64 vcc, exec, s[30:31]
	s_cbranch_vccz .LBB166_582
; %bb.565:
	s_cmp_lt_i32 s39, 27
	s_cbranch_scc1 .LBB166_568
; %bb.566:
	s_cmp_gt_i32 s39, 27
	s_cbranch_scc0 .LBB166_569
; %bb.567:
	global_load_dword v5, v[0:1], off
	s_movk_i32 s0, 0x7fff
	s_waitcnt vmcnt(0)
	v_cvt_f32_u32_e32 v5, v5
	v_bfe_u32 v6, v5, 16, 1
	v_add3_u32 v5, v5, v6, s0
	v_lshrrev_b32_e32 v5, 16, v5
	s_mov_b64 s[0:1], 0
	s_branch .LBB166_570
.LBB166_568:
	s_mov_b64 s[0:1], -1
                                        ; implicit-def: $vgpr5
	s_branch .LBB166_573
.LBB166_569:
	s_mov_b64 s[0:1], -1
                                        ; implicit-def: $vgpr5
.LBB166_570:
	s_andn2_b64 vcc, exec, s[0:1]
	s_cbranch_vccnz .LBB166_572
; %bb.571:
	global_load_ushort v5, v[0:1], off
	s_movk_i32 s0, 0x7fff
	s_waitcnt vmcnt(0)
	v_cvt_f32_u32_e32 v5, v5
	v_bfe_u32 v6, v5, 16, 1
	v_add3_u32 v5, v5, v6, s0
	v_lshrrev_b32_e32 v5, 16, v5
.LBB166_572:
	s_mov_b64 s[0:1], 0
.LBB166_573:
	s_andn2_b64 vcc, exec, s[0:1]
	s_cbranch_vccnz .LBB166_581
; %bb.574:
	global_load_ubyte v5, v[0:1], off
	s_movk_i32 s0, 0x7f
	s_waitcnt vmcnt(0)
	v_cmp_lt_i16_e32 vcc, s0, v5
	s_mov_b64 s[0:1], 0
	s_and_saveexec_b64 s[30:31], vcc
	s_xor_b64 s[30:31], exec, s[30:31]
	s_cbranch_execz .LBB166_595
; %bb.575:
	s_movk_i32 s0, 0x80
	v_cmp_eq_u16_e32 vcc, s0, v5
	s_mov_b64 s[0:1], -1
	s_and_saveexec_b64 s[36:37], vcc
; %bb.576:
	s_xor_b64 s[0:1], exec, -1
; %bb.577:
	s_or_b64 exec, exec, s[36:37]
	s_and_b64 s[0:1], s[0:1], exec
	s_or_saveexec_b64 s[30:31], s[30:31]
	v_mov_b32_e32 v6, 0x7f800001
	s_xor_b64 exec, exec, s[30:31]
	s_cbranch_execnz .LBB166_596
.LBB166_578:
	s_or_b64 exec, exec, s[30:31]
	s_and_saveexec_b64 s[30:31], s[0:1]
	s_cbranch_execz .LBB166_580
.LBB166_579:
	v_lshlrev_b32_e32 v6, 24, v5
	v_and_b32_e32 v5, 0xffff, v5
	v_and_b32_e32 v7, 7, v5
	v_ffbh_u32_e32 v9, v7
	v_min_u32_e32 v9, 32, v9
	v_subrev_u32_e32 v10, 28, v9
	v_bfe_u32 v8, v5, 3, 4
	v_lshlrev_b32_e32 v5, v10, v5
	v_sub_u32_e32 v9, 29, v9
	v_and_b32_e32 v5, 7, v5
	v_cmp_eq_u32_e32 vcc, 0, v8
	v_cndmask_b32_e32 v8, v8, v9, vcc
	v_cndmask_b32_e32 v5, v7, v5, vcc
	v_mov_b32_e32 v7, 0x3b800000
	v_lshlrev_b32_e32 v5, 20, v5
	v_and_b32_e32 v6, 0x80000000, v6
	v_lshl_add_u32 v7, v8, 23, v7
	v_or3_b32 v6, v6, v7, v5
.LBB166_580:
	s_or_b64 exec, exec, s[30:31]
	v_bfe_u32 v5, v6, 16, 1
	s_movk_i32 s0, 0x7fff
	v_add3_u32 v5, v6, v5, s0
	v_cmp_o_f32_e32 vcc, v6, v6
	v_mov_b32_e32 v6, 0x7fc0
	v_cndmask_b32_sdwa v5, v6, v5, vcc dst_sel:DWORD dst_unused:UNUSED_PAD src0_sel:DWORD src1_sel:WORD_1
.LBB166_581:
	s_mov_b64 s[0:1], -1
	v_mov_b32_e32 v6, 0
.LBB166_582:
	s_mov_b64 s[30:31], 0
.LBB166_583:
	s_and_b64 vcc, exec, s[30:31]
	s_cbranch_vccz .LBB166_619
; %bb.584:
	s_cmp_gt_i32 s39, 22
	s_cbranch_scc0 .LBB166_594
; %bb.585:
	s_cmp_lt_i32 s39, 24
	s_cbranch_scc1 .LBB166_597
; %bb.586:
	s_cmp_gt_i32 s39, 24
	s_cbranch_scc0 .LBB166_598
; %bb.587:
	global_load_ubyte v5, v[0:1], off
	s_movk_i32 s0, 0x7f
	s_waitcnt vmcnt(0)
	v_cmp_lt_i16_e32 vcc, s0, v5
	s_mov_b64 s[0:1], 0
	s_and_saveexec_b64 s[30:31], vcc
	s_xor_b64 s[30:31], exec, s[30:31]
	s_cbranch_execz .LBB166_610
; %bb.588:
	s_movk_i32 s0, 0x80
	v_cmp_eq_u16_e32 vcc, s0, v5
	s_mov_b64 s[0:1], -1
	s_and_saveexec_b64 s[36:37], vcc
; %bb.589:
	s_xor_b64 s[0:1], exec, -1
; %bb.590:
	s_or_b64 exec, exec, s[36:37]
	s_and_b64 s[0:1], s[0:1], exec
	s_or_saveexec_b64 s[30:31], s[30:31]
	v_mov_b32_e32 v6, 0x7f800001
	s_xor_b64 exec, exec, s[30:31]
	s_cbranch_execnz .LBB166_611
.LBB166_591:
	s_or_b64 exec, exec, s[30:31]
	s_and_saveexec_b64 s[30:31], s[0:1]
	s_cbranch_execz .LBB166_593
.LBB166_592:
	v_lshlrev_b32_e32 v6, 24, v5
	v_and_b32_e32 v5, 0xffff, v5
	v_and_b32_e32 v7, 3, v5
	v_ffbh_u32_e32 v9, v7
	v_min_u32_e32 v9, 32, v9
	v_subrev_u32_e32 v10, 29, v9
	v_bfe_u32 v8, v5, 2, 5
	v_lshlrev_b32_e32 v5, v10, v5
	v_sub_u32_e32 v9, 30, v9
	v_and_b32_e32 v5, 3, v5
	v_cmp_eq_u32_e32 vcc, 0, v8
	v_cndmask_b32_e32 v8, v8, v9, vcc
	v_cndmask_b32_e32 v5, v7, v5, vcc
	v_mov_b32_e32 v7, 0x37800000
	v_lshlrev_b32_e32 v5, 21, v5
	v_and_b32_e32 v6, 0x80000000, v6
	v_lshl_add_u32 v7, v8, 23, v7
	v_or3_b32 v6, v6, v7, v5
.LBB166_593:
	s_or_b64 exec, exec, s[30:31]
	v_bfe_u32 v5, v6, 16, 1
	s_movk_i32 s0, 0x7fff
	v_add3_u32 v5, v6, v5, s0
	v_cmp_o_f32_e32 vcc, v6, v6
	v_mov_b32_e32 v6, 0x7fc0
	v_cndmask_b32_sdwa v5, v6, v5, vcc dst_sel:DWORD dst_unused:UNUSED_PAD src0_sel:DWORD src1_sel:WORD_1
	s_mov_b64 s[0:1], 0
	s_branch .LBB166_599
.LBB166_594:
	s_mov_b64 s[30:31], -1
                                        ; implicit-def: $vgpr5
	s_branch .LBB166_605
.LBB166_595:
	s_or_saveexec_b64 s[30:31], s[30:31]
	v_mov_b32_e32 v6, 0x7f800001
	s_xor_b64 exec, exec, s[30:31]
	s_cbranch_execz .LBB166_578
.LBB166_596:
	v_cmp_ne_u16_e32 vcc, 0, v5
	s_andn2_b64 s[0:1], s[0:1], exec
	s_and_b64 s[36:37], vcc, exec
	v_mov_b32_e32 v6, 0
	s_or_b64 s[0:1], s[0:1], s[36:37]
	s_or_b64 exec, exec, s[30:31]
	s_and_saveexec_b64 s[30:31], s[0:1]
	s_cbranch_execnz .LBB166_579
	s_branch .LBB166_580
.LBB166_597:
	s_mov_b64 s[0:1], -1
                                        ; implicit-def: $vgpr5
	s_branch .LBB166_602
.LBB166_598:
	s_mov_b64 s[0:1], -1
                                        ; implicit-def: $vgpr5
.LBB166_599:
	s_and_b64 vcc, exec, s[0:1]
	s_cbranch_vccz .LBB166_601
; %bb.600:
	global_load_ubyte v5, v[0:1], off
	s_mov_b32 s0, 0x7f800000
	s_brev_b32 s1, 1
	s_movk_i32 s30, 0x7fff
	s_waitcnt vmcnt(0)
	v_lshlrev_b32_e32 v5, 24, v5
	v_and_b32_e32 v6, 0x7f000000, v5
	v_ffbh_u32_e32 v7, v6
	v_min_u32_e32 v7, 32, v7
	v_sub_u32_e64 v7, v7, 4 clamp
	v_lshlrev_b32_e32 v9, v7, v6
	v_lshlrev_b32_e32 v7, 23, v7
	v_lshrrev_b32_e32 v9, 4, v9
	v_add_u32_e32 v8, 0x1000000, v6
	v_sub_u32_e32 v7, v9, v7
	v_ashrrev_i32_e32 v8, 8, v8
	v_add_u32_e32 v7, 0x3c000000, v7
	v_and_or_b32 v7, v8, s0, v7
	v_cmp_ne_u32_e32 vcc, 0, v6
	v_cndmask_b32_e32 v6, 0, v7, vcc
	v_and_or_b32 v5, v5, s1, v6
	v_bfe_u32 v6, v6, 16, 1
	v_add3_u32 v6, v5, v6, s30
	v_cmp_o_f32_e32 vcc, v5, v5
	v_mov_b32_e32 v5, 0x7fc0
	v_cndmask_b32_sdwa v5, v5, v6, vcc dst_sel:DWORD dst_unused:UNUSED_PAD src0_sel:DWORD src1_sel:WORD_1
.LBB166_601:
	s_mov_b64 s[0:1], 0
.LBB166_602:
	s_andn2_b64 vcc, exec, s[0:1]
	s_cbranch_vccnz .LBB166_604
; %bb.603:
	global_load_ubyte v5, v[0:1], off
	s_movk_i32 s0, 0x7f00
	s_brev_b32 s1, 16
	s_brev_b32 s30, 1
	s_movk_i32 s31, 0x7fff
	s_waitcnt vmcnt(0)
	v_lshlrev_b16_e32 v6, 8, v5
	v_lshlrev_b32_e32 v5, 25, v5
	v_lshrrev_b32_e32 v7, 4, v5
	v_and_or_b32 v8, v6, s0, 0.5
	v_or_b32_e32 v7, 0x70000000, v7
	v_add_f32_e32 v8, -0.5, v8
	v_mul_f32_e32 v7, 0x7800000, v7
	v_cmp_gt_u32_e32 vcc, s1, v5
	v_bfe_i32 v6, v6, 0, 16
	v_cndmask_b32_e32 v5, v7, v8, vcc
	v_and_or_b32 v6, v6, s30, v5
	v_bfe_u32 v5, v5, 16, 1
	v_add3_u32 v5, v6, v5, s31
	v_cmp_o_f32_e32 vcc, v6, v6
	v_mov_b32_e32 v6, 0x7fc0
	v_cndmask_b32_sdwa v5, v6, v5, vcc dst_sel:DWORD dst_unused:UNUSED_PAD src0_sel:DWORD src1_sel:WORD_1
.LBB166_604:
	s_mov_b64 s[30:31], 0
	s_mov_b64 s[0:1], -1
.LBB166_605:
	s_andn2_b64 vcc, exec, s[30:31]
	s_cbranch_vccnz .LBB166_618
; %bb.606:
	s_cmp_gt_i32 s39, 14
	s_cbranch_scc0 .LBB166_609
; %bb.607:
	s_cmp_eq_u32 s39, 15
	s_cbranch_scc0 .LBB166_612
; %bb.608:
	global_load_ushort v5, v[0:1], off
	s_mov_b64 s[0:1], -1
	s_mov_b64 s[28:29], 0
	s_branch .LBB166_613
.LBB166_609:
	s_mov_b64 s[30:31], -1
                                        ; implicit-def: $vgpr5
	s_branch .LBB166_614
.LBB166_610:
	s_or_saveexec_b64 s[30:31], s[30:31]
	v_mov_b32_e32 v6, 0x7f800001
	s_xor_b64 exec, exec, s[30:31]
	s_cbranch_execz .LBB166_591
.LBB166_611:
	v_cmp_ne_u16_e32 vcc, 0, v5
	s_andn2_b64 s[0:1], s[0:1], exec
	s_and_b64 s[36:37], vcc, exec
	v_mov_b32_e32 v6, 0
	s_or_b64 s[0:1], s[0:1], s[36:37]
	s_or_b64 exec, exec, s[30:31]
	s_and_saveexec_b64 s[30:31], s[0:1]
	s_cbranch_execnz .LBB166_592
	s_branch .LBB166_593
.LBB166_612:
	s_mov_b64 s[28:29], -1
                                        ; implicit-def: $vgpr5
.LBB166_613:
	s_mov_b64 s[30:31], 0
.LBB166_614:
	s_and_b64 vcc, exec, s[30:31]
	s_cbranch_vccz .LBB166_618
; %bb.615:
	s_cmp_eq_u32 s39, 11
	s_cbranch_scc0 .LBB166_617
; %bb.616:
	global_load_ubyte v5, v[0:1], off
	s_mov_b64 s[0:1], -1
	s_mov_b64 s[28:29], 0
	v_mov_b32_e32 v6, 0
	s_waitcnt vmcnt(0)
	v_cmp_ne_u16_e32 vcc, 0, v5
	v_cndmask_b32_e64 v5, 0, 1.0, vcc
	v_lshrrev_b32_e32 v5, 16, v5
	s_branch .LBB166_619
.LBB166_617:
	s_mov_b64 s[28:29], -1
                                        ; implicit-def: $vgpr5
.LBB166_618:
	v_mov_b32_e32 v6, 0
.LBB166_619:
	s_mov_b64 s[30:31], 0
.LBB166_620:
	s_and_b64 vcc, exec, s[30:31]
	s_cbranch_vccz .LBB166_671
; %bb.621:
	s_and_b32 s30, 0xffff, s38
	s_cmp_lt_i32 s30, 5
	s_cbranch_scc1 .LBB166_626
; %bb.622:
	s_cmp_lt_i32 s30, 8
	s_cbranch_scc1 .LBB166_627
; %bb.623:
	;; [unrolled: 3-line block ×3, first 2 shown]
	s_cmp_gt_i32 s30, 9
	s_cbranch_scc0 .LBB166_629
; %bb.625:
	global_load_dwordx4 v[5:8], v[0:1], off
	s_movk_i32 s0, 0x7fff
	s_waitcnt vmcnt(0)
	v_cvt_f32_f64_e32 v5, v[5:6]
	v_cvt_f32_f64_e32 v6, v[7:8]
	v_mov_b32_e32 v7, 0x7fc0
	v_mov_b32_e32 v8, 0x7fc00000
	v_bfe_u32 v9, v5, 16, 1
	v_bfe_u32 v10, v6, 16, 1
	v_cmp_o_f32_e32 vcc, v5, v5
	v_add3_u32 v5, v5, v9, s0
	v_add3_u32 v9, v6, v10, s0
	v_cndmask_b32_sdwa v5, v7, v5, vcc dst_sel:DWORD dst_unused:UNUSED_PAD src0_sel:DWORD src1_sel:WORD_1
	v_and_b32_e32 v7, 0xffff0000, v9
	v_cmp_o_f32_e32 vcc, v6, v6
	v_cndmask_b32_e32 v6, v8, v7, vcc
	s_mov_b64 s[0:1], 0
	s_branch .LBB166_630
.LBB166_626:
	s_mov_b64 s[0:1], -1
                                        ; implicit-def: $vgpr6
                                        ; implicit-def: $vgpr5
	s_branch .LBB166_649
.LBB166_627:
	s_mov_b64 s[0:1], -1
                                        ; implicit-def: $vgpr6
                                        ; implicit-def: $vgpr5
	s_branch .LBB166_636
.LBB166_628:
	s_mov_b64 s[0:1], -1
                                        ; implicit-def: $vgpr6
                                        ; implicit-def: $vgpr5
	s_branch .LBB166_633
.LBB166_629:
	s_mov_b64 s[0:1], -1
                                        ; implicit-def: $vgpr6
                                        ; implicit-def: $vgpr5
.LBB166_630:
	s_andn2_b64 vcc, exec, s[0:1]
	s_cbranch_vccnz .LBB166_632
; %bb.631:
	global_load_dwordx2 v[5:6], v[0:1], off
	s_movk_i32 s0, 0x7fff
	v_mov_b32_e32 v7, 0x7fc0
	v_mov_b32_e32 v8, 0x7fc00000
	s_waitcnt vmcnt(0)
	v_bfe_u32 v9, v5, 16, 1
	v_bfe_u32 v10, v6, 16, 1
	v_cmp_o_f32_e32 vcc, v5, v5
	v_add3_u32 v5, v5, v9, s0
	v_add3_u32 v9, v6, v10, s0
	v_cndmask_b32_sdwa v5, v7, v5, vcc dst_sel:DWORD dst_unused:UNUSED_PAD src0_sel:DWORD src1_sel:WORD_1
	v_and_b32_e32 v7, 0xffff0000, v9
	v_cmp_o_f32_e32 vcc, v6, v6
	v_cndmask_b32_e32 v6, v8, v7, vcc
.LBB166_632:
	s_mov_b64 s[0:1], 0
.LBB166_633:
	s_andn2_b64 vcc, exec, s[0:1]
	s_cbranch_vccnz .LBB166_635
; %bb.634:
	global_load_dword v6, v[0:1], off
	s_movk_i32 s0, 0x7fff
	s_waitcnt vmcnt(1)
	v_mov_b32_e32 v5, 0x7fc0
	v_mov_b32_e32 v9, 0x7fc00000
	s_waitcnt vmcnt(0)
	v_cvt_f32_f16_e32 v7, v6
	v_cvt_f32_f16_sdwa v8, v6 dst_sel:DWORD dst_unused:UNUSED_PAD src0_sel:WORD_1
	v_cmp_o_f16_e32 vcc, v6, v6
	v_bfe_u32 v10, v7, 16, 1
	v_bfe_u32 v11, v8, 16, 1
	v_add3_u32 v7, v7, v10, s0
	v_add3_u32 v8, v8, v11, s0
	v_cndmask_b32_sdwa v5, v5, v7, vcc dst_sel:DWORD dst_unused:UNUSED_PAD src0_sel:DWORD src1_sel:WORD_1
	v_and_b32_e32 v7, 0xffff0000, v8
	v_cmp_o_f16_sdwa vcc, v6, v6 src0_sel:WORD_1 src1_sel:WORD_1
	v_cndmask_b32_e32 v6, v9, v7, vcc
.LBB166_635:
	s_mov_b64 s[0:1], 0
.LBB166_636:
	s_andn2_b64 vcc, exec, s[0:1]
	s_cbranch_vccnz .LBB166_648
; %bb.637:
	s_cmp_lt_i32 s30, 6
	s_cbranch_scc1 .LBB166_640
; %bb.638:
	s_cmp_gt_i32 s30, 6
	s_cbranch_scc0 .LBB166_641
; %bb.639:
	global_load_dwordx2 v[5:6], v[0:1], off
	s_movk_i32 s0, 0x7fff
	s_waitcnt vmcnt(0)
	v_cvt_f32_f64_e32 v5, v[5:6]
	v_mov_b32_e32 v6, 0x7fc0
	v_bfe_u32 v7, v5, 16, 1
	v_cmp_o_f32_e32 vcc, v5, v5
	v_add3_u32 v5, v5, v7, s0
	v_cndmask_b32_sdwa v5, v6, v5, vcc dst_sel:DWORD dst_unused:UNUSED_PAD src0_sel:DWORD src1_sel:WORD_1
	s_mov_b64 s[0:1], 0
	s_branch .LBB166_642
.LBB166_640:
	s_mov_b64 s[0:1], -1
                                        ; implicit-def: $vgpr5
	s_branch .LBB166_645
.LBB166_641:
	s_mov_b64 s[0:1], -1
                                        ; implicit-def: $vgpr5
.LBB166_642:
	s_andn2_b64 vcc, exec, s[0:1]
	s_cbranch_vccnz .LBB166_644
; %bb.643:
	global_load_dword v5, v[0:1], off
	s_movk_i32 s0, 0x7fff
	v_mov_b32_e32 v6, 0x7fc0
	s_waitcnt vmcnt(0)
	v_bfe_u32 v7, v5, 16, 1
	v_cmp_o_f32_e32 vcc, v5, v5
	v_add3_u32 v5, v5, v7, s0
	v_cndmask_b32_sdwa v5, v6, v5, vcc dst_sel:DWORD dst_unused:UNUSED_PAD src0_sel:DWORD src1_sel:WORD_1
.LBB166_644:
	s_mov_b64 s[0:1], 0
.LBB166_645:
	s_andn2_b64 vcc, exec, s[0:1]
	s_cbranch_vccnz .LBB166_647
; %bb.646:
	global_load_ushort v5, v[0:1], off
	s_movk_i32 s0, 0x7fff
	v_mov_b32_e32 v7, 0x7fc0
	s_waitcnt vmcnt(0)
	v_cvt_f32_f16_e32 v6, v5
	v_cmp_o_f16_e32 vcc, v5, v5
	v_bfe_u32 v5, v6, 16, 1
	v_add3_u32 v5, v6, v5, s0
	v_cndmask_b32_sdwa v5, v7, v5, vcc dst_sel:DWORD dst_unused:UNUSED_PAD src0_sel:DWORD src1_sel:WORD_1
.LBB166_647:
	v_mov_b32_e32 v6, 0
.LBB166_648:
	s_mov_b64 s[0:1], 0
.LBB166_649:
	s_andn2_b64 vcc, exec, s[0:1]
	s_cbranch_vccnz .LBB166_670
; %bb.650:
	s_cmp_lt_i32 s30, 2
	s_cbranch_scc1 .LBB166_654
; %bb.651:
	s_cmp_lt_i32 s30, 3
	s_cbranch_scc1 .LBB166_655
; %bb.652:
	s_cmp_gt_i32 s30, 3
	s_cbranch_scc0 .LBB166_656
; %bb.653:
	global_load_dwordx2 v[5:6], v[0:1], off
	s_movk_i32 s0, 0x7fff
	s_waitcnt vmcnt(0)
	v_xor_b32_e32 v8, v5, v6
	v_ffbh_i32_e32 v7, v6
	v_ashrrev_i32_e32 v8, 31, v8
	v_add_u32_e32 v7, -1, v7
	v_add_u32_e32 v8, 32, v8
	v_min_u32_e32 v7, v7, v8
	v_lshlrev_b64 v[5:6], v7, v[5:6]
	v_min_u32_e32 v5, 1, v5
	v_or_b32_e32 v5, v6, v5
	v_cvt_f32_i32_e32 v5, v5
	v_sub_u32_e32 v6, 32, v7
	v_ldexp_f32 v5, v5, v6
	v_bfe_u32 v6, v5, 16, 1
	v_add3_u32 v5, v5, v6, s0
	v_lshrrev_b32_e32 v5, 16, v5
	s_mov_b64 s[0:1], 0
	s_branch .LBB166_657
.LBB166_654:
	s_mov_b64 s[0:1], -1
                                        ; implicit-def: $vgpr5
	s_branch .LBB166_663
.LBB166_655:
	s_mov_b64 s[0:1], -1
                                        ; implicit-def: $vgpr5
	s_branch .LBB166_660
.LBB166_656:
	s_mov_b64 s[0:1], -1
                                        ; implicit-def: $vgpr5
.LBB166_657:
	s_andn2_b64 vcc, exec, s[0:1]
	s_cbranch_vccnz .LBB166_659
; %bb.658:
	global_load_dword v5, v[0:1], off
	s_movk_i32 s0, 0x7fff
	s_waitcnt vmcnt(0)
	v_cvt_f32_i32_e32 v5, v5
	v_bfe_u32 v6, v5, 16, 1
	v_add3_u32 v5, v5, v6, s0
	v_lshrrev_b32_e32 v5, 16, v5
.LBB166_659:
	s_mov_b64 s[0:1], 0
.LBB166_660:
	s_andn2_b64 vcc, exec, s[0:1]
	s_cbranch_vccnz .LBB166_662
; %bb.661:
	global_load_sshort v5, v[0:1], off
	s_movk_i32 s0, 0x7fff
	s_waitcnt vmcnt(0)
	v_cvt_f32_i32_e32 v5, v5
	v_bfe_u32 v6, v5, 16, 1
	v_add3_u32 v5, v5, v6, s0
	v_lshrrev_b32_e32 v5, 16, v5
.LBB166_662:
	s_mov_b64 s[0:1], 0
.LBB166_663:
	s_andn2_b64 vcc, exec, s[0:1]
	s_cbranch_vccnz .LBB166_669
; %bb.664:
	s_cmp_gt_i32 s30, 0
	s_cbranch_scc0 .LBB166_666
; %bb.665:
	global_load_sbyte v5, v[0:1], off
	s_movk_i32 s0, 0x7fff
	s_waitcnt vmcnt(0)
	v_cvt_f32_i32_e32 v5, v5
	v_bfe_u32 v6, v5, 16, 1
	v_add3_u32 v5, v5, v6, s0
	v_lshrrev_b32_e32 v5, 16, v5
	s_mov_b64 s[0:1], 0
	s_branch .LBB166_667
.LBB166_666:
	s_mov_b64 s[0:1], -1
                                        ; implicit-def: $vgpr5
.LBB166_667:
	s_andn2_b64 vcc, exec, s[0:1]
	s_cbranch_vccnz .LBB166_669
; %bb.668:
	global_load_ubyte v0, v[0:1], off
	s_movk_i32 s0, 0x7fff
	s_waitcnt vmcnt(0)
	v_cvt_f32_ubyte0_e32 v0, v0
	v_bfe_u32 v1, v0, 16, 1
	v_add3_u32 v0, v0, v1, s0
	v_lshrrev_b32_e32 v5, 16, v0
.LBB166_669:
	v_mov_b32_e32 v6, 0
.LBB166_670:
	s_mov_b64 s[0:1], -1
.LBB166_671:
	s_andn2_b64 vcc, exec, s[0:1]
	s_cbranch_vccnz .LBB166_674
; %bb.672:
	s_waitcnt vmcnt(0)
	v_or_b32_sdwa v0, v4, v3 dst_sel:DWORD dst_unused:UNUSED_PAD src0_sel:DWORD src1_sel:WORD_0
	v_or_b32_sdwa v1, v6, v5 dst_sel:DWORD dst_unused:UNUSED_PAD src0_sel:DWORD src1_sel:WORD_0
	s_andn2_b64 vcc, exec, s[16:17]
	v_lshlrev_b32_e32 v0, 16, v0
	v_lshlrev_b32_e32 v1, 16, v1
	s_cbranch_vccnz .LBB166_675
; %bb.673:
	v_and_b32_e32 v3, 0xffff0000, v4
	v_and_b32_e32 v5, 0xffff0000, v6
	v_cmp_neq_f32_e32 vcc, v0, v1
	v_cmp_neq_f32_e64 s[0:1], v3, v5
	s_or_b64 s[30:31], vcc, s[0:1]
	s_mov_b64 s[0:1], 0
	s_branch .LBB166_676
.LBB166_674:
	s_mov_b64 s[36:37], 0
                                        ; implicit-def: $vgpr2
	s_mov_b64 s[0:1], s[18:19]
	s_branch .LBB166_800
.LBB166_675:
	s_mov_b64 s[0:1], -1
                                        ; implicit-def: $sgpr30_sgpr31
.LBB166_676:
	s_andn2_b64 vcc, exec, s[0:1]
	s_cbranch_vccnz .LBB166_678
; %bb.677:
	v_and_b32_e32 v3, 0xffff0000, v6
	v_and_b32_e32 v4, 0xffff0000, v4
	v_cmp_eq_f32_e32 vcc, v0, v1
	v_cmp_eq_f32_e64 s[0:1], v4, v3
	s_and_b64 s[0:1], vcc, s[0:1]
	s_andn2_b64 s[30:31], s[30:31], exec
	s_and_b64 s[0:1], s[0:1], exec
	s_or_b64 s[30:31], s[30:31], s[0:1]
.LBB166_678:
	v_mul_lo_u32 v0, v2, s12
	v_mov_b32_e32 v1, s9
	s_and_b32 s42, s33, 0xff
	s_cmp_lt_i32 s42, 11
	v_ashrrev_i32_e32 v3, 31, v0
	v_add_co_u32_e32 v0, vcc, s8, v0
	v_addc_co_u32_e32 v1, vcc, v1, v3, vcc
	s_cbranch_scc1 .LBB166_685
; %bb.679:
	s_and_b32 s43, 0xffff, s42
	s_cmp_gt_i32 s43, 25
	s_cbranch_scc0 .LBB166_686
; %bb.680:
	s_cmp_gt_i32 s43, 28
	s_cbranch_scc0 .LBB166_687
; %bb.681:
	;; [unrolled: 3-line block ×4, first 2 shown]
	s_mov_b64 s[38:39], 0
	s_mov_b64 s[0:1], -1
	s_cmp_eq_u32 s43, 46
	s_mov_b64 s[36:37], 0
	s_cbranch_scc0 .LBB166_690
; %bb.684:
	v_cndmask_b32_e64 v3, 0, 1.0, s[30:31]
	v_bfe_u32 v4, v3, 16, 1
	s_movk_i32 s0, 0x7fff
	v_add3_u32 v3, v3, v4, s0
	v_lshrrev_b32_e32 v3, 16, v3
	global_store_dword v[0:1], v3, off
	s_mov_b64 s[36:37], -1
	s_mov_b64 s[0:1], 0
	s_branch .LBB166_690
.LBB166_685:
	s_mov_b64 s[38:39], -1
	s_mov_b64 s[36:37], 0
	s_mov_b64 s[0:1], s[18:19]
	s_branch .LBB166_759
.LBB166_686:
	s_mov_b64 s[38:39], -1
	s_mov_b64 s[36:37], 0
	s_mov_b64 s[0:1], s[18:19]
	s_branch .LBB166_717
.LBB166_687:
	s_mov_b64 s[38:39], -1
	s_mov_b64 s[36:37], 0
	s_mov_b64 s[0:1], s[18:19]
	s_branch .LBB166_700
.LBB166_688:
	s_mov_b64 s[38:39], -1
	s_mov_b64 s[36:37], 0
	s_mov_b64 s[0:1], s[18:19]
	s_branch .LBB166_696
.LBB166_689:
	s_mov_b64 s[38:39], -1
	s_mov_b64 s[36:37], 0
	s_mov_b64 s[0:1], s[18:19]
.LBB166_690:
	s_and_b64 vcc, exec, s[38:39]
	s_cbranch_vccz .LBB166_695
; %bb.691:
	s_cmp_eq_u32 s43, 44
	s_mov_b64 s[0:1], -1
	s_cbranch_scc0 .LBB166_695
; %bb.692:
	v_cndmask_b32_e64 v4, 0, 1.0, s[30:31]
	v_lshrrev_b32_e32 v3, 23, v4
	s_movk_i32 s0, 0xff
	v_cmp_ne_u32_e32 vcc, s0, v3
	v_mov_b32_e32 v5, 0xff
	s_and_saveexec_b64 s[36:37], vcc
; %bb.693:
	s_mov_b32 s0, 0x3fffff
	v_and_b32_e32 v5, 0x400000, v4
	v_and_or_b32 v4, v4, s0, v3
	v_cmp_ne_u32_e32 vcc, 0, v5
	v_cmp_ne_u32_e64 s[0:1], 0, v4
	s_and_b64 s[0:1], vcc, s[0:1]
	v_cndmask_b32_e64 v4, 0, 1, s[0:1]
	v_add_u32_e32 v5, v3, v4
; %bb.694:
	s_or_b64 exec, exec, s[36:37]
	s_mov_b64 s[36:37], -1
	s_mov_b64 s[0:1], 0
	global_store_byte v[0:1], v5, off
.LBB166_695:
	s_mov_b64 s[38:39], 0
.LBB166_696:
	s_and_b64 vcc, exec, s[38:39]
	s_cbranch_vccz .LBB166_699
; %bb.697:
	s_cmp_eq_u32 s43, 29
	s_mov_b64 s[0:1], -1
	s_cbranch_scc0 .LBB166_699
; %bb.698:
	s_mov_b32 s0, 0
	v_cndmask_b32_e64 v3, 0, 1, s[30:31]
	v_mov_b32_e32 v4, s0
	global_store_dwordx2 v[0:1], v[3:4], off
	s_mov_b64 s[36:37], -1
	s_mov_b64 s[0:1], 0
.LBB166_699:
	s_mov_b64 s[38:39], 0
.LBB166_700:
	s_and_b64 vcc, exec, s[38:39]
	s_cbranch_vccz .LBB166_716
; %bb.701:
	s_cmp_lt_i32 s43, 27
	s_mov_b64 s[36:37], -1
	s_cbranch_scc1 .LBB166_707
; %bb.702:
	s_cmp_gt_i32 s43, 27
	s_cbranch_scc0 .LBB166_704
; %bb.703:
	v_cndmask_b32_e64 v3, 0, 1, s[30:31]
	s_mov_b64 s[36:37], 0
	global_store_dword v[0:1], v3, off
.LBB166_704:
	s_andn2_b64 vcc, exec, s[36:37]
	s_cbranch_vccnz .LBB166_706
; %bb.705:
	v_cndmask_b32_e64 v3, 0, 1, s[30:31]
	global_store_short v[0:1], v3, off
.LBB166_706:
	s_mov_b64 s[36:37], 0
.LBB166_707:
	s_andn2_b64 vcc, exec, s[36:37]
	s_cbranch_vccnz .LBB166_715
; %bb.708:
	v_cndmask_b32_e64 v4, 0, 1.0, s[30:31]
	s_mov_b32 s36, 0x43800000
	v_cmp_gt_u32_e32 vcc, s36, v4
	v_mov_b32_e32 v5, 0x80
	s_and_saveexec_b64 s[36:37], vcc
	s_cbranch_execz .LBB166_714
; %bb.709:
	s_mov_b32 s38, 0x3bffffff
	v_cmp_lt_u32_e32 vcc, s38, v4
	s_mov_b64 s[38:39], 0
                                        ; implicit-def: $vgpr3
	s_and_saveexec_b64 s[40:41], vcc
	s_xor_b64 s[40:41], exec, s[40:41]
	s_cbranch_execz .LBB166_816
; %bb.710:
	v_bfe_u32 v3, v4, 20, 1
	s_mov_b32 s44, 0x487ffff
	v_add3_u32 v3, v4, v3, s44
	s_mov_b64 s[38:39], exec
	v_lshrrev_b32_e32 v3, 20, v3
                                        ; implicit-def: $vgpr4
	s_andn2_saveexec_b64 s[40:41], s[40:41]
	s_cbranch_execnz .LBB166_817
.LBB166_711:
	s_or_b64 exec, exec, s[40:41]
	v_mov_b32_e32 v5, 0
	s_and_saveexec_b64 s[40:41], s[38:39]
.LBB166_712:
	v_mov_b32_e32 v5, v3
.LBB166_713:
	s_or_b64 exec, exec, s[40:41]
.LBB166_714:
	s_or_b64 exec, exec, s[36:37]
	global_store_byte v[0:1], v5, off
.LBB166_715:
	s_mov_b64 s[36:37], -1
.LBB166_716:
	s_mov_b64 s[38:39], 0
.LBB166_717:
	s_and_b64 vcc, exec, s[38:39]
	s_cbranch_vccz .LBB166_758
; %bb.718:
	s_cmp_gt_i32 s43, 22
	s_mov_b64 s[38:39], -1
	s_cbranch_scc0 .LBB166_750
; %bb.719:
	s_cmp_lt_i32 s43, 24
	s_mov_b64 s[36:37], -1
	s_cbranch_scc1 .LBB166_739
; %bb.720:
	s_cmp_gt_i32 s43, 24
	s_cbranch_scc0 .LBB166_728
; %bb.721:
	v_cndmask_b32_e64 v4, 0, 1.0, s[30:31]
	s_mov_b32 s36, 0x47800000
	v_cmp_gt_u32_e32 vcc, s36, v4
	v_mov_b32_e32 v5, 0x80
	s_and_saveexec_b64 s[36:37], vcc
	s_cbranch_execz .LBB166_727
; %bb.722:
	s_mov_b32 s38, 0x37ffffff
	v_cmp_lt_u32_e32 vcc, s38, v4
	s_mov_b64 s[38:39], 0
                                        ; implicit-def: $vgpr3
	s_and_saveexec_b64 s[40:41], vcc
	s_xor_b64 s[40:41], exec, s[40:41]
	s_cbranch_execz .LBB166_953
; %bb.723:
	v_bfe_u32 v3, v4, 21, 1
	s_mov_b32 s44, 0x88fffff
	v_add3_u32 v3, v4, v3, s44
	s_mov_b64 s[38:39], exec
	v_lshrrev_b32_e32 v3, 21, v3
                                        ; implicit-def: $vgpr4
	s_andn2_saveexec_b64 s[40:41], s[40:41]
	s_cbranch_execnz .LBB166_954
.LBB166_724:
	s_or_b64 exec, exec, s[40:41]
	v_mov_b32_e32 v5, 0
	s_and_saveexec_b64 s[40:41], s[38:39]
.LBB166_725:
	v_mov_b32_e32 v5, v3
.LBB166_726:
	s_or_b64 exec, exec, s[40:41]
.LBB166_727:
	s_or_b64 exec, exec, s[36:37]
	s_mov_b64 s[36:37], 0
	global_store_byte v[0:1], v5, off
.LBB166_728:
	s_and_b64 vcc, exec, s[36:37]
	s_cbranch_vccz .LBB166_738
; %bb.729:
	v_cndmask_b32_e64 v3, 0, 1.0, s[30:31]
	s_mov_b32 s36, 0x43f00000
	v_cmp_gt_u32_e32 vcc, s36, v3
                                        ; implicit-def: $vgpr4
	s_and_saveexec_b64 s[36:37], vcc
	s_xor_b64 s[36:37], exec, s[36:37]
	s_cbranch_execz .LBB166_735
; %bb.730:
	s_mov_b32 s38, 0x3c7fffff
	v_cmp_lt_u32_e32 vcc, s38, v3
                                        ; implicit-def: $vgpr4
	s_and_saveexec_b64 s[38:39], vcc
	s_xor_b64 s[38:39], exec, s[38:39]
; %bb.731:
	v_bfe_u32 v4, v3, 20, 1
	s_mov_b32 s40, 0x407ffff
	v_add3_u32 v3, v3, v4, s40
	v_lshrrev_b32_e32 v4, 20, v3
	v_and_b32_e32 v3, 0xff00000, v3
	s_mov_b32 s40, 0x7f00000
	v_mov_b32_e32 v5, 0x7e
	v_cmp_ne_u32_e32 vcc, s40, v3
	v_cndmask_b32_e32 v4, v5, v4, vcc
                                        ; implicit-def: $vgpr3
; %bb.732:
	s_andn2_saveexec_b64 s[38:39], s[38:39]
; %bb.733:
	v_add_f32_e32 v4, 0x46800000, v3
; %bb.734:
	s_or_b64 exec, exec, s[38:39]
                                        ; implicit-def: $vgpr3
.LBB166_735:
	s_andn2_saveexec_b64 s[36:37], s[36:37]
; %bb.736:
	s_mov_b32 s38, 0x7f800000
	v_mov_b32_e32 v4, 0x7e
	v_mov_b32_e32 v5, 0x7f
	v_cmp_lt_u32_e32 vcc, s38, v3
	v_cndmask_b32_e32 v4, v4, v5, vcc
; %bb.737:
	s_or_b64 exec, exec, s[36:37]
	global_store_byte v[0:1], v4, off
.LBB166_738:
	s_mov_b64 s[36:37], 0
.LBB166_739:
	s_andn2_b64 vcc, exec, s[36:37]
	s_cbranch_vccnz .LBB166_749
; %bb.740:
	v_cndmask_b32_e64 v3, 0, 1.0, s[30:31]
	s_mov_b32 s36, 0x47800000
	v_cmp_gt_u32_e32 vcc, s36, v3
                                        ; implicit-def: $vgpr4
	s_and_saveexec_b64 s[36:37], vcc
	s_xor_b64 s[36:37], exec, s[36:37]
	s_cbranch_execz .LBB166_746
; %bb.741:
	s_mov_b32 s38, 0x387fffff
	v_cmp_lt_u32_e32 vcc, s38, v3
                                        ; implicit-def: $vgpr4
	s_and_saveexec_b64 s[38:39], vcc
	s_xor_b64 s[38:39], exec, s[38:39]
; %bb.742:
	v_bfe_u32 v4, v3, 21, 1
	s_mov_b32 s40, 0x80fffff
	v_add3_u32 v3, v3, v4, s40
	v_lshrrev_b32_e32 v4, 21, v3
                                        ; implicit-def: $vgpr3
; %bb.743:
	s_andn2_saveexec_b64 s[38:39], s[38:39]
; %bb.744:
	v_add_f32_e32 v4, 0x43000000, v3
; %bb.745:
	s_or_b64 exec, exec, s[38:39]
                                        ; implicit-def: $vgpr3
.LBB166_746:
	s_andn2_saveexec_b64 s[36:37], s[36:37]
; %bb.747:
	s_mov_b32 s38, 0x7f800000
	v_mov_b32_e32 v4, 0x7c
	v_mov_b32_e32 v5, 0x7f
	v_cmp_lt_u32_e32 vcc, s38, v3
	v_cndmask_b32_e32 v4, v4, v5, vcc
; %bb.748:
	s_or_b64 exec, exec, s[36:37]
	global_store_byte v[0:1], v4, off
.LBB166_749:
	s_mov_b64 s[38:39], 0
	s_mov_b64 s[36:37], -1
.LBB166_750:
	s_andn2_b64 vcc, exec, s[38:39]
	s_cbranch_vccnz .LBB166_758
; %bb.751:
	s_cmp_gt_i32 s43, 14
	s_mov_b64 s[38:39], -1
	s_cbranch_scc0 .LBB166_755
; %bb.752:
	s_cmp_eq_u32 s43, 15
	s_mov_b64 s[0:1], -1
	s_cbranch_scc0 .LBB166_754
; %bb.753:
	v_cndmask_b32_e64 v3, 0, 1.0, s[30:31]
	v_bfe_u32 v4, v3, 16, 1
	s_movk_i32 s0, 0x7fff
	v_add3_u32 v3, v3, v4, s0
	global_store_short_d16_hi v[0:1], v3, off
	s_mov_b64 s[36:37], -1
	s_mov_b64 s[0:1], 0
.LBB166_754:
	s_mov_b64 s[38:39], 0
.LBB166_755:
	s_and_b64 vcc, exec, s[38:39]
	s_cbranch_vccz .LBB166_758
; %bb.756:
	s_cmp_eq_u32 s43, 11
	s_mov_b64 s[0:1], -1
	s_cbranch_scc0 .LBB166_758
; %bb.757:
	v_cndmask_b32_e64 v3, 0, 1, s[30:31]
	s_mov_b64 s[36:37], -1
	s_mov_b64 s[0:1], 0
	global_store_byte v[0:1], v3, off
.LBB166_758:
	s_mov_b64 s[38:39], 0
.LBB166_759:
	s_and_b64 vcc, exec, s[38:39]
	s_cbranch_vccz .LBB166_798
; %bb.760:
	s_and_b32 s38, 0xffff, s42
	s_cmp_lt_i32 s38, 5
	s_mov_b64 s[36:37], -1
	s_cbranch_scc1 .LBB166_781
; %bb.761:
	s_cmp_lt_i32 s38, 8
	s_cbranch_scc1 .LBB166_771
; %bb.762:
	s_cmp_lt_i32 s38, 9
	s_cbranch_scc1 .LBB166_768
; %bb.763:
	s_cmp_gt_i32 s38, 9
	s_cbranch_scc0 .LBB166_765
; %bb.764:
	v_cndmask_b32_e64 v3, 0, 1, s[30:31]
	v_cvt_f64_u32_e32 v[3:4], v3
	v_mov_b32_e32 v5, 0
	v_mov_b32_e32 v6, v5
	s_mov_b64 s[36:37], 0
	global_store_dwordx4 v[0:1], v[3:6], off
.LBB166_765:
	s_andn2_b64 vcc, exec, s[36:37]
	s_cbranch_vccnz .LBB166_767
; %bb.766:
	v_cndmask_b32_e64 v3, 0, 1.0, s[30:31]
	v_mov_b32_e32 v4, 0
	global_store_dwordx2 v[0:1], v[3:4], off
.LBB166_767:
	s_mov_b64 s[36:37], 0
.LBB166_768:
	s_andn2_b64 vcc, exec, s[36:37]
	s_cbranch_vccnz .LBB166_770
; %bb.769:
	v_cndmask_b32_e64 v3, 0, 1.0, s[30:31]
	v_cvt_f16_f32_e32 v3, v3
	global_store_dword v[0:1], v3, off
.LBB166_770:
	s_mov_b64 s[36:37], 0
.LBB166_771:
	s_andn2_b64 vcc, exec, s[36:37]
	s_cbranch_vccnz .LBB166_780
; %bb.772:
	s_cmp_lt_i32 s38, 6
	s_mov_b64 s[36:37], -1
	s_cbranch_scc1 .LBB166_778
; %bb.773:
	s_cmp_gt_i32 s38, 6
	s_cbranch_scc0 .LBB166_775
; %bb.774:
	v_cndmask_b32_e64 v3, 0, 1, s[30:31]
	v_cvt_f64_u32_e32 v[3:4], v3
	s_mov_b64 s[36:37], 0
	global_store_dwordx2 v[0:1], v[3:4], off
.LBB166_775:
	s_andn2_b64 vcc, exec, s[36:37]
	s_cbranch_vccnz .LBB166_777
; %bb.776:
	v_cndmask_b32_e64 v3, 0, 1.0, s[30:31]
	global_store_dword v[0:1], v3, off
.LBB166_777:
	s_mov_b64 s[36:37], 0
.LBB166_778:
	s_andn2_b64 vcc, exec, s[36:37]
	s_cbranch_vccnz .LBB166_780
; %bb.779:
	v_cndmask_b32_e64 v3, 0, 1.0, s[30:31]
	v_cvt_f16_f32_e32 v3, v3
	global_store_short v[0:1], v3, off
.LBB166_780:
	s_mov_b64 s[36:37], 0
.LBB166_781:
	s_andn2_b64 vcc, exec, s[36:37]
	s_cbranch_vccnz .LBB166_797
; %bb.782:
	s_cmp_lt_i32 s38, 2
	s_mov_b64 s[36:37], -1
	s_cbranch_scc1 .LBB166_792
; %bb.783:
	s_cmp_lt_i32 s38, 3
	s_cbranch_scc1 .LBB166_789
; %bb.784:
	s_cmp_gt_i32 s38, 3
	s_cbranch_scc0 .LBB166_786
; %bb.785:
	s_mov_b32 s36, 0
	v_cndmask_b32_e64 v3, 0, 1, s[30:31]
	v_mov_b32_e32 v4, s36
	s_mov_b64 s[36:37], 0
	global_store_dwordx2 v[0:1], v[3:4], off
.LBB166_786:
	s_andn2_b64 vcc, exec, s[36:37]
	s_cbranch_vccnz .LBB166_788
; %bb.787:
	v_cndmask_b32_e64 v3, 0, 1, s[30:31]
	global_store_dword v[0:1], v3, off
.LBB166_788:
	s_mov_b64 s[36:37], 0
.LBB166_789:
	s_andn2_b64 vcc, exec, s[36:37]
	s_cbranch_vccnz .LBB166_791
; %bb.790:
	v_cndmask_b32_e64 v3, 0, 1, s[30:31]
	global_store_short v[0:1], v3, off
.LBB166_791:
	s_mov_b64 s[36:37], 0
.LBB166_792:
	s_andn2_b64 vcc, exec, s[36:37]
	s_cbranch_vccnz .LBB166_797
; %bb.793:
	s_mov_b64 s[36:37], -1
	s_cmp_gt_i32 s38, 0
	v_cndmask_b32_e64 v3, 0, 1, s[30:31]
	s_cbranch_scc0 .LBB166_795
; %bb.794:
	s_mov_b64 s[36:37], 0
	global_store_byte v[0:1], v3, off
.LBB166_795:
	s_andn2_b64 vcc, exec, s[36:37]
	s_cbranch_vccnz .LBB166_797
; %bb.796:
	global_store_byte v[0:1], v3, off
.LBB166_797:
	s_mov_b64 s[36:37], -1
.LBB166_798:
	s_andn2_b64 vcc, exec, s[36:37]
	s_cbranch_vccnz .LBB166_811
; %bb.799:
	v_add_u32_e32 v2, 0x80, v2
	s_mov_b64 s[36:37], -1
.LBB166_800:
	s_andn2_b64 s[30:31], s[18:19], exec
	s_and_b64 s[0:1], s[0:1], exec
	s_or_b64 s[30:31], s[30:31], s[0:1]
	s_andn2_b64 s[0:1], s[20:21], exec
	s_and_b64 s[28:29], s[28:29], exec
	s_or_b64 s[28:29], s[0:1], s[28:29]
	;; [unrolled: 3-line block ×3, first 2 shown]
	s_orn2_b64 s[0:1], s[36:37], exec
.LBB166_801:
	s_or_b64 exec, exec, s[34:35]
	s_mov_b64 s[36:37], 0
	s_mov_b64 s[38:39], 0
	;; [unrolled: 1-line block ×3, first 2 shown]
                                        ; implicit-def: $sgpr58
                                        ; implicit-def: $vgpr0_vgpr1
                                        ; implicit-def: $vgpr4
                                        ; implicit-def: $vgpr3
	s_and_saveexec_b64 s[34:35], s[0:1]
	s_cbranch_execz .LBB166_1293
; %bb.802:
	v_cmp_gt_i32_e32 vcc, s50, v2
	s_mov_b64 s[48:49], -1
	s_mov_b64 s[0:1], s[26:27]
	s_mov_b64 s[40:41], s[28:29]
	;; [unrolled: 1-line block ×3, first 2 shown]
	s_and_saveexec_b64 s[36:37], vcc
	s_cbranch_execz .LBB166_1205
; %bb.803:
	v_mul_lo_u32 v0, v2, s13
	v_mov_b32_e32 v1, s11
	s_and_b32 s44, s57, 0xff
	s_cmp_lt_i32 s44, 11
	s_waitcnt vmcnt(0)
	v_ashrrev_i32_e32 v3, 31, v0
	v_add_co_u32_e32 v0, vcc, s10, v0
	v_addc_co_u32_e32 v1, vcc, v1, v3, vcc
	s_cbranch_scc1 .LBB166_810
; %bb.804:
	s_and_b32 s45, 0xffff, s44
	s_cmp_gt_i32 s45, 25
	s_cbranch_scc0 .LBB166_812
; %bb.805:
	s_cmp_gt_i32 s45, 28
	s_cbranch_scc0 .LBB166_813
; %bb.806:
	;; [unrolled: 3-line block ×4, first 2 shown]
	s_cmp_eq_u32 s45, 46
	s_mov_b64 s[40:41], 0
	s_cbranch_scc0 .LBB166_818
; %bb.809:
	global_load_dword v3, v[0:1], off
	s_mov_b64 s[0:1], -1
	s_waitcnt vmcnt(0)
	v_and_b32_e32 v4, 0xffff0000, v3
	s_branch .LBB166_819
.LBB166_810:
	s_mov_b64 s[40:41], -1
	s_mov_b64 s[0:1], 0
                                        ; implicit-def: $vgpr4
                                        ; implicit-def: $vgpr3
	s_mov_b64 s[38:39], s[26:27]
	s_branch .LBB166_887
.LBB166_811:
	s_mov_b64 s[36:37], 0
	s_branch .LBB166_548
.LBB166_812:
	s_mov_b64 s[40:41], -1
	s_mov_b64 s[0:1], 0
	s_mov_b64 s[38:39], s[26:27]
                                        ; implicit-def: $vgpr4
                                        ; implicit-def: $vgpr3
	s_branch .LBB166_850
.LBB166_813:
	s_mov_b64 s[40:41], -1
	s_mov_b64 s[0:1], 0
	s_mov_b64 s[38:39], s[26:27]
                                        ; implicit-def: $vgpr4
                                        ; implicit-def: $vgpr3
	s_branch .LBB166_831
.LBB166_814:
	s_mov_b64 s[40:41], -1
	s_mov_b64 s[0:1], 0
	s_mov_b64 s[38:39], s[26:27]
                                        ; implicit-def: $vgpr4
                                        ; implicit-def: $vgpr3
	s_branch .LBB166_825
.LBB166_815:
	s_mov_b64 s[40:41], -1
	s_mov_b64 s[0:1], 0
	s_mov_b64 s[38:39], s[26:27]
                                        ; implicit-def: $vgpr4
                                        ; implicit-def: $vgpr3
	s_branch .LBB166_819
.LBB166_816:
	s_andn2_saveexec_b64 s[40:41], s[40:41]
	s_cbranch_execz .LBB166_711
.LBB166_817:
	v_add_f32_e32 v3, 0x46000000, v4
	v_and_b32_e32 v3, 0xff, v3
	v_cmp_ne_u32_e32 vcc, 0, v3
	s_andn2_b64 s[38:39], s[38:39], exec
	s_and_b64 s[44:45], vcc, exec
	s_or_b64 s[38:39], s[38:39], s[44:45]
	s_or_b64 exec, exec, s[40:41]
	v_mov_b32_e32 v5, 0
	s_and_saveexec_b64 s[40:41], s[38:39]
	s_cbranch_execnz .LBB166_712
	s_branch .LBB166_713
.LBB166_818:
	s_mov_b64 s[38:39], -1
                                        ; implicit-def: $vgpr4
                                        ; implicit-def: $vgpr3
	s_mov_b64 s[0:1], 0
.LBB166_819:
	s_and_b64 vcc, exec, s[40:41]
	s_cbranch_vccz .LBB166_824
; %bb.820:
	s_cmp_eq_u32 s45, 44
	s_cbranch_scc0 .LBB166_822
; %bb.821:
	global_load_ubyte v3, v[0:1], off
	s_movk_i32 s38, 0xff
	v_mov_b32_e32 v4, 0x7f800001
	v_mov_b32_e32 v5, 0x400000
	;; [unrolled: 1-line block ×3, first 2 shown]
	s_mov_b64 s[0:1], -1
	s_waitcnt vmcnt(0)
	v_lshlrev_b32_e32 v7, 23, v3
	v_cmp_ne_u32_e32 vcc, s38, v3
	v_cndmask_b32_e32 v4, v4, v7, vcc
	v_cmp_ne_u32_e32 vcc, 0, v3
	v_cndmask_b32_e32 v3, v5, v4, vcc
	v_add_u32_e32 v4, 0x7fff, v3
	v_cmp_o_f32_e32 vcc, v3, v3
	v_cndmask_b32_sdwa v3, v6, v4, vcc dst_sel:DWORD dst_unused:UNUSED_PAD src0_sel:DWORD src1_sel:WORD_1
	s_mov_b64 s[38:39], 0
	s_branch .LBB166_823
.LBB166_822:
	s_mov_b64 s[38:39], -1
                                        ; implicit-def: $vgpr3
.LBB166_823:
	v_mov_b32_e32 v4, 0
.LBB166_824:
	s_mov_b64 s[40:41], 0
.LBB166_825:
	s_and_b64 vcc, exec, s[40:41]
	s_cbranch_vccz .LBB166_830
; %bb.826:
	s_cmp_eq_u32 s45, 29
	s_cbranch_scc0 .LBB166_828
; %bb.827:
	global_load_dwordx2 v[3:4], v[0:1], off
	s_movk_i32 s38, 0x7fff
	s_mov_b64 s[0:1], -1
	s_waitcnt vmcnt(0)
	v_ffbh_u32_e32 v5, v4
	v_min_u32_e32 v5, 32, v5
	v_lshlrev_b64 v[3:4], v5, v[3:4]
	v_min_u32_e32 v3, 1, v3
	v_or_b32_e32 v3, v4, v3
	v_cvt_f32_u32_e32 v3, v3
	v_sub_u32_e32 v4, 32, v5
	v_ldexp_f32 v3, v3, v4
	v_bfe_u32 v4, v3, 16, 1
	v_add3_u32 v3, v3, v4, s38
	v_lshrrev_b32_e32 v3, 16, v3
	s_mov_b64 s[38:39], 0
	s_branch .LBB166_829
.LBB166_828:
	s_mov_b64 s[38:39], -1
                                        ; implicit-def: $vgpr3
.LBB166_829:
	v_mov_b32_e32 v4, 0
.LBB166_830:
	s_mov_b64 s[40:41], 0
.LBB166_831:
	s_and_b64 vcc, exec, s[40:41]
	s_cbranch_vccz .LBB166_849
; %bb.832:
	s_cmp_lt_i32 s45, 27
	s_cbranch_scc1 .LBB166_835
; %bb.833:
	s_cmp_gt_i32 s45, 27
	s_cbranch_scc0 .LBB166_836
; %bb.834:
	global_load_dword v3, v[0:1], off
	s_movk_i32 s0, 0x7fff
	s_waitcnt vmcnt(0)
	v_cvt_f32_u32_e32 v3, v3
	v_bfe_u32 v4, v3, 16, 1
	v_add3_u32 v3, v3, v4, s0
	v_lshrrev_b32_e32 v3, 16, v3
	s_mov_b64 s[0:1], 0
	s_branch .LBB166_837
.LBB166_835:
	s_mov_b64 s[0:1], -1
                                        ; implicit-def: $vgpr3
	s_branch .LBB166_840
.LBB166_836:
	s_mov_b64 s[0:1], -1
                                        ; implicit-def: $vgpr3
.LBB166_837:
	s_andn2_b64 vcc, exec, s[0:1]
	s_cbranch_vccnz .LBB166_839
; %bb.838:
	global_load_ushort v3, v[0:1], off
	s_movk_i32 s0, 0x7fff
	s_waitcnt vmcnt(0)
	v_cvt_f32_u32_e32 v3, v3
	v_bfe_u32 v4, v3, 16, 1
	v_add3_u32 v3, v3, v4, s0
	v_lshrrev_b32_e32 v3, 16, v3
.LBB166_839:
	s_mov_b64 s[0:1], 0
.LBB166_840:
	s_andn2_b64 vcc, exec, s[0:1]
	s_cbranch_vccnz .LBB166_848
; %bb.841:
	global_load_ubyte v3, v[0:1], off
	s_movk_i32 s0, 0x7f
	s_waitcnt vmcnt(0)
	v_cmp_lt_i16_e32 vcc, s0, v3
	s_mov_b64 s[0:1], 0
	s_and_saveexec_b64 s[40:41], vcc
	s_xor_b64 s[40:41], exec, s[40:41]
	s_cbranch_execz .LBB166_862
; %bb.842:
	s_movk_i32 s0, 0x80
	v_cmp_eq_u16_e32 vcc, s0, v3
	s_mov_b64 s[0:1], -1
	s_and_saveexec_b64 s[42:43], vcc
; %bb.843:
	s_xor_b64 s[0:1], exec, -1
; %bb.844:
	s_or_b64 exec, exec, s[42:43]
	s_and_b64 s[0:1], s[0:1], exec
	s_or_saveexec_b64 s[40:41], s[40:41]
	v_mov_b32_e32 v4, 0x7f800001
	s_xor_b64 exec, exec, s[40:41]
	s_cbranch_execnz .LBB166_863
.LBB166_845:
	s_or_b64 exec, exec, s[40:41]
	s_and_saveexec_b64 s[40:41], s[0:1]
	s_cbranch_execz .LBB166_847
.LBB166_846:
	v_lshlrev_b32_e32 v4, 24, v3
	v_and_b32_e32 v3, 0xffff, v3
	v_and_b32_e32 v5, 7, v3
	v_ffbh_u32_e32 v7, v5
	v_min_u32_e32 v7, 32, v7
	v_subrev_u32_e32 v8, 28, v7
	v_bfe_u32 v6, v3, 3, 4
	v_lshlrev_b32_e32 v3, v8, v3
	v_sub_u32_e32 v7, 29, v7
	v_and_b32_e32 v3, 7, v3
	v_cmp_eq_u32_e32 vcc, 0, v6
	v_cndmask_b32_e32 v6, v6, v7, vcc
	v_cndmask_b32_e32 v3, v5, v3, vcc
	v_mov_b32_e32 v5, 0x3b800000
	v_lshlrev_b32_e32 v3, 20, v3
	v_and_b32_e32 v4, 0x80000000, v4
	v_lshl_add_u32 v5, v6, 23, v5
	v_or3_b32 v4, v4, v5, v3
.LBB166_847:
	s_or_b64 exec, exec, s[40:41]
	v_bfe_u32 v3, v4, 16, 1
	s_movk_i32 s0, 0x7fff
	v_add3_u32 v3, v4, v3, s0
	v_cmp_o_f32_e32 vcc, v4, v4
	v_mov_b32_e32 v4, 0x7fc0
	v_cndmask_b32_sdwa v3, v4, v3, vcc dst_sel:DWORD dst_unused:UNUSED_PAD src0_sel:DWORD src1_sel:WORD_1
.LBB166_848:
	s_mov_b64 s[0:1], -1
	v_mov_b32_e32 v4, 0
.LBB166_849:
	s_mov_b64 s[40:41], 0
.LBB166_850:
	s_and_b64 vcc, exec, s[40:41]
	s_cbranch_vccz .LBB166_886
; %bb.851:
	s_cmp_gt_i32 s45, 22
	s_cbranch_scc0 .LBB166_861
; %bb.852:
	s_cmp_lt_i32 s45, 24
	s_cbranch_scc1 .LBB166_864
; %bb.853:
	s_cmp_gt_i32 s45, 24
	s_cbranch_scc0 .LBB166_865
; %bb.854:
	global_load_ubyte v3, v[0:1], off
	s_movk_i32 s0, 0x7f
	s_waitcnt vmcnt(0)
	v_cmp_lt_i16_e32 vcc, s0, v3
	s_mov_b64 s[0:1], 0
	s_and_saveexec_b64 s[40:41], vcc
	s_xor_b64 s[40:41], exec, s[40:41]
	s_cbranch_execz .LBB166_877
; %bb.855:
	s_movk_i32 s0, 0x80
	v_cmp_eq_u16_e32 vcc, s0, v3
	s_mov_b64 s[0:1], -1
	s_and_saveexec_b64 s[42:43], vcc
; %bb.856:
	s_xor_b64 s[0:1], exec, -1
; %bb.857:
	s_or_b64 exec, exec, s[42:43]
	s_and_b64 s[0:1], s[0:1], exec
	s_or_saveexec_b64 s[40:41], s[40:41]
	v_mov_b32_e32 v4, 0x7f800001
	s_xor_b64 exec, exec, s[40:41]
	s_cbranch_execnz .LBB166_878
.LBB166_858:
	s_or_b64 exec, exec, s[40:41]
	s_and_saveexec_b64 s[40:41], s[0:1]
	s_cbranch_execz .LBB166_860
.LBB166_859:
	v_lshlrev_b32_e32 v4, 24, v3
	v_and_b32_e32 v3, 0xffff, v3
	v_and_b32_e32 v5, 3, v3
	v_ffbh_u32_e32 v7, v5
	v_min_u32_e32 v7, 32, v7
	v_subrev_u32_e32 v8, 29, v7
	v_bfe_u32 v6, v3, 2, 5
	v_lshlrev_b32_e32 v3, v8, v3
	v_sub_u32_e32 v7, 30, v7
	v_and_b32_e32 v3, 3, v3
	v_cmp_eq_u32_e32 vcc, 0, v6
	v_cndmask_b32_e32 v6, v6, v7, vcc
	v_cndmask_b32_e32 v3, v5, v3, vcc
	v_mov_b32_e32 v5, 0x37800000
	v_lshlrev_b32_e32 v3, 21, v3
	v_and_b32_e32 v4, 0x80000000, v4
	v_lshl_add_u32 v5, v6, 23, v5
	v_or3_b32 v4, v4, v5, v3
.LBB166_860:
	s_or_b64 exec, exec, s[40:41]
	v_bfe_u32 v3, v4, 16, 1
	s_movk_i32 s0, 0x7fff
	v_add3_u32 v3, v4, v3, s0
	v_cmp_o_f32_e32 vcc, v4, v4
	v_mov_b32_e32 v4, 0x7fc0
	v_cndmask_b32_sdwa v3, v4, v3, vcc dst_sel:DWORD dst_unused:UNUSED_PAD src0_sel:DWORD src1_sel:WORD_1
	s_mov_b64 s[0:1], 0
	s_branch .LBB166_866
.LBB166_861:
	s_mov_b64 s[40:41], -1
                                        ; implicit-def: $vgpr3
	s_branch .LBB166_872
.LBB166_862:
	s_or_saveexec_b64 s[40:41], s[40:41]
	v_mov_b32_e32 v4, 0x7f800001
	s_xor_b64 exec, exec, s[40:41]
	s_cbranch_execz .LBB166_845
.LBB166_863:
	v_cmp_ne_u16_e32 vcc, 0, v3
	s_andn2_b64 s[0:1], s[0:1], exec
	s_and_b64 s[42:43], vcc, exec
	v_mov_b32_e32 v4, 0
	s_or_b64 s[0:1], s[0:1], s[42:43]
	s_or_b64 exec, exec, s[40:41]
	s_and_saveexec_b64 s[40:41], s[0:1]
	s_cbranch_execnz .LBB166_846
	s_branch .LBB166_847
.LBB166_864:
	s_mov_b64 s[0:1], -1
                                        ; implicit-def: $vgpr3
	s_branch .LBB166_869
.LBB166_865:
	s_mov_b64 s[0:1], -1
                                        ; implicit-def: $vgpr3
.LBB166_866:
	s_and_b64 vcc, exec, s[0:1]
	s_cbranch_vccz .LBB166_868
; %bb.867:
	global_load_ubyte v3, v[0:1], off
	s_mov_b32 s0, 0x7f800000
	s_brev_b32 s1, 1
	s_movk_i32 s40, 0x7fff
	s_waitcnt vmcnt(0)
	v_lshlrev_b32_e32 v3, 24, v3
	v_and_b32_e32 v4, 0x7f000000, v3
	v_ffbh_u32_e32 v5, v4
	v_min_u32_e32 v5, 32, v5
	v_sub_u32_e64 v5, v5, 4 clamp
	v_lshlrev_b32_e32 v7, v5, v4
	v_lshlrev_b32_e32 v5, 23, v5
	v_lshrrev_b32_e32 v7, 4, v7
	v_add_u32_e32 v6, 0x1000000, v4
	v_sub_u32_e32 v5, v7, v5
	v_ashrrev_i32_e32 v6, 8, v6
	v_add_u32_e32 v5, 0x3c000000, v5
	v_and_or_b32 v5, v6, s0, v5
	v_cmp_ne_u32_e32 vcc, 0, v4
	v_cndmask_b32_e32 v4, 0, v5, vcc
	v_and_or_b32 v3, v3, s1, v4
	v_bfe_u32 v4, v4, 16, 1
	v_add3_u32 v4, v3, v4, s40
	v_cmp_o_f32_e32 vcc, v3, v3
	v_mov_b32_e32 v3, 0x7fc0
	v_cndmask_b32_sdwa v3, v3, v4, vcc dst_sel:DWORD dst_unused:UNUSED_PAD src0_sel:DWORD src1_sel:WORD_1
.LBB166_868:
	s_mov_b64 s[0:1], 0
.LBB166_869:
	s_andn2_b64 vcc, exec, s[0:1]
	s_cbranch_vccnz .LBB166_871
; %bb.870:
	global_load_ubyte v3, v[0:1], off
	s_movk_i32 s0, 0x7f00
	s_brev_b32 s1, 16
	s_brev_b32 s40, 1
	s_movk_i32 s41, 0x7fff
	s_waitcnt vmcnt(0)
	v_lshlrev_b16_e32 v4, 8, v3
	v_lshlrev_b32_e32 v3, 25, v3
	v_lshrrev_b32_e32 v5, 4, v3
	v_and_or_b32 v6, v4, s0, 0.5
	v_or_b32_e32 v5, 0x70000000, v5
	v_add_f32_e32 v6, -0.5, v6
	v_mul_f32_e32 v5, 0x7800000, v5
	v_cmp_gt_u32_e32 vcc, s1, v3
	v_bfe_i32 v4, v4, 0, 16
	v_cndmask_b32_e32 v3, v5, v6, vcc
	v_and_or_b32 v4, v4, s40, v3
	v_bfe_u32 v3, v3, 16, 1
	v_add3_u32 v3, v4, v3, s41
	v_cmp_o_f32_e32 vcc, v4, v4
	v_mov_b32_e32 v4, 0x7fc0
	v_cndmask_b32_sdwa v3, v4, v3, vcc dst_sel:DWORD dst_unused:UNUSED_PAD src0_sel:DWORD src1_sel:WORD_1
.LBB166_871:
	s_mov_b64 s[40:41], 0
	s_mov_b64 s[0:1], -1
.LBB166_872:
	s_andn2_b64 vcc, exec, s[40:41]
	s_cbranch_vccnz .LBB166_885
; %bb.873:
	s_cmp_gt_i32 s45, 14
	s_cbranch_scc0 .LBB166_876
; %bb.874:
	s_cmp_eq_u32 s45, 15
	s_cbranch_scc0 .LBB166_879
; %bb.875:
	global_load_ushort v3, v[0:1], off
	s_mov_b64 s[0:1], -1
	s_mov_b64 s[38:39], 0
	s_branch .LBB166_880
.LBB166_876:
	s_mov_b64 s[40:41], -1
                                        ; implicit-def: $vgpr3
	s_branch .LBB166_881
.LBB166_877:
	s_or_saveexec_b64 s[40:41], s[40:41]
	v_mov_b32_e32 v4, 0x7f800001
	s_xor_b64 exec, exec, s[40:41]
	s_cbranch_execz .LBB166_858
.LBB166_878:
	v_cmp_ne_u16_e32 vcc, 0, v3
	s_andn2_b64 s[0:1], s[0:1], exec
	s_and_b64 s[42:43], vcc, exec
	v_mov_b32_e32 v4, 0
	s_or_b64 s[0:1], s[0:1], s[42:43]
	s_or_b64 exec, exec, s[40:41]
	s_and_saveexec_b64 s[40:41], s[0:1]
	s_cbranch_execnz .LBB166_859
	s_branch .LBB166_860
.LBB166_879:
	s_mov_b64 s[38:39], -1
                                        ; implicit-def: $vgpr3
.LBB166_880:
	s_mov_b64 s[40:41], 0
.LBB166_881:
	s_and_b64 vcc, exec, s[40:41]
	s_cbranch_vccz .LBB166_885
; %bb.882:
	s_cmp_eq_u32 s45, 11
	s_cbranch_scc0 .LBB166_884
; %bb.883:
	global_load_ubyte v3, v[0:1], off
	s_mov_b64 s[0:1], -1
	s_mov_b64 s[38:39], 0
	v_mov_b32_e32 v4, 0
	s_waitcnt vmcnt(0)
	v_cmp_ne_u16_e32 vcc, 0, v3
	v_cndmask_b32_e64 v3, 0, 1.0, vcc
	v_lshrrev_b32_e32 v3, 16, v3
	s_branch .LBB166_886
.LBB166_884:
	s_mov_b64 s[38:39], -1
                                        ; implicit-def: $vgpr3
.LBB166_885:
	v_mov_b32_e32 v4, 0
.LBB166_886:
	s_mov_b64 s[40:41], 0
.LBB166_887:
	s_and_b64 vcc, exec, s[40:41]
	s_cbranch_vccz .LBB166_938
; %bb.888:
	s_and_b32 s40, 0xffff, s44
	s_cmp_lt_i32 s40, 5
	s_cbranch_scc1 .LBB166_893
; %bb.889:
	s_cmp_lt_i32 s40, 8
	s_cbranch_scc1 .LBB166_894
; %bb.890:
	;; [unrolled: 3-line block ×3, first 2 shown]
	s_cmp_gt_i32 s40, 9
	s_cbranch_scc0 .LBB166_896
; %bb.892:
	global_load_dwordx4 v[3:6], v[0:1], off
	s_movk_i32 s0, 0x7fff
	s_waitcnt vmcnt(0)
	v_cvt_f32_f64_e32 v3, v[3:4]
	v_cvt_f32_f64_e32 v4, v[5:6]
	v_mov_b32_e32 v5, 0x7fc0
	v_mov_b32_e32 v6, 0x7fc00000
	v_bfe_u32 v7, v3, 16, 1
	v_bfe_u32 v8, v4, 16, 1
	v_cmp_o_f32_e32 vcc, v3, v3
	v_add3_u32 v3, v3, v7, s0
	v_add3_u32 v7, v4, v8, s0
	v_cndmask_b32_sdwa v3, v5, v3, vcc dst_sel:DWORD dst_unused:UNUSED_PAD src0_sel:DWORD src1_sel:WORD_1
	v_and_b32_e32 v5, 0xffff0000, v7
	v_cmp_o_f32_e32 vcc, v4, v4
	v_cndmask_b32_e32 v4, v6, v5, vcc
	s_mov_b64 s[0:1], 0
	s_branch .LBB166_897
.LBB166_893:
	s_mov_b64 s[0:1], -1
                                        ; implicit-def: $vgpr4
                                        ; implicit-def: $vgpr3
	s_branch .LBB166_916
.LBB166_894:
	s_mov_b64 s[0:1], -1
                                        ; implicit-def: $vgpr4
                                        ; implicit-def: $vgpr3
	s_branch .LBB166_903
.LBB166_895:
	s_mov_b64 s[0:1], -1
                                        ; implicit-def: $vgpr4
                                        ; implicit-def: $vgpr3
	s_branch .LBB166_900
.LBB166_896:
	s_mov_b64 s[0:1], -1
                                        ; implicit-def: $vgpr4
                                        ; implicit-def: $vgpr3
.LBB166_897:
	s_andn2_b64 vcc, exec, s[0:1]
	s_cbranch_vccnz .LBB166_899
; %bb.898:
	global_load_dwordx2 v[3:4], v[0:1], off
	s_movk_i32 s0, 0x7fff
	v_mov_b32_e32 v5, 0x7fc0
	v_mov_b32_e32 v6, 0x7fc00000
	s_waitcnt vmcnt(0)
	v_bfe_u32 v7, v3, 16, 1
	v_bfe_u32 v8, v4, 16, 1
	v_cmp_o_f32_e32 vcc, v3, v3
	v_add3_u32 v3, v3, v7, s0
	v_add3_u32 v7, v4, v8, s0
	v_cndmask_b32_sdwa v3, v5, v3, vcc dst_sel:DWORD dst_unused:UNUSED_PAD src0_sel:DWORD src1_sel:WORD_1
	v_and_b32_e32 v5, 0xffff0000, v7
	v_cmp_o_f32_e32 vcc, v4, v4
	v_cndmask_b32_e32 v4, v6, v5, vcc
.LBB166_899:
	s_mov_b64 s[0:1], 0
.LBB166_900:
	s_andn2_b64 vcc, exec, s[0:1]
	s_cbranch_vccnz .LBB166_902
; %bb.901:
	global_load_dword v4, v[0:1], off
	s_movk_i32 s0, 0x7fff
	s_waitcnt vmcnt(1)
	v_mov_b32_e32 v3, 0x7fc0
	v_mov_b32_e32 v7, 0x7fc00000
	s_waitcnt vmcnt(0)
	v_cvt_f32_f16_e32 v5, v4
	v_cvt_f32_f16_sdwa v6, v4 dst_sel:DWORD dst_unused:UNUSED_PAD src0_sel:WORD_1
	v_cmp_o_f16_e32 vcc, v4, v4
	v_bfe_u32 v8, v5, 16, 1
	v_bfe_u32 v9, v6, 16, 1
	v_add3_u32 v5, v5, v8, s0
	v_add3_u32 v6, v6, v9, s0
	v_cndmask_b32_sdwa v3, v3, v5, vcc dst_sel:DWORD dst_unused:UNUSED_PAD src0_sel:DWORD src1_sel:WORD_1
	v_and_b32_e32 v5, 0xffff0000, v6
	v_cmp_o_f16_sdwa vcc, v4, v4 src0_sel:WORD_1 src1_sel:WORD_1
	v_cndmask_b32_e32 v4, v7, v5, vcc
.LBB166_902:
	s_mov_b64 s[0:1], 0
.LBB166_903:
	s_andn2_b64 vcc, exec, s[0:1]
	s_cbranch_vccnz .LBB166_915
; %bb.904:
	s_cmp_lt_i32 s40, 6
	s_cbranch_scc1 .LBB166_907
; %bb.905:
	s_cmp_gt_i32 s40, 6
	s_cbranch_scc0 .LBB166_908
; %bb.906:
	global_load_dwordx2 v[3:4], v[0:1], off
	s_movk_i32 s0, 0x7fff
	s_waitcnt vmcnt(0)
	v_cvt_f32_f64_e32 v3, v[3:4]
	v_mov_b32_e32 v4, 0x7fc0
	v_bfe_u32 v5, v3, 16, 1
	v_cmp_o_f32_e32 vcc, v3, v3
	v_add3_u32 v3, v3, v5, s0
	v_cndmask_b32_sdwa v3, v4, v3, vcc dst_sel:DWORD dst_unused:UNUSED_PAD src0_sel:DWORD src1_sel:WORD_1
	s_mov_b64 s[0:1], 0
	s_branch .LBB166_909
.LBB166_907:
	s_mov_b64 s[0:1], -1
                                        ; implicit-def: $vgpr3
	s_branch .LBB166_912
.LBB166_908:
	s_mov_b64 s[0:1], -1
                                        ; implicit-def: $vgpr3
.LBB166_909:
	s_andn2_b64 vcc, exec, s[0:1]
	s_cbranch_vccnz .LBB166_911
; %bb.910:
	global_load_dword v3, v[0:1], off
	s_movk_i32 s0, 0x7fff
	v_mov_b32_e32 v4, 0x7fc0
	s_waitcnt vmcnt(0)
	v_bfe_u32 v5, v3, 16, 1
	v_cmp_o_f32_e32 vcc, v3, v3
	v_add3_u32 v3, v3, v5, s0
	v_cndmask_b32_sdwa v3, v4, v3, vcc dst_sel:DWORD dst_unused:UNUSED_PAD src0_sel:DWORD src1_sel:WORD_1
.LBB166_911:
	s_mov_b64 s[0:1], 0
.LBB166_912:
	s_andn2_b64 vcc, exec, s[0:1]
	s_cbranch_vccnz .LBB166_914
; %bb.913:
	global_load_ushort v3, v[0:1], off
	s_movk_i32 s0, 0x7fff
	v_mov_b32_e32 v5, 0x7fc0
	s_waitcnt vmcnt(0)
	v_cvt_f32_f16_e32 v4, v3
	v_cmp_o_f16_e32 vcc, v3, v3
	v_bfe_u32 v3, v4, 16, 1
	v_add3_u32 v3, v4, v3, s0
	v_cndmask_b32_sdwa v3, v5, v3, vcc dst_sel:DWORD dst_unused:UNUSED_PAD src0_sel:DWORD src1_sel:WORD_1
.LBB166_914:
	v_mov_b32_e32 v4, 0
.LBB166_915:
	s_mov_b64 s[0:1], 0
.LBB166_916:
	s_andn2_b64 vcc, exec, s[0:1]
	s_cbranch_vccnz .LBB166_937
; %bb.917:
	s_cmp_lt_i32 s40, 2
	s_cbranch_scc1 .LBB166_921
; %bb.918:
	s_cmp_lt_i32 s40, 3
	s_cbranch_scc1 .LBB166_922
; %bb.919:
	s_cmp_gt_i32 s40, 3
	s_cbranch_scc0 .LBB166_923
; %bb.920:
	global_load_dwordx2 v[3:4], v[0:1], off
	s_movk_i32 s0, 0x7fff
	s_waitcnt vmcnt(0)
	v_xor_b32_e32 v6, v3, v4
	v_ffbh_i32_e32 v5, v4
	v_ashrrev_i32_e32 v6, 31, v6
	v_add_u32_e32 v5, -1, v5
	v_add_u32_e32 v6, 32, v6
	v_min_u32_e32 v5, v5, v6
	v_lshlrev_b64 v[3:4], v5, v[3:4]
	v_min_u32_e32 v3, 1, v3
	v_or_b32_e32 v3, v4, v3
	v_cvt_f32_i32_e32 v3, v3
	v_sub_u32_e32 v4, 32, v5
	v_ldexp_f32 v3, v3, v4
	v_bfe_u32 v4, v3, 16, 1
	v_add3_u32 v3, v3, v4, s0
	v_lshrrev_b32_e32 v3, 16, v3
	s_mov_b64 s[0:1], 0
	s_branch .LBB166_924
.LBB166_921:
	s_mov_b64 s[0:1], -1
                                        ; implicit-def: $vgpr3
	s_branch .LBB166_930
.LBB166_922:
	s_mov_b64 s[0:1], -1
                                        ; implicit-def: $vgpr3
	s_branch .LBB166_927
.LBB166_923:
	s_mov_b64 s[0:1], -1
                                        ; implicit-def: $vgpr3
.LBB166_924:
	s_andn2_b64 vcc, exec, s[0:1]
	s_cbranch_vccnz .LBB166_926
; %bb.925:
	global_load_dword v3, v[0:1], off
	s_movk_i32 s0, 0x7fff
	s_waitcnt vmcnt(0)
	v_cvt_f32_i32_e32 v3, v3
	v_bfe_u32 v4, v3, 16, 1
	v_add3_u32 v3, v3, v4, s0
	v_lshrrev_b32_e32 v3, 16, v3
.LBB166_926:
	s_mov_b64 s[0:1], 0
.LBB166_927:
	s_andn2_b64 vcc, exec, s[0:1]
	s_cbranch_vccnz .LBB166_929
; %bb.928:
	global_load_sshort v3, v[0:1], off
	s_movk_i32 s0, 0x7fff
	s_waitcnt vmcnt(0)
	v_cvt_f32_i32_e32 v3, v3
	v_bfe_u32 v4, v3, 16, 1
	v_add3_u32 v3, v3, v4, s0
	v_lshrrev_b32_e32 v3, 16, v3
.LBB166_929:
	s_mov_b64 s[0:1], 0
.LBB166_930:
	s_andn2_b64 vcc, exec, s[0:1]
	s_cbranch_vccnz .LBB166_936
; %bb.931:
	s_cmp_gt_i32 s40, 0
	s_cbranch_scc0 .LBB166_933
; %bb.932:
	global_load_sbyte v3, v[0:1], off
	s_movk_i32 s0, 0x7fff
	s_waitcnt vmcnt(0)
	v_cvt_f32_i32_e32 v3, v3
	v_bfe_u32 v4, v3, 16, 1
	v_add3_u32 v3, v3, v4, s0
	v_lshrrev_b32_e32 v3, 16, v3
	s_mov_b64 s[0:1], 0
	s_branch .LBB166_934
.LBB166_933:
	s_mov_b64 s[0:1], -1
                                        ; implicit-def: $vgpr3
.LBB166_934:
	s_andn2_b64 vcc, exec, s[0:1]
	s_cbranch_vccnz .LBB166_936
; %bb.935:
	global_load_ubyte v0, v[0:1], off
	s_movk_i32 s0, 0x7fff
	s_waitcnt vmcnt(0)
	v_cvt_f32_ubyte0_e32 v0, v0
	v_bfe_u32 v1, v0, 16, 1
	v_add3_u32 v0, v0, v1, s0
	v_lshrrev_b32_e32 v3, 16, v0
.LBB166_936:
	v_mov_b32_e32 v4, 0
.LBB166_937:
	s_mov_b64 s[0:1], -1
.LBB166_938:
	s_andn2_b64 vcc, exec, s[0:1]
	s_cbranch_vccnz .LBB166_946
; %bb.939:
	v_mul_lo_u32 v0, v2, s14
	v_mov_b32_e32 v1, s3
	s_and_b32 s46, s56, 0xff
	s_cmp_lt_i32 s46, 11
	v_ashrrev_i32_e32 v5, 31, v0
	v_add_co_u32_e32 v0, vcc, s2, v0
	v_addc_co_u32_e32 v1, vcc, v1, v5, vcc
	s_cbranch_scc1 .LBB166_948
; %bb.940:
	s_and_b32 s47, 0xffff, s46
	s_cmp_gt_i32 s47, 25
	s_cbranch_scc0 .LBB166_949
; %bb.941:
	s_cmp_gt_i32 s47, 28
	s_cbranch_scc0 .LBB166_950
; %bb.942:
	;; [unrolled: 3-line block ×4, first 2 shown]
	s_cmp_eq_u32 s47, 46
	s_mov_b64 s[42:43], 0
	s_cbranch_scc0 .LBB166_955
; %bb.945:
	global_load_dword v5, v[0:1], off
	s_mov_b64 s[0:1], -1
	s_mov_b64 s[40:41], 0
	s_waitcnt vmcnt(0)
	v_and_b32_e32 v6, 0xffff0000, v5
	s_branch .LBB166_956
.LBB166_946:
	s_mov_b64 s[44:45], 0
	s_mov_b64 s[0:1], s[30:31]
	;; [unrolled: 1-line block ×3, first 2 shown]
.LBB166_947:
                                        ; implicit-def: $vgpr2
	s_branch .LBB166_1204
.LBB166_948:
	s_mov_b64 s[42:43], -1
	s_mov_b64 s[0:1], 0
                                        ; implicit-def: $vgpr6
                                        ; implicit-def: $vgpr5
	s_mov_b64 s[40:41], s[28:29]
	s_branch .LBB166_1024
.LBB166_949:
	s_mov_b64 s[42:43], -1
	s_mov_b64 s[0:1], 0
	s_mov_b64 s[40:41], s[28:29]
                                        ; implicit-def: $vgpr6
                                        ; implicit-def: $vgpr5
	s_branch .LBB166_987
.LBB166_950:
	s_mov_b64 s[42:43], -1
	s_mov_b64 s[0:1], 0
	s_mov_b64 s[40:41], s[28:29]
                                        ; implicit-def: $vgpr6
                                        ; implicit-def: $vgpr5
	s_branch .LBB166_968
.LBB166_951:
	s_mov_b64 s[42:43], -1
	s_mov_b64 s[0:1], 0
	s_mov_b64 s[40:41], s[28:29]
                                        ; implicit-def: $vgpr6
                                        ; implicit-def: $vgpr5
	s_branch .LBB166_962
.LBB166_952:
	s_mov_b64 s[42:43], -1
	s_mov_b64 s[0:1], 0
	s_mov_b64 s[40:41], s[28:29]
                                        ; implicit-def: $vgpr6
                                        ; implicit-def: $vgpr5
	s_branch .LBB166_956
.LBB166_953:
	s_andn2_saveexec_b64 s[40:41], s[40:41]
	s_cbranch_execz .LBB166_724
.LBB166_954:
	v_add_f32_e32 v3, 0x42800000, v4
	v_and_b32_e32 v3, 0xff, v3
	v_cmp_ne_u32_e32 vcc, 0, v3
	s_andn2_b64 s[38:39], s[38:39], exec
	s_and_b64 s[44:45], vcc, exec
	s_or_b64 s[38:39], s[38:39], s[44:45]
	s_or_b64 exec, exec, s[40:41]
	v_mov_b32_e32 v5, 0
	s_and_saveexec_b64 s[40:41], s[38:39]
	s_cbranch_execnz .LBB166_725
	s_branch .LBB166_726
.LBB166_955:
	s_mov_b64 s[40:41], -1
                                        ; implicit-def: $vgpr6
                                        ; implicit-def: $vgpr5
	s_mov_b64 s[0:1], 0
.LBB166_956:
	s_and_b64 vcc, exec, s[42:43]
	s_cbranch_vccz .LBB166_961
; %bb.957:
	s_cmp_eq_u32 s47, 44
	s_cbranch_scc0 .LBB166_959
; %bb.958:
	global_load_ubyte v5, v[0:1], off
	s_movk_i32 s40, 0xff
	v_mov_b32_e32 v6, 0x7f800001
	v_mov_b32_e32 v7, 0x400000
	;; [unrolled: 1-line block ×3, first 2 shown]
	s_mov_b64 s[0:1], -1
	s_waitcnt vmcnt(0)
	v_lshlrev_b32_e32 v9, 23, v5
	v_cmp_ne_u32_e32 vcc, s40, v5
	v_cndmask_b32_e32 v6, v6, v9, vcc
	v_cmp_ne_u32_e32 vcc, 0, v5
	v_cndmask_b32_e32 v5, v7, v6, vcc
	v_add_u32_e32 v6, 0x7fff, v5
	v_cmp_o_f32_e32 vcc, v5, v5
	v_cndmask_b32_sdwa v5, v8, v6, vcc dst_sel:DWORD dst_unused:UNUSED_PAD src0_sel:DWORD src1_sel:WORD_1
	s_mov_b64 s[40:41], 0
	s_branch .LBB166_960
.LBB166_959:
	s_mov_b64 s[40:41], -1
                                        ; implicit-def: $vgpr5
.LBB166_960:
	v_mov_b32_e32 v6, 0
.LBB166_961:
	s_mov_b64 s[42:43], 0
.LBB166_962:
	s_and_b64 vcc, exec, s[42:43]
	s_cbranch_vccz .LBB166_967
; %bb.963:
	s_cmp_eq_u32 s47, 29
	s_cbranch_scc0 .LBB166_965
; %bb.964:
	global_load_dwordx2 v[5:6], v[0:1], off
	s_movk_i32 s40, 0x7fff
	s_mov_b64 s[0:1], -1
	s_waitcnt vmcnt(0)
	v_ffbh_u32_e32 v7, v6
	v_min_u32_e32 v7, 32, v7
	v_lshlrev_b64 v[5:6], v7, v[5:6]
	v_min_u32_e32 v5, 1, v5
	v_or_b32_e32 v5, v6, v5
	v_cvt_f32_u32_e32 v5, v5
	v_sub_u32_e32 v6, 32, v7
	v_ldexp_f32 v5, v5, v6
	v_bfe_u32 v6, v5, 16, 1
	v_add3_u32 v5, v5, v6, s40
	v_lshrrev_b32_e32 v5, 16, v5
	s_mov_b64 s[40:41], 0
	s_branch .LBB166_966
.LBB166_965:
	s_mov_b64 s[40:41], -1
                                        ; implicit-def: $vgpr5
.LBB166_966:
	v_mov_b32_e32 v6, 0
.LBB166_967:
	s_mov_b64 s[42:43], 0
.LBB166_968:
	s_and_b64 vcc, exec, s[42:43]
	s_cbranch_vccz .LBB166_986
; %bb.969:
	s_cmp_lt_i32 s47, 27
	s_cbranch_scc1 .LBB166_972
; %bb.970:
	s_cmp_gt_i32 s47, 27
	s_cbranch_scc0 .LBB166_973
; %bb.971:
	global_load_dword v5, v[0:1], off
	s_movk_i32 s0, 0x7fff
	s_waitcnt vmcnt(0)
	v_cvt_f32_u32_e32 v5, v5
	v_bfe_u32 v6, v5, 16, 1
	v_add3_u32 v5, v5, v6, s0
	v_lshrrev_b32_e32 v5, 16, v5
	s_mov_b64 s[0:1], 0
	s_branch .LBB166_974
.LBB166_972:
	s_mov_b64 s[0:1], -1
                                        ; implicit-def: $vgpr5
	s_branch .LBB166_977
.LBB166_973:
	s_mov_b64 s[0:1], -1
                                        ; implicit-def: $vgpr5
.LBB166_974:
	s_andn2_b64 vcc, exec, s[0:1]
	s_cbranch_vccnz .LBB166_976
; %bb.975:
	global_load_ushort v5, v[0:1], off
	s_movk_i32 s0, 0x7fff
	s_waitcnt vmcnt(0)
	v_cvt_f32_u32_e32 v5, v5
	v_bfe_u32 v6, v5, 16, 1
	v_add3_u32 v5, v5, v6, s0
	v_lshrrev_b32_e32 v5, 16, v5
.LBB166_976:
	s_mov_b64 s[0:1], 0
.LBB166_977:
	s_andn2_b64 vcc, exec, s[0:1]
	s_cbranch_vccnz .LBB166_985
; %bb.978:
	global_load_ubyte v5, v[0:1], off
	s_movk_i32 s0, 0x7f
	s_waitcnt vmcnt(0)
	v_cmp_lt_i16_e32 vcc, s0, v5
	s_mov_b64 s[0:1], 0
	s_and_saveexec_b64 s[42:43], vcc
	s_xor_b64 s[42:43], exec, s[42:43]
	s_cbranch_execz .LBB166_999
; %bb.979:
	s_movk_i32 s0, 0x80
	v_cmp_eq_u16_e32 vcc, s0, v5
	s_mov_b64 s[0:1], -1
	s_and_saveexec_b64 s[44:45], vcc
; %bb.980:
	s_xor_b64 s[0:1], exec, -1
; %bb.981:
	s_or_b64 exec, exec, s[44:45]
	s_and_b64 s[0:1], s[0:1], exec
	s_or_saveexec_b64 s[42:43], s[42:43]
	v_mov_b32_e32 v6, 0x7f800001
	s_xor_b64 exec, exec, s[42:43]
	s_cbranch_execnz .LBB166_1000
.LBB166_982:
	s_or_b64 exec, exec, s[42:43]
	s_and_saveexec_b64 s[42:43], s[0:1]
	s_cbranch_execz .LBB166_984
.LBB166_983:
	v_lshlrev_b32_e32 v6, 24, v5
	v_and_b32_e32 v5, 0xffff, v5
	v_and_b32_e32 v7, 7, v5
	v_ffbh_u32_e32 v9, v7
	v_min_u32_e32 v9, 32, v9
	v_subrev_u32_e32 v10, 28, v9
	v_bfe_u32 v8, v5, 3, 4
	v_lshlrev_b32_e32 v5, v10, v5
	v_sub_u32_e32 v9, 29, v9
	v_and_b32_e32 v5, 7, v5
	v_cmp_eq_u32_e32 vcc, 0, v8
	v_cndmask_b32_e32 v8, v8, v9, vcc
	v_cndmask_b32_e32 v5, v7, v5, vcc
	v_mov_b32_e32 v7, 0x3b800000
	v_lshlrev_b32_e32 v5, 20, v5
	v_and_b32_e32 v6, 0x80000000, v6
	v_lshl_add_u32 v7, v8, 23, v7
	v_or3_b32 v6, v6, v7, v5
.LBB166_984:
	s_or_b64 exec, exec, s[42:43]
	v_bfe_u32 v5, v6, 16, 1
	s_movk_i32 s0, 0x7fff
	v_add3_u32 v5, v6, v5, s0
	v_cmp_o_f32_e32 vcc, v6, v6
	v_mov_b32_e32 v6, 0x7fc0
	v_cndmask_b32_sdwa v5, v6, v5, vcc dst_sel:DWORD dst_unused:UNUSED_PAD src0_sel:DWORD src1_sel:WORD_1
.LBB166_985:
	s_mov_b64 s[0:1], -1
	v_mov_b32_e32 v6, 0
.LBB166_986:
	s_mov_b64 s[42:43], 0
.LBB166_987:
	s_and_b64 vcc, exec, s[42:43]
	s_cbranch_vccz .LBB166_1023
; %bb.988:
	s_cmp_gt_i32 s47, 22
	s_cbranch_scc0 .LBB166_998
; %bb.989:
	s_cmp_lt_i32 s47, 24
	s_cbranch_scc1 .LBB166_1001
; %bb.990:
	s_cmp_gt_i32 s47, 24
	s_cbranch_scc0 .LBB166_1002
; %bb.991:
	global_load_ubyte v5, v[0:1], off
	s_movk_i32 s0, 0x7f
	s_waitcnt vmcnt(0)
	v_cmp_lt_i16_e32 vcc, s0, v5
	s_mov_b64 s[0:1], 0
	s_and_saveexec_b64 s[42:43], vcc
	s_xor_b64 s[42:43], exec, s[42:43]
	s_cbranch_execz .LBB166_1014
; %bb.992:
	s_movk_i32 s0, 0x80
	v_cmp_eq_u16_e32 vcc, s0, v5
	s_mov_b64 s[0:1], -1
	s_and_saveexec_b64 s[44:45], vcc
; %bb.993:
	s_xor_b64 s[0:1], exec, -1
; %bb.994:
	s_or_b64 exec, exec, s[44:45]
	s_and_b64 s[0:1], s[0:1], exec
	s_or_saveexec_b64 s[42:43], s[42:43]
	v_mov_b32_e32 v6, 0x7f800001
	s_xor_b64 exec, exec, s[42:43]
	s_cbranch_execnz .LBB166_1015
.LBB166_995:
	s_or_b64 exec, exec, s[42:43]
	s_and_saveexec_b64 s[42:43], s[0:1]
	s_cbranch_execz .LBB166_997
.LBB166_996:
	v_lshlrev_b32_e32 v6, 24, v5
	v_and_b32_e32 v5, 0xffff, v5
	v_and_b32_e32 v7, 3, v5
	v_ffbh_u32_e32 v9, v7
	v_min_u32_e32 v9, 32, v9
	v_subrev_u32_e32 v10, 29, v9
	v_bfe_u32 v8, v5, 2, 5
	v_lshlrev_b32_e32 v5, v10, v5
	v_sub_u32_e32 v9, 30, v9
	v_and_b32_e32 v5, 3, v5
	v_cmp_eq_u32_e32 vcc, 0, v8
	v_cndmask_b32_e32 v8, v8, v9, vcc
	v_cndmask_b32_e32 v5, v7, v5, vcc
	v_mov_b32_e32 v7, 0x37800000
	v_lshlrev_b32_e32 v5, 21, v5
	v_and_b32_e32 v6, 0x80000000, v6
	v_lshl_add_u32 v7, v8, 23, v7
	v_or3_b32 v6, v6, v7, v5
.LBB166_997:
	s_or_b64 exec, exec, s[42:43]
	v_bfe_u32 v5, v6, 16, 1
	s_movk_i32 s0, 0x7fff
	v_add3_u32 v5, v6, v5, s0
	v_cmp_o_f32_e32 vcc, v6, v6
	v_mov_b32_e32 v6, 0x7fc0
	v_cndmask_b32_sdwa v5, v6, v5, vcc dst_sel:DWORD dst_unused:UNUSED_PAD src0_sel:DWORD src1_sel:WORD_1
	s_mov_b64 s[0:1], 0
	s_branch .LBB166_1003
.LBB166_998:
	s_mov_b64 s[42:43], -1
                                        ; implicit-def: $vgpr5
	s_branch .LBB166_1009
.LBB166_999:
	s_or_saveexec_b64 s[42:43], s[42:43]
	v_mov_b32_e32 v6, 0x7f800001
	s_xor_b64 exec, exec, s[42:43]
	s_cbranch_execz .LBB166_982
.LBB166_1000:
	v_cmp_ne_u16_e32 vcc, 0, v5
	s_andn2_b64 s[0:1], s[0:1], exec
	s_and_b64 s[44:45], vcc, exec
	v_mov_b32_e32 v6, 0
	s_or_b64 s[0:1], s[0:1], s[44:45]
	s_or_b64 exec, exec, s[42:43]
	s_and_saveexec_b64 s[42:43], s[0:1]
	s_cbranch_execnz .LBB166_983
	s_branch .LBB166_984
.LBB166_1001:
	s_mov_b64 s[0:1], -1
                                        ; implicit-def: $vgpr5
	s_branch .LBB166_1006
.LBB166_1002:
	s_mov_b64 s[0:1], -1
                                        ; implicit-def: $vgpr5
.LBB166_1003:
	s_and_b64 vcc, exec, s[0:1]
	s_cbranch_vccz .LBB166_1005
; %bb.1004:
	global_load_ubyte v5, v[0:1], off
	s_mov_b32 s0, 0x7f800000
	s_brev_b32 s1, 1
	s_movk_i32 s42, 0x7fff
	s_waitcnt vmcnt(0)
	v_lshlrev_b32_e32 v5, 24, v5
	v_and_b32_e32 v6, 0x7f000000, v5
	v_ffbh_u32_e32 v7, v6
	v_min_u32_e32 v7, 32, v7
	v_sub_u32_e64 v7, v7, 4 clamp
	v_lshlrev_b32_e32 v9, v7, v6
	v_lshlrev_b32_e32 v7, 23, v7
	v_lshrrev_b32_e32 v9, 4, v9
	v_add_u32_e32 v8, 0x1000000, v6
	v_sub_u32_e32 v7, v9, v7
	v_ashrrev_i32_e32 v8, 8, v8
	v_add_u32_e32 v7, 0x3c000000, v7
	v_and_or_b32 v7, v8, s0, v7
	v_cmp_ne_u32_e32 vcc, 0, v6
	v_cndmask_b32_e32 v6, 0, v7, vcc
	v_and_or_b32 v5, v5, s1, v6
	v_bfe_u32 v6, v6, 16, 1
	v_add3_u32 v6, v5, v6, s42
	v_cmp_o_f32_e32 vcc, v5, v5
	v_mov_b32_e32 v5, 0x7fc0
	v_cndmask_b32_sdwa v5, v5, v6, vcc dst_sel:DWORD dst_unused:UNUSED_PAD src0_sel:DWORD src1_sel:WORD_1
.LBB166_1005:
	s_mov_b64 s[0:1], 0
.LBB166_1006:
	s_andn2_b64 vcc, exec, s[0:1]
	s_cbranch_vccnz .LBB166_1008
; %bb.1007:
	global_load_ubyte v5, v[0:1], off
	s_movk_i32 s0, 0x7f00
	s_brev_b32 s1, 16
	s_brev_b32 s42, 1
	s_movk_i32 s43, 0x7fff
	s_waitcnt vmcnt(0)
	v_lshlrev_b16_e32 v6, 8, v5
	v_lshlrev_b32_e32 v5, 25, v5
	v_lshrrev_b32_e32 v7, 4, v5
	v_and_or_b32 v8, v6, s0, 0.5
	v_or_b32_e32 v7, 0x70000000, v7
	v_add_f32_e32 v8, -0.5, v8
	v_mul_f32_e32 v7, 0x7800000, v7
	v_cmp_gt_u32_e32 vcc, s1, v5
	v_bfe_i32 v6, v6, 0, 16
	v_cndmask_b32_e32 v5, v7, v8, vcc
	v_and_or_b32 v6, v6, s42, v5
	v_bfe_u32 v5, v5, 16, 1
	v_add3_u32 v5, v6, v5, s43
	v_cmp_o_f32_e32 vcc, v6, v6
	v_mov_b32_e32 v6, 0x7fc0
	v_cndmask_b32_sdwa v5, v6, v5, vcc dst_sel:DWORD dst_unused:UNUSED_PAD src0_sel:DWORD src1_sel:WORD_1
.LBB166_1008:
	s_mov_b64 s[42:43], 0
	s_mov_b64 s[0:1], -1
.LBB166_1009:
	s_andn2_b64 vcc, exec, s[42:43]
	s_cbranch_vccnz .LBB166_1022
; %bb.1010:
	s_cmp_gt_i32 s47, 14
	s_cbranch_scc0 .LBB166_1013
; %bb.1011:
	s_cmp_eq_u32 s47, 15
	s_cbranch_scc0 .LBB166_1016
; %bb.1012:
	global_load_ushort v5, v[0:1], off
	s_mov_b64 s[0:1], -1
	s_mov_b64 s[40:41], 0
	s_branch .LBB166_1017
.LBB166_1013:
	s_mov_b64 s[42:43], -1
                                        ; implicit-def: $vgpr5
	s_branch .LBB166_1018
.LBB166_1014:
	s_or_saveexec_b64 s[42:43], s[42:43]
	v_mov_b32_e32 v6, 0x7f800001
	s_xor_b64 exec, exec, s[42:43]
	s_cbranch_execz .LBB166_995
.LBB166_1015:
	v_cmp_ne_u16_e32 vcc, 0, v5
	s_andn2_b64 s[0:1], s[0:1], exec
	s_and_b64 s[44:45], vcc, exec
	v_mov_b32_e32 v6, 0
	s_or_b64 s[0:1], s[0:1], s[44:45]
	s_or_b64 exec, exec, s[42:43]
	s_and_saveexec_b64 s[42:43], s[0:1]
	s_cbranch_execnz .LBB166_996
	s_branch .LBB166_997
.LBB166_1016:
	s_mov_b64 s[40:41], -1
                                        ; implicit-def: $vgpr5
.LBB166_1017:
	s_mov_b64 s[42:43], 0
.LBB166_1018:
	s_and_b64 vcc, exec, s[42:43]
	s_cbranch_vccz .LBB166_1022
; %bb.1019:
	s_cmp_eq_u32 s47, 11
	s_cbranch_scc0 .LBB166_1021
; %bb.1020:
	global_load_ubyte v5, v[0:1], off
	s_mov_b64 s[0:1], -1
	s_mov_b64 s[40:41], 0
	v_mov_b32_e32 v6, 0
	s_waitcnt vmcnt(0)
	v_cmp_ne_u16_e32 vcc, 0, v5
	v_cndmask_b32_e64 v5, 0, 1.0, vcc
	v_lshrrev_b32_e32 v5, 16, v5
	s_branch .LBB166_1023
.LBB166_1021:
	s_mov_b64 s[40:41], -1
                                        ; implicit-def: $vgpr5
.LBB166_1022:
	v_mov_b32_e32 v6, 0
.LBB166_1023:
	s_mov_b64 s[42:43], 0
.LBB166_1024:
	s_and_b64 vcc, exec, s[42:43]
	s_cbranch_vccz .LBB166_1075
; %bb.1025:
	s_and_b32 s42, 0xffff, s46
	s_cmp_lt_i32 s42, 5
	s_cbranch_scc1 .LBB166_1030
; %bb.1026:
	s_cmp_lt_i32 s42, 8
	s_cbranch_scc1 .LBB166_1031
; %bb.1027:
	;; [unrolled: 3-line block ×3, first 2 shown]
	s_cmp_gt_i32 s42, 9
	s_cbranch_scc0 .LBB166_1033
; %bb.1029:
	global_load_dwordx4 v[5:8], v[0:1], off
	s_movk_i32 s0, 0x7fff
	s_waitcnt vmcnt(0)
	v_cvt_f32_f64_e32 v5, v[5:6]
	v_cvt_f32_f64_e32 v6, v[7:8]
	v_mov_b32_e32 v7, 0x7fc0
	v_mov_b32_e32 v8, 0x7fc00000
	v_bfe_u32 v9, v5, 16, 1
	v_bfe_u32 v10, v6, 16, 1
	v_cmp_o_f32_e32 vcc, v5, v5
	v_add3_u32 v5, v5, v9, s0
	v_add3_u32 v9, v6, v10, s0
	v_cndmask_b32_sdwa v5, v7, v5, vcc dst_sel:DWORD dst_unused:UNUSED_PAD src0_sel:DWORD src1_sel:WORD_1
	v_and_b32_e32 v7, 0xffff0000, v9
	v_cmp_o_f32_e32 vcc, v6, v6
	v_cndmask_b32_e32 v6, v8, v7, vcc
	s_mov_b64 s[0:1], 0
	s_branch .LBB166_1034
.LBB166_1030:
	s_mov_b64 s[0:1], -1
                                        ; implicit-def: $vgpr6
                                        ; implicit-def: $vgpr5
	s_branch .LBB166_1053
.LBB166_1031:
	s_mov_b64 s[0:1], -1
                                        ; implicit-def: $vgpr6
                                        ; implicit-def: $vgpr5
	s_branch .LBB166_1040
.LBB166_1032:
	s_mov_b64 s[0:1], -1
                                        ; implicit-def: $vgpr6
                                        ; implicit-def: $vgpr5
	s_branch .LBB166_1037
.LBB166_1033:
	s_mov_b64 s[0:1], -1
                                        ; implicit-def: $vgpr6
                                        ; implicit-def: $vgpr5
.LBB166_1034:
	s_andn2_b64 vcc, exec, s[0:1]
	s_cbranch_vccnz .LBB166_1036
; %bb.1035:
	global_load_dwordx2 v[5:6], v[0:1], off
	s_movk_i32 s0, 0x7fff
	v_mov_b32_e32 v7, 0x7fc0
	v_mov_b32_e32 v8, 0x7fc00000
	s_waitcnt vmcnt(0)
	v_bfe_u32 v9, v5, 16, 1
	v_bfe_u32 v10, v6, 16, 1
	v_cmp_o_f32_e32 vcc, v5, v5
	v_add3_u32 v5, v5, v9, s0
	v_add3_u32 v9, v6, v10, s0
	v_cndmask_b32_sdwa v5, v7, v5, vcc dst_sel:DWORD dst_unused:UNUSED_PAD src0_sel:DWORD src1_sel:WORD_1
	v_and_b32_e32 v7, 0xffff0000, v9
	v_cmp_o_f32_e32 vcc, v6, v6
	v_cndmask_b32_e32 v6, v8, v7, vcc
.LBB166_1036:
	s_mov_b64 s[0:1], 0
.LBB166_1037:
	s_andn2_b64 vcc, exec, s[0:1]
	s_cbranch_vccnz .LBB166_1039
; %bb.1038:
	global_load_dword v6, v[0:1], off
	s_movk_i32 s0, 0x7fff
	s_waitcnt vmcnt(1)
	v_mov_b32_e32 v5, 0x7fc0
	v_mov_b32_e32 v9, 0x7fc00000
	s_waitcnt vmcnt(0)
	v_cvt_f32_f16_e32 v7, v6
	v_cvt_f32_f16_sdwa v8, v6 dst_sel:DWORD dst_unused:UNUSED_PAD src0_sel:WORD_1
	v_cmp_o_f16_e32 vcc, v6, v6
	v_bfe_u32 v10, v7, 16, 1
	v_bfe_u32 v11, v8, 16, 1
	v_add3_u32 v7, v7, v10, s0
	v_add3_u32 v8, v8, v11, s0
	v_cndmask_b32_sdwa v5, v5, v7, vcc dst_sel:DWORD dst_unused:UNUSED_PAD src0_sel:DWORD src1_sel:WORD_1
	v_and_b32_e32 v7, 0xffff0000, v8
	v_cmp_o_f16_sdwa vcc, v6, v6 src0_sel:WORD_1 src1_sel:WORD_1
	v_cndmask_b32_e32 v6, v9, v7, vcc
.LBB166_1039:
	s_mov_b64 s[0:1], 0
.LBB166_1040:
	s_andn2_b64 vcc, exec, s[0:1]
	s_cbranch_vccnz .LBB166_1052
; %bb.1041:
	s_cmp_lt_i32 s42, 6
	s_cbranch_scc1 .LBB166_1044
; %bb.1042:
	s_cmp_gt_i32 s42, 6
	s_cbranch_scc0 .LBB166_1045
; %bb.1043:
	global_load_dwordx2 v[5:6], v[0:1], off
	s_movk_i32 s0, 0x7fff
	s_waitcnt vmcnt(0)
	v_cvt_f32_f64_e32 v5, v[5:6]
	v_mov_b32_e32 v6, 0x7fc0
	v_bfe_u32 v7, v5, 16, 1
	v_cmp_o_f32_e32 vcc, v5, v5
	v_add3_u32 v5, v5, v7, s0
	v_cndmask_b32_sdwa v5, v6, v5, vcc dst_sel:DWORD dst_unused:UNUSED_PAD src0_sel:DWORD src1_sel:WORD_1
	s_mov_b64 s[0:1], 0
	s_branch .LBB166_1046
.LBB166_1044:
	s_mov_b64 s[0:1], -1
                                        ; implicit-def: $vgpr5
	s_branch .LBB166_1049
.LBB166_1045:
	s_mov_b64 s[0:1], -1
                                        ; implicit-def: $vgpr5
.LBB166_1046:
	s_andn2_b64 vcc, exec, s[0:1]
	s_cbranch_vccnz .LBB166_1048
; %bb.1047:
	global_load_dword v5, v[0:1], off
	s_movk_i32 s0, 0x7fff
	v_mov_b32_e32 v6, 0x7fc0
	s_waitcnt vmcnt(0)
	v_bfe_u32 v7, v5, 16, 1
	v_cmp_o_f32_e32 vcc, v5, v5
	v_add3_u32 v5, v5, v7, s0
	v_cndmask_b32_sdwa v5, v6, v5, vcc dst_sel:DWORD dst_unused:UNUSED_PAD src0_sel:DWORD src1_sel:WORD_1
.LBB166_1048:
	s_mov_b64 s[0:1], 0
.LBB166_1049:
	s_andn2_b64 vcc, exec, s[0:1]
	s_cbranch_vccnz .LBB166_1051
; %bb.1050:
	global_load_ushort v5, v[0:1], off
	s_movk_i32 s0, 0x7fff
	v_mov_b32_e32 v7, 0x7fc0
	s_waitcnt vmcnt(0)
	v_cvt_f32_f16_e32 v6, v5
	v_cmp_o_f16_e32 vcc, v5, v5
	v_bfe_u32 v5, v6, 16, 1
	v_add3_u32 v5, v6, v5, s0
	v_cndmask_b32_sdwa v5, v7, v5, vcc dst_sel:DWORD dst_unused:UNUSED_PAD src0_sel:DWORD src1_sel:WORD_1
.LBB166_1051:
	v_mov_b32_e32 v6, 0
.LBB166_1052:
	s_mov_b64 s[0:1], 0
.LBB166_1053:
	s_andn2_b64 vcc, exec, s[0:1]
	s_cbranch_vccnz .LBB166_1074
; %bb.1054:
	s_cmp_lt_i32 s42, 2
	s_cbranch_scc1 .LBB166_1058
; %bb.1055:
	s_cmp_lt_i32 s42, 3
	s_cbranch_scc1 .LBB166_1059
; %bb.1056:
	s_cmp_gt_i32 s42, 3
	s_cbranch_scc0 .LBB166_1060
; %bb.1057:
	global_load_dwordx2 v[5:6], v[0:1], off
	s_movk_i32 s0, 0x7fff
	s_waitcnt vmcnt(0)
	v_xor_b32_e32 v8, v5, v6
	v_ffbh_i32_e32 v7, v6
	v_ashrrev_i32_e32 v8, 31, v8
	v_add_u32_e32 v7, -1, v7
	v_add_u32_e32 v8, 32, v8
	v_min_u32_e32 v7, v7, v8
	v_lshlrev_b64 v[5:6], v7, v[5:6]
	v_min_u32_e32 v5, 1, v5
	v_or_b32_e32 v5, v6, v5
	v_cvt_f32_i32_e32 v5, v5
	v_sub_u32_e32 v6, 32, v7
	v_ldexp_f32 v5, v5, v6
	v_bfe_u32 v6, v5, 16, 1
	v_add3_u32 v5, v5, v6, s0
	v_lshrrev_b32_e32 v5, 16, v5
	s_mov_b64 s[0:1], 0
	s_branch .LBB166_1061
.LBB166_1058:
	s_mov_b64 s[0:1], -1
                                        ; implicit-def: $vgpr5
	s_branch .LBB166_1067
.LBB166_1059:
	s_mov_b64 s[0:1], -1
                                        ; implicit-def: $vgpr5
	s_branch .LBB166_1064
.LBB166_1060:
	s_mov_b64 s[0:1], -1
                                        ; implicit-def: $vgpr5
.LBB166_1061:
	s_andn2_b64 vcc, exec, s[0:1]
	s_cbranch_vccnz .LBB166_1063
; %bb.1062:
	global_load_dword v5, v[0:1], off
	s_movk_i32 s0, 0x7fff
	s_waitcnt vmcnt(0)
	v_cvt_f32_i32_e32 v5, v5
	v_bfe_u32 v6, v5, 16, 1
	v_add3_u32 v5, v5, v6, s0
	v_lshrrev_b32_e32 v5, 16, v5
.LBB166_1063:
	s_mov_b64 s[0:1], 0
.LBB166_1064:
	s_andn2_b64 vcc, exec, s[0:1]
	s_cbranch_vccnz .LBB166_1066
; %bb.1065:
	global_load_sshort v5, v[0:1], off
	s_movk_i32 s0, 0x7fff
	s_waitcnt vmcnt(0)
	v_cvt_f32_i32_e32 v5, v5
	v_bfe_u32 v6, v5, 16, 1
	v_add3_u32 v5, v5, v6, s0
	v_lshrrev_b32_e32 v5, 16, v5
.LBB166_1066:
	s_mov_b64 s[0:1], 0
.LBB166_1067:
	s_andn2_b64 vcc, exec, s[0:1]
	s_cbranch_vccnz .LBB166_1073
; %bb.1068:
	s_cmp_gt_i32 s42, 0
	s_cbranch_scc0 .LBB166_1070
; %bb.1069:
	global_load_sbyte v5, v[0:1], off
	s_movk_i32 s0, 0x7fff
	s_waitcnt vmcnt(0)
	v_cvt_f32_i32_e32 v5, v5
	v_bfe_u32 v6, v5, 16, 1
	v_add3_u32 v5, v5, v6, s0
	v_lshrrev_b32_e32 v5, 16, v5
	s_mov_b64 s[0:1], 0
	s_branch .LBB166_1071
.LBB166_1070:
	s_mov_b64 s[0:1], -1
                                        ; implicit-def: $vgpr5
.LBB166_1071:
	s_andn2_b64 vcc, exec, s[0:1]
	s_cbranch_vccnz .LBB166_1073
; %bb.1072:
	global_load_ubyte v0, v[0:1], off
	s_movk_i32 s0, 0x7fff
	s_waitcnt vmcnt(0)
	v_cvt_f32_ubyte0_e32 v0, v0
	v_bfe_u32 v1, v0, 16, 1
	v_add3_u32 v0, v0, v1, s0
	v_lshrrev_b32_e32 v5, 16, v0
.LBB166_1073:
	v_mov_b32_e32 v6, 0
.LBB166_1074:
	s_mov_b64 s[0:1], -1
.LBB166_1075:
	s_andn2_b64 vcc, exec, s[0:1]
	s_cbranch_vccnz .LBB166_1078
; %bb.1076:
	s_waitcnt vmcnt(0)
	v_or_b32_sdwa v0, v4, v3 dst_sel:DWORD dst_unused:UNUSED_PAD src0_sel:DWORD src1_sel:WORD_0
	v_or_b32_sdwa v1, v6, v5 dst_sel:DWORD dst_unused:UNUSED_PAD src0_sel:DWORD src1_sel:WORD_0
	s_andn2_b64 vcc, exec, s[16:17]
	v_lshlrev_b32_e32 v0, 16, v0
	v_lshlrev_b32_e32 v1, 16, v1
	s_cbranch_vccnz .LBB166_1079
; %bb.1077:
	v_and_b32_e32 v3, 0xffff0000, v4
	v_and_b32_e32 v5, 0xffff0000, v6
	v_cmp_neq_f32_e32 vcc, v0, v1
	v_cmp_neq_f32_e64 s[0:1], v3, v5
	s_or_b64 s[42:43], vcc, s[0:1]
	s_mov_b64 s[0:1], 0
	s_branch .LBB166_1080
.LBB166_1078:
	s_mov_b64 s[44:45], 0
                                        ; implicit-def: $vgpr2
	s_mov_b64 s[0:1], s[30:31]
	s_branch .LBB166_1204
.LBB166_1079:
	s_mov_b64 s[0:1], -1
                                        ; implicit-def: $sgpr42_sgpr43
.LBB166_1080:
	s_andn2_b64 vcc, exec, s[0:1]
	s_cbranch_vccnz .LBB166_1082
; %bb.1081:
	v_and_b32_e32 v3, 0xffff0000, v6
	v_and_b32_e32 v4, 0xffff0000, v4
	v_cmp_eq_f32_e32 vcc, v0, v1
	v_cmp_eq_f32_e64 s[0:1], v4, v3
	s_and_b64 s[0:1], vcc, s[0:1]
	s_andn2_b64 s[42:43], s[42:43], exec
	s_and_b64 s[0:1], s[0:1], exec
	s_or_b64 s[42:43], s[42:43], s[0:1]
.LBB166_1082:
	v_mul_lo_u32 v0, v2, s12
	v_mov_b32_e32 v1, s9
	s_and_b32 s51, s33, 0xff
	s_cmp_lt_i32 s51, 11
	v_ashrrev_i32_e32 v3, 31, v0
	v_add_co_u32_e32 v0, vcc, s8, v0
	v_addc_co_u32_e32 v1, vcc, v1, v3, vcc
	s_cbranch_scc1 .LBB166_1089
; %bb.1083:
	s_and_b32 s52, 0xffff, s51
	s_cmp_gt_i32 s52, 25
	s_cbranch_scc0 .LBB166_1090
; %bb.1084:
	s_cmp_gt_i32 s52, 28
	s_cbranch_scc0 .LBB166_1091
; %bb.1085:
	;; [unrolled: 3-line block ×4, first 2 shown]
	s_mov_b64 s[46:47], 0
	s_mov_b64 s[0:1], -1
	s_cmp_eq_u32 s52, 46
	s_mov_b64 s[44:45], 0
	s_cbranch_scc0 .LBB166_1094
; %bb.1088:
	v_cndmask_b32_e64 v3, 0, 1.0, s[42:43]
	v_bfe_u32 v4, v3, 16, 1
	s_movk_i32 s0, 0x7fff
	v_add3_u32 v3, v3, v4, s0
	v_lshrrev_b32_e32 v3, 16, v3
	global_store_dword v[0:1], v3, off
	s_mov_b64 s[44:45], -1
	s_mov_b64 s[0:1], 0
	s_branch .LBB166_1094
.LBB166_1089:
	s_mov_b64 s[46:47], -1
	s_mov_b64 s[44:45], 0
	s_mov_b64 s[0:1], s[30:31]
	s_branch .LBB166_1163
.LBB166_1090:
	s_mov_b64 s[46:47], -1
	s_mov_b64 s[44:45], 0
	s_mov_b64 s[0:1], s[30:31]
	s_branch .LBB166_1121
.LBB166_1091:
	s_mov_b64 s[46:47], -1
	s_mov_b64 s[44:45], 0
	s_mov_b64 s[0:1], s[30:31]
	s_branch .LBB166_1104
.LBB166_1092:
	s_mov_b64 s[46:47], -1
	s_mov_b64 s[44:45], 0
	s_mov_b64 s[0:1], s[30:31]
	s_branch .LBB166_1100
.LBB166_1093:
	s_mov_b64 s[46:47], -1
	s_mov_b64 s[44:45], 0
	s_mov_b64 s[0:1], s[30:31]
.LBB166_1094:
	s_and_b64 vcc, exec, s[46:47]
	s_cbranch_vccz .LBB166_1099
; %bb.1095:
	s_cmp_eq_u32 s52, 44
	s_mov_b64 s[0:1], -1
	s_cbranch_scc0 .LBB166_1099
; %bb.1096:
	v_cndmask_b32_e64 v4, 0, 1.0, s[42:43]
	v_lshrrev_b32_e32 v3, 23, v4
	s_movk_i32 s0, 0xff
	v_cmp_ne_u32_e32 vcc, s0, v3
	v_mov_b32_e32 v5, 0xff
	s_and_saveexec_b64 s[44:45], vcc
; %bb.1097:
	s_mov_b32 s0, 0x3fffff
	v_and_b32_e32 v5, 0x400000, v4
	v_and_or_b32 v4, v4, s0, v3
	v_cmp_ne_u32_e32 vcc, 0, v5
	v_cmp_ne_u32_e64 s[0:1], 0, v4
	s_and_b64 s[0:1], vcc, s[0:1]
	v_cndmask_b32_e64 v4, 0, 1, s[0:1]
	v_add_u32_e32 v5, v3, v4
; %bb.1098:
	s_or_b64 exec, exec, s[44:45]
	s_mov_b64 s[44:45], -1
	s_mov_b64 s[0:1], 0
	global_store_byte v[0:1], v5, off
.LBB166_1099:
	s_mov_b64 s[46:47], 0
.LBB166_1100:
	s_and_b64 vcc, exec, s[46:47]
	s_cbranch_vccz .LBB166_1103
; %bb.1101:
	s_cmp_eq_u32 s52, 29
	s_mov_b64 s[0:1], -1
	s_cbranch_scc0 .LBB166_1103
; %bb.1102:
	s_mov_b32 s0, 0
	v_cndmask_b32_e64 v3, 0, 1, s[42:43]
	v_mov_b32_e32 v4, s0
	global_store_dwordx2 v[0:1], v[3:4], off
	s_mov_b64 s[44:45], -1
	s_mov_b64 s[0:1], 0
.LBB166_1103:
	s_mov_b64 s[46:47], 0
.LBB166_1104:
	s_and_b64 vcc, exec, s[46:47]
	s_cbranch_vccz .LBB166_1120
; %bb.1105:
	s_cmp_lt_i32 s52, 27
	s_mov_b64 s[44:45], -1
	s_cbranch_scc1 .LBB166_1111
; %bb.1106:
	s_cmp_gt_i32 s52, 27
	s_cbranch_scc0 .LBB166_1108
; %bb.1107:
	v_cndmask_b32_e64 v3, 0, 1, s[42:43]
	s_mov_b64 s[44:45], 0
	global_store_dword v[0:1], v3, off
.LBB166_1108:
	s_andn2_b64 vcc, exec, s[44:45]
	s_cbranch_vccnz .LBB166_1110
; %bb.1109:
	v_cndmask_b32_e64 v3, 0, 1, s[42:43]
	global_store_short v[0:1], v3, off
.LBB166_1110:
	s_mov_b64 s[44:45], 0
.LBB166_1111:
	s_andn2_b64 vcc, exec, s[44:45]
	s_cbranch_vccnz .LBB166_1119
; %bb.1112:
	v_cndmask_b32_e64 v4, 0, 1.0, s[42:43]
	s_mov_b32 s44, 0x43800000
	v_cmp_gt_u32_e32 vcc, s44, v4
	v_mov_b32_e32 v5, 0x80
	s_and_saveexec_b64 s[44:45], vcc
	s_cbranch_execz .LBB166_1118
; %bb.1113:
	s_mov_b32 s46, 0x3bffffff
	v_cmp_lt_u32_e32 vcc, s46, v4
	s_mov_b64 s[46:47], 0
                                        ; implicit-def: $vgpr3
	s_and_saveexec_b64 s[48:49], vcc
	s_xor_b64 s[48:49], exec, s[48:49]
	s_cbranch_execz .LBB166_1220
; %bb.1114:
	v_bfe_u32 v3, v4, 20, 1
	s_mov_b32 s53, 0x487ffff
	v_add3_u32 v3, v4, v3, s53
	s_mov_b64 s[46:47], exec
	v_lshrrev_b32_e32 v3, 20, v3
                                        ; implicit-def: $vgpr4
	s_andn2_saveexec_b64 s[48:49], s[48:49]
	s_cbranch_execnz .LBB166_1221
.LBB166_1115:
	s_or_b64 exec, exec, s[48:49]
	v_mov_b32_e32 v5, 0
	s_and_saveexec_b64 s[48:49], s[46:47]
.LBB166_1116:
	v_mov_b32_e32 v5, v3
.LBB166_1117:
	s_or_b64 exec, exec, s[48:49]
.LBB166_1118:
	s_or_b64 exec, exec, s[44:45]
	global_store_byte v[0:1], v5, off
.LBB166_1119:
	s_mov_b64 s[44:45], -1
.LBB166_1120:
	s_mov_b64 s[46:47], 0
.LBB166_1121:
	s_and_b64 vcc, exec, s[46:47]
	s_cbranch_vccz .LBB166_1162
; %bb.1122:
	s_cmp_gt_i32 s52, 22
	s_mov_b64 s[46:47], -1
	s_cbranch_scc0 .LBB166_1154
; %bb.1123:
	s_cmp_lt_i32 s52, 24
	s_mov_b64 s[44:45], -1
	s_cbranch_scc1 .LBB166_1143
; %bb.1124:
	s_cmp_gt_i32 s52, 24
	s_cbranch_scc0 .LBB166_1132
; %bb.1125:
	v_cndmask_b32_e64 v4, 0, 1.0, s[42:43]
	s_mov_b32 s44, 0x47800000
	v_cmp_gt_u32_e32 vcc, s44, v4
	v_mov_b32_e32 v5, 0x80
	s_and_saveexec_b64 s[44:45], vcc
	s_cbranch_execz .LBB166_1131
; %bb.1126:
	s_mov_b32 s46, 0x37ffffff
	v_cmp_lt_u32_e32 vcc, s46, v4
	s_mov_b64 s[46:47], 0
                                        ; implicit-def: $vgpr3
	s_and_saveexec_b64 s[48:49], vcc
	s_xor_b64 s[48:49], exec, s[48:49]
	s_cbranch_execz .LBB166_2290
; %bb.1127:
	v_bfe_u32 v3, v4, 21, 1
	s_mov_b32 s53, 0x88fffff
	v_add3_u32 v3, v4, v3, s53
	s_mov_b64 s[46:47], exec
	v_lshrrev_b32_e32 v3, 21, v3
                                        ; implicit-def: $vgpr4
	s_andn2_saveexec_b64 s[48:49], s[48:49]
	s_cbranch_execnz .LBB166_2291
.LBB166_1128:
	s_or_b64 exec, exec, s[48:49]
	v_mov_b32_e32 v5, 0
	s_and_saveexec_b64 s[48:49], s[46:47]
.LBB166_1129:
	v_mov_b32_e32 v5, v3
.LBB166_1130:
	s_or_b64 exec, exec, s[48:49]
.LBB166_1131:
	s_or_b64 exec, exec, s[44:45]
	s_mov_b64 s[44:45], 0
	global_store_byte v[0:1], v5, off
.LBB166_1132:
	s_and_b64 vcc, exec, s[44:45]
	s_cbranch_vccz .LBB166_1142
; %bb.1133:
	v_cndmask_b32_e64 v3, 0, 1.0, s[42:43]
	s_mov_b32 s44, 0x43f00000
	v_cmp_gt_u32_e32 vcc, s44, v3
                                        ; implicit-def: $vgpr4
	s_and_saveexec_b64 s[44:45], vcc
	s_xor_b64 s[44:45], exec, s[44:45]
	s_cbranch_execz .LBB166_1139
; %bb.1134:
	s_mov_b32 s46, 0x3c7fffff
	v_cmp_lt_u32_e32 vcc, s46, v3
                                        ; implicit-def: $vgpr4
	s_and_saveexec_b64 s[46:47], vcc
	s_xor_b64 s[46:47], exec, s[46:47]
; %bb.1135:
	v_bfe_u32 v4, v3, 20, 1
	s_mov_b32 s48, 0x407ffff
	v_add3_u32 v3, v3, v4, s48
	v_lshrrev_b32_e32 v4, 20, v3
	v_and_b32_e32 v3, 0xff00000, v3
	s_mov_b32 s48, 0x7f00000
	v_mov_b32_e32 v5, 0x7e
	v_cmp_ne_u32_e32 vcc, s48, v3
	v_cndmask_b32_e32 v4, v5, v4, vcc
                                        ; implicit-def: $vgpr3
; %bb.1136:
	s_andn2_saveexec_b64 s[46:47], s[46:47]
; %bb.1137:
	v_add_f32_e32 v4, 0x46800000, v3
; %bb.1138:
	s_or_b64 exec, exec, s[46:47]
                                        ; implicit-def: $vgpr3
.LBB166_1139:
	s_andn2_saveexec_b64 s[44:45], s[44:45]
; %bb.1140:
	s_mov_b32 s46, 0x7f800000
	v_mov_b32_e32 v4, 0x7e
	v_mov_b32_e32 v5, 0x7f
	v_cmp_lt_u32_e32 vcc, s46, v3
	v_cndmask_b32_e32 v4, v4, v5, vcc
; %bb.1141:
	s_or_b64 exec, exec, s[44:45]
	global_store_byte v[0:1], v4, off
.LBB166_1142:
	s_mov_b64 s[44:45], 0
.LBB166_1143:
	s_andn2_b64 vcc, exec, s[44:45]
	s_cbranch_vccnz .LBB166_1153
; %bb.1144:
	v_cndmask_b32_e64 v3, 0, 1.0, s[42:43]
	s_mov_b32 s44, 0x47800000
	v_cmp_gt_u32_e32 vcc, s44, v3
                                        ; implicit-def: $vgpr4
	s_and_saveexec_b64 s[44:45], vcc
	s_xor_b64 s[44:45], exec, s[44:45]
	s_cbranch_execz .LBB166_1150
; %bb.1145:
	s_mov_b32 s46, 0x387fffff
	v_cmp_lt_u32_e32 vcc, s46, v3
                                        ; implicit-def: $vgpr4
	s_and_saveexec_b64 s[46:47], vcc
	s_xor_b64 s[46:47], exec, s[46:47]
; %bb.1146:
	v_bfe_u32 v4, v3, 21, 1
	s_mov_b32 s48, 0x80fffff
	v_add3_u32 v3, v3, v4, s48
	v_lshrrev_b32_e32 v4, 21, v3
                                        ; implicit-def: $vgpr3
; %bb.1147:
	s_andn2_saveexec_b64 s[46:47], s[46:47]
; %bb.1148:
	v_add_f32_e32 v4, 0x43000000, v3
; %bb.1149:
	s_or_b64 exec, exec, s[46:47]
                                        ; implicit-def: $vgpr3
.LBB166_1150:
	s_andn2_saveexec_b64 s[44:45], s[44:45]
; %bb.1151:
	s_mov_b32 s46, 0x7f800000
	v_mov_b32_e32 v4, 0x7c
	v_mov_b32_e32 v5, 0x7f
	v_cmp_lt_u32_e32 vcc, s46, v3
	v_cndmask_b32_e32 v4, v4, v5, vcc
; %bb.1152:
	s_or_b64 exec, exec, s[44:45]
	global_store_byte v[0:1], v4, off
.LBB166_1153:
	s_mov_b64 s[46:47], 0
	s_mov_b64 s[44:45], -1
.LBB166_1154:
	s_andn2_b64 vcc, exec, s[46:47]
	s_cbranch_vccnz .LBB166_1162
; %bb.1155:
	s_cmp_gt_i32 s52, 14
	s_mov_b64 s[46:47], -1
	s_cbranch_scc0 .LBB166_1159
; %bb.1156:
	s_cmp_eq_u32 s52, 15
	s_mov_b64 s[0:1], -1
	s_cbranch_scc0 .LBB166_1158
; %bb.1157:
	v_cndmask_b32_e64 v3, 0, 1.0, s[42:43]
	v_bfe_u32 v4, v3, 16, 1
	s_movk_i32 s0, 0x7fff
	v_add3_u32 v3, v3, v4, s0
	global_store_short_d16_hi v[0:1], v3, off
	s_mov_b64 s[44:45], -1
	s_mov_b64 s[0:1], 0
.LBB166_1158:
	s_mov_b64 s[46:47], 0
.LBB166_1159:
	s_and_b64 vcc, exec, s[46:47]
	s_cbranch_vccz .LBB166_1162
; %bb.1160:
	s_cmp_eq_u32 s52, 11
	s_mov_b64 s[0:1], -1
	s_cbranch_scc0 .LBB166_1162
; %bb.1161:
	v_cndmask_b32_e64 v3, 0, 1, s[42:43]
	s_mov_b64 s[44:45], -1
	s_mov_b64 s[0:1], 0
	global_store_byte v[0:1], v3, off
.LBB166_1162:
	s_mov_b64 s[46:47], 0
.LBB166_1163:
	s_and_b64 vcc, exec, s[46:47]
	s_cbranch_vccz .LBB166_1202
; %bb.1164:
	s_and_b32 s46, 0xffff, s51
	s_cmp_lt_i32 s46, 5
	s_mov_b64 s[44:45], -1
	s_cbranch_scc1 .LBB166_1185
; %bb.1165:
	s_cmp_lt_i32 s46, 8
	s_cbranch_scc1 .LBB166_1175
; %bb.1166:
	s_cmp_lt_i32 s46, 9
	s_cbranch_scc1 .LBB166_1172
; %bb.1167:
	s_cmp_gt_i32 s46, 9
	s_cbranch_scc0 .LBB166_1169
; %bb.1168:
	v_cndmask_b32_e64 v3, 0, 1, s[42:43]
	v_cvt_f64_u32_e32 v[3:4], v3
	v_mov_b32_e32 v5, 0
	v_mov_b32_e32 v6, v5
	s_mov_b64 s[44:45], 0
	global_store_dwordx4 v[0:1], v[3:6], off
.LBB166_1169:
	s_andn2_b64 vcc, exec, s[44:45]
	s_cbranch_vccnz .LBB166_1171
; %bb.1170:
	v_cndmask_b32_e64 v3, 0, 1.0, s[42:43]
	v_mov_b32_e32 v4, 0
	global_store_dwordx2 v[0:1], v[3:4], off
.LBB166_1171:
	s_mov_b64 s[44:45], 0
.LBB166_1172:
	s_andn2_b64 vcc, exec, s[44:45]
	s_cbranch_vccnz .LBB166_1174
; %bb.1173:
	v_cndmask_b32_e64 v3, 0, 1.0, s[42:43]
	v_cvt_f16_f32_e32 v3, v3
	global_store_dword v[0:1], v3, off
.LBB166_1174:
	s_mov_b64 s[44:45], 0
.LBB166_1175:
	s_andn2_b64 vcc, exec, s[44:45]
	s_cbranch_vccnz .LBB166_1184
; %bb.1176:
	s_cmp_lt_i32 s46, 6
	s_mov_b64 s[44:45], -1
	s_cbranch_scc1 .LBB166_1182
; %bb.1177:
	s_cmp_gt_i32 s46, 6
	s_cbranch_scc0 .LBB166_1179
; %bb.1178:
	v_cndmask_b32_e64 v3, 0, 1, s[42:43]
	v_cvt_f64_u32_e32 v[3:4], v3
	s_mov_b64 s[44:45], 0
	global_store_dwordx2 v[0:1], v[3:4], off
.LBB166_1179:
	s_andn2_b64 vcc, exec, s[44:45]
	s_cbranch_vccnz .LBB166_1181
; %bb.1180:
	v_cndmask_b32_e64 v3, 0, 1.0, s[42:43]
	global_store_dword v[0:1], v3, off
.LBB166_1181:
	s_mov_b64 s[44:45], 0
.LBB166_1182:
	s_andn2_b64 vcc, exec, s[44:45]
	s_cbranch_vccnz .LBB166_1184
; %bb.1183:
	v_cndmask_b32_e64 v3, 0, 1.0, s[42:43]
	v_cvt_f16_f32_e32 v3, v3
	global_store_short v[0:1], v3, off
.LBB166_1184:
	s_mov_b64 s[44:45], 0
.LBB166_1185:
	s_andn2_b64 vcc, exec, s[44:45]
	s_cbranch_vccnz .LBB166_1201
; %bb.1186:
	s_cmp_lt_i32 s46, 2
	s_mov_b64 s[44:45], -1
	s_cbranch_scc1 .LBB166_1196
; %bb.1187:
	s_cmp_lt_i32 s46, 3
	s_cbranch_scc1 .LBB166_1193
; %bb.1188:
	s_cmp_gt_i32 s46, 3
	s_cbranch_scc0 .LBB166_1190
; %bb.1189:
	s_mov_b32 s44, 0
	v_cndmask_b32_e64 v3, 0, 1, s[42:43]
	v_mov_b32_e32 v4, s44
	s_mov_b64 s[44:45], 0
	global_store_dwordx2 v[0:1], v[3:4], off
.LBB166_1190:
	s_andn2_b64 vcc, exec, s[44:45]
	s_cbranch_vccnz .LBB166_1192
; %bb.1191:
	v_cndmask_b32_e64 v3, 0, 1, s[42:43]
	global_store_dword v[0:1], v3, off
.LBB166_1192:
	s_mov_b64 s[44:45], 0
.LBB166_1193:
	s_andn2_b64 vcc, exec, s[44:45]
	s_cbranch_vccnz .LBB166_1195
; %bb.1194:
	v_cndmask_b32_e64 v3, 0, 1, s[42:43]
	global_store_short v[0:1], v3, off
.LBB166_1195:
	s_mov_b64 s[44:45], 0
.LBB166_1196:
	s_andn2_b64 vcc, exec, s[44:45]
	s_cbranch_vccnz .LBB166_1201
; %bb.1197:
	s_mov_b64 s[44:45], -1
	s_cmp_gt_i32 s46, 0
	v_cndmask_b32_e64 v3, 0, 1, s[42:43]
	s_cbranch_scc0 .LBB166_1199
; %bb.1198:
	s_mov_b64 s[44:45], 0
	global_store_byte v[0:1], v3, off
.LBB166_1199:
	s_andn2_b64 vcc, exec, s[44:45]
	s_cbranch_vccnz .LBB166_1201
; %bb.1200:
	global_store_byte v[0:1], v3, off
.LBB166_1201:
	s_mov_b64 s[44:45], -1
.LBB166_1202:
	s_andn2_b64 vcc, exec, s[44:45]
	s_cbranch_vccnz .LBB166_1215
; %bb.1203:
	v_add_u32_e32 v2, 0x80, v2
	s_mov_b64 s[44:45], -1
.LBB166_1204:
	s_andn2_b64 s[42:43], s[30:31], exec
	s_and_b64 s[0:1], s[0:1], exec
	s_or_b64 s[42:43], s[42:43], s[0:1]
	s_andn2_b64 s[0:1], s[28:29], exec
	s_and_b64 s[40:41], s[40:41], exec
	s_or_b64 s[40:41], s[0:1], s[40:41]
	;; [unrolled: 3-line block ×3, first 2 shown]
	s_orn2_b64 s[48:49], s[44:45], exec
.LBB166_1205:
	s_or_b64 exec, exec, s[36:37]
	s_mov_b64 s[44:45], 0
	s_mov_b64 s[38:39], 0
	;; [unrolled: 1-line block ×3, first 2 shown]
                                        ; implicit-def: $sgpr58
                                        ; implicit-def: $vgpr0_vgpr1
                                        ; implicit-def: $vgpr4
                                        ; implicit-def: $vgpr3
	s_and_saveexec_b64 s[36:37], s[48:49]
	s_cbranch_execz .LBB166_1292
; %bb.1206:
	v_cmp_gt_i32_e32 vcc, s50, v2
	s_mov_b64 s[48:49], 0
	s_mov_b64 s[50:51], s[0:1]
	;; [unrolled: 1-line block ×4, first 2 shown]
                                        ; implicit-def: $sgpr58
                                        ; implicit-def: $vgpr0_vgpr1
                                        ; implicit-def: $vgpr4
                                        ; implicit-def: $vgpr3
	s_and_saveexec_b64 s[38:39], vcc
	s_cbranch_execz .LBB166_1291
; %bb.1207:
	v_mul_lo_u32 v0, v2, s13
	v_mov_b32_e32 v1, s11
	s_and_b32 s58, s57, 0xff
	s_cmp_lt_i32 s58, 11
	s_waitcnt vmcnt(0)
	v_ashrrev_i32_e32 v3, 31, v0
	v_add_co_u32_e32 v0, vcc, s10, v0
	v_addc_co_u32_e32 v1, vcc, v1, v3, vcc
	s_cbranch_scc1 .LBB166_1214
; %bb.1208:
	s_and_b32 s54, 0xffff, s58
	s_cmp_gt_i32 s54, 25
	s_cbranch_scc0 .LBB166_1216
; %bb.1209:
	s_cmp_gt_i32 s54, 28
	s_cbranch_scc0 .LBB166_1217
; %bb.1210:
	;; [unrolled: 3-line block ×4, first 2 shown]
	s_cmp_eq_u32 s54, 46
	s_mov_b64 s[50:51], 0
	s_cbranch_scc0 .LBB166_1222
; %bb.1213:
	global_load_dword v3, v[0:1], off
	s_mov_b64 s[48:49], -1
	s_waitcnt vmcnt(0)
	v_and_b32_e32 v4, 0xffff0000, v3
	s_branch .LBB166_1224
.LBB166_1214:
	s_mov_b64 s[50:51], -1
                                        ; implicit-def: $vgpr4
                                        ; implicit-def: $vgpr3
	s_mov_b64 s[44:45], s[0:1]
	s_branch .LBB166_1290
.LBB166_1215:
	s_mov_b64 s[44:45], 0
	s_branch .LBB166_947
.LBB166_1216:
	s_mov_b64 s[50:51], -1
	s_mov_b64 s[44:45], s[0:1]
                                        ; implicit-def: $vgpr4
                                        ; implicit-def: $vgpr3
	s_branch .LBB166_1255
.LBB166_1217:
	s_mov_b64 s[50:51], -1
	s_mov_b64 s[44:45], s[0:1]
                                        ; implicit-def: $vgpr4
                                        ; implicit-def: $vgpr3
	s_branch .LBB166_1236
.LBB166_1218:
	s_mov_b64 s[50:51], -1
	s_mov_b64 s[44:45], s[0:1]
                                        ; implicit-def: $vgpr4
                                        ; implicit-def: $vgpr3
	s_branch .LBB166_1230
.LBB166_1219:
	s_mov_b64 s[50:51], -1
	s_mov_b64 s[44:45], s[0:1]
	s_branch .LBB166_1223
.LBB166_1220:
	s_andn2_saveexec_b64 s[48:49], s[48:49]
	s_cbranch_execz .LBB166_1115
.LBB166_1221:
	v_add_f32_e32 v3, 0x46000000, v4
	v_and_b32_e32 v3, 0xff, v3
	v_cmp_ne_u32_e32 vcc, 0, v3
	s_andn2_b64 s[46:47], s[46:47], exec
	s_and_b64 s[54:55], vcc, exec
	s_or_b64 s[46:47], s[46:47], s[54:55]
	s_or_b64 exec, exec, s[48:49]
	v_mov_b32_e32 v5, 0
	s_and_saveexec_b64 s[48:49], s[46:47]
	s_cbranch_execnz .LBB166_1116
	s_branch .LBB166_1117
.LBB166_1222:
	s_mov_b64 s[44:45], -1
.LBB166_1223:
                                        ; implicit-def: $vgpr4
                                        ; implicit-def: $vgpr3
.LBB166_1224:
	s_and_b64 vcc, exec, s[50:51]
	s_cbranch_vccz .LBB166_1229
; %bb.1225:
	s_cmp_eq_u32 s54, 44
	s_cbranch_scc0 .LBB166_1227
; %bb.1226:
	global_load_ubyte v3, v[0:1], off
	s_movk_i32 s48, 0xff
	v_mov_b32_e32 v4, 0x7f800001
	v_mov_b32_e32 v5, 0x400000
	;; [unrolled: 1-line block ×3, first 2 shown]
	s_mov_b64 s[44:45], 0
	s_waitcnt vmcnt(0)
	v_lshlrev_b32_e32 v7, 23, v3
	v_cmp_ne_u32_e32 vcc, s48, v3
	v_cndmask_b32_e32 v4, v4, v7, vcc
	v_cmp_ne_u32_e32 vcc, 0, v3
	v_cndmask_b32_e32 v3, v5, v4, vcc
	v_add_u32_e32 v4, 0x7fff, v3
	v_cmp_o_f32_e32 vcc, v3, v3
	v_cndmask_b32_sdwa v3, v6, v4, vcc dst_sel:DWORD dst_unused:UNUSED_PAD src0_sel:DWORD src1_sel:WORD_1
	s_mov_b64 s[48:49], -1
	s_branch .LBB166_1228
.LBB166_1227:
	s_mov_b64 s[44:45], -1
                                        ; implicit-def: $vgpr3
.LBB166_1228:
	v_mov_b32_e32 v4, 0
.LBB166_1229:
	s_mov_b64 s[50:51], 0
.LBB166_1230:
	s_and_b64 vcc, exec, s[50:51]
	s_cbranch_vccz .LBB166_1235
; %bb.1231:
	s_cmp_eq_u32 s54, 29
	s_cbranch_scc0 .LBB166_1233
; %bb.1232:
	global_load_dwordx2 v[3:4], v[0:1], off
	s_movk_i32 s48, 0x7fff
	s_mov_b64 s[44:45], 0
	s_waitcnt vmcnt(0)
	v_ffbh_u32_e32 v5, v4
	v_min_u32_e32 v5, 32, v5
	v_lshlrev_b64 v[3:4], v5, v[3:4]
	v_min_u32_e32 v3, 1, v3
	v_or_b32_e32 v3, v4, v3
	v_cvt_f32_u32_e32 v3, v3
	v_sub_u32_e32 v4, 32, v5
	v_ldexp_f32 v3, v3, v4
	v_bfe_u32 v4, v3, 16, 1
	v_add3_u32 v3, v3, v4, s48
	v_lshrrev_b32_e32 v3, 16, v3
	s_mov_b64 s[48:49], -1
	s_branch .LBB166_1234
.LBB166_1233:
	s_mov_b64 s[44:45], -1
                                        ; implicit-def: $vgpr3
.LBB166_1234:
	v_mov_b32_e32 v4, 0
.LBB166_1235:
	s_mov_b64 s[50:51], 0
.LBB166_1236:
	s_and_b64 vcc, exec, s[50:51]
	s_cbranch_vccz .LBB166_1254
; %bb.1237:
	s_cmp_lt_i32 s54, 27
	s_cbranch_scc1 .LBB166_1240
; %bb.1238:
	s_cmp_gt_i32 s54, 27
	s_cbranch_scc0 .LBB166_1241
; %bb.1239:
	global_load_dword v3, v[0:1], off
	s_movk_i32 s48, 0x7fff
	s_waitcnt vmcnt(0)
	v_cvt_f32_u32_e32 v3, v3
	v_bfe_u32 v4, v3, 16, 1
	v_add3_u32 v3, v3, v4, s48
	v_lshrrev_b32_e32 v3, 16, v3
	s_mov_b64 s[48:49], 0
	s_branch .LBB166_1242
.LBB166_1240:
	s_mov_b64 s[48:49], -1
                                        ; implicit-def: $vgpr3
	s_branch .LBB166_1245
.LBB166_1241:
	s_mov_b64 s[48:49], -1
                                        ; implicit-def: $vgpr3
.LBB166_1242:
	s_andn2_b64 vcc, exec, s[48:49]
	s_cbranch_vccnz .LBB166_1244
; %bb.1243:
	global_load_ushort v3, v[0:1], off
	s_movk_i32 s48, 0x7fff
	s_waitcnt vmcnt(0)
	v_cvt_f32_u32_e32 v3, v3
	v_bfe_u32 v4, v3, 16, 1
	v_add3_u32 v3, v3, v4, s48
	v_lshrrev_b32_e32 v3, 16, v3
.LBB166_1244:
	s_mov_b64 s[48:49], 0
.LBB166_1245:
	s_andn2_b64 vcc, exec, s[48:49]
	s_cbranch_vccnz .LBB166_1253
; %bb.1246:
	global_load_ubyte v3, v[0:1], off
	s_movk_i32 s48, 0x7f
	s_waitcnt vmcnt(0)
	v_cmp_lt_i16_e32 vcc, s48, v3
	s_mov_b64 s[48:49], 0
	s_and_saveexec_b64 s[50:51], vcc
	s_xor_b64 s[50:51], exec, s[50:51]
	s_cbranch_execz .LBB166_1267
; %bb.1247:
	s_movk_i32 s48, 0x80
	v_cmp_eq_u16_e32 vcc, s48, v3
	s_mov_b64 s[48:49], -1
	s_and_saveexec_b64 s[52:53], vcc
; %bb.1248:
	s_xor_b64 s[48:49], exec, -1
; %bb.1249:
	s_or_b64 exec, exec, s[52:53]
	s_and_b64 s[48:49], s[48:49], exec
	s_or_saveexec_b64 s[50:51], s[50:51]
	v_mov_b32_e32 v4, 0x7f800001
	s_xor_b64 exec, exec, s[50:51]
	s_cbranch_execnz .LBB166_1268
.LBB166_1250:
	s_or_b64 exec, exec, s[50:51]
	s_and_saveexec_b64 s[50:51], s[48:49]
	s_cbranch_execz .LBB166_1252
.LBB166_1251:
	v_lshlrev_b32_e32 v4, 24, v3
	v_and_b32_e32 v3, 0xffff, v3
	v_and_b32_e32 v5, 7, v3
	v_ffbh_u32_e32 v7, v5
	v_min_u32_e32 v7, 32, v7
	v_subrev_u32_e32 v8, 28, v7
	v_bfe_u32 v6, v3, 3, 4
	v_lshlrev_b32_e32 v3, v8, v3
	v_sub_u32_e32 v7, 29, v7
	v_and_b32_e32 v3, 7, v3
	v_cmp_eq_u32_e32 vcc, 0, v6
	v_cndmask_b32_e32 v6, v6, v7, vcc
	v_cndmask_b32_e32 v3, v5, v3, vcc
	v_mov_b32_e32 v5, 0x3b800000
	v_lshlrev_b32_e32 v3, 20, v3
	v_and_b32_e32 v4, 0x80000000, v4
	v_lshl_add_u32 v5, v6, 23, v5
	v_or3_b32 v4, v4, v5, v3
.LBB166_1252:
	s_or_b64 exec, exec, s[50:51]
	v_bfe_u32 v3, v4, 16, 1
	s_movk_i32 s48, 0x7fff
	v_add3_u32 v3, v4, v3, s48
	v_cmp_o_f32_e32 vcc, v4, v4
	v_mov_b32_e32 v4, 0x7fc0
	v_cndmask_b32_sdwa v3, v4, v3, vcc dst_sel:DWORD dst_unused:UNUSED_PAD src0_sel:DWORD src1_sel:WORD_1
.LBB166_1253:
	s_mov_b64 s[48:49], -1
	v_mov_b32_e32 v4, 0
.LBB166_1254:
	s_mov_b64 s[50:51], 0
.LBB166_1255:
	s_and_b64 vcc, exec, s[50:51]
	s_cbranch_vccz .LBB166_1289
; %bb.1256:
	s_cmp_gt_i32 s54, 22
	s_cbranch_scc0 .LBB166_1266
; %bb.1257:
	s_cmp_lt_i32 s54, 24
	s_cbranch_scc1 .LBB166_1269
; %bb.1258:
	s_cmp_gt_i32 s54, 24
	s_cbranch_scc0 .LBB166_1270
; %bb.1259:
	global_load_ubyte v3, v[0:1], off
	s_movk_i32 s46, 0x7f
	s_waitcnt vmcnt(0)
	v_cmp_lt_i16_e32 vcc, s46, v3
	s_mov_b64 s[46:47], 0
	s_and_saveexec_b64 s[48:49], vcc
	s_xor_b64 s[48:49], exec, s[48:49]
	s_cbranch_execz .LBB166_1282
; %bb.1260:
	s_movk_i32 s46, 0x80
	v_cmp_eq_u16_e32 vcc, s46, v3
	s_mov_b64 s[46:47], -1
	s_and_saveexec_b64 s[50:51], vcc
; %bb.1261:
	s_xor_b64 s[46:47], exec, -1
; %bb.1262:
	s_or_b64 exec, exec, s[50:51]
	s_and_b64 s[46:47], s[46:47], exec
	s_or_saveexec_b64 s[48:49], s[48:49]
	v_mov_b32_e32 v4, 0x7f800001
	s_xor_b64 exec, exec, s[48:49]
	s_cbranch_execnz .LBB166_1283
.LBB166_1263:
	s_or_b64 exec, exec, s[48:49]
	s_and_saveexec_b64 s[48:49], s[46:47]
	s_cbranch_execz .LBB166_1265
.LBB166_1264:
	v_lshlrev_b32_e32 v4, 24, v3
	v_and_b32_e32 v3, 0xffff, v3
	v_and_b32_e32 v5, 3, v3
	v_ffbh_u32_e32 v7, v5
	v_min_u32_e32 v7, 32, v7
	v_subrev_u32_e32 v8, 29, v7
	v_bfe_u32 v6, v3, 2, 5
	v_lshlrev_b32_e32 v3, v8, v3
	v_sub_u32_e32 v7, 30, v7
	v_and_b32_e32 v3, 3, v3
	v_cmp_eq_u32_e32 vcc, 0, v6
	v_cndmask_b32_e32 v6, v6, v7, vcc
	v_cndmask_b32_e32 v3, v5, v3, vcc
	v_mov_b32_e32 v5, 0x37800000
	v_lshlrev_b32_e32 v3, 21, v3
	v_and_b32_e32 v4, 0x80000000, v4
	v_lshl_add_u32 v5, v6, 23, v5
	v_or3_b32 v4, v4, v5, v3
.LBB166_1265:
	s_or_b64 exec, exec, s[48:49]
	v_bfe_u32 v3, v4, 16, 1
	s_movk_i32 s46, 0x7fff
	v_add3_u32 v3, v4, v3, s46
	v_cmp_o_f32_e32 vcc, v4, v4
	v_mov_b32_e32 v4, 0x7fc0
	v_cndmask_b32_sdwa v3, v4, v3, vcc dst_sel:DWORD dst_unused:UNUSED_PAD src0_sel:DWORD src1_sel:WORD_1
	s_mov_b64 s[46:47], 0
	s_branch .LBB166_1271
.LBB166_1266:
	s_mov_b64 s[46:47], -1
                                        ; implicit-def: $vgpr3
	s_branch .LBB166_1277
.LBB166_1267:
	s_or_saveexec_b64 s[50:51], s[50:51]
	v_mov_b32_e32 v4, 0x7f800001
	s_xor_b64 exec, exec, s[50:51]
	s_cbranch_execz .LBB166_1250
.LBB166_1268:
	v_cmp_ne_u16_e32 vcc, 0, v3
	s_andn2_b64 s[48:49], s[48:49], exec
	s_and_b64 s[52:53], vcc, exec
	v_mov_b32_e32 v4, 0
	s_or_b64 s[48:49], s[48:49], s[52:53]
	s_or_b64 exec, exec, s[50:51]
	s_and_saveexec_b64 s[50:51], s[48:49]
	s_cbranch_execnz .LBB166_1251
	s_branch .LBB166_1252
.LBB166_1269:
	s_mov_b64 s[46:47], -1
                                        ; implicit-def: $vgpr3
	s_branch .LBB166_1274
.LBB166_1270:
	s_mov_b64 s[46:47], -1
                                        ; implicit-def: $vgpr3
.LBB166_1271:
	s_and_b64 vcc, exec, s[46:47]
	s_cbranch_vccz .LBB166_1273
; %bb.1272:
	global_load_ubyte v3, v[0:1], off
	s_mov_b32 s46, 0x7f800000
	s_brev_b32 s47, 1
	s_movk_i32 s48, 0x7fff
	s_waitcnt vmcnt(0)
	v_lshlrev_b32_e32 v3, 24, v3
	v_and_b32_e32 v4, 0x7f000000, v3
	v_ffbh_u32_e32 v5, v4
	v_min_u32_e32 v5, 32, v5
	v_sub_u32_e64 v5, v5, 4 clamp
	v_lshlrev_b32_e32 v7, v5, v4
	v_lshlrev_b32_e32 v5, 23, v5
	v_lshrrev_b32_e32 v7, 4, v7
	v_add_u32_e32 v6, 0x1000000, v4
	v_sub_u32_e32 v5, v7, v5
	v_ashrrev_i32_e32 v6, 8, v6
	v_add_u32_e32 v5, 0x3c000000, v5
	v_and_or_b32 v5, v6, s46, v5
	v_cmp_ne_u32_e32 vcc, 0, v4
	v_cndmask_b32_e32 v4, 0, v5, vcc
	v_and_or_b32 v3, v3, s47, v4
	v_bfe_u32 v4, v4, 16, 1
	v_add3_u32 v4, v3, v4, s48
	v_cmp_o_f32_e32 vcc, v3, v3
	v_mov_b32_e32 v3, 0x7fc0
	v_cndmask_b32_sdwa v3, v3, v4, vcc dst_sel:DWORD dst_unused:UNUSED_PAD src0_sel:DWORD src1_sel:WORD_1
.LBB166_1273:
	s_mov_b64 s[46:47], 0
.LBB166_1274:
	s_andn2_b64 vcc, exec, s[46:47]
	s_cbranch_vccnz .LBB166_1276
; %bb.1275:
	global_load_ubyte v3, v[0:1], off
	s_movk_i32 s46, 0x7f00
	s_brev_b32 s47, 16
	s_brev_b32 s48, 1
	s_movk_i32 s49, 0x7fff
	s_waitcnt vmcnt(0)
	v_lshlrev_b16_e32 v4, 8, v3
	v_lshlrev_b32_e32 v3, 25, v3
	v_lshrrev_b32_e32 v5, 4, v3
	v_and_or_b32 v6, v4, s46, 0.5
	v_or_b32_e32 v5, 0x70000000, v5
	v_add_f32_e32 v6, -0.5, v6
	v_mul_f32_e32 v5, 0x7800000, v5
	v_cmp_gt_u32_e32 vcc, s47, v3
	v_bfe_i32 v4, v4, 0, 16
	v_cndmask_b32_e32 v3, v5, v6, vcc
	v_and_or_b32 v4, v4, s48, v3
	v_bfe_u32 v3, v3, 16, 1
	v_add3_u32 v3, v4, v3, s49
	v_cmp_o_f32_e32 vcc, v4, v4
	v_mov_b32_e32 v4, 0x7fc0
	v_cndmask_b32_sdwa v3, v4, v3, vcc dst_sel:DWORD dst_unused:UNUSED_PAD src0_sel:DWORD src1_sel:WORD_1
.LBB166_1276:
	s_mov_b64 s[46:47], 0
	s_mov_b64 s[48:49], -1
.LBB166_1277:
	s_andn2_b64 vcc, exec, s[46:47]
	s_mov_b64 s[46:47], 0
	s_cbranch_vccnz .LBB166_1288
; %bb.1278:
	s_cmp_gt_i32 s54, 14
	s_cbranch_scc0 .LBB166_1281
; %bb.1279:
	s_cmp_eq_u32 s54, 15
	s_cbranch_scc0 .LBB166_1284
; %bb.1280:
	global_load_ushort v3, v[0:1], off
	s_mov_b64 s[44:45], 0
	s_mov_b64 s[48:49], -1
	s_branch .LBB166_1285
.LBB166_1281:
	s_mov_b64 s[50:51], -1
                                        ; implicit-def: $vgpr3
	s_branch .LBB166_1286
.LBB166_1282:
	s_or_saveexec_b64 s[48:49], s[48:49]
	v_mov_b32_e32 v4, 0x7f800001
	s_xor_b64 exec, exec, s[48:49]
	s_cbranch_execz .LBB166_1263
.LBB166_1283:
	v_cmp_ne_u16_e32 vcc, 0, v3
	s_andn2_b64 s[46:47], s[46:47], exec
	s_and_b64 s[50:51], vcc, exec
	v_mov_b32_e32 v4, 0
	s_or_b64 s[46:47], s[46:47], s[50:51]
	s_or_b64 exec, exec, s[48:49]
	s_and_saveexec_b64 s[48:49], s[46:47]
	s_cbranch_execnz .LBB166_1264
	s_branch .LBB166_1265
.LBB166_1284:
	s_mov_b64 s[44:45], -1
                                        ; implicit-def: $vgpr3
.LBB166_1285:
	s_mov_b64 s[50:51], 0
.LBB166_1286:
	s_and_b64 vcc, exec, s[50:51]
	s_cbranch_vccz .LBB166_1288
; %bb.1287:
	s_cmp_lg_u32 s54, 11
	s_cselect_b64 s[50:51], -1, 0
	s_andn2_b64 s[44:45], s[44:45], exec
	s_and_b64 s[50:51], s[50:51], exec
	s_mov_b64 s[46:47], -1
	s_or_b64 s[44:45], s[44:45], s[50:51]
.LBB166_1288:
	v_mov_b32_e32 v4, 0
.LBB166_1289:
	s_mov_b64 s[50:51], 0
.LBB166_1290:
	s_and_b64 s[54:55], s[48:49], exec
	s_and_b64 s[48:49], s[46:47], exec
	s_andn2_b64 s[46:47], s[0:1], exec
	s_and_b64 s[44:45], s[44:45], exec
	s_and_b64 s[52:53], s[50:51], exec
	s_or_b64 s[50:51], s[46:47], s[44:45]
.LBB166_1291:
	s_or_b64 exec, exec, s[38:39]
	s_and_b64 s[44:45], s[48:49], exec
	s_andn2_b64 s[0:1], s[0:1], exec
	s_and_b64 s[48:49], s[50:51], exec
	s_and_b64 s[46:47], s[54:55], exec
	;; [unrolled: 1-line block ×3, first 2 shown]
	s_or_b64 s[0:1], s[0:1], s[48:49]
.LBB166_1292:
	s_or_b64 exec, exec, s[36:37]
	s_andn2_b64 s[30:31], s[30:31], exec
	s_and_b64 s[36:37], s[42:43], exec
	s_or_b64 s[30:31], s[30:31], s[36:37]
	s_andn2_b64 s[28:29], s[28:29], exec
	s_and_b64 s[36:37], s[40:41], exec
	s_andn2_b64 s[26:27], s[26:27], exec
	s_and_b64 s[0:1], s[0:1], exec
	s_or_b64 s[28:29], s[28:29], s[36:37]
	s_and_b64 s[40:41], s[46:47], exec
	s_and_b64 s[38:39], s[38:39], exec
	;; [unrolled: 1-line block ×3, first 2 shown]
	s_or_b64 s[26:27], s[26:27], s[0:1]
.LBB166_1293:
	s_or_b64 exec, exec, s[34:35]
	s_andn2_b64 s[0:1], s[18:19], exec
	s_and_b64 s[18:19], s[30:31], exec
	s_or_b64 s[18:19], s[0:1], s[18:19]
	s_andn2_b64 s[0:1], s[20:21], exec
	s_and_b64 s[20:21], s[28:29], exec
	s_or_b64 s[20:21], s[0:1], s[20:21]
	s_andn2_b64 s[0:1], s[22:23], exec
	s_and_b64 s[22:23], s[26:27], exec
	s_and_b64 s[30:31], s[40:41], exec
	s_and_b64 s[34:35], s[38:39], exec
	s_and_b64 s[28:29], s[36:37], exec
	s_or_b64 s[22:23], s[0:1], s[22:23]
	s_or_b64 exec, exec, s[24:25]
	s_mov_b64 s[24:25], 0
	s_and_saveexec_b64 s[0:1], s[22:23]
	s_cbranch_execz .LBB166_406
.LBB166_1294:
	s_mov_b64 s[24:25], exec
	s_andn2_b64 s[28:29], s[28:29], exec
	s_trap 2
	s_or_b64 exec, exec, s[0:1]
	s_and_saveexec_b64 s[0:1], s[28:29]
	s_xor_b64 s[0:1], exec, s[0:1]
	s_cbranch_execnz .LBB166_407
.LBB166_1295:
	s_or_b64 exec, exec, s[0:1]
	s_and_saveexec_b64 s[0:1], s[34:35]
	s_cbranch_execz .LBB166_1343
.LBB166_1296:
	s_sext_i32_i16 s22, s58
	s_cmp_lt_i32 s22, 5
	s_cbranch_scc1 .LBB166_1301
; %bb.1297:
	s_cmp_lt_i32 s22, 8
	s_cbranch_scc1 .LBB166_1302
; %bb.1298:
	;; [unrolled: 3-line block ×3, first 2 shown]
	s_cmp_gt_i32 s22, 9
	s_cbranch_scc0 .LBB166_1304
; %bb.1300:
	global_load_dwordx4 v[3:6], v[0:1], off
	s_movk_i32 s22, 0x7fff
	s_waitcnt vmcnt(0)
	v_cvt_f32_f64_e32 v3, v[3:4]
	v_cvt_f32_f64_e32 v4, v[5:6]
	v_mov_b32_e32 v5, 0x7fc0
	v_mov_b32_e32 v6, 0x7fc00000
	v_bfe_u32 v7, v3, 16, 1
	v_bfe_u32 v8, v4, 16, 1
	v_cmp_o_f32_e32 vcc, v3, v3
	v_add3_u32 v3, v3, v7, s22
	v_add3_u32 v7, v4, v8, s22
	v_cndmask_b32_sdwa v3, v5, v3, vcc dst_sel:DWORD dst_unused:UNUSED_PAD src0_sel:DWORD src1_sel:WORD_1
	v_and_b32_e32 v5, 0xffff0000, v7
	v_cmp_o_f32_e32 vcc, v4, v4
	v_cndmask_b32_e32 v4, v6, v5, vcc
	s_mov_b64 s[22:23], 0
	s_branch .LBB166_1305
.LBB166_1301:
                                        ; implicit-def: $vgpr4
                                        ; implicit-def: $vgpr3
	s_branch .LBB166_1323
.LBB166_1302:
                                        ; implicit-def: $vgpr4
                                        ; implicit-def: $vgpr3
	s_branch .LBB166_1311
.LBB166_1303:
	s_mov_b64 s[22:23], -1
                                        ; implicit-def: $vgpr4
                                        ; implicit-def: $vgpr3
	s_branch .LBB166_1308
.LBB166_1304:
	s_mov_b64 s[22:23], -1
                                        ; implicit-def: $vgpr4
                                        ; implicit-def: $vgpr3
.LBB166_1305:
	s_andn2_b64 vcc, exec, s[22:23]
	s_cbranch_vccnz .LBB166_1307
; %bb.1306:
	global_load_dwordx2 v[3:4], v[0:1], off
	s_movk_i32 s22, 0x7fff
	s_waitcnt vmcnt(1)
	v_mov_b32_e32 v5, 0x7fc0
	v_mov_b32_e32 v6, 0x7fc00000
	s_waitcnt vmcnt(0)
	v_bfe_u32 v7, v3, 16, 1
	v_bfe_u32 v8, v4, 16, 1
	v_cmp_o_f32_e32 vcc, v3, v3
	v_add3_u32 v3, v3, v7, s22
	v_add3_u32 v7, v4, v8, s22
	v_cndmask_b32_sdwa v3, v5, v3, vcc dst_sel:DWORD dst_unused:UNUSED_PAD src0_sel:DWORD src1_sel:WORD_1
	v_and_b32_e32 v5, 0xffff0000, v7
	v_cmp_o_f32_e32 vcc, v4, v4
	v_cndmask_b32_e32 v4, v6, v5, vcc
.LBB166_1307:
	s_mov_b64 s[22:23], 0
.LBB166_1308:
	s_andn2_b64 vcc, exec, s[22:23]
	s_cbranch_vccnz .LBB166_1310
; %bb.1309:
	global_load_dword v4, v[0:1], off
	s_movk_i32 s22, 0x7fff
	s_waitcnt vmcnt(1)
	v_mov_b32_e32 v3, 0x7fc0
	v_mov_b32_e32 v7, 0x7fc00000
	s_waitcnt vmcnt(0)
	v_cvt_f32_f16_e32 v5, v4
	v_cvt_f32_f16_sdwa v6, v4 dst_sel:DWORD dst_unused:UNUSED_PAD src0_sel:WORD_1
	v_cmp_o_f16_e32 vcc, v4, v4
	v_bfe_u32 v8, v5, 16, 1
	v_bfe_u32 v9, v6, 16, 1
	v_add3_u32 v5, v5, v8, s22
	v_add3_u32 v6, v6, v9, s22
	v_cndmask_b32_sdwa v3, v3, v5, vcc dst_sel:DWORD dst_unused:UNUSED_PAD src0_sel:DWORD src1_sel:WORD_1
	v_and_b32_e32 v5, 0xffff0000, v6
	v_cmp_o_f16_sdwa vcc, v4, v4 src0_sel:WORD_1 src1_sel:WORD_1
	v_cndmask_b32_e32 v4, v7, v5, vcc
.LBB166_1310:
	s_cbranch_execnz .LBB166_1322
.LBB166_1311:
	s_sext_i32_i16 s22, s58
	s_cmp_lt_i32 s22, 6
	s_cbranch_scc1 .LBB166_1314
; %bb.1312:
	s_cmp_gt_i32 s22, 6
	s_cbranch_scc0 .LBB166_1315
; %bb.1313:
	global_load_dwordx2 v[3:4], v[0:1], off
	s_movk_i32 s22, 0x7fff
	s_waitcnt vmcnt(0)
	v_cvt_f32_f64_e32 v3, v[3:4]
	v_mov_b32_e32 v4, 0x7fc0
	v_bfe_u32 v5, v3, 16, 1
	v_cmp_o_f32_e32 vcc, v3, v3
	v_add3_u32 v3, v3, v5, s22
	v_cndmask_b32_sdwa v3, v4, v3, vcc dst_sel:DWORD dst_unused:UNUSED_PAD src0_sel:DWORD src1_sel:WORD_1
	s_mov_b64 s[22:23], 0
	s_branch .LBB166_1316
.LBB166_1314:
	s_mov_b64 s[22:23], -1
                                        ; implicit-def: $vgpr3
	s_branch .LBB166_1319
.LBB166_1315:
	s_mov_b64 s[22:23], -1
                                        ; implicit-def: $vgpr3
.LBB166_1316:
	s_andn2_b64 vcc, exec, s[22:23]
	s_cbranch_vccnz .LBB166_1318
; %bb.1317:
	global_load_dword v3, v[0:1], off
	s_movk_i32 s22, 0x7fff
	v_mov_b32_e32 v4, 0x7fc0
	s_waitcnt vmcnt(0)
	v_bfe_u32 v5, v3, 16, 1
	v_cmp_o_f32_e32 vcc, v3, v3
	v_add3_u32 v3, v3, v5, s22
	v_cndmask_b32_sdwa v3, v4, v3, vcc dst_sel:DWORD dst_unused:UNUSED_PAD src0_sel:DWORD src1_sel:WORD_1
.LBB166_1318:
	s_mov_b64 s[22:23], 0
.LBB166_1319:
	s_andn2_b64 vcc, exec, s[22:23]
	s_cbranch_vccnz .LBB166_1321
; %bb.1320:
	global_load_ushort v3, v[0:1], off
	s_movk_i32 s22, 0x7fff
	s_waitcnt vmcnt(1)
	v_mov_b32_e32 v5, 0x7fc0
	s_waitcnt vmcnt(0)
	v_cvt_f32_f16_e32 v4, v3
	v_cmp_o_f16_e32 vcc, v3, v3
	v_bfe_u32 v3, v4, 16, 1
	v_add3_u32 v3, v4, v3, s22
	v_cndmask_b32_sdwa v3, v5, v3, vcc dst_sel:DWORD dst_unused:UNUSED_PAD src0_sel:DWORD src1_sel:WORD_1
.LBB166_1321:
	v_mov_b32_e32 v4, 0
.LBB166_1322:
	s_cbranch_execnz .LBB166_1342
.LBB166_1323:
	s_sext_i32_i16 s22, s58
	s_cmp_lt_i32 s22, 2
	s_cbranch_scc1 .LBB166_1327
; %bb.1324:
	s_cmp_lt_i32 s22, 3
	s_cbranch_scc1 .LBB166_1328
; %bb.1325:
	s_cmp_gt_i32 s22, 3
	s_cbranch_scc0 .LBB166_1329
; %bb.1326:
	global_load_dwordx2 v[3:4], v[0:1], off
	s_movk_i32 s22, 0x7fff
	s_waitcnt vmcnt(0)
	v_xor_b32_e32 v6, v3, v4
	v_ffbh_i32_e32 v5, v4
	v_ashrrev_i32_e32 v6, 31, v6
	v_add_u32_e32 v5, -1, v5
	v_add_u32_e32 v6, 32, v6
	v_min_u32_e32 v5, v5, v6
	v_lshlrev_b64 v[3:4], v5, v[3:4]
	v_min_u32_e32 v3, 1, v3
	v_or_b32_e32 v3, v4, v3
	v_cvt_f32_i32_e32 v3, v3
	v_sub_u32_e32 v4, 32, v5
	v_ldexp_f32 v3, v3, v4
	v_bfe_u32 v4, v3, 16, 1
	v_add3_u32 v3, v3, v4, s22
	v_lshrrev_b32_e32 v3, 16, v3
	s_mov_b64 s[22:23], 0
	s_branch .LBB166_1330
.LBB166_1327:
                                        ; implicit-def: $vgpr3
	s_branch .LBB166_1336
.LBB166_1328:
	s_mov_b64 s[22:23], -1
                                        ; implicit-def: $vgpr3
	s_branch .LBB166_1333
.LBB166_1329:
	s_mov_b64 s[22:23], -1
                                        ; implicit-def: $vgpr3
.LBB166_1330:
	s_andn2_b64 vcc, exec, s[22:23]
	s_cbranch_vccnz .LBB166_1332
; %bb.1331:
	global_load_dword v3, v[0:1], off
	s_movk_i32 s22, 0x7fff
	s_waitcnt vmcnt(0)
	v_cvt_f32_i32_e32 v3, v3
	v_bfe_u32 v4, v3, 16, 1
	v_add3_u32 v3, v3, v4, s22
	v_lshrrev_b32_e32 v3, 16, v3
.LBB166_1332:
	s_mov_b64 s[22:23], 0
.LBB166_1333:
	s_andn2_b64 vcc, exec, s[22:23]
	s_cbranch_vccnz .LBB166_1335
; %bb.1334:
	global_load_sshort v3, v[0:1], off
	s_movk_i32 s22, 0x7fff
	s_waitcnt vmcnt(0)
	v_cvt_f32_i32_e32 v3, v3
	v_bfe_u32 v4, v3, 16, 1
	v_add3_u32 v3, v3, v4, s22
	v_lshrrev_b32_e32 v3, 16, v3
.LBB166_1335:
	s_cbranch_execnz .LBB166_1341
.LBB166_1336:
	s_sext_i32_i16 s22, s58
	s_cmp_gt_i32 s22, 0
	s_cbranch_scc0 .LBB166_1338
; %bb.1337:
	global_load_sbyte v3, v[0:1], off
	s_movk_i32 s22, 0x7fff
	s_waitcnt vmcnt(0)
	v_cvt_f32_i32_e32 v3, v3
	v_bfe_u32 v4, v3, 16, 1
	v_add3_u32 v3, v3, v4, s22
	v_lshrrev_b32_e32 v3, 16, v3
	s_mov_b64 s[22:23], 0
	s_branch .LBB166_1339
.LBB166_1338:
	s_mov_b64 s[22:23], -1
                                        ; implicit-def: $vgpr3
.LBB166_1339:
	s_andn2_b64 vcc, exec, s[22:23]
	s_cbranch_vccnz .LBB166_1341
; %bb.1340:
	global_load_ubyte v0, v[0:1], off
	s_movk_i32 s22, 0x7fff
	s_waitcnt vmcnt(0)
	v_cvt_f32_ubyte0_e32 v0, v0
	v_bfe_u32 v1, v0, 16, 1
	v_add3_u32 v0, v0, v1, s22
	v_lshrrev_b32_e32 v3, 16, v0
.LBB166_1341:
	v_mov_b32_e32 v4, 0
.LBB166_1342:
	s_or_b64 s[30:31], s[30:31], exec
.LBB166_1343:
	s_or_b64 exec, exec, s[0:1]
	s_mov_b64 s[28:29], 0
	s_mov_b64 s[34:35], 0
	;; [unrolled: 1-line block ×3, first 2 shown]
                                        ; implicit-def: $sgpr36
                                        ; implicit-def: $vgpr0_vgpr1
                                        ; implicit-def: $vgpr6
                                        ; implicit-def: $vgpr5
	s_and_saveexec_b64 s[0:1], s[30:31]
	s_cbranch_execz .LBB166_1351
; %bb.1344:
	v_mul_lo_u32 v0, v2, s14
	v_mov_b32_e32 v1, s3
	s_and_b32 s36, s56, 0xff
	s_cmp_lt_i32 s36, 11
	s_waitcnt vmcnt(0)
	v_ashrrev_i32_e32 v5, 31, v0
	v_add_co_u32_e32 v0, vcc, s2, v0
	v_addc_co_u32_e32 v1, vcc, v1, v5, vcc
	s_cbranch_scc1 .LBB166_1354
; %bb.1345:
	s_and_b32 s37, 0xffff, s36
	s_cmp_gt_i32 s37, 25
	s_cbranch_scc0 .LBB166_1355
; %bb.1346:
	s_cmp_gt_i32 s37, 28
	s_cbranch_scc0 .LBB166_1356
; %bb.1347:
	s_cmp_gt_i32 s37, 43
	s_cbranch_scc0 .LBB166_1357
; %bb.1348:
	s_cmp_gt_i32 s37, 45
	s_cbranch_scc0 .LBB166_1358
; %bb.1349:
	s_cmp_eq_u32 s37, 46
	s_mov_b64 s[30:31], 0
	s_cbranch_scc0 .LBB166_1359
; %bb.1350:
	global_load_dword v5, v[0:1], off
	s_mov_b64 s[22:23], 0
	s_mov_b64 s[26:27], -1
	s_waitcnt vmcnt(0)
	v_and_b32_e32 v6, 0xffff0000, v5
	s_branch .LBB166_1361
.LBB166_1351:
	s_or_b64 exec, exec, s[0:1]
	s_and_saveexec_b64 s[0:1], s[20:21]
	s_cbranch_execnz .LBB166_1427
.LBB166_1352:
	s_or_b64 exec, exec, s[0:1]
	s_and_saveexec_b64 s[0:1], s[28:29]
	s_xor_b64 s[0:1], exec, s[0:1]
	s_cbranch_execz .LBB166_1428
.LBB166_1353:
	global_load_ubyte v5, v[0:1], off
	v_mov_b32_e32 v6, 0
	s_or_b64 s[26:27], s[26:27], exec
	s_waitcnt vmcnt(0)
	v_cmp_ne_u16_e32 vcc, 0, v5
	v_cndmask_b32_e64 v5, 0, 1.0, vcc
	v_lshrrev_b32_e32 v5, 16, v5
	s_or_b64 exec, exec, s[0:1]
	s_and_saveexec_b64 s[0:1], s[34:35]
	s_cbranch_execz .LBB166_1476
	s_branch .LBB166_1429
.LBB166_1354:
	s_mov_b64 s[30:31], -1
                                        ; implicit-def: $vgpr6
                                        ; implicit-def: $vgpr5
	s_mov_b64 s[22:23], s[20:21]
	s_branch .LBB166_1426
.LBB166_1355:
	s_mov_b64 s[22:23], s[20:21]
                                        ; implicit-def: $vgpr6
                                        ; implicit-def: $vgpr5
	s_cbranch_execnz .LBB166_1392
	s_branch .LBB166_1425
.LBB166_1356:
	s_mov_b64 s[30:31], -1
	s_mov_b64 s[22:23], s[20:21]
                                        ; implicit-def: $vgpr6
                                        ; implicit-def: $vgpr5
	s_branch .LBB166_1373
.LBB166_1357:
	s_mov_b64 s[30:31], -1
	s_mov_b64 s[22:23], s[20:21]
                                        ; implicit-def: $vgpr6
                                        ; implicit-def: $vgpr5
	s_branch .LBB166_1367
.LBB166_1358:
	s_mov_b64 s[30:31], -1
	s_mov_b64 s[22:23], s[20:21]
	s_branch .LBB166_1360
.LBB166_1359:
	s_mov_b64 s[22:23], -1
.LBB166_1360:
                                        ; implicit-def: $vgpr6
                                        ; implicit-def: $vgpr5
.LBB166_1361:
	s_and_b64 vcc, exec, s[30:31]
	s_cbranch_vccz .LBB166_1366
; %bb.1362:
	s_cmp_eq_u32 s37, 44
	s_cbranch_scc0 .LBB166_1364
; %bb.1363:
	global_load_ubyte v5, v[0:1], off
	s_movk_i32 s26, 0xff
	v_mov_b32_e32 v6, 0x7f800001
	v_mov_b32_e32 v7, 0x400000
	;; [unrolled: 1-line block ×3, first 2 shown]
	s_mov_b64 s[22:23], 0
	s_waitcnt vmcnt(0)
	v_lshlrev_b32_e32 v9, 23, v5
	v_cmp_ne_u32_e32 vcc, s26, v5
	v_cndmask_b32_e32 v6, v6, v9, vcc
	v_cmp_ne_u32_e32 vcc, 0, v5
	v_cndmask_b32_e32 v5, v7, v6, vcc
	v_add_u32_e32 v6, 0x7fff, v5
	v_cmp_o_f32_e32 vcc, v5, v5
	v_cndmask_b32_sdwa v5, v8, v6, vcc dst_sel:DWORD dst_unused:UNUSED_PAD src0_sel:DWORD src1_sel:WORD_1
	s_mov_b64 s[26:27], -1
	s_branch .LBB166_1365
.LBB166_1364:
	s_mov_b64 s[22:23], -1
                                        ; implicit-def: $vgpr5
.LBB166_1365:
	v_mov_b32_e32 v6, 0
.LBB166_1366:
	s_mov_b64 s[30:31], 0
.LBB166_1367:
	s_and_b64 vcc, exec, s[30:31]
	s_cbranch_vccz .LBB166_1372
; %bb.1368:
	s_cmp_eq_u32 s37, 29
	s_cbranch_scc0 .LBB166_1370
; %bb.1369:
	global_load_dwordx2 v[5:6], v[0:1], off
	s_movk_i32 s26, 0x7fff
	s_mov_b64 s[22:23], 0
	s_waitcnt vmcnt(0)
	v_ffbh_u32_e32 v7, v6
	v_min_u32_e32 v7, 32, v7
	v_lshlrev_b64 v[5:6], v7, v[5:6]
	v_min_u32_e32 v5, 1, v5
	v_or_b32_e32 v5, v6, v5
	v_cvt_f32_u32_e32 v5, v5
	v_sub_u32_e32 v6, 32, v7
	v_ldexp_f32 v5, v5, v6
	v_bfe_u32 v6, v5, 16, 1
	v_add3_u32 v5, v5, v6, s26
	v_lshrrev_b32_e32 v5, 16, v5
	s_mov_b64 s[26:27], -1
	s_branch .LBB166_1371
.LBB166_1370:
	s_mov_b64 s[22:23], -1
                                        ; implicit-def: $vgpr5
.LBB166_1371:
	v_mov_b32_e32 v6, 0
.LBB166_1372:
	s_mov_b64 s[30:31], 0
.LBB166_1373:
	s_and_b64 vcc, exec, s[30:31]
	s_cbranch_vccz .LBB166_1391
; %bb.1374:
	s_cmp_lt_i32 s37, 27
	s_cbranch_scc1 .LBB166_1377
; %bb.1375:
	s_cmp_gt_i32 s37, 27
	s_cbranch_scc0 .LBB166_1378
; %bb.1376:
	global_load_dword v5, v[0:1], off
	s_movk_i32 s26, 0x7fff
	s_waitcnt vmcnt(0)
	v_cvt_f32_u32_e32 v5, v5
	v_bfe_u32 v6, v5, 16, 1
	v_add3_u32 v5, v5, v6, s26
	v_lshrrev_b32_e32 v5, 16, v5
	s_mov_b64 s[26:27], 0
	s_branch .LBB166_1379
.LBB166_1377:
	s_mov_b64 s[26:27], -1
                                        ; implicit-def: $vgpr5
	s_branch .LBB166_1382
.LBB166_1378:
	s_mov_b64 s[26:27], -1
                                        ; implicit-def: $vgpr5
.LBB166_1379:
	s_andn2_b64 vcc, exec, s[26:27]
	s_cbranch_vccnz .LBB166_1381
; %bb.1380:
	global_load_ushort v5, v[0:1], off
	s_movk_i32 s26, 0x7fff
	s_waitcnt vmcnt(0)
	v_cvt_f32_u32_e32 v5, v5
	v_bfe_u32 v6, v5, 16, 1
	v_add3_u32 v5, v5, v6, s26
	v_lshrrev_b32_e32 v5, 16, v5
.LBB166_1381:
	s_mov_b64 s[26:27], 0
.LBB166_1382:
	s_andn2_b64 vcc, exec, s[26:27]
	s_cbranch_vccnz .LBB166_1390
; %bb.1383:
	global_load_ubyte v5, v[0:1], off
	s_movk_i32 s26, 0x7f
	s_waitcnt vmcnt(0)
	v_cmp_lt_i16_e32 vcc, s26, v5
	s_mov_b64 s[26:27], 0
	s_and_saveexec_b64 s[30:31], vcc
	s_xor_b64 s[30:31], exec, s[30:31]
	s_cbranch_execz .LBB166_1403
; %bb.1384:
	s_movk_i32 s26, 0x80
	v_cmp_eq_u16_e32 vcc, s26, v5
	s_mov_b64 s[26:27], -1
	s_and_saveexec_b64 s[34:35], vcc
; %bb.1385:
	s_xor_b64 s[26:27], exec, -1
; %bb.1386:
	s_or_b64 exec, exec, s[34:35]
	s_and_b64 s[26:27], s[26:27], exec
	s_or_saveexec_b64 s[30:31], s[30:31]
	v_mov_b32_e32 v6, 0x7f800001
	s_xor_b64 exec, exec, s[30:31]
	s_cbranch_execnz .LBB166_1404
.LBB166_1387:
	s_or_b64 exec, exec, s[30:31]
	s_and_saveexec_b64 s[30:31], s[26:27]
	s_cbranch_execz .LBB166_1389
.LBB166_1388:
	v_lshlrev_b32_e32 v6, 24, v5
	v_and_b32_e32 v5, 0xffff, v5
	v_and_b32_e32 v7, 7, v5
	v_ffbh_u32_e32 v9, v7
	v_min_u32_e32 v9, 32, v9
	v_subrev_u32_e32 v10, 28, v9
	v_bfe_u32 v8, v5, 3, 4
	v_lshlrev_b32_e32 v5, v10, v5
	v_sub_u32_e32 v9, 29, v9
	v_and_b32_e32 v5, 7, v5
	v_cmp_eq_u32_e32 vcc, 0, v8
	v_cndmask_b32_e32 v8, v8, v9, vcc
	v_cndmask_b32_e32 v5, v7, v5, vcc
	v_mov_b32_e32 v7, 0x3b800000
	v_lshlrev_b32_e32 v5, 20, v5
	v_and_b32_e32 v6, 0x80000000, v6
	v_lshl_add_u32 v7, v8, 23, v7
	v_or3_b32 v6, v6, v7, v5
.LBB166_1389:
	s_or_b64 exec, exec, s[30:31]
	v_bfe_u32 v5, v6, 16, 1
	s_movk_i32 s26, 0x7fff
	v_add3_u32 v5, v6, v5, s26
	v_cmp_o_f32_e32 vcc, v6, v6
	v_mov_b32_e32 v6, 0x7fc0
	v_cndmask_b32_sdwa v5, v6, v5, vcc dst_sel:DWORD dst_unused:UNUSED_PAD src0_sel:DWORD src1_sel:WORD_1
.LBB166_1390:
	s_mov_b64 s[26:27], -1
	v_mov_b32_e32 v6, 0
.LBB166_1391:
	s_branch .LBB166_1425
.LBB166_1392:
	s_cmp_gt_i32 s37, 22
	s_cbranch_scc0 .LBB166_1402
; %bb.1393:
	s_cmp_lt_i32 s37, 24
	s_cbranch_scc1 .LBB166_1405
; %bb.1394:
	s_cmp_gt_i32 s37, 24
	s_cbranch_scc0 .LBB166_1406
; %bb.1395:
	global_load_ubyte v5, v[0:1], off
	s_movk_i32 s26, 0x7f
	s_waitcnt vmcnt(0)
	v_cmp_lt_i16_e32 vcc, s26, v5
	s_mov_b64 s[26:27], 0
	s_and_saveexec_b64 s[28:29], vcc
	s_xor_b64 s[28:29], exec, s[28:29]
	s_cbranch_execz .LBB166_1418
; %bb.1396:
	s_movk_i32 s26, 0x80
	v_cmp_eq_u16_e32 vcc, s26, v5
	s_mov_b64 s[26:27], -1
	s_and_saveexec_b64 s[30:31], vcc
; %bb.1397:
	s_xor_b64 s[26:27], exec, -1
; %bb.1398:
	s_or_b64 exec, exec, s[30:31]
	s_and_b64 s[26:27], s[26:27], exec
	s_or_saveexec_b64 s[28:29], s[28:29]
	v_mov_b32_e32 v6, 0x7f800001
	s_xor_b64 exec, exec, s[28:29]
	s_cbranch_execnz .LBB166_1419
.LBB166_1399:
	s_or_b64 exec, exec, s[28:29]
	s_and_saveexec_b64 s[28:29], s[26:27]
	s_cbranch_execz .LBB166_1401
.LBB166_1400:
	v_lshlrev_b32_e32 v6, 24, v5
	v_and_b32_e32 v5, 0xffff, v5
	v_and_b32_e32 v7, 3, v5
	v_ffbh_u32_e32 v9, v7
	v_min_u32_e32 v9, 32, v9
	v_subrev_u32_e32 v10, 29, v9
	v_bfe_u32 v8, v5, 2, 5
	v_lshlrev_b32_e32 v5, v10, v5
	v_sub_u32_e32 v9, 30, v9
	v_and_b32_e32 v5, 3, v5
	v_cmp_eq_u32_e32 vcc, 0, v8
	v_cndmask_b32_e32 v8, v8, v9, vcc
	v_cndmask_b32_e32 v5, v7, v5, vcc
	v_mov_b32_e32 v7, 0x37800000
	v_lshlrev_b32_e32 v5, 21, v5
	v_and_b32_e32 v6, 0x80000000, v6
	v_lshl_add_u32 v7, v8, 23, v7
	v_or3_b32 v6, v6, v7, v5
.LBB166_1401:
	s_or_b64 exec, exec, s[28:29]
	v_bfe_u32 v5, v6, 16, 1
	s_movk_i32 s26, 0x7fff
	v_add3_u32 v5, v6, v5, s26
	v_cmp_o_f32_e32 vcc, v6, v6
	v_mov_b32_e32 v6, 0x7fc0
	v_cndmask_b32_sdwa v5, v6, v5, vcc dst_sel:DWORD dst_unused:UNUSED_PAD src0_sel:DWORD src1_sel:WORD_1
	s_mov_b64 s[26:27], 0
	s_branch .LBB166_1407
.LBB166_1402:
	s_mov_b64 s[28:29], -1
                                        ; implicit-def: $vgpr5
	s_branch .LBB166_1413
.LBB166_1403:
	s_or_saveexec_b64 s[30:31], s[30:31]
	v_mov_b32_e32 v6, 0x7f800001
	s_xor_b64 exec, exec, s[30:31]
	s_cbranch_execz .LBB166_1387
.LBB166_1404:
	v_cmp_ne_u16_e32 vcc, 0, v5
	s_andn2_b64 s[26:27], s[26:27], exec
	s_and_b64 s[34:35], vcc, exec
	v_mov_b32_e32 v6, 0
	s_or_b64 s[26:27], s[26:27], s[34:35]
	s_or_b64 exec, exec, s[30:31]
	s_and_saveexec_b64 s[30:31], s[26:27]
	s_cbranch_execnz .LBB166_1388
	s_branch .LBB166_1389
.LBB166_1405:
	s_mov_b64 s[26:27], -1
                                        ; implicit-def: $vgpr5
	s_branch .LBB166_1410
.LBB166_1406:
	s_mov_b64 s[26:27], -1
                                        ; implicit-def: $vgpr5
.LBB166_1407:
	s_and_b64 vcc, exec, s[26:27]
	s_cbranch_vccz .LBB166_1409
; %bb.1408:
	global_load_ubyte v5, v[0:1], off
	s_mov_b32 s26, 0x7f800000
	s_brev_b32 s27, 1
	s_movk_i32 s28, 0x7fff
	s_waitcnt vmcnt(0)
	v_lshlrev_b32_e32 v5, 24, v5
	v_and_b32_e32 v6, 0x7f000000, v5
	v_ffbh_u32_e32 v7, v6
	v_min_u32_e32 v7, 32, v7
	v_sub_u32_e64 v7, v7, 4 clamp
	v_lshlrev_b32_e32 v9, v7, v6
	v_lshlrev_b32_e32 v7, 23, v7
	v_lshrrev_b32_e32 v9, 4, v9
	v_add_u32_e32 v8, 0x1000000, v6
	v_sub_u32_e32 v7, v9, v7
	v_ashrrev_i32_e32 v8, 8, v8
	v_add_u32_e32 v7, 0x3c000000, v7
	v_and_or_b32 v7, v8, s26, v7
	v_cmp_ne_u32_e32 vcc, 0, v6
	v_cndmask_b32_e32 v6, 0, v7, vcc
	v_and_or_b32 v5, v5, s27, v6
	v_bfe_u32 v6, v6, 16, 1
	v_add3_u32 v6, v5, v6, s28
	v_cmp_o_f32_e32 vcc, v5, v5
	v_mov_b32_e32 v5, 0x7fc0
	v_cndmask_b32_sdwa v5, v5, v6, vcc dst_sel:DWORD dst_unused:UNUSED_PAD src0_sel:DWORD src1_sel:WORD_1
.LBB166_1409:
	s_mov_b64 s[26:27], 0
.LBB166_1410:
	s_andn2_b64 vcc, exec, s[26:27]
	s_cbranch_vccnz .LBB166_1412
; %bb.1411:
	global_load_ubyte v5, v[0:1], off
	s_movk_i32 s26, 0x7f00
	s_brev_b32 s27, 16
	s_brev_b32 s28, 1
	s_movk_i32 s29, 0x7fff
	s_waitcnt vmcnt(0)
	v_lshlrev_b16_e32 v6, 8, v5
	v_lshlrev_b32_e32 v5, 25, v5
	v_lshrrev_b32_e32 v7, 4, v5
	v_and_or_b32 v8, v6, s26, 0.5
	v_or_b32_e32 v7, 0x70000000, v7
	v_add_f32_e32 v8, -0.5, v8
	v_mul_f32_e32 v7, 0x7800000, v7
	v_cmp_gt_u32_e32 vcc, s27, v5
	v_bfe_i32 v6, v6, 0, 16
	v_cndmask_b32_e32 v5, v7, v8, vcc
	v_and_or_b32 v6, v6, s28, v5
	v_bfe_u32 v5, v5, 16, 1
	v_add3_u32 v5, v6, v5, s29
	v_cmp_o_f32_e32 vcc, v6, v6
	v_mov_b32_e32 v6, 0x7fc0
	v_cndmask_b32_sdwa v5, v6, v5, vcc dst_sel:DWORD dst_unused:UNUSED_PAD src0_sel:DWORD src1_sel:WORD_1
.LBB166_1412:
	s_mov_b64 s[28:29], 0
	s_mov_b64 s[26:27], -1
.LBB166_1413:
	s_andn2_b64 vcc, exec, s[28:29]
	s_mov_b64 s[28:29], 0
	s_cbranch_vccnz .LBB166_1424
; %bb.1414:
	s_cmp_gt_i32 s37, 14
	s_cbranch_scc0 .LBB166_1417
; %bb.1415:
	s_cmp_eq_u32 s37, 15
	s_cbranch_scc0 .LBB166_1420
; %bb.1416:
	global_load_ushort v5, v[0:1], off
	s_mov_b64 s[22:23], 0
	s_mov_b64 s[26:27], -1
	s_branch .LBB166_1421
.LBB166_1417:
	s_mov_b64 s[30:31], -1
                                        ; implicit-def: $vgpr5
	s_branch .LBB166_1422
.LBB166_1418:
	s_or_saveexec_b64 s[28:29], s[28:29]
	v_mov_b32_e32 v6, 0x7f800001
	s_xor_b64 exec, exec, s[28:29]
	s_cbranch_execz .LBB166_1399
.LBB166_1419:
	v_cmp_ne_u16_e32 vcc, 0, v5
	s_andn2_b64 s[26:27], s[26:27], exec
	s_and_b64 s[30:31], vcc, exec
	v_mov_b32_e32 v6, 0
	s_or_b64 s[26:27], s[26:27], s[30:31]
	s_or_b64 exec, exec, s[28:29]
	s_and_saveexec_b64 s[28:29], s[26:27]
	s_cbranch_execnz .LBB166_1400
	s_branch .LBB166_1401
.LBB166_1420:
	s_mov_b64 s[22:23], -1
                                        ; implicit-def: $vgpr5
.LBB166_1421:
	s_mov_b64 s[30:31], 0
.LBB166_1422:
	s_and_b64 vcc, exec, s[30:31]
	s_cbranch_vccz .LBB166_1424
; %bb.1423:
	s_cmp_lg_u32 s37, 11
	s_cselect_b64 s[30:31], -1, 0
	s_andn2_b64 s[22:23], s[22:23], exec
	s_and_b64 s[30:31], s[30:31], exec
	s_mov_b64 s[28:29], -1
	s_or_b64 s[22:23], s[22:23], s[30:31]
.LBB166_1424:
	v_mov_b32_e32 v6, 0
.LBB166_1425:
	s_mov_b64 s[30:31], 0
.LBB166_1426:
	s_andn2_b64 s[20:21], s[20:21], exec
	s_and_b64 s[22:23], s[22:23], exec
	s_and_b64 s[26:27], s[26:27], exec
	;; [unrolled: 1-line block ×4, first 2 shown]
	s_or_b64 s[20:21], s[20:21], s[22:23]
	s_or_b64 exec, exec, s[0:1]
	s_and_saveexec_b64 s[0:1], s[20:21]
	s_cbranch_execz .LBB166_1352
.LBB166_1427:
	s_or_b64 s[24:25], s[24:25], exec
	s_andn2_b64 s[28:29], s[28:29], exec
	s_trap 2
	s_or_b64 exec, exec, s[0:1]
	s_and_saveexec_b64 s[0:1], s[28:29]
	s_xor_b64 s[0:1], exec, s[0:1]
	s_cbranch_execnz .LBB166_1353
.LBB166_1428:
	s_or_b64 exec, exec, s[0:1]
	s_and_saveexec_b64 s[0:1], s[34:35]
	s_cbranch_execz .LBB166_1476
.LBB166_1429:
	s_sext_i32_i16 s20, s36
	s_cmp_lt_i32 s20, 5
	s_cbranch_scc1 .LBB166_1434
; %bb.1430:
	s_cmp_lt_i32 s20, 8
	s_cbranch_scc1 .LBB166_1435
; %bb.1431:
	;; [unrolled: 3-line block ×3, first 2 shown]
	s_cmp_gt_i32 s20, 9
	s_cbranch_scc0 .LBB166_1437
; %bb.1433:
	global_load_dwordx4 v[5:8], v[0:1], off
	s_movk_i32 s20, 0x7fff
	s_waitcnt vmcnt(0)
	v_cvt_f32_f64_e32 v5, v[5:6]
	v_cvt_f32_f64_e32 v6, v[7:8]
	v_mov_b32_e32 v7, 0x7fc0
	v_mov_b32_e32 v8, 0x7fc00000
	v_bfe_u32 v9, v5, 16, 1
	v_bfe_u32 v10, v6, 16, 1
	v_cmp_o_f32_e32 vcc, v5, v5
	v_add3_u32 v5, v5, v9, s20
	v_add3_u32 v9, v6, v10, s20
	v_cndmask_b32_sdwa v5, v7, v5, vcc dst_sel:DWORD dst_unused:UNUSED_PAD src0_sel:DWORD src1_sel:WORD_1
	v_and_b32_e32 v7, 0xffff0000, v9
	v_cmp_o_f32_e32 vcc, v6, v6
	v_cndmask_b32_e32 v6, v8, v7, vcc
	s_mov_b64 s[20:21], 0
	s_branch .LBB166_1438
.LBB166_1434:
                                        ; implicit-def: $vgpr6
                                        ; implicit-def: $vgpr5
	s_branch .LBB166_1456
.LBB166_1435:
                                        ; implicit-def: $vgpr6
                                        ; implicit-def: $vgpr5
	s_branch .LBB166_1444
.LBB166_1436:
	s_mov_b64 s[20:21], -1
                                        ; implicit-def: $vgpr6
                                        ; implicit-def: $vgpr5
	s_branch .LBB166_1441
.LBB166_1437:
	s_mov_b64 s[20:21], -1
                                        ; implicit-def: $vgpr6
                                        ; implicit-def: $vgpr5
.LBB166_1438:
	s_andn2_b64 vcc, exec, s[20:21]
	s_cbranch_vccnz .LBB166_1440
; %bb.1439:
	global_load_dwordx2 v[5:6], v[0:1], off
	s_movk_i32 s20, 0x7fff
	v_mov_b32_e32 v7, 0x7fc0
	v_mov_b32_e32 v8, 0x7fc00000
	s_waitcnt vmcnt(0)
	v_bfe_u32 v9, v5, 16, 1
	v_bfe_u32 v10, v6, 16, 1
	v_cmp_o_f32_e32 vcc, v5, v5
	v_add3_u32 v5, v5, v9, s20
	v_add3_u32 v9, v6, v10, s20
	v_cndmask_b32_sdwa v5, v7, v5, vcc dst_sel:DWORD dst_unused:UNUSED_PAD src0_sel:DWORD src1_sel:WORD_1
	v_and_b32_e32 v7, 0xffff0000, v9
	v_cmp_o_f32_e32 vcc, v6, v6
	v_cndmask_b32_e32 v6, v8, v7, vcc
.LBB166_1440:
	s_mov_b64 s[20:21], 0
.LBB166_1441:
	s_andn2_b64 vcc, exec, s[20:21]
	s_cbranch_vccnz .LBB166_1443
; %bb.1442:
	global_load_dword v6, v[0:1], off
	s_movk_i32 s20, 0x7fff
	s_waitcnt vmcnt(1)
	v_mov_b32_e32 v5, 0x7fc0
	v_mov_b32_e32 v9, 0x7fc00000
	s_waitcnt vmcnt(0)
	v_cvt_f32_f16_e32 v7, v6
	v_cvt_f32_f16_sdwa v8, v6 dst_sel:DWORD dst_unused:UNUSED_PAD src0_sel:WORD_1
	v_cmp_o_f16_e32 vcc, v6, v6
	v_bfe_u32 v10, v7, 16, 1
	v_bfe_u32 v11, v8, 16, 1
	v_add3_u32 v7, v7, v10, s20
	v_add3_u32 v8, v8, v11, s20
	v_cndmask_b32_sdwa v5, v5, v7, vcc dst_sel:DWORD dst_unused:UNUSED_PAD src0_sel:DWORD src1_sel:WORD_1
	v_and_b32_e32 v7, 0xffff0000, v8
	v_cmp_o_f16_sdwa vcc, v6, v6 src0_sel:WORD_1 src1_sel:WORD_1
	v_cndmask_b32_e32 v6, v9, v7, vcc
.LBB166_1443:
	s_cbranch_execnz .LBB166_1455
.LBB166_1444:
	s_sext_i32_i16 s20, s36
	s_cmp_lt_i32 s20, 6
	s_cbranch_scc1 .LBB166_1447
; %bb.1445:
	s_cmp_gt_i32 s20, 6
	s_cbranch_scc0 .LBB166_1448
; %bb.1446:
	global_load_dwordx2 v[5:6], v[0:1], off
	s_movk_i32 s20, 0x7fff
	s_waitcnt vmcnt(0)
	v_cvt_f32_f64_e32 v5, v[5:6]
	v_mov_b32_e32 v6, 0x7fc0
	v_bfe_u32 v7, v5, 16, 1
	v_cmp_o_f32_e32 vcc, v5, v5
	v_add3_u32 v5, v5, v7, s20
	v_cndmask_b32_sdwa v5, v6, v5, vcc dst_sel:DWORD dst_unused:UNUSED_PAD src0_sel:DWORD src1_sel:WORD_1
	s_mov_b64 s[20:21], 0
	s_branch .LBB166_1449
.LBB166_1447:
	s_mov_b64 s[20:21], -1
                                        ; implicit-def: $vgpr5
	s_branch .LBB166_1452
.LBB166_1448:
	s_mov_b64 s[20:21], -1
                                        ; implicit-def: $vgpr5
.LBB166_1449:
	s_andn2_b64 vcc, exec, s[20:21]
	s_cbranch_vccnz .LBB166_1451
; %bb.1450:
	global_load_dword v5, v[0:1], off
	s_movk_i32 s20, 0x7fff
	v_mov_b32_e32 v6, 0x7fc0
	s_waitcnt vmcnt(0)
	v_bfe_u32 v7, v5, 16, 1
	v_cmp_o_f32_e32 vcc, v5, v5
	v_add3_u32 v5, v5, v7, s20
	v_cndmask_b32_sdwa v5, v6, v5, vcc dst_sel:DWORD dst_unused:UNUSED_PAD src0_sel:DWORD src1_sel:WORD_1
.LBB166_1451:
	s_mov_b64 s[20:21], 0
.LBB166_1452:
	s_andn2_b64 vcc, exec, s[20:21]
	s_cbranch_vccnz .LBB166_1454
; %bb.1453:
	global_load_ushort v5, v[0:1], off
	s_movk_i32 s20, 0x7fff
	v_mov_b32_e32 v7, 0x7fc0
	s_waitcnt vmcnt(0)
	v_cvt_f32_f16_e32 v6, v5
	v_cmp_o_f16_e32 vcc, v5, v5
	v_bfe_u32 v5, v6, 16, 1
	v_add3_u32 v5, v6, v5, s20
	v_cndmask_b32_sdwa v5, v7, v5, vcc dst_sel:DWORD dst_unused:UNUSED_PAD src0_sel:DWORD src1_sel:WORD_1
.LBB166_1454:
	v_mov_b32_e32 v6, 0
.LBB166_1455:
	s_cbranch_execnz .LBB166_1475
.LBB166_1456:
	s_sext_i32_i16 s20, s36
	s_cmp_lt_i32 s20, 2
	s_cbranch_scc1 .LBB166_1460
; %bb.1457:
	s_cmp_lt_i32 s20, 3
	s_cbranch_scc1 .LBB166_1461
; %bb.1458:
	s_cmp_gt_i32 s20, 3
	s_cbranch_scc0 .LBB166_1462
; %bb.1459:
	global_load_dwordx2 v[5:6], v[0:1], off
	s_movk_i32 s20, 0x7fff
	s_waitcnt vmcnt(0)
	v_xor_b32_e32 v8, v5, v6
	v_ffbh_i32_e32 v7, v6
	v_ashrrev_i32_e32 v8, 31, v8
	v_add_u32_e32 v7, -1, v7
	v_add_u32_e32 v8, 32, v8
	v_min_u32_e32 v7, v7, v8
	v_lshlrev_b64 v[5:6], v7, v[5:6]
	v_min_u32_e32 v5, 1, v5
	v_or_b32_e32 v5, v6, v5
	v_cvt_f32_i32_e32 v5, v5
	v_sub_u32_e32 v6, 32, v7
	v_ldexp_f32 v5, v5, v6
	v_bfe_u32 v6, v5, 16, 1
	v_add3_u32 v5, v5, v6, s20
	v_lshrrev_b32_e32 v5, 16, v5
	s_mov_b64 s[20:21], 0
	s_branch .LBB166_1463
.LBB166_1460:
                                        ; implicit-def: $vgpr5
	s_branch .LBB166_1469
.LBB166_1461:
	s_mov_b64 s[20:21], -1
                                        ; implicit-def: $vgpr5
	s_branch .LBB166_1466
.LBB166_1462:
	s_mov_b64 s[20:21], -1
                                        ; implicit-def: $vgpr5
.LBB166_1463:
	s_andn2_b64 vcc, exec, s[20:21]
	s_cbranch_vccnz .LBB166_1465
; %bb.1464:
	global_load_dword v5, v[0:1], off
	s_movk_i32 s20, 0x7fff
	s_waitcnt vmcnt(0)
	v_cvt_f32_i32_e32 v5, v5
	v_bfe_u32 v6, v5, 16, 1
	v_add3_u32 v5, v5, v6, s20
	v_lshrrev_b32_e32 v5, 16, v5
.LBB166_1465:
	s_mov_b64 s[20:21], 0
.LBB166_1466:
	s_andn2_b64 vcc, exec, s[20:21]
	s_cbranch_vccnz .LBB166_1468
; %bb.1467:
	global_load_sshort v5, v[0:1], off
	s_movk_i32 s20, 0x7fff
	s_waitcnt vmcnt(0)
	v_cvt_f32_i32_e32 v5, v5
	v_bfe_u32 v6, v5, 16, 1
	v_add3_u32 v5, v5, v6, s20
	v_lshrrev_b32_e32 v5, 16, v5
.LBB166_1468:
	s_cbranch_execnz .LBB166_1474
.LBB166_1469:
	s_sext_i32_i16 s20, s36
	s_cmp_gt_i32 s20, 0
	s_cbranch_scc0 .LBB166_1471
; %bb.1470:
	global_load_sbyte v5, v[0:1], off
	s_movk_i32 s20, 0x7fff
	s_waitcnt vmcnt(0)
	v_cvt_f32_i32_e32 v5, v5
	v_bfe_u32 v6, v5, 16, 1
	v_add3_u32 v5, v5, v6, s20
	v_lshrrev_b32_e32 v5, 16, v5
	s_mov_b64 s[20:21], 0
	s_branch .LBB166_1472
.LBB166_1471:
	s_mov_b64 s[20:21], -1
                                        ; implicit-def: $vgpr5
.LBB166_1472:
	s_andn2_b64 vcc, exec, s[20:21]
	s_cbranch_vccnz .LBB166_1474
; %bb.1473:
	global_load_ubyte v0, v[0:1], off
	s_movk_i32 s20, 0x7fff
	s_waitcnt vmcnt(0)
	v_cvt_f32_ubyte0_e32 v0, v0
	v_bfe_u32 v1, v0, 16, 1
	v_add3_u32 v0, v0, v1, s20
	v_lshrrev_b32_e32 v5, 16, v0
.LBB166_1474:
	v_mov_b32_e32 v6, 0
.LBB166_1475:
	s_or_b64 s[26:27], s[26:27], exec
.LBB166_1476:
	s_or_b64 exec, exec, s[0:1]
	s_mov_b64 s[30:31], 0
	s_mov_b64 s[28:29], 0
                                        ; implicit-def: $sgpr20_sgpr21
                                        ; implicit-def: $sgpr34
                                        ; implicit-def: $vgpr0_vgpr1
	s_and_saveexec_b64 s[22:23], s[26:27]
	s_cbranch_execz .LBB166_1554
; %bb.1477:
	s_waitcnt vmcnt(0)
	v_or_b32_sdwa v0, v4, v3 dst_sel:DWORD dst_unused:UNUSED_PAD src0_sel:DWORD src1_sel:WORD_0
	v_or_b32_sdwa v1, v6, v5 dst_sel:DWORD dst_unused:UNUSED_PAD src0_sel:DWORD src1_sel:WORD_0
	s_andn2_b64 vcc, exec, s[16:17]
	v_lshlrev_b32_e32 v0, 16, v0
	v_lshlrev_b32_e32 v1, 16, v1
	s_cbranch_vccnz .LBB166_1558
; %bb.1478:
	v_and_b32_e32 v3, 0xffff0000, v4
	v_and_b32_e32 v5, 0xffff0000, v6
	v_cmp_neq_f32_e32 vcc, v0, v1
	v_cmp_neq_f32_e64 s[0:1], v3, v5
	s_or_b64 s[20:21], vcc, s[0:1]
	s_cbranch_execnz .LBB166_1480
.LBB166_1479:
	v_and_b32_e32 v3, 0xffff0000, v6
	v_and_b32_e32 v4, 0xffff0000, v4
	v_cmp_eq_f32_e32 vcc, v0, v1
	v_cmp_eq_f32_e64 s[0:1], v4, v3
	s_and_b64 s[0:1], vcc, s[0:1]
	s_andn2_b64 s[16:17], s[20:21], exec
	s_and_b64 s[0:1], s[0:1], exec
	s_or_b64 s[20:21], s[16:17], s[0:1]
.LBB166_1480:
	v_mul_lo_u32 v0, v2, s12
	v_mov_b32_e32 v1, s9
	s_and_b32 s34, s33, 0xff
	s_cmp_lt_i32 s34, 11
	v_ashrrev_i32_e32 v2, 31, v0
	v_add_co_u32_e32 v0, vcc, s8, v0
	v_addc_co_u32_e32 v1, vcc, v1, v2, vcc
	s_cbranch_scc1 .LBB166_1557
; %bb.1481:
	s_and_b32 s35, 0xffff, s34
	s_mov_b64 s[26:27], -1
	s_cmp_gt_i32 s35, 25
	s_mov_b64 s[0:1], s[18:19]
	s_cbranch_scc0 .LBB166_1514
; %bb.1482:
	s_mov_b64 s[16:17], -1
	s_cmp_gt_i32 s35, 28
	s_mov_b64 s[0:1], s[18:19]
	s_cbranch_scc0 .LBB166_1498
; %bb.1483:
	s_cmp_gt_i32 s35, 43
	s_mov_b64 s[0:1], s[18:19]
	s_cbranch_scc0 .LBB166_1494
; %bb.1484:
	s_cmp_gt_i32 s35, 45
	s_mov_b64 s[0:1], s[18:19]
	s_cbranch_scc0 .LBB166_1488
; %bb.1485:
	s_cmp_eq_u32 s35, 46
	s_mov_b64 s[0:1], -1
	s_cbranch_scc0 .LBB166_1487
; %bb.1486:
	v_cndmask_b32_e64 v2, 0, 1.0, s[20:21]
	v_bfe_u32 v3, v2, 16, 1
	s_movk_i32 s0, 0x7fff
	v_add3_u32 v2, v2, v3, s0
	v_lshrrev_b32_e32 v2, 16, v2
	global_store_dword v[0:1], v2, off
	s_mov_b64 s[0:1], 0
.LBB166_1487:
	s_mov_b64 s[16:17], 0
.LBB166_1488:
	s_and_b64 vcc, exec, s[16:17]
	s_cbranch_vccz .LBB166_1493
; %bb.1489:
	s_cmp_eq_u32 s35, 44
	s_mov_b64 s[0:1], -1
	s_cbranch_scc0 .LBB166_1493
; %bb.1490:
	v_cndmask_b32_e64 v3, 0, 1.0, s[20:21]
	v_lshrrev_b32_e32 v2, 23, v3
	s_movk_i32 s0, 0xff
	v_cmp_ne_u32_e32 vcc, s0, v2
	v_mov_b32_e32 v4, 0xff
	s_and_saveexec_b64 s[16:17], vcc
; %bb.1491:
	s_mov_b32 s0, 0x3fffff
	v_and_b32_e32 v4, 0x400000, v3
	v_and_or_b32 v3, v3, s0, v2
	v_cmp_ne_u32_e32 vcc, 0, v4
	v_cmp_ne_u32_e64 s[0:1], 0, v3
	s_and_b64 s[0:1], vcc, s[0:1]
	v_cndmask_b32_e64 v3, 0, 1, s[0:1]
	v_add_u32_e32 v4, v2, v3
; %bb.1492:
	s_or_b64 exec, exec, s[16:17]
	s_mov_b64 s[0:1], 0
	global_store_byte v[0:1], v4, off
.LBB166_1493:
	s_mov_b64 s[16:17], 0
.LBB166_1494:
	s_and_b64 vcc, exec, s[16:17]
	s_cbranch_vccz .LBB166_1497
; %bb.1495:
	s_cmp_eq_u32 s35, 29
	s_mov_b64 s[0:1], -1
	s_cbranch_scc0 .LBB166_1497
; %bb.1496:
	s_mov_b32 s0, 0
	v_cndmask_b32_e64 v2, 0, 1, s[20:21]
	v_mov_b32_e32 v3, s0
	global_store_dwordx2 v[0:1], v[2:3], off
	s_mov_b64 s[0:1], 0
.LBB166_1497:
	s_mov_b64 s[16:17], 0
.LBB166_1498:
	s_and_b64 vcc, exec, s[16:17]
	s_cbranch_vccz .LBB166_1513
; %bb.1499:
	s_cmp_lt_i32 s35, 27
	s_mov_b64 s[16:17], -1
	s_cbranch_scc1 .LBB166_1505
; %bb.1500:
	s_cmp_gt_i32 s35, 27
	v_cndmask_b32_e64 v2, 0, 1, s[20:21]
	s_cbranch_scc0 .LBB166_1502
; %bb.1501:
	s_mov_b64 s[16:17], 0
	global_store_dword v[0:1], v2, off
.LBB166_1502:
	s_andn2_b64 vcc, exec, s[16:17]
	s_cbranch_vccnz .LBB166_1504
; %bb.1503:
	global_store_short v[0:1], v2, off
.LBB166_1504:
	s_mov_b64 s[16:17], 0
.LBB166_1505:
	s_andn2_b64 vcc, exec, s[16:17]
	s_cbranch_vccnz .LBB166_1513
; %bb.1506:
	v_cndmask_b32_e64 v3, 0, 1.0, s[20:21]
	s_mov_b32 s16, 0x43800000
	v_cmp_gt_u32_e32 vcc, s16, v3
	v_mov_b32_e32 v4, 0x80
	s_and_saveexec_b64 s[16:17], vcc
	s_cbranch_execz .LBB166_1512
; %bb.1507:
	s_mov_b32 s26, 0x3bffffff
	v_cmp_lt_u32_e32 vcc, s26, v3
	s_mov_b64 s[26:27], 0
                                        ; implicit-def: $vgpr2
	s_and_saveexec_b64 s[28:29], vcc
	s_xor_b64 s[28:29], exec, s[28:29]
	s_cbranch_execz .LBB166_1615
; %bb.1508:
	v_bfe_u32 v2, v3, 20, 1
	s_mov_b32 s30, 0x487ffff
	v_add3_u32 v2, v3, v2, s30
	s_mov_b64 s[26:27], exec
	v_lshrrev_b32_e32 v2, 20, v2
                                        ; implicit-def: $vgpr3
	s_andn2_saveexec_b64 s[28:29], s[28:29]
	s_cbranch_execnz .LBB166_1616
.LBB166_1509:
	s_or_b64 exec, exec, s[28:29]
	v_mov_b32_e32 v4, 0
	s_and_saveexec_b64 s[28:29], s[26:27]
.LBB166_1510:
	v_mov_b32_e32 v4, v2
.LBB166_1511:
	s_or_b64 exec, exec, s[28:29]
.LBB166_1512:
	s_or_b64 exec, exec, s[16:17]
	global_store_byte v[0:1], v4, off
.LBB166_1513:
	s_mov_b64 s[26:27], 0
.LBB166_1514:
	s_mov_b64 s[16:17], 0
	s_and_b64 vcc, exec, s[26:27]
	s_cbranch_vccz .LBB166_1559
; %bb.1515:
	s_cmp_gt_i32 s35, 22
	s_mov_b64 s[26:27], -1
	s_cbranch_scc0 .LBB166_1547
; %bb.1516:
	s_cmp_lt_i32 s35, 24
	s_cbranch_scc1 .LBB166_1536
; %bb.1517:
	s_cmp_gt_i32 s35, 24
	s_cbranch_scc0 .LBB166_1525
; %bb.1518:
	v_cndmask_b32_e64 v3, 0, 1.0, s[20:21]
	s_mov_b32 s26, 0x47800000
	v_cmp_gt_u32_e32 vcc, s26, v3
	v_mov_b32_e32 v4, 0x80
	s_and_saveexec_b64 s[26:27], vcc
	s_cbranch_execz .LBB166_1524
; %bb.1519:
	s_mov_b32 s28, 0x37ffffff
	v_cmp_lt_u32_e32 vcc, s28, v3
	s_mov_b64 s[28:29], 0
                                        ; implicit-def: $vgpr2
	s_and_saveexec_b64 s[30:31], vcc
	s_xor_b64 s[30:31], exec, s[30:31]
	s_cbranch_execz .LBB166_1745
; %bb.1520:
	v_bfe_u32 v2, v3, 21, 1
	s_mov_b32 s36, 0x88fffff
	v_add3_u32 v2, v3, v2, s36
	s_mov_b64 s[28:29], exec
	v_lshrrev_b32_e32 v2, 21, v2
                                        ; implicit-def: $vgpr3
	s_andn2_saveexec_b64 s[30:31], s[30:31]
	s_cbranch_execnz .LBB166_1746
.LBB166_1521:
	s_or_b64 exec, exec, s[30:31]
	v_mov_b32_e32 v4, 0
	s_and_saveexec_b64 s[30:31], s[28:29]
.LBB166_1522:
	v_mov_b32_e32 v4, v2
.LBB166_1523:
	s_or_b64 exec, exec, s[30:31]
.LBB166_1524:
	s_or_b64 exec, exec, s[26:27]
	s_mov_b64 s[26:27], 0
	global_store_byte v[0:1], v4, off
.LBB166_1525:
	s_and_b64 vcc, exec, s[26:27]
	s_cbranch_vccz .LBB166_1535
; %bb.1526:
	v_cndmask_b32_e64 v2, 0, 1.0, s[20:21]
	s_mov_b32 s26, 0x43f00000
	v_cmp_gt_u32_e32 vcc, s26, v2
                                        ; implicit-def: $vgpr3
	s_and_saveexec_b64 s[26:27], vcc
	s_xor_b64 s[26:27], exec, s[26:27]
	s_cbranch_execz .LBB166_1532
; %bb.1527:
	s_mov_b32 s28, 0x3c7fffff
	v_cmp_lt_u32_e32 vcc, s28, v2
                                        ; implicit-def: $vgpr3
	s_and_saveexec_b64 s[28:29], vcc
	s_xor_b64 s[28:29], exec, s[28:29]
; %bb.1528:
	v_bfe_u32 v3, v2, 20, 1
	s_mov_b32 s30, 0x407ffff
	v_add3_u32 v2, v2, v3, s30
	v_lshrrev_b32_e32 v3, 20, v2
	v_and_b32_e32 v2, 0xff00000, v2
	s_mov_b32 s30, 0x7f00000
	v_mov_b32_e32 v4, 0x7e
	v_cmp_ne_u32_e32 vcc, s30, v2
	v_cndmask_b32_e32 v3, v4, v3, vcc
                                        ; implicit-def: $vgpr2
; %bb.1529:
	s_andn2_saveexec_b64 s[28:29], s[28:29]
; %bb.1530:
	v_add_f32_e32 v3, 0x46800000, v2
; %bb.1531:
	s_or_b64 exec, exec, s[28:29]
                                        ; implicit-def: $vgpr2
.LBB166_1532:
	s_andn2_saveexec_b64 s[26:27], s[26:27]
; %bb.1533:
	s_mov_b32 s28, 0x7f800000
	v_mov_b32_e32 v3, 0x7e
	v_mov_b32_e32 v4, 0x7f
	v_cmp_lt_u32_e32 vcc, s28, v2
	v_cndmask_b32_e32 v3, v3, v4, vcc
; %bb.1534:
	s_or_b64 exec, exec, s[26:27]
	global_store_byte v[0:1], v3, off
.LBB166_1535:
	s_mov_b64 s[26:27], 0
.LBB166_1536:
	s_andn2_b64 vcc, exec, s[26:27]
	s_cbranch_vccnz .LBB166_1546
; %bb.1537:
	v_cndmask_b32_e64 v2, 0, 1.0, s[20:21]
	s_mov_b32 s26, 0x47800000
	v_cmp_gt_u32_e32 vcc, s26, v2
                                        ; implicit-def: $vgpr3
	s_and_saveexec_b64 s[26:27], vcc
	s_xor_b64 s[26:27], exec, s[26:27]
	s_cbranch_execz .LBB166_1543
; %bb.1538:
	s_mov_b32 s28, 0x387fffff
	v_cmp_lt_u32_e32 vcc, s28, v2
                                        ; implicit-def: $vgpr3
	s_and_saveexec_b64 s[28:29], vcc
	s_xor_b64 s[28:29], exec, s[28:29]
; %bb.1539:
	v_bfe_u32 v3, v2, 21, 1
	s_mov_b32 s30, 0x80fffff
	v_add3_u32 v2, v2, v3, s30
	v_lshrrev_b32_e32 v3, 21, v2
                                        ; implicit-def: $vgpr2
; %bb.1540:
	s_andn2_saveexec_b64 s[28:29], s[28:29]
; %bb.1541:
	v_add_f32_e32 v3, 0x43000000, v2
; %bb.1542:
	s_or_b64 exec, exec, s[28:29]
                                        ; implicit-def: $vgpr2
.LBB166_1543:
	s_andn2_saveexec_b64 s[26:27], s[26:27]
; %bb.1544:
	s_mov_b32 s28, 0x7f800000
	v_mov_b32_e32 v3, 0x7c
	v_mov_b32_e32 v4, 0x7f
	v_cmp_lt_u32_e32 vcc, s28, v2
	v_cndmask_b32_e32 v3, v3, v4, vcc
; %bb.1545:
	s_or_b64 exec, exec, s[26:27]
	global_store_byte v[0:1], v3, off
.LBB166_1546:
	s_mov_b64 s[26:27], 0
.LBB166_1547:
	s_andn2_b64 vcc, exec, s[26:27]
	s_mov_b64 s[26:27], 0
	s_cbranch_vccnz .LBB166_1560
; %bb.1548:
	s_cmp_gt_i32 s35, 14
	s_mov_b64 s[28:29], -1
	s_cbranch_scc0 .LBB166_1552
; %bb.1549:
	s_cmp_eq_u32 s35, 15
	s_mov_b64 s[0:1], -1
	s_cbranch_scc0 .LBB166_1551
; %bb.1550:
	v_cndmask_b32_e64 v2, 0, 1.0, s[20:21]
	v_bfe_u32 v3, v2, 16, 1
	s_movk_i32 s0, 0x7fff
	v_add3_u32 v2, v2, v3, s0
	global_store_short_d16_hi v[0:1], v2, off
	s_mov_b64 s[0:1], 0
.LBB166_1551:
	s_mov_b64 s[28:29], 0
.LBB166_1552:
	s_and_b64 vcc, exec, s[28:29]
	s_cbranch_vccz .LBB166_1560
; %bb.1553:
	s_cmp_lg_u32 s35, 11
	s_cselect_b64 s[28:29], -1, 0
	s_andn2_b64 s[0:1], s[0:1], exec
	s_and_b64 s[28:29], s[28:29], exec
	s_mov_b64 s[26:27], -1
	s_or_b64 s[0:1], s[0:1], s[28:29]
	s_branch .LBB166_1560
.LBB166_1554:
	s_or_b64 exec, exec, s[22:23]
	s_and_saveexec_b64 s[0:1], s[18:19]
	s_cbranch_execnz .LBB166_1561
.LBB166_1555:
	s_or_b64 exec, exec, s[0:1]
	s_and_saveexec_b64 s[0:1], s[30:31]
	s_xor_b64 s[0:1], exec, s[0:1]
	s_cbranch_execz .LBB166_1562
.LBB166_1556:
	v_cndmask_b32_e64 v2, 0, 1, s[20:21]
	global_store_byte v[0:1], v2, off
	s_or_b64 exec, exec, s[0:1]
	s_and_saveexec_b64 s[0:1], s[28:29]
	s_xor_b64 s[0:1], exec, s[0:1]
	s_cbranch_execz .LBB166_1600
	s_branch .LBB166_1563
.LBB166_1557:
	s_mov_b64 s[26:27], 0
	s_mov_b64 s[16:17], -1
	s_mov_b64 s[0:1], s[18:19]
	s_branch .LBB166_1560
.LBB166_1558:
                                        ; implicit-def: $sgpr20_sgpr21
	s_branch .LBB166_1479
.LBB166_1559:
	s_mov_b64 s[26:27], 0
.LBB166_1560:
	s_and_b64 s[28:29], s[16:17], exec
	s_andn2_b64 s[16:17], s[18:19], exec
	s_and_b64 s[0:1], s[0:1], exec
	s_and_b64 s[30:31], s[26:27], exec
	s_or_b64 s[18:19], s[16:17], s[0:1]
	s_or_b64 exec, exec, s[22:23]
	s_and_saveexec_b64 s[0:1], s[18:19]
	s_cbranch_execz .LBB166_1555
.LBB166_1561:
	s_or_b64 s[24:25], s[24:25], exec
	s_andn2_b64 s[30:31], s[30:31], exec
	s_trap 2
	s_or_b64 exec, exec, s[0:1]
	s_and_saveexec_b64 s[0:1], s[30:31]
	s_xor_b64 s[0:1], exec, s[0:1]
	s_cbranch_execnz .LBB166_1556
.LBB166_1562:
	s_or_b64 exec, exec, s[0:1]
	s_and_saveexec_b64 s[0:1], s[28:29]
	s_xor_b64 s[0:1], exec, s[0:1]
	s_cbranch_execz .LBB166_1600
.LBB166_1563:
	s_sext_i32_i16 s18, s34
	s_cmp_lt_i32 s18, 5
	s_mov_b64 s[16:17], -1
	s_cbranch_scc1 .LBB166_1584
; %bb.1564:
	s_cmp_lt_i32 s18, 8
	s_cbranch_scc1 .LBB166_1574
; %bb.1565:
	s_cmp_lt_i32 s18, 9
	s_cbranch_scc1 .LBB166_1571
; %bb.1566:
	s_cmp_gt_i32 s18, 9
	s_cbranch_scc0 .LBB166_1568
; %bb.1567:
	v_cndmask_b32_e64 v2, 0, 1, s[20:21]
	s_waitcnt vmcnt(0)
	v_cvt_f64_u32_e32 v[2:3], v2
	v_mov_b32_e32 v4, 0
	v_mov_b32_e32 v5, v4
	s_mov_b64 s[16:17], 0
	global_store_dwordx4 v[0:1], v[2:5], off
.LBB166_1568:
	s_andn2_b64 vcc, exec, s[16:17]
	s_cbranch_vccnz .LBB166_1570
; %bb.1569:
	v_cndmask_b32_e64 v2, 0, 1.0, s[20:21]
	s_waitcnt vmcnt(0)
	v_mov_b32_e32 v3, 0
	global_store_dwordx2 v[0:1], v[2:3], off
.LBB166_1570:
	s_mov_b64 s[16:17], 0
.LBB166_1571:
	s_andn2_b64 vcc, exec, s[16:17]
	s_cbranch_vccnz .LBB166_1573
; %bb.1572:
	v_cndmask_b32_e64 v2, 0, 1.0, s[20:21]
	v_cvt_f16_f32_e32 v2, v2
	global_store_dword v[0:1], v2, off
.LBB166_1573:
	s_mov_b64 s[16:17], 0
.LBB166_1574:
	s_andn2_b64 vcc, exec, s[16:17]
	s_cbranch_vccnz .LBB166_1583
; %bb.1575:
	s_sext_i32_i16 s18, s34
	s_cmp_lt_i32 s18, 6
	s_mov_b64 s[16:17], -1
	s_cbranch_scc1 .LBB166_1581
; %bb.1576:
	s_cmp_gt_i32 s18, 6
	s_cbranch_scc0 .LBB166_1578
; %bb.1577:
	v_cndmask_b32_e64 v2, 0, 1, s[20:21]
	s_waitcnt vmcnt(0)
	v_cvt_f64_u32_e32 v[2:3], v2
	s_mov_b64 s[16:17], 0
	global_store_dwordx2 v[0:1], v[2:3], off
.LBB166_1578:
	s_andn2_b64 vcc, exec, s[16:17]
	s_cbranch_vccnz .LBB166_1580
; %bb.1579:
	v_cndmask_b32_e64 v2, 0, 1.0, s[20:21]
	global_store_dword v[0:1], v2, off
.LBB166_1580:
	s_mov_b64 s[16:17], 0
.LBB166_1581:
	s_andn2_b64 vcc, exec, s[16:17]
	s_cbranch_vccnz .LBB166_1583
; %bb.1582:
	v_cndmask_b32_e64 v2, 0, 1.0, s[20:21]
	v_cvt_f16_f32_e32 v2, v2
	global_store_short v[0:1], v2, off
.LBB166_1583:
	s_mov_b64 s[16:17], 0
.LBB166_1584:
	s_andn2_b64 vcc, exec, s[16:17]
	s_cbranch_vccnz .LBB166_1600
; %bb.1585:
	s_sext_i32_i16 s18, s34
	s_cmp_lt_i32 s18, 2
	s_mov_b64 s[16:17], -1
	s_cbranch_scc1 .LBB166_1595
; %bb.1586:
	s_cmp_lt_i32 s18, 3
	s_cbranch_scc1 .LBB166_1592
; %bb.1587:
	s_cmp_gt_i32 s18, 3
	s_cbranch_scc0 .LBB166_1589
; %bb.1588:
	s_mov_b32 s16, 0
	v_cndmask_b32_e64 v2, 0, 1, s[20:21]
	s_waitcnt vmcnt(0)
	v_mov_b32_e32 v3, s16
	s_mov_b64 s[16:17], 0
	global_store_dwordx2 v[0:1], v[2:3], off
.LBB166_1589:
	s_andn2_b64 vcc, exec, s[16:17]
	s_cbranch_vccnz .LBB166_1591
; %bb.1590:
	v_cndmask_b32_e64 v2, 0, 1, s[20:21]
	global_store_dword v[0:1], v2, off
.LBB166_1591:
	s_mov_b64 s[16:17], 0
.LBB166_1592:
	s_andn2_b64 vcc, exec, s[16:17]
	s_cbranch_vccnz .LBB166_1594
; %bb.1593:
	v_cndmask_b32_e64 v2, 0, 1, s[20:21]
	global_store_short v[0:1], v2, off
.LBB166_1594:
	s_mov_b64 s[16:17], 0
.LBB166_1595:
	s_andn2_b64 vcc, exec, s[16:17]
	s_cbranch_vccnz .LBB166_1600
; %bb.1596:
	s_sext_i32_i16 s18, s34
	s_mov_b64 s[16:17], -1
	s_cmp_gt_i32 s18, 0
	v_cndmask_b32_e64 v2, 0, 1, s[20:21]
	s_cbranch_scc0 .LBB166_1598
; %bb.1597:
	s_mov_b64 s[16:17], 0
	global_store_byte v[0:1], v2, off
.LBB166_1598:
	s_andn2_b64 vcc, exec, s[16:17]
	s_cbranch_vccnz .LBB166_1600
; %bb.1599:
	global_store_byte v[0:1], v2, off
.LBB166_1600:
	s_or_b64 exec, exec, s[0:1]
	s_and_b64 s[16:17], s[24:25], exec
                                        ; implicit-def: $vgpr2
.LBB166_1601:
	s_or_saveexec_b64 s[6:7], s[6:7]
	s_mov_b64 s[0:1], 0
                                        ; implicit-def: $sgpr20_sgpr21
                                        ; implicit-def: $sgpr28
                                        ; implicit-def: $vgpr0_vgpr1
	s_xor_b64 exec, exec, s[6:7]
	s_cbranch_execz .LBB166_2695
; %bb.1602:
	s_waitcnt vmcnt(0)
	v_mul_lo_u32 v3, s13, v2
	v_mov_b32_e32 v1, s11
	s_and_b32 s30, s57, 0xff
	s_cmp_lt_i32 s30, 11
	v_ashrrev_i32_e32 v4, 31, v3
	v_add_co_u32_e32 v0, vcc, s10, v3
	v_addc_co_u32_e32 v1, vcc, v1, v4, vcc
	s_cbranch_scc1 .LBB166_1609
; %bb.1603:
	s_and_b32 s24, 0xffff, s30
	s_cmp_gt_i32 s24, 25
	s_cbranch_scc0 .LBB166_1611
; %bb.1604:
	s_cmp_gt_i32 s24, 28
	s_cbranch_scc0 .LBB166_1612
; %bb.1605:
	;; [unrolled: 3-line block ×4, first 2 shown]
	s_cmp_eq_u32 s24, 46
	s_mov_b64 s[18:19], 0
	s_cbranch_scc0 .LBB166_1617
; %bb.1608:
	global_load_dword v5, v[0:1], off
	s_mov_b64 s[20:21], -1
	s_waitcnt vmcnt(0)
	v_and_b32_e32 v6, 0xffff0000, v5
	s_branch .LBB166_1618
.LBB166_1609:
	s_mov_b64 s[20:21], 0
                                        ; implicit-def: $vgpr6
                                        ; implicit-def: $vgpr5
	s_mov_b64 s[18:19], s[16:17]
	s_cbranch_execnz .LBB166_1684
.LBB166_1610:
	s_andn2_b64 vcc, exec, s[20:21]
	s_cbranch_vccz .LBB166_1731
	s_branch .LBB166_2692
.LBB166_1611:
	s_mov_b64 s[20:21], 0
                                        ; implicit-def: $vgpr6
                                        ; implicit-def: $vgpr5
	s_cbranch_execnz .LBB166_1648
	s_branch .LBB166_1680
.LBB166_1612:
	s_mov_b64 s[20:21], 0
                                        ; implicit-def: $vgpr6
                                        ; implicit-def: $vgpr5
	s_cbranch_execnz .LBB166_1630
	s_branch .LBB166_1647
.LBB166_1613:
	s_mov_b64 s[18:19], -1
	s_mov_b64 s[20:21], 0
                                        ; implicit-def: $vgpr6
                                        ; implicit-def: $vgpr5
	s_branch .LBB166_1624
.LBB166_1614:
	s_mov_b64 s[18:19], -1
	s_mov_b64 s[20:21], 0
                                        ; implicit-def: $vgpr6
                                        ; implicit-def: $vgpr5
	s_branch .LBB166_1618
.LBB166_1615:
	s_andn2_saveexec_b64 s[28:29], s[28:29]
	s_cbranch_execz .LBB166_1509
.LBB166_1616:
	v_add_f32_e32 v2, 0x46000000, v3
	v_and_b32_e32 v2, 0xff, v2
	v_cmp_ne_u32_e32 vcc, 0, v2
	s_andn2_b64 s[26:27], s[26:27], exec
	s_and_b64 s[30:31], vcc, exec
	s_or_b64 s[26:27], s[26:27], s[30:31]
	s_or_b64 exec, exec, s[28:29]
	v_mov_b32_e32 v4, 0
	s_and_saveexec_b64 s[28:29], s[26:27]
	s_cbranch_execnz .LBB166_1510
	s_branch .LBB166_1511
.LBB166_1617:
	s_mov_b64 s[0:1], -1
                                        ; implicit-def: $vgpr6
                                        ; implicit-def: $vgpr5
	s_mov_b64 s[20:21], 0
.LBB166_1618:
	s_and_b64 vcc, exec, s[18:19]
	s_cbranch_vccz .LBB166_1623
; %bb.1619:
	s_cmp_eq_u32 s24, 44
	s_cbranch_scc0 .LBB166_1621
; %bb.1620:
	global_load_ubyte v4, v[0:1], off
	s_movk_i32 s18, 0xff
	v_mov_b32_e32 v5, 0x7f800001
	v_mov_b32_e32 v6, 0x400000
	;; [unrolled: 1-line block ×3, first 2 shown]
	s_mov_b64 s[0:1], 0
	s_mov_b64 s[20:21], -1
	s_waitcnt vmcnt(0)
	v_lshlrev_b32_e32 v8, 23, v4
	v_cmp_ne_u32_e32 vcc, s18, v4
	v_cndmask_b32_e32 v5, v5, v8, vcc
	v_cmp_ne_u32_e32 vcc, 0, v4
	v_cndmask_b32_e32 v4, v6, v5, vcc
	v_add_u32_e32 v5, 0x7fff, v4
	v_cmp_o_f32_e32 vcc, v4, v4
	v_cndmask_b32_sdwa v5, v7, v5, vcc dst_sel:DWORD dst_unused:UNUSED_PAD src0_sel:DWORD src1_sel:WORD_1
	s_branch .LBB166_1622
.LBB166_1621:
	s_mov_b64 s[0:1], -1
                                        ; implicit-def: $vgpr5
.LBB166_1622:
	v_mov_b32_e32 v6, 0
.LBB166_1623:
	s_mov_b64 s[18:19], 0
.LBB166_1624:
	s_and_b64 vcc, exec, s[18:19]
	s_cbranch_vccz .LBB166_1629
; %bb.1625:
	s_cmp_eq_u32 s24, 29
	s_cbranch_scc0 .LBB166_1627
; %bb.1626:
	global_load_dwordx2 v[4:5], v[0:1], off
	s_movk_i32 s18, 0x7fff
	s_mov_b64 s[0:1], 0
	s_mov_b64 s[20:21], -1
	s_waitcnt vmcnt(0)
	v_ffbh_u32_e32 v6, v5
	v_min_u32_e32 v6, 32, v6
	v_lshlrev_b64 v[4:5], v6, v[4:5]
	v_min_u32_e32 v4, 1, v4
	v_or_b32_e32 v4, v5, v4
	v_cvt_f32_u32_e32 v4, v4
	v_sub_u32_e32 v5, 32, v6
	v_ldexp_f32 v4, v4, v5
	v_bfe_u32 v5, v4, 16, 1
	v_add3_u32 v4, v4, v5, s18
	v_lshrrev_b32_e32 v5, 16, v4
	s_branch .LBB166_1628
.LBB166_1627:
	s_mov_b64 s[0:1], -1
                                        ; implicit-def: $vgpr5
.LBB166_1628:
	v_mov_b32_e32 v6, 0
.LBB166_1629:
	s_branch .LBB166_1647
.LBB166_1630:
	s_cmp_lt_i32 s24, 27
	s_cbranch_scc1 .LBB166_1633
; %bb.1631:
	s_cmp_gt_i32 s24, 27
	s_cbranch_scc0 .LBB166_1634
; %bb.1632:
	global_load_dword v4, v[0:1], off
	s_movk_i32 s18, 0x7fff
	s_waitcnt vmcnt(0)
	v_cvt_f32_u32_e32 v4, v4
	v_bfe_u32 v5, v4, 16, 1
	v_add3_u32 v4, v4, v5, s18
	v_lshrrev_b32_e32 v5, 16, v4
	s_mov_b64 s[18:19], 0
	s_branch .LBB166_1635
.LBB166_1633:
	s_mov_b64 s[18:19], -1
                                        ; implicit-def: $vgpr5
	s_branch .LBB166_1638
.LBB166_1634:
	s_mov_b64 s[18:19], -1
                                        ; implicit-def: $vgpr5
.LBB166_1635:
	s_andn2_b64 vcc, exec, s[18:19]
	s_cbranch_vccnz .LBB166_1637
; %bb.1636:
	global_load_ushort v4, v[0:1], off
	s_movk_i32 s18, 0x7fff
	s_waitcnt vmcnt(0)
	v_cvt_f32_u32_e32 v4, v4
	v_bfe_u32 v5, v4, 16, 1
	v_add3_u32 v4, v4, v5, s18
	v_lshrrev_b32_e32 v5, 16, v4
.LBB166_1637:
	s_mov_b64 s[18:19], 0
.LBB166_1638:
	s_andn2_b64 vcc, exec, s[18:19]
	s_cbranch_vccnz .LBB166_1646
; %bb.1639:
	global_load_ubyte v4, v[0:1], off
	s_movk_i32 s18, 0x7f
	s_waitcnt vmcnt(0)
	v_cmp_lt_i16_e32 vcc, s18, v4
	s_mov_b64 s[18:19], 0
	s_and_saveexec_b64 s[20:21], vcc
	s_xor_b64 s[20:21], exec, s[20:21]
	s_cbranch_execz .LBB166_1659
; %bb.1640:
	s_movk_i32 s18, 0x80
	v_cmp_eq_u16_e32 vcc, s18, v4
	s_mov_b64 s[18:19], -1
	s_and_saveexec_b64 s[22:23], vcc
; %bb.1641:
	s_xor_b64 s[18:19], exec, -1
; %bb.1642:
	s_or_b64 exec, exec, s[22:23]
	s_and_b64 s[18:19], s[18:19], exec
	s_or_saveexec_b64 s[20:21], s[20:21]
	v_mov_b32_e32 v5, 0x7f800001
	s_xor_b64 exec, exec, s[20:21]
	s_cbranch_execnz .LBB166_1660
.LBB166_1643:
	s_or_b64 exec, exec, s[20:21]
	s_and_saveexec_b64 s[20:21], s[18:19]
	s_cbranch_execz .LBB166_1645
.LBB166_1644:
	v_lshlrev_b32_e32 v5, 24, v4
	v_and_b32_e32 v4, 0xffff, v4
	v_and_b32_e32 v6, 7, v4
	v_ffbh_u32_e32 v8, v6
	v_min_u32_e32 v8, 32, v8
	v_subrev_u32_e32 v9, 28, v8
	v_bfe_u32 v7, v4, 3, 4
	v_lshlrev_b32_e32 v4, v9, v4
	v_sub_u32_e32 v8, 29, v8
	v_and_b32_e32 v4, 7, v4
	v_cmp_eq_u32_e32 vcc, 0, v7
	v_cndmask_b32_e32 v7, v7, v8, vcc
	v_cndmask_b32_e32 v4, v6, v4, vcc
	v_mov_b32_e32 v6, 0x3b800000
	v_lshlrev_b32_e32 v4, 20, v4
	v_and_b32_e32 v5, 0x80000000, v5
	v_lshl_add_u32 v6, v7, 23, v6
	v_or3_b32 v5, v5, v6, v4
.LBB166_1645:
	s_or_b64 exec, exec, s[20:21]
	v_bfe_u32 v4, v5, 16, 1
	s_movk_i32 s18, 0x7fff
	v_add3_u32 v4, v5, v4, s18
	v_cmp_o_f32_e32 vcc, v5, v5
	v_mov_b32_e32 v5, 0x7fc0
	v_cndmask_b32_sdwa v5, v5, v4, vcc dst_sel:DWORD dst_unused:UNUSED_PAD src0_sel:DWORD src1_sel:WORD_1
.LBB166_1646:
	s_mov_b64 s[20:21], -1
	v_mov_b32_e32 v6, 0
.LBB166_1647:
	s_branch .LBB166_1680
.LBB166_1648:
	s_cmp_gt_i32 s24, 22
	s_cbranch_scc0 .LBB166_1658
; %bb.1649:
	s_cmp_lt_i32 s24, 24
	s_cbranch_scc1 .LBB166_1661
; %bb.1650:
	s_cmp_gt_i32 s24, 24
	s_cbranch_scc0 .LBB166_1662
; %bb.1651:
	global_load_ubyte v4, v[0:1], off
	s_movk_i32 s4, 0x7f
	s_waitcnt vmcnt(0)
	v_cmp_lt_i16_e32 vcc, s4, v4
	s_mov_b64 s[4:5], 0
	s_and_saveexec_b64 s[18:19], vcc
	s_xor_b64 s[18:19], exec, s[18:19]
	s_cbranch_execz .LBB166_1673
; %bb.1652:
	s_movk_i32 s4, 0x80
	v_cmp_eq_u16_e32 vcc, s4, v4
	s_mov_b64 s[4:5], -1
	s_and_saveexec_b64 s[20:21], vcc
; %bb.1653:
	s_xor_b64 s[4:5], exec, -1
; %bb.1654:
	s_or_b64 exec, exec, s[20:21]
	s_and_b64 s[4:5], s[4:5], exec
	s_or_saveexec_b64 s[18:19], s[18:19]
	v_mov_b32_e32 v5, 0x7f800001
	s_xor_b64 exec, exec, s[18:19]
	s_cbranch_execnz .LBB166_1674
.LBB166_1655:
	s_or_b64 exec, exec, s[18:19]
	s_and_saveexec_b64 s[18:19], s[4:5]
	s_cbranch_execz .LBB166_1657
.LBB166_1656:
	v_lshlrev_b32_e32 v5, 24, v4
	v_and_b32_e32 v4, 0xffff, v4
	v_and_b32_e32 v6, 3, v4
	v_ffbh_u32_e32 v8, v6
	v_min_u32_e32 v8, 32, v8
	v_subrev_u32_e32 v9, 29, v8
	v_bfe_u32 v7, v4, 2, 5
	v_lshlrev_b32_e32 v4, v9, v4
	v_sub_u32_e32 v8, 30, v8
	v_and_b32_e32 v4, 3, v4
	v_cmp_eq_u32_e32 vcc, 0, v7
	v_cndmask_b32_e32 v7, v7, v8, vcc
	v_cndmask_b32_e32 v4, v6, v4, vcc
	v_mov_b32_e32 v6, 0x37800000
	v_lshlrev_b32_e32 v4, 21, v4
	v_and_b32_e32 v5, 0x80000000, v5
	v_lshl_add_u32 v6, v7, 23, v6
	v_or3_b32 v5, v5, v6, v4
.LBB166_1657:
	s_or_b64 exec, exec, s[18:19]
	v_bfe_u32 v4, v5, 16, 1
	s_movk_i32 s4, 0x7fff
	v_add3_u32 v4, v5, v4, s4
	v_cmp_o_f32_e32 vcc, v5, v5
	v_mov_b32_e32 v5, 0x7fc0
	v_cndmask_b32_sdwa v5, v5, v4, vcc dst_sel:DWORD dst_unused:UNUSED_PAD src0_sel:DWORD src1_sel:WORD_1
	s_mov_b64 s[4:5], 0
	s_branch .LBB166_1663
.LBB166_1658:
                                        ; implicit-def: $vgpr5
	s_mov_b64 s[4:5], 0
	s_branch .LBB166_1669
.LBB166_1659:
	s_or_saveexec_b64 s[20:21], s[20:21]
	v_mov_b32_e32 v5, 0x7f800001
	s_xor_b64 exec, exec, s[20:21]
	s_cbranch_execz .LBB166_1643
.LBB166_1660:
	v_cmp_ne_u16_e32 vcc, 0, v4
	s_andn2_b64 s[18:19], s[18:19], exec
	s_and_b64 s[22:23], vcc, exec
	v_mov_b32_e32 v5, 0
	s_or_b64 s[18:19], s[18:19], s[22:23]
	s_or_b64 exec, exec, s[20:21]
	s_and_saveexec_b64 s[20:21], s[18:19]
	s_cbranch_execnz .LBB166_1644
	s_branch .LBB166_1645
.LBB166_1661:
	s_mov_b64 s[4:5], -1
                                        ; implicit-def: $vgpr5
	s_branch .LBB166_1666
.LBB166_1662:
	s_mov_b64 s[4:5], -1
                                        ; implicit-def: $vgpr5
.LBB166_1663:
	s_and_b64 vcc, exec, s[4:5]
	s_cbranch_vccz .LBB166_1665
; %bb.1664:
	global_load_ubyte v4, v[0:1], off
	s_mov_b32 s4, 0x7f800000
	s_brev_b32 s5, 1
	s_movk_i32 s18, 0x7fff
	s_waitcnt vmcnt(0)
	v_lshlrev_b32_e32 v4, 24, v4
	v_and_b32_e32 v5, 0x7f000000, v4
	v_ffbh_u32_e32 v6, v5
	v_min_u32_e32 v6, 32, v6
	v_sub_u32_e64 v6, v6, 4 clamp
	v_lshlrev_b32_e32 v8, v6, v5
	v_lshlrev_b32_e32 v6, 23, v6
	v_lshrrev_b32_e32 v8, 4, v8
	v_add_u32_e32 v7, 0x1000000, v5
	v_sub_u32_e32 v6, v8, v6
	v_ashrrev_i32_e32 v7, 8, v7
	v_add_u32_e32 v6, 0x3c000000, v6
	v_and_or_b32 v6, v7, s4, v6
	v_cmp_ne_u32_e32 vcc, 0, v5
	v_cndmask_b32_e32 v5, 0, v6, vcc
	v_and_or_b32 v4, v4, s5, v5
	v_bfe_u32 v5, v5, 16, 1
	v_add3_u32 v5, v4, v5, s18
	v_cmp_o_f32_e32 vcc, v4, v4
	v_mov_b32_e32 v4, 0x7fc0
	v_cndmask_b32_sdwa v5, v4, v5, vcc dst_sel:DWORD dst_unused:UNUSED_PAD src0_sel:DWORD src1_sel:WORD_1
.LBB166_1665:
	s_mov_b64 s[4:5], 0
.LBB166_1666:
	s_andn2_b64 vcc, exec, s[4:5]
	s_cbranch_vccnz .LBB166_1668
; %bb.1667:
	global_load_ubyte v4, v[0:1], off
	s_movk_i32 s4, 0x7f00
	s_brev_b32 s5, 16
	s_brev_b32 s18, 1
	s_movk_i32 s19, 0x7fff
	s_waitcnt vmcnt(0)
	v_lshlrev_b16_e32 v5, 8, v4
	v_lshlrev_b32_e32 v4, 25, v4
	v_lshrrev_b32_e32 v6, 4, v4
	v_and_or_b32 v7, v5, s4, 0.5
	v_or_b32_e32 v6, 0x70000000, v6
	v_add_f32_e32 v7, -0.5, v7
	v_mul_f32_e32 v6, 0x7800000, v6
	v_cmp_gt_u32_e32 vcc, s5, v4
	v_bfe_i32 v5, v5, 0, 16
	v_cndmask_b32_e32 v4, v6, v7, vcc
	v_and_or_b32 v5, v5, s18, v4
	v_bfe_u32 v4, v4, 16, 1
	v_add3_u32 v4, v5, v4, s19
	v_cmp_o_f32_e32 vcc, v5, v5
	v_mov_b32_e32 v5, 0x7fc0
	v_cndmask_b32_sdwa v5, v5, v4, vcc dst_sel:DWORD dst_unused:UNUSED_PAD src0_sel:DWORD src1_sel:WORD_1
.LBB166_1668:
	s_mov_b64 s[20:21], -1
	s_mov_b64 s[4:5], 0
	s_cbranch_execnz .LBB166_1679
.LBB166_1669:
	s_cmp_gt_i32 s24, 14
	s_cbranch_scc0 .LBB166_1672
; %bb.1670:
	s_cmp_eq_u32 s24, 15
	s_cbranch_scc0 .LBB166_1675
; %bb.1671:
	global_load_ushort v5, v[0:1], off
	s_mov_b64 s[0:1], 0
	s_mov_b64 s[20:21], -1
	s_branch .LBB166_1676
.LBB166_1672:
	s_mov_b64 s[18:19], -1
                                        ; implicit-def: $vgpr5
	s_branch .LBB166_1677
.LBB166_1673:
	s_or_saveexec_b64 s[18:19], s[18:19]
	v_mov_b32_e32 v5, 0x7f800001
	s_xor_b64 exec, exec, s[18:19]
	s_cbranch_execz .LBB166_1655
.LBB166_1674:
	v_cmp_ne_u16_e32 vcc, 0, v4
	s_andn2_b64 s[4:5], s[4:5], exec
	s_and_b64 s[20:21], vcc, exec
	v_mov_b32_e32 v5, 0
	s_or_b64 s[4:5], s[4:5], s[20:21]
	s_or_b64 exec, exec, s[18:19]
	s_and_saveexec_b64 s[18:19], s[4:5]
	s_cbranch_execnz .LBB166_1656
	s_branch .LBB166_1657
.LBB166_1675:
	s_mov_b64 s[0:1], -1
                                        ; implicit-def: $vgpr5
.LBB166_1676:
	s_mov_b64 s[18:19], 0
.LBB166_1677:
	s_and_b64 vcc, exec, s[18:19]
	s_cbranch_vccz .LBB166_1679
; %bb.1678:
	s_cmp_lg_u32 s24, 11
	s_mov_b64 s[4:5], -1
	s_cselect_b64 s[0:1], -1, 0
.LBB166_1679:
	v_mov_b32_e32 v6, 0
.LBB166_1680:
	s_and_b64 vcc, exec, s[0:1]
	s_mov_b64 s[18:19], s[16:17]
	s_cbranch_vccnz .LBB166_1743
; %bb.1681:
	s_andn2_b64 vcc, exec, s[4:5]
	s_cbranch_vccnz .LBB166_1683
.LBB166_1682:
	global_load_ubyte v4, v[0:1], off
	s_mov_b64 s[20:21], -1
	v_mov_b32_e32 v6, 0
	s_waitcnt vmcnt(0)
	v_cmp_ne_u16_e32 vcc, 0, v4
	v_cndmask_b32_e64 v4, 0, 1.0, vcc
	v_lshrrev_b32_e32 v5, 16, v4
.LBB166_1683:
	s_branch .LBB166_1610
.LBB166_1684:
	s_and_b32 s4, 0xffff, s30
	s_cmp_lt_i32 s4, 5
	s_cbranch_scc1 .LBB166_1689
; %bb.1685:
	s_cmp_lt_i32 s4, 8
	s_cbranch_scc1 .LBB166_1691
; %bb.1686:
	;; [unrolled: 3-line block ×3, first 2 shown]
	s_cmp_gt_i32 s4, 9
	s_cbranch_scc0 .LBB166_1693
; %bb.1688:
	global_load_dwordx4 v[4:7], v[0:1], off
	s_movk_i32 s0, 0x7fff
	s_waitcnt vmcnt(0)
	v_cvt_f32_f64_e32 v4, v[4:5]
	v_cvt_f32_f64_e32 v6, v[6:7]
	v_mov_b32_e32 v5, 0x7fc0
	v_mov_b32_e32 v7, 0x7fc00000
	v_bfe_u32 v8, v4, 16, 1
	v_bfe_u32 v9, v6, 16, 1
	v_cmp_o_f32_e32 vcc, v4, v4
	v_add3_u32 v4, v4, v8, s0
	v_add3_u32 v8, v6, v9, s0
	v_cndmask_b32_sdwa v5, v5, v4, vcc dst_sel:DWORD dst_unused:UNUSED_PAD src0_sel:DWORD src1_sel:WORD_1
	v_and_b32_e32 v4, 0xffff0000, v8
	v_cmp_o_f32_e32 vcc, v6, v6
	v_cndmask_b32_e32 v6, v7, v4, vcc
	s_mov_b64 s[0:1], 0
	s_branch .LBB166_1694
.LBB166_1689:
                                        ; implicit-def: $vgpr6
                                        ; implicit-def: $vgpr5
	s_branch .LBB166_1712
.LBB166_1690:
	s_branch .LBB166_1731
.LBB166_1691:
                                        ; implicit-def: $vgpr6
                                        ; implicit-def: $vgpr5
	s_branch .LBB166_1700
.LBB166_1692:
	s_mov_b64 s[0:1], -1
                                        ; implicit-def: $vgpr6
                                        ; implicit-def: $vgpr5
	s_branch .LBB166_1697
.LBB166_1693:
	s_mov_b64 s[0:1], -1
                                        ; implicit-def: $vgpr6
                                        ; implicit-def: $vgpr5
.LBB166_1694:
	s_andn2_b64 vcc, exec, s[0:1]
	s_cbranch_vccnz .LBB166_1696
; %bb.1695:
	global_load_dwordx2 v[5:6], v[0:1], off
	s_movk_i32 s0, 0x7fff
	v_mov_b32_e32 v4, 0x7fc0
	v_mov_b32_e32 v7, 0x7fc00000
	s_waitcnt vmcnt(0)
	v_bfe_u32 v8, v5, 16, 1
	v_bfe_u32 v9, v6, 16, 1
	v_cmp_o_f32_e32 vcc, v5, v5
	v_add3_u32 v5, v5, v8, s0
	v_add3_u32 v8, v6, v9, s0
	v_cndmask_b32_sdwa v5, v4, v5, vcc dst_sel:DWORD dst_unused:UNUSED_PAD src0_sel:DWORD src1_sel:WORD_1
	v_and_b32_e32 v4, 0xffff0000, v8
	v_cmp_o_f32_e32 vcc, v6, v6
	v_cndmask_b32_e32 v6, v7, v4, vcc
.LBB166_1696:
	s_mov_b64 s[0:1], 0
.LBB166_1697:
	s_andn2_b64 vcc, exec, s[0:1]
	s_cbranch_vccnz .LBB166_1699
; %bb.1698:
	global_load_dword v4, v[0:1], off
	s_movk_i32 s0, 0x7fff
	s_waitcnt vmcnt(1)
	v_mov_b32_e32 v5, 0x7fc0
	v_mov_b32_e32 v8, 0x7fc00000
	s_waitcnt vmcnt(0)
	v_cvt_f32_f16_e32 v6, v4
	v_cvt_f32_f16_sdwa v7, v4 dst_sel:DWORD dst_unused:UNUSED_PAD src0_sel:WORD_1
	v_cmp_o_f16_e32 vcc, v4, v4
	v_bfe_u32 v9, v6, 16, 1
	v_bfe_u32 v10, v7, 16, 1
	v_add3_u32 v6, v6, v9, s0
	v_add3_u32 v7, v7, v10, s0
	v_cndmask_b32_sdwa v5, v5, v6, vcc dst_sel:DWORD dst_unused:UNUSED_PAD src0_sel:DWORD src1_sel:WORD_1
	v_and_b32_e32 v6, 0xffff0000, v7
	v_cmp_o_f16_sdwa vcc, v4, v4 src0_sel:WORD_1 src1_sel:WORD_1
	v_cndmask_b32_e32 v6, v8, v6, vcc
.LBB166_1699:
	s_cbranch_execnz .LBB166_1711
.LBB166_1700:
	s_cmp_lt_i32 s4, 6
	s_cbranch_scc1 .LBB166_1703
; %bb.1701:
	s_cmp_gt_i32 s4, 6
	s_cbranch_scc0 .LBB166_1704
; %bb.1702:
	global_load_dwordx2 v[4:5], v[0:1], off
	s_movk_i32 s0, 0x7fff
	s_waitcnt vmcnt(0)
	v_cvt_f32_f64_e32 v4, v[4:5]
	v_mov_b32_e32 v5, 0x7fc0
	v_bfe_u32 v6, v4, 16, 1
	v_cmp_o_f32_e32 vcc, v4, v4
	v_add3_u32 v4, v4, v6, s0
	v_cndmask_b32_sdwa v5, v5, v4, vcc dst_sel:DWORD dst_unused:UNUSED_PAD src0_sel:DWORD src1_sel:WORD_1
	s_mov_b64 s[0:1], 0
	s_branch .LBB166_1705
.LBB166_1703:
	s_mov_b64 s[0:1], -1
                                        ; implicit-def: $vgpr5
	s_branch .LBB166_1708
.LBB166_1704:
	s_mov_b64 s[0:1], -1
                                        ; implicit-def: $vgpr5
.LBB166_1705:
	s_andn2_b64 vcc, exec, s[0:1]
	s_cbranch_vccnz .LBB166_1707
; %bb.1706:
	global_load_dword v4, v[0:1], off
	s_movk_i32 s0, 0x7fff
	s_waitcnt vmcnt(1)
	v_mov_b32_e32 v5, 0x7fc0
	s_waitcnt vmcnt(0)
	v_bfe_u32 v6, v4, 16, 1
	v_cmp_o_f32_e32 vcc, v4, v4
	v_add3_u32 v4, v4, v6, s0
	v_cndmask_b32_sdwa v5, v5, v4, vcc dst_sel:DWORD dst_unused:UNUSED_PAD src0_sel:DWORD src1_sel:WORD_1
.LBB166_1707:
	s_mov_b64 s[0:1], 0
.LBB166_1708:
	s_andn2_b64 vcc, exec, s[0:1]
	s_cbranch_vccnz .LBB166_1710
; %bb.1709:
	global_load_ushort v4, v[0:1], off
	s_movk_i32 s0, 0x7fff
	v_mov_b32_e32 v6, 0x7fc0
	s_waitcnt vmcnt(0)
	v_cvt_f32_f16_e32 v5, v4
	v_cmp_o_f16_e32 vcc, v4, v4
	v_bfe_u32 v4, v5, 16, 1
	v_add3_u32 v4, v5, v4, s0
	v_cndmask_b32_sdwa v5, v6, v4, vcc dst_sel:DWORD dst_unused:UNUSED_PAD src0_sel:DWORD src1_sel:WORD_1
.LBB166_1710:
	v_mov_b32_e32 v6, 0
.LBB166_1711:
	s_cbranch_execnz .LBB166_1690
.LBB166_1712:
	s_cmp_lt_i32 s4, 2
	s_cbranch_scc1 .LBB166_1716
; %bb.1713:
	s_cmp_lt_i32 s4, 3
	s_cbranch_scc1 .LBB166_1717
; %bb.1714:
	s_cmp_gt_i32 s4, 3
	s_cbranch_scc0 .LBB166_1718
; %bb.1715:
	global_load_dwordx2 v[4:5], v[0:1], off
	s_movk_i32 s0, 0x7fff
	s_waitcnt vmcnt(0)
	v_xor_b32_e32 v7, v4, v5
	v_ffbh_i32_e32 v6, v5
	v_ashrrev_i32_e32 v7, 31, v7
	v_add_u32_e32 v6, -1, v6
	v_add_u32_e32 v7, 32, v7
	v_min_u32_e32 v6, v6, v7
	v_lshlrev_b64 v[4:5], v6, v[4:5]
	v_min_u32_e32 v4, 1, v4
	v_or_b32_e32 v4, v5, v4
	v_cvt_f32_i32_e32 v4, v4
	v_sub_u32_e32 v5, 32, v6
	v_ldexp_f32 v4, v4, v5
	v_bfe_u32 v5, v4, 16, 1
	v_add3_u32 v4, v4, v5, s0
	v_lshrrev_b32_e32 v5, 16, v4
	s_mov_b64 s[0:1], 0
	s_branch .LBB166_1719
.LBB166_1716:
                                        ; implicit-def: $vgpr5
	s_branch .LBB166_1725
.LBB166_1717:
	s_mov_b64 s[0:1], -1
                                        ; implicit-def: $vgpr5
	s_branch .LBB166_1722
.LBB166_1718:
	s_mov_b64 s[0:1], -1
                                        ; implicit-def: $vgpr5
.LBB166_1719:
	s_andn2_b64 vcc, exec, s[0:1]
	s_cbranch_vccnz .LBB166_1721
; %bb.1720:
	global_load_dword v4, v[0:1], off
	s_movk_i32 s0, 0x7fff
	s_waitcnt vmcnt(0)
	v_cvt_f32_i32_e32 v4, v4
	v_bfe_u32 v5, v4, 16, 1
	v_add3_u32 v4, v4, v5, s0
	v_lshrrev_b32_e32 v5, 16, v4
.LBB166_1721:
	s_mov_b64 s[0:1], 0
.LBB166_1722:
	s_andn2_b64 vcc, exec, s[0:1]
	s_cbranch_vccnz .LBB166_1724
; %bb.1723:
	global_load_sshort v4, v[0:1], off
	s_movk_i32 s0, 0x7fff
	s_waitcnt vmcnt(0)
	v_cvt_f32_i32_e32 v4, v4
	v_bfe_u32 v5, v4, 16, 1
	v_add3_u32 v4, v4, v5, s0
	v_lshrrev_b32_e32 v5, 16, v4
.LBB166_1724:
	s_cbranch_execnz .LBB166_1730
.LBB166_1725:
	s_cmp_gt_i32 s4, 0
	s_cbranch_scc0 .LBB166_1727
; %bb.1726:
	global_load_sbyte v4, v[0:1], off
	s_movk_i32 s0, 0x7fff
	s_waitcnt vmcnt(0)
	v_cvt_f32_i32_e32 v4, v4
	v_bfe_u32 v5, v4, 16, 1
	v_add3_u32 v4, v4, v5, s0
	v_lshrrev_b32_e32 v5, 16, v4
	s_mov_b64 s[0:1], 0
	s_branch .LBB166_1728
.LBB166_1727:
	s_mov_b64 s[0:1], -1
                                        ; implicit-def: $vgpr5
.LBB166_1728:
	s_andn2_b64 vcc, exec, s[0:1]
	s_cbranch_vccnz .LBB166_1730
; %bb.1729:
	global_load_ubyte v0, v[0:1], off
	s_movk_i32 s0, 0x7fff
	s_waitcnt vmcnt(0)
	v_cvt_f32_ubyte0_e32 v0, v0
	v_bfe_u32 v1, v0, 16, 1
	v_add3_u32 v0, v0, v1, s0
	v_lshrrev_b32_e32 v5, 16, v0
.LBB166_1730:
	v_mov_b32_e32 v6, 0
.LBB166_1731:
	v_mul_lo_u32 v4, s14, v2
	v_mov_b32_e32 v1, s3
	s_and_b32 s31, s56, 0xff
	s_cmp_lt_i32 s31, 11
	v_ashrrev_i32_e32 v7, 31, v4
	v_add_co_u32_e32 v0, vcc, s2, v4
	v_addc_co_u32_e32 v1, vcc, v1, v7, vcc
	s_cbranch_scc1 .LBB166_1738
; %bb.1732:
	s_and_b32 s26, 0xffff, s31
	s_cmp_gt_i32 s26, 25
	s_mov_b64 s[4:5], 0
	s_cbranch_scc0 .LBB166_1740
; %bb.1733:
	s_cmp_gt_i32 s26, 28
	s_cbranch_scc0 .LBB166_1741
; %bb.1734:
	s_cmp_gt_i32 s26, 43
	;; [unrolled: 3-line block ×3, first 2 shown]
	s_cbranch_scc0 .LBB166_1744
; %bb.1736:
	s_cmp_eq_u32 s26, 46
	s_mov_b64 s[22:23], 0
	s_cbranch_scc0 .LBB166_1747
; %bb.1737:
	global_load_dword v7, v[0:1], off
	s_mov_b64 s[0:1], 0
	s_mov_b64 s[20:21], -1
	s_waitcnt vmcnt(0)
	v_and_b32_e32 v8, 0xffff0000, v7
	s_branch .LBB166_1748
.LBB166_1738:
	s_mov_b64 s[20:21], 0
                                        ; implicit-def: $vgpr8
                                        ; implicit-def: $vgpr7
	s_cbranch_execnz .LBB166_1816
.LBB166_1739:
	s_andn2_b64 vcc, exec, s[20:21]
	s_cbranch_vccnz .LBB166_2692
	s_branch .LBB166_1865
.LBB166_1740:
	s_mov_b64 s[20:21], 0
	s_mov_b64 s[0:1], 0
                                        ; implicit-def: $vgpr8
                                        ; implicit-def: $vgpr7
	s_cbranch_execnz .LBB166_1779
	s_branch .LBB166_1812
.LBB166_1741:
	s_mov_b64 s[22:23], -1
	s_mov_b64 s[20:21], 0
	s_mov_b64 s[0:1], 0
                                        ; implicit-def: $vgpr8
                                        ; implicit-def: $vgpr7
	s_branch .LBB166_1760
.LBB166_1742:
	s_mov_b64 s[22:23], -1
	s_mov_b64 s[20:21], 0
	s_mov_b64 s[0:1], 0
                                        ; implicit-def: $vgpr8
                                        ; implicit-def: $vgpr7
	s_branch .LBB166_1754
.LBB166_1743:
	s_trap 2
	s_or_b64 s[18:19], s[16:17], exec
	s_cbranch_execz .LBB166_1682
	s_branch .LBB166_1683
.LBB166_1744:
	s_mov_b64 s[22:23], -1
	s_mov_b64 s[20:21], 0
	s_mov_b64 s[0:1], 0
                                        ; implicit-def: $vgpr8
                                        ; implicit-def: $vgpr7
	s_branch .LBB166_1748
.LBB166_1745:
	s_andn2_saveexec_b64 s[30:31], s[30:31]
	s_cbranch_execz .LBB166_1521
.LBB166_1746:
	v_add_f32_e32 v2, 0x42800000, v3
	v_and_b32_e32 v2, 0xff, v2
	v_cmp_ne_u32_e32 vcc, 0, v2
	s_andn2_b64 s[28:29], s[28:29], exec
	s_and_b64 s[36:37], vcc, exec
	s_or_b64 s[28:29], s[28:29], s[36:37]
	s_or_b64 exec, exec, s[30:31]
	v_mov_b32_e32 v4, 0
	s_and_saveexec_b64 s[30:31], s[28:29]
	s_cbranch_execnz .LBB166_1522
	s_branch .LBB166_1523
.LBB166_1747:
	s_mov_b64 s[0:1], -1
                                        ; implicit-def: $vgpr8
                                        ; implicit-def: $vgpr7
	s_mov_b64 s[20:21], 0
.LBB166_1748:
	s_and_b64 vcc, exec, s[22:23]
	s_cbranch_vccz .LBB166_1753
; %bb.1749:
	s_cmp_eq_u32 s26, 44
	s_cbranch_scc0 .LBB166_1751
; %bb.1750:
	global_load_ubyte v7, v[0:1], off
	s_movk_i32 s20, 0xff
	v_mov_b32_e32 v8, 0x7f800001
	v_mov_b32_e32 v9, 0x400000
	;; [unrolled: 1-line block ×3, first 2 shown]
	s_mov_b64 s[0:1], 0
	s_waitcnt vmcnt(0)
	v_lshlrev_b32_e32 v11, 23, v7
	v_cmp_ne_u32_e32 vcc, s20, v7
	v_cndmask_b32_e32 v8, v8, v11, vcc
	v_cmp_ne_u32_e32 vcc, 0, v7
	v_cndmask_b32_e32 v7, v9, v8, vcc
	v_add_u32_e32 v8, 0x7fff, v7
	v_cmp_o_f32_e32 vcc, v7, v7
	v_cndmask_b32_sdwa v7, v10, v8, vcc dst_sel:DWORD dst_unused:UNUSED_PAD src0_sel:DWORD src1_sel:WORD_1
	s_mov_b64 s[20:21], -1
	s_branch .LBB166_1752
.LBB166_1751:
	s_mov_b64 s[0:1], -1
                                        ; implicit-def: $vgpr7
.LBB166_1752:
	v_mov_b32_e32 v8, 0
.LBB166_1753:
	s_mov_b64 s[22:23], 0
.LBB166_1754:
	s_and_b64 vcc, exec, s[22:23]
	s_cbranch_vccz .LBB166_1759
; %bb.1755:
	s_cmp_eq_u32 s26, 29
	s_cbranch_scc0 .LBB166_1757
; %bb.1756:
	global_load_dwordx2 v[7:8], v[0:1], off
	s_movk_i32 s20, 0x7fff
	s_mov_b64 s[0:1], 0
	s_waitcnt vmcnt(0)
	v_ffbh_u32_e32 v9, v8
	v_min_u32_e32 v9, 32, v9
	v_lshlrev_b64 v[7:8], v9, v[7:8]
	v_min_u32_e32 v7, 1, v7
	v_or_b32_e32 v7, v8, v7
	v_cvt_f32_u32_e32 v7, v7
	v_sub_u32_e32 v8, 32, v9
	v_ldexp_f32 v7, v7, v8
	v_bfe_u32 v8, v7, 16, 1
	v_add3_u32 v7, v7, v8, s20
	v_lshrrev_b32_e32 v7, 16, v7
	s_mov_b64 s[20:21], -1
	s_branch .LBB166_1758
.LBB166_1757:
	s_mov_b64 s[0:1], -1
                                        ; implicit-def: $vgpr7
.LBB166_1758:
	v_mov_b32_e32 v8, 0
.LBB166_1759:
	s_mov_b64 s[22:23], 0
.LBB166_1760:
	s_and_b64 vcc, exec, s[22:23]
	s_cbranch_vccz .LBB166_1778
; %bb.1761:
	s_cmp_lt_i32 s26, 27
	s_cbranch_scc1 .LBB166_1764
; %bb.1762:
	s_cmp_gt_i32 s26, 27
	s_cbranch_scc0 .LBB166_1765
; %bb.1763:
	global_load_dword v7, v[0:1], off
	s_movk_i32 s20, 0x7fff
	s_waitcnt vmcnt(0)
	v_cvt_f32_u32_e32 v7, v7
	v_bfe_u32 v8, v7, 16, 1
	v_add3_u32 v7, v7, v8, s20
	v_lshrrev_b32_e32 v7, 16, v7
	s_mov_b64 s[20:21], 0
	s_branch .LBB166_1766
.LBB166_1764:
	s_mov_b64 s[20:21], -1
                                        ; implicit-def: $vgpr7
	s_branch .LBB166_1769
.LBB166_1765:
	s_mov_b64 s[20:21], -1
                                        ; implicit-def: $vgpr7
.LBB166_1766:
	s_andn2_b64 vcc, exec, s[20:21]
	s_cbranch_vccnz .LBB166_1768
; %bb.1767:
	global_load_ushort v7, v[0:1], off
	s_movk_i32 s20, 0x7fff
	s_waitcnt vmcnt(0)
	v_cvt_f32_u32_e32 v7, v7
	v_bfe_u32 v8, v7, 16, 1
	v_add3_u32 v7, v7, v8, s20
	v_lshrrev_b32_e32 v7, 16, v7
.LBB166_1768:
	s_mov_b64 s[20:21], 0
.LBB166_1769:
	s_andn2_b64 vcc, exec, s[20:21]
	s_cbranch_vccnz .LBB166_1777
; %bb.1770:
	global_load_ubyte v7, v[0:1], off
	s_movk_i32 s20, 0x7f
	s_waitcnt vmcnt(0)
	v_cmp_lt_i16_e32 vcc, s20, v7
	s_mov_b64 s[20:21], 0
	s_and_saveexec_b64 s[22:23], vcc
	s_xor_b64 s[22:23], exec, s[22:23]
	s_cbranch_execz .LBB166_1790
; %bb.1771:
	s_movk_i32 s20, 0x80
	v_cmp_eq_u16_e32 vcc, s20, v7
	s_mov_b64 s[20:21], -1
	s_and_saveexec_b64 s[24:25], vcc
; %bb.1772:
	s_xor_b64 s[20:21], exec, -1
; %bb.1773:
	s_or_b64 exec, exec, s[24:25]
	s_and_b64 s[20:21], s[20:21], exec
	s_or_saveexec_b64 s[22:23], s[22:23]
	v_mov_b32_e32 v8, 0x7f800001
	s_xor_b64 exec, exec, s[22:23]
	s_cbranch_execnz .LBB166_1791
.LBB166_1774:
	s_or_b64 exec, exec, s[22:23]
	s_and_saveexec_b64 s[22:23], s[20:21]
	s_cbranch_execz .LBB166_1776
.LBB166_1775:
	v_lshlrev_b32_e32 v8, 24, v7
	v_and_b32_e32 v7, 0xffff, v7
	v_and_b32_e32 v9, 7, v7
	v_ffbh_u32_e32 v11, v9
	v_min_u32_e32 v11, 32, v11
	v_subrev_u32_e32 v12, 28, v11
	v_bfe_u32 v10, v7, 3, 4
	v_lshlrev_b32_e32 v7, v12, v7
	v_sub_u32_e32 v11, 29, v11
	v_and_b32_e32 v7, 7, v7
	v_cmp_eq_u32_e32 vcc, 0, v10
	v_cndmask_b32_e32 v10, v10, v11, vcc
	v_cndmask_b32_e32 v7, v9, v7, vcc
	v_mov_b32_e32 v9, 0x3b800000
	v_lshlrev_b32_e32 v7, 20, v7
	v_and_b32_e32 v8, 0x80000000, v8
	v_lshl_add_u32 v9, v10, 23, v9
	v_or3_b32 v8, v8, v9, v7
.LBB166_1776:
	s_or_b64 exec, exec, s[22:23]
	v_bfe_u32 v7, v8, 16, 1
	s_movk_i32 s20, 0x7fff
	v_add3_u32 v7, v8, v7, s20
	v_cmp_o_f32_e32 vcc, v8, v8
	v_mov_b32_e32 v8, 0x7fc0
	v_cndmask_b32_sdwa v7, v8, v7, vcc dst_sel:DWORD dst_unused:UNUSED_PAD src0_sel:DWORD src1_sel:WORD_1
.LBB166_1777:
	s_mov_b64 s[20:21], -1
	v_mov_b32_e32 v8, 0
.LBB166_1778:
	s_branch .LBB166_1812
.LBB166_1779:
	s_cmp_gt_i32 s26, 22
	s_cbranch_scc0 .LBB166_1789
; %bb.1780:
	s_cmp_lt_i32 s26, 24
	s_cbranch_scc1 .LBB166_1792
; %bb.1781:
	s_cmp_gt_i32 s26, 24
	s_cbranch_scc0 .LBB166_1793
; %bb.1782:
	global_load_ubyte v7, v[0:1], off
	s_movk_i32 s4, 0x7f
	s_waitcnt vmcnt(0)
	v_cmp_lt_i16_e32 vcc, s4, v7
	s_mov_b64 s[4:5], 0
	s_and_saveexec_b64 s[20:21], vcc
	s_xor_b64 s[20:21], exec, s[20:21]
	s_cbranch_execz .LBB166_1805
; %bb.1783:
	s_movk_i32 s4, 0x80
	v_cmp_eq_u16_e32 vcc, s4, v7
	s_mov_b64 s[4:5], -1
	s_and_saveexec_b64 s[22:23], vcc
; %bb.1784:
	s_xor_b64 s[4:5], exec, -1
; %bb.1785:
	s_or_b64 exec, exec, s[22:23]
	s_and_b64 s[4:5], s[4:5], exec
	s_or_saveexec_b64 s[20:21], s[20:21]
	v_mov_b32_e32 v8, 0x7f800001
	s_xor_b64 exec, exec, s[20:21]
	s_cbranch_execnz .LBB166_1806
.LBB166_1786:
	s_or_b64 exec, exec, s[20:21]
	s_and_saveexec_b64 s[20:21], s[4:5]
	s_cbranch_execz .LBB166_1788
.LBB166_1787:
	v_lshlrev_b32_e32 v8, 24, v7
	v_and_b32_e32 v7, 0xffff, v7
	v_and_b32_e32 v9, 3, v7
	v_ffbh_u32_e32 v11, v9
	v_min_u32_e32 v11, 32, v11
	v_subrev_u32_e32 v12, 29, v11
	v_bfe_u32 v10, v7, 2, 5
	v_lshlrev_b32_e32 v7, v12, v7
	v_sub_u32_e32 v11, 30, v11
	v_and_b32_e32 v7, 3, v7
	v_cmp_eq_u32_e32 vcc, 0, v10
	v_cndmask_b32_e32 v10, v10, v11, vcc
	v_cndmask_b32_e32 v7, v9, v7, vcc
	v_mov_b32_e32 v9, 0x37800000
	v_lshlrev_b32_e32 v7, 21, v7
	v_and_b32_e32 v8, 0x80000000, v8
	v_lshl_add_u32 v9, v10, 23, v9
	v_or3_b32 v8, v8, v9, v7
.LBB166_1788:
	s_or_b64 exec, exec, s[20:21]
	v_bfe_u32 v7, v8, 16, 1
	s_movk_i32 s4, 0x7fff
	v_add3_u32 v7, v8, v7, s4
	v_cmp_o_f32_e32 vcc, v8, v8
	v_mov_b32_e32 v8, 0x7fc0
	v_cndmask_b32_sdwa v7, v8, v7, vcc dst_sel:DWORD dst_unused:UNUSED_PAD src0_sel:DWORD src1_sel:WORD_1
	s_mov_b64 s[4:5], 0
	s_branch .LBB166_1794
.LBB166_1789:
	s_mov_b64 s[4:5], -1
                                        ; implicit-def: $vgpr7
	s_branch .LBB166_1800
.LBB166_1790:
	s_or_saveexec_b64 s[22:23], s[22:23]
	v_mov_b32_e32 v8, 0x7f800001
	s_xor_b64 exec, exec, s[22:23]
	s_cbranch_execz .LBB166_1774
.LBB166_1791:
	v_cmp_ne_u16_e32 vcc, 0, v7
	s_andn2_b64 s[20:21], s[20:21], exec
	s_and_b64 s[24:25], vcc, exec
	v_mov_b32_e32 v8, 0
	s_or_b64 s[20:21], s[20:21], s[24:25]
	s_or_b64 exec, exec, s[22:23]
	s_and_saveexec_b64 s[22:23], s[20:21]
	s_cbranch_execnz .LBB166_1775
	s_branch .LBB166_1776
.LBB166_1792:
	s_mov_b64 s[4:5], -1
                                        ; implicit-def: $vgpr7
	s_branch .LBB166_1797
.LBB166_1793:
	s_mov_b64 s[4:5], -1
                                        ; implicit-def: $vgpr7
.LBB166_1794:
	s_and_b64 vcc, exec, s[4:5]
	s_cbranch_vccz .LBB166_1796
; %bb.1795:
	global_load_ubyte v7, v[0:1], off
	s_mov_b32 s4, 0x7f800000
	s_brev_b32 s5, 1
	s_movk_i32 s20, 0x7fff
	s_waitcnt vmcnt(0)
	v_lshlrev_b32_e32 v7, 24, v7
	v_and_b32_e32 v8, 0x7f000000, v7
	v_ffbh_u32_e32 v9, v8
	v_min_u32_e32 v9, 32, v9
	v_sub_u32_e64 v9, v9, 4 clamp
	v_lshlrev_b32_e32 v11, v9, v8
	v_lshlrev_b32_e32 v9, 23, v9
	v_lshrrev_b32_e32 v11, 4, v11
	v_add_u32_e32 v10, 0x1000000, v8
	v_sub_u32_e32 v9, v11, v9
	v_ashrrev_i32_e32 v10, 8, v10
	v_add_u32_e32 v9, 0x3c000000, v9
	v_and_or_b32 v9, v10, s4, v9
	v_cmp_ne_u32_e32 vcc, 0, v8
	v_cndmask_b32_e32 v8, 0, v9, vcc
	v_and_or_b32 v7, v7, s5, v8
	v_bfe_u32 v8, v8, 16, 1
	v_add3_u32 v8, v7, v8, s20
	v_cmp_o_f32_e32 vcc, v7, v7
	v_mov_b32_e32 v7, 0x7fc0
	v_cndmask_b32_sdwa v7, v7, v8, vcc dst_sel:DWORD dst_unused:UNUSED_PAD src0_sel:DWORD src1_sel:WORD_1
.LBB166_1796:
	s_mov_b64 s[4:5], 0
.LBB166_1797:
	s_andn2_b64 vcc, exec, s[4:5]
	s_cbranch_vccnz .LBB166_1799
; %bb.1798:
	global_load_ubyte v7, v[0:1], off
	s_movk_i32 s4, 0x7f00
	s_brev_b32 s5, 16
	s_brev_b32 s20, 1
	s_movk_i32 s21, 0x7fff
	s_waitcnt vmcnt(0)
	v_lshlrev_b16_e32 v8, 8, v7
	v_lshlrev_b32_e32 v7, 25, v7
	v_lshrrev_b32_e32 v9, 4, v7
	v_and_or_b32 v10, v8, s4, 0.5
	v_or_b32_e32 v9, 0x70000000, v9
	v_add_f32_e32 v10, -0.5, v10
	v_mul_f32_e32 v9, 0x7800000, v9
	v_cmp_gt_u32_e32 vcc, s5, v7
	v_bfe_i32 v8, v8, 0, 16
	v_cndmask_b32_e32 v7, v9, v10, vcc
	v_and_or_b32 v8, v8, s20, v7
	v_bfe_u32 v7, v7, 16, 1
	v_add3_u32 v7, v8, v7, s21
	v_cmp_o_f32_e32 vcc, v8, v8
	v_mov_b32_e32 v8, 0x7fc0
	v_cndmask_b32_sdwa v7, v8, v7, vcc dst_sel:DWORD dst_unused:UNUSED_PAD src0_sel:DWORD src1_sel:WORD_1
.LBB166_1799:
	s_mov_b64 s[4:5], 0
	s_mov_b64 s[20:21], -1
.LBB166_1800:
	s_andn2_b64 vcc, exec, s[4:5]
	s_mov_b64 s[4:5], 0
	s_cbranch_vccnz .LBB166_1811
; %bb.1801:
	s_cmp_gt_i32 s26, 14
	s_cbranch_scc0 .LBB166_1804
; %bb.1802:
	s_cmp_eq_u32 s26, 15
	s_cbranch_scc0 .LBB166_1807
; %bb.1803:
	global_load_ushort v7, v[0:1], off
	s_mov_b64 s[0:1], 0
	s_mov_b64 s[20:21], -1
	s_branch .LBB166_1808
.LBB166_1804:
	s_mov_b64 s[22:23], -1
                                        ; implicit-def: $vgpr7
	s_branch .LBB166_1809
.LBB166_1805:
	s_or_saveexec_b64 s[20:21], s[20:21]
	v_mov_b32_e32 v8, 0x7f800001
	s_xor_b64 exec, exec, s[20:21]
	s_cbranch_execz .LBB166_1786
.LBB166_1806:
	v_cmp_ne_u16_e32 vcc, 0, v7
	s_andn2_b64 s[4:5], s[4:5], exec
	s_and_b64 s[22:23], vcc, exec
	v_mov_b32_e32 v8, 0
	s_or_b64 s[4:5], s[4:5], s[22:23]
	s_or_b64 exec, exec, s[20:21]
	s_and_saveexec_b64 s[20:21], s[4:5]
	s_cbranch_execnz .LBB166_1787
	s_branch .LBB166_1788
.LBB166_1807:
	s_mov_b64 s[0:1], -1
                                        ; implicit-def: $vgpr7
.LBB166_1808:
	s_mov_b64 s[22:23], 0
.LBB166_1809:
	s_and_b64 vcc, exec, s[22:23]
	s_cbranch_vccz .LBB166_1811
; %bb.1810:
	s_cmp_lg_u32 s26, 11
	s_mov_b64 s[4:5], -1
	s_cselect_b64 s[0:1], -1, 0
.LBB166_1811:
	v_mov_b32_e32 v8, 0
.LBB166_1812:
	s_and_b64 vcc, exec, s[0:1]
	s_cbranch_vccnz .LBB166_1893
; %bb.1813:
	s_andn2_b64 vcc, exec, s[4:5]
	s_cbranch_vccnz .LBB166_1815
.LBB166_1814:
	global_load_ubyte v7, v[0:1], off
	s_mov_b64 s[20:21], -1
	v_mov_b32_e32 v8, 0
	s_waitcnt vmcnt(0)
	v_cmp_ne_u16_e32 vcc, 0, v7
	v_cndmask_b32_e64 v7, 0, 1.0, vcc
	v_lshrrev_b32_e32 v7, 16, v7
.LBB166_1815:
	s_branch .LBB166_1739
.LBB166_1816:
	s_and_b32 s4, 0xffff, s31
	s_cmp_lt_i32 s4, 5
	s_cbranch_scc1 .LBB166_1821
; %bb.1817:
	s_cmp_lt_i32 s4, 8
	s_cbranch_scc1 .LBB166_1823
; %bb.1818:
	;; [unrolled: 3-line block ×3, first 2 shown]
	s_cmp_gt_i32 s4, 9
	s_cbranch_scc0 .LBB166_1825
; %bb.1820:
	global_load_dwordx4 v[7:10], v[0:1], off
	s_movk_i32 s0, 0x7fff
	s_waitcnt vmcnt(0)
	v_cvt_f32_f64_e32 v7, v[7:8]
	v_cvt_f32_f64_e32 v8, v[9:10]
	v_mov_b32_e32 v9, 0x7fc0
	v_mov_b32_e32 v10, 0x7fc00000
	v_bfe_u32 v11, v7, 16, 1
	v_bfe_u32 v12, v8, 16, 1
	v_cmp_o_f32_e32 vcc, v7, v7
	v_add3_u32 v7, v7, v11, s0
	v_add3_u32 v11, v8, v12, s0
	v_cndmask_b32_sdwa v7, v9, v7, vcc dst_sel:DWORD dst_unused:UNUSED_PAD src0_sel:DWORD src1_sel:WORD_1
	v_and_b32_e32 v9, 0xffff0000, v11
	v_cmp_o_f32_e32 vcc, v8, v8
	v_cndmask_b32_e32 v8, v10, v9, vcc
	s_mov_b64 s[0:1], 0
	s_branch .LBB166_1826
.LBB166_1821:
                                        ; implicit-def: $vgpr8
                                        ; implicit-def: $vgpr7
	s_branch .LBB166_1845
.LBB166_1822:
	s_branch .LBB166_1865
.LBB166_1823:
	s_mov_b64 s[0:1], -1
                                        ; implicit-def: $vgpr8
                                        ; implicit-def: $vgpr7
	s_branch .LBB166_1832
.LBB166_1824:
	s_mov_b64 s[0:1], -1
                                        ; implicit-def: $vgpr8
                                        ; implicit-def: $vgpr7
	s_branch .LBB166_1829
.LBB166_1825:
	s_mov_b64 s[0:1], -1
                                        ; implicit-def: $vgpr8
                                        ; implicit-def: $vgpr7
.LBB166_1826:
	s_andn2_b64 vcc, exec, s[0:1]
	s_cbranch_vccnz .LBB166_1828
; %bb.1827:
	global_load_dwordx2 v[7:8], v[0:1], off
	s_movk_i32 s0, 0x7fff
	v_mov_b32_e32 v9, 0x7fc0
	v_mov_b32_e32 v10, 0x7fc00000
	s_waitcnt vmcnt(0)
	v_bfe_u32 v11, v7, 16, 1
	v_bfe_u32 v12, v8, 16, 1
	v_cmp_o_f32_e32 vcc, v7, v7
	v_add3_u32 v7, v7, v11, s0
	v_add3_u32 v11, v8, v12, s0
	v_cndmask_b32_sdwa v7, v9, v7, vcc dst_sel:DWORD dst_unused:UNUSED_PAD src0_sel:DWORD src1_sel:WORD_1
	v_and_b32_e32 v9, 0xffff0000, v11
	v_cmp_o_f32_e32 vcc, v8, v8
	v_cndmask_b32_e32 v8, v10, v9, vcc
.LBB166_1828:
	s_mov_b64 s[0:1], 0
.LBB166_1829:
	s_andn2_b64 vcc, exec, s[0:1]
	s_cbranch_vccnz .LBB166_1831
; %bb.1830:
	global_load_dword v8, v[0:1], off
	s_movk_i32 s0, 0x7fff
	s_waitcnt vmcnt(1)
	v_mov_b32_e32 v7, 0x7fc0
	v_mov_b32_e32 v11, 0x7fc00000
	s_waitcnt vmcnt(0)
	v_cvt_f32_f16_e32 v9, v8
	v_cvt_f32_f16_sdwa v10, v8 dst_sel:DWORD dst_unused:UNUSED_PAD src0_sel:WORD_1
	v_cmp_o_f16_e32 vcc, v8, v8
	v_bfe_u32 v12, v9, 16, 1
	v_bfe_u32 v13, v10, 16, 1
	v_add3_u32 v9, v9, v12, s0
	v_add3_u32 v10, v10, v13, s0
	v_cndmask_b32_sdwa v7, v7, v9, vcc dst_sel:DWORD dst_unused:UNUSED_PAD src0_sel:DWORD src1_sel:WORD_1
	v_and_b32_e32 v9, 0xffff0000, v10
	v_cmp_o_f16_sdwa vcc, v8, v8 src0_sel:WORD_1 src1_sel:WORD_1
	v_cndmask_b32_e32 v8, v11, v9, vcc
.LBB166_1831:
	s_mov_b64 s[0:1], 0
.LBB166_1832:
	s_andn2_b64 vcc, exec, s[0:1]
	s_cbranch_vccnz .LBB166_1844
; %bb.1833:
	s_cmp_lt_i32 s4, 6
	s_cbranch_scc1 .LBB166_1836
; %bb.1834:
	s_cmp_gt_i32 s4, 6
	s_cbranch_scc0 .LBB166_1837
; %bb.1835:
	global_load_dwordx2 v[7:8], v[0:1], off
	s_movk_i32 s0, 0x7fff
	s_waitcnt vmcnt(0)
	v_cvt_f32_f64_e32 v7, v[7:8]
	v_mov_b32_e32 v8, 0x7fc0
	v_bfe_u32 v9, v7, 16, 1
	v_cmp_o_f32_e32 vcc, v7, v7
	v_add3_u32 v7, v7, v9, s0
	v_cndmask_b32_sdwa v7, v8, v7, vcc dst_sel:DWORD dst_unused:UNUSED_PAD src0_sel:DWORD src1_sel:WORD_1
	s_mov_b64 s[0:1], 0
	s_branch .LBB166_1838
.LBB166_1836:
	s_mov_b64 s[0:1], -1
                                        ; implicit-def: $vgpr7
	s_branch .LBB166_1841
.LBB166_1837:
	s_mov_b64 s[0:1], -1
                                        ; implicit-def: $vgpr7
.LBB166_1838:
	s_andn2_b64 vcc, exec, s[0:1]
	s_cbranch_vccnz .LBB166_1840
; %bb.1839:
	global_load_dword v7, v[0:1], off
	s_movk_i32 s0, 0x7fff
	v_mov_b32_e32 v8, 0x7fc0
	s_waitcnt vmcnt(0)
	v_bfe_u32 v9, v7, 16, 1
	v_cmp_o_f32_e32 vcc, v7, v7
	v_add3_u32 v7, v7, v9, s0
	v_cndmask_b32_sdwa v7, v8, v7, vcc dst_sel:DWORD dst_unused:UNUSED_PAD src0_sel:DWORD src1_sel:WORD_1
.LBB166_1840:
	s_mov_b64 s[0:1], 0
.LBB166_1841:
	s_andn2_b64 vcc, exec, s[0:1]
	s_cbranch_vccnz .LBB166_1843
; %bb.1842:
	global_load_ushort v7, v[0:1], off
	s_movk_i32 s0, 0x7fff
	v_mov_b32_e32 v9, 0x7fc0
	s_waitcnt vmcnt(0)
	v_cvt_f32_f16_e32 v8, v7
	v_cmp_o_f16_e32 vcc, v7, v7
	v_bfe_u32 v7, v8, 16, 1
	v_add3_u32 v7, v8, v7, s0
	v_cndmask_b32_sdwa v7, v9, v7, vcc dst_sel:DWORD dst_unused:UNUSED_PAD src0_sel:DWORD src1_sel:WORD_1
.LBB166_1843:
	v_mov_b32_e32 v8, 0
.LBB166_1844:
	s_cbranch_execnz .LBB166_1822
.LBB166_1845:
	s_cmp_lt_i32 s4, 2
	s_cbranch_scc1 .LBB166_1849
; %bb.1846:
	s_cmp_lt_i32 s4, 3
	s_cbranch_scc1 .LBB166_1850
; %bb.1847:
	s_cmp_gt_i32 s4, 3
	s_cbranch_scc0 .LBB166_1851
; %bb.1848:
	global_load_dwordx2 v[7:8], v[0:1], off
	s_movk_i32 s0, 0x7fff
	s_waitcnt vmcnt(0)
	v_xor_b32_e32 v10, v7, v8
	v_ffbh_i32_e32 v9, v8
	v_ashrrev_i32_e32 v10, 31, v10
	v_add_u32_e32 v9, -1, v9
	v_add_u32_e32 v10, 32, v10
	v_min_u32_e32 v9, v9, v10
	v_lshlrev_b64 v[7:8], v9, v[7:8]
	v_min_u32_e32 v7, 1, v7
	v_or_b32_e32 v7, v8, v7
	v_cvt_f32_i32_e32 v7, v7
	v_sub_u32_e32 v8, 32, v9
	v_ldexp_f32 v7, v7, v8
	v_bfe_u32 v8, v7, 16, 1
	v_add3_u32 v7, v7, v8, s0
	v_lshrrev_b32_e32 v7, 16, v7
	s_mov_b64 s[0:1], 0
	s_branch .LBB166_1852
.LBB166_1849:
	s_mov_b64 s[0:1], -1
                                        ; implicit-def: $vgpr7
	s_branch .LBB166_1858
.LBB166_1850:
	s_mov_b64 s[0:1], -1
                                        ; implicit-def: $vgpr7
	s_branch .LBB166_1855
.LBB166_1851:
	s_mov_b64 s[0:1], -1
                                        ; implicit-def: $vgpr7
.LBB166_1852:
	s_andn2_b64 vcc, exec, s[0:1]
	s_cbranch_vccnz .LBB166_1854
; %bb.1853:
	global_load_dword v7, v[0:1], off
	s_movk_i32 s0, 0x7fff
	s_waitcnt vmcnt(0)
	v_cvt_f32_i32_e32 v7, v7
	v_bfe_u32 v8, v7, 16, 1
	v_add3_u32 v7, v7, v8, s0
	v_lshrrev_b32_e32 v7, 16, v7
.LBB166_1854:
	s_mov_b64 s[0:1], 0
.LBB166_1855:
	s_andn2_b64 vcc, exec, s[0:1]
	s_cbranch_vccnz .LBB166_1857
; %bb.1856:
	global_load_sshort v7, v[0:1], off
	s_movk_i32 s0, 0x7fff
	s_waitcnt vmcnt(0)
	v_cvt_f32_i32_e32 v7, v7
	v_bfe_u32 v8, v7, 16, 1
	v_add3_u32 v7, v7, v8, s0
	v_lshrrev_b32_e32 v7, 16, v7
.LBB166_1857:
	s_mov_b64 s[0:1], 0
.LBB166_1858:
	s_andn2_b64 vcc, exec, s[0:1]
	s_cbranch_vccnz .LBB166_1864
; %bb.1859:
	s_cmp_gt_i32 s4, 0
	s_cbranch_scc0 .LBB166_1861
; %bb.1860:
	global_load_sbyte v7, v[0:1], off
	s_movk_i32 s0, 0x7fff
	s_waitcnt vmcnt(0)
	v_cvt_f32_i32_e32 v7, v7
	v_bfe_u32 v8, v7, 16, 1
	v_add3_u32 v7, v7, v8, s0
	v_lshrrev_b32_e32 v7, 16, v7
	s_mov_b64 s[0:1], 0
	s_branch .LBB166_1862
.LBB166_1861:
	s_mov_b64 s[0:1], -1
                                        ; implicit-def: $vgpr7
.LBB166_1862:
	s_andn2_b64 vcc, exec, s[0:1]
	s_cbranch_vccnz .LBB166_1864
; %bb.1863:
	global_load_ubyte v0, v[0:1], off
	s_movk_i32 s0, 0x7fff
	s_waitcnt vmcnt(0)
	v_cvt_f32_ubyte0_e32 v0, v0
	v_bfe_u32 v1, v0, 16, 1
	v_add3_u32 v0, v0, v1, s0
	v_lshrrev_b32_e32 v7, 16, v0
.LBB166_1864:
	v_mov_b32_e32 v8, 0
.LBB166_1865:
	s_cmp_lg_u32 s15, 0
	s_waitcnt vmcnt(0)
	v_or_b32_sdwa v0, v6, v5 dst_sel:DWORD dst_unused:UNUSED_PAD src0_sel:DWORD src1_sel:WORD_0
	v_or_b32_sdwa v1, v8, v7 dst_sel:DWORD dst_unused:UNUSED_PAD src0_sel:DWORD src1_sel:WORD_0
	s_cselect_b64 s[20:21], -1, 0
	s_and_b64 vcc, exec, s[20:21]
	v_lshlrev_b32_e32 v0, 16, v0
	v_lshlrev_b32_e32 v1, 16, v1
	s_cbranch_vccz .LBB166_1877
; %bb.1866:
	v_and_b32_e32 v5, 0xffff0000, v6
	v_and_b32_e32 v7, 0xffff0000, v8
	v_cmp_neq_f32_e32 vcc, v0, v1
	v_cmp_neq_f32_e64 s[0:1], v5, v7
	s_or_b64 s[4:5], vcc, s[0:1]
	s_cbranch_execnz .LBB166_1868
.LBB166_1867:
	v_and_b32_e32 v5, 0xffff0000, v8
	v_and_b32_e32 v6, 0xffff0000, v6
	v_cmp_eq_f32_e32 vcc, v0, v1
	v_cmp_eq_f32_e64 s[0:1], v6, v5
	s_and_b64 s[0:1], vcc, s[0:1]
	s_andn2_b64 s[4:5], s[4:5], exec
	s_and_b64 s[0:1], s[0:1], exec
	s_or_b64 s[4:5], s[4:5], s[0:1]
.LBB166_1868:
	s_lshl_b32 s13, s13, 7
	v_add_u32_e32 v3, s13, v3
	v_ashrrev_i32_e32 v1, 31, v3
	v_mov_b32_e32 v5, s11
	v_add_co_u32_e32 v0, vcc, s10, v3
	s_cmp_lt_i32 s30, 11
	v_addc_co_u32_e32 v1, vcc, v5, v1, vcc
	s_cbranch_scc1 .LBB166_1875
; %bb.1869:
	s_and_b32 s15, 0xffff, s30
	s_cmp_gt_i32 s15, 25
	s_mov_b64 s[22:23], 0
	s_cbranch_scc0 .LBB166_1878
; %bb.1870:
	s_cmp_gt_i32 s15, 28
	s_cbranch_scc0 .LBB166_1889
; %bb.1871:
	s_cmp_gt_i32 s15, 43
	;; [unrolled: 3-line block ×3, first 2 shown]
	s_cbranch_scc0 .LBB166_1894
; %bb.1873:
	s_cmp_eq_u32 s15, 46
	s_mov_b64 s[26:27], 0
	s_cbranch_scc0 .LBB166_1948
; %bb.1874:
	global_load_dword v5, v[0:1], off
	s_mov_b64 s[0:1], 0
	s_mov_b64 s[24:25], -1
	s_waitcnt vmcnt(0)
	v_and_b32_e32 v6, 0xffff0000, v5
	s_branch .LBB166_1949
.LBB166_1875:
	s_mov_b64 s[24:25], 0
                                        ; implicit-def: $vgpr6
                                        ; implicit-def: $vgpr5
	s_cbranch_execnz .LBB166_1883
.LBB166_1876:
	s_andn2_b64 vcc, exec, s[24:25]
	s_cbranch_vccnz .LBB166_2692
	s_branch .LBB166_1937
.LBB166_1877:
                                        ; implicit-def: $sgpr4_sgpr5
	s_branch .LBB166_1867
.LBB166_1878:
	s_mov_b64 s[24:25], 0
	s_mov_b64 s[0:1], 0
                                        ; implicit-def: $vgpr6
                                        ; implicit-def: $vgpr5
	s_cbranch_execnz .LBB166_1981
.LBB166_1879:
	s_and_b64 vcc, exec, s[0:1]
	s_cbranch_vccnz .LBB166_2014
.LBB166_1880:
	s_andn2_b64 vcc, exec, s[22:23]
	s_cbranch_vccnz .LBB166_1882
.LBB166_1881:
	global_load_ubyte v5, v[0:1], off
	s_mov_b64 s[24:25], -1
	v_mov_b32_e32 v6, 0
	s_waitcnt vmcnt(0)
	v_cmp_ne_u16_e32 vcc, 0, v5
	v_cndmask_b32_e64 v5, 0, 1.0, vcc
	v_lshrrev_b32_e32 v5, 16, v5
.LBB166_1882:
	s_branch .LBB166_1876
.LBB166_1883:
	s_and_b32 s15, 0xffff, s30
	s_cmp_lt_i32 s15, 5
	s_cbranch_scc1 .LBB166_1888
; %bb.1884:
	s_cmp_lt_i32 s15, 8
	s_cbranch_scc1 .LBB166_1890
; %bb.1885:
	;; [unrolled: 3-line block ×3, first 2 shown]
	s_cmp_gt_i32 s15, 9
	s_cbranch_scc0 .LBB166_1895
; %bb.1887:
	global_load_dwordx4 v[5:8], v[0:1], off
	s_movk_i32 s0, 0x7fff
	s_waitcnt vmcnt(0)
	v_cvt_f32_f64_e32 v5, v[5:6]
	v_cvt_f32_f64_e32 v6, v[7:8]
	v_mov_b32_e32 v7, 0x7fc0
	v_mov_b32_e32 v8, 0x7fc00000
	v_bfe_u32 v9, v5, 16, 1
	v_bfe_u32 v10, v6, 16, 1
	v_cmp_o_f32_e32 vcc, v5, v5
	v_add3_u32 v5, v5, v9, s0
	v_add3_u32 v9, v6, v10, s0
	v_cndmask_b32_sdwa v5, v7, v5, vcc dst_sel:DWORD dst_unused:UNUSED_PAD src0_sel:DWORD src1_sel:WORD_1
	v_and_b32_e32 v7, 0xffff0000, v9
	v_cmp_o_f32_e32 vcc, v6, v6
	v_cndmask_b32_e32 v6, v8, v7, vcc
	s_mov_b64 s[0:1], 0
	s_branch .LBB166_1896
.LBB166_1888:
	s_mov_b64 s[0:1], -1
                                        ; implicit-def: $vgpr6
                                        ; implicit-def: $vgpr5
	s_branch .LBB166_1915
.LBB166_1889:
	s_mov_b64 s[26:27], -1
	s_mov_b64 s[24:25], 0
	s_mov_b64 s[0:1], 0
                                        ; implicit-def: $vgpr6
                                        ; implicit-def: $vgpr5
	s_branch .LBB166_1962
.LBB166_1890:
	s_mov_b64 s[0:1], -1
                                        ; implicit-def: $vgpr6
                                        ; implicit-def: $vgpr5
	s_branch .LBB166_1902
.LBB166_1891:
	s_mov_b64 s[26:27], -1
	s_mov_b64 s[24:25], 0
	s_mov_b64 s[0:1], 0
                                        ; implicit-def: $vgpr6
                                        ; implicit-def: $vgpr5
	s_branch .LBB166_1956
.LBB166_1892:
	s_mov_b64 s[0:1], -1
                                        ; implicit-def: $vgpr6
                                        ; implicit-def: $vgpr5
	s_branch .LBB166_1899
.LBB166_1893:
	s_trap 2
	s_or_b64 s[18:19], s[18:19], exec
	s_cbranch_execz .LBB166_1814
	s_branch .LBB166_1815
.LBB166_1894:
	s_mov_b64 s[26:27], -1
	s_mov_b64 s[24:25], 0
	s_mov_b64 s[0:1], 0
                                        ; implicit-def: $vgpr6
                                        ; implicit-def: $vgpr5
	s_branch .LBB166_1949
.LBB166_1895:
	s_mov_b64 s[0:1], -1
                                        ; implicit-def: $vgpr6
                                        ; implicit-def: $vgpr5
.LBB166_1896:
	s_andn2_b64 vcc, exec, s[0:1]
	s_cbranch_vccnz .LBB166_1898
; %bb.1897:
	global_load_dwordx2 v[5:6], v[0:1], off
	s_movk_i32 s0, 0x7fff
	v_mov_b32_e32 v7, 0x7fc0
	v_mov_b32_e32 v8, 0x7fc00000
	s_waitcnt vmcnt(0)
	v_bfe_u32 v9, v5, 16, 1
	v_bfe_u32 v10, v6, 16, 1
	v_cmp_o_f32_e32 vcc, v5, v5
	v_add3_u32 v5, v5, v9, s0
	v_add3_u32 v9, v6, v10, s0
	v_cndmask_b32_sdwa v5, v7, v5, vcc dst_sel:DWORD dst_unused:UNUSED_PAD src0_sel:DWORD src1_sel:WORD_1
	v_and_b32_e32 v7, 0xffff0000, v9
	v_cmp_o_f32_e32 vcc, v6, v6
	v_cndmask_b32_e32 v6, v8, v7, vcc
.LBB166_1898:
	s_mov_b64 s[0:1], 0
.LBB166_1899:
	s_andn2_b64 vcc, exec, s[0:1]
	s_cbranch_vccnz .LBB166_1901
; %bb.1900:
	global_load_dword v6, v[0:1], off
	s_movk_i32 s0, 0x7fff
	s_waitcnt vmcnt(1)
	v_mov_b32_e32 v5, 0x7fc0
	v_mov_b32_e32 v9, 0x7fc00000
	s_waitcnt vmcnt(0)
	v_cvt_f32_f16_e32 v7, v6
	v_cvt_f32_f16_sdwa v8, v6 dst_sel:DWORD dst_unused:UNUSED_PAD src0_sel:WORD_1
	v_cmp_o_f16_e32 vcc, v6, v6
	v_bfe_u32 v10, v7, 16, 1
	v_bfe_u32 v11, v8, 16, 1
	v_add3_u32 v7, v7, v10, s0
	v_add3_u32 v8, v8, v11, s0
	v_cndmask_b32_sdwa v5, v5, v7, vcc dst_sel:DWORD dst_unused:UNUSED_PAD src0_sel:DWORD src1_sel:WORD_1
	v_and_b32_e32 v7, 0xffff0000, v8
	v_cmp_o_f16_sdwa vcc, v6, v6 src0_sel:WORD_1 src1_sel:WORD_1
	v_cndmask_b32_e32 v6, v9, v7, vcc
.LBB166_1901:
	s_mov_b64 s[0:1], 0
.LBB166_1902:
	s_andn2_b64 vcc, exec, s[0:1]
	s_cbranch_vccnz .LBB166_1914
; %bb.1903:
	s_cmp_lt_i32 s15, 6
	s_cbranch_scc1 .LBB166_1906
; %bb.1904:
	s_cmp_gt_i32 s15, 6
	s_cbranch_scc0 .LBB166_1907
; %bb.1905:
	global_load_dwordx2 v[5:6], v[0:1], off
	s_movk_i32 s0, 0x7fff
	s_waitcnt vmcnt(0)
	v_cvt_f32_f64_e32 v5, v[5:6]
	v_mov_b32_e32 v6, 0x7fc0
	v_bfe_u32 v7, v5, 16, 1
	v_cmp_o_f32_e32 vcc, v5, v5
	v_add3_u32 v5, v5, v7, s0
	v_cndmask_b32_sdwa v5, v6, v5, vcc dst_sel:DWORD dst_unused:UNUSED_PAD src0_sel:DWORD src1_sel:WORD_1
	s_mov_b64 s[0:1], 0
	s_branch .LBB166_1908
.LBB166_1906:
	s_mov_b64 s[0:1], -1
                                        ; implicit-def: $vgpr5
	s_branch .LBB166_1911
.LBB166_1907:
	s_mov_b64 s[0:1], -1
                                        ; implicit-def: $vgpr5
.LBB166_1908:
	s_andn2_b64 vcc, exec, s[0:1]
	s_cbranch_vccnz .LBB166_1910
; %bb.1909:
	global_load_dword v5, v[0:1], off
	s_movk_i32 s0, 0x7fff
	v_mov_b32_e32 v6, 0x7fc0
	s_waitcnt vmcnt(0)
	v_bfe_u32 v7, v5, 16, 1
	v_cmp_o_f32_e32 vcc, v5, v5
	v_add3_u32 v5, v5, v7, s0
	v_cndmask_b32_sdwa v5, v6, v5, vcc dst_sel:DWORD dst_unused:UNUSED_PAD src0_sel:DWORD src1_sel:WORD_1
.LBB166_1910:
	s_mov_b64 s[0:1], 0
.LBB166_1911:
	s_andn2_b64 vcc, exec, s[0:1]
	s_cbranch_vccnz .LBB166_1913
; %bb.1912:
	global_load_ushort v5, v[0:1], off
	s_movk_i32 s0, 0x7fff
	v_mov_b32_e32 v7, 0x7fc0
	s_waitcnt vmcnt(0)
	v_cvt_f32_f16_e32 v6, v5
	v_cmp_o_f16_e32 vcc, v5, v5
	v_bfe_u32 v5, v6, 16, 1
	v_add3_u32 v5, v6, v5, s0
	v_cndmask_b32_sdwa v5, v7, v5, vcc dst_sel:DWORD dst_unused:UNUSED_PAD src0_sel:DWORD src1_sel:WORD_1
.LBB166_1913:
	v_mov_b32_e32 v6, 0
.LBB166_1914:
	s_mov_b64 s[0:1], 0
.LBB166_1915:
	s_andn2_b64 vcc, exec, s[0:1]
	s_cbranch_vccnz .LBB166_1936
; %bb.1916:
	s_cmp_lt_i32 s15, 2
	s_cbranch_scc1 .LBB166_1920
; %bb.1917:
	s_cmp_lt_i32 s15, 3
	s_cbranch_scc1 .LBB166_1921
; %bb.1918:
	s_cmp_gt_i32 s15, 3
	s_cbranch_scc0 .LBB166_1922
; %bb.1919:
	global_load_dwordx2 v[5:6], v[0:1], off
	s_movk_i32 s0, 0x7fff
	s_waitcnt vmcnt(0)
	v_xor_b32_e32 v8, v5, v6
	v_ffbh_i32_e32 v7, v6
	v_ashrrev_i32_e32 v8, 31, v8
	v_add_u32_e32 v7, -1, v7
	v_add_u32_e32 v8, 32, v8
	v_min_u32_e32 v7, v7, v8
	v_lshlrev_b64 v[5:6], v7, v[5:6]
	v_min_u32_e32 v5, 1, v5
	v_or_b32_e32 v5, v6, v5
	v_cvt_f32_i32_e32 v5, v5
	v_sub_u32_e32 v6, 32, v7
	v_ldexp_f32 v5, v5, v6
	v_bfe_u32 v6, v5, 16, 1
	v_add3_u32 v5, v5, v6, s0
	v_lshrrev_b32_e32 v5, 16, v5
	s_mov_b64 s[0:1], 0
	s_branch .LBB166_1923
.LBB166_1920:
	s_mov_b64 s[0:1], -1
                                        ; implicit-def: $vgpr5
	s_branch .LBB166_1929
.LBB166_1921:
	s_mov_b64 s[0:1], -1
                                        ; implicit-def: $vgpr5
	s_branch .LBB166_1926
.LBB166_1922:
	s_mov_b64 s[0:1], -1
                                        ; implicit-def: $vgpr5
.LBB166_1923:
	s_andn2_b64 vcc, exec, s[0:1]
	s_cbranch_vccnz .LBB166_1925
; %bb.1924:
	global_load_dword v5, v[0:1], off
	s_movk_i32 s0, 0x7fff
	s_waitcnt vmcnt(0)
	v_cvt_f32_i32_e32 v5, v5
	v_bfe_u32 v6, v5, 16, 1
	v_add3_u32 v5, v5, v6, s0
	v_lshrrev_b32_e32 v5, 16, v5
.LBB166_1925:
	s_mov_b64 s[0:1], 0
.LBB166_1926:
	s_andn2_b64 vcc, exec, s[0:1]
	s_cbranch_vccnz .LBB166_1928
; %bb.1927:
	global_load_sshort v5, v[0:1], off
	s_movk_i32 s0, 0x7fff
	s_waitcnt vmcnt(0)
	v_cvt_f32_i32_e32 v5, v5
	v_bfe_u32 v6, v5, 16, 1
	v_add3_u32 v5, v5, v6, s0
	v_lshrrev_b32_e32 v5, 16, v5
.LBB166_1928:
	s_mov_b64 s[0:1], 0
.LBB166_1929:
	s_andn2_b64 vcc, exec, s[0:1]
	s_cbranch_vccnz .LBB166_1935
; %bb.1930:
	s_cmp_gt_i32 s15, 0
	s_cbranch_scc0 .LBB166_1932
; %bb.1931:
	global_load_sbyte v5, v[0:1], off
	s_movk_i32 s0, 0x7fff
	s_waitcnt vmcnt(0)
	v_cvt_f32_i32_e32 v5, v5
	v_bfe_u32 v6, v5, 16, 1
	v_add3_u32 v5, v5, v6, s0
	v_lshrrev_b32_e32 v5, 16, v5
	s_mov_b64 s[0:1], 0
	s_branch .LBB166_1933
.LBB166_1932:
	s_mov_b64 s[0:1], -1
                                        ; implicit-def: $vgpr5
.LBB166_1933:
	s_andn2_b64 vcc, exec, s[0:1]
	s_cbranch_vccnz .LBB166_1935
; %bb.1934:
	global_load_ubyte v0, v[0:1], off
	s_movk_i32 s0, 0x7fff
	s_waitcnt vmcnt(0)
	v_cvt_f32_ubyte0_e32 v0, v0
	v_bfe_u32 v1, v0, 16, 1
	v_add3_u32 v0, v0, v1, s0
	v_lshrrev_b32_e32 v5, 16, v0
.LBB166_1935:
	v_mov_b32_e32 v6, 0
.LBB166_1936:
.LBB166_1937:
	s_lshl_b32 s34, s14, 7
	v_add_u32_e32 v4, s34, v4
	v_ashrrev_i32_e32 v1, 31, v4
	v_mov_b32_e32 v7, s3
	v_add_co_u32_e32 v0, vcc, s2, v4
	s_cmp_lt_i32 s31, 11
	v_addc_co_u32_e32 v1, vcc, v7, v1, vcc
	s_cbranch_scc1 .LBB166_1944
; %bb.1938:
	s_and_b32 s28, 0xffff, s31
	s_cmp_gt_i32 s28, 25
	s_mov_b64 s[14:15], 0
	s_cbranch_scc0 .LBB166_1945
; %bb.1939:
	s_cmp_gt_i32 s28, 28
	s_cbranch_scc0 .LBB166_1946
; %bb.1940:
	s_cmp_gt_i32 s28, 43
	;; [unrolled: 3-line block ×3, first 2 shown]
	s_cbranch_scc0 .LBB166_1952
; %bb.1942:
	s_cmp_eq_u32 s28, 46
	s_mov_b64 s[24:25], 0
	s_cbranch_scc0 .LBB166_2015
; %bb.1943:
	global_load_dword v7, v[0:1], off
	s_mov_b64 s[0:1], 0
	s_mov_b64 s[22:23], -1
	s_waitcnt vmcnt(0)
	v_and_b32_e32 v8, 0xffff0000, v7
	s_branch .LBB166_2016
.LBB166_1944:
	s_mov_b64 s[0:1], -1
	s_mov_b64 s[22:23], 0
                                        ; implicit-def: $vgpr8
                                        ; implicit-def: $vgpr7
	s_branch .LBB166_2062
.LBB166_1945:
	s_mov_b64 s[24:25], -1
	s_mov_b64 s[22:23], 0
	s_mov_b64 s[0:1], 0
                                        ; implicit-def: $vgpr8
                                        ; implicit-def: $vgpr7
	s_branch .LBB166_2047
.LBB166_1946:
	s_mov_b64 s[24:25], -1
	s_mov_b64 s[22:23], 0
	s_mov_b64 s[0:1], 0
                                        ; implicit-def: $vgpr8
                                        ; implicit-def: $vgpr7
	s_branch .LBB166_2028
.LBB166_1947:
	s_mov_b64 s[24:25], -1
	s_mov_b64 s[22:23], 0
	s_mov_b64 s[0:1], 0
                                        ; implicit-def: $vgpr8
                                        ; implicit-def: $vgpr7
	s_branch .LBB166_2022
.LBB166_1948:
	s_mov_b64 s[0:1], -1
                                        ; implicit-def: $vgpr6
                                        ; implicit-def: $vgpr5
	s_mov_b64 s[24:25], 0
.LBB166_1949:
	s_and_b64 vcc, exec, s[26:27]
	s_cbranch_vccz .LBB166_1955
; %bb.1950:
	s_cmp_eq_u32 s15, 44
	s_cbranch_scc0 .LBB166_1953
; %bb.1951:
	global_load_ubyte v5, v[0:1], off
	s_movk_i32 s24, 0xff
	v_mov_b32_e32 v6, 0x7f800001
	v_mov_b32_e32 v7, 0x400000
	;; [unrolled: 1-line block ×3, first 2 shown]
	s_mov_b64 s[0:1], 0
	s_waitcnt vmcnt(0)
	v_lshlrev_b32_e32 v9, 23, v5
	v_cmp_ne_u32_e32 vcc, s24, v5
	v_cndmask_b32_e32 v6, v6, v9, vcc
	v_cmp_ne_u32_e32 vcc, 0, v5
	v_cndmask_b32_e32 v5, v7, v6, vcc
	v_add_u32_e32 v6, 0x7fff, v5
	v_cmp_o_f32_e32 vcc, v5, v5
	v_cndmask_b32_sdwa v5, v8, v6, vcc dst_sel:DWORD dst_unused:UNUSED_PAD src0_sel:DWORD src1_sel:WORD_1
	s_mov_b64 s[24:25], -1
	s_branch .LBB166_1954
.LBB166_1952:
	s_mov_b64 s[24:25], -1
	s_mov_b64 s[22:23], 0
	s_mov_b64 s[0:1], 0
                                        ; implicit-def: $vgpr8
                                        ; implicit-def: $vgpr7
	s_branch .LBB166_2016
.LBB166_1953:
	s_mov_b64 s[0:1], -1
                                        ; implicit-def: $vgpr5
.LBB166_1954:
	v_mov_b32_e32 v6, 0
.LBB166_1955:
	s_mov_b64 s[26:27], 0
.LBB166_1956:
	s_and_b64 vcc, exec, s[26:27]
	s_cbranch_vccz .LBB166_1961
; %bb.1957:
	s_cmp_eq_u32 s15, 29
	s_cbranch_scc0 .LBB166_1959
; %bb.1958:
	global_load_dwordx2 v[5:6], v[0:1], off
	s_movk_i32 s24, 0x7fff
	s_mov_b64 s[0:1], 0
	s_waitcnt vmcnt(0)
	v_ffbh_u32_e32 v7, v6
	v_min_u32_e32 v7, 32, v7
	v_lshlrev_b64 v[5:6], v7, v[5:6]
	v_min_u32_e32 v5, 1, v5
	v_or_b32_e32 v5, v6, v5
	v_cvt_f32_u32_e32 v5, v5
	v_sub_u32_e32 v6, 32, v7
	v_ldexp_f32 v5, v5, v6
	v_bfe_u32 v6, v5, 16, 1
	v_add3_u32 v5, v5, v6, s24
	v_lshrrev_b32_e32 v5, 16, v5
	s_mov_b64 s[24:25], -1
	s_branch .LBB166_1960
.LBB166_1959:
	s_mov_b64 s[0:1], -1
                                        ; implicit-def: $vgpr5
.LBB166_1960:
	v_mov_b32_e32 v6, 0
.LBB166_1961:
	s_mov_b64 s[26:27], 0
.LBB166_1962:
	s_and_b64 vcc, exec, s[26:27]
	s_cbranch_vccz .LBB166_1980
; %bb.1963:
	s_cmp_lt_i32 s15, 27
	s_cbranch_scc1 .LBB166_1966
; %bb.1964:
	s_cmp_gt_i32 s15, 27
	s_cbranch_scc0 .LBB166_1967
; %bb.1965:
	global_load_dword v5, v[0:1], off
	s_movk_i32 s24, 0x7fff
	s_waitcnt vmcnt(0)
	v_cvt_f32_u32_e32 v5, v5
	v_bfe_u32 v6, v5, 16, 1
	v_add3_u32 v5, v5, v6, s24
	v_lshrrev_b32_e32 v5, 16, v5
	s_mov_b64 s[24:25], 0
	s_branch .LBB166_1968
.LBB166_1966:
	s_mov_b64 s[24:25], -1
                                        ; implicit-def: $vgpr5
	s_branch .LBB166_1971
.LBB166_1967:
	s_mov_b64 s[24:25], -1
                                        ; implicit-def: $vgpr5
.LBB166_1968:
	s_andn2_b64 vcc, exec, s[24:25]
	s_cbranch_vccnz .LBB166_1970
; %bb.1969:
	global_load_ushort v5, v[0:1], off
	s_movk_i32 s24, 0x7fff
	s_waitcnt vmcnt(0)
	v_cvt_f32_u32_e32 v5, v5
	v_bfe_u32 v6, v5, 16, 1
	v_add3_u32 v5, v5, v6, s24
	v_lshrrev_b32_e32 v5, 16, v5
.LBB166_1970:
	s_mov_b64 s[24:25], 0
.LBB166_1971:
	s_andn2_b64 vcc, exec, s[24:25]
	s_cbranch_vccnz .LBB166_1979
; %bb.1972:
	global_load_ubyte v5, v[0:1], off
	s_movk_i32 s24, 0x7f
	s_waitcnt vmcnt(0)
	v_cmp_lt_i16_e32 vcc, s24, v5
	s_mov_b64 s[24:25], 0
	s_and_saveexec_b64 s[26:27], vcc
	s_xor_b64 s[26:27], exec, s[26:27]
	s_cbranch_execz .LBB166_1992
; %bb.1973:
	s_movk_i32 s24, 0x80
	v_cmp_eq_u16_e32 vcc, s24, v5
	s_mov_b64 s[24:25], -1
	s_and_saveexec_b64 s[28:29], vcc
; %bb.1974:
	s_xor_b64 s[24:25], exec, -1
; %bb.1975:
	s_or_b64 exec, exec, s[28:29]
	s_and_b64 s[24:25], s[24:25], exec
	s_or_saveexec_b64 s[26:27], s[26:27]
	v_mov_b32_e32 v6, 0x7f800001
	s_xor_b64 exec, exec, s[26:27]
	s_cbranch_execnz .LBB166_1993
.LBB166_1976:
	s_or_b64 exec, exec, s[26:27]
	s_and_saveexec_b64 s[26:27], s[24:25]
	s_cbranch_execz .LBB166_1978
.LBB166_1977:
	v_lshlrev_b32_e32 v6, 24, v5
	v_and_b32_e32 v5, 0xffff, v5
	v_and_b32_e32 v7, 7, v5
	v_ffbh_u32_e32 v9, v7
	v_min_u32_e32 v9, 32, v9
	v_subrev_u32_e32 v10, 28, v9
	v_bfe_u32 v8, v5, 3, 4
	v_lshlrev_b32_e32 v5, v10, v5
	v_sub_u32_e32 v9, 29, v9
	v_and_b32_e32 v5, 7, v5
	v_cmp_eq_u32_e32 vcc, 0, v8
	v_cndmask_b32_e32 v8, v8, v9, vcc
	v_cndmask_b32_e32 v5, v7, v5, vcc
	v_mov_b32_e32 v7, 0x3b800000
	v_lshlrev_b32_e32 v5, 20, v5
	v_and_b32_e32 v6, 0x80000000, v6
	v_lshl_add_u32 v7, v8, 23, v7
	v_or3_b32 v6, v6, v7, v5
.LBB166_1978:
	s_or_b64 exec, exec, s[26:27]
	v_bfe_u32 v5, v6, 16, 1
	s_movk_i32 s24, 0x7fff
	v_add3_u32 v5, v6, v5, s24
	v_cmp_o_f32_e32 vcc, v6, v6
	v_mov_b32_e32 v6, 0x7fc0
	v_cndmask_b32_sdwa v5, v6, v5, vcc dst_sel:DWORD dst_unused:UNUSED_PAD src0_sel:DWORD src1_sel:WORD_1
.LBB166_1979:
	s_mov_b64 s[24:25], -1
	v_mov_b32_e32 v6, 0
.LBB166_1980:
	s_branch .LBB166_1879
.LBB166_1981:
	s_cmp_gt_i32 s15, 22
	s_cbranch_scc0 .LBB166_1991
; %bb.1982:
	s_cmp_lt_i32 s15, 24
	s_cbranch_scc1 .LBB166_1994
; %bb.1983:
	s_cmp_gt_i32 s15, 24
	s_cbranch_scc0 .LBB166_1995
; %bb.1984:
	global_load_ubyte v5, v[0:1], off
	s_movk_i32 s22, 0x7f
	s_waitcnt vmcnt(0)
	v_cmp_lt_i16_e32 vcc, s22, v5
	s_mov_b64 s[22:23], 0
	s_and_saveexec_b64 s[24:25], vcc
	s_xor_b64 s[24:25], exec, s[24:25]
	s_cbranch_execz .LBB166_2007
; %bb.1985:
	s_movk_i32 s22, 0x80
	v_cmp_eq_u16_e32 vcc, s22, v5
	s_mov_b64 s[22:23], -1
	s_and_saveexec_b64 s[26:27], vcc
; %bb.1986:
	s_xor_b64 s[22:23], exec, -1
; %bb.1987:
	s_or_b64 exec, exec, s[26:27]
	s_and_b64 s[22:23], s[22:23], exec
	s_or_saveexec_b64 s[24:25], s[24:25]
	v_mov_b32_e32 v6, 0x7f800001
	s_xor_b64 exec, exec, s[24:25]
	s_cbranch_execnz .LBB166_2008
.LBB166_1988:
	s_or_b64 exec, exec, s[24:25]
	s_and_saveexec_b64 s[24:25], s[22:23]
	s_cbranch_execz .LBB166_1990
.LBB166_1989:
	v_lshlrev_b32_e32 v6, 24, v5
	v_and_b32_e32 v5, 0xffff, v5
	v_and_b32_e32 v7, 3, v5
	v_ffbh_u32_e32 v9, v7
	v_min_u32_e32 v9, 32, v9
	v_subrev_u32_e32 v10, 29, v9
	v_bfe_u32 v8, v5, 2, 5
	v_lshlrev_b32_e32 v5, v10, v5
	v_sub_u32_e32 v9, 30, v9
	v_and_b32_e32 v5, 3, v5
	v_cmp_eq_u32_e32 vcc, 0, v8
	v_cndmask_b32_e32 v8, v8, v9, vcc
	v_cndmask_b32_e32 v5, v7, v5, vcc
	v_mov_b32_e32 v7, 0x37800000
	v_lshlrev_b32_e32 v5, 21, v5
	v_and_b32_e32 v6, 0x80000000, v6
	v_lshl_add_u32 v7, v8, 23, v7
	v_or3_b32 v6, v6, v7, v5
.LBB166_1990:
	s_or_b64 exec, exec, s[24:25]
	v_bfe_u32 v5, v6, 16, 1
	s_movk_i32 s22, 0x7fff
	v_add3_u32 v5, v6, v5, s22
	v_cmp_o_f32_e32 vcc, v6, v6
	v_mov_b32_e32 v6, 0x7fc0
	v_cndmask_b32_sdwa v5, v6, v5, vcc dst_sel:DWORD dst_unused:UNUSED_PAD src0_sel:DWORD src1_sel:WORD_1
	s_mov_b64 s[22:23], 0
	s_branch .LBB166_1996
.LBB166_1991:
	s_mov_b64 s[22:23], -1
                                        ; implicit-def: $vgpr5
	s_branch .LBB166_2002
.LBB166_1992:
	s_or_saveexec_b64 s[26:27], s[26:27]
	v_mov_b32_e32 v6, 0x7f800001
	s_xor_b64 exec, exec, s[26:27]
	s_cbranch_execz .LBB166_1976
.LBB166_1993:
	v_cmp_ne_u16_e32 vcc, 0, v5
	s_andn2_b64 s[24:25], s[24:25], exec
	s_and_b64 s[28:29], vcc, exec
	v_mov_b32_e32 v6, 0
	s_or_b64 s[24:25], s[24:25], s[28:29]
	s_or_b64 exec, exec, s[26:27]
	s_and_saveexec_b64 s[26:27], s[24:25]
	s_cbranch_execnz .LBB166_1977
	s_branch .LBB166_1978
.LBB166_1994:
	s_mov_b64 s[22:23], -1
                                        ; implicit-def: $vgpr5
	s_branch .LBB166_1999
.LBB166_1995:
	s_mov_b64 s[22:23], -1
                                        ; implicit-def: $vgpr5
.LBB166_1996:
	s_and_b64 vcc, exec, s[22:23]
	s_cbranch_vccz .LBB166_1998
; %bb.1997:
	global_load_ubyte v5, v[0:1], off
	s_mov_b32 s22, 0x7f800000
	s_brev_b32 s23, 1
	s_movk_i32 s24, 0x7fff
	s_waitcnt vmcnt(0)
	v_lshlrev_b32_e32 v5, 24, v5
	v_and_b32_e32 v6, 0x7f000000, v5
	v_ffbh_u32_e32 v7, v6
	v_min_u32_e32 v7, 32, v7
	v_sub_u32_e64 v7, v7, 4 clamp
	v_lshlrev_b32_e32 v9, v7, v6
	v_lshlrev_b32_e32 v7, 23, v7
	v_lshrrev_b32_e32 v9, 4, v9
	v_add_u32_e32 v8, 0x1000000, v6
	v_sub_u32_e32 v7, v9, v7
	v_ashrrev_i32_e32 v8, 8, v8
	v_add_u32_e32 v7, 0x3c000000, v7
	v_and_or_b32 v7, v8, s22, v7
	v_cmp_ne_u32_e32 vcc, 0, v6
	v_cndmask_b32_e32 v6, 0, v7, vcc
	v_and_or_b32 v5, v5, s23, v6
	v_bfe_u32 v6, v6, 16, 1
	v_add3_u32 v6, v5, v6, s24
	v_cmp_o_f32_e32 vcc, v5, v5
	v_mov_b32_e32 v5, 0x7fc0
	v_cndmask_b32_sdwa v5, v5, v6, vcc dst_sel:DWORD dst_unused:UNUSED_PAD src0_sel:DWORD src1_sel:WORD_1
.LBB166_1998:
	s_mov_b64 s[22:23], 0
.LBB166_1999:
	s_andn2_b64 vcc, exec, s[22:23]
	s_cbranch_vccnz .LBB166_2001
; %bb.2000:
	global_load_ubyte v5, v[0:1], off
	s_movk_i32 s22, 0x7f00
	s_brev_b32 s23, 16
	s_brev_b32 s24, 1
	s_movk_i32 s25, 0x7fff
	s_waitcnt vmcnt(0)
	v_lshlrev_b16_e32 v6, 8, v5
	v_lshlrev_b32_e32 v5, 25, v5
	v_lshrrev_b32_e32 v7, 4, v5
	v_and_or_b32 v8, v6, s22, 0.5
	v_or_b32_e32 v7, 0x70000000, v7
	v_add_f32_e32 v8, -0.5, v8
	v_mul_f32_e32 v7, 0x7800000, v7
	v_cmp_gt_u32_e32 vcc, s23, v5
	v_bfe_i32 v6, v6, 0, 16
	v_cndmask_b32_e32 v5, v7, v8, vcc
	v_and_or_b32 v6, v6, s24, v5
	v_bfe_u32 v5, v5, 16, 1
	v_add3_u32 v5, v6, v5, s25
	v_cmp_o_f32_e32 vcc, v6, v6
	v_mov_b32_e32 v6, 0x7fc0
	v_cndmask_b32_sdwa v5, v6, v5, vcc dst_sel:DWORD dst_unused:UNUSED_PAD src0_sel:DWORD src1_sel:WORD_1
.LBB166_2001:
	s_mov_b64 s[22:23], 0
	s_mov_b64 s[24:25], -1
.LBB166_2002:
	s_andn2_b64 vcc, exec, s[22:23]
	s_mov_b64 s[22:23], 0
	s_cbranch_vccnz .LBB166_2013
; %bb.2003:
	s_cmp_gt_i32 s15, 14
	s_cbranch_scc0 .LBB166_2006
; %bb.2004:
	s_cmp_eq_u32 s15, 15
	s_cbranch_scc0 .LBB166_2009
; %bb.2005:
	global_load_ushort v5, v[0:1], off
	s_mov_b64 s[0:1], 0
	s_mov_b64 s[24:25], -1
	s_branch .LBB166_2010
.LBB166_2006:
	s_mov_b64 s[26:27], -1
                                        ; implicit-def: $vgpr5
	s_branch .LBB166_2011
.LBB166_2007:
	s_or_saveexec_b64 s[24:25], s[24:25]
	v_mov_b32_e32 v6, 0x7f800001
	s_xor_b64 exec, exec, s[24:25]
	s_cbranch_execz .LBB166_1988
.LBB166_2008:
	v_cmp_ne_u16_e32 vcc, 0, v5
	s_andn2_b64 s[22:23], s[22:23], exec
	s_and_b64 s[26:27], vcc, exec
	v_mov_b32_e32 v6, 0
	s_or_b64 s[22:23], s[22:23], s[26:27]
	s_or_b64 exec, exec, s[24:25]
	s_and_saveexec_b64 s[24:25], s[22:23]
	s_cbranch_execnz .LBB166_1989
	s_branch .LBB166_1990
.LBB166_2009:
	s_mov_b64 s[0:1], -1
                                        ; implicit-def: $vgpr5
.LBB166_2010:
	s_mov_b64 s[26:27], 0
.LBB166_2011:
	s_and_b64 vcc, exec, s[26:27]
	s_cbranch_vccz .LBB166_2013
; %bb.2012:
	s_cmp_lg_u32 s15, 11
	s_mov_b64 s[22:23], -1
	s_cselect_b64 s[0:1], -1, 0
.LBB166_2013:
	v_mov_b32_e32 v6, 0
	s_and_b64 vcc, exec, s[0:1]
	s_cbranch_vccz .LBB166_1880
.LBB166_2014:
	s_trap 2
	s_or_b64 s[18:19], s[18:19], exec
	s_cbranch_execz .LBB166_1881
	s_branch .LBB166_1882
.LBB166_2015:
	s_mov_b64 s[0:1], -1
                                        ; implicit-def: $vgpr8
                                        ; implicit-def: $vgpr7
	s_mov_b64 s[22:23], 0
.LBB166_2016:
	s_and_b64 vcc, exec, s[24:25]
	s_cbranch_vccz .LBB166_2021
; %bb.2017:
	s_cmp_eq_u32 s28, 44
	s_cbranch_scc0 .LBB166_2019
; %bb.2018:
	global_load_ubyte v7, v[0:1], off
	s_movk_i32 s22, 0xff
	v_mov_b32_e32 v8, 0x7f800001
	v_mov_b32_e32 v9, 0x400000
	;; [unrolled: 1-line block ×3, first 2 shown]
	s_mov_b64 s[0:1], 0
	s_waitcnt vmcnt(0)
	v_lshlrev_b32_e32 v11, 23, v7
	v_cmp_ne_u32_e32 vcc, s22, v7
	v_cndmask_b32_e32 v8, v8, v11, vcc
	v_cmp_ne_u32_e32 vcc, 0, v7
	v_cndmask_b32_e32 v7, v9, v8, vcc
	v_add_u32_e32 v8, 0x7fff, v7
	v_cmp_o_f32_e32 vcc, v7, v7
	v_cndmask_b32_sdwa v7, v10, v8, vcc dst_sel:DWORD dst_unused:UNUSED_PAD src0_sel:DWORD src1_sel:WORD_1
	s_mov_b64 s[22:23], -1
	s_branch .LBB166_2020
.LBB166_2019:
	s_mov_b64 s[0:1], -1
                                        ; implicit-def: $vgpr7
.LBB166_2020:
	v_mov_b32_e32 v8, 0
.LBB166_2021:
	s_mov_b64 s[24:25], 0
.LBB166_2022:
	s_and_b64 vcc, exec, s[24:25]
	s_cbranch_vccz .LBB166_2027
; %bb.2023:
	s_cmp_eq_u32 s28, 29
	s_cbranch_scc0 .LBB166_2025
; %bb.2024:
	global_load_dwordx2 v[7:8], v[0:1], off
	s_movk_i32 s22, 0x7fff
	s_mov_b64 s[0:1], 0
	s_waitcnt vmcnt(0)
	v_ffbh_u32_e32 v9, v8
	v_min_u32_e32 v9, 32, v9
	v_lshlrev_b64 v[7:8], v9, v[7:8]
	v_min_u32_e32 v7, 1, v7
	v_or_b32_e32 v7, v8, v7
	v_cvt_f32_u32_e32 v7, v7
	v_sub_u32_e32 v8, 32, v9
	v_ldexp_f32 v7, v7, v8
	v_bfe_u32 v8, v7, 16, 1
	v_add3_u32 v7, v7, v8, s22
	v_lshrrev_b32_e32 v7, 16, v7
	s_mov_b64 s[22:23], -1
	s_branch .LBB166_2026
.LBB166_2025:
	s_mov_b64 s[0:1], -1
                                        ; implicit-def: $vgpr7
.LBB166_2026:
	v_mov_b32_e32 v8, 0
.LBB166_2027:
	s_mov_b64 s[24:25], 0
.LBB166_2028:
	s_and_b64 vcc, exec, s[24:25]
	s_cbranch_vccz .LBB166_2046
; %bb.2029:
	s_cmp_lt_i32 s28, 27
	s_cbranch_scc1 .LBB166_2032
; %bb.2030:
	s_cmp_gt_i32 s28, 27
	s_cbranch_scc0 .LBB166_2033
; %bb.2031:
	global_load_dword v7, v[0:1], off
	s_movk_i32 s22, 0x7fff
	s_waitcnt vmcnt(0)
	v_cvt_f32_u32_e32 v7, v7
	v_bfe_u32 v8, v7, 16, 1
	v_add3_u32 v7, v7, v8, s22
	v_lshrrev_b32_e32 v7, 16, v7
	s_mov_b64 s[22:23], 0
	s_branch .LBB166_2034
.LBB166_2032:
	s_mov_b64 s[22:23], -1
                                        ; implicit-def: $vgpr7
	s_branch .LBB166_2037
.LBB166_2033:
	s_mov_b64 s[22:23], -1
                                        ; implicit-def: $vgpr7
.LBB166_2034:
	s_andn2_b64 vcc, exec, s[22:23]
	s_cbranch_vccnz .LBB166_2036
; %bb.2035:
	global_load_ushort v7, v[0:1], off
	s_movk_i32 s22, 0x7fff
	s_waitcnt vmcnt(0)
	v_cvt_f32_u32_e32 v7, v7
	v_bfe_u32 v8, v7, 16, 1
	v_add3_u32 v7, v7, v8, s22
	v_lshrrev_b32_e32 v7, 16, v7
.LBB166_2036:
	s_mov_b64 s[22:23], 0
.LBB166_2037:
	s_andn2_b64 vcc, exec, s[22:23]
	s_cbranch_vccnz .LBB166_2045
; %bb.2038:
	global_load_ubyte v7, v[0:1], off
	s_movk_i32 s22, 0x7f
	s_waitcnt vmcnt(0)
	v_cmp_lt_i16_e32 vcc, s22, v7
	s_mov_b64 s[22:23], 0
	s_and_saveexec_b64 s[24:25], vcc
	s_xor_b64 s[24:25], exec, s[24:25]
	s_cbranch_execz .LBB166_2071
; %bb.2039:
	s_movk_i32 s22, 0x80
	v_cmp_eq_u16_e32 vcc, s22, v7
	s_mov_b64 s[22:23], -1
	s_and_saveexec_b64 s[26:27], vcc
; %bb.2040:
	s_xor_b64 s[22:23], exec, -1
; %bb.2041:
	s_or_b64 exec, exec, s[26:27]
	s_and_b64 s[22:23], s[22:23], exec
	s_or_saveexec_b64 s[24:25], s[24:25]
	v_mov_b32_e32 v8, 0x7f800001
	s_xor_b64 exec, exec, s[24:25]
	s_cbranch_execnz .LBB166_2072
.LBB166_2042:
	s_or_b64 exec, exec, s[24:25]
	s_and_saveexec_b64 s[24:25], s[22:23]
	s_cbranch_execz .LBB166_2044
.LBB166_2043:
	v_lshlrev_b32_e32 v8, 24, v7
	v_and_b32_e32 v7, 0xffff, v7
	v_and_b32_e32 v9, 7, v7
	v_ffbh_u32_e32 v11, v9
	v_min_u32_e32 v11, 32, v11
	v_subrev_u32_e32 v12, 28, v11
	v_bfe_u32 v10, v7, 3, 4
	v_lshlrev_b32_e32 v7, v12, v7
	v_sub_u32_e32 v11, 29, v11
	v_and_b32_e32 v7, 7, v7
	v_cmp_eq_u32_e32 vcc, 0, v10
	v_cndmask_b32_e32 v10, v10, v11, vcc
	v_cndmask_b32_e32 v7, v9, v7, vcc
	v_mov_b32_e32 v9, 0x3b800000
	v_lshlrev_b32_e32 v7, 20, v7
	v_and_b32_e32 v8, 0x80000000, v8
	v_lshl_add_u32 v9, v10, 23, v9
	v_or3_b32 v8, v8, v9, v7
.LBB166_2044:
	s_or_b64 exec, exec, s[24:25]
	v_bfe_u32 v7, v8, 16, 1
	s_movk_i32 s22, 0x7fff
	v_add3_u32 v7, v8, v7, s22
	v_cmp_o_f32_e32 vcc, v8, v8
	v_mov_b32_e32 v8, 0x7fc0
	v_cndmask_b32_sdwa v7, v8, v7, vcc dst_sel:DWORD dst_unused:UNUSED_PAD src0_sel:DWORD src1_sel:WORD_1
.LBB166_2045:
	s_mov_b64 s[22:23], -1
	v_mov_b32_e32 v8, 0
.LBB166_2046:
	s_mov_b64 s[24:25], 0
.LBB166_2047:
	s_and_b64 vcc, exec, s[24:25]
	s_cbranch_vccz .LBB166_2058
; %bb.2048:
	s_cmp_gt_i32 s28, 22
	s_cbranch_scc0 .LBB166_2069
; %bb.2049:
	s_cmp_lt_i32 s28, 24
	s_cbranch_scc1 .LBB166_2073
; %bb.2050:
	s_cmp_gt_i32 s28, 24
	s_cbranch_scc0 .LBB166_2075
; %bb.2051:
	global_load_ubyte v7, v[0:1], off
	s_movk_i32 s14, 0x7f
	s_waitcnt vmcnt(0)
	v_cmp_lt_i16_e32 vcc, s14, v7
	s_mov_b64 s[14:15], 0
	s_and_saveexec_b64 s[22:23], vcc
	s_xor_b64 s[22:23], exec, s[22:23]
	s_cbranch_execz .LBB166_2087
; %bb.2052:
	s_movk_i32 s14, 0x80
	v_cmp_eq_u16_e32 vcc, s14, v7
	s_mov_b64 s[14:15], -1
	s_and_saveexec_b64 s[24:25], vcc
; %bb.2053:
	s_xor_b64 s[14:15], exec, -1
; %bb.2054:
	s_or_b64 exec, exec, s[24:25]
	s_and_b64 s[14:15], s[14:15], exec
	s_or_saveexec_b64 s[22:23], s[22:23]
	v_mov_b32_e32 v8, 0x7f800001
	s_xor_b64 exec, exec, s[22:23]
	s_cbranch_execnz .LBB166_2088
.LBB166_2055:
	s_or_b64 exec, exec, s[22:23]
	s_and_saveexec_b64 s[22:23], s[14:15]
	s_cbranch_execz .LBB166_2057
.LBB166_2056:
	v_lshlrev_b32_e32 v8, 24, v7
	v_and_b32_e32 v7, 0xffff, v7
	v_and_b32_e32 v9, 3, v7
	v_ffbh_u32_e32 v11, v9
	v_min_u32_e32 v11, 32, v11
	v_subrev_u32_e32 v12, 29, v11
	v_bfe_u32 v10, v7, 2, 5
	v_lshlrev_b32_e32 v7, v12, v7
	v_sub_u32_e32 v11, 30, v11
	v_and_b32_e32 v7, 3, v7
	v_cmp_eq_u32_e32 vcc, 0, v10
	v_cndmask_b32_e32 v10, v10, v11, vcc
	v_cndmask_b32_e32 v7, v9, v7, vcc
	v_mov_b32_e32 v9, 0x37800000
	v_lshlrev_b32_e32 v7, 21, v7
	v_and_b32_e32 v8, 0x80000000, v8
	v_lshl_add_u32 v9, v10, 23, v9
	v_or3_b32 v8, v8, v9, v7
.LBB166_2057:
	s_or_b64 exec, exec, s[22:23]
	v_bfe_u32 v7, v8, 16, 1
	s_movk_i32 s14, 0x7fff
	v_add3_u32 v7, v8, v7, s14
	v_cmp_o_f32_e32 vcc, v8, v8
	v_mov_b32_e32 v8, 0x7fc0
	v_cndmask_b32_sdwa v7, v8, v7, vcc dst_sel:DWORD dst_unused:UNUSED_PAD src0_sel:DWORD src1_sel:WORD_1
	s_mov_b64 s[14:15], 0
	s_branch .LBB166_2076
.LBB166_2058:
	s_and_b64 vcc, exec, s[0:1]
	s_cbranch_vccnz .LBB166_2106
.LBB166_2059:
	s_andn2_b64 vcc, exec, s[14:15]
	s_cbranch_vccnz .LBB166_2061
.LBB166_2060:
	global_load_ubyte v7, v[0:1], off
	s_mov_b64 s[22:23], -1
	v_mov_b32_e32 v8, 0
	s_waitcnt vmcnt(0)
	v_cmp_ne_u16_e32 vcc, 0, v7
	v_cndmask_b32_e64 v7, 0, 1.0, vcc
	v_lshrrev_b32_e32 v7, 16, v7
.LBB166_2061:
	s_mov_b64 s[0:1], 0
.LBB166_2062:
	s_and_b64 vcc, exec, s[0:1]
	s_cbranch_vccz .LBB166_2137
; %bb.2063:
	s_and_b32 s14, 0xffff, s31
	s_cmp_lt_i32 s14, 5
	s_cbranch_scc1 .LBB166_2068
; %bb.2064:
	s_cmp_lt_i32 s14, 8
	s_cbranch_scc1 .LBB166_2070
; %bb.2065:
	;; [unrolled: 3-line block ×3, first 2 shown]
	s_cmp_gt_i32 s14, 9
	s_cbranch_scc0 .LBB166_2089
; %bb.2067:
	global_load_dwordx4 v[7:10], v[0:1], off
	s_movk_i32 s0, 0x7fff
	s_waitcnt vmcnt(0)
	v_cvt_f32_f64_e32 v7, v[7:8]
	v_cvt_f32_f64_e32 v8, v[9:10]
	v_mov_b32_e32 v9, 0x7fc0
	v_mov_b32_e32 v10, 0x7fc00000
	v_bfe_u32 v11, v7, 16, 1
	v_bfe_u32 v12, v8, 16, 1
	v_cmp_o_f32_e32 vcc, v7, v7
	v_add3_u32 v7, v7, v11, s0
	v_add3_u32 v11, v8, v12, s0
	v_cndmask_b32_sdwa v7, v9, v7, vcc dst_sel:DWORD dst_unused:UNUSED_PAD src0_sel:DWORD src1_sel:WORD_1
	v_and_b32_e32 v9, 0xffff0000, v11
	v_cmp_o_f32_e32 vcc, v8, v8
	v_cndmask_b32_e32 v8, v10, v9, vcc
	s_mov_b64 s[0:1], 0
	s_branch .LBB166_2090
.LBB166_2068:
	s_mov_b64 s[0:1], -1
                                        ; implicit-def: $vgpr8
                                        ; implicit-def: $vgpr7
	s_branch .LBB166_2115
.LBB166_2069:
	s_mov_b64 s[14:15], -1
                                        ; implicit-def: $vgpr7
	s_branch .LBB166_2082
.LBB166_2070:
	s_mov_b64 s[0:1], -1
                                        ; implicit-def: $vgpr8
                                        ; implicit-def: $vgpr7
	s_branch .LBB166_2096
.LBB166_2071:
	s_or_saveexec_b64 s[24:25], s[24:25]
	v_mov_b32_e32 v8, 0x7f800001
	s_xor_b64 exec, exec, s[24:25]
	s_cbranch_execz .LBB166_2042
.LBB166_2072:
	v_cmp_ne_u16_e32 vcc, 0, v7
	s_andn2_b64 s[22:23], s[22:23], exec
	s_and_b64 s[26:27], vcc, exec
	v_mov_b32_e32 v8, 0
	s_or_b64 s[22:23], s[22:23], s[26:27]
	s_or_b64 exec, exec, s[24:25]
	s_and_saveexec_b64 s[24:25], s[22:23]
	s_cbranch_execnz .LBB166_2043
	s_branch .LBB166_2044
.LBB166_2073:
	s_mov_b64 s[14:15], -1
                                        ; implicit-def: $vgpr7
	s_branch .LBB166_2079
.LBB166_2074:
	s_mov_b64 s[0:1], -1
                                        ; implicit-def: $vgpr8
                                        ; implicit-def: $vgpr7
	s_branch .LBB166_2093
.LBB166_2075:
	s_mov_b64 s[14:15], -1
                                        ; implicit-def: $vgpr7
.LBB166_2076:
	s_and_b64 vcc, exec, s[14:15]
	s_cbranch_vccz .LBB166_2078
; %bb.2077:
	global_load_ubyte v7, v[0:1], off
	s_mov_b32 s14, 0x7f800000
	s_brev_b32 s15, 1
	s_movk_i32 s22, 0x7fff
	s_waitcnt vmcnt(0)
	v_lshlrev_b32_e32 v7, 24, v7
	v_and_b32_e32 v8, 0x7f000000, v7
	v_ffbh_u32_e32 v9, v8
	v_min_u32_e32 v9, 32, v9
	v_sub_u32_e64 v9, v9, 4 clamp
	v_lshlrev_b32_e32 v11, v9, v8
	v_lshlrev_b32_e32 v9, 23, v9
	v_lshrrev_b32_e32 v11, 4, v11
	v_add_u32_e32 v10, 0x1000000, v8
	v_sub_u32_e32 v9, v11, v9
	v_ashrrev_i32_e32 v10, 8, v10
	v_add_u32_e32 v9, 0x3c000000, v9
	v_and_or_b32 v9, v10, s14, v9
	v_cmp_ne_u32_e32 vcc, 0, v8
	v_cndmask_b32_e32 v8, 0, v9, vcc
	v_and_or_b32 v7, v7, s15, v8
	v_bfe_u32 v8, v8, 16, 1
	v_add3_u32 v8, v7, v8, s22
	v_cmp_o_f32_e32 vcc, v7, v7
	v_mov_b32_e32 v7, 0x7fc0
	v_cndmask_b32_sdwa v7, v7, v8, vcc dst_sel:DWORD dst_unused:UNUSED_PAD src0_sel:DWORD src1_sel:WORD_1
.LBB166_2078:
	s_mov_b64 s[14:15], 0
.LBB166_2079:
	s_andn2_b64 vcc, exec, s[14:15]
	s_cbranch_vccnz .LBB166_2081
; %bb.2080:
	global_load_ubyte v7, v[0:1], off
	s_movk_i32 s14, 0x7f00
	s_brev_b32 s15, 16
	s_brev_b32 s22, 1
	s_movk_i32 s23, 0x7fff
	s_waitcnt vmcnt(0)
	v_lshlrev_b16_e32 v8, 8, v7
	v_lshlrev_b32_e32 v7, 25, v7
	v_lshrrev_b32_e32 v9, 4, v7
	v_and_or_b32 v10, v8, s14, 0.5
	v_or_b32_e32 v9, 0x70000000, v9
	v_add_f32_e32 v10, -0.5, v10
	v_mul_f32_e32 v9, 0x7800000, v9
	v_cmp_gt_u32_e32 vcc, s15, v7
	v_bfe_i32 v8, v8, 0, 16
	v_cndmask_b32_e32 v7, v9, v10, vcc
	v_and_or_b32 v8, v8, s22, v7
	v_bfe_u32 v7, v7, 16, 1
	v_add3_u32 v7, v8, v7, s23
	v_cmp_o_f32_e32 vcc, v8, v8
	v_mov_b32_e32 v8, 0x7fc0
	v_cndmask_b32_sdwa v7, v8, v7, vcc dst_sel:DWORD dst_unused:UNUSED_PAD src0_sel:DWORD src1_sel:WORD_1
.LBB166_2081:
	s_mov_b64 s[14:15], 0
	s_mov_b64 s[22:23], -1
.LBB166_2082:
	s_andn2_b64 vcc, exec, s[14:15]
	s_mov_b64 s[14:15], 0
	s_cbranch_vccnz .LBB166_2105
; %bb.2083:
	s_cmp_gt_i32 s28, 14
	s_cbranch_scc0 .LBB166_2086
; %bb.2084:
	s_cmp_eq_u32 s28, 15
	s_cbranch_scc0 .LBB166_2101
; %bb.2085:
	global_load_ushort v7, v[0:1], off
	s_mov_b64 s[0:1], 0
	s_mov_b64 s[22:23], -1
	s_branch .LBB166_2102
.LBB166_2086:
	s_mov_b64 s[24:25], -1
                                        ; implicit-def: $vgpr7
	s_branch .LBB166_2103
.LBB166_2087:
	s_or_saveexec_b64 s[22:23], s[22:23]
	v_mov_b32_e32 v8, 0x7f800001
	s_xor_b64 exec, exec, s[22:23]
	s_cbranch_execz .LBB166_2055
.LBB166_2088:
	v_cmp_ne_u16_e32 vcc, 0, v7
	s_andn2_b64 s[14:15], s[14:15], exec
	s_and_b64 s[24:25], vcc, exec
	v_mov_b32_e32 v8, 0
	s_or_b64 s[14:15], s[14:15], s[24:25]
	s_or_b64 exec, exec, s[22:23]
	s_and_saveexec_b64 s[22:23], s[14:15]
	s_cbranch_execnz .LBB166_2056
	s_branch .LBB166_2057
.LBB166_2089:
	s_mov_b64 s[0:1], -1
                                        ; implicit-def: $vgpr8
                                        ; implicit-def: $vgpr7
.LBB166_2090:
	s_andn2_b64 vcc, exec, s[0:1]
	s_cbranch_vccnz .LBB166_2092
; %bb.2091:
	global_load_dwordx2 v[7:8], v[0:1], off
	s_movk_i32 s0, 0x7fff
	v_mov_b32_e32 v9, 0x7fc0
	v_mov_b32_e32 v10, 0x7fc00000
	s_waitcnt vmcnt(0)
	v_bfe_u32 v11, v7, 16, 1
	v_bfe_u32 v12, v8, 16, 1
	v_cmp_o_f32_e32 vcc, v7, v7
	v_add3_u32 v7, v7, v11, s0
	v_add3_u32 v11, v8, v12, s0
	v_cndmask_b32_sdwa v7, v9, v7, vcc dst_sel:DWORD dst_unused:UNUSED_PAD src0_sel:DWORD src1_sel:WORD_1
	v_and_b32_e32 v9, 0xffff0000, v11
	v_cmp_o_f32_e32 vcc, v8, v8
	v_cndmask_b32_e32 v8, v10, v9, vcc
.LBB166_2092:
	s_mov_b64 s[0:1], 0
.LBB166_2093:
	s_andn2_b64 vcc, exec, s[0:1]
	s_cbranch_vccnz .LBB166_2095
; %bb.2094:
	global_load_dword v8, v[0:1], off
	s_movk_i32 s0, 0x7fff
	s_waitcnt vmcnt(1)
	v_mov_b32_e32 v7, 0x7fc0
	v_mov_b32_e32 v11, 0x7fc00000
	s_waitcnt vmcnt(0)
	v_cvt_f32_f16_e32 v9, v8
	v_cvt_f32_f16_sdwa v10, v8 dst_sel:DWORD dst_unused:UNUSED_PAD src0_sel:WORD_1
	v_cmp_o_f16_e32 vcc, v8, v8
	v_bfe_u32 v12, v9, 16, 1
	v_bfe_u32 v13, v10, 16, 1
	v_add3_u32 v9, v9, v12, s0
	v_add3_u32 v10, v10, v13, s0
	v_cndmask_b32_sdwa v7, v7, v9, vcc dst_sel:DWORD dst_unused:UNUSED_PAD src0_sel:DWORD src1_sel:WORD_1
	v_and_b32_e32 v9, 0xffff0000, v10
	v_cmp_o_f16_sdwa vcc, v8, v8 src0_sel:WORD_1 src1_sel:WORD_1
	v_cndmask_b32_e32 v8, v11, v9, vcc
.LBB166_2095:
	s_mov_b64 s[0:1], 0
.LBB166_2096:
	s_andn2_b64 vcc, exec, s[0:1]
	s_cbranch_vccnz .LBB166_2114
; %bb.2097:
	s_cmp_lt_i32 s14, 6
	s_cbranch_scc1 .LBB166_2100
; %bb.2098:
	s_cmp_gt_i32 s14, 6
	s_cbranch_scc0 .LBB166_2107
; %bb.2099:
	global_load_dwordx2 v[7:8], v[0:1], off
	s_movk_i32 s0, 0x7fff
	s_waitcnt vmcnt(0)
	v_cvt_f32_f64_e32 v7, v[7:8]
	v_mov_b32_e32 v8, 0x7fc0
	v_bfe_u32 v9, v7, 16, 1
	v_cmp_o_f32_e32 vcc, v7, v7
	v_add3_u32 v7, v7, v9, s0
	v_cndmask_b32_sdwa v7, v8, v7, vcc dst_sel:DWORD dst_unused:UNUSED_PAD src0_sel:DWORD src1_sel:WORD_1
	s_mov_b64 s[0:1], 0
	s_branch .LBB166_2108
.LBB166_2100:
	s_mov_b64 s[0:1], -1
                                        ; implicit-def: $vgpr7
	s_branch .LBB166_2111
.LBB166_2101:
	s_mov_b64 s[0:1], -1
                                        ; implicit-def: $vgpr7
.LBB166_2102:
	s_mov_b64 s[24:25], 0
.LBB166_2103:
	s_and_b64 vcc, exec, s[24:25]
	s_cbranch_vccz .LBB166_2105
; %bb.2104:
	s_cmp_lg_u32 s28, 11
	s_mov_b64 s[14:15], -1
	s_cselect_b64 s[0:1], -1, 0
.LBB166_2105:
	v_mov_b32_e32 v8, 0
	s_and_b64 vcc, exec, s[0:1]
	s_cbranch_vccz .LBB166_2059
.LBB166_2106:
	s_trap 2
	s_or_b64 s[18:19], s[18:19], exec
	s_cbranch_execz .LBB166_2060
	s_branch .LBB166_2061
.LBB166_2107:
	s_mov_b64 s[0:1], -1
                                        ; implicit-def: $vgpr7
.LBB166_2108:
	s_andn2_b64 vcc, exec, s[0:1]
	s_cbranch_vccnz .LBB166_2110
; %bb.2109:
	global_load_dword v7, v[0:1], off
	s_movk_i32 s0, 0x7fff
	v_mov_b32_e32 v8, 0x7fc0
	s_waitcnt vmcnt(0)
	v_bfe_u32 v9, v7, 16, 1
	v_cmp_o_f32_e32 vcc, v7, v7
	v_add3_u32 v7, v7, v9, s0
	v_cndmask_b32_sdwa v7, v8, v7, vcc dst_sel:DWORD dst_unused:UNUSED_PAD src0_sel:DWORD src1_sel:WORD_1
.LBB166_2110:
	s_mov_b64 s[0:1], 0
.LBB166_2111:
	s_andn2_b64 vcc, exec, s[0:1]
	s_cbranch_vccnz .LBB166_2113
; %bb.2112:
	global_load_ushort v7, v[0:1], off
	s_movk_i32 s0, 0x7fff
	v_mov_b32_e32 v9, 0x7fc0
	s_waitcnt vmcnt(0)
	v_cvt_f32_f16_e32 v8, v7
	v_cmp_o_f16_e32 vcc, v7, v7
	v_bfe_u32 v7, v8, 16, 1
	v_add3_u32 v7, v8, v7, s0
	v_cndmask_b32_sdwa v7, v9, v7, vcc dst_sel:DWORD dst_unused:UNUSED_PAD src0_sel:DWORD src1_sel:WORD_1
.LBB166_2113:
	v_mov_b32_e32 v8, 0
.LBB166_2114:
	s_mov_b64 s[0:1], 0
.LBB166_2115:
	s_andn2_b64 vcc, exec, s[0:1]
	s_cbranch_vccnz .LBB166_2136
; %bb.2116:
	s_cmp_lt_i32 s14, 2
	s_cbranch_scc1 .LBB166_2120
; %bb.2117:
	s_cmp_lt_i32 s14, 3
	s_cbranch_scc1 .LBB166_2121
; %bb.2118:
	s_cmp_gt_i32 s14, 3
	s_cbranch_scc0 .LBB166_2122
; %bb.2119:
	global_load_dwordx2 v[7:8], v[0:1], off
	s_movk_i32 s0, 0x7fff
	s_waitcnt vmcnt(0)
	v_xor_b32_e32 v10, v7, v8
	v_ffbh_i32_e32 v9, v8
	v_ashrrev_i32_e32 v10, 31, v10
	v_add_u32_e32 v9, -1, v9
	v_add_u32_e32 v10, 32, v10
	v_min_u32_e32 v9, v9, v10
	v_lshlrev_b64 v[7:8], v9, v[7:8]
	v_min_u32_e32 v7, 1, v7
	v_or_b32_e32 v7, v8, v7
	v_cvt_f32_i32_e32 v7, v7
	v_sub_u32_e32 v8, 32, v9
	v_ldexp_f32 v7, v7, v8
	v_bfe_u32 v8, v7, 16, 1
	v_add3_u32 v7, v7, v8, s0
	v_lshrrev_b32_e32 v7, 16, v7
	s_mov_b64 s[0:1], 0
	s_branch .LBB166_2123
.LBB166_2120:
	s_mov_b64 s[0:1], -1
                                        ; implicit-def: $vgpr7
	s_branch .LBB166_2129
.LBB166_2121:
	s_mov_b64 s[0:1], -1
                                        ; implicit-def: $vgpr7
	s_branch .LBB166_2126
.LBB166_2122:
	s_mov_b64 s[0:1], -1
                                        ; implicit-def: $vgpr7
.LBB166_2123:
	s_andn2_b64 vcc, exec, s[0:1]
	s_cbranch_vccnz .LBB166_2125
; %bb.2124:
	global_load_dword v7, v[0:1], off
	s_movk_i32 s0, 0x7fff
	s_waitcnt vmcnt(0)
	v_cvt_f32_i32_e32 v7, v7
	v_bfe_u32 v8, v7, 16, 1
	v_add3_u32 v7, v7, v8, s0
	v_lshrrev_b32_e32 v7, 16, v7
.LBB166_2125:
	s_mov_b64 s[0:1], 0
.LBB166_2126:
	s_andn2_b64 vcc, exec, s[0:1]
	s_cbranch_vccnz .LBB166_2128
; %bb.2127:
	global_load_sshort v7, v[0:1], off
	s_movk_i32 s0, 0x7fff
	s_waitcnt vmcnt(0)
	v_cvt_f32_i32_e32 v7, v7
	v_bfe_u32 v8, v7, 16, 1
	v_add3_u32 v7, v7, v8, s0
	v_lshrrev_b32_e32 v7, 16, v7
.LBB166_2128:
	s_mov_b64 s[0:1], 0
.LBB166_2129:
	s_andn2_b64 vcc, exec, s[0:1]
	s_cbranch_vccnz .LBB166_2135
; %bb.2130:
	s_cmp_gt_i32 s14, 0
	s_cbranch_scc0 .LBB166_2132
; %bb.2131:
	global_load_sbyte v7, v[0:1], off
	s_movk_i32 s0, 0x7fff
	s_waitcnt vmcnt(0)
	v_cvt_f32_i32_e32 v7, v7
	v_bfe_u32 v8, v7, 16, 1
	v_add3_u32 v7, v7, v8, s0
	v_lshrrev_b32_e32 v7, 16, v7
	s_mov_b64 s[0:1], 0
	s_branch .LBB166_2133
.LBB166_2132:
	s_mov_b64 s[0:1], -1
                                        ; implicit-def: $vgpr7
.LBB166_2133:
	s_andn2_b64 vcc, exec, s[0:1]
	s_cbranch_vccnz .LBB166_2135
; %bb.2134:
	global_load_ubyte v0, v[0:1], off
	s_movk_i32 s0, 0x7fff
	s_waitcnt vmcnt(0)
	v_cvt_f32_ubyte0_e32 v0, v0
	v_bfe_u32 v1, v0, 16, 1
	v_add3_u32 v0, v0, v1, s0
	v_lshrrev_b32_e32 v7, 16, v0
.LBB166_2135:
	v_mov_b32_e32 v8, 0
.LBB166_2136:
	s_mov_b64 s[22:23], -1
.LBB166_2137:
	s_andn2_b64 vcc, exec, s[22:23]
	s_cbranch_vccnz .LBB166_2692
; %bb.2138:
	s_waitcnt vmcnt(0)
	v_or_b32_sdwa v0, v6, v5 dst_sel:DWORD dst_unused:UNUSED_PAD src0_sel:DWORD src1_sel:WORD_0
	v_or_b32_sdwa v1, v8, v7 dst_sel:DWORD dst_unused:UNUSED_PAD src0_sel:DWORD src1_sel:WORD_0
	s_and_b64 vcc, exec, s[20:21]
	v_lshlrev_b32_e32 v0, 16, v0
	v_lshlrev_b32_e32 v1, 16, v1
	s_cbranch_vccz .LBB166_2140
; %bb.2139:
	v_and_b32_e32 v5, 0xffff0000, v6
	v_and_b32_e32 v7, 0xffff0000, v8
	v_cmp_neq_f32_e32 vcc, v0, v1
	v_cmp_neq_f32_e64 s[0:1], v5, v7
	s_or_b64 s[14:15], vcc, s[0:1]
	s_mov_b64 s[0:1], 0
	s_branch .LBB166_2141
.LBB166_2140:
	s_mov_b64 s[0:1], -1
                                        ; implicit-def: $sgpr14_sgpr15
.LBB166_2141:
	s_andn2_b64 vcc, exec, s[0:1]
	s_cbranch_vccnz .LBB166_2143
; %bb.2142:
	v_and_b32_e32 v5, 0xffff0000, v8
	v_and_b32_e32 v6, 0xffff0000, v6
	v_cmp_eq_f32_e32 vcc, v0, v1
	v_cmp_eq_f32_e64 s[0:1], v6, v5
	s_and_b64 s[0:1], vcc, s[0:1]
	s_andn2_b64 s[14:15], s[14:15], exec
	s_and_b64 s[0:1], s[0:1], exec
	s_or_b64 s[14:15], s[14:15], s[0:1]
.LBB166_2143:
	v_add_u32_e32 v3, s13, v3
	v_ashrrev_i32_e32 v1, 31, v3
	v_mov_b32_e32 v5, s11
	v_add_co_u32_e32 v0, vcc, s10, v3
	s_cmp_lt_i32 s30, 11
	v_addc_co_u32_e32 v1, vcc, v5, v1, vcc
	s_cbranch_scc1 .LBB166_2150
; %bb.2144:
	s_and_b32 s35, 0xffff, s30
	s_cmp_gt_i32 s35, 25
	s_mov_b64 s[22:23], 0
	s_cbranch_scc0 .LBB166_2151
; %bb.2145:
	s_cmp_gt_i32 s35, 28
	s_cbranch_scc0 .LBB166_2152
; %bb.2146:
	s_cmp_gt_i32 s35, 43
	;; [unrolled: 3-line block ×3, first 2 shown]
	s_cbranch_scc0 .LBB166_2154
; %bb.2148:
	s_cmp_eq_u32 s35, 46
	s_mov_b64 s[26:27], 0
	s_cbranch_scc0 .LBB166_2155
; %bb.2149:
	global_load_dword v5, v[0:1], off
	s_mov_b64 s[0:1], 0
	s_mov_b64 s[24:25], -1
	s_waitcnt vmcnt(0)
	v_and_b32_e32 v6, 0xffff0000, v5
	s_branch .LBB166_2156
.LBB166_2150:
	s_mov_b64 s[0:1], -1
	s_mov_b64 s[24:25], 0
                                        ; implicit-def: $vgpr6
                                        ; implicit-def: $vgpr5
	s_branch .LBB166_2202
.LBB166_2151:
	s_mov_b64 s[26:27], -1
	s_mov_b64 s[24:25], 0
	s_mov_b64 s[0:1], 0
                                        ; implicit-def: $vgpr6
                                        ; implicit-def: $vgpr5
	s_branch .LBB166_2187
.LBB166_2152:
	s_mov_b64 s[26:27], -1
	s_mov_b64 s[24:25], 0
	s_mov_b64 s[0:1], 0
                                        ; implicit-def: $vgpr6
                                        ; implicit-def: $vgpr5
	s_branch .LBB166_2168
.LBB166_2153:
	s_mov_b64 s[26:27], -1
	s_mov_b64 s[24:25], 0
	s_mov_b64 s[0:1], 0
                                        ; implicit-def: $vgpr6
                                        ; implicit-def: $vgpr5
	s_branch .LBB166_2162
.LBB166_2154:
	s_mov_b64 s[26:27], -1
	s_mov_b64 s[24:25], 0
	s_mov_b64 s[0:1], 0
                                        ; implicit-def: $vgpr6
                                        ; implicit-def: $vgpr5
	s_branch .LBB166_2156
.LBB166_2155:
	s_mov_b64 s[0:1], -1
                                        ; implicit-def: $vgpr6
                                        ; implicit-def: $vgpr5
	s_mov_b64 s[24:25], 0
.LBB166_2156:
	s_and_b64 vcc, exec, s[26:27]
	s_cbranch_vccz .LBB166_2161
; %bb.2157:
	s_cmp_eq_u32 s35, 44
	s_cbranch_scc0 .LBB166_2159
; %bb.2158:
	global_load_ubyte v5, v[0:1], off
	s_movk_i32 s24, 0xff
	v_mov_b32_e32 v6, 0x7f800001
	v_mov_b32_e32 v7, 0x400000
	;; [unrolled: 1-line block ×3, first 2 shown]
	s_mov_b64 s[0:1], 0
	s_waitcnt vmcnt(0)
	v_lshlrev_b32_e32 v9, 23, v5
	v_cmp_ne_u32_e32 vcc, s24, v5
	v_cndmask_b32_e32 v6, v6, v9, vcc
	v_cmp_ne_u32_e32 vcc, 0, v5
	v_cndmask_b32_e32 v5, v7, v6, vcc
	v_add_u32_e32 v6, 0x7fff, v5
	v_cmp_o_f32_e32 vcc, v5, v5
	v_cndmask_b32_sdwa v5, v8, v6, vcc dst_sel:DWORD dst_unused:UNUSED_PAD src0_sel:DWORD src1_sel:WORD_1
	s_mov_b64 s[24:25], -1
	s_branch .LBB166_2160
.LBB166_2159:
	s_mov_b64 s[0:1], -1
                                        ; implicit-def: $vgpr5
.LBB166_2160:
	v_mov_b32_e32 v6, 0
.LBB166_2161:
	s_mov_b64 s[26:27], 0
.LBB166_2162:
	s_and_b64 vcc, exec, s[26:27]
	s_cbranch_vccz .LBB166_2167
; %bb.2163:
	s_cmp_eq_u32 s35, 29
	s_cbranch_scc0 .LBB166_2165
; %bb.2164:
	global_load_dwordx2 v[5:6], v[0:1], off
	s_movk_i32 s24, 0x7fff
	s_mov_b64 s[0:1], 0
	s_waitcnt vmcnt(0)
	v_ffbh_u32_e32 v7, v6
	v_min_u32_e32 v7, 32, v7
	v_lshlrev_b64 v[5:6], v7, v[5:6]
	v_min_u32_e32 v5, 1, v5
	v_or_b32_e32 v5, v6, v5
	v_cvt_f32_u32_e32 v5, v5
	v_sub_u32_e32 v6, 32, v7
	v_ldexp_f32 v5, v5, v6
	v_bfe_u32 v6, v5, 16, 1
	v_add3_u32 v5, v5, v6, s24
	v_lshrrev_b32_e32 v5, 16, v5
	s_mov_b64 s[24:25], -1
	s_branch .LBB166_2166
.LBB166_2165:
	s_mov_b64 s[0:1], -1
                                        ; implicit-def: $vgpr5
.LBB166_2166:
	v_mov_b32_e32 v6, 0
.LBB166_2167:
	s_mov_b64 s[26:27], 0
.LBB166_2168:
	s_and_b64 vcc, exec, s[26:27]
	s_cbranch_vccz .LBB166_2186
; %bb.2169:
	s_cmp_lt_i32 s35, 27
	s_cbranch_scc1 .LBB166_2172
; %bb.2170:
	s_cmp_gt_i32 s35, 27
	s_cbranch_scc0 .LBB166_2173
; %bb.2171:
	global_load_dword v5, v[0:1], off
	s_movk_i32 s24, 0x7fff
	s_waitcnt vmcnt(0)
	v_cvt_f32_u32_e32 v5, v5
	v_bfe_u32 v6, v5, 16, 1
	v_add3_u32 v5, v5, v6, s24
	v_lshrrev_b32_e32 v5, 16, v5
	s_mov_b64 s[24:25], 0
	s_branch .LBB166_2174
.LBB166_2172:
	s_mov_b64 s[24:25], -1
                                        ; implicit-def: $vgpr5
	s_branch .LBB166_2177
.LBB166_2173:
	s_mov_b64 s[24:25], -1
                                        ; implicit-def: $vgpr5
.LBB166_2174:
	s_andn2_b64 vcc, exec, s[24:25]
	s_cbranch_vccnz .LBB166_2176
; %bb.2175:
	global_load_ushort v5, v[0:1], off
	s_movk_i32 s24, 0x7fff
	s_waitcnt vmcnt(0)
	v_cvt_f32_u32_e32 v5, v5
	v_bfe_u32 v6, v5, 16, 1
	v_add3_u32 v5, v5, v6, s24
	v_lshrrev_b32_e32 v5, 16, v5
.LBB166_2176:
	s_mov_b64 s[24:25], 0
.LBB166_2177:
	s_andn2_b64 vcc, exec, s[24:25]
	s_cbranch_vccnz .LBB166_2185
; %bb.2178:
	global_load_ubyte v5, v[0:1], off
	s_movk_i32 s24, 0x7f
	s_waitcnt vmcnt(0)
	v_cmp_lt_i16_e32 vcc, s24, v5
	s_mov_b64 s[24:25], 0
	s_and_saveexec_b64 s[26:27], vcc
	s_xor_b64 s[26:27], exec, s[26:27]
	s_cbranch_execz .LBB166_2211
; %bb.2179:
	s_movk_i32 s24, 0x80
	v_cmp_eq_u16_e32 vcc, s24, v5
	s_mov_b64 s[24:25], -1
	s_and_saveexec_b64 s[28:29], vcc
; %bb.2180:
	s_xor_b64 s[24:25], exec, -1
; %bb.2181:
	s_or_b64 exec, exec, s[28:29]
	s_and_b64 s[24:25], s[24:25], exec
	s_or_saveexec_b64 s[26:27], s[26:27]
	v_mov_b32_e32 v6, 0x7f800001
	s_xor_b64 exec, exec, s[26:27]
	s_cbranch_execnz .LBB166_2212
.LBB166_2182:
	s_or_b64 exec, exec, s[26:27]
	s_and_saveexec_b64 s[26:27], s[24:25]
	s_cbranch_execz .LBB166_2184
.LBB166_2183:
	v_lshlrev_b32_e32 v6, 24, v5
	v_and_b32_e32 v5, 0xffff, v5
	v_and_b32_e32 v7, 7, v5
	v_ffbh_u32_e32 v9, v7
	v_min_u32_e32 v9, 32, v9
	v_subrev_u32_e32 v10, 28, v9
	v_bfe_u32 v8, v5, 3, 4
	v_lshlrev_b32_e32 v5, v10, v5
	v_sub_u32_e32 v9, 29, v9
	v_and_b32_e32 v5, 7, v5
	v_cmp_eq_u32_e32 vcc, 0, v8
	v_cndmask_b32_e32 v8, v8, v9, vcc
	v_cndmask_b32_e32 v5, v7, v5, vcc
	v_mov_b32_e32 v7, 0x3b800000
	v_lshlrev_b32_e32 v5, 20, v5
	v_and_b32_e32 v6, 0x80000000, v6
	v_lshl_add_u32 v7, v8, 23, v7
	v_or3_b32 v6, v6, v7, v5
.LBB166_2184:
	s_or_b64 exec, exec, s[26:27]
	v_bfe_u32 v5, v6, 16, 1
	s_movk_i32 s24, 0x7fff
	v_add3_u32 v5, v6, v5, s24
	v_cmp_o_f32_e32 vcc, v6, v6
	v_mov_b32_e32 v6, 0x7fc0
	v_cndmask_b32_sdwa v5, v6, v5, vcc dst_sel:DWORD dst_unused:UNUSED_PAD src0_sel:DWORD src1_sel:WORD_1
.LBB166_2185:
	s_mov_b64 s[24:25], -1
	v_mov_b32_e32 v6, 0
.LBB166_2186:
	s_mov_b64 s[26:27], 0
.LBB166_2187:
	s_and_b64 vcc, exec, s[26:27]
	s_cbranch_vccz .LBB166_2198
; %bb.2188:
	s_cmp_gt_i32 s35, 22
	s_cbranch_scc0 .LBB166_2209
; %bb.2189:
	s_cmp_lt_i32 s35, 24
	s_cbranch_scc1 .LBB166_2213
; %bb.2190:
	s_cmp_gt_i32 s35, 24
	s_cbranch_scc0 .LBB166_2215
; %bb.2191:
	global_load_ubyte v5, v[0:1], off
	s_movk_i32 s22, 0x7f
	s_waitcnt vmcnt(0)
	v_cmp_lt_i16_e32 vcc, s22, v5
	s_mov_b64 s[22:23], 0
	s_and_saveexec_b64 s[24:25], vcc
	s_xor_b64 s[24:25], exec, s[24:25]
	s_cbranch_execz .LBB166_2227
; %bb.2192:
	s_movk_i32 s22, 0x80
	v_cmp_eq_u16_e32 vcc, s22, v5
	s_mov_b64 s[22:23], -1
	s_and_saveexec_b64 s[26:27], vcc
; %bb.2193:
	s_xor_b64 s[22:23], exec, -1
; %bb.2194:
	s_or_b64 exec, exec, s[26:27]
	s_and_b64 s[22:23], s[22:23], exec
	s_or_saveexec_b64 s[24:25], s[24:25]
	v_mov_b32_e32 v6, 0x7f800001
	s_xor_b64 exec, exec, s[24:25]
	s_cbranch_execnz .LBB166_2228
.LBB166_2195:
	s_or_b64 exec, exec, s[24:25]
	s_and_saveexec_b64 s[24:25], s[22:23]
	s_cbranch_execz .LBB166_2197
.LBB166_2196:
	v_lshlrev_b32_e32 v6, 24, v5
	v_and_b32_e32 v5, 0xffff, v5
	v_and_b32_e32 v7, 3, v5
	v_ffbh_u32_e32 v9, v7
	v_min_u32_e32 v9, 32, v9
	v_subrev_u32_e32 v10, 29, v9
	v_bfe_u32 v8, v5, 2, 5
	v_lshlrev_b32_e32 v5, v10, v5
	v_sub_u32_e32 v9, 30, v9
	v_and_b32_e32 v5, 3, v5
	v_cmp_eq_u32_e32 vcc, 0, v8
	v_cndmask_b32_e32 v8, v8, v9, vcc
	v_cndmask_b32_e32 v5, v7, v5, vcc
	v_mov_b32_e32 v7, 0x37800000
	v_lshlrev_b32_e32 v5, 21, v5
	v_and_b32_e32 v6, 0x80000000, v6
	v_lshl_add_u32 v7, v8, 23, v7
	v_or3_b32 v6, v6, v7, v5
.LBB166_2197:
	s_or_b64 exec, exec, s[24:25]
	v_bfe_u32 v5, v6, 16, 1
	s_movk_i32 s22, 0x7fff
	v_add3_u32 v5, v6, v5, s22
	v_cmp_o_f32_e32 vcc, v6, v6
	v_mov_b32_e32 v6, 0x7fc0
	v_cndmask_b32_sdwa v5, v6, v5, vcc dst_sel:DWORD dst_unused:UNUSED_PAD src0_sel:DWORD src1_sel:WORD_1
	s_mov_b64 s[22:23], 0
	s_branch .LBB166_2216
.LBB166_2198:
	s_and_b64 vcc, exec, s[0:1]
	s_cbranch_vccnz .LBB166_2246
.LBB166_2199:
	s_andn2_b64 vcc, exec, s[22:23]
	s_cbranch_vccnz .LBB166_2201
.LBB166_2200:
	global_load_ubyte v5, v[0:1], off
	s_mov_b64 s[24:25], -1
	v_mov_b32_e32 v6, 0
	s_waitcnt vmcnt(0)
	v_cmp_ne_u16_e32 vcc, 0, v5
	v_cndmask_b32_e64 v5, 0, 1.0, vcc
	v_lshrrev_b32_e32 v5, 16, v5
.LBB166_2201:
	s_mov_b64 s[0:1], 0
.LBB166_2202:
	s_and_b64 vcc, exec, s[0:1]
	s_cbranch_vccz .LBB166_2277
; %bb.2203:
	s_and_b32 s22, 0xffff, s30
	s_cmp_lt_i32 s22, 5
	s_cbranch_scc1 .LBB166_2208
; %bb.2204:
	s_cmp_lt_i32 s22, 8
	s_cbranch_scc1 .LBB166_2210
; %bb.2205:
	;; [unrolled: 3-line block ×3, first 2 shown]
	s_cmp_gt_i32 s22, 9
	s_cbranch_scc0 .LBB166_2229
; %bb.2207:
	global_load_dwordx4 v[5:8], v[0:1], off
	s_movk_i32 s0, 0x7fff
	s_waitcnt vmcnt(0)
	v_cvt_f32_f64_e32 v5, v[5:6]
	v_cvt_f32_f64_e32 v6, v[7:8]
	v_mov_b32_e32 v7, 0x7fc0
	v_mov_b32_e32 v8, 0x7fc00000
	v_bfe_u32 v9, v5, 16, 1
	v_bfe_u32 v10, v6, 16, 1
	v_cmp_o_f32_e32 vcc, v5, v5
	v_add3_u32 v5, v5, v9, s0
	v_add3_u32 v9, v6, v10, s0
	v_cndmask_b32_sdwa v5, v7, v5, vcc dst_sel:DWORD dst_unused:UNUSED_PAD src0_sel:DWORD src1_sel:WORD_1
	v_and_b32_e32 v7, 0xffff0000, v9
	v_cmp_o_f32_e32 vcc, v6, v6
	v_cndmask_b32_e32 v6, v8, v7, vcc
	s_mov_b64 s[0:1], 0
	s_branch .LBB166_2230
.LBB166_2208:
	s_mov_b64 s[0:1], -1
                                        ; implicit-def: $vgpr6
                                        ; implicit-def: $vgpr5
	s_branch .LBB166_2255
.LBB166_2209:
	s_mov_b64 s[22:23], -1
                                        ; implicit-def: $vgpr5
	s_branch .LBB166_2222
.LBB166_2210:
	s_mov_b64 s[0:1], -1
                                        ; implicit-def: $vgpr6
                                        ; implicit-def: $vgpr5
	s_branch .LBB166_2236
.LBB166_2211:
	s_or_saveexec_b64 s[26:27], s[26:27]
	v_mov_b32_e32 v6, 0x7f800001
	s_xor_b64 exec, exec, s[26:27]
	s_cbranch_execz .LBB166_2182
.LBB166_2212:
	v_cmp_ne_u16_e32 vcc, 0, v5
	s_andn2_b64 s[24:25], s[24:25], exec
	s_and_b64 s[28:29], vcc, exec
	v_mov_b32_e32 v6, 0
	s_or_b64 s[24:25], s[24:25], s[28:29]
	s_or_b64 exec, exec, s[26:27]
	s_and_saveexec_b64 s[26:27], s[24:25]
	s_cbranch_execnz .LBB166_2183
	s_branch .LBB166_2184
.LBB166_2213:
	s_mov_b64 s[22:23], -1
                                        ; implicit-def: $vgpr5
	s_branch .LBB166_2219
.LBB166_2214:
	s_mov_b64 s[0:1], -1
                                        ; implicit-def: $vgpr6
                                        ; implicit-def: $vgpr5
	s_branch .LBB166_2233
.LBB166_2215:
	s_mov_b64 s[22:23], -1
                                        ; implicit-def: $vgpr5
.LBB166_2216:
	s_and_b64 vcc, exec, s[22:23]
	s_cbranch_vccz .LBB166_2218
; %bb.2217:
	global_load_ubyte v5, v[0:1], off
	s_mov_b32 s22, 0x7f800000
	s_brev_b32 s23, 1
	s_movk_i32 s24, 0x7fff
	s_waitcnt vmcnt(0)
	v_lshlrev_b32_e32 v5, 24, v5
	v_and_b32_e32 v6, 0x7f000000, v5
	v_ffbh_u32_e32 v7, v6
	v_min_u32_e32 v7, 32, v7
	v_sub_u32_e64 v7, v7, 4 clamp
	v_lshlrev_b32_e32 v9, v7, v6
	v_lshlrev_b32_e32 v7, 23, v7
	v_lshrrev_b32_e32 v9, 4, v9
	v_add_u32_e32 v8, 0x1000000, v6
	v_sub_u32_e32 v7, v9, v7
	v_ashrrev_i32_e32 v8, 8, v8
	v_add_u32_e32 v7, 0x3c000000, v7
	v_and_or_b32 v7, v8, s22, v7
	v_cmp_ne_u32_e32 vcc, 0, v6
	v_cndmask_b32_e32 v6, 0, v7, vcc
	v_and_or_b32 v5, v5, s23, v6
	v_bfe_u32 v6, v6, 16, 1
	v_add3_u32 v6, v5, v6, s24
	v_cmp_o_f32_e32 vcc, v5, v5
	v_mov_b32_e32 v5, 0x7fc0
	v_cndmask_b32_sdwa v5, v5, v6, vcc dst_sel:DWORD dst_unused:UNUSED_PAD src0_sel:DWORD src1_sel:WORD_1
.LBB166_2218:
	s_mov_b64 s[22:23], 0
.LBB166_2219:
	s_andn2_b64 vcc, exec, s[22:23]
	s_cbranch_vccnz .LBB166_2221
; %bb.2220:
	global_load_ubyte v5, v[0:1], off
	s_movk_i32 s22, 0x7f00
	s_brev_b32 s23, 16
	s_brev_b32 s24, 1
	s_movk_i32 s25, 0x7fff
	s_waitcnt vmcnt(0)
	v_lshlrev_b16_e32 v6, 8, v5
	v_lshlrev_b32_e32 v5, 25, v5
	v_lshrrev_b32_e32 v7, 4, v5
	v_and_or_b32 v8, v6, s22, 0.5
	v_or_b32_e32 v7, 0x70000000, v7
	v_add_f32_e32 v8, -0.5, v8
	v_mul_f32_e32 v7, 0x7800000, v7
	v_cmp_gt_u32_e32 vcc, s23, v5
	v_bfe_i32 v6, v6, 0, 16
	v_cndmask_b32_e32 v5, v7, v8, vcc
	v_and_or_b32 v6, v6, s24, v5
	v_bfe_u32 v5, v5, 16, 1
	v_add3_u32 v5, v6, v5, s25
	v_cmp_o_f32_e32 vcc, v6, v6
	v_mov_b32_e32 v6, 0x7fc0
	v_cndmask_b32_sdwa v5, v6, v5, vcc dst_sel:DWORD dst_unused:UNUSED_PAD src0_sel:DWORD src1_sel:WORD_1
.LBB166_2221:
	s_mov_b64 s[22:23], 0
	s_mov_b64 s[24:25], -1
.LBB166_2222:
	s_andn2_b64 vcc, exec, s[22:23]
	s_mov_b64 s[22:23], 0
	s_cbranch_vccnz .LBB166_2245
; %bb.2223:
	s_cmp_gt_i32 s35, 14
	s_cbranch_scc0 .LBB166_2226
; %bb.2224:
	s_cmp_eq_u32 s35, 15
	s_cbranch_scc0 .LBB166_2241
; %bb.2225:
	global_load_ushort v5, v[0:1], off
	s_mov_b64 s[0:1], 0
	s_mov_b64 s[24:25], -1
	s_branch .LBB166_2242
.LBB166_2226:
	s_mov_b64 s[26:27], -1
                                        ; implicit-def: $vgpr5
	s_branch .LBB166_2243
.LBB166_2227:
	s_or_saveexec_b64 s[24:25], s[24:25]
	v_mov_b32_e32 v6, 0x7f800001
	s_xor_b64 exec, exec, s[24:25]
	s_cbranch_execz .LBB166_2195
.LBB166_2228:
	v_cmp_ne_u16_e32 vcc, 0, v5
	s_andn2_b64 s[22:23], s[22:23], exec
	s_and_b64 s[26:27], vcc, exec
	v_mov_b32_e32 v6, 0
	s_or_b64 s[22:23], s[22:23], s[26:27]
	s_or_b64 exec, exec, s[24:25]
	s_and_saveexec_b64 s[24:25], s[22:23]
	s_cbranch_execnz .LBB166_2196
	s_branch .LBB166_2197
.LBB166_2229:
	s_mov_b64 s[0:1], -1
                                        ; implicit-def: $vgpr6
                                        ; implicit-def: $vgpr5
.LBB166_2230:
	s_andn2_b64 vcc, exec, s[0:1]
	s_cbranch_vccnz .LBB166_2232
; %bb.2231:
	global_load_dwordx2 v[5:6], v[0:1], off
	s_movk_i32 s0, 0x7fff
	v_mov_b32_e32 v7, 0x7fc0
	v_mov_b32_e32 v8, 0x7fc00000
	s_waitcnt vmcnt(0)
	v_bfe_u32 v9, v5, 16, 1
	v_bfe_u32 v10, v6, 16, 1
	v_cmp_o_f32_e32 vcc, v5, v5
	v_add3_u32 v5, v5, v9, s0
	v_add3_u32 v9, v6, v10, s0
	v_cndmask_b32_sdwa v5, v7, v5, vcc dst_sel:DWORD dst_unused:UNUSED_PAD src0_sel:DWORD src1_sel:WORD_1
	v_and_b32_e32 v7, 0xffff0000, v9
	v_cmp_o_f32_e32 vcc, v6, v6
	v_cndmask_b32_e32 v6, v8, v7, vcc
.LBB166_2232:
	s_mov_b64 s[0:1], 0
.LBB166_2233:
	s_andn2_b64 vcc, exec, s[0:1]
	s_cbranch_vccnz .LBB166_2235
; %bb.2234:
	global_load_dword v6, v[0:1], off
	s_movk_i32 s0, 0x7fff
	s_waitcnt vmcnt(1)
	v_mov_b32_e32 v5, 0x7fc0
	v_mov_b32_e32 v9, 0x7fc00000
	s_waitcnt vmcnt(0)
	v_cvt_f32_f16_e32 v7, v6
	v_cvt_f32_f16_sdwa v8, v6 dst_sel:DWORD dst_unused:UNUSED_PAD src0_sel:WORD_1
	v_cmp_o_f16_e32 vcc, v6, v6
	v_bfe_u32 v10, v7, 16, 1
	v_bfe_u32 v11, v8, 16, 1
	v_add3_u32 v7, v7, v10, s0
	v_add3_u32 v8, v8, v11, s0
	v_cndmask_b32_sdwa v5, v5, v7, vcc dst_sel:DWORD dst_unused:UNUSED_PAD src0_sel:DWORD src1_sel:WORD_1
	v_and_b32_e32 v7, 0xffff0000, v8
	v_cmp_o_f16_sdwa vcc, v6, v6 src0_sel:WORD_1 src1_sel:WORD_1
	v_cndmask_b32_e32 v6, v9, v7, vcc
.LBB166_2235:
	s_mov_b64 s[0:1], 0
.LBB166_2236:
	s_andn2_b64 vcc, exec, s[0:1]
	s_cbranch_vccnz .LBB166_2254
; %bb.2237:
	s_cmp_lt_i32 s22, 6
	s_cbranch_scc1 .LBB166_2240
; %bb.2238:
	s_cmp_gt_i32 s22, 6
	s_cbranch_scc0 .LBB166_2247
; %bb.2239:
	global_load_dwordx2 v[5:6], v[0:1], off
	s_movk_i32 s0, 0x7fff
	s_waitcnt vmcnt(0)
	v_cvt_f32_f64_e32 v5, v[5:6]
	v_mov_b32_e32 v6, 0x7fc0
	v_bfe_u32 v7, v5, 16, 1
	v_cmp_o_f32_e32 vcc, v5, v5
	v_add3_u32 v5, v5, v7, s0
	v_cndmask_b32_sdwa v5, v6, v5, vcc dst_sel:DWORD dst_unused:UNUSED_PAD src0_sel:DWORD src1_sel:WORD_1
	s_mov_b64 s[0:1], 0
	s_branch .LBB166_2248
.LBB166_2240:
	s_mov_b64 s[0:1], -1
                                        ; implicit-def: $vgpr5
	s_branch .LBB166_2251
.LBB166_2241:
	s_mov_b64 s[0:1], -1
                                        ; implicit-def: $vgpr5
.LBB166_2242:
	s_mov_b64 s[26:27], 0
.LBB166_2243:
	s_and_b64 vcc, exec, s[26:27]
	s_cbranch_vccz .LBB166_2245
; %bb.2244:
	s_cmp_lg_u32 s35, 11
	s_mov_b64 s[22:23], -1
	s_cselect_b64 s[0:1], -1, 0
.LBB166_2245:
	v_mov_b32_e32 v6, 0
	s_and_b64 vcc, exec, s[0:1]
	s_cbranch_vccz .LBB166_2199
.LBB166_2246:
	s_trap 2
	s_or_b64 s[18:19], s[18:19], exec
	s_cbranch_execz .LBB166_2200
	s_branch .LBB166_2201
.LBB166_2247:
	s_mov_b64 s[0:1], -1
                                        ; implicit-def: $vgpr5
.LBB166_2248:
	s_andn2_b64 vcc, exec, s[0:1]
	s_cbranch_vccnz .LBB166_2250
; %bb.2249:
	global_load_dword v5, v[0:1], off
	s_movk_i32 s0, 0x7fff
	v_mov_b32_e32 v6, 0x7fc0
	s_waitcnt vmcnt(0)
	v_bfe_u32 v7, v5, 16, 1
	v_cmp_o_f32_e32 vcc, v5, v5
	v_add3_u32 v5, v5, v7, s0
	v_cndmask_b32_sdwa v5, v6, v5, vcc dst_sel:DWORD dst_unused:UNUSED_PAD src0_sel:DWORD src1_sel:WORD_1
.LBB166_2250:
	s_mov_b64 s[0:1], 0
.LBB166_2251:
	s_andn2_b64 vcc, exec, s[0:1]
	s_cbranch_vccnz .LBB166_2253
; %bb.2252:
	global_load_ushort v5, v[0:1], off
	s_movk_i32 s0, 0x7fff
	v_mov_b32_e32 v7, 0x7fc0
	s_waitcnt vmcnt(0)
	v_cvt_f32_f16_e32 v6, v5
	v_cmp_o_f16_e32 vcc, v5, v5
	v_bfe_u32 v5, v6, 16, 1
	v_add3_u32 v5, v6, v5, s0
	v_cndmask_b32_sdwa v5, v7, v5, vcc dst_sel:DWORD dst_unused:UNUSED_PAD src0_sel:DWORD src1_sel:WORD_1
.LBB166_2253:
	v_mov_b32_e32 v6, 0
.LBB166_2254:
	s_mov_b64 s[0:1], 0
.LBB166_2255:
	s_andn2_b64 vcc, exec, s[0:1]
	s_cbranch_vccnz .LBB166_2276
; %bb.2256:
	s_cmp_lt_i32 s22, 2
	s_cbranch_scc1 .LBB166_2260
; %bb.2257:
	s_cmp_lt_i32 s22, 3
	s_cbranch_scc1 .LBB166_2261
; %bb.2258:
	s_cmp_gt_i32 s22, 3
	s_cbranch_scc0 .LBB166_2262
; %bb.2259:
	global_load_dwordx2 v[5:6], v[0:1], off
	s_movk_i32 s0, 0x7fff
	s_waitcnt vmcnt(0)
	v_xor_b32_e32 v8, v5, v6
	v_ffbh_i32_e32 v7, v6
	v_ashrrev_i32_e32 v8, 31, v8
	v_add_u32_e32 v7, -1, v7
	v_add_u32_e32 v8, 32, v8
	v_min_u32_e32 v7, v7, v8
	v_lshlrev_b64 v[5:6], v7, v[5:6]
	v_min_u32_e32 v5, 1, v5
	v_or_b32_e32 v5, v6, v5
	v_cvt_f32_i32_e32 v5, v5
	v_sub_u32_e32 v6, 32, v7
	v_ldexp_f32 v5, v5, v6
	v_bfe_u32 v6, v5, 16, 1
	v_add3_u32 v5, v5, v6, s0
	v_lshrrev_b32_e32 v5, 16, v5
	s_mov_b64 s[0:1], 0
	s_branch .LBB166_2263
.LBB166_2260:
	s_mov_b64 s[0:1], -1
                                        ; implicit-def: $vgpr5
	s_branch .LBB166_2269
.LBB166_2261:
	s_mov_b64 s[0:1], -1
                                        ; implicit-def: $vgpr5
	s_branch .LBB166_2266
.LBB166_2262:
	s_mov_b64 s[0:1], -1
                                        ; implicit-def: $vgpr5
.LBB166_2263:
	s_andn2_b64 vcc, exec, s[0:1]
	s_cbranch_vccnz .LBB166_2265
; %bb.2264:
	global_load_dword v5, v[0:1], off
	s_movk_i32 s0, 0x7fff
	s_waitcnt vmcnt(0)
	v_cvt_f32_i32_e32 v5, v5
	v_bfe_u32 v6, v5, 16, 1
	v_add3_u32 v5, v5, v6, s0
	v_lshrrev_b32_e32 v5, 16, v5
.LBB166_2265:
	s_mov_b64 s[0:1], 0
.LBB166_2266:
	s_andn2_b64 vcc, exec, s[0:1]
	s_cbranch_vccnz .LBB166_2268
; %bb.2267:
	global_load_sshort v5, v[0:1], off
	s_movk_i32 s0, 0x7fff
	s_waitcnt vmcnt(0)
	v_cvt_f32_i32_e32 v5, v5
	v_bfe_u32 v6, v5, 16, 1
	v_add3_u32 v5, v5, v6, s0
	v_lshrrev_b32_e32 v5, 16, v5
.LBB166_2268:
	s_mov_b64 s[0:1], 0
.LBB166_2269:
	s_andn2_b64 vcc, exec, s[0:1]
	s_cbranch_vccnz .LBB166_2275
; %bb.2270:
	s_cmp_gt_i32 s22, 0
	s_cbranch_scc0 .LBB166_2272
; %bb.2271:
	global_load_sbyte v5, v[0:1], off
	s_movk_i32 s0, 0x7fff
	s_waitcnt vmcnt(0)
	v_cvt_f32_i32_e32 v5, v5
	v_bfe_u32 v6, v5, 16, 1
	v_add3_u32 v5, v5, v6, s0
	v_lshrrev_b32_e32 v5, 16, v5
	s_mov_b64 s[0:1], 0
	s_branch .LBB166_2273
.LBB166_2272:
	s_mov_b64 s[0:1], -1
                                        ; implicit-def: $vgpr5
.LBB166_2273:
	s_andn2_b64 vcc, exec, s[0:1]
	s_cbranch_vccnz .LBB166_2275
; %bb.2274:
	global_load_ubyte v0, v[0:1], off
	s_movk_i32 s0, 0x7fff
	s_waitcnt vmcnt(0)
	v_cvt_f32_ubyte0_e32 v0, v0
	v_bfe_u32 v1, v0, 16, 1
	v_add3_u32 v0, v0, v1, s0
	v_lshrrev_b32_e32 v5, 16, v0
.LBB166_2275:
	v_mov_b32_e32 v6, 0
.LBB166_2276:
	s_mov_b64 s[24:25], -1
.LBB166_2277:
	s_andn2_b64 vcc, exec, s[24:25]
	s_cbranch_vccnz .LBB166_2692
; %bb.2278:
	v_add_u32_e32 v4, s34, v4
	v_ashrrev_i32_e32 v1, 31, v4
	v_mov_b32_e32 v7, s3
	v_add_co_u32_e32 v0, vcc, s2, v4
	s_cmp_lt_i32 s31, 11
	v_addc_co_u32_e32 v1, vcc, v7, v1, vcc
	s_cbranch_scc1 .LBB166_2285
; %bb.2279:
	s_and_b32 s35, 0xffff, s31
	s_cmp_gt_i32 s35, 25
	s_mov_b64 s[22:23], 0
	s_cbranch_scc0 .LBB166_2286
; %bb.2280:
	s_cmp_gt_i32 s35, 28
	s_cbranch_scc0 .LBB166_2287
; %bb.2281:
	s_cmp_gt_i32 s35, 43
	;; [unrolled: 3-line block ×3, first 2 shown]
	s_cbranch_scc0 .LBB166_2289
; %bb.2283:
	s_cmp_eq_u32 s35, 46
	s_mov_b64 s[26:27], 0
	s_cbranch_scc0 .LBB166_2292
; %bb.2284:
	global_load_dword v7, v[0:1], off
	s_mov_b64 s[0:1], 0
	s_mov_b64 s[24:25], -1
	s_waitcnt vmcnt(0)
	v_and_b32_e32 v8, 0xffff0000, v7
	s_branch .LBB166_2293
.LBB166_2285:
	s_mov_b64 s[0:1], -1
	s_mov_b64 s[24:25], 0
                                        ; implicit-def: $vgpr8
                                        ; implicit-def: $vgpr7
	s_branch .LBB166_2339
.LBB166_2286:
	s_mov_b64 s[26:27], -1
	s_mov_b64 s[24:25], 0
	s_mov_b64 s[0:1], 0
                                        ; implicit-def: $vgpr8
                                        ; implicit-def: $vgpr7
	s_branch .LBB166_2324
.LBB166_2287:
	s_mov_b64 s[26:27], -1
	s_mov_b64 s[24:25], 0
	s_mov_b64 s[0:1], 0
                                        ; implicit-def: $vgpr8
                                        ; implicit-def: $vgpr7
	s_branch .LBB166_2305
.LBB166_2288:
	s_mov_b64 s[26:27], -1
	s_mov_b64 s[24:25], 0
	s_mov_b64 s[0:1], 0
                                        ; implicit-def: $vgpr8
                                        ; implicit-def: $vgpr7
	s_branch .LBB166_2299
.LBB166_2289:
	s_mov_b64 s[26:27], -1
	s_mov_b64 s[24:25], 0
	s_mov_b64 s[0:1], 0
                                        ; implicit-def: $vgpr8
                                        ; implicit-def: $vgpr7
	s_branch .LBB166_2293
.LBB166_2290:
	s_andn2_saveexec_b64 s[48:49], s[48:49]
	s_cbranch_execz .LBB166_1128
.LBB166_2291:
	v_add_f32_e32 v3, 0x42800000, v4
	v_and_b32_e32 v3, 0xff, v3
	v_cmp_ne_u32_e32 vcc, 0, v3
	s_andn2_b64 s[46:47], s[46:47], exec
	s_and_b64 s[54:55], vcc, exec
	s_or_b64 s[46:47], s[46:47], s[54:55]
	s_or_b64 exec, exec, s[48:49]
	v_mov_b32_e32 v5, 0
	s_and_saveexec_b64 s[48:49], s[46:47]
	s_cbranch_execnz .LBB166_1129
	s_branch .LBB166_1130
.LBB166_2292:
	s_mov_b64 s[0:1], -1
                                        ; implicit-def: $vgpr8
                                        ; implicit-def: $vgpr7
	s_mov_b64 s[24:25], 0
.LBB166_2293:
	s_and_b64 vcc, exec, s[26:27]
	s_cbranch_vccz .LBB166_2298
; %bb.2294:
	s_cmp_eq_u32 s35, 44
	s_cbranch_scc0 .LBB166_2296
; %bb.2295:
	global_load_ubyte v7, v[0:1], off
	s_movk_i32 s24, 0xff
	v_mov_b32_e32 v8, 0x7f800001
	v_mov_b32_e32 v9, 0x400000
	v_mov_b32_e32 v10, 0x7fc0
	s_mov_b64 s[0:1], 0
	s_waitcnt vmcnt(0)
	v_lshlrev_b32_e32 v11, 23, v7
	v_cmp_ne_u32_e32 vcc, s24, v7
	v_cndmask_b32_e32 v8, v8, v11, vcc
	v_cmp_ne_u32_e32 vcc, 0, v7
	v_cndmask_b32_e32 v7, v9, v8, vcc
	v_add_u32_e32 v8, 0x7fff, v7
	v_cmp_o_f32_e32 vcc, v7, v7
	v_cndmask_b32_sdwa v7, v10, v8, vcc dst_sel:DWORD dst_unused:UNUSED_PAD src0_sel:DWORD src1_sel:WORD_1
	s_mov_b64 s[24:25], -1
	s_branch .LBB166_2297
.LBB166_2296:
	s_mov_b64 s[0:1], -1
                                        ; implicit-def: $vgpr7
.LBB166_2297:
	v_mov_b32_e32 v8, 0
.LBB166_2298:
	s_mov_b64 s[26:27], 0
.LBB166_2299:
	s_and_b64 vcc, exec, s[26:27]
	s_cbranch_vccz .LBB166_2304
; %bb.2300:
	s_cmp_eq_u32 s35, 29
	s_cbranch_scc0 .LBB166_2302
; %bb.2301:
	global_load_dwordx2 v[7:8], v[0:1], off
	s_movk_i32 s24, 0x7fff
	s_mov_b64 s[0:1], 0
	s_waitcnt vmcnt(0)
	v_ffbh_u32_e32 v9, v8
	v_min_u32_e32 v9, 32, v9
	v_lshlrev_b64 v[7:8], v9, v[7:8]
	v_min_u32_e32 v7, 1, v7
	v_or_b32_e32 v7, v8, v7
	v_cvt_f32_u32_e32 v7, v7
	v_sub_u32_e32 v8, 32, v9
	v_ldexp_f32 v7, v7, v8
	v_bfe_u32 v8, v7, 16, 1
	v_add3_u32 v7, v7, v8, s24
	v_lshrrev_b32_e32 v7, 16, v7
	s_mov_b64 s[24:25], -1
	s_branch .LBB166_2303
.LBB166_2302:
	s_mov_b64 s[0:1], -1
                                        ; implicit-def: $vgpr7
.LBB166_2303:
	v_mov_b32_e32 v8, 0
.LBB166_2304:
	s_mov_b64 s[26:27], 0
.LBB166_2305:
	s_and_b64 vcc, exec, s[26:27]
	s_cbranch_vccz .LBB166_2323
; %bb.2306:
	s_cmp_lt_i32 s35, 27
	s_cbranch_scc1 .LBB166_2309
; %bb.2307:
	s_cmp_gt_i32 s35, 27
	s_cbranch_scc0 .LBB166_2310
; %bb.2308:
	global_load_dword v7, v[0:1], off
	s_movk_i32 s24, 0x7fff
	s_waitcnt vmcnt(0)
	v_cvt_f32_u32_e32 v7, v7
	v_bfe_u32 v8, v7, 16, 1
	v_add3_u32 v7, v7, v8, s24
	v_lshrrev_b32_e32 v7, 16, v7
	s_mov_b64 s[24:25], 0
	s_branch .LBB166_2311
.LBB166_2309:
	s_mov_b64 s[24:25], -1
                                        ; implicit-def: $vgpr7
	s_branch .LBB166_2314
.LBB166_2310:
	s_mov_b64 s[24:25], -1
                                        ; implicit-def: $vgpr7
.LBB166_2311:
	s_andn2_b64 vcc, exec, s[24:25]
	s_cbranch_vccnz .LBB166_2313
; %bb.2312:
	global_load_ushort v7, v[0:1], off
	s_movk_i32 s24, 0x7fff
	s_waitcnt vmcnt(0)
	v_cvt_f32_u32_e32 v7, v7
	v_bfe_u32 v8, v7, 16, 1
	v_add3_u32 v7, v7, v8, s24
	v_lshrrev_b32_e32 v7, 16, v7
.LBB166_2313:
	s_mov_b64 s[24:25], 0
.LBB166_2314:
	s_andn2_b64 vcc, exec, s[24:25]
	s_cbranch_vccnz .LBB166_2322
; %bb.2315:
	global_load_ubyte v7, v[0:1], off
	s_movk_i32 s24, 0x7f
	s_waitcnt vmcnt(0)
	v_cmp_lt_i16_e32 vcc, s24, v7
	s_mov_b64 s[24:25], 0
	s_and_saveexec_b64 s[26:27], vcc
	s_xor_b64 s[26:27], exec, s[26:27]
	s_cbranch_execz .LBB166_2348
; %bb.2316:
	s_movk_i32 s24, 0x80
	v_cmp_eq_u16_e32 vcc, s24, v7
	s_mov_b64 s[24:25], -1
	s_and_saveexec_b64 s[28:29], vcc
; %bb.2317:
	s_xor_b64 s[24:25], exec, -1
; %bb.2318:
	s_or_b64 exec, exec, s[28:29]
	s_and_b64 s[24:25], s[24:25], exec
	s_or_saveexec_b64 s[26:27], s[26:27]
	v_mov_b32_e32 v8, 0x7f800001
	s_xor_b64 exec, exec, s[26:27]
	s_cbranch_execnz .LBB166_2349
.LBB166_2319:
	s_or_b64 exec, exec, s[26:27]
	s_and_saveexec_b64 s[26:27], s[24:25]
	s_cbranch_execz .LBB166_2321
.LBB166_2320:
	v_lshlrev_b32_e32 v8, 24, v7
	v_and_b32_e32 v7, 0xffff, v7
	v_and_b32_e32 v9, 7, v7
	v_ffbh_u32_e32 v11, v9
	v_min_u32_e32 v11, 32, v11
	v_subrev_u32_e32 v12, 28, v11
	v_bfe_u32 v10, v7, 3, 4
	v_lshlrev_b32_e32 v7, v12, v7
	v_sub_u32_e32 v11, 29, v11
	v_and_b32_e32 v7, 7, v7
	v_cmp_eq_u32_e32 vcc, 0, v10
	v_cndmask_b32_e32 v10, v10, v11, vcc
	v_cndmask_b32_e32 v7, v9, v7, vcc
	v_mov_b32_e32 v9, 0x3b800000
	v_lshlrev_b32_e32 v7, 20, v7
	v_and_b32_e32 v8, 0x80000000, v8
	v_lshl_add_u32 v9, v10, 23, v9
	v_or3_b32 v8, v8, v9, v7
.LBB166_2321:
	s_or_b64 exec, exec, s[26:27]
	v_bfe_u32 v7, v8, 16, 1
	s_movk_i32 s24, 0x7fff
	v_add3_u32 v7, v8, v7, s24
	v_cmp_o_f32_e32 vcc, v8, v8
	v_mov_b32_e32 v8, 0x7fc0
	v_cndmask_b32_sdwa v7, v8, v7, vcc dst_sel:DWORD dst_unused:UNUSED_PAD src0_sel:DWORD src1_sel:WORD_1
.LBB166_2322:
	s_mov_b64 s[24:25], -1
	v_mov_b32_e32 v8, 0
.LBB166_2323:
	s_mov_b64 s[26:27], 0
.LBB166_2324:
	s_and_b64 vcc, exec, s[26:27]
	s_cbranch_vccz .LBB166_2335
; %bb.2325:
	s_cmp_gt_i32 s35, 22
	s_cbranch_scc0 .LBB166_2346
; %bb.2326:
	s_cmp_lt_i32 s35, 24
	s_cbranch_scc1 .LBB166_2350
; %bb.2327:
	s_cmp_gt_i32 s35, 24
	s_cbranch_scc0 .LBB166_2352
; %bb.2328:
	global_load_ubyte v7, v[0:1], off
	s_movk_i32 s22, 0x7f
	s_waitcnt vmcnt(0)
	v_cmp_lt_i16_e32 vcc, s22, v7
	s_mov_b64 s[22:23], 0
	s_and_saveexec_b64 s[24:25], vcc
	s_xor_b64 s[24:25], exec, s[24:25]
	s_cbranch_execz .LBB166_2364
; %bb.2329:
	s_movk_i32 s22, 0x80
	v_cmp_eq_u16_e32 vcc, s22, v7
	s_mov_b64 s[22:23], -1
	s_and_saveexec_b64 s[26:27], vcc
; %bb.2330:
	s_xor_b64 s[22:23], exec, -1
; %bb.2331:
	s_or_b64 exec, exec, s[26:27]
	s_and_b64 s[22:23], s[22:23], exec
	s_or_saveexec_b64 s[24:25], s[24:25]
	v_mov_b32_e32 v8, 0x7f800001
	s_xor_b64 exec, exec, s[24:25]
	s_cbranch_execnz .LBB166_2365
.LBB166_2332:
	s_or_b64 exec, exec, s[24:25]
	s_and_saveexec_b64 s[24:25], s[22:23]
	s_cbranch_execz .LBB166_2334
.LBB166_2333:
	v_lshlrev_b32_e32 v8, 24, v7
	v_and_b32_e32 v7, 0xffff, v7
	v_and_b32_e32 v9, 3, v7
	v_ffbh_u32_e32 v11, v9
	v_min_u32_e32 v11, 32, v11
	v_subrev_u32_e32 v12, 29, v11
	v_bfe_u32 v10, v7, 2, 5
	v_lshlrev_b32_e32 v7, v12, v7
	v_sub_u32_e32 v11, 30, v11
	v_and_b32_e32 v7, 3, v7
	v_cmp_eq_u32_e32 vcc, 0, v10
	v_cndmask_b32_e32 v10, v10, v11, vcc
	v_cndmask_b32_e32 v7, v9, v7, vcc
	v_mov_b32_e32 v9, 0x37800000
	v_lshlrev_b32_e32 v7, 21, v7
	v_and_b32_e32 v8, 0x80000000, v8
	v_lshl_add_u32 v9, v10, 23, v9
	v_or3_b32 v8, v8, v9, v7
.LBB166_2334:
	s_or_b64 exec, exec, s[24:25]
	v_bfe_u32 v7, v8, 16, 1
	s_movk_i32 s22, 0x7fff
	v_add3_u32 v7, v8, v7, s22
	v_cmp_o_f32_e32 vcc, v8, v8
	v_mov_b32_e32 v8, 0x7fc0
	v_cndmask_b32_sdwa v7, v8, v7, vcc dst_sel:DWORD dst_unused:UNUSED_PAD src0_sel:DWORD src1_sel:WORD_1
	s_mov_b64 s[22:23], 0
	s_branch .LBB166_2353
.LBB166_2335:
	s_and_b64 vcc, exec, s[0:1]
	s_cbranch_vccnz .LBB166_2383
.LBB166_2336:
	s_andn2_b64 vcc, exec, s[22:23]
	s_cbranch_vccnz .LBB166_2338
.LBB166_2337:
	global_load_ubyte v7, v[0:1], off
	s_mov_b64 s[24:25], -1
	v_mov_b32_e32 v8, 0
	s_waitcnt vmcnt(0)
	v_cmp_ne_u16_e32 vcc, 0, v7
	v_cndmask_b32_e64 v7, 0, 1.0, vcc
	v_lshrrev_b32_e32 v7, 16, v7
.LBB166_2338:
	s_mov_b64 s[0:1], 0
.LBB166_2339:
	s_and_b64 vcc, exec, s[0:1]
	s_cbranch_vccz .LBB166_2414
; %bb.2340:
	s_and_b32 s22, 0xffff, s31
	s_cmp_lt_i32 s22, 5
	s_cbranch_scc1 .LBB166_2345
; %bb.2341:
	s_cmp_lt_i32 s22, 8
	s_cbranch_scc1 .LBB166_2347
; %bb.2342:
	;; [unrolled: 3-line block ×3, first 2 shown]
	s_cmp_gt_i32 s22, 9
	s_cbranch_scc0 .LBB166_2366
; %bb.2344:
	global_load_dwordx4 v[7:10], v[0:1], off
	s_movk_i32 s0, 0x7fff
	s_waitcnt vmcnt(0)
	v_cvt_f32_f64_e32 v7, v[7:8]
	v_cvt_f32_f64_e32 v8, v[9:10]
	v_mov_b32_e32 v9, 0x7fc0
	v_mov_b32_e32 v10, 0x7fc00000
	v_bfe_u32 v11, v7, 16, 1
	v_bfe_u32 v12, v8, 16, 1
	v_cmp_o_f32_e32 vcc, v7, v7
	v_add3_u32 v7, v7, v11, s0
	v_add3_u32 v11, v8, v12, s0
	v_cndmask_b32_sdwa v7, v9, v7, vcc dst_sel:DWORD dst_unused:UNUSED_PAD src0_sel:DWORD src1_sel:WORD_1
	v_and_b32_e32 v9, 0xffff0000, v11
	v_cmp_o_f32_e32 vcc, v8, v8
	v_cndmask_b32_e32 v8, v10, v9, vcc
	s_mov_b64 s[0:1], 0
	s_branch .LBB166_2367
.LBB166_2345:
	s_mov_b64 s[0:1], -1
                                        ; implicit-def: $vgpr8
                                        ; implicit-def: $vgpr7
	s_branch .LBB166_2392
.LBB166_2346:
	s_mov_b64 s[22:23], -1
                                        ; implicit-def: $vgpr7
	s_branch .LBB166_2359
.LBB166_2347:
	s_mov_b64 s[0:1], -1
                                        ; implicit-def: $vgpr8
                                        ; implicit-def: $vgpr7
	s_branch .LBB166_2373
.LBB166_2348:
	s_or_saveexec_b64 s[26:27], s[26:27]
	v_mov_b32_e32 v8, 0x7f800001
	s_xor_b64 exec, exec, s[26:27]
	s_cbranch_execz .LBB166_2319
.LBB166_2349:
	v_cmp_ne_u16_e32 vcc, 0, v7
	s_andn2_b64 s[24:25], s[24:25], exec
	s_and_b64 s[28:29], vcc, exec
	v_mov_b32_e32 v8, 0
	s_or_b64 s[24:25], s[24:25], s[28:29]
	s_or_b64 exec, exec, s[26:27]
	s_and_saveexec_b64 s[26:27], s[24:25]
	s_cbranch_execnz .LBB166_2320
	s_branch .LBB166_2321
.LBB166_2350:
	s_mov_b64 s[22:23], -1
                                        ; implicit-def: $vgpr7
	s_branch .LBB166_2356
.LBB166_2351:
	s_mov_b64 s[0:1], -1
                                        ; implicit-def: $vgpr8
                                        ; implicit-def: $vgpr7
	s_branch .LBB166_2370
.LBB166_2352:
	s_mov_b64 s[22:23], -1
                                        ; implicit-def: $vgpr7
.LBB166_2353:
	s_and_b64 vcc, exec, s[22:23]
	s_cbranch_vccz .LBB166_2355
; %bb.2354:
	global_load_ubyte v7, v[0:1], off
	s_mov_b32 s22, 0x7f800000
	s_brev_b32 s23, 1
	s_movk_i32 s24, 0x7fff
	s_waitcnt vmcnt(0)
	v_lshlrev_b32_e32 v7, 24, v7
	v_and_b32_e32 v8, 0x7f000000, v7
	v_ffbh_u32_e32 v9, v8
	v_min_u32_e32 v9, 32, v9
	v_sub_u32_e64 v9, v9, 4 clamp
	v_lshlrev_b32_e32 v11, v9, v8
	v_lshlrev_b32_e32 v9, 23, v9
	v_lshrrev_b32_e32 v11, 4, v11
	v_add_u32_e32 v10, 0x1000000, v8
	v_sub_u32_e32 v9, v11, v9
	v_ashrrev_i32_e32 v10, 8, v10
	v_add_u32_e32 v9, 0x3c000000, v9
	v_and_or_b32 v9, v10, s22, v9
	v_cmp_ne_u32_e32 vcc, 0, v8
	v_cndmask_b32_e32 v8, 0, v9, vcc
	v_and_or_b32 v7, v7, s23, v8
	v_bfe_u32 v8, v8, 16, 1
	v_add3_u32 v8, v7, v8, s24
	v_cmp_o_f32_e32 vcc, v7, v7
	v_mov_b32_e32 v7, 0x7fc0
	v_cndmask_b32_sdwa v7, v7, v8, vcc dst_sel:DWORD dst_unused:UNUSED_PAD src0_sel:DWORD src1_sel:WORD_1
.LBB166_2355:
	s_mov_b64 s[22:23], 0
.LBB166_2356:
	s_andn2_b64 vcc, exec, s[22:23]
	s_cbranch_vccnz .LBB166_2358
; %bb.2357:
	global_load_ubyte v7, v[0:1], off
	s_movk_i32 s22, 0x7f00
	s_brev_b32 s23, 16
	s_brev_b32 s24, 1
	s_movk_i32 s25, 0x7fff
	s_waitcnt vmcnt(0)
	v_lshlrev_b16_e32 v8, 8, v7
	v_lshlrev_b32_e32 v7, 25, v7
	v_lshrrev_b32_e32 v9, 4, v7
	v_and_or_b32 v10, v8, s22, 0.5
	v_or_b32_e32 v9, 0x70000000, v9
	v_add_f32_e32 v10, -0.5, v10
	v_mul_f32_e32 v9, 0x7800000, v9
	v_cmp_gt_u32_e32 vcc, s23, v7
	v_bfe_i32 v8, v8, 0, 16
	v_cndmask_b32_e32 v7, v9, v10, vcc
	v_and_or_b32 v8, v8, s24, v7
	v_bfe_u32 v7, v7, 16, 1
	v_add3_u32 v7, v8, v7, s25
	v_cmp_o_f32_e32 vcc, v8, v8
	v_mov_b32_e32 v8, 0x7fc0
	v_cndmask_b32_sdwa v7, v8, v7, vcc dst_sel:DWORD dst_unused:UNUSED_PAD src0_sel:DWORD src1_sel:WORD_1
.LBB166_2358:
	s_mov_b64 s[22:23], 0
	s_mov_b64 s[24:25], -1
.LBB166_2359:
	s_andn2_b64 vcc, exec, s[22:23]
	s_mov_b64 s[22:23], 0
	s_cbranch_vccnz .LBB166_2382
; %bb.2360:
	s_cmp_gt_i32 s35, 14
	s_cbranch_scc0 .LBB166_2363
; %bb.2361:
	s_cmp_eq_u32 s35, 15
	s_cbranch_scc0 .LBB166_2378
; %bb.2362:
	global_load_ushort v7, v[0:1], off
	s_mov_b64 s[0:1], 0
	s_mov_b64 s[24:25], -1
	s_branch .LBB166_2379
.LBB166_2363:
	s_mov_b64 s[26:27], -1
                                        ; implicit-def: $vgpr7
	s_branch .LBB166_2380
.LBB166_2364:
	s_or_saveexec_b64 s[24:25], s[24:25]
	v_mov_b32_e32 v8, 0x7f800001
	s_xor_b64 exec, exec, s[24:25]
	s_cbranch_execz .LBB166_2332
.LBB166_2365:
	v_cmp_ne_u16_e32 vcc, 0, v7
	s_andn2_b64 s[22:23], s[22:23], exec
	s_and_b64 s[26:27], vcc, exec
	v_mov_b32_e32 v8, 0
	s_or_b64 s[22:23], s[22:23], s[26:27]
	s_or_b64 exec, exec, s[24:25]
	s_and_saveexec_b64 s[24:25], s[22:23]
	s_cbranch_execnz .LBB166_2333
	s_branch .LBB166_2334
.LBB166_2366:
	s_mov_b64 s[0:1], -1
                                        ; implicit-def: $vgpr8
                                        ; implicit-def: $vgpr7
.LBB166_2367:
	s_andn2_b64 vcc, exec, s[0:1]
	s_cbranch_vccnz .LBB166_2369
; %bb.2368:
	global_load_dwordx2 v[7:8], v[0:1], off
	s_movk_i32 s0, 0x7fff
	v_mov_b32_e32 v9, 0x7fc0
	v_mov_b32_e32 v10, 0x7fc00000
	s_waitcnt vmcnt(0)
	v_bfe_u32 v11, v7, 16, 1
	v_bfe_u32 v12, v8, 16, 1
	v_cmp_o_f32_e32 vcc, v7, v7
	v_add3_u32 v7, v7, v11, s0
	v_add3_u32 v11, v8, v12, s0
	v_cndmask_b32_sdwa v7, v9, v7, vcc dst_sel:DWORD dst_unused:UNUSED_PAD src0_sel:DWORD src1_sel:WORD_1
	v_and_b32_e32 v9, 0xffff0000, v11
	v_cmp_o_f32_e32 vcc, v8, v8
	v_cndmask_b32_e32 v8, v10, v9, vcc
.LBB166_2369:
	s_mov_b64 s[0:1], 0
.LBB166_2370:
	s_andn2_b64 vcc, exec, s[0:1]
	s_cbranch_vccnz .LBB166_2372
; %bb.2371:
	global_load_dword v8, v[0:1], off
	s_movk_i32 s0, 0x7fff
	s_waitcnt vmcnt(1)
	v_mov_b32_e32 v7, 0x7fc0
	v_mov_b32_e32 v11, 0x7fc00000
	s_waitcnt vmcnt(0)
	v_cvt_f32_f16_e32 v9, v8
	v_cvt_f32_f16_sdwa v10, v8 dst_sel:DWORD dst_unused:UNUSED_PAD src0_sel:WORD_1
	v_cmp_o_f16_e32 vcc, v8, v8
	v_bfe_u32 v12, v9, 16, 1
	v_bfe_u32 v13, v10, 16, 1
	v_add3_u32 v9, v9, v12, s0
	v_add3_u32 v10, v10, v13, s0
	v_cndmask_b32_sdwa v7, v7, v9, vcc dst_sel:DWORD dst_unused:UNUSED_PAD src0_sel:DWORD src1_sel:WORD_1
	v_and_b32_e32 v9, 0xffff0000, v10
	v_cmp_o_f16_sdwa vcc, v8, v8 src0_sel:WORD_1 src1_sel:WORD_1
	v_cndmask_b32_e32 v8, v11, v9, vcc
.LBB166_2372:
	s_mov_b64 s[0:1], 0
.LBB166_2373:
	s_andn2_b64 vcc, exec, s[0:1]
	s_cbranch_vccnz .LBB166_2391
; %bb.2374:
	s_cmp_lt_i32 s22, 6
	s_cbranch_scc1 .LBB166_2377
; %bb.2375:
	s_cmp_gt_i32 s22, 6
	s_cbranch_scc0 .LBB166_2384
; %bb.2376:
	global_load_dwordx2 v[7:8], v[0:1], off
	s_movk_i32 s0, 0x7fff
	s_waitcnt vmcnt(0)
	v_cvt_f32_f64_e32 v7, v[7:8]
	v_mov_b32_e32 v8, 0x7fc0
	v_bfe_u32 v9, v7, 16, 1
	v_cmp_o_f32_e32 vcc, v7, v7
	v_add3_u32 v7, v7, v9, s0
	v_cndmask_b32_sdwa v7, v8, v7, vcc dst_sel:DWORD dst_unused:UNUSED_PAD src0_sel:DWORD src1_sel:WORD_1
	s_mov_b64 s[0:1], 0
	s_branch .LBB166_2385
.LBB166_2377:
	s_mov_b64 s[0:1], -1
                                        ; implicit-def: $vgpr7
	s_branch .LBB166_2388
.LBB166_2378:
	s_mov_b64 s[0:1], -1
                                        ; implicit-def: $vgpr7
.LBB166_2379:
	s_mov_b64 s[26:27], 0
.LBB166_2380:
	s_and_b64 vcc, exec, s[26:27]
	s_cbranch_vccz .LBB166_2382
; %bb.2381:
	s_cmp_lg_u32 s35, 11
	s_mov_b64 s[22:23], -1
	s_cselect_b64 s[0:1], -1, 0
.LBB166_2382:
	v_mov_b32_e32 v8, 0
	s_and_b64 vcc, exec, s[0:1]
	s_cbranch_vccz .LBB166_2336
.LBB166_2383:
	s_trap 2
	s_or_b64 s[18:19], s[18:19], exec
	s_cbranch_execz .LBB166_2337
	s_branch .LBB166_2338
.LBB166_2384:
	s_mov_b64 s[0:1], -1
                                        ; implicit-def: $vgpr7
.LBB166_2385:
	s_andn2_b64 vcc, exec, s[0:1]
	s_cbranch_vccnz .LBB166_2387
; %bb.2386:
	global_load_dword v7, v[0:1], off
	s_movk_i32 s0, 0x7fff
	v_mov_b32_e32 v8, 0x7fc0
	s_waitcnt vmcnt(0)
	v_bfe_u32 v9, v7, 16, 1
	v_cmp_o_f32_e32 vcc, v7, v7
	v_add3_u32 v7, v7, v9, s0
	v_cndmask_b32_sdwa v7, v8, v7, vcc dst_sel:DWORD dst_unused:UNUSED_PAD src0_sel:DWORD src1_sel:WORD_1
.LBB166_2387:
	s_mov_b64 s[0:1], 0
.LBB166_2388:
	s_andn2_b64 vcc, exec, s[0:1]
	s_cbranch_vccnz .LBB166_2390
; %bb.2389:
	global_load_ushort v7, v[0:1], off
	s_movk_i32 s0, 0x7fff
	v_mov_b32_e32 v9, 0x7fc0
	s_waitcnt vmcnt(0)
	v_cvt_f32_f16_e32 v8, v7
	v_cmp_o_f16_e32 vcc, v7, v7
	v_bfe_u32 v7, v8, 16, 1
	v_add3_u32 v7, v8, v7, s0
	v_cndmask_b32_sdwa v7, v9, v7, vcc dst_sel:DWORD dst_unused:UNUSED_PAD src0_sel:DWORD src1_sel:WORD_1
.LBB166_2390:
	v_mov_b32_e32 v8, 0
.LBB166_2391:
	s_mov_b64 s[0:1], 0
.LBB166_2392:
	s_andn2_b64 vcc, exec, s[0:1]
	s_cbranch_vccnz .LBB166_2413
; %bb.2393:
	s_cmp_lt_i32 s22, 2
	s_cbranch_scc1 .LBB166_2397
; %bb.2394:
	s_cmp_lt_i32 s22, 3
	s_cbranch_scc1 .LBB166_2398
; %bb.2395:
	s_cmp_gt_i32 s22, 3
	s_cbranch_scc0 .LBB166_2399
; %bb.2396:
	global_load_dwordx2 v[7:8], v[0:1], off
	s_movk_i32 s0, 0x7fff
	s_waitcnt vmcnt(0)
	v_xor_b32_e32 v10, v7, v8
	v_ffbh_i32_e32 v9, v8
	v_ashrrev_i32_e32 v10, 31, v10
	v_add_u32_e32 v9, -1, v9
	v_add_u32_e32 v10, 32, v10
	v_min_u32_e32 v9, v9, v10
	v_lshlrev_b64 v[7:8], v9, v[7:8]
	v_min_u32_e32 v7, 1, v7
	v_or_b32_e32 v7, v8, v7
	v_cvt_f32_i32_e32 v7, v7
	v_sub_u32_e32 v8, 32, v9
	v_ldexp_f32 v7, v7, v8
	v_bfe_u32 v8, v7, 16, 1
	v_add3_u32 v7, v7, v8, s0
	v_lshrrev_b32_e32 v7, 16, v7
	s_mov_b64 s[0:1], 0
	s_branch .LBB166_2400
.LBB166_2397:
	s_mov_b64 s[0:1], -1
                                        ; implicit-def: $vgpr7
	s_branch .LBB166_2406
.LBB166_2398:
	s_mov_b64 s[0:1], -1
                                        ; implicit-def: $vgpr7
	s_branch .LBB166_2403
.LBB166_2399:
	s_mov_b64 s[0:1], -1
                                        ; implicit-def: $vgpr7
.LBB166_2400:
	s_andn2_b64 vcc, exec, s[0:1]
	s_cbranch_vccnz .LBB166_2402
; %bb.2401:
	global_load_dword v7, v[0:1], off
	s_movk_i32 s0, 0x7fff
	s_waitcnt vmcnt(0)
	v_cvt_f32_i32_e32 v7, v7
	v_bfe_u32 v8, v7, 16, 1
	v_add3_u32 v7, v7, v8, s0
	v_lshrrev_b32_e32 v7, 16, v7
.LBB166_2402:
	s_mov_b64 s[0:1], 0
.LBB166_2403:
	s_andn2_b64 vcc, exec, s[0:1]
	s_cbranch_vccnz .LBB166_2405
; %bb.2404:
	global_load_sshort v7, v[0:1], off
	s_movk_i32 s0, 0x7fff
	s_waitcnt vmcnt(0)
	v_cvt_f32_i32_e32 v7, v7
	v_bfe_u32 v8, v7, 16, 1
	v_add3_u32 v7, v7, v8, s0
	v_lshrrev_b32_e32 v7, 16, v7
.LBB166_2405:
	s_mov_b64 s[0:1], 0
.LBB166_2406:
	s_andn2_b64 vcc, exec, s[0:1]
	s_cbranch_vccnz .LBB166_2412
; %bb.2407:
	s_cmp_gt_i32 s22, 0
	s_cbranch_scc0 .LBB166_2409
; %bb.2408:
	global_load_sbyte v7, v[0:1], off
	s_movk_i32 s0, 0x7fff
	s_waitcnt vmcnt(0)
	v_cvt_f32_i32_e32 v7, v7
	v_bfe_u32 v8, v7, 16, 1
	v_add3_u32 v7, v7, v8, s0
	v_lshrrev_b32_e32 v7, 16, v7
	s_mov_b64 s[0:1], 0
	s_branch .LBB166_2410
.LBB166_2409:
	s_mov_b64 s[0:1], -1
                                        ; implicit-def: $vgpr7
.LBB166_2410:
	s_andn2_b64 vcc, exec, s[0:1]
	s_cbranch_vccnz .LBB166_2412
; %bb.2411:
	global_load_ubyte v0, v[0:1], off
	s_movk_i32 s0, 0x7fff
	s_waitcnt vmcnt(0)
	v_cvt_f32_ubyte0_e32 v0, v0
	v_bfe_u32 v1, v0, 16, 1
	v_add3_u32 v0, v0, v1, s0
	v_lshrrev_b32_e32 v7, 16, v0
.LBB166_2412:
	v_mov_b32_e32 v8, 0
.LBB166_2413:
	s_mov_b64 s[24:25], -1
.LBB166_2414:
	s_andn2_b64 vcc, exec, s[24:25]
	s_cbranch_vccnz .LBB166_2692
; %bb.2415:
	s_waitcnt vmcnt(0)
	v_or_b32_sdwa v0, v6, v5 dst_sel:DWORD dst_unused:UNUSED_PAD src0_sel:DWORD src1_sel:WORD_0
	v_or_b32_sdwa v1, v8, v7 dst_sel:DWORD dst_unused:UNUSED_PAD src0_sel:DWORD src1_sel:WORD_0
	s_and_b64 vcc, exec, s[20:21]
	v_lshlrev_b32_e32 v0, 16, v0
	v_lshlrev_b32_e32 v1, 16, v1
	s_cbranch_vccz .LBB166_2417
; %bb.2416:
	v_and_b32_e32 v5, 0xffff0000, v6
	v_and_b32_e32 v7, 0xffff0000, v8
	v_cmp_neq_f32_e32 vcc, v0, v1
	v_cmp_neq_f32_e64 s[0:1], v5, v7
	s_or_b64 s[22:23], vcc, s[0:1]
	s_mov_b64 s[0:1], 0
	s_branch .LBB166_2418
.LBB166_2417:
	s_mov_b64 s[0:1], -1
                                        ; implicit-def: $sgpr22_sgpr23
.LBB166_2418:
	s_andn2_b64 vcc, exec, s[0:1]
	s_cbranch_vccnz .LBB166_2420
; %bb.2419:
	v_and_b32_e32 v5, 0xffff0000, v8
	v_and_b32_e32 v6, 0xffff0000, v6
	v_cmp_eq_f32_e32 vcc, v0, v1
	v_cmp_eq_f32_e64 s[0:1], v6, v5
	s_and_b64 s[0:1], vcc, s[0:1]
	s_andn2_b64 s[22:23], s[22:23], exec
	s_and_b64 s[0:1], s[0:1], exec
	s_or_b64 s[22:23], s[22:23], s[0:1]
.LBB166_2420:
	v_add_u32_e32 v0, s13, v3
	v_ashrrev_i32_e32 v1, 31, v0
	v_mov_b32_e32 v3, s11
	v_add_co_u32_e32 v0, vcc, s10, v0
	s_cmp_lt_i32 s30, 11
	v_addc_co_u32_e32 v1, vcc, v3, v1, vcc
	s_cbranch_scc1 .LBB166_2427
; %bb.2421:
	s_and_b32 s13, 0xffff, s30
	s_cmp_gt_i32 s13, 25
	s_mov_b64 s[10:11], 0
	s_cbranch_scc0 .LBB166_2428
; %bb.2422:
	s_cmp_gt_i32 s13, 28
	s_cbranch_scc0 .LBB166_2429
; %bb.2423:
	s_cmp_gt_i32 s13, 43
	s_cbranch_scc0 .LBB166_2430
; %bb.2424:
	s_cmp_gt_i32 s13, 45
	s_cbranch_scc0 .LBB166_2431
; %bb.2425:
	s_cmp_eq_u32 s13, 46
	s_mov_b64 s[26:27], 0
	s_cbranch_scc0 .LBB166_2432
; %bb.2426:
	global_load_dword v3, v[0:1], off
	s_mov_b64 s[0:1], 0
	s_mov_b64 s[24:25], -1
	s_waitcnt vmcnt(0)
	v_and_b32_e32 v5, 0xffff0000, v3
	s_branch .LBB166_2433
.LBB166_2427:
	s_mov_b64 s[0:1], -1
	s_mov_b64 s[24:25], 0
                                        ; implicit-def: $vgpr5
                                        ; implicit-def: $vgpr3
	s_branch .LBB166_2479
.LBB166_2428:
	s_mov_b64 s[26:27], -1
	s_mov_b64 s[24:25], 0
	s_mov_b64 s[0:1], 0
                                        ; implicit-def: $vgpr5
                                        ; implicit-def: $vgpr3
	s_branch .LBB166_2464
.LBB166_2429:
	s_mov_b64 s[26:27], -1
	s_mov_b64 s[24:25], 0
	s_mov_b64 s[0:1], 0
                                        ; implicit-def: $vgpr5
                                        ; implicit-def: $vgpr3
	s_branch .LBB166_2445
.LBB166_2430:
	s_mov_b64 s[26:27], -1
	s_mov_b64 s[24:25], 0
	s_mov_b64 s[0:1], 0
                                        ; implicit-def: $vgpr5
                                        ; implicit-def: $vgpr3
	s_branch .LBB166_2439
.LBB166_2431:
	s_mov_b64 s[26:27], -1
	s_mov_b64 s[24:25], 0
	s_mov_b64 s[0:1], 0
                                        ; implicit-def: $vgpr5
                                        ; implicit-def: $vgpr3
	s_branch .LBB166_2433
.LBB166_2432:
	s_mov_b64 s[0:1], -1
                                        ; implicit-def: $vgpr5
                                        ; implicit-def: $vgpr3
	s_mov_b64 s[24:25], 0
.LBB166_2433:
	s_and_b64 vcc, exec, s[26:27]
	s_cbranch_vccz .LBB166_2438
; %bb.2434:
	s_cmp_eq_u32 s13, 44
	s_cbranch_scc0 .LBB166_2436
; %bb.2435:
	global_load_ubyte v3, v[0:1], off
	s_movk_i32 s24, 0xff
	v_mov_b32_e32 v5, 0x7f800001
	v_mov_b32_e32 v6, 0x400000
	;; [unrolled: 1-line block ×3, first 2 shown]
	s_mov_b64 s[0:1], 0
	s_waitcnt vmcnt(0)
	v_lshlrev_b32_e32 v8, 23, v3
	v_cmp_ne_u32_e32 vcc, s24, v3
	v_cndmask_b32_e32 v5, v5, v8, vcc
	v_cmp_ne_u32_e32 vcc, 0, v3
	v_cndmask_b32_e32 v3, v6, v5, vcc
	v_add_u32_e32 v5, 0x7fff, v3
	v_cmp_o_f32_e32 vcc, v3, v3
	v_cndmask_b32_sdwa v3, v7, v5, vcc dst_sel:DWORD dst_unused:UNUSED_PAD src0_sel:DWORD src1_sel:WORD_1
	s_mov_b64 s[24:25], -1
	s_branch .LBB166_2437
.LBB166_2436:
	s_mov_b64 s[0:1], -1
                                        ; implicit-def: $vgpr3
.LBB166_2437:
	v_mov_b32_e32 v5, 0
.LBB166_2438:
	s_mov_b64 s[26:27], 0
.LBB166_2439:
	s_and_b64 vcc, exec, s[26:27]
	s_cbranch_vccz .LBB166_2444
; %bb.2440:
	s_cmp_eq_u32 s13, 29
	s_cbranch_scc0 .LBB166_2442
; %bb.2441:
	global_load_dwordx2 v[5:6], v[0:1], off
	s_movk_i32 s24, 0x7fff
	s_mov_b64 s[0:1], 0
	s_waitcnt vmcnt(0)
	v_ffbh_u32_e32 v3, v6
	v_min_u32_e32 v3, 32, v3
	v_lshlrev_b64 v[5:6], v3, v[5:6]
	v_sub_u32_e32 v3, 32, v3
	v_min_u32_e32 v5, 1, v5
	v_or_b32_e32 v5, v6, v5
	v_cvt_f32_u32_e32 v5, v5
	v_ldexp_f32 v3, v5, v3
	v_bfe_u32 v5, v3, 16, 1
	v_add3_u32 v3, v3, v5, s24
	v_lshrrev_b32_e32 v3, 16, v3
	s_mov_b64 s[24:25], -1
	s_branch .LBB166_2443
.LBB166_2442:
	s_mov_b64 s[0:1], -1
                                        ; implicit-def: $vgpr3
.LBB166_2443:
	v_mov_b32_e32 v5, 0
.LBB166_2444:
	s_mov_b64 s[26:27], 0
.LBB166_2445:
	s_and_b64 vcc, exec, s[26:27]
	s_cbranch_vccz .LBB166_2463
; %bb.2446:
	s_cmp_lt_i32 s13, 27
	s_cbranch_scc1 .LBB166_2449
; %bb.2447:
	s_cmp_gt_i32 s13, 27
	s_cbranch_scc0 .LBB166_2450
; %bb.2448:
	global_load_dword v3, v[0:1], off
	s_movk_i32 s24, 0x7fff
	s_waitcnt vmcnt(0)
	v_cvt_f32_u32_e32 v3, v3
	v_bfe_u32 v5, v3, 16, 1
	v_add3_u32 v3, v3, v5, s24
	v_lshrrev_b32_e32 v3, 16, v3
	s_mov_b64 s[24:25], 0
	s_branch .LBB166_2451
.LBB166_2449:
	s_mov_b64 s[24:25], -1
                                        ; implicit-def: $vgpr3
	s_branch .LBB166_2454
.LBB166_2450:
	s_mov_b64 s[24:25], -1
                                        ; implicit-def: $vgpr3
.LBB166_2451:
	s_andn2_b64 vcc, exec, s[24:25]
	s_cbranch_vccnz .LBB166_2453
; %bb.2452:
	global_load_ushort v3, v[0:1], off
	s_movk_i32 s24, 0x7fff
	s_waitcnt vmcnt(0)
	v_cvt_f32_u32_e32 v3, v3
	v_bfe_u32 v5, v3, 16, 1
	v_add3_u32 v3, v3, v5, s24
	v_lshrrev_b32_e32 v3, 16, v3
.LBB166_2453:
	s_mov_b64 s[24:25], 0
.LBB166_2454:
	s_andn2_b64 vcc, exec, s[24:25]
	s_cbranch_vccnz .LBB166_2462
; %bb.2455:
	global_load_ubyte v3, v[0:1], off
	s_movk_i32 s24, 0x7f
	s_waitcnt vmcnt(0)
	v_cmp_lt_i16_e32 vcc, s24, v3
	s_mov_b64 s[24:25], 0
	s_and_saveexec_b64 s[26:27], vcc
	s_xor_b64 s[26:27], exec, s[26:27]
	s_cbranch_execz .LBB166_2488
; %bb.2456:
	s_movk_i32 s24, 0x80
	v_cmp_eq_u16_e32 vcc, s24, v3
	s_mov_b64 s[24:25], -1
	s_and_saveexec_b64 s[28:29], vcc
; %bb.2457:
	s_xor_b64 s[24:25], exec, -1
; %bb.2458:
	s_or_b64 exec, exec, s[28:29]
	s_and_b64 s[24:25], s[24:25], exec
	s_or_saveexec_b64 s[26:27], s[26:27]
	v_mov_b32_e32 v5, 0x7f800001
	s_xor_b64 exec, exec, s[26:27]
	s_cbranch_execnz .LBB166_2489
.LBB166_2459:
	s_or_b64 exec, exec, s[26:27]
	s_and_saveexec_b64 s[26:27], s[24:25]
	s_cbranch_execz .LBB166_2461
.LBB166_2460:
	v_lshlrev_b32_e32 v5, 24, v3
	v_and_b32_e32 v3, 0xffff, v3
	v_and_b32_e32 v6, 7, v3
	v_ffbh_u32_e32 v8, v6
	v_min_u32_e32 v8, 32, v8
	v_subrev_u32_e32 v9, 28, v8
	v_bfe_u32 v7, v3, 3, 4
	v_lshlrev_b32_e32 v3, v9, v3
	v_sub_u32_e32 v8, 29, v8
	v_and_b32_e32 v3, 7, v3
	v_cmp_eq_u32_e32 vcc, 0, v7
	v_cndmask_b32_e32 v7, v7, v8, vcc
	v_cndmask_b32_e32 v3, v6, v3, vcc
	v_mov_b32_e32 v6, 0x3b800000
	v_lshlrev_b32_e32 v3, 20, v3
	v_and_b32_e32 v5, 0x80000000, v5
	v_lshl_add_u32 v6, v7, 23, v6
	v_or3_b32 v5, v5, v6, v3
.LBB166_2461:
	s_or_b64 exec, exec, s[26:27]
	v_bfe_u32 v3, v5, 16, 1
	s_movk_i32 s24, 0x7fff
	v_add3_u32 v3, v5, v3, s24
	v_cmp_o_f32_e32 vcc, v5, v5
	v_mov_b32_e32 v5, 0x7fc0
	v_cndmask_b32_sdwa v3, v5, v3, vcc dst_sel:DWORD dst_unused:UNUSED_PAD src0_sel:DWORD src1_sel:WORD_1
.LBB166_2462:
	s_mov_b64 s[24:25], -1
	v_mov_b32_e32 v5, 0
.LBB166_2463:
	s_mov_b64 s[26:27], 0
.LBB166_2464:
	s_and_b64 vcc, exec, s[26:27]
	s_cbranch_vccz .LBB166_2475
; %bb.2465:
	s_cmp_gt_i32 s13, 22
	s_cbranch_scc0 .LBB166_2486
; %bb.2466:
	s_cmp_lt_i32 s13, 24
	s_cbranch_scc1 .LBB166_2490
; %bb.2467:
	s_cmp_gt_i32 s13, 24
	s_cbranch_scc0 .LBB166_2492
; %bb.2468:
	global_load_ubyte v3, v[0:1], off
	s_movk_i32 s10, 0x7f
	s_waitcnt vmcnt(0)
	v_cmp_lt_i16_e32 vcc, s10, v3
	s_mov_b64 s[10:11], 0
	s_and_saveexec_b64 s[24:25], vcc
	s_xor_b64 s[24:25], exec, s[24:25]
	s_cbranch_execz .LBB166_2504
; %bb.2469:
	s_movk_i32 s10, 0x80
	v_cmp_eq_u16_e32 vcc, s10, v3
	s_mov_b64 s[10:11], -1
	s_and_saveexec_b64 s[26:27], vcc
; %bb.2470:
	s_xor_b64 s[10:11], exec, -1
; %bb.2471:
	s_or_b64 exec, exec, s[26:27]
	s_and_b64 s[10:11], s[10:11], exec
	s_or_saveexec_b64 s[24:25], s[24:25]
	v_mov_b32_e32 v5, 0x7f800001
	s_xor_b64 exec, exec, s[24:25]
	s_cbranch_execnz .LBB166_2505
.LBB166_2472:
	s_or_b64 exec, exec, s[24:25]
	s_and_saveexec_b64 s[24:25], s[10:11]
	s_cbranch_execz .LBB166_2474
.LBB166_2473:
	v_lshlrev_b32_e32 v5, 24, v3
	v_and_b32_e32 v3, 0xffff, v3
	v_and_b32_e32 v6, 3, v3
	v_ffbh_u32_e32 v8, v6
	v_min_u32_e32 v8, 32, v8
	v_subrev_u32_e32 v9, 29, v8
	v_bfe_u32 v7, v3, 2, 5
	v_lshlrev_b32_e32 v3, v9, v3
	v_sub_u32_e32 v8, 30, v8
	v_and_b32_e32 v3, 3, v3
	v_cmp_eq_u32_e32 vcc, 0, v7
	v_cndmask_b32_e32 v7, v7, v8, vcc
	v_cndmask_b32_e32 v3, v6, v3, vcc
	v_mov_b32_e32 v6, 0x37800000
	v_lshlrev_b32_e32 v3, 21, v3
	v_and_b32_e32 v5, 0x80000000, v5
	v_lshl_add_u32 v6, v7, 23, v6
	v_or3_b32 v5, v5, v6, v3
.LBB166_2474:
	s_or_b64 exec, exec, s[24:25]
	v_bfe_u32 v3, v5, 16, 1
	s_movk_i32 s10, 0x7fff
	v_add3_u32 v3, v5, v3, s10
	v_cmp_o_f32_e32 vcc, v5, v5
	v_mov_b32_e32 v5, 0x7fc0
	v_cndmask_b32_sdwa v3, v5, v3, vcc dst_sel:DWORD dst_unused:UNUSED_PAD src0_sel:DWORD src1_sel:WORD_1
	s_mov_b64 s[10:11], 0
	s_branch .LBB166_2493
.LBB166_2475:
	s_and_b64 vcc, exec, s[0:1]
	s_cbranch_vccnz .LBB166_2523
.LBB166_2476:
	s_andn2_b64 vcc, exec, s[10:11]
	s_cbranch_vccnz .LBB166_2478
.LBB166_2477:
	global_load_ubyte v3, v[0:1], off
	s_mov_b64 s[24:25], -1
	v_mov_b32_e32 v5, 0
	s_waitcnt vmcnt(0)
	v_cmp_ne_u16_e32 vcc, 0, v3
	v_cndmask_b32_e64 v3, 0, 1.0, vcc
	v_lshrrev_b32_e32 v3, 16, v3
.LBB166_2478:
	s_mov_b64 s[0:1], 0
.LBB166_2479:
	s_and_b64 vcc, exec, s[0:1]
	s_cbranch_vccz .LBB166_2554
; %bb.2480:
	s_and_b32 s10, 0xffff, s30
	s_cmp_lt_i32 s10, 5
	s_cbranch_scc1 .LBB166_2485
; %bb.2481:
	s_cmp_lt_i32 s10, 8
	s_cbranch_scc1 .LBB166_2487
; %bb.2482:
	;; [unrolled: 3-line block ×3, first 2 shown]
	s_cmp_gt_i32 s10, 9
	s_cbranch_scc0 .LBB166_2506
; %bb.2484:
	global_load_dwordx4 v[5:8], v[0:1], off
	s_movk_i32 s0, 0x7fff
	s_waitcnt vmcnt(0)
	v_cvt_f32_f64_e32 v3, v[5:6]
	v_cvt_f32_f64_e32 v5, v[7:8]
	v_mov_b32_e32 v6, 0x7fc0
	v_mov_b32_e32 v7, 0x7fc00000
	v_bfe_u32 v8, v3, 16, 1
	v_bfe_u32 v9, v5, 16, 1
	v_cmp_o_f32_e32 vcc, v3, v3
	v_add3_u32 v3, v3, v8, s0
	v_add3_u32 v8, v5, v9, s0
	v_cndmask_b32_sdwa v3, v6, v3, vcc dst_sel:DWORD dst_unused:UNUSED_PAD src0_sel:DWORD src1_sel:WORD_1
	v_and_b32_e32 v6, 0xffff0000, v8
	v_cmp_o_f32_e32 vcc, v5, v5
	v_cndmask_b32_e32 v5, v7, v6, vcc
	s_mov_b64 s[0:1], 0
	s_branch .LBB166_2507
.LBB166_2485:
	s_mov_b64 s[0:1], -1
                                        ; implicit-def: $vgpr5
                                        ; implicit-def: $vgpr3
	s_branch .LBB166_2532
.LBB166_2486:
	s_mov_b64 s[10:11], -1
                                        ; implicit-def: $vgpr3
	s_branch .LBB166_2499
.LBB166_2487:
	s_mov_b64 s[0:1], -1
                                        ; implicit-def: $vgpr5
                                        ; implicit-def: $vgpr3
	s_branch .LBB166_2513
.LBB166_2488:
	s_or_saveexec_b64 s[26:27], s[26:27]
	v_mov_b32_e32 v5, 0x7f800001
	s_xor_b64 exec, exec, s[26:27]
	s_cbranch_execz .LBB166_2459
.LBB166_2489:
	v_cmp_ne_u16_e32 vcc, 0, v3
	s_andn2_b64 s[24:25], s[24:25], exec
	s_and_b64 s[28:29], vcc, exec
	v_mov_b32_e32 v5, 0
	s_or_b64 s[24:25], s[24:25], s[28:29]
	s_or_b64 exec, exec, s[26:27]
	s_and_saveexec_b64 s[26:27], s[24:25]
	s_cbranch_execnz .LBB166_2460
	s_branch .LBB166_2461
.LBB166_2490:
	s_mov_b64 s[10:11], -1
                                        ; implicit-def: $vgpr3
	s_branch .LBB166_2496
.LBB166_2491:
	s_mov_b64 s[0:1], -1
                                        ; implicit-def: $vgpr5
                                        ; implicit-def: $vgpr3
	s_branch .LBB166_2510
.LBB166_2492:
	s_mov_b64 s[10:11], -1
                                        ; implicit-def: $vgpr3
.LBB166_2493:
	s_and_b64 vcc, exec, s[10:11]
	s_cbranch_vccz .LBB166_2495
; %bb.2494:
	global_load_ubyte v3, v[0:1], off
	s_mov_b32 s10, 0x7f800000
	s_brev_b32 s11, 1
	s_movk_i32 s24, 0x7fff
	s_waitcnt vmcnt(0)
	v_lshlrev_b32_e32 v3, 24, v3
	v_and_b32_e32 v5, 0x7f000000, v3
	v_ffbh_u32_e32 v6, v5
	v_min_u32_e32 v6, 32, v6
	v_sub_u32_e64 v6, v6, 4 clamp
	v_lshlrev_b32_e32 v8, v6, v5
	v_lshlrev_b32_e32 v6, 23, v6
	v_lshrrev_b32_e32 v8, 4, v8
	v_add_u32_e32 v7, 0x1000000, v5
	v_sub_u32_e32 v6, v8, v6
	v_ashrrev_i32_e32 v7, 8, v7
	v_add_u32_e32 v6, 0x3c000000, v6
	v_and_or_b32 v6, v7, s10, v6
	v_cmp_ne_u32_e32 vcc, 0, v5
	v_cndmask_b32_e32 v5, 0, v6, vcc
	v_and_or_b32 v3, v3, s11, v5
	v_bfe_u32 v5, v5, 16, 1
	v_add3_u32 v5, v3, v5, s24
	v_cmp_o_f32_e32 vcc, v3, v3
	v_mov_b32_e32 v3, 0x7fc0
	v_cndmask_b32_sdwa v3, v3, v5, vcc dst_sel:DWORD dst_unused:UNUSED_PAD src0_sel:DWORD src1_sel:WORD_1
.LBB166_2495:
	s_mov_b64 s[10:11], 0
.LBB166_2496:
	s_andn2_b64 vcc, exec, s[10:11]
	s_cbranch_vccnz .LBB166_2498
; %bb.2497:
	global_load_ubyte v3, v[0:1], off
	s_movk_i32 s10, 0x7f00
	s_brev_b32 s11, 16
	s_brev_b32 s24, 1
	s_movk_i32 s25, 0x7fff
	s_waitcnt vmcnt(0)
	v_lshlrev_b16_e32 v5, 8, v3
	v_lshlrev_b32_e32 v3, 25, v3
	v_lshrrev_b32_e32 v6, 4, v3
	v_and_or_b32 v7, v5, s10, 0.5
	v_or_b32_e32 v6, 0x70000000, v6
	v_add_f32_e32 v7, -0.5, v7
	v_mul_f32_e32 v6, 0x7800000, v6
	v_cmp_gt_u32_e32 vcc, s11, v3
	v_bfe_i32 v5, v5, 0, 16
	v_cndmask_b32_e32 v3, v6, v7, vcc
	v_and_or_b32 v5, v5, s24, v3
	v_bfe_u32 v3, v3, 16, 1
	v_add3_u32 v3, v5, v3, s25
	v_cmp_o_f32_e32 vcc, v5, v5
	v_mov_b32_e32 v5, 0x7fc0
	v_cndmask_b32_sdwa v3, v5, v3, vcc dst_sel:DWORD dst_unused:UNUSED_PAD src0_sel:DWORD src1_sel:WORD_1
.LBB166_2498:
	s_mov_b64 s[10:11], 0
	s_mov_b64 s[24:25], -1
.LBB166_2499:
	s_andn2_b64 vcc, exec, s[10:11]
	s_mov_b64 s[10:11], 0
	s_cbranch_vccnz .LBB166_2522
; %bb.2500:
	s_cmp_gt_i32 s13, 14
	s_cbranch_scc0 .LBB166_2503
; %bb.2501:
	s_cmp_eq_u32 s13, 15
	s_cbranch_scc0 .LBB166_2518
; %bb.2502:
	global_load_ushort v3, v[0:1], off
	s_mov_b64 s[0:1], 0
	s_mov_b64 s[24:25], -1
	s_branch .LBB166_2519
.LBB166_2503:
	s_mov_b64 s[26:27], -1
                                        ; implicit-def: $vgpr3
	s_branch .LBB166_2520
.LBB166_2504:
	s_or_saveexec_b64 s[24:25], s[24:25]
	v_mov_b32_e32 v5, 0x7f800001
	s_xor_b64 exec, exec, s[24:25]
	s_cbranch_execz .LBB166_2472
.LBB166_2505:
	v_cmp_ne_u16_e32 vcc, 0, v3
	s_andn2_b64 s[10:11], s[10:11], exec
	s_and_b64 s[26:27], vcc, exec
	v_mov_b32_e32 v5, 0
	s_or_b64 s[10:11], s[10:11], s[26:27]
	s_or_b64 exec, exec, s[24:25]
	s_and_saveexec_b64 s[24:25], s[10:11]
	s_cbranch_execnz .LBB166_2473
	s_branch .LBB166_2474
.LBB166_2506:
	s_mov_b64 s[0:1], -1
                                        ; implicit-def: $vgpr5
                                        ; implicit-def: $vgpr3
.LBB166_2507:
	s_andn2_b64 vcc, exec, s[0:1]
	s_cbranch_vccnz .LBB166_2509
; %bb.2508:
	global_load_dwordx2 v[5:6], v[0:1], off
	s_movk_i32 s0, 0x7fff
	s_waitcnt vmcnt(1)
	v_mov_b32_e32 v3, 0x7fc0
	v_mov_b32_e32 v7, 0x7fc00000
	s_waitcnt vmcnt(0)
	v_bfe_u32 v8, v5, 16, 1
	v_bfe_u32 v9, v6, 16, 1
	v_cmp_o_f32_e32 vcc, v5, v5
	v_add3_u32 v5, v5, v8, s0
	v_add3_u32 v8, v6, v9, s0
	v_cndmask_b32_sdwa v3, v3, v5, vcc dst_sel:DWORD dst_unused:UNUSED_PAD src0_sel:DWORD src1_sel:WORD_1
	v_and_b32_e32 v5, 0xffff0000, v8
	v_cmp_o_f32_e32 vcc, v6, v6
	v_cndmask_b32_e32 v5, v7, v5, vcc
.LBB166_2509:
	s_mov_b64 s[0:1], 0
.LBB166_2510:
	s_andn2_b64 vcc, exec, s[0:1]
	s_cbranch_vccnz .LBB166_2512
; %bb.2511:
	global_load_dword v5, v[0:1], off
	s_movk_i32 s0, 0x7fff
	s_waitcnt vmcnt(1)
	v_mov_b32_e32 v3, 0x7fc0
	v_mov_b32_e32 v8, 0x7fc00000
	s_waitcnt vmcnt(0)
	v_cvt_f32_f16_e32 v6, v5
	v_cvt_f32_f16_sdwa v7, v5 dst_sel:DWORD dst_unused:UNUSED_PAD src0_sel:WORD_1
	v_cmp_o_f16_e32 vcc, v5, v5
	v_bfe_u32 v9, v6, 16, 1
	v_bfe_u32 v10, v7, 16, 1
	v_add3_u32 v6, v6, v9, s0
	v_add3_u32 v7, v7, v10, s0
	v_cndmask_b32_sdwa v3, v3, v6, vcc dst_sel:DWORD dst_unused:UNUSED_PAD src0_sel:DWORD src1_sel:WORD_1
	v_and_b32_e32 v6, 0xffff0000, v7
	v_cmp_o_f16_sdwa vcc, v5, v5 src0_sel:WORD_1 src1_sel:WORD_1
	v_cndmask_b32_e32 v5, v8, v6, vcc
.LBB166_2512:
	s_mov_b64 s[0:1], 0
.LBB166_2513:
	s_andn2_b64 vcc, exec, s[0:1]
	s_cbranch_vccnz .LBB166_2531
; %bb.2514:
	s_cmp_lt_i32 s10, 6
	s_cbranch_scc1 .LBB166_2517
; %bb.2515:
	s_cmp_gt_i32 s10, 6
	s_cbranch_scc0 .LBB166_2524
; %bb.2516:
	global_load_dwordx2 v[5:6], v[0:1], off
	s_movk_i32 s0, 0x7fff
	s_waitcnt vmcnt(0)
	v_cvt_f32_f64_e32 v3, v[5:6]
	v_mov_b32_e32 v5, 0x7fc0
	v_bfe_u32 v6, v3, 16, 1
	v_cmp_o_f32_e32 vcc, v3, v3
	v_add3_u32 v3, v3, v6, s0
	v_cndmask_b32_sdwa v3, v5, v3, vcc dst_sel:DWORD dst_unused:UNUSED_PAD src0_sel:DWORD src1_sel:WORD_1
	s_mov_b64 s[0:1], 0
	s_branch .LBB166_2525
.LBB166_2517:
	s_mov_b64 s[0:1], -1
                                        ; implicit-def: $vgpr3
	s_branch .LBB166_2528
.LBB166_2518:
	s_mov_b64 s[0:1], -1
                                        ; implicit-def: $vgpr3
.LBB166_2519:
	s_mov_b64 s[26:27], 0
.LBB166_2520:
	s_and_b64 vcc, exec, s[26:27]
	s_cbranch_vccz .LBB166_2522
; %bb.2521:
	s_cmp_lg_u32 s13, 11
	s_mov_b64 s[10:11], -1
	s_cselect_b64 s[0:1], -1, 0
.LBB166_2522:
	v_mov_b32_e32 v5, 0
	s_and_b64 vcc, exec, s[0:1]
	s_cbranch_vccz .LBB166_2476
.LBB166_2523:
	s_trap 2
	s_or_b64 s[18:19], s[18:19], exec
	s_cbranch_execz .LBB166_2477
	s_branch .LBB166_2478
.LBB166_2524:
	s_mov_b64 s[0:1], -1
                                        ; implicit-def: $vgpr3
.LBB166_2525:
	s_andn2_b64 vcc, exec, s[0:1]
	s_cbranch_vccnz .LBB166_2527
; %bb.2526:
	global_load_dword v3, v[0:1], off
	s_movk_i32 s0, 0x7fff
	v_mov_b32_e32 v5, 0x7fc0
	s_waitcnt vmcnt(0)
	v_bfe_u32 v6, v3, 16, 1
	v_cmp_o_f32_e32 vcc, v3, v3
	v_add3_u32 v3, v3, v6, s0
	v_cndmask_b32_sdwa v3, v5, v3, vcc dst_sel:DWORD dst_unused:UNUSED_PAD src0_sel:DWORD src1_sel:WORD_1
.LBB166_2527:
	s_mov_b64 s[0:1], 0
.LBB166_2528:
	s_andn2_b64 vcc, exec, s[0:1]
	s_cbranch_vccnz .LBB166_2530
; %bb.2529:
	global_load_ushort v3, v[0:1], off
	s_movk_i32 s0, 0x7fff
	v_mov_b32_e32 v6, 0x7fc0
	s_waitcnt vmcnt(0)
	v_cvt_f32_f16_e32 v5, v3
	v_cmp_o_f16_e32 vcc, v3, v3
	v_bfe_u32 v3, v5, 16, 1
	v_add3_u32 v3, v5, v3, s0
	v_cndmask_b32_sdwa v3, v6, v3, vcc dst_sel:DWORD dst_unused:UNUSED_PAD src0_sel:DWORD src1_sel:WORD_1
.LBB166_2530:
	v_mov_b32_e32 v5, 0
.LBB166_2531:
	s_mov_b64 s[0:1], 0
.LBB166_2532:
	s_andn2_b64 vcc, exec, s[0:1]
	s_cbranch_vccnz .LBB166_2553
; %bb.2533:
	s_cmp_lt_i32 s10, 2
	s_cbranch_scc1 .LBB166_2537
; %bb.2534:
	s_cmp_lt_i32 s10, 3
	s_cbranch_scc1 .LBB166_2538
; %bb.2535:
	s_cmp_gt_i32 s10, 3
	s_cbranch_scc0 .LBB166_2539
; %bb.2536:
	global_load_dwordx2 v[5:6], v[0:1], off
	s_movk_i32 s0, 0x7fff
	s_waitcnt vmcnt(0)
	v_xor_b32_e32 v7, v5, v6
	v_ffbh_i32_e32 v3, v6
	v_ashrrev_i32_e32 v7, 31, v7
	v_add_u32_e32 v3, -1, v3
	v_add_u32_e32 v7, 32, v7
	v_min_u32_e32 v3, v3, v7
	v_lshlrev_b64 v[5:6], v3, v[5:6]
	v_sub_u32_e32 v3, 32, v3
	v_min_u32_e32 v5, 1, v5
	v_or_b32_e32 v5, v6, v5
	v_cvt_f32_i32_e32 v5, v5
	v_ldexp_f32 v3, v5, v3
	v_bfe_u32 v5, v3, 16, 1
	v_add3_u32 v3, v3, v5, s0
	v_lshrrev_b32_e32 v3, 16, v3
	s_mov_b64 s[0:1], 0
	s_branch .LBB166_2540
.LBB166_2537:
	s_mov_b64 s[0:1], -1
                                        ; implicit-def: $vgpr3
	s_branch .LBB166_2546
.LBB166_2538:
	s_mov_b64 s[0:1], -1
                                        ; implicit-def: $vgpr3
	s_branch .LBB166_2543
.LBB166_2539:
	s_mov_b64 s[0:1], -1
                                        ; implicit-def: $vgpr3
.LBB166_2540:
	s_andn2_b64 vcc, exec, s[0:1]
	s_cbranch_vccnz .LBB166_2542
; %bb.2541:
	global_load_dword v3, v[0:1], off
	s_movk_i32 s0, 0x7fff
	s_waitcnt vmcnt(0)
	v_cvt_f32_i32_e32 v3, v3
	v_bfe_u32 v5, v3, 16, 1
	v_add3_u32 v3, v3, v5, s0
	v_lshrrev_b32_e32 v3, 16, v3
.LBB166_2542:
	s_mov_b64 s[0:1], 0
.LBB166_2543:
	s_andn2_b64 vcc, exec, s[0:1]
	s_cbranch_vccnz .LBB166_2545
; %bb.2544:
	global_load_sshort v3, v[0:1], off
	s_movk_i32 s0, 0x7fff
	s_waitcnt vmcnt(0)
	v_cvt_f32_i32_e32 v3, v3
	v_bfe_u32 v5, v3, 16, 1
	v_add3_u32 v3, v3, v5, s0
	v_lshrrev_b32_e32 v3, 16, v3
.LBB166_2545:
	s_mov_b64 s[0:1], 0
.LBB166_2546:
	s_andn2_b64 vcc, exec, s[0:1]
	s_cbranch_vccnz .LBB166_2552
; %bb.2547:
	s_cmp_gt_i32 s10, 0
	s_cbranch_scc0 .LBB166_2549
; %bb.2548:
	global_load_sbyte v3, v[0:1], off
	s_movk_i32 s0, 0x7fff
	s_waitcnt vmcnt(0)
	v_cvt_f32_i32_e32 v3, v3
	v_bfe_u32 v5, v3, 16, 1
	v_add3_u32 v3, v3, v5, s0
	v_lshrrev_b32_e32 v3, 16, v3
	s_mov_b64 s[0:1], 0
	s_branch .LBB166_2550
.LBB166_2549:
	s_mov_b64 s[0:1], -1
                                        ; implicit-def: $vgpr3
.LBB166_2550:
	s_andn2_b64 vcc, exec, s[0:1]
	s_cbranch_vccnz .LBB166_2552
; %bb.2551:
	global_load_ubyte v0, v[0:1], off
	s_movk_i32 s0, 0x7fff
	s_waitcnt vmcnt(0)
	v_cvt_f32_ubyte0_e32 v0, v0
	v_bfe_u32 v1, v0, 16, 1
	v_add3_u32 v0, v0, v1, s0
	v_lshrrev_b32_e32 v3, 16, v0
.LBB166_2552:
	v_mov_b32_e32 v5, 0
.LBB166_2553:
	s_mov_b64 s[24:25], -1
.LBB166_2554:
	s_andn2_b64 vcc, exec, s[24:25]
	s_cbranch_vccnz .LBB166_2692
; %bb.2555:
	v_add_u32_e32 v0, s34, v4
	v_ashrrev_i32_e32 v1, 31, v0
	v_mov_b32_e32 v4, s3
	v_add_co_u32_e32 v0, vcc, s2, v0
	s_cmp_lt_i32 s31, 11
	v_addc_co_u32_e32 v1, vcc, v4, v1, vcc
	s_cbranch_scc1 .LBB166_2562
; %bb.2556:
	s_and_b32 s13, 0xffff, s31
	s_cmp_gt_i32 s13, 25
	s_mov_b64 s[2:3], 0
	s_cbranch_scc0 .LBB166_2563
; %bb.2557:
	s_cmp_gt_i32 s13, 28
	s_cbranch_scc0 .LBB166_2564
; %bb.2558:
	s_cmp_gt_i32 s13, 43
	;; [unrolled: 3-line block ×3, first 2 shown]
	s_cbranch_scc0 .LBB166_2566
; %bb.2560:
	s_cmp_eq_u32 s13, 46
	s_mov_b64 s[24:25], 0
	s_cbranch_scc0 .LBB166_2567
; %bb.2561:
	global_load_dword v4, v[0:1], off
	s_mov_b64 s[0:1], 0
	s_mov_b64 s[10:11], -1
	s_waitcnt vmcnt(0)
	v_and_b32_e32 v6, 0xffff0000, v4
	s_branch .LBB166_2568
.LBB166_2562:
	s_mov_b64 s[0:1], -1
	s_mov_b64 s[10:11], 0
                                        ; implicit-def: $vgpr6
                                        ; implicit-def: $vgpr4
	s_branch .LBB166_2614
.LBB166_2563:
	s_mov_b64 s[24:25], -1
	s_mov_b64 s[10:11], 0
	s_mov_b64 s[0:1], 0
                                        ; implicit-def: $vgpr6
                                        ; implicit-def: $vgpr4
	s_branch .LBB166_2599
.LBB166_2564:
	s_mov_b64 s[24:25], -1
	s_mov_b64 s[10:11], 0
	s_mov_b64 s[0:1], 0
                                        ; implicit-def: $vgpr6
                                        ; implicit-def: $vgpr4
	s_branch .LBB166_2580
.LBB166_2565:
	s_mov_b64 s[24:25], -1
	s_mov_b64 s[10:11], 0
	s_mov_b64 s[0:1], 0
                                        ; implicit-def: $vgpr6
                                        ; implicit-def: $vgpr4
	s_branch .LBB166_2574
.LBB166_2566:
	s_mov_b64 s[24:25], -1
	s_mov_b64 s[10:11], 0
	s_mov_b64 s[0:1], 0
                                        ; implicit-def: $vgpr6
                                        ; implicit-def: $vgpr4
	s_branch .LBB166_2568
.LBB166_2567:
	s_mov_b64 s[0:1], -1
                                        ; implicit-def: $vgpr6
                                        ; implicit-def: $vgpr4
	s_mov_b64 s[10:11], 0
.LBB166_2568:
	s_and_b64 vcc, exec, s[24:25]
	s_cbranch_vccz .LBB166_2573
; %bb.2569:
	s_cmp_eq_u32 s13, 44
	s_cbranch_scc0 .LBB166_2571
; %bb.2570:
	global_load_ubyte v4, v[0:1], off
	s_movk_i32 s10, 0xff
	v_mov_b32_e32 v6, 0x7f800001
	v_mov_b32_e32 v7, 0x400000
	;; [unrolled: 1-line block ×3, first 2 shown]
	s_mov_b64 s[0:1], 0
	s_waitcnt vmcnt(0)
	v_lshlrev_b32_e32 v9, 23, v4
	v_cmp_ne_u32_e32 vcc, s10, v4
	v_cndmask_b32_e32 v6, v6, v9, vcc
	v_cmp_ne_u32_e32 vcc, 0, v4
	v_cndmask_b32_e32 v4, v7, v6, vcc
	v_add_u32_e32 v6, 0x7fff, v4
	v_cmp_o_f32_e32 vcc, v4, v4
	v_cndmask_b32_sdwa v4, v8, v6, vcc dst_sel:DWORD dst_unused:UNUSED_PAD src0_sel:DWORD src1_sel:WORD_1
	s_mov_b64 s[10:11], -1
	s_branch .LBB166_2572
.LBB166_2571:
	s_mov_b64 s[0:1], -1
                                        ; implicit-def: $vgpr4
.LBB166_2572:
	v_mov_b32_e32 v6, 0
.LBB166_2573:
	s_mov_b64 s[24:25], 0
.LBB166_2574:
	s_and_b64 vcc, exec, s[24:25]
	s_cbranch_vccz .LBB166_2579
; %bb.2575:
	s_cmp_eq_u32 s13, 29
	s_cbranch_scc0 .LBB166_2577
; %bb.2576:
	global_load_dwordx2 v[6:7], v[0:1], off
	s_movk_i32 s10, 0x7fff
	s_mov_b64 s[0:1], 0
	s_waitcnt vmcnt(0)
	v_ffbh_u32_e32 v4, v7
	v_min_u32_e32 v4, 32, v4
	v_lshlrev_b64 v[6:7], v4, v[6:7]
	v_sub_u32_e32 v4, 32, v4
	v_min_u32_e32 v6, 1, v6
	v_or_b32_e32 v6, v7, v6
	v_cvt_f32_u32_e32 v6, v6
	v_ldexp_f32 v4, v6, v4
	v_bfe_u32 v6, v4, 16, 1
	v_add3_u32 v4, v4, v6, s10
	v_lshrrev_b32_e32 v4, 16, v4
	s_mov_b64 s[10:11], -1
	s_branch .LBB166_2578
.LBB166_2577:
	s_mov_b64 s[0:1], -1
                                        ; implicit-def: $vgpr4
.LBB166_2578:
	v_mov_b32_e32 v6, 0
.LBB166_2579:
	s_mov_b64 s[24:25], 0
.LBB166_2580:
	s_and_b64 vcc, exec, s[24:25]
	s_cbranch_vccz .LBB166_2598
; %bb.2581:
	s_cmp_lt_i32 s13, 27
	s_cbranch_scc1 .LBB166_2584
; %bb.2582:
	s_cmp_gt_i32 s13, 27
	s_cbranch_scc0 .LBB166_2585
; %bb.2583:
	global_load_dword v4, v[0:1], off
	s_movk_i32 s10, 0x7fff
	s_waitcnt vmcnt(0)
	v_cvt_f32_u32_e32 v4, v4
	v_bfe_u32 v6, v4, 16, 1
	v_add3_u32 v4, v4, v6, s10
	v_lshrrev_b32_e32 v4, 16, v4
	s_mov_b64 s[10:11], 0
	s_branch .LBB166_2586
.LBB166_2584:
	s_mov_b64 s[10:11], -1
                                        ; implicit-def: $vgpr4
	s_branch .LBB166_2589
.LBB166_2585:
	s_mov_b64 s[10:11], -1
                                        ; implicit-def: $vgpr4
.LBB166_2586:
	s_andn2_b64 vcc, exec, s[10:11]
	s_cbranch_vccnz .LBB166_2588
; %bb.2587:
	global_load_ushort v4, v[0:1], off
	s_movk_i32 s10, 0x7fff
	s_waitcnt vmcnt(0)
	v_cvt_f32_u32_e32 v4, v4
	v_bfe_u32 v6, v4, 16, 1
	v_add3_u32 v4, v4, v6, s10
	v_lshrrev_b32_e32 v4, 16, v4
.LBB166_2588:
	s_mov_b64 s[10:11], 0
.LBB166_2589:
	s_andn2_b64 vcc, exec, s[10:11]
	s_cbranch_vccnz .LBB166_2597
; %bb.2590:
	global_load_ubyte v4, v[0:1], off
	s_movk_i32 s10, 0x7f
	s_waitcnt vmcnt(0)
	v_cmp_lt_i16_e32 vcc, s10, v4
	s_mov_b64 s[10:11], 0
	s_and_saveexec_b64 s[24:25], vcc
	s_xor_b64 s[24:25], exec, s[24:25]
	s_cbranch_execz .LBB166_2623
; %bb.2591:
	s_movk_i32 s10, 0x80
	v_cmp_eq_u16_e32 vcc, s10, v4
	s_mov_b64 s[10:11], -1
	s_and_saveexec_b64 s[26:27], vcc
; %bb.2592:
	s_xor_b64 s[10:11], exec, -1
; %bb.2593:
	s_or_b64 exec, exec, s[26:27]
	s_and_b64 s[10:11], s[10:11], exec
	s_or_saveexec_b64 s[24:25], s[24:25]
	v_mov_b32_e32 v6, 0x7f800001
	s_xor_b64 exec, exec, s[24:25]
	s_cbranch_execnz .LBB166_2624
.LBB166_2594:
	s_or_b64 exec, exec, s[24:25]
	s_and_saveexec_b64 s[24:25], s[10:11]
	s_cbranch_execz .LBB166_2596
.LBB166_2595:
	v_lshlrev_b32_e32 v6, 24, v4
	v_and_b32_e32 v4, 0xffff, v4
	v_and_b32_e32 v7, 7, v4
	v_ffbh_u32_e32 v9, v7
	v_min_u32_e32 v9, 32, v9
	v_subrev_u32_e32 v10, 28, v9
	v_bfe_u32 v8, v4, 3, 4
	v_lshlrev_b32_e32 v4, v10, v4
	v_sub_u32_e32 v9, 29, v9
	v_and_b32_e32 v4, 7, v4
	v_cmp_eq_u32_e32 vcc, 0, v8
	v_cndmask_b32_e32 v8, v8, v9, vcc
	v_cndmask_b32_e32 v4, v7, v4, vcc
	v_mov_b32_e32 v7, 0x3b800000
	v_lshlrev_b32_e32 v4, 20, v4
	v_and_b32_e32 v6, 0x80000000, v6
	v_lshl_add_u32 v7, v8, 23, v7
	v_or3_b32 v6, v6, v7, v4
.LBB166_2596:
	s_or_b64 exec, exec, s[24:25]
	v_bfe_u32 v4, v6, 16, 1
	s_movk_i32 s10, 0x7fff
	v_add3_u32 v4, v6, v4, s10
	v_cmp_o_f32_e32 vcc, v6, v6
	v_mov_b32_e32 v6, 0x7fc0
	v_cndmask_b32_sdwa v4, v6, v4, vcc dst_sel:DWORD dst_unused:UNUSED_PAD src0_sel:DWORD src1_sel:WORD_1
.LBB166_2597:
	s_mov_b64 s[10:11], -1
	v_mov_b32_e32 v6, 0
.LBB166_2598:
	s_mov_b64 s[24:25], 0
.LBB166_2599:
	s_and_b64 vcc, exec, s[24:25]
	s_cbranch_vccz .LBB166_2610
; %bb.2600:
	s_cmp_gt_i32 s13, 22
	s_cbranch_scc0 .LBB166_2621
; %bb.2601:
	s_cmp_lt_i32 s13, 24
	s_cbranch_scc1 .LBB166_2625
; %bb.2602:
	s_cmp_gt_i32 s13, 24
	s_cbranch_scc0 .LBB166_2627
; %bb.2603:
	global_load_ubyte v4, v[0:1], off
	s_movk_i32 s2, 0x7f
	s_waitcnt vmcnt(0)
	v_cmp_lt_i16_e32 vcc, s2, v4
	s_mov_b64 s[2:3], 0
	s_and_saveexec_b64 s[10:11], vcc
	s_xor_b64 s[10:11], exec, s[10:11]
	s_cbranch_execz .LBB166_2639
; %bb.2604:
	s_movk_i32 s2, 0x80
	v_cmp_eq_u16_e32 vcc, s2, v4
	s_mov_b64 s[2:3], -1
	s_and_saveexec_b64 s[24:25], vcc
; %bb.2605:
	s_xor_b64 s[2:3], exec, -1
; %bb.2606:
	s_or_b64 exec, exec, s[24:25]
	s_and_b64 s[2:3], s[2:3], exec
	s_or_saveexec_b64 s[10:11], s[10:11]
	v_mov_b32_e32 v6, 0x7f800001
	s_xor_b64 exec, exec, s[10:11]
	s_cbranch_execnz .LBB166_2640
.LBB166_2607:
	s_or_b64 exec, exec, s[10:11]
	s_and_saveexec_b64 s[10:11], s[2:3]
	s_cbranch_execz .LBB166_2609
.LBB166_2608:
	v_lshlrev_b32_e32 v6, 24, v4
	v_and_b32_e32 v4, 0xffff, v4
	v_and_b32_e32 v7, 3, v4
	v_ffbh_u32_e32 v9, v7
	v_min_u32_e32 v9, 32, v9
	v_subrev_u32_e32 v10, 29, v9
	v_bfe_u32 v8, v4, 2, 5
	v_lshlrev_b32_e32 v4, v10, v4
	v_sub_u32_e32 v9, 30, v9
	v_and_b32_e32 v4, 3, v4
	v_cmp_eq_u32_e32 vcc, 0, v8
	v_cndmask_b32_e32 v8, v8, v9, vcc
	v_cndmask_b32_e32 v4, v7, v4, vcc
	v_mov_b32_e32 v7, 0x37800000
	v_lshlrev_b32_e32 v4, 21, v4
	v_and_b32_e32 v6, 0x80000000, v6
	v_lshl_add_u32 v7, v8, 23, v7
	v_or3_b32 v6, v6, v7, v4
.LBB166_2609:
	s_or_b64 exec, exec, s[10:11]
	v_bfe_u32 v4, v6, 16, 1
	s_movk_i32 s2, 0x7fff
	v_add3_u32 v4, v6, v4, s2
	v_cmp_o_f32_e32 vcc, v6, v6
	v_mov_b32_e32 v6, 0x7fc0
	v_cndmask_b32_sdwa v4, v6, v4, vcc dst_sel:DWORD dst_unused:UNUSED_PAD src0_sel:DWORD src1_sel:WORD_1
	s_mov_b64 s[2:3], 0
	s_branch .LBB166_2628
.LBB166_2610:
	s_and_b64 vcc, exec, s[0:1]
	s_cbranch_vccnz .LBB166_2658
.LBB166_2611:
	s_andn2_b64 vcc, exec, s[2:3]
	s_cbranch_vccnz .LBB166_2613
.LBB166_2612:
	global_load_ubyte v4, v[0:1], off
	s_mov_b64 s[10:11], -1
	v_mov_b32_e32 v6, 0
	s_waitcnt vmcnt(0)
	v_cmp_ne_u16_e32 vcc, 0, v4
	v_cndmask_b32_e64 v4, 0, 1.0, vcc
	v_lshrrev_b32_e32 v4, 16, v4
.LBB166_2613:
	s_mov_b64 s[0:1], 0
.LBB166_2614:
	s_and_b64 vcc, exec, s[0:1]
	s_cbranch_vccz .LBB166_2689
; %bb.2615:
	s_and_b32 s2, 0xffff, s31
	s_cmp_lt_i32 s2, 5
	s_cbranch_scc1 .LBB166_2620
; %bb.2616:
	s_cmp_lt_i32 s2, 8
	s_cbranch_scc1 .LBB166_2622
; %bb.2617:
	;; [unrolled: 3-line block ×3, first 2 shown]
	s_cmp_gt_i32 s2, 9
	s_cbranch_scc0 .LBB166_2641
; %bb.2619:
	global_load_dwordx4 v[6:9], v[0:1], off
	s_movk_i32 s0, 0x7fff
	s_waitcnt vmcnt(0)
	v_cvt_f32_f64_e32 v4, v[6:7]
	v_cvt_f32_f64_e32 v6, v[8:9]
	v_mov_b32_e32 v7, 0x7fc0
	v_mov_b32_e32 v8, 0x7fc00000
	v_bfe_u32 v9, v4, 16, 1
	v_bfe_u32 v10, v6, 16, 1
	v_cmp_o_f32_e32 vcc, v4, v4
	v_add3_u32 v4, v4, v9, s0
	v_add3_u32 v9, v6, v10, s0
	v_cndmask_b32_sdwa v4, v7, v4, vcc dst_sel:DWORD dst_unused:UNUSED_PAD src0_sel:DWORD src1_sel:WORD_1
	v_and_b32_e32 v7, 0xffff0000, v9
	v_cmp_o_f32_e32 vcc, v6, v6
	v_cndmask_b32_e32 v6, v8, v7, vcc
	s_mov_b64 s[0:1], 0
	s_branch .LBB166_2642
.LBB166_2620:
	s_mov_b64 s[0:1], -1
                                        ; implicit-def: $vgpr6
                                        ; implicit-def: $vgpr4
	s_branch .LBB166_2667
.LBB166_2621:
	s_mov_b64 s[2:3], -1
                                        ; implicit-def: $vgpr4
	s_branch .LBB166_2634
.LBB166_2622:
	s_mov_b64 s[0:1], -1
                                        ; implicit-def: $vgpr6
                                        ; implicit-def: $vgpr4
	s_branch .LBB166_2648
.LBB166_2623:
	s_or_saveexec_b64 s[24:25], s[24:25]
	v_mov_b32_e32 v6, 0x7f800001
	s_xor_b64 exec, exec, s[24:25]
	s_cbranch_execz .LBB166_2594
.LBB166_2624:
	v_cmp_ne_u16_e32 vcc, 0, v4
	s_andn2_b64 s[10:11], s[10:11], exec
	s_and_b64 s[26:27], vcc, exec
	v_mov_b32_e32 v6, 0
	s_or_b64 s[10:11], s[10:11], s[26:27]
	s_or_b64 exec, exec, s[24:25]
	s_and_saveexec_b64 s[24:25], s[10:11]
	s_cbranch_execnz .LBB166_2595
	s_branch .LBB166_2596
.LBB166_2625:
	s_mov_b64 s[2:3], -1
                                        ; implicit-def: $vgpr4
	s_branch .LBB166_2631
.LBB166_2626:
	s_mov_b64 s[0:1], -1
                                        ; implicit-def: $vgpr6
                                        ; implicit-def: $vgpr4
	s_branch .LBB166_2645
.LBB166_2627:
	s_mov_b64 s[2:3], -1
                                        ; implicit-def: $vgpr4
.LBB166_2628:
	s_and_b64 vcc, exec, s[2:3]
	s_cbranch_vccz .LBB166_2630
; %bb.2629:
	global_load_ubyte v4, v[0:1], off
	s_mov_b32 s2, 0x7f800000
	s_brev_b32 s3, 1
	s_movk_i32 s10, 0x7fff
	s_waitcnt vmcnt(0)
	v_lshlrev_b32_e32 v4, 24, v4
	v_and_b32_e32 v6, 0x7f000000, v4
	v_ffbh_u32_e32 v7, v6
	v_min_u32_e32 v7, 32, v7
	v_sub_u32_e64 v7, v7, 4 clamp
	v_lshlrev_b32_e32 v9, v7, v6
	v_lshlrev_b32_e32 v7, 23, v7
	v_lshrrev_b32_e32 v9, 4, v9
	v_add_u32_e32 v8, 0x1000000, v6
	v_sub_u32_e32 v7, v9, v7
	v_ashrrev_i32_e32 v8, 8, v8
	v_add_u32_e32 v7, 0x3c000000, v7
	v_and_or_b32 v7, v8, s2, v7
	v_cmp_ne_u32_e32 vcc, 0, v6
	v_cndmask_b32_e32 v6, 0, v7, vcc
	v_and_or_b32 v4, v4, s3, v6
	v_bfe_u32 v6, v6, 16, 1
	v_add3_u32 v6, v4, v6, s10
	v_cmp_o_f32_e32 vcc, v4, v4
	v_mov_b32_e32 v4, 0x7fc0
	v_cndmask_b32_sdwa v4, v4, v6, vcc dst_sel:DWORD dst_unused:UNUSED_PAD src0_sel:DWORD src1_sel:WORD_1
.LBB166_2630:
	s_mov_b64 s[2:3], 0
.LBB166_2631:
	s_andn2_b64 vcc, exec, s[2:3]
	s_cbranch_vccnz .LBB166_2633
; %bb.2632:
	global_load_ubyte v4, v[0:1], off
	s_movk_i32 s2, 0x7f00
	s_brev_b32 s3, 16
	s_brev_b32 s10, 1
	s_movk_i32 s11, 0x7fff
	s_waitcnt vmcnt(0)
	v_lshlrev_b16_e32 v6, 8, v4
	v_lshlrev_b32_e32 v4, 25, v4
	v_lshrrev_b32_e32 v7, 4, v4
	v_and_or_b32 v8, v6, s2, 0.5
	v_or_b32_e32 v7, 0x70000000, v7
	v_add_f32_e32 v8, -0.5, v8
	v_mul_f32_e32 v7, 0x7800000, v7
	v_cmp_gt_u32_e32 vcc, s3, v4
	v_bfe_i32 v6, v6, 0, 16
	v_cndmask_b32_e32 v4, v7, v8, vcc
	v_and_or_b32 v6, v6, s10, v4
	v_bfe_u32 v4, v4, 16, 1
	v_add3_u32 v4, v6, v4, s11
	v_cmp_o_f32_e32 vcc, v6, v6
	v_mov_b32_e32 v6, 0x7fc0
	v_cndmask_b32_sdwa v4, v6, v4, vcc dst_sel:DWORD dst_unused:UNUSED_PAD src0_sel:DWORD src1_sel:WORD_1
.LBB166_2633:
	s_mov_b64 s[2:3], 0
	s_mov_b64 s[10:11], -1
.LBB166_2634:
	s_andn2_b64 vcc, exec, s[2:3]
	s_mov_b64 s[2:3], 0
	s_cbranch_vccnz .LBB166_2657
; %bb.2635:
	s_cmp_gt_i32 s13, 14
	s_cbranch_scc0 .LBB166_2638
; %bb.2636:
	s_cmp_eq_u32 s13, 15
	s_cbranch_scc0 .LBB166_2653
; %bb.2637:
	global_load_ushort v4, v[0:1], off
	s_mov_b64 s[0:1], 0
	s_mov_b64 s[10:11], -1
	s_branch .LBB166_2654
.LBB166_2638:
	s_mov_b64 s[24:25], -1
                                        ; implicit-def: $vgpr4
	s_branch .LBB166_2655
.LBB166_2639:
	s_or_saveexec_b64 s[10:11], s[10:11]
	v_mov_b32_e32 v6, 0x7f800001
	s_xor_b64 exec, exec, s[10:11]
	s_cbranch_execz .LBB166_2607
.LBB166_2640:
	v_cmp_ne_u16_e32 vcc, 0, v4
	s_andn2_b64 s[2:3], s[2:3], exec
	s_and_b64 s[24:25], vcc, exec
	v_mov_b32_e32 v6, 0
	s_or_b64 s[2:3], s[2:3], s[24:25]
	s_or_b64 exec, exec, s[10:11]
	s_and_saveexec_b64 s[10:11], s[2:3]
	s_cbranch_execnz .LBB166_2608
	s_branch .LBB166_2609
.LBB166_2641:
	s_mov_b64 s[0:1], -1
                                        ; implicit-def: $vgpr6
                                        ; implicit-def: $vgpr4
.LBB166_2642:
	s_andn2_b64 vcc, exec, s[0:1]
	s_cbranch_vccnz .LBB166_2644
; %bb.2643:
	global_load_dwordx2 v[6:7], v[0:1], off
	s_movk_i32 s0, 0x7fff
	s_waitcnt vmcnt(1)
	v_mov_b32_e32 v4, 0x7fc0
	v_mov_b32_e32 v8, 0x7fc00000
	s_waitcnt vmcnt(0)
	v_bfe_u32 v9, v6, 16, 1
	v_bfe_u32 v10, v7, 16, 1
	v_cmp_o_f32_e32 vcc, v6, v6
	v_add3_u32 v6, v6, v9, s0
	v_add3_u32 v9, v7, v10, s0
	v_cndmask_b32_sdwa v4, v4, v6, vcc dst_sel:DWORD dst_unused:UNUSED_PAD src0_sel:DWORD src1_sel:WORD_1
	v_and_b32_e32 v6, 0xffff0000, v9
	v_cmp_o_f32_e32 vcc, v7, v7
	v_cndmask_b32_e32 v6, v8, v6, vcc
.LBB166_2644:
	s_mov_b64 s[0:1], 0
.LBB166_2645:
	s_andn2_b64 vcc, exec, s[0:1]
	s_cbranch_vccnz .LBB166_2647
; %bb.2646:
	global_load_dword v6, v[0:1], off
	s_movk_i32 s0, 0x7fff
	s_waitcnt vmcnt(1)
	v_mov_b32_e32 v4, 0x7fc0
	v_mov_b32_e32 v9, 0x7fc00000
	s_waitcnt vmcnt(0)
	v_cvt_f32_f16_e32 v7, v6
	v_cvt_f32_f16_sdwa v8, v6 dst_sel:DWORD dst_unused:UNUSED_PAD src0_sel:WORD_1
	v_cmp_o_f16_e32 vcc, v6, v6
	v_bfe_u32 v10, v7, 16, 1
	v_bfe_u32 v11, v8, 16, 1
	v_add3_u32 v7, v7, v10, s0
	v_add3_u32 v8, v8, v11, s0
	v_cndmask_b32_sdwa v4, v4, v7, vcc dst_sel:DWORD dst_unused:UNUSED_PAD src0_sel:DWORD src1_sel:WORD_1
	v_and_b32_e32 v7, 0xffff0000, v8
	v_cmp_o_f16_sdwa vcc, v6, v6 src0_sel:WORD_1 src1_sel:WORD_1
	v_cndmask_b32_e32 v6, v9, v7, vcc
.LBB166_2647:
	s_mov_b64 s[0:1], 0
.LBB166_2648:
	s_andn2_b64 vcc, exec, s[0:1]
	s_cbranch_vccnz .LBB166_2666
; %bb.2649:
	s_cmp_lt_i32 s2, 6
	s_cbranch_scc1 .LBB166_2652
; %bb.2650:
	s_cmp_gt_i32 s2, 6
	s_cbranch_scc0 .LBB166_2659
; %bb.2651:
	global_load_dwordx2 v[6:7], v[0:1], off
	s_movk_i32 s0, 0x7fff
	s_waitcnt vmcnt(0)
	v_cvt_f32_f64_e32 v4, v[6:7]
	v_mov_b32_e32 v6, 0x7fc0
	v_bfe_u32 v7, v4, 16, 1
	v_cmp_o_f32_e32 vcc, v4, v4
	v_add3_u32 v4, v4, v7, s0
	v_cndmask_b32_sdwa v4, v6, v4, vcc dst_sel:DWORD dst_unused:UNUSED_PAD src0_sel:DWORD src1_sel:WORD_1
	s_mov_b64 s[0:1], 0
	s_branch .LBB166_2660
.LBB166_2652:
	s_mov_b64 s[0:1], -1
                                        ; implicit-def: $vgpr4
	s_branch .LBB166_2663
.LBB166_2653:
	s_mov_b64 s[0:1], -1
                                        ; implicit-def: $vgpr4
.LBB166_2654:
	s_mov_b64 s[24:25], 0
.LBB166_2655:
	s_and_b64 vcc, exec, s[24:25]
	s_cbranch_vccz .LBB166_2657
; %bb.2656:
	s_cmp_lg_u32 s13, 11
	s_mov_b64 s[2:3], -1
	s_cselect_b64 s[0:1], -1, 0
.LBB166_2657:
	v_mov_b32_e32 v6, 0
	s_and_b64 vcc, exec, s[0:1]
	s_cbranch_vccz .LBB166_2611
.LBB166_2658:
	s_trap 2
	s_or_b64 s[18:19], s[18:19], exec
	s_cbranch_execz .LBB166_2612
	s_branch .LBB166_2613
.LBB166_2659:
	s_mov_b64 s[0:1], -1
                                        ; implicit-def: $vgpr4
.LBB166_2660:
	s_andn2_b64 vcc, exec, s[0:1]
	s_cbranch_vccnz .LBB166_2662
; %bb.2661:
	global_load_dword v4, v[0:1], off
	s_movk_i32 s0, 0x7fff
	v_mov_b32_e32 v6, 0x7fc0
	s_waitcnt vmcnt(0)
	v_bfe_u32 v7, v4, 16, 1
	v_cmp_o_f32_e32 vcc, v4, v4
	v_add3_u32 v4, v4, v7, s0
	v_cndmask_b32_sdwa v4, v6, v4, vcc dst_sel:DWORD dst_unused:UNUSED_PAD src0_sel:DWORD src1_sel:WORD_1
.LBB166_2662:
	s_mov_b64 s[0:1], 0
.LBB166_2663:
	s_andn2_b64 vcc, exec, s[0:1]
	s_cbranch_vccnz .LBB166_2665
; %bb.2664:
	global_load_ushort v4, v[0:1], off
	s_movk_i32 s0, 0x7fff
	v_mov_b32_e32 v7, 0x7fc0
	s_waitcnt vmcnt(0)
	v_cvt_f32_f16_e32 v6, v4
	v_cmp_o_f16_e32 vcc, v4, v4
	v_bfe_u32 v4, v6, 16, 1
	v_add3_u32 v4, v6, v4, s0
	v_cndmask_b32_sdwa v4, v7, v4, vcc dst_sel:DWORD dst_unused:UNUSED_PAD src0_sel:DWORD src1_sel:WORD_1
.LBB166_2665:
	v_mov_b32_e32 v6, 0
.LBB166_2666:
	s_mov_b64 s[0:1], 0
.LBB166_2667:
	s_andn2_b64 vcc, exec, s[0:1]
	s_cbranch_vccnz .LBB166_2688
; %bb.2668:
	s_cmp_lt_i32 s2, 2
	s_cbranch_scc1 .LBB166_2672
; %bb.2669:
	s_cmp_lt_i32 s2, 3
	s_cbranch_scc1 .LBB166_2673
; %bb.2670:
	s_cmp_gt_i32 s2, 3
	s_cbranch_scc0 .LBB166_2674
; %bb.2671:
	global_load_dwordx2 v[6:7], v[0:1], off
	s_movk_i32 s0, 0x7fff
	s_waitcnt vmcnt(0)
	v_xor_b32_e32 v8, v6, v7
	v_ffbh_i32_e32 v4, v7
	v_ashrrev_i32_e32 v8, 31, v8
	v_add_u32_e32 v4, -1, v4
	v_add_u32_e32 v8, 32, v8
	v_min_u32_e32 v4, v4, v8
	v_lshlrev_b64 v[6:7], v4, v[6:7]
	v_sub_u32_e32 v4, 32, v4
	v_min_u32_e32 v6, 1, v6
	v_or_b32_e32 v6, v7, v6
	v_cvt_f32_i32_e32 v6, v6
	v_ldexp_f32 v4, v6, v4
	v_bfe_u32 v6, v4, 16, 1
	v_add3_u32 v4, v4, v6, s0
	v_lshrrev_b32_e32 v4, 16, v4
	s_mov_b64 s[0:1], 0
	s_branch .LBB166_2675
.LBB166_2672:
	s_mov_b64 s[0:1], -1
                                        ; implicit-def: $vgpr4
	s_branch .LBB166_2681
.LBB166_2673:
	s_mov_b64 s[0:1], -1
                                        ; implicit-def: $vgpr4
	s_branch .LBB166_2678
.LBB166_2674:
	s_mov_b64 s[0:1], -1
                                        ; implicit-def: $vgpr4
.LBB166_2675:
	s_andn2_b64 vcc, exec, s[0:1]
	s_cbranch_vccnz .LBB166_2677
; %bb.2676:
	global_load_dword v4, v[0:1], off
	s_movk_i32 s0, 0x7fff
	s_waitcnt vmcnt(0)
	v_cvt_f32_i32_e32 v4, v4
	v_bfe_u32 v6, v4, 16, 1
	v_add3_u32 v4, v4, v6, s0
	v_lshrrev_b32_e32 v4, 16, v4
.LBB166_2677:
	s_mov_b64 s[0:1], 0
.LBB166_2678:
	s_andn2_b64 vcc, exec, s[0:1]
	s_cbranch_vccnz .LBB166_2680
; %bb.2679:
	global_load_sshort v4, v[0:1], off
	s_movk_i32 s0, 0x7fff
	s_waitcnt vmcnt(0)
	v_cvt_f32_i32_e32 v4, v4
	v_bfe_u32 v6, v4, 16, 1
	v_add3_u32 v4, v4, v6, s0
	v_lshrrev_b32_e32 v4, 16, v4
.LBB166_2680:
	s_mov_b64 s[0:1], 0
.LBB166_2681:
	s_andn2_b64 vcc, exec, s[0:1]
	s_cbranch_vccnz .LBB166_2687
; %bb.2682:
	s_cmp_gt_i32 s2, 0
	s_cbranch_scc0 .LBB166_2684
; %bb.2683:
	global_load_sbyte v4, v[0:1], off
	s_movk_i32 s0, 0x7fff
	s_waitcnt vmcnt(0)
	v_cvt_f32_i32_e32 v4, v4
	v_bfe_u32 v6, v4, 16, 1
	v_add3_u32 v4, v4, v6, s0
	v_lshrrev_b32_e32 v4, 16, v4
	s_mov_b64 s[0:1], 0
	s_branch .LBB166_2685
.LBB166_2684:
	s_mov_b64 s[0:1], -1
                                        ; implicit-def: $vgpr4
.LBB166_2685:
	s_andn2_b64 vcc, exec, s[0:1]
	s_cbranch_vccnz .LBB166_2687
; %bb.2686:
	global_load_ubyte v0, v[0:1], off
	s_movk_i32 s0, 0x7fff
	s_waitcnt vmcnt(0)
	v_cvt_f32_ubyte0_e32 v0, v0
	v_bfe_u32 v1, v0, 16, 1
	v_add3_u32 v0, v0, v1, s0
	v_lshrrev_b32_e32 v4, 16, v0
.LBB166_2687:
	v_mov_b32_e32 v6, 0
.LBB166_2688:
	s_mov_b64 s[10:11], -1
.LBB166_2689:
	s_andn2_b64 vcc, exec, s[10:11]
	s_cbranch_vccnz .LBB166_2692
; %bb.2690:
	s_waitcnt vmcnt(0)
	v_or_b32_sdwa v0, v5, v3 dst_sel:DWORD dst_unused:UNUSED_PAD src0_sel:DWORD src1_sel:WORD_0
	v_or_b32_sdwa v1, v6, v4 dst_sel:DWORD dst_unused:UNUSED_PAD src0_sel:DWORD src1_sel:WORD_0
	s_and_b64 vcc, exec, s[20:21]
	v_lshlrev_b32_e32 v0, 16, v0
	v_lshlrev_b32_e32 v1, 16, v1
	s_cbranch_vccz .LBB166_2738
; %bb.2691:
	v_and_b32_e32 v3, 0xffff0000, v5
	v_and_b32_e32 v4, 0xffff0000, v6
	v_cmp_neq_f32_e32 vcc, v0, v1
	v_cmp_neq_f32_e64 s[0:1], v3, v4
	s_or_b64 s[20:21], vcc, s[0:1]
	s_mov_b64 s[0:1], 0
	s_branch .LBB166_2739
.LBB166_2692:
	s_mov_b64 s[0:1], 0
                                        ; implicit-def: $sgpr20_sgpr21
.LBB166_2693:
                                        ; implicit-def: $sgpr28
                                        ; implicit-def: $vgpr0_vgpr1
	s_mov_b64 s[2:3], 0
.LBB166_2694:
	s_and_b64 s[4:5], s[2:3], exec
	s_andn2_b64 s[2:3], s[16:17], exec
	s_and_b64 s[8:9], s[18:19], exec
	s_and_b64 s[0:1], s[0:1], exec
	s_or_b64 s[16:17], s[2:3], s[8:9]
.LBB166_2695:
	s_or_b64 exec, exec, s[6:7]
	s_and_saveexec_b64 s[2:3], s[16:17]
	s_cbranch_execz .LBB166_2698
; %bb.2696:
	; divergent unreachable
	s_or_b64 exec, exec, s[2:3]
	s_and_saveexec_b64 s[2:3], s[4:5]
	s_xor_b64 s[2:3], exec, s[2:3]
	s_cbranch_execnz .LBB166_2699
.LBB166_2697:
	s_or_b64 exec, exec, s[2:3]
	s_and_saveexec_b64 s[2:3], s[0:1]
	s_cbranch_execnz .LBB166_2700
	s_branch .LBB166_2737
.LBB166_2698:
	s_or_b64 exec, exec, s[2:3]
	s_and_saveexec_b64 s[2:3], s[4:5]
	s_xor_b64 s[2:3], exec, s[2:3]
	s_cbranch_execz .LBB166_2697
.LBB166_2699:
	v_cndmask_b32_e64 v2, 0, 1, s[20:21]
	global_store_byte v[0:1], v2, off
	s_or_b64 exec, exec, s[2:3]
	s_and_saveexec_b64 s[2:3], s[0:1]
	s_cbranch_execz .LBB166_2737
.LBB166_2700:
	s_sext_i32_i16 s2, s28
	s_cmp_lt_i32 s2, 5
	s_mov_b64 s[0:1], -1
	s_cbranch_scc1 .LBB166_2721
; %bb.2701:
	s_cmp_lt_i32 s2, 8
	s_cbranch_scc1 .LBB166_2711
; %bb.2702:
	s_cmp_lt_i32 s2, 9
	s_cbranch_scc1 .LBB166_2708
; %bb.2703:
	s_cmp_gt_i32 s2, 9
	s_cbranch_scc0 .LBB166_2705
; %bb.2704:
	v_cndmask_b32_e64 v2, 0, 1, s[20:21]
	s_waitcnt vmcnt(0)
	v_cvt_f64_u32_e32 v[2:3], v2
	v_mov_b32_e32 v4, 0
	v_mov_b32_e32 v5, v4
	s_mov_b64 s[0:1], 0
	global_store_dwordx4 v[0:1], v[2:5], off
.LBB166_2705:
	s_andn2_b64 vcc, exec, s[0:1]
	s_cbranch_vccnz .LBB166_2707
; %bb.2706:
	v_cndmask_b32_e64 v2, 0, 1.0, s[20:21]
	s_waitcnt vmcnt(0)
	v_mov_b32_e32 v3, 0
	global_store_dwordx2 v[0:1], v[2:3], off
.LBB166_2707:
	s_mov_b64 s[0:1], 0
.LBB166_2708:
	s_andn2_b64 vcc, exec, s[0:1]
	s_cbranch_vccnz .LBB166_2710
; %bb.2709:
	v_cndmask_b32_e64 v2, 0, 1.0, s[20:21]
	v_cvt_f16_f32_e32 v2, v2
	global_store_dword v[0:1], v2, off
.LBB166_2710:
	s_mov_b64 s[0:1], 0
.LBB166_2711:
	s_andn2_b64 vcc, exec, s[0:1]
	s_cbranch_vccnz .LBB166_2720
; %bb.2712:
	s_sext_i32_i16 s2, s28
	s_cmp_lt_i32 s2, 6
	s_mov_b64 s[0:1], -1
	s_cbranch_scc1 .LBB166_2718
; %bb.2713:
	s_cmp_gt_i32 s2, 6
	s_cbranch_scc0 .LBB166_2715
; %bb.2714:
	v_cndmask_b32_e64 v2, 0, 1, s[20:21]
	s_waitcnt vmcnt(0)
	v_cvt_f64_u32_e32 v[2:3], v2
	s_mov_b64 s[0:1], 0
	global_store_dwordx2 v[0:1], v[2:3], off
.LBB166_2715:
	s_andn2_b64 vcc, exec, s[0:1]
	s_cbranch_vccnz .LBB166_2717
; %bb.2716:
	v_cndmask_b32_e64 v2, 0, 1.0, s[20:21]
	global_store_dword v[0:1], v2, off
.LBB166_2717:
	s_mov_b64 s[0:1], 0
.LBB166_2718:
	s_andn2_b64 vcc, exec, s[0:1]
	s_cbranch_vccnz .LBB166_2720
; %bb.2719:
	v_cndmask_b32_e64 v2, 0, 1.0, s[20:21]
	v_cvt_f16_f32_e32 v2, v2
	global_store_short v[0:1], v2, off
.LBB166_2720:
	s_mov_b64 s[0:1], 0
.LBB166_2721:
	s_andn2_b64 vcc, exec, s[0:1]
	s_cbranch_vccnz .LBB166_2737
; %bb.2722:
	s_sext_i32_i16 s2, s28
	s_cmp_lt_i32 s2, 2
	s_mov_b64 s[0:1], -1
	s_cbranch_scc1 .LBB166_2732
; %bb.2723:
	s_cmp_lt_i32 s2, 3
	s_cbranch_scc1 .LBB166_2729
; %bb.2724:
	s_cmp_gt_i32 s2, 3
	s_cbranch_scc0 .LBB166_2726
; %bb.2725:
	s_mov_b32 s0, 0
	v_cndmask_b32_e64 v2, 0, 1, s[20:21]
	s_waitcnt vmcnt(0)
	v_mov_b32_e32 v3, s0
	global_store_dwordx2 v[0:1], v[2:3], off
	s_mov_b64 s[0:1], 0
.LBB166_2726:
	s_andn2_b64 vcc, exec, s[0:1]
	s_cbranch_vccnz .LBB166_2728
; %bb.2727:
	v_cndmask_b32_e64 v2, 0, 1, s[20:21]
	global_store_dword v[0:1], v2, off
.LBB166_2728:
	s_mov_b64 s[0:1], 0
.LBB166_2729:
	s_andn2_b64 vcc, exec, s[0:1]
	s_cbranch_vccnz .LBB166_2731
; %bb.2730:
	v_cndmask_b32_e64 v2, 0, 1, s[20:21]
	global_store_short v[0:1], v2, off
.LBB166_2731:
	s_mov_b64 s[0:1], 0
.LBB166_2732:
	s_andn2_b64 vcc, exec, s[0:1]
	s_cbranch_vccnz .LBB166_2737
; %bb.2733:
	s_sext_i32_i16 s2, s28
	s_mov_b64 s[0:1], -1
	s_cmp_gt_i32 s2, 0
	v_cndmask_b32_e64 v2, 0, 1, s[20:21]
	s_cbranch_scc0 .LBB166_2735
; %bb.2734:
	global_store_byte v[0:1], v2, off
	s_mov_b64 s[0:1], 0
.LBB166_2735:
	s_andn2_b64 vcc, exec, s[0:1]
	s_cbranch_vccnz .LBB166_2737
; %bb.2736:
	global_store_byte v[0:1], v2, off
	s_endpgm
.LBB166_2737:
	s_endpgm
.LBB166_2738:
	s_mov_b64 s[0:1], -1
                                        ; implicit-def: $sgpr20_sgpr21
.LBB166_2739:
	s_andn2_b64 vcc, exec, s[0:1]
	s_cbranch_vccnz .LBB166_2741
; %bb.2740:
	v_and_b32_e32 v3, 0xffff0000, v6
	v_and_b32_e32 v4, 0xffff0000, v5
	v_cmp_eq_f32_e32 vcc, v0, v1
	v_cmp_eq_f32_e64 s[0:1], v4, v3
	s_and_b64 s[0:1], vcc, s[0:1]
	s_andn2_b64 s[2:3], s[20:21], exec
	s_and_b64 s[0:1], s[0:1], exec
	s_or_b64 s[20:21], s[2:3], s[0:1]
.LBB166_2741:
	v_mul_lo_u32 v2, s12, v2
	v_mov_b32_e32 v1, s9
	s_and_b32 s28, s33, 0xff
	s_cmp_lt_i32 s28, 11
	v_ashrrev_i32_e32 v3, 31, v2
	v_add_co_u32_e32 v0, vcc, s8, v2
	v_addc_co_u32_e32 v1, vcc, v1, v3, vcc
	s_cbranch_scc1 .LBB166_2819
; %bb.2742:
	s_and_b32 s13, 0xffff, s28
	s_mov_b64 s[24:25], -1
	s_mov_b64 s[2:3], 0
	s_cmp_gt_i32 s13, 25
	s_mov_b64 s[10:11], 0
	s_mov_b64 s[0:1], 0
	s_cbranch_scc0 .LBB166_2775
; %bb.2743:
	s_cmp_gt_i32 s13, 28
	s_cbranch_scc0 .LBB166_2758
; %bb.2744:
	s_cmp_gt_i32 s13, 43
	;; [unrolled: 3-line block ×3, first 2 shown]
	s_cbranch_scc0 .LBB166_2748
; %bb.2746:
	s_mov_b64 s[0:1], -1
	s_mov_b64 s[24:25], 0
	s_cmp_eq_u32 s13, 46
	s_cbranch_scc0 .LBB166_2748
; %bb.2747:
	v_cndmask_b32_e64 v3, 0, 1.0, s[4:5]
	v_bfe_u32 v4, v3, 16, 1
	s_movk_i32 s0, 0x7fff
	v_add3_u32 v3, v3, v4, s0
	v_lshrrev_b32_e32 v3, 16, v3
	global_store_dword v[0:1], v3, off
	s_mov_b64 s[0:1], 0
	s_mov_b64 s[10:11], -1
.LBB166_2748:
	s_and_b64 vcc, exec, s[24:25]
	s_cbranch_vccz .LBB166_2753
; %bb.2749:
	s_cmp_eq_u32 s13, 44
	s_mov_b64 s[0:1], -1
	s_cbranch_scc0 .LBB166_2753
; %bb.2750:
	v_cndmask_b32_e64 v4, 0, 1.0, s[4:5]
	v_lshrrev_b32_e32 v3, 23, v4
	s_movk_i32 s0, 0xff
	v_cmp_ne_u32_e32 vcc, s0, v3
	v_mov_b32_e32 v5, 0xff
	s_and_saveexec_b64 s[10:11], vcc
; %bb.2751:
	s_mov_b32 s0, 0x3fffff
	v_and_b32_e32 v5, 0x400000, v4
	v_and_or_b32 v4, v4, s0, v3
	v_cmp_ne_u32_e32 vcc, 0, v5
	v_cmp_ne_u32_e64 s[0:1], 0, v4
	s_and_b64 s[0:1], vcc, s[0:1]
	v_cndmask_b32_e64 v4, 0, 1, s[0:1]
	v_add_u32_e32 v5, v3, v4
; %bb.2752:
	s_or_b64 exec, exec, s[10:11]
	s_mov_b64 s[0:1], 0
	s_mov_b64 s[10:11], -1
	global_store_byte v[0:1], v5, off
.LBB166_2753:
	s_mov_b64 s[24:25], 0
.LBB166_2754:
	s_and_b64 vcc, exec, s[24:25]
	s_cbranch_vccz .LBB166_2757
; %bb.2755:
	s_cmp_eq_u32 s13, 29
	s_mov_b64 s[0:1], -1
	s_cbranch_scc0 .LBB166_2757
; %bb.2756:
	s_mov_b32 s0, 0
	v_cndmask_b32_e64 v3, 0, 1, s[4:5]
	v_mov_b32_e32 v4, s0
	global_store_dwordx2 v[0:1], v[3:4], off
	s_mov_b64 s[0:1], 0
	s_mov_b64 s[10:11], -1
.LBB166_2757:
	s_mov_b64 s[24:25], 0
.LBB166_2758:
	s_and_b64 vcc, exec, s[24:25]
	s_cbranch_vccz .LBB166_2774
; %bb.2759:
	s_cmp_lt_i32 s13, 27
	s_mov_b64 s[10:11], -1
	s_cbranch_scc1 .LBB166_2765
; %bb.2760:
	s_cmp_gt_i32 s13, 27
	s_cbranch_scc0 .LBB166_2762
; %bb.2761:
	v_cndmask_b32_e64 v3, 0, 1, s[4:5]
	s_mov_b64 s[10:11], 0
	global_store_dword v[0:1], v3, off
.LBB166_2762:
	s_andn2_b64 vcc, exec, s[10:11]
	s_cbranch_vccnz .LBB166_2764
; %bb.2763:
	v_cndmask_b32_e64 v3, 0, 1, s[4:5]
	global_store_short v[0:1], v3, off
.LBB166_2764:
	s_mov_b64 s[10:11], 0
.LBB166_2765:
	s_andn2_b64 vcc, exec, s[10:11]
	s_cbranch_vccnz .LBB166_2773
; %bb.2766:
	v_cndmask_b32_e64 v4, 0, 1.0, s[4:5]
	s_mov_b32 s10, 0x43800000
	v_cmp_gt_u32_e32 vcc, s10, v4
	v_mov_b32_e32 v5, 0x80
	s_and_saveexec_b64 s[10:11], vcc
	s_cbranch_execz .LBB166_2772
; %bb.2767:
	s_mov_b32 s24, 0x3bffffff
	v_cmp_lt_u32_e32 vcc, s24, v4
	s_mov_b64 s[24:25], 0
                                        ; implicit-def: $vgpr3
	s_and_saveexec_b64 s[26:27], vcc
	s_xor_b64 s[26:27], exec, s[26:27]
	s_cbranch_execz .LBB166_3176
; %bb.2768:
	v_bfe_u32 v3, v4, 20, 1
	s_mov_b32 s29, 0x487ffff
	v_add3_u32 v3, v4, v3, s29
	s_mov_b64 s[24:25], exec
	v_lshrrev_b32_e32 v3, 20, v3
                                        ; implicit-def: $vgpr4
	s_andn2_saveexec_b64 s[26:27], s[26:27]
	s_cbranch_execnz .LBB166_3177
.LBB166_2769:
	s_or_b64 exec, exec, s[26:27]
	v_mov_b32_e32 v5, 0
	s_and_saveexec_b64 s[26:27], s[24:25]
.LBB166_2770:
	v_mov_b32_e32 v5, v3
.LBB166_2771:
	s_or_b64 exec, exec, s[26:27]
.LBB166_2772:
	s_or_b64 exec, exec, s[10:11]
	global_store_byte v[0:1], v5, off
.LBB166_2773:
	s_mov_b64 s[10:11], -1
.LBB166_2774:
	s_mov_b64 s[24:25], 0
.LBB166_2775:
	s_and_b64 vcc, exec, s[24:25]
	s_cbranch_vccz .LBB166_2815
; %bb.2776:
	s_cmp_gt_i32 s13, 22
	s_mov_b64 s[2:3], -1
	s_cbranch_scc0 .LBB166_2808
; %bb.2777:
	s_cmp_lt_i32 s13, 24
	s_cbranch_scc1 .LBB166_2797
; %bb.2778:
	s_cmp_gt_i32 s13, 24
	s_cbranch_scc0 .LBB166_2786
; %bb.2779:
	v_cndmask_b32_e64 v4, 0, 1.0, s[4:5]
	s_mov_b32 s2, 0x47800000
	v_cmp_gt_u32_e32 vcc, s2, v4
	v_mov_b32_e32 v5, 0x80
	s_and_saveexec_b64 s[2:3], vcc
	s_cbranch_execz .LBB166_2785
; %bb.2780:
	s_mov_b32 s10, 0x37ffffff
	v_cmp_lt_u32_e32 vcc, s10, v4
	s_mov_b64 s[10:11], 0
                                        ; implicit-def: $vgpr3
	s_and_saveexec_b64 s[24:25], vcc
	s_xor_b64 s[24:25], exec, s[24:25]
	s_cbranch_execz .LBB166_3179
; %bb.2781:
	v_bfe_u32 v3, v4, 21, 1
	s_mov_b32 s26, 0x88fffff
	v_add3_u32 v3, v4, v3, s26
	s_mov_b64 s[10:11], exec
	v_lshrrev_b32_e32 v3, 21, v3
                                        ; implicit-def: $vgpr4
	s_andn2_saveexec_b64 s[24:25], s[24:25]
	s_cbranch_execnz .LBB166_3180
.LBB166_2782:
	s_or_b64 exec, exec, s[24:25]
	v_mov_b32_e32 v5, 0
	s_and_saveexec_b64 s[24:25], s[10:11]
.LBB166_2783:
	v_mov_b32_e32 v5, v3
.LBB166_2784:
	s_or_b64 exec, exec, s[24:25]
.LBB166_2785:
	s_or_b64 exec, exec, s[2:3]
	s_mov_b64 s[2:3], 0
	global_store_byte v[0:1], v5, off
.LBB166_2786:
	s_and_b64 vcc, exec, s[2:3]
	s_cbranch_vccz .LBB166_2796
; %bb.2787:
	v_cndmask_b32_e64 v3, 0, 1.0, s[4:5]
	s_mov_b32 s2, 0x43f00000
	v_cmp_gt_u32_e32 vcc, s2, v3
                                        ; implicit-def: $vgpr4
	s_and_saveexec_b64 s[2:3], vcc
	s_xor_b64 s[2:3], exec, s[2:3]
	s_cbranch_execz .LBB166_2793
; %bb.2788:
	s_mov_b32 s10, 0x3c7fffff
	v_cmp_lt_u32_e32 vcc, s10, v3
                                        ; implicit-def: $vgpr4
	s_and_saveexec_b64 s[10:11], vcc
	s_xor_b64 s[10:11], exec, s[10:11]
; %bb.2789:
	v_bfe_u32 v4, v3, 20, 1
	s_mov_b32 s24, 0x407ffff
	v_add3_u32 v3, v3, v4, s24
	v_lshrrev_b32_e32 v4, 20, v3
	v_and_b32_e32 v3, 0xff00000, v3
	s_mov_b32 s24, 0x7f00000
	v_mov_b32_e32 v5, 0x7e
	v_cmp_ne_u32_e32 vcc, s24, v3
	v_cndmask_b32_e32 v4, v5, v4, vcc
                                        ; implicit-def: $vgpr3
; %bb.2790:
	s_andn2_saveexec_b64 s[10:11], s[10:11]
; %bb.2791:
	v_add_f32_e32 v4, 0x46800000, v3
; %bb.2792:
	s_or_b64 exec, exec, s[10:11]
                                        ; implicit-def: $vgpr3
.LBB166_2793:
	s_andn2_saveexec_b64 s[2:3], s[2:3]
; %bb.2794:
	s_mov_b32 s10, 0x7f800000
	v_mov_b32_e32 v4, 0x7e
	v_mov_b32_e32 v5, 0x7f
	v_cmp_lt_u32_e32 vcc, s10, v3
	v_cndmask_b32_e32 v4, v4, v5, vcc
; %bb.2795:
	s_or_b64 exec, exec, s[2:3]
	global_store_byte v[0:1], v4, off
.LBB166_2796:
	s_mov_b64 s[2:3], 0
.LBB166_2797:
	s_andn2_b64 vcc, exec, s[2:3]
	s_cbranch_vccnz .LBB166_2807
; %bb.2798:
	v_cndmask_b32_e64 v3, 0, 1.0, s[4:5]
	s_mov_b32 s2, 0x47800000
	v_cmp_gt_u32_e32 vcc, s2, v3
                                        ; implicit-def: $vgpr4
	s_and_saveexec_b64 s[2:3], vcc
	s_xor_b64 s[2:3], exec, s[2:3]
	s_cbranch_execz .LBB166_2804
; %bb.2799:
	s_mov_b32 s10, 0x387fffff
	v_cmp_lt_u32_e32 vcc, s10, v3
                                        ; implicit-def: $vgpr4
	s_and_saveexec_b64 s[10:11], vcc
	s_xor_b64 s[10:11], exec, s[10:11]
; %bb.2800:
	v_bfe_u32 v4, v3, 21, 1
	s_mov_b32 s24, 0x80fffff
	v_add3_u32 v3, v3, v4, s24
	v_lshrrev_b32_e32 v4, 21, v3
                                        ; implicit-def: $vgpr3
; %bb.2801:
	s_andn2_saveexec_b64 s[10:11], s[10:11]
; %bb.2802:
	v_add_f32_e32 v4, 0x43000000, v3
; %bb.2803:
	s_or_b64 exec, exec, s[10:11]
                                        ; implicit-def: $vgpr3
.LBB166_2804:
	s_andn2_saveexec_b64 s[2:3], s[2:3]
; %bb.2805:
	s_mov_b32 s10, 0x7f800000
	v_mov_b32_e32 v4, 0x7c
	v_mov_b32_e32 v5, 0x7f
	v_cmp_lt_u32_e32 vcc, s10, v3
	v_cndmask_b32_e32 v4, v4, v5, vcc
; %bb.2806:
	s_or_b64 exec, exec, s[2:3]
	global_store_byte v[0:1], v4, off
.LBB166_2807:
	s_mov_b64 s[2:3], 0
	s_mov_b64 s[10:11], -1
.LBB166_2808:
	s_andn2_b64 vcc, exec, s[2:3]
	s_mov_b64 s[2:3], 0
	s_cbranch_vccnz .LBB166_2815
; %bb.2809:
	s_cmp_gt_i32 s13, 14
	s_mov_b64 s[24:25], -1
	s_cbranch_scc0 .LBB166_2813
; %bb.2810:
	s_cmp_eq_u32 s13, 15
	s_mov_b64 s[0:1], -1
	s_cbranch_scc0 .LBB166_2812
; %bb.2811:
	v_cndmask_b32_e64 v3, 0, 1.0, s[4:5]
	v_bfe_u32 v4, v3, 16, 1
	s_movk_i32 s0, 0x7fff
	v_add3_u32 v3, v3, v4, s0
	global_store_short_d16_hi v[0:1], v3, off
	s_mov_b64 s[0:1], 0
	s_mov_b64 s[10:11], -1
.LBB166_2812:
	s_mov_b64 s[24:25], 0
.LBB166_2813:
	s_and_b64 vcc, exec, s[24:25]
	s_cbranch_vccz .LBB166_2815
; %bb.2814:
	s_cmp_lg_u32 s13, 11
	s_mov_b64 s[2:3], -1
	s_cselect_b64 s[0:1], -1, 0
.LBB166_2815:
	s_and_b64 vcc, exec, s[0:1]
	s_cbranch_vccnz .LBB166_3178
; %bb.2816:
	s_andn2_b64 vcc, exec, s[2:3]
	s_cbranch_vccnz .LBB166_2818
.LBB166_2817:
	v_cndmask_b32_e64 v3, 0, 1, s[4:5]
	s_mov_b64 s[10:11], -1
	global_store_byte v[0:1], v3, off
.LBB166_2818:
	s_mov_b64 s[0:1], 0
	s_branch .LBB166_2820
.LBB166_2819:
	s_mov_b64 s[0:1], -1
	s_mov_b64 s[10:11], 0
.LBB166_2820:
	s_and_b64 vcc, exec, s[0:1]
	s_cbranch_vccz .LBB166_2859
; %bb.2821:
	s_and_b32 s2, 0xffff, s28
	s_cmp_lt_i32 s2, 5
	s_mov_b64 s[0:1], -1
	s_cbranch_scc1 .LBB166_2842
; %bb.2822:
	s_cmp_lt_i32 s2, 8
	s_cbranch_scc1 .LBB166_2832
; %bb.2823:
	s_cmp_lt_i32 s2, 9
	s_cbranch_scc1 .LBB166_2829
; %bb.2824:
	s_cmp_gt_i32 s2, 9
	s_cbranch_scc0 .LBB166_2826
; %bb.2825:
	v_cndmask_b32_e64 v3, 0, 1, s[4:5]
	v_cvt_f64_u32_e32 v[3:4], v3
	v_mov_b32_e32 v5, 0
	v_mov_b32_e32 v6, v5
	s_mov_b64 s[0:1], 0
	global_store_dwordx4 v[0:1], v[3:6], off
.LBB166_2826:
	s_andn2_b64 vcc, exec, s[0:1]
	s_cbranch_vccnz .LBB166_2828
; %bb.2827:
	v_cndmask_b32_e64 v3, 0, 1.0, s[4:5]
	v_mov_b32_e32 v4, 0
	global_store_dwordx2 v[0:1], v[3:4], off
.LBB166_2828:
	s_mov_b64 s[0:1], 0
.LBB166_2829:
	s_andn2_b64 vcc, exec, s[0:1]
	s_cbranch_vccnz .LBB166_2831
; %bb.2830:
	v_cndmask_b32_e64 v3, 0, 1.0, s[4:5]
	v_cvt_f16_f32_e32 v3, v3
	global_store_dword v[0:1], v3, off
.LBB166_2831:
	s_mov_b64 s[0:1], 0
.LBB166_2832:
	s_andn2_b64 vcc, exec, s[0:1]
	s_cbranch_vccnz .LBB166_2841
; %bb.2833:
	s_cmp_lt_i32 s2, 6
	s_mov_b64 s[0:1], -1
	s_cbranch_scc1 .LBB166_2839
; %bb.2834:
	s_cmp_gt_i32 s2, 6
	s_cbranch_scc0 .LBB166_2836
; %bb.2835:
	v_cndmask_b32_e64 v3, 0, 1, s[4:5]
	v_cvt_f64_u32_e32 v[3:4], v3
	s_mov_b64 s[0:1], 0
	global_store_dwordx2 v[0:1], v[3:4], off
.LBB166_2836:
	s_andn2_b64 vcc, exec, s[0:1]
	s_cbranch_vccnz .LBB166_2838
; %bb.2837:
	v_cndmask_b32_e64 v3, 0, 1.0, s[4:5]
	global_store_dword v[0:1], v3, off
.LBB166_2838:
	s_mov_b64 s[0:1], 0
.LBB166_2839:
	s_andn2_b64 vcc, exec, s[0:1]
	s_cbranch_vccnz .LBB166_2841
; %bb.2840:
	v_cndmask_b32_e64 v3, 0, 1.0, s[4:5]
	v_cvt_f16_f32_e32 v3, v3
	global_store_short v[0:1], v3, off
.LBB166_2841:
	s_mov_b64 s[0:1], 0
.LBB166_2842:
	s_andn2_b64 vcc, exec, s[0:1]
	s_cbranch_vccnz .LBB166_2858
; %bb.2843:
	s_cmp_lt_i32 s2, 2
	s_mov_b64 s[0:1], -1
	s_cbranch_scc1 .LBB166_2853
; %bb.2844:
	s_cmp_lt_i32 s2, 3
	s_cbranch_scc1 .LBB166_2850
; %bb.2845:
	s_cmp_gt_i32 s2, 3
	s_cbranch_scc0 .LBB166_2847
; %bb.2846:
	s_mov_b32 s0, 0
	v_cndmask_b32_e64 v3, 0, 1, s[4:5]
	v_mov_b32_e32 v4, s0
	global_store_dwordx2 v[0:1], v[3:4], off
	s_mov_b64 s[0:1], 0
.LBB166_2847:
	s_andn2_b64 vcc, exec, s[0:1]
	s_cbranch_vccnz .LBB166_2849
; %bb.2848:
	v_cndmask_b32_e64 v3, 0, 1, s[4:5]
	global_store_dword v[0:1], v3, off
.LBB166_2849:
	s_mov_b64 s[0:1], 0
.LBB166_2850:
	s_andn2_b64 vcc, exec, s[0:1]
	s_cbranch_vccnz .LBB166_2852
; %bb.2851:
	v_cndmask_b32_e64 v3, 0, 1, s[4:5]
	global_store_short v[0:1], v3, off
.LBB166_2852:
	s_mov_b64 s[0:1], 0
.LBB166_2853:
	s_andn2_b64 vcc, exec, s[0:1]
	s_cbranch_vccnz .LBB166_2858
; %bb.2854:
	s_mov_b64 s[0:1], -1
	s_cmp_gt_i32 s2, 0
	v_cndmask_b32_e64 v3, 0, 1, s[4:5]
	s_cbranch_scc0 .LBB166_2856
; %bb.2855:
	global_store_byte v[0:1], v3, off
	s_mov_b64 s[0:1], 0
.LBB166_2856:
	s_andn2_b64 vcc, exec, s[0:1]
	s_cbranch_vccnz .LBB166_2858
; %bb.2857:
	global_store_byte v[0:1], v3, off
.LBB166_2858:
	s_mov_b64 s[10:11], -1
.LBB166_2859:
	s_andn2_b64 vcc, exec, s[10:11]
	s_cbranch_vccnz .LBB166_3174
; %bb.2860:
	s_lshl_b32 s24, s12, 7
	v_add_u32_e32 v2, s24, v2
	v_ashrrev_i32_e32 v1, 31, v2
	v_mov_b32_e32 v3, s9
	v_add_co_u32_e32 v0, vcc, s8, v2
	s_cmp_lt_i32 s28, 11
	v_addc_co_u32_e32 v1, vcc, v3, v1, vcc
	s_cbranch_scc1 .LBB166_2938
; %bb.2861:
	s_and_b32 s25, 0xffff, s28
	s_mov_b64 s[10:11], -1
	s_mov_b64 s[2:3], 0
	s_cmp_gt_i32 s25, 25
	s_mov_b64 s[4:5], 0
	s_mov_b64 s[0:1], 0
	s_cbranch_scc0 .LBB166_2894
; %bb.2862:
	s_cmp_gt_i32 s25, 28
	s_cbranch_scc0 .LBB166_2877
; %bb.2863:
	s_cmp_gt_i32 s25, 43
	;; [unrolled: 3-line block ×3, first 2 shown]
	s_cbranch_scc0 .LBB166_2867
; %bb.2865:
	s_mov_b64 s[0:1], -1
	s_mov_b64 s[10:11], 0
	s_cmp_eq_u32 s25, 46
	s_cbranch_scc0 .LBB166_2867
; %bb.2866:
	v_cndmask_b32_e64 v3, 0, 1.0, s[14:15]
	v_bfe_u32 v4, v3, 16, 1
	s_movk_i32 s0, 0x7fff
	v_add3_u32 v3, v3, v4, s0
	v_lshrrev_b32_e32 v3, 16, v3
	global_store_dword v[0:1], v3, off
	s_mov_b64 s[0:1], 0
	s_mov_b64 s[4:5], -1
.LBB166_2867:
	s_and_b64 vcc, exec, s[10:11]
	s_cbranch_vccz .LBB166_2872
; %bb.2868:
	s_cmp_eq_u32 s25, 44
	s_mov_b64 s[0:1], -1
	s_cbranch_scc0 .LBB166_2872
; %bb.2869:
	v_cndmask_b32_e64 v4, 0, 1.0, s[14:15]
	v_lshrrev_b32_e32 v3, 23, v4
	s_movk_i32 s0, 0xff
	v_cmp_ne_u32_e32 vcc, s0, v3
	v_mov_b32_e32 v5, 0xff
	s_and_saveexec_b64 s[4:5], vcc
; %bb.2870:
	s_mov_b32 s0, 0x3fffff
	v_and_b32_e32 v5, 0x400000, v4
	v_and_or_b32 v4, v4, s0, v3
	v_cmp_ne_u32_e32 vcc, 0, v5
	v_cmp_ne_u32_e64 s[0:1], 0, v4
	s_and_b64 s[0:1], vcc, s[0:1]
	v_cndmask_b32_e64 v4, 0, 1, s[0:1]
	v_add_u32_e32 v5, v3, v4
; %bb.2871:
	s_or_b64 exec, exec, s[4:5]
	s_mov_b64 s[0:1], 0
	s_mov_b64 s[4:5], -1
	global_store_byte v[0:1], v5, off
.LBB166_2872:
	s_mov_b64 s[10:11], 0
.LBB166_2873:
	s_and_b64 vcc, exec, s[10:11]
	s_cbranch_vccz .LBB166_2876
; %bb.2874:
	s_cmp_eq_u32 s25, 29
	s_mov_b64 s[0:1], -1
	s_cbranch_scc0 .LBB166_2876
; %bb.2875:
	s_mov_b32 s0, 0
	v_cndmask_b32_e64 v3, 0, 1, s[14:15]
	v_mov_b32_e32 v4, s0
	global_store_dwordx2 v[0:1], v[3:4], off
	s_mov_b64 s[0:1], 0
	s_mov_b64 s[4:5], -1
.LBB166_2876:
	s_mov_b64 s[10:11], 0
.LBB166_2877:
	s_and_b64 vcc, exec, s[10:11]
	s_cbranch_vccz .LBB166_2893
; %bb.2878:
	s_cmp_lt_i32 s25, 27
	s_mov_b64 s[4:5], -1
	s_cbranch_scc1 .LBB166_2884
; %bb.2879:
	s_cmp_gt_i32 s25, 27
	s_cbranch_scc0 .LBB166_2881
; %bb.2880:
	v_cndmask_b32_e64 v3, 0, 1, s[14:15]
	s_mov_b64 s[4:5], 0
	global_store_dword v[0:1], v3, off
.LBB166_2881:
	s_andn2_b64 vcc, exec, s[4:5]
	s_cbranch_vccnz .LBB166_2883
; %bb.2882:
	v_cndmask_b32_e64 v3, 0, 1, s[14:15]
	global_store_short v[0:1], v3, off
.LBB166_2883:
	s_mov_b64 s[4:5], 0
.LBB166_2884:
	s_andn2_b64 vcc, exec, s[4:5]
	s_cbranch_vccnz .LBB166_2892
; %bb.2885:
	v_cndmask_b32_e64 v4, 0, 1.0, s[14:15]
	s_mov_b32 s4, 0x43800000
	v_cmp_gt_u32_e32 vcc, s4, v4
	v_mov_b32_e32 v5, 0x80
	s_and_saveexec_b64 s[4:5], vcc
	s_cbranch_execz .LBB166_2891
; %bb.2886:
	s_mov_b32 s10, 0x3bffffff
	v_cmp_lt_u32_e32 vcc, s10, v4
	s_mov_b64 s[10:11], 0
                                        ; implicit-def: $vgpr3
	s_and_saveexec_b64 s[12:13], vcc
	s_xor_b64 s[12:13], exec, s[12:13]
	s_cbranch_execz .LBB166_3181
; %bb.2887:
	v_bfe_u32 v3, v4, 20, 1
	s_mov_b32 s26, 0x487ffff
	v_add3_u32 v3, v4, v3, s26
	s_mov_b64 s[10:11], exec
	v_lshrrev_b32_e32 v3, 20, v3
                                        ; implicit-def: $vgpr4
	s_andn2_saveexec_b64 s[12:13], s[12:13]
	s_cbranch_execnz .LBB166_3182
.LBB166_2888:
	s_or_b64 exec, exec, s[12:13]
	v_mov_b32_e32 v5, 0
	s_and_saveexec_b64 s[12:13], s[10:11]
.LBB166_2889:
	v_mov_b32_e32 v5, v3
.LBB166_2890:
	s_or_b64 exec, exec, s[12:13]
.LBB166_2891:
	s_or_b64 exec, exec, s[4:5]
	global_store_byte v[0:1], v5, off
.LBB166_2892:
	s_mov_b64 s[4:5], -1
.LBB166_2893:
	s_mov_b64 s[10:11], 0
.LBB166_2894:
	s_and_b64 vcc, exec, s[10:11]
	s_cbranch_vccz .LBB166_2934
; %bb.2895:
	s_cmp_gt_i32 s25, 22
	s_mov_b64 s[2:3], -1
	s_cbranch_scc0 .LBB166_2927
; %bb.2896:
	s_cmp_lt_i32 s25, 24
	s_cbranch_scc1 .LBB166_2916
; %bb.2897:
	s_cmp_gt_i32 s25, 24
	s_cbranch_scc0 .LBB166_2905
; %bb.2898:
	v_cndmask_b32_e64 v4, 0, 1.0, s[14:15]
	s_mov_b32 s2, 0x47800000
	v_cmp_gt_u32_e32 vcc, s2, v4
	v_mov_b32_e32 v5, 0x80
	s_and_saveexec_b64 s[2:3], vcc
	s_cbranch_execz .LBB166_2904
; %bb.2899:
	s_mov_b32 s4, 0x37ffffff
	v_cmp_lt_u32_e32 vcc, s4, v4
	s_mov_b64 s[4:5], 0
                                        ; implicit-def: $vgpr3
	s_and_saveexec_b64 s[10:11], vcc
	s_xor_b64 s[10:11], exec, s[10:11]
	s_cbranch_execz .LBB166_3184
; %bb.2900:
	v_bfe_u32 v3, v4, 21, 1
	s_mov_b32 s12, 0x88fffff
	v_add3_u32 v3, v4, v3, s12
	s_mov_b64 s[4:5], exec
	v_lshrrev_b32_e32 v3, 21, v3
                                        ; implicit-def: $vgpr4
	s_andn2_saveexec_b64 s[10:11], s[10:11]
	s_cbranch_execnz .LBB166_3185
.LBB166_2901:
	s_or_b64 exec, exec, s[10:11]
	v_mov_b32_e32 v5, 0
	s_and_saveexec_b64 s[10:11], s[4:5]
.LBB166_2902:
	v_mov_b32_e32 v5, v3
.LBB166_2903:
	s_or_b64 exec, exec, s[10:11]
.LBB166_2904:
	s_or_b64 exec, exec, s[2:3]
	s_mov_b64 s[2:3], 0
	global_store_byte v[0:1], v5, off
.LBB166_2905:
	s_and_b64 vcc, exec, s[2:3]
	s_cbranch_vccz .LBB166_2915
; %bb.2906:
	v_cndmask_b32_e64 v3, 0, 1.0, s[14:15]
	s_mov_b32 s2, 0x43f00000
	v_cmp_gt_u32_e32 vcc, s2, v3
                                        ; implicit-def: $vgpr4
	s_and_saveexec_b64 s[2:3], vcc
	s_xor_b64 s[2:3], exec, s[2:3]
	s_cbranch_execz .LBB166_2912
; %bb.2907:
	s_mov_b32 s4, 0x3c7fffff
	v_cmp_lt_u32_e32 vcc, s4, v3
                                        ; implicit-def: $vgpr4
	s_and_saveexec_b64 s[4:5], vcc
	s_xor_b64 s[4:5], exec, s[4:5]
; %bb.2908:
	v_bfe_u32 v4, v3, 20, 1
	s_mov_b32 s10, 0x407ffff
	v_add3_u32 v3, v3, v4, s10
	v_lshrrev_b32_e32 v4, 20, v3
	v_and_b32_e32 v3, 0xff00000, v3
	s_mov_b32 s10, 0x7f00000
	v_mov_b32_e32 v5, 0x7e
	v_cmp_ne_u32_e32 vcc, s10, v3
	v_cndmask_b32_e32 v4, v5, v4, vcc
                                        ; implicit-def: $vgpr3
; %bb.2909:
	s_andn2_saveexec_b64 s[4:5], s[4:5]
; %bb.2910:
	v_add_f32_e32 v4, 0x46800000, v3
; %bb.2911:
	s_or_b64 exec, exec, s[4:5]
                                        ; implicit-def: $vgpr3
.LBB166_2912:
	s_andn2_saveexec_b64 s[2:3], s[2:3]
; %bb.2913:
	s_mov_b32 s4, 0x7f800000
	v_mov_b32_e32 v4, 0x7e
	v_mov_b32_e32 v5, 0x7f
	v_cmp_lt_u32_e32 vcc, s4, v3
	v_cndmask_b32_e32 v4, v4, v5, vcc
; %bb.2914:
	s_or_b64 exec, exec, s[2:3]
	global_store_byte v[0:1], v4, off
.LBB166_2915:
	s_mov_b64 s[2:3], 0
.LBB166_2916:
	s_andn2_b64 vcc, exec, s[2:3]
	s_cbranch_vccnz .LBB166_2926
; %bb.2917:
	v_cndmask_b32_e64 v3, 0, 1.0, s[14:15]
	s_mov_b32 s2, 0x47800000
	v_cmp_gt_u32_e32 vcc, s2, v3
                                        ; implicit-def: $vgpr4
	s_and_saveexec_b64 s[2:3], vcc
	s_xor_b64 s[2:3], exec, s[2:3]
	s_cbranch_execz .LBB166_2923
; %bb.2918:
	s_mov_b32 s4, 0x387fffff
	v_cmp_lt_u32_e32 vcc, s4, v3
                                        ; implicit-def: $vgpr4
	s_and_saveexec_b64 s[4:5], vcc
	s_xor_b64 s[4:5], exec, s[4:5]
; %bb.2919:
	v_bfe_u32 v4, v3, 21, 1
	s_mov_b32 s10, 0x80fffff
	v_add3_u32 v3, v3, v4, s10
	v_lshrrev_b32_e32 v4, 21, v3
                                        ; implicit-def: $vgpr3
; %bb.2920:
	s_andn2_saveexec_b64 s[4:5], s[4:5]
; %bb.2921:
	v_add_f32_e32 v4, 0x43000000, v3
; %bb.2922:
	s_or_b64 exec, exec, s[4:5]
                                        ; implicit-def: $vgpr3
.LBB166_2923:
	s_andn2_saveexec_b64 s[2:3], s[2:3]
; %bb.2924:
	s_mov_b32 s4, 0x7f800000
	v_mov_b32_e32 v4, 0x7c
	v_mov_b32_e32 v5, 0x7f
	v_cmp_lt_u32_e32 vcc, s4, v3
	v_cndmask_b32_e32 v4, v4, v5, vcc
; %bb.2925:
	s_or_b64 exec, exec, s[2:3]
	global_store_byte v[0:1], v4, off
.LBB166_2926:
	s_mov_b64 s[2:3], 0
	s_mov_b64 s[4:5], -1
.LBB166_2927:
	s_andn2_b64 vcc, exec, s[2:3]
	s_mov_b64 s[2:3], 0
	s_cbranch_vccnz .LBB166_2934
; %bb.2928:
	s_cmp_gt_i32 s25, 14
	s_mov_b64 s[10:11], -1
	s_cbranch_scc0 .LBB166_2932
; %bb.2929:
	s_cmp_eq_u32 s25, 15
	s_mov_b64 s[0:1], -1
	s_cbranch_scc0 .LBB166_2931
; %bb.2930:
	v_cndmask_b32_e64 v3, 0, 1.0, s[14:15]
	v_bfe_u32 v4, v3, 16, 1
	s_movk_i32 s0, 0x7fff
	v_add3_u32 v3, v3, v4, s0
	global_store_short_d16_hi v[0:1], v3, off
	s_mov_b64 s[0:1], 0
	s_mov_b64 s[4:5], -1
.LBB166_2931:
	s_mov_b64 s[10:11], 0
.LBB166_2932:
	s_and_b64 vcc, exec, s[10:11]
	s_cbranch_vccz .LBB166_2934
; %bb.2933:
	s_cmp_lg_u32 s25, 11
	s_mov_b64 s[2:3], -1
	s_cselect_b64 s[0:1], -1, 0
.LBB166_2934:
	s_and_b64 vcc, exec, s[0:1]
	s_cbranch_vccnz .LBB166_3183
; %bb.2935:
	s_andn2_b64 vcc, exec, s[2:3]
	s_cbranch_vccnz .LBB166_2937
.LBB166_2936:
	v_cndmask_b32_e64 v3, 0, 1, s[14:15]
	s_mov_b64 s[4:5], -1
	global_store_byte v[0:1], v3, off
.LBB166_2937:
	s_mov_b64 s[0:1], 0
	s_branch .LBB166_2939
.LBB166_2938:
	s_mov_b64 s[0:1], -1
	s_mov_b64 s[4:5], 0
.LBB166_2939:
	s_and_b64 vcc, exec, s[0:1]
	s_cbranch_vccz .LBB166_2978
; %bb.2940:
	s_and_b32 s2, 0xffff, s28
	s_cmp_lt_i32 s2, 5
	s_mov_b64 s[0:1], -1
	s_cbranch_scc1 .LBB166_2961
; %bb.2941:
	s_cmp_lt_i32 s2, 8
	s_cbranch_scc1 .LBB166_2951
; %bb.2942:
	s_cmp_lt_i32 s2, 9
	s_cbranch_scc1 .LBB166_2948
; %bb.2943:
	s_cmp_gt_i32 s2, 9
	s_cbranch_scc0 .LBB166_2945
; %bb.2944:
	v_cndmask_b32_e64 v3, 0, 1, s[14:15]
	v_cvt_f64_u32_e32 v[3:4], v3
	v_mov_b32_e32 v5, 0
	v_mov_b32_e32 v6, v5
	s_mov_b64 s[0:1], 0
	global_store_dwordx4 v[0:1], v[3:6], off
.LBB166_2945:
	s_andn2_b64 vcc, exec, s[0:1]
	s_cbranch_vccnz .LBB166_2947
; %bb.2946:
	v_cndmask_b32_e64 v3, 0, 1.0, s[14:15]
	v_mov_b32_e32 v4, 0
	global_store_dwordx2 v[0:1], v[3:4], off
.LBB166_2947:
	s_mov_b64 s[0:1], 0
.LBB166_2948:
	s_andn2_b64 vcc, exec, s[0:1]
	s_cbranch_vccnz .LBB166_2950
; %bb.2949:
	v_cndmask_b32_e64 v3, 0, 1.0, s[14:15]
	v_cvt_f16_f32_e32 v3, v3
	global_store_dword v[0:1], v3, off
.LBB166_2950:
	s_mov_b64 s[0:1], 0
.LBB166_2951:
	s_andn2_b64 vcc, exec, s[0:1]
	s_cbranch_vccnz .LBB166_2960
; %bb.2952:
	s_cmp_lt_i32 s2, 6
	s_mov_b64 s[0:1], -1
	s_cbranch_scc1 .LBB166_2958
; %bb.2953:
	s_cmp_gt_i32 s2, 6
	s_cbranch_scc0 .LBB166_2955
; %bb.2954:
	v_cndmask_b32_e64 v3, 0, 1, s[14:15]
	v_cvt_f64_u32_e32 v[3:4], v3
	s_mov_b64 s[0:1], 0
	global_store_dwordx2 v[0:1], v[3:4], off
.LBB166_2955:
	s_andn2_b64 vcc, exec, s[0:1]
	s_cbranch_vccnz .LBB166_2957
; %bb.2956:
	v_cndmask_b32_e64 v3, 0, 1.0, s[14:15]
	global_store_dword v[0:1], v3, off
.LBB166_2957:
	s_mov_b64 s[0:1], 0
.LBB166_2958:
	s_andn2_b64 vcc, exec, s[0:1]
	s_cbranch_vccnz .LBB166_2960
; %bb.2959:
	v_cndmask_b32_e64 v3, 0, 1.0, s[14:15]
	v_cvt_f16_f32_e32 v3, v3
	global_store_short v[0:1], v3, off
.LBB166_2960:
	s_mov_b64 s[0:1], 0
.LBB166_2961:
	s_andn2_b64 vcc, exec, s[0:1]
	s_cbranch_vccnz .LBB166_2977
; %bb.2962:
	s_cmp_lt_i32 s2, 2
	s_mov_b64 s[0:1], -1
	s_cbranch_scc1 .LBB166_2972
; %bb.2963:
	s_cmp_lt_i32 s2, 3
	s_cbranch_scc1 .LBB166_2969
; %bb.2964:
	s_cmp_gt_i32 s2, 3
	s_cbranch_scc0 .LBB166_2966
; %bb.2965:
	s_mov_b32 s0, 0
	v_cndmask_b32_e64 v3, 0, 1, s[14:15]
	v_mov_b32_e32 v4, s0
	global_store_dwordx2 v[0:1], v[3:4], off
	s_mov_b64 s[0:1], 0
.LBB166_2966:
	s_andn2_b64 vcc, exec, s[0:1]
	s_cbranch_vccnz .LBB166_2968
; %bb.2967:
	v_cndmask_b32_e64 v3, 0, 1, s[14:15]
	global_store_dword v[0:1], v3, off
.LBB166_2968:
	s_mov_b64 s[0:1], 0
.LBB166_2969:
	s_andn2_b64 vcc, exec, s[0:1]
	s_cbranch_vccnz .LBB166_2971
; %bb.2970:
	v_cndmask_b32_e64 v3, 0, 1, s[14:15]
	global_store_short v[0:1], v3, off
.LBB166_2971:
	s_mov_b64 s[0:1], 0
.LBB166_2972:
	s_andn2_b64 vcc, exec, s[0:1]
	s_cbranch_vccnz .LBB166_2977
; %bb.2973:
	s_mov_b64 s[0:1], -1
	s_cmp_gt_i32 s2, 0
	v_cndmask_b32_e64 v3, 0, 1, s[14:15]
	s_cbranch_scc0 .LBB166_2975
; %bb.2974:
	global_store_byte v[0:1], v3, off
	s_mov_b64 s[0:1], 0
.LBB166_2975:
	s_andn2_b64 vcc, exec, s[0:1]
	s_cbranch_vccnz .LBB166_2977
; %bb.2976:
	global_store_byte v[0:1], v3, off
.LBB166_2977:
	s_mov_b64 s[4:5], -1
.LBB166_2978:
	s_andn2_b64 vcc, exec, s[4:5]
	s_cbranch_vccnz .LBB166_3174
; %bb.2979:
	v_add_u32_e32 v2, s24, v2
	v_ashrrev_i32_e32 v1, 31, v2
	v_mov_b32_e32 v3, s9
	v_add_co_u32_e32 v0, vcc, s8, v2
	s_cmp_lt_i32 s28, 11
	v_addc_co_u32_e32 v1, vcc, v3, v1, vcc
	s_cbranch_scc1 .LBB166_3057
; %bb.2980:
	s_and_b32 s14, 0xffff, s28
	s_mov_b64 s[10:11], -1
	s_mov_b64 s[2:3], 0
	s_cmp_gt_i32 s14, 25
	s_mov_b64 s[4:5], 0
	s_mov_b64 s[0:1], 0
	s_cbranch_scc0 .LBB166_3013
; %bb.2981:
	s_cmp_gt_i32 s14, 28
	s_cbranch_scc0 .LBB166_2996
; %bb.2982:
	s_cmp_gt_i32 s14, 43
	;; [unrolled: 3-line block ×3, first 2 shown]
	s_cbranch_scc0 .LBB166_2986
; %bb.2984:
	s_mov_b64 s[0:1], -1
	s_mov_b64 s[10:11], 0
	s_cmp_eq_u32 s14, 46
	s_cbranch_scc0 .LBB166_2986
; %bb.2985:
	v_cndmask_b32_e64 v3, 0, 1.0, s[22:23]
	v_bfe_u32 v4, v3, 16, 1
	s_movk_i32 s0, 0x7fff
	v_add3_u32 v3, v3, v4, s0
	v_lshrrev_b32_e32 v3, 16, v3
	global_store_dword v[0:1], v3, off
	s_mov_b64 s[0:1], 0
	s_mov_b64 s[4:5], -1
.LBB166_2986:
	s_and_b64 vcc, exec, s[10:11]
	s_cbranch_vccz .LBB166_2991
; %bb.2987:
	s_cmp_eq_u32 s14, 44
	s_mov_b64 s[0:1], -1
	s_cbranch_scc0 .LBB166_2991
; %bb.2988:
	v_cndmask_b32_e64 v4, 0, 1.0, s[22:23]
	v_lshrrev_b32_e32 v3, 23, v4
	s_movk_i32 s0, 0xff
	v_cmp_ne_u32_e32 vcc, s0, v3
	v_mov_b32_e32 v5, 0xff
	s_and_saveexec_b64 s[4:5], vcc
; %bb.2989:
	s_mov_b32 s0, 0x3fffff
	v_and_b32_e32 v5, 0x400000, v4
	v_and_or_b32 v4, v4, s0, v3
	v_cmp_ne_u32_e32 vcc, 0, v5
	v_cmp_ne_u32_e64 s[0:1], 0, v4
	s_and_b64 s[0:1], vcc, s[0:1]
	v_cndmask_b32_e64 v4, 0, 1, s[0:1]
	v_add_u32_e32 v5, v3, v4
; %bb.2990:
	s_or_b64 exec, exec, s[4:5]
	s_mov_b64 s[0:1], 0
	s_mov_b64 s[4:5], -1
	global_store_byte v[0:1], v5, off
.LBB166_2991:
	s_mov_b64 s[10:11], 0
.LBB166_2992:
	s_and_b64 vcc, exec, s[10:11]
	s_cbranch_vccz .LBB166_2995
; %bb.2993:
	s_cmp_eq_u32 s14, 29
	s_mov_b64 s[0:1], -1
	s_cbranch_scc0 .LBB166_2995
; %bb.2994:
	s_mov_b32 s0, 0
	v_cndmask_b32_e64 v3, 0, 1, s[22:23]
	v_mov_b32_e32 v4, s0
	global_store_dwordx2 v[0:1], v[3:4], off
	s_mov_b64 s[0:1], 0
	s_mov_b64 s[4:5], -1
.LBB166_2995:
	s_mov_b64 s[10:11], 0
.LBB166_2996:
	s_and_b64 vcc, exec, s[10:11]
	s_cbranch_vccz .LBB166_3012
; %bb.2997:
	s_cmp_lt_i32 s14, 27
	s_mov_b64 s[4:5], -1
	s_cbranch_scc1 .LBB166_3003
; %bb.2998:
	s_cmp_gt_i32 s14, 27
	s_cbranch_scc0 .LBB166_3000
; %bb.2999:
	v_cndmask_b32_e64 v3, 0, 1, s[22:23]
	s_mov_b64 s[4:5], 0
	global_store_dword v[0:1], v3, off
.LBB166_3000:
	s_andn2_b64 vcc, exec, s[4:5]
	s_cbranch_vccnz .LBB166_3002
; %bb.3001:
	v_cndmask_b32_e64 v3, 0, 1, s[22:23]
	global_store_short v[0:1], v3, off
.LBB166_3002:
	s_mov_b64 s[4:5], 0
.LBB166_3003:
	s_andn2_b64 vcc, exec, s[4:5]
	s_cbranch_vccnz .LBB166_3011
; %bb.3004:
	v_cndmask_b32_e64 v4, 0, 1.0, s[22:23]
	s_mov_b32 s4, 0x43800000
	v_cmp_gt_u32_e32 vcc, s4, v4
	v_mov_b32_e32 v5, 0x80
	s_and_saveexec_b64 s[4:5], vcc
	s_cbranch_execz .LBB166_3010
; %bb.3005:
	s_mov_b32 s10, 0x3bffffff
	v_cmp_lt_u32_e32 vcc, s10, v4
	s_mov_b64 s[10:11], 0
                                        ; implicit-def: $vgpr3
	s_and_saveexec_b64 s[12:13], vcc
	s_xor_b64 s[12:13], exec, s[12:13]
	s_cbranch_execz .LBB166_3186
; %bb.3006:
	v_bfe_u32 v3, v4, 20, 1
	s_mov_b32 s15, 0x487ffff
	v_add3_u32 v3, v4, v3, s15
	s_mov_b64 s[10:11], exec
	v_lshrrev_b32_e32 v3, 20, v3
                                        ; implicit-def: $vgpr4
	s_andn2_saveexec_b64 s[12:13], s[12:13]
	s_cbranch_execnz .LBB166_3187
.LBB166_3007:
	s_or_b64 exec, exec, s[12:13]
	v_mov_b32_e32 v5, 0
	s_and_saveexec_b64 s[12:13], s[10:11]
.LBB166_3008:
	v_mov_b32_e32 v5, v3
.LBB166_3009:
	s_or_b64 exec, exec, s[12:13]
.LBB166_3010:
	s_or_b64 exec, exec, s[4:5]
	global_store_byte v[0:1], v5, off
.LBB166_3011:
	s_mov_b64 s[4:5], -1
.LBB166_3012:
	s_mov_b64 s[10:11], 0
.LBB166_3013:
	s_and_b64 vcc, exec, s[10:11]
	s_cbranch_vccz .LBB166_3053
; %bb.3014:
	s_cmp_gt_i32 s14, 22
	s_mov_b64 s[2:3], -1
	s_cbranch_scc0 .LBB166_3046
; %bb.3015:
	s_cmp_lt_i32 s14, 24
	s_cbranch_scc1 .LBB166_3035
; %bb.3016:
	s_cmp_gt_i32 s14, 24
	s_cbranch_scc0 .LBB166_3024
; %bb.3017:
	v_cndmask_b32_e64 v4, 0, 1.0, s[22:23]
	s_mov_b32 s2, 0x47800000
	v_cmp_gt_u32_e32 vcc, s2, v4
	v_mov_b32_e32 v5, 0x80
	s_and_saveexec_b64 s[2:3], vcc
	s_cbranch_execz .LBB166_3023
; %bb.3018:
	s_mov_b32 s4, 0x37ffffff
	v_cmp_lt_u32_e32 vcc, s4, v4
	s_mov_b64 s[4:5], 0
                                        ; implicit-def: $vgpr3
	s_and_saveexec_b64 s[10:11], vcc
	s_xor_b64 s[10:11], exec, s[10:11]
	s_cbranch_execz .LBB166_3189
; %bb.3019:
	v_bfe_u32 v3, v4, 21, 1
	s_mov_b32 s12, 0x88fffff
	v_add3_u32 v3, v4, v3, s12
	s_mov_b64 s[4:5], exec
	v_lshrrev_b32_e32 v3, 21, v3
                                        ; implicit-def: $vgpr4
	s_andn2_saveexec_b64 s[10:11], s[10:11]
	s_cbranch_execnz .LBB166_3190
.LBB166_3020:
	s_or_b64 exec, exec, s[10:11]
	v_mov_b32_e32 v5, 0
	s_and_saveexec_b64 s[10:11], s[4:5]
.LBB166_3021:
	v_mov_b32_e32 v5, v3
.LBB166_3022:
	s_or_b64 exec, exec, s[10:11]
.LBB166_3023:
	s_or_b64 exec, exec, s[2:3]
	s_mov_b64 s[2:3], 0
	global_store_byte v[0:1], v5, off
.LBB166_3024:
	s_and_b64 vcc, exec, s[2:3]
	s_cbranch_vccz .LBB166_3034
; %bb.3025:
	v_cndmask_b32_e64 v3, 0, 1.0, s[22:23]
	s_mov_b32 s2, 0x43f00000
	v_cmp_gt_u32_e32 vcc, s2, v3
                                        ; implicit-def: $vgpr4
	s_and_saveexec_b64 s[2:3], vcc
	s_xor_b64 s[2:3], exec, s[2:3]
	s_cbranch_execz .LBB166_3031
; %bb.3026:
	s_mov_b32 s4, 0x3c7fffff
	v_cmp_lt_u32_e32 vcc, s4, v3
                                        ; implicit-def: $vgpr4
	s_and_saveexec_b64 s[4:5], vcc
	s_xor_b64 s[4:5], exec, s[4:5]
; %bb.3027:
	v_bfe_u32 v4, v3, 20, 1
	s_mov_b32 s10, 0x407ffff
	v_add3_u32 v3, v3, v4, s10
	v_lshrrev_b32_e32 v4, 20, v3
	v_and_b32_e32 v3, 0xff00000, v3
	s_mov_b32 s10, 0x7f00000
	v_mov_b32_e32 v5, 0x7e
	v_cmp_ne_u32_e32 vcc, s10, v3
	v_cndmask_b32_e32 v4, v5, v4, vcc
                                        ; implicit-def: $vgpr3
; %bb.3028:
	s_andn2_saveexec_b64 s[4:5], s[4:5]
; %bb.3029:
	v_add_f32_e32 v4, 0x46800000, v3
; %bb.3030:
	s_or_b64 exec, exec, s[4:5]
                                        ; implicit-def: $vgpr3
.LBB166_3031:
	s_andn2_saveexec_b64 s[2:3], s[2:3]
; %bb.3032:
	s_mov_b32 s4, 0x7f800000
	v_mov_b32_e32 v4, 0x7e
	v_mov_b32_e32 v5, 0x7f
	v_cmp_lt_u32_e32 vcc, s4, v3
	v_cndmask_b32_e32 v4, v4, v5, vcc
; %bb.3033:
	s_or_b64 exec, exec, s[2:3]
	global_store_byte v[0:1], v4, off
.LBB166_3034:
	s_mov_b64 s[2:3], 0
.LBB166_3035:
	s_andn2_b64 vcc, exec, s[2:3]
	s_cbranch_vccnz .LBB166_3045
; %bb.3036:
	v_cndmask_b32_e64 v3, 0, 1.0, s[22:23]
	s_mov_b32 s2, 0x47800000
	v_cmp_gt_u32_e32 vcc, s2, v3
                                        ; implicit-def: $vgpr4
	s_and_saveexec_b64 s[2:3], vcc
	s_xor_b64 s[2:3], exec, s[2:3]
	s_cbranch_execz .LBB166_3042
; %bb.3037:
	s_mov_b32 s4, 0x387fffff
	v_cmp_lt_u32_e32 vcc, s4, v3
                                        ; implicit-def: $vgpr4
	s_and_saveexec_b64 s[4:5], vcc
	s_xor_b64 s[4:5], exec, s[4:5]
; %bb.3038:
	v_bfe_u32 v4, v3, 21, 1
	s_mov_b32 s10, 0x80fffff
	v_add3_u32 v3, v3, v4, s10
	v_lshrrev_b32_e32 v4, 21, v3
                                        ; implicit-def: $vgpr3
; %bb.3039:
	s_andn2_saveexec_b64 s[4:5], s[4:5]
; %bb.3040:
	v_add_f32_e32 v4, 0x43000000, v3
; %bb.3041:
	s_or_b64 exec, exec, s[4:5]
                                        ; implicit-def: $vgpr3
.LBB166_3042:
	s_andn2_saveexec_b64 s[2:3], s[2:3]
; %bb.3043:
	s_mov_b32 s4, 0x7f800000
	v_mov_b32_e32 v4, 0x7c
	v_mov_b32_e32 v5, 0x7f
	v_cmp_lt_u32_e32 vcc, s4, v3
	v_cndmask_b32_e32 v4, v4, v5, vcc
; %bb.3044:
	s_or_b64 exec, exec, s[2:3]
	global_store_byte v[0:1], v4, off
.LBB166_3045:
	s_mov_b64 s[2:3], 0
	s_mov_b64 s[4:5], -1
.LBB166_3046:
	s_andn2_b64 vcc, exec, s[2:3]
	s_mov_b64 s[2:3], 0
	s_cbranch_vccnz .LBB166_3053
; %bb.3047:
	s_cmp_gt_i32 s14, 14
	s_mov_b64 s[10:11], -1
	s_cbranch_scc0 .LBB166_3051
; %bb.3048:
	s_cmp_eq_u32 s14, 15
	s_mov_b64 s[0:1], -1
	s_cbranch_scc0 .LBB166_3050
; %bb.3049:
	v_cndmask_b32_e64 v3, 0, 1.0, s[22:23]
	v_bfe_u32 v4, v3, 16, 1
	s_movk_i32 s0, 0x7fff
	v_add3_u32 v3, v3, v4, s0
	global_store_short_d16_hi v[0:1], v3, off
	s_mov_b64 s[0:1], 0
	s_mov_b64 s[4:5], -1
.LBB166_3050:
	s_mov_b64 s[10:11], 0
.LBB166_3051:
	s_and_b64 vcc, exec, s[10:11]
	s_cbranch_vccz .LBB166_3053
; %bb.3052:
	s_cmp_lg_u32 s14, 11
	s_mov_b64 s[2:3], -1
	s_cselect_b64 s[0:1], -1, 0
.LBB166_3053:
	s_and_b64 vcc, exec, s[0:1]
	s_cbranch_vccnz .LBB166_3188
; %bb.3054:
	s_andn2_b64 vcc, exec, s[2:3]
	s_cbranch_vccnz .LBB166_3056
.LBB166_3055:
	v_cndmask_b32_e64 v3, 0, 1, s[22:23]
	s_mov_b64 s[4:5], -1
	global_store_byte v[0:1], v3, off
.LBB166_3056:
	s_mov_b64 s[0:1], 0
	s_branch .LBB166_3058
.LBB166_3057:
	s_mov_b64 s[0:1], -1
	s_mov_b64 s[4:5], 0
.LBB166_3058:
	s_and_b64 vcc, exec, s[0:1]
	s_cbranch_vccz .LBB166_3097
; %bb.3059:
	s_and_b32 s2, 0xffff, s28
	s_cmp_lt_i32 s2, 5
	s_mov_b64 s[0:1], -1
	s_cbranch_scc1 .LBB166_3080
; %bb.3060:
	s_cmp_lt_i32 s2, 8
	s_cbranch_scc1 .LBB166_3070
; %bb.3061:
	s_cmp_lt_i32 s2, 9
	s_cbranch_scc1 .LBB166_3067
; %bb.3062:
	s_cmp_gt_i32 s2, 9
	s_cbranch_scc0 .LBB166_3064
; %bb.3063:
	v_cndmask_b32_e64 v3, 0, 1, s[22:23]
	v_cvt_f64_u32_e32 v[3:4], v3
	v_mov_b32_e32 v5, 0
	v_mov_b32_e32 v6, v5
	s_mov_b64 s[0:1], 0
	global_store_dwordx4 v[0:1], v[3:6], off
.LBB166_3064:
	s_andn2_b64 vcc, exec, s[0:1]
	s_cbranch_vccnz .LBB166_3066
; %bb.3065:
	v_cndmask_b32_e64 v3, 0, 1.0, s[22:23]
	v_mov_b32_e32 v4, 0
	global_store_dwordx2 v[0:1], v[3:4], off
.LBB166_3066:
	s_mov_b64 s[0:1], 0
.LBB166_3067:
	s_andn2_b64 vcc, exec, s[0:1]
	s_cbranch_vccnz .LBB166_3069
; %bb.3068:
	v_cndmask_b32_e64 v3, 0, 1.0, s[22:23]
	v_cvt_f16_f32_e32 v3, v3
	global_store_dword v[0:1], v3, off
.LBB166_3069:
	s_mov_b64 s[0:1], 0
.LBB166_3070:
	s_andn2_b64 vcc, exec, s[0:1]
	s_cbranch_vccnz .LBB166_3079
; %bb.3071:
	s_cmp_lt_i32 s2, 6
	s_mov_b64 s[0:1], -1
	s_cbranch_scc1 .LBB166_3077
; %bb.3072:
	s_cmp_gt_i32 s2, 6
	s_cbranch_scc0 .LBB166_3074
; %bb.3073:
	v_cndmask_b32_e64 v3, 0, 1, s[22:23]
	v_cvt_f64_u32_e32 v[3:4], v3
	s_mov_b64 s[0:1], 0
	global_store_dwordx2 v[0:1], v[3:4], off
.LBB166_3074:
	s_andn2_b64 vcc, exec, s[0:1]
	s_cbranch_vccnz .LBB166_3076
; %bb.3075:
	v_cndmask_b32_e64 v3, 0, 1.0, s[22:23]
	global_store_dword v[0:1], v3, off
.LBB166_3076:
	s_mov_b64 s[0:1], 0
.LBB166_3077:
	s_andn2_b64 vcc, exec, s[0:1]
	s_cbranch_vccnz .LBB166_3079
; %bb.3078:
	v_cndmask_b32_e64 v3, 0, 1.0, s[22:23]
	v_cvt_f16_f32_e32 v3, v3
	global_store_short v[0:1], v3, off
.LBB166_3079:
	s_mov_b64 s[0:1], 0
.LBB166_3080:
	s_andn2_b64 vcc, exec, s[0:1]
	s_cbranch_vccnz .LBB166_3096
; %bb.3081:
	s_cmp_lt_i32 s2, 2
	s_mov_b64 s[0:1], -1
	s_cbranch_scc1 .LBB166_3091
; %bb.3082:
	s_cmp_lt_i32 s2, 3
	s_cbranch_scc1 .LBB166_3088
; %bb.3083:
	s_cmp_gt_i32 s2, 3
	s_cbranch_scc0 .LBB166_3085
; %bb.3084:
	s_mov_b32 s0, 0
	v_cndmask_b32_e64 v3, 0, 1, s[22:23]
	v_mov_b32_e32 v4, s0
	global_store_dwordx2 v[0:1], v[3:4], off
	s_mov_b64 s[0:1], 0
.LBB166_3085:
	s_andn2_b64 vcc, exec, s[0:1]
	s_cbranch_vccnz .LBB166_3087
; %bb.3086:
	v_cndmask_b32_e64 v3, 0, 1, s[22:23]
	global_store_dword v[0:1], v3, off
.LBB166_3087:
	s_mov_b64 s[0:1], 0
.LBB166_3088:
	s_andn2_b64 vcc, exec, s[0:1]
	s_cbranch_vccnz .LBB166_3090
; %bb.3089:
	v_cndmask_b32_e64 v3, 0, 1, s[22:23]
	global_store_short v[0:1], v3, off
.LBB166_3090:
	s_mov_b64 s[0:1], 0
.LBB166_3091:
	s_andn2_b64 vcc, exec, s[0:1]
	s_cbranch_vccnz .LBB166_3096
; %bb.3092:
	s_mov_b64 s[0:1], -1
	s_cmp_gt_i32 s2, 0
	v_cndmask_b32_e64 v3, 0, 1, s[22:23]
	s_cbranch_scc0 .LBB166_3094
; %bb.3093:
	global_store_byte v[0:1], v3, off
	s_mov_b64 s[0:1], 0
.LBB166_3094:
	s_andn2_b64 vcc, exec, s[0:1]
	s_cbranch_vccnz .LBB166_3096
; %bb.3095:
	global_store_byte v[0:1], v3, off
.LBB166_3096:
	s_mov_b64 s[4:5], -1
.LBB166_3097:
	s_andn2_b64 vcc, exec, s[4:5]
	s_cbranch_vccnz .LBB166_3174
; %bb.3098:
	v_add_u32_e32 v0, s24, v2
	v_ashrrev_i32_e32 v1, 31, v0
	v_mov_b32_e32 v2, s9
	v_add_co_u32_e32 v0, vcc, s8, v0
	s_cmp_lt_i32 s28, 11
	v_addc_co_u32_e32 v1, vcc, v2, v1, vcc
	s_cbranch_scc1 .LBB166_3175
; %bb.3099:
	s_and_b32 s12, 0xffff, s28
	s_mov_b64 s[4:5], -1
	s_mov_b64 s[2:3], 0
	s_cmp_gt_i32 s12, 25
	s_mov_b64 s[0:1], 0
	s_cbranch_scc0 .LBB166_3132
; %bb.3100:
	s_cmp_gt_i32 s12, 28
	s_cbranch_scc0 .LBB166_3116
; %bb.3101:
	s_cmp_gt_i32 s12, 43
	;; [unrolled: 3-line block ×3, first 2 shown]
	s_cbranch_scc0 .LBB166_3106
; %bb.3103:
	s_cmp_eq_u32 s12, 46
	s_mov_b64 s[0:1], -1
	s_cbranch_scc0 .LBB166_3105
; %bb.3104:
	v_cndmask_b32_e64 v2, 0, 1.0, s[20:21]
	v_bfe_u32 v3, v2, 16, 1
	s_movk_i32 s0, 0x7fff
	v_add3_u32 v2, v2, v3, s0
	v_lshrrev_b32_e32 v2, 16, v2
	global_store_dword v[0:1], v2, off
	s_mov_b64 s[0:1], 0
.LBB166_3105:
	s_mov_b64 s[4:5], 0
.LBB166_3106:
	s_and_b64 vcc, exec, s[4:5]
	s_cbranch_vccz .LBB166_3111
; %bb.3107:
	s_cmp_eq_u32 s12, 44
	s_mov_b64 s[0:1], -1
	s_cbranch_scc0 .LBB166_3111
; %bb.3108:
	v_cndmask_b32_e64 v3, 0, 1.0, s[20:21]
	v_lshrrev_b32_e32 v2, 23, v3
	s_movk_i32 s0, 0xff
	v_cmp_ne_u32_e32 vcc, s0, v2
	v_mov_b32_e32 v4, 0xff
	s_and_saveexec_b64 s[4:5], vcc
; %bb.3109:
	s_mov_b32 s0, 0x3fffff
	v_and_b32_e32 v4, 0x400000, v3
	v_and_or_b32 v3, v3, s0, v2
	v_cmp_ne_u32_e32 vcc, 0, v4
	v_cmp_ne_u32_e64 s[0:1], 0, v3
	s_and_b64 s[0:1], vcc, s[0:1]
	v_cndmask_b32_e64 v3, 0, 1, s[0:1]
	v_add_u32_e32 v4, v2, v3
; %bb.3110:
	s_or_b64 exec, exec, s[4:5]
	s_mov_b64 s[0:1], 0
	global_store_byte v[0:1], v4, off
.LBB166_3111:
	s_mov_b64 s[4:5], 0
.LBB166_3112:
	s_and_b64 vcc, exec, s[4:5]
	s_cbranch_vccz .LBB166_3115
; %bb.3113:
	s_cmp_eq_u32 s12, 29
	s_mov_b64 s[0:1], -1
	s_cbranch_scc0 .LBB166_3115
; %bb.3114:
	s_mov_b32 s0, 0
	v_cndmask_b32_e64 v2, 0, 1, s[20:21]
	v_mov_b32_e32 v3, s0
	global_store_dwordx2 v[0:1], v[2:3], off
	s_mov_b64 s[0:1], 0
.LBB166_3115:
	s_mov_b64 s[4:5], 0
.LBB166_3116:
	s_and_b64 vcc, exec, s[4:5]
	s_cbranch_vccz .LBB166_3131
; %bb.3117:
	s_cmp_lt_i32 s12, 27
	s_mov_b64 s[4:5], -1
	s_cbranch_scc1 .LBB166_3123
; %bb.3118:
	s_cmp_gt_i32 s12, 27
	v_cndmask_b32_e64 v2, 0, 1, s[20:21]
	s_cbranch_scc0 .LBB166_3120
; %bb.3119:
	global_store_dword v[0:1], v2, off
	s_mov_b64 s[4:5], 0
.LBB166_3120:
	s_andn2_b64 vcc, exec, s[4:5]
	s_cbranch_vccnz .LBB166_3122
; %bb.3121:
	global_store_short v[0:1], v2, off
.LBB166_3122:
	s_mov_b64 s[4:5], 0
.LBB166_3123:
	s_andn2_b64 vcc, exec, s[4:5]
	s_cbranch_vccnz .LBB166_3131
; %bb.3124:
	v_cndmask_b32_e64 v3, 0, 1.0, s[20:21]
	s_mov_b32 s4, 0x43800000
	v_cmp_gt_u32_e32 vcc, s4, v3
	v_mov_b32_e32 v4, 0x80
	s_and_saveexec_b64 s[4:5], vcc
	s_cbranch_execz .LBB166_3130
; %bb.3125:
	s_mov_b32 s8, 0x3bffffff
	v_cmp_lt_u32_e32 vcc, s8, v3
	s_mov_b64 s[8:9], 0
                                        ; implicit-def: $vgpr2
	s_and_saveexec_b64 s[10:11], vcc
	s_xor_b64 s[10:11], exec, s[10:11]
	s_cbranch_execz .LBB166_3191
; %bb.3126:
	v_bfe_u32 v2, v3, 20, 1
	s_mov_b32 s13, 0x487ffff
	v_add3_u32 v2, v3, v2, s13
	s_mov_b64 s[8:9], exec
	v_lshrrev_b32_e32 v2, 20, v2
                                        ; implicit-def: $vgpr3
	s_andn2_saveexec_b64 s[10:11], s[10:11]
	s_cbranch_execnz .LBB166_3192
.LBB166_3127:
	s_or_b64 exec, exec, s[10:11]
	v_mov_b32_e32 v4, 0
	s_and_saveexec_b64 s[10:11], s[8:9]
.LBB166_3128:
	v_mov_b32_e32 v4, v2
.LBB166_3129:
	s_or_b64 exec, exec, s[10:11]
.LBB166_3130:
	s_or_b64 exec, exec, s[4:5]
	global_store_byte v[0:1], v4, off
.LBB166_3131:
	s_mov_b64 s[4:5], 0
.LBB166_3132:
	s_and_b64 vcc, exec, s[4:5]
	s_cbranch_vccz .LBB166_3172
; %bb.3133:
	s_cmp_gt_i32 s12, 22
	s_mov_b64 s[2:3], -1
	s_cbranch_scc0 .LBB166_3165
; %bb.3134:
	s_cmp_lt_i32 s12, 24
	s_cbranch_scc1 .LBB166_3154
; %bb.3135:
	s_cmp_gt_i32 s12, 24
	s_cbranch_scc0 .LBB166_3143
; %bb.3136:
	v_cndmask_b32_e64 v3, 0, 1.0, s[20:21]
	s_mov_b32 s2, 0x47800000
	v_cmp_gt_u32_e32 vcc, s2, v3
	v_mov_b32_e32 v4, 0x80
	s_and_saveexec_b64 s[2:3], vcc
	s_cbranch_execz .LBB166_3142
; %bb.3137:
	s_mov_b32 s4, 0x37ffffff
	v_cmp_lt_u32_e32 vcc, s4, v3
	s_mov_b64 s[4:5], 0
                                        ; implicit-def: $vgpr2
	s_and_saveexec_b64 s[8:9], vcc
	s_xor_b64 s[8:9], exec, s[8:9]
	s_cbranch_execz .LBB166_3194
; %bb.3138:
	v_bfe_u32 v2, v3, 21, 1
	s_mov_b32 s10, 0x88fffff
	v_add3_u32 v2, v3, v2, s10
	s_mov_b64 s[4:5], exec
	v_lshrrev_b32_e32 v2, 21, v2
                                        ; implicit-def: $vgpr3
	s_andn2_saveexec_b64 s[8:9], s[8:9]
	s_cbranch_execnz .LBB166_3195
.LBB166_3139:
	s_or_b64 exec, exec, s[8:9]
	v_mov_b32_e32 v4, 0
	s_and_saveexec_b64 s[8:9], s[4:5]
.LBB166_3140:
	v_mov_b32_e32 v4, v2
.LBB166_3141:
	s_or_b64 exec, exec, s[8:9]
.LBB166_3142:
	s_or_b64 exec, exec, s[2:3]
	s_mov_b64 s[2:3], 0
	global_store_byte v[0:1], v4, off
.LBB166_3143:
	s_and_b64 vcc, exec, s[2:3]
	s_cbranch_vccz .LBB166_3153
; %bb.3144:
	v_cndmask_b32_e64 v2, 0, 1.0, s[20:21]
	s_mov_b32 s2, 0x43f00000
	v_cmp_gt_u32_e32 vcc, s2, v2
                                        ; implicit-def: $vgpr3
	s_and_saveexec_b64 s[2:3], vcc
	s_xor_b64 s[2:3], exec, s[2:3]
	s_cbranch_execz .LBB166_3150
; %bb.3145:
	s_mov_b32 s4, 0x3c7fffff
	v_cmp_lt_u32_e32 vcc, s4, v2
                                        ; implicit-def: $vgpr3
	s_and_saveexec_b64 s[4:5], vcc
	s_xor_b64 s[4:5], exec, s[4:5]
; %bb.3146:
	v_bfe_u32 v3, v2, 20, 1
	s_mov_b32 s8, 0x407ffff
	v_add3_u32 v2, v2, v3, s8
	v_lshrrev_b32_e32 v3, 20, v2
	v_and_b32_e32 v2, 0xff00000, v2
	s_mov_b32 s8, 0x7f00000
	v_mov_b32_e32 v4, 0x7e
	v_cmp_ne_u32_e32 vcc, s8, v2
	v_cndmask_b32_e32 v3, v4, v3, vcc
                                        ; implicit-def: $vgpr2
; %bb.3147:
	s_andn2_saveexec_b64 s[4:5], s[4:5]
; %bb.3148:
	v_add_f32_e32 v3, 0x46800000, v2
; %bb.3149:
	s_or_b64 exec, exec, s[4:5]
                                        ; implicit-def: $vgpr2
.LBB166_3150:
	s_andn2_saveexec_b64 s[2:3], s[2:3]
; %bb.3151:
	s_mov_b32 s4, 0x7f800000
	v_mov_b32_e32 v3, 0x7e
	v_mov_b32_e32 v4, 0x7f
	v_cmp_lt_u32_e32 vcc, s4, v2
	v_cndmask_b32_e32 v3, v3, v4, vcc
; %bb.3152:
	s_or_b64 exec, exec, s[2:3]
	global_store_byte v[0:1], v3, off
.LBB166_3153:
	s_mov_b64 s[2:3], 0
.LBB166_3154:
	s_andn2_b64 vcc, exec, s[2:3]
	s_cbranch_vccnz .LBB166_3164
; %bb.3155:
	v_cndmask_b32_e64 v2, 0, 1.0, s[20:21]
	s_mov_b32 s2, 0x47800000
	v_cmp_gt_u32_e32 vcc, s2, v2
                                        ; implicit-def: $vgpr3
	s_and_saveexec_b64 s[2:3], vcc
	s_xor_b64 s[2:3], exec, s[2:3]
	s_cbranch_execz .LBB166_3161
; %bb.3156:
	s_mov_b32 s4, 0x387fffff
	v_cmp_lt_u32_e32 vcc, s4, v2
                                        ; implicit-def: $vgpr3
	s_and_saveexec_b64 s[4:5], vcc
	s_xor_b64 s[4:5], exec, s[4:5]
; %bb.3157:
	v_bfe_u32 v3, v2, 21, 1
	s_mov_b32 s8, 0x80fffff
	v_add3_u32 v2, v2, v3, s8
	v_lshrrev_b32_e32 v3, 21, v2
                                        ; implicit-def: $vgpr2
; %bb.3158:
	s_andn2_saveexec_b64 s[4:5], s[4:5]
; %bb.3159:
	v_add_f32_e32 v3, 0x43000000, v2
; %bb.3160:
	s_or_b64 exec, exec, s[4:5]
                                        ; implicit-def: $vgpr2
.LBB166_3161:
	s_andn2_saveexec_b64 s[2:3], s[2:3]
; %bb.3162:
	s_mov_b32 s4, 0x7f800000
	v_mov_b32_e32 v3, 0x7c
	v_mov_b32_e32 v4, 0x7f
	v_cmp_lt_u32_e32 vcc, s4, v2
	v_cndmask_b32_e32 v3, v3, v4, vcc
; %bb.3163:
	s_or_b64 exec, exec, s[2:3]
	global_store_byte v[0:1], v3, off
.LBB166_3164:
	s_mov_b64 s[2:3], 0
.LBB166_3165:
	s_andn2_b64 vcc, exec, s[2:3]
	s_mov_b64 s[2:3], 0
	s_cbranch_vccnz .LBB166_3172
; %bb.3166:
	s_cmp_gt_i32 s12, 14
	s_mov_b64 s[4:5], -1
	s_cbranch_scc0 .LBB166_3170
; %bb.3167:
	s_cmp_eq_u32 s12, 15
	s_mov_b64 s[0:1], -1
	s_cbranch_scc0 .LBB166_3169
; %bb.3168:
	v_cndmask_b32_e64 v2, 0, 1.0, s[20:21]
	v_bfe_u32 v3, v2, 16, 1
	s_movk_i32 s0, 0x7fff
	v_add3_u32 v2, v2, v3, s0
	global_store_short_d16_hi v[0:1], v2, off
	s_mov_b64 s[0:1], 0
.LBB166_3169:
	s_mov_b64 s[4:5], 0
.LBB166_3170:
	s_and_b64 vcc, exec, s[4:5]
	s_cbranch_vccz .LBB166_3172
; %bb.3171:
	s_cmp_lg_u32 s12, 11
	s_mov_b64 s[2:3], -1
	s_cselect_b64 s[0:1], -1, 0
.LBB166_3172:
	s_and_b64 vcc, exec, s[0:1]
	s_cbranch_vccnz .LBB166_3193
.LBB166_3173:
	s_mov_b64 s[0:1], 0
	s_branch .LBB166_2694
.LBB166_3174:
	s_mov_b64 s[0:1], 0
	s_branch .LBB166_2693
.LBB166_3175:
	s_mov_b64 s[2:3], 0
	s_mov_b64 s[0:1], -1
	s_branch .LBB166_2694
.LBB166_3176:
	s_andn2_saveexec_b64 s[26:27], s[26:27]
	s_cbranch_execz .LBB166_2769
.LBB166_3177:
	v_add_f32_e32 v3, 0x46000000, v4
	v_and_b32_e32 v3, 0xff, v3
	v_cmp_ne_u32_e32 vcc, 0, v3
	s_andn2_b64 s[24:25], s[24:25], exec
	s_and_b64 s[30:31], vcc, exec
	s_or_b64 s[24:25], s[24:25], s[30:31]
	s_or_b64 exec, exec, s[26:27]
	v_mov_b32_e32 v5, 0
	s_and_saveexec_b64 s[26:27], s[24:25]
	s_cbranch_execnz .LBB166_2770
	s_branch .LBB166_2771
.LBB166_3178:
	s_trap 2
	s_or_b64 s[18:19], s[18:19], exec
	s_cbranch_execz .LBB166_2817
	s_branch .LBB166_2818
.LBB166_3179:
	s_andn2_saveexec_b64 s[24:25], s[24:25]
	s_cbranch_execz .LBB166_2782
.LBB166_3180:
	v_add_f32_e32 v3, 0x42800000, v4
	v_and_b32_e32 v3, 0xff, v3
	v_cmp_ne_u32_e32 vcc, 0, v3
	s_andn2_b64 s[10:11], s[10:11], exec
	s_and_b64 s[26:27], vcc, exec
	s_or_b64 s[10:11], s[10:11], s[26:27]
	s_or_b64 exec, exec, s[24:25]
	v_mov_b32_e32 v5, 0
	s_and_saveexec_b64 s[24:25], s[10:11]
	s_cbranch_execnz .LBB166_2783
	s_branch .LBB166_2784
.LBB166_3181:
	s_andn2_saveexec_b64 s[12:13], s[12:13]
	s_cbranch_execz .LBB166_2888
.LBB166_3182:
	v_add_f32_e32 v3, 0x46000000, v4
	v_and_b32_e32 v3, 0xff, v3
	v_cmp_ne_u32_e32 vcc, 0, v3
	s_andn2_b64 s[10:11], s[10:11], exec
	s_and_b64 s[26:27], vcc, exec
	s_or_b64 s[10:11], s[10:11], s[26:27]
	s_or_b64 exec, exec, s[12:13]
	v_mov_b32_e32 v5, 0
	s_and_saveexec_b64 s[12:13], s[10:11]
	s_cbranch_execnz .LBB166_2889
	s_branch .LBB166_2890
.LBB166_3183:
	s_trap 2
	s_or_b64 s[18:19], s[18:19], exec
	s_cbranch_execz .LBB166_2936
	s_branch .LBB166_2937
.LBB166_3184:
	s_andn2_saveexec_b64 s[10:11], s[10:11]
	s_cbranch_execz .LBB166_2901
.LBB166_3185:
	v_add_f32_e32 v3, 0x42800000, v4
	v_and_b32_e32 v3, 0xff, v3
	v_cmp_ne_u32_e32 vcc, 0, v3
	s_andn2_b64 s[4:5], s[4:5], exec
	s_and_b64 s[12:13], vcc, exec
	s_or_b64 s[4:5], s[4:5], s[12:13]
	s_or_b64 exec, exec, s[10:11]
	v_mov_b32_e32 v5, 0
	s_and_saveexec_b64 s[10:11], s[4:5]
	s_cbranch_execnz .LBB166_2902
	s_branch .LBB166_2903
.LBB166_3186:
	s_andn2_saveexec_b64 s[12:13], s[12:13]
	s_cbranch_execz .LBB166_3007
.LBB166_3187:
	v_add_f32_e32 v3, 0x46000000, v4
	v_and_b32_e32 v3, 0xff, v3
	v_cmp_ne_u32_e32 vcc, 0, v3
	s_andn2_b64 s[10:11], s[10:11], exec
	s_and_b64 s[26:27], vcc, exec
	s_or_b64 s[10:11], s[10:11], s[26:27]
	s_or_b64 exec, exec, s[12:13]
	v_mov_b32_e32 v5, 0
	s_and_saveexec_b64 s[12:13], s[10:11]
	s_cbranch_execnz .LBB166_3008
	s_branch .LBB166_3009
.LBB166_3188:
	s_trap 2
	s_or_b64 s[18:19], s[18:19], exec
	s_cbranch_execz .LBB166_3055
	s_branch .LBB166_3056
.LBB166_3189:
	s_andn2_saveexec_b64 s[10:11], s[10:11]
	s_cbranch_execz .LBB166_3020
.LBB166_3190:
	v_add_f32_e32 v3, 0x42800000, v4
	v_and_b32_e32 v3, 0xff, v3
	v_cmp_ne_u32_e32 vcc, 0, v3
	s_andn2_b64 s[4:5], s[4:5], exec
	s_and_b64 s[12:13], vcc, exec
	s_or_b64 s[4:5], s[4:5], s[12:13]
	s_or_b64 exec, exec, s[10:11]
	v_mov_b32_e32 v5, 0
	s_and_saveexec_b64 s[10:11], s[4:5]
	s_cbranch_execnz .LBB166_3021
	s_branch .LBB166_3022
.LBB166_3191:
	s_andn2_saveexec_b64 s[10:11], s[10:11]
	s_cbranch_execz .LBB166_3127
.LBB166_3192:
	v_add_f32_e32 v2, 0x46000000, v3
	v_and_b32_e32 v2, 0xff, v2
	v_cmp_ne_u32_e32 vcc, 0, v2
	s_andn2_b64 s[8:9], s[8:9], exec
	s_and_b64 s[14:15], vcc, exec
	s_or_b64 s[8:9], s[8:9], s[14:15]
	s_or_b64 exec, exec, s[10:11]
	v_mov_b32_e32 v4, 0
	s_and_saveexec_b64 s[10:11], s[8:9]
	s_cbranch_execnz .LBB166_3128
	s_branch .LBB166_3129
.LBB166_3193:
	s_mov_b64 s[2:3], 0
	s_or_b64 s[18:19], s[18:19], exec
	s_trap 2
	s_branch .LBB166_3173
.LBB166_3194:
	s_andn2_saveexec_b64 s[8:9], s[8:9]
	s_cbranch_execz .LBB166_3139
.LBB166_3195:
	v_add_f32_e32 v2, 0x42800000, v3
	v_and_b32_e32 v2, 0xff, v2
	v_cmp_ne_u32_e32 vcc, 0, v2
	s_andn2_b64 s[4:5], s[4:5], exec
	s_and_b64 s[10:11], vcc, exec
	s_or_b64 s[4:5], s[4:5], s[10:11]
	s_or_b64 exec, exec, s[8:9]
	v_mov_b32_e32 v4, 0
	s_and_saveexec_b64 s[8:9], s[4:5]
	s_cbranch_execnz .LBB166_3140
	s_branch .LBB166_3141
	.section	.rodata,"a",@progbits
	.p2align	6, 0x0
	.amdhsa_kernel _ZN2at6native32elementwise_kernel_manual_unrollILi128ELi4EZNS0_15gpu_kernel_implINS0_13BinaryFunctorIN3c107complexINS4_8BFloat16EEES7_bNS0_12_GLOBAL__N_116CompareEqFunctorIS7_EEEEEEvRNS_18TensorIteratorBaseERKT_EUlibE_EEviT1_
		.amdhsa_group_segment_fixed_size 0
		.amdhsa_private_segment_fixed_size 0
		.amdhsa_kernarg_size 56
		.amdhsa_user_sgpr_count 6
		.amdhsa_user_sgpr_private_segment_buffer 1
		.amdhsa_user_sgpr_dispatch_ptr 0
		.amdhsa_user_sgpr_queue_ptr 0
		.amdhsa_user_sgpr_kernarg_segment_ptr 1
		.amdhsa_user_sgpr_dispatch_id 0
		.amdhsa_user_sgpr_flat_scratch_init 0
		.amdhsa_user_sgpr_private_segment_size 0
		.amdhsa_uses_dynamic_stack 0
		.amdhsa_system_sgpr_private_segment_wavefront_offset 0
		.amdhsa_system_sgpr_workgroup_id_x 1
		.amdhsa_system_sgpr_workgroup_id_y 0
		.amdhsa_system_sgpr_workgroup_id_z 0
		.amdhsa_system_sgpr_workgroup_info 0
		.amdhsa_system_vgpr_workitem_id 0
		.amdhsa_next_free_vgpr 14
		.amdhsa_next_free_sgpr 59
		.amdhsa_reserve_vcc 1
		.amdhsa_reserve_flat_scratch 0
		.amdhsa_float_round_mode_32 0
		.amdhsa_float_round_mode_16_64 0
		.amdhsa_float_denorm_mode_32 3
		.amdhsa_float_denorm_mode_16_64 3
		.amdhsa_dx10_clamp 1
		.amdhsa_ieee_mode 1
		.amdhsa_fp16_overflow 0
		.amdhsa_exception_fp_ieee_invalid_op 0
		.amdhsa_exception_fp_denorm_src 0
		.amdhsa_exception_fp_ieee_div_zero 0
		.amdhsa_exception_fp_ieee_overflow 0
		.amdhsa_exception_fp_ieee_underflow 0
		.amdhsa_exception_fp_ieee_inexact 0
		.amdhsa_exception_int_div_zero 0
	.end_amdhsa_kernel
	.section	.text._ZN2at6native32elementwise_kernel_manual_unrollILi128ELi4EZNS0_15gpu_kernel_implINS0_13BinaryFunctorIN3c107complexINS4_8BFloat16EEES7_bNS0_12_GLOBAL__N_116CompareEqFunctorIS7_EEEEEEvRNS_18TensorIteratorBaseERKT_EUlibE_EEviT1_,"axG",@progbits,_ZN2at6native32elementwise_kernel_manual_unrollILi128ELi4EZNS0_15gpu_kernel_implINS0_13BinaryFunctorIN3c107complexINS4_8BFloat16EEES7_bNS0_12_GLOBAL__N_116CompareEqFunctorIS7_EEEEEEvRNS_18TensorIteratorBaseERKT_EUlibE_EEviT1_,comdat
.Lfunc_end166:
	.size	_ZN2at6native32elementwise_kernel_manual_unrollILi128ELi4EZNS0_15gpu_kernel_implINS0_13BinaryFunctorIN3c107complexINS4_8BFloat16EEES7_bNS0_12_GLOBAL__N_116CompareEqFunctorIS7_EEEEEEvRNS_18TensorIteratorBaseERKT_EUlibE_EEviT1_, .Lfunc_end166-_ZN2at6native32elementwise_kernel_manual_unrollILi128ELi4EZNS0_15gpu_kernel_implINS0_13BinaryFunctorIN3c107complexINS4_8BFloat16EEES7_bNS0_12_GLOBAL__N_116CompareEqFunctorIS7_EEEEEEvRNS_18TensorIteratorBaseERKT_EUlibE_EEviT1_
                                        ; -- End function
	.set _ZN2at6native32elementwise_kernel_manual_unrollILi128ELi4EZNS0_15gpu_kernel_implINS0_13BinaryFunctorIN3c107complexINS4_8BFloat16EEES7_bNS0_12_GLOBAL__N_116CompareEqFunctorIS7_EEEEEEvRNS_18TensorIteratorBaseERKT_EUlibE_EEviT1_.num_vgpr, 14
	.set _ZN2at6native32elementwise_kernel_manual_unrollILi128ELi4EZNS0_15gpu_kernel_implINS0_13BinaryFunctorIN3c107complexINS4_8BFloat16EEES7_bNS0_12_GLOBAL__N_116CompareEqFunctorIS7_EEEEEEvRNS_18TensorIteratorBaseERKT_EUlibE_EEviT1_.num_agpr, 0
	.set _ZN2at6native32elementwise_kernel_manual_unrollILi128ELi4EZNS0_15gpu_kernel_implINS0_13BinaryFunctorIN3c107complexINS4_8BFloat16EEES7_bNS0_12_GLOBAL__N_116CompareEqFunctorIS7_EEEEEEvRNS_18TensorIteratorBaseERKT_EUlibE_EEviT1_.numbered_sgpr, 59
	.set _ZN2at6native32elementwise_kernel_manual_unrollILi128ELi4EZNS0_15gpu_kernel_implINS0_13BinaryFunctorIN3c107complexINS4_8BFloat16EEES7_bNS0_12_GLOBAL__N_116CompareEqFunctorIS7_EEEEEEvRNS_18TensorIteratorBaseERKT_EUlibE_EEviT1_.num_named_barrier, 0
	.set _ZN2at6native32elementwise_kernel_manual_unrollILi128ELi4EZNS0_15gpu_kernel_implINS0_13BinaryFunctorIN3c107complexINS4_8BFloat16EEES7_bNS0_12_GLOBAL__N_116CompareEqFunctorIS7_EEEEEEvRNS_18TensorIteratorBaseERKT_EUlibE_EEviT1_.private_seg_size, 0
	.set _ZN2at6native32elementwise_kernel_manual_unrollILi128ELi4EZNS0_15gpu_kernel_implINS0_13BinaryFunctorIN3c107complexINS4_8BFloat16EEES7_bNS0_12_GLOBAL__N_116CompareEqFunctorIS7_EEEEEEvRNS_18TensorIteratorBaseERKT_EUlibE_EEviT1_.uses_vcc, 1
	.set _ZN2at6native32elementwise_kernel_manual_unrollILi128ELi4EZNS0_15gpu_kernel_implINS0_13BinaryFunctorIN3c107complexINS4_8BFloat16EEES7_bNS0_12_GLOBAL__N_116CompareEqFunctorIS7_EEEEEEvRNS_18TensorIteratorBaseERKT_EUlibE_EEviT1_.uses_flat_scratch, 0
	.set _ZN2at6native32elementwise_kernel_manual_unrollILi128ELi4EZNS0_15gpu_kernel_implINS0_13BinaryFunctorIN3c107complexINS4_8BFloat16EEES7_bNS0_12_GLOBAL__N_116CompareEqFunctorIS7_EEEEEEvRNS_18TensorIteratorBaseERKT_EUlibE_EEviT1_.has_dyn_sized_stack, 0
	.set _ZN2at6native32elementwise_kernel_manual_unrollILi128ELi4EZNS0_15gpu_kernel_implINS0_13BinaryFunctorIN3c107complexINS4_8BFloat16EEES7_bNS0_12_GLOBAL__N_116CompareEqFunctorIS7_EEEEEEvRNS_18TensorIteratorBaseERKT_EUlibE_EEviT1_.has_recursion, 0
	.set _ZN2at6native32elementwise_kernel_manual_unrollILi128ELi4EZNS0_15gpu_kernel_implINS0_13BinaryFunctorIN3c107complexINS4_8BFloat16EEES7_bNS0_12_GLOBAL__N_116CompareEqFunctorIS7_EEEEEEvRNS_18TensorIteratorBaseERKT_EUlibE_EEviT1_.has_indirect_call, 0
	.section	.AMDGPU.csdata,"",@progbits
; Kernel info:
; codeLenInByte = 60352
; TotalNumSgprs: 63
; NumVgprs: 14
; ScratchSize: 0
; MemoryBound: 0
; FloatMode: 240
; IeeeMode: 1
; LDSByteSize: 0 bytes/workgroup (compile time only)
; SGPRBlocks: 7
; VGPRBlocks: 3
; NumSGPRsForWavesPerEU: 63
; NumVGPRsForWavesPerEU: 14
; Occupancy: 10
; WaveLimiterHint : 0
; COMPUTE_PGM_RSRC2:SCRATCH_EN: 0
; COMPUTE_PGM_RSRC2:USER_SGPR: 6
; COMPUTE_PGM_RSRC2:TRAP_HANDLER: 0
; COMPUTE_PGM_RSRC2:TGID_X_EN: 1
; COMPUTE_PGM_RSRC2:TGID_Y_EN: 0
; COMPUTE_PGM_RSRC2:TGID_Z_EN: 0
; COMPUTE_PGM_RSRC2:TIDIG_COMP_CNT: 0
	.section	.text._ZN2at6native32elementwise_kernel_manual_unrollILi128ELi4EZNS0_15gpu_kernel_implINS0_13BinaryFunctorIN3c107complexINS4_8BFloat16EEES7_bNS0_12_GLOBAL__N_116CompareEqFunctorIS7_EEEEEEvRNS_18TensorIteratorBaseERKT_EUlibE0_EEviT1_,"axG",@progbits,_ZN2at6native32elementwise_kernel_manual_unrollILi128ELi4EZNS0_15gpu_kernel_implINS0_13BinaryFunctorIN3c107complexINS4_8BFloat16EEES7_bNS0_12_GLOBAL__N_116CompareEqFunctorIS7_EEEEEEvRNS_18TensorIteratorBaseERKT_EUlibE0_EEviT1_,comdat
	.globl	_ZN2at6native32elementwise_kernel_manual_unrollILi128ELi4EZNS0_15gpu_kernel_implINS0_13BinaryFunctorIN3c107complexINS4_8BFloat16EEES7_bNS0_12_GLOBAL__N_116CompareEqFunctorIS7_EEEEEEvRNS_18TensorIteratorBaseERKT_EUlibE0_EEviT1_ ; -- Begin function _ZN2at6native32elementwise_kernel_manual_unrollILi128ELi4EZNS0_15gpu_kernel_implINS0_13BinaryFunctorIN3c107complexINS4_8BFloat16EEES7_bNS0_12_GLOBAL__N_116CompareEqFunctorIS7_EEEEEEvRNS_18TensorIteratorBaseERKT_EUlibE0_EEviT1_
	.p2align	8
	.type	_ZN2at6native32elementwise_kernel_manual_unrollILi128ELi4EZNS0_15gpu_kernel_implINS0_13BinaryFunctorIN3c107complexINS4_8BFloat16EEES7_bNS0_12_GLOBAL__N_116CompareEqFunctorIS7_EEEEEEvRNS_18TensorIteratorBaseERKT_EUlibE0_EEviT1_,@function
_ZN2at6native32elementwise_kernel_manual_unrollILi128ELi4EZNS0_15gpu_kernel_implINS0_13BinaryFunctorIN3c107complexINS4_8BFloat16EEES7_bNS0_12_GLOBAL__N_116CompareEqFunctorIS7_EEEEEEvRNS_18TensorIteratorBaseERKT_EUlibE0_EEviT1_: ; @_ZN2at6native32elementwise_kernel_manual_unrollILi128ELi4EZNS0_15gpu_kernel_implINS0_13BinaryFunctorIN3c107complexINS4_8BFloat16EEES7_bNS0_12_GLOBAL__N_116CompareEqFunctorIS7_EEEEEEvRNS_18TensorIteratorBaseERKT_EUlibE0_EEviT1_
; %bb.0:
	s_load_dword s70, s[4:5], 0x0
	s_load_dword s33, s[4:5], 0x8
	s_add_u32 s2, s4, 8
	s_addc_u32 s3, s5, 0
	v_lshl_or_b32 v8, s6, 9, v0
	v_or_b32_e32 v23, 0x180, v8
	s_waitcnt lgkmcnt(0)
	s_add_i32 s72, s33, -1
	s_cmp_gt_u32 s72, 1
	v_cmp_le_i32_e32 vcc, s70, v23
	s_cselect_b64 s[24:25], -1, 0
	s_mov_b64 s[6:7], 0
	s_mov_b64 s[12:13], 0
	s_and_saveexec_b64 s[0:1], vcc
	s_xor_b64 s[26:27], exec, s[0:1]
	s_cbranch_execz .LBB167_1646
; %bb.1:
	s_cmp_lg_u32 s33, 0
	s_load_dwordx4 s[16:19], s[2:3], 0x4
	s_load_dwordx2 s[34:35], s[2:3], 0x14
	s_load_dwordx8 s[8:15], s[2:3], 0x188
	s_load_dwordx4 s[20:23], s[2:3], 0xc4
	s_load_dwordx2 s[30:31], s[2:3], 0xd4
	s_cselect_b64 s[38:39], -1, 0
	s_min_u32 s75, s72, 15
	s_cmp_gt_u32 s33, 1
	s_cselect_b64 s[36:37], -1, 0
	s_waitcnt lgkmcnt(0)
	s_lshr_b32 s74, s15, 8
	s_lshr_b32 s73, s15, 16
	s_cmp_lg_u32 s14, 0
	s_cselect_b64 s[28:29], -1, 0
	v_cmp_gt_i32_e32 vcc, s70, v8
	s_mov_b64 s[0:1], -1
	s_mov_b64 s[50:51], 0
	s_mov_b64 s[44:45], 0
	;; [unrolled: 1-line block ×4, first 2 shown]
	s_and_saveexec_b64 s[46:47], vcc
	s_cbranch_execz .LBB167_407
; %bb.2:
	s_andn2_b64 vcc, exec, s[24:25]
	s_cbranch_vccnz .LBB167_8
; %bb.3:
	s_andn2_b64 vcc, exec, s[38:39]
	s_cbranch_vccnz .LBB167_9
; %bb.4:
	s_add_i32 s0, s75, 1
	s_and_b32 s14, s0, 30
	s_add_u32 s0, s2, 0xffffffe8
	s_addc_u32 s1, s3, -1
	v_mov_b32_e32 v2, 0
	v_mov_b32_e32 v4, 0
	;; [unrolled: 1-line block ×4, first 2 shown]
.LBB167_5:                              ; =>This Inner Loop Header: Depth=1
	s_load_dwordx4 s[40:43], s[0:1], 0x1c
	s_load_dwordx2 s[44:45], s[0:1], 0x2c
	s_load_dwordx2 s[48:49], s[0:1], 0xec
	s_load_dwordx4 s[52:55], s[0:1], 0xdc
	s_add_u32 s0, s0, 24
	s_waitcnt lgkmcnt(0)
	v_mul_hi_u32 v3, s41, v1
	s_addc_u32 s1, s1, 0
	s_add_i32 s14, s14, -2
	s_cmp_lg_u32 s14, 0
	v_add_u32_e32 v3, v1, v3
	v_lshrrev_b32_e32 v3, s42, v3
	v_mul_lo_u32 v5, v3, s40
	v_mul_hi_u32 v6, s44, v3
	v_sub_u32_e32 v5, v1, v5
	v_add_u32_e32 v1, v3, v6
	v_lshrrev_b32_e32 v1, s45, v1
	v_mul_lo_u32 v9, v1, s43
	v_mul_lo_u32 v6, v5, s52
	;; [unrolled: 1-line block ×4, first 2 shown]
	v_sub_u32_e32 v3, v3, v9
	v_mul_lo_u32 v9, v3, s55
	v_mul_lo_u32 v10, v3, s48
	;; [unrolled: 1-line block ×3, first 2 shown]
	v_add3_u32 v0, v6, v0, v9
	v_add3_u32 v4, v7, v4, v10
	;; [unrolled: 1-line block ×3, first 2 shown]
	s_cbranch_scc1 .LBB167_5
; %bb.6:
	s_bitcmp1_b32 s75, 0
	s_cselect_b64 s[40:41], -1, 0
	s_and_b64 vcc, exec, s[40:41]
	s_cbranch_vccnz .LBB167_10
; %bb.7:
	s_load_dwordx2 s[40:41], s[0:1], 0x1c
	s_load_dword s14, s[0:1], 0x24
	s_load_dwordx2 s[42:43], s[0:1], 0xdc
	s_waitcnt lgkmcnt(0)
	v_mul_hi_u32 v3, s41, v1
	v_add_u32_e32 v3, v1, v3
	v_lshrrev_b32_e32 v3, s14, v3
	v_mul_lo_u32 v3, v3, s40
	s_load_dword s14, s[0:1], 0xe4
	v_sub_u32_e32 v3, v1, v3
	v_mad_u64_u32 v[0:1], s[0:1], v3, s42, v[0:1]
	v_mad_u64_u32 v[4:5], s[0:1], v3, s43, v[4:5]
	s_waitcnt lgkmcnt(0)
	v_mad_u64_u32 v[2:3], s[0:1], v3, s14, v[2:3]
	s_cbranch_execz .LBB167_11
	s_branch .LBB167_13
.LBB167_8:
                                        ; implicit-def: $vgpr0
                                        ; implicit-def: $vgpr4
                                        ; implicit-def: $vgpr2
	s_andn2_b64 vcc, exec, s[0:1]
	s_cbranch_vccz .LBB167_11
	s_branch .LBB167_13
.LBB167_9:
	v_mov_b32_e32 v0, 0
	v_mov_b32_e32 v4, 0
	v_mov_b32_e32 v2, 0
.LBB167_10:
	s_cbranch_execnz .LBB167_13
.LBB167_11:
	v_mul_hi_u32 v0, s17, v8
	s_andn2_b64 vcc, exec, s[36:37]
	v_add_u32_e32 v0, v8, v0
	v_lshrrev_b32_e32 v1, s18, v0
	v_mul_lo_u32 v0, v1, s16
	v_sub_u32_e32 v2, v8, v0
	v_mul_lo_u32 v0, v2, s20
	v_mul_lo_u32 v4, v2, s21
	;; [unrolled: 1-line block ×3, first 2 shown]
	s_cbranch_vccnz .LBB167_13
; %bb.12:
	v_mul_hi_u32 v3, s34, v1
	v_add_u32_e32 v3, v1, v3
	v_lshrrev_b32_e32 v3, s35, v3
	v_mul_lo_u32 v3, v3, s19
	v_sub_u32_e32 v3, v1, v3
	v_mad_u64_u32 v[0:1], s[0:1], v3, s23, v[0:1]
	v_mad_u64_u32 v[4:5], s[0:1], v3, s30, v[4:5]
	;; [unrolled: 1-line block ×3, first 2 shown]
.LBB167_13:
	v_mov_b32_e32 v1, s11
	s_and_b32 s14, s74, 0xff
	v_add_co_u32_e32 v3, vcc, s10, v4
	s_cmp_lt_i32 s14, 11
	v_addc_co_u32_e32 v4, vcc, 0, v1, vcc
	s_cbranch_scc1 .LBB167_20
; %bb.14:
	s_and_b32 s48, 0xffff, s14
	s_cmp_gt_i32 s48, 25
	s_cbranch_scc0 .LBB167_29
; %bb.15:
	s_cmp_gt_i32 s48, 28
	s_cbranch_scc0 .LBB167_42
; %bb.16:
	;; [unrolled: 3-line block ×4, first 2 shown]
	s_cmp_eq_u32 s48, 46
	s_mov_b64 s[40:41], 0
	s_cbranch_scc0 .LBB167_52
; %bb.19:
	global_load_dword v5, v[3:4], off
	s_mov_b64 s[0:1], -1
	s_mov_b64 s[44:45], 0
	s_waitcnt vmcnt(0)
	v_and_b32_e32 v6, 0xffff0000, v5
	s_branch .LBB167_54
.LBB167_20:
	s_mov_b64 s[44:45], 0
                                        ; implicit-def: $vgpr6
                                        ; implicit-def: $vgpr5
	s_mov_b64 s[0:1], 0
	s_cbranch_execnz .LBB167_122
.LBB167_21:
	s_andn2_b64 vcc, exec, s[0:1]
	s_cbranch_vccnz .LBB167_171
.LBB167_22:
	v_mov_b32_e32 v3, s13
	s_and_b32 s14, s73, 0xff
	v_add_co_u32_e32 v1, vcc, s12, v2
	s_cmp_lt_i32 s14, 11
	v_addc_co_u32_e32 v2, vcc, 0, v3, vcc
	s_cbranch_scc1 .LBB167_30
; %bb.23:
	s_and_b32 s52, 0xffff, s14
	s_cmp_gt_i32 s52, 25
	s_cbranch_scc0 .LBB167_43
; %bb.24:
	s_cmp_gt_i32 s52, 28
	s_cbranch_scc0 .LBB167_47
; %bb.25:
	;; [unrolled: 3-line block ×4, first 2 shown]
	s_cmp_eq_u32 s52, 46
	s_mov_b64 s[40:41], 0
	s_cbranch_scc0 .LBB167_172
; %bb.28:
	global_load_dword v3, v[1:2], off
	s_mov_b64 s[0:1], -1
	s_mov_b64 s[42:43], 0
	s_waitcnt vmcnt(0)
	v_and_b32_e32 v4, 0xffff0000, v3
	s_branch .LBB167_174
.LBB167_29:
	s_mov_b64 s[44:45], 0
	s_mov_b64 s[0:1], 0
                                        ; implicit-def: $vgpr6
                                        ; implicit-def: $vgpr5
	s_cbranch_execnz .LBB167_87
	s_branch .LBB167_121
.LBB167_30:
	s_mov_b64 s[42:43], 0
                                        ; implicit-def: $vgpr4
                                        ; implicit-def: $vgpr3
	s_mov_b64 s[0:1], 0
	s_cbranch_execnz .LBB167_354
.LBB167_31:
	s_andn2_b64 vcc, exec, s[0:1]
	s_cbranch_vccnz .LBB167_404
.LBB167_32:
	s_waitcnt vmcnt(0)
	v_or_b32_sdwa v1, v6, v5 dst_sel:DWORD dst_unused:UNUSED_PAD src0_sel:DWORD src1_sel:WORD_0
	v_or_b32_sdwa v2, v4, v3 dst_sel:DWORD dst_unused:UNUSED_PAD src0_sel:DWORD src1_sel:WORD_0
	s_and_b64 vcc, exec, s[28:29]
	v_lshlrev_b32_e32 v1, 16, v1
	v_lshlrev_b32_e32 v2, 16, v2
	s_cbranch_vccz .LBB167_45
; %bb.33:
	v_and_b32_e32 v3, 0xffff0000, v6
	v_and_b32_e32 v5, 0xffff0000, v4
	v_cmp_neq_f32_e32 vcc, v1, v2
	v_cmp_neq_f32_e64 s[0:1], v3, v5
	s_or_b64 s[40:41], vcc, s[0:1]
	s_cbranch_execnz .LBB167_35
.LBB167_34:
	v_and_b32_e32 v3, 0xffff0000, v4
	v_and_b32_e32 v4, 0xffff0000, v6
	v_cmp_eq_f32_e32 vcc, v1, v2
	v_cmp_eq_f32_e64 s[0:1], v4, v3
	s_and_b64 s[0:1], vcc, s[0:1]
	s_andn2_b64 s[40:41], s[40:41], exec
	s_and_b64 s[0:1], s[0:1], exec
	s_or_b64 s[40:41], s[40:41], s[0:1]
.LBB167_35:
	v_mov_b32_e32 v1, s9
	s_and_b32 s14, s15, 0xff
	v_add_co_u32_e32 v0, vcc, s8, v0
	s_cmp_lt_i32 s14, 11
	v_addc_co_u32_e32 v1, vcc, 0, v1, vcc
	s_cbranch_scc1 .LBB167_44
; %bb.36:
	s_and_b32 s56, 0xffff, s14
	s_cmp_gt_i32 s56, 25
	s_cbranch_scc0 .LBB167_48
; %bb.37:
	s_cmp_gt_i32 s56, 28
	s_cbranch_scc0 .LBB167_51
; %bb.38:
	;; [unrolled: 3-line block ×4, first 2 shown]
	s_mov_b64 s[52:53], 0
	s_mov_b64 s[0:1], -1
	s_cmp_eq_u32 s56, 46
	s_mov_b64 s[48:49], 0
	s_cbranch_scc0 .LBB167_178
; %bb.41:
	v_cndmask_b32_e64 v2, 0, 1.0, s[40:41]
	v_bfe_u32 v3, v2, 16, 1
	s_movk_i32 s0, 0x7fff
	v_add3_u32 v2, v2, v3, s0
	v_lshrrev_b32_e32 v2, 16, v2
	global_store_dword v[0:1], v2, off
	s_mov_b64 s[48:49], -1
	s_mov_b64 s[0:1], 0
	s_branch .LBB167_178
.LBB167_42:
	s_mov_b64 s[40:41], -1
	s_mov_b64 s[44:45], 0
	s_mov_b64 s[0:1], 0
                                        ; implicit-def: $vgpr6
                                        ; implicit-def: $vgpr5
	s_branch .LBB167_68
.LBB167_43:
	s_mov_b64 s[40:41], -1
	s_mov_b64 s[42:43], 0
	s_mov_b64 s[0:1], 0
                                        ; implicit-def: $vgpr4
                                        ; implicit-def: $vgpr3
	s_branch .LBB167_317
.LBB167_44:
	s_mov_b64 s[52:53], -1
	s_mov_b64 s[0:1], 0
	s_mov_b64 s[48:49], 0
	s_branch .LBB167_247
.LBB167_45:
                                        ; implicit-def: $sgpr40_sgpr41
	s_branch .LBB167_34
.LBB167_46:
	s_mov_b64 s[40:41], -1
	s_mov_b64 s[44:45], 0
	s_mov_b64 s[0:1], 0
                                        ; implicit-def: $vgpr6
                                        ; implicit-def: $vgpr5
	s_branch .LBB167_62
.LBB167_47:
	s_mov_b64 s[40:41], -1
	s_mov_b64 s[42:43], 0
	s_mov_b64 s[0:1], 0
                                        ; implicit-def: $vgpr4
                                        ; implicit-def: $vgpr3
	s_branch .LBB167_298
.LBB167_48:
	s_mov_b64 s[52:53], -1
	s_mov_b64 s[0:1], 0
	s_mov_b64 s[48:49], 0
	s_branch .LBB167_205
.LBB167_49:
	s_mov_b64 s[40:41], -1
	s_mov_b64 s[44:45], 0
	s_branch .LBB167_53
.LBB167_50:
	s_mov_b64 s[40:41], -1
	s_mov_b64 s[42:43], 0
	s_mov_b64 s[0:1], 0
                                        ; implicit-def: $vgpr4
                                        ; implicit-def: $vgpr3
	s_branch .LBB167_292
.LBB167_51:
	s_mov_b64 s[52:53], -1
	s_mov_b64 s[0:1], 0
	s_mov_b64 s[48:49], 0
	s_branch .LBB167_188
.LBB167_52:
	s_mov_b64 s[44:45], -1
.LBB167_53:
	s_mov_b64 s[0:1], 0
                                        ; implicit-def: $vgpr6
                                        ; implicit-def: $vgpr5
.LBB167_54:
	s_and_b64 vcc, exec, s[40:41]
	s_cbranch_vccz .LBB167_61
; %bb.55:
	s_cmp_eq_u32 s48, 44
	s_cbranch_scc0 .LBB167_59
; %bb.56:
	global_load_ubyte v1, v[3:4], off
	s_movk_i32 s40, 0xff
	v_mov_b32_e32 v5, 0x7f800001
	v_mov_b32_e32 v6, 0x400000
	;; [unrolled: 1-line block ×3, first 2 shown]
	s_mov_b64 s[0:1], -1
	s_mov_b64 s[44:45], 0
	s_waitcnt vmcnt(0)
	v_lshlrev_b32_e32 v9, 23, v1
	v_cmp_ne_u32_e32 vcc, s40, v1
	v_cndmask_b32_e32 v5, v5, v9, vcc
	v_cmp_ne_u32_e32 vcc, 0, v1
	v_cndmask_b32_e32 v1, v6, v5, vcc
	v_add_u32_e32 v5, 0x7fff, v1
	v_cmp_o_f32_e32 vcc, v1, v1
	v_cndmask_b32_sdwa v5, v7, v5, vcc dst_sel:DWORD dst_unused:UNUSED_PAD src0_sel:DWORD src1_sel:WORD_1
	s_branch .LBB167_60
.LBB167_57:
	s_mov_b64 s[40:41], -1
	s_mov_b64 s[42:43], 0
	s_branch .LBB167_173
.LBB167_58:
	s_mov_b64 s[52:53], -1
	s_mov_b64 s[0:1], 0
	s_mov_b64 s[48:49], 0
	s_branch .LBB167_184
.LBB167_59:
	s_mov_b64 s[44:45], -1
                                        ; implicit-def: $vgpr5
.LBB167_60:
	v_mov_b32_e32 v6, 0
.LBB167_61:
	s_mov_b64 s[40:41], 0
.LBB167_62:
	s_and_b64 vcc, exec, s[40:41]
	s_cbranch_vccz .LBB167_67
; %bb.63:
	s_cmp_eq_u32 s48, 29
	s_cbranch_scc0 .LBB167_65
; %bb.64:
	global_load_dwordx2 v[5:6], v[3:4], off
	s_movk_i32 s40, 0x7fff
	s_mov_b64 s[0:1], -1
	s_mov_b64 s[44:45], 0
	s_waitcnt vmcnt(0)
	v_ffbh_u32_e32 v1, v6
	v_min_u32_e32 v1, 32, v1
	v_lshlrev_b64 v[5:6], v1, v[5:6]
	v_sub_u32_e32 v1, 32, v1
	v_min_u32_e32 v5, 1, v5
	v_or_b32_e32 v5, v6, v5
	v_cvt_f32_u32_e32 v5, v5
	v_ldexp_f32 v1, v5, v1
	v_bfe_u32 v5, v1, 16, 1
	v_add3_u32 v1, v1, v5, s40
	v_lshrrev_b32_e32 v5, 16, v1
	s_branch .LBB167_66
.LBB167_65:
	s_mov_b64 s[44:45], -1
                                        ; implicit-def: $vgpr5
.LBB167_66:
	v_mov_b32_e32 v6, 0
.LBB167_67:
	s_mov_b64 s[40:41], 0
.LBB167_68:
	s_and_b64 vcc, exec, s[40:41]
	s_cbranch_vccz .LBB167_86
; %bb.69:
	s_cmp_lt_i32 s48, 27
	s_cbranch_scc1 .LBB167_72
; %bb.70:
	s_cmp_gt_i32 s48, 27
	s_cbranch_scc0 .LBB167_73
; %bb.71:
	global_load_dword v1, v[3:4], off
	s_movk_i32 s0, 0x7fff
	s_waitcnt vmcnt(0)
	v_cvt_f32_u32_e32 v1, v1
	v_bfe_u32 v5, v1, 16, 1
	v_add3_u32 v1, v1, v5, s0
	v_lshrrev_b32_e32 v5, 16, v1
	s_mov_b64 s[0:1], 0
	s_branch .LBB167_74
.LBB167_72:
	s_mov_b64 s[0:1], -1
                                        ; implicit-def: $vgpr5
	s_branch .LBB167_77
.LBB167_73:
	s_mov_b64 s[0:1], -1
                                        ; implicit-def: $vgpr5
.LBB167_74:
	s_andn2_b64 vcc, exec, s[0:1]
	s_cbranch_vccnz .LBB167_76
; %bb.75:
	global_load_ushort v1, v[3:4], off
	s_movk_i32 s0, 0x7fff
	s_waitcnt vmcnt(0)
	v_cvt_f32_u32_e32 v1, v1
	v_bfe_u32 v5, v1, 16, 1
	v_add3_u32 v1, v1, v5, s0
	v_lshrrev_b32_e32 v5, 16, v1
.LBB167_76:
	s_mov_b64 s[0:1], 0
.LBB167_77:
	s_andn2_b64 vcc, exec, s[0:1]
	s_cbranch_vccnz .LBB167_85
; %bb.78:
	global_load_ubyte v1, v[3:4], off
	s_movk_i32 s0, 0x7f
	s_waitcnt vmcnt(0)
	v_cmp_lt_i16_e32 vcc, s0, v1
	s_mov_b64 s[0:1], 0
	s_and_saveexec_b64 s[40:41], vcc
	s_xor_b64 s[40:41], exec, s[40:41]
	s_cbranch_execz .LBB167_98
; %bb.79:
	s_movk_i32 s0, 0x80
	v_cmp_eq_u16_e32 vcc, s0, v1
	s_mov_b64 s[0:1], -1
	s_and_saveexec_b64 s[42:43], vcc
; %bb.80:
	s_xor_b64 s[0:1], exec, -1
; %bb.81:
	s_or_b64 exec, exec, s[42:43]
	s_and_b64 s[0:1], s[0:1], exec
	s_or_saveexec_b64 s[40:41], s[40:41]
	v_mov_b32_e32 v5, 0x7f800001
	s_xor_b64 exec, exec, s[40:41]
	s_cbranch_execnz .LBB167_99
.LBB167_82:
	s_or_b64 exec, exec, s[40:41]
	s_and_saveexec_b64 s[40:41], s[0:1]
	s_cbranch_execz .LBB167_84
.LBB167_83:
	v_lshlrev_b32_e32 v5, 24, v1
	v_and_b32_e32 v1, 0xffff, v1
	v_and_b32_e32 v6, 7, v1
	v_ffbh_u32_e32 v9, v6
	v_min_u32_e32 v9, 32, v9
	v_subrev_u32_e32 v10, 28, v9
	v_bfe_u32 v7, v1, 3, 4
	v_lshlrev_b32_e32 v1, v10, v1
	v_sub_u32_e32 v9, 29, v9
	v_and_b32_e32 v1, 7, v1
	v_cmp_eq_u32_e32 vcc, 0, v7
	v_cndmask_b32_e32 v7, v7, v9, vcc
	v_cndmask_b32_e32 v1, v6, v1, vcc
	v_mov_b32_e32 v6, 0x3b800000
	v_lshlrev_b32_e32 v1, 20, v1
	v_and_b32_e32 v5, 0x80000000, v5
	v_lshl_add_u32 v6, v7, 23, v6
	v_or3_b32 v5, v5, v6, v1
.LBB167_84:
	s_or_b64 exec, exec, s[40:41]
	v_bfe_u32 v1, v5, 16, 1
	s_movk_i32 s0, 0x7fff
	v_add3_u32 v1, v5, v1, s0
	v_cmp_o_f32_e32 vcc, v5, v5
	v_mov_b32_e32 v5, 0x7fc0
	v_cndmask_b32_sdwa v5, v5, v1, vcc dst_sel:DWORD dst_unused:UNUSED_PAD src0_sel:DWORD src1_sel:WORD_1
.LBB167_85:
	s_mov_b64 s[0:1], -1
	v_mov_b32_e32 v6, 0
.LBB167_86:
	s_branch .LBB167_121
.LBB167_87:
	s_cmp_gt_i32 s48, 22
	s_cbranch_scc0 .LBB167_97
; %bb.88:
	s_cmp_lt_i32 s48, 24
	s_cbranch_scc1 .LBB167_100
; %bb.89:
	s_cmp_gt_i32 s48, 24
	s_cbranch_scc0 .LBB167_101
; %bb.90:
	global_load_ubyte v1, v[3:4], off
	s_movk_i32 s0, 0x7f
	s_waitcnt vmcnt(0)
	v_cmp_lt_i16_e32 vcc, s0, v1
	s_mov_b64 s[0:1], 0
	s_and_saveexec_b64 s[40:41], vcc
	s_xor_b64 s[40:41], exec, s[40:41]
	s_cbranch_execz .LBB167_112
; %bb.91:
	s_movk_i32 s0, 0x80
	v_cmp_eq_u16_e32 vcc, s0, v1
	s_mov_b64 s[0:1], -1
	s_and_saveexec_b64 s[42:43], vcc
; %bb.92:
	s_xor_b64 s[0:1], exec, -1
; %bb.93:
	s_or_b64 exec, exec, s[42:43]
	s_and_b64 s[0:1], s[0:1], exec
	s_or_saveexec_b64 s[40:41], s[40:41]
	v_mov_b32_e32 v5, 0x7f800001
	s_xor_b64 exec, exec, s[40:41]
	s_cbranch_execnz .LBB167_113
.LBB167_94:
	s_or_b64 exec, exec, s[40:41]
	s_and_saveexec_b64 s[40:41], s[0:1]
	s_cbranch_execz .LBB167_96
.LBB167_95:
	v_lshlrev_b32_e32 v5, 24, v1
	v_and_b32_e32 v1, 0xffff, v1
	v_and_b32_e32 v6, 3, v1
	v_ffbh_u32_e32 v9, v6
	v_min_u32_e32 v9, 32, v9
	v_subrev_u32_e32 v10, 29, v9
	v_bfe_u32 v7, v1, 2, 5
	v_lshlrev_b32_e32 v1, v10, v1
	v_sub_u32_e32 v9, 30, v9
	v_and_b32_e32 v1, 3, v1
	v_cmp_eq_u32_e32 vcc, 0, v7
	v_cndmask_b32_e32 v7, v7, v9, vcc
	v_cndmask_b32_e32 v1, v6, v1, vcc
	v_mov_b32_e32 v6, 0x37800000
	v_lshlrev_b32_e32 v1, 21, v1
	v_and_b32_e32 v5, 0x80000000, v5
	v_lshl_add_u32 v6, v7, 23, v6
	v_or3_b32 v5, v5, v6, v1
.LBB167_96:
	s_or_b64 exec, exec, s[40:41]
	v_bfe_u32 v1, v5, 16, 1
	s_movk_i32 s0, 0x7fff
	v_add3_u32 v1, v5, v1, s0
	v_cmp_o_f32_e32 vcc, v5, v5
	v_mov_b32_e32 v5, 0x7fc0
	v_cndmask_b32_sdwa v5, v5, v1, vcc dst_sel:DWORD dst_unused:UNUSED_PAD src0_sel:DWORD src1_sel:WORD_1
	s_mov_b64 s[0:1], 0
	s_branch .LBB167_102
.LBB167_97:
                                        ; implicit-def: $vgpr5
	s_branch .LBB167_108
.LBB167_98:
	s_or_saveexec_b64 s[40:41], s[40:41]
	v_mov_b32_e32 v5, 0x7f800001
	s_xor_b64 exec, exec, s[40:41]
	s_cbranch_execz .LBB167_82
.LBB167_99:
	v_cmp_ne_u16_e32 vcc, 0, v1
	s_andn2_b64 s[0:1], s[0:1], exec
	s_and_b64 s[42:43], vcc, exec
	v_mov_b32_e32 v5, 0
	s_or_b64 s[0:1], s[0:1], s[42:43]
	s_or_b64 exec, exec, s[40:41]
	s_and_saveexec_b64 s[40:41], s[0:1]
	s_cbranch_execnz .LBB167_83
	s_branch .LBB167_84
.LBB167_100:
	s_mov_b64 s[0:1], -1
                                        ; implicit-def: $vgpr5
	s_branch .LBB167_105
.LBB167_101:
	s_mov_b64 s[0:1], -1
                                        ; implicit-def: $vgpr5
.LBB167_102:
	s_and_b64 vcc, exec, s[0:1]
	s_cbranch_vccz .LBB167_104
; %bb.103:
	global_load_ubyte v1, v[3:4], off
	s_mov_b32 s0, 0x7f800000
	s_brev_b32 s1, 1
	s_movk_i32 s40, 0x7fff
	s_waitcnt vmcnt(0)
	v_lshlrev_b32_e32 v1, 24, v1
	v_and_b32_e32 v5, 0x7f000000, v1
	v_ffbh_u32_e32 v6, v5
	v_min_u32_e32 v6, 32, v6
	v_sub_u32_e64 v6, v6, 4 clamp
	v_lshlrev_b32_e32 v9, v6, v5
	v_lshlrev_b32_e32 v6, 23, v6
	v_lshrrev_b32_e32 v9, 4, v9
	v_add_u32_e32 v7, 0x1000000, v5
	v_sub_u32_e32 v6, v9, v6
	v_ashrrev_i32_e32 v7, 8, v7
	v_add_u32_e32 v6, 0x3c000000, v6
	v_and_or_b32 v6, v7, s0, v6
	v_cmp_ne_u32_e32 vcc, 0, v5
	v_cndmask_b32_e32 v5, 0, v6, vcc
	v_and_or_b32 v1, v1, s1, v5
	v_bfe_u32 v5, v5, 16, 1
	v_add3_u32 v5, v1, v5, s40
	v_cmp_o_f32_e32 vcc, v1, v1
	v_mov_b32_e32 v1, 0x7fc0
	v_cndmask_b32_sdwa v5, v1, v5, vcc dst_sel:DWORD dst_unused:UNUSED_PAD src0_sel:DWORD src1_sel:WORD_1
.LBB167_104:
	s_mov_b64 s[0:1], 0
.LBB167_105:
	s_andn2_b64 vcc, exec, s[0:1]
	s_cbranch_vccnz .LBB167_107
; %bb.106:
	global_load_ubyte v1, v[3:4], off
	s_movk_i32 s0, 0x7f00
	s_brev_b32 s1, 16
	s_brev_b32 s40, 1
	s_movk_i32 s41, 0x7fff
	s_waitcnt vmcnt(0)
	v_lshlrev_b16_e32 v5, 8, v1
	v_lshlrev_b32_e32 v1, 25, v1
	v_lshrrev_b32_e32 v6, 4, v1
	v_and_or_b32 v7, v5, s0, 0.5
	v_or_b32_e32 v6, 0x70000000, v6
	v_add_f32_e32 v7, -0.5, v7
	v_mul_f32_e32 v6, 0x7800000, v6
	v_cmp_gt_u32_e32 vcc, s1, v1
	v_bfe_i32 v5, v5, 0, 16
	v_cndmask_b32_e32 v1, v6, v7, vcc
	v_and_or_b32 v5, v5, s40, v1
	v_bfe_u32 v1, v1, 16, 1
	v_add3_u32 v1, v5, v1, s41
	v_cmp_o_f32_e32 vcc, v5, v5
	v_mov_b32_e32 v5, 0x7fc0
	v_cndmask_b32_sdwa v5, v5, v1, vcc dst_sel:DWORD dst_unused:UNUSED_PAD src0_sel:DWORD src1_sel:WORD_1
.LBB167_107:
	s_mov_b64 s[0:1], -1
	s_cbranch_execnz .LBB167_120
.LBB167_108:
	s_cmp_gt_i32 s48, 14
	s_cbranch_scc0 .LBB167_111
; %bb.109:
	s_cmp_eq_u32 s48, 15
	s_cbranch_scc0 .LBB167_114
; %bb.110:
	global_load_ushort v5, v[3:4], off
	s_mov_b64 s[0:1], -1
	s_mov_b64 s[44:45], 0
	s_branch .LBB167_115
.LBB167_111:
	s_mov_b64 s[40:41], -1
                                        ; implicit-def: $vgpr5
	s_branch .LBB167_116
.LBB167_112:
	s_or_saveexec_b64 s[40:41], s[40:41]
	v_mov_b32_e32 v5, 0x7f800001
	s_xor_b64 exec, exec, s[40:41]
	s_cbranch_execz .LBB167_94
.LBB167_113:
	v_cmp_ne_u16_e32 vcc, 0, v1
	s_andn2_b64 s[0:1], s[0:1], exec
	s_and_b64 s[42:43], vcc, exec
	v_mov_b32_e32 v5, 0
	s_or_b64 s[0:1], s[0:1], s[42:43]
	s_or_b64 exec, exec, s[40:41]
	s_and_saveexec_b64 s[40:41], s[0:1]
	s_cbranch_execnz .LBB167_95
	s_branch .LBB167_96
.LBB167_114:
	s_mov_b64 s[44:45], -1
                                        ; implicit-def: $vgpr5
.LBB167_115:
	s_mov_b64 s[40:41], 0
.LBB167_116:
	s_and_b64 vcc, exec, s[40:41]
	s_cbranch_vccz .LBB167_120
; %bb.117:
	s_cmp_eq_u32 s48, 11
	s_cbranch_scc0 .LBB167_119
; %bb.118:
	global_load_ubyte v1, v[3:4], off
	s_mov_b64 s[0:1], -1
	s_mov_b64 s[44:45], 0
	v_mov_b32_e32 v6, 0
	s_waitcnt vmcnt(0)
	v_cmp_ne_u16_e32 vcc, 0, v1
	v_cndmask_b32_e64 v1, 0, 1.0, vcc
	v_lshrrev_b32_e32 v5, 16, v1
	s_branch .LBB167_121
.LBB167_119:
	s_mov_b64 s[44:45], -1
                                        ; implicit-def: $vgpr5
.LBB167_120:
	v_mov_b32_e32 v6, 0
.LBB167_121:
	s_branch .LBB167_21
.LBB167_122:
	s_and_b32 s14, 0xffff, s14
	s_cmp_lt_i32 s14, 5
	s_cbranch_scc1 .LBB167_127
; %bb.123:
	s_cmp_lt_i32 s14, 8
	s_cbranch_scc1 .LBB167_128
; %bb.124:
	;; [unrolled: 3-line block ×3, first 2 shown]
	s_cmp_gt_i32 s14, 9
	s_cbranch_scc0 .LBB167_130
; %bb.126:
	global_load_dwordx4 v[9:12], v[3:4], off
	s_movk_i32 s0, 0x7fff
	s_waitcnt vmcnt(1)
	v_mov_b32_e32 v5, 0x7fc0
	v_mov_b32_e32 v7, 0x7fc00000
	s_waitcnt vmcnt(0)
	v_cvt_f32_f64_e32 v1, v[9:10]
	v_cvt_f32_f64_e32 v6, v[11:12]
	v_bfe_u32 v9, v1, 16, 1
	v_bfe_u32 v10, v6, 16, 1
	v_cmp_o_f32_e32 vcc, v1, v1
	v_add3_u32 v1, v1, v9, s0
	v_add3_u32 v9, v6, v10, s0
	v_cndmask_b32_sdwa v5, v5, v1, vcc dst_sel:DWORD dst_unused:UNUSED_PAD src0_sel:DWORD src1_sel:WORD_1
	v_and_b32_e32 v1, 0xffff0000, v9
	v_cmp_o_f32_e32 vcc, v6, v6
	v_cndmask_b32_e32 v6, v7, v1, vcc
	s_mov_b64 s[0:1], 0
	s_branch .LBB167_131
.LBB167_127:
                                        ; implicit-def: $vgpr6
                                        ; implicit-def: $vgpr5
	s_branch .LBB167_150
.LBB167_128:
	s_mov_b64 s[0:1], -1
                                        ; implicit-def: $vgpr6
                                        ; implicit-def: $vgpr5
	s_branch .LBB167_137
.LBB167_129:
	s_mov_b64 s[0:1], -1
                                        ; implicit-def: $vgpr6
                                        ; implicit-def: $vgpr5
	s_branch .LBB167_134
.LBB167_130:
	s_mov_b64 s[0:1], -1
                                        ; implicit-def: $vgpr6
                                        ; implicit-def: $vgpr5
.LBB167_131:
	s_andn2_b64 vcc, exec, s[0:1]
	s_cbranch_vccnz .LBB167_133
; %bb.132:
	global_load_dwordx2 v[5:6], v[3:4], off
	s_movk_i32 s0, 0x7fff
	v_mov_b32_e32 v1, 0x7fc0
	v_mov_b32_e32 v7, 0x7fc00000
	s_waitcnt vmcnt(0)
	v_bfe_u32 v9, v5, 16, 1
	v_bfe_u32 v10, v6, 16, 1
	v_cmp_o_f32_e32 vcc, v5, v5
	v_add3_u32 v5, v5, v9, s0
	v_add3_u32 v9, v6, v10, s0
	v_cndmask_b32_sdwa v5, v1, v5, vcc dst_sel:DWORD dst_unused:UNUSED_PAD src0_sel:DWORD src1_sel:WORD_1
	v_and_b32_e32 v1, 0xffff0000, v9
	v_cmp_o_f32_e32 vcc, v6, v6
	v_cndmask_b32_e32 v6, v7, v1, vcc
.LBB167_133:
	s_mov_b64 s[0:1], 0
.LBB167_134:
	s_andn2_b64 vcc, exec, s[0:1]
	s_cbranch_vccnz .LBB167_136
; %bb.135:
	global_load_dword v1, v[3:4], off
	s_movk_i32 s0, 0x7fff
	s_waitcnt vmcnt(1)
	v_mov_b32_e32 v5, 0x7fc0
	v_mov_b32_e32 v9, 0x7fc00000
	s_waitcnt vmcnt(0)
	v_cvt_f32_f16_e32 v6, v1
	v_cvt_f32_f16_sdwa v7, v1 dst_sel:DWORD dst_unused:UNUSED_PAD src0_sel:WORD_1
	v_cmp_o_f16_e32 vcc, v1, v1
	v_bfe_u32 v10, v6, 16, 1
	v_bfe_u32 v11, v7, 16, 1
	v_add3_u32 v6, v6, v10, s0
	v_add3_u32 v7, v7, v11, s0
	v_cndmask_b32_sdwa v5, v5, v6, vcc dst_sel:DWORD dst_unused:UNUSED_PAD src0_sel:DWORD src1_sel:WORD_1
	v_and_b32_e32 v6, 0xffff0000, v7
	v_cmp_o_f16_sdwa vcc, v1, v1 src0_sel:WORD_1 src1_sel:WORD_1
	v_cndmask_b32_e32 v6, v9, v6, vcc
.LBB167_136:
	s_mov_b64 s[0:1], 0
.LBB167_137:
	s_andn2_b64 vcc, exec, s[0:1]
	s_cbranch_vccnz .LBB167_149
; %bb.138:
	s_cmp_lt_i32 s14, 6
	s_cbranch_scc1 .LBB167_141
; %bb.139:
	s_cmp_gt_i32 s14, 6
	s_cbranch_scc0 .LBB167_142
; %bb.140:
	global_load_dwordx2 v[5:6], v[3:4], off
	s_movk_i32 s0, 0x7fff
	s_waitcnt vmcnt(0)
	v_cvt_f32_f64_e32 v1, v[5:6]
	v_mov_b32_e32 v5, 0x7fc0
	v_bfe_u32 v6, v1, 16, 1
	v_cmp_o_f32_e32 vcc, v1, v1
	v_add3_u32 v1, v1, v6, s0
	v_cndmask_b32_sdwa v5, v5, v1, vcc dst_sel:DWORD dst_unused:UNUSED_PAD src0_sel:DWORD src1_sel:WORD_1
	s_mov_b64 s[0:1], 0
	s_branch .LBB167_143
.LBB167_141:
	s_mov_b64 s[0:1], -1
                                        ; implicit-def: $vgpr5
	s_branch .LBB167_146
.LBB167_142:
	s_mov_b64 s[0:1], -1
                                        ; implicit-def: $vgpr5
.LBB167_143:
	s_andn2_b64 vcc, exec, s[0:1]
	s_cbranch_vccnz .LBB167_145
; %bb.144:
	global_load_dword v1, v[3:4], off
	s_movk_i32 s0, 0x7fff
	s_waitcnt vmcnt(1)
	v_mov_b32_e32 v5, 0x7fc0
	s_waitcnt vmcnt(0)
	v_bfe_u32 v6, v1, 16, 1
	v_cmp_o_f32_e32 vcc, v1, v1
	v_add3_u32 v1, v1, v6, s0
	v_cndmask_b32_sdwa v5, v5, v1, vcc dst_sel:DWORD dst_unused:UNUSED_PAD src0_sel:DWORD src1_sel:WORD_1
.LBB167_145:
	s_mov_b64 s[0:1], 0
.LBB167_146:
	s_andn2_b64 vcc, exec, s[0:1]
	s_cbranch_vccnz .LBB167_148
; %bb.147:
	global_load_ushort v1, v[3:4], off
	s_movk_i32 s0, 0x7fff
	v_mov_b32_e32 v6, 0x7fc0
	s_waitcnt vmcnt(0)
	v_cvt_f32_f16_e32 v5, v1
	v_cmp_o_f16_e32 vcc, v1, v1
	v_bfe_u32 v1, v5, 16, 1
	v_add3_u32 v1, v5, v1, s0
	v_cndmask_b32_sdwa v5, v6, v1, vcc dst_sel:DWORD dst_unused:UNUSED_PAD src0_sel:DWORD src1_sel:WORD_1
.LBB167_148:
	v_mov_b32_e32 v6, 0
.LBB167_149:
	s_cbranch_execnz .LBB167_170
.LBB167_150:
	s_cmp_lt_i32 s14, 2
	s_cbranch_scc1 .LBB167_154
; %bb.151:
	s_cmp_lt_i32 s14, 3
	s_cbranch_scc1 .LBB167_155
; %bb.152:
	s_cmp_gt_i32 s14, 3
	s_cbranch_scc0 .LBB167_156
; %bb.153:
	global_load_dwordx2 v[5:6], v[3:4], off
	s_movk_i32 s0, 0x7fff
	s_waitcnt vmcnt(0)
	v_xor_b32_e32 v7, v5, v6
	v_ffbh_i32_e32 v1, v6
	v_ashrrev_i32_e32 v7, 31, v7
	v_add_u32_e32 v1, -1, v1
	v_add_u32_e32 v7, 32, v7
	v_min_u32_e32 v1, v1, v7
	v_lshlrev_b64 v[5:6], v1, v[5:6]
	v_sub_u32_e32 v1, 32, v1
	v_min_u32_e32 v5, 1, v5
	v_or_b32_e32 v5, v6, v5
	v_cvt_f32_i32_e32 v5, v5
	v_ldexp_f32 v1, v5, v1
	v_bfe_u32 v5, v1, 16, 1
	v_add3_u32 v1, v1, v5, s0
	v_lshrrev_b32_e32 v5, 16, v1
	s_mov_b64 s[0:1], 0
	s_branch .LBB167_157
.LBB167_154:
	s_mov_b64 s[0:1], -1
                                        ; implicit-def: $vgpr5
	s_branch .LBB167_163
.LBB167_155:
	s_mov_b64 s[0:1], -1
                                        ; implicit-def: $vgpr5
	s_branch .LBB167_160
.LBB167_156:
	s_mov_b64 s[0:1], -1
                                        ; implicit-def: $vgpr5
.LBB167_157:
	s_andn2_b64 vcc, exec, s[0:1]
	s_cbranch_vccnz .LBB167_159
; %bb.158:
	global_load_dword v1, v[3:4], off
	s_movk_i32 s0, 0x7fff
	s_waitcnt vmcnt(0)
	v_cvt_f32_i32_e32 v1, v1
	v_bfe_u32 v5, v1, 16, 1
	v_add3_u32 v1, v1, v5, s0
	v_lshrrev_b32_e32 v5, 16, v1
.LBB167_159:
	s_mov_b64 s[0:1], 0
.LBB167_160:
	s_andn2_b64 vcc, exec, s[0:1]
	s_cbranch_vccnz .LBB167_162
; %bb.161:
	global_load_sshort v1, v[3:4], off
	s_movk_i32 s0, 0x7fff
	s_waitcnt vmcnt(0)
	v_cvt_f32_i32_e32 v1, v1
	v_bfe_u32 v5, v1, 16, 1
	v_add3_u32 v1, v1, v5, s0
	v_lshrrev_b32_e32 v5, 16, v1
.LBB167_162:
	s_mov_b64 s[0:1], 0
.LBB167_163:
	s_andn2_b64 vcc, exec, s[0:1]
	s_cbranch_vccnz .LBB167_169
; %bb.164:
	s_cmp_gt_i32 s14, 0
	s_cbranch_scc0 .LBB167_166
; %bb.165:
	global_load_sbyte v1, v[3:4], off
	s_movk_i32 s0, 0x7fff
	s_waitcnt vmcnt(0)
	v_cvt_f32_i32_e32 v1, v1
	v_bfe_u32 v5, v1, 16, 1
	v_add3_u32 v1, v1, v5, s0
	v_lshrrev_b32_e32 v5, 16, v1
	s_mov_b64 s[0:1], 0
	s_branch .LBB167_167
.LBB167_166:
	s_mov_b64 s[0:1], -1
                                        ; implicit-def: $vgpr5
.LBB167_167:
	s_andn2_b64 vcc, exec, s[0:1]
	s_cbranch_vccnz .LBB167_169
; %bb.168:
	global_load_ubyte v1, v[3:4], off
	s_movk_i32 s0, 0x7fff
	s_waitcnt vmcnt(0)
	v_cvt_f32_ubyte0_e32 v1, v1
	v_bfe_u32 v3, v1, 16, 1
	v_add3_u32 v1, v1, v3, s0
	v_lshrrev_b32_e32 v5, 16, v1
.LBB167_169:
	v_mov_b32_e32 v6, 0
.LBB167_170:
	s_branch .LBB167_22
.LBB167_171:
	s_mov_b64 s[0:1], 0
	s_mov_b64 s[42:43], 0
	s_branch .LBB167_405
.LBB167_172:
	s_mov_b64 s[42:43], -1
.LBB167_173:
	s_mov_b64 s[0:1], 0
                                        ; implicit-def: $vgpr4
                                        ; implicit-def: $vgpr3
.LBB167_174:
	s_and_b64 vcc, exec, s[40:41]
	s_cbranch_vccz .LBB167_291
; %bb.175:
	s_cmp_eq_u32 s52, 44
	s_cbranch_scc0 .LBB167_289
; %bb.176:
	global_load_ubyte v3, v[1:2], off
	s_movk_i32 s40, 0xff
	v_mov_b32_e32 v4, 0x7f800001
	v_mov_b32_e32 v7, 0x400000
	;; [unrolled: 1-line block ×3, first 2 shown]
	s_mov_b64 s[0:1], -1
	s_mov_b64 s[42:43], 0
	s_waitcnt vmcnt(0)
	v_lshlrev_b32_e32 v10, 23, v3
	v_cmp_ne_u32_e32 vcc, s40, v3
	v_cndmask_b32_e32 v4, v4, v10, vcc
	v_cmp_ne_u32_e32 vcc, 0, v3
	v_cndmask_b32_e32 v3, v7, v4, vcc
	v_add_u32_e32 v4, 0x7fff, v3
	v_cmp_o_f32_e32 vcc, v3, v3
	v_cndmask_b32_sdwa v3, v9, v4, vcc dst_sel:DWORD dst_unused:UNUSED_PAD src0_sel:DWORD src1_sel:WORD_1
	s_branch .LBB167_290
.LBB167_177:
	s_mov_b64 s[52:53], -1
	s_mov_b64 s[0:1], 0
	s_mov_b64 s[48:49], 0
.LBB167_178:
	s_and_b64 vcc, exec, s[52:53]
	s_cbranch_vccz .LBB167_183
; %bb.179:
	s_cmp_eq_u32 s56, 44
	s_mov_b64 s[0:1], -1
	s_cbranch_scc0 .LBB167_183
; %bb.180:
	v_cndmask_b32_e64 v3, 0, 1.0, s[40:41]
	v_lshrrev_b32_e32 v2, 23, v3
	s_movk_i32 s0, 0xff
	v_cmp_ne_u32_e32 vcc, s0, v2
	v_mov_b32_e32 v4, 0xff
	s_and_saveexec_b64 s[48:49], vcc
; %bb.181:
	s_mov_b32 s0, 0x3fffff
	v_and_b32_e32 v4, 0x400000, v3
	v_and_or_b32 v3, v3, s0, v2
	v_cmp_ne_u32_e32 vcc, 0, v4
	v_cmp_ne_u32_e64 s[0:1], 0, v3
	s_and_b64 s[0:1], vcc, s[0:1]
	v_cndmask_b32_e64 v3, 0, 1, s[0:1]
	v_add_u32_e32 v4, v2, v3
; %bb.182:
	s_or_b64 exec, exec, s[48:49]
	s_mov_b64 s[48:49], -1
	s_mov_b64 s[0:1], 0
	global_store_byte v[0:1], v4, off
.LBB167_183:
	s_mov_b64 s[52:53], 0
.LBB167_184:
	s_and_b64 vcc, exec, s[52:53]
	s_cbranch_vccz .LBB167_187
; %bb.185:
	s_cmp_eq_u32 s56, 29
	s_mov_b64 s[0:1], -1
	s_cbranch_scc0 .LBB167_187
; %bb.186:
	s_mov_b32 s0, 0
	v_cndmask_b32_e64 v2, 0, 1, s[40:41]
	v_mov_b32_e32 v3, s0
	global_store_dwordx2 v[0:1], v[2:3], off
	s_mov_b64 s[48:49], -1
	s_mov_b64 s[0:1], 0
.LBB167_187:
	s_mov_b64 s[52:53], 0
.LBB167_188:
	s_and_b64 vcc, exec, s[52:53]
	s_cbranch_vccz .LBB167_204
; %bb.189:
	s_cmp_lt_i32 s56, 27
	s_mov_b64 s[48:49], -1
	s_cbranch_scc1 .LBB167_195
; %bb.190:
	s_cmp_gt_i32 s56, 27
	s_cbranch_scc0 .LBB167_192
; %bb.191:
	v_cndmask_b32_e64 v2, 0, 1, s[40:41]
	s_mov_b64 s[48:49], 0
	global_store_dword v[0:1], v2, off
.LBB167_192:
	s_andn2_b64 vcc, exec, s[48:49]
	s_cbranch_vccnz .LBB167_194
; %bb.193:
	v_cndmask_b32_e64 v2, 0, 1, s[40:41]
	global_store_short v[0:1], v2, off
.LBB167_194:
	s_mov_b64 s[48:49], 0
.LBB167_195:
	s_andn2_b64 vcc, exec, s[48:49]
	s_cbranch_vccnz .LBB167_203
; %bb.196:
	v_cndmask_b32_e64 v3, 0, 1.0, s[40:41]
	s_mov_b32 s48, 0x43800000
	v_cmp_gt_u32_e32 vcc, s48, v3
	v_mov_b32_e32 v4, 0x80
	s_and_saveexec_b64 s[48:49], vcc
	s_cbranch_execz .LBB167_202
; %bb.197:
	s_mov_b32 s52, 0x3bffffff
	v_cmp_lt_u32_e32 vcc, s52, v3
	s_mov_b64 s[52:53], 0
                                        ; implicit-def: $vgpr2
	s_and_saveexec_b64 s[54:55], vcc
	s_xor_b64 s[54:55], exec, s[54:55]
	s_cbranch_execz .LBB167_447
; %bb.198:
	v_bfe_u32 v2, v3, 20, 1
	s_mov_b32 s57, 0x487ffff
	v_add3_u32 v2, v3, v2, s57
	s_mov_b64 s[52:53], exec
	v_lshrrev_b32_e32 v2, 20, v2
                                        ; implicit-def: $vgpr3
	s_andn2_saveexec_b64 s[54:55], s[54:55]
	s_cbranch_execnz .LBB167_448
.LBB167_199:
	s_or_b64 exec, exec, s[54:55]
	v_mov_b32_e32 v4, 0
	s_and_saveexec_b64 s[54:55], s[52:53]
.LBB167_200:
	v_mov_b32_e32 v4, v2
.LBB167_201:
	s_or_b64 exec, exec, s[54:55]
.LBB167_202:
	s_or_b64 exec, exec, s[48:49]
	global_store_byte v[0:1], v4, off
.LBB167_203:
	s_mov_b64 s[48:49], -1
.LBB167_204:
	s_mov_b64 s[52:53], 0
.LBB167_205:
	s_and_b64 vcc, exec, s[52:53]
	s_cbranch_vccz .LBB167_246
; %bb.206:
	s_cmp_gt_i32 s56, 22
	s_mov_b64 s[52:53], -1
	s_cbranch_scc0 .LBB167_238
; %bb.207:
	s_cmp_lt_i32 s56, 24
	s_mov_b64 s[48:49], -1
	s_cbranch_scc1 .LBB167_227
; %bb.208:
	s_cmp_gt_i32 s56, 24
	s_cbranch_scc0 .LBB167_216
; %bb.209:
	v_cndmask_b32_e64 v3, 0, 1.0, s[40:41]
	s_mov_b32 s48, 0x47800000
	v_cmp_gt_u32_e32 vcc, s48, v3
	v_mov_b32_e32 v4, 0x80
	s_and_saveexec_b64 s[48:49], vcc
	s_cbranch_execz .LBB167_215
; %bb.210:
	s_mov_b32 s52, 0x37ffffff
	v_cmp_lt_u32_e32 vcc, s52, v3
	s_mov_b64 s[52:53], 0
                                        ; implicit-def: $vgpr2
	s_and_saveexec_b64 s[54:55], vcc
	s_xor_b64 s[54:55], exec, s[54:55]
	s_cbranch_execz .LBB167_571
; %bb.211:
	v_bfe_u32 v2, v3, 21, 1
	s_mov_b32 s57, 0x88fffff
	v_add3_u32 v2, v3, v2, s57
	s_mov_b64 s[52:53], exec
	v_lshrrev_b32_e32 v2, 21, v2
                                        ; implicit-def: $vgpr3
	s_andn2_saveexec_b64 s[54:55], s[54:55]
	s_cbranch_execnz .LBB167_572
.LBB167_212:
	s_or_b64 exec, exec, s[54:55]
	v_mov_b32_e32 v4, 0
	s_and_saveexec_b64 s[54:55], s[52:53]
.LBB167_213:
	v_mov_b32_e32 v4, v2
.LBB167_214:
	s_or_b64 exec, exec, s[54:55]
.LBB167_215:
	s_or_b64 exec, exec, s[48:49]
	s_mov_b64 s[48:49], 0
	global_store_byte v[0:1], v4, off
.LBB167_216:
	s_and_b64 vcc, exec, s[48:49]
	s_cbranch_vccz .LBB167_226
; %bb.217:
	v_cndmask_b32_e64 v2, 0, 1.0, s[40:41]
	s_mov_b32 s48, 0x43f00000
	v_cmp_gt_u32_e32 vcc, s48, v2
                                        ; implicit-def: $vgpr3
	s_and_saveexec_b64 s[48:49], vcc
	s_xor_b64 s[48:49], exec, s[48:49]
	s_cbranch_execz .LBB167_223
; %bb.218:
	s_mov_b32 s52, 0x3c7fffff
	v_cmp_lt_u32_e32 vcc, s52, v2
                                        ; implicit-def: $vgpr3
	s_and_saveexec_b64 s[52:53], vcc
	s_xor_b64 s[52:53], exec, s[52:53]
; %bb.219:
	v_bfe_u32 v3, v2, 20, 1
	s_mov_b32 s54, 0x407ffff
	v_add3_u32 v2, v2, v3, s54
	v_lshrrev_b32_e32 v3, 20, v2
	v_and_b32_e32 v2, 0xff00000, v2
	s_mov_b32 s54, 0x7f00000
	v_mov_b32_e32 v4, 0x7e
	v_cmp_ne_u32_e32 vcc, s54, v2
	v_cndmask_b32_e32 v3, v4, v3, vcc
                                        ; implicit-def: $vgpr2
; %bb.220:
	s_andn2_saveexec_b64 s[52:53], s[52:53]
; %bb.221:
	v_add_f32_e32 v3, 0x46800000, v2
; %bb.222:
	s_or_b64 exec, exec, s[52:53]
                                        ; implicit-def: $vgpr2
.LBB167_223:
	s_andn2_saveexec_b64 s[48:49], s[48:49]
; %bb.224:
	s_mov_b32 s52, 0x7f800000
	v_mov_b32_e32 v3, 0x7e
	v_mov_b32_e32 v4, 0x7f
	v_cmp_lt_u32_e32 vcc, s52, v2
	v_cndmask_b32_e32 v3, v3, v4, vcc
; %bb.225:
	s_or_b64 exec, exec, s[48:49]
	global_store_byte v[0:1], v3, off
.LBB167_226:
	s_mov_b64 s[48:49], 0
.LBB167_227:
	s_andn2_b64 vcc, exec, s[48:49]
	s_cbranch_vccnz .LBB167_237
; %bb.228:
	v_cndmask_b32_e64 v2, 0, 1.0, s[40:41]
	s_mov_b32 s48, 0x47800000
	v_cmp_gt_u32_e32 vcc, s48, v2
                                        ; implicit-def: $vgpr3
	s_and_saveexec_b64 s[48:49], vcc
	s_xor_b64 s[48:49], exec, s[48:49]
	s_cbranch_execz .LBB167_234
; %bb.229:
	s_mov_b32 s52, 0x387fffff
	v_cmp_lt_u32_e32 vcc, s52, v2
                                        ; implicit-def: $vgpr3
	s_and_saveexec_b64 s[52:53], vcc
	s_xor_b64 s[52:53], exec, s[52:53]
; %bb.230:
	v_bfe_u32 v3, v2, 21, 1
	s_mov_b32 s54, 0x80fffff
	v_add3_u32 v2, v2, v3, s54
	v_lshrrev_b32_e32 v3, 21, v2
                                        ; implicit-def: $vgpr2
; %bb.231:
	s_andn2_saveexec_b64 s[52:53], s[52:53]
; %bb.232:
	v_add_f32_e32 v3, 0x43000000, v2
; %bb.233:
	s_or_b64 exec, exec, s[52:53]
                                        ; implicit-def: $vgpr2
.LBB167_234:
	s_andn2_saveexec_b64 s[48:49], s[48:49]
; %bb.235:
	s_mov_b32 s52, 0x7f800000
	v_mov_b32_e32 v3, 0x7c
	v_mov_b32_e32 v4, 0x7f
	v_cmp_lt_u32_e32 vcc, s52, v2
	v_cndmask_b32_e32 v3, v3, v4, vcc
; %bb.236:
	s_or_b64 exec, exec, s[48:49]
	global_store_byte v[0:1], v3, off
.LBB167_237:
	s_mov_b64 s[52:53], 0
	s_mov_b64 s[48:49], -1
.LBB167_238:
	s_andn2_b64 vcc, exec, s[52:53]
	s_cbranch_vccnz .LBB167_246
; %bb.239:
	s_cmp_gt_i32 s56, 14
	s_mov_b64 s[52:53], -1
	s_cbranch_scc0 .LBB167_243
; %bb.240:
	s_cmp_eq_u32 s56, 15
	s_mov_b64 s[0:1], -1
	s_cbranch_scc0 .LBB167_242
; %bb.241:
	v_cndmask_b32_e64 v2, 0, 1.0, s[40:41]
	v_bfe_u32 v3, v2, 16, 1
	s_movk_i32 s0, 0x7fff
	v_add3_u32 v2, v2, v3, s0
	global_store_short_d16_hi v[0:1], v2, off
	s_mov_b64 s[48:49], -1
	s_mov_b64 s[0:1], 0
.LBB167_242:
	s_mov_b64 s[52:53], 0
.LBB167_243:
	s_and_b64 vcc, exec, s[52:53]
	s_cbranch_vccz .LBB167_246
; %bb.244:
	s_cmp_eq_u32 s56, 11
	s_mov_b64 s[0:1], -1
	s_cbranch_scc0 .LBB167_246
; %bb.245:
	v_cndmask_b32_e64 v2, 0, 1, s[40:41]
	s_mov_b64 s[48:49], -1
	s_mov_b64 s[0:1], 0
	global_store_byte v[0:1], v2, off
.LBB167_246:
	s_mov_b64 s[52:53], 0
.LBB167_247:
	s_and_b64 vcc, exec, s[52:53]
	s_cbranch_vccz .LBB167_286
; %bb.248:
	s_and_b32 s14, 0xffff, s14
	s_cmp_lt_i32 s14, 5
	s_mov_b64 s[48:49], -1
	s_cbranch_scc1 .LBB167_269
; %bb.249:
	s_cmp_lt_i32 s14, 8
	s_cbranch_scc1 .LBB167_259
; %bb.250:
	s_cmp_lt_i32 s14, 9
	s_cbranch_scc1 .LBB167_256
; %bb.251:
	s_cmp_gt_i32 s14, 9
	s_cbranch_scc0 .LBB167_253
; %bb.252:
	v_cndmask_b32_e64 v2, 0, 1, s[40:41]
	v_cvt_f64_u32_e32 v[2:3], v2
	v_mov_b32_e32 v4, 0
	v_mov_b32_e32 v5, v4
	s_mov_b64 s[48:49], 0
	global_store_dwordx4 v[0:1], v[2:5], off
.LBB167_253:
	s_andn2_b64 vcc, exec, s[48:49]
	s_cbranch_vccnz .LBB167_255
; %bb.254:
	v_cndmask_b32_e64 v2, 0, 1.0, s[40:41]
	v_mov_b32_e32 v3, 0
	global_store_dwordx2 v[0:1], v[2:3], off
.LBB167_255:
	s_mov_b64 s[48:49], 0
.LBB167_256:
	s_andn2_b64 vcc, exec, s[48:49]
	s_cbranch_vccnz .LBB167_258
; %bb.257:
	v_cndmask_b32_e64 v2, 0, 1.0, s[40:41]
	v_cvt_f16_f32_e32 v2, v2
	global_store_dword v[0:1], v2, off
.LBB167_258:
	s_mov_b64 s[48:49], 0
.LBB167_259:
	s_andn2_b64 vcc, exec, s[48:49]
	s_cbranch_vccnz .LBB167_268
; %bb.260:
	s_cmp_lt_i32 s14, 6
	s_mov_b64 s[48:49], -1
	s_cbranch_scc1 .LBB167_266
; %bb.261:
	s_cmp_gt_i32 s14, 6
	s_cbranch_scc0 .LBB167_263
; %bb.262:
	v_cndmask_b32_e64 v2, 0, 1, s[40:41]
	v_cvt_f64_u32_e32 v[2:3], v2
	s_mov_b64 s[48:49], 0
	global_store_dwordx2 v[0:1], v[2:3], off
.LBB167_263:
	s_andn2_b64 vcc, exec, s[48:49]
	s_cbranch_vccnz .LBB167_265
; %bb.264:
	v_cndmask_b32_e64 v2, 0, 1.0, s[40:41]
	global_store_dword v[0:1], v2, off
.LBB167_265:
	s_mov_b64 s[48:49], 0
.LBB167_266:
	s_andn2_b64 vcc, exec, s[48:49]
	s_cbranch_vccnz .LBB167_268
; %bb.267:
	v_cndmask_b32_e64 v2, 0, 1.0, s[40:41]
	v_cvt_f16_f32_e32 v2, v2
	global_store_short v[0:1], v2, off
.LBB167_268:
	s_mov_b64 s[48:49], 0
.LBB167_269:
	s_andn2_b64 vcc, exec, s[48:49]
	s_cbranch_vccnz .LBB167_285
; %bb.270:
	s_cmp_lt_i32 s14, 2
	s_mov_b64 s[48:49], -1
	s_cbranch_scc1 .LBB167_280
; %bb.271:
	s_cmp_lt_i32 s14, 3
	s_cbranch_scc1 .LBB167_277
; %bb.272:
	s_cmp_gt_i32 s14, 3
	s_cbranch_scc0 .LBB167_274
; %bb.273:
	s_mov_b32 s48, 0
	v_cndmask_b32_e64 v2, 0, 1, s[40:41]
	v_mov_b32_e32 v3, s48
	global_store_dwordx2 v[0:1], v[2:3], off
	s_mov_b64 s[48:49], 0
.LBB167_274:
	s_andn2_b64 vcc, exec, s[48:49]
	s_cbranch_vccnz .LBB167_276
; %bb.275:
	v_cndmask_b32_e64 v2, 0, 1, s[40:41]
	global_store_dword v[0:1], v2, off
.LBB167_276:
	s_mov_b64 s[48:49], 0
.LBB167_277:
	s_andn2_b64 vcc, exec, s[48:49]
	s_cbranch_vccnz .LBB167_279
; %bb.278:
	v_cndmask_b32_e64 v2, 0, 1, s[40:41]
	global_store_short v[0:1], v2, off
.LBB167_279:
	s_mov_b64 s[48:49], 0
.LBB167_280:
	s_andn2_b64 vcc, exec, s[48:49]
	s_cbranch_vccnz .LBB167_285
; %bb.281:
	s_cmp_gt_i32 s14, 0
	s_mov_b64 s[48:49], -1
	s_cbranch_scc0 .LBB167_283
; %bb.282:
	v_cndmask_b32_e64 v2, 0, 1, s[40:41]
	global_store_byte v[0:1], v2, off
	s_mov_b64 s[48:49], 0
.LBB167_283:
	s_andn2_b64 vcc, exec, s[48:49]
	s_cbranch_vccnz .LBB167_285
; %bb.284:
	v_cndmask_b32_e64 v2, 0, 1, s[40:41]
	global_store_byte v[0:1], v2, off
.LBB167_285:
	s_mov_b64 s[48:49], -1
.LBB167_286:
	s_andn2_b64 vcc, exec, s[48:49]
	s_cbranch_vccnz .LBB167_288
; %bb.287:
	v_add_u32_e32 v8, 0x80, v8
	s_mov_b64 s[48:49], -1
	s_branch .LBB167_406
.LBB167_288:
	s_mov_b64 s[48:49], 0
                                        ; implicit-def: $vgpr8
	s_branch .LBB167_406
.LBB167_289:
	s_mov_b64 s[42:43], -1
                                        ; implicit-def: $vgpr3
.LBB167_290:
	v_mov_b32_e32 v4, 0
.LBB167_291:
	s_mov_b64 s[40:41], 0
.LBB167_292:
	s_and_b64 vcc, exec, s[40:41]
	s_cbranch_vccz .LBB167_297
; %bb.293:
	s_cmp_eq_u32 s52, 29
	s_cbranch_scc0 .LBB167_295
; %bb.294:
	global_load_dwordx2 v[3:4], v[1:2], off
	s_movk_i32 s40, 0x7fff
	s_mov_b64 s[0:1], -1
	s_mov_b64 s[42:43], 0
	s_waitcnt vmcnt(0)
	v_ffbh_u32_e32 v7, v4
	v_min_u32_e32 v7, 32, v7
	v_lshlrev_b64 v[3:4], v7, v[3:4]
	v_min_u32_e32 v3, 1, v3
	v_or_b32_e32 v3, v4, v3
	v_cvt_f32_u32_e32 v3, v3
	v_sub_u32_e32 v4, 32, v7
	v_ldexp_f32 v3, v3, v4
	v_bfe_u32 v4, v3, 16, 1
	v_add3_u32 v3, v3, v4, s40
	v_lshrrev_b32_e32 v3, 16, v3
	s_branch .LBB167_296
.LBB167_295:
	s_mov_b64 s[42:43], -1
                                        ; implicit-def: $vgpr3
.LBB167_296:
	v_mov_b32_e32 v4, 0
.LBB167_297:
	s_mov_b64 s[40:41], 0
.LBB167_298:
	s_and_b64 vcc, exec, s[40:41]
	s_cbranch_vccz .LBB167_316
; %bb.299:
	s_cmp_lt_i32 s52, 27
	s_cbranch_scc1 .LBB167_302
; %bb.300:
	s_cmp_gt_i32 s52, 27
	s_cbranch_scc0 .LBB167_303
; %bb.301:
	global_load_dword v3, v[1:2], off
	s_movk_i32 s0, 0x7fff
	s_waitcnt vmcnt(0)
	v_cvt_f32_u32_e32 v3, v3
	v_bfe_u32 v4, v3, 16, 1
	v_add3_u32 v3, v3, v4, s0
	v_lshrrev_b32_e32 v3, 16, v3
	s_mov_b64 s[0:1], 0
	s_branch .LBB167_304
.LBB167_302:
	s_mov_b64 s[0:1], -1
                                        ; implicit-def: $vgpr3
	s_branch .LBB167_307
.LBB167_303:
	s_mov_b64 s[0:1], -1
                                        ; implicit-def: $vgpr3
.LBB167_304:
	s_andn2_b64 vcc, exec, s[0:1]
	s_cbranch_vccnz .LBB167_306
; %bb.305:
	global_load_ushort v3, v[1:2], off
	s_movk_i32 s0, 0x7fff
	s_waitcnt vmcnt(0)
	v_cvt_f32_u32_e32 v3, v3
	v_bfe_u32 v4, v3, 16, 1
	v_add3_u32 v3, v3, v4, s0
	v_lshrrev_b32_e32 v3, 16, v3
.LBB167_306:
	s_mov_b64 s[0:1], 0
.LBB167_307:
	s_andn2_b64 vcc, exec, s[0:1]
	s_cbranch_vccnz .LBB167_315
; %bb.308:
	global_load_ubyte v3, v[1:2], off
	s_movk_i32 s0, 0x7f
	s_waitcnt vmcnt(0)
	v_cmp_lt_i16_e32 vcc, s0, v3
	s_mov_b64 s[0:1], 0
	s_and_saveexec_b64 s[40:41], vcc
	s_xor_b64 s[40:41], exec, s[40:41]
	s_cbranch_execz .LBB167_329
; %bb.309:
	s_movk_i32 s0, 0x80
	v_cmp_eq_u16_e32 vcc, s0, v3
	s_mov_b64 s[0:1], -1
	s_and_saveexec_b64 s[48:49], vcc
; %bb.310:
	s_xor_b64 s[0:1], exec, -1
; %bb.311:
	s_or_b64 exec, exec, s[48:49]
	s_and_b64 s[0:1], s[0:1], exec
	s_or_saveexec_b64 s[40:41], s[40:41]
	v_mov_b32_e32 v4, 0x7f800001
	s_xor_b64 exec, exec, s[40:41]
	s_cbranch_execnz .LBB167_330
.LBB167_312:
	s_or_b64 exec, exec, s[40:41]
	s_and_saveexec_b64 s[40:41], s[0:1]
	s_cbranch_execz .LBB167_314
.LBB167_313:
	v_lshlrev_b32_e32 v4, 24, v3
	v_and_b32_e32 v3, 0xffff, v3
	v_and_b32_e32 v7, 7, v3
	v_ffbh_u32_e32 v10, v7
	v_min_u32_e32 v10, 32, v10
	v_subrev_u32_e32 v11, 28, v10
	v_bfe_u32 v9, v3, 3, 4
	v_lshlrev_b32_e32 v3, v11, v3
	v_sub_u32_e32 v10, 29, v10
	v_and_b32_e32 v3, 7, v3
	v_cmp_eq_u32_e32 vcc, 0, v9
	v_cndmask_b32_e32 v9, v9, v10, vcc
	v_cndmask_b32_e32 v3, v7, v3, vcc
	v_mov_b32_e32 v7, 0x3b800000
	v_lshlrev_b32_e32 v3, 20, v3
	v_and_b32_e32 v4, 0x80000000, v4
	v_lshl_add_u32 v7, v9, 23, v7
	v_or3_b32 v4, v4, v7, v3
.LBB167_314:
	s_or_b64 exec, exec, s[40:41]
	v_bfe_u32 v3, v4, 16, 1
	s_movk_i32 s0, 0x7fff
	v_add3_u32 v3, v4, v3, s0
	v_cmp_o_f32_e32 vcc, v4, v4
	v_mov_b32_e32 v4, 0x7fc0
	v_cndmask_b32_sdwa v3, v4, v3, vcc dst_sel:DWORD dst_unused:UNUSED_PAD src0_sel:DWORD src1_sel:WORD_1
.LBB167_315:
	s_mov_b64 s[0:1], -1
	v_mov_b32_e32 v4, 0
.LBB167_316:
	s_mov_b64 s[40:41], 0
.LBB167_317:
	s_and_b64 vcc, exec, s[40:41]
	s_cbranch_vccz .LBB167_353
; %bb.318:
	s_cmp_gt_i32 s52, 22
	s_cbranch_scc0 .LBB167_328
; %bb.319:
	s_cmp_lt_i32 s52, 24
	s_cbranch_scc1 .LBB167_331
; %bb.320:
	s_cmp_gt_i32 s52, 24
	s_cbranch_scc0 .LBB167_332
; %bb.321:
	global_load_ubyte v3, v[1:2], off
	s_movk_i32 s0, 0x7f
	s_waitcnt vmcnt(0)
	v_cmp_lt_i16_e32 vcc, s0, v3
	s_mov_b64 s[0:1], 0
	s_and_saveexec_b64 s[40:41], vcc
	s_xor_b64 s[40:41], exec, s[40:41]
	s_cbranch_execz .LBB167_344
; %bb.322:
	s_movk_i32 s0, 0x80
	v_cmp_eq_u16_e32 vcc, s0, v3
	s_mov_b64 s[0:1], -1
	s_and_saveexec_b64 s[48:49], vcc
; %bb.323:
	s_xor_b64 s[0:1], exec, -1
; %bb.324:
	s_or_b64 exec, exec, s[48:49]
	s_and_b64 s[0:1], s[0:1], exec
	s_or_saveexec_b64 s[40:41], s[40:41]
	v_mov_b32_e32 v4, 0x7f800001
	s_xor_b64 exec, exec, s[40:41]
	s_cbranch_execnz .LBB167_345
.LBB167_325:
	s_or_b64 exec, exec, s[40:41]
	s_and_saveexec_b64 s[40:41], s[0:1]
	s_cbranch_execz .LBB167_327
.LBB167_326:
	v_lshlrev_b32_e32 v4, 24, v3
	v_and_b32_e32 v3, 0xffff, v3
	v_and_b32_e32 v7, 3, v3
	v_ffbh_u32_e32 v10, v7
	v_min_u32_e32 v10, 32, v10
	v_subrev_u32_e32 v11, 29, v10
	v_bfe_u32 v9, v3, 2, 5
	v_lshlrev_b32_e32 v3, v11, v3
	v_sub_u32_e32 v10, 30, v10
	v_and_b32_e32 v3, 3, v3
	v_cmp_eq_u32_e32 vcc, 0, v9
	v_cndmask_b32_e32 v9, v9, v10, vcc
	v_cndmask_b32_e32 v3, v7, v3, vcc
	v_mov_b32_e32 v7, 0x37800000
	v_lshlrev_b32_e32 v3, 21, v3
	v_and_b32_e32 v4, 0x80000000, v4
	v_lshl_add_u32 v7, v9, 23, v7
	v_or3_b32 v4, v4, v7, v3
.LBB167_327:
	s_or_b64 exec, exec, s[40:41]
	v_bfe_u32 v3, v4, 16, 1
	s_movk_i32 s0, 0x7fff
	v_add3_u32 v3, v4, v3, s0
	v_cmp_o_f32_e32 vcc, v4, v4
	v_mov_b32_e32 v4, 0x7fc0
	v_cndmask_b32_sdwa v3, v4, v3, vcc dst_sel:DWORD dst_unused:UNUSED_PAD src0_sel:DWORD src1_sel:WORD_1
	s_mov_b64 s[0:1], 0
	s_branch .LBB167_333
.LBB167_328:
	s_mov_b64 s[40:41], -1
                                        ; implicit-def: $vgpr3
	s_branch .LBB167_339
.LBB167_329:
	s_or_saveexec_b64 s[40:41], s[40:41]
	v_mov_b32_e32 v4, 0x7f800001
	s_xor_b64 exec, exec, s[40:41]
	s_cbranch_execz .LBB167_312
.LBB167_330:
	v_cmp_ne_u16_e32 vcc, 0, v3
	s_andn2_b64 s[0:1], s[0:1], exec
	s_and_b64 s[48:49], vcc, exec
	v_mov_b32_e32 v4, 0
	s_or_b64 s[0:1], s[0:1], s[48:49]
	s_or_b64 exec, exec, s[40:41]
	s_and_saveexec_b64 s[40:41], s[0:1]
	s_cbranch_execnz .LBB167_313
	s_branch .LBB167_314
.LBB167_331:
	s_mov_b64 s[0:1], -1
                                        ; implicit-def: $vgpr3
	s_branch .LBB167_336
.LBB167_332:
	s_mov_b64 s[0:1], -1
                                        ; implicit-def: $vgpr3
.LBB167_333:
	s_and_b64 vcc, exec, s[0:1]
	s_cbranch_vccz .LBB167_335
; %bb.334:
	global_load_ubyte v3, v[1:2], off
	s_mov_b32 s0, 0x7f800000
	s_brev_b32 s1, 1
	s_movk_i32 s40, 0x7fff
	s_waitcnt vmcnt(0)
	v_lshlrev_b32_e32 v3, 24, v3
	v_and_b32_e32 v4, 0x7f000000, v3
	v_ffbh_u32_e32 v7, v4
	v_min_u32_e32 v7, 32, v7
	v_sub_u32_e64 v7, v7, 4 clamp
	v_lshlrev_b32_e32 v10, v7, v4
	v_lshlrev_b32_e32 v7, 23, v7
	v_lshrrev_b32_e32 v10, 4, v10
	v_add_u32_e32 v9, 0x1000000, v4
	v_sub_u32_e32 v7, v10, v7
	v_ashrrev_i32_e32 v9, 8, v9
	v_add_u32_e32 v7, 0x3c000000, v7
	v_and_or_b32 v7, v9, s0, v7
	v_cmp_ne_u32_e32 vcc, 0, v4
	v_cndmask_b32_e32 v4, 0, v7, vcc
	v_and_or_b32 v3, v3, s1, v4
	v_bfe_u32 v4, v4, 16, 1
	v_add3_u32 v4, v3, v4, s40
	v_cmp_o_f32_e32 vcc, v3, v3
	v_mov_b32_e32 v3, 0x7fc0
	v_cndmask_b32_sdwa v3, v3, v4, vcc dst_sel:DWORD dst_unused:UNUSED_PAD src0_sel:DWORD src1_sel:WORD_1
.LBB167_335:
	s_mov_b64 s[0:1], 0
.LBB167_336:
	s_andn2_b64 vcc, exec, s[0:1]
	s_cbranch_vccnz .LBB167_338
; %bb.337:
	global_load_ubyte v3, v[1:2], off
	s_movk_i32 s0, 0x7f00
	s_brev_b32 s1, 16
	s_brev_b32 s40, 1
	s_movk_i32 s41, 0x7fff
	s_waitcnt vmcnt(0)
	v_lshlrev_b16_e32 v4, 8, v3
	v_lshlrev_b32_e32 v3, 25, v3
	v_lshrrev_b32_e32 v7, 4, v3
	v_and_or_b32 v9, v4, s0, 0.5
	v_or_b32_e32 v7, 0x70000000, v7
	v_add_f32_e32 v9, -0.5, v9
	v_mul_f32_e32 v7, 0x7800000, v7
	v_cmp_gt_u32_e32 vcc, s1, v3
	v_bfe_i32 v4, v4, 0, 16
	v_cndmask_b32_e32 v3, v7, v9, vcc
	v_and_or_b32 v4, v4, s40, v3
	v_bfe_u32 v3, v3, 16, 1
	v_add3_u32 v3, v4, v3, s41
	v_cmp_o_f32_e32 vcc, v4, v4
	v_mov_b32_e32 v4, 0x7fc0
	v_cndmask_b32_sdwa v3, v4, v3, vcc dst_sel:DWORD dst_unused:UNUSED_PAD src0_sel:DWORD src1_sel:WORD_1
.LBB167_338:
	s_mov_b64 s[40:41], 0
	s_mov_b64 s[0:1], -1
.LBB167_339:
	s_andn2_b64 vcc, exec, s[40:41]
	s_cbranch_vccnz .LBB167_352
; %bb.340:
	s_cmp_gt_i32 s52, 14
	s_cbranch_scc0 .LBB167_343
; %bb.341:
	s_cmp_eq_u32 s52, 15
	s_cbranch_scc0 .LBB167_346
; %bb.342:
	global_load_ushort v3, v[1:2], off
	s_mov_b64 s[0:1], -1
	s_mov_b64 s[42:43], 0
	s_branch .LBB167_347
.LBB167_343:
	s_mov_b64 s[40:41], -1
                                        ; implicit-def: $vgpr3
	s_branch .LBB167_348
.LBB167_344:
	s_or_saveexec_b64 s[40:41], s[40:41]
	v_mov_b32_e32 v4, 0x7f800001
	s_xor_b64 exec, exec, s[40:41]
	s_cbranch_execz .LBB167_325
.LBB167_345:
	v_cmp_ne_u16_e32 vcc, 0, v3
	s_andn2_b64 s[0:1], s[0:1], exec
	s_and_b64 s[48:49], vcc, exec
	v_mov_b32_e32 v4, 0
	s_or_b64 s[0:1], s[0:1], s[48:49]
	s_or_b64 exec, exec, s[40:41]
	s_and_saveexec_b64 s[40:41], s[0:1]
	s_cbranch_execnz .LBB167_326
	s_branch .LBB167_327
.LBB167_346:
	s_mov_b64 s[42:43], -1
                                        ; implicit-def: $vgpr3
.LBB167_347:
	s_mov_b64 s[40:41], 0
.LBB167_348:
	s_and_b64 vcc, exec, s[40:41]
	s_cbranch_vccz .LBB167_352
; %bb.349:
	s_cmp_eq_u32 s52, 11
	s_cbranch_scc0 .LBB167_351
; %bb.350:
	global_load_ubyte v3, v[1:2], off
	s_mov_b64 s[0:1], -1
	s_mov_b64 s[42:43], 0
	v_mov_b32_e32 v4, 0
	s_waitcnt vmcnt(0)
	v_cmp_ne_u16_e32 vcc, 0, v3
	v_cndmask_b32_e64 v3, 0, 1.0, vcc
	v_lshrrev_b32_e32 v3, 16, v3
	s_branch .LBB167_353
.LBB167_351:
	s_mov_b64 s[42:43], -1
                                        ; implicit-def: $vgpr3
.LBB167_352:
	v_mov_b32_e32 v4, 0
.LBB167_353:
	s_branch .LBB167_31
.LBB167_354:
	s_and_b32 s14, 0xffff, s14
	s_cmp_lt_i32 s14, 5
	s_cbranch_scc1 .LBB167_359
; %bb.355:
	s_cmp_lt_i32 s14, 8
	s_cbranch_scc1 .LBB167_360
; %bb.356:
	;; [unrolled: 3-line block ×3, first 2 shown]
	s_cmp_gt_i32 s14, 9
	s_cbranch_scc0 .LBB167_362
; %bb.358:
	global_load_dwordx4 v[9:12], v[1:2], off
	s_movk_i32 s0, 0x7fff
	v_mov_b32_e32 v7, 0x7fc0
	s_waitcnt vmcnt(0)
	v_cvt_f32_f64_e32 v3, v[9:10]
	v_cvt_f32_f64_e32 v4, v[11:12]
	v_mov_b32_e32 v9, 0x7fc00000
	v_bfe_u32 v10, v3, 16, 1
	v_bfe_u32 v11, v4, 16, 1
	v_cmp_o_f32_e32 vcc, v3, v3
	v_add3_u32 v3, v3, v10, s0
	v_add3_u32 v10, v4, v11, s0
	v_cndmask_b32_sdwa v3, v7, v3, vcc dst_sel:DWORD dst_unused:UNUSED_PAD src0_sel:DWORD src1_sel:WORD_1
	v_and_b32_e32 v7, 0xffff0000, v10
	v_cmp_o_f32_e32 vcc, v4, v4
	v_cndmask_b32_e32 v4, v9, v7, vcc
	s_mov_b64 s[0:1], 0
	s_branch .LBB167_363
.LBB167_359:
	s_mov_b64 s[0:1], -1
                                        ; implicit-def: $vgpr4
                                        ; implicit-def: $vgpr3
	s_branch .LBB167_382
.LBB167_360:
	s_mov_b64 s[0:1], -1
                                        ; implicit-def: $vgpr4
                                        ; implicit-def: $vgpr3
	s_branch .LBB167_369
.LBB167_361:
	s_mov_b64 s[0:1], -1
                                        ; implicit-def: $vgpr4
                                        ; implicit-def: $vgpr3
	s_branch .LBB167_366
.LBB167_362:
	s_mov_b64 s[0:1], -1
                                        ; implicit-def: $vgpr4
                                        ; implicit-def: $vgpr3
.LBB167_363:
	s_andn2_b64 vcc, exec, s[0:1]
	s_cbranch_vccnz .LBB167_365
; %bb.364:
	global_load_dwordx2 v[3:4], v[1:2], off
	s_movk_i32 s0, 0x7fff
	v_mov_b32_e32 v7, 0x7fc0
	v_mov_b32_e32 v9, 0x7fc00000
	s_waitcnt vmcnt(0)
	v_bfe_u32 v10, v3, 16, 1
	v_bfe_u32 v11, v4, 16, 1
	v_cmp_o_f32_e32 vcc, v3, v3
	v_add3_u32 v3, v3, v10, s0
	v_add3_u32 v10, v4, v11, s0
	v_cndmask_b32_sdwa v3, v7, v3, vcc dst_sel:DWORD dst_unused:UNUSED_PAD src0_sel:DWORD src1_sel:WORD_1
	v_and_b32_e32 v7, 0xffff0000, v10
	v_cmp_o_f32_e32 vcc, v4, v4
	v_cndmask_b32_e32 v4, v9, v7, vcc
.LBB167_365:
	s_mov_b64 s[0:1], 0
.LBB167_366:
	s_andn2_b64 vcc, exec, s[0:1]
	s_cbranch_vccnz .LBB167_368
; %bb.367:
	global_load_dword v4, v[1:2], off
	s_movk_i32 s0, 0x7fff
	s_waitcnt vmcnt(1)
	v_mov_b32_e32 v3, 0x7fc0
	v_mov_b32_e32 v10, 0x7fc00000
	s_waitcnt vmcnt(0)
	v_cvt_f32_f16_e32 v7, v4
	v_cvt_f32_f16_sdwa v9, v4 dst_sel:DWORD dst_unused:UNUSED_PAD src0_sel:WORD_1
	v_cmp_o_f16_e32 vcc, v4, v4
	v_bfe_u32 v11, v7, 16, 1
	v_bfe_u32 v12, v9, 16, 1
	v_add3_u32 v7, v7, v11, s0
	v_add3_u32 v9, v9, v12, s0
	v_cndmask_b32_sdwa v3, v3, v7, vcc dst_sel:DWORD dst_unused:UNUSED_PAD src0_sel:DWORD src1_sel:WORD_1
	v_and_b32_e32 v7, 0xffff0000, v9
	v_cmp_o_f16_sdwa vcc, v4, v4 src0_sel:WORD_1 src1_sel:WORD_1
	v_cndmask_b32_e32 v4, v10, v7, vcc
.LBB167_368:
	s_mov_b64 s[0:1], 0
.LBB167_369:
	s_andn2_b64 vcc, exec, s[0:1]
	s_cbranch_vccnz .LBB167_381
; %bb.370:
	s_cmp_lt_i32 s14, 6
	s_cbranch_scc1 .LBB167_373
; %bb.371:
	s_cmp_gt_i32 s14, 6
	s_cbranch_scc0 .LBB167_374
; %bb.372:
	global_load_dwordx2 v[3:4], v[1:2], off
	s_movk_i32 s0, 0x7fff
	s_waitcnt vmcnt(0)
	v_cvt_f32_f64_e32 v3, v[3:4]
	v_mov_b32_e32 v4, 0x7fc0
	v_bfe_u32 v7, v3, 16, 1
	v_cmp_o_f32_e32 vcc, v3, v3
	v_add3_u32 v3, v3, v7, s0
	v_cndmask_b32_sdwa v3, v4, v3, vcc dst_sel:DWORD dst_unused:UNUSED_PAD src0_sel:DWORD src1_sel:WORD_1
	s_mov_b64 s[0:1], 0
	s_branch .LBB167_375
.LBB167_373:
	s_mov_b64 s[0:1], -1
                                        ; implicit-def: $vgpr3
	s_branch .LBB167_378
.LBB167_374:
	s_mov_b64 s[0:1], -1
                                        ; implicit-def: $vgpr3
.LBB167_375:
	s_andn2_b64 vcc, exec, s[0:1]
	s_cbranch_vccnz .LBB167_377
; %bb.376:
	global_load_dword v3, v[1:2], off
	s_movk_i32 s0, 0x7fff
	v_mov_b32_e32 v4, 0x7fc0
	s_waitcnt vmcnt(0)
	v_bfe_u32 v7, v3, 16, 1
	v_cmp_o_f32_e32 vcc, v3, v3
	v_add3_u32 v3, v3, v7, s0
	v_cndmask_b32_sdwa v3, v4, v3, vcc dst_sel:DWORD dst_unused:UNUSED_PAD src0_sel:DWORD src1_sel:WORD_1
.LBB167_377:
	s_mov_b64 s[0:1], 0
.LBB167_378:
	s_andn2_b64 vcc, exec, s[0:1]
	s_cbranch_vccnz .LBB167_380
; %bb.379:
	global_load_ushort v3, v[1:2], off
	s_movk_i32 s0, 0x7fff
	v_mov_b32_e32 v7, 0x7fc0
	s_waitcnt vmcnt(0)
	v_cvt_f32_f16_e32 v4, v3
	v_cmp_o_f16_e32 vcc, v3, v3
	v_bfe_u32 v3, v4, 16, 1
	v_add3_u32 v3, v4, v3, s0
	v_cndmask_b32_sdwa v3, v7, v3, vcc dst_sel:DWORD dst_unused:UNUSED_PAD src0_sel:DWORD src1_sel:WORD_1
.LBB167_380:
	v_mov_b32_e32 v4, 0
.LBB167_381:
	s_mov_b64 s[0:1], 0
.LBB167_382:
	s_andn2_b64 vcc, exec, s[0:1]
	s_cbranch_vccnz .LBB167_403
; %bb.383:
	s_cmp_lt_i32 s14, 2
	s_cbranch_scc1 .LBB167_387
; %bb.384:
	s_cmp_lt_i32 s14, 3
	s_cbranch_scc1 .LBB167_388
; %bb.385:
	s_cmp_gt_i32 s14, 3
	s_cbranch_scc0 .LBB167_389
; %bb.386:
	global_load_dwordx2 v[3:4], v[1:2], off
	s_movk_i32 s0, 0x7fff
	s_waitcnt vmcnt(0)
	v_xor_b32_e32 v9, v3, v4
	v_ffbh_i32_e32 v7, v4
	v_ashrrev_i32_e32 v9, 31, v9
	v_add_u32_e32 v7, -1, v7
	v_add_u32_e32 v9, 32, v9
	v_min_u32_e32 v7, v7, v9
	v_lshlrev_b64 v[3:4], v7, v[3:4]
	v_min_u32_e32 v3, 1, v3
	v_or_b32_e32 v3, v4, v3
	v_cvt_f32_i32_e32 v3, v3
	v_sub_u32_e32 v4, 32, v7
	v_ldexp_f32 v3, v3, v4
	v_bfe_u32 v4, v3, 16, 1
	v_add3_u32 v3, v3, v4, s0
	v_lshrrev_b32_e32 v3, 16, v3
	s_mov_b64 s[0:1], 0
	s_branch .LBB167_390
.LBB167_387:
	s_mov_b64 s[0:1], -1
                                        ; implicit-def: $vgpr3
	s_branch .LBB167_396
.LBB167_388:
	s_mov_b64 s[0:1], -1
                                        ; implicit-def: $vgpr3
	s_branch .LBB167_393
.LBB167_389:
	s_mov_b64 s[0:1], -1
                                        ; implicit-def: $vgpr3
.LBB167_390:
	s_andn2_b64 vcc, exec, s[0:1]
	s_cbranch_vccnz .LBB167_392
; %bb.391:
	global_load_dword v3, v[1:2], off
	s_movk_i32 s0, 0x7fff
	s_waitcnt vmcnt(0)
	v_cvt_f32_i32_e32 v3, v3
	v_bfe_u32 v4, v3, 16, 1
	v_add3_u32 v3, v3, v4, s0
	v_lshrrev_b32_e32 v3, 16, v3
.LBB167_392:
	s_mov_b64 s[0:1], 0
.LBB167_393:
	s_andn2_b64 vcc, exec, s[0:1]
	s_cbranch_vccnz .LBB167_395
; %bb.394:
	global_load_sshort v3, v[1:2], off
	s_movk_i32 s0, 0x7fff
	s_waitcnt vmcnt(0)
	v_cvt_f32_i32_e32 v3, v3
	v_bfe_u32 v4, v3, 16, 1
	v_add3_u32 v3, v3, v4, s0
	v_lshrrev_b32_e32 v3, 16, v3
.LBB167_395:
	s_mov_b64 s[0:1], 0
.LBB167_396:
	s_andn2_b64 vcc, exec, s[0:1]
	s_cbranch_vccnz .LBB167_402
; %bb.397:
	s_cmp_gt_i32 s14, 0
	s_cbranch_scc0 .LBB167_399
; %bb.398:
	global_load_sbyte v3, v[1:2], off
	s_movk_i32 s0, 0x7fff
	s_waitcnt vmcnt(0)
	v_cvt_f32_i32_e32 v3, v3
	v_bfe_u32 v4, v3, 16, 1
	v_add3_u32 v3, v3, v4, s0
	v_lshrrev_b32_e32 v3, 16, v3
	s_mov_b64 s[0:1], 0
	s_branch .LBB167_400
.LBB167_399:
	s_mov_b64 s[0:1], -1
                                        ; implicit-def: $vgpr3
.LBB167_400:
	s_andn2_b64 vcc, exec, s[0:1]
	s_cbranch_vccnz .LBB167_402
; %bb.401:
	global_load_ubyte v1, v[1:2], off
	s_movk_i32 s0, 0x7fff
	s_waitcnt vmcnt(0)
	v_cvt_f32_ubyte0_e32 v1, v1
	v_bfe_u32 v2, v1, 16, 1
	v_add3_u32 v1, v1, v2, s0
	v_lshrrev_b32_e32 v3, 16, v1
.LBB167_402:
	v_mov_b32_e32 v4, 0
.LBB167_403:
	s_branch .LBB167_32
.LBB167_404:
	s_mov_b64 s[0:1], 0
.LBB167_405:
                                        ; implicit-def: $vgpr8
	s_mov_b64 s[48:49], 0
.LBB167_406:
	s_and_b64 s[40:41], s[0:1], exec
	s_and_b64 s[42:43], s[42:43], exec
	;; [unrolled: 1-line block ×3, first 2 shown]
	s_orn2_b64 s[0:1], s[48:49], exec
.LBB167_407:
	s_or_b64 exec, exec, s[46:47]
	s_mov_b64 s[54:55], 0
	s_mov_b64 s[52:53], 0
                                        ; implicit-def: $sgpr14
                                        ; implicit-def: $vgpr3_vgpr4
                                        ; implicit-def: $vgpr0
                                        ; implicit-def: $vgpr2
                                        ; implicit-def: $vgpr6
                                        ; implicit-def: $vgpr5
	s_and_saveexec_b64 s[46:47], s[0:1]
	s_cbranch_execz .LBB167_415
; %bb.408:
	v_cmp_gt_i32_e32 vcc, s70, v8
	s_mov_b64 s[0:1], -1
	s_mov_b64 s[48:49], s[44:45]
	s_mov_b64 s[50:51], s[42:43]
	;; [unrolled: 1-line block ×3, first 2 shown]
	s_and_saveexec_b64 s[54:55], vcc
	s_cbranch_execz .LBB167_823
; %bb.409:
	s_andn2_b64 vcc, exec, s[24:25]
	s_cbranch_vccnz .LBB167_418
; %bb.410:
	s_andn2_b64 vcc, exec, s[38:39]
	s_cbranch_vccnz .LBB167_419
; %bb.411:
	s_add_i32 s0, s75, 1
	s_and_b32 s14, s0, 30
	s_add_u32 s0, s2, 0xffffffe8
	s_addc_u32 s1, s3, -1
	v_mov_b32_e32 v2, 0
	v_mov_b32_e32 v4, 0
	;; [unrolled: 1-line block ×4, first 2 shown]
.LBB167_412:                            ; =>This Inner Loop Header: Depth=1
	s_load_dwordx4 s[48:51], s[0:1], 0x1c
	s_load_dwordx2 s[52:53], s[0:1], 0x2c
	s_load_dwordx2 s[60:61], s[0:1], 0xec
	s_load_dwordx4 s[56:59], s[0:1], 0xdc
	s_add_u32 s0, s0, 24
	s_waitcnt vmcnt(0) lgkmcnt(0)
	v_mul_hi_u32 v3, s49, v1
	s_addc_u32 s1, s1, 0
	s_add_i32 s14, s14, -2
	s_cmp_eq_u32 s14, 0
	v_add_u32_e32 v3, v1, v3
	v_lshrrev_b32_e32 v3, s50, v3
	v_mul_lo_u32 v5, v3, s48
	v_mul_hi_u32 v6, s52, v3
	v_sub_u32_e32 v5, v1, v5
	v_add_u32_e32 v1, v3, v6
	v_lshrrev_b32_e32 v1, s53, v1
	v_mul_lo_u32 v9, v1, s51
	v_mul_lo_u32 v6, v5, s56
	;; [unrolled: 1-line block ×4, first 2 shown]
	v_sub_u32_e32 v3, v3, v9
	v_mul_lo_u32 v9, v3, s59
	v_mul_lo_u32 v10, v3, s60
	;; [unrolled: 1-line block ×3, first 2 shown]
	v_add3_u32 v0, v6, v0, v9
	v_add3_u32 v4, v7, v4, v10
	;; [unrolled: 1-line block ×3, first 2 shown]
	s_cbranch_scc0 .LBB167_412
; %bb.413:
	s_bitcmp1_b32 s75, 0
	s_cselect_b64 s[48:49], -1, 0
	s_and_b64 vcc, exec, s[48:49]
	s_cbranch_vccnz .LBB167_420
; %bb.414:
	s_load_dwordx2 s[48:49], s[0:1], 0x1c
	s_load_dword s14, s[0:1], 0x24
	s_load_dwordx2 s[50:51], s[0:1], 0xdc
	s_waitcnt lgkmcnt(0)
	v_mul_hi_u32 v3, s49, v1
	v_add_u32_e32 v3, v1, v3
	v_lshrrev_b32_e32 v3, s14, v3
	v_mul_lo_u32 v3, v3, s48
	s_load_dword s14, s[0:1], 0xe4
	v_sub_u32_e32 v3, v1, v3
	v_mad_u64_u32 v[0:1], s[0:1], v3, s50, v[0:1]
	v_mad_u64_u32 v[4:5], s[0:1], v3, s51, v[4:5]
	s_waitcnt lgkmcnt(0)
	v_mad_u64_u32 v[2:3], s[0:1], v3, s14, v[2:3]
	s_branch .LBB167_420
.LBB167_415:
	s_or_b64 exec, exec, s[46:47]
	s_mov_b64 s[10:11], 0
	s_and_saveexec_b64 s[0:1], s[44:45]
	s_cbranch_execnz .LBB167_1339
.LBB167_416:
	s_or_b64 exec, exec, s[0:1]
	s_and_saveexec_b64 s[0:1], s[50:51]
	s_xor_b64 s[0:1], exec, s[0:1]
	s_cbranch_execz .LBB167_1340
.LBB167_417:
	s_waitcnt vmcnt(0)
	global_load_ubyte v1, v[3:4], off
	v_mov_b32_e32 v6, 0
	s_or_b64 s[52:53], s[52:53], exec
	s_waitcnt vmcnt(0)
	v_cmp_ne_u16_e32 vcc, 0, v1
	v_cndmask_b32_e64 v1, 0, 1.0, vcc
	v_lshrrev_b32_e32 v5, 16, v1
	s_or_b64 exec, exec, s[0:1]
	s_and_saveexec_b64 s[0:1], s[54:55]
	s_cbranch_execz .LBB167_1388
	s_branch .LBB167_1341
.LBB167_418:
                                        ; implicit-def: $vgpr0
                                        ; implicit-def: $vgpr4
                                        ; implicit-def: $vgpr2
	s_andn2_b64 vcc, exec, s[0:1]
	s_cbranch_vccz .LBB167_421
	s_branch .LBB167_423
.LBB167_419:
	v_mov_b32_e32 v0, 0
	v_mov_b32_e32 v4, 0
	;; [unrolled: 1-line block ×3, first 2 shown]
.LBB167_420:
	s_cbranch_execnz .LBB167_423
.LBB167_421:
	v_mul_hi_u32 v0, s17, v8
	s_andn2_b64 vcc, exec, s[36:37]
	v_add_u32_e32 v0, v8, v0
	v_lshrrev_b32_e32 v1, s18, v0
	v_mul_lo_u32 v0, v1, s16
	v_sub_u32_e32 v2, v8, v0
	v_mul_lo_u32 v0, v2, s20
	v_mul_lo_u32 v4, v2, s21
	;; [unrolled: 1-line block ×3, first 2 shown]
	s_cbranch_vccnz .LBB167_423
; %bb.422:
	s_waitcnt vmcnt(0)
	v_mul_hi_u32 v3, s34, v1
	v_add_u32_e32 v3, v1, v3
	v_lshrrev_b32_e32 v3, s35, v3
	v_mul_lo_u32 v3, v3, s19
	v_sub_u32_e32 v3, v1, v3
	v_mad_u64_u32 v[0:1], s[0:1], v3, s23, v[0:1]
	v_mad_u64_u32 v[4:5], s[0:1], v3, s30, v[4:5]
	;; [unrolled: 1-line block ×3, first 2 shown]
.LBB167_423:
	v_mov_b32_e32 v1, s11
	s_and_b32 s14, s74, 0xff
	s_waitcnt vmcnt(0)
	v_add_co_u32_e32 v3, vcc, s10, v4
	s_cmp_lt_i32 s14, 11
	v_addc_co_u32_e32 v4, vcc, 0, v1, vcc
	s_cbranch_scc1 .LBB167_430
; %bb.424:
	s_and_b32 s56, 0xffff, s14
	s_cmp_gt_i32 s56, 25
	s_cbranch_scc0 .LBB167_439
; %bb.425:
	s_cmp_gt_i32 s56, 28
	s_cbranch_scc0 .LBB167_441
; %bb.426:
	;; [unrolled: 3-line block ×4, first 2 shown]
	s_cmp_eq_u32 s56, 46
	s_mov_b64 s[50:51], 0
	s_cbranch_scc0 .LBB167_449
; %bb.429:
	global_load_dword v5, v[3:4], off
	s_mov_b64 s[0:1], -1
	s_mov_b64 s[48:49], 0
	s_waitcnt vmcnt(0)
	v_and_b32_e32 v6, 0xffff0000, v5
	s_branch .LBB167_450
.LBB167_430:
	s_mov_b64 s[0:1], 0
                                        ; implicit-def: $vgpr6
                                        ; implicit-def: $vgpr5
	s_mov_b64 s[48:49], s[44:45]
	s_cbranch_execnz .LBB167_519
.LBB167_431:
	s_andn2_b64 vcc, exec, s[0:1]
	s_cbranch_vccnz .LBB167_569
.LBB167_432:
	v_mov_b32_e32 v3, s13
	s_and_b32 s14, s73, 0xff
	v_add_co_u32_e32 v1, vcc, s12, v2
	s_cmp_lt_i32 s14, 11
	v_addc_co_u32_e32 v2, vcc, 0, v3, vcc
	s_cbranch_scc1 .LBB167_440
; %bb.433:
	s_and_b32 s58, 0xffff, s14
	s_cmp_gt_i32 s58, 25
	s_cbranch_scc0 .LBB167_442
; %bb.434:
	s_cmp_gt_i32 s58, 28
	s_cbranch_scc0 .LBB167_444
; %bb.435:
	s_cmp_gt_i32 s58, 43
	s_cbranch_scc0 .LBB167_446
; %bb.436:
	s_cmp_gt_i32 s58, 45
	s_cbranch_scc0 .LBB167_453
; %bb.437:
	s_cmp_eq_u32 s58, 46
	s_mov_b64 s[52:53], 0
	s_cbranch_scc0 .LBB167_573
; %bb.438:
	global_load_dword v3, v[1:2], off
	s_mov_b64 s[0:1], -1
	s_mov_b64 s[50:51], 0
	s_waitcnt vmcnt(0)
	v_and_b32_e32 v4, 0xffff0000, v3
	s_branch .LBB167_574
.LBB167_439:
	s_mov_b64 s[50:51], -1
	s_mov_b64 s[0:1], 0
	s_mov_b64 s[48:49], s[44:45]
                                        ; implicit-def: $vgpr6
                                        ; implicit-def: $vgpr5
	s_branch .LBB167_482
.LBB167_440:
	s_mov_b64 s[52:53], -1
	s_mov_b64 s[0:1], 0
                                        ; implicit-def: $vgpr4
                                        ; implicit-def: $vgpr3
	s_mov_b64 s[50:51], s[42:43]
	s_branch .LBB167_642
.LBB167_441:
	s_mov_b64 s[50:51], -1
	s_mov_b64 s[0:1], 0
	s_mov_b64 s[48:49], s[44:45]
                                        ; implicit-def: $vgpr6
                                        ; implicit-def: $vgpr5
	s_branch .LBB167_463
.LBB167_442:
	s_mov_b64 s[52:53], -1
	s_mov_b64 s[0:1], 0
	s_mov_b64 s[50:51], s[42:43]
                                        ; implicit-def: $vgpr4
                                        ; implicit-def: $vgpr3
	s_branch .LBB167_605
.LBB167_443:
	s_mov_b64 s[50:51], -1
	s_mov_b64 s[0:1], 0
	s_mov_b64 s[48:49], s[44:45]
                                        ; implicit-def: $vgpr6
                                        ; implicit-def: $vgpr5
	s_branch .LBB167_457
.LBB167_444:
	s_mov_b64 s[52:53], -1
	s_mov_b64 s[0:1], 0
	s_mov_b64 s[50:51], s[42:43]
                                        ; implicit-def: $vgpr4
                                        ; implicit-def: $vgpr3
	s_branch .LBB167_586
.LBB167_445:
	s_mov_b64 s[50:51], -1
	s_mov_b64 s[0:1], 0
	s_mov_b64 s[48:49], s[44:45]
                                        ; implicit-def: $vgpr6
                                        ; implicit-def: $vgpr5
	s_branch .LBB167_450
.LBB167_446:
	s_mov_b64 s[52:53], -1
	s_mov_b64 s[0:1], 0
	s_mov_b64 s[50:51], s[42:43]
                                        ; implicit-def: $vgpr4
                                        ; implicit-def: $vgpr3
	s_branch .LBB167_580
.LBB167_447:
	s_andn2_saveexec_b64 s[54:55], s[54:55]
	s_cbranch_execz .LBB167_199
.LBB167_448:
	v_add_f32_e32 v2, 0x46000000, v3
	v_and_b32_e32 v2, 0xff, v2
	v_cmp_ne_u32_e32 vcc, 0, v2
	s_andn2_b64 s[52:53], s[52:53], exec
	s_and_b64 s[58:59], vcc, exec
	s_or_b64 s[52:53], s[52:53], s[58:59]
	s_or_b64 exec, exec, s[54:55]
	v_mov_b32_e32 v4, 0
	s_and_saveexec_b64 s[54:55], s[52:53]
	s_cbranch_execnz .LBB167_200
	s_branch .LBB167_201
.LBB167_449:
	s_mov_b64 s[48:49], -1
                                        ; implicit-def: $vgpr6
                                        ; implicit-def: $vgpr5
	s_mov_b64 s[0:1], 0
.LBB167_450:
	s_and_b64 vcc, exec, s[50:51]
	s_cbranch_vccz .LBB167_456
; %bb.451:
	s_cmp_eq_u32 s56, 44
	s_cbranch_scc0 .LBB167_454
; %bb.452:
	global_load_ubyte v1, v[3:4], off
	s_movk_i32 s48, 0xff
	v_mov_b32_e32 v5, 0x7f800001
	v_mov_b32_e32 v6, 0x400000
	;; [unrolled: 1-line block ×3, first 2 shown]
	s_mov_b64 s[0:1], -1
	s_waitcnt vmcnt(0)
	v_lshlrev_b32_e32 v9, 23, v1
	v_cmp_ne_u32_e32 vcc, s48, v1
	v_cndmask_b32_e32 v5, v5, v9, vcc
	v_cmp_ne_u32_e32 vcc, 0, v1
	v_cndmask_b32_e32 v1, v6, v5, vcc
	v_add_u32_e32 v5, 0x7fff, v1
	v_cmp_o_f32_e32 vcc, v1, v1
	v_cndmask_b32_sdwa v5, v7, v5, vcc dst_sel:DWORD dst_unused:UNUSED_PAD src0_sel:DWORD src1_sel:WORD_1
	s_mov_b64 s[48:49], 0
	s_branch .LBB167_455
.LBB167_453:
	s_mov_b64 s[52:53], -1
	s_mov_b64 s[0:1], 0
	s_mov_b64 s[50:51], s[42:43]
                                        ; implicit-def: $vgpr4
                                        ; implicit-def: $vgpr3
	s_branch .LBB167_574
.LBB167_454:
	s_mov_b64 s[48:49], -1
                                        ; implicit-def: $vgpr5
.LBB167_455:
	v_mov_b32_e32 v6, 0
.LBB167_456:
	s_mov_b64 s[50:51], 0
.LBB167_457:
	s_and_b64 vcc, exec, s[50:51]
	s_cbranch_vccz .LBB167_462
; %bb.458:
	s_cmp_eq_u32 s56, 29
	s_cbranch_scc0 .LBB167_460
; %bb.459:
	global_load_dwordx2 v[5:6], v[3:4], off
	s_movk_i32 s48, 0x7fff
	s_mov_b64 s[0:1], -1
	s_waitcnt vmcnt(0)
	v_ffbh_u32_e32 v1, v6
	v_min_u32_e32 v1, 32, v1
	v_lshlrev_b64 v[5:6], v1, v[5:6]
	v_sub_u32_e32 v1, 32, v1
	v_min_u32_e32 v5, 1, v5
	v_or_b32_e32 v5, v6, v5
	v_cvt_f32_u32_e32 v5, v5
	v_ldexp_f32 v1, v5, v1
	v_bfe_u32 v5, v1, 16, 1
	v_add3_u32 v1, v1, v5, s48
	v_lshrrev_b32_e32 v5, 16, v1
	s_mov_b64 s[48:49], 0
	s_branch .LBB167_461
.LBB167_460:
	s_mov_b64 s[48:49], -1
                                        ; implicit-def: $vgpr5
.LBB167_461:
	v_mov_b32_e32 v6, 0
.LBB167_462:
	s_mov_b64 s[50:51], 0
.LBB167_463:
	s_and_b64 vcc, exec, s[50:51]
	s_cbranch_vccz .LBB167_481
; %bb.464:
	s_cmp_lt_i32 s56, 27
	s_cbranch_scc1 .LBB167_467
; %bb.465:
	s_cmp_gt_i32 s56, 27
	s_cbranch_scc0 .LBB167_468
; %bb.466:
	global_load_dword v1, v[3:4], off
	s_movk_i32 s0, 0x7fff
	s_waitcnt vmcnt(0)
	v_cvt_f32_u32_e32 v1, v1
	v_bfe_u32 v5, v1, 16, 1
	v_add3_u32 v1, v1, v5, s0
	v_lshrrev_b32_e32 v5, 16, v1
	s_mov_b64 s[0:1], 0
	s_branch .LBB167_469
.LBB167_467:
	s_mov_b64 s[0:1], -1
                                        ; implicit-def: $vgpr5
	s_branch .LBB167_472
.LBB167_468:
	s_mov_b64 s[0:1], -1
                                        ; implicit-def: $vgpr5
.LBB167_469:
	s_andn2_b64 vcc, exec, s[0:1]
	s_cbranch_vccnz .LBB167_471
; %bb.470:
	global_load_ushort v1, v[3:4], off
	s_movk_i32 s0, 0x7fff
	s_waitcnt vmcnt(0)
	v_cvt_f32_u32_e32 v1, v1
	v_bfe_u32 v5, v1, 16, 1
	v_add3_u32 v1, v1, v5, s0
	v_lshrrev_b32_e32 v5, 16, v1
.LBB167_471:
	s_mov_b64 s[0:1], 0
.LBB167_472:
	s_andn2_b64 vcc, exec, s[0:1]
	s_cbranch_vccnz .LBB167_480
; %bb.473:
	global_load_ubyte v1, v[3:4], off
	s_movk_i32 s0, 0x7f
	s_waitcnt vmcnt(0)
	v_cmp_lt_i16_e32 vcc, s0, v1
	s_mov_b64 s[0:1], 0
	s_and_saveexec_b64 s[50:51], vcc
	s_xor_b64 s[50:51], exec, s[50:51]
	s_cbranch_execz .LBB167_494
; %bb.474:
	s_movk_i32 s0, 0x80
	v_cmp_eq_u16_e32 vcc, s0, v1
	s_mov_b64 s[0:1], -1
	s_and_saveexec_b64 s[52:53], vcc
; %bb.475:
	s_xor_b64 s[0:1], exec, -1
; %bb.476:
	s_or_b64 exec, exec, s[52:53]
	s_and_b64 s[0:1], s[0:1], exec
	s_or_saveexec_b64 s[50:51], s[50:51]
	v_mov_b32_e32 v5, 0x7f800001
	s_xor_b64 exec, exec, s[50:51]
	s_cbranch_execnz .LBB167_495
.LBB167_477:
	s_or_b64 exec, exec, s[50:51]
	s_and_saveexec_b64 s[50:51], s[0:1]
	s_cbranch_execz .LBB167_479
.LBB167_478:
	v_lshlrev_b32_e32 v5, 24, v1
	v_and_b32_e32 v1, 0xffff, v1
	v_and_b32_e32 v6, 7, v1
	v_ffbh_u32_e32 v9, v6
	v_min_u32_e32 v9, 32, v9
	v_subrev_u32_e32 v10, 28, v9
	v_bfe_u32 v7, v1, 3, 4
	v_lshlrev_b32_e32 v1, v10, v1
	v_sub_u32_e32 v9, 29, v9
	v_and_b32_e32 v1, 7, v1
	v_cmp_eq_u32_e32 vcc, 0, v7
	v_cndmask_b32_e32 v7, v7, v9, vcc
	v_cndmask_b32_e32 v1, v6, v1, vcc
	v_mov_b32_e32 v6, 0x3b800000
	v_lshlrev_b32_e32 v1, 20, v1
	v_and_b32_e32 v5, 0x80000000, v5
	v_lshl_add_u32 v6, v7, 23, v6
	v_or3_b32 v5, v5, v6, v1
.LBB167_479:
	s_or_b64 exec, exec, s[50:51]
	v_bfe_u32 v1, v5, 16, 1
	s_movk_i32 s0, 0x7fff
	v_add3_u32 v1, v5, v1, s0
	v_cmp_o_f32_e32 vcc, v5, v5
	v_mov_b32_e32 v5, 0x7fc0
	v_cndmask_b32_sdwa v5, v5, v1, vcc dst_sel:DWORD dst_unused:UNUSED_PAD src0_sel:DWORD src1_sel:WORD_1
.LBB167_480:
	s_mov_b64 s[0:1], -1
	v_mov_b32_e32 v6, 0
.LBB167_481:
	s_mov_b64 s[50:51], 0
.LBB167_482:
	s_and_b64 vcc, exec, s[50:51]
	s_cbranch_vccz .LBB167_518
; %bb.483:
	s_cmp_gt_i32 s56, 22
	s_cbranch_scc0 .LBB167_493
; %bb.484:
	s_cmp_lt_i32 s56, 24
	s_cbranch_scc1 .LBB167_496
; %bb.485:
	s_cmp_gt_i32 s56, 24
	s_cbranch_scc0 .LBB167_497
; %bb.486:
	global_load_ubyte v1, v[3:4], off
	s_movk_i32 s0, 0x7f
	s_waitcnt vmcnt(0)
	v_cmp_lt_i16_e32 vcc, s0, v1
	s_mov_b64 s[0:1], 0
	s_and_saveexec_b64 s[50:51], vcc
	s_xor_b64 s[50:51], exec, s[50:51]
	s_cbranch_execz .LBB167_509
; %bb.487:
	s_movk_i32 s0, 0x80
	v_cmp_eq_u16_e32 vcc, s0, v1
	s_mov_b64 s[0:1], -1
	s_and_saveexec_b64 s[52:53], vcc
; %bb.488:
	s_xor_b64 s[0:1], exec, -1
; %bb.489:
	s_or_b64 exec, exec, s[52:53]
	s_and_b64 s[0:1], s[0:1], exec
	s_or_saveexec_b64 s[50:51], s[50:51]
	v_mov_b32_e32 v5, 0x7f800001
	s_xor_b64 exec, exec, s[50:51]
	s_cbranch_execnz .LBB167_510
.LBB167_490:
	s_or_b64 exec, exec, s[50:51]
	s_and_saveexec_b64 s[50:51], s[0:1]
	s_cbranch_execz .LBB167_492
.LBB167_491:
	v_lshlrev_b32_e32 v5, 24, v1
	v_and_b32_e32 v1, 0xffff, v1
	v_and_b32_e32 v6, 3, v1
	v_ffbh_u32_e32 v9, v6
	v_min_u32_e32 v9, 32, v9
	v_subrev_u32_e32 v10, 29, v9
	v_bfe_u32 v7, v1, 2, 5
	v_lshlrev_b32_e32 v1, v10, v1
	v_sub_u32_e32 v9, 30, v9
	v_and_b32_e32 v1, 3, v1
	v_cmp_eq_u32_e32 vcc, 0, v7
	v_cndmask_b32_e32 v7, v7, v9, vcc
	v_cndmask_b32_e32 v1, v6, v1, vcc
	v_mov_b32_e32 v6, 0x37800000
	v_lshlrev_b32_e32 v1, 21, v1
	v_and_b32_e32 v5, 0x80000000, v5
	v_lshl_add_u32 v6, v7, 23, v6
	v_or3_b32 v5, v5, v6, v1
.LBB167_492:
	s_or_b64 exec, exec, s[50:51]
	v_bfe_u32 v1, v5, 16, 1
	s_movk_i32 s0, 0x7fff
	v_add3_u32 v1, v5, v1, s0
	v_cmp_o_f32_e32 vcc, v5, v5
	v_mov_b32_e32 v5, 0x7fc0
	v_cndmask_b32_sdwa v5, v5, v1, vcc dst_sel:DWORD dst_unused:UNUSED_PAD src0_sel:DWORD src1_sel:WORD_1
	s_mov_b64 s[0:1], 0
	s_branch .LBB167_498
.LBB167_493:
	s_mov_b64 s[50:51], -1
                                        ; implicit-def: $vgpr5
	s_branch .LBB167_504
.LBB167_494:
	s_or_saveexec_b64 s[50:51], s[50:51]
	v_mov_b32_e32 v5, 0x7f800001
	s_xor_b64 exec, exec, s[50:51]
	s_cbranch_execz .LBB167_477
.LBB167_495:
	v_cmp_ne_u16_e32 vcc, 0, v1
	s_andn2_b64 s[0:1], s[0:1], exec
	s_and_b64 s[52:53], vcc, exec
	v_mov_b32_e32 v5, 0
	s_or_b64 s[0:1], s[0:1], s[52:53]
	s_or_b64 exec, exec, s[50:51]
	s_and_saveexec_b64 s[50:51], s[0:1]
	s_cbranch_execnz .LBB167_478
	s_branch .LBB167_479
.LBB167_496:
	s_mov_b64 s[0:1], -1
                                        ; implicit-def: $vgpr5
	s_branch .LBB167_501
.LBB167_497:
	s_mov_b64 s[0:1], -1
                                        ; implicit-def: $vgpr5
.LBB167_498:
	s_and_b64 vcc, exec, s[0:1]
	s_cbranch_vccz .LBB167_500
; %bb.499:
	global_load_ubyte v1, v[3:4], off
	s_mov_b32 s0, 0x7f800000
	s_brev_b32 s1, 1
	s_movk_i32 s50, 0x7fff
	s_waitcnt vmcnt(0)
	v_lshlrev_b32_e32 v1, 24, v1
	v_and_b32_e32 v5, 0x7f000000, v1
	v_ffbh_u32_e32 v6, v5
	v_min_u32_e32 v6, 32, v6
	v_sub_u32_e64 v6, v6, 4 clamp
	v_lshlrev_b32_e32 v9, v6, v5
	v_lshlrev_b32_e32 v6, 23, v6
	v_lshrrev_b32_e32 v9, 4, v9
	v_add_u32_e32 v7, 0x1000000, v5
	v_sub_u32_e32 v6, v9, v6
	v_ashrrev_i32_e32 v7, 8, v7
	v_add_u32_e32 v6, 0x3c000000, v6
	v_and_or_b32 v6, v7, s0, v6
	v_cmp_ne_u32_e32 vcc, 0, v5
	v_cndmask_b32_e32 v5, 0, v6, vcc
	v_and_or_b32 v1, v1, s1, v5
	v_bfe_u32 v5, v5, 16, 1
	v_add3_u32 v5, v1, v5, s50
	v_cmp_o_f32_e32 vcc, v1, v1
	v_mov_b32_e32 v1, 0x7fc0
	v_cndmask_b32_sdwa v5, v1, v5, vcc dst_sel:DWORD dst_unused:UNUSED_PAD src0_sel:DWORD src1_sel:WORD_1
.LBB167_500:
	s_mov_b64 s[0:1], 0
.LBB167_501:
	s_andn2_b64 vcc, exec, s[0:1]
	s_cbranch_vccnz .LBB167_503
; %bb.502:
	global_load_ubyte v1, v[3:4], off
	s_movk_i32 s0, 0x7f00
	s_brev_b32 s1, 16
	s_brev_b32 s50, 1
	s_movk_i32 s51, 0x7fff
	s_waitcnt vmcnt(0)
	v_lshlrev_b16_e32 v5, 8, v1
	v_lshlrev_b32_e32 v1, 25, v1
	v_lshrrev_b32_e32 v6, 4, v1
	v_and_or_b32 v7, v5, s0, 0.5
	v_or_b32_e32 v6, 0x70000000, v6
	v_add_f32_e32 v7, -0.5, v7
	v_mul_f32_e32 v6, 0x7800000, v6
	v_cmp_gt_u32_e32 vcc, s1, v1
	v_bfe_i32 v5, v5, 0, 16
	v_cndmask_b32_e32 v1, v6, v7, vcc
	v_and_or_b32 v5, v5, s50, v1
	v_bfe_u32 v1, v1, 16, 1
	v_add3_u32 v1, v5, v1, s51
	v_cmp_o_f32_e32 vcc, v5, v5
	v_mov_b32_e32 v5, 0x7fc0
	v_cndmask_b32_sdwa v5, v5, v1, vcc dst_sel:DWORD dst_unused:UNUSED_PAD src0_sel:DWORD src1_sel:WORD_1
.LBB167_503:
	s_mov_b64 s[50:51], 0
	s_mov_b64 s[0:1], -1
.LBB167_504:
	s_andn2_b64 vcc, exec, s[50:51]
	s_cbranch_vccnz .LBB167_517
; %bb.505:
	s_cmp_gt_i32 s56, 14
	s_cbranch_scc0 .LBB167_508
; %bb.506:
	s_cmp_eq_u32 s56, 15
	s_cbranch_scc0 .LBB167_511
; %bb.507:
	global_load_ushort v5, v[3:4], off
	s_mov_b64 s[0:1], -1
	s_mov_b64 s[48:49], 0
	s_branch .LBB167_512
.LBB167_508:
	s_mov_b64 s[50:51], -1
                                        ; implicit-def: $vgpr5
	s_branch .LBB167_513
.LBB167_509:
	s_or_saveexec_b64 s[50:51], s[50:51]
	v_mov_b32_e32 v5, 0x7f800001
	s_xor_b64 exec, exec, s[50:51]
	s_cbranch_execz .LBB167_490
.LBB167_510:
	v_cmp_ne_u16_e32 vcc, 0, v1
	s_andn2_b64 s[0:1], s[0:1], exec
	s_and_b64 s[52:53], vcc, exec
	v_mov_b32_e32 v5, 0
	s_or_b64 s[0:1], s[0:1], s[52:53]
	s_or_b64 exec, exec, s[50:51]
	s_and_saveexec_b64 s[50:51], s[0:1]
	s_cbranch_execnz .LBB167_491
	s_branch .LBB167_492
.LBB167_511:
	s_mov_b64 s[48:49], -1
                                        ; implicit-def: $vgpr5
.LBB167_512:
	s_mov_b64 s[50:51], 0
.LBB167_513:
	s_and_b64 vcc, exec, s[50:51]
	s_cbranch_vccz .LBB167_517
; %bb.514:
	s_cmp_eq_u32 s56, 11
	s_cbranch_scc0 .LBB167_516
; %bb.515:
	global_load_ubyte v1, v[3:4], off
	s_mov_b64 s[0:1], -1
	s_mov_b64 s[48:49], 0
	v_mov_b32_e32 v6, 0
	s_waitcnt vmcnt(0)
	v_cmp_ne_u16_e32 vcc, 0, v1
	v_cndmask_b32_e64 v1, 0, 1.0, vcc
	v_lshrrev_b32_e32 v5, 16, v1
	s_branch .LBB167_518
.LBB167_516:
	s_mov_b64 s[48:49], -1
                                        ; implicit-def: $vgpr5
.LBB167_517:
	v_mov_b32_e32 v6, 0
.LBB167_518:
	s_branch .LBB167_431
.LBB167_519:
	s_and_b32 s14, 0xffff, s14
	s_cmp_lt_i32 s14, 5
	s_cbranch_scc1 .LBB167_524
; %bb.520:
	s_cmp_lt_i32 s14, 8
	s_cbranch_scc1 .LBB167_525
; %bb.521:
	;; [unrolled: 3-line block ×3, first 2 shown]
	s_cmp_gt_i32 s14, 9
	s_cbranch_scc0 .LBB167_527
; %bb.523:
	global_load_dwordx4 v[9:12], v[3:4], off
	s_movk_i32 s0, 0x7fff
	s_waitcnt vmcnt(1)
	v_mov_b32_e32 v5, 0x7fc0
	v_mov_b32_e32 v7, 0x7fc00000
	s_waitcnt vmcnt(0)
	v_cvt_f32_f64_e32 v1, v[9:10]
	v_cvt_f32_f64_e32 v6, v[11:12]
	v_bfe_u32 v9, v1, 16, 1
	v_bfe_u32 v10, v6, 16, 1
	v_cmp_o_f32_e32 vcc, v1, v1
	v_add3_u32 v1, v1, v9, s0
	v_add3_u32 v9, v6, v10, s0
	v_cndmask_b32_sdwa v5, v5, v1, vcc dst_sel:DWORD dst_unused:UNUSED_PAD src0_sel:DWORD src1_sel:WORD_1
	v_and_b32_e32 v1, 0xffff0000, v9
	v_cmp_o_f32_e32 vcc, v6, v6
	v_cndmask_b32_e32 v6, v7, v1, vcc
	s_mov_b64 s[0:1], 0
	s_branch .LBB167_528
.LBB167_524:
	s_mov_b64 s[0:1], -1
                                        ; implicit-def: $vgpr6
                                        ; implicit-def: $vgpr5
	s_branch .LBB167_547
.LBB167_525:
	s_mov_b64 s[0:1], -1
                                        ; implicit-def: $vgpr6
                                        ; implicit-def: $vgpr5
	s_branch .LBB167_534
.LBB167_526:
	s_mov_b64 s[0:1], -1
                                        ; implicit-def: $vgpr6
                                        ; implicit-def: $vgpr5
	s_branch .LBB167_531
.LBB167_527:
	s_mov_b64 s[0:1], -1
                                        ; implicit-def: $vgpr6
                                        ; implicit-def: $vgpr5
.LBB167_528:
	s_andn2_b64 vcc, exec, s[0:1]
	s_cbranch_vccnz .LBB167_530
; %bb.529:
	global_load_dwordx2 v[5:6], v[3:4], off
	s_movk_i32 s0, 0x7fff
	v_mov_b32_e32 v1, 0x7fc0
	v_mov_b32_e32 v7, 0x7fc00000
	s_waitcnt vmcnt(0)
	v_bfe_u32 v9, v5, 16, 1
	v_bfe_u32 v10, v6, 16, 1
	v_cmp_o_f32_e32 vcc, v5, v5
	v_add3_u32 v5, v5, v9, s0
	v_add3_u32 v9, v6, v10, s0
	v_cndmask_b32_sdwa v5, v1, v5, vcc dst_sel:DWORD dst_unused:UNUSED_PAD src0_sel:DWORD src1_sel:WORD_1
	v_and_b32_e32 v1, 0xffff0000, v9
	v_cmp_o_f32_e32 vcc, v6, v6
	v_cndmask_b32_e32 v6, v7, v1, vcc
.LBB167_530:
	s_mov_b64 s[0:1], 0
.LBB167_531:
	s_andn2_b64 vcc, exec, s[0:1]
	s_cbranch_vccnz .LBB167_533
; %bb.532:
	global_load_dword v1, v[3:4], off
	s_movk_i32 s0, 0x7fff
	s_waitcnt vmcnt(1)
	v_mov_b32_e32 v5, 0x7fc0
	v_mov_b32_e32 v9, 0x7fc00000
	s_waitcnt vmcnt(0)
	v_cvt_f32_f16_e32 v6, v1
	v_cvt_f32_f16_sdwa v7, v1 dst_sel:DWORD dst_unused:UNUSED_PAD src0_sel:WORD_1
	v_cmp_o_f16_e32 vcc, v1, v1
	v_bfe_u32 v10, v6, 16, 1
	v_bfe_u32 v11, v7, 16, 1
	v_add3_u32 v6, v6, v10, s0
	v_add3_u32 v7, v7, v11, s0
	v_cndmask_b32_sdwa v5, v5, v6, vcc dst_sel:DWORD dst_unused:UNUSED_PAD src0_sel:DWORD src1_sel:WORD_1
	v_and_b32_e32 v6, 0xffff0000, v7
	v_cmp_o_f16_sdwa vcc, v1, v1 src0_sel:WORD_1 src1_sel:WORD_1
	v_cndmask_b32_e32 v6, v9, v6, vcc
.LBB167_533:
	s_mov_b64 s[0:1], 0
.LBB167_534:
	s_andn2_b64 vcc, exec, s[0:1]
	s_cbranch_vccnz .LBB167_546
; %bb.535:
	s_cmp_lt_i32 s14, 6
	s_cbranch_scc1 .LBB167_538
; %bb.536:
	s_cmp_gt_i32 s14, 6
	s_cbranch_scc0 .LBB167_539
; %bb.537:
	global_load_dwordx2 v[5:6], v[3:4], off
	s_movk_i32 s0, 0x7fff
	s_waitcnt vmcnt(0)
	v_cvt_f32_f64_e32 v1, v[5:6]
	v_mov_b32_e32 v5, 0x7fc0
	v_bfe_u32 v6, v1, 16, 1
	v_cmp_o_f32_e32 vcc, v1, v1
	v_add3_u32 v1, v1, v6, s0
	v_cndmask_b32_sdwa v5, v5, v1, vcc dst_sel:DWORD dst_unused:UNUSED_PAD src0_sel:DWORD src1_sel:WORD_1
	s_mov_b64 s[0:1], 0
	s_branch .LBB167_540
.LBB167_538:
	s_mov_b64 s[0:1], -1
                                        ; implicit-def: $vgpr5
	s_branch .LBB167_543
.LBB167_539:
	s_mov_b64 s[0:1], -1
                                        ; implicit-def: $vgpr5
.LBB167_540:
	s_andn2_b64 vcc, exec, s[0:1]
	s_cbranch_vccnz .LBB167_542
; %bb.541:
	global_load_dword v1, v[3:4], off
	s_movk_i32 s0, 0x7fff
	s_waitcnt vmcnt(1)
	v_mov_b32_e32 v5, 0x7fc0
	s_waitcnt vmcnt(0)
	v_bfe_u32 v6, v1, 16, 1
	v_cmp_o_f32_e32 vcc, v1, v1
	v_add3_u32 v1, v1, v6, s0
	v_cndmask_b32_sdwa v5, v5, v1, vcc dst_sel:DWORD dst_unused:UNUSED_PAD src0_sel:DWORD src1_sel:WORD_1
.LBB167_542:
	s_mov_b64 s[0:1], 0
.LBB167_543:
	s_andn2_b64 vcc, exec, s[0:1]
	s_cbranch_vccnz .LBB167_545
; %bb.544:
	global_load_ushort v1, v[3:4], off
	s_movk_i32 s0, 0x7fff
	v_mov_b32_e32 v6, 0x7fc0
	s_waitcnt vmcnt(0)
	v_cvt_f32_f16_e32 v5, v1
	v_cmp_o_f16_e32 vcc, v1, v1
	v_bfe_u32 v1, v5, 16, 1
	v_add3_u32 v1, v5, v1, s0
	v_cndmask_b32_sdwa v5, v6, v1, vcc dst_sel:DWORD dst_unused:UNUSED_PAD src0_sel:DWORD src1_sel:WORD_1
.LBB167_545:
	v_mov_b32_e32 v6, 0
.LBB167_546:
	s_mov_b64 s[0:1], 0
.LBB167_547:
	s_andn2_b64 vcc, exec, s[0:1]
	s_cbranch_vccnz .LBB167_568
; %bb.548:
	s_cmp_lt_i32 s14, 2
	s_cbranch_scc1 .LBB167_552
; %bb.549:
	s_cmp_lt_i32 s14, 3
	s_cbranch_scc1 .LBB167_553
; %bb.550:
	s_cmp_gt_i32 s14, 3
	s_cbranch_scc0 .LBB167_554
; %bb.551:
	global_load_dwordx2 v[5:6], v[3:4], off
	s_movk_i32 s0, 0x7fff
	s_waitcnt vmcnt(0)
	v_xor_b32_e32 v7, v5, v6
	v_ffbh_i32_e32 v1, v6
	v_ashrrev_i32_e32 v7, 31, v7
	v_add_u32_e32 v1, -1, v1
	v_add_u32_e32 v7, 32, v7
	v_min_u32_e32 v1, v1, v7
	v_lshlrev_b64 v[5:6], v1, v[5:6]
	v_sub_u32_e32 v1, 32, v1
	v_min_u32_e32 v5, 1, v5
	v_or_b32_e32 v5, v6, v5
	v_cvt_f32_i32_e32 v5, v5
	v_ldexp_f32 v1, v5, v1
	v_bfe_u32 v5, v1, 16, 1
	v_add3_u32 v1, v1, v5, s0
	v_lshrrev_b32_e32 v5, 16, v1
	s_mov_b64 s[0:1], 0
	s_branch .LBB167_555
.LBB167_552:
	s_mov_b64 s[0:1], -1
                                        ; implicit-def: $vgpr5
	s_branch .LBB167_561
.LBB167_553:
	s_mov_b64 s[0:1], -1
                                        ; implicit-def: $vgpr5
	s_branch .LBB167_558
.LBB167_554:
	s_mov_b64 s[0:1], -1
                                        ; implicit-def: $vgpr5
.LBB167_555:
	s_andn2_b64 vcc, exec, s[0:1]
	s_cbranch_vccnz .LBB167_557
; %bb.556:
	global_load_dword v1, v[3:4], off
	s_movk_i32 s0, 0x7fff
	s_waitcnt vmcnt(0)
	v_cvt_f32_i32_e32 v1, v1
	v_bfe_u32 v5, v1, 16, 1
	v_add3_u32 v1, v1, v5, s0
	v_lshrrev_b32_e32 v5, 16, v1
.LBB167_557:
	s_mov_b64 s[0:1], 0
.LBB167_558:
	s_andn2_b64 vcc, exec, s[0:1]
	s_cbranch_vccnz .LBB167_560
; %bb.559:
	global_load_sshort v1, v[3:4], off
	s_movk_i32 s0, 0x7fff
	s_waitcnt vmcnt(0)
	v_cvt_f32_i32_e32 v1, v1
	v_bfe_u32 v5, v1, 16, 1
	v_add3_u32 v1, v1, v5, s0
	v_lshrrev_b32_e32 v5, 16, v1
.LBB167_560:
	s_mov_b64 s[0:1], 0
.LBB167_561:
	s_andn2_b64 vcc, exec, s[0:1]
	s_cbranch_vccnz .LBB167_567
; %bb.562:
	s_cmp_gt_i32 s14, 0
	s_cbranch_scc0 .LBB167_564
; %bb.563:
	global_load_sbyte v1, v[3:4], off
	s_movk_i32 s0, 0x7fff
	s_waitcnt vmcnt(0)
	v_cvt_f32_i32_e32 v1, v1
	v_bfe_u32 v5, v1, 16, 1
	v_add3_u32 v1, v1, v5, s0
	v_lshrrev_b32_e32 v5, 16, v1
	s_mov_b64 s[0:1], 0
	s_branch .LBB167_565
.LBB167_564:
	s_mov_b64 s[0:1], -1
                                        ; implicit-def: $vgpr5
.LBB167_565:
	s_andn2_b64 vcc, exec, s[0:1]
	s_cbranch_vccnz .LBB167_567
; %bb.566:
	global_load_ubyte v1, v[3:4], off
	s_movk_i32 s0, 0x7fff
	s_waitcnt vmcnt(0)
	v_cvt_f32_ubyte0_e32 v1, v1
	v_bfe_u32 v3, v1, 16, 1
	v_add3_u32 v1, v1, v3, s0
	v_lshrrev_b32_e32 v5, 16, v1
.LBB167_567:
	v_mov_b32_e32 v6, 0
.LBB167_568:
	s_branch .LBB167_432
.LBB167_569:
	s_mov_b64 s[56:57], 0
	s_mov_b64 s[0:1], s[40:41]
	;; [unrolled: 1-line block ×3, first 2 shown]
.LBB167_570:
                                        ; implicit-def: $vgpr8
	s_branch .LBB167_822
.LBB167_571:
	s_andn2_saveexec_b64 s[54:55], s[54:55]
	s_cbranch_execz .LBB167_212
.LBB167_572:
	v_add_f32_e32 v2, 0x42800000, v3
	v_and_b32_e32 v2, 0xff, v2
	v_cmp_ne_u32_e32 vcc, 0, v2
	s_andn2_b64 s[52:53], s[52:53], exec
	s_and_b64 s[58:59], vcc, exec
	s_or_b64 s[52:53], s[52:53], s[58:59]
	s_or_b64 exec, exec, s[54:55]
	v_mov_b32_e32 v4, 0
	s_and_saveexec_b64 s[54:55], s[52:53]
	s_cbranch_execnz .LBB167_213
	s_branch .LBB167_214
.LBB167_573:
	s_mov_b64 s[50:51], -1
                                        ; implicit-def: $vgpr4
                                        ; implicit-def: $vgpr3
	s_mov_b64 s[0:1], 0
.LBB167_574:
	s_and_b64 vcc, exec, s[52:53]
	s_cbranch_vccz .LBB167_579
; %bb.575:
	s_cmp_eq_u32 s58, 44
	s_cbranch_scc0 .LBB167_577
; %bb.576:
	global_load_ubyte v3, v[1:2], off
	s_movk_i32 s50, 0xff
	v_mov_b32_e32 v4, 0x7f800001
	v_mov_b32_e32 v7, 0x400000
	;; [unrolled: 1-line block ×3, first 2 shown]
	s_mov_b64 s[0:1], -1
	s_waitcnt vmcnt(0)
	v_lshlrev_b32_e32 v10, 23, v3
	v_cmp_ne_u32_e32 vcc, s50, v3
	v_cndmask_b32_e32 v4, v4, v10, vcc
	v_cmp_ne_u32_e32 vcc, 0, v3
	v_cndmask_b32_e32 v3, v7, v4, vcc
	v_add_u32_e32 v4, 0x7fff, v3
	v_cmp_o_f32_e32 vcc, v3, v3
	v_cndmask_b32_sdwa v3, v9, v4, vcc dst_sel:DWORD dst_unused:UNUSED_PAD src0_sel:DWORD src1_sel:WORD_1
	s_mov_b64 s[50:51], 0
	s_branch .LBB167_578
.LBB167_577:
	s_mov_b64 s[50:51], -1
                                        ; implicit-def: $vgpr3
.LBB167_578:
	v_mov_b32_e32 v4, 0
.LBB167_579:
	s_mov_b64 s[52:53], 0
.LBB167_580:
	s_and_b64 vcc, exec, s[52:53]
	s_cbranch_vccz .LBB167_585
; %bb.581:
	s_cmp_eq_u32 s58, 29
	s_cbranch_scc0 .LBB167_583
; %bb.582:
	global_load_dwordx2 v[3:4], v[1:2], off
	s_movk_i32 s50, 0x7fff
	s_mov_b64 s[0:1], -1
	s_waitcnt vmcnt(0)
	v_ffbh_u32_e32 v7, v4
	v_min_u32_e32 v7, 32, v7
	v_lshlrev_b64 v[3:4], v7, v[3:4]
	v_min_u32_e32 v3, 1, v3
	v_or_b32_e32 v3, v4, v3
	v_cvt_f32_u32_e32 v3, v3
	v_sub_u32_e32 v4, 32, v7
	v_ldexp_f32 v3, v3, v4
	v_bfe_u32 v4, v3, 16, 1
	v_add3_u32 v3, v3, v4, s50
	v_lshrrev_b32_e32 v3, 16, v3
	s_mov_b64 s[50:51], 0
	s_branch .LBB167_584
.LBB167_583:
	s_mov_b64 s[50:51], -1
                                        ; implicit-def: $vgpr3
.LBB167_584:
	v_mov_b32_e32 v4, 0
.LBB167_585:
	s_mov_b64 s[52:53], 0
.LBB167_586:
	s_and_b64 vcc, exec, s[52:53]
	s_cbranch_vccz .LBB167_604
; %bb.587:
	s_cmp_lt_i32 s58, 27
	s_cbranch_scc1 .LBB167_590
; %bb.588:
	s_cmp_gt_i32 s58, 27
	s_cbranch_scc0 .LBB167_591
; %bb.589:
	global_load_dword v3, v[1:2], off
	s_movk_i32 s0, 0x7fff
	s_waitcnt vmcnt(0)
	v_cvt_f32_u32_e32 v3, v3
	v_bfe_u32 v4, v3, 16, 1
	v_add3_u32 v3, v3, v4, s0
	v_lshrrev_b32_e32 v3, 16, v3
	s_mov_b64 s[0:1], 0
	s_branch .LBB167_592
.LBB167_590:
	s_mov_b64 s[0:1], -1
                                        ; implicit-def: $vgpr3
	s_branch .LBB167_595
.LBB167_591:
	s_mov_b64 s[0:1], -1
                                        ; implicit-def: $vgpr3
.LBB167_592:
	s_andn2_b64 vcc, exec, s[0:1]
	s_cbranch_vccnz .LBB167_594
; %bb.593:
	global_load_ushort v3, v[1:2], off
	s_movk_i32 s0, 0x7fff
	s_waitcnt vmcnt(0)
	v_cvt_f32_u32_e32 v3, v3
	v_bfe_u32 v4, v3, 16, 1
	v_add3_u32 v3, v3, v4, s0
	v_lshrrev_b32_e32 v3, 16, v3
.LBB167_594:
	s_mov_b64 s[0:1], 0
.LBB167_595:
	s_andn2_b64 vcc, exec, s[0:1]
	s_cbranch_vccnz .LBB167_603
; %bb.596:
	global_load_ubyte v3, v[1:2], off
	s_movk_i32 s0, 0x7f
	s_waitcnt vmcnt(0)
	v_cmp_lt_i16_e32 vcc, s0, v3
	s_mov_b64 s[0:1], 0
	s_and_saveexec_b64 s[52:53], vcc
	s_xor_b64 s[52:53], exec, s[52:53]
	s_cbranch_execz .LBB167_617
; %bb.597:
	s_movk_i32 s0, 0x80
	v_cmp_eq_u16_e32 vcc, s0, v3
	s_mov_b64 s[0:1], -1
	s_and_saveexec_b64 s[56:57], vcc
; %bb.598:
	s_xor_b64 s[0:1], exec, -1
; %bb.599:
	s_or_b64 exec, exec, s[56:57]
	s_and_b64 s[0:1], s[0:1], exec
	s_or_saveexec_b64 s[52:53], s[52:53]
	v_mov_b32_e32 v4, 0x7f800001
	s_xor_b64 exec, exec, s[52:53]
	s_cbranch_execnz .LBB167_618
.LBB167_600:
	s_or_b64 exec, exec, s[52:53]
	s_and_saveexec_b64 s[52:53], s[0:1]
	s_cbranch_execz .LBB167_602
.LBB167_601:
	v_lshlrev_b32_e32 v4, 24, v3
	v_and_b32_e32 v3, 0xffff, v3
	v_and_b32_e32 v7, 7, v3
	v_ffbh_u32_e32 v10, v7
	v_min_u32_e32 v10, 32, v10
	v_subrev_u32_e32 v11, 28, v10
	v_bfe_u32 v9, v3, 3, 4
	v_lshlrev_b32_e32 v3, v11, v3
	v_sub_u32_e32 v10, 29, v10
	v_and_b32_e32 v3, 7, v3
	v_cmp_eq_u32_e32 vcc, 0, v9
	v_cndmask_b32_e32 v9, v9, v10, vcc
	v_cndmask_b32_e32 v3, v7, v3, vcc
	v_mov_b32_e32 v7, 0x3b800000
	v_lshlrev_b32_e32 v3, 20, v3
	v_and_b32_e32 v4, 0x80000000, v4
	v_lshl_add_u32 v7, v9, 23, v7
	v_or3_b32 v4, v4, v7, v3
.LBB167_602:
	s_or_b64 exec, exec, s[52:53]
	v_bfe_u32 v3, v4, 16, 1
	s_movk_i32 s0, 0x7fff
	v_add3_u32 v3, v4, v3, s0
	v_cmp_o_f32_e32 vcc, v4, v4
	v_mov_b32_e32 v4, 0x7fc0
	v_cndmask_b32_sdwa v3, v4, v3, vcc dst_sel:DWORD dst_unused:UNUSED_PAD src0_sel:DWORD src1_sel:WORD_1
.LBB167_603:
	s_mov_b64 s[0:1], -1
	v_mov_b32_e32 v4, 0
.LBB167_604:
	s_mov_b64 s[52:53], 0
.LBB167_605:
	s_and_b64 vcc, exec, s[52:53]
	s_cbranch_vccz .LBB167_641
; %bb.606:
	s_cmp_gt_i32 s58, 22
	s_cbranch_scc0 .LBB167_616
; %bb.607:
	s_cmp_lt_i32 s58, 24
	s_cbranch_scc1 .LBB167_619
; %bb.608:
	s_cmp_gt_i32 s58, 24
	s_cbranch_scc0 .LBB167_620
; %bb.609:
	global_load_ubyte v3, v[1:2], off
	s_movk_i32 s0, 0x7f
	s_waitcnt vmcnt(0)
	v_cmp_lt_i16_e32 vcc, s0, v3
	s_mov_b64 s[0:1], 0
	s_and_saveexec_b64 s[52:53], vcc
	s_xor_b64 s[52:53], exec, s[52:53]
	s_cbranch_execz .LBB167_632
; %bb.610:
	s_movk_i32 s0, 0x80
	v_cmp_eq_u16_e32 vcc, s0, v3
	s_mov_b64 s[0:1], -1
	s_and_saveexec_b64 s[56:57], vcc
; %bb.611:
	s_xor_b64 s[0:1], exec, -1
; %bb.612:
	s_or_b64 exec, exec, s[56:57]
	s_and_b64 s[0:1], s[0:1], exec
	s_or_saveexec_b64 s[52:53], s[52:53]
	v_mov_b32_e32 v4, 0x7f800001
	s_xor_b64 exec, exec, s[52:53]
	s_cbranch_execnz .LBB167_633
.LBB167_613:
	s_or_b64 exec, exec, s[52:53]
	s_and_saveexec_b64 s[52:53], s[0:1]
	s_cbranch_execz .LBB167_615
.LBB167_614:
	v_lshlrev_b32_e32 v4, 24, v3
	v_and_b32_e32 v3, 0xffff, v3
	v_and_b32_e32 v7, 3, v3
	v_ffbh_u32_e32 v10, v7
	v_min_u32_e32 v10, 32, v10
	v_subrev_u32_e32 v11, 29, v10
	v_bfe_u32 v9, v3, 2, 5
	v_lshlrev_b32_e32 v3, v11, v3
	v_sub_u32_e32 v10, 30, v10
	v_and_b32_e32 v3, 3, v3
	v_cmp_eq_u32_e32 vcc, 0, v9
	v_cndmask_b32_e32 v9, v9, v10, vcc
	v_cndmask_b32_e32 v3, v7, v3, vcc
	v_mov_b32_e32 v7, 0x37800000
	v_lshlrev_b32_e32 v3, 21, v3
	v_and_b32_e32 v4, 0x80000000, v4
	v_lshl_add_u32 v7, v9, 23, v7
	v_or3_b32 v4, v4, v7, v3
.LBB167_615:
	s_or_b64 exec, exec, s[52:53]
	v_bfe_u32 v3, v4, 16, 1
	s_movk_i32 s0, 0x7fff
	v_add3_u32 v3, v4, v3, s0
	v_cmp_o_f32_e32 vcc, v4, v4
	v_mov_b32_e32 v4, 0x7fc0
	v_cndmask_b32_sdwa v3, v4, v3, vcc dst_sel:DWORD dst_unused:UNUSED_PAD src0_sel:DWORD src1_sel:WORD_1
	s_mov_b64 s[0:1], 0
	s_branch .LBB167_621
.LBB167_616:
	s_mov_b64 s[52:53], -1
                                        ; implicit-def: $vgpr3
	s_branch .LBB167_627
.LBB167_617:
	s_or_saveexec_b64 s[52:53], s[52:53]
	v_mov_b32_e32 v4, 0x7f800001
	s_xor_b64 exec, exec, s[52:53]
	s_cbranch_execz .LBB167_600
.LBB167_618:
	v_cmp_ne_u16_e32 vcc, 0, v3
	s_andn2_b64 s[0:1], s[0:1], exec
	s_and_b64 s[56:57], vcc, exec
	v_mov_b32_e32 v4, 0
	s_or_b64 s[0:1], s[0:1], s[56:57]
	s_or_b64 exec, exec, s[52:53]
	s_and_saveexec_b64 s[52:53], s[0:1]
	s_cbranch_execnz .LBB167_601
	s_branch .LBB167_602
.LBB167_619:
	s_mov_b64 s[0:1], -1
                                        ; implicit-def: $vgpr3
	s_branch .LBB167_624
.LBB167_620:
	s_mov_b64 s[0:1], -1
                                        ; implicit-def: $vgpr3
.LBB167_621:
	s_and_b64 vcc, exec, s[0:1]
	s_cbranch_vccz .LBB167_623
; %bb.622:
	global_load_ubyte v3, v[1:2], off
	s_mov_b32 s0, 0x7f800000
	s_brev_b32 s1, 1
	s_movk_i32 s52, 0x7fff
	s_waitcnt vmcnt(0)
	v_lshlrev_b32_e32 v3, 24, v3
	v_and_b32_e32 v4, 0x7f000000, v3
	v_ffbh_u32_e32 v7, v4
	v_min_u32_e32 v7, 32, v7
	v_sub_u32_e64 v7, v7, 4 clamp
	v_lshlrev_b32_e32 v10, v7, v4
	v_lshlrev_b32_e32 v7, 23, v7
	v_lshrrev_b32_e32 v10, 4, v10
	v_add_u32_e32 v9, 0x1000000, v4
	v_sub_u32_e32 v7, v10, v7
	v_ashrrev_i32_e32 v9, 8, v9
	v_add_u32_e32 v7, 0x3c000000, v7
	v_and_or_b32 v7, v9, s0, v7
	v_cmp_ne_u32_e32 vcc, 0, v4
	v_cndmask_b32_e32 v4, 0, v7, vcc
	v_and_or_b32 v3, v3, s1, v4
	v_bfe_u32 v4, v4, 16, 1
	v_add3_u32 v4, v3, v4, s52
	v_cmp_o_f32_e32 vcc, v3, v3
	v_mov_b32_e32 v3, 0x7fc0
	v_cndmask_b32_sdwa v3, v3, v4, vcc dst_sel:DWORD dst_unused:UNUSED_PAD src0_sel:DWORD src1_sel:WORD_1
.LBB167_623:
	s_mov_b64 s[0:1], 0
.LBB167_624:
	s_andn2_b64 vcc, exec, s[0:1]
	s_cbranch_vccnz .LBB167_626
; %bb.625:
	global_load_ubyte v3, v[1:2], off
	s_movk_i32 s0, 0x7f00
	s_brev_b32 s1, 16
	s_brev_b32 s52, 1
	s_movk_i32 s53, 0x7fff
	s_waitcnt vmcnt(0)
	v_lshlrev_b16_e32 v4, 8, v3
	v_lshlrev_b32_e32 v3, 25, v3
	v_lshrrev_b32_e32 v7, 4, v3
	v_and_or_b32 v9, v4, s0, 0.5
	v_or_b32_e32 v7, 0x70000000, v7
	v_add_f32_e32 v9, -0.5, v9
	v_mul_f32_e32 v7, 0x7800000, v7
	v_cmp_gt_u32_e32 vcc, s1, v3
	v_bfe_i32 v4, v4, 0, 16
	v_cndmask_b32_e32 v3, v7, v9, vcc
	v_and_or_b32 v4, v4, s52, v3
	v_bfe_u32 v3, v3, 16, 1
	v_add3_u32 v3, v4, v3, s53
	v_cmp_o_f32_e32 vcc, v4, v4
	v_mov_b32_e32 v4, 0x7fc0
	v_cndmask_b32_sdwa v3, v4, v3, vcc dst_sel:DWORD dst_unused:UNUSED_PAD src0_sel:DWORD src1_sel:WORD_1
.LBB167_626:
	s_mov_b64 s[52:53], 0
	s_mov_b64 s[0:1], -1
.LBB167_627:
	s_andn2_b64 vcc, exec, s[52:53]
	s_cbranch_vccnz .LBB167_640
; %bb.628:
	s_cmp_gt_i32 s58, 14
	s_cbranch_scc0 .LBB167_631
; %bb.629:
	s_cmp_eq_u32 s58, 15
	s_cbranch_scc0 .LBB167_634
; %bb.630:
	global_load_ushort v3, v[1:2], off
	s_mov_b64 s[0:1], -1
	s_mov_b64 s[50:51], 0
	s_branch .LBB167_635
.LBB167_631:
	s_mov_b64 s[52:53], -1
                                        ; implicit-def: $vgpr3
	s_branch .LBB167_636
.LBB167_632:
	s_or_saveexec_b64 s[52:53], s[52:53]
	v_mov_b32_e32 v4, 0x7f800001
	s_xor_b64 exec, exec, s[52:53]
	s_cbranch_execz .LBB167_613
.LBB167_633:
	v_cmp_ne_u16_e32 vcc, 0, v3
	s_andn2_b64 s[0:1], s[0:1], exec
	s_and_b64 s[56:57], vcc, exec
	v_mov_b32_e32 v4, 0
	s_or_b64 s[0:1], s[0:1], s[56:57]
	s_or_b64 exec, exec, s[52:53]
	s_and_saveexec_b64 s[52:53], s[0:1]
	s_cbranch_execnz .LBB167_614
	s_branch .LBB167_615
.LBB167_634:
	s_mov_b64 s[50:51], -1
                                        ; implicit-def: $vgpr3
.LBB167_635:
	s_mov_b64 s[52:53], 0
.LBB167_636:
	s_and_b64 vcc, exec, s[52:53]
	s_cbranch_vccz .LBB167_640
; %bb.637:
	s_cmp_eq_u32 s58, 11
	s_cbranch_scc0 .LBB167_639
; %bb.638:
	global_load_ubyte v3, v[1:2], off
	s_mov_b64 s[0:1], -1
	s_mov_b64 s[50:51], 0
	v_mov_b32_e32 v4, 0
	s_waitcnt vmcnt(0)
	v_cmp_ne_u16_e32 vcc, 0, v3
	v_cndmask_b32_e64 v3, 0, 1.0, vcc
	v_lshrrev_b32_e32 v3, 16, v3
	s_branch .LBB167_641
.LBB167_639:
	s_mov_b64 s[50:51], -1
                                        ; implicit-def: $vgpr3
.LBB167_640:
	v_mov_b32_e32 v4, 0
.LBB167_641:
	s_mov_b64 s[52:53], 0
.LBB167_642:
	s_and_b64 vcc, exec, s[52:53]
	s_cbranch_vccz .LBB167_693
; %bb.643:
	s_and_b32 s14, 0xffff, s14
	s_cmp_lt_i32 s14, 5
	s_cbranch_scc1 .LBB167_648
; %bb.644:
	s_cmp_lt_i32 s14, 8
	s_cbranch_scc1 .LBB167_649
; %bb.645:
	;; [unrolled: 3-line block ×3, first 2 shown]
	s_cmp_gt_i32 s14, 9
	s_cbranch_scc0 .LBB167_651
; %bb.647:
	global_load_dwordx4 v[9:12], v[1:2], off
	s_movk_i32 s0, 0x7fff
	v_mov_b32_e32 v7, 0x7fc0
	s_waitcnt vmcnt(0)
	v_cvt_f32_f64_e32 v3, v[9:10]
	v_cvt_f32_f64_e32 v4, v[11:12]
	v_mov_b32_e32 v9, 0x7fc00000
	v_bfe_u32 v10, v3, 16, 1
	v_bfe_u32 v11, v4, 16, 1
	v_cmp_o_f32_e32 vcc, v3, v3
	v_add3_u32 v3, v3, v10, s0
	v_add3_u32 v10, v4, v11, s0
	v_cndmask_b32_sdwa v3, v7, v3, vcc dst_sel:DWORD dst_unused:UNUSED_PAD src0_sel:DWORD src1_sel:WORD_1
	v_and_b32_e32 v7, 0xffff0000, v10
	v_cmp_o_f32_e32 vcc, v4, v4
	v_cndmask_b32_e32 v4, v9, v7, vcc
	s_mov_b64 s[0:1], 0
	s_branch .LBB167_652
.LBB167_648:
	s_mov_b64 s[0:1], -1
                                        ; implicit-def: $vgpr4
                                        ; implicit-def: $vgpr3
	s_branch .LBB167_671
.LBB167_649:
	s_mov_b64 s[0:1], -1
                                        ; implicit-def: $vgpr4
                                        ; implicit-def: $vgpr3
	s_branch .LBB167_658
.LBB167_650:
	s_mov_b64 s[0:1], -1
                                        ; implicit-def: $vgpr4
                                        ; implicit-def: $vgpr3
	s_branch .LBB167_655
.LBB167_651:
	s_mov_b64 s[0:1], -1
                                        ; implicit-def: $vgpr4
                                        ; implicit-def: $vgpr3
.LBB167_652:
	s_andn2_b64 vcc, exec, s[0:1]
	s_cbranch_vccnz .LBB167_654
; %bb.653:
	global_load_dwordx2 v[3:4], v[1:2], off
	s_movk_i32 s0, 0x7fff
	v_mov_b32_e32 v7, 0x7fc0
	v_mov_b32_e32 v9, 0x7fc00000
	s_waitcnt vmcnt(0)
	v_bfe_u32 v10, v3, 16, 1
	v_bfe_u32 v11, v4, 16, 1
	v_cmp_o_f32_e32 vcc, v3, v3
	v_add3_u32 v3, v3, v10, s0
	v_add3_u32 v10, v4, v11, s0
	v_cndmask_b32_sdwa v3, v7, v3, vcc dst_sel:DWORD dst_unused:UNUSED_PAD src0_sel:DWORD src1_sel:WORD_1
	v_and_b32_e32 v7, 0xffff0000, v10
	v_cmp_o_f32_e32 vcc, v4, v4
	v_cndmask_b32_e32 v4, v9, v7, vcc
.LBB167_654:
	s_mov_b64 s[0:1], 0
.LBB167_655:
	s_andn2_b64 vcc, exec, s[0:1]
	s_cbranch_vccnz .LBB167_657
; %bb.656:
	global_load_dword v4, v[1:2], off
	s_movk_i32 s0, 0x7fff
	s_waitcnt vmcnt(1)
	v_mov_b32_e32 v3, 0x7fc0
	v_mov_b32_e32 v10, 0x7fc00000
	s_waitcnt vmcnt(0)
	v_cvt_f32_f16_e32 v7, v4
	v_cvt_f32_f16_sdwa v9, v4 dst_sel:DWORD dst_unused:UNUSED_PAD src0_sel:WORD_1
	v_cmp_o_f16_e32 vcc, v4, v4
	v_bfe_u32 v11, v7, 16, 1
	v_bfe_u32 v12, v9, 16, 1
	v_add3_u32 v7, v7, v11, s0
	v_add3_u32 v9, v9, v12, s0
	v_cndmask_b32_sdwa v3, v3, v7, vcc dst_sel:DWORD dst_unused:UNUSED_PAD src0_sel:DWORD src1_sel:WORD_1
	v_and_b32_e32 v7, 0xffff0000, v9
	v_cmp_o_f16_sdwa vcc, v4, v4 src0_sel:WORD_1 src1_sel:WORD_1
	v_cndmask_b32_e32 v4, v10, v7, vcc
.LBB167_657:
	s_mov_b64 s[0:1], 0
.LBB167_658:
	s_andn2_b64 vcc, exec, s[0:1]
	s_cbranch_vccnz .LBB167_670
; %bb.659:
	s_cmp_lt_i32 s14, 6
	s_cbranch_scc1 .LBB167_662
; %bb.660:
	s_cmp_gt_i32 s14, 6
	s_cbranch_scc0 .LBB167_663
; %bb.661:
	global_load_dwordx2 v[3:4], v[1:2], off
	s_movk_i32 s0, 0x7fff
	s_waitcnt vmcnt(0)
	v_cvt_f32_f64_e32 v3, v[3:4]
	v_mov_b32_e32 v4, 0x7fc0
	v_bfe_u32 v7, v3, 16, 1
	v_cmp_o_f32_e32 vcc, v3, v3
	v_add3_u32 v3, v3, v7, s0
	v_cndmask_b32_sdwa v3, v4, v3, vcc dst_sel:DWORD dst_unused:UNUSED_PAD src0_sel:DWORD src1_sel:WORD_1
	s_mov_b64 s[0:1], 0
	s_branch .LBB167_664
.LBB167_662:
	s_mov_b64 s[0:1], -1
                                        ; implicit-def: $vgpr3
	s_branch .LBB167_667
.LBB167_663:
	s_mov_b64 s[0:1], -1
                                        ; implicit-def: $vgpr3
.LBB167_664:
	s_andn2_b64 vcc, exec, s[0:1]
	s_cbranch_vccnz .LBB167_666
; %bb.665:
	global_load_dword v3, v[1:2], off
	s_movk_i32 s0, 0x7fff
	v_mov_b32_e32 v4, 0x7fc0
	s_waitcnt vmcnt(0)
	v_bfe_u32 v7, v3, 16, 1
	v_cmp_o_f32_e32 vcc, v3, v3
	v_add3_u32 v3, v3, v7, s0
	v_cndmask_b32_sdwa v3, v4, v3, vcc dst_sel:DWORD dst_unused:UNUSED_PAD src0_sel:DWORD src1_sel:WORD_1
.LBB167_666:
	s_mov_b64 s[0:1], 0
.LBB167_667:
	s_andn2_b64 vcc, exec, s[0:1]
	s_cbranch_vccnz .LBB167_669
; %bb.668:
	global_load_ushort v3, v[1:2], off
	s_movk_i32 s0, 0x7fff
	v_mov_b32_e32 v7, 0x7fc0
	s_waitcnt vmcnt(0)
	v_cvt_f32_f16_e32 v4, v3
	v_cmp_o_f16_e32 vcc, v3, v3
	v_bfe_u32 v3, v4, 16, 1
	v_add3_u32 v3, v4, v3, s0
	v_cndmask_b32_sdwa v3, v7, v3, vcc dst_sel:DWORD dst_unused:UNUSED_PAD src0_sel:DWORD src1_sel:WORD_1
.LBB167_669:
	v_mov_b32_e32 v4, 0
.LBB167_670:
	s_mov_b64 s[0:1], 0
.LBB167_671:
	s_andn2_b64 vcc, exec, s[0:1]
	s_cbranch_vccnz .LBB167_692
; %bb.672:
	s_cmp_lt_i32 s14, 2
	s_cbranch_scc1 .LBB167_676
; %bb.673:
	s_cmp_lt_i32 s14, 3
	s_cbranch_scc1 .LBB167_677
; %bb.674:
	s_cmp_gt_i32 s14, 3
	s_cbranch_scc0 .LBB167_678
; %bb.675:
	global_load_dwordx2 v[3:4], v[1:2], off
	s_movk_i32 s0, 0x7fff
	s_waitcnt vmcnt(0)
	v_xor_b32_e32 v9, v3, v4
	v_ffbh_i32_e32 v7, v4
	v_ashrrev_i32_e32 v9, 31, v9
	v_add_u32_e32 v7, -1, v7
	v_add_u32_e32 v9, 32, v9
	v_min_u32_e32 v7, v7, v9
	v_lshlrev_b64 v[3:4], v7, v[3:4]
	v_min_u32_e32 v3, 1, v3
	v_or_b32_e32 v3, v4, v3
	v_cvt_f32_i32_e32 v3, v3
	v_sub_u32_e32 v4, 32, v7
	v_ldexp_f32 v3, v3, v4
	v_bfe_u32 v4, v3, 16, 1
	v_add3_u32 v3, v3, v4, s0
	v_lshrrev_b32_e32 v3, 16, v3
	s_mov_b64 s[0:1], 0
	s_branch .LBB167_679
.LBB167_676:
	s_mov_b64 s[0:1], -1
                                        ; implicit-def: $vgpr3
	s_branch .LBB167_685
.LBB167_677:
	s_mov_b64 s[0:1], -1
                                        ; implicit-def: $vgpr3
	s_branch .LBB167_682
.LBB167_678:
	s_mov_b64 s[0:1], -1
                                        ; implicit-def: $vgpr3
.LBB167_679:
	s_andn2_b64 vcc, exec, s[0:1]
	s_cbranch_vccnz .LBB167_681
; %bb.680:
	global_load_dword v3, v[1:2], off
	s_movk_i32 s0, 0x7fff
	s_waitcnt vmcnt(0)
	v_cvt_f32_i32_e32 v3, v3
	v_bfe_u32 v4, v3, 16, 1
	v_add3_u32 v3, v3, v4, s0
	v_lshrrev_b32_e32 v3, 16, v3
.LBB167_681:
	s_mov_b64 s[0:1], 0
.LBB167_682:
	s_andn2_b64 vcc, exec, s[0:1]
	s_cbranch_vccnz .LBB167_684
; %bb.683:
	global_load_sshort v3, v[1:2], off
	s_movk_i32 s0, 0x7fff
	s_waitcnt vmcnt(0)
	v_cvt_f32_i32_e32 v3, v3
	v_bfe_u32 v4, v3, 16, 1
	v_add3_u32 v3, v3, v4, s0
	v_lshrrev_b32_e32 v3, 16, v3
.LBB167_684:
	s_mov_b64 s[0:1], 0
.LBB167_685:
	s_andn2_b64 vcc, exec, s[0:1]
	s_cbranch_vccnz .LBB167_691
; %bb.686:
	s_cmp_gt_i32 s14, 0
	s_cbranch_scc0 .LBB167_688
; %bb.687:
	global_load_sbyte v3, v[1:2], off
	s_movk_i32 s0, 0x7fff
	s_waitcnt vmcnt(0)
	v_cvt_f32_i32_e32 v3, v3
	v_bfe_u32 v4, v3, 16, 1
	v_add3_u32 v3, v3, v4, s0
	v_lshrrev_b32_e32 v3, 16, v3
	s_mov_b64 s[0:1], 0
	s_branch .LBB167_689
.LBB167_688:
	s_mov_b64 s[0:1], -1
                                        ; implicit-def: $vgpr3
.LBB167_689:
	s_andn2_b64 vcc, exec, s[0:1]
	s_cbranch_vccnz .LBB167_691
; %bb.690:
	global_load_ubyte v1, v[1:2], off
	s_movk_i32 s0, 0x7fff
	s_waitcnt vmcnt(0)
	v_cvt_f32_ubyte0_e32 v1, v1
	v_bfe_u32 v2, v1, 16, 1
	v_add3_u32 v1, v1, v2, s0
	v_lshrrev_b32_e32 v3, 16, v1
.LBB167_691:
	v_mov_b32_e32 v4, 0
.LBB167_692:
	s_mov_b64 s[0:1], -1
.LBB167_693:
	s_andn2_b64 vcc, exec, s[0:1]
	s_cbranch_vccnz .LBB167_696
; %bb.694:
	s_waitcnt vmcnt(0)
	v_or_b32_sdwa v1, v6, v5 dst_sel:DWORD dst_unused:UNUSED_PAD src0_sel:DWORD src1_sel:WORD_0
	v_or_b32_sdwa v2, v4, v3 dst_sel:DWORD dst_unused:UNUSED_PAD src0_sel:DWORD src1_sel:WORD_0
	s_andn2_b64 vcc, exec, s[28:29]
	v_lshlrev_b32_e32 v1, 16, v1
	v_lshlrev_b32_e32 v2, 16, v2
	s_cbranch_vccnz .LBB167_697
; %bb.695:
	v_and_b32_e32 v3, 0xffff0000, v6
	v_and_b32_e32 v5, 0xffff0000, v4
	v_cmp_neq_f32_e32 vcc, v1, v2
	v_cmp_neq_f32_e64 s[0:1], v3, v5
	s_or_b64 s[52:53], vcc, s[0:1]
	s_mov_b64 s[0:1], 0
	s_branch .LBB167_698
.LBB167_696:
	s_mov_b64 s[56:57], 0
                                        ; implicit-def: $vgpr8
	s_mov_b64 s[0:1], s[40:41]
	s_branch .LBB167_822
.LBB167_697:
	s_mov_b64 s[0:1], -1
                                        ; implicit-def: $sgpr52_sgpr53
.LBB167_698:
	s_andn2_b64 vcc, exec, s[0:1]
	s_cbranch_vccnz .LBB167_700
; %bb.699:
	v_and_b32_e32 v3, 0xffff0000, v4
	v_and_b32_e32 v4, 0xffff0000, v6
	v_cmp_eq_f32_e32 vcc, v1, v2
	v_cmp_eq_f32_e64 s[0:1], v4, v3
	s_and_b64 s[0:1], vcc, s[0:1]
	s_andn2_b64 s[52:53], s[52:53], exec
	s_and_b64 s[0:1], s[0:1], exec
	s_or_b64 s[52:53], s[52:53], s[0:1]
.LBB167_700:
	v_mov_b32_e32 v1, s9
	s_and_b32 s14, s15, 0xff
	v_add_co_u32_e32 v0, vcc, s8, v0
	s_cmp_lt_i32 s14, 11
	v_addc_co_u32_e32 v1, vcc, 0, v1, vcc
	s_cbranch_scc1 .LBB167_707
; %bb.701:
	s_and_b32 s62, 0xffff, s14
	s_cmp_gt_i32 s62, 25
	s_cbranch_scc0 .LBB167_708
; %bb.702:
	s_cmp_gt_i32 s62, 28
	s_cbranch_scc0 .LBB167_709
; %bb.703:
	;; [unrolled: 3-line block ×4, first 2 shown]
	s_mov_b64 s[58:59], 0
	s_mov_b64 s[0:1], -1
	s_cmp_eq_u32 s62, 46
	s_mov_b64 s[56:57], 0
	s_cbranch_scc0 .LBB167_712
; %bb.706:
	v_cndmask_b32_e64 v2, 0, 1.0, s[52:53]
	v_bfe_u32 v3, v2, 16, 1
	s_movk_i32 s0, 0x7fff
	v_add3_u32 v2, v2, v3, s0
	v_lshrrev_b32_e32 v2, 16, v2
	global_store_dword v[0:1], v2, off
	s_mov_b64 s[56:57], -1
	s_mov_b64 s[0:1], 0
	s_branch .LBB167_712
.LBB167_707:
	s_mov_b64 s[58:59], -1
	s_mov_b64 s[56:57], 0
	s_mov_b64 s[0:1], s[40:41]
	s_branch .LBB167_781
.LBB167_708:
	s_mov_b64 s[58:59], -1
	s_mov_b64 s[56:57], 0
	s_mov_b64 s[0:1], s[40:41]
	s_branch .LBB167_739
.LBB167_709:
	s_mov_b64 s[58:59], -1
	s_mov_b64 s[56:57], 0
	s_mov_b64 s[0:1], s[40:41]
	s_branch .LBB167_722
.LBB167_710:
	s_mov_b64 s[58:59], -1
	s_mov_b64 s[56:57], 0
	s_mov_b64 s[0:1], s[40:41]
	s_branch .LBB167_718
.LBB167_711:
	s_mov_b64 s[58:59], -1
	s_mov_b64 s[56:57], 0
	s_mov_b64 s[0:1], s[40:41]
.LBB167_712:
	s_and_b64 vcc, exec, s[58:59]
	s_cbranch_vccz .LBB167_717
; %bb.713:
	s_cmp_eq_u32 s62, 44
	s_mov_b64 s[0:1], -1
	s_cbranch_scc0 .LBB167_717
; %bb.714:
	v_cndmask_b32_e64 v3, 0, 1.0, s[52:53]
	v_lshrrev_b32_e32 v2, 23, v3
	s_movk_i32 s0, 0xff
	v_cmp_ne_u32_e32 vcc, s0, v2
	v_mov_b32_e32 v4, 0xff
	s_and_saveexec_b64 s[56:57], vcc
; %bb.715:
	s_mov_b32 s0, 0x3fffff
	v_and_b32_e32 v4, 0x400000, v3
	v_and_or_b32 v3, v3, s0, v2
	v_cmp_ne_u32_e32 vcc, 0, v4
	v_cmp_ne_u32_e64 s[0:1], 0, v3
	s_and_b64 s[0:1], vcc, s[0:1]
	v_cndmask_b32_e64 v3, 0, 1, s[0:1]
	v_add_u32_e32 v4, v2, v3
; %bb.716:
	s_or_b64 exec, exec, s[56:57]
	s_mov_b64 s[56:57], -1
	s_mov_b64 s[0:1], 0
	global_store_byte v[0:1], v4, off
.LBB167_717:
	s_mov_b64 s[58:59], 0
.LBB167_718:
	s_and_b64 vcc, exec, s[58:59]
	s_cbranch_vccz .LBB167_721
; %bb.719:
	s_cmp_eq_u32 s62, 29
	s_mov_b64 s[0:1], -1
	s_cbranch_scc0 .LBB167_721
; %bb.720:
	s_mov_b32 s0, 0
	v_cndmask_b32_e64 v2, 0, 1, s[52:53]
	v_mov_b32_e32 v3, s0
	global_store_dwordx2 v[0:1], v[2:3], off
	s_mov_b64 s[56:57], -1
	s_mov_b64 s[0:1], 0
.LBB167_721:
	s_mov_b64 s[58:59], 0
.LBB167_722:
	s_and_b64 vcc, exec, s[58:59]
	s_cbranch_vccz .LBB167_738
; %bb.723:
	s_cmp_lt_i32 s62, 27
	s_mov_b64 s[56:57], -1
	s_cbranch_scc1 .LBB167_729
; %bb.724:
	s_cmp_gt_i32 s62, 27
	s_cbranch_scc0 .LBB167_726
; %bb.725:
	v_cndmask_b32_e64 v2, 0, 1, s[52:53]
	s_mov_b64 s[56:57], 0
	global_store_dword v[0:1], v2, off
.LBB167_726:
	s_andn2_b64 vcc, exec, s[56:57]
	s_cbranch_vccnz .LBB167_728
; %bb.727:
	v_cndmask_b32_e64 v2, 0, 1, s[52:53]
	global_store_short v[0:1], v2, off
.LBB167_728:
	s_mov_b64 s[56:57], 0
.LBB167_729:
	s_andn2_b64 vcc, exec, s[56:57]
	s_cbranch_vccnz .LBB167_737
; %bb.730:
	v_cndmask_b32_e64 v3, 0, 1.0, s[52:53]
	s_mov_b32 s56, 0x43800000
	v_cmp_gt_u32_e32 vcc, s56, v3
	v_mov_b32_e32 v4, 0x80
	s_and_saveexec_b64 s[56:57], vcc
	s_cbranch_execz .LBB167_736
; %bb.731:
	s_mov_b32 s58, 0x3bffffff
	v_cmp_lt_u32_e32 vcc, s58, v3
	s_mov_b64 s[58:59], 0
                                        ; implicit-def: $vgpr2
	s_and_saveexec_b64 s[60:61], vcc
	s_xor_b64 s[60:61], exec, s[60:61]
	s_cbranch_execz .LBB167_850
; %bb.732:
	v_bfe_u32 v2, v3, 20, 1
	s_mov_b32 s63, 0x487ffff
	v_add3_u32 v2, v3, v2, s63
	s_mov_b64 s[58:59], exec
	v_lshrrev_b32_e32 v2, 20, v2
                                        ; implicit-def: $vgpr3
	s_andn2_saveexec_b64 s[60:61], s[60:61]
	s_cbranch_execnz .LBB167_851
.LBB167_733:
	s_or_b64 exec, exec, s[60:61]
	v_mov_b32_e32 v4, 0
	s_and_saveexec_b64 s[60:61], s[58:59]
.LBB167_734:
	v_mov_b32_e32 v4, v2
.LBB167_735:
	s_or_b64 exec, exec, s[60:61]
.LBB167_736:
	s_or_b64 exec, exec, s[56:57]
	global_store_byte v[0:1], v4, off
.LBB167_737:
	s_mov_b64 s[56:57], -1
.LBB167_738:
	s_mov_b64 s[58:59], 0
.LBB167_739:
	s_and_b64 vcc, exec, s[58:59]
	s_cbranch_vccz .LBB167_780
; %bb.740:
	s_cmp_gt_i32 s62, 22
	s_mov_b64 s[58:59], -1
	s_cbranch_scc0 .LBB167_772
; %bb.741:
	s_cmp_lt_i32 s62, 24
	s_mov_b64 s[56:57], -1
	s_cbranch_scc1 .LBB167_761
; %bb.742:
	s_cmp_gt_i32 s62, 24
	s_cbranch_scc0 .LBB167_750
; %bb.743:
	v_cndmask_b32_e64 v3, 0, 1.0, s[52:53]
	s_mov_b32 s56, 0x47800000
	v_cmp_gt_u32_e32 vcc, s56, v3
	v_mov_b32_e32 v4, 0x80
	s_and_saveexec_b64 s[56:57], vcc
	s_cbranch_execz .LBB167_749
; %bb.744:
	s_mov_b32 s58, 0x37ffffff
	v_cmp_lt_u32_e32 vcc, s58, v3
	s_mov_b64 s[58:59], 0
                                        ; implicit-def: $vgpr2
	s_and_saveexec_b64 s[60:61], vcc
	s_xor_b64 s[60:61], exec, s[60:61]
	s_cbranch_execz .LBB167_987
; %bb.745:
	v_bfe_u32 v2, v3, 21, 1
	s_mov_b32 s63, 0x88fffff
	v_add3_u32 v2, v3, v2, s63
	s_mov_b64 s[58:59], exec
	v_lshrrev_b32_e32 v2, 21, v2
                                        ; implicit-def: $vgpr3
	s_andn2_saveexec_b64 s[60:61], s[60:61]
	s_cbranch_execnz .LBB167_988
.LBB167_746:
	s_or_b64 exec, exec, s[60:61]
	v_mov_b32_e32 v4, 0
	s_and_saveexec_b64 s[60:61], s[58:59]
.LBB167_747:
	v_mov_b32_e32 v4, v2
.LBB167_748:
	s_or_b64 exec, exec, s[60:61]
.LBB167_749:
	s_or_b64 exec, exec, s[56:57]
	s_mov_b64 s[56:57], 0
	global_store_byte v[0:1], v4, off
.LBB167_750:
	s_and_b64 vcc, exec, s[56:57]
	s_cbranch_vccz .LBB167_760
; %bb.751:
	v_cndmask_b32_e64 v2, 0, 1.0, s[52:53]
	s_mov_b32 s56, 0x43f00000
	v_cmp_gt_u32_e32 vcc, s56, v2
                                        ; implicit-def: $vgpr3
	s_and_saveexec_b64 s[56:57], vcc
	s_xor_b64 s[56:57], exec, s[56:57]
	s_cbranch_execz .LBB167_757
; %bb.752:
	s_mov_b32 s58, 0x3c7fffff
	v_cmp_lt_u32_e32 vcc, s58, v2
                                        ; implicit-def: $vgpr3
	s_and_saveexec_b64 s[58:59], vcc
	s_xor_b64 s[58:59], exec, s[58:59]
; %bb.753:
	v_bfe_u32 v3, v2, 20, 1
	s_mov_b32 s60, 0x407ffff
	v_add3_u32 v2, v2, v3, s60
	v_lshrrev_b32_e32 v3, 20, v2
	v_and_b32_e32 v2, 0xff00000, v2
	s_mov_b32 s60, 0x7f00000
	v_mov_b32_e32 v4, 0x7e
	v_cmp_ne_u32_e32 vcc, s60, v2
	v_cndmask_b32_e32 v3, v4, v3, vcc
                                        ; implicit-def: $vgpr2
; %bb.754:
	s_andn2_saveexec_b64 s[58:59], s[58:59]
; %bb.755:
	v_add_f32_e32 v3, 0x46800000, v2
; %bb.756:
	s_or_b64 exec, exec, s[58:59]
                                        ; implicit-def: $vgpr2
.LBB167_757:
	s_andn2_saveexec_b64 s[56:57], s[56:57]
; %bb.758:
	s_mov_b32 s58, 0x7f800000
	v_mov_b32_e32 v3, 0x7e
	v_mov_b32_e32 v4, 0x7f
	v_cmp_lt_u32_e32 vcc, s58, v2
	v_cndmask_b32_e32 v3, v3, v4, vcc
; %bb.759:
	s_or_b64 exec, exec, s[56:57]
	global_store_byte v[0:1], v3, off
.LBB167_760:
	s_mov_b64 s[56:57], 0
.LBB167_761:
	s_andn2_b64 vcc, exec, s[56:57]
	s_cbranch_vccnz .LBB167_771
; %bb.762:
	v_cndmask_b32_e64 v2, 0, 1.0, s[52:53]
	s_mov_b32 s56, 0x47800000
	v_cmp_gt_u32_e32 vcc, s56, v2
                                        ; implicit-def: $vgpr3
	s_and_saveexec_b64 s[56:57], vcc
	s_xor_b64 s[56:57], exec, s[56:57]
	s_cbranch_execz .LBB167_768
; %bb.763:
	s_mov_b32 s58, 0x387fffff
	v_cmp_lt_u32_e32 vcc, s58, v2
                                        ; implicit-def: $vgpr3
	s_and_saveexec_b64 s[58:59], vcc
	s_xor_b64 s[58:59], exec, s[58:59]
; %bb.764:
	v_bfe_u32 v3, v2, 21, 1
	s_mov_b32 s60, 0x80fffff
	v_add3_u32 v2, v2, v3, s60
	v_lshrrev_b32_e32 v3, 21, v2
                                        ; implicit-def: $vgpr2
; %bb.765:
	s_andn2_saveexec_b64 s[58:59], s[58:59]
; %bb.766:
	v_add_f32_e32 v3, 0x43000000, v2
; %bb.767:
	s_or_b64 exec, exec, s[58:59]
                                        ; implicit-def: $vgpr2
.LBB167_768:
	s_andn2_saveexec_b64 s[56:57], s[56:57]
; %bb.769:
	s_mov_b32 s58, 0x7f800000
	v_mov_b32_e32 v3, 0x7c
	v_mov_b32_e32 v4, 0x7f
	v_cmp_lt_u32_e32 vcc, s58, v2
	v_cndmask_b32_e32 v3, v3, v4, vcc
; %bb.770:
	s_or_b64 exec, exec, s[56:57]
	global_store_byte v[0:1], v3, off
.LBB167_771:
	s_mov_b64 s[58:59], 0
	s_mov_b64 s[56:57], -1
.LBB167_772:
	s_andn2_b64 vcc, exec, s[58:59]
	s_cbranch_vccnz .LBB167_780
; %bb.773:
	s_cmp_gt_i32 s62, 14
	s_mov_b64 s[58:59], -1
	s_cbranch_scc0 .LBB167_777
; %bb.774:
	s_cmp_eq_u32 s62, 15
	s_mov_b64 s[0:1], -1
	s_cbranch_scc0 .LBB167_776
; %bb.775:
	v_cndmask_b32_e64 v2, 0, 1.0, s[52:53]
	v_bfe_u32 v3, v2, 16, 1
	s_movk_i32 s0, 0x7fff
	v_add3_u32 v2, v2, v3, s0
	global_store_short_d16_hi v[0:1], v2, off
	s_mov_b64 s[56:57], -1
	s_mov_b64 s[0:1], 0
.LBB167_776:
	s_mov_b64 s[58:59], 0
.LBB167_777:
	s_and_b64 vcc, exec, s[58:59]
	s_cbranch_vccz .LBB167_780
; %bb.778:
	s_cmp_eq_u32 s62, 11
	s_mov_b64 s[0:1], -1
	s_cbranch_scc0 .LBB167_780
; %bb.779:
	v_cndmask_b32_e64 v2, 0, 1, s[52:53]
	s_mov_b64 s[56:57], -1
	s_mov_b64 s[0:1], 0
	global_store_byte v[0:1], v2, off
.LBB167_780:
	s_mov_b64 s[58:59], 0
.LBB167_781:
	s_and_b64 vcc, exec, s[58:59]
	s_cbranch_vccz .LBB167_820
; %bb.782:
	s_and_b32 s14, 0xffff, s14
	s_cmp_lt_i32 s14, 5
	s_mov_b64 s[56:57], -1
	s_cbranch_scc1 .LBB167_803
; %bb.783:
	s_cmp_lt_i32 s14, 8
	s_cbranch_scc1 .LBB167_793
; %bb.784:
	s_cmp_lt_i32 s14, 9
	s_cbranch_scc1 .LBB167_790
; %bb.785:
	s_cmp_gt_i32 s14, 9
	s_cbranch_scc0 .LBB167_787
; %bb.786:
	v_cndmask_b32_e64 v2, 0, 1, s[52:53]
	v_cvt_f64_u32_e32 v[2:3], v2
	v_mov_b32_e32 v4, 0
	v_mov_b32_e32 v5, v4
	s_mov_b64 s[56:57], 0
	global_store_dwordx4 v[0:1], v[2:5], off
.LBB167_787:
	s_andn2_b64 vcc, exec, s[56:57]
	s_cbranch_vccnz .LBB167_789
; %bb.788:
	v_cndmask_b32_e64 v2, 0, 1.0, s[52:53]
	v_mov_b32_e32 v3, 0
	global_store_dwordx2 v[0:1], v[2:3], off
.LBB167_789:
	s_mov_b64 s[56:57], 0
.LBB167_790:
	s_andn2_b64 vcc, exec, s[56:57]
	s_cbranch_vccnz .LBB167_792
; %bb.791:
	v_cndmask_b32_e64 v2, 0, 1.0, s[52:53]
	v_cvt_f16_f32_e32 v2, v2
	global_store_dword v[0:1], v2, off
.LBB167_792:
	s_mov_b64 s[56:57], 0
.LBB167_793:
	s_andn2_b64 vcc, exec, s[56:57]
	s_cbranch_vccnz .LBB167_802
; %bb.794:
	s_cmp_lt_i32 s14, 6
	s_mov_b64 s[56:57], -1
	s_cbranch_scc1 .LBB167_800
; %bb.795:
	s_cmp_gt_i32 s14, 6
	s_cbranch_scc0 .LBB167_797
; %bb.796:
	v_cndmask_b32_e64 v2, 0, 1, s[52:53]
	v_cvt_f64_u32_e32 v[2:3], v2
	s_mov_b64 s[56:57], 0
	global_store_dwordx2 v[0:1], v[2:3], off
.LBB167_797:
	s_andn2_b64 vcc, exec, s[56:57]
	s_cbranch_vccnz .LBB167_799
; %bb.798:
	v_cndmask_b32_e64 v2, 0, 1.0, s[52:53]
	global_store_dword v[0:1], v2, off
.LBB167_799:
	s_mov_b64 s[56:57], 0
.LBB167_800:
	s_andn2_b64 vcc, exec, s[56:57]
	s_cbranch_vccnz .LBB167_802
; %bb.801:
	v_cndmask_b32_e64 v2, 0, 1.0, s[52:53]
	v_cvt_f16_f32_e32 v2, v2
	global_store_short v[0:1], v2, off
.LBB167_802:
	s_mov_b64 s[56:57], 0
.LBB167_803:
	s_andn2_b64 vcc, exec, s[56:57]
	s_cbranch_vccnz .LBB167_819
; %bb.804:
	s_cmp_lt_i32 s14, 2
	s_mov_b64 s[56:57], -1
	s_cbranch_scc1 .LBB167_814
; %bb.805:
	s_cmp_lt_i32 s14, 3
	s_cbranch_scc1 .LBB167_811
; %bb.806:
	s_cmp_gt_i32 s14, 3
	s_cbranch_scc0 .LBB167_808
; %bb.807:
	s_mov_b32 s56, 0
	v_cndmask_b32_e64 v2, 0, 1, s[52:53]
	v_mov_b32_e32 v3, s56
	s_mov_b64 s[56:57], 0
	global_store_dwordx2 v[0:1], v[2:3], off
.LBB167_808:
	s_andn2_b64 vcc, exec, s[56:57]
	s_cbranch_vccnz .LBB167_810
; %bb.809:
	v_cndmask_b32_e64 v2, 0, 1, s[52:53]
	global_store_dword v[0:1], v2, off
.LBB167_810:
	s_mov_b64 s[56:57], 0
.LBB167_811:
	s_andn2_b64 vcc, exec, s[56:57]
	s_cbranch_vccnz .LBB167_813
; %bb.812:
	v_cndmask_b32_e64 v2, 0, 1, s[52:53]
	global_store_short v[0:1], v2, off
.LBB167_813:
	s_mov_b64 s[56:57], 0
.LBB167_814:
	s_andn2_b64 vcc, exec, s[56:57]
	s_cbranch_vccnz .LBB167_819
; %bb.815:
	s_mov_b64 s[56:57], -1
	s_cmp_gt_i32 s14, 0
	v_cndmask_b32_e64 v2, 0, 1, s[52:53]
	s_cbranch_scc0 .LBB167_817
; %bb.816:
	s_mov_b64 s[56:57], 0
	global_store_byte v[0:1], v2, off
.LBB167_817:
	s_andn2_b64 vcc, exec, s[56:57]
	s_cbranch_vccnz .LBB167_819
; %bb.818:
	global_store_byte v[0:1], v2, off
.LBB167_819:
	s_mov_b64 s[56:57], -1
.LBB167_820:
	s_andn2_b64 vcc, exec, s[56:57]
	s_cbranch_vccnz .LBB167_832
; %bb.821:
	v_add_u32_e32 v8, 0x80, v8
	s_mov_b64 s[56:57], -1
.LBB167_822:
	s_andn2_b64 s[52:53], s[40:41], exec
	s_and_b64 s[0:1], s[0:1], exec
	s_or_b64 s[52:53], s[52:53], s[0:1]
	s_andn2_b64 s[0:1], s[42:43], exec
	s_and_b64 s[50:51], s[50:51], exec
	s_or_b64 s[50:51], s[0:1], s[50:51]
	;; [unrolled: 3-line block ×3, first 2 shown]
	s_orn2_b64 s[0:1], s[56:57], exec
.LBB167_823:
	s_or_b64 exec, exec, s[54:55]
	s_mov_b64 s[56:57], 0
	s_mov_b64 s[58:59], 0
	;; [unrolled: 1-line block ×3, first 2 shown]
                                        ; implicit-def: $sgpr14
                                        ; implicit-def: $vgpr3_vgpr4
                                        ; implicit-def: $vgpr0
                                        ; implicit-def: $vgpr2
                                        ; implicit-def: $vgpr6
                                        ; implicit-def: $vgpr5
	s_and_saveexec_b64 s[54:55], s[0:1]
	s_cbranch_execz .LBB167_1338
; %bb.824:
	v_cmp_gt_i32_e32 vcc, s70, v8
	s_mov_b64 s[68:69], -1
	s_mov_b64 s[0:1], s[48:49]
	s_mov_b64 s[60:61], s[50:51]
	;; [unrolled: 1-line block ×3, first 2 shown]
	s_and_saveexec_b64 s[56:57], vcc
	s_cbranch_execz .LBB167_1239
; %bb.825:
	s_andn2_b64 vcc, exec, s[24:25]
	s_cbranch_vccnz .LBB167_831
; %bb.826:
	s_andn2_b64 vcc, exec, s[38:39]
	s_cbranch_vccnz .LBB167_833
; %bb.827:
	s_add_i32 s0, s75, 1
	s_and_b32 s14, s0, 30
	s_add_u32 s0, s2, 0xffffffe8
	s_addc_u32 s1, s3, -1
	v_mov_b32_e32 v2, 0
	v_mov_b32_e32 v4, 0
	;; [unrolled: 1-line block ×4, first 2 shown]
.LBB167_828:                            ; =>This Inner Loop Header: Depth=1
	s_load_dwordx4 s[60:63], s[0:1], 0x1c
	s_load_dwordx2 s[58:59], s[0:1], 0x2c
	s_load_dwordx2 s[68:69], s[0:1], 0xec
	s_load_dwordx4 s[64:67], s[0:1], 0xdc
	s_add_u32 s0, s0, 24
	s_waitcnt vmcnt(0) lgkmcnt(0)
	v_mul_hi_u32 v3, s61, v1
	s_addc_u32 s1, s1, 0
	s_add_i32 s14, s14, -2
	s_cmp_eq_u32 s14, 0
	v_add_u32_e32 v3, v1, v3
	v_lshrrev_b32_e32 v3, s62, v3
	v_mul_lo_u32 v5, v3, s60
	v_mul_hi_u32 v6, s58, v3
	v_sub_u32_e32 v5, v1, v5
	v_add_u32_e32 v1, v3, v6
	v_lshrrev_b32_e32 v1, s59, v1
	v_mul_lo_u32 v9, v1, s63
	v_mul_lo_u32 v6, v5, s64
	;; [unrolled: 1-line block ×4, first 2 shown]
	v_sub_u32_e32 v3, v3, v9
	v_mul_lo_u32 v9, v3, s67
	v_mul_lo_u32 v10, v3, s68
	;; [unrolled: 1-line block ×3, first 2 shown]
	v_add3_u32 v0, v6, v0, v9
	v_add3_u32 v4, v7, v4, v10
	;; [unrolled: 1-line block ×3, first 2 shown]
	s_cbranch_scc0 .LBB167_828
; %bb.829:
	s_bitcmp1_b32 s75, 0
	s_cselect_b64 s[58:59], -1, 0
	s_and_b64 vcc, exec, s[58:59]
	s_cbranch_vccnz .LBB167_834
; %bb.830:
	s_load_dwordx2 s[58:59], s[0:1], 0x1c
	s_load_dword s14, s[0:1], 0x24
	s_load_dwordx2 s[60:61], s[0:1], 0xdc
	s_waitcnt lgkmcnt(0)
	v_mul_hi_u32 v3, s59, v1
	v_add_u32_e32 v3, v1, v3
	v_lshrrev_b32_e32 v3, s14, v3
	v_mul_lo_u32 v3, v3, s58
	s_load_dword s14, s[0:1], 0xe4
	v_sub_u32_e32 v3, v1, v3
	v_mad_u64_u32 v[0:1], s[0:1], v3, s60, v[0:1]
	v_mad_u64_u32 v[4:5], s[0:1], v3, s61, v[4:5]
	s_waitcnt lgkmcnt(0)
	v_mad_u64_u32 v[2:3], s[0:1], v3, s14, v[2:3]
	s_branch .LBB167_834
.LBB167_831:
	s_mov_b64 s[0:1], -1
                                        ; implicit-def: $vgpr0
                                        ; implicit-def: $vgpr4
                                        ; implicit-def: $vgpr2
	s_branch .LBB167_835
.LBB167_832:
	s_mov_b64 s[56:57], 0
	s_branch .LBB167_570
.LBB167_833:
	v_mov_b32_e32 v0, 0
	v_mov_b32_e32 v4, 0
	;; [unrolled: 1-line block ×3, first 2 shown]
.LBB167_834:
	s_mov_b64 s[0:1], 0
.LBB167_835:
	s_andn2_b64 vcc, exec, s[0:1]
	s_cbranch_vccnz .LBB167_838
; %bb.836:
	v_mul_hi_u32 v0, s17, v8
	s_andn2_b64 vcc, exec, s[36:37]
	v_add_u32_e32 v0, v8, v0
	v_lshrrev_b32_e32 v1, s18, v0
	v_mul_lo_u32 v0, v1, s16
	v_sub_u32_e32 v2, v8, v0
	v_mul_lo_u32 v0, v2, s20
	v_mul_lo_u32 v4, v2, s21
	;; [unrolled: 1-line block ×3, first 2 shown]
	s_cbranch_vccnz .LBB167_838
; %bb.837:
	s_waitcnt vmcnt(0)
	v_mul_hi_u32 v3, s34, v1
	v_add_u32_e32 v3, v1, v3
	v_lshrrev_b32_e32 v3, s35, v3
	v_mul_lo_u32 v3, v3, s19
	v_sub_u32_e32 v3, v1, v3
	v_mad_u64_u32 v[0:1], s[0:1], v3, s23, v[0:1]
	v_mad_u64_u32 v[4:5], s[0:1], v3, s30, v[4:5]
	;; [unrolled: 1-line block ×3, first 2 shown]
.LBB167_838:
	v_mov_b32_e32 v1, s11
	s_and_b32 s14, s74, 0xff
	s_waitcnt vmcnt(0)
	v_add_co_u32_e32 v3, vcc, s10, v4
	s_cmp_lt_i32 s14, 11
	v_addc_co_u32_e32 v4, vcc, 0, v1, vcc
	s_cbranch_scc1 .LBB167_845
; %bb.839:
	s_and_b32 s64, 0xffff, s14
	s_cmp_gt_i32 s64, 25
	s_cbranch_scc0 .LBB167_846
; %bb.840:
	s_cmp_gt_i32 s64, 28
	s_cbranch_scc0 .LBB167_847
; %bb.841:
	;; [unrolled: 3-line block ×4, first 2 shown]
	s_cmp_eq_u32 s64, 46
	s_mov_b64 s[60:61], 0
	s_cbranch_scc0 .LBB167_852
; %bb.844:
	global_load_dword v5, v[3:4], off
	s_mov_b64 s[0:1], -1
	s_mov_b64 s[58:59], 0
	s_waitcnt vmcnt(0)
	v_and_b32_e32 v6, 0xffff0000, v5
	s_branch .LBB167_853
.LBB167_845:
	s_mov_b64 s[60:61], -1
	s_mov_b64 s[0:1], 0
                                        ; implicit-def: $vgpr6
                                        ; implicit-def: $vgpr5
	s_mov_b64 s[58:59], s[48:49]
	s_branch .LBB167_921
.LBB167_846:
	s_mov_b64 s[60:61], -1
	s_mov_b64 s[0:1], 0
	s_mov_b64 s[58:59], s[48:49]
                                        ; implicit-def: $vgpr6
                                        ; implicit-def: $vgpr5
	s_branch .LBB167_884
.LBB167_847:
	s_mov_b64 s[60:61], -1
	s_mov_b64 s[0:1], 0
	s_mov_b64 s[58:59], s[48:49]
                                        ; implicit-def: $vgpr6
                                        ; implicit-def: $vgpr5
	s_branch .LBB167_865
.LBB167_848:
	s_mov_b64 s[60:61], -1
	s_mov_b64 s[0:1], 0
	s_mov_b64 s[58:59], s[48:49]
                                        ; implicit-def: $vgpr6
                                        ; implicit-def: $vgpr5
	s_branch .LBB167_859
.LBB167_849:
	s_mov_b64 s[60:61], -1
	s_mov_b64 s[0:1], 0
	s_mov_b64 s[58:59], s[48:49]
                                        ; implicit-def: $vgpr6
                                        ; implicit-def: $vgpr5
	s_branch .LBB167_853
.LBB167_850:
	s_andn2_saveexec_b64 s[60:61], s[60:61]
	s_cbranch_execz .LBB167_733
.LBB167_851:
	v_add_f32_e32 v2, 0x46000000, v3
	v_and_b32_e32 v2, 0xff, v2
	v_cmp_ne_u32_e32 vcc, 0, v2
	s_andn2_b64 s[58:59], s[58:59], exec
	s_and_b64 s[64:65], vcc, exec
	s_or_b64 s[58:59], s[58:59], s[64:65]
	s_or_b64 exec, exec, s[60:61]
	v_mov_b32_e32 v4, 0
	s_and_saveexec_b64 s[60:61], s[58:59]
	s_cbranch_execnz .LBB167_734
	s_branch .LBB167_735
.LBB167_852:
	s_mov_b64 s[58:59], -1
                                        ; implicit-def: $vgpr6
                                        ; implicit-def: $vgpr5
	s_mov_b64 s[0:1], 0
.LBB167_853:
	s_and_b64 vcc, exec, s[60:61]
	s_cbranch_vccz .LBB167_858
; %bb.854:
	s_cmp_eq_u32 s64, 44
	s_cbranch_scc0 .LBB167_856
; %bb.855:
	global_load_ubyte v1, v[3:4], off
	s_movk_i32 s58, 0xff
	v_mov_b32_e32 v5, 0x7f800001
	v_mov_b32_e32 v6, 0x400000
	;; [unrolled: 1-line block ×3, first 2 shown]
	s_mov_b64 s[0:1], -1
	s_waitcnt vmcnt(0)
	v_lshlrev_b32_e32 v9, 23, v1
	v_cmp_ne_u32_e32 vcc, s58, v1
	v_cndmask_b32_e32 v5, v5, v9, vcc
	v_cmp_ne_u32_e32 vcc, 0, v1
	v_cndmask_b32_e32 v1, v6, v5, vcc
	v_add_u32_e32 v5, 0x7fff, v1
	v_cmp_o_f32_e32 vcc, v1, v1
	v_cndmask_b32_sdwa v5, v7, v5, vcc dst_sel:DWORD dst_unused:UNUSED_PAD src0_sel:DWORD src1_sel:WORD_1
	s_mov_b64 s[58:59], 0
	s_branch .LBB167_857
.LBB167_856:
	s_mov_b64 s[58:59], -1
                                        ; implicit-def: $vgpr5
.LBB167_857:
	v_mov_b32_e32 v6, 0
.LBB167_858:
	s_mov_b64 s[60:61], 0
.LBB167_859:
	s_and_b64 vcc, exec, s[60:61]
	s_cbranch_vccz .LBB167_864
; %bb.860:
	s_cmp_eq_u32 s64, 29
	s_cbranch_scc0 .LBB167_862
; %bb.861:
	global_load_dwordx2 v[5:6], v[3:4], off
	s_movk_i32 s58, 0x7fff
	s_mov_b64 s[0:1], -1
	s_waitcnt vmcnt(0)
	v_ffbh_u32_e32 v1, v6
	v_min_u32_e32 v1, 32, v1
	v_lshlrev_b64 v[5:6], v1, v[5:6]
	v_sub_u32_e32 v1, 32, v1
	v_min_u32_e32 v5, 1, v5
	v_or_b32_e32 v5, v6, v5
	v_cvt_f32_u32_e32 v5, v5
	v_ldexp_f32 v1, v5, v1
	v_bfe_u32 v5, v1, 16, 1
	v_add3_u32 v1, v1, v5, s58
	v_lshrrev_b32_e32 v5, 16, v1
	s_mov_b64 s[58:59], 0
	s_branch .LBB167_863
.LBB167_862:
	s_mov_b64 s[58:59], -1
                                        ; implicit-def: $vgpr5
.LBB167_863:
	v_mov_b32_e32 v6, 0
.LBB167_864:
	s_mov_b64 s[60:61], 0
.LBB167_865:
	s_and_b64 vcc, exec, s[60:61]
	s_cbranch_vccz .LBB167_883
; %bb.866:
	s_cmp_lt_i32 s64, 27
	s_cbranch_scc1 .LBB167_869
; %bb.867:
	s_cmp_gt_i32 s64, 27
	s_cbranch_scc0 .LBB167_870
; %bb.868:
	global_load_dword v1, v[3:4], off
	s_movk_i32 s0, 0x7fff
	s_waitcnt vmcnt(0)
	v_cvt_f32_u32_e32 v1, v1
	v_bfe_u32 v5, v1, 16, 1
	v_add3_u32 v1, v1, v5, s0
	v_lshrrev_b32_e32 v5, 16, v1
	s_mov_b64 s[0:1], 0
	s_branch .LBB167_871
.LBB167_869:
	s_mov_b64 s[0:1], -1
                                        ; implicit-def: $vgpr5
	s_branch .LBB167_874
.LBB167_870:
	s_mov_b64 s[0:1], -1
                                        ; implicit-def: $vgpr5
.LBB167_871:
	s_andn2_b64 vcc, exec, s[0:1]
	s_cbranch_vccnz .LBB167_873
; %bb.872:
	global_load_ushort v1, v[3:4], off
	s_movk_i32 s0, 0x7fff
	s_waitcnt vmcnt(0)
	v_cvt_f32_u32_e32 v1, v1
	v_bfe_u32 v5, v1, 16, 1
	v_add3_u32 v1, v1, v5, s0
	v_lshrrev_b32_e32 v5, 16, v1
.LBB167_873:
	s_mov_b64 s[0:1], 0
.LBB167_874:
	s_andn2_b64 vcc, exec, s[0:1]
	s_cbranch_vccnz .LBB167_882
; %bb.875:
	global_load_ubyte v1, v[3:4], off
	s_movk_i32 s0, 0x7f
	s_waitcnt vmcnt(0)
	v_cmp_lt_i16_e32 vcc, s0, v1
	s_mov_b64 s[0:1], 0
	s_and_saveexec_b64 s[60:61], vcc
	s_xor_b64 s[60:61], exec, s[60:61]
	s_cbranch_execz .LBB167_896
; %bb.876:
	s_movk_i32 s0, 0x80
	v_cmp_eq_u16_e32 vcc, s0, v1
	s_mov_b64 s[0:1], -1
	s_and_saveexec_b64 s[62:63], vcc
; %bb.877:
	s_xor_b64 s[0:1], exec, -1
; %bb.878:
	s_or_b64 exec, exec, s[62:63]
	s_and_b64 s[0:1], s[0:1], exec
	s_or_saveexec_b64 s[60:61], s[60:61]
	v_mov_b32_e32 v5, 0x7f800001
	s_xor_b64 exec, exec, s[60:61]
	s_cbranch_execnz .LBB167_897
.LBB167_879:
	s_or_b64 exec, exec, s[60:61]
	s_and_saveexec_b64 s[60:61], s[0:1]
	s_cbranch_execz .LBB167_881
.LBB167_880:
	v_lshlrev_b32_e32 v5, 24, v1
	v_and_b32_e32 v1, 0xffff, v1
	v_and_b32_e32 v6, 7, v1
	v_ffbh_u32_e32 v9, v6
	v_min_u32_e32 v9, 32, v9
	v_subrev_u32_e32 v10, 28, v9
	v_bfe_u32 v7, v1, 3, 4
	v_lshlrev_b32_e32 v1, v10, v1
	v_sub_u32_e32 v9, 29, v9
	v_and_b32_e32 v1, 7, v1
	v_cmp_eq_u32_e32 vcc, 0, v7
	v_cndmask_b32_e32 v7, v7, v9, vcc
	v_cndmask_b32_e32 v1, v6, v1, vcc
	v_mov_b32_e32 v6, 0x3b800000
	v_lshlrev_b32_e32 v1, 20, v1
	v_and_b32_e32 v5, 0x80000000, v5
	v_lshl_add_u32 v6, v7, 23, v6
	v_or3_b32 v5, v5, v6, v1
.LBB167_881:
	s_or_b64 exec, exec, s[60:61]
	v_bfe_u32 v1, v5, 16, 1
	s_movk_i32 s0, 0x7fff
	v_add3_u32 v1, v5, v1, s0
	v_cmp_o_f32_e32 vcc, v5, v5
	v_mov_b32_e32 v5, 0x7fc0
	v_cndmask_b32_sdwa v5, v5, v1, vcc dst_sel:DWORD dst_unused:UNUSED_PAD src0_sel:DWORD src1_sel:WORD_1
.LBB167_882:
	s_mov_b64 s[0:1], -1
	v_mov_b32_e32 v6, 0
.LBB167_883:
	s_mov_b64 s[60:61], 0
.LBB167_884:
	s_and_b64 vcc, exec, s[60:61]
	s_cbranch_vccz .LBB167_920
; %bb.885:
	s_cmp_gt_i32 s64, 22
	s_cbranch_scc0 .LBB167_895
; %bb.886:
	s_cmp_lt_i32 s64, 24
	s_cbranch_scc1 .LBB167_898
; %bb.887:
	s_cmp_gt_i32 s64, 24
	s_cbranch_scc0 .LBB167_899
; %bb.888:
	global_load_ubyte v1, v[3:4], off
	s_movk_i32 s0, 0x7f
	s_waitcnt vmcnt(0)
	v_cmp_lt_i16_e32 vcc, s0, v1
	s_mov_b64 s[0:1], 0
	s_and_saveexec_b64 s[60:61], vcc
	s_xor_b64 s[60:61], exec, s[60:61]
	s_cbranch_execz .LBB167_911
; %bb.889:
	s_movk_i32 s0, 0x80
	v_cmp_eq_u16_e32 vcc, s0, v1
	s_mov_b64 s[0:1], -1
	s_and_saveexec_b64 s[62:63], vcc
; %bb.890:
	s_xor_b64 s[0:1], exec, -1
; %bb.891:
	s_or_b64 exec, exec, s[62:63]
	s_and_b64 s[0:1], s[0:1], exec
	s_or_saveexec_b64 s[60:61], s[60:61]
	v_mov_b32_e32 v5, 0x7f800001
	s_xor_b64 exec, exec, s[60:61]
	s_cbranch_execnz .LBB167_912
.LBB167_892:
	s_or_b64 exec, exec, s[60:61]
	s_and_saveexec_b64 s[60:61], s[0:1]
	s_cbranch_execz .LBB167_894
.LBB167_893:
	v_lshlrev_b32_e32 v5, 24, v1
	v_and_b32_e32 v1, 0xffff, v1
	v_and_b32_e32 v6, 3, v1
	v_ffbh_u32_e32 v9, v6
	v_min_u32_e32 v9, 32, v9
	v_subrev_u32_e32 v10, 29, v9
	v_bfe_u32 v7, v1, 2, 5
	v_lshlrev_b32_e32 v1, v10, v1
	v_sub_u32_e32 v9, 30, v9
	v_and_b32_e32 v1, 3, v1
	v_cmp_eq_u32_e32 vcc, 0, v7
	v_cndmask_b32_e32 v7, v7, v9, vcc
	v_cndmask_b32_e32 v1, v6, v1, vcc
	v_mov_b32_e32 v6, 0x37800000
	v_lshlrev_b32_e32 v1, 21, v1
	v_and_b32_e32 v5, 0x80000000, v5
	v_lshl_add_u32 v6, v7, 23, v6
	v_or3_b32 v5, v5, v6, v1
.LBB167_894:
	s_or_b64 exec, exec, s[60:61]
	v_bfe_u32 v1, v5, 16, 1
	s_movk_i32 s0, 0x7fff
	v_add3_u32 v1, v5, v1, s0
	v_cmp_o_f32_e32 vcc, v5, v5
	v_mov_b32_e32 v5, 0x7fc0
	v_cndmask_b32_sdwa v5, v5, v1, vcc dst_sel:DWORD dst_unused:UNUSED_PAD src0_sel:DWORD src1_sel:WORD_1
	s_mov_b64 s[0:1], 0
	s_branch .LBB167_900
.LBB167_895:
	s_mov_b64 s[60:61], -1
                                        ; implicit-def: $vgpr5
	s_branch .LBB167_906
.LBB167_896:
	s_or_saveexec_b64 s[60:61], s[60:61]
	v_mov_b32_e32 v5, 0x7f800001
	s_xor_b64 exec, exec, s[60:61]
	s_cbranch_execz .LBB167_879
.LBB167_897:
	v_cmp_ne_u16_e32 vcc, 0, v1
	s_andn2_b64 s[0:1], s[0:1], exec
	s_and_b64 s[62:63], vcc, exec
	v_mov_b32_e32 v5, 0
	s_or_b64 s[0:1], s[0:1], s[62:63]
	s_or_b64 exec, exec, s[60:61]
	s_and_saveexec_b64 s[60:61], s[0:1]
	s_cbranch_execnz .LBB167_880
	s_branch .LBB167_881
.LBB167_898:
	s_mov_b64 s[0:1], -1
                                        ; implicit-def: $vgpr5
	s_branch .LBB167_903
.LBB167_899:
	s_mov_b64 s[0:1], -1
                                        ; implicit-def: $vgpr5
.LBB167_900:
	s_and_b64 vcc, exec, s[0:1]
	s_cbranch_vccz .LBB167_902
; %bb.901:
	global_load_ubyte v1, v[3:4], off
	s_mov_b32 s0, 0x7f800000
	s_brev_b32 s1, 1
	s_movk_i32 s60, 0x7fff
	s_waitcnt vmcnt(0)
	v_lshlrev_b32_e32 v1, 24, v1
	v_and_b32_e32 v5, 0x7f000000, v1
	v_ffbh_u32_e32 v6, v5
	v_min_u32_e32 v6, 32, v6
	v_sub_u32_e64 v6, v6, 4 clamp
	v_lshlrev_b32_e32 v9, v6, v5
	v_lshlrev_b32_e32 v6, 23, v6
	v_lshrrev_b32_e32 v9, 4, v9
	v_add_u32_e32 v7, 0x1000000, v5
	v_sub_u32_e32 v6, v9, v6
	v_ashrrev_i32_e32 v7, 8, v7
	v_add_u32_e32 v6, 0x3c000000, v6
	v_and_or_b32 v6, v7, s0, v6
	v_cmp_ne_u32_e32 vcc, 0, v5
	v_cndmask_b32_e32 v5, 0, v6, vcc
	v_and_or_b32 v1, v1, s1, v5
	v_bfe_u32 v5, v5, 16, 1
	v_add3_u32 v5, v1, v5, s60
	v_cmp_o_f32_e32 vcc, v1, v1
	v_mov_b32_e32 v1, 0x7fc0
	v_cndmask_b32_sdwa v5, v1, v5, vcc dst_sel:DWORD dst_unused:UNUSED_PAD src0_sel:DWORD src1_sel:WORD_1
.LBB167_902:
	s_mov_b64 s[0:1], 0
.LBB167_903:
	s_andn2_b64 vcc, exec, s[0:1]
	s_cbranch_vccnz .LBB167_905
; %bb.904:
	global_load_ubyte v1, v[3:4], off
	s_movk_i32 s0, 0x7f00
	s_brev_b32 s1, 16
	s_brev_b32 s60, 1
	s_movk_i32 s61, 0x7fff
	s_waitcnt vmcnt(0)
	v_lshlrev_b16_e32 v5, 8, v1
	v_lshlrev_b32_e32 v1, 25, v1
	v_lshrrev_b32_e32 v6, 4, v1
	v_and_or_b32 v7, v5, s0, 0.5
	v_or_b32_e32 v6, 0x70000000, v6
	v_add_f32_e32 v7, -0.5, v7
	v_mul_f32_e32 v6, 0x7800000, v6
	v_cmp_gt_u32_e32 vcc, s1, v1
	v_bfe_i32 v5, v5, 0, 16
	v_cndmask_b32_e32 v1, v6, v7, vcc
	v_and_or_b32 v5, v5, s60, v1
	v_bfe_u32 v1, v1, 16, 1
	v_add3_u32 v1, v5, v1, s61
	v_cmp_o_f32_e32 vcc, v5, v5
	v_mov_b32_e32 v5, 0x7fc0
	v_cndmask_b32_sdwa v5, v5, v1, vcc dst_sel:DWORD dst_unused:UNUSED_PAD src0_sel:DWORD src1_sel:WORD_1
.LBB167_905:
	s_mov_b64 s[60:61], 0
	s_mov_b64 s[0:1], -1
.LBB167_906:
	s_andn2_b64 vcc, exec, s[60:61]
	s_cbranch_vccnz .LBB167_919
; %bb.907:
	s_cmp_gt_i32 s64, 14
	s_cbranch_scc0 .LBB167_910
; %bb.908:
	s_cmp_eq_u32 s64, 15
	s_cbranch_scc0 .LBB167_913
; %bb.909:
	global_load_ushort v5, v[3:4], off
	s_mov_b64 s[0:1], -1
	s_mov_b64 s[58:59], 0
	s_branch .LBB167_914
.LBB167_910:
	s_mov_b64 s[60:61], -1
                                        ; implicit-def: $vgpr5
	s_branch .LBB167_915
.LBB167_911:
	s_or_saveexec_b64 s[60:61], s[60:61]
	v_mov_b32_e32 v5, 0x7f800001
	s_xor_b64 exec, exec, s[60:61]
	s_cbranch_execz .LBB167_892
.LBB167_912:
	v_cmp_ne_u16_e32 vcc, 0, v1
	s_andn2_b64 s[0:1], s[0:1], exec
	s_and_b64 s[62:63], vcc, exec
	v_mov_b32_e32 v5, 0
	s_or_b64 s[0:1], s[0:1], s[62:63]
	s_or_b64 exec, exec, s[60:61]
	s_and_saveexec_b64 s[60:61], s[0:1]
	s_cbranch_execnz .LBB167_893
	s_branch .LBB167_894
.LBB167_913:
	s_mov_b64 s[58:59], -1
                                        ; implicit-def: $vgpr5
.LBB167_914:
	s_mov_b64 s[60:61], 0
.LBB167_915:
	s_and_b64 vcc, exec, s[60:61]
	s_cbranch_vccz .LBB167_919
; %bb.916:
	s_cmp_eq_u32 s64, 11
	s_cbranch_scc0 .LBB167_918
; %bb.917:
	global_load_ubyte v1, v[3:4], off
	s_mov_b64 s[0:1], -1
	s_mov_b64 s[58:59], 0
	v_mov_b32_e32 v6, 0
	s_waitcnt vmcnt(0)
	v_cmp_ne_u16_e32 vcc, 0, v1
	v_cndmask_b32_e64 v1, 0, 1.0, vcc
	v_lshrrev_b32_e32 v5, 16, v1
	s_branch .LBB167_920
.LBB167_918:
	s_mov_b64 s[58:59], -1
                                        ; implicit-def: $vgpr5
.LBB167_919:
	v_mov_b32_e32 v6, 0
.LBB167_920:
	s_mov_b64 s[60:61], 0
.LBB167_921:
	s_and_b64 vcc, exec, s[60:61]
	s_cbranch_vccz .LBB167_972
; %bb.922:
	s_and_b32 s14, 0xffff, s14
	s_cmp_lt_i32 s14, 5
	s_cbranch_scc1 .LBB167_927
; %bb.923:
	s_cmp_lt_i32 s14, 8
	s_cbranch_scc1 .LBB167_928
; %bb.924:
	;; [unrolled: 3-line block ×3, first 2 shown]
	s_cmp_gt_i32 s14, 9
	s_cbranch_scc0 .LBB167_930
; %bb.926:
	global_load_dwordx4 v[9:12], v[3:4], off
	s_movk_i32 s0, 0x7fff
	s_waitcnt vmcnt(1)
	v_mov_b32_e32 v5, 0x7fc0
	v_mov_b32_e32 v7, 0x7fc00000
	s_waitcnt vmcnt(0)
	v_cvt_f32_f64_e32 v1, v[9:10]
	v_cvt_f32_f64_e32 v6, v[11:12]
	v_bfe_u32 v9, v1, 16, 1
	v_bfe_u32 v10, v6, 16, 1
	v_cmp_o_f32_e32 vcc, v1, v1
	v_add3_u32 v1, v1, v9, s0
	v_add3_u32 v9, v6, v10, s0
	v_cndmask_b32_sdwa v5, v5, v1, vcc dst_sel:DWORD dst_unused:UNUSED_PAD src0_sel:DWORD src1_sel:WORD_1
	v_and_b32_e32 v1, 0xffff0000, v9
	v_cmp_o_f32_e32 vcc, v6, v6
	v_cndmask_b32_e32 v6, v7, v1, vcc
	s_mov_b64 s[0:1], 0
	s_branch .LBB167_931
.LBB167_927:
	s_mov_b64 s[0:1], -1
                                        ; implicit-def: $vgpr6
                                        ; implicit-def: $vgpr5
	s_branch .LBB167_950
.LBB167_928:
	s_mov_b64 s[0:1], -1
                                        ; implicit-def: $vgpr6
                                        ; implicit-def: $vgpr5
	s_branch .LBB167_937
.LBB167_929:
	s_mov_b64 s[0:1], -1
                                        ; implicit-def: $vgpr6
                                        ; implicit-def: $vgpr5
	s_branch .LBB167_934
.LBB167_930:
	s_mov_b64 s[0:1], -1
                                        ; implicit-def: $vgpr6
                                        ; implicit-def: $vgpr5
.LBB167_931:
	s_andn2_b64 vcc, exec, s[0:1]
	s_cbranch_vccnz .LBB167_933
; %bb.932:
	global_load_dwordx2 v[5:6], v[3:4], off
	s_movk_i32 s0, 0x7fff
	v_mov_b32_e32 v1, 0x7fc0
	v_mov_b32_e32 v7, 0x7fc00000
	s_waitcnt vmcnt(0)
	v_bfe_u32 v9, v5, 16, 1
	v_bfe_u32 v10, v6, 16, 1
	v_cmp_o_f32_e32 vcc, v5, v5
	v_add3_u32 v5, v5, v9, s0
	v_add3_u32 v9, v6, v10, s0
	v_cndmask_b32_sdwa v5, v1, v5, vcc dst_sel:DWORD dst_unused:UNUSED_PAD src0_sel:DWORD src1_sel:WORD_1
	v_and_b32_e32 v1, 0xffff0000, v9
	v_cmp_o_f32_e32 vcc, v6, v6
	v_cndmask_b32_e32 v6, v7, v1, vcc
.LBB167_933:
	s_mov_b64 s[0:1], 0
.LBB167_934:
	s_andn2_b64 vcc, exec, s[0:1]
	s_cbranch_vccnz .LBB167_936
; %bb.935:
	global_load_dword v1, v[3:4], off
	s_movk_i32 s0, 0x7fff
	s_waitcnt vmcnt(1)
	v_mov_b32_e32 v5, 0x7fc0
	v_mov_b32_e32 v9, 0x7fc00000
	s_waitcnt vmcnt(0)
	v_cvt_f32_f16_e32 v6, v1
	v_cvt_f32_f16_sdwa v7, v1 dst_sel:DWORD dst_unused:UNUSED_PAD src0_sel:WORD_1
	v_cmp_o_f16_e32 vcc, v1, v1
	v_bfe_u32 v10, v6, 16, 1
	v_bfe_u32 v11, v7, 16, 1
	v_add3_u32 v6, v6, v10, s0
	v_add3_u32 v7, v7, v11, s0
	v_cndmask_b32_sdwa v5, v5, v6, vcc dst_sel:DWORD dst_unused:UNUSED_PAD src0_sel:DWORD src1_sel:WORD_1
	v_and_b32_e32 v6, 0xffff0000, v7
	v_cmp_o_f16_sdwa vcc, v1, v1 src0_sel:WORD_1 src1_sel:WORD_1
	v_cndmask_b32_e32 v6, v9, v6, vcc
.LBB167_936:
	s_mov_b64 s[0:1], 0
.LBB167_937:
	s_andn2_b64 vcc, exec, s[0:1]
	s_cbranch_vccnz .LBB167_949
; %bb.938:
	s_cmp_lt_i32 s14, 6
	s_cbranch_scc1 .LBB167_941
; %bb.939:
	s_cmp_gt_i32 s14, 6
	s_cbranch_scc0 .LBB167_942
; %bb.940:
	global_load_dwordx2 v[5:6], v[3:4], off
	s_movk_i32 s0, 0x7fff
	s_waitcnt vmcnt(0)
	v_cvt_f32_f64_e32 v1, v[5:6]
	v_mov_b32_e32 v5, 0x7fc0
	v_bfe_u32 v6, v1, 16, 1
	v_cmp_o_f32_e32 vcc, v1, v1
	v_add3_u32 v1, v1, v6, s0
	v_cndmask_b32_sdwa v5, v5, v1, vcc dst_sel:DWORD dst_unused:UNUSED_PAD src0_sel:DWORD src1_sel:WORD_1
	s_mov_b64 s[0:1], 0
	s_branch .LBB167_943
.LBB167_941:
	s_mov_b64 s[0:1], -1
                                        ; implicit-def: $vgpr5
	s_branch .LBB167_946
.LBB167_942:
	s_mov_b64 s[0:1], -1
                                        ; implicit-def: $vgpr5
.LBB167_943:
	s_andn2_b64 vcc, exec, s[0:1]
	s_cbranch_vccnz .LBB167_945
; %bb.944:
	global_load_dword v1, v[3:4], off
	s_movk_i32 s0, 0x7fff
	s_waitcnt vmcnt(1)
	v_mov_b32_e32 v5, 0x7fc0
	s_waitcnt vmcnt(0)
	v_bfe_u32 v6, v1, 16, 1
	v_cmp_o_f32_e32 vcc, v1, v1
	v_add3_u32 v1, v1, v6, s0
	v_cndmask_b32_sdwa v5, v5, v1, vcc dst_sel:DWORD dst_unused:UNUSED_PAD src0_sel:DWORD src1_sel:WORD_1
.LBB167_945:
	s_mov_b64 s[0:1], 0
.LBB167_946:
	s_andn2_b64 vcc, exec, s[0:1]
	s_cbranch_vccnz .LBB167_948
; %bb.947:
	global_load_ushort v1, v[3:4], off
	s_movk_i32 s0, 0x7fff
	v_mov_b32_e32 v6, 0x7fc0
	s_waitcnt vmcnt(0)
	v_cvt_f32_f16_e32 v5, v1
	v_cmp_o_f16_e32 vcc, v1, v1
	v_bfe_u32 v1, v5, 16, 1
	v_add3_u32 v1, v5, v1, s0
	v_cndmask_b32_sdwa v5, v6, v1, vcc dst_sel:DWORD dst_unused:UNUSED_PAD src0_sel:DWORD src1_sel:WORD_1
.LBB167_948:
	v_mov_b32_e32 v6, 0
.LBB167_949:
	s_mov_b64 s[0:1], 0
.LBB167_950:
	s_andn2_b64 vcc, exec, s[0:1]
	s_cbranch_vccnz .LBB167_971
; %bb.951:
	s_cmp_lt_i32 s14, 2
	s_cbranch_scc1 .LBB167_955
; %bb.952:
	s_cmp_lt_i32 s14, 3
	s_cbranch_scc1 .LBB167_956
; %bb.953:
	s_cmp_gt_i32 s14, 3
	s_cbranch_scc0 .LBB167_957
; %bb.954:
	global_load_dwordx2 v[5:6], v[3:4], off
	s_movk_i32 s0, 0x7fff
	s_waitcnt vmcnt(0)
	v_xor_b32_e32 v7, v5, v6
	v_ffbh_i32_e32 v1, v6
	v_ashrrev_i32_e32 v7, 31, v7
	v_add_u32_e32 v1, -1, v1
	v_add_u32_e32 v7, 32, v7
	v_min_u32_e32 v1, v1, v7
	v_lshlrev_b64 v[5:6], v1, v[5:6]
	v_sub_u32_e32 v1, 32, v1
	v_min_u32_e32 v5, 1, v5
	v_or_b32_e32 v5, v6, v5
	v_cvt_f32_i32_e32 v5, v5
	v_ldexp_f32 v1, v5, v1
	v_bfe_u32 v5, v1, 16, 1
	v_add3_u32 v1, v1, v5, s0
	v_lshrrev_b32_e32 v5, 16, v1
	s_mov_b64 s[0:1], 0
	s_branch .LBB167_958
.LBB167_955:
	s_mov_b64 s[0:1], -1
                                        ; implicit-def: $vgpr5
	s_branch .LBB167_964
.LBB167_956:
	s_mov_b64 s[0:1], -1
                                        ; implicit-def: $vgpr5
	s_branch .LBB167_961
.LBB167_957:
	s_mov_b64 s[0:1], -1
                                        ; implicit-def: $vgpr5
.LBB167_958:
	s_andn2_b64 vcc, exec, s[0:1]
	s_cbranch_vccnz .LBB167_960
; %bb.959:
	global_load_dword v1, v[3:4], off
	s_movk_i32 s0, 0x7fff
	s_waitcnt vmcnt(0)
	v_cvt_f32_i32_e32 v1, v1
	v_bfe_u32 v5, v1, 16, 1
	v_add3_u32 v1, v1, v5, s0
	v_lshrrev_b32_e32 v5, 16, v1
.LBB167_960:
	s_mov_b64 s[0:1], 0
.LBB167_961:
	s_andn2_b64 vcc, exec, s[0:1]
	s_cbranch_vccnz .LBB167_963
; %bb.962:
	global_load_sshort v1, v[3:4], off
	s_movk_i32 s0, 0x7fff
	s_waitcnt vmcnt(0)
	v_cvt_f32_i32_e32 v1, v1
	v_bfe_u32 v5, v1, 16, 1
	v_add3_u32 v1, v1, v5, s0
	v_lshrrev_b32_e32 v5, 16, v1
.LBB167_963:
	s_mov_b64 s[0:1], 0
.LBB167_964:
	s_andn2_b64 vcc, exec, s[0:1]
	s_cbranch_vccnz .LBB167_970
; %bb.965:
	s_cmp_gt_i32 s14, 0
	s_cbranch_scc0 .LBB167_967
; %bb.966:
	global_load_sbyte v1, v[3:4], off
	s_movk_i32 s0, 0x7fff
	s_waitcnt vmcnt(0)
	v_cvt_f32_i32_e32 v1, v1
	v_bfe_u32 v5, v1, 16, 1
	v_add3_u32 v1, v1, v5, s0
	v_lshrrev_b32_e32 v5, 16, v1
	s_mov_b64 s[0:1], 0
	s_branch .LBB167_968
.LBB167_967:
	s_mov_b64 s[0:1], -1
                                        ; implicit-def: $vgpr5
.LBB167_968:
	s_andn2_b64 vcc, exec, s[0:1]
	s_cbranch_vccnz .LBB167_970
; %bb.969:
	global_load_ubyte v1, v[3:4], off
	s_movk_i32 s0, 0x7fff
	s_waitcnt vmcnt(0)
	v_cvt_f32_ubyte0_e32 v1, v1
	v_bfe_u32 v3, v1, 16, 1
	v_add3_u32 v1, v1, v3, s0
	v_lshrrev_b32_e32 v5, 16, v1
.LBB167_970:
	v_mov_b32_e32 v6, 0
.LBB167_971:
	s_mov_b64 s[0:1], -1
.LBB167_972:
	s_andn2_b64 vcc, exec, s[0:1]
	s_cbranch_vccnz .LBB167_980
; %bb.973:
	v_mov_b32_e32 v3, s13
	s_and_b32 s14, s73, 0xff
	v_add_co_u32_e32 v1, vcc, s12, v2
	s_cmp_lt_i32 s14, 11
	v_addc_co_u32_e32 v2, vcc, 0, v3, vcc
	s_cbranch_scc1 .LBB167_982
; %bb.974:
	s_and_b32 s66, 0xffff, s14
	s_cmp_gt_i32 s66, 25
	s_cbranch_scc0 .LBB167_983
; %bb.975:
	s_cmp_gt_i32 s66, 28
	s_cbranch_scc0 .LBB167_984
; %bb.976:
	;; [unrolled: 3-line block ×4, first 2 shown]
	s_cmp_eq_u32 s66, 46
	s_mov_b64 s[62:63], 0
	s_cbranch_scc0 .LBB167_989
; %bb.979:
	global_load_dword v3, v[1:2], off
	s_mov_b64 s[0:1], -1
	s_mov_b64 s[60:61], 0
	s_waitcnt vmcnt(0)
	v_and_b32_e32 v4, 0xffff0000, v3
	s_branch .LBB167_990
.LBB167_980:
	s_mov_b64 s[64:65], 0
	s_mov_b64 s[0:1], s[52:53]
	;; [unrolled: 1-line block ×3, first 2 shown]
.LBB167_981:
                                        ; implicit-def: $vgpr8
	s_branch .LBB167_1238
.LBB167_982:
	s_mov_b64 s[62:63], -1
	s_mov_b64 s[0:1], 0
                                        ; implicit-def: $vgpr4
                                        ; implicit-def: $vgpr3
	s_mov_b64 s[60:61], s[50:51]
	s_branch .LBB167_1058
.LBB167_983:
	s_mov_b64 s[62:63], -1
	s_mov_b64 s[0:1], 0
	s_mov_b64 s[60:61], s[50:51]
                                        ; implicit-def: $vgpr4
                                        ; implicit-def: $vgpr3
	s_branch .LBB167_1021
.LBB167_984:
	s_mov_b64 s[62:63], -1
	s_mov_b64 s[0:1], 0
	s_mov_b64 s[60:61], s[50:51]
                                        ; implicit-def: $vgpr4
                                        ; implicit-def: $vgpr3
	s_branch .LBB167_1002
.LBB167_985:
	s_mov_b64 s[62:63], -1
	s_mov_b64 s[0:1], 0
	s_mov_b64 s[60:61], s[50:51]
                                        ; implicit-def: $vgpr4
                                        ; implicit-def: $vgpr3
	s_branch .LBB167_996
.LBB167_986:
	s_mov_b64 s[62:63], -1
	s_mov_b64 s[0:1], 0
	s_mov_b64 s[60:61], s[50:51]
                                        ; implicit-def: $vgpr4
                                        ; implicit-def: $vgpr3
	s_branch .LBB167_990
.LBB167_987:
	s_andn2_saveexec_b64 s[60:61], s[60:61]
	s_cbranch_execz .LBB167_746
.LBB167_988:
	v_add_f32_e32 v2, 0x42800000, v3
	v_and_b32_e32 v2, 0xff, v2
	v_cmp_ne_u32_e32 vcc, 0, v2
	s_andn2_b64 s[58:59], s[58:59], exec
	s_and_b64 s[64:65], vcc, exec
	s_or_b64 s[58:59], s[58:59], s[64:65]
	s_or_b64 exec, exec, s[60:61]
	v_mov_b32_e32 v4, 0
	s_and_saveexec_b64 s[60:61], s[58:59]
	s_cbranch_execnz .LBB167_747
	s_branch .LBB167_748
.LBB167_989:
	s_mov_b64 s[60:61], -1
                                        ; implicit-def: $vgpr4
                                        ; implicit-def: $vgpr3
	s_mov_b64 s[0:1], 0
.LBB167_990:
	s_and_b64 vcc, exec, s[62:63]
	s_cbranch_vccz .LBB167_995
; %bb.991:
	s_cmp_eq_u32 s66, 44
	s_cbranch_scc0 .LBB167_993
; %bb.992:
	global_load_ubyte v3, v[1:2], off
	s_movk_i32 s60, 0xff
	v_mov_b32_e32 v4, 0x7f800001
	v_mov_b32_e32 v7, 0x400000
	;; [unrolled: 1-line block ×3, first 2 shown]
	s_mov_b64 s[0:1], -1
	s_waitcnt vmcnt(0)
	v_lshlrev_b32_e32 v10, 23, v3
	v_cmp_ne_u32_e32 vcc, s60, v3
	v_cndmask_b32_e32 v4, v4, v10, vcc
	v_cmp_ne_u32_e32 vcc, 0, v3
	v_cndmask_b32_e32 v3, v7, v4, vcc
	v_add_u32_e32 v4, 0x7fff, v3
	v_cmp_o_f32_e32 vcc, v3, v3
	v_cndmask_b32_sdwa v3, v9, v4, vcc dst_sel:DWORD dst_unused:UNUSED_PAD src0_sel:DWORD src1_sel:WORD_1
	s_mov_b64 s[60:61], 0
	s_branch .LBB167_994
.LBB167_993:
	s_mov_b64 s[60:61], -1
                                        ; implicit-def: $vgpr3
.LBB167_994:
	v_mov_b32_e32 v4, 0
.LBB167_995:
	s_mov_b64 s[62:63], 0
.LBB167_996:
	s_and_b64 vcc, exec, s[62:63]
	s_cbranch_vccz .LBB167_1001
; %bb.997:
	s_cmp_eq_u32 s66, 29
	s_cbranch_scc0 .LBB167_999
; %bb.998:
	global_load_dwordx2 v[3:4], v[1:2], off
	s_movk_i32 s60, 0x7fff
	s_mov_b64 s[0:1], -1
	s_waitcnt vmcnt(0)
	v_ffbh_u32_e32 v7, v4
	v_min_u32_e32 v7, 32, v7
	v_lshlrev_b64 v[3:4], v7, v[3:4]
	v_min_u32_e32 v3, 1, v3
	v_or_b32_e32 v3, v4, v3
	v_cvt_f32_u32_e32 v3, v3
	v_sub_u32_e32 v4, 32, v7
	v_ldexp_f32 v3, v3, v4
	v_bfe_u32 v4, v3, 16, 1
	v_add3_u32 v3, v3, v4, s60
	v_lshrrev_b32_e32 v3, 16, v3
	s_mov_b64 s[60:61], 0
	s_branch .LBB167_1000
.LBB167_999:
	s_mov_b64 s[60:61], -1
                                        ; implicit-def: $vgpr3
.LBB167_1000:
	v_mov_b32_e32 v4, 0
.LBB167_1001:
	s_mov_b64 s[62:63], 0
.LBB167_1002:
	s_and_b64 vcc, exec, s[62:63]
	s_cbranch_vccz .LBB167_1020
; %bb.1003:
	s_cmp_lt_i32 s66, 27
	s_cbranch_scc1 .LBB167_1006
; %bb.1004:
	s_cmp_gt_i32 s66, 27
	s_cbranch_scc0 .LBB167_1007
; %bb.1005:
	global_load_dword v3, v[1:2], off
	s_movk_i32 s0, 0x7fff
	s_waitcnt vmcnt(0)
	v_cvt_f32_u32_e32 v3, v3
	v_bfe_u32 v4, v3, 16, 1
	v_add3_u32 v3, v3, v4, s0
	v_lshrrev_b32_e32 v3, 16, v3
	s_mov_b64 s[0:1], 0
	s_branch .LBB167_1008
.LBB167_1006:
	s_mov_b64 s[0:1], -1
                                        ; implicit-def: $vgpr3
	s_branch .LBB167_1011
.LBB167_1007:
	s_mov_b64 s[0:1], -1
                                        ; implicit-def: $vgpr3
.LBB167_1008:
	s_andn2_b64 vcc, exec, s[0:1]
	s_cbranch_vccnz .LBB167_1010
; %bb.1009:
	global_load_ushort v3, v[1:2], off
	s_movk_i32 s0, 0x7fff
	s_waitcnt vmcnt(0)
	v_cvt_f32_u32_e32 v3, v3
	v_bfe_u32 v4, v3, 16, 1
	v_add3_u32 v3, v3, v4, s0
	v_lshrrev_b32_e32 v3, 16, v3
.LBB167_1010:
	s_mov_b64 s[0:1], 0
.LBB167_1011:
	s_andn2_b64 vcc, exec, s[0:1]
	s_cbranch_vccnz .LBB167_1019
; %bb.1012:
	global_load_ubyte v3, v[1:2], off
	s_movk_i32 s0, 0x7f
	s_waitcnt vmcnt(0)
	v_cmp_lt_i16_e32 vcc, s0, v3
	s_mov_b64 s[0:1], 0
	s_and_saveexec_b64 s[62:63], vcc
	s_xor_b64 s[62:63], exec, s[62:63]
	s_cbranch_execz .LBB167_1033
; %bb.1013:
	s_movk_i32 s0, 0x80
	v_cmp_eq_u16_e32 vcc, s0, v3
	s_mov_b64 s[0:1], -1
	s_and_saveexec_b64 s[64:65], vcc
; %bb.1014:
	s_xor_b64 s[0:1], exec, -1
; %bb.1015:
	s_or_b64 exec, exec, s[64:65]
	s_and_b64 s[0:1], s[0:1], exec
	s_or_saveexec_b64 s[62:63], s[62:63]
	v_mov_b32_e32 v4, 0x7f800001
	s_xor_b64 exec, exec, s[62:63]
	s_cbranch_execnz .LBB167_1034
.LBB167_1016:
	s_or_b64 exec, exec, s[62:63]
	s_and_saveexec_b64 s[62:63], s[0:1]
	s_cbranch_execz .LBB167_1018
.LBB167_1017:
	v_lshlrev_b32_e32 v4, 24, v3
	v_and_b32_e32 v3, 0xffff, v3
	v_and_b32_e32 v7, 7, v3
	v_ffbh_u32_e32 v10, v7
	v_min_u32_e32 v10, 32, v10
	v_subrev_u32_e32 v11, 28, v10
	v_bfe_u32 v9, v3, 3, 4
	v_lshlrev_b32_e32 v3, v11, v3
	v_sub_u32_e32 v10, 29, v10
	v_and_b32_e32 v3, 7, v3
	v_cmp_eq_u32_e32 vcc, 0, v9
	v_cndmask_b32_e32 v9, v9, v10, vcc
	v_cndmask_b32_e32 v3, v7, v3, vcc
	v_mov_b32_e32 v7, 0x3b800000
	v_lshlrev_b32_e32 v3, 20, v3
	v_and_b32_e32 v4, 0x80000000, v4
	v_lshl_add_u32 v7, v9, 23, v7
	v_or3_b32 v4, v4, v7, v3
.LBB167_1018:
	s_or_b64 exec, exec, s[62:63]
	v_bfe_u32 v3, v4, 16, 1
	s_movk_i32 s0, 0x7fff
	v_add3_u32 v3, v4, v3, s0
	v_cmp_o_f32_e32 vcc, v4, v4
	v_mov_b32_e32 v4, 0x7fc0
	v_cndmask_b32_sdwa v3, v4, v3, vcc dst_sel:DWORD dst_unused:UNUSED_PAD src0_sel:DWORD src1_sel:WORD_1
.LBB167_1019:
	s_mov_b64 s[0:1], -1
	v_mov_b32_e32 v4, 0
.LBB167_1020:
	s_mov_b64 s[62:63], 0
.LBB167_1021:
	s_and_b64 vcc, exec, s[62:63]
	s_cbranch_vccz .LBB167_1057
; %bb.1022:
	s_cmp_gt_i32 s66, 22
	s_cbranch_scc0 .LBB167_1032
; %bb.1023:
	s_cmp_lt_i32 s66, 24
	s_cbranch_scc1 .LBB167_1035
; %bb.1024:
	s_cmp_gt_i32 s66, 24
	s_cbranch_scc0 .LBB167_1036
; %bb.1025:
	global_load_ubyte v3, v[1:2], off
	s_movk_i32 s0, 0x7f
	s_waitcnt vmcnt(0)
	v_cmp_lt_i16_e32 vcc, s0, v3
	s_mov_b64 s[0:1], 0
	s_and_saveexec_b64 s[62:63], vcc
	s_xor_b64 s[62:63], exec, s[62:63]
	s_cbranch_execz .LBB167_1048
; %bb.1026:
	s_movk_i32 s0, 0x80
	v_cmp_eq_u16_e32 vcc, s0, v3
	s_mov_b64 s[0:1], -1
	s_and_saveexec_b64 s[64:65], vcc
; %bb.1027:
	s_xor_b64 s[0:1], exec, -1
; %bb.1028:
	s_or_b64 exec, exec, s[64:65]
	s_and_b64 s[0:1], s[0:1], exec
	s_or_saveexec_b64 s[62:63], s[62:63]
	v_mov_b32_e32 v4, 0x7f800001
	s_xor_b64 exec, exec, s[62:63]
	s_cbranch_execnz .LBB167_1049
.LBB167_1029:
	s_or_b64 exec, exec, s[62:63]
	s_and_saveexec_b64 s[62:63], s[0:1]
	s_cbranch_execz .LBB167_1031
.LBB167_1030:
	v_lshlrev_b32_e32 v4, 24, v3
	v_and_b32_e32 v3, 0xffff, v3
	v_and_b32_e32 v7, 3, v3
	v_ffbh_u32_e32 v10, v7
	v_min_u32_e32 v10, 32, v10
	v_subrev_u32_e32 v11, 29, v10
	v_bfe_u32 v9, v3, 2, 5
	v_lshlrev_b32_e32 v3, v11, v3
	v_sub_u32_e32 v10, 30, v10
	v_and_b32_e32 v3, 3, v3
	v_cmp_eq_u32_e32 vcc, 0, v9
	v_cndmask_b32_e32 v9, v9, v10, vcc
	v_cndmask_b32_e32 v3, v7, v3, vcc
	v_mov_b32_e32 v7, 0x37800000
	v_lshlrev_b32_e32 v3, 21, v3
	v_and_b32_e32 v4, 0x80000000, v4
	v_lshl_add_u32 v7, v9, 23, v7
	v_or3_b32 v4, v4, v7, v3
.LBB167_1031:
	s_or_b64 exec, exec, s[62:63]
	v_bfe_u32 v3, v4, 16, 1
	s_movk_i32 s0, 0x7fff
	v_add3_u32 v3, v4, v3, s0
	v_cmp_o_f32_e32 vcc, v4, v4
	v_mov_b32_e32 v4, 0x7fc0
	v_cndmask_b32_sdwa v3, v4, v3, vcc dst_sel:DWORD dst_unused:UNUSED_PAD src0_sel:DWORD src1_sel:WORD_1
	s_mov_b64 s[0:1], 0
	s_branch .LBB167_1037
.LBB167_1032:
	s_mov_b64 s[62:63], -1
                                        ; implicit-def: $vgpr3
	s_branch .LBB167_1043
.LBB167_1033:
	s_or_saveexec_b64 s[62:63], s[62:63]
	v_mov_b32_e32 v4, 0x7f800001
	s_xor_b64 exec, exec, s[62:63]
	s_cbranch_execz .LBB167_1016
.LBB167_1034:
	v_cmp_ne_u16_e32 vcc, 0, v3
	s_andn2_b64 s[0:1], s[0:1], exec
	s_and_b64 s[64:65], vcc, exec
	v_mov_b32_e32 v4, 0
	s_or_b64 s[0:1], s[0:1], s[64:65]
	s_or_b64 exec, exec, s[62:63]
	s_and_saveexec_b64 s[62:63], s[0:1]
	s_cbranch_execnz .LBB167_1017
	s_branch .LBB167_1018
.LBB167_1035:
	s_mov_b64 s[0:1], -1
                                        ; implicit-def: $vgpr3
	s_branch .LBB167_1040
.LBB167_1036:
	s_mov_b64 s[0:1], -1
                                        ; implicit-def: $vgpr3
.LBB167_1037:
	s_and_b64 vcc, exec, s[0:1]
	s_cbranch_vccz .LBB167_1039
; %bb.1038:
	global_load_ubyte v3, v[1:2], off
	s_mov_b32 s0, 0x7f800000
	s_brev_b32 s1, 1
	s_movk_i32 s62, 0x7fff
	s_waitcnt vmcnt(0)
	v_lshlrev_b32_e32 v3, 24, v3
	v_and_b32_e32 v4, 0x7f000000, v3
	v_ffbh_u32_e32 v7, v4
	v_min_u32_e32 v7, 32, v7
	v_sub_u32_e64 v7, v7, 4 clamp
	v_lshlrev_b32_e32 v10, v7, v4
	v_lshlrev_b32_e32 v7, 23, v7
	v_lshrrev_b32_e32 v10, 4, v10
	v_add_u32_e32 v9, 0x1000000, v4
	v_sub_u32_e32 v7, v10, v7
	v_ashrrev_i32_e32 v9, 8, v9
	v_add_u32_e32 v7, 0x3c000000, v7
	v_and_or_b32 v7, v9, s0, v7
	v_cmp_ne_u32_e32 vcc, 0, v4
	v_cndmask_b32_e32 v4, 0, v7, vcc
	v_and_or_b32 v3, v3, s1, v4
	v_bfe_u32 v4, v4, 16, 1
	v_add3_u32 v4, v3, v4, s62
	v_cmp_o_f32_e32 vcc, v3, v3
	v_mov_b32_e32 v3, 0x7fc0
	v_cndmask_b32_sdwa v3, v3, v4, vcc dst_sel:DWORD dst_unused:UNUSED_PAD src0_sel:DWORD src1_sel:WORD_1
.LBB167_1039:
	s_mov_b64 s[0:1], 0
.LBB167_1040:
	s_andn2_b64 vcc, exec, s[0:1]
	s_cbranch_vccnz .LBB167_1042
; %bb.1041:
	global_load_ubyte v3, v[1:2], off
	s_movk_i32 s0, 0x7f00
	s_brev_b32 s1, 16
	s_brev_b32 s62, 1
	s_movk_i32 s63, 0x7fff
	s_waitcnt vmcnt(0)
	v_lshlrev_b16_e32 v4, 8, v3
	v_lshlrev_b32_e32 v3, 25, v3
	v_lshrrev_b32_e32 v7, 4, v3
	v_and_or_b32 v9, v4, s0, 0.5
	v_or_b32_e32 v7, 0x70000000, v7
	v_add_f32_e32 v9, -0.5, v9
	v_mul_f32_e32 v7, 0x7800000, v7
	v_cmp_gt_u32_e32 vcc, s1, v3
	v_bfe_i32 v4, v4, 0, 16
	v_cndmask_b32_e32 v3, v7, v9, vcc
	v_and_or_b32 v4, v4, s62, v3
	v_bfe_u32 v3, v3, 16, 1
	v_add3_u32 v3, v4, v3, s63
	v_cmp_o_f32_e32 vcc, v4, v4
	v_mov_b32_e32 v4, 0x7fc0
	v_cndmask_b32_sdwa v3, v4, v3, vcc dst_sel:DWORD dst_unused:UNUSED_PAD src0_sel:DWORD src1_sel:WORD_1
.LBB167_1042:
	s_mov_b64 s[62:63], 0
	s_mov_b64 s[0:1], -1
.LBB167_1043:
	s_andn2_b64 vcc, exec, s[62:63]
	s_cbranch_vccnz .LBB167_1056
; %bb.1044:
	s_cmp_gt_i32 s66, 14
	s_cbranch_scc0 .LBB167_1047
; %bb.1045:
	s_cmp_eq_u32 s66, 15
	s_cbranch_scc0 .LBB167_1050
; %bb.1046:
	global_load_ushort v3, v[1:2], off
	s_mov_b64 s[0:1], -1
	s_mov_b64 s[60:61], 0
	s_branch .LBB167_1051
.LBB167_1047:
	s_mov_b64 s[62:63], -1
                                        ; implicit-def: $vgpr3
	s_branch .LBB167_1052
.LBB167_1048:
	s_or_saveexec_b64 s[62:63], s[62:63]
	v_mov_b32_e32 v4, 0x7f800001
	s_xor_b64 exec, exec, s[62:63]
	s_cbranch_execz .LBB167_1029
.LBB167_1049:
	v_cmp_ne_u16_e32 vcc, 0, v3
	s_andn2_b64 s[0:1], s[0:1], exec
	s_and_b64 s[64:65], vcc, exec
	v_mov_b32_e32 v4, 0
	s_or_b64 s[0:1], s[0:1], s[64:65]
	s_or_b64 exec, exec, s[62:63]
	s_and_saveexec_b64 s[62:63], s[0:1]
	s_cbranch_execnz .LBB167_1030
	s_branch .LBB167_1031
.LBB167_1050:
	s_mov_b64 s[60:61], -1
                                        ; implicit-def: $vgpr3
.LBB167_1051:
	s_mov_b64 s[62:63], 0
.LBB167_1052:
	s_and_b64 vcc, exec, s[62:63]
	s_cbranch_vccz .LBB167_1056
; %bb.1053:
	s_cmp_eq_u32 s66, 11
	s_cbranch_scc0 .LBB167_1055
; %bb.1054:
	global_load_ubyte v3, v[1:2], off
	s_mov_b64 s[0:1], -1
	s_mov_b64 s[60:61], 0
	v_mov_b32_e32 v4, 0
	s_waitcnt vmcnt(0)
	v_cmp_ne_u16_e32 vcc, 0, v3
	v_cndmask_b32_e64 v3, 0, 1.0, vcc
	v_lshrrev_b32_e32 v3, 16, v3
	s_branch .LBB167_1057
.LBB167_1055:
	s_mov_b64 s[60:61], -1
                                        ; implicit-def: $vgpr3
.LBB167_1056:
	v_mov_b32_e32 v4, 0
.LBB167_1057:
	s_mov_b64 s[62:63], 0
.LBB167_1058:
	s_and_b64 vcc, exec, s[62:63]
	s_cbranch_vccz .LBB167_1109
; %bb.1059:
	s_and_b32 s14, 0xffff, s14
	s_cmp_lt_i32 s14, 5
	s_cbranch_scc1 .LBB167_1064
; %bb.1060:
	s_cmp_lt_i32 s14, 8
	s_cbranch_scc1 .LBB167_1065
; %bb.1061:
	;; [unrolled: 3-line block ×3, first 2 shown]
	s_cmp_gt_i32 s14, 9
	s_cbranch_scc0 .LBB167_1067
; %bb.1063:
	global_load_dwordx4 v[9:12], v[1:2], off
	s_movk_i32 s0, 0x7fff
	v_mov_b32_e32 v7, 0x7fc0
	s_waitcnt vmcnt(0)
	v_cvt_f32_f64_e32 v3, v[9:10]
	v_cvt_f32_f64_e32 v4, v[11:12]
	v_mov_b32_e32 v9, 0x7fc00000
	v_bfe_u32 v10, v3, 16, 1
	v_bfe_u32 v11, v4, 16, 1
	v_cmp_o_f32_e32 vcc, v3, v3
	v_add3_u32 v3, v3, v10, s0
	v_add3_u32 v10, v4, v11, s0
	v_cndmask_b32_sdwa v3, v7, v3, vcc dst_sel:DWORD dst_unused:UNUSED_PAD src0_sel:DWORD src1_sel:WORD_1
	v_and_b32_e32 v7, 0xffff0000, v10
	v_cmp_o_f32_e32 vcc, v4, v4
	v_cndmask_b32_e32 v4, v9, v7, vcc
	s_mov_b64 s[0:1], 0
	s_branch .LBB167_1068
.LBB167_1064:
	s_mov_b64 s[0:1], -1
                                        ; implicit-def: $vgpr4
                                        ; implicit-def: $vgpr3
	s_branch .LBB167_1087
.LBB167_1065:
	s_mov_b64 s[0:1], -1
                                        ; implicit-def: $vgpr4
                                        ; implicit-def: $vgpr3
	s_branch .LBB167_1074
.LBB167_1066:
	s_mov_b64 s[0:1], -1
                                        ; implicit-def: $vgpr4
                                        ; implicit-def: $vgpr3
	s_branch .LBB167_1071
.LBB167_1067:
	s_mov_b64 s[0:1], -1
                                        ; implicit-def: $vgpr4
                                        ; implicit-def: $vgpr3
.LBB167_1068:
	s_andn2_b64 vcc, exec, s[0:1]
	s_cbranch_vccnz .LBB167_1070
; %bb.1069:
	global_load_dwordx2 v[3:4], v[1:2], off
	s_movk_i32 s0, 0x7fff
	v_mov_b32_e32 v7, 0x7fc0
	v_mov_b32_e32 v9, 0x7fc00000
	s_waitcnt vmcnt(0)
	v_bfe_u32 v10, v3, 16, 1
	v_bfe_u32 v11, v4, 16, 1
	v_cmp_o_f32_e32 vcc, v3, v3
	v_add3_u32 v3, v3, v10, s0
	v_add3_u32 v10, v4, v11, s0
	v_cndmask_b32_sdwa v3, v7, v3, vcc dst_sel:DWORD dst_unused:UNUSED_PAD src0_sel:DWORD src1_sel:WORD_1
	v_and_b32_e32 v7, 0xffff0000, v10
	v_cmp_o_f32_e32 vcc, v4, v4
	v_cndmask_b32_e32 v4, v9, v7, vcc
.LBB167_1070:
	s_mov_b64 s[0:1], 0
.LBB167_1071:
	s_andn2_b64 vcc, exec, s[0:1]
	s_cbranch_vccnz .LBB167_1073
; %bb.1072:
	global_load_dword v4, v[1:2], off
	s_movk_i32 s0, 0x7fff
	s_waitcnt vmcnt(1)
	v_mov_b32_e32 v3, 0x7fc0
	v_mov_b32_e32 v10, 0x7fc00000
	s_waitcnt vmcnt(0)
	v_cvt_f32_f16_e32 v7, v4
	v_cvt_f32_f16_sdwa v9, v4 dst_sel:DWORD dst_unused:UNUSED_PAD src0_sel:WORD_1
	v_cmp_o_f16_e32 vcc, v4, v4
	v_bfe_u32 v11, v7, 16, 1
	v_bfe_u32 v12, v9, 16, 1
	v_add3_u32 v7, v7, v11, s0
	v_add3_u32 v9, v9, v12, s0
	v_cndmask_b32_sdwa v3, v3, v7, vcc dst_sel:DWORD dst_unused:UNUSED_PAD src0_sel:DWORD src1_sel:WORD_1
	v_and_b32_e32 v7, 0xffff0000, v9
	v_cmp_o_f16_sdwa vcc, v4, v4 src0_sel:WORD_1 src1_sel:WORD_1
	v_cndmask_b32_e32 v4, v10, v7, vcc
.LBB167_1073:
	s_mov_b64 s[0:1], 0
.LBB167_1074:
	s_andn2_b64 vcc, exec, s[0:1]
	s_cbranch_vccnz .LBB167_1086
; %bb.1075:
	s_cmp_lt_i32 s14, 6
	s_cbranch_scc1 .LBB167_1078
; %bb.1076:
	s_cmp_gt_i32 s14, 6
	s_cbranch_scc0 .LBB167_1079
; %bb.1077:
	global_load_dwordx2 v[3:4], v[1:2], off
	s_movk_i32 s0, 0x7fff
	s_waitcnt vmcnt(0)
	v_cvt_f32_f64_e32 v3, v[3:4]
	v_mov_b32_e32 v4, 0x7fc0
	v_bfe_u32 v7, v3, 16, 1
	v_cmp_o_f32_e32 vcc, v3, v3
	v_add3_u32 v3, v3, v7, s0
	v_cndmask_b32_sdwa v3, v4, v3, vcc dst_sel:DWORD dst_unused:UNUSED_PAD src0_sel:DWORD src1_sel:WORD_1
	s_mov_b64 s[0:1], 0
	s_branch .LBB167_1080
.LBB167_1078:
	s_mov_b64 s[0:1], -1
                                        ; implicit-def: $vgpr3
	s_branch .LBB167_1083
.LBB167_1079:
	s_mov_b64 s[0:1], -1
                                        ; implicit-def: $vgpr3
.LBB167_1080:
	s_andn2_b64 vcc, exec, s[0:1]
	s_cbranch_vccnz .LBB167_1082
; %bb.1081:
	global_load_dword v3, v[1:2], off
	s_movk_i32 s0, 0x7fff
	v_mov_b32_e32 v4, 0x7fc0
	s_waitcnt vmcnt(0)
	v_bfe_u32 v7, v3, 16, 1
	v_cmp_o_f32_e32 vcc, v3, v3
	v_add3_u32 v3, v3, v7, s0
	v_cndmask_b32_sdwa v3, v4, v3, vcc dst_sel:DWORD dst_unused:UNUSED_PAD src0_sel:DWORD src1_sel:WORD_1
.LBB167_1082:
	s_mov_b64 s[0:1], 0
.LBB167_1083:
	s_andn2_b64 vcc, exec, s[0:1]
	s_cbranch_vccnz .LBB167_1085
; %bb.1084:
	global_load_ushort v3, v[1:2], off
	s_movk_i32 s0, 0x7fff
	v_mov_b32_e32 v7, 0x7fc0
	s_waitcnt vmcnt(0)
	v_cvt_f32_f16_e32 v4, v3
	v_cmp_o_f16_e32 vcc, v3, v3
	v_bfe_u32 v3, v4, 16, 1
	v_add3_u32 v3, v4, v3, s0
	v_cndmask_b32_sdwa v3, v7, v3, vcc dst_sel:DWORD dst_unused:UNUSED_PAD src0_sel:DWORD src1_sel:WORD_1
.LBB167_1085:
	v_mov_b32_e32 v4, 0
.LBB167_1086:
	s_mov_b64 s[0:1], 0
.LBB167_1087:
	s_andn2_b64 vcc, exec, s[0:1]
	s_cbranch_vccnz .LBB167_1108
; %bb.1088:
	s_cmp_lt_i32 s14, 2
	s_cbranch_scc1 .LBB167_1092
; %bb.1089:
	s_cmp_lt_i32 s14, 3
	s_cbranch_scc1 .LBB167_1093
; %bb.1090:
	s_cmp_gt_i32 s14, 3
	s_cbranch_scc0 .LBB167_1094
; %bb.1091:
	global_load_dwordx2 v[3:4], v[1:2], off
	s_movk_i32 s0, 0x7fff
	s_waitcnt vmcnt(0)
	v_xor_b32_e32 v9, v3, v4
	v_ffbh_i32_e32 v7, v4
	v_ashrrev_i32_e32 v9, 31, v9
	v_add_u32_e32 v7, -1, v7
	v_add_u32_e32 v9, 32, v9
	v_min_u32_e32 v7, v7, v9
	v_lshlrev_b64 v[3:4], v7, v[3:4]
	v_min_u32_e32 v3, 1, v3
	v_or_b32_e32 v3, v4, v3
	v_cvt_f32_i32_e32 v3, v3
	v_sub_u32_e32 v4, 32, v7
	v_ldexp_f32 v3, v3, v4
	v_bfe_u32 v4, v3, 16, 1
	v_add3_u32 v3, v3, v4, s0
	v_lshrrev_b32_e32 v3, 16, v3
	s_mov_b64 s[0:1], 0
	s_branch .LBB167_1095
.LBB167_1092:
	s_mov_b64 s[0:1], -1
                                        ; implicit-def: $vgpr3
	s_branch .LBB167_1101
.LBB167_1093:
	s_mov_b64 s[0:1], -1
                                        ; implicit-def: $vgpr3
	s_branch .LBB167_1098
.LBB167_1094:
	s_mov_b64 s[0:1], -1
                                        ; implicit-def: $vgpr3
.LBB167_1095:
	s_andn2_b64 vcc, exec, s[0:1]
	s_cbranch_vccnz .LBB167_1097
; %bb.1096:
	global_load_dword v3, v[1:2], off
	s_movk_i32 s0, 0x7fff
	s_waitcnt vmcnt(0)
	v_cvt_f32_i32_e32 v3, v3
	v_bfe_u32 v4, v3, 16, 1
	v_add3_u32 v3, v3, v4, s0
	v_lshrrev_b32_e32 v3, 16, v3
.LBB167_1097:
	s_mov_b64 s[0:1], 0
.LBB167_1098:
	s_andn2_b64 vcc, exec, s[0:1]
	s_cbranch_vccnz .LBB167_1100
; %bb.1099:
	global_load_sshort v3, v[1:2], off
	s_movk_i32 s0, 0x7fff
	s_waitcnt vmcnt(0)
	v_cvt_f32_i32_e32 v3, v3
	v_bfe_u32 v4, v3, 16, 1
	v_add3_u32 v3, v3, v4, s0
	v_lshrrev_b32_e32 v3, 16, v3
.LBB167_1100:
	s_mov_b64 s[0:1], 0
.LBB167_1101:
	s_andn2_b64 vcc, exec, s[0:1]
	s_cbranch_vccnz .LBB167_1107
; %bb.1102:
	s_cmp_gt_i32 s14, 0
	s_cbranch_scc0 .LBB167_1104
; %bb.1103:
	global_load_sbyte v3, v[1:2], off
	s_movk_i32 s0, 0x7fff
	s_waitcnt vmcnt(0)
	v_cvt_f32_i32_e32 v3, v3
	v_bfe_u32 v4, v3, 16, 1
	v_add3_u32 v3, v3, v4, s0
	v_lshrrev_b32_e32 v3, 16, v3
	s_mov_b64 s[0:1], 0
	s_branch .LBB167_1105
.LBB167_1104:
	s_mov_b64 s[0:1], -1
                                        ; implicit-def: $vgpr3
.LBB167_1105:
	s_andn2_b64 vcc, exec, s[0:1]
	s_cbranch_vccnz .LBB167_1107
; %bb.1106:
	global_load_ubyte v1, v[1:2], off
	s_movk_i32 s0, 0x7fff
	s_waitcnt vmcnt(0)
	v_cvt_f32_ubyte0_e32 v1, v1
	v_bfe_u32 v2, v1, 16, 1
	v_add3_u32 v1, v1, v2, s0
	v_lshrrev_b32_e32 v3, 16, v1
.LBB167_1107:
	v_mov_b32_e32 v4, 0
.LBB167_1108:
	s_mov_b64 s[0:1], -1
.LBB167_1109:
	s_andn2_b64 vcc, exec, s[0:1]
	s_cbranch_vccnz .LBB167_1112
; %bb.1110:
	s_waitcnt vmcnt(0)
	v_or_b32_sdwa v1, v6, v5 dst_sel:DWORD dst_unused:UNUSED_PAD src0_sel:DWORD src1_sel:WORD_0
	v_or_b32_sdwa v2, v4, v3 dst_sel:DWORD dst_unused:UNUSED_PAD src0_sel:DWORD src1_sel:WORD_0
	s_andn2_b64 vcc, exec, s[28:29]
	v_lshlrev_b32_e32 v1, 16, v1
	v_lshlrev_b32_e32 v2, 16, v2
	s_cbranch_vccnz .LBB167_1113
; %bb.1111:
	v_and_b32_e32 v3, 0xffff0000, v6
	v_and_b32_e32 v5, 0xffff0000, v4
	v_cmp_neq_f32_e32 vcc, v1, v2
	v_cmp_neq_f32_e64 s[0:1], v3, v5
	s_or_b64 s[62:63], vcc, s[0:1]
	s_mov_b64 s[0:1], 0
	s_branch .LBB167_1114
.LBB167_1112:
	s_mov_b64 s[64:65], 0
                                        ; implicit-def: $vgpr8
	s_mov_b64 s[0:1], s[52:53]
	s_branch .LBB167_1238
.LBB167_1113:
	s_mov_b64 s[0:1], -1
                                        ; implicit-def: $sgpr62_sgpr63
.LBB167_1114:
	s_andn2_b64 vcc, exec, s[0:1]
	s_cbranch_vccnz .LBB167_1116
; %bb.1115:
	v_and_b32_e32 v3, 0xffff0000, v4
	v_and_b32_e32 v4, 0xffff0000, v6
	v_cmp_eq_f32_e32 vcc, v1, v2
	v_cmp_eq_f32_e64 s[0:1], v4, v3
	s_and_b64 s[0:1], vcc, s[0:1]
	s_andn2_b64 s[62:63], s[62:63], exec
	s_and_b64 s[0:1], s[0:1], exec
	s_or_b64 s[62:63], s[62:63], s[0:1]
.LBB167_1116:
	v_mov_b32_e32 v1, s9
	s_and_b32 s14, s15, 0xff
	v_add_co_u32_e32 v0, vcc, s8, v0
	s_cmp_lt_i32 s14, 11
	v_addc_co_u32_e32 v1, vcc, 0, v1, vcc
	s_cbranch_scc1 .LBB167_1123
; %bb.1117:
	s_and_b32 s71, 0xffff, s14
	s_cmp_gt_i32 s71, 25
	s_cbranch_scc0 .LBB167_1124
; %bb.1118:
	s_cmp_gt_i32 s71, 28
	s_cbranch_scc0 .LBB167_1125
; %bb.1119:
	;; [unrolled: 3-line block ×4, first 2 shown]
	s_mov_b64 s[66:67], 0
	s_mov_b64 s[0:1], -1
	s_cmp_eq_u32 s71, 46
	s_mov_b64 s[64:65], 0
	s_cbranch_scc0 .LBB167_1128
; %bb.1122:
	v_cndmask_b32_e64 v2, 0, 1.0, s[62:63]
	v_bfe_u32 v3, v2, 16, 1
	s_movk_i32 s0, 0x7fff
	v_add3_u32 v2, v2, v3, s0
	v_lshrrev_b32_e32 v2, 16, v2
	global_store_dword v[0:1], v2, off
	s_mov_b64 s[64:65], -1
	s_mov_b64 s[0:1], 0
	s_branch .LBB167_1128
.LBB167_1123:
	s_mov_b64 s[66:67], -1
	s_mov_b64 s[64:65], 0
	s_mov_b64 s[0:1], s[52:53]
	s_branch .LBB167_1197
.LBB167_1124:
	s_mov_b64 s[66:67], -1
	s_mov_b64 s[64:65], 0
	s_mov_b64 s[0:1], s[52:53]
	s_branch .LBB167_1155
.LBB167_1125:
	s_mov_b64 s[66:67], -1
	s_mov_b64 s[64:65], 0
	s_mov_b64 s[0:1], s[52:53]
	s_branch .LBB167_1138
.LBB167_1126:
	s_mov_b64 s[66:67], -1
	s_mov_b64 s[64:65], 0
	s_mov_b64 s[0:1], s[52:53]
	s_branch .LBB167_1134
.LBB167_1127:
	s_mov_b64 s[66:67], -1
	s_mov_b64 s[64:65], 0
	s_mov_b64 s[0:1], s[52:53]
.LBB167_1128:
	s_and_b64 vcc, exec, s[66:67]
	s_cbranch_vccz .LBB167_1133
; %bb.1129:
	s_cmp_eq_u32 s71, 44
	s_mov_b64 s[0:1], -1
	s_cbranch_scc0 .LBB167_1133
; %bb.1130:
	v_cndmask_b32_e64 v3, 0, 1.0, s[62:63]
	v_lshrrev_b32_e32 v2, 23, v3
	s_movk_i32 s0, 0xff
	v_cmp_ne_u32_e32 vcc, s0, v2
	v_mov_b32_e32 v4, 0xff
	s_and_saveexec_b64 s[64:65], vcc
; %bb.1131:
	s_mov_b32 s0, 0x3fffff
	v_and_b32_e32 v4, 0x400000, v3
	v_and_or_b32 v3, v3, s0, v2
	v_cmp_ne_u32_e32 vcc, 0, v4
	v_cmp_ne_u32_e64 s[0:1], 0, v3
	s_and_b64 s[0:1], vcc, s[0:1]
	v_cndmask_b32_e64 v3, 0, 1, s[0:1]
	v_add_u32_e32 v4, v2, v3
; %bb.1132:
	s_or_b64 exec, exec, s[64:65]
	s_mov_b64 s[64:65], -1
	s_mov_b64 s[0:1], 0
	global_store_byte v[0:1], v4, off
.LBB167_1133:
	s_mov_b64 s[66:67], 0
.LBB167_1134:
	s_and_b64 vcc, exec, s[66:67]
	s_cbranch_vccz .LBB167_1137
; %bb.1135:
	s_cmp_eq_u32 s71, 29
	s_mov_b64 s[0:1], -1
	s_cbranch_scc0 .LBB167_1137
; %bb.1136:
	s_mov_b32 s0, 0
	v_cndmask_b32_e64 v2, 0, 1, s[62:63]
	v_mov_b32_e32 v3, s0
	global_store_dwordx2 v[0:1], v[2:3], off
	s_mov_b64 s[64:65], -1
	s_mov_b64 s[0:1], 0
.LBB167_1137:
	s_mov_b64 s[66:67], 0
.LBB167_1138:
	s_and_b64 vcc, exec, s[66:67]
	s_cbranch_vccz .LBB167_1154
; %bb.1139:
	s_cmp_lt_i32 s71, 27
	s_mov_b64 s[64:65], -1
	s_cbranch_scc1 .LBB167_1145
; %bb.1140:
	s_cmp_gt_i32 s71, 27
	s_cbranch_scc0 .LBB167_1142
; %bb.1141:
	v_cndmask_b32_e64 v2, 0, 1, s[62:63]
	s_mov_b64 s[64:65], 0
	global_store_dword v[0:1], v2, off
.LBB167_1142:
	s_andn2_b64 vcc, exec, s[64:65]
	s_cbranch_vccnz .LBB167_1144
; %bb.1143:
	v_cndmask_b32_e64 v2, 0, 1, s[62:63]
	global_store_short v[0:1], v2, off
.LBB167_1144:
	s_mov_b64 s[64:65], 0
.LBB167_1145:
	s_andn2_b64 vcc, exec, s[64:65]
	s_cbranch_vccnz .LBB167_1153
; %bb.1146:
	v_cndmask_b32_e64 v3, 0, 1.0, s[62:63]
	s_mov_b32 s64, 0x43800000
	v_cmp_gt_u32_e32 vcc, s64, v3
	v_mov_b32_e32 v4, 0x80
	s_and_saveexec_b64 s[64:65], vcc
	s_cbranch_execz .LBB167_1152
; %bb.1147:
	s_mov_b32 s66, 0x3bffffff
	v_cmp_lt_u32_e32 vcc, s66, v3
	s_mov_b64 s[66:67], 0
                                        ; implicit-def: $vgpr2
	s_and_saveexec_b64 s[68:69], vcc
	s_xor_b64 s[68:69], exec, s[68:69]
	s_cbranch_execz .LBB167_1266
; %bb.1148:
	v_bfe_u32 v2, v3, 20, 1
	s_mov_b32 s76, 0x487ffff
	v_add3_u32 v2, v3, v2, s76
	s_mov_b64 s[66:67], exec
	v_lshrrev_b32_e32 v2, 20, v2
                                        ; implicit-def: $vgpr3
	s_andn2_saveexec_b64 s[68:69], s[68:69]
	s_cbranch_execnz .LBB167_1267
.LBB167_1149:
	s_or_b64 exec, exec, s[68:69]
	v_mov_b32_e32 v4, 0
	s_and_saveexec_b64 s[68:69], s[66:67]
.LBB167_1150:
	v_mov_b32_e32 v4, v2
.LBB167_1151:
	s_or_b64 exec, exec, s[68:69]
.LBB167_1152:
	s_or_b64 exec, exec, s[64:65]
	global_store_byte v[0:1], v4, off
.LBB167_1153:
	s_mov_b64 s[64:65], -1
.LBB167_1154:
	s_mov_b64 s[66:67], 0
.LBB167_1155:
	s_and_b64 vcc, exec, s[66:67]
	s_cbranch_vccz .LBB167_1196
; %bb.1156:
	s_cmp_gt_i32 s71, 22
	s_mov_b64 s[66:67], -1
	s_cbranch_scc0 .LBB167_1188
; %bb.1157:
	s_cmp_lt_i32 s71, 24
	s_mov_b64 s[64:65], -1
	s_cbranch_scc1 .LBB167_1177
; %bb.1158:
	s_cmp_gt_i32 s71, 24
	s_cbranch_scc0 .LBB167_1166
; %bb.1159:
	v_cndmask_b32_e64 v3, 0, 1.0, s[62:63]
	s_mov_b32 s64, 0x47800000
	v_cmp_gt_u32_e32 vcc, s64, v3
	v_mov_b32_e32 v4, 0x80
	s_and_saveexec_b64 s[64:65], vcc
	s_cbranch_execz .LBB167_1165
; %bb.1160:
	s_mov_b32 s66, 0x37ffffff
	v_cmp_lt_u32_e32 vcc, s66, v3
	s_mov_b64 s[66:67], 0
                                        ; implicit-def: $vgpr2
	s_and_saveexec_b64 s[68:69], vcc
	s_xor_b64 s[68:69], exec, s[68:69]
	s_cbranch_execz .LBB167_2379
; %bb.1161:
	v_bfe_u32 v2, v3, 21, 1
	s_mov_b32 s76, 0x88fffff
	v_add3_u32 v2, v3, v2, s76
	s_mov_b64 s[66:67], exec
	v_lshrrev_b32_e32 v2, 21, v2
                                        ; implicit-def: $vgpr3
	s_andn2_saveexec_b64 s[68:69], s[68:69]
	s_cbranch_execnz .LBB167_2380
.LBB167_1162:
	s_or_b64 exec, exec, s[68:69]
	v_mov_b32_e32 v4, 0
	s_and_saveexec_b64 s[68:69], s[66:67]
.LBB167_1163:
	v_mov_b32_e32 v4, v2
.LBB167_1164:
	s_or_b64 exec, exec, s[68:69]
.LBB167_1165:
	s_or_b64 exec, exec, s[64:65]
	s_mov_b64 s[64:65], 0
	global_store_byte v[0:1], v4, off
.LBB167_1166:
	s_and_b64 vcc, exec, s[64:65]
	s_cbranch_vccz .LBB167_1176
; %bb.1167:
	v_cndmask_b32_e64 v2, 0, 1.0, s[62:63]
	s_mov_b32 s64, 0x43f00000
	v_cmp_gt_u32_e32 vcc, s64, v2
                                        ; implicit-def: $vgpr3
	s_and_saveexec_b64 s[64:65], vcc
	s_xor_b64 s[64:65], exec, s[64:65]
	s_cbranch_execz .LBB167_1173
; %bb.1168:
	s_mov_b32 s66, 0x3c7fffff
	v_cmp_lt_u32_e32 vcc, s66, v2
                                        ; implicit-def: $vgpr3
	s_and_saveexec_b64 s[66:67], vcc
	s_xor_b64 s[66:67], exec, s[66:67]
; %bb.1169:
	v_bfe_u32 v3, v2, 20, 1
	s_mov_b32 s68, 0x407ffff
	v_add3_u32 v2, v2, v3, s68
	v_lshrrev_b32_e32 v3, 20, v2
	v_and_b32_e32 v2, 0xff00000, v2
	s_mov_b32 s68, 0x7f00000
	v_mov_b32_e32 v4, 0x7e
	v_cmp_ne_u32_e32 vcc, s68, v2
	v_cndmask_b32_e32 v3, v4, v3, vcc
                                        ; implicit-def: $vgpr2
; %bb.1170:
	s_andn2_saveexec_b64 s[66:67], s[66:67]
; %bb.1171:
	v_add_f32_e32 v3, 0x46800000, v2
; %bb.1172:
	s_or_b64 exec, exec, s[66:67]
                                        ; implicit-def: $vgpr2
.LBB167_1173:
	s_andn2_saveexec_b64 s[64:65], s[64:65]
; %bb.1174:
	s_mov_b32 s66, 0x7f800000
	v_mov_b32_e32 v3, 0x7e
	v_mov_b32_e32 v4, 0x7f
	v_cmp_lt_u32_e32 vcc, s66, v2
	v_cndmask_b32_e32 v3, v3, v4, vcc
; %bb.1175:
	s_or_b64 exec, exec, s[64:65]
	global_store_byte v[0:1], v3, off
.LBB167_1176:
	s_mov_b64 s[64:65], 0
.LBB167_1177:
	s_andn2_b64 vcc, exec, s[64:65]
	s_cbranch_vccnz .LBB167_1187
; %bb.1178:
	v_cndmask_b32_e64 v2, 0, 1.0, s[62:63]
	s_mov_b32 s64, 0x47800000
	v_cmp_gt_u32_e32 vcc, s64, v2
                                        ; implicit-def: $vgpr3
	s_and_saveexec_b64 s[64:65], vcc
	s_xor_b64 s[64:65], exec, s[64:65]
	s_cbranch_execz .LBB167_1184
; %bb.1179:
	s_mov_b32 s66, 0x387fffff
	v_cmp_lt_u32_e32 vcc, s66, v2
                                        ; implicit-def: $vgpr3
	s_and_saveexec_b64 s[66:67], vcc
	s_xor_b64 s[66:67], exec, s[66:67]
; %bb.1180:
	v_bfe_u32 v3, v2, 21, 1
	s_mov_b32 s68, 0x80fffff
	v_add3_u32 v2, v2, v3, s68
	v_lshrrev_b32_e32 v3, 21, v2
                                        ; implicit-def: $vgpr2
; %bb.1181:
	s_andn2_saveexec_b64 s[66:67], s[66:67]
; %bb.1182:
	v_add_f32_e32 v3, 0x43000000, v2
; %bb.1183:
	s_or_b64 exec, exec, s[66:67]
                                        ; implicit-def: $vgpr2
.LBB167_1184:
	s_andn2_saveexec_b64 s[64:65], s[64:65]
; %bb.1185:
	s_mov_b32 s66, 0x7f800000
	v_mov_b32_e32 v3, 0x7c
	v_mov_b32_e32 v4, 0x7f
	v_cmp_lt_u32_e32 vcc, s66, v2
	v_cndmask_b32_e32 v3, v3, v4, vcc
; %bb.1186:
	s_or_b64 exec, exec, s[64:65]
	global_store_byte v[0:1], v3, off
.LBB167_1187:
	s_mov_b64 s[66:67], 0
	s_mov_b64 s[64:65], -1
.LBB167_1188:
	s_andn2_b64 vcc, exec, s[66:67]
	s_cbranch_vccnz .LBB167_1196
; %bb.1189:
	s_cmp_gt_i32 s71, 14
	s_mov_b64 s[66:67], -1
	s_cbranch_scc0 .LBB167_1193
; %bb.1190:
	s_cmp_eq_u32 s71, 15
	s_mov_b64 s[0:1], -1
	s_cbranch_scc0 .LBB167_1192
; %bb.1191:
	v_cndmask_b32_e64 v2, 0, 1.0, s[62:63]
	v_bfe_u32 v3, v2, 16, 1
	s_movk_i32 s0, 0x7fff
	v_add3_u32 v2, v2, v3, s0
	global_store_short_d16_hi v[0:1], v2, off
	s_mov_b64 s[64:65], -1
	s_mov_b64 s[0:1], 0
.LBB167_1192:
	s_mov_b64 s[66:67], 0
.LBB167_1193:
	s_and_b64 vcc, exec, s[66:67]
	s_cbranch_vccz .LBB167_1196
; %bb.1194:
	s_cmp_eq_u32 s71, 11
	s_mov_b64 s[0:1], -1
	s_cbranch_scc0 .LBB167_1196
; %bb.1195:
	v_cndmask_b32_e64 v2, 0, 1, s[62:63]
	s_mov_b64 s[64:65], -1
	s_mov_b64 s[0:1], 0
	global_store_byte v[0:1], v2, off
.LBB167_1196:
	s_mov_b64 s[66:67], 0
.LBB167_1197:
	s_and_b64 vcc, exec, s[66:67]
	s_cbranch_vccz .LBB167_1236
; %bb.1198:
	s_and_b32 s14, 0xffff, s14
	s_cmp_lt_i32 s14, 5
	s_mov_b64 s[64:65], -1
	s_cbranch_scc1 .LBB167_1219
; %bb.1199:
	s_cmp_lt_i32 s14, 8
	s_cbranch_scc1 .LBB167_1209
; %bb.1200:
	s_cmp_lt_i32 s14, 9
	s_cbranch_scc1 .LBB167_1206
; %bb.1201:
	s_cmp_gt_i32 s14, 9
	s_cbranch_scc0 .LBB167_1203
; %bb.1202:
	v_cndmask_b32_e64 v2, 0, 1, s[62:63]
	v_cvt_f64_u32_e32 v[2:3], v2
	v_mov_b32_e32 v4, 0
	v_mov_b32_e32 v5, v4
	s_mov_b64 s[64:65], 0
	global_store_dwordx4 v[0:1], v[2:5], off
.LBB167_1203:
	s_andn2_b64 vcc, exec, s[64:65]
	s_cbranch_vccnz .LBB167_1205
; %bb.1204:
	v_cndmask_b32_e64 v2, 0, 1.0, s[62:63]
	v_mov_b32_e32 v3, 0
	global_store_dwordx2 v[0:1], v[2:3], off
.LBB167_1205:
	s_mov_b64 s[64:65], 0
.LBB167_1206:
	s_andn2_b64 vcc, exec, s[64:65]
	s_cbranch_vccnz .LBB167_1208
; %bb.1207:
	v_cndmask_b32_e64 v2, 0, 1.0, s[62:63]
	v_cvt_f16_f32_e32 v2, v2
	global_store_dword v[0:1], v2, off
.LBB167_1208:
	s_mov_b64 s[64:65], 0
.LBB167_1209:
	s_andn2_b64 vcc, exec, s[64:65]
	s_cbranch_vccnz .LBB167_1218
; %bb.1210:
	s_cmp_lt_i32 s14, 6
	s_mov_b64 s[64:65], -1
	s_cbranch_scc1 .LBB167_1216
; %bb.1211:
	s_cmp_gt_i32 s14, 6
	s_cbranch_scc0 .LBB167_1213
; %bb.1212:
	v_cndmask_b32_e64 v2, 0, 1, s[62:63]
	v_cvt_f64_u32_e32 v[2:3], v2
	s_mov_b64 s[64:65], 0
	global_store_dwordx2 v[0:1], v[2:3], off
.LBB167_1213:
	s_andn2_b64 vcc, exec, s[64:65]
	s_cbranch_vccnz .LBB167_1215
; %bb.1214:
	v_cndmask_b32_e64 v2, 0, 1.0, s[62:63]
	global_store_dword v[0:1], v2, off
.LBB167_1215:
	s_mov_b64 s[64:65], 0
.LBB167_1216:
	s_andn2_b64 vcc, exec, s[64:65]
	s_cbranch_vccnz .LBB167_1218
; %bb.1217:
	v_cndmask_b32_e64 v2, 0, 1.0, s[62:63]
	v_cvt_f16_f32_e32 v2, v2
	global_store_short v[0:1], v2, off
.LBB167_1218:
	s_mov_b64 s[64:65], 0
.LBB167_1219:
	s_andn2_b64 vcc, exec, s[64:65]
	s_cbranch_vccnz .LBB167_1235
; %bb.1220:
	s_cmp_lt_i32 s14, 2
	s_mov_b64 s[64:65], -1
	s_cbranch_scc1 .LBB167_1230
; %bb.1221:
	s_cmp_lt_i32 s14, 3
	s_cbranch_scc1 .LBB167_1227
; %bb.1222:
	s_cmp_gt_i32 s14, 3
	s_cbranch_scc0 .LBB167_1224
; %bb.1223:
	s_mov_b32 s64, 0
	v_cndmask_b32_e64 v2, 0, 1, s[62:63]
	v_mov_b32_e32 v3, s64
	s_mov_b64 s[64:65], 0
	global_store_dwordx2 v[0:1], v[2:3], off
.LBB167_1224:
	s_andn2_b64 vcc, exec, s[64:65]
	s_cbranch_vccnz .LBB167_1226
; %bb.1225:
	v_cndmask_b32_e64 v2, 0, 1, s[62:63]
	global_store_dword v[0:1], v2, off
.LBB167_1226:
	s_mov_b64 s[64:65], 0
.LBB167_1227:
	s_andn2_b64 vcc, exec, s[64:65]
	s_cbranch_vccnz .LBB167_1229
; %bb.1228:
	v_cndmask_b32_e64 v2, 0, 1, s[62:63]
	global_store_short v[0:1], v2, off
.LBB167_1229:
	s_mov_b64 s[64:65], 0
.LBB167_1230:
	s_andn2_b64 vcc, exec, s[64:65]
	s_cbranch_vccnz .LBB167_1235
; %bb.1231:
	s_mov_b64 s[64:65], -1
	s_cmp_gt_i32 s14, 0
	v_cndmask_b32_e64 v2, 0, 1, s[62:63]
	s_cbranch_scc0 .LBB167_1233
; %bb.1232:
	s_mov_b64 s[64:65], 0
	global_store_byte v[0:1], v2, off
.LBB167_1233:
	s_andn2_b64 vcc, exec, s[64:65]
	s_cbranch_vccnz .LBB167_1235
; %bb.1234:
	global_store_byte v[0:1], v2, off
.LBB167_1235:
	s_mov_b64 s[64:65], -1
.LBB167_1236:
	s_andn2_b64 vcc, exec, s[64:65]
	s_cbranch_vccnz .LBB167_1248
; %bb.1237:
	v_add_u32_e32 v8, 0x80, v8
	s_mov_b64 s[64:65], -1
.LBB167_1238:
	s_andn2_b64 s[62:63], s[52:53], exec
	s_and_b64 s[0:1], s[0:1], exec
	s_or_b64 s[62:63], s[62:63], s[0:1]
	s_andn2_b64 s[0:1], s[50:51], exec
	s_and_b64 s[60:61], s[60:61], exec
	s_or_b64 s[60:61], s[0:1], s[60:61]
	;; [unrolled: 3-line block ×3, first 2 shown]
	s_orn2_b64 s[68:69], s[64:65], exec
.LBB167_1239:
	s_or_b64 exec, exec, s[56:57]
	s_mov_b64 s[64:65], 0
	s_mov_b64 s[58:59], 0
	;; [unrolled: 1-line block ×3, first 2 shown]
                                        ; implicit-def: $sgpr14
                                        ; implicit-def: $vgpr3_vgpr4
                                        ; implicit-def: $vgpr0
                                        ; implicit-def: $vgpr2
                                        ; implicit-def: $vgpr6
                                        ; implicit-def: $vgpr5
	s_and_saveexec_b64 s[56:57], s[68:69]
	s_cbranch_execz .LBB167_1337
; %bb.1240:
	v_cmp_gt_i32_e32 vcc, s70, v8
	s_mov_b64 s[68:69], s[0:1]
	s_mov_b64 s[70:71], 0
                                        ; implicit-def: $sgpr14
                                        ; implicit-def: $vgpr3_vgpr4
                                        ; implicit-def: $vgpr0
                                        ; implicit-def: $vgpr2
                                        ; implicit-def: $vgpr6
                                        ; implicit-def: $vgpr5
	s_and_saveexec_b64 s[58:59], vcc
	s_cbranch_execz .LBB167_1336
; %bb.1241:
	s_andn2_b64 vcc, exec, s[24:25]
	s_cbranch_vccnz .LBB167_1247
; %bb.1242:
	s_andn2_b64 vcc, exec, s[38:39]
	s_cbranch_vccnz .LBB167_1249
; %bb.1243:
	s_add_i32 s14, s75, 1
	s_and_b32 s14, s14, 30
	s_add_u32 s38, s2, 0xffffffe8
	s_addc_u32 s39, s3, -1
	v_mov_b32_e32 v2, 0
	v_mov_b32_e32 v4, 0
	;; [unrolled: 1-line block ×4, first 2 shown]
.LBB167_1244:                           ; =>This Inner Loop Header: Depth=1
	s_load_dwordx4 s[64:67], s[38:39], 0x1c
	s_load_dwordx2 s[76:77], s[38:39], 0x2c
	s_load_dwordx2 s[78:79], s[38:39], 0xec
	s_load_dwordx4 s[68:71], s[38:39], 0xdc
	s_add_u32 s38, s38, 24
	s_waitcnt vmcnt(0) lgkmcnt(0)
	v_mul_hi_u32 v3, s65, v1
	s_addc_u32 s39, s39, 0
	s_add_i32 s14, s14, -2
	s_cmp_eq_u32 s14, 0
	v_add_u32_e32 v3, v1, v3
	v_lshrrev_b32_e32 v3, s66, v3
	v_mul_lo_u32 v5, v3, s64
	v_mul_hi_u32 v6, s76, v3
	v_sub_u32_e32 v5, v1, v5
	v_add_u32_e32 v1, v3, v6
	v_lshrrev_b32_e32 v1, s77, v1
	v_mul_lo_u32 v9, v1, s67
	v_mul_lo_u32 v6, v5, s68
	;; [unrolled: 1-line block ×4, first 2 shown]
	v_sub_u32_e32 v3, v3, v9
	v_mul_lo_u32 v9, v3, s71
	v_mul_lo_u32 v10, v3, s78
	;; [unrolled: 1-line block ×3, first 2 shown]
	v_add3_u32 v0, v6, v0, v9
	v_add3_u32 v4, v7, v4, v10
	;; [unrolled: 1-line block ×3, first 2 shown]
	s_cbranch_scc0 .LBB167_1244
; %bb.1245:
	s_bitcmp1_b32 s75, 0
	s_cselect_b64 s[64:65], -1, 0
	s_and_b64 vcc, exec, s[64:65]
	s_cbranch_vccnz .LBB167_1250
; %bb.1246:
	s_load_dwordx2 s[64:65], s[38:39], 0x1c
	s_load_dword s14, s[38:39], 0x24
	s_load_dwordx2 s[66:67], s[38:39], 0xdc
	s_waitcnt lgkmcnt(0)
	v_mul_hi_u32 v3, s65, v1
	v_add_u32_e32 v3, v1, v3
	v_lshrrev_b32_e32 v3, s14, v3
	v_mul_lo_u32 v3, v3, s64
	s_load_dword s14, s[38:39], 0xe4
	v_sub_u32_e32 v3, v1, v3
	v_mad_u64_u32 v[0:1], s[38:39], v3, s66, v[0:1]
	v_mad_u64_u32 v[4:5], s[38:39], v3, s67, v[4:5]
	s_waitcnt lgkmcnt(0)
	v_mad_u64_u32 v[2:3], s[38:39], v3, s14, v[2:3]
	s_branch .LBB167_1250
.LBB167_1247:
	s_mov_b64 s[38:39], -1
                                        ; implicit-def: $vgpr0
                                        ; implicit-def: $vgpr4
                                        ; implicit-def: $vgpr2
	s_branch .LBB167_1251
.LBB167_1248:
	s_mov_b64 s[64:65], 0
	s_branch .LBB167_981
.LBB167_1249:
	v_mov_b32_e32 v0, 0
	v_mov_b32_e32 v4, 0
	;; [unrolled: 1-line block ×3, first 2 shown]
.LBB167_1250:
	s_mov_b64 s[38:39], 0
.LBB167_1251:
	s_andn2_b64 vcc, exec, s[38:39]
	s_cbranch_vccnz .LBB167_1254
; %bb.1252:
	v_mul_hi_u32 v0, s17, v8
	s_andn2_b64 vcc, exec, s[36:37]
	v_add_u32_e32 v0, v8, v0
	v_lshrrev_b32_e32 v1, s18, v0
	v_mul_lo_u32 v0, v1, s16
	v_sub_u32_e32 v2, v8, v0
	v_mul_lo_u32 v0, v2, s20
	v_mul_lo_u32 v4, v2, s21
	;; [unrolled: 1-line block ×3, first 2 shown]
	s_cbranch_vccnz .LBB167_1254
; %bb.1253:
	s_waitcnt vmcnt(0)
	v_mul_hi_u32 v3, s34, v1
	v_add_u32_e32 v3, v1, v3
	v_lshrrev_b32_e32 v3, s35, v3
	v_mul_lo_u32 v3, v3, s19
	v_sub_u32_e32 v3, v1, v3
	v_mad_u64_u32 v[0:1], s[16:17], v3, s23, v[0:1]
	v_mad_u64_u32 v[4:5], s[16:17], v3, s30, v[4:5]
	v_mad_u64_u32 v[2:3], s[16:17], v3, s31, v[2:3]
.LBB167_1254:
	v_mov_b32_e32 v1, s11
	s_and_b32 s14, s74, 0xff
	s_waitcnt vmcnt(0)
	v_add_co_u32_e32 v3, vcc, s10, v4
	s_cmp_lt_i32 s14, 11
	v_addc_co_u32_e32 v4, vcc, 0, v1, vcc
	s_cbranch_scc1 .LBB167_1261
; %bb.1255:
	s_and_b32 s30, 0xffff, s14
	s_cmp_gt_i32 s30, 25
	s_mov_b64 s[16:17], 0
	s_cbranch_scc0 .LBB167_1262
; %bb.1256:
	s_cmp_gt_i32 s30, 28
	s_cbranch_scc0 .LBB167_1263
; %bb.1257:
	s_cmp_gt_i32 s30, 43
	;; [unrolled: 3-line block ×3, first 2 shown]
	s_cbranch_scc0 .LBB167_1265
; %bb.1259:
	s_cmp_eq_u32 s30, 46
	s_mov_b64 s[20:21], 0
	s_cbranch_scc0 .LBB167_1268
; %bb.1260:
	global_load_dword v5, v[3:4], off
	s_mov_b64 s[10:11], 0
	s_mov_b64 s[18:19], -1
	s_waitcnt vmcnt(0)
	v_and_b32_e32 v6, 0xffff0000, v5
	s_branch .LBB167_1269
.LBB167_1261:
	s_mov_b64 s[20:21], -1
	s_mov_b64 s[18:19], 0
	s_mov_b64 s[16:17], 0
	;; [unrolled: 1-line block ×3, first 2 shown]
                                        ; implicit-def: $vgpr6
                                        ; implicit-def: $vgpr5
	s_branch .LBB167_1335
.LBB167_1262:
	s_mov_b64 s[20:21], -1
	s_mov_b64 s[18:19], 0
	s_mov_b64 s[10:11], s[0:1]
                                        ; implicit-def: $vgpr6
                                        ; implicit-def: $vgpr5
	s_branch .LBB167_1300
.LBB167_1263:
	s_mov_b64 s[20:21], -1
	s_mov_b64 s[18:19], 0
	s_mov_b64 s[10:11], s[0:1]
                                        ; implicit-def: $vgpr6
                                        ; implicit-def: $vgpr5
	s_branch .LBB167_1281
.LBB167_1264:
	s_mov_b64 s[20:21], -1
	s_mov_b64 s[18:19], 0
	s_mov_b64 s[10:11], s[0:1]
                                        ; implicit-def: $vgpr6
                                        ; implicit-def: $vgpr5
	s_branch .LBB167_1275
.LBB167_1265:
	s_mov_b64 s[20:21], -1
	s_mov_b64 s[18:19], 0
	s_mov_b64 s[10:11], s[0:1]
                                        ; implicit-def: $vgpr6
                                        ; implicit-def: $vgpr5
	s_branch .LBB167_1269
.LBB167_1266:
	s_andn2_saveexec_b64 s[68:69], s[68:69]
	s_cbranch_execz .LBB167_1149
.LBB167_1267:
	v_add_f32_e32 v2, 0x46000000, v3
	v_and_b32_e32 v2, 0xff, v2
	v_cmp_ne_u32_e32 vcc, 0, v2
	s_andn2_b64 s[66:67], s[66:67], exec
	s_and_b64 s[76:77], vcc, exec
	s_or_b64 s[66:67], s[66:67], s[76:77]
	s_or_b64 exec, exec, s[68:69]
	v_mov_b32_e32 v4, 0
	s_and_saveexec_b64 s[68:69], s[66:67]
	s_cbranch_execnz .LBB167_1150
	s_branch .LBB167_1151
.LBB167_1268:
	s_mov_b64 s[10:11], -1
                                        ; implicit-def: $vgpr6
                                        ; implicit-def: $vgpr5
	s_mov_b64 s[18:19], 0
.LBB167_1269:
	s_and_b64 vcc, exec, s[20:21]
	s_cbranch_vccz .LBB167_1274
; %bb.1270:
	s_cmp_eq_u32 s30, 44
	s_cbranch_scc0 .LBB167_1272
; %bb.1271:
	global_load_ubyte v1, v[3:4], off
	s_movk_i32 s18, 0xff
	v_mov_b32_e32 v5, 0x7f800001
	v_mov_b32_e32 v6, 0x400000
	;; [unrolled: 1-line block ×3, first 2 shown]
	s_mov_b64 s[10:11], 0
	s_waitcnt vmcnt(0)
	v_lshlrev_b32_e32 v8, 23, v1
	v_cmp_ne_u32_e32 vcc, s18, v1
	v_cndmask_b32_e32 v5, v5, v8, vcc
	v_cmp_ne_u32_e32 vcc, 0, v1
	v_cndmask_b32_e32 v1, v6, v5, vcc
	v_add_u32_e32 v5, 0x7fff, v1
	v_cmp_o_f32_e32 vcc, v1, v1
	v_cndmask_b32_sdwa v5, v7, v5, vcc dst_sel:DWORD dst_unused:UNUSED_PAD src0_sel:DWORD src1_sel:WORD_1
	s_mov_b64 s[18:19], -1
	s_branch .LBB167_1273
.LBB167_1272:
	s_mov_b64 s[10:11], -1
                                        ; implicit-def: $vgpr5
.LBB167_1273:
	v_mov_b32_e32 v6, 0
.LBB167_1274:
	s_mov_b64 s[20:21], 0
.LBB167_1275:
	s_and_b64 vcc, exec, s[20:21]
	s_cbranch_vccz .LBB167_1280
; %bb.1276:
	s_cmp_eq_u32 s30, 29
	s_cbranch_scc0 .LBB167_1278
; %bb.1277:
	global_load_dwordx2 v[5:6], v[3:4], off
	s_movk_i32 s18, 0x7fff
	s_mov_b64 s[10:11], 0
	s_waitcnt vmcnt(0)
	v_ffbh_u32_e32 v1, v6
	v_min_u32_e32 v1, 32, v1
	v_lshlrev_b64 v[5:6], v1, v[5:6]
	v_sub_u32_e32 v1, 32, v1
	v_min_u32_e32 v5, 1, v5
	v_or_b32_e32 v5, v6, v5
	v_cvt_f32_u32_e32 v5, v5
	v_ldexp_f32 v1, v5, v1
	v_bfe_u32 v5, v1, 16, 1
	v_add3_u32 v1, v1, v5, s18
	v_lshrrev_b32_e32 v5, 16, v1
	s_mov_b64 s[18:19], -1
	s_branch .LBB167_1279
.LBB167_1278:
	s_mov_b64 s[10:11], -1
                                        ; implicit-def: $vgpr5
.LBB167_1279:
	v_mov_b32_e32 v6, 0
.LBB167_1280:
	s_mov_b64 s[20:21], 0
.LBB167_1281:
	s_and_b64 vcc, exec, s[20:21]
	s_cbranch_vccz .LBB167_1299
; %bb.1282:
	s_cmp_lt_i32 s30, 27
	s_cbranch_scc1 .LBB167_1285
; %bb.1283:
	s_cmp_gt_i32 s30, 27
	s_cbranch_scc0 .LBB167_1286
; %bb.1284:
	global_load_dword v1, v[3:4], off
	s_movk_i32 s18, 0x7fff
	s_waitcnt vmcnt(0)
	v_cvt_f32_u32_e32 v1, v1
	v_bfe_u32 v5, v1, 16, 1
	v_add3_u32 v1, v1, v5, s18
	v_lshrrev_b32_e32 v5, 16, v1
	s_mov_b64 s[18:19], 0
	s_branch .LBB167_1287
.LBB167_1285:
	s_mov_b64 s[18:19], -1
                                        ; implicit-def: $vgpr5
	s_branch .LBB167_1290
.LBB167_1286:
	s_mov_b64 s[18:19], -1
                                        ; implicit-def: $vgpr5
.LBB167_1287:
	s_andn2_b64 vcc, exec, s[18:19]
	s_cbranch_vccnz .LBB167_1289
; %bb.1288:
	global_load_ushort v1, v[3:4], off
	s_movk_i32 s18, 0x7fff
	s_waitcnt vmcnt(0)
	v_cvt_f32_u32_e32 v1, v1
	v_bfe_u32 v5, v1, 16, 1
	v_add3_u32 v1, v1, v5, s18
	v_lshrrev_b32_e32 v5, 16, v1
.LBB167_1289:
	s_mov_b64 s[18:19], 0
.LBB167_1290:
	s_andn2_b64 vcc, exec, s[18:19]
	s_cbranch_vccnz .LBB167_1298
; %bb.1291:
	global_load_ubyte v1, v[3:4], off
	s_movk_i32 s18, 0x7f
	s_waitcnt vmcnt(0)
	v_cmp_lt_i16_e32 vcc, s18, v1
	s_mov_b64 s[18:19], 0
	s_and_saveexec_b64 s[20:21], vcc
	s_xor_b64 s[20:21], exec, s[20:21]
	s_cbranch_execz .LBB167_1312
; %bb.1292:
	s_movk_i32 s18, 0x80
	v_cmp_eq_u16_e32 vcc, s18, v1
	s_mov_b64 s[18:19], -1
	s_and_saveexec_b64 s[22:23], vcc
; %bb.1293:
	s_xor_b64 s[18:19], exec, -1
; %bb.1294:
	s_or_b64 exec, exec, s[22:23]
	s_and_b64 s[18:19], s[18:19], exec
	s_or_saveexec_b64 s[20:21], s[20:21]
	v_mov_b32_e32 v5, 0x7f800001
	s_xor_b64 exec, exec, s[20:21]
	s_cbranch_execnz .LBB167_1313
.LBB167_1295:
	s_or_b64 exec, exec, s[20:21]
	s_and_saveexec_b64 s[20:21], s[18:19]
	s_cbranch_execz .LBB167_1297
.LBB167_1296:
	v_lshlrev_b32_e32 v5, 24, v1
	v_and_b32_e32 v1, 0xffff, v1
	v_and_b32_e32 v6, 7, v1
	v_ffbh_u32_e32 v8, v6
	v_min_u32_e32 v8, 32, v8
	v_subrev_u32_e32 v9, 28, v8
	v_bfe_u32 v7, v1, 3, 4
	v_lshlrev_b32_e32 v1, v9, v1
	v_sub_u32_e32 v8, 29, v8
	v_and_b32_e32 v1, 7, v1
	v_cmp_eq_u32_e32 vcc, 0, v7
	v_cndmask_b32_e32 v7, v7, v8, vcc
	v_cndmask_b32_e32 v1, v6, v1, vcc
	v_mov_b32_e32 v6, 0x3b800000
	v_lshlrev_b32_e32 v1, 20, v1
	v_and_b32_e32 v5, 0x80000000, v5
	v_lshl_add_u32 v6, v7, 23, v6
	v_or3_b32 v5, v5, v6, v1
.LBB167_1297:
	s_or_b64 exec, exec, s[20:21]
	v_bfe_u32 v1, v5, 16, 1
	s_movk_i32 s18, 0x7fff
	v_add3_u32 v1, v5, v1, s18
	v_cmp_o_f32_e32 vcc, v5, v5
	v_mov_b32_e32 v5, 0x7fc0
	v_cndmask_b32_sdwa v5, v5, v1, vcc dst_sel:DWORD dst_unused:UNUSED_PAD src0_sel:DWORD src1_sel:WORD_1
.LBB167_1298:
	s_mov_b64 s[18:19], -1
	v_mov_b32_e32 v6, 0
.LBB167_1299:
	s_mov_b64 s[20:21], 0
.LBB167_1300:
	s_and_b64 vcc, exec, s[20:21]
	s_cbranch_vccz .LBB167_1334
; %bb.1301:
	s_cmp_gt_i32 s30, 22
	s_cbranch_scc0 .LBB167_1311
; %bb.1302:
	s_cmp_lt_i32 s30, 24
	s_cbranch_scc1 .LBB167_1314
; %bb.1303:
	s_cmp_gt_i32 s30, 24
	s_cbranch_scc0 .LBB167_1315
; %bb.1304:
	global_load_ubyte v1, v[3:4], off
	s_movk_i32 s16, 0x7f
	s_waitcnt vmcnt(0)
	v_cmp_lt_i16_e32 vcc, s16, v1
	s_mov_b64 s[16:17], 0
	s_and_saveexec_b64 s[18:19], vcc
	s_xor_b64 s[18:19], exec, s[18:19]
	s_cbranch_execz .LBB167_1327
; %bb.1305:
	s_movk_i32 s16, 0x80
	v_cmp_eq_u16_e32 vcc, s16, v1
	s_mov_b64 s[16:17], -1
	s_and_saveexec_b64 s[20:21], vcc
; %bb.1306:
	s_xor_b64 s[16:17], exec, -1
; %bb.1307:
	s_or_b64 exec, exec, s[20:21]
	s_and_b64 s[16:17], s[16:17], exec
	s_or_saveexec_b64 s[18:19], s[18:19]
	v_mov_b32_e32 v5, 0x7f800001
	s_xor_b64 exec, exec, s[18:19]
	s_cbranch_execnz .LBB167_1328
.LBB167_1308:
	s_or_b64 exec, exec, s[18:19]
	s_and_saveexec_b64 s[18:19], s[16:17]
	s_cbranch_execz .LBB167_1310
.LBB167_1309:
	v_lshlrev_b32_e32 v5, 24, v1
	v_and_b32_e32 v1, 0xffff, v1
	v_and_b32_e32 v6, 3, v1
	v_ffbh_u32_e32 v8, v6
	v_min_u32_e32 v8, 32, v8
	v_subrev_u32_e32 v9, 29, v8
	v_bfe_u32 v7, v1, 2, 5
	v_lshlrev_b32_e32 v1, v9, v1
	v_sub_u32_e32 v8, 30, v8
	v_and_b32_e32 v1, 3, v1
	v_cmp_eq_u32_e32 vcc, 0, v7
	v_cndmask_b32_e32 v7, v7, v8, vcc
	v_cndmask_b32_e32 v1, v6, v1, vcc
	v_mov_b32_e32 v6, 0x37800000
	v_lshlrev_b32_e32 v1, 21, v1
	v_and_b32_e32 v5, 0x80000000, v5
	v_lshl_add_u32 v6, v7, 23, v6
	v_or3_b32 v5, v5, v6, v1
.LBB167_1310:
	s_or_b64 exec, exec, s[18:19]
	v_bfe_u32 v1, v5, 16, 1
	s_movk_i32 s16, 0x7fff
	v_add3_u32 v1, v5, v1, s16
	v_cmp_o_f32_e32 vcc, v5, v5
	v_mov_b32_e32 v5, 0x7fc0
	v_cndmask_b32_sdwa v5, v5, v1, vcc dst_sel:DWORD dst_unused:UNUSED_PAD src0_sel:DWORD src1_sel:WORD_1
	s_mov_b64 s[16:17], 0
	s_branch .LBB167_1316
.LBB167_1311:
	s_mov_b64 s[16:17], -1
                                        ; implicit-def: $vgpr5
	s_branch .LBB167_1322
.LBB167_1312:
	s_or_saveexec_b64 s[20:21], s[20:21]
	v_mov_b32_e32 v5, 0x7f800001
	s_xor_b64 exec, exec, s[20:21]
	s_cbranch_execz .LBB167_1295
.LBB167_1313:
	v_cmp_ne_u16_e32 vcc, 0, v1
	s_andn2_b64 s[18:19], s[18:19], exec
	s_and_b64 s[22:23], vcc, exec
	v_mov_b32_e32 v5, 0
	s_or_b64 s[18:19], s[18:19], s[22:23]
	s_or_b64 exec, exec, s[20:21]
	s_and_saveexec_b64 s[20:21], s[18:19]
	s_cbranch_execnz .LBB167_1296
	s_branch .LBB167_1297
.LBB167_1314:
	s_mov_b64 s[16:17], -1
                                        ; implicit-def: $vgpr5
	s_branch .LBB167_1319
.LBB167_1315:
	s_mov_b64 s[16:17], -1
                                        ; implicit-def: $vgpr5
.LBB167_1316:
	s_and_b64 vcc, exec, s[16:17]
	s_cbranch_vccz .LBB167_1318
; %bb.1317:
	global_load_ubyte v1, v[3:4], off
	s_mov_b32 s16, 0x7f800000
	s_brev_b32 s17, 1
	s_movk_i32 s18, 0x7fff
	s_waitcnt vmcnt(0)
	v_lshlrev_b32_e32 v1, 24, v1
	v_and_b32_e32 v5, 0x7f000000, v1
	v_ffbh_u32_e32 v6, v5
	v_min_u32_e32 v6, 32, v6
	v_sub_u32_e64 v6, v6, 4 clamp
	v_lshlrev_b32_e32 v8, v6, v5
	v_lshlrev_b32_e32 v6, 23, v6
	v_lshrrev_b32_e32 v8, 4, v8
	v_add_u32_e32 v7, 0x1000000, v5
	v_sub_u32_e32 v6, v8, v6
	v_ashrrev_i32_e32 v7, 8, v7
	v_add_u32_e32 v6, 0x3c000000, v6
	v_and_or_b32 v6, v7, s16, v6
	v_cmp_ne_u32_e32 vcc, 0, v5
	v_cndmask_b32_e32 v5, 0, v6, vcc
	v_and_or_b32 v1, v1, s17, v5
	v_bfe_u32 v5, v5, 16, 1
	v_add3_u32 v5, v1, v5, s18
	v_cmp_o_f32_e32 vcc, v1, v1
	v_mov_b32_e32 v1, 0x7fc0
	v_cndmask_b32_sdwa v5, v1, v5, vcc dst_sel:DWORD dst_unused:UNUSED_PAD src0_sel:DWORD src1_sel:WORD_1
.LBB167_1318:
	s_mov_b64 s[16:17], 0
.LBB167_1319:
	s_andn2_b64 vcc, exec, s[16:17]
	s_cbranch_vccnz .LBB167_1321
; %bb.1320:
	global_load_ubyte v1, v[3:4], off
	s_movk_i32 s16, 0x7f00
	s_brev_b32 s17, 16
	s_brev_b32 s18, 1
	s_movk_i32 s19, 0x7fff
	s_waitcnt vmcnt(0)
	v_lshlrev_b16_e32 v5, 8, v1
	v_lshlrev_b32_e32 v1, 25, v1
	v_lshrrev_b32_e32 v6, 4, v1
	v_and_or_b32 v7, v5, s16, 0.5
	v_or_b32_e32 v6, 0x70000000, v6
	v_add_f32_e32 v7, -0.5, v7
	v_mul_f32_e32 v6, 0x7800000, v6
	v_cmp_gt_u32_e32 vcc, s17, v1
	v_bfe_i32 v5, v5, 0, 16
	v_cndmask_b32_e32 v1, v6, v7, vcc
	v_and_or_b32 v5, v5, s18, v1
	v_bfe_u32 v1, v1, 16, 1
	v_add3_u32 v1, v5, v1, s19
	v_cmp_o_f32_e32 vcc, v5, v5
	v_mov_b32_e32 v5, 0x7fc0
	v_cndmask_b32_sdwa v5, v5, v1, vcc dst_sel:DWORD dst_unused:UNUSED_PAD src0_sel:DWORD src1_sel:WORD_1
.LBB167_1321:
	s_mov_b64 s[16:17], 0
	s_mov_b64 s[18:19], -1
.LBB167_1322:
	s_andn2_b64 vcc, exec, s[16:17]
	s_mov_b64 s[16:17], 0
	s_cbranch_vccnz .LBB167_1333
; %bb.1323:
	s_cmp_gt_i32 s30, 14
	s_cbranch_scc0 .LBB167_1326
; %bb.1324:
	s_cmp_eq_u32 s30, 15
	s_cbranch_scc0 .LBB167_1329
; %bb.1325:
	global_load_ushort v5, v[3:4], off
	s_mov_b64 s[10:11], 0
	s_mov_b64 s[18:19], -1
	s_branch .LBB167_1330
.LBB167_1326:
	s_mov_b64 s[20:21], -1
                                        ; implicit-def: $vgpr5
	s_branch .LBB167_1331
.LBB167_1327:
	s_or_saveexec_b64 s[18:19], s[18:19]
	v_mov_b32_e32 v5, 0x7f800001
	s_xor_b64 exec, exec, s[18:19]
	s_cbranch_execz .LBB167_1308
.LBB167_1328:
	v_cmp_ne_u16_e32 vcc, 0, v1
	s_andn2_b64 s[16:17], s[16:17], exec
	s_and_b64 s[20:21], vcc, exec
	v_mov_b32_e32 v5, 0
	s_or_b64 s[16:17], s[16:17], s[20:21]
	s_or_b64 exec, exec, s[18:19]
	s_and_saveexec_b64 s[18:19], s[16:17]
	s_cbranch_execnz .LBB167_1309
	s_branch .LBB167_1310
.LBB167_1329:
	s_mov_b64 s[10:11], -1
                                        ; implicit-def: $vgpr5
.LBB167_1330:
	s_mov_b64 s[20:21], 0
.LBB167_1331:
	s_and_b64 vcc, exec, s[20:21]
	s_cbranch_vccz .LBB167_1333
; %bb.1332:
	s_cmp_lg_u32 s30, 11
	s_cselect_b64 s[20:21], -1, 0
	s_andn2_b64 s[10:11], s[10:11], exec
	s_and_b64 s[20:21], s[20:21], exec
	s_mov_b64 s[16:17], -1
	s_or_b64 s[10:11], s[10:11], s[20:21]
.LBB167_1333:
	v_mov_b32_e32 v6, 0
.LBB167_1334:
	s_mov_b64 s[20:21], 0
.LBB167_1335:
	s_and_b64 s[64:65], s[16:17], exec
	s_andn2_b64 s[16:17], s[0:1], exec
	s_and_b64 s[10:11], s[10:11], exec
	s_and_b64 s[66:67], s[18:19], exec
	;; [unrolled: 1-line block ×3, first 2 shown]
	s_or_b64 s[68:69], s[16:17], s[10:11]
.LBB167_1336:
	s_or_b64 exec, exec, s[58:59]
	s_andn2_b64 s[0:1], s[0:1], exec
	s_and_b64 s[10:11], s[68:69], exec
	s_and_b64 s[66:67], s[66:67], exec
	;; [unrolled: 1-line block ×4, first 2 shown]
	s_or_b64 s[0:1], s[0:1], s[10:11]
.LBB167_1337:
	s_or_b64 exec, exec, s[56:57]
	s_andn2_b64 s[10:11], s[52:53], exec
	s_and_b64 s[16:17], s[62:63], exec
	s_or_b64 s[52:53], s[10:11], s[16:17]
	s_andn2_b64 s[10:11], s[50:51], exec
	s_and_b64 s[16:17], s[60:61], exec
	s_or_b64 s[50:51], s[10:11], s[16:17]
	s_andn2_b64 s[10:11], s[48:49], exec
	s_and_b64 s[0:1], s[0:1], exec
	s_and_b64 s[60:61], s[66:67], exec
	;; [unrolled: 1-line block ×4, first 2 shown]
	s_or_b64 s[48:49], s[10:11], s[0:1]
.LBB167_1338:
	s_or_b64 exec, exec, s[54:55]
	s_andn2_b64 s[0:1], s[40:41], exec
	s_and_b64 s[10:11], s[52:53], exec
	s_or_b64 s[40:41], s[0:1], s[10:11]
	s_andn2_b64 s[0:1], s[42:43], exec
	s_and_b64 s[10:11], s[50:51], exec
	s_or_b64 s[42:43], s[0:1], s[10:11]
	s_andn2_b64 s[0:1], s[44:45], exec
	s_and_b64 s[10:11], s[48:49], exec
	s_and_b64 s[52:53], s[60:61], exec
	;; [unrolled: 1-line block ×4, first 2 shown]
	s_or_b64 s[44:45], s[0:1], s[10:11]
	s_or_b64 exec, exec, s[46:47]
	s_mov_b64 s[10:11], 0
	s_and_saveexec_b64 s[0:1], s[44:45]
	s_cbranch_execz .LBB167_416
.LBB167_1339:
	s_mov_b64 s[10:11], exec
	s_andn2_b64 s[50:51], s[50:51], exec
	s_trap 2
	s_or_b64 exec, exec, s[0:1]
	s_and_saveexec_b64 s[0:1], s[50:51]
	s_xor_b64 s[0:1], exec, s[0:1]
	s_cbranch_execnz .LBB167_417
.LBB167_1340:
	s_or_b64 exec, exec, s[0:1]
	s_and_saveexec_b64 s[0:1], s[54:55]
	s_cbranch_execz .LBB167_1388
.LBB167_1341:
	s_sext_i32_i16 s16, s14
	s_cmp_lt_i32 s16, 5
	s_cbranch_scc1 .LBB167_1346
; %bb.1342:
	s_cmp_lt_i32 s16, 8
	s_cbranch_scc1 .LBB167_1347
; %bb.1343:
	;; [unrolled: 3-line block ×3, first 2 shown]
	s_cmp_gt_i32 s16, 9
	s_cbranch_scc0 .LBB167_1349
; %bb.1345:
	s_waitcnt vmcnt(0)
	global_load_dwordx4 v[5:8], v[3:4], off
	s_movk_i32 s16, 0x7fff
	s_waitcnt vmcnt(0)
	v_cvt_f32_f64_e32 v1, v[5:6]
	v_cvt_f32_f64_e32 v6, v[7:8]
	v_mov_b32_e32 v5, 0x7fc0
	v_mov_b32_e32 v7, 0x7fc00000
	v_bfe_u32 v8, v1, 16, 1
	v_bfe_u32 v9, v6, 16, 1
	v_cmp_o_f32_e32 vcc, v1, v1
	v_add3_u32 v1, v1, v8, s16
	v_add3_u32 v8, v6, v9, s16
	v_cndmask_b32_sdwa v5, v5, v1, vcc dst_sel:DWORD dst_unused:UNUSED_PAD src0_sel:DWORD src1_sel:WORD_1
	v_and_b32_e32 v1, 0xffff0000, v8
	v_cmp_o_f32_e32 vcc, v6, v6
	v_cndmask_b32_e32 v6, v7, v1, vcc
	s_mov_b64 s[16:17], 0
	s_branch .LBB167_1350
.LBB167_1346:
                                        ; implicit-def: $vgpr6
                                        ; implicit-def: $vgpr5
	s_branch .LBB167_1368
.LBB167_1347:
                                        ; implicit-def: $vgpr6
                                        ; implicit-def: $vgpr5
	s_branch .LBB167_1356
.LBB167_1348:
	s_mov_b64 s[16:17], -1
                                        ; implicit-def: $vgpr6
                                        ; implicit-def: $vgpr5
	s_branch .LBB167_1353
.LBB167_1349:
	s_mov_b64 s[16:17], -1
                                        ; implicit-def: $vgpr6
                                        ; implicit-def: $vgpr5
.LBB167_1350:
	s_andn2_b64 vcc, exec, s[16:17]
	s_cbranch_vccnz .LBB167_1352
; %bb.1351:
	s_waitcnt vmcnt(0)
	global_load_dwordx2 v[5:6], v[3:4], off
	s_movk_i32 s16, 0x7fff
	v_mov_b32_e32 v1, 0x7fc0
	v_mov_b32_e32 v7, 0x7fc00000
	s_waitcnt vmcnt(0)
	v_bfe_u32 v8, v5, 16, 1
	v_bfe_u32 v9, v6, 16, 1
	v_cmp_o_f32_e32 vcc, v5, v5
	v_add3_u32 v5, v5, v8, s16
	v_add3_u32 v8, v6, v9, s16
	v_cndmask_b32_sdwa v5, v1, v5, vcc dst_sel:DWORD dst_unused:UNUSED_PAD src0_sel:DWORD src1_sel:WORD_1
	v_and_b32_e32 v1, 0xffff0000, v8
	v_cmp_o_f32_e32 vcc, v6, v6
	v_cndmask_b32_e32 v6, v7, v1, vcc
.LBB167_1352:
	s_mov_b64 s[16:17], 0
.LBB167_1353:
	s_andn2_b64 vcc, exec, s[16:17]
	s_cbranch_vccnz .LBB167_1355
; %bb.1354:
	s_waitcnt vmcnt(0)
	global_load_dword v1, v[3:4], off
	s_movk_i32 s16, 0x7fff
	v_mov_b32_e32 v5, 0x7fc0
	v_mov_b32_e32 v8, 0x7fc00000
	s_waitcnt vmcnt(0)
	v_cvt_f32_f16_e32 v6, v1
	v_cvt_f32_f16_sdwa v7, v1 dst_sel:DWORD dst_unused:UNUSED_PAD src0_sel:WORD_1
	v_cmp_o_f16_e32 vcc, v1, v1
	v_bfe_u32 v9, v6, 16, 1
	v_bfe_u32 v10, v7, 16, 1
	v_add3_u32 v6, v6, v9, s16
	v_add3_u32 v7, v7, v10, s16
	v_cndmask_b32_sdwa v5, v5, v6, vcc dst_sel:DWORD dst_unused:UNUSED_PAD src0_sel:DWORD src1_sel:WORD_1
	v_and_b32_e32 v6, 0xffff0000, v7
	v_cmp_o_f16_sdwa vcc, v1, v1 src0_sel:WORD_1 src1_sel:WORD_1
	v_cndmask_b32_e32 v6, v8, v6, vcc
.LBB167_1355:
	s_cbranch_execnz .LBB167_1367
.LBB167_1356:
	s_sext_i32_i16 s16, s14
	s_cmp_lt_i32 s16, 6
	s_cbranch_scc1 .LBB167_1359
; %bb.1357:
	s_cmp_gt_i32 s16, 6
	s_cbranch_scc0 .LBB167_1360
; %bb.1358:
	s_waitcnt vmcnt(0)
	global_load_dwordx2 v[5:6], v[3:4], off
	s_movk_i32 s16, 0x7fff
	s_waitcnt vmcnt(0)
	v_cvt_f32_f64_e32 v1, v[5:6]
	v_mov_b32_e32 v5, 0x7fc0
	v_bfe_u32 v6, v1, 16, 1
	v_cmp_o_f32_e32 vcc, v1, v1
	v_add3_u32 v1, v1, v6, s16
	v_cndmask_b32_sdwa v5, v5, v1, vcc dst_sel:DWORD dst_unused:UNUSED_PAD src0_sel:DWORD src1_sel:WORD_1
	s_mov_b64 s[16:17], 0
	s_branch .LBB167_1361
.LBB167_1359:
	s_mov_b64 s[16:17], -1
                                        ; implicit-def: $vgpr5
	s_branch .LBB167_1364
.LBB167_1360:
	s_mov_b64 s[16:17], -1
                                        ; implicit-def: $vgpr5
.LBB167_1361:
	s_andn2_b64 vcc, exec, s[16:17]
	s_cbranch_vccnz .LBB167_1363
; %bb.1362:
	s_waitcnt vmcnt(0)
	global_load_dword v1, v[3:4], off
	s_movk_i32 s16, 0x7fff
	v_mov_b32_e32 v5, 0x7fc0
	s_waitcnt vmcnt(0)
	v_bfe_u32 v6, v1, 16, 1
	v_cmp_o_f32_e32 vcc, v1, v1
	v_add3_u32 v1, v1, v6, s16
	v_cndmask_b32_sdwa v5, v5, v1, vcc dst_sel:DWORD dst_unused:UNUSED_PAD src0_sel:DWORD src1_sel:WORD_1
.LBB167_1363:
	s_mov_b64 s[16:17], 0
.LBB167_1364:
	s_andn2_b64 vcc, exec, s[16:17]
	s_cbranch_vccnz .LBB167_1366
; %bb.1365:
	s_waitcnt vmcnt(0)
	global_load_ushort v1, v[3:4], off
	s_movk_i32 s16, 0x7fff
	v_mov_b32_e32 v6, 0x7fc0
	s_waitcnt vmcnt(0)
	v_cvt_f32_f16_e32 v5, v1
	v_cmp_o_f16_e32 vcc, v1, v1
	v_bfe_u32 v1, v5, 16, 1
	v_add3_u32 v1, v5, v1, s16
	v_cndmask_b32_sdwa v5, v6, v1, vcc dst_sel:DWORD dst_unused:UNUSED_PAD src0_sel:DWORD src1_sel:WORD_1
.LBB167_1366:
	v_mov_b32_e32 v6, 0
.LBB167_1367:
	s_cbranch_execnz .LBB167_1387
.LBB167_1368:
	s_sext_i32_i16 s16, s14
	s_cmp_lt_i32 s16, 2
	s_cbranch_scc1 .LBB167_1372
; %bb.1369:
	s_cmp_lt_i32 s16, 3
	s_cbranch_scc1 .LBB167_1373
; %bb.1370:
	s_cmp_gt_i32 s16, 3
	s_cbranch_scc0 .LBB167_1374
; %bb.1371:
	s_waitcnt vmcnt(0)
	global_load_dwordx2 v[5:6], v[3:4], off
	s_movk_i32 s16, 0x7fff
	s_waitcnt vmcnt(0)
	v_xor_b32_e32 v7, v5, v6
	v_ffbh_i32_e32 v1, v6
	v_ashrrev_i32_e32 v7, 31, v7
	v_add_u32_e32 v1, -1, v1
	v_add_u32_e32 v7, 32, v7
	v_min_u32_e32 v1, v1, v7
	v_lshlrev_b64 v[5:6], v1, v[5:6]
	v_sub_u32_e32 v1, 32, v1
	v_min_u32_e32 v5, 1, v5
	v_or_b32_e32 v5, v6, v5
	v_cvt_f32_i32_e32 v5, v5
	v_ldexp_f32 v1, v5, v1
	v_bfe_u32 v5, v1, 16, 1
	v_add3_u32 v1, v1, v5, s16
	v_lshrrev_b32_e32 v5, 16, v1
	s_mov_b64 s[16:17], 0
	s_branch .LBB167_1375
.LBB167_1372:
                                        ; implicit-def: $vgpr5
	s_branch .LBB167_1381
.LBB167_1373:
	s_mov_b64 s[16:17], -1
                                        ; implicit-def: $vgpr5
	s_branch .LBB167_1378
.LBB167_1374:
	s_mov_b64 s[16:17], -1
                                        ; implicit-def: $vgpr5
.LBB167_1375:
	s_andn2_b64 vcc, exec, s[16:17]
	s_cbranch_vccnz .LBB167_1377
; %bb.1376:
	s_waitcnt vmcnt(0)
	global_load_dword v1, v[3:4], off
	s_movk_i32 s16, 0x7fff
	s_waitcnt vmcnt(0)
	v_cvt_f32_i32_e32 v1, v1
	v_bfe_u32 v5, v1, 16, 1
	v_add3_u32 v1, v1, v5, s16
	v_lshrrev_b32_e32 v5, 16, v1
.LBB167_1377:
	s_mov_b64 s[16:17], 0
.LBB167_1378:
	s_andn2_b64 vcc, exec, s[16:17]
	s_cbranch_vccnz .LBB167_1380
; %bb.1379:
	s_waitcnt vmcnt(0)
	global_load_sshort v1, v[3:4], off
	s_movk_i32 s16, 0x7fff
	s_waitcnt vmcnt(0)
	v_cvt_f32_i32_e32 v1, v1
	v_bfe_u32 v5, v1, 16, 1
	v_add3_u32 v1, v1, v5, s16
	v_lshrrev_b32_e32 v5, 16, v1
.LBB167_1380:
	s_cbranch_execnz .LBB167_1386
.LBB167_1381:
	s_sext_i32_i16 s14, s14
	s_cmp_gt_i32 s14, 0
	s_cbranch_scc0 .LBB167_1383
; %bb.1382:
	s_waitcnt vmcnt(0)
	global_load_sbyte v1, v[3:4], off
	s_movk_i32 s14, 0x7fff
	s_mov_b64 s[16:17], 0
	s_waitcnt vmcnt(0)
	v_cvt_f32_i32_e32 v1, v1
	v_bfe_u32 v5, v1, 16, 1
	v_add3_u32 v1, v1, v5, s14
	v_lshrrev_b32_e32 v5, 16, v1
	s_branch .LBB167_1384
.LBB167_1383:
	s_mov_b64 s[16:17], -1
                                        ; implicit-def: $vgpr5
.LBB167_1384:
	s_andn2_b64 vcc, exec, s[16:17]
	s_cbranch_vccnz .LBB167_1386
; %bb.1385:
	s_waitcnt vmcnt(0)
	global_load_ubyte v1, v[3:4], off
	s_movk_i32 s14, 0x7fff
	s_waitcnt vmcnt(0)
	v_cvt_f32_ubyte0_e32 v1, v1
	v_bfe_u32 v3, v1, 16, 1
	v_add3_u32 v1, v1, v3, s14
	v_lshrrev_b32_e32 v5, 16, v1
.LBB167_1386:
	v_mov_b32_e32 v6, 0
.LBB167_1387:
	s_or_b64 s[52:53], s[52:53], exec
.LBB167_1388:
	s_or_b64 exec, exec, s[0:1]
	s_mov_b64 s[16:17], 0
	s_mov_b64 s[20:21], 0
	;; [unrolled: 1-line block ×3, first 2 shown]
                                        ; implicit-def: $sgpr14
                                        ; implicit-def: $vgpr3_vgpr4
                                        ; implicit-def: $vgpr8
                                        ; implicit-def: $vgpr7
	s_and_saveexec_b64 s[0:1], s[52:53]
	s_cbranch_execz .LBB167_1396
; %bb.1389:
	v_mov_b32_e32 v1, s13
	s_and_b32 s14, s73, 0xff
	s_waitcnt vmcnt(0)
	v_add_co_u32_e32 v3, vcc, s12, v2
	s_cmp_lt_i32 s14, 11
	v_addc_co_u32_e32 v4, vcc, 0, v1, vcc
	s_cbranch_scc1 .LBB167_1399
; %bb.1390:
	s_and_b32 s30, 0xffff, s14
	s_cmp_gt_i32 s30, 25
	s_cbranch_scc0 .LBB167_1400
; %bb.1391:
	s_cmp_gt_i32 s30, 28
	s_cbranch_scc0 .LBB167_1401
; %bb.1392:
	;; [unrolled: 3-line block ×4, first 2 shown]
	s_cmp_eq_u32 s30, 46
	s_cbranch_scc0 .LBB167_1404
; %bb.1395:
	global_load_dword v7, v[3:4], off
	s_mov_b64 s[12:13], 0
	s_mov_b64 s[18:19], -1
	s_waitcnt vmcnt(0)
	v_and_b32_e32 v8, 0xffff0000, v7
	s_branch .LBB167_1406
.LBB167_1396:
	s_or_b64 exec, exec, s[0:1]
	s_and_saveexec_b64 s[0:1], s[42:43]
	s_cbranch_execnz .LBB167_1472
.LBB167_1397:
	s_or_b64 exec, exec, s[0:1]
	s_and_saveexec_b64 s[0:1], s[16:17]
	s_xor_b64 s[0:1], exec, s[0:1]
	s_cbranch_execz .LBB167_1473
.LBB167_1398:
	s_waitcnt vmcnt(0)
	global_load_ubyte v1, v[3:4], off
	v_mov_b32_e32 v8, 0
	s_or_b64 s[18:19], s[18:19], exec
	s_waitcnt vmcnt(0)
	v_cmp_ne_u16_e32 vcc, 0, v1
	v_cndmask_b32_e64 v1, 0, 1.0, vcc
	v_lshrrev_b32_e32 v7, 16, v1
	s_or_b64 exec, exec, s[0:1]
	s_and_saveexec_b64 s[0:1], s[20:21]
	s_cbranch_execz .LBB167_1521
	s_branch .LBB167_1474
.LBB167_1399:
	s_mov_b64 s[20:21], -1
                                        ; implicit-def: $vgpr8
                                        ; implicit-def: $vgpr7
	s_mov_b64 s[12:13], s[42:43]
	s_branch .LBB167_1471
.LBB167_1400:
	s_mov_b64 s[12:13], s[42:43]
                                        ; implicit-def: $vgpr8
                                        ; implicit-def: $vgpr7
	s_cbranch_execnz .LBB167_1437
	s_branch .LBB167_1470
.LBB167_1401:
	s_mov_b64 s[20:21], -1
	s_mov_b64 s[12:13], s[42:43]
                                        ; implicit-def: $vgpr8
                                        ; implicit-def: $vgpr7
	s_branch .LBB167_1418
.LBB167_1402:
	s_mov_b64 s[20:21], -1
	s_mov_b64 s[12:13], s[42:43]
                                        ; implicit-def: $vgpr8
                                        ; implicit-def: $vgpr7
	s_branch .LBB167_1412
.LBB167_1403:
	s_mov_b64 s[20:21], -1
	s_mov_b64 s[12:13], s[42:43]
	s_branch .LBB167_1405
.LBB167_1404:
	s_mov_b64 s[12:13], -1
.LBB167_1405:
                                        ; implicit-def: $vgpr8
                                        ; implicit-def: $vgpr7
.LBB167_1406:
	s_and_b64 vcc, exec, s[20:21]
	s_cbranch_vccz .LBB167_1411
; %bb.1407:
	s_cmp_eq_u32 s30, 44
	s_cbranch_scc0 .LBB167_1409
; %bb.1408:
	global_load_ubyte v1, v[3:4], off
	s_movk_i32 s18, 0xff
	v_mov_b32_e32 v2, 0x7f800001
	v_mov_b32_e32 v7, 0x400000
	;; [unrolled: 1-line block ×3, first 2 shown]
	s_mov_b64 s[12:13], 0
	s_waitcnt vmcnt(0)
	v_lshlrev_b32_e32 v9, 23, v1
	v_cmp_ne_u32_e32 vcc, s18, v1
	v_cndmask_b32_e32 v2, v2, v9, vcc
	v_cmp_ne_u32_e32 vcc, 0, v1
	v_cndmask_b32_e32 v1, v7, v2, vcc
	v_add_u32_e32 v2, 0x7fff, v1
	v_cmp_o_f32_e32 vcc, v1, v1
	v_cndmask_b32_sdwa v7, v8, v2, vcc dst_sel:DWORD dst_unused:UNUSED_PAD src0_sel:DWORD src1_sel:WORD_1
	s_mov_b64 s[18:19], -1
	s_branch .LBB167_1410
.LBB167_1409:
	s_mov_b64 s[12:13], -1
                                        ; implicit-def: $vgpr7
.LBB167_1410:
	v_mov_b32_e32 v8, 0
.LBB167_1411:
	s_mov_b64 s[20:21], 0
.LBB167_1412:
	s_and_b64 vcc, exec, s[20:21]
	s_cbranch_vccz .LBB167_1417
; %bb.1413:
	s_cmp_eq_u32 s30, 29
	s_cbranch_scc0 .LBB167_1415
; %bb.1414:
	global_load_dwordx2 v[1:2], v[3:4], off
	s_movk_i32 s18, 0x7fff
	s_mov_b64 s[12:13], 0
	s_waitcnt vmcnt(0)
	v_ffbh_u32_e32 v7, v2
	v_min_u32_e32 v7, 32, v7
	v_lshlrev_b64 v[1:2], v7, v[1:2]
	v_min_u32_e32 v1, 1, v1
	v_or_b32_e32 v1, v2, v1
	v_cvt_f32_u32_e32 v1, v1
	v_sub_u32_e32 v2, 32, v7
	v_ldexp_f32 v1, v1, v2
	v_bfe_u32 v2, v1, 16, 1
	v_add3_u32 v1, v1, v2, s18
	v_lshrrev_b32_e32 v7, 16, v1
	s_mov_b64 s[18:19], -1
	s_branch .LBB167_1416
.LBB167_1415:
	s_mov_b64 s[12:13], -1
                                        ; implicit-def: $vgpr7
.LBB167_1416:
	v_mov_b32_e32 v8, 0
.LBB167_1417:
	s_mov_b64 s[20:21], 0
.LBB167_1418:
	s_and_b64 vcc, exec, s[20:21]
	s_cbranch_vccz .LBB167_1436
; %bb.1419:
	s_cmp_lt_i32 s30, 27
	s_cbranch_scc1 .LBB167_1422
; %bb.1420:
	s_cmp_gt_i32 s30, 27
	s_cbranch_scc0 .LBB167_1423
; %bb.1421:
	global_load_dword v1, v[3:4], off
	s_movk_i32 s18, 0x7fff
	s_waitcnt vmcnt(0)
	v_cvt_f32_u32_e32 v1, v1
	v_bfe_u32 v2, v1, 16, 1
	v_add3_u32 v1, v1, v2, s18
	v_lshrrev_b32_e32 v7, 16, v1
	s_mov_b64 s[18:19], 0
	s_branch .LBB167_1424
.LBB167_1422:
	s_mov_b64 s[18:19], -1
                                        ; implicit-def: $vgpr7
	s_branch .LBB167_1427
.LBB167_1423:
	s_mov_b64 s[18:19], -1
                                        ; implicit-def: $vgpr7
.LBB167_1424:
	s_andn2_b64 vcc, exec, s[18:19]
	s_cbranch_vccnz .LBB167_1426
; %bb.1425:
	global_load_ushort v1, v[3:4], off
	s_movk_i32 s18, 0x7fff
	s_waitcnt vmcnt(0)
	v_cvt_f32_u32_e32 v1, v1
	v_bfe_u32 v2, v1, 16, 1
	v_add3_u32 v1, v1, v2, s18
	v_lshrrev_b32_e32 v7, 16, v1
.LBB167_1426:
	s_mov_b64 s[18:19], 0
.LBB167_1427:
	s_andn2_b64 vcc, exec, s[18:19]
	s_cbranch_vccnz .LBB167_1435
; %bb.1428:
	global_load_ubyte v1, v[3:4], off
	s_movk_i32 s18, 0x7f
	s_waitcnt vmcnt(0)
	v_cmp_lt_i16_e32 vcc, s18, v1
	s_mov_b64 s[18:19], 0
	s_and_saveexec_b64 s[20:21], vcc
	s_xor_b64 s[20:21], exec, s[20:21]
	s_cbranch_execz .LBB167_1448
; %bb.1429:
	s_movk_i32 s18, 0x80
	v_cmp_eq_u16_e32 vcc, s18, v1
	s_mov_b64 s[18:19], -1
	s_and_saveexec_b64 s[22:23], vcc
; %bb.1430:
	s_xor_b64 s[18:19], exec, -1
; %bb.1431:
	s_or_b64 exec, exec, s[22:23]
	s_and_b64 s[18:19], s[18:19], exec
	s_or_saveexec_b64 s[20:21], s[20:21]
	v_mov_b32_e32 v2, 0x7f800001
	s_xor_b64 exec, exec, s[20:21]
	s_cbranch_execnz .LBB167_1449
.LBB167_1432:
	s_or_b64 exec, exec, s[20:21]
	s_and_saveexec_b64 s[20:21], s[18:19]
	s_cbranch_execz .LBB167_1434
.LBB167_1433:
	v_lshlrev_b32_e32 v2, 24, v1
	v_and_b32_e32 v1, 0xffff, v1
	v_and_b32_e32 v7, 7, v1
	v_ffbh_u32_e32 v9, v7
	v_min_u32_e32 v9, 32, v9
	v_subrev_u32_e32 v10, 28, v9
	v_bfe_u32 v8, v1, 3, 4
	v_lshlrev_b32_e32 v1, v10, v1
	v_sub_u32_e32 v9, 29, v9
	v_and_b32_e32 v1, 7, v1
	v_cmp_eq_u32_e32 vcc, 0, v8
	v_cndmask_b32_e32 v8, v8, v9, vcc
	v_cndmask_b32_e32 v1, v7, v1, vcc
	v_mov_b32_e32 v7, 0x3b800000
	v_lshlrev_b32_e32 v1, 20, v1
	v_and_b32_e32 v2, 0x80000000, v2
	v_lshl_add_u32 v7, v8, 23, v7
	v_or3_b32 v2, v2, v7, v1
.LBB167_1434:
	s_or_b64 exec, exec, s[20:21]
	v_bfe_u32 v1, v2, 16, 1
	s_movk_i32 s18, 0x7fff
	v_add3_u32 v1, v2, v1, s18
	v_cmp_o_f32_e32 vcc, v2, v2
	v_mov_b32_e32 v2, 0x7fc0
	v_cndmask_b32_sdwa v7, v2, v1, vcc dst_sel:DWORD dst_unused:UNUSED_PAD src0_sel:DWORD src1_sel:WORD_1
.LBB167_1435:
	s_mov_b64 s[18:19], -1
	v_mov_b32_e32 v8, 0
.LBB167_1436:
	s_branch .LBB167_1470
.LBB167_1437:
	s_cmp_gt_i32 s30, 22
	s_cbranch_scc0 .LBB167_1447
; %bb.1438:
	s_cmp_lt_i32 s30, 24
	s_cbranch_scc1 .LBB167_1450
; %bb.1439:
	s_cmp_gt_i32 s30, 24
	s_cbranch_scc0 .LBB167_1451
; %bb.1440:
	global_load_ubyte v1, v[3:4], off
	s_movk_i32 s16, 0x7f
	s_waitcnt vmcnt(0)
	v_cmp_lt_i16_e32 vcc, s16, v1
	s_mov_b64 s[16:17], 0
	s_and_saveexec_b64 s[18:19], vcc
	s_xor_b64 s[18:19], exec, s[18:19]
	s_cbranch_execz .LBB167_1463
; %bb.1441:
	s_movk_i32 s16, 0x80
	v_cmp_eq_u16_e32 vcc, s16, v1
	s_mov_b64 s[16:17], -1
	s_and_saveexec_b64 s[20:21], vcc
; %bb.1442:
	s_xor_b64 s[16:17], exec, -1
; %bb.1443:
	s_or_b64 exec, exec, s[20:21]
	s_and_b64 s[16:17], s[16:17], exec
	s_or_saveexec_b64 s[18:19], s[18:19]
	v_mov_b32_e32 v2, 0x7f800001
	s_xor_b64 exec, exec, s[18:19]
	s_cbranch_execnz .LBB167_1464
.LBB167_1444:
	s_or_b64 exec, exec, s[18:19]
	s_and_saveexec_b64 s[18:19], s[16:17]
	s_cbranch_execz .LBB167_1446
.LBB167_1445:
	v_lshlrev_b32_e32 v2, 24, v1
	v_and_b32_e32 v1, 0xffff, v1
	v_and_b32_e32 v7, 3, v1
	v_ffbh_u32_e32 v9, v7
	v_min_u32_e32 v9, 32, v9
	v_subrev_u32_e32 v10, 29, v9
	v_bfe_u32 v8, v1, 2, 5
	v_lshlrev_b32_e32 v1, v10, v1
	v_sub_u32_e32 v9, 30, v9
	v_and_b32_e32 v1, 3, v1
	v_cmp_eq_u32_e32 vcc, 0, v8
	v_cndmask_b32_e32 v8, v8, v9, vcc
	v_cndmask_b32_e32 v1, v7, v1, vcc
	v_mov_b32_e32 v7, 0x37800000
	v_lshlrev_b32_e32 v1, 21, v1
	v_and_b32_e32 v2, 0x80000000, v2
	v_lshl_add_u32 v7, v8, 23, v7
	v_or3_b32 v2, v2, v7, v1
.LBB167_1446:
	s_or_b64 exec, exec, s[18:19]
	v_bfe_u32 v1, v2, 16, 1
	s_movk_i32 s16, 0x7fff
	v_add3_u32 v1, v2, v1, s16
	v_cmp_o_f32_e32 vcc, v2, v2
	v_mov_b32_e32 v2, 0x7fc0
	v_cndmask_b32_sdwa v7, v2, v1, vcc dst_sel:DWORD dst_unused:UNUSED_PAD src0_sel:DWORD src1_sel:WORD_1
	s_mov_b64 s[16:17], 0
	s_branch .LBB167_1452
.LBB167_1447:
	s_mov_b64 s[16:17], -1
                                        ; implicit-def: $vgpr7
	s_branch .LBB167_1458
.LBB167_1448:
	s_or_saveexec_b64 s[20:21], s[20:21]
	v_mov_b32_e32 v2, 0x7f800001
	s_xor_b64 exec, exec, s[20:21]
	s_cbranch_execz .LBB167_1432
.LBB167_1449:
	v_cmp_ne_u16_e32 vcc, 0, v1
	s_andn2_b64 s[18:19], s[18:19], exec
	s_and_b64 s[22:23], vcc, exec
	v_mov_b32_e32 v2, 0
	s_or_b64 s[18:19], s[18:19], s[22:23]
	s_or_b64 exec, exec, s[20:21]
	s_and_saveexec_b64 s[20:21], s[18:19]
	s_cbranch_execnz .LBB167_1433
	s_branch .LBB167_1434
.LBB167_1450:
	s_mov_b64 s[16:17], -1
                                        ; implicit-def: $vgpr7
	s_branch .LBB167_1455
.LBB167_1451:
	s_mov_b64 s[16:17], -1
                                        ; implicit-def: $vgpr7
.LBB167_1452:
	s_and_b64 vcc, exec, s[16:17]
	s_cbranch_vccz .LBB167_1454
; %bb.1453:
	global_load_ubyte v1, v[3:4], off
	s_mov_b32 s16, 0x7f800000
	s_brev_b32 s17, 1
	s_movk_i32 s18, 0x7fff
	s_waitcnt vmcnt(0)
	v_lshlrev_b32_e32 v1, 24, v1
	v_and_b32_e32 v2, 0x7f000000, v1
	v_ffbh_u32_e32 v7, v2
	v_min_u32_e32 v7, 32, v7
	v_sub_u32_e64 v7, v7, 4 clamp
	v_lshlrev_b32_e32 v9, v7, v2
	v_lshlrev_b32_e32 v7, 23, v7
	v_lshrrev_b32_e32 v9, 4, v9
	v_add_u32_e32 v8, 0x1000000, v2
	v_sub_u32_e32 v7, v9, v7
	v_ashrrev_i32_e32 v8, 8, v8
	v_add_u32_e32 v7, 0x3c000000, v7
	v_and_or_b32 v7, v8, s16, v7
	v_cmp_ne_u32_e32 vcc, 0, v2
	v_cndmask_b32_e32 v2, 0, v7, vcc
	v_and_or_b32 v1, v1, s17, v2
	v_bfe_u32 v2, v2, 16, 1
	v_add3_u32 v2, v1, v2, s18
	v_cmp_o_f32_e32 vcc, v1, v1
	v_mov_b32_e32 v1, 0x7fc0
	v_cndmask_b32_sdwa v7, v1, v2, vcc dst_sel:DWORD dst_unused:UNUSED_PAD src0_sel:DWORD src1_sel:WORD_1
.LBB167_1454:
	s_mov_b64 s[16:17], 0
.LBB167_1455:
	s_andn2_b64 vcc, exec, s[16:17]
	s_cbranch_vccnz .LBB167_1457
; %bb.1456:
	global_load_ubyte v1, v[3:4], off
	s_movk_i32 s16, 0x7f00
	s_brev_b32 s17, 16
	s_brev_b32 s18, 1
	s_movk_i32 s19, 0x7fff
	s_waitcnt vmcnt(0)
	v_lshlrev_b16_e32 v2, 8, v1
	v_lshlrev_b32_e32 v1, 25, v1
	v_lshrrev_b32_e32 v7, 4, v1
	v_and_or_b32 v8, v2, s16, 0.5
	v_or_b32_e32 v7, 0x70000000, v7
	v_add_f32_e32 v8, -0.5, v8
	v_mul_f32_e32 v7, 0x7800000, v7
	v_cmp_gt_u32_e32 vcc, s17, v1
	v_bfe_i32 v2, v2, 0, 16
	v_cndmask_b32_e32 v1, v7, v8, vcc
	v_and_or_b32 v2, v2, s18, v1
	v_bfe_u32 v1, v1, 16, 1
	v_add3_u32 v1, v2, v1, s19
	v_cmp_o_f32_e32 vcc, v2, v2
	v_mov_b32_e32 v2, 0x7fc0
	v_cndmask_b32_sdwa v7, v2, v1, vcc dst_sel:DWORD dst_unused:UNUSED_PAD src0_sel:DWORD src1_sel:WORD_1
.LBB167_1457:
	s_mov_b64 s[16:17], 0
	s_mov_b64 s[18:19], -1
.LBB167_1458:
	s_andn2_b64 vcc, exec, s[16:17]
	s_mov_b64 s[16:17], 0
	s_cbranch_vccnz .LBB167_1469
; %bb.1459:
	s_cmp_gt_i32 s30, 14
	s_cbranch_scc0 .LBB167_1462
; %bb.1460:
	s_cmp_eq_u32 s30, 15
	s_cbranch_scc0 .LBB167_1465
; %bb.1461:
	global_load_ushort v7, v[3:4], off
	s_mov_b64 s[12:13], 0
	s_mov_b64 s[18:19], -1
	s_branch .LBB167_1466
.LBB167_1462:
	s_mov_b64 s[20:21], -1
                                        ; implicit-def: $vgpr7
	s_branch .LBB167_1467
.LBB167_1463:
	s_or_saveexec_b64 s[18:19], s[18:19]
	v_mov_b32_e32 v2, 0x7f800001
	s_xor_b64 exec, exec, s[18:19]
	s_cbranch_execz .LBB167_1444
.LBB167_1464:
	v_cmp_ne_u16_e32 vcc, 0, v1
	s_andn2_b64 s[16:17], s[16:17], exec
	s_and_b64 s[20:21], vcc, exec
	v_mov_b32_e32 v2, 0
	s_or_b64 s[16:17], s[16:17], s[20:21]
	s_or_b64 exec, exec, s[18:19]
	s_and_saveexec_b64 s[18:19], s[16:17]
	s_cbranch_execnz .LBB167_1445
	s_branch .LBB167_1446
.LBB167_1465:
	s_mov_b64 s[12:13], -1
                                        ; implicit-def: $vgpr7
.LBB167_1466:
	s_mov_b64 s[20:21], 0
.LBB167_1467:
	s_and_b64 vcc, exec, s[20:21]
	s_cbranch_vccz .LBB167_1469
; %bb.1468:
	s_cmp_lg_u32 s30, 11
	s_cselect_b64 s[20:21], -1, 0
	s_andn2_b64 s[12:13], s[12:13], exec
	s_and_b64 s[20:21], s[20:21], exec
	s_mov_b64 s[16:17], -1
	s_or_b64 s[12:13], s[12:13], s[20:21]
.LBB167_1469:
	v_mov_b32_e32 v8, 0
.LBB167_1470:
	s_mov_b64 s[20:21], 0
.LBB167_1471:
	s_andn2_b64 s[22:23], s[42:43], exec
	s_and_b64 s[12:13], s[12:13], exec
	s_and_b64 s[18:19], s[18:19], exec
	;; [unrolled: 1-line block ×4, first 2 shown]
	s_or_b64 s[42:43], s[22:23], s[12:13]
	s_or_b64 exec, exec, s[0:1]
	s_and_saveexec_b64 s[0:1], s[42:43]
	s_cbranch_execz .LBB167_1397
.LBB167_1472:
	s_or_b64 s[10:11], s[10:11], exec
	s_andn2_b64 s[16:17], s[16:17], exec
	s_trap 2
	s_or_b64 exec, exec, s[0:1]
	s_and_saveexec_b64 s[0:1], s[16:17]
	s_xor_b64 s[0:1], exec, s[0:1]
	s_cbranch_execnz .LBB167_1398
.LBB167_1473:
	s_or_b64 exec, exec, s[0:1]
	s_and_saveexec_b64 s[0:1], s[20:21]
	s_cbranch_execz .LBB167_1521
.LBB167_1474:
	s_sext_i32_i16 s12, s14
	s_cmp_lt_i32 s12, 5
	s_cbranch_scc1 .LBB167_1479
; %bb.1475:
	s_cmp_lt_i32 s12, 8
	s_cbranch_scc1 .LBB167_1480
; %bb.1476:
	;; [unrolled: 3-line block ×3, first 2 shown]
	s_cmp_gt_i32 s12, 9
	s_cbranch_scc0 .LBB167_1482
; %bb.1478:
	s_waitcnt vmcnt(0)
	global_load_dwordx4 v[7:10], v[3:4], off
	s_movk_i32 s12, 0x7fff
	s_waitcnt vmcnt(0)
	v_cvt_f32_f64_e32 v1, v[7:8]
	v_cvt_f32_f64_e32 v2, v[9:10]
	v_mov_b32_e32 v7, 0x7fc0
	v_mov_b32_e32 v8, 0x7fc00000
	v_bfe_u32 v9, v1, 16, 1
	v_bfe_u32 v10, v2, 16, 1
	v_cmp_o_f32_e32 vcc, v1, v1
	v_add3_u32 v1, v1, v9, s12
	v_add3_u32 v9, v2, v10, s12
	v_cndmask_b32_sdwa v7, v7, v1, vcc dst_sel:DWORD dst_unused:UNUSED_PAD src0_sel:DWORD src1_sel:WORD_1
	v_and_b32_e32 v1, 0xffff0000, v9
	v_cmp_o_f32_e32 vcc, v2, v2
	v_cndmask_b32_e32 v8, v8, v1, vcc
	s_mov_b64 s[12:13], 0
	s_branch .LBB167_1483
.LBB167_1479:
                                        ; implicit-def: $vgpr8
                                        ; implicit-def: $vgpr7
	s_branch .LBB167_1501
.LBB167_1480:
                                        ; implicit-def: $vgpr8
                                        ; implicit-def: $vgpr7
	s_branch .LBB167_1489
.LBB167_1481:
	s_mov_b64 s[12:13], -1
                                        ; implicit-def: $vgpr8
                                        ; implicit-def: $vgpr7
	s_branch .LBB167_1486
.LBB167_1482:
	s_mov_b64 s[12:13], -1
                                        ; implicit-def: $vgpr8
                                        ; implicit-def: $vgpr7
.LBB167_1483:
	s_andn2_b64 vcc, exec, s[12:13]
	s_cbranch_vccnz .LBB167_1485
; %bb.1484:
	s_waitcnt vmcnt(0)
	global_load_dwordx2 v[1:2], v[3:4], off
	s_movk_i32 s12, 0x7fff
	v_mov_b32_e32 v7, 0x7fc0
	v_mov_b32_e32 v8, 0x7fc00000
	s_waitcnt vmcnt(0)
	v_bfe_u32 v9, v1, 16, 1
	v_bfe_u32 v10, v2, 16, 1
	v_cmp_o_f32_e32 vcc, v1, v1
	v_add3_u32 v1, v1, v9, s12
	v_add3_u32 v9, v2, v10, s12
	v_cndmask_b32_sdwa v7, v7, v1, vcc dst_sel:DWORD dst_unused:UNUSED_PAD src0_sel:DWORD src1_sel:WORD_1
	v_and_b32_e32 v1, 0xffff0000, v9
	v_cmp_o_f32_e32 vcc, v2, v2
	v_cndmask_b32_e32 v8, v8, v1, vcc
.LBB167_1485:
	s_mov_b64 s[12:13], 0
.LBB167_1486:
	s_andn2_b64 vcc, exec, s[12:13]
	s_cbranch_vccnz .LBB167_1488
; %bb.1487:
	s_waitcnt vmcnt(0)
	global_load_dword v1, v[3:4], off
	s_movk_i32 s12, 0x7fff
	v_mov_b32_e32 v2, 0x7fc0
	v_mov_b32_e32 v9, 0x7fc00000
	s_waitcnt vmcnt(0)
	v_cvt_f32_f16_e32 v7, v1
	v_cvt_f32_f16_sdwa v8, v1 dst_sel:DWORD dst_unused:UNUSED_PAD src0_sel:WORD_1
	v_cmp_o_f16_e32 vcc, v1, v1
	v_bfe_u32 v10, v7, 16, 1
	v_bfe_u32 v11, v8, 16, 1
	v_add3_u32 v7, v7, v10, s12
	v_add3_u32 v8, v8, v11, s12
	v_cndmask_b32_sdwa v7, v2, v7, vcc dst_sel:DWORD dst_unused:UNUSED_PAD src0_sel:DWORD src1_sel:WORD_1
	v_and_b32_e32 v2, 0xffff0000, v8
	v_cmp_o_f16_sdwa vcc, v1, v1 src0_sel:WORD_1 src1_sel:WORD_1
	v_cndmask_b32_e32 v8, v9, v2, vcc
.LBB167_1488:
	s_cbranch_execnz .LBB167_1500
.LBB167_1489:
	s_sext_i32_i16 s12, s14
	s_cmp_lt_i32 s12, 6
	s_cbranch_scc1 .LBB167_1492
; %bb.1490:
	s_cmp_gt_i32 s12, 6
	s_cbranch_scc0 .LBB167_1493
; %bb.1491:
	s_waitcnt vmcnt(0)
	global_load_dwordx2 v[1:2], v[3:4], off
	s_movk_i32 s12, 0x7fff
	s_waitcnt vmcnt(0)
	v_cvt_f32_f64_e32 v1, v[1:2]
	v_mov_b32_e32 v2, 0x7fc0
	v_bfe_u32 v7, v1, 16, 1
	v_cmp_o_f32_e32 vcc, v1, v1
	v_add3_u32 v1, v1, v7, s12
	v_cndmask_b32_sdwa v7, v2, v1, vcc dst_sel:DWORD dst_unused:UNUSED_PAD src0_sel:DWORD src1_sel:WORD_1
	s_mov_b64 s[12:13], 0
	s_branch .LBB167_1494
.LBB167_1492:
	s_mov_b64 s[12:13], -1
                                        ; implicit-def: $vgpr7
	s_branch .LBB167_1497
.LBB167_1493:
	s_mov_b64 s[12:13], -1
                                        ; implicit-def: $vgpr7
.LBB167_1494:
	s_andn2_b64 vcc, exec, s[12:13]
	s_cbranch_vccnz .LBB167_1496
; %bb.1495:
	s_waitcnt vmcnt(0)
	global_load_dword v1, v[3:4], off
	s_movk_i32 s12, 0x7fff
	v_mov_b32_e32 v2, 0x7fc0
	s_waitcnt vmcnt(0)
	v_bfe_u32 v7, v1, 16, 1
	v_cmp_o_f32_e32 vcc, v1, v1
	v_add3_u32 v1, v1, v7, s12
	v_cndmask_b32_sdwa v7, v2, v1, vcc dst_sel:DWORD dst_unused:UNUSED_PAD src0_sel:DWORD src1_sel:WORD_1
.LBB167_1496:
	s_mov_b64 s[12:13], 0
.LBB167_1497:
	s_andn2_b64 vcc, exec, s[12:13]
	s_cbranch_vccnz .LBB167_1499
; %bb.1498:
	s_waitcnt vmcnt(0)
	global_load_ushort v1, v[3:4], off
	s_movk_i32 s12, 0x7fff
	v_mov_b32_e32 v7, 0x7fc0
	s_waitcnt vmcnt(0)
	v_cvt_f32_f16_e32 v2, v1
	v_cmp_o_f16_e32 vcc, v1, v1
	v_bfe_u32 v1, v2, 16, 1
	v_add3_u32 v1, v2, v1, s12
	v_cndmask_b32_sdwa v7, v7, v1, vcc dst_sel:DWORD dst_unused:UNUSED_PAD src0_sel:DWORD src1_sel:WORD_1
.LBB167_1499:
	v_mov_b32_e32 v8, 0
.LBB167_1500:
	s_cbranch_execnz .LBB167_1520
.LBB167_1501:
	s_sext_i32_i16 s12, s14
	s_cmp_lt_i32 s12, 2
	s_cbranch_scc1 .LBB167_1505
; %bb.1502:
	s_cmp_lt_i32 s12, 3
	s_cbranch_scc1 .LBB167_1506
; %bb.1503:
	s_cmp_gt_i32 s12, 3
	s_cbranch_scc0 .LBB167_1507
; %bb.1504:
	s_waitcnt vmcnt(0)
	global_load_dwordx2 v[1:2], v[3:4], off
	s_movk_i32 s12, 0x7fff
	s_waitcnt vmcnt(0)
	v_xor_b32_e32 v8, v1, v2
	v_ffbh_i32_e32 v7, v2
	v_ashrrev_i32_e32 v8, 31, v8
	v_add_u32_e32 v7, -1, v7
	v_add_u32_e32 v8, 32, v8
	v_min_u32_e32 v7, v7, v8
	v_lshlrev_b64 v[1:2], v7, v[1:2]
	v_min_u32_e32 v1, 1, v1
	v_or_b32_e32 v1, v2, v1
	v_cvt_f32_i32_e32 v1, v1
	v_sub_u32_e32 v2, 32, v7
	v_ldexp_f32 v1, v1, v2
	v_bfe_u32 v2, v1, 16, 1
	v_add3_u32 v1, v1, v2, s12
	v_lshrrev_b32_e32 v7, 16, v1
	s_mov_b64 s[12:13], 0
	s_branch .LBB167_1508
.LBB167_1505:
                                        ; implicit-def: $vgpr7
	s_branch .LBB167_1514
.LBB167_1506:
	s_mov_b64 s[12:13], -1
                                        ; implicit-def: $vgpr7
	s_branch .LBB167_1511
.LBB167_1507:
	s_mov_b64 s[12:13], -1
                                        ; implicit-def: $vgpr7
.LBB167_1508:
	s_andn2_b64 vcc, exec, s[12:13]
	s_cbranch_vccnz .LBB167_1510
; %bb.1509:
	s_waitcnt vmcnt(0)
	global_load_dword v1, v[3:4], off
	s_movk_i32 s12, 0x7fff
	s_waitcnt vmcnt(0)
	v_cvt_f32_i32_e32 v1, v1
	v_bfe_u32 v2, v1, 16, 1
	v_add3_u32 v1, v1, v2, s12
	v_lshrrev_b32_e32 v7, 16, v1
.LBB167_1510:
	s_mov_b64 s[12:13], 0
.LBB167_1511:
	s_andn2_b64 vcc, exec, s[12:13]
	s_cbranch_vccnz .LBB167_1513
; %bb.1512:
	s_waitcnt vmcnt(0)
	global_load_sshort v1, v[3:4], off
	s_movk_i32 s12, 0x7fff
	s_waitcnt vmcnt(0)
	v_cvt_f32_i32_e32 v1, v1
	v_bfe_u32 v2, v1, 16, 1
	v_add3_u32 v1, v1, v2, s12
	v_lshrrev_b32_e32 v7, 16, v1
.LBB167_1513:
	s_cbranch_execnz .LBB167_1519
.LBB167_1514:
	s_sext_i32_i16 s12, s14
	s_cmp_gt_i32 s12, 0
	s_cbranch_scc0 .LBB167_1516
; %bb.1515:
	s_waitcnt vmcnt(0)
	global_load_sbyte v1, v[3:4], off
	s_movk_i32 s12, 0x7fff
	s_waitcnt vmcnt(0)
	v_cvt_f32_i32_e32 v1, v1
	v_bfe_u32 v2, v1, 16, 1
	v_add3_u32 v1, v1, v2, s12
	v_lshrrev_b32_e32 v7, 16, v1
	s_mov_b64 s[12:13], 0
	s_branch .LBB167_1517
.LBB167_1516:
	s_mov_b64 s[12:13], -1
                                        ; implicit-def: $vgpr7
.LBB167_1517:
	s_andn2_b64 vcc, exec, s[12:13]
	s_cbranch_vccnz .LBB167_1519
; %bb.1518:
	s_waitcnt vmcnt(0)
	global_load_ubyte v1, v[3:4], off
	s_movk_i32 s12, 0x7fff
	s_waitcnt vmcnt(0)
	v_cvt_f32_ubyte0_e32 v1, v1
	v_bfe_u32 v2, v1, 16, 1
	v_add3_u32 v1, v1, v2, s12
	v_lshrrev_b32_e32 v7, 16, v1
.LBB167_1519:
	v_mov_b32_e32 v8, 0
.LBB167_1520:
	s_or_b64 s[18:19], s[18:19], exec
.LBB167_1521:
	s_or_b64 exec, exec, s[0:1]
	s_mov_b64 s[22:23], 0
	s_mov_b64 s[20:21], 0
                                        ; implicit-def: $sgpr12_sgpr13
                                        ; implicit-def: $sgpr30
                                        ; implicit-def: $vgpr1_vgpr2
	s_and_saveexec_b64 s[16:17], s[18:19]
	s_cbranch_execz .LBB167_1599
; %bb.1522:
	s_waitcnt vmcnt(0)
	v_or_b32_sdwa v1, v6, v5 dst_sel:DWORD dst_unused:UNUSED_PAD src0_sel:DWORD src1_sel:WORD_0
	v_or_b32_sdwa v2, v8, v7 dst_sel:DWORD dst_unused:UNUSED_PAD src0_sel:DWORD src1_sel:WORD_0
	s_andn2_b64 vcc, exec, s[28:29]
	v_lshlrev_b32_e32 v1, 16, v1
	v_lshlrev_b32_e32 v2, 16, v2
	s_cbranch_vccnz .LBB167_1603
; %bb.1523:
	v_and_b32_e32 v3, 0xffff0000, v6
	v_and_b32_e32 v4, 0xffff0000, v8
	v_cmp_neq_f32_e32 vcc, v1, v2
	v_cmp_neq_f32_e64 s[0:1], v3, v4
	s_or_b64 s[12:13], vcc, s[0:1]
	s_cbranch_execnz .LBB167_1525
.LBB167_1524:
	v_and_b32_e32 v3, 0xffff0000, v8
	v_and_b32_e32 v4, 0xffff0000, v6
	v_cmp_eq_f32_e32 vcc, v1, v2
	v_cmp_eq_f32_e64 s[0:1], v4, v3
	s_and_b64 s[0:1], vcc, s[0:1]
	s_andn2_b64 s[12:13], s[12:13], exec
	s_and_b64 s[0:1], s[0:1], exec
	s_or_b64 s[12:13], s[12:13], s[0:1]
.LBB167_1525:
	v_mov_b32_e32 v2, s9
	s_and_b32 s30, s15, 0xff
	v_add_co_u32_e32 v1, vcc, s8, v0
	s_cmp_lt_i32 s30, 11
	v_addc_co_u32_e32 v2, vcc, 0, v2, vcc
	s_cbranch_scc1 .LBB167_1602
; %bb.1526:
	s_and_b32 s22, 0xffff, s30
	s_mov_b64 s[14:15], -1
	s_cmp_gt_i32 s22, 25
	s_mov_b64 s[0:1], s[40:41]
	s_cbranch_scc0 .LBB167_1559
; %bb.1527:
	s_mov_b64 s[8:9], -1
	s_cmp_gt_i32 s22, 28
	s_mov_b64 s[0:1], s[40:41]
	s_cbranch_scc0 .LBB167_1543
; %bb.1528:
	s_cmp_gt_i32 s22, 43
	s_mov_b64 s[0:1], s[40:41]
	s_cbranch_scc0 .LBB167_1539
; %bb.1529:
	;; [unrolled: 4-line block ×3, first 2 shown]
	s_cmp_eq_u32 s22, 46
	s_mov_b64 s[0:1], -1
	s_cbranch_scc0 .LBB167_1532
; %bb.1531:
	v_cndmask_b32_e64 v0, 0, 1.0, s[12:13]
	v_bfe_u32 v3, v0, 16, 1
	s_movk_i32 s0, 0x7fff
	v_add3_u32 v0, v0, v3, s0
	v_lshrrev_b32_e32 v0, 16, v0
	global_store_dword v[1:2], v0, off
	s_mov_b64 s[0:1], 0
.LBB167_1532:
	s_mov_b64 s[8:9], 0
.LBB167_1533:
	s_and_b64 vcc, exec, s[8:9]
	s_cbranch_vccz .LBB167_1538
; %bb.1534:
	s_cmp_eq_u32 s22, 44
	s_mov_b64 s[0:1], -1
	s_cbranch_scc0 .LBB167_1538
; %bb.1535:
	v_cndmask_b32_e64 v3, 0, 1.0, s[12:13]
	v_lshrrev_b32_e32 v0, 23, v3
	s_movk_i32 s0, 0xff
	v_cmp_ne_u32_e32 vcc, s0, v0
	v_mov_b32_e32 v4, 0xff
	s_and_saveexec_b64 s[8:9], vcc
; %bb.1536:
	s_mov_b32 s0, 0x3fffff
	v_and_b32_e32 v4, 0x400000, v3
	v_and_or_b32 v3, v3, s0, v0
	v_cmp_ne_u32_e32 vcc, 0, v4
	v_cmp_ne_u32_e64 s[0:1], 0, v3
	s_and_b64 s[0:1], vcc, s[0:1]
	v_cndmask_b32_e64 v3, 0, 1, s[0:1]
	v_add_u32_e32 v4, v0, v3
; %bb.1537:
	s_or_b64 exec, exec, s[8:9]
	s_mov_b64 s[0:1], 0
	global_store_byte v[1:2], v4, off
.LBB167_1538:
	s_mov_b64 s[8:9], 0
.LBB167_1539:
	s_and_b64 vcc, exec, s[8:9]
	s_cbranch_vccz .LBB167_1542
; %bb.1540:
	s_cmp_eq_u32 s22, 29
	s_mov_b64 s[0:1], -1
	s_cbranch_scc0 .LBB167_1542
; %bb.1541:
	s_mov_b32 s0, 0
	v_cndmask_b32_e64 v3, 0, 1, s[12:13]
	v_mov_b32_e32 v4, s0
	global_store_dwordx2 v[1:2], v[3:4], off
	s_mov_b64 s[0:1], 0
.LBB167_1542:
	s_mov_b64 s[8:9], 0
.LBB167_1543:
	s_and_b64 vcc, exec, s[8:9]
	s_cbranch_vccz .LBB167_1558
; %bb.1544:
	s_cmp_lt_i32 s22, 27
	s_mov_b64 s[8:9], -1
	s_cbranch_scc1 .LBB167_1550
; %bb.1545:
	s_cmp_gt_i32 s22, 27
	s_cbranch_scc0 .LBB167_1547
; %bb.1546:
	v_cndmask_b32_e64 v0, 0, 1, s[12:13]
	s_mov_b64 s[8:9], 0
	global_store_dword v[1:2], v0, off
.LBB167_1547:
	s_andn2_b64 vcc, exec, s[8:9]
	s_cbranch_vccnz .LBB167_1549
; %bb.1548:
	v_cndmask_b32_e64 v0, 0, 1, s[12:13]
	global_store_short v[1:2], v0, off
.LBB167_1549:
	s_mov_b64 s[8:9], 0
.LBB167_1550:
	s_andn2_b64 vcc, exec, s[8:9]
	s_cbranch_vccnz .LBB167_1558
; %bb.1551:
	v_cndmask_b32_e64 v3, 0, 1.0, s[12:13]
	s_mov_b32 s8, 0x43800000
	v_cmp_gt_u32_e32 vcc, s8, v3
	v_mov_b32_e32 v4, 0x80
	s_and_saveexec_b64 s[8:9], vcc
	s_cbranch_execz .LBB167_1557
; %bb.1552:
	s_mov_b32 s14, 0x3bffffff
	v_cmp_lt_u32_e32 vcc, s14, v3
	s_mov_b64 s[14:15], 0
                                        ; implicit-def: $vgpr0
	s_and_saveexec_b64 s[18:19], vcc
	s_xor_b64 s[18:19], exec, s[18:19]
	s_cbranch_execz .LBB167_1704
; %bb.1553:
	v_bfe_u32 v0, v3, 20, 1
	s_mov_b32 s20, 0x487ffff
	v_add3_u32 v0, v3, v0, s20
	s_mov_b64 s[14:15], exec
	v_lshrrev_b32_e32 v0, 20, v0
                                        ; implicit-def: $vgpr3
	s_andn2_saveexec_b64 s[18:19], s[18:19]
	s_cbranch_execnz .LBB167_1705
.LBB167_1554:
	s_or_b64 exec, exec, s[18:19]
	v_mov_b32_e32 v4, 0
	s_and_saveexec_b64 s[18:19], s[14:15]
.LBB167_1555:
	v_mov_b32_e32 v4, v0
.LBB167_1556:
	s_or_b64 exec, exec, s[18:19]
.LBB167_1557:
	s_or_b64 exec, exec, s[8:9]
	global_store_byte v[1:2], v4, off
.LBB167_1558:
	s_mov_b64 s[14:15], 0
.LBB167_1559:
	s_mov_b64 s[8:9], 0
	s_and_b64 vcc, exec, s[14:15]
	s_cbranch_vccz .LBB167_1604
; %bb.1560:
	s_cmp_gt_i32 s22, 22
	s_mov_b64 s[14:15], -1
	s_cbranch_scc0 .LBB167_1592
; %bb.1561:
	s_cmp_lt_i32 s22, 24
	s_cbranch_scc1 .LBB167_1581
; %bb.1562:
	s_cmp_gt_i32 s22, 24
	s_cbranch_scc0 .LBB167_1570
; %bb.1563:
	v_cndmask_b32_e64 v3, 0, 1.0, s[12:13]
	s_mov_b32 s14, 0x47800000
	v_cmp_gt_u32_e32 vcc, s14, v3
	v_mov_b32_e32 v4, 0x80
	s_and_saveexec_b64 s[14:15], vcc
	s_cbranch_execz .LBB167_1569
; %bb.1564:
	s_mov_b32 s18, 0x37ffffff
	v_cmp_lt_u32_e32 vcc, s18, v3
	s_mov_b64 s[18:19], 0
                                        ; implicit-def: $vgpr0
	s_and_saveexec_b64 s[20:21], vcc
	s_xor_b64 s[20:21], exec, s[20:21]
	s_cbranch_execz .LBB167_1834
; %bb.1565:
	v_bfe_u32 v0, v3, 21, 1
	s_mov_b32 s23, 0x88fffff
	v_add3_u32 v0, v3, v0, s23
	s_mov_b64 s[18:19], exec
	v_lshrrev_b32_e32 v0, 21, v0
                                        ; implicit-def: $vgpr3
	s_andn2_saveexec_b64 s[20:21], s[20:21]
	s_cbranch_execnz .LBB167_1835
.LBB167_1566:
	s_or_b64 exec, exec, s[20:21]
	v_mov_b32_e32 v4, 0
	s_and_saveexec_b64 s[20:21], s[18:19]
.LBB167_1567:
	v_mov_b32_e32 v4, v0
.LBB167_1568:
	s_or_b64 exec, exec, s[20:21]
.LBB167_1569:
	s_or_b64 exec, exec, s[14:15]
	s_mov_b64 s[14:15], 0
	global_store_byte v[1:2], v4, off
.LBB167_1570:
	s_and_b64 vcc, exec, s[14:15]
	s_cbranch_vccz .LBB167_1580
; %bb.1571:
	v_cndmask_b32_e64 v0, 0, 1.0, s[12:13]
	s_mov_b32 s14, 0x43f00000
	v_cmp_gt_u32_e32 vcc, s14, v0
                                        ; implicit-def: $vgpr3
	s_and_saveexec_b64 s[14:15], vcc
	s_xor_b64 s[14:15], exec, s[14:15]
	s_cbranch_execz .LBB167_1577
; %bb.1572:
	s_mov_b32 s18, 0x3c7fffff
	v_cmp_lt_u32_e32 vcc, s18, v0
                                        ; implicit-def: $vgpr3
	s_and_saveexec_b64 s[18:19], vcc
	s_xor_b64 s[18:19], exec, s[18:19]
; %bb.1573:
	v_bfe_u32 v3, v0, 20, 1
	s_mov_b32 s20, 0x407ffff
	v_add3_u32 v0, v0, v3, s20
	v_lshrrev_b32_e32 v3, 20, v0
	v_and_b32_e32 v0, 0xff00000, v0
	s_mov_b32 s20, 0x7f00000
	v_mov_b32_e32 v4, 0x7e
	v_cmp_ne_u32_e32 vcc, s20, v0
	v_cndmask_b32_e32 v3, v4, v3, vcc
                                        ; implicit-def: $vgpr0
; %bb.1574:
	s_andn2_saveexec_b64 s[18:19], s[18:19]
; %bb.1575:
	v_add_f32_e32 v3, 0x46800000, v0
; %bb.1576:
	s_or_b64 exec, exec, s[18:19]
                                        ; implicit-def: $vgpr0
.LBB167_1577:
	s_andn2_saveexec_b64 s[14:15], s[14:15]
; %bb.1578:
	s_mov_b32 s18, 0x7f800000
	v_mov_b32_e32 v3, 0x7e
	v_mov_b32_e32 v4, 0x7f
	v_cmp_lt_u32_e32 vcc, s18, v0
	v_cndmask_b32_e32 v3, v3, v4, vcc
; %bb.1579:
	s_or_b64 exec, exec, s[14:15]
	global_store_byte v[1:2], v3, off
.LBB167_1580:
	s_mov_b64 s[14:15], 0
.LBB167_1581:
	s_andn2_b64 vcc, exec, s[14:15]
	s_cbranch_vccnz .LBB167_1591
; %bb.1582:
	v_cndmask_b32_e64 v0, 0, 1.0, s[12:13]
	s_mov_b32 s14, 0x47800000
	v_cmp_gt_u32_e32 vcc, s14, v0
                                        ; implicit-def: $vgpr3
	s_and_saveexec_b64 s[14:15], vcc
	s_xor_b64 s[14:15], exec, s[14:15]
	s_cbranch_execz .LBB167_1588
; %bb.1583:
	s_mov_b32 s18, 0x387fffff
	v_cmp_lt_u32_e32 vcc, s18, v0
                                        ; implicit-def: $vgpr3
	s_and_saveexec_b64 s[18:19], vcc
	s_xor_b64 s[18:19], exec, s[18:19]
; %bb.1584:
	v_bfe_u32 v3, v0, 21, 1
	s_mov_b32 s20, 0x80fffff
	v_add3_u32 v0, v0, v3, s20
	v_lshrrev_b32_e32 v3, 21, v0
                                        ; implicit-def: $vgpr0
; %bb.1585:
	s_andn2_saveexec_b64 s[18:19], s[18:19]
; %bb.1586:
	v_add_f32_e32 v3, 0x43000000, v0
; %bb.1587:
	s_or_b64 exec, exec, s[18:19]
                                        ; implicit-def: $vgpr0
.LBB167_1588:
	s_andn2_saveexec_b64 s[14:15], s[14:15]
; %bb.1589:
	s_mov_b32 s18, 0x7f800000
	v_mov_b32_e32 v3, 0x7c
	v_mov_b32_e32 v4, 0x7f
	v_cmp_lt_u32_e32 vcc, s18, v0
	v_cndmask_b32_e32 v3, v3, v4, vcc
; %bb.1590:
	s_or_b64 exec, exec, s[14:15]
	global_store_byte v[1:2], v3, off
.LBB167_1591:
	s_mov_b64 s[14:15], 0
.LBB167_1592:
	s_andn2_b64 vcc, exec, s[14:15]
	s_mov_b64 s[14:15], 0
	s_cbranch_vccnz .LBB167_1605
; %bb.1593:
	s_cmp_gt_i32 s22, 14
	s_mov_b64 s[18:19], -1
	s_cbranch_scc0 .LBB167_1597
; %bb.1594:
	s_cmp_eq_u32 s22, 15
	s_mov_b64 s[0:1], -1
	s_cbranch_scc0 .LBB167_1596
; %bb.1595:
	v_cndmask_b32_e64 v0, 0, 1.0, s[12:13]
	v_bfe_u32 v3, v0, 16, 1
	s_movk_i32 s0, 0x7fff
	v_add3_u32 v0, v0, v3, s0
	global_store_short_d16_hi v[1:2], v0, off
	s_mov_b64 s[0:1], 0
.LBB167_1596:
	s_mov_b64 s[18:19], 0
.LBB167_1597:
	s_and_b64 vcc, exec, s[18:19]
	s_cbranch_vccz .LBB167_1605
; %bb.1598:
	s_cmp_lg_u32 s22, 11
	s_cselect_b64 s[18:19], -1, 0
	s_andn2_b64 s[0:1], s[0:1], exec
	s_and_b64 s[18:19], s[18:19], exec
	s_mov_b64 s[14:15], -1
	s_or_b64 s[0:1], s[0:1], s[18:19]
	s_branch .LBB167_1605
.LBB167_1599:
	s_or_b64 exec, exec, s[16:17]
	s_and_saveexec_b64 s[0:1], s[40:41]
	s_cbranch_execnz .LBB167_1606
.LBB167_1600:
	s_or_b64 exec, exec, s[0:1]
	s_and_saveexec_b64 s[0:1], s[22:23]
	s_xor_b64 s[0:1], exec, s[0:1]
	s_cbranch_execz .LBB167_1607
.LBB167_1601:
	v_cndmask_b32_e64 v0, 0, 1, s[12:13]
	global_store_byte v[1:2], v0, off
	s_or_b64 exec, exec, s[0:1]
	s_and_saveexec_b64 s[0:1], s[20:21]
	s_xor_b64 s[0:1], exec, s[0:1]
	s_cbranch_execz .LBB167_1645
	s_branch .LBB167_1608
.LBB167_1602:
	s_mov_b64 s[14:15], 0
	s_mov_b64 s[8:9], -1
	s_mov_b64 s[0:1], s[40:41]
	s_branch .LBB167_1605
.LBB167_1603:
                                        ; implicit-def: $sgpr12_sgpr13
	s_branch .LBB167_1524
.LBB167_1604:
	s_mov_b64 s[14:15], 0
.LBB167_1605:
	s_and_b64 s[20:21], s[8:9], exec
	s_andn2_b64 s[8:9], s[40:41], exec
	s_and_b64 s[0:1], s[0:1], exec
	s_and_b64 s[22:23], s[14:15], exec
	s_or_b64 s[40:41], s[8:9], s[0:1]
	s_or_b64 exec, exec, s[16:17]
	s_and_saveexec_b64 s[0:1], s[40:41]
	s_cbranch_execz .LBB167_1600
.LBB167_1606:
	s_or_b64 s[10:11], s[10:11], exec
	s_andn2_b64 s[22:23], s[22:23], exec
	s_trap 2
	s_or_b64 exec, exec, s[0:1]
	s_and_saveexec_b64 s[0:1], s[22:23]
	s_xor_b64 s[0:1], exec, s[0:1]
	s_cbranch_execnz .LBB167_1601
.LBB167_1607:
	s_or_b64 exec, exec, s[0:1]
	s_and_saveexec_b64 s[0:1], s[20:21]
	s_xor_b64 s[0:1], exec, s[0:1]
	s_cbranch_execz .LBB167_1645
.LBB167_1608:
	s_sext_i32_i16 s14, s30
	s_cmp_lt_i32 s14, 5
	s_mov_b64 s[8:9], -1
	s_cbranch_scc1 .LBB167_1629
; %bb.1609:
	s_cmp_lt_i32 s14, 8
	s_cbranch_scc1 .LBB167_1619
; %bb.1610:
	s_cmp_lt_i32 s14, 9
	s_cbranch_scc1 .LBB167_1616
; %bb.1611:
	s_cmp_gt_i32 s14, 9
	s_cbranch_scc0 .LBB167_1613
; %bb.1612:
	v_cndmask_b32_e64 v0, 0, 1, s[12:13]
	s_waitcnt vmcnt(0)
	v_cvt_f64_u32_e32 v[3:4], v0
	v_mov_b32_e32 v5, 0
	v_mov_b32_e32 v6, v5
	s_mov_b64 s[8:9], 0
	global_store_dwordx4 v[1:2], v[3:6], off
.LBB167_1613:
	s_andn2_b64 vcc, exec, s[8:9]
	s_cbranch_vccnz .LBB167_1615
; %bb.1614:
	s_waitcnt vmcnt(0)
	v_cndmask_b32_e64 v3, 0, 1.0, s[12:13]
	v_mov_b32_e32 v4, 0
	global_store_dwordx2 v[1:2], v[3:4], off
.LBB167_1615:
	s_mov_b64 s[8:9], 0
.LBB167_1616:
	s_andn2_b64 vcc, exec, s[8:9]
	s_cbranch_vccnz .LBB167_1618
; %bb.1617:
	v_cndmask_b32_e64 v0, 0, 1.0, s[12:13]
	v_cvt_f16_f32_e32 v0, v0
	global_store_dword v[1:2], v0, off
.LBB167_1618:
	s_mov_b64 s[8:9], 0
.LBB167_1619:
	s_andn2_b64 vcc, exec, s[8:9]
	s_cbranch_vccnz .LBB167_1628
; %bb.1620:
	s_sext_i32_i16 s14, s30
	s_cmp_lt_i32 s14, 6
	s_mov_b64 s[8:9], -1
	s_cbranch_scc1 .LBB167_1626
; %bb.1621:
	s_cmp_gt_i32 s14, 6
	s_cbranch_scc0 .LBB167_1623
; %bb.1622:
	v_cndmask_b32_e64 v0, 0, 1, s[12:13]
	s_waitcnt vmcnt(0)
	v_cvt_f64_u32_e32 v[3:4], v0
	s_mov_b64 s[8:9], 0
	global_store_dwordx2 v[1:2], v[3:4], off
.LBB167_1623:
	s_andn2_b64 vcc, exec, s[8:9]
	s_cbranch_vccnz .LBB167_1625
; %bb.1624:
	v_cndmask_b32_e64 v0, 0, 1.0, s[12:13]
	global_store_dword v[1:2], v0, off
.LBB167_1625:
	s_mov_b64 s[8:9], 0
.LBB167_1626:
	s_andn2_b64 vcc, exec, s[8:9]
	s_cbranch_vccnz .LBB167_1628
; %bb.1627:
	v_cndmask_b32_e64 v0, 0, 1.0, s[12:13]
	v_cvt_f16_f32_e32 v0, v0
	global_store_short v[1:2], v0, off
.LBB167_1628:
	s_mov_b64 s[8:9], 0
.LBB167_1629:
	s_andn2_b64 vcc, exec, s[8:9]
	s_cbranch_vccnz .LBB167_1645
; %bb.1630:
	s_sext_i32_i16 s14, s30
	s_cmp_lt_i32 s14, 2
	s_mov_b64 s[8:9], -1
	s_cbranch_scc1 .LBB167_1640
; %bb.1631:
	s_cmp_lt_i32 s14, 3
	s_cbranch_scc1 .LBB167_1637
; %bb.1632:
	s_cmp_gt_i32 s14, 3
	s_cbranch_scc0 .LBB167_1634
; %bb.1633:
	s_mov_b32 s8, 0
	s_waitcnt vmcnt(0)
	v_cndmask_b32_e64 v3, 0, 1, s[12:13]
	v_mov_b32_e32 v4, s8
	s_mov_b64 s[8:9], 0
	global_store_dwordx2 v[1:2], v[3:4], off
.LBB167_1634:
	s_andn2_b64 vcc, exec, s[8:9]
	s_cbranch_vccnz .LBB167_1636
; %bb.1635:
	v_cndmask_b32_e64 v0, 0, 1, s[12:13]
	global_store_dword v[1:2], v0, off
.LBB167_1636:
	s_mov_b64 s[8:9], 0
.LBB167_1637:
	s_andn2_b64 vcc, exec, s[8:9]
	s_cbranch_vccnz .LBB167_1639
; %bb.1638:
	v_cndmask_b32_e64 v0, 0, 1, s[12:13]
	global_store_short v[1:2], v0, off
.LBB167_1639:
	s_mov_b64 s[8:9], 0
.LBB167_1640:
	s_andn2_b64 vcc, exec, s[8:9]
	s_cbranch_vccnz .LBB167_1645
; %bb.1641:
	s_sext_i32_i16 s14, s30
	s_mov_b64 s[8:9], -1
	s_cmp_gt_i32 s14, 0
	v_cndmask_b32_e64 v0, 0, 1, s[12:13]
	s_cbranch_scc0 .LBB167_1643
; %bb.1642:
	s_mov_b64 s[8:9], 0
	global_store_byte v[1:2], v0, off
.LBB167_1643:
	s_andn2_b64 vcc, exec, s[8:9]
	s_cbranch_vccnz .LBB167_1645
; %bb.1644:
	global_store_byte v[1:2], v0, off
.LBB167_1645:
	s_or_b64 exec, exec, s[0:1]
	s_and_b64 s[12:13], s[10:11], exec
                                        ; implicit-def: $vgpr23
                                        ; implicit-def: $vgpr8
.LBB167_1646:
	s_or_saveexec_b64 s[14:15], s[26:27]
	s_mov_b64 s[0:1], 0
                                        ; implicit-def: $sgpr10_sgpr11
                                        ; implicit-def: $vgpr0_vgpr1
                                        ; implicit-def: $sgpr26
	s_xor_b64 exec, exec, s[14:15]
	s_cbranch_execz .LBB167_2784
; %bb.1647:
	v_cndmask_b32_e64 v0, 0, 1, s[24:25]
	v_cmp_ne_u32_e64 s[0:1], 1, v0
	s_andn2_b64 vcc, exec, s[24:25]
	s_cbranch_vccnz .LBB167_1653
; %bb.1648:
	s_cmp_lg_u32 s33, 0
	s_cbranch_scc0 .LBB167_1654
; %bb.1649:
	s_min_u32 s8, s72, 15
	s_add_i32 s6, s8, 1
	s_and_b32 s9, s6, 30
	s_add_u32 s6, s2, 0xffffffe8
	s_addc_u32 s7, s3, -1
	v_mov_b32_e32 v19, 0
	v_mov_b32_e32 v21, 0
	;; [unrolled: 1-line block ×4, first 2 shown]
.LBB167_1650:                           ; =>This Inner Loop Header: Depth=1
	s_load_dwordx4 s[16:19], s[6:7], 0x1c
	s_load_dwordx2 s[10:11], s[6:7], 0x2c
	s_load_dwordx2 s[24:25], s[6:7], 0xec
	s_load_dwordx4 s[20:23], s[6:7], 0xdc
	s_add_u32 s6, s6, 24
	s_waitcnt lgkmcnt(0)
	v_mul_hi_u32 v1, s17, v0
	s_addc_u32 s7, s7, 0
	s_add_i32 s9, s9, -2
	s_cmp_lg_u32 s9, 0
	v_add_u32_e32 v1, v0, v1
	v_lshrrev_b32_e32 v1, s18, v1
	v_mul_lo_u32 v2, v1, s16
	s_waitcnt vmcnt(0)
	v_mul_hi_u32 v3, s10, v1
	v_sub_u32_e32 v2, v0, v2
	v_add_u32_e32 v0, v1, v3
	v_lshrrev_b32_e32 v0, s11, v0
	v_mul_lo_u32 v5, v0, s19
	v_mul_lo_u32 v3, v2, s20
	;; [unrolled: 1-line block ×4, first 2 shown]
	v_sub_u32_e32 v1, v1, v5
	v_mul_lo_u32 v5, v1, s23
	v_mul_lo_u32 v7, v1, s24
	;; [unrolled: 1-line block ×3, first 2 shown]
	v_add3_u32 v6, v3, v6, v5
	v_add3_u32 v21, v4, v21, v7
	;; [unrolled: 1-line block ×3, first 2 shown]
	s_cbranch_scc1 .LBB167_1650
; %bb.1651:
	s_bitcmp1_b32 s8, 0
	s_cselect_b64 s[8:9], -1, 0
	s_and_b64 vcc, exec, s[8:9]
	s_cbranch_vccnz .LBB167_1655
; %bb.1652:
	s_load_dwordx2 s[8:9], s[6:7], 0x1c
	s_load_dword s16, s[6:7], 0x24
	s_load_dwordx2 s[10:11], s[6:7], 0xdc
	s_waitcnt lgkmcnt(0)
	v_mul_hi_u32 v1, s9, v0
	v_add_u32_e32 v1, v0, v1
	v_lshrrev_b32_e32 v1, s16, v1
	v_mul_lo_u32 v1, v1, s8
	s_load_dword s8, s[6:7], 0xe4
	v_sub_u32_e32 v0, v0, v1
	v_mad_u64_u32 v[6:7], s[6:7], v0, s10, v[6:7]
	v_mad_u64_u32 v[21:22], s[6:7], v0, s11, v[21:22]
	s_waitcnt lgkmcnt(0)
	v_mad_u64_u32 v[19:20], s[6:7], v0, s8, v[19:20]
	s_cbranch_execz .LBB167_1656
	s_branch .LBB167_1658
.LBB167_1653:
                                        ; implicit-def: $vgpr6
                                        ; implicit-def: $vgpr21
                                        ; implicit-def: $vgpr19
	s_branch .LBB167_1656
.LBB167_1654:
	v_mov_b32_e32 v6, 0
	v_mov_b32_e32 v21, 0
	;; [unrolled: 1-line block ×3, first 2 shown]
.LBB167_1655:
	s_cbranch_execnz .LBB167_1658
.LBB167_1656:
	s_load_dwordx4 s[8:11], s[2:3], 0x4
	s_load_dwordx4 s[16:19], s[2:3], 0xc4
	s_cmp_lt_u32 s33, 2
	s_waitcnt lgkmcnt(0)
	v_mul_hi_u32 v0, s9, v8
	v_add_u32_e32 v0, v8, v0
	v_lshrrev_b32_e32 v0, s10, v0
	v_mul_lo_u32 v1, v0, s8
	v_sub_u32_e32 v1, v8, v1
	v_mul_lo_u32 v6, v1, s16
	v_mul_lo_u32 v21, v1, s17
	;; [unrolled: 1-line block ×3, first 2 shown]
	s_cbranch_scc1 .LBB167_1658
; %bb.1657:
	s_load_dwordx4 s[8:11], s[2:3], 0x10
	s_load_dwordx4 s[16:19], s[2:3], 0xd0
	s_waitcnt lgkmcnt(0)
	v_mul_hi_u32 v1, s9, v0
	v_add_u32_e32 v1, v0, v1
	v_lshrrev_b32_e32 v1, s10, v1
	v_mul_lo_u32 v1, v1, s8
	v_sub_u32_e32 v0, v0, v1
	s_waitcnt vmcnt(0)
	v_mad_u64_u32 v[6:7], s[6:7], v0, s16, v[6:7]
	v_mad_u64_u32 v[21:22], s[6:7], v0, s17, v[21:22]
	;; [unrolled: 1-line block ×3, first 2 shown]
.LBB167_1658:
	s_and_b64 vcc, exec, s[0:1]
	v_add_u32_e32 v0, 0x80, v8
	s_cbranch_vccnz .LBB167_1664
; %bb.1659:
	s_cmp_lg_u32 s33, 0
	s_cbranch_scc0 .LBB167_1665
; %bb.1660:
	s_min_u32 s8, s72, 15
	s_add_i32 s6, s8, 1
	s_and_b32 s9, s6, 30
	s_add_u32 s6, s2, 0xffffffe8
	s_addc_u32 s7, s3, -1
	v_mov_b32_e32 v15, 0
	v_mov_b32_e32 v17, 0
	;; [unrolled: 1-line block ×4, first 2 shown]
.LBB167_1661:                           ; =>This Inner Loop Header: Depth=1
	s_load_dwordx4 s[16:19], s[6:7], 0x1c
	s_load_dwordx2 s[10:11], s[6:7], 0x2c
	s_load_dwordx2 s[24:25], s[6:7], 0xec
	s_load_dwordx4 s[20:23], s[6:7], 0xdc
	s_add_u32 s6, s6, 24
	s_waitcnt lgkmcnt(0)
	v_mul_hi_u32 v2, s17, v1
	s_addc_u32 s7, s7, 0
	s_add_i32 s9, s9, -2
	s_cmp_lg_u32 s9, 0
	v_add_u32_e32 v2, v1, v2
	v_lshrrev_b32_e32 v2, s18, v2
	s_waitcnt vmcnt(0)
	v_mul_lo_u32 v3, v2, s16
	v_mul_hi_u32 v5, s10, v2
	v_sub_u32_e32 v3, v1, v3
	v_add_u32_e32 v1, v2, v5
	v_lshrrev_b32_e32 v1, s11, v1
	v_mul_lo_u32 v9, v1, s19
	v_mul_lo_u32 v5, v3, s20
	;; [unrolled: 1-line block ×4, first 2 shown]
	v_sub_u32_e32 v2, v2, v9
	v_mul_lo_u32 v9, v2, s23
	v_mul_lo_u32 v10, v2, s24
	;; [unrolled: 1-line block ×3, first 2 shown]
	v_add3_u32 v4, v5, v4, v9
	v_add3_u32 v17, v7, v17, v10
	;; [unrolled: 1-line block ×3, first 2 shown]
	s_cbranch_scc1 .LBB167_1661
; %bb.1662:
	s_bitcmp1_b32 s8, 0
	s_cselect_b64 s[8:9], -1, 0
	s_and_b64 vcc, exec, s[8:9]
	s_cbranch_vccnz .LBB167_1666
; %bb.1663:
	s_load_dwordx2 s[8:9], s[6:7], 0x1c
	s_load_dword s16, s[6:7], 0x24
	s_load_dwordx2 s[10:11], s[6:7], 0xdc
	s_waitcnt lgkmcnt(0)
	v_mul_hi_u32 v2, s9, v1
	v_add_u32_e32 v2, v1, v2
	v_lshrrev_b32_e32 v2, s16, v2
	v_mul_lo_u32 v2, v2, s8
	s_load_dword s8, s[6:7], 0xe4
	v_sub_u32_e32 v1, v1, v2
	v_mad_u64_u32 v[4:5], s[6:7], v1, s10, v[4:5]
	v_mad_u64_u32 v[17:18], s[6:7], v1, s11, v[17:18]
	s_waitcnt lgkmcnt(0)
	v_mad_u64_u32 v[15:16], s[6:7], v1, s8, v[15:16]
	s_cbranch_execz .LBB167_1667
	s_branch .LBB167_1669
.LBB167_1664:
                                        ; implicit-def: $vgpr4
                                        ; implicit-def: $vgpr17
                                        ; implicit-def: $vgpr15
	s_branch .LBB167_1667
.LBB167_1665:
	v_mov_b32_e32 v4, 0
	v_mov_b32_e32 v17, 0
	;; [unrolled: 1-line block ×3, first 2 shown]
.LBB167_1666:
	s_cbranch_execnz .LBB167_1669
.LBB167_1667:
	s_load_dwordx4 s[8:11], s[2:3], 0x4
	s_load_dwordx4 s[16:19], s[2:3], 0xc4
	s_cmp_lt_u32 s33, 2
	s_waitcnt lgkmcnt(0)
	v_mul_hi_u32 v1, s9, v0
	v_add_u32_e32 v1, v0, v1
	v_lshrrev_b32_e32 v1, s10, v1
	v_mul_lo_u32 v2, v1, s8
	v_sub_u32_e32 v0, v0, v2
	v_mul_lo_u32 v4, v0, s16
	v_mul_lo_u32 v17, v0, s17
	v_mul_lo_u32 v15, v0, s18
	s_cbranch_scc1 .LBB167_1669
; %bb.1668:
	s_load_dwordx4 s[8:11], s[2:3], 0x10
	s_load_dwordx4 s[16:19], s[2:3], 0xd0
	s_waitcnt lgkmcnt(0)
	v_mul_hi_u32 v0, s9, v1
	v_add_u32_e32 v0, v1, v0
	v_lshrrev_b32_e32 v0, s10, v0
	v_mul_lo_u32 v0, v0, s8
	v_sub_u32_e32 v0, v1, v0
	s_waitcnt vmcnt(0)
	v_mad_u64_u32 v[4:5], s[6:7], v0, s16, v[4:5]
	v_mad_u64_u32 v[17:18], s[6:7], v0, s17, v[17:18]
	;; [unrolled: 1-line block ×3, first 2 shown]
.LBB167_1669:
	s_and_b64 vcc, exec, s[0:1]
	v_add_u32_e32 v0, 0x100, v8
	s_cbranch_vccnz .LBB167_1675
; %bb.1670:
	s_cmp_lg_u32 s33, 0
	s_cbranch_scc0 .LBB167_1676
; %bb.1671:
	s_min_u32 s8, s72, 15
	s_add_i32 s6, s8, 1
	s_and_b32 s9, s6, 30
	s_add_u32 s6, s2, 0xffffffe8
	s_addc_u32 s7, s3, -1
	v_mov_b32_e32 v11, 0
	v_mov_b32_e32 v13, 0
	;; [unrolled: 1-line block ×4, first 2 shown]
.LBB167_1672:                           ; =>This Inner Loop Header: Depth=1
	s_load_dwordx4 s[16:19], s[6:7], 0x1c
	s_load_dwordx2 s[10:11], s[6:7], 0x2c
	s_load_dwordx2 s[24:25], s[6:7], 0xec
	s_load_dwordx4 s[20:23], s[6:7], 0xdc
	s_add_u32 s6, s6, 24
	s_waitcnt vmcnt(0) lgkmcnt(0)
	v_mul_hi_u32 v3, s17, v1
	s_addc_u32 s7, s7, 0
	s_add_i32 s9, s9, -2
	s_cmp_lg_u32 s9, 0
	v_add_u32_e32 v3, v1, v3
	v_lshrrev_b32_e32 v3, s18, v3
	v_mul_lo_u32 v5, v3, s16
	v_mul_hi_u32 v7, s10, v3
	v_sub_u32_e32 v5, v1, v5
	v_add_u32_e32 v1, v3, v7
	v_lshrrev_b32_e32 v1, s11, v1
	v_mul_lo_u32 v9, v1, s19
	v_mul_lo_u32 v7, v5, s20
	;; [unrolled: 1-line block ×4, first 2 shown]
	v_sub_u32_e32 v3, v3, v9
	v_mul_lo_u32 v9, v3, s23
	v_mul_lo_u32 v10, v3, s24
	;; [unrolled: 1-line block ×3, first 2 shown]
	v_add3_u32 v2, v7, v2, v9
	v_add3_u32 v13, v8, v13, v10
	;; [unrolled: 1-line block ×3, first 2 shown]
	s_cbranch_scc1 .LBB167_1672
; %bb.1673:
	s_bitcmp1_b32 s8, 0
	s_cselect_b64 s[8:9], -1, 0
	s_and_b64 vcc, exec, s[8:9]
	s_cbranch_vccnz .LBB167_1677
; %bb.1674:
	s_load_dwordx2 s[8:9], s[6:7], 0x1c
	s_load_dword s16, s[6:7], 0x24
	s_load_dwordx2 s[10:11], s[6:7], 0xdc
	s_waitcnt lgkmcnt(0)
	v_mul_hi_u32 v3, s9, v1
	v_add_u32_e32 v3, v1, v3
	v_lshrrev_b32_e32 v3, s16, v3
	v_mul_lo_u32 v3, v3, s8
	s_load_dword s8, s[6:7], 0xe4
	v_sub_u32_e32 v1, v1, v3
	v_mad_u64_u32 v[2:3], s[6:7], v1, s10, v[2:3]
	v_mad_u64_u32 v[13:14], s[6:7], v1, s11, v[13:14]
	s_waitcnt lgkmcnt(0)
	v_mad_u64_u32 v[11:12], s[6:7], v1, s8, v[11:12]
	s_cbranch_execz .LBB167_1678
	s_branch .LBB167_1680
.LBB167_1675:
                                        ; implicit-def: $vgpr2
                                        ; implicit-def: $vgpr13
                                        ; implicit-def: $vgpr11
	s_branch .LBB167_1678
.LBB167_1676:
	v_mov_b32_e32 v2, 0
	v_mov_b32_e32 v13, 0
	;; [unrolled: 1-line block ×3, first 2 shown]
.LBB167_1677:
	s_cbranch_execnz .LBB167_1680
.LBB167_1678:
	s_load_dwordx4 s[8:11], s[2:3], 0x4
	s_load_dwordx4 s[16:19], s[2:3], 0xc4
	s_cmp_lt_u32 s33, 2
	s_waitcnt lgkmcnt(0)
	v_mul_hi_u32 v1, s9, v0
	v_add_u32_e32 v1, v0, v1
	v_lshrrev_b32_e32 v1, s10, v1
	v_mul_lo_u32 v2, v1, s8
	v_sub_u32_e32 v0, v0, v2
	v_mul_lo_u32 v2, v0, s16
	v_mul_lo_u32 v13, v0, s17
	;; [unrolled: 1-line block ×3, first 2 shown]
	s_cbranch_scc1 .LBB167_1680
; %bb.1679:
	s_load_dwordx4 s[8:11], s[2:3], 0x10
	s_load_dwordx4 s[16:19], s[2:3], 0xd0
	s_waitcnt lgkmcnt(0)
	v_mul_hi_u32 v0, s9, v1
	v_add_u32_e32 v0, v1, v0
	v_lshrrev_b32_e32 v0, s10, v0
	v_mul_lo_u32 v0, v0, s8
	v_sub_u32_e32 v0, v1, v0
	s_waitcnt vmcnt(0)
	v_mad_u64_u32 v[2:3], s[6:7], v0, s16, v[2:3]
	v_mad_u64_u32 v[13:14], s[6:7], v0, s17, v[13:14]
	;; [unrolled: 1-line block ×3, first 2 shown]
.LBB167_1680:
	s_and_b64 vcc, exec, s[0:1]
	s_cbranch_vccnz .LBB167_1686
; %bb.1681:
	s_cmp_lg_u32 s33, 0
	s_cbranch_scc0 .LBB167_1687
; %bb.1682:
	s_min_u32 s6, s72, 15
	s_add_i32 s0, s6, 1
	s_and_b32 s7, s0, 30
	s_add_u32 s0, s2, 0xffffffe8
	s_addc_u32 s1, s3, -1
	s_waitcnt vmcnt(0)
	v_mov_b32_e32 v7, 0
	v_mov_b32_e32 v9, 0
	;; [unrolled: 1-line block ×4, first 2 shown]
.LBB167_1683:                           ; =>This Inner Loop Header: Depth=1
	s_load_dwordx4 s[8:11], s[0:1], 0x1c
	s_load_dwordx2 s[20:21], s[0:1], 0x2c
	s_load_dwordx2 s[22:23], s[0:1], 0xec
	s_load_dwordx4 s[16:19], s[0:1], 0xdc
	s_add_u32 s0, s0, 24
	s_waitcnt lgkmcnt(0)
	v_mul_hi_u32 v3, s9, v1
	s_addc_u32 s1, s1, 0
	s_add_i32 s7, s7, -2
	s_cmp_lg_u32 s7, 0
	v_add_u32_e32 v3, v1, v3
	v_lshrrev_b32_e32 v3, s10, v3
	v_mul_lo_u32 v5, v3, s8
	v_mul_hi_u32 v8, s20, v3
	v_sub_u32_e32 v5, v1, v5
	v_add_u32_e32 v1, v3, v8
	v_lshrrev_b32_e32 v1, s21, v1
	v_mul_lo_u32 v12, v1, s11
	v_mul_lo_u32 v8, v5, s16
	;; [unrolled: 1-line block ×4, first 2 shown]
	v_sub_u32_e32 v3, v3, v12
	v_mul_lo_u32 v12, v3, s19
	v_mul_lo_u32 v14, v3, s22
	;; [unrolled: 1-line block ×3, first 2 shown]
	v_add3_u32 v0, v8, v0, v12
	v_add3_u32 v9, v10, v9, v14
	;; [unrolled: 1-line block ×3, first 2 shown]
	s_cbranch_scc1 .LBB167_1683
; %bb.1684:
	s_bitcmp1_b32 s6, 0
	s_cselect_b64 s[6:7], -1, 0
	s_and_b64 vcc, exec, s[6:7]
	s_cbranch_vccnz .LBB167_1688
; %bb.1685:
	s_load_dwordx2 s[6:7], s[0:1], 0x1c
	s_load_dword s10, s[0:1], 0x24
	s_load_dwordx2 s[8:9], s[0:1], 0xdc
	s_waitcnt lgkmcnt(0)
	v_mul_hi_u32 v3, s7, v1
	v_add_u32_e32 v3, v1, v3
	v_lshrrev_b32_e32 v3, s10, v3
	v_mul_lo_u32 v3, v3, s6
	s_load_dword s6, s[0:1], 0xe4
	v_sub_u32_e32 v3, v1, v3
	v_mad_u64_u32 v[0:1], s[0:1], v3, s8, v[0:1]
	v_mad_u64_u32 v[9:10], s[0:1], v3, s9, v[9:10]
	s_waitcnt lgkmcnt(0)
	v_mad_u64_u32 v[7:8], s[0:1], v3, s6, v[7:8]
	s_cbranch_execz .LBB167_1689
	s_branch .LBB167_1691
.LBB167_1686:
                                        ; implicit-def: $vgpr0
                                        ; implicit-def: $vgpr9
                                        ; implicit-def: $vgpr7
	s_branch .LBB167_1689
.LBB167_1687:
	v_mov_b32_e32 v0, 0
	v_mov_b32_e32 v9, 0
	s_waitcnt vmcnt(0)
	v_mov_b32_e32 v7, 0
.LBB167_1688:
	s_cbranch_execnz .LBB167_1691
.LBB167_1689:
	s_load_dwordx4 s[8:11], s[2:3], 0x4
	s_load_dwordx4 s[16:19], s[2:3], 0xc4
	s_cmp_lt_u32 s33, 2
	s_waitcnt lgkmcnt(0)
	v_mul_hi_u32 v0, s9, v23
	v_add_u32_e32 v0, v23, v0
	v_lshrrev_b32_e32 v1, s10, v0
	v_mul_lo_u32 v0, v1, s8
	s_waitcnt vmcnt(0)
	v_sub_u32_e32 v3, v23, v0
	v_mul_lo_u32 v0, v3, s16
	v_mul_lo_u32 v9, v3, s17
	;; [unrolled: 1-line block ×3, first 2 shown]
	s_cbranch_scc1 .LBB167_1691
; %bb.1690:
	s_load_dwordx4 s[8:11], s[2:3], 0x10
	s_load_dwordx4 s[16:19], s[2:3], 0xd0
	s_waitcnt lgkmcnt(0)
	v_mul_hi_u32 v3, s9, v1
	v_add_u32_e32 v3, v1, v3
	v_lshrrev_b32_e32 v3, s10, v3
	v_mul_lo_u32 v3, v3, s8
	v_sub_u32_e32 v3, v1, v3
	v_mad_u64_u32 v[0:1], s[0:1], v3, s16, v[0:1]
	v_mad_u64_u32 v[9:10], s[0:1], v3, s17, v[9:10]
	;; [unrolled: 1-line block ×3, first 2 shown]
.LBB167_1691:
	s_load_dwordx4 s[8:11], s[2:3], 0x188
	s_load_dword s24, s[4:5], 0x1ac
	s_waitcnt lgkmcnt(0)
	v_mov_b32_e32 v1, s11
	s_bfe_u32 s20, s24, 0x80008
	v_add_co_u32_e32 v20, vcc, s10, v21
	s_cmp_lt_i32 s20, 11
	v_addc_co_u32_e32 v21, vcc, 0, v1, vcc
	s_cbranch_scc1 .LBB167_1698
; %bb.1692:
	s_and_b32 s21, 0xffff, s20
	s_cmp_gt_i32 s21, 25
	s_mov_b64 s[6:7], 0
	s_cbranch_scc0 .LBB167_1700
; %bb.1693:
	s_cmp_gt_i32 s21, 28
	s_cbranch_scc0 .LBB167_1701
; %bb.1694:
	s_cmp_gt_i32 s21, 43
	;; [unrolled: 3-line block ×3, first 2 shown]
	s_cbranch_scc0 .LBB167_1703
; %bb.1696:
	s_cmp_eq_u32 s21, 46
	s_mov_b64 s[4:5], 0
	s_cbranch_scc0 .LBB167_1706
; %bb.1697:
	global_load_dword v1, v[20:21], off
	s_mov_b64 s[0:1], 0
	s_mov_b64 s[16:17], -1
	s_waitcnt vmcnt(0)
	v_and_b32_e32 v3, 0xffff0000, v1
	s_branch .LBB167_1707
.LBB167_1698:
	s_mov_b64 s[16:17], 0
                                        ; implicit-def: $vgpr3
                                        ; implicit-def: $vgpr1
	s_mov_b64 s[4:5], s[12:13]
	s_cbranch_execnz .LBB167_1773
.LBB167_1699:
	s_andn2_b64 vcc, exec, s[16:17]
	s_cbranch_vccz .LBB167_1820
	s_branch .LBB167_2781
.LBB167_1700:
	s_mov_b64 s[16:17], 0
	s_mov_b64 s[0:1], 0
                                        ; implicit-def: $vgpr3
                                        ; implicit-def: $vgpr1
	s_cbranch_execnz .LBB167_1737
	s_branch .LBB167_1769
.LBB167_1701:
	s_mov_b64 s[16:17], 0
	s_mov_b64 s[0:1], 0
                                        ; implicit-def: $vgpr3
                                        ; implicit-def: $vgpr1
	s_cbranch_execnz .LBB167_1719
	s_branch .LBB167_1736
.LBB167_1702:
	s_mov_b64 s[4:5], -1
	s_mov_b64 s[16:17], 0
	s_mov_b64 s[0:1], 0
                                        ; implicit-def: $vgpr3
                                        ; implicit-def: $vgpr1
	s_branch .LBB167_1713
.LBB167_1703:
	s_mov_b64 s[4:5], -1
	s_mov_b64 s[16:17], 0
	s_mov_b64 s[0:1], 0
                                        ; implicit-def: $vgpr3
                                        ; implicit-def: $vgpr1
	s_branch .LBB167_1707
.LBB167_1704:
	s_andn2_saveexec_b64 s[18:19], s[18:19]
	s_cbranch_execz .LBB167_1554
.LBB167_1705:
	v_add_f32_e32 v0, 0x46000000, v3
	v_and_b32_e32 v0, 0xff, v0
	v_cmp_ne_u32_e32 vcc, 0, v0
	s_andn2_b64 s[14:15], s[14:15], exec
	s_and_b64 s[20:21], vcc, exec
	s_or_b64 s[14:15], s[14:15], s[20:21]
	s_or_b64 exec, exec, s[18:19]
	v_mov_b32_e32 v4, 0
	s_and_saveexec_b64 s[18:19], s[14:15]
	s_cbranch_execnz .LBB167_1555
	s_branch .LBB167_1556
.LBB167_1706:
	s_mov_b64 s[0:1], -1
                                        ; implicit-def: $vgpr3
                                        ; implicit-def: $vgpr1
	s_mov_b64 s[16:17], 0
.LBB167_1707:
	s_and_b64 vcc, exec, s[4:5]
	s_cbranch_vccz .LBB167_1712
; %bb.1708:
	s_cmp_eq_u32 s21, 44
	s_cbranch_scc0 .LBB167_1710
; %bb.1709:
	global_load_ubyte v1, v[20:21], off
	s_movk_i32 s4, 0xff
	s_waitcnt vmcnt(1)
	v_mov_b32_e32 v3, 0x7f800001
	v_mov_b32_e32 v5, 0x400000
	;; [unrolled: 1-line block ×3, first 2 shown]
	s_mov_b64 s[0:1], 0
	s_mov_b64 s[16:17], -1
	s_waitcnt vmcnt(0)
	v_lshlrev_b32_e32 v10, 23, v1
	v_cmp_ne_u32_e32 vcc, s4, v1
	v_cndmask_b32_e32 v3, v3, v10, vcc
	v_cmp_ne_u32_e32 vcc, 0, v1
	v_cndmask_b32_e32 v1, v5, v3, vcc
	v_add_u32_e32 v3, 0x7fff, v1
	v_cmp_o_f32_e32 vcc, v1, v1
	v_cndmask_b32_sdwa v1, v8, v3, vcc dst_sel:DWORD dst_unused:UNUSED_PAD src0_sel:DWORD src1_sel:WORD_1
	s_branch .LBB167_1711
.LBB167_1710:
	s_mov_b64 s[0:1], -1
                                        ; implicit-def: $vgpr1
.LBB167_1711:
	s_waitcnt vmcnt(0)
	v_mov_b32_e32 v3, 0
.LBB167_1712:
	s_mov_b64 s[4:5], 0
.LBB167_1713:
	s_and_b64 vcc, exec, s[4:5]
	s_cbranch_vccz .LBB167_1718
; %bb.1714:
	s_cmp_eq_u32 s21, 29
	s_cbranch_scc0 .LBB167_1716
; %bb.1715:
	global_load_dwordx2 v[22:23], v[20:21], off
	s_movk_i32 s4, 0x7fff
	s_mov_b64 s[0:1], 0
	s_mov_b64 s[16:17], -1
	s_waitcnt vmcnt(0)
	v_ffbh_u32_e32 v1, v23
	v_min_u32_e32 v1, 32, v1
	v_lshlrev_b64 v[22:23], v1, v[22:23]
	v_sub_u32_e32 v1, 32, v1
	v_min_u32_e32 v3, 1, v22
	v_or_b32_e32 v3, v23, v3
	v_cvt_f32_u32_e32 v3, v3
	v_ldexp_f32 v1, v3, v1
	v_bfe_u32 v3, v1, 16, 1
	v_add3_u32 v1, v1, v3, s4
	v_lshrrev_b32_e32 v1, 16, v1
	s_branch .LBB167_1717
.LBB167_1716:
	s_mov_b64 s[0:1], -1
                                        ; implicit-def: $vgpr1
.LBB167_1717:
	s_waitcnt vmcnt(0)
	v_mov_b32_e32 v3, 0
.LBB167_1718:
	s_branch .LBB167_1736
.LBB167_1719:
	s_cmp_lt_i32 s21, 27
	s_cbranch_scc1 .LBB167_1722
; %bb.1720:
	s_cmp_gt_i32 s21, 27
	s_cbranch_scc0 .LBB167_1723
; %bb.1721:
	global_load_dword v1, v[20:21], off
	s_movk_i32 s4, 0x7fff
	s_waitcnt vmcnt(0)
	v_cvt_f32_u32_e32 v1, v1
	v_bfe_u32 v3, v1, 16, 1
	v_add3_u32 v1, v1, v3, s4
	v_lshrrev_b32_e32 v1, 16, v1
	s_mov_b64 s[4:5], 0
	s_branch .LBB167_1724
.LBB167_1722:
	s_mov_b64 s[4:5], -1
                                        ; implicit-def: $vgpr1
	s_branch .LBB167_1727
.LBB167_1723:
	s_mov_b64 s[4:5], -1
                                        ; implicit-def: $vgpr1
.LBB167_1724:
	s_andn2_b64 vcc, exec, s[4:5]
	s_cbranch_vccnz .LBB167_1726
; %bb.1725:
	global_load_ushort v1, v[20:21], off
	s_movk_i32 s4, 0x7fff
	s_waitcnt vmcnt(0)
	v_cvt_f32_u32_e32 v1, v1
	v_bfe_u32 v3, v1, 16, 1
	v_add3_u32 v1, v1, v3, s4
	v_lshrrev_b32_e32 v1, 16, v1
.LBB167_1726:
	s_mov_b64 s[4:5], 0
.LBB167_1727:
	s_andn2_b64 vcc, exec, s[4:5]
	s_cbranch_vccnz .LBB167_1735
; %bb.1728:
	global_load_ubyte v1, v[20:21], off
	s_movk_i32 s4, 0x7f
	s_waitcnt vmcnt(0)
	v_cmp_lt_i16_e32 vcc, s4, v1
	s_mov_b64 s[4:5], 0
	s_and_saveexec_b64 s[16:17], vcc
	s_xor_b64 s[16:17], exec, s[16:17]
	s_cbranch_execz .LBB167_1748
; %bb.1729:
	s_movk_i32 s4, 0x80
	v_cmp_eq_u16_e32 vcc, s4, v1
	s_mov_b64 s[4:5], -1
	s_and_saveexec_b64 s[18:19], vcc
; %bb.1730:
	s_xor_b64 s[4:5], exec, -1
; %bb.1731:
	s_or_b64 exec, exec, s[18:19]
	s_and_b64 s[4:5], s[4:5], exec
	s_or_saveexec_b64 s[16:17], s[16:17]
	v_mov_b32_e32 v3, 0x7f800001
	s_xor_b64 exec, exec, s[16:17]
	s_cbranch_execnz .LBB167_1749
.LBB167_1732:
	s_or_b64 exec, exec, s[16:17]
	s_and_saveexec_b64 s[16:17], s[4:5]
	s_cbranch_execz .LBB167_1734
.LBB167_1733:
	v_lshlrev_b32_e32 v3, 24, v1
	v_and_b32_e32 v1, 0xffff, v1
	v_and_b32_e32 v5, 7, v1
	v_ffbh_u32_e32 v10, v5
	v_min_u32_e32 v10, 32, v10
	v_subrev_u32_e32 v12, 28, v10
	v_bfe_u32 v8, v1, 3, 4
	v_lshlrev_b32_e32 v1, v12, v1
	v_sub_u32_e32 v10, 29, v10
	v_and_b32_e32 v1, 7, v1
	v_cmp_eq_u32_e32 vcc, 0, v8
	v_cndmask_b32_e32 v8, v8, v10, vcc
	v_cndmask_b32_e32 v1, v5, v1, vcc
	v_mov_b32_e32 v5, 0x3b800000
	v_lshlrev_b32_e32 v1, 20, v1
	v_and_b32_e32 v3, 0x80000000, v3
	v_lshl_add_u32 v5, v8, 23, v5
	v_or3_b32 v3, v3, v5, v1
.LBB167_1734:
	s_or_b64 exec, exec, s[16:17]
	v_bfe_u32 v1, v3, 16, 1
	s_movk_i32 s4, 0x7fff
	v_add3_u32 v1, v3, v1, s4
	v_cmp_o_f32_e32 vcc, v3, v3
	v_mov_b32_e32 v3, 0x7fc0
	v_cndmask_b32_sdwa v1, v3, v1, vcc dst_sel:DWORD dst_unused:UNUSED_PAD src0_sel:DWORD src1_sel:WORD_1
.LBB167_1735:
	s_mov_b64 s[16:17], -1
	s_waitcnt vmcnt(0)
	v_mov_b32_e32 v3, 0
.LBB167_1736:
	s_branch .LBB167_1769
.LBB167_1737:
	s_cmp_gt_i32 s21, 22
	s_cbranch_scc0 .LBB167_1747
; %bb.1738:
	s_cmp_lt_i32 s21, 24
	s_cbranch_scc1 .LBB167_1750
; %bb.1739:
	s_cmp_gt_i32 s21, 24
	s_cbranch_scc0 .LBB167_1751
; %bb.1740:
	global_load_ubyte v1, v[20:21], off
	s_movk_i32 s4, 0x7f
	s_waitcnt vmcnt(0)
	v_cmp_lt_i16_e32 vcc, s4, v1
	s_mov_b64 s[4:5], 0
	s_and_saveexec_b64 s[6:7], vcc
	s_xor_b64 s[6:7], exec, s[6:7]
	s_cbranch_execz .LBB167_1762
; %bb.1741:
	s_movk_i32 s4, 0x80
	v_cmp_eq_u16_e32 vcc, s4, v1
	s_mov_b64 s[4:5], -1
	s_and_saveexec_b64 s[16:17], vcc
; %bb.1742:
	s_xor_b64 s[4:5], exec, -1
; %bb.1743:
	s_or_b64 exec, exec, s[16:17]
	s_and_b64 s[4:5], s[4:5], exec
	s_or_saveexec_b64 s[6:7], s[6:7]
	v_mov_b32_e32 v3, 0x7f800001
	s_xor_b64 exec, exec, s[6:7]
	s_cbranch_execnz .LBB167_1763
.LBB167_1744:
	s_or_b64 exec, exec, s[6:7]
	s_and_saveexec_b64 s[6:7], s[4:5]
	s_cbranch_execz .LBB167_1746
.LBB167_1745:
	v_lshlrev_b32_e32 v3, 24, v1
	v_and_b32_e32 v1, 0xffff, v1
	v_and_b32_e32 v5, 3, v1
	v_ffbh_u32_e32 v10, v5
	v_min_u32_e32 v10, 32, v10
	v_subrev_u32_e32 v12, 29, v10
	v_bfe_u32 v8, v1, 2, 5
	v_lshlrev_b32_e32 v1, v12, v1
	v_sub_u32_e32 v10, 30, v10
	v_and_b32_e32 v1, 3, v1
	v_cmp_eq_u32_e32 vcc, 0, v8
	v_cndmask_b32_e32 v8, v8, v10, vcc
	v_cndmask_b32_e32 v1, v5, v1, vcc
	v_mov_b32_e32 v5, 0x37800000
	v_lshlrev_b32_e32 v1, 21, v1
	v_and_b32_e32 v3, 0x80000000, v3
	v_lshl_add_u32 v5, v8, 23, v5
	v_or3_b32 v3, v3, v5, v1
.LBB167_1746:
	s_or_b64 exec, exec, s[6:7]
	v_bfe_u32 v1, v3, 16, 1
	s_movk_i32 s4, 0x7fff
	v_add3_u32 v1, v3, v1, s4
	v_cmp_o_f32_e32 vcc, v3, v3
	v_mov_b32_e32 v3, 0x7fc0
	v_cndmask_b32_sdwa v1, v3, v1, vcc dst_sel:DWORD dst_unused:UNUSED_PAD src0_sel:DWORD src1_sel:WORD_1
	s_mov_b64 s[4:5], 0
	s_branch .LBB167_1752
.LBB167_1747:
                                        ; implicit-def: $vgpr1
	s_mov_b64 s[6:7], 0
	s_branch .LBB167_1758
.LBB167_1748:
	s_or_saveexec_b64 s[16:17], s[16:17]
	v_mov_b32_e32 v3, 0x7f800001
	s_xor_b64 exec, exec, s[16:17]
	s_cbranch_execz .LBB167_1732
.LBB167_1749:
	v_cmp_ne_u16_e32 vcc, 0, v1
	s_andn2_b64 s[4:5], s[4:5], exec
	s_and_b64 s[18:19], vcc, exec
	v_mov_b32_e32 v3, 0
	s_or_b64 s[4:5], s[4:5], s[18:19]
	s_or_b64 exec, exec, s[16:17]
	s_and_saveexec_b64 s[16:17], s[4:5]
	s_cbranch_execnz .LBB167_1733
	s_branch .LBB167_1734
.LBB167_1750:
	s_mov_b64 s[4:5], -1
                                        ; implicit-def: $vgpr1
	s_branch .LBB167_1755
.LBB167_1751:
	s_mov_b64 s[4:5], -1
                                        ; implicit-def: $vgpr1
.LBB167_1752:
	s_and_b64 vcc, exec, s[4:5]
	s_cbranch_vccz .LBB167_1754
; %bb.1753:
	global_load_ubyte v1, v[20:21], off
	s_mov_b32 s4, 0x7f800000
	s_brev_b32 s5, 1
	s_movk_i32 s6, 0x7fff
	s_waitcnt vmcnt(0)
	v_lshlrev_b32_e32 v1, 24, v1
	v_and_b32_e32 v3, 0x7f000000, v1
	v_ffbh_u32_e32 v5, v3
	v_min_u32_e32 v5, 32, v5
	v_sub_u32_e64 v5, v5, 4 clamp
	v_lshlrev_b32_e32 v10, v5, v3
	v_lshlrev_b32_e32 v5, 23, v5
	v_lshrrev_b32_e32 v10, 4, v10
	v_add_u32_e32 v8, 0x1000000, v3
	v_sub_u32_e32 v5, v10, v5
	v_ashrrev_i32_e32 v8, 8, v8
	v_add_u32_e32 v5, 0x3c000000, v5
	v_and_or_b32 v5, v8, s4, v5
	v_cmp_ne_u32_e32 vcc, 0, v3
	v_cndmask_b32_e32 v3, 0, v5, vcc
	v_and_or_b32 v1, v1, s5, v3
	v_bfe_u32 v3, v3, 16, 1
	v_add3_u32 v3, v1, v3, s6
	v_cmp_o_f32_e32 vcc, v1, v1
	v_mov_b32_e32 v1, 0x7fc0
	v_cndmask_b32_sdwa v1, v1, v3, vcc dst_sel:DWORD dst_unused:UNUSED_PAD src0_sel:DWORD src1_sel:WORD_1
.LBB167_1754:
	s_mov_b64 s[4:5], 0
.LBB167_1755:
	s_andn2_b64 vcc, exec, s[4:5]
	s_cbranch_vccnz .LBB167_1757
; %bb.1756:
	global_load_ubyte v1, v[20:21], off
	s_movk_i32 s4, 0x7f00
	s_brev_b32 s5, 16
	s_brev_b32 s6, 1
	s_movk_i32 s7, 0x7fff
	s_waitcnt vmcnt(0)
	v_lshlrev_b16_e32 v3, 8, v1
	v_lshlrev_b32_e32 v1, 25, v1
	v_lshrrev_b32_e32 v5, 4, v1
	v_and_or_b32 v8, v3, s4, 0.5
	v_or_b32_e32 v5, 0x70000000, v5
	v_add_f32_e32 v8, -0.5, v8
	v_mul_f32_e32 v5, 0x7800000, v5
	v_cmp_gt_u32_e32 vcc, s5, v1
	v_bfe_i32 v3, v3, 0, 16
	v_cndmask_b32_e32 v1, v5, v8, vcc
	v_and_or_b32 v3, v3, s6, v1
	v_bfe_u32 v1, v1, 16, 1
	v_add3_u32 v1, v3, v1, s7
	v_cmp_o_f32_e32 vcc, v3, v3
	v_mov_b32_e32 v3, 0x7fc0
	v_cndmask_b32_sdwa v1, v3, v1, vcc dst_sel:DWORD dst_unused:UNUSED_PAD src0_sel:DWORD src1_sel:WORD_1
.LBB167_1757:
	s_mov_b64 s[16:17], -1
	s_mov_b64 s[6:7], 0
	s_cbranch_execnz .LBB167_1768
.LBB167_1758:
	s_cmp_gt_i32 s21, 14
	s_cbranch_scc0 .LBB167_1761
; %bb.1759:
	s_cmp_eq_u32 s21, 15
	s_cbranch_scc0 .LBB167_1764
; %bb.1760:
	global_load_ushort v1, v[20:21], off
	s_mov_b64 s[0:1], 0
	s_mov_b64 s[16:17], -1
	s_branch .LBB167_1765
.LBB167_1761:
	s_mov_b64 s[4:5], -1
                                        ; implicit-def: $vgpr1
	s_branch .LBB167_1766
.LBB167_1762:
	s_or_saveexec_b64 s[6:7], s[6:7]
	v_mov_b32_e32 v3, 0x7f800001
	s_xor_b64 exec, exec, s[6:7]
	s_cbranch_execz .LBB167_1744
.LBB167_1763:
	v_cmp_ne_u16_e32 vcc, 0, v1
	s_andn2_b64 s[4:5], s[4:5], exec
	s_and_b64 s[16:17], vcc, exec
	v_mov_b32_e32 v3, 0
	s_or_b64 s[4:5], s[4:5], s[16:17]
	s_or_b64 exec, exec, s[6:7]
	s_and_saveexec_b64 s[6:7], s[4:5]
	s_cbranch_execnz .LBB167_1745
	s_branch .LBB167_1746
.LBB167_1764:
	s_mov_b64 s[0:1], -1
                                        ; implicit-def: $vgpr1
.LBB167_1765:
	s_mov_b64 s[4:5], 0
.LBB167_1766:
	s_and_b64 vcc, exec, s[4:5]
	s_cbranch_vccz .LBB167_1768
; %bb.1767:
	s_cmp_lg_u32 s21, 11
	s_mov_b64 s[6:7], -1
	s_cselect_b64 s[0:1], -1, 0
.LBB167_1768:
	s_waitcnt vmcnt(0)
	v_mov_b32_e32 v3, 0
.LBB167_1769:
	s_and_b64 vcc, exec, s[0:1]
	s_mov_b64 s[4:5], s[12:13]
	s_cbranch_vccnz .LBB167_1832
; %bb.1770:
	s_andn2_b64 vcc, exec, s[6:7]
	s_cbranch_vccnz .LBB167_1772
.LBB167_1771:
	global_load_ubyte v1, v[20:21], off
	s_mov_b64 s[16:17], -1
	s_waitcnt vmcnt(1)
	v_mov_b32_e32 v3, 0
	s_waitcnt vmcnt(0)
	v_cmp_ne_u16_e32 vcc, 0, v1
	v_cndmask_b32_e64 v1, 0, 1.0, vcc
	v_lshrrev_b32_e32 v1, 16, v1
.LBB167_1772:
	s_branch .LBB167_1699
.LBB167_1773:
	s_and_b32 s6, 0xffff, s20
	s_cmp_lt_i32 s6, 5
	s_cbranch_scc1 .LBB167_1778
; %bb.1774:
	s_cmp_lt_i32 s6, 8
	s_cbranch_scc1 .LBB167_1780
; %bb.1775:
	;; [unrolled: 3-line block ×3, first 2 shown]
	s_cmp_gt_i32 s6, 9
	s_cbranch_scc0 .LBB167_1782
; %bb.1777:
	global_load_dwordx4 v[22:25], v[20:21], off
	s_movk_i32 s0, 0x7fff
	s_waitcnt vmcnt(1)
	v_mov_b32_e32 v5, 0x7fc0
	v_mov_b32_e32 v8, 0x7fc00000
	s_waitcnt vmcnt(0)
	v_cvt_f32_f64_e32 v1, v[22:23]
	v_cvt_f32_f64_e32 v3, v[24:25]
	v_bfe_u32 v10, v1, 16, 1
	v_bfe_u32 v12, v3, 16, 1
	v_cmp_o_f32_e32 vcc, v1, v1
	v_add3_u32 v1, v1, v10, s0
	v_add3_u32 v10, v3, v12, s0
	v_cndmask_b32_sdwa v1, v5, v1, vcc dst_sel:DWORD dst_unused:UNUSED_PAD src0_sel:DWORD src1_sel:WORD_1
	v_and_b32_e32 v5, 0xffff0000, v10
	v_cmp_o_f32_e32 vcc, v3, v3
	v_cndmask_b32_e32 v3, v8, v5, vcc
	s_mov_b64 s[0:1], 0
	s_branch .LBB167_1783
.LBB167_1778:
                                        ; implicit-def: $vgpr3
                                        ; implicit-def: $vgpr1
	s_branch .LBB167_1801
.LBB167_1779:
	s_branch .LBB167_1820
.LBB167_1780:
                                        ; implicit-def: $vgpr3
                                        ; implicit-def: $vgpr1
	s_branch .LBB167_1789
.LBB167_1781:
	s_mov_b64 s[0:1], -1
                                        ; implicit-def: $vgpr3
                                        ; implicit-def: $vgpr1
	s_branch .LBB167_1786
.LBB167_1782:
	s_mov_b64 s[0:1], -1
                                        ; implicit-def: $vgpr3
                                        ; implicit-def: $vgpr1
.LBB167_1783:
	s_andn2_b64 vcc, exec, s[0:1]
	s_cbranch_vccnz .LBB167_1785
; %bb.1784:
	global_load_dwordx2 v[22:23], v[20:21], off
	s_movk_i32 s0, 0x7fff
	v_mov_b32_e32 v1, 0x7fc0
	s_waitcnt vmcnt(1)
	v_mov_b32_e32 v3, 0x7fc00000
	s_waitcnt vmcnt(0)
	v_bfe_u32 v5, v22, 16, 1
	v_bfe_u32 v8, v23, 16, 1
	v_cmp_o_f32_e32 vcc, v22, v22
	v_add3_u32 v5, v22, v5, s0
	v_add3_u32 v8, v23, v8, s0
	v_cndmask_b32_sdwa v1, v1, v5, vcc dst_sel:DWORD dst_unused:UNUSED_PAD src0_sel:DWORD src1_sel:WORD_1
	v_and_b32_e32 v5, 0xffff0000, v8
	v_cmp_o_f32_e32 vcc, v23, v23
	v_cndmask_b32_e32 v3, v3, v5, vcc
.LBB167_1785:
	s_mov_b64 s[0:1], 0
.LBB167_1786:
	s_andn2_b64 vcc, exec, s[0:1]
	s_cbranch_vccnz .LBB167_1788
; %bb.1787:
	global_load_dword v3, v[20:21], off
	s_movk_i32 s0, 0x7fff
	v_mov_b32_e32 v1, 0x7fc0
	v_mov_b32_e32 v10, 0x7fc00000
	s_waitcnt vmcnt(0)
	v_cvt_f32_f16_e32 v5, v3
	v_cvt_f32_f16_sdwa v8, v3 dst_sel:DWORD dst_unused:UNUSED_PAD src0_sel:WORD_1
	v_cmp_o_f16_e32 vcc, v3, v3
	v_bfe_u32 v12, v5, 16, 1
	v_bfe_u32 v14, v8, 16, 1
	v_add3_u32 v5, v5, v12, s0
	v_add3_u32 v8, v8, v14, s0
	v_cndmask_b32_sdwa v1, v1, v5, vcc dst_sel:DWORD dst_unused:UNUSED_PAD src0_sel:DWORD src1_sel:WORD_1
	v_and_b32_e32 v5, 0xffff0000, v8
	v_cmp_o_f16_sdwa vcc, v3, v3 src0_sel:WORD_1 src1_sel:WORD_1
	v_cndmask_b32_e32 v3, v10, v5, vcc
.LBB167_1788:
	s_cbranch_execnz .LBB167_1800
.LBB167_1789:
	s_cmp_lt_i32 s6, 6
	s_cbranch_scc1 .LBB167_1792
; %bb.1790:
	s_cmp_gt_i32 s6, 6
	s_cbranch_scc0 .LBB167_1793
; %bb.1791:
	global_load_dwordx2 v[22:23], v[20:21], off
	s_movk_i32 s0, 0x7fff
	s_waitcnt vmcnt(1)
	v_mov_b32_e32 v3, 0x7fc0
	s_waitcnt vmcnt(0)
	v_cvt_f32_f64_e32 v1, v[22:23]
	v_bfe_u32 v5, v1, 16, 1
	v_cmp_o_f32_e32 vcc, v1, v1
	v_add3_u32 v1, v1, v5, s0
	v_cndmask_b32_sdwa v1, v3, v1, vcc dst_sel:DWORD dst_unused:UNUSED_PAD src0_sel:DWORD src1_sel:WORD_1
	s_mov_b64 s[0:1], 0
	s_branch .LBB167_1794
.LBB167_1792:
	s_mov_b64 s[0:1], -1
                                        ; implicit-def: $vgpr1
	s_branch .LBB167_1797
.LBB167_1793:
	s_mov_b64 s[0:1], -1
                                        ; implicit-def: $vgpr1
.LBB167_1794:
	s_andn2_b64 vcc, exec, s[0:1]
	s_cbranch_vccnz .LBB167_1796
; %bb.1795:
	global_load_dword v1, v[20:21], off
	s_movk_i32 s0, 0x7fff
	s_waitcnt vmcnt(1)
	v_mov_b32_e32 v3, 0x7fc0
	s_waitcnt vmcnt(0)
	v_bfe_u32 v5, v1, 16, 1
	v_cmp_o_f32_e32 vcc, v1, v1
	v_add3_u32 v1, v1, v5, s0
	v_cndmask_b32_sdwa v1, v3, v1, vcc dst_sel:DWORD dst_unused:UNUSED_PAD src0_sel:DWORD src1_sel:WORD_1
.LBB167_1796:
	s_mov_b64 s[0:1], 0
.LBB167_1797:
	s_andn2_b64 vcc, exec, s[0:1]
	s_cbranch_vccnz .LBB167_1799
; %bb.1798:
	global_load_ushort v1, v[20:21], off
	s_movk_i32 s0, 0x7fff
	s_waitcnt vmcnt(1)
	v_mov_b32_e32 v5, 0x7fc0
	s_waitcnt vmcnt(0)
	v_cvt_f32_f16_e32 v3, v1
	v_cmp_o_f16_e32 vcc, v1, v1
	v_bfe_u32 v1, v3, 16, 1
	v_add3_u32 v1, v3, v1, s0
	v_cndmask_b32_sdwa v1, v5, v1, vcc dst_sel:DWORD dst_unused:UNUSED_PAD src0_sel:DWORD src1_sel:WORD_1
.LBB167_1799:
	s_waitcnt vmcnt(0)
	v_mov_b32_e32 v3, 0
.LBB167_1800:
	s_cbranch_execnz .LBB167_1779
.LBB167_1801:
	s_cmp_lt_i32 s6, 2
	s_cbranch_scc1 .LBB167_1805
; %bb.1802:
	s_cmp_lt_i32 s6, 3
	s_cbranch_scc1 .LBB167_1806
; %bb.1803:
	s_cmp_gt_i32 s6, 3
	s_cbranch_scc0 .LBB167_1807
; %bb.1804:
	global_load_dwordx2 v[22:23], v[20:21], off
	s_movk_i32 s0, 0x7fff
	s_waitcnt vmcnt(0)
	v_xor_b32_e32 v3, v22, v23
	v_ffbh_i32_e32 v1, v23
	v_ashrrev_i32_e32 v3, 31, v3
	v_add_u32_e32 v1, -1, v1
	v_add_u32_e32 v3, 32, v3
	v_min_u32_e32 v1, v1, v3
	v_lshlrev_b64 v[22:23], v1, v[22:23]
	v_sub_u32_e32 v1, 32, v1
	v_min_u32_e32 v3, 1, v22
	v_or_b32_e32 v3, v23, v3
	v_cvt_f32_i32_e32 v3, v3
	v_ldexp_f32 v1, v3, v1
	v_bfe_u32 v3, v1, 16, 1
	v_add3_u32 v1, v1, v3, s0
	v_lshrrev_b32_e32 v1, 16, v1
	s_mov_b64 s[0:1], 0
	s_branch .LBB167_1808
.LBB167_1805:
                                        ; implicit-def: $vgpr1
	s_branch .LBB167_1814
.LBB167_1806:
	s_mov_b64 s[0:1], -1
                                        ; implicit-def: $vgpr1
	s_branch .LBB167_1811
.LBB167_1807:
	s_mov_b64 s[0:1], -1
                                        ; implicit-def: $vgpr1
.LBB167_1808:
	s_andn2_b64 vcc, exec, s[0:1]
	s_cbranch_vccnz .LBB167_1810
; %bb.1809:
	global_load_dword v1, v[20:21], off
	s_movk_i32 s0, 0x7fff
	s_waitcnt vmcnt(0)
	v_cvt_f32_i32_e32 v1, v1
	v_bfe_u32 v3, v1, 16, 1
	v_add3_u32 v1, v1, v3, s0
	v_lshrrev_b32_e32 v1, 16, v1
.LBB167_1810:
	s_mov_b64 s[0:1], 0
.LBB167_1811:
	s_andn2_b64 vcc, exec, s[0:1]
	s_cbranch_vccnz .LBB167_1813
; %bb.1812:
	global_load_sshort v1, v[20:21], off
	s_movk_i32 s0, 0x7fff
	s_waitcnt vmcnt(0)
	v_cvt_f32_i32_e32 v1, v1
	v_bfe_u32 v3, v1, 16, 1
	v_add3_u32 v1, v1, v3, s0
	v_lshrrev_b32_e32 v1, 16, v1
.LBB167_1813:
	s_cbranch_execnz .LBB167_1819
.LBB167_1814:
	s_cmp_gt_i32 s6, 0
	s_cbranch_scc0 .LBB167_1816
; %bb.1815:
	global_load_sbyte v1, v[20:21], off
	s_movk_i32 s0, 0x7fff
	s_waitcnt vmcnt(0)
	v_cvt_f32_i32_e32 v1, v1
	v_bfe_u32 v3, v1, 16, 1
	v_add3_u32 v1, v1, v3, s0
	v_lshrrev_b32_e32 v1, 16, v1
	s_mov_b64 s[0:1], 0
	s_branch .LBB167_1817
.LBB167_1816:
	s_mov_b64 s[0:1], -1
                                        ; implicit-def: $vgpr1
.LBB167_1817:
	s_andn2_b64 vcc, exec, s[0:1]
	s_cbranch_vccnz .LBB167_1819
; %bb.1818:
	global_load_ubyte v1, v[20:21], off
	s_movk_i32 s0, 0x7fff
	s_waitcnt vmcnt(0)
	v_cvt_f32_ubyte0_e32 v1, v1
	v_bfe_u32 v3, v1, 16, 1
	v_add3_u32 v1, v1, v3, s0
	v_lshrrev_b32_e32 v1, 16, v1
.LBB167_1819:
	s_waitcnt vmcnt(0)
	v_mov_b32_e32 v3, 0
.LBB167_1820:
	s_load_dwordx2 s[16:17], s[2:3], 0x198
	s_bfe_u32 s25, s24, 0x80010
	s_cmp_lt_i32 s25, 11
	s_waitcnt vmcnt(0) lgkmcnt(0)
	v_mov_b32_e32 v5, s17
	v_add_co_u32_e32 v18, vcc, s16, v19
	v_addc_co_u32_e32 v19, vcc, 0, v5, vcc
	s_cbranch_scc1 .LBB167_1827
; %bb.1821:
	s_and_b32 s26, 0xffff, s25
	s_cmp_gt_i32 s26, 25
	s_mov_b64 s[6:7], 0
	s_cbranch_scc0 .LBB167_1829
; %bb.1822:
	s_cmp_gt_i32 s26, 28
	s_cbranch_scc0 .LBB167_1830
; %bb.1823:
	s_cmp_gt_i32 s26, 43
	;; [unrolled: 3-line block ×3, first 2 shown]
	s_cbranch_scc0 .LBB167_1833
; %bb.1825:
	s_cmp_eq_u32 s26, 46
	s_mov_b64 s[20:21], 0
	s_cbranch_scc0 .LBB167_1836
; %bb.1826:
	global_load_dword v5, v[18:19], off
	s_mov_b64 s[0:1], 0
	s_mov_b64 s[18:19], -1
	s_waitcnt vmcnt(0)
	v_and_b32_e32 v8, 0xffff0000, v5
	s_branch .LBB167_1837
.LBB167_1827:
	s_mov_b64 s[18:19], 0
                                        ; implicit-def: $vgpr8
                                        ; implicit-def: $vgpr5
	s_cbranch_execnz .LBB167_1905
.LBB167_1828:
	s_andn2_b64 vcc, exec, s[18:19]
	s_cbranch_vccnz .LBB167_2781
	s_branch .LBB167_1954
.LBB167_1829:
	s_mov_b64 s[18:19], 0
	s_mov_b64 s[0:1], 0
                                        ; implicit-def: $vgpr8
                                        ; implicit-def: $vgpr5
	s_cbranch_execnz .LBB167_1868
	s_branch .LBB167_1901
.LBB167_1830:
	s_mov_b64 s[20:21], -1
	s_mov_b64 s[18:19], 0
	s_mov_b64 s[0:1], 0
                                        ; implicit-def: $vgpr8
                                        ; implicit-def: $vgpr5
	s_branch .LBB167_1849
.LBB167_1831:
	s_mov_b64 s[20:21], -1
	s_mov_b64 s[18:19], 0
	s_mov_b64 s[0:1], 0
                                        ; implicit-def: $vgpr8
                                        ; implicit-def: $vgpr5
	s_branch .LBB167_1843
.LBB167_1832:
	s_trap 2
	s_or_b64 s[4:5], s[12:13], exec
	s_cbranch_execz .LBB167_1771
	s_branch .LBB167_1772
.LBB167_1833:
	s_mov_b64 s[20:21], -1
	s_mov_b64 s[18:19], 0
	s_mov_b64 s[0:1], 0
                                        ; implicit-def: $vgpr8
                                        ; implicit-def: $vgpr5
	s_branch .LBB167_1837
.LBB167_1834:
	s_andn2_saveexec_b64 s[20:21], s[20:21]
	s_cbranch_execz .LBB167_1566
.LBB167_1835:
	v_add_f32_e32 v0, 0x42800000, v3
	v_and_b32_e32 v0, 0xff, v0
	v_cmp_ne_u32_e32 vcc, 0, v0
	s_andn2_b64 s[18:19], s[18:19], exec
	s_and_b64 s[28:29], vcc, exec
	s_or_b64 s[18:19], s[18:19], s[28:29]
	s_or_b64 exec, exec, s[20:21]
	v_mov_b32_e32 v4, 0
	s_and_saveexec_b64 s[20:21], s[18:19]
	s_cbranch_execnz .LBB167_1567
	s_branch .LBB167_1568
.LBB167_1836:
	s_mov_b64 s[0:1], -1
                                        ; implicit-def: $vgpr8
                                        ; implicit-def: $vgpr5
	s_mov_b64 s[18:19], 0
.LBB167_1837:
	s_and_b64 vcc, exec, s[20:21]
	s_cbranch_vccz .LBB167_1842
; %bb.1838:
	s_cmp_eq_u32 s26, 44
	s_cbranch_scc0 .LBB167_1840
; %bb.1839:
	global_load_ubyte v5, v[18:19], off
	s_movk_i32 s18, 0xff
	v_mov_b32_e32 v8, 0x7f800001
	v_mov_b32_e32 v10, 0x400000
	;; [unrolled: 1-line block ×3, first 2 shown]
	s_mov_b64 s[0:1], 0
	s_waitcnt vmcnt(0)
	v_lshlrev_b32_e32 v14, 23, v5
	v_cmp_ne_u32_e32 vcc, s18, v5
	v_cndmask_b32_e32 v8, v8, v14, vcc
	v_cmp_ne_u32_e32 vcc, 0, v5
	v_cndmask_b32_e32 v5, v10, v8, vcc
	v_add_u32_e32 v8, 0x7fff, v5
	v_cmp_o_f32_e32 vcc, v5, v5
	v_cndmask_b32_sdwa v5, v12, v8, vcc dst_sel:DWORD dst_unused:UNUSED_PAD src0_sel:DWORD src1_sel:WORD_1
	s_mov_b64 s[18:19], -1
	s_branch .LBB167_1841
.LBB167_1840:
	s_mov_b64 s[0:1], -1
                                        ; implicit-def: $vgpr5
.LBB167_1841:
	v_mov_b32_e32 v8, 0
.LBB167_1842:
	s_mov_b64 s[20:21], 0
.LBB167_1843:
	s_and_b64 vcc, exec, s[20:21]
	s_cbranch_vccz .LBB167_1848
; %bb.1844:
	s_cmp_eq_u32 s26, 29
	s_cbranch_scc0 .LBB167_1846
; %bb.1845:
	global_load_dwordx2 v[20:21], v[18:19], off
	s_movk_i32 s18, 0x7fff
	s_mov_b64 s[0:1], 0
	s_waitcnt vmcnt(0)
	v_ffbh_u32_e32 v5, v21
	v_min_u32_e32 v5, 32, v5
	v_lshlrev_b64 v[20:21], v5, v[20:21]
	v_sub_u32_e32 v5, 32, v5
	v_min_u32_e32 v8, 1, v20
	v_or_b32_e32 v8, v21, v8
	v_cvt_f32_u32_e32 v8, v8
	v_ldexp_f32 v5, v8, v5
	v_bfe_u32 v8, v5, 16, 1
	v_add3_u32 v5, v5, v8, s18
	v_lshrrev_b32_e32 v5, 16, v5
	s_mov_b64 s[18:19], -1
	s_branch .LBB167_1847
.LBB167_1846:
	s_mov_b64 s[0:1], -1
                                        ; implicit-def: $vgpr5
.LBB167_1847:
	v_mov_b32_e32 v8, 0
.LBB167_1848:
	s_mov_b64 s[20:21], 0
.LBB167_1849:
	s_and_b64 vcc, exec, s[20:21]
	s_cbranch_vccz .LBB167_1867
; %bb.1850:
	s_cmp_lt_i32 s26, 27
	s_cbranch_scc1 .LBB167_1853
; %bb.1851:
	s_cmp_gt_i32 s26, 27
	s_cbranch_scc0 .LBB167_1854
; %bb.1852:
	global_load_dword v5, v[18:19], off
	s_movk_i32 s18, 0x7fff
	s_waitcnt vmcnt(0)
	v_cvt_f32_u32_e32 v5, v5
	v_bfe_u32 v8, v5, 16, 1
	v_add3_u32 v5, v5, v8, s18
	v_lshrrev_b32_e32 v5, 16, v5
	s_mov_b64 s[18:19], 0
	s_branch .LBB167_1855
.LBB167_1853:
	s_mov_b64 s[18:19], -1
                                        ; implicit-def: $vgpr5
	s_branch .LBB167_1858
.LBB167_1854:
	s_mov_b64 s[18:19], -1
                                        ; implicit-def: $vgpr5
.LBB167_1855:
	s_andn2_b64 vcc, exec, s[18:19]
	s_cbranch_vccnz .LBB167_1857
; %bb.1856:
	global_load_ushort v5, v[18:19], off
	s_movk_i32 s18, 0x7fff
	s_waitcnt vmcnt(0)
	v_cvt_f32_u32_e32 v5, v5
	v_bfe_u32 v8, v5, 16, 1
	v_add3_u32 v5, v5, v8, s18
	v_lshrrev_b32_e32 v5, 16, v5
.LBB167_1857:
	s_mov_b64 s[18:19], 0
.LBB167_1858:
	s_andn2_b64 vcc, exec, s[18:19]
	s_cbranch_vccnz .LBB167_1866
; %bb.1859:
	global_load_ubyte v5, v[18:19], off
	s_movk_i32 s18, 0x7f
	s_waitcnt vmcnt(0)
	v_cmp_lt_i16_e32 vcc, s18, v5
	s_mov_b64 s[18:19], 0
	s_and_saveexec_b64 s[20:21], vcc
	s_xor_b64 s[20:21], exec, s[20:21]
	s_cbranch_execz .LBB167_1879
; %bb.1860:
	s_movk_i32 s18, 0x80
	v_cmp_eq_u16_e32 vcc, s18, v5
	s_mov_b64 s[18:19], -1
	s_and_saveexec_b64 s[22:23], vcc
; %bb.1861:
	s_xor_b64 s[18:19], exec, -1
; %bb.1862:
	s_or_b64 exec, exec, s[22:23]
	s_and_b64 s[18:19], s[18:19], exec
	s_or_saveexec_b64 s[20:21], s[20:21]
	v_mov_b32_e32 v8, 0x7f800001
	s_xor_b64 exec, exec, s[20:21]
	s_cbranch_execnz .LBB167_1880
.LBB167_1863:
	s_or_b64 exec, exec, s[20:21]
	s_and_saveexec_b64 s[20:21], s[18:19]
	s_cbranch_execz .LBB167_1865
.LBB167_1864:
	v_lshlrev_b32_e32 v8, 24, v5
	v_and_b32_e32 v5, 0xffff, v5
	v_and_b32_e32 v10, 7, v5
	v_ffbh_u32_e32 v14, v10
	v_min_u32_e32 v14, 32, v14
	v_subrev_u32_e32 v16, 28, v14
	v_bfe_u32 v12, v5, 3, 4
	v_lshlrev_b32_e32 v5, v16, v5
	v_sub_u32_e32 v14, 29, v14
	v_and_b32_e32 v5, 7, v5
	v_cmp_eq_u32_e32 vcc, 0, v12
	v_cndmask_b32_e32 v12, v12, v14, vcc
	v_cndmask_b32_e32 v5, v10, v5, vcc
	v_mov_b32_e32 v10, 0x3b800000
	v_lshlrev_b32_e32 v5, 20, v5
	v_and_b32_e32 v8, 0x80000000, v8
	v_lshl_add_u32 v10, v12, 23, v10
	v_or3_b32 v8, v8, v10, v5
.LBB167_1865:
	s_or_b64 exec, exec, s[20:21]
	v_bfe_u32 v5, v8, 16, 1
	s_movk_i32 s18, 0x7fff
	v_add3_u32 v5, v8, v5, s18
	v_cmp_o_f32_e32 vcc, v8, v8
	v_mov_b32_e32 v8, 0x7fc0
	v_cndmask_b32_sdwa v5, v8, v5, vcc dst_sel:DWORD dst_unused:UNUSED_PAD src0_sel:DWORD src1_sel:WORD_1
.LBB167_1866:
	s_mov_b64 s[18:19], -1
	v_mov_b32_e32 v8, 0
.LBB167_1867:
	s_branch .LBB167_1901
.LBB167_1868:
	s_cmp_gt_i32 s26, 22
	s_cbranch_scc0 .LBB167_1878
; %bb.1869:
	s_cmp_lt_i32 s26, 24
	s_cbranch_scc1 .LBB167_1881
; %bb.1870:
	s_cmp_gt_i32 s26, 24
	s_cbranch_scc0 .LBB167_1882
; %bb.1871:
	global_load_ubyte v5, v[18:19], off
	s_movk_i32 s6, 0x7f
	s_waitcnt vmcnt(0)
	v_cmp_lt_i16_e32 vcc, s6, v5
	s_mov_b64 s[6:7], 0
	s_and_saveexec_b64 s[18:19], vcc
	s_xor_b64 s[18:19], exec, s[18:19]
	s_cbranch_execz .LBB167_1894
; %bb.1872:
	s_movk_i32 s6, 0x80
	v_cmp_eq_u16_e32 vcc, s6, v5
	s_mov_b64 s[6:7], -1
	s_and_saveexec_b64 s[20:21], vcc
; %bb.1873:
	s_xor_b64 s[6:7], exec, -1
; %bb.1874:
	s_or_b64 exec, exec, s[20:21]
	s_and_b64 s[6:7], s[6:7], exec
	s_or_saveexec_b64 s[18:19], s[18:19]
	v_mov_b32_e32 v8, 0x7f800001
	s_xor_b64 exec, exec, s[18:19]
	s_cbranch_execnz .LBB167_1895
.LBB167_1875:
	s_or_b64 exec, exec, s[18:19]
	s_and_saveexec_b64 s[18:19], s[6:7]
	s_cbranch_execz .LBB167_1877
.LBB167_1876:
	v_lshlrev_b32_e32 v8, 24, v5
	v_and_b32_e32 v5, 0xffff, v5
	v_and_b32_e32 v10, 3, v5
	v_ffbh_u32_e32 v14, v10
	v_min_u32_e32 v14, 32, v14
	v_subrev_u32_e32 v16, 29, v14
	v_bfe_u32 v12, v5, 2, 5
	v_lshlrev_b32_e32 v5, v16, v5
	v_sub_u32_e32 v14, 30, v14
	v_and_b32_e32 v5, 3, v5
	v_cmp_eq_u32_e32 vcc, 0, v12
	v_cndmask_b32_e32 v12, v12, v14, vcc
	v_cndmask_b32_e32 v5, v10, v5, vcc
	v_mov_b32_e32 v10, 0x37800000
	v_lshlrev_b32_e32 v5, 21, v5
	v_and_b32_e32 v8, 0x80000000, v8
	v_lshl_add_u32 v10, v12, 23, v10
	v_or3_b32 v8, v8, v10, v5
.LBB167_1877:
	s_or_b64 exec, exec, s[18:19]
	v_bfe_u32 v5, v8, 16, 1
	s_movk_i32 s6, 0x7fff
	v_add3_u32 v5, v8, v5, s6
	v_cmp_o_f32_e32 vcc, v8, v8
	v_mov_b32_e32 v8, 0x7fc0
	v_cndmask_b32_sdwa v5, v8, v5, vcc dst_sel:DWORD dst_unused:UNUSED_PAD src0_sel:DWORD src1_sel:WORD_1
	s_mov_b64 s[6:7], 0
	s_branch .LBB167_1883
.LBB167_1878:
	s_mov_b64 s[6:7], -1
                                        ; implicit-def: $vgpr5
	s_branch .LBB167_1889
.LBB167_1879:
	s_or_saveexec_b64 s[20:21], s[20:21]
	v_mov_b32_e32 v8, 0x7f800001
	s_xor_b64 exec, exec, s[20:21]
	s_cbranch_execz .LBB167_1863
.LBB167_1880:
	v_cmp_ne_u16_e32 vcc, 0, v5
	s_andn2_b64 s[18:19], s[18:19], exec
	s_and_b64 s[22:23], vcc, exec
	v_mov_b32_e32 v8, 0
	s_or_b64 s[18:19], s[18:19], s[22:23]
	s_or_b64 exec, exec, s[20:21]
	s_and_saveexec_b64 s[20:21], s[18:19]
	s_cbranch_execnz .LBB167_1864
	s_branch .LBB167_1865
.LBB167_1881:
	s_mov_b64 s[6:7], -1
                                        ; implicit-def: $vgpr5
	s_branch .LBB167_1886
.LBB167_1882:
	s_mov_b64 s[6:7], -1
                                        ; implicit-def: $vgpr5
.LBB167_1883:
	s_and_b64 vcc, exec, s[6:7]
	s_cbranch_vccz .LBB167_1885
; %bb.1884:
	global_load_ubyte v5, v[18:19], off
	s_mov_b32 s6, 0x7f800000
	s_brev_b32 s7, 1
	s_movk_i32 s18, 0x7fff
	s_waitcnt vmcnt(0)
	v_lshlrev_b32_e32 v5, 24, v5
	v_and_b32_e32 v8, 0x7f000000, v5
	v_ffbh_u32_e32 v10, v8
	v_min_u32_e32 v10, 32, v10
	v_sub_u32_e64 v10, v10, 4 clamp
	v_lshlrev_b32_e32 v14, v10, v8
	v_lshlrev_b32_e32 v10, 23, v10
	v_lshrrev_b32_e32 v14, 4, v14
	v_add_u32_e32 v12, 0x1000000, v8
	v_sub_u32_e32 v10, v14, v10
	v_ashrrev_i32_e32 v12, 8, v12
	v_add_u32_e32 v10, 0x3c000000, v10
	v_and_or_b32 v10, v12, s6, v10
	v_cmp_ne_u32_e32 vcc, 0, v8
	v_cndmask_b32_e32 v8, 0, v10, vcc
	v_and_or_b32 v5, v5, s7, v8
	v_bfe_u32 v8, v8, 16, 1
	v_add3_u32 v8, v5, v8, s18
	v_cmp_o_f32_e32 vcc, v5, v5
	v_mov_b32_e32 v5, 0x7fc0
	v_cndmask_b32_sdwa v5, v5, v8, vcc dst_sel:DWORD dst_unused:UNUSED_PAD src0_sel:DWORD src1_sel:WORD_1
.LBB167_1885:
	s_mov_b64 s[6:7], 0
.LBB167_1886:
	s_andn2_b64 vcc, exec, s[6:7]
	s_cbranch_vccnz .LBB167_1888
; %bb.1887:
	global_load_ubyte v5, v[18:19], off
	s_movk_i32 s6, 0x7f00
	s_brev_b32 s7, 16
	s_brev_b32 s18, 1
	s_movk_i32 s19, 0x7fff
	s_waitcnt vmcnt(0)
	v_lshlrev_b16_e32 v8, 8, v5
	v_lshlrev_b32_e32 v5, 25, v5
	v_lshrrev_b32_e32 v10, 4, v5
	v_and_or_b32 v12, v8, s6, 0.5
	v_or_b32_e32 v10, 0x70000000, v10
	v_add_f32_e32 v12, -0.5, v12
	v_mul_f32_e32 v10, 0x7800000, v10
	v_cmp_gt_u32_e32 vcc, s7, v5
	v_bfe_i32 v8, v8, 0, 16
	v_cndmask_b32_e32 v5, v10, v12, vcc
	v_and_or_b32 v8, v8, s18, v5
	v_bfe_u32 v5, v5, 16, 1
	v_add3_u32 v5, v8, v5, s19
	v_cmp_o_f32_e32 vcc, v8, v8
	v_mov_b32_e32 v8, 0x7fc0
	v_cndmask_b32_sdwa v5, v8, v5, vcc dst_sel:DWORD dst_unused:UNUSED_PAD src0_sel:DWORD src1_sel:WORD_1
.LBB167_1888:
	s_mov_b64 s[6:7], 0
	s_mov_b64 s[18:19], -1
.LBB167_1889:
	s_andn2_b64 vcc, exec, s[6:7]
	s_mov_b64 s[6:7], 0
	s_cbranch_vccnz .LBB167_1900
; %bb.1890:
	s_cmp_gt_i32 s26, 14
	s_cbranch_scc0 .LBB167_1893
; %bb.1891:
	s_cmp_eq_u32 s26, 15
	s_cbranch_scc0 .LBB167_1896
; %bb.1892:
	global_load_ushort v5, v[18:19], off
	s_mov_b64 s[0:1], 0
	s_mov_b64 s[18:19], -1
	s_branch .LBB167_1897
.LBB167_1893:
	s_mov_b64 s[20:21], -1
                                        ; implicit-def: $vgpr5
	s_branch .LBB167_1898
.LBB167_1894:
	s_or_saveexec_b64 s[18:19], s[18:19]
	v_mov_b32_e32 v8, 0x7f800001
	s_xor_b64 exec, exec, s[18:19]
	s_cbranch_execz .LBB167_1875
.LBB167_1895:
	v_cmp_ne_u16_e32 vcc, 0, v5
	s_andn2_b64 s[6:7], s[6:7], exec
	s_and_b64 s[20:21], vcc, exec
	v_mov_b32_e32 v8, 0
	s_or_b64 s[6:7], s[6:7], s[20:21]
	s_or_b64 exec, exec, s[18:19]
	s_and_saveexec_b64 s[18:19], s[6:7]
	s_cbranch_execnz .LBB167_1876
	s_branch .LBB167_1877
.LBB167_1896:
	s_mov_b64 s[0:1], -1
                                        ; implicit-def: $vgpr5
.LBB167_1897:
	s_mov_b64 s[20:21], 0
.LBB167_1898:
	s_and_b64 vcc, exec, s[20:21]
	s_cbranch_vccz .LBB167_1900
; %bb.1899:
	s_cmp_lg_u32 s26, 11
	s_mov_b64 s[6:7], -1
	s_cselect_b64 s[0:1], -1, 0
.LBB167_1900:
	v_mov_b32_e32 v8, 0
.LBB167_1901:
	s_and_b64 vcc, exec, s[0:1]
	s_cbranch_vccnz .LBB167_1982
; %bb.1902:
	s_andn2_b64 vcc, exec, s[6:7]
	s_cbranch_vccnz .LBB167_1904
.LBB167_1903:
	global_load_ubyte v5, v[18:19], off
	s_mov_b64 s[18:19], -1
	v_mov_b32_e32 v8, 0
	s_waitcnt vmcnt(0)
	v_cmp_ne_u16_e32 vcc, 0, v5
	v_cndmask_b32_e64 v5, 0, 1.0, vcc
	v_lshrrev_b32_e32 v5, 16, v5
.LBB167_1904:
	s_branch .LBB167_1828
.LBB167_1905:
	s_and_b32 s6, 0xffff, s25
	s_cmp_lt_i32 s6, 5
	s_cbranch_scc1 .LBB167_1910
; %bb.1906:
	s_cmp_lt_i32 s6, 8
	s_cbranch_scc1 .LBB167_1912
; %bb.1907:
	;; [unrolled: 3-line block ×3, first 2 shown]
	s_cmp_gt_i32 s6, 9
	s_cbranch_scc0 .LBB167_1914
; %bb.1909:
	global_load_dwordx4 v[20:23], v[18:19], off
	s_movk_i32 s0, 0x7fff
	v_mov_b32_e32 v10, 0x7fc0
	v_mov_b32_e32 v12, 0x7fc00000
	s_waitcnt vmcnt(0)
	v_cvt_f32_f64_e32 v5, v[20:21]
	v_cvt_f32_f64_e32 v8, v[22:23]
	v_bfe_u32 v14, v5, 16, 1
	v_bfe_u32 v16, v8, 16, 1
	v_cmp_o_f32_e32 vcc, v5, v5
	v_add3_u32 v5, v5, v14, s0
	v_add3_u32 v14, v8, v16, s0
	v_cndmask_b32_sdwa v5, v10, v5, vcc dst_sel:DWORD dst_unused:UNUSED_PAD src0_sel:DWORD src1_sel:WORD_1
	v_and_b32_e32 v10, 0xffff0000, v14
	v_cmp_o_f32_e32 vcc, v8, v8
	v_cndmask_b32_e32 v8, v12, v10, vcc
	s_mov_b64 s[0:1], 0
	s_branch .LBB167_1915
.LBB167_1910:
                                        ; implicit-def: $vgpr8
                                        ; implicit-def: $vgpr5
	s_branch .LBB167_1934
.LBB167_1911:
	s_branch .LBB167_1954
.LBB167_1912:
	s_mov_b64 s[0:1], -1
                                        ; implicit-def: $vgpr8
                                        ; implicit-def: $vgpr5
	s_branch .LBB167_1921
.LBB167_1913:
	s_mov_b64 s[0:1], -1
                                        ; implicit-def: $vgpr8
                                        ; implicit-def: $vgpr5
	s_branch .LBB167_1918
.LBB167_1914:
	s_mov_b64 s[0:1], -1
                                        ; implicit-def: $vgpr8
                                        ; implicit-def: $vgpr5
.LBB167_1915:
	s_andn2_b64 vcc, exec, s[0:1]
	s_cbranch_vccnz .LBB167_1917
; %bb.1916:
	global_load_dwordx2 v[20:21], v[18:19], off
	s_movk_i32 s0, 0x7fff
	s_waitcnt vmcnt(1)
	v_mov_b32_e32 v5, 0x7fc0
	v_mov_b32_e32 v8, 0x7fc00000
	s_waitcnt vmcnt(0)
	v_bfe_u32 v10, v20, 16, 1
	v_bfe_u32 v12, v21, 16, 1
	v_cmp_o_f32_e32 vcc, v20, v20
	v_add3_u32 v10, v20, v10, s0
	v_add3_u32 v12, v21, v12, s0
	v_cndmask_b32_sdwa v5, v5, v10, vcc dst_sel:DWORD dst_unused:UNUSED_PAD src0_sel:DWORD src1_sel:WORD_1
	v_and_b32_e32 v10, 0xffff0000, v12
	v_cmp_o_f32_e32 vcc, v21, v21
	v_cndmask_b32_e32 v8, v8, v10, vcc
.LBB167_1917:
	s_mov_b64 s[0:1], 0
.LBB167_1918:
	s_andn2_b64 vcc, exec, s[0:1]
	s_cbranch_vccnz .LBB167_1920
; %bb.1919:
	global_load_dword v8, v[18:19], off
	s_movk_i32 s0, 0x7fff
	s_waitcnt vmcnt(1)
	v_mov_b32_e32 v5, 0x7fc0
	v_mov_b32_e32 v14, 0x7fc00000
	s_waitcnt vmcnt(0)
	v_cvt_f32_f16_e32 v10, v8
	v_cvt_f32_f16_sdwa v12, v8 dst_sel:DWORD dst_unused:UNUSED_PAD src0_sel:WORD_1
	v_cmp_o_f16_e32 vcc, v8, v8
	v_bfe_u32 v16, v10, 16, 1
	v_bfe_u32 v20, v12, 16, 1
	v_add3_u32 v10, v10, v16, s0
	v_add3_u32 v12, v12, v20, s0
	v_cndmask_b32_sdwa v5, v5, v10, vcc dst_sel:DWORD dst_unused:UNUSED_PAD src0_sel:DWORD src1_sel:WORD_1
	v_and_b32_e32 v10, 0xffff0000, v12
	v_cmp_o_f16_sdwa vcc, v8, v8 src0_sel:WORD_1 src1_sel:WORD_1
	v_cndmask_b32_e32 v8, v14, v10, vcc
.LBB167_1920:
	s_mov_b64 s[0:1], 0
.LBB167_1921:
	s_andn2_b64 vcc, exec, s[0:1]
	s_cbranch_vccnz .LBB167_1933
; %bb.1922:
	s_cmp_lt_i32 s6, 6
	s_cbranch_scc1 .LBB167_1925
; %bb.1923:
	s_cmp_gt_i32 s6, 6
	s_cbranch_scc0 .LBB167_1926
; %bb.1924:
	global_load_dwordx2 v[20:21], v[18:19], off
	s_movk_i32 s0, 0x7fff
	v_mov_b32_e32 v8, 0x7fc0
	s_waitcnt vmcnt(0)
	v_cvt_f32_f64_e32 v5, v[20:21]
	v_bfe_u32 v10, v5, 16, 1
	v_cmp_o_f32_e32 vcc, v5, v5
	v_add3_u32 v5, v5, v10, s0
	v_cndmask_b32_sdwa v5, v8, v5, vcc dst_sel:DWORD dst_unused:UNUSED_PAD src0_sel:DWORD src1_sel:WORD_1
	s_mov_b64 s[0:1], 0
	s_branch .LBB167_1927
.LBB167_1925:
	s_mov_b64 s[0:1], -1
                                        ; implicit-def: $vgpr5
	s_branch .LBB167_1930
.LBB167_1926:
	s_mov_b64 s[0:1], -1
                                        ; implicit-def: $vgpr5
.LBB167_1927:
	s_andn2_b64 vcc, exec, s[0:1]
	s_cbranch_vccnz .LBB167_1929
; %bb.1928:
	global_load_dword v5, v[18:19], off
	s_movk_i32 s0, 0x7fff
	v_mov_b32_e32 v8, 0x7fc0
	s_waitcnt vmcnt(0)
	v_bfe_u32 v10, v5, 16, 1
	v_cmp_o_f32_e32 vcc, v5, v5
	v_add3_u32 v5, v5, v10, s0
	v_cndmask_b32_sdwa v5, v8, v5, vcc dst_sel:DWORD dst_unused:UNUSED_PAD src0_sel:DWORD src1_sel:WORD_1
.LBB167_1929:
	s_mov_b64 s[0:1], 0
.LBB167_1930:
	s_andn2_b64 vcc, exec, s[0:1]
	s_cbranch_vccnz .LBB167_1932
; %bb.1931:
	global_load_ushort v5, v[18:19], off
	s_movk_i32 s0, 0x7fff
	v_mov_b32_e32 v10, 0x7fc0
	s_waitcnt vmcnt(0)
	v_cvt_f32_f16_e32 v8, v5
	v_cmp_o_f16_e32 vcc, v5, v5
	v_bfe_u32 v5, v8, 16, 1
	v_add3_u32 v5, v8, v5, s0
	v_cndmask_b32_sdwa v5, v10, v5, vcc dst_sel:DWORD dst_unused:UNUSED_PAD src0_sel:DWORD src1_sel:WORD_1
.LBB167_1932:
	v_mov_b32_e32 v8, 0
.LBB167_1933:
	s_cbranch_execnz .LBB167_1911
.LBB167_1934:
	s_cmp_lt_i32 s6, 2
	s_cbranch_scc1 .LBB167_1938
; %bb.1935:
	s_cmp_lt_i32 s6, 3
	s_cbranch_scc1 .LBB167_1939
; %bb.1936:
	s_cmp_gt_i32 s6, 3
	s_cbranch_scc0 .LBB167_1940
; %bb.1937:
	global_load_dwordx2 v[20:21], v[18:19], off
	s_movk_i32 s0, 0x7fff
	s_waitcnt vmcnt(0)
	v_xor_b32_e32 v8, v20, v21
	v_ffbh_i32_e32 v5, v21
	v_ashrrev_i32_e32 v8, 31, v8
	v_add_u32_e32 v5, -1, v5
	v_add_u32_e32 v8, 32, v8
	v_min_u32_e32 v5, v5, v8
	v_lshlrev_b64 v[20:21], v5, v[20:21]
	v_sub_u32_e32 v5, 32, v5
	v_min_u32_e32 v8, 1, v20
	v_or_b32_e32 v8, v21, v8
	v_cvt_f32_i32_e32 v8, v8
	v_ldexp_f32 v5, v8, v5
	v_bfe_u32 v8, v5, 16, 1
	v_add3_u32 v5, v5, v8, s0
	v_lshrrev_b32_e32 v5, 16, v5
	s_mov_b64 s[0:1], 0
	s_branch .LBB167_1941
.LBB167_1938:
	s_mov_b64 s[0:1], -1
                                        ; implicit-def: $vgpr5
	s_branch .LBB167_1947
.LBB167_1939:
	s_mov_b64 s[0:1], -1
                                        ; implicit-def: $vgpr5
	s_branch .LBB167_1944
.LBB167_1940:
	s_mov_b64 s[0:1], -1
                                        ; implicit-def: $vgpr5
.LBB167_1941:
	s_andn2_b64 vcc, exec, s[0:1]
	s_cbranch_vccnz .LBB167_1943
; %bb.1942:
	global_load_dword v5, v[18:19], off
	s_movk_i32 s0, 0x7fff
	s_waitcnt vmcnt(0)
	v_cvt_f32_i32_e32 v5, v5
	v_bfe_u32 v8, v5, 16, 1
	v_add3_u32 v5, v5, v8, s0
	v_lshrrev_b32_e32 v5, 16, v5
.LBB167_1943:
	s_mov_b64 s[0:1], 0
.LBB167_1944:
	s_andn2_b64 vcc, exec, s[0:1]
	s_cbranch_vccnz .LBB167_1946
; %bb.1945:
	global_load_sshort v5, v[18:19], off
	s_movk_i32 s0, 0x7fff
	s_waitcnt vmcnt(0)
	v_cvt_f32_i32_e32 v5, v5
	v_bfe_u32 v8, v5, 16, 1
	v_add3_u32 v5, v5, v8, s0
	v_lshrrev_b32_e32 v5, 16, v5
.LBB167_1946:
	s_mov_b64 s[0:1], 0
.LBB167_1947:
	s_andn2_b64 vcc, exec, s[0:1]
	s_cbranch_vccnz .LBB167_1953
; %bb.1948:
	s_cmp_gt_i32 s6, 0
	s_cbranch_scc0 .LBB167_1950
; %bb.1949:
	global_load_sbyte v5, v[18:19], off
	s_movk_i32 s0, 0x7fff
	s_waitcnt vmcnt(0)
	v_cvt_f32_i32_e32 v5, v5
	v_bfe_u32 v8, v5, 16, 1
	v_add3_u32 v5, v5, v8, s0
	v_lshrrev_b32_e32 v5, 16, v5
	s_mov_b64 s[0:1], 0
	s_branch .LBB167_1951
.LBB167_1950:
	s_mov_b64 s[0:1], -1
                                        ; implicit-def: $vgpr5
.LBB167_1951:
	s_andn2_b64 vcc, exec, s[0:1]
	s_cbranch_vccnz .LBB167_1953
; %bb.1952:
	global_load_ubyte v5, v[18:19], off
	s_movk_i32 s0, 0x7fff
	s_waitcnt vmcnt(0)
	v_cvt_f32_ubyte0_e32 v5, v5
	v_bfe_u32 v8, v5, 16, 1
	v_add3_u32 v5, v5, v8, s0
	v_lshrrev_b32_e32 v5, 16, v5
.LBB167_1953:
	v_mov_b32_e32 v8, 0
.LBB167_1954:
	s_load_dword s0, s[2:3], 0x1a0
	v_or_b32_sdwa v1, v3, v1 dst_sel:DWORD dst_unused:UNUSED_PAD src0_sel:DWORD src1_sel:WORD_0
	s_waitcnt vmcnt(0)
	v_or_b32_sdwa v5, v8, v5 dst_sel:DWORD dst_unused:UNUSED_PAD src0_sel:DWORD src1_sel:WORD_0
	v_lshlrev_b32_e32 v1, 16, v1
	v_lshlrev_b32_e32 v5, 16, v5
	s_waitcnt lgkmcnt(0)
	s_cmp_lg_u32 s0, 0
	s_cselect_b64 s[18:19], -1, 0
	s_and_b64 vcc, exec, s[18:19]
	s_cbranch_vccz .LBB167_1966
; %bb.1955:
	v_and_b32_e32 v10, 0xffff0000, v3
	v_and_b32_e32 v12, 0xffff0000, v8
	v_cmp_neq_f32_e32 vcc, v1, v5
	v_cmp_neq_f32_e64 s[0:1], v10, v12
	s_or_b64 s[6:7], vcc, s[0:1]
	s_cbranch_execnz .LBB167_1957
.LBB167_1956:
	v_and_b32_e32 v8, 0xffff0000, v8
	v_and_b32_e32 v3, 0xffff0000, v3
	v_cmp_eq_f32_e32 vcc, v1, v5
	v_cmp_eq_f32_e64 s[0:1], v3, v8
	s_and_b64 s[0:1], vcc, s[0:1]
	s_andn2_b64 s[6:7], s[6:7], exec
	s_and_b64 s[0:1], s[0:1], exec
	s_or_b64 s[6:7], s[6:7], s[0:1]
.LBB167_1957:
	s_lshr_b32 s0, s24, 8
	s_lshr_b32 s28, s24, 16
	v_mov_b32_e32 v1, s11
	s_and_b32 s30, s0, 0xff
	v_add_co_u32_e32 v16, vcc, s10, v17
	s_cmp_lt_i32 s30, 11
	v_addc_co_u32_e32 v17, vcc, 0, v1, vcc
	s_cbranch_scc1 .LBB167_1964
; %bb.1958:
	s_and_b32 s29, 0xffff, s30
	s_cmp_gt_i32 s29, 25
	s_mov_b64 s[20:21], 0
	s_cbranch_scc0 .LBB167_1967
; %bb.1959:
	s_cmp_gt_i32 s29, 28
	s_cbranch_scc0 .LBB167_1978
; %bb.1960:
	s_cmp_gt_i32 s29, 43
	;; [unrolled: 3-line block ×3, first 2 shown]
	s_cbranch_scc0 .LBB167_1983
; %bb.1962:
	s_cmp_eq_u32 s29, 46
	s_mov_b64 s[24:25], 0
	s_cbranch_scc0 .LBB167_2037
; %bb.1963:
	global_load_dword v1, v[16:17], off
	s_mov_b64 s[0:1], 0
	s_mov_b64 s[22:23], -1
	s_waitcnt vmcnt(0)
	v_and_b32_e32 v3, 0xffff0000, v1
	s_branch .LBB167_2038
.LBB167_1964:
	s_mov_b64 s[22:23], 0
                                        ; implicit-def: $vgpr3
                                        ; implicit-def: $vgpr1
	s_cbranch_execnz .LBB167_1972
.LBB167_1965:
	s_andn2_b64 vcc, exec, s[22:23]
	s_cbranch_vccnz .LBB167_2781
	s_branch .LBB167_2026
.LBB167_1966:
                                        ; implicit-def: $sgpr6_sgpr7
	s_branch .LBB167_1956
.LBB167_1967:
	s_mov_b64 s[22:23], 0
	s_mov_b64 s[0:1], 0
                                        ; implicit-def: $vgpr3
                                        ; implicit-def: $vgpr1
	s_cbranch_execnz .LBB167_2070
.LBB167_1968:
	s_and_b64 vcc, exec, s[0:1]
	s_cbranch_vccnz .LBB167_2103
.LBB167_1969:
	s_andn2_b64 vcc, exec, s[20:21]
	s_cbranch_vccnz .LBB167_1971
.LBB167_1970:
	global_load_ubyte v1, v[16:17], off
	s_mov_b64 s[22:23], -1
	v_mov_b32_e32 v3, 0
	s_waitcnt vmcnt(0)
	v_cmp_ne_u16_e32 vcc, 0, v1
	v_cndmask_b32_e64 v1, 0, 1.0, vcc
	v_lshrrev_b32_e32 v1, 16, v1
.LBB167_1971:
	s_branch .LBB167_1965
.LBB167_1972:
	s_and_b32 s20, 0xffff, s30
	s_cmp_lt_i32 s20, 5
	s_cbranch_scc1 .LBB167_1977
; %bb.1973:
	s_cmp_lt_i32 s20, 8
	s_cbranch_scc1 .LBB167_1979
; %bb.1974:
	s_cmp_lt_i32 s20, 9
	s_cbranch_scc1 .LBB167_1981
; %bb.1975:
	s_cmp_gt_i32 s20, 9
	s_cbranch_scc0 .LBB167_1984
; %bb.1976:
	global_load_dwordx4 v[18:21], v[16:17], off
	s_movk_i32 s0, 0x7fff
	v_mov_b32_e32 v5, 0x7fc0
	v_mov_b32_e32 v8, 0x7fc00000
	s_waitcnt vmcnt(0)
	v_cvt_f32_f64_e32 v1, v[18:19]
	v_cvt_f32_f64_e32 v3, v[20:21]
	v_bfe_u32 v10, v1, 16, 1
	v_bfe_u32 v12, v3, 16, 1
	v_cmp_o_f32_e32 vcc, v1, v1
	v_add3_u32 v1, v1, v10, s0
	v_add3_u32 v10, v3, v12, s0
	v_cndmask_b32_sdwa v1, v5, v1, vcc dst_sel:DWORD dst_unused:UNUSED_PAD src0_sel:DWORD src1_sel:WORD_1
	v_and_b32_e32 v5, 0xffff0000, v10
	v_cmp_o_f32_e32 vcc, v3, v3
	v_cndmask_b32_e32 v3, v8, v5, vcc
	s_mov_b64 s[0:1], 0
	s_branch .LBB167_1985
.LBB167_1977:
	s_mov_b64 s[0:1], -1
                                        ; implicit-def: $vgpr3
                                        ; implicit-def: $vgpr1
	s_branch .LBB167_2004
.LBB167_1978:
	s_mov_b64 s[24:25], -1
	s_mov_b64 s[22:23], 0
	s_mov_b64 s[0:1], 0
                                        ; implicit-def: $vgpr3
                                        ; implicit-def: $vgpr1
	s_branch .LBB167_2051
.LBB167_1979:
	s_mov_b64 s[0:1], -1
                                        ; implicit-def: $vgpr3
                                        ; implicit-def: $vgpr1
	s_branch .LBB167_1991
.LBB167_1980:
	s_mov_b64 s[24:25], -1
	s_mov_b64 s[22:23], 0
	s_mov_b64 s[0:1], 0
                                        ; implicit-def: $vgpr3
                                        ; implicit-def: $vgpr1
	s_branch .LBB167_2045
.LBB167_1981:
	s_mov_b64 s[0:1], -1
                                        ; implicit-def: $vgpr3
                                        ; implicit-def: $vgpr1
	s_branch .LBB167_1988
.LBB167_1982:
	s_trap 2
	s_or_b64 s[4:5], s[4:5], exec
	s_cbranch_execz .LBB167_1903
	s_branch .LBB167_1904
.LBB167_1983:
	s_mov_b64 s[24:25], -1
	s_mov_b64 s[22:23], 0
	s_mov_b64 s[0:1], 0
                                        ; implicit-def: $vgpr3
                                        ; implicit-def: $vgpr1
	s_branch .LBB167_2038
.LBB167_1984:
	s_mov_b64 s[0:1], -1
                                        ; implicit-def: $vgpr3
                                        ; implicit-def: $vgpr1
.LBB167_1985:
	s_andn2_b64 vcc, exec, s[0:1]
	s_cbranch_vccnz .LBB167_1987
; %bb.1986:
	global_load_dwordx2 v[18:19], v[16:17], off
	s_movk_i32 s0, 0x7fff
	s_waitcnt vmcnt(1)
	v_mov_b32_e32 v1, 0x7fc0
	v_mov_b32_e32 v3, 0x7fc00000
	s_waitcnt vmcnt(0)
	v_bfe_u32 v5, v18, 16, 1
	v_bfe_u32 v8, v19, 16, 1
	v_cmp_o_f32_e32 vcc, v18, v18
	v_add3_u32 v5, v18, v5, s0
	v_add3_u32 v8, v19, v8, s0
	v_cndmask_b32_sdwa v1, v1, v5, vcc dst_sel:DWORD dst_unused:UNUSED_PAD src0_sel:DWORD src1_sel:WORD_1
	v_and_b32_e32 v5, 0xffff0000, v8
	v_cmp_o_f32_e32 vcc, v19, v19
	v_cndmask_b32_e32 v3, v3, v5, vcc
.LBB167_1987:
	s_mov_b64 s[0:1], 0
.LBB167_1988:
	s_andn2_b64 vcc, exec, s[0:1]
	s_cbranch_vccnz .LBB167_1990
; %bb.1989:
	global_load_dword v3, v[16:17], off
	s_movk_i32 s0, 0x7fff
	s_waitcnt vmcnt(1)
	v_mov_b32_e32 v1, 0x7fc0
	v_mov_b32_e32 v10, 0x7fc00000
	s_waitcnt vmcnt(0)
	v_cvt_f32_f16_e32 v5, v3
	v_cvt_f32_f16_sdwa v8, v3 dst_sel:DWORD dst_unused:UNUSED_PAD src0_sel:WORD_1
	v_cmp_o_f16_e32 vcc, v3, v3
	v_bfe_u32 v12, v5, 16, 1
	v_bfe_u32 v14, v8, 16, 1
	v_add3_u32 v5, v5, v12, s0
	v_add3_u32 v8, v8, v14, s0
	v_cndmask_b32_sdwa v1, v1, v5, vcc dst_sel:DWORD dst_unused:UNUSED_PAD src0_sel:DWORD src1_sel:WORD_1
	v_and_b32_e32 v5, 0xffff0000, v8
	v_cmp_o_f16_sdwa vcc, v3, v3 src0_sel:WORD_1 src1_sel:WORD_1
	v_cndmask_b32_e32 v3, v10, v5, vcc
.LBB167_1990:
	s_mov_b64 s[0:1], 0
.LBB167_1991:
	s_andn2_b64 vcc, exec, s[0:1]
	s_cbranch_vccnz .LBB167_2003
; %bb.1992:
	s_cmp_lt_i32 s20, 6
	s_cbranch_scc1 .LBB167_1995
; %bb.1993:
	s_cmp_gt_i32 s20, 6
	s_cbranch_scc0 .LBB167_1996
; %bb.1994:
	global_load_dwordx2 v[18:19], v[16:17], off
	s_movk_i32 s0, 0x7fff
	v_mov_b32_e32 v3, 0x7fc0
	s_waitcnt vmcnt(0)
	v_cvt_f32_f64_e32 v1, v[18:19]
	v_bfe_u32 v5, v1, 16, 1
	v_cmp_o_f32_e32 vcc, v1, v1
	v_add3_u32 v1, v1, v5, s0
	v_cndmask_b32_sdwa v1, v3, v1, vcc dst_sel:DWORD dst_unused:UNUSED_PAD src0_sel:DWORD src1_sel:WORD_1
	s_mov_b64 s[0:1], 0
	s_branch .LBB167_1997
.LBB167_1995:
	s_mov_b64 s[0:1], -1
                                        ; implicit-def: $vgpr1
	s_branch .LBB167_2000
.LBB167_1996:
	s_mov_b64 s[0:1], -1
                                        ; implicit-def: $vgpr1
.LBB167_1997:
	s_andn2_b64 vcc, exec, s[0:1]
	s_cbranch_vccnz .LBB167_1999
; %bb.1998:
	global_load_dword v1, v[16:17], off
	s_movk_i32 s0, 0x7fff
	v_mov_b32_e32 v3, 0x7fc0
	s_waitcnt vmcnt(0)
	v_bfe_u32 v5, v1, 16, 1
	v_cmp_o_f32_e32 vcc, v1, v1
	v_add3_u32 v1, v1, v5, s0
	v_cndmask_b32_sdwa v1, v3, v1, vcc dst_sel:DWORD dst_unused:UNUSED_PAD src0_sel:DWORD src1_sel:WORD_1
.LBB167_1999:
	s_mov_b64 s[0:1], 0
.LBB167_2000:
	s_andn2_b64 vcc, exec, s[0:1]
	s_cbranch_vccnz .LBB167_2002
; %bb.2001:
	global_load_ushort v1, v[16:17], off
	s_movk_i32 s0, 0x7fff
	v_mov_b32_e32 v5, 0x7fc0
	s_waitcnt vmcnt(0)
	v_cvt_f32_f16_e32 v3, v1
	v_cmp_o_f16_e32 vcc, v1, v1
	v_bfe_u32 v1, v3, 16, 1
	v_add3_u32 v1, v3, v1, s0
	v_cndmask_b32_sdwa v1, v5, v1, vcc dst_sel:DWORD dst_unused:UNUSED_PAD src0_sel:DWORD src1_sel:WORD_1
.LBB167_2002:
	v_mov_b32_e32 v3, 0
.LBB167_2003:
	s_mov_b64 s[0:1], 0
.LBB167_2004:
	s_andn2_b64 vcc, exec, s[0:1]
	s_cbranch_vccnz .LBB167_2025
; %bb.2005:
	s_cmp_lt_i32 s20, 2
	s_cbranch_scc1 .LBB167_2009
; %bb.2006:
	s_cmp_lt_i32 s20, 3
	s_cbranch_scc1 .LBB167_2010
; %bb.2007:
	s_cmp_gt_i32 s20, 3
	s_cbranch_scc0 .LBB167_2011
; %bb.2008:
	global_load_dwordx2 v[18:19], v[16:17], off
	s_movk_i32 s0, 0x7fff
	s_waitcnt vmcnt(0)
	v_xor_b32_e32 v3, v18, v19
	v_ffbh_i32_e32 v1, v19
	v_ashrrev_i32_e32 v3, 31, v3
	v_add_u32_e32 v1, -1, v1
	v_add_u32_e32 v3, 32, v3
	v_min_u32_e32 v1, v1, v3
	v_lshlrev_b64 v[18:19], v1, v[18:19]
	v_sub_u32_e32 v1, 32, v1
	v_min_u32_e32 v3, 1, v18
	v_or_b32_e32 v3, v19, v3
	v_cvt_f32_i32_e32 v3, v3
	v_ldexp_f32 v1, v3, v1
	v_bfe_u32 v3, v1, 16, 1
	v_add3_u32 v1, v1, v3, s0
	v_lshrrev_b32_e32 v1, 16, v1
	s_mov_b64 s[0:1], 0
	s_branch .LBB167_2012
.LBB167_2009:
	s_mov_b64 s[0:1], -1
                                        ; implicit-def: $vgpr1
	s_branch .LBB167_2018
.LBB167_2010:
	s_mov_b64 s[0:1], -1
                                        ; implicit-def: $vgpr1
	s_branch .LBB167_2015
.LBB167_2011:
	s_mov_b64 s[0:1], -1
                                        ; implicit-def: $vgpr1
.LBB167_2012:
	s_andn2_b64 vcc, exec, s[0:1]
	s_cbranch_vccnz .LBB167_2014
; %bb.2013:
	global_load_dword v1, v[16:17], off
	s_movk_i32 s0, 0x7fff
	s_waitcnt vmcnt(0)
	v_cvt_f32_i32_e32 v1, v1
	v_bfe_u32 v3, v1, 16, 1
	v_add3_u32 v1, v1, v3, s0
	v_lshrrev_b32_e32 v1, 16, v1
.LBB167_2014:
	s_mov_b64 s[0:1], 0
.LBB167_2015:
	s_andn2_b64 vcc, exec, s[0:1]
	s_cbranch_vccnz .LBB167_2017
; %bb.2016:
	global_load_sshort v1, v[16:17], off
	s_movk_i32 s0, 0x7fff
	s_waitcnt vmcnt(0)
	v_cvt_f32_i32_e32 v1, v1
	v_bfe_u32 v3, v1, 16, 1
	v_add3_u32 v1, v1, v3, s0
	v_lshrrev_b32_e32 v1, 16, v1
.LBB167_2017:
	s_mov_b64 s[0:1], 0
.LBB167_2018:
	s_andn2_b64 vcc, exec, s[0:1]
	s_cbranch_vccnz .LBB167_2024
; %bb.2019:
	s_cmp_gt_i32 s20, 0
	s_cbranch_scc0 .LBB167_2021
; %bb.2020:
	global_load_sbyte v1, v[16:17], off
	s_movk_i32 s0, 0x7fff
	s_waitcnt vmcnt(0)
	v_cvt_f32_i32_e32 v1, v1
	v_bfe_u32 v3, v1, 16, 1
	v_add3_u32 v1, v1, v3, s0
	v_lshrrev_b32_e32 v1, 16, v1
	s_mov_b64 s[0:1], 0
	s_branch .LBB167_2022
.LBB167_2021:
	s_mov_b64 s[0:1], -1
                                        ; implicit-def: $vgpr1
.LBB167_2022:
	s_andn2_b64 vcc, exec, s[0:1]
	s_cbranch_vccnz .LBB167_2024
; %bb.2023:
	global_load_ubyte v1, v[16:17], off
	s_movk_i32 s0, 0x7fff
	s_waitcnt vmcnt(0)
	v_cvt_f32_ubyte0_e32 v1, v1
	v_bfe_u32 v3, v1, 16, 1
	v_add3_u32 v1, v1, v3, s0
	v_lshrrev_b32_e32 v1, 16, v1
.LBB167_2024:
	v_mov_b32_e32 v3, 0
.LBB167_2025:
.LBB167_2026:
	v_mov_b32_e32 v5, s17
	s_and_b32 s31, s28, 0xff
	v_add_co_u32_e32 v14, vcc, s16, v15
	s_cmp_lt_i32 s31, 11
	v_addc_co_u32_e32 v15, vcc, 0, v5, vcc
	s_cbranch_scc1 .LBB167_2033
; %bb.2027:
	s_and_b32 s28, 0xffff, s31
	s_cmp_gt_i32 s28, 25
	s_mov_b64 s[20:21], 0
	s_cbranch_scc0 .LBB167_2034
; %bb.2028:
	s_cmp_gt_i32 s28, 28
	s_cbranch_scc0 .LBB167_2035
; %bb.2029:
	s_cmp_gt_i32 s28, 43
	;; [unrolled: 3-line block ×3, first 2 shown]
	s_cbranch_scc0 .LBB167_2041
; %bb.2031:
	s_cmp_eq_u32 s28, 46
	s_mov_b64 s[24:25], 0
	s_cbranch_scc0 .LBB167_2104
; %bb.2032:
	global_load_dword v5, v[14:15], off
	s_mov_b64 s[0:1], 0
	s_mov_b64 s[22:23], -1
	s_waitcnt vmcnt(0)
	v_and_b32_e32 v8, 0xffff0000, v5
	s_branch .LBB167_2105
.LBB167_2033:
	s_mov_b64 s[0:1], -1
	s_mov_b64 s[22:23], 0
                                        ; implicit-def: $vgpr8
                                        ; implicit-def: $vgpr5
	s_branch .LBB167_2151
.LBB167_2034:
	s_mov_b64 s[24:25], -1
	s_mov_b64 s[22:23], 0
	s_mov_b64 s[0:1], 0
                                        ; implicit-def: $vgpr8
                                        ; implicit-def: $vgpr5
	s_branch .LBB167_2136
.LBB167_2035:
	s_mov_b64 s[24:25], -1
	s_mov_b64 s[22:23], 0
	s_mov_b64 s[0:1], 0
                                        ; implicit-def: $vgpr8
                                        ; implicit-def: $vgpr5
	s_branch .LBB167_2117
.LBB167_2036:
	s_mov_b64 s[24:25], -1
	s_mov_b64 s[22:23], 0
	s_mov_b64 s[0:1], 0
                                        ; implicit-def: $vgpr8
                                        ; implicit-def: $vgpr5
	s_branch .LBB167_2111
.LBB167_2037:
	s_mov_b64 s[0:1], -1
                                        ; implicit-def: $vgpr3
                                        ; implicit-def: $vgpr1
	s_mov_b64 s[22:23], 0
.LBB167_2038:
	s_and_b64 vcc, exec, s[24:25]
	s_cbranch_vccz .LBB167_2044
; %bb.2039:
	s_cmp_eq_u32 s29, 44
	s_cbranch_scc0 .LBB167_2042
; %bb.2040:
	global_load_ubyte v1, v[16:17], off
	s_movk_i32 s22, 0xff
	v_mov_b32_e32 v3, 0x7f800001
	v_mov_b32_e32 v5, 0x400000
	;; [unrolled: 1-line block ×3, first 2 shown]
	s_mov_b64 s[0:1], 0
	s_waitcnt vmcnt(0)
	v_lshlrev_b32_e32 v10, 23, v1
	v_cmp_ne_u32_e32 vcc, s22, v1
	v_cndmask_b32_e32 v3, v3, v10, vcc
	v_cmp_ne_u32_e32 vcc, 0, v1
	v_cndmask_b32_e32 v1, v5, v3, vcc
	v_add_u32_e32 v3, 0x7fff, v1
	v_cmp_o_f32_e32 vcc, v1, v1
	v_cndmask_b32_sdwa v1, v8, v3, vcc dst_sel:DWORD dst_unused:UNUSED_PAD src0_sel:DWORD src1_sel:WORD_1
	s_mov_b64 s[22:23], -1
	s_branch .LBB167_2043
.LBB167_2041:
	s_mov_b64 s[24:25], -1
	s_mov_b64 s[22:23], 0
	s_mov_b64 s[0:1], 0
                                        ; implicit-def: $vgpr8
                                        ; implicit-def: $vgpr5
	s_branch .LBB167_2105
.LBB167_2042:
	s_mov_b64 s[0:1], -1
                                        ; implicit-def: $vgpr1
.LBB167_2043:
	v_mov_b32_e32 v3, 0
.LBB167_2044:
	s_mov_b64 s[24:25], 0
.LBB167_2045:
	s_and_b64 vcc, exec, s[24:25]
	s_cbranch_vccz .LBB167_2050
; %bb.2046:
	s_cmp_eq_u32 s29, 29
	s_cbranch_scc0 .LBB167_2048
; %bb.2047:
	global_load_dwordx2 v[18:19], v[16:17], off
	s_movk_i32 s22, 0x7fff
	s_mov_b64 s[0:1], 0
	s_waitcnt vmcnt(0)
	v_ffbh_u32_e32 v1, v19
	v_min_u32_e32 v1, 32, v1
	v_lshlrev_b64 v[18:19], v1, v[18:19]
	v_sub_u32_e32 v1, 32, v1
	v_min_u32_e32 v3, 1, v18
	v_or_b32_e32 v3, v19, v3
	v_cvt_f32_u32_e32 v3, v3
	v_ldexp_f32 v1, v3, v1
	v_bfe_u32 v3, v1, 16, 1
	v_add3_u32 v1, v1, v3, s22
	v_lshrrev_b32_e32 v1, 16, v1
	s_mov_b64 s[22:23], -1
	s_branch .LBB167_2049
.LBB167_2048:
	s_mov_b64 s[0:1], -1
                                        ; implicit-def: $vgpr1
.LBB167_2049:
	v_mov_b32_e32 v3, 0
.LBB167_2050:
	s_mov_b64 s[24:25], 0
.LBB167_2051:
	s_and_b64 vcc, exec, s[24:25]
	s_cbranch_vccz .LBB167_2069
; %bb.2052:
	s_cmp_lt_i32 s29, 27
	s_cbranch_scc1 .LBB167_2055
; %bb.2053:
	s_cmp_gt_i32 s29, 27
	s_cbranch_scc0 .LBB167_2056
; %bb.2054:
	global_load_dword v1, v[16:17], off
	s_movk_i32 s22, 0x7fff
	s_waitcnt vmcnt(0)
	v_cvt_f32_u32_e32 v1, v1
	v_bfe_u32 v3, v1, 16, 1
	v_add3_u32 v1, v1, v3, s22
	v_lshrrev_b32_e32 v1, 16, v1
	s_mov_b64 s[22:23], 0
	s_branch .LBB167_2057
.LBB167_2055:
	s_mov_b64 s[22:23], -1
                                        ; implicit-def: $vgpr1
	s_branch .LBB167_2060
.LBB167_2056:
	s_mov_b64 s[22:23], -1
                                        ; implicit-def: $vgpr1
.LBB167_2057:
	s_andn2_b64 vcc, exec, s[22:23]
	s_cbranch_vccnz .LBB167_2059
; %bb.2058:
	global_load_ushort v1, v[16:17], off
	s_movk_i32 s22, 0x7fff
	s_waitcnt vmcnt(0)
	v_cvt_f32_u32_e32 v1, v1
	v_bfe_u32 v3, v1, 16, 1
	v_add3_u32 v1, v1, v3, s22
	v_lshrrev_b32_e32 v1, 16, v1
.LBB167_2059:
	s_mov_b64 s[22:23], 0
.LBB167_2060:
	s_andn2_b64 vcc, exec, s[22:23]
	s_cbranch_vccnz .LBB167_2068
; %bb.2061:
	global_load_ubyte v1, v[16:17], off
	s_movk_i32 s22, 0x7f
	s_waitcnt vmcnt(0)
	v_cmp_lt_i16_e32 vcc, s22, v1
	s_mov_b64 s[22:23], 0
	s_and_saveexec_b64 s[24:25], vcc
	s_xor_b64 s[24:25], exec, s[24:25]
	s_cbranch_execz .LBB167_2081
; %bb.2062:
	s_movk_i32 s22, 0x80
	v_cmp_eq_u16_e32 vcc, s22, v1
	s_mov_b64 s[22:23], -1
	s_and_saveexec_b64 s[26:27], vcc
; %bb.2063:
	s_xor_b64 s[22:23], exec, -1
; %bb.2064:
	s_or_b64 exec, exec, s[26:27]
	s_and_b64 s[22:23], s[22:23], exec
	s_or_saveexec_b64 s[24:25], s[24:25]
	v_mov_b32_e32 v3, 0x7f800001
	s_xor_b64 exec, exec, s[24:25]
	s_cbranch_execnz .LBB167_2082
.LBB167_2065:
	s_or_b64 exec, exec, s[24:25]
	s_and_saveexec_b64 s[24:25], s[22:23]
	s_cbranch_execz .LBB167_2067
.LBB167_2066:
	v_lshlrev_b32_e32 v3, 24, v1
	v_and_b32_e32 v1, 0xffff, v1
	v_and_b32_e32 v5, 7, v1
	v_ffbh_u32_e32 v10, v5
	v_min_u32_e32 v10, 32, v10
	v_subrev_u32_e32 v12, 28, v10
	v_bfe_u32 v8, v1, 3, 4
	v_lshlrev_b32_e32 v1, v12, v1
	v_sub_u32_e32 v10, 29, v10
	v_and_b32_e32 v1, 7, v1
	v_cmp_eq_u32_e32 vcc, 0, v8
	v_cndmask_b32_e32 v8, v8, v10, vcc
	v_cndmask_b32_e32 v1, v5, v1, vcc
	v_mov_b32_e32 v5, 0x3b800000
	v_lshlrev_b32_e32 v1, 20, v1
	v_and_b32_e32 v3, 0x80000000, v3
	v_lshl_add_u32 v5, v8, 23, v5
	v_or3_b32 v3, v3, v5, v1
.LBB167_2067:
	s_or_b64 exec, exec, s[24:25]
	v_bfe_u32 v1, v3, 16, 1
	s_movk_i32 s22, 0x7fff
	v_add3_u32 v1, v3, v1, s22
	v_cmp_o_f32_e32 vcc, v3, v3
	v_mov_b32_e32 v3, 0x7fc0
	v_cndmask_b32_sdwa v1, v3, v1, vcc dst_sel:DWORD dst_unused:UNUSED_PAD src0_sel:DWORD src1_sel:WORD_1
.LBB167_2068:
	s_mov_b64 s[22:23], -1
	v_mov_b32_e32 v3, 0
.LBB167_2069:
	s_branch .LBB167_1968
.LBB167_2070:
	s_cmp_gt_i32 s29, 22
	s_cbranch_scc0 .LBB167_2080
; %bb.2071:
	s_cmp_lt_i32 s29, 24
	s_cbranch_scc1 .LBB167_2083
; %bb.2072:
	s_cmp_gt_i32 s29, 24
	s_cbranch_scc0 .LBB167_2084
; %bb.2073:
	global_load_ubyte v1, v[16:17], off
	s_movk_i32 s20, 0x7f
	s_waitcnt vmcnt(0)
	v_cmp_lt_i16_e32 vcc, s20, v1
	s_mov_b64 s[20:21], 0
	s_and_saveexec_b64 s[22:23], vcc
	s_xor_b64 s[22:23], exec, s[22:23]
	s_cbranch_execz .LBB167_2096
; %bb.2074:
	s_movk_i32 s20, 0x80
	v_cmp_eq_u16_e32 vcc, s20, v1
	s_mov_b64 s[20:21], -1
	s_and_saveexec_b64 s[24:25], vcc
; %bb.2075:
	s_xor_b64 s[20:21], exec, -1
; %bb.2076:
	s_or_b64 exec, exec, s[24:25]
	s_and_b64 s[20:21], s[20:21], exec
	s_or_saveexec_b64 s[22:23], s[22:23]
	v_mov_b32_e32 v3, 0x7f800001
	s_xor_b64 exec, exec, s[22:23]
	s_cbranch_execnz .LBB167_2097
.LBB167_2077:
	s_or_b64 exec, exec, s[22:23]
	s_and_saveexec_b64 s[22:23], s[20:21]
	s_cbranch_execz .LBB167_2079
.LBB167_2078:
	v_lshlrev_b32_e32 v3, 24, v1
	v_and_b32_e32 v1, 0xffff, v1
	v_and_b32_e32 v5, 3, v1
	v_ffbh_u32_e32 v10, v5
	v_min_u32_e32 v10, 32, v10
	v_subrev_u32_e32 v12, 29, v10
	v_bfe_u32 v8, v1, 2, 5
	v_lshlrev_b32_e32 v1, v12, v1
	v_sub_u32_e32 v10, 30, v10
	v_and_b32_e32 v1, 3, v1
	v_cmp_eq_u32_e32 vcc, 0, v8
	v_cndmask_b32_e32 v8, v8, v10, vcc
	v_cndmask_b32_e32 v1, v5, v1, vcc
	v_mov_b32_e32 v5, 0x37800000
	v_lshlrev_b32_e32 v1, 21, v1
	v_and_b32_e32 v3, 0x80000000, v3
	v_lshl_add_u32 v5, v8, 23, v5
	v_or3_b32 v3, v3, v5, v1
.LBB167_2079:
	s_or_b64 exec, exec, s[22:23]
	v_bfe_u32 v1, v3, 16, 1
	s_movk_i32 s20, 0x7fff
	v_add3_u32 v1, v3, v1, s20
	v_cmp_o_f32_e32 vcc, v3, v3
	v_mov_b32_e32 v3, 0x7fc0
	v_cndmask_b32_sdwa v1, v3, v1, vcc dst_sel:DWORD dst_unused:UNUSED_PAD src0_sel:DWORD src1_sel:WORD_1
	s_mov_b64 s[20:21], 0
	s_branch .LBB167_2085
.LBB167_2080:
	s_mov_b64 s[20:21], -1
                                        ; implicit-def: $vgpr1
	s_branch .LBB167_2091
.LBB167_2081:
	s_or_saveexec_b64 s[24:25], s[24:25]
	v_mov_b32_e32 v3, 0x7f800001
	s_xor_b64 exec, exec, s[24:25]
	s_cbranch_execz .LBB167_2065
.LBB167_2082:
	v_cmp_ne_u16_e32 vcc, 0, v1
	s_andn2_b64 s[22:23], s[22:23], exec
	s_and_b64 s[26:27], vcc, exec
	v_mov_b32_e32 v3, 0
	s_or_b64 s[22:23], s[22:23], s[26:27]
	s_or_b64 exec, exec, s[24:25]
	s_and_saveexec_b64 s[24:25], s[22:23]
	s_cbranch_execnz .LBB167_2066
	s_branch .LBB167_2067
.LBB167_2083:
	s_mov_b64 s[20:21], -1
                                        ; implicit-def: $vgpr1
	s_branch .LBB167_2088
.LBB167_2084:
	s_mov_b64 s[20:21], -1
                                        ; implicit-def: $vgpr1
.LBB167_2085:
	s_and_b64 vcc, exec, s[20:21]
	s_cbranch_vccz .LBB167_2087
; %bb.2086:
	global_load_ubyte v1, v[16:17], off
	s_mov_b32 s20, 0x7f800000
	s_brev_b32 s21, 1
	s_movk_i32 s22, 0x7fff
	s_waitcnt vmcnt(0)
	v_lshlrev_b32_e32 v1, 24, v1
	v_and_b32_e32 v3, 0x7f000000, v1
	v_ffbh_u32_e32 v5, v3
	v_min_u32_e32 v5, 32, v5
	v_sub_u32_e64 v5, v5, 4 clamp
	v_lshlrev_b32_e32 v10, v5, v3
	v_lshlrev_b32_e32 v5, 23, v5
	v_lshrrev_b32_e32 v10, 4, v10
	v_add_u32_e32 v8, 0x1000000, v3
	v_sub_u32_e32 v5, v10, v5
	v_ashrrev_i32_e32 v8, 8, v8
	v_add_u32_e32 v5, 0x3c000000, v5
	v_and_or_b32 v5, v8, s20, v5
	v_cmp_ne_u32_e32 vcc, 0, v3
	v_cndmask_b32_e32 v3, 0, v5, vcc
	v_and_or_b32 v1, v1, s21, v3
	v_bfe_u32 v3, v3, 16, 1
	v_add3_u32 v3, v1, v3, s22
	v_cmp_o_f32_e32 vcc, v1, v1
	v_mov_b32_e32 v1, 0x7fc0
	v_cndmask_b32_sdwa v1, v1, v3, vcc dst_sel:DWORD dst_unused:UNUSED_PAD src0_sel:DWORD src1_sel:WORD_1
.LBB167_2087:
	s_mov_b64 s[20:21], 0
.LBB167_2088:
	s_andn2_b64 vcc, exec, s[20:21]
	s_cbranch_vccnz .LBB167_2090
; %bb.2089:
	global_load_ubyte v1, v[16:17], off
	s_movk_i32 s20, 0x7f00
	s_brev_b32 s21, 16
	s_brev_b32 s22, 1
	s_movk_i32 s23, 0x7fff
	s_waitcnt vmcnt(0)
	v_lshlrev_b16_e32 v3, 8, v1
	v_lshlrev_b32_e32 v1, 25, v1
	v_lshrrev_b32_e32 v5, 4, v1
	v_and_or_b32 v8, v3, s20, 0.5
	v_or_b32_e32 v5, 0x70000000, v5
	v_add_f32_e32 v8, -0.5, v8
	v_mul_f32_e32 v5, 0x7800000, v5
	v_cmp_gt_u32_e32 vcc, s21, v1
	v_bfe_i32 v3, v3, 0, 16
	v_cndmask_b32_e32 v1, v5, v8, vcc
	v_and_or_b32 v3, v3, s22, v1
	v_bfe_u32 v1, v1, 16, 1
	v_add3_u32 v1, v3, v1, s23
	v_cmp_o_f32_e32 vcc, v3, v3
	v_mov_b32_e32 v3, 0x7fc0
	v_cndmask_b32_sdwa v1, v3, v1, vcc dst_sel:DWORD dst_unused:UNUSED_PAD src0_sel:DWORD src1_sel:WORD_1
.LBB167_2090:
	s_mov_b64 s[20:21], 0
	s_mov_b64 s[22:23], -1
.LBB167_2091:
	s_andn2_b64 vcc, exec, s[20:21]
	s_mov_b64 s[20:21], 0
	s_cbranch_vccnz .LBB167_2102
; %bb.2092:
	s_cmp_gt_i32 s29, 14
	s_cbranch_scc0 .LBB167_2095
; %bb.2093:
	s_cmp_eq_u32 s29, 15
	s_cbranch_scc0 .LBB167_2098
; %bb.2094:
	global_load_ushort v1, v[16:17], off
	s_mov_b64 s[0:1], 0
	s_mov_b64 s[22:23], -1
	s_branch .LBB167_2099
.LBB167_2095:
	s_mov_b64 s[24:25], -1
                                        ; implicit-def: $vgpr1
	s_branch .LBB167_2100
.LBB167_2096:
	s_or_saveexec_b64 s[22:23], s[22:23]
	v_mov_b32_e32 v3, 0x7f800001
	s_xor_b64 exec, exec, s[22:23]
	s_cbranch_execz .LBB167_2077
.LBB167_2097:
	v_cmp_ne_u16_e32 vcc, 0, v1
	s_andn2_b64 s[20:21], s[20:21], exec
	s_and_b64 s[24:25], vcc, exec
	v_mov_b32_e32 v3, 0
	s_or_b64 s[20:21], s[20:21], s[24:25]
	s_or_b64 exec, exec, s[22:23]
	s_and_saveexec_b64 s[22:23], s[20:21]
	s_cbranch_execnz .LBB167_2078
	s_branch .LBB167_2079
.LBB167_2098:
	s_mov_b64 s[0:1], -1
                                        ; implicit-def: $vgpr1
.LBB167_2099:
	s_mov_b64 s[24:25], 0
.LBB167_2100:
	s_and_b64 vcc, exec, s[24:25]
	s_cbranch_vccz .LBB167_2102
; %bb.2101:
	s_cmp_lg_u32 s29, 11
	s_mov_b64 s[20:21], -1
	s_cselect_b64 s[0:1], -1, 0
.LBB167_2102:
	v_mov_b32_e32 v3, 0
	s_and_b64 vcc, exec, s[0:1]
	s_cbranch_vccz .LBB167_1969
.LBB167_2103:
	s_trap 2
	s_or_b64 s[4:5], s[4:5], exec
	s_cbranch_execz .LBB167_1970
	s_branch .LBB167_1971
.LBB167_2104:
	s_mov_b64 s[0:1], -1
                                        ; implicit-def: $vgpr8
                                        ; implicit-def: $vgpr5
	s_mov_b64 s[22:23], 0
.LBB167_2105:
	s_and_b64 vcc, exec, s[24:25]
	s_cbranch_vccz .LBB167_2110
; %bb.2106:
	s_cmp_eq_u32 s28, 44
	s_cbranch_scc0 .LBB167_2108
; %bb.2107:
	global_load_ubyte v5, v[14:15], off
	s_movk_i32 s22, 0xff
	v_mov_b32_e32 v8, 0x7f800001
	v_mov_b32_e32 v10, 0x400000
	;; [unrolled: 1-line block ×3, first 2 shown]
	s_mov_b64 s[0:1], 0
	s_waitcnt vmcnt(0)
	v_lshlrev_b32_e32 v16, 23, v5
	v_cmp_ne_u32_e32 vcc, s22, v5
	v_cndmask_b32_e32 v8, v8, v16, vcc
	v_cmp_ne_u32_e32 vcc, 0, v5
	v_cndmask_b32_e32 v5, v10, v8, vcc
	v_add_u32_e32 v8, 0x7fff, v5
	v_cmp_o_f32_e32 vcc, v5, v5
	v_cndmask_b32_sdwa v5, v12, v8, vcc dst_sel:DWORD dst_unused:UNUSED_PAD src0_sel:DWORD src1_sel:WORD_1
	s_mov_b64 s[22:23], -1
	s_branch .LBB167_2109
.LBB167_2108:
	s_mov_b64 s[0:1], -1
                                        ; implicit-def: $vgpr5
.LBB167_2109:
	v_mov_b32_e32 v8, 0
.LBB167_2110:
	s_mov_b64 s[24:25], 0
.LBB167_2111:
	s_and_b64 vcc, exec, s[24:25]
	s_cbranch_vccz .LBB167_2116
; %bb.2112:
	s_cmp_eq_u32 s28, 29
	s_cbranch_scc0 .LBB167_2114
; %bb.2113:
	global_load_dwordx2 v[16:17], v[14:15], off
	s_movk_i32 s22, 0x7fff
	s_mov_b64 s[0:1], 0
	s_waitcnt vmcnt(0)
	v_ffbh_u32_e32 v5, v17
	v_min_u32_e32 v5, 32, v5
	v_lshlrev_b64 v[16:17], v5, v[16:17]
	v_sub_u32_e32 v5, 32, v5
	v_min_u32_e32 v8, 1, v16
	v_or_b32_e32 v8, v17, v8
	v_cvt_f32_u32_e32 v8, v8
	v_ldexp_f32 v5, v8, v5
	v_bfe_u32 v8, v5, 16, 1
	v_add3_u32 v5, v5, v8, s22
	v_lshrrev_b32_e32 v5, 16, v5
	s_mov_b64 s[22:23], -1
	s_branch .LBB167_2115
.LBB167_2114:
	s_mov_b64 s[0:1], -1
                                        ; implicit-def: $vgpr5
.LBB167_2115:
	v_mov_b32_e32 v8, 0
.LBB167_2116:
	s_mov_b64 s[24:25], 0
.LBB167_2117:
	s_and_b64 vcc, exec, s[24:25]
	s_cbranch_vccz .LBB167_2135
; %bb.2118:
	s_cmp_lt_i32 s28, 27
	s_cbranch_scc1 .LBB167_2121
; %bb.2119:
	s_cmp_gt_i32 s28, 27
	s_cbranch_scc0 .LBB167_2122
; %bb.2120:
	global_load_dword v5, v[14:15], off
	s_movk_i32 s22, 0x7fff
	s_waitcnt vmcnt(0)
	v_cvt_f32_u32_e32 v5, v5
	v_bfe_u32 v8, v5, 16, 1
	v_add3_u32 v5, v5, v8, s22
	v_lshrrev_b32_e32 v5, 16, v5
	s_mov_b64 s[22:23], 0
	s_branch .LBB167_2123
.LBB167_2121:
	s_mov_b64 s[22:23], -1
                                        ; implicit-def: $vgpr5
	s_branch .LBB167_2126
.LBB167_2122:
	s_mov_b64 s[22:23], -1
                                        ; implicit-def: $vgpr5
.LBB167_2123:
	s_andn2_b64 vcc, exec, s[22:23]
	s_cbranch_vccnz .LBB167_2125
; %bb.2124:
	global_load_ushort v5, v[14:15], off
	s_movk_i32 s22, 0x7fff
	s_waitcnt vmcnt(0)
	v_cvt_f32_u32_e32 v5, v5
	v_bfe_u32 v8, v5, 16, 1
	v_add3_u32 v5, v5, v8, s22
	v_lshrrev_b32_e32 v5, 16, v5
.LBB167_2125:
	s_mov_b64 s[22:23], 0
.LBB167_2126:
	s_andn2_b64 vcc, exec, s[22:23]
	s_cbranch_vccnz .LBB167_2134
; %bb.2127:
	global_load_ubyte v5, v[14:15], off
	s_movk_i32 s22, 0x7f
	s_waitcnt vmcnt(0)
	v_cmp_lt_i16_e32 vcc, s22, v5
	s_mov_b64 s[22:23], 0
	s_and_saveexec_b64 s[24:25], vcc
	s_xor_b64 s[24:25], exec, s[24:25]
	s_cbranch_execz .LBB167_2160
; %bb.2128:
	s_movk_i32 s22, 0x80
	v_cmp_eq_u16_e32 vcc, s22, v5
	s_mov_b64 s[22:23], -1
	s_and_saveexec_b64 s[26:27], vcc
; %bb.2129:
	s_xor_b64 s[22:23], exec, -1
; %bb.2130:
	s_or_b64 exec, exec, s[26:27]
	s_and_b64 s[22:23], s[22:23], exec
	s_or_saveexec_b64 s[24:25], s[24:25]
	v_mov_b32_e32 v8, 0x7f800001
	s_xor_b64 exec, exec, s[24:25]
	s_cbranch_execnz .LBB167_2161
.LBB167_2131:
	s_or_b64 exec, exec, s[24:25]
	s_and_saveexec_b64 s[24:25], s[22:23]
	s_cbranch_execz .LBB167_2133
.LBB167_2132:
	v_lshlrev_b32_e32 v8, 24, v5
	v_and_b32_e32 v5, 0xffff, v5
	v_and_b32_e32 v10, 7, v5
	v_ffbh_u32_e32 v16, v10
	v_min_u32_e32 v16, 32, v16
	v_subrev_u32_e32 v17, 28, v16
	v_bfe_u32 v12, v5, 3, 4
	v_lshlrev_b32_e32 v5, v17, v5
	v_sub_u32_e32 v16, 29, v16
	v_and_b32_e32 v5, 7, v5
	v_cmp_eq_u32_e32 vcc, 0, v12
	v_cndmask_b32_e32 v12, v12, v16, vcc
	v_cndmask_b32_e32 v5, v10, v5, vcc
	v_mov_b32_e32 v10, 0x3b800000
	v_lshlrev_b32_e32 v5, 20, v5
	v_and_b32_e32 v8, 0x80000000, v8
	v_lshl_add_u32 v10, v12, 23, v10
	v_or3_b32 v8, v8, v10, v5
.LBB167_2133:
	s_or_b64 exec, exec, s[24:25]
	v_bfe_u32 v5, v8, 16, 1
	s_movk_i32 s22, 0x7fff
	v_add3_u32 v5, v8, v5, s22
	v_cmp_o_f32_e32 vcc, v8, v8
	v_mov_b32_e32 v8, 0x7fc0
	v_cndmask_b32_sdwa v5, v8, v5, vcc dst_sel:DWORD dst_unused:UNUSED_PAD src0_sel:DWORD src1_sel:WORD_1
.LBB167_2134:
	s_mov_b64 s[22:23], -1
	v_mov_b32_e32 v8, 0
.LBB167_2135:
	s_mov_b64 s[24:25], 0
.LBB167_2136:
	s_and_b64 vcc, exec, s[24:25]
	s_cbranch_vccz .LBB167_2147
; %bb.2137:
	s_cmp_gt_i32 s28, 22
	s_cbranch_scc0 .LBB167_2158
; %bb.2138:
	s_cmp_lt_i32 s28, 24
	s_cbranch_scc1 .LBB167_2162
; %bb.2139:
	s_cmp_gt_i32 s28, 24
	s_cbranch_scc0 .LBB167_2164
; %bb.2140:
	global_load_ubyte v5, v[14:15], off
	s_movk_i32 s20, 0x7f
	s_waitcnt vmcnt(0)
	v_cmp_lt_i16_e32 vcc, s20, v5
	s_mov_b64 s[20:21], 0
	s_and_saveexec_b64 s[22:23], vcc
	s_xor_b64 s[22:23], exec, s[22:23]
	s_cbranch_execz .LBB167_2176
; %bb.2141:
	s_movk_i32 s20, 0x80
	v_cmp_eq_u16_e32 vcc, s20, v5
	s_mov_b64 s[20:21], -1
	s_and_saveexec_b64 s[24:25], vcc
; %bb.2142:
	s_xor_b64 s[20:21], exec, -1
; %bb.2143:
	s_or_b64 exec, exec, s[24:25]
	s_and_b64 s[20:21], s[20:21], exec
	s_or_saveexec_b64 s[22:23], s[22:23]
	v_mov_b32_e32 v8, 0x7f800001
	s_xor_b64 exec, exec, s[22:23]
	s_cbranch_execnz .LBB167_2177
.LBB167_2144:
	s_or_b64 exec, exec, s[22:23]
	s_and_saveexec_b64 s[22:23], s[20:21]
	s_cbranch_execz .LBB167_2146
.LBB167_2145:
	v_lshlrev_b32_e32 v8, 24, v5
	v_and_b32_e32 v5, 0xffff, v5
	v_and_b32_e32 v10, 3, v5
	v_ffbh_u32_e32 v16, v10
	v_min_u32_e32 v16, 32, v16
	v_subrev_u32_e32 v17, 29, v16
	v_bfe_u32 v12, v5, 2, 5
	v_lshlrev_b32_e32 v5, v17, v5
	v_sub_u32_e32 v16, 30, v16
	v_and_b32_e32 v5, 3, v5
	v_cmp_eq_u32_e32 vcc, 0, v12
	v_cndmask_b32_e32 v12, v12, v16, vcc
	v_cndmask_b32_e32 v5, v10, v5, vcc
	v_mov_b32_e32 v10, 0x37800000
	v_lshlrev_b32_e32 v5, 21, v5
	v_and_b32_e32 v8, 0x80000000, v8
	v_lshl_add_u32 v10, v12, 23, v10
	v_or3_b32 v8, v8, v10, v5
.LBB167_2146:
	s_or_b64 exec, exec, s[22:23]
	v_bfe_u32 v5, v8, 16, 1
	s_movk_i32 s20, 0x7fff
	v_add3_u32 v5, v8, v5, s20
	v_cmp_o_f32_e32 vcc, v8, v8
	v_mov_b32_e32 v8, 0x7fc0
	v_cndmask_b32_sdwa v5, v8, v5, vcc dst_sel:DWORD dst_unused:UNUSED_PAD src0_sel:DWORD src1_sel:WORD_1
	s_mov_b64 s[20:21], 0
	s_branch .LBB167_2165
.LBB167_2147:
	s_and_b64 vcc, exec, s[0:1]
	s_cbranch_vccnz .LBB167_2195
.LBB167_2148:
	s_andn2_b64 vcc, exec, s[20:21]
	s_cbranch_vccnz .LBB167_2150
.LBB167_2149:
	global_load_ubyte v5, v[14:15], off
	s_mov_b64 s[22:23], -1
	v_mov_b32_e32 v8, 0
	s_waitcnt vmcnt(0)
	v_cmp_ne_u16_e32 vcc, 0, v5
	v_cndmask_b32_e64 v5, 0, 1.0, vcc
	v_lshrrev_b32_e32 v5, 16, v5
.LBB167_2150:
	s_mov_b64 s[0:1], 0
.LBB167_2151:
	s_and_b64 vcc, exec, s[0:1]
	s_cbranch_vccz .LBB167_2226
; %bb.2152:
	s_and_b32 s20, 0xffff, s31
	s_cmp_lt_i32 s20, 5
	s_cbranch_scc1 .LBB167_2157
; %bb.2153:
	s_cmp_lt_i32 s20, 8
	s_cbranch_scc1 .LBB167_2159
; %bb.2154:
	;; [unrolled: 3-line block ×3, first 2 shown]
	s_cmp_gt_i32 s20, 9
	s_cbranch_scc0 .LBB167_2178
; %bb.2156:
	global_load_dwordx4 v[16:19], v[14:15], off
	s_movk_i32 s0, 0x7fff
	v_mov_b32_e32 v10, 0x7fc0
	v_mov_b32_e32 v12, 0x7fc00000
	s_waitcnt vmcnt(0)
	v_cvt_f32_f64_e32 v5, v[16:17]
	v_cvt_f32_f64_e32 v8, v[18:19]
	v_bfe_u32 v16, v5, 16, 1
	v_bfe_u32 v17, v8, 16, 1
	v_cmp_o_f32_e32 vcc, v5, v5
	v_add3_u32 v5, v5, v16, s0
	v_add3_u32 v16, v8, v17, s0
	v_cndmask_b32_sdwa v5, v10, v5, vcc dst_sel:DWORD dst_unused:UNUSED_PAD src0_sel:DWORD src1_sel:WORD_1
	v_and_b32_e32 v10, 0xffff0000, v16
	v_cmp_o_f32_e32 vcc, v8, v8
	v_cndmask_b32_e32 v8, v12, v10, vcc
	s_mov_b64 s[0:1], 0
	s_branch .LBB167_2179
.LBB167_2157:
	s_mov_b64 s[0:1], -1
                                        ; implicit-def: $vgpr8
                                        ; implicit-def: $vgpr5
	s_branch .LBB167_2204
.LBB167_2158:
	s_mov_b64 s[20:21], -1
                                        ; implicit-def: $vgpr5
	s_branch .LBB167_2171
.LBB167_2159:
	s_mov_b64 s[0:1], -1
                                        ; implicit-def: $vgpr8
                                        ; implicit-def: $vgpr5
	s_branch .LBB167_2185
.LBB167_2160:
	s_or_saveexec_b64 s[24:25], s[24:25]
	v_mov_b32_e32 v8, 0x7f800001
	s_xor_b64 exec, exec, s[24:25]
	s_cbranch_execz .LBB167_2131
.LBB167_2161:
	v_cmp_ne_u16_e32 vcc, 0, v5
	s_andn2_b64 s[22:23], s[22:23], exec
	s_and_b64 s[26:27], vcc, exec
	v_mov_b32_e32 v8, 0
	s_or_b64 s[22:23], s[22:23], s[26:27]
	s_or_b64 exec, exec, s[24:25]
	s_and_saveexec_b64 s[24:25], s[22:23]
	s_cbranch_execnz .LBB167_2132
	s_branch .LBB167_2133
.LBB167_2162:
	s_mov_b64 s[20:21], -1
                                        ; implicit-def: $vgpr5
	s_branch .LBB167_2168
.LBB167_2163:
	s_mov_b64 s[0:1], -1
                                        ; implicit-def: $vgpr8
                                        ; implicit-def: $vgpr5
	s_branch .LBB167_2182
.LBB167_2164:
	s_mov_b64 s[20:21], -1
                                        ; implicit-def: $vgpr5
.LBB167_2165:
	s_and_b64 vcc, exec, s[20:21]
	s_cbranch_vccz .LBB167_2167
; %bb.2166:
	global_load_ubyte v5, v[14:15], off
	s_mov_b32 s20, 0x7f800000
	s_brev_b32 s21, 1
	s_movk_i32 s22, 0x7fff
	s_waitcnt vmcnt(0)
	v_lshlrev_b32_e32 v5, 24, v5
	v_and_b32_e32 v8, 0x7f000000, v5
	v_ffbh_u32_e32 v10, v8
	v_min_u32_e32 v10, 32, v10
	v_sub_u32_e64 v10, v10, 4 clamp
	v_lshlrev_b32_e32 v16, v10, v8
	v_lshlrev_b32_e32 v10, 23, v10
	v_lshrrev_b32_e32 v16, 4, v16
	v_add_u32_e32 v12, 0x1000000, v8
	v_sub_u32_e32 v10, v16, v10
	v_ashrrev_i32_e32 v12, 8, v12
	v_add_u32_e32 v10, 0x3c000000, v10
	v_and_or_b32 v10, v12, s20, v10
	v_cmp_ne_u32_e32 vcc, 0, v8
	v_cndmask_b32_e32 v8, 0, v10, vcc
	v_and_or_b32 v5, v5, s21, v8
	v_bfe_u32 v8, v8, 16, 1
	v_add3_u32 v8, v5, v8, s22
	v_cmp_o_f32_e32 vcc, v5, v5
	v_mov_b32_e32 v5, 0x7fc0
	v_cndmask_b32_sdwa v5, v5, v8, vcc dst_sel:DWORD dst_unused:UNUSED_PAD src0_sel:DWORD src1_sel:WORD_1
.LBB167_2167:
	s_mov_b64 s[20:21], 0
.LBB167_2168:
	s_andn2_b64 vcc, exec, s[20:21]
	s_cbranch_vccnz .LBB167_2170
; %bb.2169:
	global_load_ubyte v5, v[14:15], off
	s_movk_i32 s20, 0x7f00
	s_brev_b32 s21, 16
	s_brev_b32 s22, 1
	s_movk_i32 s23, 0x7fff
	s_waitcnt vmcnt(0)
	v_lshlrev_b16_e32 v8, 8, v5
	v_lshlrev_b32_e32 v5, 25, v5
	v_lshrrev_b32_e32 v10, 4, v5
	v_and_or_b32 v12, v8, s20, 0.5
	v_or_b32_e32 v10, 0x70000000, v10
	v_add_f32_e32 v12, -0.5, v12
	v_mul_f32_e32 v10, 0x7800000, v10
	v_cmp_gt_u32_e32 vcc, s21, v5
	v_bfe_i32 v8, v8, 0, 16
	v_cndmask_b32_e32 v5, v10, v12, vcc
	v_and_or_b32 v8, v8, s22, v5
	v_bfe_u32 v5, v5, 16, 1
	v_add3_u32 v5, v8, v5, s23
	v_cmp_o_f32_e32 vcc, v8, v8
	v_mov_b32_e32 v8, 0x7fc0
	v_cndmask_b32_sdwa v5, v8, v5, vcc dst_sel:DWORD dst_unused:UNUSED_PAD src0_sel:DWORD src1_sel:WORD_1
.LBB167_2170:
	s_mov_b64 s[20:21], 0
	s_mov_b64 s[22:23], -1
.LBB167_2171:
	s_andn2_b64 vcc, exec, s[20:21]
	s_mov_b64 s[20:21], 0
	s_cbranch_vccnz .LBB167_2194
; %bb.2172:
	s_cmp_gt_i32 s28, 14
	s_cbranch_scc0 .LBB167_2175
; %bb.2173:
	s_cmp_eq_u32 s28, 15
	s_cbranch_scc0 .LBB167_2190
; %bb.2174:
	global_load_ushort v5, v[14:15], off
	s_mov_b64 s[0:1], 0
	s_mov_b64 s[22:23], -1
	s_branch .LBB167_2191
.LBB167_2175:
	s_mov_b64 s[24:25], -1
                                        ; implicit-def: $vgpr5
	s_branch .LBB167_2192
.LBB167_2176:
	s_or_saveexec_b64 s[22:23], s[22:23]
	v_mov_b32_e32 v8, 0x7f800001
	s_xor_b64 exec, exec, s[22:23]
	s_cbranch_execz .LBB167_2144
.LBB167_2177:
	v_cmp_ne_u16_e32 vcc, 0, v5
	s_andn2_b64 s[20:21], s[20:21], exec
	s_and_b64 s[24:25], vcc, exec
	v_mov_b32_e32 v8, 0
	s_or_b64 s[20:21], s[20:21], s[24:25]
	s_or_b64 exec, exec, s[22:23]
	s_and_saveexec_b64 s[22:23], s[20:21]
	s_cbranch_execnz .LBB167_2145
	s_branch .LBB167_2146
.LBB167_2178:
	s_mov_b64 s[0:1], -1
                                        ; implicit-def: $vgpr8
                                        ; implicit-def: $vgpr5
.LBB167_2179:
	s_andn2_b64 vcc, exec, s[0:1]
	s_cbranch_vccnz .LBB167_2181
; %bb.2180:
	global_load_dwordx2 v[16:17], v[14:15], off
	s_movk_i32 s0, 0x7fff
	s_waitcnt vmcnt(1)
	v_mov_b32_e32 v5, 0x7fc0
	v_mov_b32_e32 v8, 0x7fc00000
	s_waitcnt vmcnt(0)
	v_bfe_u32 v10, v16, 16, 1
	v_bfe_u32 v12, v17, 16, 1
	v_cmp_o_f32_e32 vcc, v16, v16
	v_add3_u32 v10, v16, v10, s0
	v_add3_u32 v12, v17, v12, s0
	v_cndmask_b32_sdwa v5, v5, v10, vcc dst_sel:DWORD dst_unused:UNUSED_PAD src0_sel:DWORD src1_sel:WORD_1
	v_and_b32_e32 v10, 0xffff0000, v12
	v_cmp_o_f32_e32 vcc, v17, v17
	v_cndmask_b32_e32 v8, v8, v10, vcc
.LBB167_2181:
	s_mov_b64 s[0:1], 0
.LBB167_2182:
	s_andn2_b64 vcc, exec, s[0:1]
	s_cbranch_vccnz .LBB167_2184
; %bb.2183:
	global_load_dword v8, v[14:15], off
	s_movk_i32 s0, 0x7fff
	s_waitcnt vmcnt(1)
	v_mov_b32_e32 v5, 0x7fc0
	v_mov_b32_e32 v16, 0x7fc00000
	s_waitcnt vmcnt(0)
	v_cvt_f32_f16_e32 v10, v8
	v_cvt_f32_f16_sdwa v12, v8 dst_sel:DWORD dst_unused:UNUSED_PAD src0_sel:WORD_1
	v_cmp_o_f16_e32 vcc, v8, v8
	v_bfe_u32 v17, v10, 16, 1
	v_bfe_u32 v18, v12, 16, 1
	v_add3_u32 v10, v10, v17, s0
	v_add3_u32 v12, v12, v18, s0
	v_cndmask_b32_sdwa v5, v5, v10, vcc dst_sel:DWORD dst_unused:UNUSED_PAD src0_sel:DWORD src1_sel:WORD_1
	v_and_b32_e32 v10, 0xffff0000, v12
	v_cmp_o_f16_sdwa vcc, v8, v8 src0_sel:WORD_1 src1_sel:WORD_1
	v_cndmask_b32_e32 v8, v16, v10, vcc
.LBB167_2184:
	s_mov_b64 s[0:1], 0
.LBB167_2185:
	s_andn2_b64 vcc, exec, s[0:1]
	s_cbranch_vccnz .LBB167_2203
; %bb.2186:
	s_cmp_lt_i32 s20, 6
	s_cbranch_scc1 .LBB167_2189
; %bb.2187:
	s_cmp_gt_i32 s20, 6
	s_cbranch_scc0 .LBB167_2196
; %bb.2188:
	global_load_dwordx2 v[16:17], v[14:15], off
	s_movk_i32 s0, 0x7fff
	v_mov_b32_e32 v8, 0x7fc0
	s_waitcnt vmcnt(0)
	v_cvt_f32_f64_e32 v5, v[16:17]
	v_bfe_u32 v10, v5, 16, 1
	v_cmp_o_f32_e32 vcc, v5, v5
	v_add3_u32 v5, v5, v10, s0
	v_cndmask_b32_sdwa v5, v8, v5, vcc dst_sel:DWORD dst_unused:UNUSED_PAD src0_sel:DWORD src1_sel:WORD_1
	s_mov_b64 s[0:1], 0
	s_branch .LBB167_2197
.LBB167_2189:
	s_mov_b64 s[0:1], -1
                                        ; implicit-def: $vgpr5
	s_branch .LBB167_2200
.LBB167_2190:
	s_mov_b64 s[0:1], -1
                                        ; implicit-def: $vgpr5
.LBB167_2191:
	s_mov_b64 s[24:25], 0
.LBB167_2192:
	s_and_b64 vcc, exec, s[24:25]
	s_cbranch_vccz .LBB167_2194
; %bb.2193:
	s_cmp_lg_u32 s28, 11
	s_mov_b64 s[20:21], -1
	s_cselect_b64 s[0:1], -1, 0
.LBB167_2194:
	v_mov_b32_e32 v8, 0
	s_and_b64 vcc, exec, s[0:1]
	s_cbranch_vccz .LBB167_2148
.LBB167_2195:
	s_trap 2
	s_or_b64 s[4:5], s[4:5], exec
	s_cbranch_execz .LBB167_2149
	s_branch .LBB167_2150
.LBB167_2196:
	s_mov_b64 s[0:1], -1
                                        ; implicit-def: $vgpr5
.LBB167_2197:
	s_andn2_b64 vcc, exec, s[0:1]
	s_cbranch_vccnz .LBB167_2199
; %bb.2198:
	global_load_dword v5, v[14:15], off
	s_movk_i32 s0, 0x7fff
	v_mov_b32_e32 v8, 0x7fc0
	s_waitcnt vmcnt(0)
	v_bfe_u32 v10, v5, 16, 1
	v_cmp_o_f32_e32 vcc, v5, v5
	v_add3_u32 v5, v5, v10, s0
	v_cndmask_b32_sdwa v5, v8, v5, vcc dst_sel:DWORD dst_unused:UNUSED_PAD src0_sel:DWORD src1_sel:WORD_1
.LBB167_2199:
	s_mov_b64 s[0:1], 0
.LBB167_2200:
	s_andn2_b64 vcc, exec, s[0:1]
	s_cbranch_vccnz .LBB167_2202
; %bb.2201:
	global_load_ushort v5, v[14:15], off
	s_movk_i32 s0, 0x7fff
	v_mov_b32_e32 v10, 0x7fc0
	s_waitcnt vmcnt(0)
	v_cvt_f32_f16_e32 v8, v5
	v_cmp_o_f16_e32 vcc, v5, v5
	v_bfe_u32 v5, v8, 16, 1
	v_add3_u32 v5, v8, v5, s0
	v_cndmask_b32_sdwa v5, v10, v5, vcc dst_sel:DWORD dst_unused:UNUSED_PAD src0_sel:DWORD src1_sel:WORD_1
.LBB167_2202:
	v_mov_b32_e32 v8, 0
.LBB167_2203:
	s_mov_b64 s[0:1], 0
.LBB167_2204:
	s_andn2_b64 vcc, exec, s[0:1]
	s_cbranch_vccnz .LBB167_2225
; %bb.2205:
	s_cmp_lt_i32 s20, 2
	s_cbranch_scc1 .LBB167_2209
; %bb.2206:
	s_cmp_lt_i32 s20, 3
	s_cbranch_scc1 .LBB167_2210
; %bb.2207:
	s_cmp_gt_i32 s20, 3
	s_cbranch_scc0 .LBB167_2211
; %bb.2208:
	global_load_dwordx2 v[16:17], v[14:15], off
	s_movk_i32 s0, 0x7fff
	s_waitcnt vmcnt(0)
	v_xor_b32_e32 v8, v16, v17
	v_ffbh_i32_e32 v5, v17
	v_ashrrev_i32_e32 v8, 31, v8
	v_add_u32_e32 v5, -1, v5
	v_add_u32_e32 v8, 32, v8
	v_min_u32_e32 v5, v5, v8
	v_lshlrev_b64 v[16:17], v5, v[16:17]
	v_sub_u32_e32 v5, 32, v5
	v_min_u32_e32 v8, 1, v16
	v_or_b32_e32 v8, v17, v8
	v_cvt_f32_i32_e32 v8, v8
	v_ldexp_f32 v5, v8, v5
	v_bfe_u32 v8, v5, 16, 1
	v_add3_u32 v5, v5, v8, s0
	v_lshrrev_b32_e32 v5, 16, v5
	s_mov_b64 s[0:1], 0
	s_branch .LBB167_2212
.LBB167_2209:
	s_mov_b64 s[0:1], -1
                                        ; implicit-def: $vgpr5
	s_branch .LBB167_2218
.LBB167_2210:
	s_mov_b64 s[0:1], -1
                                        ; implicit-def: $vgpr5
	s_branch .LBB167_2215
.LBB167_2211:
	s_mov_b64 s[0:1], -1
                                        ; implicit-def: $vgpr5
.LBB167_2212:
	s_andn2_b64 vcc, exec, s[0:1]
	s_cbranch_vccnz .LBB167_2214
; %bb.2213:
	global_load_dword v5, v[14:15], off
	s_movk_i32 s0, 0x7fff
	s_waitcnt vmcnt(0)
	v_cvt_f32_i32_e32 v5, v5
	v_bfe_u32 v8, v5, 16, 1
	v_add3_u32 v5, v5, v8, s0
	v_lshrrev_b32_e32 v5, 16, v5
.LBB167_2214:
	s_mov_b64 s[0:1], 0
.LBB167_2215:
	s_andn2_b64 vcc, exec, s[0:1]
	s_cbranch_vccnz .LBB167_2217
; %bb.2216:
	global_load_sshort v5, v[14:15], off
	s_movk_i32 s0, 0x7fff
	s_waitcnt vmcnt(0)
	v_cvt_f32_i32_e32 v5, v5
	v_bfe_u32 v8, v5, 16, 1
	v_add3_u32 v5, v5, v8, s0
	v_lshrrev_b32_e32 v5, 16, v5
.LBB167_2217:
	s_mov_b64 s[0:1], 0
.LBB167_2218:
	s_andn2_b64 vcc, exec, s[0:1]
	s_cbranch_vccnz .LBB167_2224
; %bb.2219:
	s_cmp_gt_i32 s20, 0
	s_cbranch_scc0 .LBB167_2221
; %bb.2220:
	global_load_sbyte v5, v[14:15], off
	s_movk_i32 s0, 0x7fff
	s_waitcnt vmcnt(0)
	v_cvt_f32_i32_e32 v5, v5
	v_bfe_u32 v8, v5, 16, 1
	v_add3_u32 v5, v5, v8, s0
	v_lshrrev_b32_e32 v5, 16, v5
	s_mov_b64 s[0:1], 0
	s_branch .LBB167_2222
.LBB167_2221:
	s_mov_b64 s[0:1], -1
                                        ; implicit-def: $vgpr5
.LBB167_2222:
	s_andn2_b64 vcc, exec, s[0:1]
	s_cbranch_vccnz .LBB167_2224
; %bb.2223:
	global_load_ubyte v5, v[14:15], off
	s_movk_i32 s0, 0x7fff
	s_waitcnt vmcnt(0)
	v_cvt_f32_ubyte0_e32 v5, v5
	v_bfe_u32 v8, v5, 16, 1
	v_add3_u32 v5, v5, v8, s0
	v_lshrrev_b32_e32 v5, 16, v5
.LBB167_2224:
	v_mov_b32_e32 v8, 0
.LBB167_2225:
	s_mov_b64 s[22:23], -1
.LBB167_2226:
	s_andn2_b64 vcc, exec, s[22:23]
	s_cbranch_vccnz .LBB167_2781
; %bb.2227:
	s_waitcnt vmcnt(0)
	v_or_b32_sdwa v1, v3, v1 dst_sel:DWORD dst_unused:UNUSED_PAD src0_sel:DWORD src1_sel:WORD_0
	v_or_b32_sdwa v5, v8, v5 dst_sel:DWORD dst_unused:UNUSED_PAD src0_sel:DWORD src1_sel:WORD_0
	s_and_b64 vcc, exec, s[18:19]
	v_lshlrev_b32_e32 v1, 16, v1
	v_lshlrev_b32_e32 v5, 16, v5
	s_cbranch_vccz .LBB167_2229
; %bb.2228:
	v_and_b32_e32 v10, 0xffff0000, v3
	v_and_b32_e32 v12, 0xffff0000, v8
	v_cmp_neq_f32_e32 vcc, v1, v5
	v_cmp_neq_f32_e64 s[0:1], v10, v12
	s_or_b64 s[20:21], vcc, s[0:1]
	s_mov_b64 s[0:1], 0
	s_branch .LBB167_2230
.LBB167_2229:
	s_mov_b64 s[0:1], -1
                                        ; implicit-def: $sgpr20_sgpr21
.LBB167_2230:
	s_andn2_b64 vcc, exec, s[0:1]
	s_cbranch_vccnz .LBB167_2232
; %bb.2231:
	v_and_b32_e32 v8, 0xffff0000, v8
	v_and_b32_e32 v3, 0xffff0000, v3
	v_cmp_eq_f32_e32 vcc, v1, v5
	v_cmp_eq_f32_e64 s[0:1], v3, v8
	s_and_b64 s[0:1], vcc, s[0:1]
	s_andn2_b64 s[20:21], s[20:21], exec
	s_and_b64 s[0:1], s[0:1], exec
	s_or_b64 s[20:21], s[20:21], s[0:1]
.LBB167_2232:
	v_mov_b32_e32 v1, s11
	v_add_co_u32_e32 v12, vcc, s10, v13
	s_cmp_lt_i32 s30, 11
	v_addc_co_u32_e32 v13, vcc, 0, v1, vcc
	s_cbranch_scc1 .LBB167_2239
; %bb.2233:
	s_and_b32 s33, 0xffff, s30
	s_cmp_gt_i32 s33, 25
	s_mov_b64 s[22:23], 0
	s_cbranch_scc0 .LBB167_2240
; %bb.2234:
	s_cmp_gt_i32 s33, 28
	s_cbranch_scc0 .LBB167_2241
; %bb.2235:
	s_cmp_gt_i32 s33, 43
	;; [unrolled: 3-line block ×3, first 2 shown]
	s_cbranch_scc0 .LBB167_2243
; %bb.2237:
	s_cmp_eq_u32 s33, 46
	s_mov_b64 s[26:27], 0
	s_cbranch_scc0 .LBB167_2244
; %bb.2238:
	global_load_dword v1, v[12:13], off
	s_mov_b64 s[0:1], 0
	s_mov_b64 s[24:25], -1
	s_waitcnt vmcnt(0)
	v_and_b32_e32 v3, 0xffff0000, v1
	s_branch .LBB167_2245
.LBB167_2239:
	s_mov_b64 s[0:1], -1
	s_mov_b64 s[24:25], 0
                                        ; implicit-def: $vgpr3
                                        ; implicit-def: $vgpr1
	s_branch .LBB167_2291
.LBB167_2240:
	s_mov_b64 s[26:27], -1
	s_mov_b64 s[24:25], 0
	s_mov_b64 s[0:1], 0
                                        ; implicit-def: $vgpr3
                                        ; implicit-def: $vgpr1
	s_branch .LBB167_2276
.LBB167_2241:
	s_mov_b64 s[26:27], -1
	s_mov_b64 s[24:25], 0
	s_mov_b64 s[0:1], 0
                                        ; implicit-def: $vgpr3
                                        ; implicit-def: $vgpr1
	s_branch .LBB167_2257
.LBB167_2242:
	s_mov_b64 s[26:27], -1
	s_mov_b64 s[24:25], 0
	s_mov_b64 s[0:1], 0
                                        ; implicit-def: $vgpr3
                                        ; implicit-def: $vgpr1
	s_branch .LBB167_2251
.LBB167_2243:
	s_mov_b64 s[26:27], -1
	s_mov_b64 s[24:25], 0
	s_mov_b64 s[0:1], 0
                                        ; implicit-def: $vgpr3
                                        ; implicit-def: $vgpr1
	s_branch .LBB167_2245
.LBB167_2244:
	s_mov_b64 s[0:1], -1
                                        ; implicit-def: $vgpr3
                                        ; implicit-def: $vgpr1
	s_mov_b64 s[24:25], 0
.LBB167_2245:
	s_and_b64 vcc, exec, s[26:27]
	s_cbranch_vccz .LBB167_2250
; %bb.2246:
	s_cmp_eq_u32 s33, 44
	s_cbranch_scc0 .LBB167_2248
; %bb.2247:
	global_load_ubyte v1, v[12:13], off
	s_movk_i32 s24, 0xff
	v_mov_b32_e32 v3, 0x7f800001
	v_mov_b32_e32 v5, 0x400000
	;; [unrolled: 1-line block ×3, first 2 shown]
	s_mov_b64 s[0:1], 0
	s_waitcnt vmcnt(0)
	v_lshlrev_b32_e32 v10, 23, v1
	v_cmp_ne_u32_e32 vcc, s24, v1
	v_cndmask_b32_e32 v3, v3, v10, vcc
	v_cmp_ne_u32_e32 vcc, 0, v1
	v_cndmask_b32_e32 v1, v5, v3, vcc
	v_add_u32_e32 v3, 0x7fff, v1
	v_cmp_o_f32_e32 vcc, v1, v1
	v_cndmask_b32_sdwa v1, v8, v3, vcc dst_sel:DWORD dst_unused:UNUSED_PAD src0_sel:DWORD src1_sel:WORD_1
	s_mov_b64 s[24:25], -1
	s_branch .LBB167_2249
.LBB167_2248:
	s_mov_b64 s[0:1], -1
                                        ; implicit-def: $vgpr1
.LBB167_2249:
	v_mov_b32_e32 v3, 0
.LBB167_2250:
	s_mov_b64 s[26:27], 0
.LBB167_2251:
	s_and_b64 vcc, exec, s[26:27]
	s_cbranch_vccz .LBB167_2256
; %bb.2252:
	s_cmp_eq_u32 s33, 29
	s_cbranch_scc0 .LBB167_2254
; %bb.2253:
	global_load_dwordx2 v[14:15], v[12:13], off
	s_movk_i32 s24, 0x7fff
	s_mov_b64 s[0:1], 0
	s_waitcnt vmcnt(0)
	v_ffbh_u32_e32 v1, v15
	v_min_u32_e32 v1, 32, v1
	v_lshlrev_b64 v[14:15], v1, v[14:15]
	v_sub_u32_e32 v1, 32, v1
	v_min_u32_e32 v3, 1, v14
	v_or_b32_e32 v3, v15, v3
	v_cvt_f32_u32_e32 v3, v3
	v_ldexp_f32 v1, v3, v1
	v_bfe_u32 v3, v1, 16, 1
	v_add3_u32 v1, v1, v3, s24
	v_lshrrev_b32_e32 v1, 16, v1
	s_mov_b64 s[24:25], -1
	s_branch .LBB167_2255
.LBB167_2254:
	s_mov_b64 s[0:1], -1
                                        ; implicit-def: $vgpr1
.LBB167_2255:
	v_mov_b32_e32 v3, 0
.LBB167_2256:
	s_mov_b64 s[26:27], 0
.LBB167_2257:
	s_and_b64 vcc, exec, s[26:27]
	s_cbranch_vccz .LBB167_2275
; %bb.2258:
	s_cmp_lt_i32 s33, 27
	s_cbranch_scc1 .LBB167_2261
; %bb.2259:
	s_cmp_gt_i32 s33, 27
	s_cbranch_scc0 .LBB167_2262
; %bb.2260:
	global_load_dword v1, v[12:13], off
	s_movk_i32 s24, 0x7fff
	s_waitcnt vmcnt(0)
	v_cvt_f32_u32_e32 v1, v1
	v_bfe_u32 v3, v1, 16, 1
	v_add3_u32 v1, v1, v3, s24
	v_lshrrev_b32_e32 v1, 16, v1
	s_mov_b64 s[24:25], 0
	s_branch .LBB167_2263
.LBB167_2261:
	s_mov_b64 s[24:25], -1
                                        ; implicit-def: $vgpr1
	s_branch .LBB167_2266
.LBB167_2262:
	s_mov_b64 s[24:25], -1
                                        ; implicit-def: $vgpr1
.LBB167_2263:
	s_andn2_b64 vcc, exec, s[24:25]
	s_cbranch_vccnz .LBB167_2265
; %bb.2264:
	global_load_ushort v1, v[12:13], off
	s_movk_i32 s24, 0x7fff
	s_waitcnt vmcnt(0)
	v_cvt_f32_u32_e32 v1, v1
	v_bfe_u32 v3, v1, 16, 1
	v_add3_u32 v1, v1, v3, s24
	v_lshrrev_b32_e32 v1, 16, v1
.LBB167_2265:
	s_mov_b64 s[24:25], 0
.LBB167_2266:
	s_andn2_b64 vcc, exec, s[24:25]
	s_cbranch_vccnz .LBB167_2274
; %bb.2267:
	global_load_ubyte v1, v[12:13], off
	s_movk_i32 s24, 0x7f
	s_waitcnt vmcnt(0)
	v_cmp_lt_i16_e32 vcc, s24, v1
	s_mov_b64 s[24:25], 0
	s_and_saveexec_b64 s[26:27], vcc
	s_xor_b64 s[26:27], exec, s[26:27]
	s_cbranch_execz .LBB167_2300
; %bb.2268:
	s_movk_i32 s24, 0x80
	v_cmp_eq_u16_e32 vcc, s24, v1
	s_mov_b64 s[24:25], -1
	s_and_saveexec_b64 s[28:29], vcc
; %bb.2269:
	s_xor_b64 s[24:25], exec, -1
; %bb.2270:
	s_or_b64 exec, exec, s[28:29]
	s_and_b64 s[24:25], s[24:25], exec
	s_or_saveexec_b64 s[26:27], s[26:27]
	v_mov_b32_e32 v3, 0x7f800001
	s_xor_b64 exec, exec, s[26:27]
	s_cbranch_execnz .LBB167_2301
.LBB167_2271:
	s_or_b64 exec, exec, s[26:27]
	s_and_saveexec_b64 s[26:27], s[24:25]
	s_cbranch_execz .LBB167_2273
.LBB167_2272:
	v_lshlrev_b32_e32 v3, 24, v1
	v_and_b32_e32 v1, 0xffff, v1
	v_and_b32_e32 v5, 7, v1
	v_ffbh_u32_e32 v10, v5
	v_min_u32_e32 v10, 32, v10
	v_subrev_u32_e32 v14, 28, v10
	v_bfe_u32 v8, v1, 3, 4
	v_lshlrev_b32_e32 v1, v14, v1
	v_sub_u32_e32 v10, 29, v10
	v_and_b32_e32 v1, 7, v1
	v_cmp_eq_u32_e32 vcc, 0, v8
	v_cndmask_b32_e32 v8, v8, v10, vcc
	v_cndmask_b32_e32 v1, v5, v1, vcc
	v_mov_b32_e32 v5, 0x3b800000
	v_lshlrev_b32_e32 v1, 20, v1
	v_and_b32_e32 v3, 0x80000000, v3
	v_lshl_add_u32 v5, v8, 23, v5
	v_or3_b32 v3, v3, v5, v1
.LBB167_2273:
	s_or_b64 exec, exec, s[26:27]
	v_bfe_u32 v1, v3, 16, 1
	s_movk_i32 s24, 0x7fff
	v_add3_u32 v1, v3, v1, s24
	v_cmp_o_f32_e32 vcc, v3, v3
	v_mov_b32_e32 v3, 0x7fc0
	v_cndmask_b32_sdwa v1, v3, v1, vcc dst_sel:DWORD dst_unused:UNUSED_PAD src0_sel:DWORD src1_sel:WORD_1
.LBB167_2274:
	s_mov_b64 s[24:25], -1
	v_mov_b32_e32 v3, 0
.LBB167_2275:
	s_mov_b64 s[26:27], 0
.LBB167_2276:
	s_and_b64 vcc, exec, s[26:27]
	s_cbranch_vccz .LBB167_2287
; %bb.2277:
	s_cmp_gt_i32 s33, 22
	s_cbranch_scc0 .LBB167_2298
; %bb.2278:
	s_cmp_lt_i32 s33, 24
	s_cbranch_scc1 .LBB167_2302
; %bb.2279:
	s_cmp_gt_i32 s33, 24
	s_cbranch_scc0 .LBB167_2304
; %bb.2280:
	global_load_ubyte v1, v[12:13], off
	s_movk_i32 s22, 0x7f
	s_waitcnt vmcnt(0)
	v_cmp_lt_i16_e32 vcc, s22, v1
	s_mov_b64 s[22:23], 0
	s_and_saveexec_b64 s[24:25], vcc
	s_xor_b64 s[24:25], exec, s[24:25]
	s_cbranch_execz .LBB167_2316
; %bb.2281:
	s_movk_i32 s22, 0x80
	v_cmp_eq_u16_e32 vcc, s22, v1
	s_mov_b64 s[22:23], -1
	s_and_saveexec_b64 s[26:27], vcc
; %bb.2282:
	s_xor_b64 s[22:23], exec, -1
; %bb.2283:
	s_or_b64 exec, exec, s[26:27]
	s_and_b64 s[22:23], s[22:23], exec
	s_or_saveexec_b64 s[24:25], s[24:25]
	v_mov_b32_e32 v3, 0x7f800001
	s_xor_b64 exec, exec, s[24:25]
	s_cbranch_execnz .LBB167_2317
.LBB167_2284:
	s_or_b64 exec, exec, s[24:25]
	s_and_saveexec_b64 s[24:25], s[22:23]
	s_cbranch_execz .LBB167_2286
.LBB167_2285:
	v_lshlrev_b32_e32 v3, 24, v1
	v_and_b32_e32 v1, 0xffff, v1
	v_and_b32_e32 v5, 3, v1
	v_ffbh_u32_e32 v10, v5
	v_min_u32_e32 v10, 32, v10
	v_subrev_u32_e32 v14, 29, v10
	v_bfe_u32 v8, v1, 2, 5
	v_lshlrev_b32_e32 v1, v14, v1
	v_sub_u32_e32 v10, 30, v10
	v_and_b32_e32 v1, 3, v1
	v_cmp_eq_u32_e32 vcc, 0, v8
	v_cndmask_b32_e32 v8, v8, v10, vcc
	v_cndmask_b32_e32 v1, v5, v1, vcc
	v_mov_b32_e32 v5, 0x37800000
	v_lshlrev_b32_e32 v1, 21, v1
	v_and_b32_e32 v3, 0x80000000, v3
	v_lshl_add_u32 v5, v8, 23, v5
	v_or3_b32 v3, v3, v5, v1
.LBB167_2286:
	s_or_b64 exec, exec, s[24:25]
	v_bfe_u32 v1, v3, 16, 1
	s_movk_i32 s22, 0x7fff
	v_add3_u32 v1, v3, v1, s22
	v_cmp_o_f32_e32 vcc, v3, v3
	v_mov_b32_e32 v3, 0x7fc0
	v_cndmask_b32_sdwa v1, v3, v1, vcc dst_sel:DWORD dst_unused:UNUSED_PAD src0_sel:DWORD src1_sel:WORD_1
	s_mov_b64 s[22:23], 0
	s_branch .LBB167_2305
.LBB167_2287:
	s_and_b64 vcc, exec, s[0:1]
	s_cbranch_vccnz .LBB167_2335
.LBB167_2288:
	s_andn2_b64 vcc, exec, s[22:23]
	s_cbranch_vccnz .LBB167_2290
.LBB167_2289:
	global_load_ubyte v1, v[12:13], off
	s_mov_b64 s[24:25], -1
	v_mov_b32_e32 v3, 0
	s_waitcnt vmcnt(0)
	v_cmp_ne_u16_e32 vcc, 0, v1
	v_cndmask_b32_e64 v1, 0, 1.0, vcc
	v_lshrrev_b32_e32 v1, 16, v1
.LBB167_2290:
	s_mov_b64 s[0:1], 0
.LBB167_2291:
	s_and_b64 vcc, exec, s[0:1]
	s_cbranch_vccz .LBB167_2366
; %bb.2292:
	s_and_b32 s22, 0xffff, s30
	s_cmp_lt_i32 s22, 5
	s_cbranch_scc1 .LBB167_2297
; %bb.2293:
	s_cmp_lt_i32 s22, 8
	s_cbranch_scc1 .LBB167_2299
; %bb.2294:
	;; [unrolled: 3-line block ×3, first 2 shown]
	s_cmp_gt_i32 s22, 9
	s_cbranch_scc0 .LBB167_2318
; %bb.2296:
	global_load_dwordx4 v[14:17], v[12:13], off
	s_movk_i32 s0, 0x7fff
	v_mov_b32_e32 v5, 0x7fc0
	v_mov_b32_e32 v8, 0x7fc00000
	s_waitcnt vmcnt(0)
	v_cvt_f32_f64_e32 v1, v[14:15]
	v_cvt_f32_f64_e32 v3, v[16:17]
	v_bfe_u32 v10, v1, 16, 1
	v_bfe_u32 v14, v3, 16, 1
	v_cmp_o_f32_e32 vcc, v1, v1
	v_add3_u32 v1, v1, v10, s0
	v_add3_u32 v10, v3, v14, s0
	v_cndmask_b32_sdwa v1, v5, v1, vcc dst_sel:DWORD dst_unused:UNUSED_PAD src0_sel:DWORD src1_sel:WORD_1
	v_and_b32_e32 v5, 0xffff0000, v10
	v_cmp_o_f32_e32 vcc, v3, v3
	v_cndmask_b32_e32 v3, v8, v5, vcc
	s_mov_b64 s[0:1], 0
	s_branch .LBB167_2319
.LBB167_2297:
	s_mov_b64 s[0:1], -1
                                        ; implicit-def: $vgpr3
                                        ; implicit-def: $vgpr1
	s_branch .LBB167_2344
.LBB167_2298:
	s_mov_b64 s[22:23], -1
                                        ; implicit-def: $vgpr1
	s_branch .LBB167_2311
.LBB167_2299:
	s_mov_b64 s[0:1], -1
                                        ; implicit-def: $vgpr3
                                        ; implicit-def: $vgpr1
	s_branch .LBB167_2325
.LBB167_2300:
	s_or_saveexec_b64 s[26:27], s[26:27]
	v_mov_b32_e32 v3, 0x7f800001
	s_xor_b64 exec, exec, s[26:27]
	s_cbranch_execz .LBB167_2271
.LBB167_2301:
	v_cmp_ne_u16_e32 vcc, 0, v1
	s_andn2_b64 s[24:25], s[24:25], exec
	s_and_b64 s[28:29], vcc, exec
	v_mov_b32_e32 v3, 0
	s_or_b64 s[24:25], s[24:25], s[28:29]
	s_or_b64 exec, exec, s[26:27]
	s_and_saveexec_b64 s[26:27], s[24:25]
	s_cbranch_execnz .LBB167_2272
	s_branch .LBB167_2273
.LBB167_2302:
	s_mov_b64 s[22:23], -1
                                        ; implicit-def: $vgpr1
	s_branch .LBB167_2308
.LBB167_2303:
	s_mov_b64 s[0:1], -1
                                        ; implicit-def: $vgpr3
                                        ; implicit-def: $vgpr1
	s_branch .LBB167_2322
.LBB167_2304:
	s_mov_b64 s[22:23], -1
                                        ; implicit-def: $vgpr1
.LBB167_2305:
	s_and_b64 vcc, exec, s[22:23]
	s_cbranch_vccz .LBB167_2307
; %bb.2306:
	global_load_ubyte v1, v[12:13], off
	s_mov_b32 s22, 0x7f800000
	s_brev_b32 s23, 1
	s_movk_i32 s24, 0x7fff
	s_waitcnt vmcnt(0)
	v_lshlrev_b32_e32 v1, 24, v1
	v_and_b32_e32 v3, 0x7f000000, v1
	v_ffbh_u32_e32 v5, v3
	v_min_u32_e32 v5, 32, v5
	v_sub_u32_e64 v5, v5, 4 clamp
	v_lshlrev_b32_e32 v10, v5, v3
	v_lshlrev_b32_e32 v5, 23, v5
	v_lshrrev_b32_e32 v10, 4, v10
	v_add_u32_e32 v8, 0x1000000, v3
	v_sub_u32_e32 v5, v10, v5
	v_ashrrev_i32_e32 v8, 8, v8
	v_add_u32_e32 v5, 0x3c000000, v5
	v_and_or_b32 v5, v8, s22, v5
	v_cmp_ne_u32_e32 vcc, 0, v3
	v_cndmask_b32_e32 v3, 0, v5, vcc
	v_and_or_b32 v1, v1, s23, v3
	v_bfe_u32 v3, v3, 16, 1
	v_add3_u32 v3, v1, v3, s24
	v_cmp_o_f32_e32 vcc, v1, v1
	v_mov_b32_e32 v1, 0x7fc0
	v_cndmask_b32_sdwa v1, v1, v3, vcc dst_sel:DWORD dst_unused:UNUSED_PAD src0_sel:DWORD src1_sel:WORD_1
.LBB167_2307:
	s_mov_b64 s[22:23], 0
.LBB167_2308:
	s_andn2_b64 vcc, exec, s[22:23]
	s_cbranch_vccnz .LBB167_2310
; %bb.2309:
	global_load_ubyte v1, v[12:13], off
	s_movk_i32 s22, 0x7f00
	s_brev_b32 s23, 16
	s_brev_b32 s24, 1
	s_movk_i32 s25, 0x7fff
	s_waitcnt vmcnt(0)
	v_lshlrev_b16_e32 v3, 8, v1
	v_lshlrev_b32_e32 v1, 25, v1
	v_lshrrev_b32_e32 v5, 4, v1
	v_and_or_b32 v8, v3, s22, 0.5
	v_or_b32_e32 v5, 0x70000000, v5
	v_add_f32_e32 v8, -0.5, v8
	v_mul_f32_e32 v5, 0x7800000, v5
	v_cmp_gt_u32_e32 vcc, s23, v1
	v_bfe_i32 v3, v3, 0, 16
	v_cndmask_b32_e32 v1, v5, v8, vcc
	v_and_or_b32 v3, v3, s24, v1
	v_bfe_u32 v1, v1, 16, 1
	v_add3_u32 v1, v3, v1, s25
	v_cmp_o_f32_e32 vcc, v3, v3
	v_mov_b32_e32 v3, 0x7fc0
	v_cndmask_b32_sdwa v1, v3, v1, vcc dst_sel:DWORD dst_unused:UNUSED_PAD src0_sel:DWORD src1_sel:WORD_1
.LBB167_2310:
	s_mov_b64 s[22:23], 0
	s_mov_b64 s[24:25], -1
.LBB167_2311:
	s_andn2_b64 vcc, exec, s[22:23]
	s_mov_b64 s[22:23], 0
	s_cbranch_vccnz .LBB167_2334
; %bb.2312:
	s_cmp_gt_i32 s33, 14
	s_cbranch_scc0 .LBB167_2315
; %bb.2313:
	s_cmp_eq_u32 s33, 15
	s_cbranch_scc0 .LBB167_2330
; %bb.2314:
	global_load_ushort v1, v[12:13], off
	s_mov_b64 s[0:1], 0
	s_mov_b64 s[24:25], -1
	s_branch .LBB167_2331
.LBB167_2315:
	s_mov_b64 s[26:27], -1
                                        ; implicit-def: $vgpr1
	s_branch .LBB167_2332
.LBB167_2316:
	s_or_saveexec_b64 s[24:25], s[24:25]
	v_mov_b32_e32 v3, 0x7f800001
	s_xor_b64 exec, exec, s[24:25]
	s_cbranch_execz .LBB167_2284
.LBB167_2317:
	v_cmp_ne_u16_e32 vcc, 0, v1
	s_andn2_b64 s[22:23], s[22:23], exec
	s_and_b64 s[26:27], vcc, exec
	v_mov_b32_e32 v3, 0
	s_or_b64 s[22:23], s[22:23], s[26:27]
	s_or_b64 exec, exec, s[24:25]
	s_and_saveexec_b64 s[24:25], s[22:23]
	s_cbranch_execnz .LBB167_2285
	s_branch .LBB167_2286
.LBB167_2318:
	s_mov_b64 s[0:1], -1
                                        ; implicit-def: $vgpr3
                                        ; implicit-def: $vgpr1
.LBB167_2319:
	s_andn2_b64 vcc, exec, s[0:1]
	s_cbranch_vccnz .LBB167_2321
; %bb.2320:
	global_load_dwordx2 v[14:15], v[12:13], off
	s_movk_i32 s0, 0x7fff
	s_waitcnt vmcnt(1)
	v_mov_b32_e32 v1, 0x7fc0
	v_mov_b32_e32 v3, 0x7fc00000
	s_waitcnt vmcnt(0)
	v_bfe_u32 v5, v14, 16, 1
	v_bfe_u32 v8, v15, 16, 1
	v_cmp_o_f32_e32 vcc, v14, v14
	v_add3_u32 v5, v14, v5, s0
	v_add3_u32 v8, v15, v8, s0
	v_cndmask_b32_sdwa v1, v1, v5, vcc dst_sel:DWORD dst_unused:UNUSED_PAD src0_sel:DWORD src1_sel:WORD_1
	v_and_b32_e32 v5, 0xffff0000, v8
	v_cmp_o_f32_e32 vcc, v15, v15
	v_cndmask_b32_e32 v3, v3, v5, vcc
.LBB167_2321:
	s_mov_b64 s[0:1], 0
.LBB167_2322:
	s_andn2_b64 vcc, exec, s[0:1]
	s_cbranch_vccnz .LBB167_2324
; %bb.2323:
	global_load_dword v3, v[12:13], off
	s_movk_i32 s0, 0x7fff
	s_waitcnt vmcnt(1)
	v_mov_b32_e32 v1, 0x7fc0
	v_mov_b32_e32 v10, 0x7fc00000
	s_waitcnt vmcnt(0)
	v_cvt_f32_f16_e32 v5, v3
	v_cvt_f32_f16_sdwa v8, v3 dst_sel:DWORD dst_unused:UNUSED_PAD src0_sel:WORD_1
	v_cmp_o_f16_e32 vcc, v3, v3
	v_bfe_u32 v14, v5, 16, 1
	v_bfe_u32 v15, v8, 16, 1
	v_add3_u32 v5, v5, v14, s0
	v_add3_u32 v8, v8, v15, s0
	v_cndmask_b32_sdwa v1, v1, v5, vcc dst_sel:DWORD dst_unused:UNUSED_PAD src0_sel:DWORD src1_sel:WORD_1
	v_and_b32_e32 v5, 0xffff0000, v8
	v_cmp_o_f16_sdwa vcc, v3, v3 src0_sel:WORD_1 src1_sel:WORD_1
	v_cndmask_b32_e32 v3, v10, v5, vcc
.LBB167_2324:
	s_mov_b64 s[0:1], 0
.LBB167_2325:
	s_andn2_b64 vcc, exec, s[0:1]
	s_cbranch_vccnz .LBB167_2343
; %bb.2326:
	s_cmp_lt_i32 s22, 6
	s_cbranch_scc1 .LBB167_2329
; %bb.2327:
	s_cmp_gt_i32 s22, 6
	s_cbranch_scc0 .LBB167_2336
; %bb.2328:
	global_load_dwordx2 v[14:15], v[12:13], off
	s_movk_i32 s0, 0x7fff
	v_mov_b32_e32 v3, 0x7fc0
	s_waitcnt vmcnt(0)
	v_cvt_f32_f64_e32 v1, v[14:15]
	v_bfe_u32 v5, v1, 16, 1
	v_cmp_o_f32_e32 vcc, v1, v1
	v_add3_u32 v1, v1, v5, s0
	v_cndmask_b32_sdwa v1, v3, v1, vcc dst_sel:DWORD dst_unused:UNUSED_PAD src0_sel:DWORD src1_sel:WORD_1
	s_mov_b64 s[0:1], 0
	s_branch .LBB167_2337
.LBB167_2329:
	s_mov_b64 s[0:1], -1
                                        ; implicit-def: $vgpr1
	s_branch .LBB167_2340
.LBB167_2330:
	s_mov_b64 s[0:1], -1
                                        ; implicit-def: $vgpr1
.LBB167_2331:
	s_mov_b64 s[26:27], 0
.LBB167_2332:
	s_and_b64 vcc, exec, s[26:27]
	s_cbranch_vccz .LBB167_2334
; %bb.2333:
	s_cmp_lg_u32 s33, 11
	s_mov_b64 s[22:23], -1
	s_cselect_b64 s[0:1], -1, 0
.LBB167_2334:
	v_mov_b32_e32 v3, 0
	s_and_b64 vcc, exec, s[0:1]
	s_cbranch_vccz .LBB167_2288
.LBB167_2335:
	s_trap 2
	s_or_b64 s[4:5], s[4:5], exec
	s_cbranch_execz .LBB167_2289
	s_branch .LBB167_2290
.LBB167_2336:
	s_mov_b64 s[0:1], -1
                                        ; implicit-def: $vgpr1
.LBB167_2337:
	s_andn2_b64 vcc, exec, s[0:1]
	s_cbranch_vccnz .LBB167_2339
; %bb.2338:
	global_load_dword v1, v[12:13], off
	s_movk_i32 s0, 0x7fff
	v_mov_b32_e32 v3, 0x7fc0
	s_waitcnt vmcnt(0)
	v_bfe_u32 v5, v1, 16, 1
	v_cmp_o_f32_e32 vcc, v1, v1
	v_add3_u32 v1, v1, v5, s0
	v_cndmask_b32_sdwa v1, v3, v1, vcc dst_sel:DWORD dst_unused:UNUSED_PAD src0_sel:DWORD src1_sel:WORD_1
.LBB167_2339:
	s_mov_b64 s[0:1], 0
.LBB167_2340:
	s_andn2_b64 vcc, exec, s[0:1]
	s_cbranch_vccnz .LBB167_2342
; %bb.2341:
	global_load_ushort v1, v[12:13], off
	s_movk_i32 s0, 0x7fff
	v_mov_b32_e32 v5, 0x7fc0
	s_waitcnt vmcnt(0)
	v_cvt_f32_f16_e32 v3, v1
	v_cmp_o_f16_e32 vcc, v1, v1
	v_bfe_u32 v1, v3, 16, 1
	v_add3_u32 v1, v3, v1, s0
	v_cndmask_b32_sdwa v1, v5, v1, vcc dst_sel:DWORD dst_unused:UNUSED_PAD src0_sel:DWORD src1_sel:WORD_1
.LBB167_2342:
	v_mov_b32_e32 v3, 0
.LBB167_2343:
	s_mov_b64 s[0:1], 0
.LBB167_2344:
	s_andn2_b64 vcc, exec, s[0:1]
	s_cbranch_vccnz .LBB167_2365
; %bb.2345:
	s_cmp_lt_i32 s22, 2
	s_cbranch_scc1 .LBB167_2349
; %bb.2346:
	s_cmp_lt_i32 s22, 3
	s_cbranch_scc1 .LBB167_2350
; %bb.2347:
	s_cmp_gt_i32 s22, 3
	s_cbranch_scc0 .LBB167_2351
; %bb.2348:
	global_load_dwordx2 v[14:15], v[12:13], off
	s_movk_i32 s0, 0x7fff
	s_waitcnt vmcnt(0)
	v_xor_b32_e32 v3, v14, v15
	v_ffbh_i32_e32 v1, v15
	v_ashrrev_i32_e32 v3, 31, v3
	v_add_u32_e32 v1, -1, v1
	v_add_u32_e32 v3, 32, v3
	v_min_u32_e32 v1, v1, v3
	v_lshlrev_b64 v[14:15], v1, v[14:15]
	v_sub_u32_e32 v1, 32, v1
	v_min_u32_e32 v3, 1, v14
	v_or_b32_e32 v3, v15, v3
	v_cvt_f32_i32_e32 v3, v3
	v_ldexp_f32 v1, v3, v1
	v_bfe_u32 v3, v1, 16, 1
	v_add3_u32 v1, v1, v3, s0
	v_lshrrev_b32_e32 v1, 16, v1
	s_mov_b64 s[0:1], 0
	s_branch .LBB167_2352
.LBB167_2349:
	s_mov_b64 s[0:1], -1
                                        ; implicit-def: $vgpr1
	s_branch .LBB167_2358
.LBB167_2350:
	s_mov_b64 s[0:1], -1
                                        ; implicit-def: $vgpr1
	s_branch .LBB167_2355
.LBB167_2351:
	s_mov_b64 s[0:1], -1
                                        ; implicit-def: $vgpr1
.LBB167_2352:
	s_andn2_b64 vcc, exec, s[0:1]
	s_cbranch_vccnz .LBB167_2354
; %bb.2353:
	global_load_dword v1, v[12:13], off
	s_movk_i32 s0, 0x7fff
	s_waitcnt vmcnt(0)
	v_cvt_f32_i32_e32 v1, v1
	v_bfe_u32 v3, v1, 16, 1
	v_add3_u32 v1, v1, v3, s0
	v_lshrrev_b32_e32 v1, 16, v1
.LBB167_2354:
	s_mov_b64 s[0:1], 0
.LBB167_2355:
	s_andn2_b64 vcc, exec, s[0:1]
	s_cbranch_vccnz .LBB167_2357
; %bb.2356:
	global_load_sshort v1, v[12:13], off
	s_movk_i32 s0, 0x7fff
	s_waitcnt vmcnt(0)
	v_cvt_f32_i32_e32 v1, v1
	v_bfe_u32 v3, v1, 16, 1
	v_add3_u32 v1, v1, v3, s0
	v_lshrrev_b32_e32 v1, 16, v1
.LBB167_2357:
	s_mov_b64 s[0:1], 0
.LBB167_2358:
	s_andn2_b64 vcc, exec, s[0:1]
	s_cbranch_vccnz .LBB167_2364
; %bb.2359:
	s_cmp_gt_i32 s22, 0
	s_cbranch_scc0 .LBB167_2361
; %bb.2360:
	global_load_sbyte v1, v[12:13], off
	s_movk_i32 s0, 0x7fff
	s_waitcnt vmcnt(0)
	v_cvt_f32_i32_e32 v1, v1
	v_bfe_u32 v3, v1, 16, 1
	v_add3_u32 v1, v1, v3, s0
	v_lshrrev_b32_e32 v1, 16, v1
	s_mov_b64 s[0:1], 0
	s_branch .LBB167_2362
.LBB167_2361:
	s_mov_b64 s[0:1], -1
                                        ; implicit-def: $vgpr1
.LBB167_2362:
	s_andn2_b64 vcc, exec, s[0:1]
	s_cbranch_vccnz .LBB167_2364
; %bb.2363:
	global_load_ubyte v1, v[12:13], off
	s_movk_i32 s0, 0x7fff
	s_waitcnt vmcnt(0)
	v_cvt_f32_ubyte0_e32 v1, v1
	v_bfe_u32 v3, v1, 16, 1
	v_add3_u32 v1, v1, v3, s0
	v_lshrrev_b32_e32 v1, 16, v1
.LBB167_2364:
	v_mov_b32_e32 v3, 0
.LBB167_2365:
	s_mov_b64 s[24:25], -1
.LBB167_2366:
	s_andn2_b64 vcc, exec, s[24:25]
	s_cbranch_vccnz .LBB167_2781
; %bb.2367:
	v_mov_b32_e32 v5, s17
	v_add_co_u32_e32 v10, vcc, s16, v11
	s_cmp_lt_i32 s31, 11
	v_addc_co_u32_e32 v11, vcc, 0, v5, vcc
	s_cbranch_scc1 .LBB167_2374
; %bb.2368:
	s_and_b32 s33, 0xffff, s31
	s_cmp_gt_i32 s33, 25
	s_mov_b64 s[22:23], 0
	s_cbranch_scc0 .LBB167_2375
; %bb.2369:
	s_cmp_gt_i32 s33, 28
	s_cbranch_scc0 .LBB167_2376
; %bb.2370:
	s_cmp_gt_i32 s33, 43
	;; [unrolled: 3-line block ×3, first 2 shown]
	s_cbranch_scc0 .LBB167_2378
; %bb.2372:
	s_cmp_eq_u32 s33, 46
	s_mov_b64 s[26:27], 0
	s_cbranch_scc0 .LBB167_2381
; %bb.2373:
	global_load_dword v5, v[10:11], off
	s_mov_b64 s[0:1], 0
	s_mov_b64 s[24:25], -1
	s_waitcnt vmcnt(0)
	v_and_b32_e32 v8, 0xffff0000, v5
	s_branch .LBB167_2382
.LBB167_2374:
	s_mov_b64 s[0:1], -1
	s_mov_b64 s[24:25], 0
                                        ; implicit-def: $vgpr8
                                        ; implicit-def: $vgpr5
	s_branch .LBB167_2428
.LBB167_2375:
	s_mov_b64 s[26:27], -1
	s_mov_b64 s[24:25], 0
	s_mov_b64 s[0:1], 0
                                        ; implicit-def: $vgpr8
                                        ; implicit-def: $vgpr5
	s_branch .LBB167_2413
.LBB167_2376:
	s_mov_b64 s[26:27], -1
	s_mov_b64 s[24:25], 0
	s_mov_b64 s[0:1], 0
                                        ; implicit-def: $vgpr8
                                        ; implicit-def: $vgpr5
	s_branch .LBB167_2394
.LBB167_2377:
	s_mov_b64 s[26:27], -1
	s_mov_b64 s[24:25], 0
	s_mov_b64 s[0:1], 0
                                        ; implicit-def: $vgpr8
                                        ; implicit-def: $vgpr5
	s_branch .LBB167_2388
.LBB167_2378:
	s_mov_b64 s[26:27], -1
	s_mov_b64 s[24:25], 0
	s_mov_b64 s[0:1], 0
                                        ; implicit-def: $vgpr8
                                        ; implicit-def: $vgpr5
	s_branch .LBB167_2382
.LBB167_2379:
	s_andn2_saveexec_b64 s[68:69], s[68:69]
	s_cbranch_execz .LBB167_1162
.LBB167_2380:
	v_add_f32_e32 v2, 0x42800000, v3
	v_and_b32_e32 v2, 0xff, v2
	v_cmp_ne_u32_e32 vcc, 0, v2
	s_andn2_b64 s[66:67], s[66:67], exec
	s_and_b64 s[76:77], vcc, exec
	s_or_b64 s[66:67], s[66:67], s[76:77]
	s_or_b64 exec, exec, s[68:69]
	v_mov_b32_e32 v4, 0
	s_and_saveexec_b64 s[68:69], s[66:67]
	s_cbranch_execnz .LBB167_1163
	s_branch .LBB167_1164
.LBB167_2381:
	s_mov_b64 s[0:1], -1
                                        ; implicit-def: $vgpr8
                                        ; implicit-def: $vgpr5
	s_mov_b64 s[24:25], 0
.LBB167_2382:
	s_and_b64 vcc, exec, s[26:27]
	s_cbranch_vccz .LBB167_2387
; %bb.2383:
	s_cmp_eq_u32 s33, 44
	s_cbranch_scc0 .LBB167_2385
; %bb.2384:
	global_load_ubyte v5, v[10:11], off
	s_movk_i32 s24, 0xff
	v_mov_b32_e32 v8, 0x7f800001
	v_mov_b32_e32 v12, 0x400000
	;; [unrolled: 1-line block ×3, first 2 shown]
	s_mov_b64 s[0:1], 0
	s_waitcnt vmcnt(0)
	v_lshlrev_b32_e32 v14, 23, v5
	v_cmp_ne_u32_e32 vcc, s24, v5
	v_cndmask_b32_e32 v8, v8, v14, vcc
	v_cmp_ne_u32_e32 vcc, 0, v5
	v_cndmask_b32_e32 v5, v12, v8, vcc
	v_add_u32_e32 v8, 0x7fff, v5
	v_cmp_o_f32_e32 vcc, v5, v5
	v_cndmask_b32_sdwa v5, v13, v8, vcc dst_sel:DWORD dst_unused:UNUSED_PAD src0_sel:DWORD src1_sel:WORD_1
	s_mov_b64 s[24:25], -1
	s_branch .LBB167_2386
.LBB167_2385:
	s_mov_b64 s[0:1], -1
                                        ; implicit-def: $vgpr5
.LBB167_2386:
	v_mov_b32_e32 v8, 0
.LBB167_2387:
	s_mov_b64 s[26:27], 0
.LBB167_2388:
	s_and_b64 vcc, exec, s[26:27]
	s_cbranch_vccz .LBB167_2393
; %bb.2389:
	s_cmp_eq_u32 s33, 29
	s_cbranch_scc0 .LBB167_2391
; %bb.2390:
	global_load_dwordx2 v[12:13], v[10:11], off
	s_movk_i32 s24, 0x7fff
	s_mov_b64 s[0:1], 0
	s_waitcnt vmcnt(0)
	v_ffbh_u32_e32 v5, v13
	v_min_u32_e32 v5, 32, v5
	v_lshlrev_b64 v[12:13], v5, v[12:13]
	v_sub_u32_e32 v5, 32, v5
	v_min_u32_e32 v8, 1, v12
	v_or_b32_e32 v8, v13, v8
	v_cvt_f32_u32_e32 v8, v8
	v_ldexp_f32 v5, v8, v5
	v_bfe_u32 v8, v5, 16, 1
	v_add3_u32 v5, v5, v8, s24
	v_lshrrev_b32_e32 v5, 16, v5
	s_mov_b64 s[24:25], -1
	s_branch .LBB167_2392
.LBB167_2391:
	s_mov_b64 s[0:1], -1
                                        ; implicit-def: $vgpr5
.LBB167_2392:
	v_mov_b32_e32 v8, 0
.LBB167_2393:
	s_mov_b64 s[26:27], 0
.LBB167_2394:
	s_and_b64 vcc, exec, s[26:27]
	s_cbranch_vccz .LBB167_2412
; %bb.2395:
	s_cmp_lt_i32 s33, 27
	s_cbranch_scc1 .LBB167_2398
; %bb.2396:
	s_cmp_gt_i32 s33, 27
	s_cbranch_scc0 .LBB167_2399
; %bb.2397:
	global_load_dword v5, v[10:11], off
	s_movk_i32 s24, 0x7fff
	s_waitcnt vmcnt(0)
	v_cvt_f32_u32_e32 v5, v5
	v_bfe_u32 v8, v5, 16, 1
	v_add3_u32 v5, v5, v8, s24
	v_lshrrev_b32_e32 v5, 16, v5
	s_mov_b64 s[24:25], 0
	s_branch .LBB167_2400
.LBB167_2398:
	s_mov_b64 s[24:25], -1
                                        ; implicit-def: $vgpr5
	s_branch .LBB167_2403
.LBB167_2399:
	s_mov_b64 s[24:25], -1
                                        ; implicit-def: $vgpr5
.LBB167_2400:
	s_andn2_b64 vcc, exec, s[24:25]
	s_cbranch_vccnz .LBB167_2402
; %bb.2401:
	global_load_ushort v5, v[10:11], off
	s_movk_i32 s24, 0x7fff
	s_waitcnt vmcnt(0)
	v_cvt_f32_u32_e32 v5, v5
	v_bfe_u32 v8, v5, 16, 1
	v_add3_u32 v5, v5, v8, s24
	v_lshrrev_b32_e32 v5, 16, v5
.LBB167_2402:
	s_mov_b64 s[24:25], 0
.LBB167_2403:
	s_andn2_b64 vcc, exec, s[24:25]
	s_cbranch_vccnz .LBB167_2411
; %bb.2404:
	global_load_ubyte v5, v[10:11], off
	s_movk_i32 s24, 0x7f
	s_waitcnt vmcnt(0)
	v_cmp_lt_i16_e32 vcc, s24, v5
	s_mov_b64 s[24:25], 0
	s_and_saveexec_b64 s[26:27], vcc
	s_xor_b64 s[26:27], exec, s[26:27]
	s_cbranch_execz .LBB167_2437
; %bb.2405:
	s_movk_i32 s24, 0x80
	v_cmp_eq_u16_e32 vcc, s24, v5
	s_mov_b64 s[24:25], -1
	s_and_saveexec_b64 s[28:29], vcc
; %bb.2406:
	s_xor_b64 s[24:25], exec, -1
; %bb.2407:
	s_or_b64 exec, exec, s[28:29]
	s_and_b64 s[24:25], s[24:25], exec
	s_or_saveexec_b64 s[26:27], s[26:27]
	v_mov_b32_e32 v8, 0x7f800001
	s_xor_b64 exec, exec, s[26:27]
	s_cbranch_execnz .LBB167_2438
.LBB167_2408:
	s_or_b64 exec, exec, s[26:27]
	s_and_saveexec_b64 s[26:27], s[24:25]
	s_cbranch_execz .LBB167_2410
.LBB167_2409:
	v_lshlrev_b32_e32 v8, 24, v5
	v_and_b32_e32 v5, 0xffff, v5
	v_and_b32_e32 v12, 7, v5
	v_ffbh_u32_e32 v14, v12
	v_min_u32_e32 v14, 32, v14
	v_subrev_u32_e32 v15, 28, v14
	v_bfe_u32 v13, v5, 3, 4
	v_lshlrev_b32_e32 v5, v15, v5
	v_sub_u32_e32 v14, 29, v14
	v_and_b32_e32 v5, 7, v5
	v_cmp_eq_u32_e32 vcc, 0, v13
	v_cndmask_b32_e32 v13, v13, v14, vcc
	v_cndmask_b32_e32 v5, v12, v5, vcc
	v_mov_b32_e32 v12, 0x3b800000
	v_lshlrev_b32_e32 v5, 20, v5
	v_and_b32_e32 v8, 0x80000000, v8
	v_lshl_add_u32 v12, v13, 23, v12
	v_or3_b32 v8, v8, v12, v5
.LBB167_2410:
	s_or_b64 exec, exec, s[26:27]
	v_bfe_u32 v5, v8, 16, 1
	s_movk_i32 s24, 0x7fff
	v_add3_u32 v5, v8, v5, s24
	v_cmp_o_f32_e32 vcc, v8, v8
	v_mov_b32_e32 v8, 0x7fc0
	v_cndmask_b32_sdwa v5, v8, v5, vcc dst_sel:DWORD dst_unused:UNUSED_PAD src0_sel:DWORD src1_sel:WORD_1
.LBB167_2411:
	s_mov_b64 s[24:25], -1
	v_mov_b32_e32 v8, 0
.LBB167_2412:
	s_mov_b64 s[26:27], 0
.LBB167_2413:
	s_and_b64 vcc, exec, s[26:27]
	s_cbranch_vccz .LBB167_2424
; %bb.2414:
	s_cmp_gt_i32 s33, 22
	s_cbranch_scc0 .LBB167_2435
; %bb.2415:
	s_cmp_lt_i32 s33, 24
	s_cbranch_scc1 .LBB167_2439
; %bb.2416:
	s_cmp_gt_i32 s33, 24
	s_cbranch_scc0 .LBB167_2441
; %bb.2417:
	global_load_ubyte v5, v[10:11], off
	s_movk_i32 s22, 0x7f
	s_waitcnt vmcnt(0)
	v_cmp_lt_i16_e32 vcc, s22, v5
	s_mov_b64 s[22:23], 0
	s_and_saveexec_b64 s[24:25], vcc
	s_xor_b64 s[24:25], exec, s[24:25]
	s_cbranch_execz .LBB167_2453
; %bb.2418:
	s_movk_i32 s22, 0x80
	v_cmp_eq_u16_e32 vcc, s22, v5
	s_mov_b64 s[22:23], -1
	s_and_saveexec_b64 s[26:27], vcc
; %bb.2419:
	s_xor_b64 s[22:23], exec, -1
; %bb.2420:
	s_or_b64 exec, exec, s[26:27]
	s_and_b64 s[22:23], s[22:23], exec
	s_or_saveexec_b64 s[24:25], s[24:25]
	v_mov_b32_e32 v8, 0x7f800001
	s_xor_b64 exec, exec, s[24:25]
	s_cbranch_execnz .LBB167_2454
.LBB167_2421:
	s_or_b64 exec, exec, s[24:25]
	s_and_saveexec_b64 s[24:25], s[22:23]
	s_cbranch_execz .LBB167_2423
.LBB167_2422:
	v_lshlrev_b32_e32 v8, 24, v5
	v_and_b32_e32 v5, 0xffff, v5
	v_and_b32_e32 v12, 3, v5
	v_ffbh_u32_e32 v14, v12
	v_min_u32_e32 v14, 32, v14
	v_subrev_u32_e32 v15, 29, v14
	v_bfe_u32 v13, v5, 2, 5
	v_lshlrev_b32_e32 v5, v15, v5
	v_sub_u32_e32 v14, 30, v14
	v_and_b32_e32 v5, 3, v5
	v_cmp_eq_u32_e32 vcc, 0, v13
	v_cndmask_b32_e32 v13, v13, v14, vcc
	v_cndmask_b32_e32 v5, v12, v5, vcc
	v_mov_b32_e32 v12, 0x37800000
	v_lshlrev_b32_e32 v5, 21, v5
	v_and_b32_e32 v8, 0x80000000, v8
	v_lshl_add_u32 v12, v13, 23, v12
	v_or3_b32 v8, v8, v12, v5
.LBB167_2423:
	s_or_b64 exec, exec, s[24:25]
	v_bfe_u32 v5, v8, 16, 1
	s_movk_i32 s22, 0x7fff
	v_add3_u32 v5, v8, v5, s22
	v_cmp_o_f32_e32 vcc, v8, v8
	v_mov_b32_e32 v8, 0x7fc0
	v_cndmask_b32_sdwa v5, v8, v5, vcc dst_sel:DWORD dst_unused:UNUSED_PAD src0_sel:DWORD src1_sel:WORD_1
	s_mov_b64 s[22:23], 0
	s_branch .LBB167_2442
.LBB167_2424:
	s_and_b64 vcc, exec, s[0:1]
	s_cbranch_vccnz .LBB167_2472
.LBB167_2425:
	s_andn2_b64 vcc, exec, s[22:23]
	s_cbranch_vccnz .LBB167_2427
.LBB167_2426:
	global_load_ubyte v5, v[10:11], off
	s_mov_b64 s[24:25], -1
	v_mov_b32_e32 v8, 0
	s_waitcnt vmcnt(0)
	v_cmp_ne_u16_e32 vcc, 0, v5
	v_cndmask_b32_e64 v5, 0, 1.0, vcc
	v_lshrrev_b32_e32 v5, 16, v5
.LBB167_2427:
	s_mov_b64 s[0:1], 0
.LBB167_2428:
	s_and_b64 vcc, exec, s[0:1]
	s_cbranch_vccz .LBB167_2503
; %bb.2429:
	s_and_b32 s22, 0xffff, s31
	s_cmp_lt_i32 s22, 5
	s_cbranch_scc1 .LBB167_2434
; %bb.2430:
	s_cmp_lt_i32 s22, 8
	s_cbranch_scc1 .LBB167_2436
; %bb.2431:
	s_cmp_lt_i32 s22, 9
	s_cbranch_scc1 .LBB167_2440
; %bb.2432:
	s_cmp_gt_i32 s22, 9
	s_cbranch_scc0 .LBB167_2455
; %bb.2433:
	global_load_dwordx4 v[12:15], v[10:11], off
	s_movk_i32 s0, 0x7fff
	s_waitcnt vmcnt(0)
	v_cvt_f32_f64_e32 v5, v[12:13]
	v_cvt_f32_f64_e32 v8, v[14:15]
	v_mov_b32_e32 v12, 0x7fc0
	v_mov_b32_e32 v13, 0x7fc00000
	v_bfe_u32 v14, v5, 16, 1
	v_bfe_u32 v15, v8, 16, 1
	v_cmp_o_f32_e32 vcc, v5, v5
	v_add3_u32 v5, v5, v14, s0
	v_add3_u32 v14, v8, v15, s0
	v_cndmask_b32_sdwa v5, v12, v5, vcc dst_sel:DWORD dst_unused:UNUSED_PAD src0_sel:DWORD src1_sel:WORD_1
	v_and_b32_e32 v12, 0xffff0000, v14
	v_cmp_o_f32_e32 vcc, v8, v8
	v_cndmask_b32_e32 v8, v13, v12, vcc
	s_mov_b64 s[0:1], 0
	s_branch .LBB167_2456
.LBB167_2434:
	s_mov_b64 s[0:1], -1
                                        ; implicit-def: $vgpr8
                                        ; implicit-def: $vgpr5
	s_branch .LBB167_2481
.LBB167_2435:
	s_mov_b64 s[22:23], -1
                                        ; implicit-def: $vgpr5
	s_branch .LBB167_2448
.LBB167_2436:
	s_mov_b64 s[0:1], -1
                                        ; implicit-def: $vgpr8
                                        ; implicit-def: $vgpr5
	s_branch .LBB167_2462
.LBB167_2437:
	s_or_saveexec_b64 s[26:27], s[26:27]
	v_mov_b32_e32 v8, 0x7f800001
	s_xor_b64 exec, exec, s[26:27]
	s_cbranch_execz .LBB167_2408
.LBB167_2438:
	v_cmp_ne_u16_e32 vcc, 0, v5
	s_andn2_b64 s[24:25], s[24:25], exec
	s_and_b64 s[28:29], vcc, exec
	v_mov_b32_e32 v8, 0
	s_or_b64 s[24:25], s[24:25], s[28:29]
	s_or_b64 exec, exec, s[26:27]
	s_and_saveexec_b64 s[26:27], s[24:25]
	s_cbranch_execnz .LBB167_2409
	s_branch .LBB167_2410
.LBB167_2439:
	s_mov_b64 s[22:23], -1
                                        ; implicit-def: $vgpr5
	s_branch .LBB167_2445
.LBB167_2440:
	s_mov_b64 s[0:1], -1
                                        ; implicit-def: $vgpr8
                                        ; implicit-def: $vgpr5
	s_branch .LBB167_2459
.LBB167_2441:
	s_mov_b64 s[22:23], -1
                                        ; implicit-def: $vgpr5
.LBB167_2442:
	s_and_b64 vcc, exec, s[22:23]
	s_cbranch_vccz .LBB167_2444
; %bb.2443:
	global_load_ubyte v5, v[10:11], off
	s_mov_b32 s22, 0x7f800000
	s_brev_b32 s23, 1
	s_movk_i32 s24, 0x7fff
	s_waitcnt vmcnt(0)
	v_lshlrev_b32_e32 v5, 24, v5
	v_and_b32_e32 v8, 0x7f000000, v5
	v_ffbh_u32_e32 v12, v8
	v_min_u32_e32 v12, 32, v12
	v_sub_u32_e64 v12, v12, 4 clamp
	v_lshlrev_b32_e32 v14, v12, v8
	v_lshlrev_b32_e32 v12, 23, v12
	v_lshrrev_b32_e32 v14, 4, v14
	v_add_u32_e32 v13, 0x1000000, v8
	v_sub_u32_e32 v12, v14, v12
	v_ashrrev_i32_e32 v13, 8, v13
	v_add_u32_e32 v12, 0x3c000000, v12
	v_and_or_b32 v12, v13, s22, v12
	v_cmp_ne_u32_e32 vcc, 0, v8
	v_cndmask_b32_e32 v8, 0, v12, vcc
	v_and_or_b32 v5, v5, s23, v8
	v_bfe_u32 v8, v8, 16, 1
	v_add3_u32 v8, v5, v8, s24
	v_cmp_o_f32_e32 vcc, v5, v5
	v_mov_b32_e32 v5, 0x7fc0
	v_cndmask_b32_sdwa v5, v5, v8, vcc dst_sel:DWORD dst_unused:UNUSED_PAD src0_sel:DWORD src1_sel:WORD_1
.LBB167_2444:
	s_mov_b64 s[22:23], 0
.LBB167_2445:
	s_andn2_b64 vcc, exec, s[22:23]
	s_cbranch_vccnz .LBB167_2447
; %bb.2446:
	global_load_ubyte v5, v[10:11], off
	s_movk_i32 s22, 0x7f00
	s_brev_b32 s23, 16
	s_brev_b32 s24, 1
	s_movk_i32 s25, 0x7fff
	s_waitcnt vmcnt(0)
	v_lshlrev_b16_e32 v8, 8, v5
	v_lshlrev_b32_e32 v5, 25, v5
	v_lshrrev_b32_e32 v12, 4, v5
	v_and_or_b32 v13, v8, s22, 0.5
	v_or_b32_e32 v12, 0x70000000, v12
	v_add_f32_e32 v13, -0.5, v13
	v_mul_f32_e32 v12, 0x7800000, v12
	v_cmp_gt_u32_e32 vcc, s23, v5
	v_bfe_i32 v8, v8, 0, 16
	v_cndmask_b32_e32 v5, v12, v13, vcc
	v_and_or_b32 v8, v8, s24, v5
	v_bfe_u32 v5, v5, 16, 1
	v_add3_u32 v5, v8, v5, s25
	v_cmp_o_f32_e32 vcc, v8, v8
	v_mov_b32_e32 v8, 0x7fc0
	v_cndmask_b32_sdwa v5, v8, v5, vcc dst_sel:DWORD dst_unused:UNUSED_PAD src0_sel:DWORD src1_sel:WORD_1
.LBB167_2447:
	s_mov_b64 s[22:23], 0
	s_mov_b64 s[24:25], -1
.LBB167_2448:
	s_andn2_b64 vcc, exec, s[22:23]
	s_mov_b64 s[22:23], 0
	s_cbranch_vccnz .LBB167_2471
; %bb.2449:
	s_cmp_gt_i32 s33, 14
	s_cbranch_scc0 .LBB167_2452
; %bb.2450:
	s_cmp_eq_u32 s33, 15
	s_cbranch_scc0 .LBB167_2467
; %bb.2451:
	global_load_ushort v5, v[10:11], off
	s_mov_b64 s[0:1], 0
	s_mov_b64 s[24:25], -1
	s_branch .LBB167_2468
.LBB167_2452:
	s_mov_b64 s[26:27], -1
                                        ; implicit-def: $vgpr5
	s_branch .LBB167_2469
.LBB167_2453:
	s_or_saveexec_b64 s[24:25], s[24:25]
	v_mov_b32_e32 v8, 0x7f800001
	s_xor_b64 exec, exec, s[24:25]
	s_cbranch_execz .LBB167_2421
.LBB167_2454:
	v_cmp_ne_u16_e32 vcc, 0, v5
	s_andn2_b64 s[22:23], s[22:23], exec
	s_and_b64 s[26:27], vcc, exec
	v_mov_b32_e32 v8, 0
	s_or_b64 s[22:23], s[22:23], s[26:27]
	s_or_b64 exec, exec, s[24:25]
	s_and_saveexec_b64 s[24:25], s[22:23]
	s_cbranch_execnz .LBB167_2422
	s_branch .LBB167_2423
.LBB167_2455:
	s_mov_b64 s[0:1], -1
                                        ; implicit-def: $vgpr8
                                        ; implicit-def: $vgpr5
.LBB167_2456:
	s_andn2_b64 vcc, exec, s[0:1]
	s_cbranch_vccnz .LBB167_2458
; %bb.2457:
	global_load_dwordx2 v[12:13], v[10:11], off
	s_movk_i32 s0, 0x7fff
	s_waitcnt vmcnt(1)
	v_mov_b32_e32 v5, 0x7fc0
	v_mov_b32_e32 v8, 0x7fc00000
	s_waitcnt vmcnt(0)
	v_bfe_u32 v14, v12, 16, 1
	v_bfe_u32 v15, v13, 16, 1
	v_cmp_o_f32_e32 vcc, v12, v12
	v_add3_u32 v12, v12, v14, s0
	v_add3_u32 v14, v13, v15, s0
	v_cndmask_b32_sdwa v5, v5, v12, vcc dst_sel:DWORD dst_unused:UNUSED_PAD src0_sel:DWORD src1_sel:WORD_1
	v_and_b32_e32 v12, 0xffff0000, v14
	v_cmp_o_f32_e32 vcc, v13, v13
	v_cndmask_b32_e32 v8, v8, v12, vcc
.LBB167_2458:
	s_mov_b64 s[0:1], 0
.LBB167_2459:
	s_andn2_b64 vcc, exec, s[0:1]
	s_cbranch_vccnz .LBB167_2461
; %bb.2460:
	global_load_dword v8, v[10:11], off
	s_movk_i32 s0, 0x7fff
	s_waitcnt vmcnt(1)
	v_mov_b32_e32 v5, 0x7fc0
	v_mov_b32_e32 v14, 0x7fc00000
	s_waitcnt vmcnt(0)
	v_cvt_f32_f16_e32 v12, v8
	v_cvt_f32_f16_sdwa v13, v8 dst_sel:DWORD dst_unused:UNUSED_PAD src0_sel:WORD_1
	v_cmp_o_f16_e32 vcc, v8, v8
	v_bfe_u32 v15, v12, 16, 1
	v_bfe_u32 v16, v13, 16, 1
	v_add3_u32 v12, v12, v15, s0
	v_add3_u32 v13, v13, v16, s0
	v_cndmask_b32_sdwa v5, v5, v12, vcc dst_sel:DWORD dst_unused:UNUSED_PAD src0_sel:DWORD src1_sel:WORD_1
	v_and_b32_e32 v12, 0xffff0000, v13
	v_cmp_o_f16_sdwa vcc, v8, v8 src0_sel:WORD_1 src1_sel:WORD_1
	v_cndmask_b32_e32 v8, v14, v12, vcc
.LBB167_2461:
	s_mov_b64 s[0:1], 0
.LBB167_2462:
	s_andn2_b64 vcc, exec, s[0:1]
	s_cbranch_vccnz .LBB167_2480
; %bb.2463:
	s_cmp_lt_i32 s22, 6
	s_cbranch_scc1 .LBB167_2466
; %bb.2464:
	s_cmp_gt_i32 s22, 6
	s_cbranch_scc0 .LBB167_2473
; %bb.2465:
	global_load_dwordx2 v[12:13], v[10:11], off
	s_movk_i32 s0, 0x7fff
	v_mov_b32_e32 v8, 0x7fc0
	s_waitcnt vmcnt(0)
	v_cvt_f32_f64_e32 v5, v[12:13]
	v_bfe_u32 v12, v5, 16, 1
	v_cmp_o_f32_e32 vcc, v5, v5
	v_add3_u32 v5, v5, v12, s0
	v_cndmask_b32_sdwa v5, v8, v5, vcc dst_sel:DWORD dst_unused:UNUSED_PAD src0_sel:DWORD src1_sel:WORD_1
	s_mov_b64 s[0:1], 0
	s_branch .LBB167_2474
.LBB167_2466:
	s_mov_b64 s[0:1], -1
                                        ; implicit-def: $vgpr5
	s_branch .LBB167_2477
.LBB167_2467:
	s_mov_b64 s[0:1], -1
                                        ; implicit-def: $vgpr5
.LBB167_2468:
	s_mov_b64 s[26:27], 0
.LBB167_2469:
	s_and_b64 vcc, exec, s[26:27]
	s_cbranch_vccz .LBB167_2471
; %bb.2470:
	s_cmp_lg_u32 s33, 11
	s_mov_b64 s[22:23], -1
	s_cselect_b64 s[0:1], -1, 0
.LBB167_2471:
	v_mov_b32_e32 v8, 0
	s_and_b64 vcc, exec, s[0:1]
	s_cbranch_vccz .LBB167_2425
.LBB167_2472:
	s_trap 2
	s_or_b64 s[4:5], s[4:5], exec
	s_cbranch_execz .LBB167_2426
	s_branch .LBB167_2427
.LBB167_2473:
	s_mov_b64 s[0:1], -1
                                        ; implicit-def: $vgpr5
.LBB167_2474:
	s_andn2_b64 vcc, exec, s[0:1]
	s_cbranch_vccnz .LBB167_2476
; %bb.2475:
	global_load_dword v5, v[10:11], off
	s_movk_i32 s0, 0x7fff
	v_mov_b32_e32 v8, 0x7fc0
	s_waitcnt vmcnt(0)
	v_bfe_u32 v12, v5, 16, 1
	v_cmp_o_f32_e32 vcc, v5, v5
	v_add3_u32 v5, v5, v12, s0
	v_cndmask_b32_sdwa v5, v8, v5, vcc dst_sel:DWORD dst_unused:UNUSED_PAD src0_sel:DWORD src1_sel:WORD_1
.LBB167_2476:
	s_mov_b64 s[0:1], 0
.LBB167_2477:
	s_andn2_b64 vcc, exec, s[0:1]
	s_cbranch_vccnz .LBB167_2479
; %bb.2478:
	global_load_ushort v5, v[10:11], off
	s_movk_i32 s0, 0x7fff
	v_mov_b32_e32 v12, 0x7fc0
	s_waitcnt vmcnt(0)
	v_cvt_f32_f16_e32 v8, v5
	v_cmp_o_f16_e32 vcc, v5, v5
	v_bfe_u32 v5, v8, 16, 1
	v_add3_u32 v5, v8, v5, s0
	v_cndmask_b32_sdwa v5, v12, v5, vcc dst_sel:DWORD dst_unused:UNUSED_PAD src0_sel:DWORD src1_sel:WORD_1
.LBB167_2479:
	v_mov_b32_e32 v8, 0
.LBB167_2480:
	s_mov_b64 s[0:1], 0
.LBB167_2481:
	s_andn2_b64 vcc, exec, s[0:1]
	s_cbranch_vccnz .LBB167_2502
; %bb.2482:
	s_cmp_lt_i32 s22, 2
	s_cbranch_scc1 .LBB167_2486
; %bb.2483:
	s_cmp_lt_i32 s22, 3
	s_cbranch_scc1 .LBB167_2487
; %bb.2484:
	s_cmp_gt_i32 s22, 3
	s_cbranch_scc0 .LBB167_2488
; %bb.2485:
	global_load_dwordx2 v[12:13], v[10:11], off
	s_movk_i32 s0, 0x7fff
	s_waitcnt vmcnt(0)
	v_xor_b32_e32 v8, v12, v13
	v_ffbh_i32_e32 v5, v13
	v_ashrrev_i32_e32 v8, 31, v8
	v_add_u32_e32 v5, -1, v5
	v_add_u32_e32 v8, 32, v8
	v_min_u32_e32 v5, v5, v8
	v_lshlrev_b64 v[12:13], v5, v[12:13]
	v_sub_u32_e32 v5, 32, v5
	v_min_u32_e32 v8, 1, v12
	v_or_b32_e32 v8, v13, v8
	v_cvt_f32_i32_e32 v8, v8
	v_ldexp_f32 v5, v8, v5
	v_bfe_u32 v8, v5, 16, 1
	v_add3_u32 v5, v5, v8, s0
	v_lshrrev_b32_e32 v5, 16, v5
	s_mov_b64 s[0:1], 0
	s_branch .LBB167_2489
.LBB167_2486:
	s_mov_b64 s[0:1], -1
                                        ; implicit-def: $vgpr5
	s_branch .LBB167_2495
.LBB167_2487:
	s_mov_b64 s[0:1], -1
                                        ; implicit-def: $vgpr5
	s_branch .LBB167_2492
.LBB167_2488:
	s_mov_b64 s[0:1], -1
                                        ; implicit-def: $vgpr5
.LBB167_2489:
	s_andn2_b64 vcc, exec, s[0:1]
	s_cbranch_vccnz .LBB167_2491
; %bb.2490:
	global_load_dword v5, v[10:11], off
	s_movk_i32 s0, 0x7fff
	s_waitcnt vmcnt(0)
	v_cvt_f32_i32_e32 v5, v5
	v_bfe_u32 v8, v5, 16, 1
	v_add3_u32 v5, v5, v8, s0
	v_lshrrev_b32_e32 v5, 16, v5
.LBB167_2491:
	s_mov_b64 s[0:1], 0
.LBB167_2492:
	s_andn2_b64 vcc, exec, s[0:1]
	s_cbranch_vccnz .LBB167_2494
; %bb.2493:
	global_load_sshort v5, v[10:11], off
	s_movk_i32 s0, 0x7fff
	s_waitcnt vmcnt(0)
	v_cvt_f32_i32_e32 v5, v5
	v_bfe_u32 v8, v5, 16, 1
	v_add3_u32 v5, v5, v8, s0
	v_lshrrev_b32_e32 v5, 16, v5
.LBB167_2494:
	s_mov_b64 s[0:1], 0
.LBB167_2495:
	s_andn2_b64 vcc, exec, s[0:1]
	s_cbranch_vccnz .LBB167_2501
; %bb.2496:
	s_cmp_gt_i32 s22, 0
	s_cbranch_scc0 .LBB167_2498
; %bb.2497:
	global_load_sbyte v5, v[10:11], off
	s_movk_i32 s0, 0x7fff
	s_waitcnt vmcnt(0)
	v_cvt_f32_i32_e32 v5, v5
	v_bfe_u32 v8, v5, 16, 1
	v_add3_u32 v5, v5, v8, s0
	v_lshrrev_b32_e32 v5, 16, v5
	s_mov_b64 s[0:1], 0
	s_branch .LBB167_2499
.LBB167_2498:
	s_mov_b64 s[0:1], -1
                                        ; implicit-def: $vgpr5
.LBB167_2499:
	s_andn2_b64 vcc, exec, s[0:1]
	s_cbranch_vccnz .LBB167_2501
; %bb.2500:
	global_load_ubyte v5, v[10:11], off
	s_movk_i32 s0, 0x7fff
	s_waitcnt vmcnt(0)
	v_cvt_f32_ubyte0_e32 v5, v5
	v_bfe_u32 v8, v5, 16, 1
	v_add3_u32 v5, v5, v8, s0
	v_lshrrev_b32_e32 v5, 16, v5
.LBB167_2501:
	v_mov_b32_e32 v8, 0
.LBB167_2502:
	s_mov_b64 s[24:25], -1
.LBB167_2503:
	s_andn2_b64 vcc, exec, s[24:25]
	s_cbranch_vccnz .LBB167_2781
; %bb.2504:
	s_waitcnt vmcnt(0)
	v_or_b32_sdwa v1, v3, v1 dst_sel:DWORD dst_unused:UNUSED_PAD src0_sel:DWORD src1_sel:WORD_0
	v_or_b32_sdwa v5, v8, v5 dst_sel:DWORD dst_unused:UNUSED_PAD src0_sel:DWORD src1_sel:WORD_0
	s_and_b64 vcc, exec, s[18:19]
	v_lshlrev_b32_e32 v1, 16, v1
	v_lshlrev_b32_e32 v5, 16, v5
	s_cbranch_vccz .LBB167_2506
; %bb.2505:
	v_and_b32_e32 v10, 0xffff0000, v3
	v_and_b32_e32 v11, 0xffff0000, v8
	v_cmp_neq_f32_e32 vcc, v1, v5
	v_cmp_neq_f32_e64 s[0:1], v10, v11
	s_or_b64 s[22:23], vcc, s[0:1]
	s_mov_b64 s[0:1], 0
	s_branch .LBB167_2507
.LBB167_2506:
	s_mov_b64 s[0:1], -1
                                        ; implicit-def: $sgpr22_sgpr23
.LBB167_2507:
	s_andn2_b64 vcc, exec, s[0:1]
	s_cbranch_vccnz .LBB167_2509
; %bb.2508:
	v_and_b32_e32 v8, 0xffff0000, v8
	v_and_b32_e32 v3, 0xffff0000, v3
	v_cmp_eq_f32_e32 vcc, v1, v5
	v_cmp_eq_f32_e64 s[0:1], v3, v8
	s_and_b64 s[0:1], vcc, s[0:1]
	s_andn2_b64 s[22:23], s[22:23], exec
	s_and_b64 s[0:1], s[0:1], exec
	s_or_b64 s[22:23], s[22:23], s[0:1]
.LBB167_2509:
	v_mov_b32_e32 v1, s11
	v_add_co_u32_e32 v8, vcc, s10, v9
	s_cmp_lt_i32 s30, 11
	v_addc_co_u32_e32 v9, vcc, 0, v1, vcc
	s_cbranch_scc1 .LBB167_2516
; %bb.2510:
	s_and_b32 s33, 0xffff, s30
	s_cmp_gt_i32 s33, 25
	s_mov_b64 s[10:11], 0
	s_cbranch_scc0 .LBB167_2517
; %bb.2511:
	s_cmp_gt_i32 s33, 28
	s_cbranch_scc0 .LBB167_2518
; %bb.2512:
	s_cmp_gt_i32 s33, 43
	s_cbranch_scc0 .LBB167_2519
; %bb.2513:
	s_cmp_gt_i32 s33, 45
	s_cbranch_scc0 .LBB167_2520
; %bb.2514:
	s_cmp_eq_u32 s33, 46
	s_mov_b64 s[26:27], 0
	s_cbranch_scc0 .LBB167_2521
; %bb.2515:
	global_load_dword v1, v[8:9], off
	s_mov_b64 s[0:1], 0
	s_mov_b64 s[24:25], -1
	s_waitcnt vmcnt(0)
	v_and_b32_e32 v3, 0xffff0000, v1
	s_branch .LBB167_2522
.LBB167_2516:
	s_mov_b64 s[0:1], -1
	s_mov_b64 s[24:25], 0
                                        ; implicit-def: $vgpr3
                                        ; implicit-def: $vgpr1
	s_branch .LBB167_2568
.LBB167_2517:
	s_mov_b64 s[26:27], -1
	s_mov_b64 s[24:25], 0
	s_mov_b64 s[0:1], 0
                                        ; implicit-def: $vgpr3
                                        ; implicit-def: $vgpr1
	s_branch .LBB167_2553
.LBB167_2518:
	s_mov_b64 s[26:27], -1
	s_mov_b64 s[24:25], 0
	s_mov_b64 s[0:1], 0
                                        ; implicit-def: $vgpr3
                                        ; implicit-def: $vgpr1
	s_branch .LBB167_2534
.LBB167_2519:
	s_mov_b64 s[26:27], -1
	s_mov_b64 s[24:25], 0
	s_mov_b64 s[0:1], 0
                                        ; implicit-def: $vgpr3
                                        ; implicit-def: $vgpr1
	s_branch .LBB167_2528
.LBB167_2520:
	s_mov_b64 s[26:27], -1
	s_mov_b64 s[24:25], 0
	s_mov_b64 s[0:1], 0
                                        ; implicit-def: $vgpr3
                                        ; implicit-def: $vgpr1
	s_branch .LBB167_2522
.LBB167_2521:
	s_mov_b64 s[0:1], -1
                                        ; implicit-def: $vgpr3
                                        ; implicit-def: $vgpr1
	s_mov_b64 s[24:25], 0
.LBB167_2522:
	s_and_b64 vcc, exec, s[26:27]
	s_cbranch_vccz .LBB167_2527
; %bb.2523:
	s_cmp_eq_u32 s33, 44
	s_cbranch_scc0 .LBB167_2525
; %bb.2524:
	global_load_ubyte v1, v[8:9], off
	s_movk_i32 s24, 0xff
	v_mov_b32_e32 v3, 0x7f800001
	v_mov_b32_e32 v5, 0x400000
	v_mov_b32_e32 v10, 0x7fc0
	s_mov_b64 s[0:1], 0
	s_waitcnt vmcnt(0)
	v_lshlrev_b32_e32 v11, 23, v1
	v_cmp_ne_u32_e32 vcc, s24, v1
	v_cndmask_b32_e32 v3, v3, v11, vcc
	v_cmp_ne_u32_e32 vcc, 0, v1
	v_cndmask_b32_e32 v1, v5, v3, vcc
	v_add_u32_e32 v3, 0x7fff, v1
	v_cmp_o_f32_e32 vcc, v1, v1
	v_cndmask_b32_sdwa v1, v10, v3, vcc dst_sel:DWORD dst_unused:UNUSED_PAD src0_sel:DWORD src1_sel:WORD_1
	s_mov_b64 s[24:25], -1
	s_branch .LBB167_2526
.LBB167_2525:
	s_mov_b64 s[0:1], -1
                                        ; implicit-def: $vgpr1
.LBB167_2526:
	v_mov_b32_e32 v3, 0
.LBB167_2527:
	s_mov_b64 s[26:27], 0
.LBB167_2528:
	s_and_b64 vcc, exec, s[26:27]
	s_cbranch_vccz .LBB167_2533
; %bb.2529:
	s_cmp_eq_u32 s33, 29
	s_cbranch_scc0 .LBB167_2531
; %bb.2530:
	global_load_dwordx2 v[10:11], v[8:9], off
	s_movk_i32 s24, 0x7fff
	s_mov_b64 s[0:1], 0
	s_waitcnt vmcnt(0)
	v_ffbh_u32_e32 v1, v11
	v_min_u32_e32 v1, 32, v1
	v_lshlrev_b64 v[10:11], v1, v[10:11]
	v_sub_u32_e32 v1, 32, v1
	v_min_u32_e32 v3, 1, v10
	v_or_b32_e32 v3, v11, v3
	v_cvt_f32_u32_e32 v3, v3
	v_ldexp_f32 v1, v3, v1
	v_bfe_u32 v3, v1, 16, 1
	v_add3_u32 v1, v1, v3, s24
	v_lshrrev_b32_e32 v1, 16, v1
	s_mov_b64 s[24:25], -1
	s_branch .LBB167_2532
.LBB167_2531:
	s_mov_b64 s[0:1], -1
                                        ; implicit-def: $vgpr1
.LBB167_2532:
	v_mov_b32_e32 v3, 0
.LBB167_2533:
	s_mov_b64 s[26:27], 0
.LBB167_2534:
	s_and_b64 vcc, exec, s[26:27]
	s_cbranch_vccz .LBB167_2552
; %bb.2535:
	s_cmp_lt_i32 s33, 27
	s_cbranch_scc1 .LBB167_2538
; %bb.2536:
	s_cmp_gt_i32 s33, 27
	s_cbranch_scc0 .LBB167_2539
; %bb.2537:
	global_load_dword v1, v[8:9], off
	s_movk_i32 s24, 0x7fff
	s_waitcnt vmcnt(0)
	v_cvt_f32_u32_e32 v1, v1
	v_bfe_u32 v3, v1, 16, 1
	v_add3_u32 v1, v1, v3, s24
	v_lshrrev_b32_e32 v1, 16, v1
	s_mov_b64 s[24:25], 0
	s_branch .LBB167_2540
.LBB167_2538:
	s_mov_b64 s[24:25], -1
                                        ; implicit-def: $vgpr1
	s_branch .LBB167_2543
.LBB167_2539:
	s_mov_b64 s[24:25], -1
                                        ; implicit-def: $vgpr1
.LBB167_2540:
	s_andn2_b64 vcc, exec, s[24:25]
	s_cbranch_vccnz .LBB167_2542
; %bb.2541:
	global_load_ushort v1, v[8:9], off
	s_movk_i32 s24, 0x7fff
	s_waitcnt vmcnt(0)
	v_cvt_f32_u32_e32 v1, v1
	v_bfe_u32 v3, v1, 16, 1
	v_add3_u32 v1, v1, v3, s24
	v_lshrrev_b32_e32 v1, 16, v1
.LBB167_2542:
	s_mov_b64 s[24:25], 0
.LBB167_2543:
	s_andn2_b64 vcc, exec, s[24:25]
	s_cbranch_vccnz .LBB167_2551
; %bb.2544:
	global_load_ubyte v1, v[8:9], off
	s_movk_i32 s24, 0x7f
	s_waitcnt vmcnt(0)
	v_cmp_lt_i16_e32 vcc, s24, v1
	s_mov_b64 s[24:25], 0
	s_and_saveexec_b64 s[26:27], vcc
	s_xor_b64 s[26:27], exec, s[26:27]
	s_cbranch_execz .LBB167_2577
; %bb.2545:
	s_movk_i32 s24, 0x80
	v_cmp_eq_u16_e32 vcc, s24, v1
	s_mov_b64 s[24:25], -1
	s_and_saveexec_b64 s[28:29], vcc
; %bb.2546:
	s_xor_b64 s[24:25], exec, -1
; %bb.2547:
	s_or_b64 exec, exec, s[28:29]
	s_and_b64 s[24:25], s[24:25], exec
	s_or_saveexec_b64 s[26:27], s[26:27]
	v_mov_b32_e32 v3, 0x7f800001
	s_xor_b64 exec, exec, s[26:27]
	s_cbranch_execnz .LBB167_2578
.LBB167_2548:
	s_or_b64 exec, exec, s[26:27]
	s_and_saveexec_b64 s[26:27], s[24:25]
	s_cbranch_execz .LBB167_2550
.LBB167_2549:
	v_lshlrev_b32_e32 v3, 24, v1
	v_and_b32_e32 v1, 0xffff, v1
	v_and_b32_e32 v5, 7, v1
	v_ffbh_u32_e32 v11, v5
	v_min_u32_e32 v11, 32, v11
	v_subrev_u32_e32 v12, 28, v11
	v_bfe_u32 v10, v1, 3, 4
	v_lshlrev_b32_e32 v1, v12, v1
	v_sub_u32_e32 v11, 29, v11
	v_and_b32_e32 v1, 7, v1
	v_cmp_eq_u32_e32 vcc, 0, v10
	v_cndmask_b32_e32 v10, v10, v11, vcc
	v_cndmask_b32_e32 v1, v5, v1, vcc
	v_mov_b32_e32 v5, 0x3b800000
	v_lshlrev_b32_e32 v1, 20, v1
	v_and_b32_e32 v3, 0x80000000, v3
	v_lshl_add_u32 v5, v10, 23, v5
	v_or3_b32 v3, v3, v5, v1
.LBB167_2550:
	s_or_b64 exec, exec, s[26:27]
	v_bfe_u32 v1, v3, 16, 1
	s_movk_i32 s24, 0x7fff
	v_add3_u32 v1, v3, v1, s24
	v_cmp_o_f32_e32 vcc, v3, v3
	v_mov_b32_e32 v3, 0x7fc0
	v_cndmask_b32_sdwa v1, v3, v1, vcc dst_sel:DWORD dst_unused:UNUSED_PAD src0_sel:DWORD src1_sel:WORD_1
.LBB167_2551:
	s_mov_b64 s[24:25], -1
	v_mov_b32_e32 v3, 0
.LBB167_2552:
	s_mov_b64 s[26:27], 0
.LBB167_2553:
	s_and_b64 vcc, exec, s[26:27]
	s_cbranch_vccz .LBB167_2564
; %bb.2554:
	s_cmp_gt_i32 s33, 22
	s_cbranch_scc0 .LBB167_2575
; %bb.2555:
	s_cmp_lt_i32 s33, 24
	s_cbranch_scc1 .LBB167_2579
; %bb.2556:
	s_cmp_gt_i32 s33, 24
	s_cbranch_scc0 .LBB167_2581
; %bb.2557:
	global_load_ubyte v1, v[8:9], off
	s_movk_i32 s10, 0x7f
	s_waitcnt vmcnt(0)
	v_cmp_lt_i16_e32 vcc, s10, v1
	s_mov_b64 s[10:11], 0
	s_and_saveexec_b64 s[24:25], vcc
	s_xor_b64 s[24:25], exec, s[24:25]
	s_cbranch_execz .LBB167_2593
; %bb.2558:
	s_movk_i32 s10, 0x80
	v_cmp_eq_u16_e32 vcc, s10, v1
	s_mov_b64 s[10:11], -1
	s_and_saveexec_b64 s[26:27], vcc
; %bb.2559:
	s_xor_b64 s[10:11], exec, -1
; %bb.2560:
	s_or_b64 exec, exec, s[26:27]
	s_and_b64 s[10:11], s[10:11], exec
	s_or_saveexec_b64 s[24:25], s[24:25]
	v_mov_b32_e32 v3, 0x7f800001
	s_xor_b64 exec, exec, s[24:25]
	s_cbranch_execnz .LBB167_2594
.LBB167_2561:
	s_or_b64 exec, exec, s[24:25]
	s_and_saveexec_b64 s[24:25], s[10:11]
	s_cbranch_execz .LBB167_2563
.LBB167_2562:
	v_lshlrev_b32_e32 v3, 24, v1
	v_and_b32_e32 v1, 0xffff, v1
	v_and_b32_e32 v5, 3, v1
	v_ffbh_u32_e32 v11, v5
	v_min_u32_e32 v11, 32, v11
	v_subrev_u32_e32 v12, 29, v11
	v_bfe_u32 v10, v1, 2, 5
	v_lshlrev_b32_e32 v1, v12, v1
	v_sub_u32_e32 v11, 30, v11
	v_and_b32_e32 v1, 3, v1
	v_cmp_eq_u32_e32 vcc, 0, v10
	v_cndmask_b32_e32 v10, v10, v11, vcc
	v_cndmask_b32_e32 v1, v5, v1, vcc
	v_mov_b32_e32 v5, 0x37800000
	v_lshlrev_b32_e32 v1, 21, v1
	v_and_b32_e32 v3, 0x80000000, v3
	v_lshl_add_u32 v5, v10, 23, v5
	v_or3_b32 v3, v3, v5, v1
.LBB167_2563:
	s_or_b64 exec, exec, s[24:25]
	v_bfe_u32 v1, v3, 16, 1
	s_movk_i32 s10, 0x7fff
	v_add3_u32 v1, v3, v1, s10
	v_cmp_o_f32_e32 vcc, v3, v3
	v_mov_b32_e32 v3, 0x7fc0
	v_cndmask_b32_sdwa v1, v3, v1, vcc dst_sel:DWORD dst_unused:UNUSED_PAD src0_sel:DWORD src1_sel:WORD_1
	s_mov_b64 s[10:11], 0
	s_branch .LBB167_2582
.LBB167_2564:
	s_and_b64 vcc, exec, s[0:1]
	s_cbranch_vccnz .LBB167_2612
.LBB167_2565:
	s_andn2_b64 vcc, exec, s[10:11]
	s_cbranch_vccnz .LBB167_2567
.LBB167_2566:
	global_load_ubyte v1, v[8:9], off
	s_mov_b64 s[24:25], -1
	v_mov_b32_e32 v3, 0
	s_waitcnt vmcnt(0)
	v_cmp_ne_u16_e32 vcc, 0, v1
	v_cndmask_b32_e64 v1, 0, 1.0, vcc
	v_lshrrev_b32_e32 v1, 16, v1
.LBB167_2567:
	s_mov_b64 s[0:1], 0
.LBB167_2568:
	s_and_b64 vcc, exec, s[0:1]
	s_cbranch_vccz .LBB167_2643
; %bb.2569:
	s_and_b32 s10, 0xffff, s30
	s_cmp_lt_i32 s10, 5
	s_cbranch_scc1 .LBB167_2574
; %bb.2570:
	s_cmp_lt_i32 s10, 8
	s_cbranch_scc1 .LBB167_2576
; %bb.2571:
	;; [unrolled: 3-line block ×3, first 2 shown]
	s_cmp_gt_i32 s10, 9
	s_cbranch_scc0 .LBB167_2595
; %bb.2573:
	global_load_dwordx4 v[10:13], v[8:9], off
	s_movk_i32 s0, 0x7fff
	v_mov_b32_e32 v5, 0x7fc0
	s_waitcnt vmcnt(0)
	v_cvt_f32_f64_e32 v1, v[10:11]
	v_cvt_f32_f64_e32 v3, v[12:13]
	v_mov_b32_e32 v10, 0x7fc00000
	v_bfe_u32 v11, v1, 16, 1
	v_bfe_u32 v12, v3, 16, 1
	v_cmp_o_f32_e32 vcc, v1, v1
	v_add3_u32 v1, v1, v11, s0
	v_add3_u32 v11, v3, v12, s0
	v_cndmask_b32_sdwa v1, v5, v1, vcc dst_sel:DWORD dst_unused:UNUSED_PAD src0_sel:DWORD src1_sel:WORD_1
	v_and_b32_e32 v5, 0xffff0000, v11
	v_cmp_o_f32_e32 vcc, v3, v3
	v_cndmask_b32_e32 v3, v10, v5, vcc
	s_mov_b64 s[0:1], 0
	s_branch .LBB167_2596
.LBB167_2574:
	s_mov_b64 s[0:1], -1
                                        ; implicit-def: $vgpr3
                                        ; implicit-def: $vgpr1
	s_branch .LBB167_2621
.LBB167_2575:
	s_mov_b64 s[10:11], -1
                                        ; implicit-def: $vgpr1
	s_branch .LBB167_2588
.LBB167_2576:
	s_mov_b64 s[0:1], -1
                                        ; implicit-def: $vgpr3
                                        ; implicit-def: $vgpr1
	s_branch .LBB167_2602
.LBB167_2577:
	s_or_saveexec_b64 s[26:27], s[26:27]
	v_mov_b32_e32 v3, 0x7f800001
	s_xor_b64 exec, exec, s[26:27]
	s_cbranch_execz .LBB167_2548
.LBB167_2578:
	v_cmp_ne_u16_e32 vcc, 0, v1
	s_andn2_b64 s[24:25], s[24:25], exec
	s_and_b64 s[28:29], vcc, exec
	v_mov_b32_e32 v3, 0
	s_or_b64 s[24:25], s[24:25], s[28:29]
	s_or_b64 exec, exec, s[26:27]
	s_and_saveexec_b64 s[26:27], s[24:25]
	s_cbranch_execnz .LBB167_2549
	s_branch .LBB167_2550
.LBB167_2579:
	s_mov_b64 s[10:11], -1
                                        ; implicit-def: $vgpr1
	s_branch .LBB167_2585
.LBB167_2580:
	s_mov_b64 s[0:1], -1
                                        ; implicit-def: $vgpr3
                                        ; implicit-def: $vgpr1
	s_branch .LBB167_2599
.LBB167_2581:
	s_mov_b64 s[10:11], -1
                                        ; implicit-def: $vgpr1
.LBB167_2582:
	s_and_b64 vcc, exec, s[10:11]
	s_cbranch_vccz .LBB167_2584
; %bb.2583:
	global_load_ubyte v1, v[8:9], off
	s_mov_b32 s10, 0x7f800000
	s_brev_b32 s11, 1
	s_movk_i32 s24, 0x7fff
	s_waitcnt vmcnt(0)
	v_lshlrev_b32_e32 v1, 24, v1
	v_and_b32_e32 v3, 0x7f000000, v1
	v_ffbh_u32_e32 v5, v3
	v_min_u32_e32 v5, 32, v5
	v_sub_u32_e64 v5, v5, 4 clamp
	v_lshlrev_b32_e32 v11, v5, v3
	v_lshlrev_b32_e32 v5, 23, v5
	v_lshrrev_b32_e32 v11, 4, v11
	v_add_u32_e32 v10, 0x1000000, v3
	v_sub_u32_e32 v5, v11, v5
	v_ashrrev_i32_e32 v10, 8, v10
	v_add_u32_e32 v5, 0x3c000000, v5
	v_and_or_b32 v5, v10, s10, v5
	v_cmp_ne_u32_e32 vcc, 0, v3
	v_cndmask_b32_e32 v3, 0, v5, vcc
	v_and_or_b32 v1, v1, s11, v3
	v_bfe_u32 v3, v3, 16, 1
	v_add3_u32 v3, v1, v3, s24
	v_cmp_o_f32_e32 vcc, v1, v1
	v_mov_b32_e32 v1, 0x7fc0
	v_cndmask_b32_sdwa v1, v1, v3, vcc dst_sel:DWORD dst_unused:UNUSED_PAD src0_sel:DWORD src1_sel:WORD_1
.LBB167_2584:
	s_mov_b64 s[10:11], 0
.LBB167_2585:
	s_andn2_b64 vcc, exec, s[10:11]
	s_cbranch_vccnz .LBB167_2587
; %bb.2586:
	global_load_ubyte v1, v[8:9], off
	s_movk_i32 s10, 0x7f00
	s_brev_b32 s11, 16
	s_brev_b32 s24, 1
	s_movk_i32 s25, 0x7fff
	s_waitcnt vmcnt(0)
	v_lshlrev_b16_e32 v3, 8, v1
	v_lshlrev_b32_e32 v1, 25, v1
	v_lshrrev_b32_e32 v5, 4, v1
	v_and_or_b32 v10, v3, s10, 0.5
	v_or_b32_e32 v5, 0x70000000, v5
	v_add_f32_e32 v10, -0.5, v10
	v_mul_f32_e32 v5, 0x7800000, v5
	v_cmp_gt_u32_e32 vcc, s11, v1
	v_bfe_i32 v3, v3, 0, 16
	v_cndmask_b32_e32 v1, v5, v10, vcc
	v_and_or_b32 v3, v3, s24, v1
	v_bfe_u32 v1, v1, 16, 1
	v_add3_u32 v1, v3, v1, s25
	v_cmp_o_f32_e32 vcc, v3, v3
	v_mov_b32_e32 v3, 0x7fc0
	v_cndmask_b32_sdwa v1, v3, v1, vcc dst_sel:DWORD dst_unused:UNUSED_PAD src0_sel:DWORD src1_sel:WORD_1
.LBB167_2587:
	s_mov_b64 s[10:11], 0
	s_mov_b64 s[24:25], -1
.LBB167_2588:
	s_andn2_b64 vcc, exec, s[10:11]
	s_mov_b64 s[10:11], 0
	s_cbranch_vccnz .LBB167_2611
; %bb.2589:
	s_cmp_gt_i32 s33, 14
	s_cbranch_scc0 .LBB167_2592
; %bb.2590:
	s_cmp_eq_u32 s33, 15
	s_cbranch_scc0 .LBB167_2607
; %bb.2591:
	global_load_ushort v1, v[8:9], off
	s_mov_b64 s[0:1], 0
	s_mov_b64 s[24:25], -1
	s_branch .LBB167_2608
.LBB167_2592:
	s_mov_b64 s[26:27], -1
                                        ; implicit-def: $vgpr1
	s_branch .LBB167_2609
.LBB167_2593:
	s_or_saveexec_b64 s[24:25], s[24:25]
	v_mov_b32_e32 v3, 0x7f800001
	s_xor_b64 exec, exec, s[24:25]
	s_cbranch_execz .LBB167_2561
.LBB167_2594:
	v_cmp_ne_u16_e32 vcc, 0, v1
	s_andn2_b64 s[10:11], s[10:11], exec
	s_and_b64 s[26:27], vcc, exec
	v_mov_b32_e32 v3, 0
	s_or_b64 s[10:11], s[10:11], s[26:27]
	s_or_b64 exec, exec, s[24:25]
	s_and_saveexec_b64 s[24:25], s[10:11]
	s_cbranch_execnz .LBB167_2562
	s_branch .LBB167_2563
.LBB167_2595:
	s_mov_b64 s[0:1], -1
                                        ; implicit-def: $vgpr3
                                        ; implicit-def: $vgpr1
.LBB167_2596:
	s_andn2_b64 vcc, exec, s[0:1]
	s_cbranch_vccnz .LBB167_2598
; %bb.2597:
	global_load_dwordx2 v[10:11], v[8:9], off
	s_movk_i32 s0, 0x7fff
	s_waitcnt vmcnt(1)
	v_mov_b32_e32 v1, 0x7fc0
	v_mov_b32_e32 v3, 0x7fc00000
	s_waitcnt vmcnt(0)
	v_bfe_u32 v5, v10, 16, 1
	v_bfe_u32 v12, v11, 16, 1
	v_cmp_o_f32_e32 vcc, v10, v10
	v_add3_u32 v5, v10, v5, s0
	v_add3_u32 v10, v11, v12, s0
	v_cndmask_b32_sdwa v1, v1, v5, vcc dst_sel:DWORD dst_unused:UNUSED_PAD src0_sel:DWORD src1_sel:WORD_1
	v_and_b32_e32 v5, 0xffff0000, v10
	v_cmp_o_f32_e32 vcc, v11, v11
	v_cndmask_b32_e32 v3, v3, v5, vcc
.LBB167_2598:
	s_mov_b64 s[0:1], 0
.LBB167_2599:
	s_andn2_b64 vcc, exec, s[0:1]
	s_cbranch_vccnz .LBB167_2601
; %bb.2600:
	global_load_dword v3, v[8:9], off
	s_movk_i32 s0, 0x7fff
	s_waitcnt vmcnt(1)
	v_mov_b32_e32 v1, 0x7fc0
	v_mov_b32_e32 v11, 0x7fc00000
	s_waitcnt vmcnt(0)
	v_cvt_f32_f16_e32 v5, v3
	v_cvt_f32_f16_sdwa v10, v3 dst_sel:DWORD dst_unused:UNUSED_PAD src0_sel:WORD_1
	v_cmp_o_f16_e32 vcc, v3, v3
	v_bfe_u32 v12, v5, 16, 1
	v_bfe_u32 v13, v10, 16, 1
	v_add3_u32 v5, v5, v12, s0
	v_add3_u32 v10, v10, v13, s0
	v_cndmask_b32_sdwa v1, v1, v5, vcc dst_sel:DWORD dst_unused:UNUSED_PAD src0_sel:DWORD src1_sel:WORD_1
	v_and_b32_e32 v5, 0xffff0000, v10
	v_cmp_o_f16_sdwa vcc, v3, v3 src0_sel:WORD_1 src1_sel:WORD_1
	v_cndmask_b32_e32 v3, v11, v5, vcc
.LBB167_2601:
	s_mov_b64 s[0:1], 0
.LBB167_2602:
	s_andn2_b64 vcc, exec, s[0:1]
	s_cbranch_vccnz .LBB167_2620
; %bb.2603:
	s_cmp_lt_i32 s10, 6
	s_cbranch_scc1 .LBB167_2606
; %bb.2604:
	s_cmp_gt_i32 s10, 6
	s_cbranch_scc0 .LBB167_2613
; %bb.2605:
	global_load_dwordx2 v[10:11], v[8:9], off
	s_movk_i32 s0, 0x7fff
	v_mov_b32_e32 v3, 0x7fc0
	s_waitcnt vmcnt(0)
	v_cvt_f32_f64_e32 v1, v[10:11]
	v_bfe_u32 v5, v1, 16, 1
	v_cmp_o_f32_e32 vcc, v1, v1
	v_add3_u32 v1, v1, v5, s0
	v_cndmask_b32_sdwa v1, v3, v1, vcc dst_sel:DWORD dst_unused:UNUSED_PAD src0_sel:DWORD src1_sel:WORD_1
	s_mov_b64 s[0:1], 0
	s_branch .LBB167_2614
.LBB167_2606:
	s_mov_b64 s[0:1], -1
                                        ; implicit-def: $vgpr1
	s_branch .LBB167_2617
.LBB167_2607:
	s_mov_b64 s[0:1], -1
                                        ; implicit-def: $vgpr1
.LBB167_2608:
	s_mov_b64 s[26:27], 0
.LBB167_2609:
	s_and_b64 vcc, exec, s[26:27]
	s_cbranch_vccz .LBB167_2611
; %bb.2610:
	s_cmp_lg_u32 s33, 11
	s_mov_b64 s[10:11], -1
	s_cselect_b64 s[0:1], -1, 0
.LBB167_2611:
	v_mov_b32_e32 v3, 0
	s_and_b64 vcc, exec, s[0:1]
	s_cbranch_vccz .LBB167_2565
.LBB167_2612:
	s_trap 2
	s_or_b64 s[4:5], s[4:5], exec
	s_cbranch_execz .LBB167_2566
	s_branch .LBB167_2567
.LBB167_2613:
	s_mov_b64 s[0:1], -1
                                        ; implicit-def: $vgpr1
.LBB167_2614:
	s_andn2_b64 vcc, exec, s[0:1]
	s_cbranch_vccnz .LBB167_2616
; %bb.2615:
	global_load_dword v1, v[8:9], off
	s_movk_i32 s0, 0x7fff
	v_mov_b32_e32 v3, 0x7fc0
	s_waitcnt vmcnt(0)
	v_bfe_u32 v5, v1, 16, 1
	v_cmp_o_f32_e32 vcc, v1, v1
	v_add3_u32 v1, v1, v5, s0
	v_cndmask_b32_sdwa v1, v3, v1, vcc dst_sel:DWORD dst_unused:UNUSED_PAD src0_sel:DWORD src1_sel:WORD_1
.LBB167_2616:
	s_mov_b64 s[0:1], 0
.LBB167_2617:
	s_andn2_b64 vcc, exec, s[0:1]
	s_cbranch_vccnz .LBB167_2619
; %bb.2618:
	global_load_ushort v1, v[8:9], off
	s_movk_i32 s0, 0x7fff
	v_mov_b32_e32 v5, 0x7fc0
	s_waitcnt vmcnt(0)
	v_cvt_f32_f16_e32 v3, v1
	v_cmp_o_f16_e32 vcc, v1, v1
	v_bfe_u32 v1, v3, 16, 1
	v_add3_u32 v1, v3, v1, s0
	v_cndmask_b32_sdwa v1, v5, v1, vcc dst_sel:DWORD dst_unused:UNUSED_PAD src0_sel:DWORD src1_sel:WORD_1
.LBB167_2619:
	v_mov_b32_e32 v3, 0
.LBB167_2620:
	s_mov_b64 s[0:1], 0
.LBB167_2621:
	s_andn2_b64 vcc, exec, s[0:1]
	s_cbranch_vccnz .LBB167_2642
; %bb.2622:
	s_cmp_lt_i32 s10, 2
	s_cbranch_scc1 .LBB167_2626
; %bb.2623:
	s_cmp_lt_i32 s10, 3
	s_cbranch_scc1 .LBB167_2627
; %bb.2624:
	s_cmp_gt_i32 s10, 3
	s_cbranch_scc0 .LBB167_2628
; %bb.2625:
	global_load_dwordx2 v[10:11], v[8:9], off
	s_movk_i32 s0, 0x7fff
	s_waitcnt vmcnt(0)
	v_xor_b32_e32 v3, v10, v11
	v_ffbh_i32_e32 v1, v11
	v_ashrrev_i32_e32 v3, 31, v3
	v_add_u32_e32 v1, -1, v1
	v_add_u32_e32 v3, 32, v3
	v_min_u32_e32 v1, v1, v3
	v_lshlrev_b64 v[10:11], v1, v[10:11]
	v_sub_u32_e32 v1, 32, v1
	v_min_u32_e32 v3, 1, v10
	v_or_b32_e32 v3, v11, v3
	v_cvt_f32_i32_e32 v3, v3
	v_ldexp_f32 v1, v3, v1
	v_bfe_u32 v3, v1, 16, 1
	v_add3_u32 v1, v1, v3, s0
	v_lshrrev_b32_e32 v1, 16, v1
	s_mov_b64 s[0:1], 0
	s_branch .LBB167_2629
.LBB167_2626:
	s_mov_b64 s[0:1], -1
                                        ; implicit-def: $vgpr1
	s_branch .LBB167_2635
.LBB167_2627:
	s_mov_b64 s[0:1], -1
                                        ; implicit-def: $vgpr1
	s_branch .LBB167_2632
.LBB167_2628:
	s_mov_b64 s[0:1], -1
                                        ; implicit-def: $vgpr1
.LBB167_2629:
	s_andn2_b64 vcc, exec, s[0:1]
	s_cbranch_vccnz .LBB167_2631
; %bb.2630:
	global_load_dword v1, v[8:9], off
	s_movk_i32 s0, 0x7fff
	s_waitcnt vmcnt(0)
	v_cvt_f32_i32_e32 v1, v1
	v_bfe_u32 v3, v1, 16, 1
	v_add3_u32 v1, v1, v3, s0
	v_lshrrev_b32_e32 v1, 16, v1
.LBB167_2631:
	s_mov_b64 s[0:1], 0
.LBB167_2632:
	s_andn2_b64 vcc, exec, s[0:1]
	s_cbranch_vccnz .LBB167_2634
; %bb.2633:
	global_load_sshort v1, v[8:9], off
	s_movk_i32 s0, 0x7fff
	s_waitcnt vmcnt(0)
	v_cvt_f32_i32_e32 v1, v1
	v_bfe_u32 v3, v1, 16, 1
	v_add3_u32 v1, v1, v3, s0
	v_lshrrev_b32_e32 v1, 16, v1
.LBB167_2634:
	s_mov_b64 s[0:1], 0
.LBB167_2635:
	s_andn2_b64 vcc, exec, s[0:1]
	s_cbranch_vccnz .LBB167_2641
; %bb.2636:
	s_cmp_gt_i32 s10, 0
	s_cbranch_scc0 .LBB167_2638
; %bb.2637:
	global_load_sbyte v1, v[8:9], off
	s_movk_i32 s0, 0x7fff
	s_waitcnt vmcnt(0)
	v_cvt_f32_i32_e32 v1, v1
	v_bfe_u32 v3, v1, 16, 1
	v_add3_u32 v1, v1, v3, s0
	v_lshrrev_b32_e32 v1, 16, v1
	s_mov_b64 s[0:1], 0
	s_branch .LBB167_2639
.LBB167_2638:
	s_mov_b64 s[0:1], -1
                                        ; implicit-def: $vgpr1
.LBB167_2639:
	s_andn2_b64 vcc, exec, s[0:1]
	s_cbranch_vccnz .LBB167_2641
; %bb.2640:
	global_load_ubyte v1, v[8:9], off
	s_movk_i32 s0, 0x7fff
	s_waitcnt vmcnt(0)
	v_cvt_f32_ubyte0_e32 v1, v1
	v_bfe_u32 v3, v1, 16, 1
	v_add3_u32 v1, v1, v3, s0
	v_lshrrev_b32_e32 v1, 16, v1
.LBB167_2641:
	v_mov_b32_e32 v3, 0
.LBB167_2642:
	s_mov_b64 s[24:25], -1
.LBB167_2643:
	s_andn2_b64 vcc, exec, s[24:25]
	s_cbranch_vccnz .LBB167_2781
; %bb.2644:
	v_mov_b32_e32 v5, s17
	v_add_co_u32_e32 v7, vcc, s16, v7
	s_cmp_lt_i32 s31, 11
	v_addc_co_u32_e32 v8, vcc, 0, v5, vcc
	s_cbranch_scc1 .LBB167_2651
; %bb.2645:
	s_and_b32 s28, 0xffff, s31
	s_cmp_gt_i32 s28, 25
	s_mov_b64 s[10:11], 0
	s_cbranch_scc0 .LBB167_2652
; %bb.2646:
	s_cmp_gt_i32 s28, 28
	s_cbranch_scc0 .LBB167_2653
; %bb.2647:
	s_cmp_gt_i32 s28, 43
	;; [unrolled: 3-line block ×3, first 2 shown]
	s_cbranch_scc0 .LBB167_2655
; %bb.2649:
	s_cmp_eq_u32 s28, 46
	s_mov_b64 s[24:25], 0
	s_cbranch_scc0 .LBB167_2656
; %bb.2650:
	global_load_dword v5, v[7:8], off
	s_mov_b64 s[0:1], 0
	s_mov_b64 s[16:17], -1
	s_waitcnt vmcnt(0)
	v_and_b32_e32 v9, 0xffff0000, v5
	s_branch .LBB167_2657
.LBB167_2651:
	s_mov_b64 s[0:1], -1
	s_mov_b64 s[16:17], 0
                                        ; implicit-def: $vgpr9
                                        ; implicit-def: $vgpr5
	s_branch .LBB167_2703
.LBB167_2652:
	s_mov_b64 s[24:25], -1
	s_mov_b64 s[16:17], 0
	s_mov_b64 s[0:1], 0
                                        ; implicit-def: $vgpr9
                                        ; implicit-def: $vgpr5
	s_branch .LBB167_2688
.LBB167_2653:
	s_mov_b64 s[24:25], -1
	s_mov_b64 s[16:17], 0
	s_mov_b64 s[0:1], 0
                                        ; implicit-def: $vgpr9
                                        ; implicit-def: $vgpr5
	s_branch .LBB167_2669
.LBB167_2654:
	s_mov_b64 s[24:25], -1
	s_mov_b64 s[16:17], 0
	s_mov_b64 s[0:1], 0
                                        ; implicit-def: $vgpr9
                                        ; implicit-def: $vgpr5
	s_branch .LBB167_2663
.LBB167_2655:
	s_mov_b64 s[24:25], -1
	s_mov_b64 s[16:17], 0
	s_mov_b64 s[0:1], 0
                                        ; implicit-def: $vgpr9
                                        ; implicit-def: $vgpr5
	s_branch .LBB167_2657
.LBB167_2656:
	s_mov_b64 s[0:1], -1
                                        ; implicit-def: $vgpr9
                                        ; implicit-def: $vgpr5
	s_mov_b64 s[16:17], 0
.LBB167_2657:
	s_and_b64 vcc, exec, s[24:25]
	s_cbranch_vccz .LBB167_2662
; %bb.2658:
	s_cmp_eq_u32 s28, 44
	s_cbranch_scc0 .LBB167_2660
; %bb.2659:
	global_load_ubyte v5, v[7:8], off
	s_movk_i32 s16, 0xff
	v_mov_b32_e32 v9, 0x7f800001
	v_mov_b32_e32 v10, 0x400000
	;; [unrolled: 1-line block ×3, first 2 shown]
	s_mov_b64 s[0:1], 0
	s_waitcnt vmcnt(0)
	v_lshlrev_b32_e32 v12, 23, v5
	v_cmp_ne_u32_e32 vcc, s16, v5
	v_cndmask_b32_e32 v9, v9, v12, vcc
	v_cmp_ne_u32_e32 vcc, 0, v5
	v_cndmask_b32_e32 v5, v10, v9, vcc
	v_add_u32_e32 v9, 0x7fff, v5
	v_cmp_o_f32_e32 vcc, v5, v5
	v_cndmask_b32_sdwa v5, v11, v9, vcc dst_sel:DWORD dst_unused:UNUSED_PAD src0_sel:DWORD src1_sel:WORD_1
	s_mov_b64 s[16:17], -1
	s_branch .LBB167_2661
.LBB167_2660:
	s_mov_b64 s[0:1], -1
                                        ; implicit-def: $vgpr5
.LBB167_2661:
	v_mov_b32_e32 v9, 0
.LBB167_2662:
	s_mov_b64 s[24:25], 0
.LBB167_2663:
	s_and_b64 vcc, exec, s[24:25]
	s_cbranch_vccz .LBB167_2668
; %bb.2664:
	s_cmp_eq_u32 s28, 29
	s_cbranch_scc0 .LBB167_2666
; %bb.2665:
	global_load_dwordx2 v[9:10], v[7:8], off
	s_movk_i32 s16, 0x7fff
	s_mov_b64 s[0:1], 0
	s_waitcnt vmcnt(0)
	v_ffbh_u32_e32 v5, v10
	v_min_u32_e32 v5, 32, v5
	v_lshlrev_b64 v[9:10], v5, v[9:10]
	v_sub_u32_e32 v5, 32, v5
	v_min_u32_e32 v9, 1, v9
	v_or_b32_e32 v9, v10, v9
	v_cvt_f32_u32_e32 v9, v9
	v_ldexp_f32 v5, v9, v5
	v_bfe_u32 v9, v5, 16, 1
	v_add3_u32 v5, v5, v9, s16
	v_lshrrev_b32_e32 v5, 16, v5
	s_mov_b64 s[16:17], -1
	s_branch .LBB167_2667
.LBB167_2666:
	s_mov_b64 s[0:1], -1
                                        ; implicit-def: $vgpr5
.LBB167_2667:
	v_mov_b32_e32 v9, 0
.LBB167_2668:
	s_mov_b64 s[24:25], 0
.LBB167_2669:
	s_and_b64 vcc, exec, s[24:25]
	s_cbranch_vccz .LBB167_2687
; %bb.2670:
	s_cmp_lt_i32 s28, 27
	s_cbranch_scc1 .LBB167_2673
; %bb.2671:
	s_cmp_gt_i32 s28, 27
	s_cbranch_scc0 .LBB167_2674
; %bb.2672:
	global_load_dword v5, v[7:8], off
	s_movk_i32 s16, 0x7fff
	s_waitcnt vmcnt(0)
	v_cvt_f32_u32_e32 v5, v5
	v_bfe_u32 v9, v5, 16, 1
	v_add3_u32 v5, v5, v9, s16
	v_lshrrev_b32_e32 v5, 16, v5
	s_mov_b64 s[16:17], 0
	s_branch .LBB167_2675
.LBB167_2673:
	s_mov_b64 s[16:17], -1
                                        ; implicit-def: $vgpr5
	s_branch .LBB167_2678
.LBB167_2674:
	s_mov_b64 s[16:17], -1
                                        ; implicit-def: $vgpr5
.LBB167_2675:
	s_andn2_b64 vcc, exec, s[16:17]
	s_cbranch_vccnz .LBB167_2677
; %bb.2676:
	global_load_ushort v5, v[7:8], off
	s_movk_i32 s16, 0x7fff
	s_waitcnt vmcnt(0)
	v_cvt_f32_u32_e32 v5, v5
	v_bfe_u32 v9, v5, 16, 1
	v_add3_u32 v5, v5, v9, s16
	v_lshrrev_b32_e32 v5, 16, v5
.LBB167_2677:
	s_mov_b64 s[16:17], 0
.LBB167_2678:
	s_andn2_b64 vcc, exec, s[16:17]
	s_cbranch_vccnz .LBB167_2686
; %bb.2679:
	global_load_ubyte v5, v[7:8], off
	s_movk_i32 s16, 0x7f
	s_waitcnt vmcnt(0)
	v_cmp_lt_i16_e32 vcc, s16, v5
	s_mov_b64 s[16:17], 0
	s_and_saveexec_b64 s[24:25], vcc
	s_xor_b64 s[24:25], exec, s[24:25]
	s_cbranch_execz .LBB167_2712
; %bb.2680:
	s_movk_i32 s16, 0x80
	v_cmp_eq_u16_e32 vcc, s16, v5
	s_mov_b64 s[16:17], -1
	s_and_saveexec_b64 s[26:27], vcc
; %bb.2681:
	s_xor_b64 s[16:17], exec, -1
; %bb.2682:
	s_or_b64 exec, exec, s[26:27]
	s_and_b64 s[16:17], s[16:17], exec
	s_or_saveexec_b64 s[24:25], s[24:25]
	v_mov_b32_e32 v9, 0x7f800001
	s_xor_b64 exec, exec, s[24:25]
	s_cbranch_execnz .LBB167_2713
.LBB167_2683:
	s_or_b64 exec, exec, s[24:25]
	s_and_saveexec_b64 s[24:25], s[16:17]
	s_cbranch_execz .LBB167_2685
.LBB167_2684:
	v_lshlrev_b32_e32 v9, 24, v5
	v_and_b32_e32 v5, 0xffff, v5
	v_and_b32_e32 v10, 7, v5
	v_ffbh_u32_e32 v12, v10
	v_min_u32_e32 v12, 32, v12
	v_subrev_u32_e32 v13, 28, v12
	v_bfe_u32 v11, v5, 3, 4
	v_lshlrev_b32_e32 v5, v13, v5
	v_sub_u32_e32 v12, 29, v12
	v_and_b32_e32 v5, 7, v5
	v_cmp_eq_u32_e32 vcc, 0, v11
	v_cndmask_b32_e32 v11, v11, v12, vcc
	v_cndmask_b32_e32 v5, v10, v5, vcc
	v_mov_b32_e32 v10, 0x3b800000
	v_lshlrev_b32_e32 v5, 20, v5
	v_and_b32_e32 v9, 0x80000000, v9
	v_lshl_add_u32 v10, v11, 23, v10
	v_or3_b32 v9, v9, v10, v5
.LBB167_2685:
	s_or_b64 exec, exec, s[24:25]
	v_bfe_u32 v5, v9, 16, 1
	s_movk_i32 s16, 0x7fff
	v_add3_u32 v5, v9, v5, s16
	v_cmp_o_f32_e32 vcc, v9, v9
	v_mov_b32_e32 v9, 0x7fc0
	v_cndmask_b32_sdwa v5, v9, v5, vcc dst_sel:DWORD dst_unused:UNUSED_PAD src0_sel:DWORD src1_sel:WORD_1
.LBB167_2686:
	s_mov_b64 s[16:17], -1
	v_mov_b32_e32 v9, 0
.LBB167_2687:
	s_mov_b64 s[24:25], 0
.LBB167_2688:
	s_and_b64 vcc, exec, s[24:25]
	s_cbranch_vccz .LBB167_2699
; %bb.2689:
	s_cmp_gt_i32 s28, 22
	s_cbranch_scc0 .LBB167_2710
; %bb.2690:
	s_cmp_lt_i32 s28, 24
	s_cbranch_scc1 .LBB167_2714
; %bb.2691:
	s_cmp_gt_i32 s28, 24
	s_cbranch_scc0 .LBB167_2716
; %bb.2692:
	global_load_ubyte v5, v[7:8], off
	s_movk_i32 s10, 0x7f
	s_waitcnt vmcnt(0)
	v_cmp_lt_i16_e32 vcc, s10, v5
	s_mov_b64 s[10:11], 0
	s_and_saveexec_b64 s[16:17], vcc
	s_xor_b64 s[16:17], exec, s[16:17]
	s_cbranch_execz .LBB167_2728
; %bb.2693:
	s_movk_i32 s10, 0x80
	v_cmp_eq_u16_e32 vcc, s10, v5
	s_mov_b64 s[10:11], -1
	s_and_saveexec_b64 s[24:25], vcc
; %bb.2694:
	s_xor_b64 s[10:11], exec, -1
; %bb.2695:
	s_or_b64 exec, exec, s[24:25]
	s_and_b64 s[10:11], s[10:11], exec
	s_or_saveexec_b64 s[16:17], s[16:17]
	v_mov_b32_e32 v9, 0x7f800001
	s_xor_b64 exec, exec, s[16:17]
	s_cbranch_execnz .LBB167_2729
.LBB167_2696:
	s_or_b64 exec, exec, s[16:17]
	s_and_saveexec_b64 s[16:17], s[10:11]
	s_cbranch_execz .LBB167_2698
.LBB167_2697:
	v_lshlrev_b32_e32 v9, 24, v5
	v_and_b32_e32 v5, 0xffff, v5
	v_and_b32_e32 v10, 3, v5
	v_ffbh_u32_e32 v12, v10
	v_min_u32_e32 v12, 32, v12
	v_subrev_u32_e32 v13, 29, v12
	v_bfe_u32 v11, v5, 2, 5
	v_lshlrev_b32_e32 v5, v13, v5
	v_sub_u32_e32 v12, 30, v12
	v_and_b32_e32 v5, 3, v5
	v_cmp_eq_u32_e32 vcc, 0, v11
	v_cndmask_b32_e32 v11, v11, v12, vcc
	v_cndmask_b32_e32 v5, v10, v5, vcc
	v_mov_b32_e32 v10, 0x37800000
	v_lshlrev_b32_e32 v5, 21, v5
	v_and_b32_e32 v9, 0x80000000, v9
	v_lshl_add_u32 v10, v11, 23, v10
	v_or3_b32 v9, v9, v10, v5
.LBB167_2698:
	s_or_b64 exec, exec, s[16:17]
	v_bfe_u32 v5, v9, 16, 1
	s_movk_i32 s10, 0x7fff
	v_add3_u32 v5, v9, v5, s10
	v_cmp_o_f32_e32 vcc, v9, v9
	v_mov_b32_e32 v9, 0x7fc0
	v_cndmask_b32_sdwa v5, v9, v5, vcc dst_sel:DWORD dst_unused:UNUSED_PAD src0_sel:DWORD src1_sel:WORD_1
	s_mov_b64 s[10:11], 0
	s_branch .LBB167_2717
.LBB167_2699:
	s_and_b64 vcc, exec, s[0:1]
	s_cbranch_vccnz .LBB167_2747
.LBB167_2700:
	s_andn2_b64 vcc, exec, s[10:11]
	s_cbranch_vccnz .LBB167_2702
.LBB167_2701:
	global_load_ubyte v5, v[7:8], off
	s_mov_b64 s[16:17], -1
	v_mov_b32_e32 v9, 0
	s_waitcnt vmcnt(0)
	v_cmp_ne_u16_e32 vcc, 0, v5
	v_cndmask_b32_e64 v5, 0, 1.0, vcc
	v_lshrrev_b32_e32 v5, 16, v5
.LBB167_2702:
	s_mov_b64 s[0:1], 0
.LBB167_2703:
	s_and_b64 vcc, exec, s[0:1]
	s_cbranch_vccz .LBB167_2778
; %bb.2704:
	s_and_b32 s10, 0xffff, s31
	s_cmp_lt_i32 s10, 5
	s_cbranch_scc1 .LBB167_2709
; %bb.2705:
	s_cmp_lt_i32 s10, 8
	s_cbranch_scc1 .LBB167_2711
; %bb.2706:
	;; [unrolled: 3-line block ×3, first 2 shown]
	s_cmp_gt_i32 s10, 9
	s_cbranch_scc0 .LBB167_2730
; %bb.2708:
	global_load_dwordx4 v[9:12], v[7:8], off
	s_movk_i32 s0, 0x7fff
	s_waitcnt vmcnt(0)
	v_cvt_f32_f64_e32 v5, v[9:10]
	v_cvt_f32_f64_e32 v9, v[11:12]
	v_mov_b32_e32 v10, 0x7fc0
	v_mov_b32_e32 v11, 0x7fc00000
	v_bfe_u32 v12, v5, 16, 1
	v_bfe_u32 v13, v9, 16, 1
	v_cmp_o_f32_e32 vcc, v5, v5
	v_add3_u32 v5, v5, v12, s0
	v_add3_u32 v12, v9, v13, s0
	v_cndmask_b32_sdwa v5, v10, v5, vcc dst_sel:DWORD dst_unused:UNUSED_PAD src0_sel:DWORD src1_sel:WORD_1
	v_and_b32_e32 v10, 0xffff0000, v12
	v_cmp_o_f32_e32 vcc, v9, v9
	v_cndmask_b32_e32 v9, v11, v10, vcc
	s_mov_b64 s[0:1], 0
	s_branch .LBB167_2731
.LBB167_2709:
	s_mov_b64 s[0:1], -1
                                        ; implicit-def: $vgpr9
                                        ; implicit-def: $vgpr5
	s_branch .LBB167_2756
.LBB167_2710:
	s_mov_b64 s[10:11], -1
                                        ; implicit-def: $vgpr5
	s_branch .LBB167_2723
.LBB167_2711:
	s_mov_b64 s[0:1], -1
                                        ; implicit-def: $vgpr9
                                        ; implicit-def: $vgpr5
	s_branch .LBB167_2737
.LBB167_2712:
	s_or_saveexec_b64 s[24:25], s[24:25]
	v_mov_b32_e32 v9, 0x7f800001
	s_xor_b64 exec, exec, s[24:25]
	s_cbranch_execz .LBB167_2683
.LBB167_2713:
	v_cmp_ne_u16_e32 vcc, 0, v5
	s_andn2_b64 s[16:17], s[16:17], exec
	s_and_b64 s[26:27], vcc, exec
	v_mov_b32_e32 v9, 0
	s_or_b64 s[16:17], s[16:17], s[26:27]
	s_or_b64 exec, exec, s[24:25]
	s_and_saveexec_b64 s[24:25], s[16:17]
	s_cbranch_execnz .LBB167_2684
	s_branch .LBB167_2685
.LBB167_2714:
	s_mov_b64 s[10:11], -1
                                        ; implicit-def: $vgpr5
	s_branch .LBB167_2720
.LBB167_2715:
	s_mov_b64 s[0:1], -1
                                        ; implicit-def: $vgpr9
                                        ; implicit-def: $vgpr5
	s_branch .LBB167_2734
.LBB167_2716:
	s_mov_b64 s[10:11], -1
                                        ; implicit-def: $vgpr5
.LBB167_2717:
	s_and_b64 vcc, exec, s[10:11]
	s_cbranch_vccz .LBB167_2719
; %bb.2718:
	global_load_ubyte v5, v[7:8], off
	s_mov_b32 s10, 0x7f800000
	s_brev_b32 s11, 1
	s_movk_i32 s16, 0x7fff
	s_waitcnt vmcnt(0)
	v_lshlrev_b32_e32 v5, 24, v5
	v_and_b32_e32 v9, 0x7f000000, v5
	v_ffbh_u32_e32 v10, v9
	v_min_u32_e32 v10, 32, v10
	v_sub_u32_e64 v10, v10, 4 clamp
	v_lshlrev_b32_e32 v12, v10, v9
	v_lshlrev_b32_e32 v10, 23, v10
	v_lshrrev_b32_e32 v12, 4, v12
	v_add_u32_e32 v11, 0x1000000, v9
	v_sub_u32_e32 v10, v12, v10
	v_ashrrev_i32_e32 v11, 8, v11
	v_add_u32_e32 v10, 0x3c000000, v10
	v_and_or_b32 v10, v11, s10, v10
	v_cmp_ne_u32_e32 vcc, 0, v9
	v_cndmask_b32_e32 v9, 0, v10, vcc
	v_and_or_b32 v5, v5, s11, v9
	v_bfe_u32 v9, v9, 16, 1
	v_add3_u32 v9, v5, v9, s16
	v_cmp_o_f32_e32 vcc, v5, v5
	v_mov_b32_e32 v5, 0x7fc0
	v_cndmask_b32_sdwa v5, v5, v9, vcc dst_sel:DWORD dst_unused:UNUSED_PAD src0_sel:DWORD src1_sel:WORD_1
.LBB167_2719:
	s_mov_b64 s[10:11], 0
.LBB167_2720:
	s_andn2_b64 vcc, exec, s[10:11]
	s_cbranch_vccnz .LBB167_2722
; %bb.2721:
	global_load_ubyte v5, v[7:8], off
	s_movk_i32 s10, 0x7f00
	s_brev_b32 s11, 16
	s_brev_b32 s16, 1
	s_movk_i32 s17, 0x7fff
	s_waitcnt vmcnt(0)
	v_lshlrev_b16_e32 v9, 8, v5
	v_lshlrev_b32_e32 v5, 25, v5
	v_lshrrev_b32_e32 v10, 4, v5
	v_and_or_b32 v11, v9, s10, 0.5
	v_or_b32_e32 v10, 0x70000000, v10
	v_add_f32_e32 v11, -0.5, v11
	v_mul_f32_e32 v10, 0x7800000, v10
	v_cmp_gt_u32_e32 vcc, s11, v5
	v_bfe_i32 v9, v9, 0, 16
	v_cndmask_b32_e32 v5, v10, v11, vcc
	v_and_or_b32 v9, v9, s16, v5
	v_bfe_u32 v5, v5, 16, 1
	v_add3_u32 v5, v9, v5, s17
	v_cmp_o_f32_e32 vcc, v9, v9
	v_mov_b32_e32 v9, 0x7fc0
	v_cndmask_b32_sdwa v5, v9, v5, vcc dst_sel:DWORD dst_unused:UNUSED_PAD src0_sel:DWORD src1_sel:WORD_1
.LBB167_2722:
	s_mov_b64 s[10:11], 0
	s_mov_b64 s[16:17], -1
.LBB167_2723:
	s_andn2_b64 vcc, exec, s[10:11]
	s_mov_b64 s[10:11], 0
	s_cbranch_vccnz .LBB167_2746
; %bb.2724:
	s_cmp_gt_i32 s28, 14
	s_cbranch_scc0 .LBB167_2727
; %bb.2725:
	s_cmp_eq_u32 s28, 15
	s_cbranch_scc0 .LBB167_2742
; %bb.2726:
	global_load_ushort v5, v[7:8], off
	s_mov_b64 s[0:1], 0
	s_mov_b64 s[16:17], -1
	s_branch .LBB167_2743
.LBB167_2727:
	s_mov_b64 s[24:25], -1
                                        ; implicit-def: $vgpr5
	s_branch .LBB167_2744
.LBB167_2728:
	s_or_saveexec_b64 s[16:17], s[16:17]
	v_mov_b32_e32 v9, 0x7f800001
	s_xor_b64 exec, exec, s[16:17]
	s_cbranch_execz .LBB167_2696
.LBB167_2729:
	v_cmp_ne_u16_e32 vcc, 0, v5
	s_andn2_b64 s[10:11], s[10:11], exec
	s_and_b64 s[24:25], vcc, exec
	v_mov_b32_e32 v9, 0
	s_or_b64 s[10:11], s[10:11], s[24:25]
	s_or_b64 exec, exec, s[16:17]
	s_and_saveexec_b64 s[16:17], s[10:11]
	s_cbranch_execnz .LBB167_2697
	s_branch .LBB167_2698
.LBB167_2730:
	s_mov_b64 s[0:1], -1
                                        ; implicit-def: $vgpr9
                                        ; implicit-def: $vgpr5
.LBB167_2731:
	s_andn2_b64 vcc, exec, s[0:1]
	s_cbranch_vccnz .LBB167_2733
; %bb.2732:
	global_load_dwordx2 v[9:10], v[7:8], off
	s_movk_i32 s0, 0x7fff
	s_waitcnt vmcnt(1)
	v_mov_b32_e32 v5, 0x7fc0
	v_mov_b32_e32 v11, 0x7fc00000
	s_waitcnt vmcnt(0)
	v_bfe_u32 v12, v9, 16, 1
	v_bfe_u32 v13, v10, 16, 1
	v_cmp_o_f32_e32 vcc, v9, v9
	v_add3_u32 v9, v9, v12, s0
	v_add3_u32 v12, v10, v13, s0
	v_cndmask_b32_sdwa v5, v5, v9, vcc dst_sel:DWORD dst_unused:UNUSED_PAD src0_sel:DWORD src1_sel:WORD_1
	v_and_b32_e32 v9, 0xffff0000, v12
	v_cmp_o_f32_e32 vcc, v10, v10
	v_cndmask_b32_e32 v9, v11, v9, vcc
.LBB167_2733:
	s_mov_b64 s[0:1], 0
.LBB167_2734:
	s_andn2_b64 vcc, exec, s[0:1]
	s_cbranch_vccnz .LBB167_2736
; %bb.2735:
	global_load_dword v9, v[7:8], off
	s_movk_i32 s0, 0x7fff
	s_waitcnt vmcnt(1)
	v_mov_b32_e32 v5, 0x7fc0
	v_mov_b32_e32 v12, 0x7fc00000
	s_waitcnt vmcnt(0)
	v_cvt_f32_f16_e32 v10, v9
	v_cvt_f32_f16_sdwa v11, v9 dst_sel:DWORD dst_unused:UNUSED_PAD src0_sel:WORD_1
	v_cmp_o_f16_e32 vcc, v9, v9
	v_bfe_u32 v13, v10, 16, 1
	v_bfe_u32 v14, v11, 16, 1
	v_add3_u32 v10, v10, v13, s0
	v_add3_u32 v11, v11, v14, s0
	v_cndmask_b32_sdwa v5, v5, v10, vcc dst_sel:DWORD dst_unused:UNUSED_PAD src0_sel:DWORD src1_sel:WORD_1
	v_and_b32_e32 v10, 0xffff0000, v11
	v_cmp_o_f16_sdwa vcc, v9, v9 src0_sel:WORD_1 src1_sel:WORD_1
	v_cndmask_b32_e32 v9, v12, v10, vcc
.LBB167_2736:
	s_mov_b64 s[0:1], 0
.LBB167_2737:
	s_andn2_b64 vcc, exec, s[0:1]
	s_cbranch_vccnz .LBB167_2755
; %bb.2738:
	s_cmp_lt_i32 s10, 6
	s_cbranch_scc1 .LBB167_2741
; %bb.2739:
	s_cmp_gt_i32 s10, 6
	s_cbranch_scc0 .LBB167_2748
; %bb.2740:
	global_load_dwordx2 v[9:10], v[7:8], off
	s_movk_i32 s0, 0x7fff
	s_waitcnt vmcnt(0)
	v_cvt_f32_f64_e32 v5, v[9:10]
	v_mov_b32_e32 v9, 0x7fc0
	v_bfe_u32 v10, v5, 16, 1
	v_cmp_o_f32_e32 vcc, v5, v5
	v_add3_u32 v5, v5, v10, s0
	v_cndmask_b32_sdwa v5, v9, v5, vcc dst_sel:DWORD dst_unused:UNUSED_PAD src0_sel:DWORD src1_sel:WORD_1
	s_mov_b64 s[0:1], 0
	s_branch .LBB167_2749
.LBB167_2741:
	s_mov_b64 s[0:1], -1
                                        ; implicit-def: $vgpr5
	s_branch .LBB167_2752
.LBB167_2742:
	s_mov_b64 s[0:1], -1
                                        ; implicit-def: $vgpr5
.LBB167_2743:
	s_mov_b64 s[24:25], 0
.LBB167_2744:
	s_and_b64 vcc, exec, s[24:25]
	s_cbranch_vccz .LBB167_2746
; %bb.2745:
	s_cmp_lg_u32 s28, 11
	s_mov_b64 s[10:11], -1
	s_cselect_b64 s[0:1], -1, 0
.LBB167_2746:
	v_mov_b32_e32 v9, 0
	s_and_b64 vcc, exec, s[0:1]
	s_cbranch_vccz .LBB167_2700
.LBB167_2747:
	s_trap 2
	s_or_b64 s[4:5], s[4:5], exec
	s_cbranch_execz .LBB167_2701
	s_branch .LBB167_2702
.LBB167_2748:
	s_mov_b64 s[0:1], -1
                                        ; implicit-def: $vgpr5
.LBB167_2749:
	s_andn2_b64 vcc, exec, s[0:1]
	s_cbranch_vccnz .LBB167_2751
; %bb.2750:
	global_load_dword v5, v[7:8], off
	s_movk_i32 s0, 0x7fff
	v_mov_b32_e32 v9, 0x7fc0
	s_waitcnt vmcnt(0)
	v_bfe_u32 v10, v5, 16, 1
	v_cmp_o_f32_e32 vcc, v5, v5
	v_add3_u32 v5, v5, v10, s0
	v_cndmask_b32_sdwa v5, v9, v5, vcc dst_sel:DWORD dst_unused:UNUSED_PAD src0_sel:DWORD src1_sel:WORD_1
.LBB167_2751:
	s_mov_b64 s[0:1], 0
.LBB167_2752:
	s_andn2_b64 vcc, exec, s[0:1]
	s_cbranch_vccnz .LBB167_2754
; %bb.2753:
	global_load_ushort v5, v[7:8], off
	s_movk_i32 s0, 0x7fff
	v_mov_b32_e32 v10, 0x7fc0
	s_waitcnt vmcnt(0)
	v_cvt_f32_f16_e32 v9, v5
	v_cmp_o_f16_e32 vcc, v5, v5
	v_bfe_u32 v5, v9, 16, 1
	v_add3_u32 v5, v9, v5, s0
	v_cndmask_b32_sdwa v5, v10, v5, vcc dst_sel:DWORD dst_unused:UNUSED_PAD src0_sel:DWORD src1_sel:WORD_1
.LBB167_2754:
	v_mov_b32_e32 v9, 0
.LBB167_2755:
	s_mov_b64 s[0:1], 0
.LBB167_2756:
	s_andn2_b64 vcc, exec, s[0:1]
	s_cbranch_vccnz .LBB167_2777
; %bb.2757:
	s_cmp_lt_i32 s10, 2
	s_cbranch_scc1 .LBB167_2761
; %bb.2758:
	s_cmp_lt_i32 s10, 3
	s_cbranch_scc1 .LBB167_2762
; %bb.2759:
	s_cmp_gt_i32 s10, 3
	s_cbranch_scc0 .LBB167_2763
; %bb.2760:
	global_load_dwordx2 v[9:10], v[7:8], off
	s_movk_i32 s0, 0x7fff
	s_waitcnt vmcnt(0)
	v_xor_b32_e32 v11, v9, v10
	v_ffbh_i32_e32 v5, v10
	v_ashrrev_i32_e32 v11, 31, v11
	v_add_u32_e32 v5, -1, v5
	v_add_u32_e32 v11, 32, v11
	v_min_u32_e32 v5, v5, v11
	v_lshlrev_b64 v[9:10], v5, v[9:10]
	v_sub_u32_e32 v5, 32, v5
	v_min_u32_e32 v9, 1, v9
	v_or_b32_e32 v9, v10, v9
	v_cvt_f32_i32_e32 v9, v9
	v_ldexp_f32 v5, v9, v5
	v_bfe_u32 v9, v5, 16, 1
	v_add3_u32 v5, v5, v9, s0
	v_lshrrev_b32_e32 v5, 16, v5
	s_mov_b64 s[0:1], 0
	s_branch .LBB167_2764
.LBB167_2761:
	s_mov_b64 s[0:1], -1
                                        ; implicit-def: $vgpr5
	s_branch .LBB167_2770
.LBB167_2762:
	s_mov_b64 s[0:1], -1
                                        ; implicit-def: $vgpr5
	s_branch .LBB167_2767
.LBB167_2763:
	s_mov_b64 s[0:1], -1
                                        ; implicit-def: $vgpr5
.LBB167_2764:
	s_andn2_b64 vcc, exec, s[0:1]
	s_cbranch_vccnz .LBB167_2766
; %bb.2765:
	global_load_dword v5, v[7:8], off
	s_movk_i32 s0, 0x7fff
	s_waitcnt vmcnt(0)
	v_cvt_f32_i32_e32 v5, v5
	v_bfe_u32 v9, v5, 16, 1
	v_add3_u32 v5, v5, v9, s0
	v_lshrrev_b32_e32 v5, 16, v5
.LBB167_2766:
	s_mov_b64 s[0:1], 0
.LBB167_2767:
	s_andn2_b64 vcc, exec, s[0:1]
	s_cbranch_vccnz .LBB167_2769
; %bb.2768:
	global_load_sshort v5, v[7:8], off
	s_movk_i32 s0, 0x7fff
	s_waitcnt vmcnt(0)
	v_cvt_f32_i32_e32 v5, v5
	v_bfe_u32 v9, v5, 16, 1
	v_add3_u32 v5, v5, v9, s0
	v_lshrrev_b32_e32 v5, 16, v5
.LBB167_2769:
	s_mov_b64 s[0:1], 0
.LBB167_2770:
	s_andn2_b64 vcc, exec, s[0:1]
	s_cbranch_vccnz .LBB167_2776
; %bb.2771:
	s_cmp_gt_i32 s10, 0
	s_cbranch_scc0 .LBB167_2773
; %bb.2772:
	global_load_sbyte v5, v[7:8], off
	s_movk_i32 s0, 0x7fff
	s_waitcnt vmcnt(0)
	v_cvt_f32_i32_e32 v5, v5
	v_bfe_u32 v9, v5, 16, 1
	v_add3_u32 v5, v5, v9, s0
	v_lshrrev_b32_e32 v5, 16, v5
	s_mov_b64 s[0:1], 0
	s_branch .LBB167_2774
.LBB167_2773:
	s_mov_b64 s[0:1], -1
                                        ; implicit-def: $vgpr5
.LBB167_2774:
	s_andn2_b64 vcc, exec, s[0:1]
	s_cbranch_vccnz .LBB167_2776
; %bb.2775:
	global_load_ubyte v5, v[7:8], off
	s_movk_i32 s0, 0x7fff
	s_waitcnt vmcnt(0)
	v_cvt_f32_ubyte0_e32 v5, v5
	v_bfe_u32 v7, v5, 16, 1
	v_add3_u32 v5, v5, v7, s0
	v_lshrrev_b32_e32 v5, 16, v5
.LBB167_2776:
	v_mov_b32_e32 v9, 0
.LBB167_2777:
	s_mov_b64 s[16:17], -1
.LBB167_2778:
	s_andn2_b64 vcc, exec, s[16:17]
	s_cbranch_vccnz .LBB167_2781
; %bb.2779:
	s_waitcnt vmcnt(0)
	v_or_b32_sdwa v1, v3, v1 dst_sel:DWORD dst_unused:UNUSED_PAD src0_sel:DWORD src1_sel:WORD_0
	v_or_b32_sdwa v5, v9, v5 dst_sel:DWORD dst_unused:UNUSED_PAD src0_sel:DWORD src1_sel:WORD_0
	s_and_b64 vcc, exec, s[18:19]
	v_lshlrev_b32_e32 v1, 16, v1
	v_lshlrev_b32_e32 v5, 16, v5
	s_cbranch_vccz .LBB167_2827
; %bb.2780:
	v_and_b32_e32 v7, 0xffff0000, v3
	v_and_b32_e32 v8, 0xffff0000, v9
	v_cmp_neq_f32_e32 vcc, v1, v5
	v_cmp_neq_f32_e64 s[0:1], v7, v8
	s_or_b64 s[10:11], vcc, s[0:1]
	s_mov_b64 s[0:1], 0
	s_branch .LBB167_2828
.LBB167_2781:
	s_mov_b64 s[0:1], 0
                                        ; implicit-def: $sgpr10_sgpr11
.LBB167_2782:
                                        ; implicit-def: $vgpr0_vgpr1
                                        ; implicit-def: $sgpr26
	s_mov_b64 s[2:3], 0
.LBB167_2783:
	s_and_b64 s[6:7], s[2:3], exec
	s_andn2_b64 s[2:3], s[12:13], exec
	s_and_b64 s[4:5], s[4:5], exec
	s_and_b64 s[0:1], s[0:1], exec
	s_or_b64 s[12:13], s[2:3], s[4:5]
.LBB167_2784:
	s_or_b64 exec, exec, s[14:15]
	s_and_saveexec_b64 s[2:3], s[12:13]
	s_cbranch_execz .LBB167_2787
; %bb.2785:
	; divergent unreachable
	s_or_b64 exec, exec, s[2:3]
	s_and_saveexec_b64 s[2:3], s[6:7]
	s_xor_b64 s[2:3], exec, s[2:3]
	s_cbranch_execnz .LBB167_2788
.LBB167_2786:
	s_or_b64 exec, exec, s[2:3]
	s_and_saveexec_b64 s[2:3], s[0:1]
	s_cbranch_execnz .LBB167_2789
	s_branch .LBB167_2826
.LBB167_2787:
	s_or_b64 exec, exec, s[2:3]
	s_and_saveexec_b64 s[2:3], s[6:7]
	s_xor_b64 s[2:3], exec, s[2:3]
	s_cbranch_execz .LBB167_2786
.LBB167_2788:
	v_cndmask_b32_e64 v2, 0, 1, s[10:11]
	s_waitcnt vmcnt(0)
	global_store_byte v[0:1], v2, off
	s_or_b64 exec, exec, s[2:3]
	s_and_saveexec_b64 s[2:3], s[0:1]
	s_cbranch_execz .LBB167_2826
.LBB167_2789:
	s_sext_i32_i16 s2, s26
	s_cmp_lt_i32 s2, 5
	s_mov_b64 s[0:1], -1
	s_cbranch_scc1 .LBB167_2810
; %bb.2790:
	s_cmp_lt_i32 s2, 8
	s_cbranch_scc1 .LBB167_2800
; %bb.2791:
	s_cmp_lt_i32 s2, 9
	s_cbranch_scc1 .LBB167_2797
; %bb.2792:
	s_cmp_gt_i32 s2, 9
	s_cbranch_scc0 .LBB167_2794
; %bb.2793:
	v_cndmask_b32_e64 v2, 0, 1, s[10:11]
	s_waitcnt vmcnt(0)
	v_cvt_f64_u32_e32 v[2:3], v2
	v_mov_b32_e32 v4, 0
	v_mov_b32_e32 v5, v4
	s_mov_b64 s[0:1], 0
	global_store_dwordx4 v[0:1], v[2:5], off
.LBB167_2794:
	s_andn2_b64 vcc, exec, s[0:1]
	s_cbranch_vccnz .LBB167_2796
; %bb.2795:
	v_cndmask_b32_e64 v2, 0, 1.0, s[10:11]
	s_waitcnt vmcnt(0)
	v_mov_b32_e32 v3, 0
	global_store_dwordx2 v[0:1], v[2:3], off
.LBB167_2796:
	s_mov_b64 s[0:1], 0
.LBB167_2797:
	s_andn2_b64 vcc, exec, s[0:1]
	s_cbranch_vccnz .LBB167_2799
; %bb.2798:
	v_cndmask_b32_e64 v2, 0, 1.0, s[10:11]
	v_cvt_f16_f32_e32 v2, v2
	s_waitcnt vmcnt(0)
	global_store_dword v[0:1], v2, off
.LBB167_2799:
	s_mov_b64 s[0:1], 0
.LBB167_2800:
	s_andn2_b64 vcc, exec, s[0:1]
	s_cbranch_vccnz .LBB167_2809
; %bb.2801:
	s_sext_i32_i16 s2, s26
	s_cmp_lt_i32 s2, 6
	s_mov_b64 s[0:1], -1
	s_cbranch_scc1 .LBB167_2807
; %bb.2802:
	s_cmp_gt_i32 s2, 6
	s_cbranch_scc0 .LBB167_2804
; %bb.2803:
	v_cndmask_b32_e64 v2, 0, 1, s[10:11]
	s_waitcnt vmcnt(0)
	v_cvt_f64_u32_e32 v[2:3], v2
	s_mov_b64 s[0:1], 0
	global_store_dwordx2 v[0:1], v[2:3], off
.LBB167_2804:
	s_andn2_b64 vcc, exec, s[0:1]
	s_cbranch_vccnz .LBB167_2806
; %bb.2805:
	v_cndmask_b32_e64 v2, 0, 1.0, s[10:11]
	s_waitcnt vmcnt(0)
	global_store_dword v[0:1], v2, off
.LBB167_2806:
	s_mov_b64 s[0:1], 0
.LBB167_2807:
	s_andn2_b64 vcc, exec, s[0:1]
	s_cbranch_vccnz .LBB167_2809
; %bb.2808:
	v_cndmask_b32_e64 v2, 0, 1.0, s[10:11]
	v_cvt_f16_f32_e32 v2, v2
	s_waitcnt vmcnt(0)
	global_store_short v[0:1], v2, off
.LBB167_2809:
	s_mov_b64 s[0:1], 0
.LBB167_2810:
	s_andn2_b64 vcc, exec, s[0:1]
	s_cbranch_vccnz .LBB167_2826
; %bb.2811:
	s_sext_i32_i16 s2, s26
	s_cmp_lt_i32 s2, 2
	s_mov_b64 s[0:1], -1
	s_cbranch_scc1 .LBB167_2821
; %bb.2812:
	s_cmp_lt_i32 s2, 3
	s_cbranch_scc1 .LBB167_2818
; %bb.2813:
	s_cmp_gt_i32 s2, 3
	s_cbranch_scc0 .LBB167_2815
; %bb.2814:
	s_mov_b32 s0, 0
	v_cndmask_b32_e64 v2, 0, 1, s[10:11]
	s_waitcnt vmcnt(0)
	v_mov_b32_e32 v3, s0
	global_store_dwordx2 v[0:1], v[2:3], off
	s_mov_b64 s[0:1], 0
.LBB167_2815:
	s_andn2_b64 vcc, exec, s[0:1]
	s_cbranch_vccnz .LBB167_2817
; %bb.2816:
	v_cndmask_b32_e64 v2, 0, 1, s[10:11]
	s_waitcnt vmcnt(0)
	global_store_dword v[0:1], v2, off
.LBB167_2817:
	s_mov_b64 s[0:1], 0
.LBB167_2818:
	s_andn2_b64 vcc, exec, s[0:1]
	s_cbranch_vccnz .LBB167_2820
; %bb.2819:
	v_cndmask_b32_e64 v2, 0, 1, s[10:11]
	s_waitcnt vmcnt(0)
	global_store_short v[0:1], v2, off
.LBB167_2820:
	s_mov_b64 s[0:1], 0
.LBB167_2821:
	s_andn2_b64 vcc, exec, s[0:1]
	s_cbranch_vccnz .LBB167_2826
; %bb.2822:
	s_sext_i32_i16 s0, s26
	s_cmp_gt_i32 s0, 0
	s_mov_b64 s[0:1], -1
	s_cbranch_scc0 .LBB167_2824
; %bb.2823:
	v_cndmask_b32_e64 v2, 0, 1, s[10:11]
	s_waitcnt vmcnt(0)
	global_store_byte v[0:1], v2, off
	s_mov_b64 s[0:1], 0
.LBB167_2824:
	s_andn2_b64 vcc, exec, s[0:1]
	s_cbranch_vccnz .LBB167_2826
; %bb.2825:
	v_cndmask_b32_e64 v2, 0, 1, s[10:11]
	s_waitcnt vmcnt(0)
	global_store_byte v[0:1], v2, off
	s_endpgm
.LBB167_2826:
	s_endpgm
.LBB167_2827:
	s_mov_b64 s[0:1], -1
                                        ; implicit-def: $sgpr10_sgpr11
.LBB167_2828:
	s_andn2_b64 vcc, exec, s[0:1]
	s_cbranch_vccnz .LBB167_2830
; %bb.2829:
	v_and_b32_e32 v7, 0xffff0000, v9
	v_and_b32_e32 v3, 0xffff0000, v3
	v_cmp_eq_f32_e32 vcc, v1, v5
	v_cmp_eq_f32_e64 s[0:1], v3, v7
	s_and_b64 s[0:1], vcc, s[0:1]
	s_andn2_b64 s[10:11], s[10:11], exec
	s_and_b64 s[0:1], s[0:1], exec
	s_or_b64 s[10:11], s[10:11], s[0:1]
.LBB167_2830:
	s_load_dword s0, s[2:3], 0x1a4
	v_mov_b32_e32 v1, s9
	v_add_co_u32_e32 v5, vcc, s8, v6
	v_addc_co_u32_e32 v6, vcc, 0, v1, vcc
	s_waitcnt lgkmcnt(0)
	s_and_b32 s26, s0, 0xff
	s_cmp_lt_i32 s26, 11
	s_cbranch_scc1 .LBB167_2908
; %bb.2831:
	s_and_b32 s27, 0xffff, s26
	s_mov_b64 s[18:19], -1
	s_mov_b64 s[2:3], 0
	s_cmp_gt_i32 s27, 25
	s_mov_b64 s[16:17], 0
	s_mov_b64 s[0:1], 0
	s_cbranch_scc0 .LBB167_2864
; %bb.2832:
	s_cmp_gt_i32 s27, 28
	s_cbranch_scc0 .LBB167_2847
; %bb.2833:
	s_cmp_gt_i32 s27, 43
	;; [unrolled: 3-line block ×3, first 2 shown]
	s_cbranch_scc0 .LBB167_2837
; %bb.2835:
	s_mov_b64 s[0:1], -1
	s_mov_b64 s[18:19], 0
	s_cmp_eq_u32 s27, 46
	s_cbranch_scc0 .LBB167_2837
; %bb.2836:
	v_cndmask_b32_e64 v1, 0, 1.0, s[6:7]
	v_bfe_u32 v3, v1, 16, 1
	s_movk_i32 s0, 0x7fff
	v_add3_u32 v1, v1, v3, s0
	v_lshrrev_b32_e32 v1, 16, v1
	global_store_dword v[5:6], v1, off
	s_mov_b64 s[0:1], 0
	s_mov_b64 s[16:17], -1
.LBB167_2837:
	s_and_b64 vcc, exec, s[18:19]
	s_cbranch_vccz .LBB167_2842
; %bb.2838:
	s_cmp_eq_u32 s27, 44
	s_mov_b64 s[0:1], -1
	s_cbranch_scc0 .LBB167_2842
; %bb.2839:
	v_cndmask_b32_e64 v3, 0, 1.0, s[6:7]
	v_lshrrev_b32_e32 v1, 23, v3
	s_movk_i32 s0, 0xff
	v_cmp_ne_u32_e32 vcc, s0, v1
	v_mov_b32_e32 v7, 0xff
	s_and_saveexec_b64 s[16:17], vcc
; %bb.2840:
	s_mov_b32 s0, 0x3fffff
	v_and_b32_e32 v7, 0x400000, v3
	v_and_or_b32 v3, v3, s0, v1
	v_cmp_ne_u32_e32 vcc, 0, v7
	v_cmp_ne_u32_e64 s[0:1], 0, v3
	s_and_b64 s[0:1], vcc, s[0:1]
	v_cndmask_b32_e64 v3, 0, 1, s[0:1]
	v_add_u32_e32 v7, v1, v3
; %bb.2841:
	s_or_b64 exec, exec, s[16:17]
	s_mov_b64 s[0:1], 0
	s_mov_b64 s[16:17], -1
	global_store_byte v[5:6], v7, off
.LBB167_2842:
	s_mov_b64 s[18:19], 0
.LBB167_2843:
	s_and_b64 vcc, exec, s[18:19]
	s_cbranch_vccz .LBB167_2846
; %bb.2844:
	s_cmp_eq_u32 s27, 29
	s_mov_b64 s[0:1], -1
	s_cbranch_scc0 .LBB167_2846
; %bb.2845:
	s_mov_b32 s0, 0
	v_cndmask_b32_e64 v7, 0, 1, s[6:7]
	v_mov_b32_e32 v8, s0
	global_store_dwordx2 v[5:6], v[7:8], off
	s_mov_b64 s[0:1], 0
	s_mov_b64 s[16:17], -1
.LBB167_2846:
	s_mov_b64 s[18:19], 0
.LBB167_2847:
	s_and_b64 vcc, exec, s[18:19]
	s_cbranch_vccz .LBB167_2863
; %bb.2848:
	s_cmp_lt_i32 s27, 27
	s_mov_b64 s[16:17], -1
	s_cbranch_scc1 .LBB167_2854
; %bb.2849:
	s_cmp_gt_i32 s27, 27
	s_cbranch_scc0 .LBB167_2851
; %bb.2850:
	v_cndmask_b32_e64 v1, 0, 1, s[6:7]
	s_mov_b64 s[16:17], 0
	global_store_dword v[5:6], v1, off
.LBB167_2851:
	s_andn2_b64 vcc, exec, s[16:17]
	s_cbranch_vccnz .LBB167_2853
; %bb.2852:
	v_cndmask_b32_e64 v1, 0, 1, s[6:7]
	global_store_short v[5:6], v1, off
.LBB167_2853:
	s_mov_b64 s[16:17], 0
.LBB167_2854:
	s_andn2_b64 vcc, exec, s[16:17]
	s_cbranch_vccnz .LBB167_2862
; %bb.2855:
	v_cndmask_b32_e64 v3, 0, 1.0, s[6:7]
	s_mov_b32 s16, 0x43800000
	v_cmp_gt_u32_e32 vcc, s16, v3
	v_mov_b32_e32 v7, 0x80
	s_and_saveexec_b64 s[16:17], vcc
	s_cbranch_execz .LBB167_2861
; %bb.2856:
	s_mov_b32 s18, 0x3bffffff
	v_cmp_lt_u32_e32 vcc, s18, v3
	s_mov_b64 s[18:19], 0
                                        ; implicit-def: $vgpr1
	s_and_saveexec_b64 s[24:25], vcc
	s_xor_b64 s[24:25], exec, s[24:25]
	s_cbranch_execz .LBB167_3265
; %bb.2857:
	v_bfe_u32 v1, v3, 20, 1
	s_mov_b32 s28, 0x487ffff
	v_add3_u32 v1, v3, v1, s28
	s_mov_b64 s[18:19], exec
	v_lshrrev_b32_e32 v1, 20, v1
                                        ; implicit-def: $vgpr3
	s_andn2_saveexec_b64 s[24:25], s[24:25]
	s_cbranch_execnz .LBB167_3266
.LBB167_2858:
	s_or_b64 exec, exec, s[24:25]
	v_mov_b32_e32 v7, 0
	s_and_saveexec_b64 s[24:25], s[18:19]
.LBB167_2859:
	v_mov_b32_e32 v7, v1
.LBB167_2860:
	s_or_b64 exec, exec, s[24:25]
.LBB167_2861:
	s_or_b64 exec, exec, s[16:17]
	global_store_byte v[5:6], v7, off
.LBB167_2862:
	s_mov_b64 s[16:17], -1
.LBB167_2863:
	s_mov_b64 s[18:19], 0
.LBB167_2864:
	s_and_b64 vcc, exec, s[18:19]
	s_cbranch_vccz .LBB167_2904
; %bb.2865:
	s_cmp_gt_i32 s27, 22
	s_mov_b64 s[2:3], -1
	s_cbranch_scc0 .LBB167_2897
; %bb.2866:
	s_cmp_lt_i32 s27, 24
	s_cbranch_scc1 .LBB167_2886
; %bb.2867:
	s_cmp_gt_i32 s27, 24
	s_cbranch_scc0 .LBB167_2875
; %bb.2868:
	v_cndmask_b32_e64 v3, 0, 1.0, s[6:7]
	s_mov_b32 s2, 0x47800000
	v_cmp_gt_u32_e32 vcc, s2, v3
	v_mov_b32_e32 v7, 0x80
	s_and_saveexec_b64 s[2:3], vcc
	s_cbranch_execz .LBB167_2874
; %bb.2869:
	s_mov_b32 s16, 0x37ffffff
	v_cmp_lt_u32_e32 vcc, s16, v3
	s_mov_b64 s[16:17], 0
                                        ; implicit-def: $vgpr1
	s_and_saveexec_b64 s[18:19], vcc
	s_xor_b64 s[18:19], exec, s[18:19]
	s_cbranch_execz .LBB167_3268
; %bb.2870:
	v_bfe_u32 v1, v3, 21, 1
	s_mov_b32 s24, 0x88fffff
	v_add3_u32 v1, v3, v1, s24
	s_mov_b64 s[16:17], exec
	v_lshrrev_b32_e32 v1, 21, v1
                                        ; implicit-def: $vgpr3
	s_andn2_saveexec_b64 s[18:19], s[18:19]
	s_cbranch_execnz .LBB167_3269
.LBB167_2871:
	s_or_b64 exec, exec, s[18:19]
	v_mov_b32_e32 v7, 0
	s_and_saveexec_b64 s[18:19], s[16:17]
.LBB167_2872:
	v_mov_b32_e32 v7, v1
.LBB167_2873:
	s_or_b64 exec, exec, s[18:19]
.LBB167_2874:
	s_or_b64 exec, exec, s[2:3]
	s_mov_b64 s[2:3], 0
	global_store_byte v[5:6], v7, off
.LBB167_2875:
	s_and_b64 vcc, exec, s[2:3]
	s_cbranch_vccz .LBB167_2885
; %bb.2876:
	v_cndmask_b32_e64 v1, 0, 1.0, s[6:7]
	s_mov_b32 s2, 0x43f00000
	v_cmp_gt_u32_e32 vcc, s2, v1
                                        ; implicit-def: $vgpr3
	s_and_saveexec_b64 s[2:3], vcc
	s_xor_b64 s[2:3], exec, s[2:3]
	s_cbranch_execz .LBB167_2882
; %bb.2877:
	s_mov_b32 s16, 0x3c7fffff
	v_cmp_lt_u32_e32 vcc, s16, v1
                                        ; implicit-def: $vgpr3
	s_and_saveexec_b64 s[16:17], vcc
	s_xor_b64 s[16:17], exec, s[16:17]
; %bb.2878:
	v_bfe_u32 v3, v1, 20, 1
	s_mov_b32 s18, 0x407ffff
	v_add3_u32 v1, v1, v3, s18
	v_lshrrev_b32_e32 v3, 20, v1
	v_and_b32_e32 v1, 0xff00000, v1
	s_mov_b32 s18, 0x7f00000
	v_mov_b32_e32 v7, 0x7e
	v_cmp_ne_u32_e32 vcc, s18, v1
	v_cndmask_b32_e32 v3, v7, v3, vcc
                                        ; implicit-def: $vgpr1
; %bb.2879:
	s_andn2_saveexec_b64 s[16:17], s[16:17]
; %bb.2880:
	v_add_f32_e32 v3, 0x46800000, v1
; %bb.2881:
	s_or_b64 exec, exec, s[16:17]
                                        ; implicit-def: $vgpr1
.LBB167_2882:
	s_andn2_saveexec_b64 s[2:3], s[2:3]
; %bb.2883:
	s_mov_b32 s16, 0x7f800000
	v_mov_b32_e32 v3, 0x7e
	v_mov_b32_e32 v7, 0x7f
	v_cmp_lt_u32_e32 vcc, s16, v1
	v_cndmask_b32_e32 v3, v3, v7, vcc
; %bb.2884:
	s_or_b64 exec, exec, s[2:3]
	global_store_byte v[5:6], v3, off
.LBB167_2885:
	s_mov_b64 s[2:3], 0
.LBB167_2886:
	s_andn2_b64 vcc, exec, s[2:3]
	s_cbranch_vccnz .LBB167_2896
; %bb.2887:
	v_cndmask_b32_e64 v1, 0, 1.0, s[6:7]
	s_mov_b32 s2, 0x47800000
	v_cmp_gt_u32_e32 vcc, s2, v1
                                        ; implicit-def: $vgpr3
	s_and_saveexec_b64 s[2:3], vcc
	s_xor_b64 s[2:3], exec, s[2:3]
	s_cbranch_execz .LBB167_2893
; %bb.2888:
	s_mov_b32 s16, 0x387fffff
	v_cmp_lt_u32_e32 vcc, s16, v1
                                        ; implicit-def: $vgpr3
	s_and_saveexec_b64 s[16:17], vcc
	s_xor_b64 s[16:17], exec, s[16:17]
; %bb.2889:
	v_bfe_u32 v3, v1, 21, 1
	s_mov_b32 s18, 0x80fffff
	v_add3_u32 v1, v1, v3, s18
	v_lshrrev_b32_e32 v3, 21, v1
                                        ; implicit-def: $vgpr1
; %bb.2890:
	s_andn2_saveexec_b64 s[16:17], s[16:17]
; %bb.2891:
	v_add_f32_e32 v3, 0x43000000, v1
; %bb.2892:
	s_or_b64 exec, exec, s[16:17]
                                        ; implicit-def: $vgpr1
.LBB167_2893:
	s_andn2_saveexec_b64 s[2:3], s[2:3]
; %bb.2894:
	s_mov_b32 s16, 0x7f800000
	v_mov_b32_e32 v3, 0x7c
	v_mov_b32_e32 v7, 0x7f
	v_cmp_lt_u32_e32 vcc, s16, v1
	v_cndmask_b32_e32 v3, v3, v7, vcc
; %bb.2895:
	s_or_b64 exec, exec, s[2:3]
	global_store_byte v[5:6], v3, off
.LBB167_2896:
	s_mov_b64 s[2:3], 0
	s_mov_b64 s[16:17], -1
.LBB167_2897:
	s_andn2_b64 vcc, exec, s[2:3]
	s_mov_b64 s[2:3], 0
	s_cbranch_vccnz .LBB167_2904
; %bb.2898:
	s_cmp_gt_i32 s27, 14
	s_mov_b64 s[18:19], -1
	s_cbranch_scc0 .LBB167_2902
; %bb.2899:
	s_cmp_eq_u32 s27, 15
	s_mov_b64 s[0:1], -1
	s_cbranch_scc0 .LBB167_2901
; %bb.2900:
	v_cndmask_b32_e64 v1, 0, 1.0, s[6:7]
	v_bfe_u32 v3, v1, 16, 1
	s_movk_i32 s0, 0x7fff
	v_add3_u32 v1, v1, v3, s0
	global_store_short_d16_hi v[5:6], v1, off
	s_mov_b64 s[0:1], 0
	s_mov_b64 s[16:17], -1
.LBB167_2901:
	s_mov_b64 s[18:19], 0
.LBB167_2902:
	s_and_b64 vcc, exec, s[18:19]
	s_cbranch_vccz .LBB167_2904
; %bb.2903:
	s_cmp_lg_u32 s27, 11
	s_mov_b64 s[2:3], -1
	s_cselect_b64 s[0:1], -1, 0
.LBB167_2904:
	s_and_b64 vcc, exec, s[0:1]
	s_cbranch_vccnz .LBB167_3267
; %bb.2905:
	s_andn2_b64 vcc, exec, s[2:3]
	s_cbranch_vccnz .LBB167_2907
.LBB167_2906:
	v_cndmask_b32_e64 v1, 0, 1, s[6:7]
	s_mov_b64 s[16:17], -1
	global_store_byte v[5:6], v1, off
.LBB167_2907:
	s_mov_b64 s[0:1], 0
	s_branch .LBB167_2909
.LBB167_2908:
	s_mov_b64 s[0:1], -1
	s_mov_b64 s[16:17], 0
.LBB167_2909:
	s_and_b64 vcc, exec, s[0:1]
	s_cbranch_vccz .LBB167_2948
; %bb.2910:
	s_and_b32 s2, 0xffff, s26
	s_cmp_lt_i32 s2, 5
	s_mov_b64 s[0:1], -1
	s_cbranch_scc1 .LBB167_2931
; %bb.2911:
	s_cmp_lt_i32 s2, 8
	s_cbranch_scc1 .LBB167_2921
; %bb.2912:
	s_cmp_lt_i32 s2, 9
	s_cbranch_scc1 .LBB167_2918
; %bb.2913:
	s_cmp_gt_i32 s2, 9
	s_cbranch_scc0 .LBB167_2915
; %bb.2914:
	v_cndmask_b32_e64 v1, 0, 1, s[6:7]
	v_cvt_f64_u32_e32 v[7:8], v1
	v_mov_b32_e32 v9, 0
	v_mov_b32_e32 v10, v9
	s_mov_b64 s[0:1], 0
	global_store_dwordx4 v[5:6], v[7:10], off
.LBB167_2915:
	s_andn2_b64 vcc, exec, s[0:1]
	s_cbranch_vccnz .LBB167_2917
; %bb.2916:
	v_cndmask_b32_e64 v7, 0, 1.0, s[6:7]
	v_mov_b32_e32 v8, 0
	global_store_dwordx2 v[5:6], v[7:8], off
.LBB167_2917:
	s_mov_b64 s[0:1], 0
.LBB167_2918:
	s_andn2_b64 vcc, exec, s[0:1]
	s_cbranch_vccnz .LBB167_2920
; %bb.2919:
	v_cndmask_b32_e64 v1, 0, 1.0, s[6:7]
	v_cvt_f16_f32_e32 v1, v1
	global_store_dword v[5:6], v1, off
.LBB167_2920:
	s_mov_b64 s[0:1], 0
.LBB167_2921:
	s_andn2_b64 vcc, exec, s[0:1]
	s_cbranch_vccnz .LBB167_2930
; %bb.2922:
	s_cmp_lt_i32 s2, 6
	s_mov_b64 s[0:1], -1
	s_cbranch_scc1 .LBB167_2928
; %bb.2923:
	s_cmp_gt_i32 s2, 6
	s_cbranch_scc0 .LBB167_2925
; %bb.2924:
	v_cndmask_b32_e64 v1, 0, 1, s[6:7]
	v_cvt_f64_u32_e32 v[7:8], v1
	s_mov_b64 s[0:1], 0
	global_store_dwordx2 v[5:6], v[7:8], off
.LBB167_2925:
	s_andn2_b64 vcc, exec, s[0:1]
	s_cbranch_vccnz .LBB167_2927
; %bb.2926:
	v_cndmask_b32_e64 v1, 0, 1.0, s[6:7]
	global_store_dword v[5:6], v1, off
.LBB167_2927:
	s_mov_b64 s[0:1], 0
.LBB167_2928:
	s_andn2_b64 vcc, exec, s[0:1]
	s_cbranch_vccnz .LBB167_2930
; %bb.2929:
	v_cndmask_b32_e64 v1, 0, 1.0, s[6:7]
	v_cvt_f16_f32_e32 v1, v1
	global_store_short v[5:6], v1, off
.LBB167_2930:
	s_mov_b64 s[0:1], 0
.LBB167_2931:
	s_andn2_b64 vcc, exec, s[0:1]
	s_cbranch_vccnz .LBB167_2947
; %bb.2932:
	s_cmp_lt_i32 s2, 2
	s_mov_b64 s[0:1], -1
	s_cbranch_scc1 .LBB167_2942
; %bb.2933:
	s_cmp_lt_i32 s2, 3
	s_cbranch_scc1 .LBB167_2939
; %bb.2934:
	s_cmp_gt_i32 s2, 3
	s_cbranch_scc0 .LBB167_2936
; %bb.2935:
	s_mov_b32 s0, 0
	v_cndmask_b32_e64 v7, 0, 1, s[6:7]
	v_mov_b32_e32 v8, s0
	global_store_dwordx2 v[5:6], v[7:8], off
	s_mov_b64 s[0:1], 0
.LBB167_2936:
	s_andn2_b64 vcc, exec, s[0:1]
	s_cbranch_vccnz .LBB167_2938
; %bb.2937:
	v_cndmask_b32_e64 v1, 0, 1, s[6:7]
	global_store_dword v[5:6], v1, off
.LBB167_2938:
	s_mov_b64 s[0:1], 0
.LBB167_2939:
	s_andn2_b64 vcc, exec, s[0:1]
	s_cbranch_vccnz .LBB167_2941
; %bb.2940:
	v_cndmask_b32_e64 v1, 0, 1, s[6:7]
	global_store_short v[5:6], v1, off
.LBB167_2941:
	s_mov_b64 s[0:1], 0
.LBB167_2942:
	s_andn2_b64 vcc, exec, s[0:1]
	s_cbranch_vccnz .LBB167_2947
; %bb.2943:
	s_mov_b64 s[0:1], -1
	s_cmp_gt_i32 s2, 0
	v_cndmask_b32_e64 v1, 0, 1, s[6:7]
	s_cbranch_scc0 .LBB167_2945
; %bb.2944:
	global_store_byte v[5:6], v1, off
	s_mov_b64 s[0:1], 0
.LBB167_2945:
	s_andn2_b64 vcc, exec, s[0:1]
	s_cbranch_vccnz .LBB167_2947
; %bb.2946:
	global_store_byte v[5:6], v1, off
.LBB167_2947:
	s_mov_b64 s[16:17], -1
.LBB167_2948:
	s_andn2_b64 vcc, exec, s[16:17]
	s_cbranch_vccnz .LBB167_3263
; %bb.2949:
	v_mov_b32_e32 v1, s9
	s_and_b32 s24, 0xffff, s26
	v_add_co_u32_e32 v3, vcc, s8, v4
	s_cmp_lt_i32 s24, 11
	v_addc_co_u32_e32 v4, vcc, 0, v1, vcc
	s_cbranch_scc1 .LBB167_3027
; %bb.2950:
	s_mov_b64 s[16:17], -1
	s_mov_b64 s[2:3], 0
	s_cmp_gt_i32 s24, 25
	s_mov_b64 s[6:7], 0
	s_mov_b64 s[0:1], 0
	s_cbranch_scc0 .LBB167_2983
; %bb.2951:
	s_cmp_gt_i32 s24, 28
	s_cbranch_scc0 .LBB167_2966
; %bb.2952:
	s_cmp_gt_i32 s24, 43
	;; [unrolled: 3-line block ×3, first 2 shown]
	s_cbranch_scc0 .LBB167_2956
; %bb.2954:
	s_mov_b64 s[0:1], -1
	s_mov_b64 s[16:17], 0
	s_cmp_eq_u32 s24, 46
	s_cbranch_scc0 .LBB167_2956
; %bb.2955:
	v_cndmask_b32_e64 v1, 0, 1.0, s[20:21]
	v_bfe_u32 v5, v1, 16, 1
	s_movk_i32 s0, 0x7fff
	v_add3_u32 v1, v1, v5, s0
	v_lshrrev_b32_e32 v1, 16, v1
	global_store_dword v[3:4], v1, off
	s_mov_b64 s[0:1], 0
	s_mov_b64 s[6:7], -1
.LBB167_2956:
	s_and_b64 vcc, exec, s[16:17]
	s_cbranch_vccz .LBB167_2961
; %bb.2957:
	s_cmp_eq_u32 s24, 44
	s_mov_b64 s[0:1], -1
	s_cbranch_scc0 .LBB167_2961
; %bb.2958:
	v_cndmask_b32_e64 v5, 0, 1.0, s[20:21]
	v_lshrrev_b32_e32 v1, 23, v5
	s_movk_i32 s0, 0xff
	v_cmp_ne_u32_e32 vcc, s0, v1
	v_mov_b32_e32 v6, 0xff
	s_and_saveexec_b64 s[6:7], vcc
; %bb.2959:
	s_mov_b32 s0, 0x3fffff
	v_and_b32_e32 v6, 0x400000, v5
	v_and_or_b32 v5, v5, s0, v1
	v_cmp_ne_u32_e32 vcc, 0, v6
	v_cmp_ne_u32_e64 s[0:1], 0, v5
	s_and_b64 s[0:1], vcc, s[0:1]
	v_cndmask_b32_e64 v5, 0, 1, s[0:1]
	v_add_u32_e32 v6, v1, v5
; %bb.2960:
	s_or_b64 exec, exec, s[6:7]
	s_mov_b64 s[0:1], 0
	s_mov_b64 s[6:7], -1
	global_store_byte v[3:4], v6, off
.LBB167_2961:
	s_mov_b64 s[16:17], 0
.LBB167_2962:
	s_and_b64 vcc, exec, s[16:17]
	s_cbranch_vccz .LBB167_2965
; %bb.2963:
	s_cmp_eq_u32 s24, 29
	s_mov_b64 s[0:1], -1
	s_cbranch_scc0 .LBB167_2965
; %bb.2964:
	s_mov_b32 s0, 0
	v_cndmask_b32_e64 v5, 0, 1, s[20:21]
	v_mov_b32_e32 v6, s0
	global_store_dwordx2 v[3:4], v[5:6], off
	s_mov_b64 s[0:1], 0
	s_mov_b64 s[6:7], -1
.LBB167_2965:
	s_mov_b64 s[16:17], 0
.LBB167_2966:
	s_and_b64 vcc, exec, s[16:17]
	s_cbranch_vccz .LBB167_2982
; %bb.2967:
	s_cmp_lt_i32 s24, 27
	s_mov_b64 s[6:7], -1
	s_cbranch_scc1 .LBB167_2973
; %bb.2968:
	s_cmp_gt_i32 s24, 27
	s_cbranch_scc0 .LBB167_2970
; %bb.2969:
	v_cndmask_b32_e64 v1, 0, 1, s[20:21]
	s_mov_b64 s[6:7], 0
	global_store_dword v[3:4], v1, off
.LBB167_2970:
	s_andn2_b64 vcc, exec, s[6:7]
	s_cbranch_vccnz .LBB167_2972
; %bb.2971:
	v_cndmask_b32_e64 v1, 0, 1, s[20:21]
	global_store_short v[3:4], v1, off
.LBB167_2972:
	s_mov_b64 s[6:7], 0
.LBB167_2973:
	s_andn2_b64 vcc, exec, s[6:7]
	s_cbranch_vccnz .LBB167_2981
; %bb.2974:
	v_cndmask_b32_e64 v5, 0, 1.0, s[20:21]
	s_mov_b32 s6, 0x43800000
	v_cmp_gt_u32_e32 vcc, s6, v5
	v_mov_b32_e32 v6, 0x80
	s_and_saveexec_b64 s[6:7], vcc
	s_cbranch_execz .LBB167_2980
; %bb.2975:
	s_mov_b32 s16, 0x3bffffff
	v_cmp_lt_u32_e32 vcc, s16, v5
	s_mov_b64 s[16:17], 0
                                        ; implicit-def: $vgpr1
	s_and_saveexec_b64 s[18:19], vcc
	s_xor_b64 s[18:19], exec, s[18:19]
	s_cbranch_execz .LBB167_3270
; %bb.2976:
	v_bfe_u32 v1, v5, 20, 1
	s_mov_b32 s25, 0x487ffff
	v_add3_u32 v1, v5, v1, s25
	s_mov_b64 s[16:17], exec
	v_lshrrev_b32_e32 v1, 20, v1
                                        ; implicit-def: $vgpr5
	s_andn2_saveexec_b64 s[18:19], s[18:19]
	s_cbranch_execnz .LBB167_3271
.LBB167_2977:
	s_or_b64 exec, exec, s[18:19]
	v_mov_b32_e32 v6, 0
	s_and_saveexec_b64 s[18:19], s[16:17]
.LBB167_2978:
	v_mov_b32_e32 v6, v1
.LBB167_2979:
	s_or_b64 exec, exec, s[18:19]
.LBB167_2980:
	s_or_b64 exec, exec, s[6:7]
	global_store_byte v[3:4], v6, off
.LBB167_2981:
	s_mov_b64 s[6:7], -1
.LBB167_2982:
	s_mov_b64 s[16:17], 0
.LBB167_2983:
	s_and_b64 vcc, exec, s[16:17]
	s_cbranch_vccz .LBB167_3023
; %bb.2984:
	s_cmp_gt_i32 s24, 22
	s_mov_b64 s[2:3], -1
	s_cbranch_scc0 .LBB167_3016
; %bb.2985:
	s_cmp_lt_i32 s24, 24
	s_cbranch_scc1 .LBB167_3005
; %bb.2986:
	s_cmp_gt_i32 s24, 24
	s_cbranch_scc0 .LBB167_2994
; %bb.2987:
	v_cndmask_b32_e64 v5, 0, 1.0, s[20:21]
	s_mov_b32 s2, 0x47800000
	v_cmp_gt_u32_e32 vcc, s2, v5
	v_mov_b32_e32 v6, 0x80
	s_and_saveexec_b64 s[2:3], vcc
	s_cbranch_execz .LBB167_2993
; %bb.2988:
	s_mov_b32 s6, 0x37ffffff
	v_cmp_lt_u32_e32 vcc, s6, v5
	s_mov_b64 s[6:7], 0
                                        ; implicit-def: $vgpr1
	s_and_saveexec_b64 s[16:17], vcc
	s_xor_b64 s[16:17], exec, s[16:17]
	s_cbranch_execz .LBB167_3273
; %bb.2989:
	v_bfe_u32 v1, v5, 21, 1
	s_mov_b32 s18, 0x88fffff
	v_add3_u32 v1, v5, v1, s18
	s_mov_b64 s[6:7], exec
	v_lshrrev_b32_e32 v1, 21, v1
                                        ; implicit-def: $vgpr5
	s_andn2_saveexec_b64 s[16:17], s[16:17]
	s_cbranch_execnz .LBB167_3274
.LBB167_2990:
	s_or_b64 exec, exec, s[16:17]
	v_mov_b32_e32 v6, 0
	s_and_saveexec_b64 s[16:17], s[6:7]
.LBB167_2991:
	v_mov_b32_e32 v6, v1
.LBB167_2992:
	s_or_b64 exec, exec, s[16:17]
.LBB167_2993:
	s_or_b64 exec, exec, s[2:3]
	s_mov_b64 s[2:3], 0
	global_store_byte v[3:4], v6, off
.LBB167_2994:
	s_and_b64 vcc, exec, s[2:3]
	s_cbranch_vccz .LBB167_3004
; %bb.2995:
	v_cndmask_b32_e64 v1, 0, 1.0, s[20:21]
	s_mov_b32 s2, 0x43f00000
	v_cmp_gt_u32_e32 vcc, s2, v1
                                        ; implicit-def: $vgpr5
	s_and_saveexec_b64 s[2:3], vcc
	s_xor_b64 s[2:3], exec, s[2:3]
	s_cbranch_execz .LBB167_3001
; %bb.2996:
	s_mov_b32 s6, 0x3c7fffff
	v_cmp_lt_u32_e32 vcc, s6, v1
                                        ; implicit-def: $vgpr5
	s_and_saveexec_b64 s[6:7], vcc
	s_xor_b64 s[6:7], exec, s[6:7]
; %bb.2997:
	v_bfe_u32 v5, v1, 20, 1
	s_mov_b32 s16, 0x407ffff
	v_add3_u32 v1, v1, v5, s16
	v_lshrrev_b32_e32 v5, 20, v1
	v_and_b32_e32 v1, 0xff00000, v1
	s_mov_b32 s16, 0x7f00000
	v_mov_b32_e32 v6, 0x7e
	v_cmp_ne_u32_e32 vcc, s16, v1
	v_cndmask_b32_e32 v5, v6, v5, vcc
                                        ; implicit-def: $vgpr1
; %bb.2998:
	s_andn2_saveexec_b64 s[6:7], s[6:7]
; %bb.2999:
	v_add_f32_e32 v5, 0x46800000, v1
; %bb.3000:
	s_or_b64 exec, exec, s[6:7]
                                        ; implicit-def: $vgpr1
.LBB167_3001:
	s_andn2_saveexec_b64 s[2:3], s[2:3]
; %bb.3002:
	s_mov_b32 s6, 0x7f800000
	v_mov_b32_e32 v5, 0x7e
	v_mov_b32_e32 v6, 0x7f
	v_cmp_lt_u32_e32 vcc, s6, v1
	v_cndmask_b32_e32 v5, v5, v6, vcc
; %bb.3003:
	s_or_b64 exec, exec, s[2:3]
	global_store_byte v[3:4], v5, off
.LBB167_3004:
	s_mov_b64 s[2:3], 0
.LBB167_3005:
	s_andn2_b64 vcc, exec, s[2:3]
	s_cbranch_vccnz .LBB167_3015
; %bb.3006:
	v_cndmask_b32_e64 v1, 0, 1.0, s[20:21]
	s_mov_b32 s2, 0x47800000
	v_cmp_gt_u32_e32 vcc, s2, v1
                                        ; implicit-def: $vgpr5
	s_and_saveexec_b64 s[2:3], vcc
	s_xor_b64 s[2:3], exec, s[2:3]
	s_cbranch_execz .LBB167_3012
; %bb.3007:
	s_mov_b32 s6, 0x387fffff
	v_cmp_lt_u32_e32 vcc, s6, v1
                                        ; implicit-def: $vgpr5
	s_and_saveexec_b64 s[6:7], vcc
	s_xor_b64 s[6:7], exec, s[6:7]
; %bb.3008:
	v_bfe_u32 v5, v1, 21, 1
	s_mov_b32 s16, 0x80fffff
	v_add3_u32 v1, v1, v5, s16
	v_lshrrev_b32_e32 v5, 21, v1
                                        ; implicit-def: $vgpr1
; %bb.3009:
	s_andn2_saveexec_b64 s[6:7], s[6:7]
; %bb.3010:
	v_add_f32_e32 v5, 0x43000000, v1
; %bb.3011:
	s_or_b64 exec, exec, s[6:7]
                                        ; implicit-def: $vgpr1
.LBB167_3012:
	s_andn2_saveexec_b64 s[2:3], s[2:3]
; %bb.3013:
	s_mov_b32 s6, 0x7f800000
	v_mov_b32_e32 v5, 0x7c
	v_mov_b32_e32 v6, 0x7f
	v_cmp_lt_u32_e32 vcc, s6, v1
	v_cndmask_b32_e32 v5, v5, v6, vcc
; %bb.3014:
	s_or_b64 exec, exec, s[2:3]
	global_store_byte v[3:4], v5, off
.LBB167_3015:
	s_mov_b64 s[2:3], 0
	s_mov_b64 s[6:7], -1
.LBB167_3016:
	s_andn2_b64 vcc, exec, s[2:3]
	s_mov_b64 s[2:3], 0
	s_cbranch_vccnz .LBB167_3023
; %bb.3017:
	s_cmp_gt_i32 s24, 14
	s_mov_b64 s[16:17], -1
	s_cbranch_scc0 .LBB167_3021
; %bb.3018:
	s_cmp_eq_u32 s24, 15
	s_mov_b64 s[0:1], -1
	s_cbranch_scc0 .LBB167_3020
; %bb.3019:
	v_cndmask_b32_e64 v1, 0, 1.0, s[20:21]
	v_bfe_u32 v5, v1, 16, 1
	s_movk_i32 s0, 0x7fff
	v_add3_u32 v1, v1, v5, s0
	global_store_short_d16_hi v[3:4], v1, off
	s_mov_b64 s[0:1], 0
	s_mov_b64 s[6:7], -1
.LBB167_3020:
	s_mov_b64 s[16:17], 0
.LBB167_3021:
	s_and_b64 vcc, exec, s[16:17]
	s_cbranch_vccz .LBB167_3023
; %bb.3022:
	s_cmp_lg_u32 s24, 11
	s_mov_b64 s[2:3], -1
	s_cselect_b64 s[0:1], -1, 0
.LBB167_3023:
	s_and_b64 vcc, exec, s[0:1]
	s_cbranch_vccnz .LBB167_3272
; %bb.3024:
	s_andn2_b64 vcc, exec, s[2:3]
	s_cbranch_vccnz .LBB167_3026
.LBB167_3025:
	v_cndmask_b32_e64 v1, 0, 1, s[20:21]
	s_mov_b64 s[6:7], -1
	global_store_byte v[3:4], v1, off
.LBB167_3026:
	s_mov_b64 s[0:1], 0
	s_branch .LBB167_3028
.LBB167_3027:
	s_mov_b64 s[0:1], -1
	s_mov_b64 s[6:7], 0
.LBB167_3028:
	s_and_b64 vcc, exec, s[0:1]
	s_cbranch_vccz .LBB167_3067
; %bb.3029:
	s_cmp_lt_i32 s24, 5
	s_mov_b64 s[0:1], -1
	s_cbranch_scc1 .LBB167_3050
; %bb.3030:
	s_cmp_lt_i32 s24, 8
	s_cbranch_scc1 .LBB167_3040
; %bb.3031:
	s_cmp_lt_i32 s24, 9
	s_cbranch_scc1 .LBB167_3037
; %bb.3032:
	s_cmp_gt_i32 s24, 9
	s_cbranch_scc0 .LBB167_3034
; %bb.3033:
	v_cndmask_b32_e64 v1, 0, 1, s[20:21]
	v_cvt_f64_u32_e32 v[5:6], v1
	v_mov_b32_e32 v7, 0
	v_mov_b32_e32 v8, v7
	s_mov_b64 s[0:1], 0
	global_store_dwordx4 v[3:4], v[5:8], off
.LBB167_3034:
	s_andn2_b64 vcc, exec, s[0:1]
	s_cbranch_vccnz .LBB167_3036
; %bb.3035:
	v_cndmask_b32_e64 v5, 0, 1.0, s[20:21]
	v_mov_b32_e32 v6, 0
	global_store_dwordx2 v[3:4], v[5:6], off
.LBB167_3036:
	s_mov_b64 s[0:1], 0
.LBB167_3037:
	s_andn2_b64 vcc, exec, s[0:1]
	s_cbranch_vccnz .LBB167_3039
; %bb.3038:
	v_cndmask_b32_e64 v1, 0, 1.0, s[20:21]
	v_cvt_f16_f32_e32 v1, v1
	global_store_dword v[3:4], v1, off
.LBB167_3039:
	s_mov_b64 s[0:1], 0
.LBB167_3040:
	s_andn2_b64 vcc, exec, s[0:1]
	s_cbranch_vccnz .LBB167_3049
; %bb.3041:
	s_cmp_lt_i32 s24, 6
	s_mov_b64 s[0:1], -1
	s_cbranch_scc1 .LBB167_3047
; %bb.3042:
	s_cmp_gt_i32 s24, 6
	s_cbranch_scc0 .LBB167_3044
; %bb.3043:
	v_cndmask_b32_e64 v1, 0, 1, s[20:21]
	v_cvt_f64_u32_e32 v[5:6], v1
	s_mov_b64 s[0:1], 0
	global_store_dwordx2 v[3:4], v[5:6], off
.LBB167_3044:
	s_andn2_b64 vcc, exec, s[0:1]
	s_cbranch_vccnz .LBB167_3046
; %bb.3045:
	v_cndmask_b32_e64 v1, 0, 1.0, s[20:21]
	global_store_dword v[3:4], v1, off
.LBB167_3046:
	s_mov_b64 s[0:1], 0
.LBB167_3047:
	s_andn2_b64 vcc, exec, s[0:1]
	s_cbranch_vccnz .LBB167_3049
; %bb.3048:
	v_cndmask_b32_e64 v1, 0, 1.0, s[20:21]
	v_cvt_f16_f32_e32 v1, v1
	global_store_short v[3:4], v1, off
.LBB167_3049:
	s_mov_b64 s[0:1], 0
.LBB167_3050:
	s_andn2_b64 vcc, exec, s[0:1]
	s_cbranch_vccnz .LBB167_3066
; %bb.3051:
	s_cmp_lt_i32 s24, 2
	s_mov_b64 s[0:1], -1
	s_cbranch_scc1 .LBB167_3061
; %bb.3052:
	s_cmp_lt_i32 s24, 3
	s_cbranch_scc1 .LBB167_3058
; %bb.3053:
	s_cmp_gt_i32 s24, 3
	s_cbranch_scc0 .LBB167_3055
; %bb.3054:
	s_mov_b32 s0, 0
	v_cndmask_b32_e64 v5, 0, 1, s[20:21]
	v_mov_b32_e32 v6, s0
	global_store_dwordx2 v[3:4], v[5:6], off
	s_mov_b64 s[0:1], 0
.LBB167_3055:
	s_andn2_b64 vcc, exec, s[0:1]
	s_cbranch_vccnz .LBB167_3057
; %bb.3056:
	v_cndmask_b32_e64 v1, 0, 1, s[20:21]
	global_store_dword v[3:4], v1, off
.LBB167_3057:
	s_mov_b64 s[0:1], 0
.LBB167_3058:
	s_andn2_b64 vcc, exec, s[0:1]
	s_cbranch_vccnz .LBB167_3060
; %bb.3059:
	v_cndmask_b32_e64 v1, 0, 1, s[20:21]
	global_store_short v[3:4], v1, off
.LBB167_3060:
	s_mov_b64 s[0:1], 0
.LBB167_3061:
	s_andn2_b64 vcc, exec, s[0:1]
	s_cbranch_vccnz .LBB167_3066
; %bb.3062:
	s_mov_b64 s[0:1], -1
	s_cmp_gt_i32 s24, 0
	v_cndmask_b32_e64 v1, 0, 1, s[20:21]
	s_cbranch_scc0 .LBB167_3064
; %bb.3063:
	global_store_byte v[3:4], v1, off
	s_mov_b64 s[0:1], 0
.LBB167_3064:
	s_andn2_b64 vcc, exec, s[0:1]
	s_cbranch_vccnz .LBB167_3066
; %bb.3065:
	global_store_byte v[3:4], v1, off
.LBB167_3066:
	s_mov_b64 s[6:7], -1
.LBB167_3067:
	s_andn2_b64 vcc, exec, s[6:7]
	s_cbranch_vccnz .LBB167_3263
; %bb.3068:
	v_mov_b32_e32 v3, s9
	v_add_co_u32_e32 v1, vcc, s8, v2
	s_cmp_lt_i32 s24, 11
	v_addc_co_u32_e32 v2, vcc, 0, v3, vcc
	s_cbranch_scc1 .LBB167_3146
; %bb.3069:
	s_mov_b64 s[16:17], -1
	s_mov_b64 s[2:3], 0
	s_cmp_gt_i32 s24, 25
	s_mov_b64 s[6:7], 0
	s_mov_b64 s[0:1], 0
	s_cbranch_scc0 .LBB167_3102
; %bb.3070:
	s_cmp_gt_i32 s24, 28
	s_cbranch_scc0 .LBB167_3085
; %bb.3071:
	s_cmp_gt_i32 s24, 43
	;; [unrolled: 3-line block ×3, first 2 shown]
	s_cbranch_scc0 .LBB167_3075
; %bb.3073:
	s_mov_b64 s[0:1], -1
	s_mov_b64 s[16:17], 0
	s_cmp_eq_u32 s24, 46
	s_cbranch_scc0 .LBB167_3075
; %bb.3074:
	v_cndmask_b32_e64 v3, 0, 1.0, s[22:23]
	v_bfe_u32 v4, v3, 16, 1
	s_movk_i32 s0, 0x7fff
	v_add3_u32 v3, v3, v4, s0
	v_lshrrev_b32_e32 v3, 16, v3
	global_store_dword v[1:2], v3, off
	s_mov_b64 s[0:1], 0
	s_mov_b64 s[6:7], -1
.LBB167_3075:
	s_and_b64 vcc, exec, s[16:17]
	s_cbranch_vccz .LBB167_3080
; %bb.3076:
	s_cmp_eq_u32 s24, 44
	s_mov_b64 s[0:1], -1
	s_cbranch_scc0 .LBB167_3080
; %bb.3077:
	v_cndmask_b32_e64 v4, 0, 1.0, s[22:23]
	v_lshrrev_b32_e32 v3, 23, v4
	s_movk_i32 s0, 0xff
	v_cmp_ne_u32_e32 vcc, s0, v3
	v_mov_b32_e32 v5, 0xff
	s_and_saveexec_b64 s[6:7], vcc
; %bb.3078:
	s_mov_b32 s0, 0x3fffff
	v_and_b32_e32 v5, 0x400000, v4
	v_and_or_b32 v4, v4, s0, v3
	v_cmp_ne_u32_e32 vcc, 0, v5
	v_cmp_ne_u32_e64 s[0:1], 0, v4
	s_and_b64 s[0:1], vcc, s[0:1]
	v_cndmask_b32_e64 v4, 0, 1, s[0:1]
	v_add_u32_e32 v5, v3, v4
; %bb.3079:
	s_or_b64 exec, exec, s[6:7]
	s_mov_b64 s[0:1], 0
	s_mov_b64 s[6:7], -1
	global_store_byte v[1:2], v5, off
.LBB167_3080:
	s_mov_b64 s[16:17], 0
.LBB167_3081:
	s_and_b64 vcc, exec, s[16:17]
	s_cbranch_vccz .LBB167_3084
; %bb.3082:
	s_cmp_eq_u32 s24, 29
	s_mov_b64 s[0:1], -1
	s_cbranch_scc0 .LBB167_3084
; %bb.3083:
	s_mov_b32 s0, 0
	v_cndmask_b32_e64 v3, 0, 1, s[22:23]
	v_mov_b32_e32 v4, s0
	global_store_dwordx2 v[1:2], v[3:4], off
	s_mov_b64 s[0:1], 0
	s_mov_b64 s[6:7], -1
.LBB167_3084:
	s_mov_b64 s[16:17], 0
.LBB167_3085:
	s_and_b64 vcc, exec, s[16:17]
	s_cbranch_vccz .LBB167_3101
; %bb.3086:
	s_cmp_lt_i32 s24, 27
	s_mov_b64 s[6:7], -1
	s_cbranch_scc1 .LBB167_3092
; %bb.3087:
	s_cmp_gt_i32 s24, 27
	s_cbranch_scc0 .LBB167_3089
; %bb.3088:
	v_cndmask_b32_e64 v3, 0, 1, s[22:23]
	s_mov_b64 s[6:7], 0
	global_store_dword v[1:2], v3, off
.LBB167_3089:
	s_andn2_b64 vcc, exec, s[6:7]
	s_cbranch_vccnz .LBB167_3091
; %bb.3090:
	v_cndmask_b32_e64 v3, 0, 1, s[22:23]
	global_store_short v[1:2], v3, off
.LBB167_3091:
	s_mov_b64 s[6:7], 0
.LBB167_3092:
	s_andn2_b64 vcc, exec, s[6:7]
	s_cbranch_vccnz .LBB167_3100
; %bb.3093:
	v_cndmask_b32_e64 v4, 0, 1.0, s[22:23]
	s_mov_b32 s6, 0x43800000
	v_cmp_gt_u32_e32 vcc, s6, v4
	v_mov_b32_e32 v5, 0x80
	s_and_saveexec_b64 s[6:7], vcc
	s_cbranch_execz .LBB167_3099
; %bb.3094:
	s_mov_b32 s16, 0x3bffffff
	v_cmp_lt_u32_e32 vcc, s16, v4
	s_mov_b64 s[16:17], 0
                                        ; implicit-def: $vgpr3
	s_and_saveexec_b64 s[18:19], vcc
	s_xor_b64 s[18:19], exec, s[18:19]
	s_cbranch_execz .LBB167_3275
; %bb.3095:
	v_bfe_u32 v3, v4, 20, 1
	s_mov_b32 s20, 0x487ffff
	v_add3_u32 v3, v4, v3, s20
	s_mov_b64 s[16:17], exec
	v_lshrrev_b32_e32 v3, 20, v3
                                        ; implicit-def: $vgpr4
	s_andn2_saveexec_b64 s[18:19], s[18:19]
	s_cbranch_execnz .LBB167_3276
.LBB167_3096:
	s_or_b64 exec, exec, s[18:19]
	v_mov_b32_e32 v5, 0
	s_and_saveexec_b64 s[18:19], s[16:17]
.LBB167_3097:
	v_mov_b32_e32 v5, v3
.LBB167_3098:
	s_or_b64 exec, exec, s[18:19]
.LBB167_3099:
	s_or_b64 exec, exec, s[6:7]
	global_store_byte v[1:2], v5, off
.LBB167_3100:
	s_mov_b64 s[6:7], -1
.LBB167_3101:
	s_mov_b64 s[16:17], 0
.LBB167_3102:
	s_and_b64 vcc, exec, s[16:17]
	s_cbranch_vccz .LBB167_3142
; %bb.3103:
	s_cmp_gt_i32 s24, 22
	s_mov_b64 s[2:3], -1
	s_cbranch_scc0 .LBB167_3135
; %bb.3104:
	s_cmp_lt_i32 s24, 24
	s_cbranch_scc1 .LBB167_3124
; %bb.3105:
	s_cmp_gt_i32 s24, 24
	s_cbranch_scc0 .LBB167_3113
; %bb.3106:
	v_cndmask_b32_e64 v4, 0, 1.0, s[22:23]
	s_mov_b32 s2, 0x47800000
	v_cmp_gt_u32_e32 vcc, s2, v4
	v_mov_b32_e32 v5, 0x80
	s_and_saveexec_b64 s[2:3], vcc
	s_cbranch_execz .LBB167_3112
; %bb.3107:
	s_mov_b32 s6, 0x37ffffff
	v_cmp_lt_u32_e32 vcc, s6, v4
	s_mov_b64 s[6:7], 0
                                        ; implicit-def: $vgpr3
	s_and_saveexec_b64 s[16:17], vcc
	s_xor_b64 s[16:17], exec, s[16:17]
	s_cbranch_execz .LBB167_3278
; %bb.3108:
	v_bfe_u32 v3, v4, 21, 1
	s_mov_b32 s18, 0x88fffff
	v_add3_u32 v3, v4, v3, s18
	s_mov_b64 s[6:7], exec
	v_lshrrev_b32_e32 v3, 21, v3
                                        ; implicit-def: $vgpr4
	s_andn2_saveexec_b64 s[16:17], s[16:17]
	s_cbranch_execnz .LBB167_3279
.LBB167_3109:
	s_or_b64 exec, exec, s[16:17]
	v_mov_b32_e32 v5, 0
	s_and_saveexec_b64 s[16:17], s[6:7]
.LBB167_3110:
	v_mov_b32_e32 v5, v3
.LBB167_3111:
	s_or_b64 exec, exec, s[16:17]
.LBB167_3112:
	s_or_b64 exec, exec, s[2:3]
	s_mov_b64 s[2:3], 0
	global_store_byte v[1:2], v5, off
.LBB167_3113:
	s_and_b64 vcc, exec, s[2:3]
	s_cbranch_vccz .LBB167_3123
; %bb.3114:
	v_cndmask_b32_e64 v3, 0, 1.0, s[22:23]
	s_mov_b32 s2, 0x43f00000
	v_cmp_gt_u32_e32 vcc, s2, v3
                                        ; implicit-def: $vgpr4
	s_and_saveexec_b64 s[2:3], vcc
	s_xor_b64 s[2:3], exec, s[2:3]
	s_cbranch_execz .LBB167_3120
; %bb.3115:
	s_mov_b32 s6, 0x3c7fffff
	v_cmp_lt_u32_e32 vcc, s6, v3
                                        ; implicit-def: $vgpr4
	s_and_saveexec_b64 s[6:7], vcc
	s_xor_b64 s[6:7], exec, s[6:7]
; %bb.3116:
	v_bfe_u32 v4, v3, 20, 1
	s_mov_b32 s16, 0x407ffff
	v_add3_u32 v3, v3, v4, s16
	v_lshrrev_b32_e32 v4, 20, v3
	v_and_b32_e32 v3, 0xff00000, v3
	s_mov_b32 s16, 0x7f00000
	v_mov_b32_e32 v5, 0x7e
	v_cmp_ne_u32_e32 vcc, s16, v3
	v_cndmask_b32_e32 v4, v5, v4, vcc
                                        ; implicit-def: $vgpr3
; %bb.3117:
	s_andn2_saveexec_b64 s[6:7], s[6:7]
; %bb.3118:
	v_add_f32_e32 v4, 0x46800000, v3
; %bb.3119:
	s_or_b64 exec, exec, s[6:7]
                                        ; implicit-def: $vgpr3
.LBB167_3120:
	s_andn2_saveexec_b64 s[2:3], s[2:3]
; %bb.3121:
	s_mov_b32 s6, 0x7f800000
	v_mov_b32_e32 v4, 0x7e
	v_mov_b32_e32 v5, 0x7f
	v_cmp_lt_u32_e32 vcc, s6, v3
	v_cndmask_b32_e32 v4, v4, v5, vcc
; %bb.3122:
	s_or_b64 exec, exec, s[2:3]
	global_store_byte v[1:2], v4, off
.LBB167_3123:
	s_mov_b64 s[2:3], 0
.LBB167_3124:
	s_andn2_b64 vcc, exec, s[2:3]
	s_cbranch_vccnz .LBB167_3134
; %bb.3125:
	v_cndmask_b32_e64 v3, 0, 1.0, s[22:23]
	s_mov_b32 s2, 0x47800000
	v_cmp_gt_u32_e32 vcc, s2, v3
                                        ; implicit-def: $vgpr4
	s_and_saveexec_b64 s[2:3], vcc
	s_xor_b64 s[2:3], exec, s[2:3]
	s_cbranch_execz .LBB167_3131
; %bb.3126:
	s_mov_b32 s6, 0x387fffff
	v_cmp_lt_u32_e32 vcc, s6, v3
                                        ; implicit-def: $vgpr4
	s_and_saveexec_b64 s[6:7], vcc
	s_xor_b64 s[6:7], exec, s[6:7]
; %bb.3127:
	v_bfe_u32 v4, v3, 21, 1
	s_mov_b32 s16, 0x80fffff
	v_add3_u32 v3, v3, v4, s16
	v_lshrrev_b32_e32 v4, 21, v3
                                        ; implicit-def: $vgpr3
; %bb.3128:
	s_andn2_saveexec_b64 s[6:7], s[6:7]
; %bb.3129:
	v_add_f32_e32 v4, 0x43000000, v3
; %bb.3130:
	s_or_b64 exec, exec, s[6:7]
                                        ; implicit-def: $vgpr3
.LBB167_3131:
	s_andn2_saveexec_b64 s[2:3], s[2:3]
; %bb.3132:
	s_mov_b32 s6, 0x7f800000
	v_mov_b32_e32 v4, 0x7c
	v_mov_b32_e32 v5, 0x7f
	v_cmp_lt_u32_e32 vcc, s6, v3
	v_cndmask_b32_e32 v4, v4, v5, vcc
; %bb.3133:
	s_or_b64 exec, exec, s[2:3]
	global_store_byte v[1:2], v4, off
.LBB167_3134:
	s_mov_b64 s[2:3], 0
	s_mov_b64 s[6:7], -1
.LBB167_3135:
	s_andn2_b64 vcc, exec, s[2:3]
	s_mov_b64 s[2:3], 0
	s_cbranch_vccnz .LBB167_3142
; %bb.3136:
	s_cmp_gt_i32 s24, 14
	s_mov_b64 s[16:17], -1
	s_cbranch_scc0 .LBB167_3140
; %bb.3137:
	s_cmp_eq_u32 s24, 15
	s_mov_b64 s[0:1], -1
	s_cbranch_scc0 .LBB167_3139
; %bb.3138:
	v_cndmask_b32_e64 v3, 0, 1.0, s[22:23]
	v_bfe_u32 v4, v3, 16, 1
	s_movk_i32 s0, 0x7fff
	v_add3_u32 v3, v3, v4, s0
	global_store_short_d16_hi v[1:2], v3, off
	s_mov_b64 s[0:1], 0
	s_mov_b64 s[6:7], -1
.LBB167_3139:
	s_mov_b64 s[16:17], 0
.LBB167_3140:
	s_and_b64 vcc, exec, s[16:17]
	s_cbranch_vccz .LBB167_3142
; %bb.3141:
	s_cmp_lg_u32 s24, 11
	s_mov_b64 s[2:3], -1
	s_cselect_b64 s[0:1], -1, 0
.LBB167_3142:
	s_and_b64 vcc, exec, s[0:1]
	s_cbranch_vccnz .LBB167_3277
; %bb.3143:
	s_andn2_b64 vcc, exec, s[2:3]
	s_cbranch_vccnz .LBB167_3145
.LBB167_3144:
	v_cndmask_b32_e64 v3, 0, 1, s[22:23]
	s_mov_b64 s[6:7], -1
	global_store_byte v[1:2], v3, off
.LBB167_3145:
	s_mov_b64 s[0:1], 0
	s_branch .LBB167_3147
.LBB167_3146:
	s_mov_b64 s[0:1], -1
	s_mov_b64 s[6:7], 0
.LBB167_3147:
	s_and_b64 vcc, exec, s[0:1]
	s_cbranch_vccz .LBB167_3186
; %bb.3148:
	s_cmp_lt_i32 s24, 5
	s_mov_b64 s[0:1], -1
	s_cbranch_scc1 .LBB167_3169
; %bb.3149:
	s_cmp_lt_i32 s24, 8
	s_cbranch_scc1 .LBB167_3159
; %bb.3150:
	s_cmp_lt_i32 s24, 9
	s_cbranch_scc1 .LBB167_3156
; %bb.3151:
	s_cmp_gt_i32 s24, 9
	s_cbranch_scc0 .LBB167_3153
; %bb.3152:
	v_cndmask_b32_e64 v3, 0, 1, s[22:23]
	v_cvt_f64_u32_e32 v[3:4], v3
	v_mov_b32_e32 v5, 0
	v_mov_b32_e32 v6, v5
	s_mov_b64 s[0:1], 0
	global_store_dwordx4 v[1:2], v[3:6], off
.LBB167_3153:
	s_andn2_b64 vcc, exec, s[0:1]
	s_cbranch_vccnz .LBB167_3155
; %bb.3154:
	v_cndmask_b32_e64 v3, 0, 1.0, s[22:23]
	v_mov_b32_e32 v4, 0
	global_store_dwordx2 v[1:2], v[3:4], off
.LBB167_3155:
	s_mov_b64 s[0:1], 0
.LBB167_3156:
	s_andn2_b64 vcc, exec, s[0:1]
	s_cbranch_vccnz .LBB167_3158
; %bb.3157:
	v_cndmask_b32_e64 v3, 0, 1.0, s[22:23]
	v_cvt_f16_f32_e32 v3, v3
	global_store_dword v[1:2], v3, off
.LBB167_3158:
	s_mov_b64 s[0:1], 0
.LBB167_3159:
	s_andn2_b64 vcc, exec, s[0:1]
	s_cbranch_vccnz .LBB167_3168
; %bb.3160:
	s_cmp_lt_i32 s24, 6
	s_mov_b64 s[0:1], -1
	s_cbranch_scc1 .LBB167_3166
; %bb.3161:
	s_cmp_gt_i32 s24, 6
	s_cbranch_scc0 .LBB167_3163
; %bb.3162:
	v_cndmask_b32_e64 v3, 0, 1, s[22:23]
	v_cvt_f64_u32_e32 v[3:4], v3
	s_mov_b64 s[0:1], 0
	global_store_dwordx2 v[1:2], v[3:4], off
.LBB167_3163:
	s_andn2_b64 vcc, exec, s[0:1]
	s_cbranch_vccnz .LBB167_3165
; %bb.3164:
	v_cndmask_b32_e64 v3, 0, 1.0, s[22:23]
	global_store_dword v[1:2], v3, off
.LBB167_3165:
	s_mov_b64 s[0:1], 0
.LBB167_3166:
	s_andn2_b64 vcc, exec, s[0:1]
	s_cbranch_vccnz .LBB167_3168
; %bb.3167:
	v_cndmask_b32_e64 v3, 0, 1.0, s[22:23]
	v_cvt_f16_f32_e32 v3, v3
	global_store_short v[1:2], v3, off
.LBB167_3168:
	s_mov_b64 s[0:1], 0
.LBB167_3169:
	s_andn2_b64 vcc, exec, s[0:1]
	s_cbranch_vccnz .LBB167_3185
; %bb.3170:
	s_cmp_lt_i32 s24, 2
	s_mov_b64 s[0:1], -1
	s_cbranch_scc1 .LBB167_3180
; %bb.3171:
	s_cmp_lt_i32 s24, 3
	s_cbranch_scc1 .LBB167_3177
; %bb.3172:
	s_cmp_gt_i32 s24, 3
	s_cbranch_scc0 .LBB167_3174
; %bb.3173:
	s_mov_b32 s0, 0
	v_cndmask_b32_e64 v3, 0, 1, s[22:23]
	v_mov_b32_e32 v4, s0
	global_store_dwordx2 v[1:2], v[3:4], off
	s_mov_b64 s[0:1], 0
.LBB167_3174:
	s_andn2_b64 vcc, exec, s[0:1]
	s_cbranch_vccnz .LBB167_3176
; %bb.3175:
	v_cndmask_b32_e64 v3, 0, 1, s[22:23]
	global_store_dword v[1:2], v3, off
.LBB167_3176:
	s_mov_b64 s[0:1], 0
.LBB167_3177:
	s_andn2_b64 vcc, exec, s[0:1]
	s_cbranch_vccnz .LBB167_3179
; %bb.3178:
	v_cndmask_b32_e64 v3, 0, 1, s[22:23]
	global_store_short v[1:2], v3, off
.LBB167_3179:
	s_mov_b64 s[0:1], 0
.LBB167_3180:
	s_andn2_b64 vcc, exec, s[0:1]
	s_cbranch_vccnz .LBB167_3185
; %bb.3181:
	s_cmp_gt_i32 s24, 0
	s_mov_b64 s[0:1], -1
	s_cbranch_scc0 .LBB167_3183
; %bb.3182:
	v_cndmask_b32_e64 v3, 0, 1, s[22:23]
	global_store_byte v[1:2], v3, off
	s_mov_b64 s[0:1], 0
.LBB167_3183:
	s_andn2_b64 vcc, exec, s[0:1]
	s_cbranch_vccnz .LBB167_3185
; %bb.3184:
	v_cndmask_b32_e64 v3, 0, 1, s[22:23]
	global_store_byte v[1:2], v3, off
.LBB167_3185:
	s_mov_b64 s[6:7], -1
.LBB167_3186:
	s_andn2_b64 vcc, exec, s[6:7]
	s_cbranch_vccnz .LBB167_3263
; %bb.3187:
	v_mov_b32_e32 v1, s9
	v_add_co_u32_e32 v0, vcc, s8, v0
	s_cmp_lt_i32 s24, 11
	v_addc_co_u32_e32 v1, vcc, 0, v1, vcc
	s_cbranch_scc1 .LBB167_3264
; %bb.3188:
	s_mov_b64 s[6:7], -1
	s_mov_b64 s[2:3], 0
	s_cmp_gt_i32 s24, 25
	s_mov_b64 s[0:1], 0
	s_cbranch_scc0 .LBB167_3221
; %bb.3189:
	s_cmp_gt_i32 s24, 28
	s_cbranch_scc0 .LBB167_3205
; %bb.3190:
	s_cmp_gt_i32 s24, 43
	;; [unrolled: 3-line block ×3, first 2 shown]
	s_cbranch_scc0 .LBB167_3195
; %bb.3192:
	s_cmp_eq_u32 s24, 46
	s_mov_b64 s[0:1], -1
	s_cbranch_scc0 .LBB167_3194
; %bb.3193:
	v_cndmask_b32_e64 v2, 0, 1.0, s[10:11]
	v_bfe_u32 v3, v2, 16, 1
	s_movk_i32 s0, 0x7fff
	v_add3_u32 v2, v2, v3, s0
	v_lshrrev_b32_e32 v2, 16, v2
	global_store_dword v[0:1], v2, off
	s_mov_b64 s[0:1], 0
.LBB167_3194:
	s_mov_b64 s[6:7], 0
.LBB167_3195:
	s_and_b64 vcc, exec, s[6:7]
	s_cbranch_vccz .LBB167_3200
; %bb.3196:
	s_cmp_eq_u32 s24, 44
	s_mov_b64 s[0:1], -1
	s_cbranch_scc0 .LBB167_3200
; %bb.3197:
	v_cndmask_b32_e64 v3, 0, 1.0, s[10:11]
	v_lshrrev_b32_e32 v2, 23, v3
	s_movk_i32 s0, 0xff
	v_cmp_ne_u32_e32 vcc, s0, v2
	v_mov_b32_e32 v4, 0xff
	s_and_saveexec_b64 s[6:7], vcc
; %bb.3198:
	s_mov_b32 s0, 0x3fffff
	v_and_b32_e32 v4, 0x400000, v3
	v_and_or_b32 v3, v3, s0, v2
	v_cmp_ne_u32_e32 vcc, 0, v4
	v_cmp_ne_u32_e64 s[0:1], 0, v3
	s_and_b64 s[0:1], vcc, s[0:1]
	v_cndmask_b32_e64 v3, 0, 1, s[0:1]
	v_add_u32_e32 v4, v2, v3
; %bb.3199:
	s_or_b64 exec, exec, s[6:7]
	s_mov_b64 s[0:1], 0
	global_store_byte v[0:1], v4, off
.LBB167_3200:
	s_mov_b64 s[6:7], 0
.LBB167_3201:
	s_and_b64 vcc, exec, s[6:7]
	s_cbranch_vccz .LBB167_3204
; %bb.3202:
	s_cmp_eq_u32 s24, 29
	s_mov_b64 s[0:1], -1
	s_cbranch_scc0 .LBB167_3204
; %bb.3203:
	s_mov_b32 s0, 0
	v_cndmask_b32_e64 v2, 0, 1, s[10:11]
	v_mov_b32_e32 v3, s0
	global_store_dwordx2 v[0:1], v[2:3], off
	s_mov_b64 s[0:1], 0
.LBB167_3204:
	s_mov_b64 s[6:7], 0
.LBB167_3205:
	s_and_b64 vcc, exec, s[6:7]
	s_cbranch_vccz .LBB167_3220
; %bb.3206:
	s_cmp_lt_i32 s24, 27
	s_mov_b64 s[6:7], -1
	s_cbranch_scc1 .LBB167_3212
; %bb.3207:
	s_cmp_gt_i32 s24, 27
	v_cndmask_b32_e64 v2, 0, 1, s[10:11]
	s_cbranch_scc0 .LBB167_3209
; %bb.3208:
	global_store_dword v[0:1], v2, off
	s_mov_b64 s[6:7], 0
.LBB167_3209:
	s_andn2_b64 vcc, exec, s[6:7]
	s_cbranch_vccnz .LBB167_3211
; %bb.3210:
	global_store_short v[0:1], v2, off
.LBB167_3211:
	s_mov_b64 s[6:7], 0
.LBB167_3212:
	s_andn2_b64 vcc, exec, s[6:7]
	s_cbranch_vccnz .LBB167_3220
; %bb.3213:
	v_cndmask_b32_e64 v3, 0, 1.0, s[10:11]
	s_mov_b32 s6, 0x43800000
	v_cmp_gt_u32_e32 vcc, s6, v3
	v_mov_b32_e32 v4, 0x80
	s_and_saveexec_b64 s[6:7], vcc
	s_cbranch_execz .LBB167_3219
; %bb.3214:
	s_mov_b32 s8, 0x3bffffff
	v_cmp_lt_u32_e32 vcc, s8, v3
	s_mov_b64 s[8:9], 0
                                        ; implicit-def: $vgpr2
	s_and_saveexec_b64 s[16:17], vcc
	s_xor_b64 s[16:17], exec, s[16:17]
	s_cbranch_execz .LBB167_3280
; %bb.3215:
	v_bfe_u32 v2, v3, 20, 1
	s_mov_b32 s18, 0x487ffff
	v_add3_u32 v2, v3, v2, s18
	s_mov_b64 s[8:9], exec
	v_lshrrev_b32_e32 v2, 20, v2
                                        ; implicit-def: $vgpr3
	s_andn2_saveexec_b64 s[16:17], s[16:17]
	s_cbranch_execnz .LBB167_3281
.LBB167_3216:
	s_or_b64 exec, exec, s[16:17]
	v_mov_b32_e32 v4, 0
	s_and_saveexec_b64 s[16:17], s[8:9]
.LBB167_3217:
	v_mov_b32_e32 v4, v2
.LBB167_3218:
	s_or_b64 exec, exec, s[16:17]
.LBB167_3219:
	s_or_b64 exec, exec, s[6:7]
	global_store_byte v[0:1], v4, off
.LBB167_3220:
	s_mov_b64 s[6:7], 0
.LBB167_3221:
	s_and_b64 vcc, exec, s[6:7]
	s_cbranch_vccz .LBB167_3261
; %bb.3222:
	s_cmp_gt_i32 s24, 22
	s_mov_b64 s[2:3], -1
	s_cbranch_scc0 .LBB167_3254
; %bb.3223:
	s_cmp_lt_i32 s24, 24
	s_cbranch_scc1 .LBB167_3243
; %bb.3224:
	s_cmp_gt_i32 s24, 24
	s_cbranch_scc0 .LBB167_3232
; %bb.3225:
	v_cndmask_b32_e64 v3, 0, 1.0, s[10:11]
	s_mov_b32 s2, 0x47800000
	v_cmp_gt_u32_e32 vcc, s2, v3
	v_mov_b32_e32 v4, 0x80
	s_and_saveexec_b64 s[2:3], vcc
	s_cbranch_execz .LBB167_3231
; %bb.3226:
	s_mov_b32 s6, 0x37ffffff
	v_cmp_lt_u32_e32 vcc, s6, v3
	s_mov_b64 s[6:7], 0
                                        ; implicit-def: $vgpr2
	s_and_saveexec_b64 s[8:9], vcc
	s_xor_b64 s[8:9], exec, s[8:9]
	s_cbranch_execz .LBB167_3283
; %bb.3227:
	v_bfe_u32 v2, v3, 21, 1
	s_mov_b32 s16, 0x88fffff
	v_add3_u32 v2, v3, v2, s16
	s_mov_b64 s[6:7], exec
	v_lshrrev_b32_e32 v2, 21, v2
                                        ; implicit-def: $vgpr3
	s_andn2_saveexec_b64 s[8:9], s[8:9]
	s_cbranch_execnz .LBB167_3284
.LBB167_3228:
	s_or_b64 exec, exec, s[8:9]
	v_mov_b32_e32 v4, 0
	s_and_saveexec_b64 s[8:9], s[6:7]
.LBB167_3229:
	v_mov_b32_e32 v4, v2
.LBB167_3230:
	s_or_b64 exec, exec, s[8:9]
.LBB167_3231:
	s_or_b64 exec, exec, s[2:3]
	s_mov_b64 s[2:3], 0
	global_store_byte v[0:1], v4, off
.LBB167_3232:
	s_and_b64 vcc, exec, s[2:3]
	s_cbranch_vccz .LBB167_3242
; %bb.3233:
	v_cndmask_b32_e64 v2, 0, 1.0, s[10:11]
	s_mov_b32 s2, 0x43f00000
	v_cmp_gt_u32_e32 vcc, s2, v2
                                        ; implicit-def: $vgpr3
	s_and_saveexec_b64 s[2:3], vcc
	s_xor_b64 s[2:3], exec, s[2:3]
	s_cbranch_execz .LBB167_3239
; %bb.3234:
	s_mov_b32 s6, 0x3c7fffff
	v_cmp_lt_u32_e32 vcc, s6, v2
                                        ; implicit-def: $vgpr3
	s_and_saveexec_b64 s[6:7], vcc
	s_xor_b64 s[6:7], exec, s[6:7]
; %bb.3235:
	v_bfe_u32 v3, v2, 20, 1
	s_mov_b32 s8, 0x407ffff
	v_add3_u32 v2, v2, v3, s8
	v_lshrrev_b32_e32 v3, 20, v2
	v_and_b32_e32 v2, 0xff00000, v2
	s_mov_b32 s8, 0x7f00000
	v_mov_b32_e32 v4, 0x7e
	v_cmp_ne_u32_e32 vcc, s8, v2
	v_cndmask_b32_e32 v3, v4, v3, vcc
                                        ; implicit-def: $vgpr2
; %bb.3236:
	s_andn2_saveexec_b64 s[6:7], s[6:7]
; %bb.3237:
	v_add_f32_e32 v3, 0x46800000, v2
; %bb.3238:
	s_or_b64 exec, exec, s[6:7]
                                        ; implicit-def: $vgpr2
.LBB167_3239:
	s_andn2_saveexec_b64 s[2:3], s[2:3]
; %bb.3240:
	s_mov_b32 s6, 0x7f800000
	v_mov_b32_e32 v3, 0x7e
	v_mov_b32_e32 v4, 0x7f
	v_cmp_lt_u32_e32 vcc, s6, v2
	v_cndmask_b32_e32 v3, v3, v4, vcc
; %bb.3241:
	s_or_b64 exec, exec, s[2:3]
	global_store_byte v[0:1], v3, off
.LBB167_3242:
	s_mov_b64 s[2:3], 0
.LBB167_3243:
	s_andn2_b64 vcc, exec, s[2:3]
	s_cbranch_vccnz .LBB167_3253
; %bb.3244:
	v_cndmask_b32_e64 v2, 0, 1.0, s[10:11]
	s_mov_b32 s2, 0x47800000
	v_cmp_gt_u32_e32 vcc, s2, v2
                                        ; implicit-def: $vgpr3
	s_and_saveexec_b64 s[2:3], vcc
	s_xor_b64 s[2:3], exec, s[2:3]
	s_cbranch_execz .LBB167_3250
; %bb.3245:
	s_mov_b32 s6, 0x387fffff
	v_cmp_lt_u32_e32 vcc, s6, v2
                                        ; implicit-def: $vgpr3
	s_and_saveexec_b64 s[6:7], vcc
	s_xor_b64 s[6:7], exec, s[6:7]
; %bb.3246:
	v_bfe_u32 v3, v2, 21, 1
	s_mov_b32 s8, 0x80fffff
	v_add3_u32 v2, v2, v3, s8
	v_lshrrev_b32_e32 v3, 21, v2
                                        ; implicit-def: $vgpr2
; %bb.3247:
	s_andn2_saveexec_b64 s[6:7], s[6:7]
; %bb.3248:
	v_add_f32_e32 v3, 0x43000000, v2
; %bb.3249:
	s_or_b64 exec, exec, s[6:7]
                                        ; implicit-def: $vgpr2
.LBB167_3250:
	s_andn2_saveexec_b64 s[2:3], s[2:3]
; %bb.3251:
	s_mov_b32 s6, 0x7f800000
	v_mov_b32_e32 v3, 0x7c
	v_mov_b32_e32 v4, 0x7f
	v_cmp_lt_u32_e32 vcc, s6, v2
	v_cndmask_b32_e32 v3, v3, v4, vcc
; %bb.3252:
	s_or_b64 exec, exec, s[2:3]
	global_store_byte v[0:1], v3, off
.LBB167_3253:
	s_mov_b64 s[2:3], 0
.LBB167_3254:
	s_andn2_b64 vcc, exec, s[2:3]
	s_mov_b64 s[2:3], 0
	s_cbranch_vccnz .LBB167_3261
; %bb.3255:
	s_cmp_gt_i32 s24, 14
	s_mov_b64 s[6:7], -1
	s_cbranch_scc0 .LBB167_3259
; %bb.3256:
	s_cmp_eq_u32 s24, 15
	s_mov_b64 s[0:1], -1
	s_cbranch_scc0 .LBB167_3258
; %bb.3257:
	v_cndmask_b32_e64 v2, 0, 1.0, s[10:11]
	v_bfe_u32 v3, v2, 16, 1
	s_movk_i32 s0, 0x7fff
	v_add3_u32 v2, v2, v3, s0
	global_store_short_d16_hi v[0:1], v2, off
	s_mov_b64 s[0:1], 0
.LBB167_3258:
	s_mov_b64 s[6:7], 0
.LBB167_3259:
	s_and_b64 vcc, exec, s[6:7]
	s_cbranch_vccz .LBB167_3261
; %bb.3260:
	s_cmp_lg_u32 s24, 11
	s_mov_b64 s[2:3], -1
	s_cselect_b64 s[0:1], -1, 0
.LBB167_3261:
	s_and_b64 vcc, exec, s[0:1]
	s_cbranch_vccnz .LBB167_3282
.LBB167_3262:
	s_mov_b64 s[0:1], 0
	s_branch .LBB167_2783
.LBB167_3263:
	s_mov_b64 s[0:1], 0
	s_branch .LBB167_2782
.LBB167_3264:
	s_mov_b64 s[2:3], 0
	s_mov_b64 s[0:1], -1
	s_branch .LBB167_2783
.LBB167_3265:
	s_andn2_saveexec_b64 s[24:25], s[24:25]
	s_cbranch_execz .LBB167_2858
.LBB167_3266:
	v_add_f32_e32 v1, 0x46000000, v3
	v_and_b32_e32 v1, 0xff, v1
	v_cmp_ne_u32_e32 vcc, 0, v1
	s_andn2_b64 s[18:19], s[18:19], exec
	s_and_b64 s[28:29], vcc, exec
	s_or_b64 s[18:19], s[18:19], s[28:29]
	s_or_b64 exec, exec, s[24:25]
	v_mov_b32_e32 v7, 0
	s_and_saveexec_b64 s[24:25], s[18:19]
	s_cbranch_execnz .LBB167_2859
	s_branch .LBB167_2860
.LBB167_3267:
	s_trap 2
	s_or_b64 s[4:5], s[4:5], exec
	s_cbranch_execz .LBB167_2906
	s_branch .LBB167_2907
.LBB167_3268:
	s_andn2_saveexec_b64 s[18:19], s[18:19]
	s_cbranch_execz .LBB167_2871
.LBB167_3269:
	v_add_f32_e32 v1, 0x42800000, v3
	v_and_b32_e32 v1, 0xff, v1
	v_cmp_ne_u32_e32 vcc, 0, v1
	s_andn2_b64 s[16:17], s[16:17], exec
	s_and_b64 s[24:25], vcc, exec
	s_or_b64 s[16:17], s[16:17], s[24:25]
	s_or_b64 exec, exec, s[18:19]
	v_mov_b32_e32 v7, 0
	s_and_saveexec_b64 s[18:19], s[16:17]
	s_cbranch_execnz .LBB167_2872
	s_branch .LBB167_2873
.LBB167_3270:
	s_andn2_saveexec_b64 s[18:19], s[18:19]
	s_cbranch_execz .LBB167_2977
.LBB167_3271:
	v_add_f32_e32 v1, 0x46000000, v5
	v_and_b32_e32 v1, 0xff, v1
	v_cmp_ne_u32_e32 vcc, 0, v1
	s_andn2_b64 s[16:17], s[16:17], exec
	s_and_b64 s[28:29], vcc, exec
	s_or_b64 s[16:17], s[16:17], s[28:29]
	s_or_b64 exec, exec, s[18:19]
	v_mov_b32_e32 v6, 0
	s_and_saveexec_b64 s[18:19], s[16:17]
	s_cbranch_execnz .LBB167_2978
	s_branch .LBB167_2979
.LBB167_3272:
	s_trap 2
	s_or_b64 s[4:5], s[4:5], exec
	s_cbranch_execz .LBB167_3025
	s_branch .LBB167_3026
.LBB167_3273:
	s_andn2_saveexec_b64 s[16:17], s[16:17]
	s_cbranch_execz .LBB167_2990
.LBB167_3274:
	v_add_f32_e32 v1, 0x42800000, v5
	v_and_b32_e32 v1, 0xff, v1
	v_cmp_ne_u32_e32 vcc, 0, v1
	s_andn2_b64 s[6:7], s[6:7], exec
	s_and_b64 s[18:19], vcc, exec
	s_or_b64 s[6:7], s[6:7], s[18:19]
	s_or_b64 exec, exec, s[16:17]
	v_mov_b32_e32 v6, 0
	s_and_saveexec_b64 s[16:17], s[6:7]
	s_cbranch_execnz .LBB167_2991
	s_branch .LBB167_2992
.LBB167_3275:
	s_andn2_saveexec_b64 s[18:19], s[18:19]
	s_cbranch_execz .LBB167_3096
.LBB167_3276:
	v_add_f32_e32 v3, 0x46000000, v4
	v_and_b32_e32 v3, 0xff, v3
	v_cmp_ne_u32_e32 vcc, 0, v3
	s_andn2_b64 s[16:17], s[16:17], exec
	s_and_b64 s[20:21], vcc, exec
	s_or_b64 s[16:17], s[16:17], s[20:21]
	s_or_b64 exec, exec, s[18:19]
	v_mov_b32_e32 v5, 0
	s_and_saveexec_b64 s[18:19], s[16:17]
	s_cbranch_execnz .LBB167_3097
	s_branch .LBB167_3098
.LBB167_3277:
	s_trap 2
	s_or_b64 s[4:5], s[4:5], exec
	s_cbranch_execz .LBB167_3144
	s_branch .LBB167_3145
.LBB167_3278:
	s_andn2_saveexec_b64 s[16:17], s[16:17]
	s_cbranch_execz .LBB167_3109
.LBB167_3279:
	v_add_f32_e32 v3, 0x42800000, v4
	v_and_b32_e32 v3, 0xff, v3
	v_cmp_ne_u32_e32 vcc, 0, v3
	s_andn2_b64 s[6:7], s[6:7], exec
	s_and_b64 s[18:19], vcc, exec
	s_or_b64 s[6:7], s[6:7], s[18:19]
	s_or_b64 exec, exec, s[16:17]
	v_mov_b32_e32 v5, 0
	s_and_saveexec_b64 s[16:17], s[6:7]
	s_cbranch_execnz .LBB167_3110
	s_branch .LBB167_3111
.LBB167_3280:
	s_andn2_saveexec_b64 s[16:17], s[16:17]
	s_cbranch_execz .LBB167_3216
.LBB167_3281:
	v_add_f32_e32 v2, 0x46000000, v3
	v_and_b32_e32 v2, 0xff, v2
	v_cmp_ne_u32_e32 vcc, 0, v2
	s_andn2_b64 s[8:9], s[8:9], exec
	s_and_b64 s[18:19], vcc, exec
	s_or_b64 s[8:9], s[8:9], s[18:19]
	s_or_b64 exec, exec, s[16:17]
	v_mov_b32_e32 v4, 0
	s_and_saveexec_b64 s[16:17], s[8:9]
	s_cbranch_execnz .LBB167_3217
	s_branch .LBB167_3218
.LBB167_3282:
	s_mov_b64 s[2:3], 0
	s_or_b64 s[4:5], s[4:5], exec
	s_trap 2
	s_branch .LBB167_3262
.LBB167_3283:
	s_andn2_saveexec_b64 s[8:9], s[8:9]
	s_cbranch_execz .LBB167_3228
.LBB167_3284:
	v_add_f32_e32 v2, 0x42800000, v3
	v_and_b32_e32 v2, 0xff, v2
	v_cmp_ne_u32_e32 vcc, 0, v2
	s_andn2_b64 s[6:7], s[6:7], exec
	s_and_b64 s[16:17], vcc, exec
	s_or_b64 s[6:7], s[6:7], s[16:17]
	s_or_b64 exec, exec, s[8:9]
	v_mov_b32_e32 v4, 0
	s_and_saveexec_b64 s[8:9], s[6:7]
	s_cbranch_execnz .LBB167_3229
	s_branch .LBB167_3230
	.section	.rodata,"a",@progbits
	.p2align	6, 0x0
	.amdhsa_kernel _ZN2at6native32elementwise_kernel_manual_unrollILi128ELi4EZNS0_15gpu_kernel_implINS0_13BinaryFunctorIN3c107complexINS4_8BFloat16EEES7_bNS0_12_GLOBAL__N_116CompareEqFunctorIS7_EEEEEEvRNS_18TensorIteratorBaseERKT_EUlibE0_EEviT1_
		.amdhsa_group_segment_fixed_size 0
		.amdhsa_private_segment_fixed_size 0
		.amdhsa_kernarg_size 432
		.amdhsa_user_sgpr_count 6
		.amdhsa_user_sgpr_private_segment_buffer 1
		.amdhsa_user_sgpr_dispatch_ptr 0
		.amdhsa_user_sgpr_queue_ptr 0
		.amdhsa_user_sgpr_kernarg_segment_ptr 1
		.amdhsa_user_sgpr_dispatch_id 0
		.amdhsa_user_sgpr_flat_scratch_init 0
		.amdhsa_user_sgpr_private_segment_size 0
		.amdhsa_uses_dynamic_stack 0
		.amdhsa_system_sgpr_private_segment_wavefront_offset 0
		.amdhsa_system_sgpr_workgroup_id_x 1
		.amdhsa_system_sgpr_workgroup_id_y 0
		.amdhsa_system_sgpr_workgroup_id_z 0
		.amdhsa_system_sgpr_workgroup_info 0
		.amdhsa_system_vgpr_workitem_id 0
		.amdhsa_next_free_vgpr 26
		.amdhsa_next_free_sgpr 80
		.amdhsa_reserve_vcc 1
		.amdhsa_reserve_flat_scratch 0
		.amdhsa_float_round_mode_32 0
		.amdhsa_float_round_mode_16_64 0
		.amdhsa_float_denorm_mode_32 3
		.amdhsa_float_denorm_mode_16_64 3
		.amdhsa_dx10_clamp 1
		.amdhsa_ieee_mode 1
		.amdhsa_fp16_overflow 0
		.amdhsa_exception_fp_ieee_invalid_op 0
		.amdhsa_exception_fp_denorm_src 0
		.amdhsa_exception_fp_ieee_div_zero 0
		.amdhsa_exception_fp_ieee_overflow 0
		.amdhsa_exception_fp_ieee_underflow 0
		.amdhsa_exception_fp_ieee_inexact 0
		.amdhsa_exception_int_div_zero 0
	.end_amdhsa_kernel
	.section	.text._ZN2at6native32elementwise_kernel_manual_unrollILi128ELi4EZNS0_15gpu_kernel_implINS0_13BinaryFunctorIN3c107complexINS4_8BFloat16EEES7_bNS0_12_GLOBAL__N_116CompareEqFunctorIS7_EEEEEEvRNS_18TensorIteratorBaseERKT_EUlibE0_EEviT1_,"axG",@progbits,_ZN2at6native32elementwise_kernel_manual_unrollILi128ELi4EZNS0_15gpu_kernel_implINS0_13BinaryFunctorIN3c107complexINS4_8BFloat16EEES7_bNS0_12_GLOBAL__N_116CompareEqFunctorIS7_EEEEEEvRNS_18TensorIteratorBaseERKT_EUlibE0_EEviT1_,comdat
.Lfunc_end167:
	.size	_ZN2at6native32elementwise_kernel_manual_unrollILi128ELi4EZNS0_15gpu_kernel_implINS0_13BinaryFunctorIN3c107complexINS4_8BFloat16EEES7_bNS0_12_GLOBAL__N_116CompareEqFunctorIS7_EEEEEEvRNS_18TensorIteratorBaseERKT_EUlibE0_EEviT1_, .Lfunc_end167-_ZN2at6native32elementwise_kernel_manual_unrollILi128ELi4EZNS0_15gpu_kernel_implINS0_13BinaryFunctorIN3c107complexINS4_8BFloat16EEES7_bNS0_12_GLOBAL__N_116CompareEqFunctorIS7_EEEEEEvRNS_18TensorIteratorBaseERKT_EUlibE0_EEviT1_
                                        ; -- End function
	.set _ZN2at6native32elementwise_kernel_manual_unrollILi128ELi4EZNS0_15gpu_kernel_implINS0_13BinaryFunctorIN3c107complexINS4_8BFloat16EEES7_bNS0_12_GLOBAL__N_116CompareEqFunctorIS7_EEEEEEvRNS_18TensorIteratorBaseERKT_EUlibE0_EEviT1_.num_vgpr, 26
	.set _ZN2at6native32elementwise_kernel_manual_unrollILi128ELi4EZNS0_15gpu_kernel_implINS0_13BinaryFunctorIN3c107complexINS4_8BFloat16EEES7_bNS0_12_GLOBAL__N_116CompareEqFunctorIS7_EEEEEEvRNS_18TensorIteratorBaseERKT_EUlibE0_EEviT1_.num_agpr, 0
	.set _ZN2at6native32elementwise_kernel_manual_unrollILi128ELi4EZNS0_15gpu_kernel_implINS0_13BinaryFunctorIN3c107complexINS4_8BFloat16EEES7_bNS0_12_GLOBAL__N_116CompareEqFunctorIS7_EEEEEEvRNS_18TensorIteratorBaseERKT_EUlibE0_EEviT1_.numbered_sgpr, 80
	.set _ZN2at6native32elementwise_kernel_manual_unrollILi128ELi4EZNS0_15gpu_kernel_implINS0_13BinaryFunctorIN3c107complexINS4_8BFloat16EEES7_bNS0_12_GLOBAL__N_116CompareEqFunctorIS7_EEEEEEvRNS_18TensorIteratorBaseERKT_EUlibE0_EEviT1_.num_named_barrier, 0
	.set _ZN2at6native32elementwise_kernel_manual_unrollILi128ELi4EZNS0_15gpu_kernel_implINS0_13BinaryFunctorIN3c107complexINS4_8BFloat16EEES7_bNS0_12_GLOBAL__N_116CompareEqFunctorIS7_EEEEEEvRNS_18TensorIteratorBaseERKT_EUlibE0_EEviT1_.private_seg_size, 0
	.set _ZN2at6native32elementwise_kernel_manual_unrollILi128ELi4EZNS0_15gpu_kernel_implINS0_13BinaryFunctorIN3c107complexINS4_8BFloat16EEES7_bNS0_12_GLOBAL__N_116CompareEqFunctorIS7_EEEEEEvRNS_18TensorIteratorBaseERKT_EUlibE0_EEviT1_.uses_vcc, 1
	.set _ZN2at6native32elementwise_kernel_manual_unrollILi128ELi4EZNS0_15gpu_kernel_implINS0_13BinaryFunctorIN3c107complexINS4_8BFloat16EEES7_bNS0_12_GLOBAL__N_116CompareEqFunctorIS7_EEEEEEvRNS_18TensorIteratorBaseERKT_EUlibE0_EEviT1_.uses_flat_scratch, 0
	.set _ZN2at6native32elementwise_kernel_manual_unrollILi128ELi4EZNS0_15gpu_kernel_implINS0_13BinaryFunctorIN3c107complexINS4_8BFloat16EEES7_bNS0_12_GLOBAL__N_116CompareEqFunctorIS7_EEEEEEvRNS_18TensorIteratorBaseERKT_EUlibE0_EEviT1_.has_dyn_sized_stack, 0
	.set _ZN2at6native32elementwise_kernel_manual_unrollILi128ELi4EZNS0_15gpu_kernel_implINS0_13BinaryFunctorIN3c107complexINS4_8BFloat16EEES7_bNS0_12_GLOBAL__N_116CompareEqFunctorIS7_EEEEEEvRNS_18TensorIteratorBaseERKT_EUlibE0_EEviT1_.has_recursion, 0
	.set _ZN2at6native32elementwise_kernel_manual_unrollILi128ELi4EZNS0_15gpu_kernel_implINS0_13BinaryFunctorIN3c107complexINS4_8BFloat16EEES7_bNS0_12_GLOBAL__N_116CompareEqFunctorIS7_EEEEEEvRNS_18TensorIteratorBaseERKT_EUlibE0_EEviT1_.has_indirect_call, 0
	.section	.AMDGPU.csdata,"",@progbits
; Kernel info:
; codeLenInByte = 64664
; TotalNumSgprs: 84
; NumVgprs: 26
; ScratchSize: 0
; MemoryBound: 0
; FloatMode: 240
; IeeeMode: 1
; LDSByteSize: 0 bytes/workgroup (compile time only)
; SGPRBlocks: 10
; VGPRBlocks: 6
; NumSGPRsForWavesPerEU: 84
; NumVGPRsForWavesPerEU: 26
; Occupancy: 9
; WaveLimiterHint : 1
; COMPUTE_PGM_RSRC2:SCRATCH_EN: 0
; COMPUTE_PGM_RSRC2:USER_SGPR: 6
; COMPUTE_PGM_RSRC2:TRAP_HANDLER: 0
; COMPUTE_PGM_RSRC2:TGID_X_EN: 1
; COMPUTE_PGM_RSRC2:TGID_Y_EN: 0
; COMPUTE_PGM_RSRC2:TGID_Z_EN: 0
; COMPUTE_PGM_RSRC2:TIDIG_COMP_CNT: 0
	.section	.text._ZN2at6native29vectorized_elementwise_kernelILi16ENS0_13AUnaryFunctorIN3c107complexINS3_8BFloat16EEES6_bNS0_12_GLOBAL__N_116CompareEqFunctorIS6_EEEESt5arrayIPcLm2EEEEviT0_T1_,"axG",@progbits,_ZN2at6native29vectorized_elementwise_kernelILi16ENS0_13AUnaryFunctorIN3c107complexINS3_8BFloat16EEES6_bNS0_12_GLOBAL__N_116CompareEqFunctorIS6_EEEESt5arrayIPcLm2EEEEviT0_T1_,comdat
	.globl	_ZN2at6native29vectorized_elementwise_kernelILi16ENS0_13AUnaryFunctorIN3c107complexINS3_8BFloat16EEES6_bNS0_12_GLOBAL__N_116CompareEqFunctorIS6_EEEESt5arrayIPcLm2EEEEviT0_T1_ ; -- Begin function _ZN2at6native29vectorized_elementwise_kernelILi16ENS0_13AUnaryFunctorIN3c107complexINS3_8BFloat16EEES6_bNS0_12_GLOBAL__N_116CompareEqFunctorIS6_EEEESt5arrayIPcLm2EEEEviT0_T1_
	.p2align	8
	.type	_ZN2at6native29vectorized_elementwise_kernelILi16ENS0_13AUnaryFunctorIN3c107complexINS3_8BFloat16EEES6_bNS0_12_GLOBAL__N_116CompareEqFunctorIS6_EEEESt5arrayIPcLm2EEEEviT0_T1_,@function
_ZN2at6native29vectorized_elementwise_kernelILi16ENS0_13AUnaryFunctorIN3c107complexINS3_8BFloat16EEES6_bNS0_12_GLOBAL__N_116CompareEqFunctorIS6_EEEESt5arrayIPcLm2EEEEviT0_T1_: ; @_ZN2at6native29vectorized_elementwise_kernelILi16ENS0_13AUnaryFunctorIN3c107complexINS3_8BFloat16EEES6_bNS0_12_GLOBAL__N_116CompareEqFunctorIS6_EEEESt5arrayIPcLm2EEEEviT0_T1_
; %bb.0:
	s_load_dwordx8 s[8:15], s[4:5], 0x0
	s_lshl_b32 s6, s6, 12
	s_mov_b64 s[0:1], -1
	s_waitcnt lgkmcnt(0)
	s_sub_i32 s33, s8, s6
	s_cmpk_gt_i32 s33, 0xfff
	s_cbranch_scc0 .LBB168_50
; %bb.1:
	s_ashr_i32 s7, s6, 31
	s_lshl_b64 s[0:1], s[6:7], 2
	s_add_u32 s0, s14, s0
	s_addc_u32 s1, s15, s1
	v_lshlrev_b32_e32 v17, 6, v0
	global_load_dwordx4 v[13:16], v17, s[0:1]
	global_load_dwordx4 v[9:12], v17, s[0:1] offset:16
	global_load_dwordx4 v[1:4], v17, s[0:1] offset:48
	;; [unrolled: 1-line block ×3, first 2 shown]
	s_cmp_lg_u32 s9, 0
	s_cselect_b64 s[2:3], -1, 0
	s_lshl_b32 s8, s10, 16
	s_and_b32 s11, s10, 0xffff0000
	s_and_b64 vcc, exec, s[2:3]
	s_waitcnt vmcnt(3)
	v_lshlrev_b32_e32 v17, 16, v13
	s_cbranch_vccz .LBB168_196
; %bb.2:
	v_and_b32_e32 v18, 0xffff0000, v13
	v_cmp_neq_f32_e32 vcc, s8, v17
	v_cmp_neq_f32_e64 s[0:1], s11, v18
	s_or_b64 s[4:5], vcc, s[0:1]
	s_cbranch_execnz .LBB168_4
.LBB168_3:
	v_and_b32_e32 v13, 0xffff0000, v13
	v_cmp_eq_f32_e32 vcc, s8, v17
	v_cmp_eq_f32_e64 s[0:1], s11, v13
	s_and_b64 s[0:1], vcc, s[0:1]
	s_andn2_b64 s[4:5], s[4:5], exec
	s_and_b64 s[0:1], s[0:1], exec
	s_or_b64 s[4:5], s[4:5], s[0:1]
.LBB168_4:
	v_cndmask_b32_e64 v13, 0, 1, s[2:3]
	v_cmp_ne_u32_e64 s[0:1], 1, v13
	s_andn2_b64 vcc, exec, s[2:3]
	v_lshlrev_b32_e32 v13, 16, v14
	s_cbranch_vccnz .LBB168_197
; %bb.5:
	v_and_b32_e32 v17, 0xffff0000, v14
	v_cmp_neq_f32_e32 vcc, s8, v13
	v_cmp_neq_f32_e64 s[2:3], s11, v17
	s_or_b64 s[16:17], vcc, s[2:3]
	s_cbranch_execnz .LBB168_7
.LBB168_6:
	v_and_b32_e32 v14, 0xffff0000, v14
	v_cmp_eq_f32_e32 vcc, s8, v13
	v_cmp_eq_f32_e64 s[2:3], s11, v14
	s_and_b64 s[2:3], vcc, s[2:3]
	s_andn2_b64 s[16:17], s[16:17], exec
	s_and_b64 s[2:3], s[2:3], exec
	s_or_b64 s[16:17], s[16:17], s[2:3]
.LBB168_7:
	s_and_b64 vcc, exec, s[0:1]
	v_lshlrev_b32_e32 v13, 16, v15
	s_cbranch_vccnz .LBB168_198
; %bb.8:
	v_and_b32_e32 v14, 0xffff0000, v15
	v_cmp_neq_f32_e32 vcc, s8, v13
	v_cmp_neq_f32_e64 s[2:3], s11, v14
	s_or_b64 s[18:19], vcc, s[2:3]
	s_cbranch_execnz .LBB168_10
.LBB168_9:
	v_and_b32_e32 v14, 0xffff0000, v15
	v_cmp_eq_f32_e32 vcc, s8, v13
	v_cmp_eq_f32_e64 s[2:3], s11, v14
	s_and_b64 s[2:3], vcc, s[2:3]
	s_andn2_b64 s[18:19], s[18:19], exec
	s_and_b64 s[2:3], s[2:3], exec
	s_or_b64 s[18:19], s[18:19], s[2:3]
.LBB168_10:
	s_and_b64 vcc, exec, s[0:1]
	v_lshlrev_b32_e32 v13, 16, v16
	s_cbranch_vccnz .LBB168_199
; %bb.11:
	v_and_b32_e32 v14, 0xffff0000, v16
	v_cmp_neq_f32_e32 vcc, s8, v13
	v_cmp_neq_f32_e64 s[2:3], s11, v14
	s_or_b64 s[20:21], vcc, s[2:3]
	s_cbranch_execnz .LBB168_13
.LBB168_12:
	v_and_b32_e32 v14, 0xffff0000, v16
	v_cmp_eq_f32_e32 vcc, s8, v13
	v_cmp_eq_f32_e64 s[2:3], s11, v14
	s_and_b64 s[2:3], vcc, s[2:3]
	s_andn2_b64 s[20:21], s[20:21], exec
	s_and_b64 s[2:3], s[2:3], exec
	s_or_b64 s[20:21], s[20:21], s[2:3]
.LBB168_13:
	s_and_b64 vcc, exec, s[0:1]
	s_waitcnt vmcnt(2)
	v_lshlrev_b32_e32 v13, 16, v9
	s_cbranch_vccnz .LBB168_200
; %bb.14:
	v_and_b32_e32 v14, 0xffff0000, v9
	v_cmp_neq_f32_e32 vcc, s8, v13
	v_cmp_neq_f32_e64 s[2:3], s11, v14
	s_or_b64 s[22:23], vcc, s[2:3]
	s_cbranch_execnz .LBB168_16
.LBB168_15:
	v_and_b32_e32 v9, 0xffff0000, v9
	v_cmp_eq_f32_e32 vcc, s8, v13
	v_cmp_eq_f32_e64 s[2:3], s11, v9
	s_and_b64 s[2:3], vcc, s[2:3]
	s_andn2_b64 s[22:23], s[22:23], exec
	s_and_b64 s[2:3], s[2:3], exec
	s_or_b64 s[22:23], s[22:23], s[2:3]
.LBB168_16:
	s_and_b64 vcc, exec, s[0:1]
	v_lshlrev_b32_e32 v9, 16, v10
	s_cbranch_vccnz .LBB168_201
; %bb.17:
	v_and_b32_e32 v13, 0xffff0000, v10
	v_cmp_neq_f32_e32 vcc, s8, v9
	v_cmp_neq_f32_e64 s[2:3], s11, v13
	s_or_b64 s[24:25], vcc, s[2:3]
	s_cbranch_execnz .LBB168_19
.LBB168_18:
	v_and_b32_e32 v10, 0xffff0000, v10
	v_cmp_eq_f32_e32 vcc, s8, v9
	v_cmp_eq_f32_e64 s[2:3], s11, v10
	s_and_b64 s[2:3], vcc, s[2:3]
	s_andn2_b64 s[24:25], s[24:25], exec
	s_and_b64 s[2:3], s[2:3], exec
	s_or_b64 s[24:25], s[24:25], s[2:3]
.LBB168_19:
	s_and_b64 vcc, exec, s[0:1]
	v_lshlrev_b32_e32 v9, 16, v11
	s_cbranch_vccnz .LBB168_202
; %bb.20:
	v_and_b32_e32 v10, 0xffff0000, v11
	v_cmp_neq_f32_e32 vcc, s8, v9
	v_cmp_neq_f32_e64 s[2:3], s11, v10
	s_or_b64 s[26:27], vcc, s[2:3]
	s_cbranch_execnz .LBB168_22
.LBB168_21:
	v_and_b32_e32 v10, 0xffff0000, v11
	v_cmp_eq_f32_e32 vcc, s8, v9
	v_cmp_eq_f32_e64 s[2:3], s11, v10
	s_and_b64 s[2:3], vcc, s[2:3]
	s_andn2_b64 s[26:27], s[26:27], exec
	s_and_b64 s[2:3], s[2:3], exec
	s_or_b64 s[26:27], s[26:27], s[2:3]
.LBB168_22:
	s_and_b64 vcc, exec, s[0:1]
	v_lshlrev_b32_e32 v9, 16, v12
	s_cbranch_vccnz .LBB168_203
; %bb.23:
	v_and_b32_e32 v10, 0xffff0000, v12
	v_cmp_neq_f32_e32 vcc, s8, v9
	v_cmp_neq_f32_e64 s[2:3], s11, v10
	s_or_b64 s[28:29], vcc, s[2:3]
	s_cbranch_execnz .LBB168_25
.LBB168_24:
	v_and_b32_e32 v10, 0xffff0000, v12
	v_cmp_eq_f32_e32 vcc, s8, v9
	v_cmp_eq_f32_e64 s[2:3], s11, v10
	s_and_b64 s[2:3], vcc, s[2:3]
	s_andn2_b64 s[28:29], s[28:29], exec
	s_and_b64 s[2:3], s[2:3], exec
	s_or_b64 s[28:29], s[28:29], s[2:3]
.LBB168_25:
	s_and_b64 vcc, exec, s[0:1]
	s_waitcnt vmcnt(0)
	v_lshlrev_b32_e32 v9, 16, v5
	s_cbranch_vccnz .LBB168_204
; %bb.26:
	v_and_b32_e32 v10, 0xffff0000, v5
	v_cmp_neq_f32_e32 vcc, s8, v9
	v_cmp_neq_f32_e64 s[2:3], s11, v10
	s_or_b64 s[30:31], vcc, s[2:3]
	s_cbranch_execnz .LBB168_28
.LBB168_27:
	v_and_b32_e32 v5, 0xffff0000, v5
	v_cmp_eq_f32_e32 vcc, s8, v9
	v_cmp_eq_f32_e64 s[2:3], s11, v5
	s_and_b64 s[2:3], vcc, s[2:3]
	s_andn2_b64 s[30:31], s[30:31], exec
	s_and_b64 s[2:3], s[2:3], exec
	s_or_b64 s[30:31], s[30:31], s[2:3]
.LBB168_28:
	s_and_b64 vcc, exec, s[0:1]
	v_lshlrev_b32_e32 v5, 16, v6
	s_cbranch_vccnz .LBB168_205
; %bb.29:
	v_and_b32_e32 v9, 0xffff0000, v6
	v_cmp_neq_f32_e32 vcc, s8, v5
	v_cmp_neq_f32_e64 s[2:3], s11, v9
	s_or_b64 s[34:35], vcc, s[2:3]
	s_cbranch_execnz .LBB168_31
.LBB168_30:
	v_and_b32_e32 v6, 0xffff0000, v6
	v_cmp_eq_f32_e32 vcc, s8, v5
	v_cmp_eq_f32_e64 s[2:3], s11, v6
	s_and_b64 s[2:3], vcc, s[2:3]
	s_andn2_b64 s[34:35], s[34:35], exec
	s_and_b64 s[2:3], s[2:3], exec
	s_or_b64 s[34:35], s[34:35], s[2:3]
.LBB168_31:
	s_and_b64 vcc, exec, s[0:1]
	v_lshlrev_b32_e32 v5, 16, v7
	s_cbranch_vccnz .LBB168_206
; %bb.32:
	v_and_b32_e32 v6, 0xffff0000, v7
	v_cmp_neq_f32_e32 vcc, s8, v5
	v_cmp_neq_f32_e64 s[2:3], s11, v6
	s_or_b64 s[36:37], vcc, s[2:3]
	s_cbranch_execnz .LBB168_34
.LBB168_33:
	v_and_b32_e32 v6, 0xffff0000, v7
	v_cmp_eq_f32_e32 vcc, s8, v5
	v_cmp_eq_f32_e64 s[2:3], s11, v6
	s_and_b64 s[2:3], vcc, s[2:3]
	s_andn2_b64 s[36:37], s[36:37], exec
	s_and_b64 s[2:3], s[2:3], exec
	s_or_b64 s[36:37], s[36:37], s[2:3]
.LBB168_34:
	s_and_b64 vcc, exec, s[0:1]
	v_lshlrev_b32_e32 v5, 16, v8
	s_cbranch_vccnz .LBB168_207
; %bb.35:
	v_and_b32_e32 v6, 0xffff0000, v8
	v_cmp_neq_f32_e32 vcc, s8, v5
	v_cmp_neq_f32_e64 s[2:3], s11, v6
	s_or_b64 s[38:39], vcc, s[2:3]
	s_cbranch_execnz .LBB168_37
.LBB168_36:
	v_and_b32_e32 v6, 0xffff0000, v8
	v_cmp_eq_f32_e32 vcc, s8, v5
	v_cmp_eq_f32_e64 s[2:3], s11, v6
	s_and_b64 s[2:3], vcc, s[2:3]
	s_andn2_b64 s[38:39], s[38:39], exec
	s_and_b64 s[2:3], s[2:3], exec
	s_or_b64 s[38:39], s[38:39], s[2:3]
.LBB168_37:
	s_and_b64 vcc, exec, s[0:1]
	v_lshlrev_b32_e32 v5, 16, v1
	s_cbranch_vccnz .LBB168_208
; %bb.38:
	v_and_b32_e32 v6, 0xffff0000, v1
	v_cmp_neq_f32_e32 vcc, s8, v5
	v_cmp_neq_f32_e64 s[2:3], s11, v6
	s_or_b64 s[40:41], vcc, s[2:3]
	s_cbranch_execnz .LBB168_40
.LBB168_39:
	v_and_b32_e32 v1, 0xffff0000, v1
	v_cmp_eq_f32_e32 vcc, s8, v5
	v_cmp_eq_f32_e64 s[2:3], s11, v1
	s_and_b64 s[2:3], vcc, s[2:3]
	s_andn2_b64 s[40:41], s[40:41], exec
	s_and_b64 s[2:3], s[2:3], exec
	s_or_b64 s[40:41], s[40:41], s[2:3]
.LBB168_40:
	s_and_b64 vcc, exec, s[0:1]
	v_lshlrev_b32_e32 v1, 16, v2
	s_cbranch_vccnz .LBB168_209
; %bb.41:
	v_and_b32_e32 v5, 0xffff0000, v2
	v_cmp_neq_f32_e32 vcc, s8, v1
	v_cmp_neq_f32_e64 s[2:3], s11, v5
	s_or_b64 s[42:43], vcc, s[2:3]
	s_cbranch_execnz .LBB168_43
.LBB168_42:
	v_and_b32_e32 v2, 0xffff0000, v2
	v_cmp_eq_f32_e32 vcc, s8, v1
	v_cmp_eq_f32_e64 s[2:3], s11, v2
	s_and_b64 s[2:3], vcc, s[2:3]
	s_andn2_b64 s[42:43], s[42:43], exec
	s_and_b64 s[2:3], s[2:3], exec
	s_or_b64 s[42:43], s[42:43], s[2:3]
.LBB168_43:
	s_and_b64 vcc, exec, s[0:1]
	v_lshlrev_b32_e32 v1, 16, v3
	s_cbranch_vccnz .LBB168_210
; %bb.44:
	v_and_b32_e32 v2, 0xffff0000, v3
	v_cmp_neq_f32_e32 vcc, s8, v1
	v_cmp_neq_f32_e64 s[2:3], s11, v2
	s_or_b64 s[44:45], vcc, s[2:3]
	s_cbranch_execnz .LBB168_46
.LBB168_45:
	v_and_b32_e32 v2, 0xffff0000, v3
	v_cmp_eq_f32_e32 vcc, s8, v1
	v_cmp_eq_f32_e64 s[2:3], s11, v2
	s_and_b64 s[2:3], vcc, s[2:3]
	s_andn2_b64 s[44:45], s[44:45], exec
	s_and_b64 s[2:3], s[2:3], exec
	s_or_b64 s[44:45], s[44:45], s[2:3]
.LBB168_46:
	s_and_b64 vcc, exec, s[0:1]
	v_lshlrev_b32_e32 v1, 16, v4
	s_cbranch_vccnz .LBB168_211
; %bb.47:
	v_and_b32_e32 v2, 0xffff0000, v4
	v_cmp_neq_f32_e32 vcc, s8, v1
	v_cmp_neq_f32_e64 s[0:1], s11, v2
	s_or_b64 s[2:3], vcc, s[0:1]
	s_cbranch_execnz .LBB168_49
.LBB168_48:
	v_and_b32_e32 v2, 0xffff0000, v4
	v_cmp_eq_f32_e32 vcc, s8, v1
	v_cmp_eq_f32_e64 s[0:1], s11, v2
	s_and_b64 s[0:1], vcc, s[0:1]
	s_andn2_b64 s[2:3], s[2:3], exec
	s_and_b64 s[0:1], s[0:1], exec
	s_or_b64 s[2:3], s[2:3], s[0:1]
.LBB168_49:
	v_cndmask_b32_e64 v1, 0, 1, s[16:17]
	v_lshlrev_b16_e32 v1, 8, v1
	v_cndmask_b32_e64 v2, 0, 1, s[4:5]
	v_or_b32_e32 v1, v2, v1
	v_cndmask_b32_e64 v2, 0, 1, s[20:21]
	v_lshlrev_b16_e32 v2, 8, v2
	v_cndmask_b32_e64 v3, 0, 1, s[18:19]
	v_or_b32_sdwa v2, v3, v2 dst_sel:WORD_1 dst_unused:UNUSED_PAD src0_sel:DWORD src1_sel:DWORD
	v_or_b32_sdwa v1, v1, v2 dst_sel:DWORD dst_unused:UNUSED_PAD src0_sel:WORD_0 src1_sel:DWORD
	v_cndmask_b32_e64 v2, 0, 1, s[24:25]
	v_lshlrev_b16_e32 v2, 8, v2
	v_cndmask_b32_e64 v3, 0, 1, s[22:23]
	v_or_b32_e32 v2, v3, v2
	v_cndmask_b32_e64 v3, 0, 1, s[28:29]
	v_lshlrev_b16_e32 v3, 8, v3
	v_cndmask_b32_e64 v4, 0, 1, s[26:27]
	v_or_b32_sdwa v3, v4, v3 dst_sel:WORD_1 dst_unused:UNUSED_PAD src0_sel:DWORD src1_sel:DWORD
	v_or_b32_sdwa v2, v2, v3 dst_sel:DWORD dst_unused:UNUSED_PAD src0_sel:WORD_0 src1_sel:DWORD
	;; [unrolled: 9-line block ×3, first 2 shown]
	v_cndmask_b32_e64 v4, 0, 1, s[42:43]
	v_lshlrev_b16_e32 v4, 8, v4
	v_cndmask_b32_e64 v6, 0, 1, s[40:41]
	v_or_b32_e32 v4, v6, v4
	v_cndmask_b32_e64 v6, 0, 1, s[2:3]
	v_lshlrev_b16_e32 v6, 8, v6
	v_cndmask_b32_e64 v7, 0, 1, s[44:45]
	s_add_u32 s0, s12, s6
	v_or_b32_sdwa v6, v7, v6 dst_sel:WORD_1 dst_unused:UNUSED_PAD src0_sel:DWORD src1_sel:DWORD
	s_addc_u32 s1, s13, s7
	v_lshlrev_b32_e32 v5, 4, v0
	v_or_b32_sdwa v4, v4, v6 dst_sel:DWORD dst_unused:UNUSED_PAD src0_sel:WORD_0 src1_sel:DWORD
	global_store_dwordx4 v5, v[1:4], s[0:1]
	s_mov_b64 s[0:1], 0
.LBB168_50:
	s_and_b64 vcc, exec, s[0:1]
	s_cbranch_vccz .LBB168_195
; %bb.51:
	v_cmp_gt_i32_e64 s[0:1], s33, v0
	v_mov_b32_e32 v4, 0
	v_or_b32_e32 v1, s6, v0
	v_mov_b32_e32 v5, 0
	v_mov_b32_e32 v6, 0
	;; [unrolled: 1-line block ×15, first 2 shown]
	s_and_saveexec_b64 s[2:3], s[0:1]
	s_cbranch_execz .LBB168_83
; %bb.52:
	v_mov_b32_e32 v2, 0
	v_lshlrev_b64 v[3:4], 2, v[1:2]
	v_mov_b32_e32 v5, s15
	v_add_co_u32_e32 v3, vcc, s14, v3
	v_addc_co_u32_e32 v4, vcc, v5, v4, vcc
	global_load_dword v20, v[3:4], off
	v_or_b32_e32 v3, 0x100, v0
	v_cmp_gt_u32_e32 vcc, s33, v3
	v_mov_b32_e32 v15, v2
	v_mov_b32_e32 v19, v2
	;; [unrolled: 1-line block ×14, first 2 shown]
	s_and_saveexec_b64 s[4:5], vcc
	s_cbranch_execz .LBB168_82
; %bb.53:
	v_add_u32_e32 v14, s6, v0
	v_mov_b32_e32 v15, 0
	v_lshlrev_b64 v[2:3], 2, v[14:15]
	v_mov_b32_e32 v4, s15
	v_add_co_u32_e32 v16, vcc, s14, v2
	v_addc_co_u32_e32 v17, vcc, v4, v3, vcc
	global_load_dword v2, v[16:17], off offset:1024
	v_or_b32_e32 v3, 0x200, v0
	v_cmp_gt_u32_e32 vcc, s33, v3
	v_mov_b32_e32 v19, v15
	v_mov_b32_e32 v18, v15
	;; [unrolled: 1-line block ×13, first 2 shown]
	s_and_saveexec_b64 s[16:17], vcc
	s_cbranch_execz .LBB168_81
; %bb.54:
	global_load_dword v15, v[16:17], off offset:2048
	v_or_b32_e32 v3, 0x300, v0
	v_cmp_gt_u32_e32 vcc, s33, v3
	v_mov_b32_e32 v19, 0
	v_mov_b32_e32 v18, 0
	;; [unrolled: 1-line block ×13, first 2 shown]
	s_and_saveexec_b64 s[18:19], vcc
	s_cbranch_execz .LBB168_80
; %bb.55:
	global_load_dword v19, v[16:17], off offset:3072
	v_or_b32_e32 v3, 0x400, v0
	v_cmp_gt_u32_e32 vcc, s33, v3
	v_mov_b32_e32 v18, 0
	v_mov_b32_e32 v14, 0
	;; [unrolled: 1-line block ×12, first 2 shown]
	s_and_saveexec_b64 s[20:21], vcc
	s_cbranch_execz .LBB168_79
; %bb.56:
	v_or_b32_e32 v13, s6, v3
	v_mov_b32_e32 v14, 0
	v_lshlrev_b64 v[3:4], 2, v[13:14]
	v_mov_b32_e32 v5, s15
	v_add_co_u32_e32 v3, vcc, s14, v3
	v_addc_co_u32_e32 v4, vcc, v5, v4, vcc
	global_load_dword v18, v[3:4], off
	v_or_b32_e32 v3, 0x500, v0
	v_cmp_gt_u32_e32 vcc, s33, v3
	v_mov_b32_e32 v13, v14
	v_mov_b32_e32 v12, v14
	;; [unrolled: 1-line block ×10, first 2 shown]
	s_and_saveexec_b64 s[22:23], vcc
	s_cbranch_execz .LBB168_78
; %bb.57:
	v_or_b32_e32 v12, s6, v3
	v_mov_b32_e32 v13, 0
	v_lshlrev_b64 v[3:4], 2, v[12:13]
	v_mov_b32_e32 v5, s15
	v_add_co_u32_e32 v3, vcc, s14, v3
	v_addc_co_u32_e32 v4, vcc, v5, v4, vcc
	global_load_dword v14, v[3:4], off
	v_or_b32_e32 v3, 0x600, v0
	v_cmp_gt_u32_e32 vcc, s33, v3
	v_mov_b32_e32 v12, v13
	v_mov_b32_e32 v11, v13
	;; [unrolled: 1-line block ×9, first 2 shown]
	s_and_saveexec_b64 s[24:25], vcc
	s_cbranch_execz .LBB168_77
; %bb.58:
	v_or_b32_e32 v11, s6, v3
	v_mov_b32_e32 v12, 0
	v_lshlrev_b64 v[3:4], 2, v[11:12]
	v_mov_b32_e32 v5, s15
	v_add_co_u32_e32 v3, vcc, s14, v3
	v_addc_co_u32_e32 v4, vcc, v5, v4, vcc
	global_load_dword v13, v[3:4], off
	v_or_b32_e32 v3, 0x700, v0
	v_cmp_gt_u32_e32 vcc, s33, v3
	v_mov_b32_e32 v11, v12
	v_mov_b32_e32 v10, v12
	v_mov_b32_e32 v9, v12
	v_mov_b32_e32 v8, v12
	v_mov_b32_e32 v7, v12
	v_mov_b32_e32 v6, v12
	v_mov_b32_e32 v5, v12
	v_mov_b32_e32 v4, v12
	s_and_saveexec_b64 s[26:27], vcc
	s_cbranch_execz .LBB168_76
; %bb.59:
	v_or_b32_e32 v10, s6, v3
	v_mov_b32_e32 v11, 0
	v_lshlrev_b64 v[3:4], 2, v[10:11]
	v_mov_b32_e32 v5, s15
	v_add_co_u32_e32 v3, vcc, s14, v3
	v_addc_co_u32_e32 v4, vcc, v5, v4, vcc
	global_load_dword v12, v[3:4], off
	v_or_b32_e32 v3, 0x800, v0
	v_cmp_gt_u32_e32 vcc, s33, v3
	v_mov_b32_e32 v10, v11
	v_mov_b32_e32 v9, v11
	;; [unrolled: 1-line block ×7, first 2 shown]
	s_and_saveexec_b64 s[28:29], vcc
	s_cbranch_execz .LBB168_75
; %bb.60:
	v_or_b32_e32 v9, s6, v3
	v_mov_b32_e32 v10, 0
	v_lshlrev_b64 v[3:4], 2, v[9:10]
	v_mov_b32_e32 v5, s15
	v_add_co_u32_e32 v3, vcc, s14, v3
	v_addc_co_u32_e32 v4, vcc, v5, v4, vcc
	global_load_dword v11, v[3:4], off
	v_or_b32_e32 v3, 0x900, v0
	v_cmp_gt_u32_e32 vcc, s33, v3
	v_mov_b32_e32 v9, v10
	v_mov_b32_e32 v8, v10
	;; [unrolled: 1-line block ×6, first 2 shown]
	s_and_saveexec_b64 s[30:31], vcc
	s_cbranch_execz .LBB168_74
; %bb.61:
	v_or_b32_e32 v8, s6, v3
	v_mov_b32_e32 v9, 0
	v_lshlrev_b64 v[3:4], 2, v[8:9]
	v_mov_b32_e32 v5, s15
	v_add_co_u32_e32 v3, vcc, s14, v3
	v_addc_co_u32_e32 v4, vcc, v5, v4, vcc
	global_load_dword v10, v[3:4], off
	v_or_b32_e32 v3, 0xa00, v0
	v_cmp_gt_u32_e32 vcc, s33, v3
	v_mov_b32_e32 v8, v9
	v_mov_b32_e32 v7, v9
	;; [unrolled: 1-line block ×5, first 2 shown]
	s_and_saveexec_b64 s[34:35], vcc
	s_cbranch_execz .LBB168_73
; %bb.62:
	v_or_b32_e32 v7, s6, v3
	v_mov_b32_e32 v8, 0
	v_lshlrev_b64 v[3:4], 2, v[7:8]
	v_mov_b32_e32 v5, s15
	v_add_co_u32_e32 v3, vcc, s14, v3
	v_addc_co_u32_e32 v4, vcc, v5, v4, vcc
	global_load_dword v9, v[3:4], off
	v_or_b32_e32 v3, 0xb00, v0
	v_cmp_gt_u32_e32 vcc, s33, v3
	v_mov_b32_e32 v7, v8
	v_mov_b32_e32 v6, v8
	;; [unrolled: 1-line block ×4, first 2 shown]
	s_and_saveexec_b64 s[36:37], vcc
	s_cbranch_execz .LBB168_72
; %bb.63:
	v_or_b32_e32 v6, s6, v3
	v_mov_b32_e32 v7, 0
	v_lshlrev_b64 v[3:4], 2, v[6:7]
	v_mov_b32_e32 v5, s15
	v_add_co_u32_e32 v3, vcc, s14, v3
	v_addc_co_u32_e32 v4, vcc, v5, v4, vcc
	global_load_dword v8, v[3:4], off
	v_or_b32_e32 v3, 0xc00, v0
	v_cmp_gt_u32_e32 vcc, s33, v3
	v_mov_b32_e32 v6, v7
	v_mov_b32_e32 v5, v7
	;; [unrolled: 1-line block ×3, first 2 shown]
	s_and_saveexec_b64 s[38:39], vcc
	s_cbranch_execz .LBB168_71
; %bb.64:
	v_or_b32_e32 v5, s6, v3
	v_mov_b32_e32 v6, 0
	v_lshlrev_b64 v[3:4], 2, v[5:6]
	v_mov_b32_e32 v5, s15
	v_add_co_u32_e32 v3, vcc, s14, v3
	v_addc_co_u32_e32 v4, vcc, v5, v4, vcc
	global_load_dword v7, v[3:4], off
	v_or_b32_e32 v3, 0xd00, v0
	v_cmp_gt_u32_e32 vcc, s33, v3
	v_mov_b32_e32 v5, v6
	v_mov_b32_e32 v4, v6
	s_and_saveexec_b64 s[40:41], vcc
	s_cbranch_execz .LBB168_70
; %bb.65:
	v_add_u32_e32 v4, s6, v3
	v_mov_b32_e32 v5, 0
	v_lshlrev_b64 v[3:4], 2, v[4:5]
	v_mov_b32_e32 v6, s15
	v_add_co_u32_e32 v3, vcc, s14, v3
	v_addc_co_u32_e32 v4, vcc, v6, v4, vcc
	global_load_dword v6, v[3:4], off
	v_or_b32_e32 v3, 0xe00, v0
	v_cmp_gt_u32_e32 vcc, s33, v3
	v_mov_b32_e32 v4, v5
	s_and_saveexec_b64 s[42:43], vcc
	s_cbranch_execz .LBB168_69
; %bb.66:
	v_add_u32_e32 v3, s6, v3
	v_mov_b32_e32 v4, 0
	v_lshlrev_b64 v[16:17], 2, v[3:4]
	v_mov_b32_e32 v3, s15
	v_add_co_u32_e32 v16, vcc, s14, v16
	v_addc_co_u32_e32 v17, vcc, v3, v17, vcc
	global_load_dword v5, v[16:17], off
	v_or_b32_e32 v3, 0xf00, v0
	v_cmp_gt_u32_e32 vcc, s33, v3
	s_and_saveexec_b64 s[44:45], vcc
	s_cbranch_execz .LBB168_68
; %bb.67:
	v_add_u32_e32 v3, s6, v3
	v_mov_b32_e32 v4, 0
	v_lshlrev_b64 v[3:4], 2, v[3:4]
	v_mov_b32_e32 v16, s15
	v_add_co_u32_e32 v3, vcc, s14, v3
	v_addc_co_u32_e32 v4, vcc, v16, v4, vcc
	global_load_dword v4, v[3:4], off
.LBB168_68:
	s_or_b64 exec, exec, s[44:45]
.LBB168_69:
	s_or_b64 exec, exec, s[42:43]
.LBB168_70:
	s_or_b64 exec, exec, s[40:41]
.LBB168_71:
	s_or_b64 exec, exec, s[38:39]
.LBB168_72:
	s_or_b64 exec, exec, s[36:37]
.LBB168_73:
	s_or_b64 exec, exec, s[34:35]
.LBB168_74:
	s_or_b64 exec, exec, s[30:31]
.LBB168_75:
	s_or_b64 exec, exec, s[28:29]
.LBB168_76:
	s_or_b64 exec, exec, s[26:27]
.LBB168_77:
	s_or_b64 exec, exec, s[24:25]
.LBB168_78:
	s_or_b64 exec, exec, s[22:23]
.LBB168_79:
	s_or_b64 exec, exec, s[20:21]
.LBB168_80:
	s_or_b64 exec, exec, s[18:19]
.LBB168_81:
	s_or_b64 exec, exec, s[16:17]
.LBB168_82:
	s_or_b64 exec, exec, s[4:5]
.LBB168_83:
	s_or_b64 exec, exec, s[2:3]
	s_cmp_lg_u32 s9, 0
	s_cselect_b64 s[4:5], -1, 0
	s_lshl_b32 s7, s10, 16
	s_and_b32 s14, s10, 0xffff0000
                                        ; implicit-def: $vgpr3
	s_and_saveexec_b64 s[8:9], s[0:1]
	s_cbranch_execz .LBB168_88
; %bb.84:
	s_and_b64 vcc, exec, s[4:5]
	s_waitcnt vmcnt(0)
	v_lshlrev_b32_e32 v3, 16, v20
	s_cbranch_vccz .LBB168_212
; %bb.85:
	v_and_b32_e32 v16, 0xffff0000, v20
	v_cmp_neq_f32_e32 vcc, s7, v3
	v_cmp_neq_f32_e64 s[2:3], s14, v16
	s_or_b64 s[10:11], vcc, s[2:3]
	s_cbranch_execnz .LBB168_87
.LBB168_86:
	v_and_b32_e32 v16, 0xffff0000, v20
	v_cmp_eq_f32_e32 vcc, s7, v3
	v_cmp_eq_f32_e64 s[2:3], s14, v16
	s_and_b64 s[2:3], vcc, s[2:3]
	s_andn2_b64 s[10:11], s[10:11], exec
	s_and_b64 s[2:3], s[2:3], exec
	s_or_b64 s[10:11], s[10:11], s[2:3]
.LBB168_87:
	v_cndmask_b32_e64 v3, 0, 1, s[10:11]
.LBB168_88:
	s_or_b64 exec, exec, s[8:9]
	v_or_b32_e32 v16, 0x100, v0
	v_cndmask_b32_e64 v17, 0, 1, s[4:5]
	v_cmp_gt_i32_e32 vcc, s33, v16
	v_cmp_ne_u32_e64 s[2:3], 1, v17
                                        ; implicit-def: $vgpr17
	s_and_saveexec_b64 s[8:9], vcc
	s_cbranch_execz .LBB168_93
; %bb.89:
	s_and_b64 vcc, exec, s[2:3]
	s_waitcnt vmcnt(0)
	v_lshlrev_b32_e32 v17, 16, v2
	s_cbranch_vccnz .LBB168_213
; %bb.90:
	v_and_b32_e32 v20, 0xffff0000, v2
	v_cmp_neq_f32_e32 vcc, s7, v17
	v_cmp_neq_f32_e64 s[4:5], s14, v20
	s_or_b64 s[10:11], vcc, s[4:5]
	s_cbranch_execnz .LBB168_92
.LBB168_91:
	v_and_b32_e32 v2, 0xffff0000, v2
	v_cmp_eq_f32_e32 vcc, s7, v17
	v_cmp_eq_f32_e64 s[4:5], s14, v2
	s_and_b64 s[4:5], vcc, s[4:5]
	s_andn2_b64 s[10:11], s[10:11], exec
	s_and_b64 s[4:5], s[4:5], exec
	s_or_b64 s[10:11], s[10:11], s[4:5]
.LBB168_92:
	v_cndmask_b32_e64 v17, 0, 1, s[10:11]
.LBB168_93:
	s_or_b64 exec, exec, s[8:9]
	s_waitcnt vmcnt(0)
	v_or_b32_e32 v2, 0x200, v0
	v_cmp_gt_i32_e32 vcc, s33, v2
                                        ; implicit-def: $vgpr2
	s_and_saveexec_b64 s[8:9], vcc
	s_cbranch_execz .LBB168_98
; %bb.94:
	s_and_b64 vcc, exec, s[2:3]
	v_lshlrev_b32_e32 v2, 16, v15
	s_cbranch_vccnz .LBB168_214
; %bb.95:
	v_and_b32_e32 v20, 0xffff0000, v15
	v_cmp_neq_f32_e32 vcc, s7, v2
	v_cmp_neq_f32_e64 s[4:5], s14, v20
	s_or_b64 s[10:11], vcc, s[4:5]
	s_cbranch_execnz .LBB168_97
.LBB168_96:
	v_and_b32_e32 v15, 0xffff0000, v15
	v_cmp_eq_f32_e32 vcc, s7, v2
	v_cmp_eq_f32_e64 s[4:5], s14, v15
	s_and_b64 s[4:5], vcc, s[4:5]
	s_andn2_b64 s[10:11], s[10:11], exec
	s_and_b64 s[4:5], s[4:5], exec
	s_or_b64 s[10:11], s[10:11], s[4:5]
.LBB168_97:
	v_cndmask_b32_e64 v2, 0, 1, s[10:11]
.LBB168_98:
	s_or_b64 exec, exec, s[8:9]
	v_or_b32_e32 v15, 0x300, v0
	v_cmp_gt_i32_e32 vcc, s33, v15
                                        ; implicit-def: $vgpr15
	s_and_saveexec_b64 s[8:9], vcc
	s_cbranch_execz .LBB168_103
; %bb.99:
	s_and_b64 vcc, exec, s[2:3]
	v_lshlrev_b32_e32 v15, 16, v19
	s_cbranch_vccnz .LBB168_215
; %bb.100:
	v_and_b32_e32 v20, 0xffff0000, v19
	v_cmp_neq_f32_e32 vcc, s7, v15
	v_cmp_neq_f32_e64 s[4:5], s14, v20
	s_or_b64 s[10:11], vcc, s[4:5]
	s_cbranch_execnz .LBB168_102
.LBB168_101:
	v_and_b32_e32 v19, 0xffff0000, v19
	v_cmp_eq_f32_e32 vcc, s7, v15
	v_cmp_eq_f32_e64 s[4:5], s14, v19
	s_and_b64 s[4:5], vcc, s[4:5]
	s_andn2_b64 s[10:11], s[10:11], exec
	s_and_b64 s[4:5], s[4:5], exec
	s_or_b64 s[10:11], s[10:11], s[4:5]
.LBB168_102:
	v_cndmask_b32_e64 v15, 0, 1, s[10:11]
.LBB168_103:
	s_or_b64 exec, exec, s[8:9]
	v_or_b32_e32 v19, 0x400, v0
	v_cmp_gt_i32_e32 vcc, s33, v19
                                        ; implicit-def: $vgpr19
	s_and_saveexec_b64 s[8:9], vcc
	s_cbranch_execz .LBB168_108
; %bb.104:
	s_and_b64 vcc, exec, s[2:3]
	v_lshlrev_b32_e32 v19, 16, v18
	s_cbranch_vccnz .LBB168_216
; %bb.105:
	v_and_b32_e32 v20, 0xffff0000, v18
	v_cmp_neq_f32_e32 vcc, s7, v19
	v_cmp_neq_f32_e64 s[4:5], s14, v20
	s_or_b64 s[10:11], vcc, s[4:5]
	s_cbranch_execnz .LBB168_107
.LBB168_106:
	v_and_b32_e32 v18, 0xffff0000, v18
	v_cmp_eq_f32_e32 vcc, s7, v19
	v_cmp_eq_f32_e64 s[4:5], s14, v18
	s_and_b64 s[4:5], vcc, s[4:5]
	s_andn2_b64 s[10:11], s[10:11], exec
	s_and_b64 s[4:5], s[4:5], exec
	s_or_b64 s[10:11], s[10:11], s[4:5]
.LBB168_107:
	v_cndmask_b32_e64 v19, 0, 1, s[10:11]
.LBB168_108:
	s_or_b64 exec, exec, s[8:9]
	v_or_b32_e32 v18, 0x500, v0
	v_cmp_gt_i32_e32 vcc, s33, v18
                                        ; implicit-def: $vgpr18
	s_and_saveexec_b64 s[8:9], vcc
	s_cbranch_execz .LBB168_113
; %bb.109:
	s_and_b64 vcc, exec, s[2:3]
	v_lshlrev_b32_e32 v18, 16, v14
	s_cbranch_vccnz .LBB168_217
; %bb.110:
	v_and_b32_e32 v20, 0xffff0000, v14
	v_cmp_neq_f32_e32 vcc, s7, v18
	v_cmp_neq_f32_e64 s[4:5], s14, v20
	s_or_b64 s[10:11], vcc, s[4:5]
	s_cbranch_execnz .LBB168_112
.LBB168_111:
	v_and_b32_e32 v14, 0xffff0000, v14
	v_cmp_eq_f32_e32 vcc, s7, v18
	v_cmp_eq_f32_e64 s[4:5], s14, v14
	s_and_b64 s[4:5], vcc, s[4:5]
	s_andn2_b64 s[10:11], s[10:11], exec
	s_and_b64 s[4:5], s[4:5], exec
	s_or_b64 s[10:11], s[10:11], s[4:5]
.LBB168_112:
	v_cndmask_b32_e64 v18, 0, 1, s[10:11]
.LBB168_113:
	s_or_b64 exec, exec, s[8:9]
	v_or_b32_e32 v14, 0x600, v0
	v_cmp_gt_i32_e32 vcc, s33, v14
                                        ; implicit-def: $vgpr14
	s_and_saveexec_b64 s[8:9], vcc
	s_cbranch_execz .LBB168_118
; %bb.114:
	s_and_b64 vcc, exec, s[2:3]
	v_lshlrev_b32_e32 v14, 16, v13
	s_cbranch_vccnz .LBB168_218
; %bb.115:
	v_and_b32_e32 v20, 0xffff0000, v13
	v_cmp_neq_f32_e32 vcc, s7, v14
	v_cmp_neq_f32_e64 s[4:5], s14, v20
	s_or_b64 s[10:11], vcc, s[4:5]
	s_cbranch_execnz .LBB168_117
.LBB168_116:
	v_and_b32_e32 v13, 0xffff0000, v13
	v_cmp_eq_f32_e32 vcc, s7, v14
	v_cmp_eq_f32_e64 s[4:5], s14, v13
	s_and_b64 s[4:5], vcc, s[4:5]
	s_andn2_b64 s[10:11], s[10:11], exec
	s_and_b64 s[4:5], s[4:5], exec
	s_or_b64 s[10:11], s[10:11], s[4:5]
.LBB168_117:
	v_cndmask_b32_e64 v14, 0, 1, s[10:11]
.LBB168_118:
	s_or_b64 exec, exec, s[8:9]
	v_or_b32_e32 v13, 0x700, v0
	v_cmp_gt_i32_e32 vcc, s33, v13
                                        ; implicit-def: $vgpr13
	s_and_saveexec_b64 s[8:9], vcc
	s_cbranch_execz .LBB168_123
; %bb.119:
	s_and_b64 vcc, exec, s[2:3]
	v_lshlrev_b32_e32 v13, 16, v12
	s_cbranch_vccnz .LBB168_219
; %bb.120:
	v_and_b32_e32 v20, 0xffff0000, v12
	v_cmp_neq_f32_e32 vcc, s7, v13
	v_cmp_neq_f32_e64 s[4:5], s14, v20
	s_or_b64 s[10:11], vcc, s[4:5]
	s_cbranch_execnz .LBB168_122
.LBB168_121:
	v_and_b32_e32 v12, 0xffff0000, v12
	v_cmp_eq_f32_e32 vcc, s7, v13
	v_cmp_eq_f32_e64 s[4:5], s14, v12
	s_and_b64 s[4:5], vcc, s[4:5]
	s_andn2_b64 s[10:11], s[10:11], exec
	s_and_b64 s[4:5], s[4:5], exec
	s_or_b64 s[10:11], s[10:11], s[4:5]
.LBB168_122:
	v_cndmask_b32_e64 v13, 0, 1, s[10:11]
.LBB168_123:
	s_or_b64 exec, exec, s[8:9]
	v_or_b32_e32 v12, 0x800, v0
	v_cmp_gt_i32_e32 vcc, s33, v12
                                        ; implicit-def: $vgpr12
	s_and_saveexec_b64 s[8:9], vcc
	s_cbranch_execz .LBB168_128
; %bb.124:
	s_and_b64 vcc, exec, s[2:3]
	v_lshlrev_b32_e32 v12, 16, v11
	s_cbranch_vccnz .LBB168_220
; %bb.125:
	v_and_b32_e32 v20, 0xffff0000, v11
	v_cmp_neq_f32_e32 vcc, s7, v12
	v_cmp_neq_f32_e64 s[4:5], s14, v20
	s_or_b64 s[10:11], vcc, s[4:5]
	s_cbranch_execnz .LBB168_127
.LBB168_126:
	v_and_b32_e32 v11, 0xffff0000, v11
	v_cmp_eq_f32_e32 vcc, s7, v12
	v_cmp_eq_f32_e64 s[4:5], s14, v11
	s_and_b64 s[4:5], vcc, s[4:5]
	s_andn2_b64 s[10:11], s[10:11], exec
	s_and_b64 s[4:5], s[4:5], exec
	s_or_b64 s[10:11], s[10:11], s[4:5]
.LBB168_127:
	v_cndmask_b32_e64 v12, 0, 1, s[10:11]
.LBB168_128:
	s_or_b64 exec, exec, s[8:9]
	v_or_b32_e32 v11, 0x900, v0
	v_cmp_gt_i32_e32 vcc, s33, v11
                                        ; implicit-def: $vgpr11
	s_and_saveexec_b64 s[8:9], vcc
	s_cbranch_execz .LBB168_133
; %bb.129:
	s_and_b64 vcc, exec, s[2:3]
	v_lshlrev_b32_e32 v11, 16, v10
	s_cbranch_vccnz .LBB168_221
; %bb.130:
	v_and_b32_e32 v20, 0xffff0000, v10
	v_cmp_neq_f32_e32 vcc, s7, v11
	v_cmp_neq_f32_e64 s[4:5], s14, v20
	s_or_b64 s[10:11], vcc, s[4:5]
	s_cbranch_execnz .LBB168_132
.LBB168_131:
	v_and_b32_e32 v10, 0xffff0000, v10
	v_cmp_eq_f32_e32 vcc, s7, v11
	v_cmp_eq_f32_e64 s[4:5], s14, v10
	s_and_b64 s[4:5], vcc, s[4:5]
	s_andn2_b64 s[10:11], s[10:11], exec
	s_and_b64 s[4:5], s[4:5], exec
	s_or_b64 s[10:11], s[10:11], s[4:5]
.LBB168_132:
	v_cndmask_b32_e64 v11, 0, 1, s[10:11]
.LBB168_133:
	s_or_b64 exec, exec, s[8:9]
	v_or_b32_e32 v10, 0xa00, v0
	v_cmp_gt_i32_e32 vcc, s33, v10
                                        ; implicit-def: $vgpr10
	s_and_saveexec_b64 s[8:9], vcc
	s_cbranch_execz .LBB168_138
; %bb.134:
	s_and_b64 vcc, exec, s[2:3]
	v_lshlrev_b32_e32 v10, 16, v9
	s_cbranch_vccnz .LBB168_222
; %bb.135:
	v_and_b32_e32 v20, 0xffff0000, v9
	v_cmp_neq_f32_e32 vcc, s7, v10
	v_cmp_neq_f32_e64 s[4:5], s14, v20
	s_or_b64 s[10:11], vcc, s[4:5]
	s_cbranch_execnz .LBB168_137
.LBB168_136:
	v_and_b32_e32 v9, 0xffff0000, v9
	v_cmp_eq_f32_e32 vcc, s7, v10
	v_cmp_eq_f32_e64 s[4:5], s14, v9
	s_and_b64 s[4:5], vcc, s[4:5]
	s_andn2_b64 s[10:11], s[10:11], exec
	s_and_b64 s[4:5], s[4:5], exec
	s_or_b64 s[10:11], s[10:11], s[4:5]
.LBB168_137:
	v_cndmask_b32_e64 v10, 0, 1, s[10:11]
.LBB168_138:
	s_or_b64 exec, exec, s[8:9]
	v_or_b32_e32 v9, 0xb00, v0
	v_cmp_gt_i32_e32 vcc, s33, v9
                                        ; implicit-def: $vgpr9
	s_and_saveexec_b64 s[8:9], vcc
	s_cbranch_execz .LBB168_143
; %bb.139:
	s_and_b64 vcc, exec, s[2:3]
	v_lshlrev_b32_e32 v9, 16, v8
	s_cbranch_vccnz .LBB168_223
; %bb.140:
	v_and_b32_e32 v20, 0xffff0000, v8
	v_cmp_neq_f32_e32 vcc, s7, v9
	v_cmp_neq_f32_e64 s[4:5], s14, v20
	s_or_b64 s[10:11], vcc, s[4:5]
	s_cbranch_execnz .LBB168_142
.LBB168_141:
	v_and_b32_e32 v8, 0xffff0000, v8
	v_cmp_eq_f32_e32 vcc, s7, v9
	v_cmp_eq_f32_e64 s[4:5], s14, v8
	s_and_b64 s[4:5], vcc, s[4:5]
	s_andn2_b64 s[10:11], s[10:11], exec
	s_and_b64 s[4:5], s[4:5], exec
	s_or_b64 s[10:11], s[10:11], s[4:5]
.LBB168_142:
	v_cndmask_b32_e64 v9, 0, 1, s[10:11]
.LBB168_143:
	s_or_b64 exec, exec, s[8:9]
	v_or_b32_e32 v8, 0xc00, v0
	v_cmp_gt_i32_e32 vcc, s33, v8
                                        ; implicit-def: $vgpr8
	s_and_saveexec_b64 s[8:9], vcc
	s_cbranch_execz .LBB168_148
; %bb.144:
	s_and_b64 vcc, exec, s[2:3]
	v_lshlrev_b32_e32 v8, 16, v7
	s_cbranch_vccnz .LBB168_224
; %bb.145:
	v_and_b32_e32 v20, 0xffff0000, v7
	v_cmp_neq_f32_e32 vcc, s7, v8
	v_cmp_neq_f32_e64 s[4:5], s14, v20
	s_or_b64 s[10:11], vcc, s[4:5]
	s_cbranch_execnz .LBB168_147
.LBB168_146:
	v_and_b32_e32 v7, 0xffff0000, v7
	v_cmp_eq_f32_e32 vcc, s7, v8
	v_cmp_eq_f32_e64 s[4:5], s14, v7
	s_and_b64 s[4:5], vcc, s[4:5]
	s_andn2_b64 s[10:11], s[10:11], exec
	s_and_b64 s[4:5], s[4:5], exec
	s_or_b64 s[10:11], s[10:11], s[4:5]
.LBB168_147:
	v_cndmask_b32_e64 v8, 0, 1, s[10:11]
.LBB168_148:
	s_or_b64 exec, exec, s[8:9]
	v_or_b32_e32 v7, 0xd00, v0
	v_cmp_gt_i32_e32 vcc, s33, v7
                                        ; implicit-def: $vgpr7
	s_and_saveexec_b64 s[8:9], vcc
	s_cbranch_execz .LBB168_153
; %bb.149:
	s_and_b64 vcc, exec, s[2:3]
	v_lshlrev_b32_e32 v7, 16, v6
	s_cbranch_vccnz .LBB168_225
; %bb.150:
	v_and_b32_e32 v20, 0xffff0000, v6
	v_cmp_neq_f32_e32 vcc, s7, v7
	v_cmp_neq_f32_e64 s[4:5], s14, v20
	s_or_b64 s[10:11], vcc, s[4:5]
	s_cbranch_execnz .LBB168_152
.LBB168_151:
	v_and_b32_e32 v6, 0xffff0000, v6
	v_cmp_eq_f32_e32 vcc, s7, v7
	v_cmp_eq_f32_e64 s[4:5], s14, v6
	s_and_b64 s[4:5], vcc, s[4:5]
	s_andn2_b64 s[10:11], s[10:11], exec
	s_and_b64 s[4:5], s[4:5], exec
	s_or_b64 s[10:11], s[10:11], s[4:5]
.LBB168_152:
	v_cndmask_b32_e64 v7, 0, 1, s[10:11]
.LBB168_153:
	s_or_b64 exec, exec, s[8:9]
	v_or_b32_e32 v6, 0xe00, v0
	v_cmp_gt_i32_e32 vcc, s33, v6
                                        ; implicit-def: $vgpr6
	s_and_saveexec_b64 s[8:9], vcc
	s_cbranch_execz .LBB168_158
; %bb.154:
	s_and_b64 vcc, exec, s[2:3]
	v_lshlrev_b32_e32 v6, 16, v5
	s_cbranch_vccnz .LBB168_226
; %bb.155:
	v_and_b32_e32 v20, 0xffff0000, v5
	v_cmp_neq_f32_e32 vcc, s7, v6
	v_cmp_neq_f32_e64 s[4:5], s14, v20
	s_or_b64 s[10:11], vcc, s[4:5]
	s_cbranch_execnz .LBB168_157
.LBB168_156:
	v_and_b32_e32 v5, 0xffff0000, v5
	v_cmp_eq_f32_e32 vcc, s7, v6
	v_cmp_eq_f32_e64 s[4:5], s14, v5
	s_and_b64 s[4:5], vcc, s[4:5]
	s_andn2_b64 s[10:11], s[10:11], exec
	s_and_b64 s[4:5], s[4:5], exec
	s_or_b64 s[10:11], s[10:11], s[4:5]
.LBB168_157:
	v_cndmask_b32_e64 v6, 0, 1, s[10:11]
.LBB168_158:
	s_or_b64 exec, exec, s[8:9]
	v_or_b32_e32 v5, 0xf00, v0
	v_cmp_gt_i32_e32 vcc, s33, v5
                                        ; implicit-def: $vgpr5
	s_and_saveexec_b64 s[4:5], vcc
	s_cbranch_execz .LBB168_163
; %bb.159:
	s_and_b64 vcc, exec, s[2:3]
	v_lshlrev_b32_e32 v5, 16, v4
	s_cbranch_vccnz .LBB168_227
; %bb.160:
	v_and_b32_e32 v20, 0xffff0000, v4
	v_cmp_neq_f32_e32 vcc, s7, v5
	v_cmp_neq_f32_e64 s[2:3], s14, v20
	s_or_b64 s[8:9], vcc, s[2:3]
	s_cbranch_execnz .LBB168_162
.LBB168_161:
	v_and_b32_e32 v4, 0xffff0000, v4
	v_cmp_eq_f32_e32 vcc, s7, v5
	v_cmp_eq_f32_e64 s[2:3], s14, v4
	s_and_b64 s[2:3], vcc, s[2:3]
	s_andn2_b64 s[8:9], s[8:9], exec
	s_and_b64 s[2:3], s[2:3], exec
	s_or_b64 s[8:9], s[8:9], s[2:3]
.LBB168_162:
	v_cndmask_b32_e64 v5, 0, 1, s[8:9]
.LBB168_163:
	s_or_b64 exec, exec, s[4:5]
	s_and_saveexec_b64 s[2:3], s[0:1]
	s_xor_b64 s[0:1], exec, s[2:3]
	s_cbranch_execz .LBB168_165
; %bb.164:
	v_mov_b32_e32 v0, v16
	global_store_byte v1, v3, s[12:13]
.LBB168_165:
	s_or_b64 exec, exec, s[0:1]
	v_cmp_gt_i32_e32 vcc, s33, v0
	s_and_saveexec_b64 s[0:1], vcc
	s_cbranch_execnz .LBB168_181
; %bb.166:
	s_or_b64 exec, exec, s[0:1]
	v_cmp_gt_i32_e32 vcc, s33, v0
	s_and_saveexec_b64 s[0:1], vcc
	s_cbranch_execnz .LBB168_182
.LBB168_167:
	s_or_b64 exec, exec, s[0:1]
	v_cmp_gt_i32_e32 vcc, s33, v0
	s_and_saveexec_b64 s[0:1], vcc
	s_cbranch_execnz .LBB168_183
.LBB168_168:
	s_or_b64 exec, exec, s[0:1]
	v_cmp_gt_i32_e32 vcc, s33, v0
	s_and_saveexec_b64 s[0:1], vcc
	s_cbranch_execnz .LBB168_184
.LBB168_169:
	s_or_b64 exec, exec, s[0:1]
	v_cmp_gt_i32_e32 vcc, s33, v0
	s_and_saveexec_b64 s[0:1], vcc
	s_cbranch_execnz .LBB168_185
.LBB168_170:
	s_or_b64 exec, exec, s[0:1]
	v_cmp_gt_i32_e32 vcc, s33, v0
	s_and_saveexec_b64 s[0:1], vcc
	s_cbranch_execnz .LBB168_186
.LBB168_171:
	s_or_b64 exec, exec, s[0:1]
	v_cmp_gt_i32_e32 vcc, s33, v0
	s_and_saveexec_b64 s[0:1], vcc
	s_cbranch_execnz .LBB168_187
.LBB168_172:
	s_or_b64 exec, exec, s[0:1]
	v_cmp_gt_i32_e32 vcc, s33, v0
	s_and_saveexec_b64 s[0:1], vcc
	s_cbranch_execnz .LBB168_188
.LBB168_173:
	s_or_b64 exec, exec, s[0:1]
	v_cmp_gt_i32_e32 vcc, s33, v0
	s_and_saveexec_b64 s[0:1], vcc
	s_cbranch_execnz .LBB168_189
.LBB168_174:
	s_or_b64 exec, exec, s[0:1]
	v_cmp_gt_i32_e32 vcc, s33, v0
	s_and_saveexec_b64 s[0:1], vcc
	s_cbranch_execnz .LBB168_190
.LBB168_175:
	s_or_b64 exec, exec, s[0:1]
	v_cmp_gt_i32_e32 vcc, s33, v0
	s_and_saveexec_b64 s[0:1], vcc
	s_cbranch_execnz .LBB168_191
.LBB168_176:
	s_or_b64 exec, exec, s[0:1]
	v_cmp_gt_i32_e32 vcc, s33, v0
	s_and_saveexec_b64 s[0:1], vcc
	s_cbranch_execnz .LBB168_192
.LBB168_177:
	s_or_b64 exec, exec, s[0:1]
	v_cmp_gt_i32_e32 vcc, s33, v0
	s_and_saveexec_b64 s[0:1], vcc
	s_cbranch_execnz .LBB168_193
.LBB168_178:
	s_or_b64 exec, exec, s[0:1]
	v_cmp_gt_i32_e32 vcc, s33, v0
	s_and_saveexec_b64 s[0:1], vcc
	s_cbranch_execnz .LBB168_194
.LBB168_179:
	s_or_b64 exec, exec, s[0:1]
	v_cmp_gt_i32_e32 vcc, s33, v0
	s_and_saveexec_b64 s[0:1], vcc
	s_cbranch_execz .LBB168_195
.LBB168_180:
	v_add_u32_e32 v0, s6, v0
	global_store_byte v0, v5, s[12:13]
	s_endpgm
.LBB168_181:
	v_add_u32_e32 v1, s6, v0
	v_add_u32_e32 v0, 0x100, v0
	global_store_byte v1, v17, s[12:13]
	s_or_b64 exec, exec, s[0:1]
	v_cmp_gt_i32_e32 vcc, s33, v0
	s_and_saveexec_b64 s[0:1], vcc
	s_cbranch_execz .LBB168_167
.LBB168_182:
	v_add_u32_e32 v1, s6, v0
	v_add_u32_e32 v0, 0x100, v0
	global_store_byte v1, v2, s[12:13]
	s_or_b64 exec, exec, s[0:1]
	v_cmp_gt_i32_e32 vcc, s33, v0
	s_and_saveexec_b64 s[0:1], vcc
	s_cbranch_execz .LBB168_168
.LBB168_183:
	v_add_u32_e32 v1, s6, v0
	v_add_u32_e32 v0, 0x100, v0
	global_store_byte v1, v15, s[12:13]
	s_or_b64 exec, exec, s[0:1]
	v_cmp_gt_i32_e32 vcc, s33, v0
	s_and_saveexec_b64 s[0:1], vcc
	s_cbranch_execz .LBB168_169
.LBB168_184:
	v_add_u32_e32 v1, s6, v0
	v_add_u32_e32 v0, 0x100, v0
	global_store_byte v1, v19, s[12:13]
	s_or_b64 exec, exec, s[0:1]
	v_cmp_gt_i32_e32 vcc, s33, v0
	s_and_saveexec_b64 s[0:1], vcc
	s_cbranch_execz .LBB168_170
.LBB168_185:
	v_add_u32_e32 v1, s6, v0
	v_add_u32_e32 v0, 0x100, v0
	global_store_byte v1, v18, s[12:13]
	s_or_b64 exec, exec, s[0:1]
	v_cmp_gt_i32_e32 vcc, s33, v0
	s_and_saveexec_b64 s[0:1], vcc
	s_cbranch_execz .LBB168_171
.LBB168_186:
	v_add_u32_e32 v1, s6, v0
	v_add_u32_e32 v0, 0x100, v0
	global_store_byte v1, v14, s[12:13]
	s_or_b64 exec, exec, s[0:1]
	v_cmp_gt_i32_e32 vcc, s33, v0
	s_and_saveexec_b64 s[0:1], vcc
	s_cbranch_execz .LBB168_172
.LBB168_187:
	v_add_u32_e32 v1, s6, v0
	v_add_u32_e32 v0, 0x100, v0
	global_store_byte v1, v13, s[12:13]
	s_or_b64 exec, exec, s[0:1]
	v_cmp_gt_i32_e32 vcc, s33, v0
	s_and_saveexec_b64 s[0:1], vcc
	s_cbranch_execz .LBB168_173
.LBB168_188:
	v_add_u32_e32 v1, s6, v0
	v_add_u32_e32 v0, 0x100, v0
	global_store_byte v1, v12, s[12:13]
	s_or_b64 exec, exec, s[0:1]
	v_cmp_gt_i32_e32 vcc, s33, v0
	s_and_saveexec_b64 s[0:1], vcc
	s_cbranch_execz .LBB168_174
.LBB168_189:
	v_add_u32_e32 v1, s6, v0
	v_add_u32_e32 v0, 0x100, v0
	global_store_byte v1, v11, s[12:13]
	s_or_b64 exec, exec, s[0:1]
	v_cmp_gt_i32_e32 vcc, s33, v0
	s_and_saveexec_b64 s[0:1], vcc
	s_cbranch_execz .LBB168_175
.LBB168_190:
	v_add_u32_e32 v1, s6, v0
	v_add_u32_e32 v0, 0x100, v0
	global_store_byte v1, v10, s[12:13]
	s_or_b64 exec, exec, s[0:1]
	v_cmp_gt_i32_e32 vcc, s33, v0
	s_and_saveexec_b64 s[0:1], vcc
	s_cbranch_execz .LBB168_176
.LBB168_191:
	v_add_u32_e32 v1, s6, v0
	v_add_u32_e32 v0, 0x100, v0
	global_store_byte v1, v9, s[12:13]
	s_or_b64 exec, exec, s[0:1]
	v_cmp_gt_i32_e32 vcc, s33, v0
	s_and_saveexec_b64 s[0:1], vcc
	s_cbranch_execz .LBB168_177
.LBB168_192:
	v_add_u32_e32 v1, s6, v0
	v_add_u32_e32 v0, 0x100, v0
	global_store_byte v1, v8, s[12:13]
	s_or_b64 exec, exec, s[0:1]
	v_cmp_gt_i32_e32 vcc, s33, v0
	s_and_saveexec_b64 s[0:1], vcc
	s_cbranch_execz .LBB168_178
.LBB168_193:
	v_add_u32_e32 v1, s6, v0
	v_add_u32_e32 v0, 0x100, v0
	global_store_byte v1, v7, s[12:13]
	s_or_b64 exec, exec, s[0:1]
	v_cmp_gt_i32_e32 vcc, s33, v0
	s_and_saveexec_b64 s[0:1], vcc
	s_cbranch_execz .LBB168_179
.LBB168_194:
	v_add_u32_e32 v1, s6, v0
	v_add_u32_e32 v0, 0x100, v0
	global_store_byte v1, v6, s[12:13]
	s_or_b64 exec, exec, s[0:1]
	v_cmp_gt_i32_e32 vcc, s33, v0
	s_and_saveexec_b64 s[0:1], vcc
	s_cbranch_execnz .LBB168_180
.LBB168_195:
	s_endpgm
.LBB168_196:
                                        ; implicit-def: $sgpr4_sgpr5
	s_branch .LBB168_3
.LBB168_197:
                                        ; implicit-def: $sgpr16_sgpr17
	s_branch .LBB168_6
.LBB168_198:
                                        ; implicit-def: $sgpr18_sgpr19
	s_branch .LBB168_9
.LBB168_199:
                                        ; implicit-def: $sgpr20_sgpr21
	s_branch .LBB168_12
.LBB168_200:
                                        ; implicit-def: $sgpr22_sgpr23
	s_branch .LBB168_15
.LBB168_201:
                                        ; implicit-def: $sgpr24_sgpr25
	s_branch .LBB168_18
.LBB168_202:
                                        ; implicit-def: $sgpr26_sgpr27
	s_branch .LBB168_21
.LBB168_203:
                                        ; implicit-def: $sgpr28_sgpr29
	s_branch .LBB168_24
.LBB168_204:
                                        ; implicit-def: $sgpr30_sgpr31
	s_branch .LBB168_27
.LBB168_205:
                                        ; implicit-def: $sgpr34_sgpr35
	s_branch .LBB168_30
.LBB168_206:
                                        ; implicit-def: $sgpr36_sgpr37
	s_branch .LBB168_33
.LBB168_207:
                                        ; implicit-def: $sgpr38_sgpr39
	s_branch .LBB168_36
.LBB168_208:
                                        ; implicit-def: $sgpr40_sgpr41
	s_branch .LBB168_39
.LBB168_209:
                                        ; implicit-def: $sgpr42_sgpr43
	s_branch .LBB168_42
.LBB168_210:
                                        ; implicit-def: $sgpr44_sgpr45
	s_branch .LBB168_45
.LBB168_211:
                                        ; implicit-def: $sgpr2_sgpr3
	s_branch .LBB168_48
.LBB168_212:
                                        ; implicit-def: $sgpr10_sgpr11
	s_branch .LBB168_86
.LBB168_213:
                                        ; implicit-def: $sgpr10_sgpr11
	s_branch .LBB168_91
.LBB168_214:
                                        ; implicit-def: $sgpr10_sgpr11
	s_branch .LBB168_96
.LBB168_215:
                                        ; implicit-def: $sgpr10_sgpr11
	s_branch .LBB168_101
.LBB168_216:
                                        ; implicit-def: $sgpr10_sgpr11
	s_branch .LBB168_106
.LBB168_217:
                                        ; implicit-def: $sgpr10_sgpr11
	s_branch .LBB168_111
.LBB168_218:
                                        ; implicit-def: $sgpr10_sgpr11
	s_branch .LBB168_116
.LBB168_219:
                                        ; implicit-def: $sgpr10_sgpr11
	s_branch .LBB168_121
.LBB168_220:
                                        ; implicit-def: $sgpr10_sgpr11
	s_branch .LBB168_126
.LBB168_221:
                                        ; implicit-def: $sgpr10_sgpr11
	s_branch .LBB168_131
.LBB168_222:
                                        ; implicit-def: $sgpr10_sgpr11
	s_branch .LBB168_136
.LBB168_223:
                                        ; implicit-def: $sgpr10_sgpr11
	s_branch .LBB168_141
.LBB168_224:
                                        ; implicit-def: $sgpr10_sgpr11
	s_branch .LBB168_146
.LBB168_225:
                                        ; implicit-def: $sgpr10_sgpr11
	s_branch .LBB168_151
.LBB168_226:
                                        ; implicit-def: $sgpr10_sgpr11
	s_branch .LBB168_156
.LBB168_227:
                                        ; implicit-def: $sgpr8_sgpr9
	s_branch .LBB168_161
	.section	.rodata,"a",@progbits
	.p2align	6, 0x0
	.amdhsa_kernel _ZN2at6native29vectorized_elementwise_kernelILi16ENS0_13AUnaryFunctorIN3c107complexINS3_8BFloat16EEES6_bNS0_12_GLOBAL__N_116CompareEqFunctorIS6_EEEESt5arrayIPcLm2EEEEviT0_T1_
		.amdhsa_group_segment_fixed_size 0
		.amdhsa_private_segment_fixed_size 0
		.amdhsa_kernarg_size 32
		.amdhsa_user_sgpr_count 6
		.amdhsa_user_sgpr_private_segment_buffer 1
		.amdhsa_user_sgpr_dispatch_ptr 0
		.amdhsa_user_sgpr_queue_ptr 0
		.amdhsa_user_sgpr_kernarg_segment_ptr 1
		.amdhsa_user_sgpr_dispatch_id 0
		.amdhsa_user_sgpr_flat_scratch_init 0
		.amdhsa_user_sgpr_private_segment_size 0
		.amdhsa_uses_dynamic_stack 0
		.amdhsa_system_sgpr_private_segment_wavefront_offset 0
		.amdhsa_system_sgpr_workgroup_id_x 1
		.amdhsa_system_sgpr_workgroup_id_y 0
		.amdhsa_system_sgpr_workgroup_id_z 0
		.amdhsa_system_sgpr_workgroup_info 0
		.amdhsa_system_vgpr_workitem_id 0
		.amdhsa_next_free_vgpr 21
		.amdhsa_next_free_sgpr 46
		.amdhsa_reserve_vcc 1
		.amdhsa_reserve_flat_scratch 0
		.amdhsa_float_round_mode_32 0
		.amdhsa_float_round_mode_16_64 0
		.amdhsa_float_denorm_mode_32 3
		.amdhsa_float_denorm_mode_16_64 3
		.amdhsa_dx10_clamp 1
		.amdhsa_ieee_mode 1
		.amdhsa_fp16_overflow 0
		.amdhsa_exception_fp_ieee_invalid_op 0
		.amdhsa_exception_fp_denorm_src 0
		.amdhsa_exception_fp_ieee_div_zero 0
		.amdhsa_exception_fp_ieee_overflow 0
		.amdhsa_exception_fp_ieee_underflow 0
		.amdhsa_exception_fp_ieee_inexact 0
		.amdhsa_exception_int_div_zero 0
	.end_amdhsa_kernel
	.section	.text._ZN2at6native29vectorized_elementwise_kernelILi16ENS0_13AUnaryFunctorIN3c107complexINS3_8BFloat16EEES6_bNS0_12_GLOBAL__N_116CompareEqFunctorIS6_EEEESt5arrayIPcLm2EEEEviT0_T1_,"axG",@progbits,_ZN2at6native29vectorized_elementwise_kernelILi16ENS0_13AUnaryFunctorIN3c107complexINS3_8BFloat16EEES6_bNS0_12_GLOBAL__N_116CompareEqFunctorIS6_EEEESt5arrayIPcLm2EEEEviT0_T1_,comdat
.Lfunc_end168:
	.size	_ZN2at6native29vectorized_elementwise_kernelILi16ENS0_13AUnaryFunctorIN3c107complexINS3_8BFloat16EEES6_bNS0_12_GLOBAL__N_116CompareEqFunctorIS6_EEEESt5arrayIPcLm2EEEEviT0_T1_, .Lfunc_end168-_ZN2at6native29vectorized_elementwise_kernelILi16ENS0_13AUnaryFunctorIN3c107complexINS3_8BFloat16EEES6_bNS0_12_GLOBAL__N_116CompareEqFunctorIS6_EEEESt5arrayIPcLm2EEEEviT0_T1_
                                        ; -- End function
	.set _ZN2at6native29vectorized_elementwise_kernelILi16ENS0_13AUnaryFunctorIN3c107complexINS3_8BFloat16EEES6_bNS0_12_GLOBAL__N_116CompareEqFunctorIS6_EEEESt5arrayIPcLm2EEEEviT0_T1_.num_vgpr, 21
	.set _ZN2at6native29vectorized_elementwise_kernelILi16ENS0_13AUnaryFunctorIN3c107complexINS3_8BFloat16EEES6_bNS0_12_GLOBAL__N_116CompareEqFunctorIS6_EEEESt5arrayIPcLm2EEEEviT0_T1_.num_agpr, 0
	.set _ZN2at6native29vectorized_elementwise_kernelILi16ENS0_13AUnaryFunctorIN3c107complexINS3_8BFloat16EEES6_bNS0_12_GLOBAL__N_116CompareEqFunctorIS6_EEEESt5arrayIPcLm2EEEEviT0_T1_.numbered_sgpr, 46
	.set _ZN2at6native29vectorized_elementwise_kernelILi16ENS0_13AUnaryFunctorIN3c107complexINS3_8BFloat16EEES6_bNS0_12_GLOBAL__N_116CompareEqFunctorIS6_EEEESt5arrayIPcLm2EEEEviT0_T1_.num_named_barrier, 0
	.set _ZN2at6native29vectorized_elementwise_kernelILi16ENS0_13AUnaryFunctorIN3c107complexINS3_8BFloat16EEES6_bNS0_12_GLOBAL__N_116CompareEqFunctorIS6_EEEESt5arrayIPcLm2EEEEviT0_T1_.private_seg_size, 0
	.set _ZN2at6native29vectorized_elementwise_kernelILi16ENS0_13AUnaryFunctorIN3c107complexINS3_8BFloat16EEES6_bNS0_12_GLOBAL__N_116CompareEqFunctorIS6_EEEESt5arrayIPcLm2EEEEviT0_T1_.uses_vcc, 1
	.set _ZN2at6native29vectorized_elementwise_kernelILi16ENS0_13AUnaryFunctorIN3c107complexINS3_8BFloat16EEES6_bNS0_12_GLOBAL__N_116CompareEqFunctorIS6_EEEESt5arrayIPcLm2EEEEviT0_T1_.uses_flat_scratch, 0
	.set _ZN2at6native29vectorized_elementwise_kernelILi16ENS0_13AUnaryFunctorIN3c107complexINS3_8BFloat16EEES6_bNS0_12_GLOBAL__N_116CompareEqFunctorIS6_EEEESt5arrayIPcLm2EEEEviT0_T1_.has_dyn_sized_stack, 0
	.set _ZN2at6native29vectorized_elementwise_kernelILi16ENS0_13AUnaryFunctorIN3c107complexINS3_8BFloat16EEES6_bNS0_12_GLOBAL__N_116CompareEqFunctorIS6_EEEESt5arrayIPcLm2EEEEviT0_T1_.has_recursion, 0
	.set _ZN2at6native29vectorized_elementwise_kernelILi16ENS0_13AUnaryFunctorIN3c107complexINS3_8BFloat16EEES6_bNS0_12_GLOBAL__N_116CompareEqFunctorIS6_EEEESt5arrayIPcLm2EEEEviT0_T1_.has_indirect_call, 0
	.section	.AMDGPU.csdata,"",@progbits
; Kernel info:
; codeLenInByte = 5692
; TotalNumSgprs: 50
; NumVgprs: 21
; ScratchSize: 0
; MemoryBound: 1
; FloatMode: 240
; IeeeMode: 1
; LDSByteSize: 0 bytes/workgroup (compile time only)
; SGPRBlocks: 6
; VGPRBlocks: 5
; NumSGPRsForWavesPerEU: 50
; NumVGPRsForWavesPerEU: 21
; Occupancy: 10
; WaveLimiterHint : 0
; COMPUTE_PGM_RSRC2:SCRATCH_EN: 0
; COMPUTE_PGM_RSRC2:USER_SGPR: 6
; COMPUTE_PGM_RSRC2:TRAP_HANDLER: 0
; COMPUTE_PGM_RSRC2:TGID_X_EN: 1
; COMPUTE_PGM_RSRC2:TGID_Y_EN: 0
; COMPUTE_PGM_RSRC2:TGID_Z_EN: 0
; COMPUTE_PGM_RSRC2:TIDIG_COMP_CNT: 0
	.section	.text._ZN2at6native29vectorized_elementwise_kernelILi8ENS0_13AUnaryFunctorIN3c107complexINS3_8BFloat16EEES6_bNS0_12_GLOBAL__N_116CompareEqFunctorIS6_EEEESt5arrayIPcLm2EEEEviT0_T1_,"axG",@progbits,_ZN2at6native29vectorized_elementwise_kernelILi8ENS0_13AUnaryFunctorIN3c107complexINS3_8BFloat16EEES6_bNS0_12_GLOBAL__N_116CompareEqFunctorIS6_EEEESt5arrayIPcLm2EEEEviT0_T1_,comdat
	.globl	_ZN2at6native29vectorized_elementwise_kernelILi8ENS0_13AUnaryFunctorIN3c107complexINS3_8BFloat16EEES6_bNS0_12_GLOBAL__N_116CompareEqFunctorIS6_EEEESt5arrayIPcLm2EEEEviT0_T1_ ; -- Begin function _ZN2at6native29vectorized_elementwise_kernelILi8ENS0_13AUnaryFunctorIN3c107complexINS3_8BFloat16EEES6_bNS0_12_GLOBAL__N_116CompareEqFunctorIS6_EEEESt5arrayIPcLm2EEEEviT0_T1_
	.p2align	8
	.type	_ZN2at6native29vectorized_elementwise_kernelILi8ENS0_13AUnaryFunctorIN3c107complexINS3_8BFloat16EEES6_bNS0_12_GLOBAL__N_116CompareEqFunctorIS6_EEEESt5arrayIPcLm2EEEEviT0_T1_,@function
_ZN2at6native29vectorized_elementwise_kernelILi8ENS0_13AUnaryFunctorIN3c107complexINS3_8BFloat16EEES6_bNS0_12_GLOBAL__N_116CompareEqFunctorIS6_EEEESt5arrayIPcLm2EEEEviT0_T1_: ; @_ZN2at6native29vectorized_elementwise_kernelILi8ENS0_13AUnaryFunctorIN3c107complexINS3_8BFloat16EEES6_bNS0_12_GLOBAL__N_116CompareEqFunctorIS6_EEEESt5arrayIPcLm2EEEEviT0_T1_
; %bb.0:
	s_load_dwordx8 s[8:15], s[4:5], 0x0
	s_lshl_b32 s6, s6, 12
	s_mov_b64 s[0:1], -1
	s_waitcnt lgkmcnt(0)
	s_sub_i32 s33, s8, s6
	s_cmpk_gt_i32 s33, 0xfff
	s_cbranch_scc0 .LBB169_50
; %bb.1:
	s_ashr_i32 s7, s6, 31
	s_lshl_b64 s[0:1], s[6:7], 2
	s_add_u32 s0, s14, s0
	s_addc_u32 s1, s15, s1
	v_lshlrev_b32_e32 v1, 5, v0
	v_mov_b32_e32 v2, s1
	v_add_co_u32_e32 v3, vcc, s0, v1
	v_addc_co_u32_e32 v2, vcc, 0, v2, vcc
	v_add_co_u32_e32 v17, vcc, 0x2000, v3
	global_load_dwordx4 v[9:12], v1, s[0:1] offset:16
	global_load_dwordx4 v[13:16], v1, s[0:1]
	v_addc_co_u32_e64 v18, s[0:1], 0, v2, vcc
	v_addc_co_u32_e32 v20, vcc, 0, v2, vcc
	v_mov_b32_e32 v19, v17
	global_load_dwordx4 v[5:8], v[19:20], off
	global_load_dwordx4 v[1:4], v[17:18], off offset:16
	s_cmp_lg_u32 s9, 0
	s_cselect_b64 s[2:3], -1, 0
	s_lshl_b32 s8, s10, 16
	s_and_b32 s11, s10, 0xffff0000
	s_and_b64 vcc, exec, s[2:3]
	s_waitcnt vmcnt(2)
	v_lshlrev_b32_e32 v17, 16, v13
	s_cbranch_vccz .LBB169_196
; %bb.2:
	v_and_b32_e32 v18, 0xffff0000, v13
	v_cmp_neq_f32_e32 vcc, s8, v17
	v_cmp_neq_f32_e64 s[0:1], s11, v18
	s_or_b64 s[4:5], vcc, s[0:1]
	s_cbranch_execnz .LBB169_4
.LBB169_3:
	v_and_b32_e32 v13, 0xffff0000, v13
	v_cmp_eq_f32_e32 vcc, s8, v17
	v_cmp_eq_f32_e64 s[0:1], s11, v13
	s_and_b64 s[0:1], vcc, s[0:1]
	s_andn2_b64 s[4:5], s[4:5], exec
	s_and_b64 s[0:1], s[0:1], exec
	s_or_b64 s[4:5], s[4:5], s[0:1]
.LBB169_4:
	v_cndmask_b32_e64 v13, 0, 1, s[2:3]
	v_cmp_ne_u32_e64 s[0:1], 1, v13
	s_andn2_b64 vcc, exec, s[2:3]
	v_lshlrev_b32_e32 v13, 16, v14
	s_cbranch_vccnz .LBB169_197
; %bb.5:
	v_and_b32_e32 v17, 0xffff0000, v14
	v_cmp_neq_f32_e32 vcc, s8, v13
	v_cmp_neq_f32_e64 s[2:3], s11, v17
	s_or_b64 s[16:17], vcc, s[2:3]
	s_cbranch_execnz .LBB169_7
.LBB169_6:
	v_and_b32_e32 v14, 0xffff0000, v14
	v_cmp_eq_f32_e32 vcc, s8, v13
	v_cmp_eq_f32_e64 s[2:3], s11, v14
	s_and_b64 s[2:3], vcc, s[2:3]
	s_andn2_b64 s[16:17], s[16:17], exec
	s_and_b64 s[2:3], s[2:3], exec
	s_or_b64 s[16:17], s[16:17], s[2:3]
.LBB169_7:
	s_and_b64 vcc, exec, s[0:1]
	v_lshlrev_b32_e32 v13, 16, v15
	s_cbranch_vccnz .LBB169_198
; %bb.8:
	v_and_b32_e32 v14, 0xffff0000, v15
	v_cmp_neq_f32_e32 vcc, s8, v13
	v_cmp_neq_f32_e64 s[2:3], s11, v14
	s_or_b64 s[18:19], vcc, s[2:3]
	s_cbranch_execnz .LBB169_10
.LBB169_9:
	v_and_b32_e32 v14, 0xffff0000, v15
	v_cmp_eq_f32_e32 vcc, s8, v13
	v_cmp_eq_f32_e64 s[2:3], s11, v14
	s_and_b64 s[2:3], vcc, s[2:3]
	s_andn2_b64 s[18:19], s[18:19], exec
	s_and_b64 s[2:3], s[2:3], exec
	s_or_b64 s[18:19], s[18:19], s[2:3]
.LBB169_10:
	s_and_b64 vcc, exec, s[0:1]
	v_lshlrev_b32_e32 v13, 16, v16
	s_cbranch_vccnz .LBB169_199
; %bb.11:
	v_and_b32_e32 v14, 0xffff0000, v16
	v_cmp_neq_f32_e32 vcc, s8, v13
	v_cmp_neq_f32_e64 s[2:3], s11, v14
	s_or_b64 s[20:21], vcc, s[2:3]
	s_cbranch_execnz .LBB169_13
.LBB169_12:
	v_and_b32_e32 v14, 0xffff0000, v16
	v_cmp_eq_f32_e32 vcc, s8, v13
	v_cmp_eq_f32_e64 s[2:3], s11, v14
	s_and_b64 s[2:3], vcc, s[2:3]
	s_andn2_b64 s[20:21], s[20:21], exec
	s_and_b64 s[2:3], s[2:3], exec
	s_or_b64 s[20:21], s[20:21], s[2:3]
.LBB169_13:
	s_and_b64 vcc, exec, s[0:1]
	v_lshlrev_b32_e32 v13, 16, v9
	s_cbranch_vccnz .LBB169_200
; %bb.14:
	v_and_b32_e32 v14, 0xffff0000, v9
	v_cmp_neq_f32_e32 vcc, s8, v13
	v_cmp_neq_f32_e64 s[2:3], s11, v14
	s_or_b64 s[22:23], vcc, s[2:3]
	s_cbranch_execnz .LBB169_16
.LBB169_15:
	v_and_b32_e32 v9, 0xffff0000, v9
	v_cmp_eq_f32_e32 vcc, s8, v13
	v_cmp_eq_f32_e64 s[2:3], s11, v9
	s_and_b64 s[2:3], vcc, s[2:3]
	s_andn2_b64 s[22:23], s[22:23], exec
	s_and_b64 s[2:3], s[2:3], exec
	s_or_b64 s[22:23], s[22:23], s[2:3]
.LBB169_16:
	s_and_b64 vcc, exec, s[0:1]
	v_lshlrev_b32_e32 v9, 16, v10
	s_cbranch_vccnz .LBB169_201
; %bb.17:
	v_and_b32_e32 v13, 0xffff0000, v10
	v_cmp_neq_f32_e32 vcc, s8, v9
	v_cmp_neq_f32_e64 s[2:3], s11, v13
	s_or_b64 s[24:25], vcc, s[2:3]
	s_cbranch_execnz .LBB169_19
.LBB169_18:
	v_and_b32_e32 v10, 0xffff0000, v10
	v_cmp_eq_f32_e32 vcc, s8, v9
	v_cmp_eq_f32_e64 s[2:3], s11, v10
	s_and_b64 s[2:3], vcc, s[2:3]
	s_andn2_b64 s[24:25], s[24:25], exec
	s_and_b64 s[2:3], s[2:3], exec
	s_or_b64 s[24:25], s[24:25], s[2:3]
.LBB169_19:
	s_and_b64 vcc, exec, s[0:1]
	v_lshlrev_b32_e32 v9, 16, v11
	s_cbranch_vccnz .LBB169_202
; %bb.20:
	v_and_b32_e32 v10, 0xffff0000, v11
	v_cmp_neq_f32_e32 vcc, s8, v9
	v_cmp_neq_f32_e64 s[2:3], s11, v10
	s_or_b64 s[26:27], vcc, s[2:3]
	s_cbranch_execnz .LBB169_22
.LBB169_21:
	v_and_b32_e32 v10, 0xffff0000, v11
	v_cmp_eq_f32_e32 vcc, s8, v9
	v_cmp_eq_f32_e64 s[2:3], s11, v10
	s_and_b64 s[2:3], vcc, s[2:3]
	s_andn2_b64 s[26:27], s[26:27], exec
	s_and_b64 s[2:3], s[2:3], exec
	s_or_b64 s[26:27], s[26:27], s[2:3]
.LBB169_22:
	s_and_b64 vcc, exec, s[0:1]
	v_lshlrev_b32_e32 v9, 16, v12
	s_cbranch_vccnz .LBB169_203
; %bb.23:
	v_and_b32_e32 v10, 0xffff0000, v12
	v_cmp_neq_f32_e32 vcc, s8, v9
	v_cmp_neq_f32_e64 s[2:3], s11, v10
	s_or_b64 s[28:29], vcc, s[2:3]
	s_cbranch_execnz .LBB169_25
.LBB169_24:
	v_and_b32_e32 v10, 0xffff0000, v12
	v_cmp_eq_f32_e32 vcc, s8, v9
	v_cmp_eq_f32_e64 s[2:3], s11, v10
	s_and_b64 s[2:3], vcc, s[2:3]
	s_andn2_b64 s[28:29], s[28:29], exec
	s_and_b64 s[2:3], s[2:3], exec
	s_or_b64 s[28:29], s[28:29], s[2:3]
.LBB169_25:
	s_and_b64 vcc, exec, s[0:1]
	s_waitcnt vmcnt(1)
	v_lshlrev_b32_e32 v9, 16, v5
	s_cbranch_vccnz .LBB169_204
; %bb.26:
	v_and_b32_e32 v10, 0xffff0000, v5
	v_cmp_neq_f32_e32 vcc, s8, v9
	v_cmp_neq_f32_e64 s[2:3], s11, v10
	s_or_b64 s[30:31], vcc, s[2:3]
	s_cbranch_execnz .LBB169_28
.LBB169_27:
	v_and_b32_e32 v5, 0xffff0000, v5
	v_cmp_eq_f32_e32 vcc, s8, v9
	v_cmp_eq_f32_e64 s[2:3], s11, v5
	s_and_b64 s[2:3], vcc, s[2:3]
	s_andn2_b64 s[30:31], s[30:31], exec
	s_and_b64 s[2:3], s[2:3], exec
	s_or_b64 s[30:31], s[30:31], s[2:3]
.LBB169_28:
	s_and_b64 vcc, exec, s[0:1]
	v_lshlrev_b32_e32 v5, 16, v6
	s_cbranch_vccnz .LBB169_205
; %bb.29:
	v_and_b32_e32 v9, 0xffff0000, v6
	v_cmp_neq_f32_e32 vcc, s8, v5
	v_cmp_neq_f32_e64 s[2:3], s11, v9
	s_or_b64 s[34:35], vcc, s[2:3]
	s_cbranch_execnz .LBB169_31
.LBB169_30:
	v_and_b32_e32 v6, 0xffff0000, v6
	v_cmp_eq_f32_e32 vcc, s8, v5
	v_cmp_eq_f32_e64 s[2:3], s11, v6
	s_and_b64 s[2:3], vcc, s[2:3]
	s_andn2_b64 s[34:35], s[34:35], exec
	s_and_b64 s[2:3], s[2:3], exec
	s_or_b64 s[34:35], s[34:35], s[2:3]
.LBB169_31:
	s_and_b64 vcc, exec, s[0:1]
	v_lshlrev_b32_e32 v5, 16, v7
	s_cbranch_vccnz .LBB169_206
; %bb.32:
	v_and_b32_e32 v6, 0xffff0000, v7
	v_cmp_neq_f32_e32 vcc, s8, v5
	v_cmp_neq_f32_e64 s[2:3], s11, v6
	s_or_b64 s[36:37], vcc, s[2:3]
	s_cbranch_execnz .LBB169_34
.LBB169_33:
	v_and_b32_e32 v6, 0xffff0000, v7
	v_cmp_eq_f32_e32 vcc, s8, v5
	v_cmp_eq_f32_e64 s[2:3], s11, v6
	s_and_b64 s[2:3], vcc, s[2:3]
	s_andn2_b64 s[36:37], s[36:37], exec
	s_and_b64 s[2:3], s[2:3], exec
	s_or_b64 s[36:37], s[36:37], s[2:3]
.LBB169_34:
	s_and_b64 vcc, exec, s[0:1]
	v_lshlrev_b32_e32 v5, 16, v8
	s_cbranch_vccnz .LBB169_207
; %bb.35:
	v_and_b32_e32 v6, 0xffff0000, v8
	v_cmp_neq_f32_e32 vcc, s8, v5
	v_cmp_neq_f32_e64 s[2:3], s11, v6
	s_or_b64 s[38:39], vcc, s[2:3]
	s_cbranch_execnz .LBB169_37
.LBB169_36:
	v_and_b32_e32 v6, 0xffff0000, v8
	v_cmp_eq_f32_e32 vcc, s8, v5
	v_cmp_eq_f32_e64 s[2:3], s11, v6
	s_and_b64 s[2:3], vcc, s[2:3]
	s_andn2_b64 s[38:39], s[38:39], exec
	s_and_b64 s[2:3], s[2:3], exec
	s_or_b64 s[38:39], s[38:39], s[2:3]
.LBB169_37:
	s_and_b64 vcc, exec, s[0:1]
	s_waitcnt vmcnt(0)
	v_lshlrev_b32_e32 v5, 16, v1
	s_cbranch_vccnz .LBB169_208
; %bb.38:
	v_and_b32_e32 v6, 0xffff0000, v1
	v_cmp_neq_f32_e32 vcc, s8, v5
	v_cmp_neq_f32_e64 s[2:3], s11, v6
	s_or_b64 s[40:41], vcc, s[2:3]
	s_cbranch_execnz .LBB169_40
.LBB169_39:
	v_and_b32_e32 v1, 0xffff0000, v1
	v_cmp_eq_f32_e32 vcc, s8, v5
	v_cmp_eq_f32_e64 s[2:3], s11, v1
	s_and_b64 s[2:3], vcc, s[2:3]
	s_andn2_b64 s[40:41], s[40:41], exec
	s_and_b64 s[2:3], s[2:3], exec
	s_or_b64 s[40:41], s[40:41], s[2:3]
.LBB169_40:
	s_and_b64 vcc, exec, s[0:1]
	v_lshlrev_b32_e32 v1, 16, v2
	s_cbranch_vccnz .LBB169_209
; %bb.41:
	v_and_b32_e32 v5, 0xffff0000, v2
	v_cmp_neq_f32_e32 vcc, s8, v1
	v_cmp_neq_f32_e64 s[2:3], s11, v5
	s_or_b64 s[42:43], vcc, s[2:3]
	s_cbranch_execnz .LBB169_43
.LBB169_42:
	v_and_b32_e32 v2, 0xffff0000, v2
	v_cmp_eq_f32_e32 vcc, s8, v1
	v_cmp_eq_f32_e64 s[2:3], s11, v2
	s_and_b64 s[2:3], vcc, s[2:3]
	s_andn2_b64 s[42:43], s[42:43], exec
	s_and_b64 s[2:3], s[2:3], exec
	s_or_b64 s[42:43], s[42:43], s[2:3]
.LBB169_43:
	s_and_b64 vcc, exec, s[0:1]
	v_lshlrev_b32_e32 v1, 16, v3
	s_cbranch_vccnz .LBB169_210
; %bb.44:
	v_and_b32_e32 v2, 0xffff0000, v3
	v_cmp_neq_f32_e32 vcc, s8, v1
	v_cmp_neq_f32_e64 s[2:3], s11, v2
	s_or_b64 s[44:45], vcc, s[2:3]
	s_cbranch_execnz .LBB169_46
.LBB169_45:
	v_and_b32_e32 v2, 0xffff0000, v3
	v_cmp_eq_f32_e32 vcc, s8, v1
	v_cmp_eq_f32_e64 s[2:3], s11, v2
	s_and_b64 s[2:3], vcc, s[2:3]
	s_andn2_b64 s[44:45], s[44:45], exec
	s_and_b64 s[2:3], s[2:3], exec
	s_or_b64 s[44:45], s[44:45], s[2:3]
.LBB169_46:
	s_and_b64 vcc, exec, s[0:1]
	v_lshlrev_b32_e32 v1, 16, v4
	s_cbranch_vccnz .LBB169_211
; %bb.47:
	v_and_b32_e32 v2, 0xffff0000, v4
	v_cmp_neq_f32_e32 vcc, s8, v1
	v_cmp_neq_f32_e64 s[0:1], s11, v2
	s_or_b64 s[2:3], vcc, s[0:1]
	s_cbranch_execnz .LBB169_49
.LBB169_48:
	v_and_b32_e32 v2, 0xffff0000, v4
	v_cmp_eq_f32_e32 vcc, s8, v1
	v_cmp_eq_f32_e64 s[0:1], s11, v2
	s_and_b64 s[0:1], vcc, s[0:1]
	s_andn2_b64 s[2:3], s[2:3], exec
	s_and_b64 s[0:1], s[0:1], exec
	s_or_b64 s[2:3], s[2:3], s[0:1]
.LBB169_49:
	v_mov_b32_e32 v1, 0x100
	v_cndmask_b32_e64 v2, 0, v1, s[34:35]
	v_cndmask_b32_e64 v3, 0, 1, s[30:31]
	v_or_b32_e32 v2, v2, v3
	v_mov_b32_e32 v3, 0x10000
	v_mov_b32_e32 v5, 0x1000000
	v_cndmask_b32_e64 v4, 0, v3, s[36:37]
	v_cndmask_b32_e64 v6, 0, v5, s[38:39]
	v_or3_b32 v7, 0, 0, 0
	v_or3_b32 v2, v2, v4, v6
	v_cndmask_b32_e64 v4, 0, 1, s[40:41]
	v_cndmask_b32_e64 v6, 0, v1, s[42:43]
	v_or3_b32 v4, v7, v4, v6
	v_or3_b32 v6, v2, 0, 0
	v_cndmask_b32_e64 v2, 0, v1, s[16:17]
	v_cndmask_b32_e64 v9, 0, 1, s[4:5]
	v_or_b32_e32 v2, v2, v9
	v_cndmask_b32_e64 v9, 0, v3, s[18:19]
	v_cndmask_b32_e64 v10, 0, v5, s[20:21]
	v_or3_b32 v2, v2, v9, v10
	v_cndmask_b32_e64 v9, 0, 1, s[22:23]
	v_cndmask_b32_e64 v1, 0, v1, s[24:25]
	;; [unrolled: 1-line block ×3, first 2 shown]
	v_or3_b32 v1, v7, v9, v1
	v_or3_b32 v7, v2, 0, 0
	v_cndmask_b32_e64 v2, 0, v3, s[26:27]
	v_cndmask_b32_e64 v3, 0, v5, s[28:29]
	s_add_u32 s0, s12, s6
	v_or3_b32 v2, v1, v2, v3
	v_or3_b32 v1, v7, 0, 0
	v_cndmask_b32_e64 v3, 0, v5, s[2:3]
	s_addc_u32 s1, s13, s7
	v_lshlrev_b32_e32 v5, 3, v0
	v_or3_b32 v4, v4, v8, v3
	v_or3_b32 v3, v6, 0, 0
	global_store_dwordx2 v5, v[1:2], s[0:1]
	global_store_dwordx2 v5, v[3:4], s[0:1] offset:2048
	s_mov_b64 s[0:1], 0
.LBB169_50:
	s_and_b64 vcc, exec, s[0:1]
	s_cbranch_vccz .LBB169_195
; %bb.51:
	v_cmp_gt_i32_e64 s[0:1], s33, v0
	v_mov_b32_e32 v4, 0
	v_or_b32_e32 v1, s6, v0
	v_mov_b32_e32 v5, 0
	v_mov_b32_e32 v6, 0
	;; [unrolled: 1-line block ×15, first 2 shown]
	s_and_saveexec_b64 s[2:3], s[0:1]
	s_cbranch_execz .LBB169_83
; %bb.52:
	v_mov_b32_e32 v2, 0
	v_lshlrev_b64 v[3:4], 2, v[1:2]
	v_mov_b32_e32 v5, s15
	v_add_co_u32_e32 v3, vcc, s14, v3
	v_addc_co_u32_e32 v4, vcc, v5, v4, vcc
	global_load_dword v20, v[3:4], off
	v_or_b32_e32 v3, 0x100, v0
	v_cmp_gt_u32_e32 vcc, s33, v3
	v_mov_b32_e32 v15, v2
	v_mov_b32_e32 v19, v2
	;; [unrolled: 1-line block ×14, first 2 shown]
	s_and_saveexec_b64 s[4:5], vcc
	s_cbranch_execz .LBB169_82
; %bb.53:
	v_add_u32_e32 v14, s6, v0
	v_mov_b32_e32 v15, 0
	v_lshlrev_b64 v[2:3], 2, v[14:15]
	v_mov_b32_e32 v4, s15
	v_add_co_u32_e32 v16, vcc, s14, v2
	v_addc_co_u32_e32 v17, vcc, v4, v3, vcc
	global_load_dword v2, v[16:17], off offset:1024
	v_or_b32_e32 v3, 0x200, v0
	v_cmp_gt_u32_e32 vcc, s33, v3
	v_mov_b32_e32 v19, v15
	v_mov_b32_e32 v18, v15
	v_mov_b32_e32 v14, v15
	v_mov_b32_e32 v13, v15
	v_mov_b32_e32 v12, v15
	v_mov_b32_e32 v11, v15
	v_mov_b32_e32 v10, v15
	v_mov_b32_e32 v9, v15
	v_mov_b32_e32 v8, v15
	v_mov_b32_e32 v7, v15
	v_mov_b32_e32 v6, v15
	v_mov_b32_e32 v5, v15
	v_mov_b32_e32 v4, v15
	s_and_saveexec_b64 s[16:17], vcc
	s_cbranch_execz .LBB169_81
; %bb.54:
	global_load_dword v15, v[16:17], off offset:2048
	v_or_b32_e32 v3, 0x300, v0
	v_cmp_gt_u32_e32 vcc, s33, v3
	v_mov_b32_e32 v19, 0
	v_mov_b32_e32 v18, 0
	;; [unrolled: 1-line block ×13, first 2 shown]
	s_and_saveexec_b64 s[18:19], vcc
	s_cbranch_execz .LBB169_80
; %bb.55:
	global_load_dword v19, v[16:17], off offset:3072
	v_or_b32_e32 v3, 0x400, v0
	v_cmp_gt_u32_e32 vcc, s33, v3
	v_mov_b32_e32 v18, 0
	v_mov_b32_e32 v14, 0
	;; [unrolled: 1-line block ×12, first 2 shown]
	s_and_saveexec_b64 s[20:21], vcc
	s_cbranch_execz .LBB169_79
; %bb.56:
	v_or_b32_e32 v13, s6, v3
	v_mov_b32_e32 v14, 0
	v_lshlrev_b64 v[3:4], 2, v[13:14]
	v_mov_b32_e32 v5, s15
	v_add_co_u32_e32 v3, vcc, s14, v3
	v_addc_co_u32_e32 v4, vcc, v5, v4, vcc
	global_load_dword v18, v[3:4], off
	v_or_b32_e32 v3, 0x500, v0
	v_cmp_gt_u32_e32 vcc, s33, v3
	v_mov_b32_e32 v13, v14
	v_mov_b32_e32 v12, v14
	;; [unrolled: 1-line block ×10, first 2 shown]
	s_and_saveexec_b64 s[22:23], vcc
	s_cbranch_execz .LBB169_78
; %bb.57:
	v_or_b32_e32 v12, s6, v3
	v_mov_b32_e32 v13, 0
	v_lshlrev_b64 v[3:4], 2, v[12:13]
	v_mov_b32_e32 v5, s15
	v_add_co_u32_e32 v3, vcc, s14, v3
	v_addc_co_u32_e32 v4, vcc, v5, v4, vcc
	global_load_dword v14, v[3:4], off
	v_or_b32_e32 v3, 0x600, v0
	v_cmp_gt_u32_e32 vcc, s33, v3
	v_mov_b32_e32 v12, v13
	v_mov_b32_e32 v11, v13
	;; [unrolled: 1-line block ×9, first 2 shown]
	s_and_saveexec_b64 s[24:25], vcc
	s_cbranch_execz .LBB169_77
; %bb.58:
	v_or_b32_e32 v11, s6, v3
	v_mov_b32_e32 v12, 0
	v_lshlrev_b64 v[3:4], 2, v[11:12]
	v_mov_b32_e32 v5, s15
	v_add_co_u32_e32 v3, vcc, s14, v3
	v_addc_co_u32_e32 v4, vcc, v5, v4, vcc
	global_load_dword v13, v[3:4], off
	v_or_b32_e32 v3, 0x700, v0
	v_cmp_gt_u32_e32 vcc, s33, v3
	v_mov_b32_e32 v11, v12
	v_mov_b32_e32 v10, v12
	;; [unrolled: 1-line block ×8, first 2 shown]
	s_and_saveexec_b64 s[26:27], vcc
	s_cbranch_execz .LBB169_76
; %bb.59:
	v_or_b32_e32 v10, s6, v3
	v_mov_b32_e32 v11, 0
	v_lshlrev_b64 v[3:4], 2, v[10:11]
	v_mov_b32_e32 v5, s15
	v_add_co_u32_e32 v3, vcc, s14, v3
	v_addc_co_u32_e32 v4, vcc, v5, v4, vcc
	global_load_dword v12, v[3:4], off
	v_or_b32_e32 v3, 0x800, v0
	v_cmp_gt_u32_e32 vcc, s33, v3
	v_mov_b32_e32 v10, v11
	v_mov_b32_e32 v9, v11
	;; [unrolled: 1-line block ×7, first 2 shown]
	s_and_saveexec_b64 s[28:29], vcc
	s_cbranch_execz .LBB169_75
; %bb.60:
	v_or_b32_e32 v9, s6, v3
	v_mov_b32_e32 v10, 0
	v_lshlrev_b64 v[3:4], 2, v[9:10]
	v_mov_b32_e32 v5, s15
	v_add_co_u32_e32 v3, vcc, s14, v3
	v_addc_co_u32_e32 v4, vcc, v5, v4, vcc
	global_load_dword v11, v[3:4], off
	v_or_b32_e32 v3, 0x900, v0
	v_cmp_gt_u32_e32 vcc, s33, v3
	v_mov_b32_e32 v9, v10
	v_mov_b32_e32 v8, v10
	;; [unrolled: 1-line block ×6, first 2 shown]
	s_and_saveexec_b64 s[30:31], vcc
	s_cbranch_execz .LBB169_74
; %bb.61:
	v_or_b32_e32 v8, s6, v3
	v_mov_b32_e32 v9, 0
	v_lshlrev_b64 v[3:4], 2, v[8:9]
	v_mov_b32_e32 v5, s15
	v_add_co_u32_e32 v3, vcc, s14, v3
	v_addc_co_u32_e32 v4, vcc, v5, v4, vcc
	global_load_dword v10, v[3:4], off
	v_or_b32_e32 v3, 0xa00, v0
	v_cmp_gt_u32_e32 vcc, s33, v3
	v_mov_b32_e32 v8, v9
	v_mov_b32_e32 v7, v9
	;; [unrolled: 1-line block ×5, first 2 shown]
	s_and_saveexec_b64 s[34:35], vcc
	s_cbranch_execz .LBB169_73
; %bb.62:
	v_or_b32_e32 v7, s6, v3
	v_mov_b32_e32 v8, 0
	v_lshlrev_b64 v[3:4], 2, v[7:8]
	v_mov_b32_e32 v5, s15
	v_add_co_u32_e32 v3, vcc, s14, v3
	v_addc_co_u32_e32 v4, vcc, v5, v4, vcc
	global_load_dword v9, v[3:4], off
	v_or_b32_e32 v3, 0xb00, v0
	v_cmp_gt_u32_e32 vcc, s33, v3
	v_mov_b32_e32 v7, v8
	v_mov_b32_e32 v6, v8
	;; [unrolled: 1-line block ×4, first 2 shown]
	s_and_saveexec_b64 s[36:37], vcc
	s_cbranch_execz .LBB169_72
; %bb.63:
	v_or_b32_e32 v6, s6, v3
	v_mov_b32_e32 v7, 0
	v_lshlrev_b64 v[3:4], 2, v[6:7]
	v_mov_b32_e32 v5, s15
	v_add_co_u32_e32 v3, vcc, s14, v3
	v_addc_co_u32_e32 v4, vcc, v5, v4, vcc
	global_load_dword v8, v[3:4], off
	v_or_b32_e32 v3, 0xc00, v0
	v_cmp_gt_u32_e32 vcc, s33, v3
	v_mov_b32_e32 v6, v7
	v_mov_b32_e32 v5, v7
	;; [unrolled: 1-line block ×3, first 2 shown]
	s_and_saveexec_b64 s[38:39], vcc
	s_cbranch_execz .LBB169_71
; %bb.64:
	v_or_b32_e32 v5, s6, v3
	v_mov_b32_e32 v6, 0
	v_lshlrev_b64 v[3:4], 2, v[5:6]
	v_mov_b32_e32 v5, s15
	v_add_co_u32_e32 v3, vcc, s14, v3
	v_addc_co_u32_e32 v4, vcc, v5, v4, vcc
	global_load_dword v7, v[3:4], off
	v_or_b32_e32 v3, 0xd00, v0
	v_cmp_gt_u32_e32 vcc, s33, v3
	v_mov_b32_e32 v5, v6
	v_mov_b32_e32 v4, v6
	s_and_saveexec_b64 s[40:41], vcc
	s_cbranch_execz .LBB169_70
; %bb.65:
	v_add_u32_e32 v4, s6, v3
	v_mov_b32_e32 v5, 0
	v_lshlrev_b64 v[3:4], 2, v[4:5]
	v_mov_b32_e32 v6, s15
	v_add_co_u32_e32 v3, vcc, s14, v3
	v_addc_co_u32_e32 v4, vcc, v6, v4, vcc
	global_load_dword v6, v[3:4], off
	v_or_b32_e32 v3, 0xe00, v0
	v_cmp_gt_u32_e32 vcc, s33, v3
	v_mov_b32_e32 v4, v5
	s_and_saveexec_b64 s[42:43], vcc
	s_cbranch_execz .LBB169_69
; %bb.66:
	v_add_u32_e32 v3, s6, v3
	v_mov_b32_e32 v4, 0
	v_lshlrev_b64 v[16:17], 2, v[3:4]
	v_mov_b32_e32 v3, s15
	v_add_co_u32_e32 v16, vcc, s14, v16
	v_addc_co_u32_e32 v17, vcc, v3, v17, vcc
	global_load_dword v5, v[16:17], off
	v_or_b32_e32 v3, 0xf00, v0
	v_cmp_gt_u32_e32 vcc, s33, v3
	s_and_saveexec_b64 s[44:45], vcc
	s_cbranch_execz .LBB169_68
; %bb.67:
	v_add_u32_e32 v3, s6, v3
	v_mov_b32_e32 v4, 0
	v_lshlrev_b64 v[3:4], 2, v[3:4]
	v_mov_b32_e32 v16, s15
	v_add_co_u32_e32 v3, vcc, s14, v3
	v_addc_co_u32_e32 v4, vcc, v16, v4, vcc
	global_load_dword v4, v[3:4], off
.LBB169_68:
	s_or_b64 exec, exec, s[44:45]
.LBB169_69:
	s_or_b64 exec, exec, s[42:43]
.LBB169_70:
	s_or_b64 exec, exec, s[40:41]
.LBB169_71:
	s_or_b64 exec, exec, s[38:39]
.LBB169_72:
	s_or_b64 exec, exec, s[36:37]
.LBB169_73:
	s_or_b64 exec, exec, s[34:35]
.LBB169_74:
	s_or_b64 exec, exec, s[30:31]
.LBB169_75:
	s_or_b64 exec, exec, s[28:29]
.LBB169_76:
	s_or_b64 exec, exec, s[26:27]
.LBB169_77:
	s_or_b64 exec, exec, s[24:25]
.LBB169_78:
	s_or_b64 exec, exec, s[22:23]
.LBB169_79:
	s_or_b64 exec, exec, s[20:21]
.LBB169_80:
	s_or_b64 exec, exec, s[18:19]
.LBB169_81:
	s_or_b64 exec, exec, s[16:17]
.LBB169_82:
	s_or_b64 exec, exec, s[4:5]
.LBB169_83:
	s_or_b64 exec, exec, s[2:3]
	s_cmp_lg_u32 s9, 0
	s_cselect_b64 s[4:5], -1, 0
	s_lshl_b32 s7, s10, 16
	s_and_b32 s14, s10, 0xffff0000
                                        ; implicit-def: $vgpr3
	s_and_saveexec_b64 s[8:9], s[0:1]
	s_cbranch_execz .LBB169_88
; %bb.84:
	s_and_b64 vcc, exec, s[4:5]
	s_waitcnt vmcnt(0)
	v_lshlrev_b32_e32 v3, 16, v20
	s_cbranch_vccz .LBB169_212
; %bb.85:
	v_and_b32_e32 v16, 0xffff0000, v20
	v_cmp_neq_f32_e32 vcc, s7, v3
	v_cmp_neq_f32_e64 s[2:3], s14, v16
	s_or_b64 s[10:11], vcc, s[2:3]
	s_cbranch_execnz .LBB169_87
.LBB169_86:
	v_and_b32_e32 v16, 0xffff0000, v20
	v_cmp_eq_f32_e32 vcc, s7, v3
	v_cmp_eq_f32_e64 s[2:3], s14, v16
	s_and_b64 s[2:3], vcc, s[2:3]
	s_andn2_b64 s[10:11], s[10:11], exec
	s_and_b64 s[2:3], s[2:3], exec
	s_or_b64 s[10:11], s[10:11], s[2:3]
.LBB169_87:
	v_cndmask_b32_e64 v3, 0, 1, s[10:11]
.LBB169_88:
	s_or_b64 exec, exec, s[8:9]
	v_or_b32_e32 v16, 0x100, v0
	v_cndmask_b32_e64 v17, 0, 1, s[4:5]
	v_cmp_gt_i32_e32 vcc, s33, v16
	v_cmp_ne_u32_e64 s[2:3], 1, v17
                                        ; implicit-def: $vgpr17
	s_and_saveexec_b64 s[8:9], vcc
	s_cbranch_execz .LBB169_93
; %bb.89:
	s_and_b64 vcc, exec, s[2:3]
	s_waitcnt vmcnt(0)
	v_lshlrev_b32_e32 v17, 16, v2
	s_cbranch_vccnz .LBB169_213
; %bb.90:
	v_and_b32_e32 v20, 0xffff0000, v2
	v_cmp_neq_f32_e32 vcc, s7, v17
	v_cmp_neq_f32_e64 s[4:5], s14, v20
	s_or_b64 s[10:11], vcc, s[4:5]
	s_cbranch_execnz .LBB169_92
.LBB169_91:
	v_and_b32_e32 v2, 0xffff0000, v2
	v_cmp_eq_f32_e32 vcc, s7, v17
	v_cmp_eq_f32_e64 s[4:5], s14, v2
	s_and_b64 s[4:5], vcc, s[4:5]
	s_andn2_b64 s[10:11], s[10:11], exec
	s_and_b64 s[4:5], s[4:5], exec
	s_or_b64 s[10:11], s[10:11], s[4:5]
.LBB169_92:
	v_cndmask_b32_e64 v17, 0, 1, s[10:11]
.LBB169_93:
	s_or_b64 exec, exec, s[8:9]
	s_waitcnt vmcnt(0)
	v_or_b32_e32 v2, 0x200, v0
	v_cmp_gt_i32_e32 vcc, s33, v2
                                        ; implicit-def: $vgpr2
	s_and_saveexec_b64 s[8:9], vcc
	s_cbranch_execz .LBB169_98
; %bb.94:
	s_and_b64 vcc, exec, s[2:3]
	v_lshlrev_b32_e32 v2, 16, v15
	s_cbranch_vccnz .LBB169_214
; %bb.95:
	v_and_b32_e32 v20, 0xffff0000, v15
	v_cmp_neq_f32_e32 vcc, s7, v2
	v_cmp_neq_f32_e64 s[4:5], s14, v20
	s_or_b64 s[10:11], vcc, s[4:5]
	s_cbranch_execnz .LBB169_97
.LBB169_96:
	v_and_b32_e32 v15, 0xffff0000, v15
	v_cmp_eq_f32_e32 vcc, s7, v2
	v_cmp_eq_f32_e64 s[4:5], s14, v15
	s_and_b64 s[4:5], vcc, s[4:5]
	s_andn2_b64 s[10:11], s[10:11], exec
	s_and_b64 s[4:5], s[4:5], exec
	s_or_b64 s[10:11], s[10:11], s[4:5]
.LBB169_97:
	v_cndmask_b32_e64 v2, 0, 1, s[10:11]
.LBB169_98:
	s_or_b64 exec, exec, s[8:9]
	v_or_b32_e32 v15, 0x300, v0
	v_cmp_gt_i32_e32 vcc, s33, v15
                                        ; implicit-def: $vgpr15
	s_and_saveexec_b64 s[8:9], vcc
	s_cbranch_execz .LBB169_103
; %bb.99:
	s_and_b64 vcc, exec, s[2:3]
	v_lshlrev_b32_e32 v15, 16, v19
	s_cbranch_vccnz .LBB169_215
; %bb.100:
	v_and_b32_e32 v20, 0xffff0000, v19
	v_cmp_neq_f32_e32 vcc, s7, v15
	v_cmp_neq_f32_e64 s[4:5], s14, v20
	s_or_b64 s[10:11], vcc, s[4:5]
	s_cbranch_execnz .LBB169_102
.LBB169_101:
	v_and_b32_e32 v19, 0xffff0000, v19
	v_cmp_eq_f32_e32 vcc, s7, v15
	v_cmp_eq_f32_e64 s[4:5], s14, v19
	s_and_b64 s[4:5], vcc, s[4:5]
	s_andn2_b64 s[10:11], s[10:11], exec
	s_and_b64 s[4:5], s[4:5], exec
	s_or_b64 s[10:11], s[10:11], s[4:5]
.LBB169_102:
	v_cndmask_b32_e64 v15, 0, 1, s[10:11]
.LBB169_103:
	s_or_b64 exec, exec, s[8:9]
	v_or_b32_e32 v19, 0x400, v0
	v_cmp_gt_i32_e32 vcc, s33, v19
                                        ; implicit-def: $vgpr19
	s_and_saveexec_b64 s[8:9], vcc
	s_cbranch_execz .LBB169_108
; %bb.104:
	s_and_b64 vcc, exec, s[2:3]
	v_lshlrev_b32_e32 v19, 16, v18
	s_cbranch_vccnz .LBB169_216
; %bb.105:
	v_and_b32_e32 v20, 0xffff0000, v18
	v_cmp_neq_f32_e32 vcc, s7, v19
	v_cmp_neq_f32_e64 s[4:5], s14, v20
	s_or_b64 s[10:11], vcc, s[4:5]
	s_cbranch_execnz .LBB169_107
.LBB169_106:
	v_and_b32_e32 v18, 0xffff0000, v18
	v_cmp_eq_f32_e32 vcc, s7, v19
	v_cmp_eq_f32_e64 s[4:5], s14, v18
	s_and_b64 s[4:5], vcc, s[4:5]
	s_andn2_b64 s[10:11], s[10:11], exec
	s_and_b64 s[4:5], s[4:5], exec
	s_or_b64 s[10:11], s[10:11], s[4:5]
.LBB169_107:
	v_cndmask_b32_e64 v19, 0, 1, s[10:11]
.LBB169_108:
	s_or_b64 exec, exec, s[8:9]
	v_or_b32_e32 v18, 0x500, v0
	v_cmp_gt_i32_e32 vcc, s33, v18
                                        ; implicit-def: $vgpr18
	s_and_saveexec_b64 s[8:9], vcc
	s_cbranch_execz .LBB169_113
; %bb.109:
	s_and_b64 vcc, exec, s[2:3]
	v_lshlrev_b32_e32 v18, 16, v14
	s_cbranch_vccnz .LBB169_217
; %bb.110:
	v_and_b32_e32 v20, 0xffff0000, v14
	v_cmp_neq_f32_e32 vcc, s7, v18
	v_cmp_neq_f32_e64 s[4:5], s14, v20
	s_or_b64 s[10:11], vcc, s[4:5]
	s_cbranch_execnz .LBB169_112
.LBB169_111:
	v_and_b32_e32 v14, 0xffff0000, v14
	v_cmp_eq_f32_e32 vcc, s7, v18
	v_cmp_eq_f32_e64 s[4:5], s14, v14
	s_and_b64 s[4:5], vcc, s[4:5]
	s_andn2_b64 s[10:11], s[10:11], exec
	s_and_b64 s[4:5], s[4:5], exec
	s_or_b64 s[10:11], s[10:11], s[4:5]
.LBB169_112:
	v_cndmask_b32_e64 v18, 0, 1, s[10:11]
.LBB169_113:
	s_or_b64 exec, exec, s[8:9]
	v_or_b32_e32 v14, 0x600, v0
	v_cmp_gt_i32_e32 vcc, s33, v14
                                        ; implicit-def: $vgpr14
	s_and_saveexec_b64 s[8:9], vcc
	s_cbranch_execz .LBB169_118
; %bb.114:
	s_and_b64 vcc, exec, s[2:3]
	v_lshlrev_b32_e32 v14, 16, v13
	s_cbranch_vccnz .LBB169_218
; %bb.115:
	v_and_b32_e32 v20, 0xffff0000, v13
	v_cmp_neq_f32_e32 vcc, s7, v14
	v_cmp_neq_f32_e64 s[4:5], s14, v20
	s_or_b64 s[10:11], vcc, s[4:5]
	s_cbranch_execnz .LBB169_117
.LBB169_116:
	v_and_b32_e32 v13, 0xffff0000, v13
	v_cmp_eq_f32_e32 vcc, s7, v14
	v_cmp_eq_f32_e64 s[4:5], s14, v13
	s_and_b64 s[4:5], vcc, s[4:5]
	s_andn2_b64 s[10:11], s[10:11], exec
	s_and_b64 s[4:5], s[4:5], exec
	s_or_b64 s[10:11], s[10:11], s[4:5]
.LBB169_117:
	v_cndmask_b32_e64 v14, 0, 1, s[10:11]
.LBB169_118:
	s_or_b64 exec, exec, s[8:9]
	v_or_b32_e32 v13, 0x700, v0
	v_cmp_gt_i32_e32 vcc, s33, v13
                                        ; implicit-def: $vgpr13
	s_and_saveexec_b64 s[8:9], vcc
	s_cbranch_execz .LBB169_123
; %bb.119:
	s_and_b64 vcc, exec, s[2:3]
	v_lshlrev_b32_e32 v13, 16, v12
	s_cbranch_vccnz .LBB169_219
; %bb.120:
	v_and_b32_e32 v20, 0xffff0000, v12
	v_cmp_neq_f32_e32 vcc, s7, v13
	v_cmp_neq_f32_e64 s[4:5], s14, v20
	s_or_b64 s[10:11], vcc, s[4:5]
	s_cbranch_execnz .LBB169_122
.LBB169_121:
	v_and_b32_e32 v12, 0xffff0000, v12
	v_cmp_eq_f32_e32 vcc, s7, v13
	v_cmp_eq_f32_e64 s[4:5], s14, v12
	s_and_b64 s[4:5], vcc, s[4:5]
	s_andn2_b64 s[10:11], s[10:11], exec
	s_and_b64 s[4:5], s[4:5], exec
	s_or_b64 s[10:11], s[10:11], s[4:5]
.LBB169_122:
	v_cndmask_b32_e64 v13, 0, 1, s[10:11]
.LBB169_123:
	s_or_b64 exec, exec, s[8:9]
	v_or_b32_e32 v12, 0x800, v0
	v_cmp_gt_i32_e32 vcc, s33, v12
                                        ; implicit-def: $vgpr12
	s_and_saveexec_b64 s[8:9], vcc
	s_cbranch_execz .LBB169_128
; %bb.124:
	s_and_b64 vcc, exec, s[2:3]
	v_lshlrev_b32_e32 v12, 16, v11
	s_cbranch_vccnz .LBB169_220
; %bb.125:
	v_and_b32_e32 v20, 0xffff0000, v11
	v_cmp_neq_f32_e32 vcc, s7, v12
	v_cmp_neq_f32_e64 s[4:5], s14, v20
	s_or_b64 s[10:11], vcc, s[4:5]
	s_cbranch_execnz .LBB169_127
.LBB169_126:
	v_and_b32_e32 v11, 0xffff0000, v11
	v_cmp_eq_f32_e32 vcc, s7, v12
	v_cmp_eq_f32_e64 s[4:5], s14, v11
	s_and_b64 s[4:5], vcc, s[4:5]
	s_andn2_b64 s[10:11], s[10:11], exec
	s_and_b64 s[4:5], s[4:5], exec
	s_or_b64 s[10:11], s[10:11], s[4:5]
.LBB169_127:
	v_cndmask_b32_e64 v12, 0, 1, s[10:11]
.LBB169_128:
	s_or_b64 exec, exec, s[8:9]
	v_or_b32_e32 v11, 0x900, v0
	v_cmp_gt_i32_e32 vcc, s33, v11
                                        ; implicit-def: $vgpr11
	s_and_saveexec_b64 s[8:9], vcc
	s_cbranch_execz .LBB169_133
; %bb.129:
	s_and_b64 vcc, exec, s[2:3]
	v_lshlrev_b32_e32 v11, 16, v10
	s_cbranch_vccnz .LBB169_221
; %bb.130:
	v_and_b32_e32 v20, 0xffff0000, v10
	v_cmp_neq_f32_e32 vcc, s7, v11
	v_cmp_neq_f32_e64 s[4:5], s14, v20
	s_or_b64 s[10:11], vcc, s[4:5]
	s_cbranch_execnz .LBB169_132
.LBB169_131:
	v_and_b32_e32 v10, 0xffff0000, v10
	v_cmp_eq_f32_e32 vcc, s7, v11
	v_cmp_eq_f32_e64 s[4:5], s14, v10
	s_and_b64 s[4:5], vcc, s[4:5]
	s_andn2_b64 s[10:11], s[10:11], exec
	s_and_b64 s[4:5], s[4:5], exec
	s_or_b64 s[10:11], s[10:11], s[4:5]
.LBB169_132:
	v_cndmask_b32_e64 v11, 0, 1, s[10:11]
.LBB169_133:
	s_or_b64 exec, exec, s[8:9]
	v_or_b32_e32 v10, 0xa00, v0
	v_cmp_gt_i32_e32 vcc, s33, v10
                                        ; implicit-def: $vgpr10
	s_and_saveexec_b64 s[8:9], vcc
	s_cbranch_execz .LBB169_138
; %bb.134:
	s_and_b64 vcc, exec, s[2:3]
	v_lshlrev_b32_e32 v10, 16, v9
	s_cbranch_vccnz .LBB169_222
; %bb.135:
	v_and_b32_e32 v20, 0xffff0000, v9
	v_cmp_neq_f32_e32 vcc, s7, v10
	v_cmp_neq_f32_e64 s[4:5], s14, v20
	s_or_b64 s[10:11], vcc, s[4:5]
	s_cbranch_execnz .LBB169_137
.LBB169_136:
	v_and_b32_e32 v9, 0xffff0000, v9
	v_cmp_eq_f32_e32 vcc, s7, v10
	v_cmp_eq_f32_e64 s[4:5], s14, v9
	s_and_b64 s[4:5], vcc, s[4:5]
	s_andn2_b64 s[10:11], s[10:11], exec
	s_and_b64 s[4:5], s[4:5], exec
	s_or_b64 s[10:11], s[10:11], s[4:5]
.LBB169_137:
	v_cndmask_b32_e64 v10, 0, 1, s[10:11]
.LBB169_138:
	s_or_b64 exec, exec, s[8:9]
	v_or_b32_e32 v9, 0xb00, v0
	v_cmp_gt_i32_e32 vcc, s33, v9
                                        ; implicit-def: $vgpr9
	s_and_saveexec_b64 s[8:9], vcc
	s_cbranch_execz .LBB169_143
; %bb.139:
	s_and_b64 vcc, exec, s[2:3]
	v_lshlrev_b32_e32 v9, 16, v8
	s_cbranch_vccnz .LBB169_223
; %bb.140:
	v_and_b32_e32 v20, 0xffff0000, v8
	v_cmp_neq_f32_e32 vcc, s7, v9
	v_cmp_neq_f32_e64 s[4:5], s14, v20
	s_or_b64 s[10:11], vcc, s[4:5]
	s_cbranch_execnz .LBB169_142
.LBB169_141:
	v_and_b32_e32 v8, 0xffff0000, v8
	v_cmp_eq_f32_e32 vcc, s7, v9
	v_cmp_eq_f32_e64 s[4:5], s14, v8
	s_and_b64 s[4:5], vcc, s[4:5]
	s_andn2_b64 s[10:11], s[10:11], exec
	s_and_b64 s[4:5], s[4:5], exec
	s_or_b64 s[10:11], s[10:11], s[4:5]
.LBB169_142:
	v_cndmask_b32_e64 v9, 0, 1, s[10:11]
.LBB169_143:
	s_or_b64 exec, exec, s[8:9]
	v_or_b32_e32 v8, 0xc00, v0
	v_cmp_gt_i32_e32 vcc, s33, v8
                                        ; implicit-def: $vgpr8
	s_and_saveexec_b64 s[8:9], vcc
	s_cbranch_execz .LBB169_148
; %bb.144:
	s_and_b64 vcc, exec, s[2:3]
	v_lshlrev_b32_e32 v8, 16, v7
	s_cbranch_vccnz .LBB169_224
; %bb.145:
	v_and_b32_e32 v20, 0xffff0000, v7
	v_cmp_neq_f32_e32 vcc, s7, v8
	v_cmp_neq_f32_e64 s[4:5], s14, v20
	s_or_b64 s[10:11], vcc, s[4:5]
	s_cbranch_execnz .LBB169_147
.LBB169_146:
	v_and_b32_e32 v7, 0xffff0000, v7
	v_cmp_eq_f32_e32 vcc, s7, v8
	v_cmp_eq_f32_e64 s[4:5], s14, v7
	s_and_b64 s[4:5], vcc, s[4:5]
	s_andn2_b64 s[10:11], s[10:11], exec
	s_and_b64 s[4:5], s[4:5], exec
	s_or_b64 s[10:11], s[10:11], s[4:5]
.LBB169_147:
	v_cndmask_b32_e64 v8, 0, 1, s[10:11]
.LBB169_148:
	s_or_b64 exec, exec, s[8:9]
	v_or_b32_e32 v7, 0xd00, v0
	v_cmp_gt_i32_e32 vcc, s33, v7
                                        ; implicit-def: $vgpr7
	s_and_saveexec_b64 s[8:9], vcc
	s_cbranch_execz .LBB169_153
; %bb.149:
	s_and_b64 vcc, exec, s[2:3]
	v_lshlrev_b32_e32 v7, 16, v6
	s_cbranch_vccnz .LBB169_225
; %bb.150:
	v_and_b32_e32 v20, 0xffff0000, v6
	v_cmp_neq_f32_e32 vcc, s7, v7
	v_cmp_neq_f32_e64 s[4:5], s14, v20
	s_or_b64 s[10:11], vcc, s[4:5]
	s_cbranch_execnz .LBB169_152
.LBB169_151:
	v_and_b32_e32 v6, 0xffff0000, v6
	v_cmp_eq_f32_e32 vcc, s7, v7
	v_cmp_eq_f32_e64 s[4:5], s14, v6
	s_and_b64 s[4:5], vcc, s[4:5]
	s_andn2_b64 s[10:11], s[10:11], exec
	s_and_b64 s[4:5], s[4:5], exec
	s_or_b64 s[10:11], s[10:11], s[4:5]
.LBB169_152:
	v_cndmask_b32_e64 v7, 0, 1, s[10:11]
.LBB169_153:
	s_or_b64 exec, exec, s[8:9]
	v_or_b32_e32 v6, 0xe00, v0
	v_cmp_gt_i32_e32 vcc, s33, v6
                                        ; implicit-def: $vgpr6
	s_and_saveexec_b64 s[8:9], vcc
	s_cbranch_execz .LBB169_158
; %bb.154:
	s_and_b64 vcc, exec, s[2:3]
	v_lshlrev_b32_e32 v6, 16, v5
	s_cbranch_vccnz .LBB169_226
; %bb.155:
	v_and_b32_e32 v20, 0xffff0000, v5
	v_cmp_neq_f32_e32 vcc, s7, v6
	v_cmp_neq_f32_e64 s[4:5], s14, v20
	s_or_b64 s[10:11], vcc, s[4:5]
	s_cbranch_execnz .LBB169_157
.LBB169_156:
	v_and_b32_e32 v5, 0xffff0000, v5
	v_cmp_eq_f32_e32 vcc, s7, v6
	v_cmp_eq_f32_e64 s[4:5], s14, v5
	s_and_b64 s[4:5], vcc, s[4:5]
	s_andn2_b64 s[10:11], s[10:11], exec
	s_and_b64 s[4:5], s[4:5], exec
	s_or_b64 s[10:11], s[10:11], s[4:5]
.LBB169_157:
	v_cndmask_b32_e64 v6, 0, 1, s[10:11]
.LBB169_158:
	s_or_b64 exec, exec, s[8:9]
	v_or_b32_e32 v5, 0xf00, v0
	v_cmp_gt_i32_e32 vcc, s33, v5
                                        ; implicit-def: $vgpr5
	s_and_saveexec_b64 s[4:5], vcc
	s_cbranch_execz .LBB169_163
; %bb.159:
	s_and_b64 vcc, exec, s[2:3]
	v_lshlrev_b32_e32 v5, 16, v4
	s_cbranch_vccnz .LBB169_227
; %bb.160:
	v_and_b32_e32 v20, 0xffff0000, v4
	v_cmp_neq_f32_e32 vcc, s7, v5
	v_cmp_neq_f32_e64 s[2:3], s14, v20
	s_or_b64 s[8:9], vcc, s[2:3]
	s_cbranch_execnz .LBB169_162
.LBB169_161:
	v_and_b32_e32 v4, 0xffff0000, v4
	v_cmp_eq_f32_e32 vcc, s7, v5
	v_cmp_eq_f32_e64 s[2:3], s14, v4
	s_and_b64 s[2:3], vcc, s[2:3]
	s_andn2_b64 s[8:9], s[8:9], exec
	s_and_b64 s[2:3], s[2:3], exec
	s_or_b64 s[8:9], s[8:9], s[2:3]
.LBB169_162:
	v_cndmask_b32_e64 v5, 0, 1, s[8:9]
.LBB169_163:
	s_or_b64 exec, exec, s[4:5]
	s_and_saveexec_b64 s[2:3], s[0:1]
	s_xor_b64 s[0:1], exec, s[2:3]
	s_cbranch_execz .LBB169_165
; %bb.164:
	v_mov_b32_e32 v0, v16
	global_store_byte v1, v3, s[12:13]
.LBB169_165:
	s_or_b64 exec, exec, s[0:1]
	v_cmp_gt_i32_e32 vcc, s33, v0
	s_and_saveexec_b64 s[0:1], vcc
	s_cbranch_execnz .LBB169_181
; %bb.166:
	s_or_b64 exec, exec, s[0:1]
	v_cmp_gt_i32_e32 vcc, s33, v0
	s_and_saveexec_b64 s[0:1], vcc
	s_cbranch_execnz .LBB169_182
.LBB169_167:
	s_or_b64 exec, exec, s[0:1]
	v_cmp_gt_i32_e32 vcc, s33, v0
	s_and_saveexec_b64 s[0:1], vcc
	s_cbranch_execnz .LBB169_183
.LBB169_168:
	s_or_b64 exec, exec, s[0:1]
	v_cmp_gt_i32_e32 vcc, s33, v0
	s_and_saveexec_b64 s[0:1], vcc
	s_cbranch_execnz .LBB169_184
.LBB169_169:
	s_or_b64 exec, exec, s[0:1]
	v_cmp_gt_i32_e32 vcc, s33, v0
	s_and_saveexec_b64 s[0:1], vcc
	s_cbranch_execnz .LBB169_185
.LBB169_170:
	s_or_b64 exec, exec, s[0:1]
	v_cmp_gt_i32_e32 vcc, s33, v0
	s_and_saveexec_b64 s[0:1], vcc
	s_cbranch_execnz .LBB169_186
.LBB169_171:
	s_or_b64 exec, exec, s[0:1]
	v_cmp_gt_i32_e32 vcc, s33, v0
	s_and_saveexec_b64 s[0:1], vcc
	s_cbranch_execnz .LBB169_187
.LBB169_172:
	s_or_b64 exec, exec, s[0:1]
	v_cmp_gt_i32_e32 vcc, s33, v0
	s_and_saveexec_b64 s[0:1], vcc
	s_cbranch_execnz .LBB169_188
.LBB169_173:
	s_or_b64 exec, exec, s[0:1]
	v_cmp_gt_i32_e32 vcc, s33, v0
	s_and_saveexec_b64 s[0:1], vcc
	s_cbranch_execnz .LBB169_189
.LBB169_174:
	s_or_b64 exec, exec, s[0:1]
	v_cmp_gt_i32_e32 vcc, s33, v0
	s_and_saveexec_b64 s[0:1], vcc
	s_cbranch_execnz .LBB169_190
.LBB169_175:
	s_or_b64 exec, exec, s[0:1]
	v_cmp_gt_i32_e32 vcc, s33, v0
	s_and_saveexec_b64 s[0:1], vcc
	s_cbranch_execnz .LBB169_191
.LBB169_176:
	s_or_b64 exec, exec, s[0:1]
	v_cmp_gt_i32_e32 vcc, s33, v0
	s_and_saveexec_b64 s[0:1], vcc
	s_cbranch_execnz .LBB169_192
.LBB169_177:
	s_or_b64 exec, exec, s[0:1]
	v_cmp_gt_i32_e32 vcc, s33, v0
	s_and_saveexec_b64 s[0:1], vcc
	s_cbranch_execnz .LBB169_193
.LBB169_178:
	s_or_b64 exec, exec, s[0:1]
	v_cmp_gt_i32_e32 vcc, s33, v0
	s_and_saveexec_b64 s[0:1], vcc
	s_cbranch_execnz .LBB169_194
.LBB169_179:
	s_or_b64 exec, exec, s[0:1]
	v_cmp_gt_i32_e32 vcc, s33, v0
	s_and_saveexec_b64 s[0:1], vcc
	s_cbranch_execz .LBB169_195
.LBB169_180:
	v_add_u32_e32 v0, s6, v0
	global_store_byte v0, v5, s[12:13]
	s_endpgm
.LBB169_181:
	v_add_u32_e32 v1, s6, v0
	v_add_u32_e32 v0, 0x100, v0
	global_store_byte v1, v17, s[12:13]
	s_or_b64 exec, exec, s[0:1]
	v_cmp_gt_i32_e32 vcc, s33, v0
	s_and_saveexec_b64 s[0:1], vcc
	s_cbranch_execz .LBB169_167
.LBB169_182:
	v_add_u32_e32 v1, s6, v0
	v_add_u32_e32 v0, 0x100, v0
	global_store_byte v1, v2, s[12:13]
	s_or_b64 exec, exec, s[0:1]
	v_cmp_gt_i32_e32 vcc, s33, v0
	s_and_saveexec_b64 s[0:1], vcc
	s_cbranch_execz .LBB169_168
.LBB169_183:
	v_add_u32_e32 v1, s6, v0
	v_add_u32_e32 v0, 0x100, v0
	global_store_byte v1, v15, s[12:13]
	s_or_b64 exec, exec, s[0:1]
	v_cmp_gt_i32_e32 vcc, s33, v0
	s_and_saveexec_b64 s[0:1], vcc
	s_cbranch_execz .LBB169_169
.LBB169_184:
	v_add_u32_e32 v1, s6, v0
	v_add_u32_e32 v0, 0x100, v0
	global_store_byte v1, v19, s[12:13]
	s_or_b64 exec, exec, s[0:1]
	v_cmp_gt_i32_e32 vcc, s33, v0
	s_and_saveexec_b64 s[0:1], vcc
	s_cbranch_execz .LBB169_170
.LBB169_185:
	v_add_u32_e32 v1, s6, v0
	v_add_u32_e32 v0, 0x100, v0
	global_store_byte v1, v18, s[12:13]
	s_or_b64 exec, exec, s[0:1]
	v_cmp_gt_i32_e32 vcc, s33, v0
	s_and_saveexec_b64 s[0:1], vcc
	s_cbranch_execz .LBB169_171
.LBB169_186:
	v_add_u32_e32 v1, s6, v0
	v_add_u32_e32 v0, 0x100, v0
	global_store_byte v1, v14, s[12:13]
	s_or_b64 exec, exec, s[0:1]
	v_cmp_gt_i32_e32 vcc, s33, v0
	s_and_saveexec_b64 s[0:1], vcc
	s_cbranch_execz .LBB169_172
.LBB169_187:
	v_add_u32_e32 v1, s6, v0
	v_add_u32_e32 v0, 0x100, v0
	global_store_byte v1, v13, s[12:13]
	s_or_b64 exec, exec, s[0:1]
	v_cmp_gt_i32_e32 vcc, s33, v0
	s_and_saveexec_b64 s[0:1], vcc
	s_cbranch_execz .LBB169_173
.LBB169_188:
	v_add_u32_e32 v1, s6, v0
	v_add_u32_e32 v0, 0x100, v0
	global_store_byte v1, v12, s[12:13]
	s_or_b64 exec, exec, s[0:1]
	v_cmp_gt_i32_e32 vcc, s33, v0
	s_and_saveexec_b64 s[0:1], vcc
	s_cbranch_execz .LBB169_174
.LBB169_189:
	v_add_u32_e32 v1, s6, v0
	v_add_u32_e32 v0, 0x100, v0
	global_store_byte v1, v11, s[12:13]
	s_or_b64 exec, exec, s[0:1]
	v_cmp_gt_i32_e32 vcc, s33, v0
	s_and_saveexec_b64 s[0:1], vcc
	s_cbranch_execz .LBB169_175
.LBB169_190:
	v_add_u32_e32 v1, s6, v0
	v_add_u32_e32 v0, 0x100, v0
	global_store_byte v1, v10, s[12:13]
	s_or_b64 exec, exec, s[0:1]
	v_cmp_gt_i32_e32 vcc, s33, v0
	s_and_saveexec_b64 s[0:1], vcc
	s_cbranch_execz .LBB169_176
.LBB169_191:
	v_add_u32_e32 v1, s6, v0
	v_add_u32_e32 v0, 0x100, v0
	global_store_byte v1, v9, s[12:13]
	s_or_b64 exec, exec, s[0:1]
	v_cmp_gt_i32_e32 vcc, s33, v0
	s_and_saveexec_b64 s[0:1], vcc
	s_cbranch_execz .LBB169_177
.LBB169_192:
	v_add_u32_e32 v1, s6, v0
	v_add_u32_e32 v0, 0x100, v0
	global_store_byte v1, v8, s[12:13]
	s_or_b64 exec, exec, s[0:1]
	v_cmp_gt_i32_e32 vcc, s33, v0
	s_and_saveexec_b64 s[0:1], vcc
	s_cbranch_execz .LBB169_178
.LBB169_193:
	v_add_u32_e32 v1, s6, v0
	v_add_u32_e32 v0, 0x100, v0
	global_store_byte v1, v7, s[12:13]
	s_or_b64 exec, exec, s[0:1]
	v_cmp_gt_i32_e32 vcc, s33, v0
	s_and_saveexec_b64 s[0:1], vcc
	s_cbranch_execz .LBB169_179
.LBB169_194:
	v_add_u32_e32 v1, s6, v0
	v_add_u32_e32 v0, 0x100, v0
	global_store_byte v1, v6, s[12:13]
	s_or_b64 exec, exec, s[0:1]
	v_cmp_gt_i32_e32 vcc, s33, v0
	s_and_saveexec_b64 s[0:1], vcc
	s_cbranch_execnz .LBB169_180
.LBB169_195:
	s_endpgm
.LBB169_196:
                                        ; implicit-def: $sgpr4_sgpr5
	s_branch .LBB169_3
.LBB169_197:
                                        ; implicit-def: $sgpr16_sgpr17
	s_branch .LBB169_6
.LBB169_198:
                                        ; implicit-def: $sgpr18_sgpr19
	s_branch .LBB169_9
.LBB169_199:
                                        ; implicit-def: $sgpr20_sgpr21
	s_branch .LBB169_12
.LBB169_200:
                                        ; implicit-def: $sgpr22_sgpr23
	s_branch .LBB169_15
.LBB169_201:
                                        ; implicit-def: $sgpr24_sgpr25
	s_branch .LBB169_18
.LBB169_202:
                                        ; implicit-def: $sgpr26_sgpr27
	s_branch .LBB169_21
.LBB169_203:
                                        ; implicit-def: $sgpr28_sgpr29
	s_branch .LBB169_24
.LBB169_204:
                                        ; implicit-def: $sgpr30_sgpr31
	s_branch .LBB169_27
.LBB169_205:
                                        ; implicit-def: $sgpr34_sgpr35
	s_branch .LBB169_30
.LBB169_206:
                                        ; implicit-def: $sgpr36_sgpr37
	s_branch .LBB169_33
.LBB169_207:
                                        ; implicit-def: $sgpr38_sgpr39
	s_branch .LBB169_36
.LBB169_208:
                                        ; implicit-def: $sgpr40_sgpr41
	s_branch .LBB169_39
.LBB169_209:
                                        ; implicit-def: $sgpr42_sgpr43
	s_branch .LBB169_42
.LBB169_210:
                                        ; implicit-def: $sgpr44_sgpr45
	s_branch .LBB169_45
.LBB169_211:
                                        ; implicit-def: $sgpr2_sgpr3
	s_branch .LBB169_48
.LBB169_212:
                                        ; implicit-def: $sgpr10_sgpr11
	s_branch .LBB169_86
.LBB169_213:
                                        ; implicit-def: $sgpr10_sgpr11
	s_branch .LBB169_91
.LBB169_214:
                                        ; implicit-def: $sgpr10_sgpr11
	s_branch .LBB169_96
.LBB169_215:
                                        ; implicit-def: $sgpr10_sgpr11
	s_branch .LBB169_101
.LBB169_216:
                                        ; implicit-def: $sgpr10_sgpr11
	s_branch .LBB169_106
.LBB169_217:
                                        ; implicit-def: $sgpr10_sgpr11
	s_branch .LBB169_111
.LBB169_218:
                                        ; implicit-def: $sgpr10_sgpr11
	s_branch .LBB169_116
.LBB169_219:
                                        ; implicit-def: $sgpr10_sgpr11
	s_branch .LBB169_121
.LBB169_220:
                                        ; implicit-def: $sgpr10_sgpr11
	s_branch .LBB169_126
.LBB169_221:
                                        ; implicit-def: $sgpr10_sgpr11
	s_branch .LBB169_131
.LBB169_222:
                                        ; implicit-def: $sgpr10_sgpr11
	s_branch .LBB169_136
.LBB169_223:
                                        ; implicit-def: $sgpr10_sgpr11
	s_branch .LBB169_141
.LBB169_224:
                                        ; implicit-def: $sgpr10_sgpr11
	s_branch .LBB169_146
.LBB169_225:
                                        ; implicit-def: $sgpr10_sgpr11
	s_branch .LBB169_151
.LBB169_226:
                                        ; implicit-def: $sgpr10_sgpr11
	s_branch .LBB169_156
.LBB169_227:
                                        ; implicit-def: $sgpr8_sgpr9
	s_branch .LBB169_161
	.section	.rodata,"a",@progbits
	.p2align	6, 0x0
	.amdhsa_kernel _ZN2at6native29vectorized_elementwise_kernelILi8ENS0_13AUnaryFunctorIN3c107complexINS3_8BFloat16EEES6_bNS0_12_GLOBAL__N_116CompareEqFunctorIS6_EEEESt5arrayIPcLm2EEEEviT0_T1_
		.amdhsa_group_segment_fixed_size 0
		.amdhsa_private_segment_fixed_size 0
		.amdhsa_kernarg_size 32
		.amdhsa_user_sgpr_count 6
		.amdhsa_user_sgpr_private_segment_buffer 1
		.amdhsa_user_sgpr_dispatch_ptr 0
		.amdhsa_user_sgpr_queue_ptr 0
		.amdhsa_user_sgpr_kernarg_segment_ptr 1
		.amdhsa_user_sgpr_dispatch_id 0
		.amdhsa_user_sgpr_flat_scratch_init 0
		.amdhsa_user_sgpr_private_segment_size 0
		.amdhsa_uses_dynamic_stack 0
		.amdhsa_system_sgpr_private_segment_wavefront_offset 0
		.amdhsa_system_sgpr_workgroup_id_x 1
		.amdhsa_system_sgpr_workgroup_id_y 0
		.amdhsa_system_sgpr_workgroup_id_z 0
		.amdhsa_system_sgpr_workgroup_info 0
		.amdhsa_system_vgpr_workitem_id 0
		.amdhsa_next_free_vgpr 21
		.amdhsa_next_free_sgpr 46
		.amdhsa_reserve_vcc 1
		.amdhsa_reserve_flat_scratch 0
		.amdhsa_float_round_mode_32 0
		.amdhsa_float_round_mode_16_64 0
		.amdhsa_float_denorm_mode_32 3
		.amdhsa_float_denorm_mode_16_64 3
		.amdhsa_dx10_clamp 1
		.amdhsa_ieee_mode 1
		.amdhsa_fp16_overflow 0
		.amdhsa_exception_fp_ieee_invalid_op 0
		.amdhsa_exception_fp_denorm_src 0
		.amdhsa_exception_fp_ieee_div_zero 0
		.amdhsa_exception_fp_ieee_overflow 0
		.amdhsa_exception_fp_ieee_underflow 0
		.amdhsa_exception_fp_ieee_inexact 0
		.amdhsa_exception_int_div_zero 0
	.end_amdhsa_kernel
	.section	.text._ZN2at6native29vectorized_elementwise_kernelILi8ENS0_13AUnaryFunctorIN3c107complexINS3_8BFloat16EEES6_bNS0_12_GLOBAL__N_116CompareEqFunctorIS6_EEEESt5arrayIPcLm2EEEEviT0_T1_,"axG",@progbits,_ZN2at6native29vectorized_elementwise_kernelILi8ENS0_13AUnaryFunctorIN3c107complexINS3_8BFloat16EEES6_bNS0_12_GLOBAL__N_116CompareEqFunctorIS6_EEEESt5arrayIPcLm2EEEEviT0_T1_,comdat
.Lfunc_end169:
	.size	_ZN2at6native29vectorized_elementwise_kernelILi8ENS0_13AUnaryFunctorIN3c107complexINS3_8BFloat16EEES6_bNS0_12_GLOBAL__N_116CompareEqFunctorIS6_EEEESt5arrayIPcLm2EEEEviT0_T1_, .Lfunc_end169-_ZN2at6native29vectorized_elementwise_kernelILi8ENS0_13AUnaryFunctorIN3c107complexINS3_8BFloat16EEES6_bNS0_12_GLOBAL__N_116CompareEqFunctorIS6_EEEESt5arrayIPcLm2EEEEviT0_T1_
                                        ; -- End function
	.set _ZN2at6native29vectorized_elementwise_kernelILi8ENS0_13AUnaryFunctorIN3c107complexINS3_8BFloat16EEES6_bNS0_12_GLOBAL__N_116CompareEqFunctorIS6_EEEESt5arrayIPcLm2EEEEviT0_T1_.num_vgpr, 21
	.set _ZN2at6native29vectorized_elementwise_kernelILi8ENS0_13AUnaryFunctorIN3c107complexINS3_8BFloat16EEES6_bNS0_12_GLOBAL__N_116CompareEqFunctorIS6_EEEESt5arrayIPcLm2EEEEviT0_T1_.num_agpr, 0
	.set _ZN2at6native29vectorized_elementwise_kernelILi8ENS0_13AUnaryFunctorIN3c107complexINS3_8BFloat16EEES6_bNS0_12_GLOBAL__N_116CompareEqFunctorIS6_EEEESt5arrayIPcLm2EEEEviT0_T1_.numbered_sgpr, 46
	.set _ZN2at6native29vectorized_elementwise_kernelILi8ENS0_13AUnaryFunctorIN3c107complexINS3_8BFloat16EEES6_bNS0_12_GLOBAL__N_116CompareEqFunctorIS6_EEEESt5arrayIPcLm2EEEEviT0_T1_.num_named_barrier, 0
	.set _ZN2at6native29vectorized_elementwise_kernelILi8ENS0_13AUnaryFunctorIN3c107complexINS3_8BFloat16EEES6_bNS0_12_GLOBAL__N_116CompareEqFunctorIS6_EEEESt5arrayIPcLm2EEEEviT0_T1_.private_seg_size, 0
	.set _ZN2at6native29vectorized_elementwise_kernelILi8ENS0_13AUnaryFunctorIN3c107complexINS3_8BFloat16EEES6_bNS0_12_GLOBAL__N_116CompareEqFunctorIS6_EEEESt5arrayIPcLm2EEEEviT0_T1_.uses_vcc, 1
	.set _ZN2at6native29vectorized_elementwise_kernelILi8ENS0_13AUnaryFunctorIN3c107complexINS3_8BFloat16EEES6_bNS0_12_GLOBAL__N_116CompareEqFunctorIS6_EEEESt5arrayIPcLm2EEEEviT0_T1_.uses_flat_scratch, 0
	.set _ZN2at6native29vectorized_elementwise_kernelILi8ENS0_13AUnaryFunctorIN3c107complexINS3_8BFloat16EEES6_bNS0_12_GLOBAL__N_116CompareEqFunctorIS6_EEEESt5arrayIPcLm2EEEEviT0_T1_.has_dyn_sized_stack, 0
	.set _ZN2at6native29vectorized_elementwise_kernelILi8ENS0_13AUnaryFunctorIN3c107complexINS3_8BFloat16EEES6_bNS0_12_GLOBAL__N_116CompareEqFunctorIS6_EEEESt5arrayIPcLm2EEEEviT0_T1_.has_recursion, 0
	.set _ZN2at6native29vectorized_elementwise_kernelILi8ENS0_13AUnaryFunctorIN3c107complexINS3_8BFloat16EEES6_bNS0_12_GLOBAL__N_116CompareEqFunctorIS6_EEEESt5arrayIPcLm2EEEEviT0_T1_.has_indirect_call, 0
	.section	.AMDGPU.csdata,"",@progbits
; Kernel info:
; codeLenInByte = 5744
; TotalNumSgprs: 50
; NumVgprs: 21
; ScratchSize: 0
; MemoryBound: 0
; FloatMode: 240
; IeeeMode: 1
; LDSByteSize: 0 bytes/workgroup (compile time only)
; SGPRBlocks: 6
; VGPRBlocks: 5
; NumSGPRsForWavesPerEU: 50
; NumVGPRsForWavesPerEU: 21
; Occupancy: 10
; WaveLimiterHint : 1
; COMPUTE_PGM_RSRC2:SCRATCH_EN: 0
; COMPUTE_PGM_RSRC2:USER_SGPR: 6
; COMPUTE_PGM_RSRC2:TRAP_HANDLER: 0
; COMPUTE_PGM_RSRC2:TGID_X_EN: 1
; COMPUTE_PGM_RSRC2:TGID_Y_EN: 0
; COMPUTE_PGM_RSRC2:TGID_Z_EN: 0
; COMPUTE_PGM_RSRC2:TIDIG_COMP_CNT: 0
	.section	.text._ZN2at6native29vectorized_elementwise_kernelILi4ENS0_13AUnaryFunctorIN3c107complexINS3_8BFloat16EEES6_bNS0_12_GLOBAL__N_116CompareEqFunctorIS6_EEEESt5arrayIPcLm2EEEEviT0_T1_,"axG",@progbits,_ZN2at6native29vectorized_elementwise_kernelILi4ENS0_13AUnaryFunctorIN3c107complexINS3_8BFloat16EEES6_bNS0_12_GLOBAL__N_116CompareEqFunctorIS6_EEEESt5arrayIPcLm2EEEEviT0_T1_,comdat
	.globl	_ZN2at6native29vectorized_elementwise_kernelILi4ENS0_13AUnaryFunctorIN3c107complexINS3_8BFloat16EEES6_bNS0_12_GLOBAL__N_116CompareEqFunctorIS6_EEEESt5arrayIPcLm2EEEEviT0_T1_ ; -- Begin function _ZN2at6native29vectorized_elementwise_kernelILi4ENS0_13AUnaryFunctorIN3c107complexINS3_8BFloat16EEES6_bNS0_12_GLOBAL__N_116CompareEqFunctorIS6_EEEESt5arrayIPcLm2EEEEviT0_T1_
	.p2align	8
	.type	_ZN2at6native29vectorized_elementwise_kernelILi4ENS0_13AUnaryFunctorIN3c107complexINS3_8BFloat16EEES6_bNS0_12_GLOBAL__N_116CompareEqFunctorIS6_EEEESt5arrayIPcLm2EEEEviT0_T1_,@function
_ZN2at6native29vectorized_elementwise_kernelILi4ENS0_13AUnaryFunctorIN3c107complexINS3_8BFloat16EEES6_bNS0_12_GLOBAL__N_116CompareEqFunctorIS6_EEEESt5arrayIPcLm2EEEEviT0_T1_: ; @_ZN2at6native29vectorized_elementwise_kernelILi4ENS0_13AUnaryFunctorIN3c107complexINS3_8BFloat16EEES6_bNS0_12_GLOBAL__N_116CompareEqFunctorIS6_EEEESt5arrayIPcLm2EEEEviT0_T1_
; %bb.0:
	s_load_dwordx8 s[8:15], s[4:5], 0x0
	s_lshl_b32 s6, s6, 12
	s_mov_b64 s[0:1], -1
	s_waitcnt lgkmcnt(0)
	s_sub_i32 s33, s8, s6
	s_cmpk_gt_i32 s33, 0xfff
	s_cbranch_scc0 .LBB170_50
; %bb.1:
	s_ashr_i32 s7, s6, 31
	s_lshl_b64 s[0:1], s[6:7], 2
	s_add_u32 s0, s14, s0
	s_addc_u32 s1, s15, s1
	v_lshlrev_b32_e32 v3, 4, v0
	v_mov_b32_e32 v1, s1
	v_add_co_u32_e32 v4, vcc, s0, v3
	v_addc_co_u32_e32 v5, vcc, 0, v1, vcc
	v_add_co_u32_e32 v1, vcc, 0x1000, v4
	v_addc_co_u32_e32 v2, vcc, 0, v5, vcc
	;; [unrolled: 2-line block ×3, first 2 shown]
	v_add_co_u32_e32 v19, vcc, 0x3000, v4
	global_load_dwordx4 v[13:16], v3, s[0:1]
	global_load_dwordx4 v[9:12], v[1:2], off
	v_addc_co_u32_e32 v20, vcc, 0, v5, vcc
	global_load_dwordx4 v[5:8], v[17:18], off
	global_load_dwordx4 v[1:4], v[19:20], off
	s_cmp_lg_u32 s9, 0
	s_cselect_b64 s[2:3], -1, 0
	s_lshl_b32 s8, s10, 16
	s_and_b32 s11, s10, 0xffff0000
	s_and_b64 vcc, exec, s[2:3]
	s_waitcnt vmcnt(3)
	v_lshlrev_b32_e32 v17, 16, v13
	s_cbranch_vccz .LBB170_196
; %bb.2:
	v_and_b32_e32 v18, 0xffff0000, v13
	v_cmp_neq_f32_e32 vcc, s8, v17
	v_cmp_neq_f32_e64 s[0:1], s11, v18
	s_or_b64 s[4:5], vcc, s[0:1]
	s_cbranch_execnz .LBB170_4
.LBB170_3:
	v_and_b32_e32 v13, 0xffff0000, v13
	v_cmp_eq_f32_e32 vcc, s8, v17
	v_cmp_eq_f32_e64 s[0:1], s11, v13
	s_and_b64 s[0:1], vcc, s[0:1]
	s_andn2_b64 s[4:5], s[4:5], exec
	s_and_b64 s[0:1], s[0:1], exec
	s_or_b64 s[4:5], s[4:5], s[0:1]
.LBB170_4:
	v_cndmask_b32_e64 v13, 0, 1, s[2:3]
	v_cmp_ne_u32_e64 s[0:1], 1, v13
	s_andn2_b64 vcc, exec, s[2:3]
	v_lshlrev_b32_e32 v13, 16, v14
	s_cbranch_vccnz .LBB170_197
; %bb.5:
	v_and_b32_e32 v17, 0xffff0000, v14
	v_cmp_neq_f32_e32 vcc, s8, v13
	v_cmp_neq_f32_e64 s[2:3], s11, v17
	s_or_b64 s[16:17], vcc, s[2:3]
	s_cbranch_execnz .LBB170_7
.LBB170_6:
	v_and_b32_e32 v14, 0xffff0000, v14
	v_cmp_eq_f32_e32 vcc, s8, v13
	v_cmp_eq_f32_e64 s[2:3], s11, v14
	s_and_b64 s[2:3], vcc, s[2:3]
	s_andn2_b64 s[16:17], s[16:17], exec
	s_and_b64 s[2:3], s[2:3], exec
	s_or_b64 s[16:17], s[16:17], s[2:3]
.LBB170_7:
	s_and_b64 vcc, exec, s[0:1]
	v_lshlrev_b32_e32 v13, 16, v15
	s_cbranch_vccnz .LBB170_198
; %bb.8:
	v_and_b32_e32 v14, 0xffff0000, v15
	v_cmp_neq_f32_e32 vcc, s8, v13
	v_cmp_neq_f32_e64 s[2:3], s11, v14
	s_or_b64 s[18:19], vcc, s[2:3]
	s_cbranch_execnz .LBB170_10
.LBB170_9:
	v_and_b32_e32 v14, 0xffff0000, v15
	v_cmp_eq_f32_e32 vcc, s8, v13
	v_cmp_eq_f32_e64 s[2:3], s11, v14
	s_and_b64 s[2:3], vcc, s[2:3]
	s_andn2_b64 s[18:19], s[18:19], exec
	s_and_b64 s[2:3], s[2:3], exec
	s_or_b64 s[18:19], s[18:19], s[2:3]
.LBB170_10:
	s_and_b64 vcc, exec, s[0:1]
	v_lshlrev_b32_e32 v13, 16, v16
	s_cbranch_vccnz .LBB170_199
; %bb.11:
	v_and_b32_e32 v14, 0xffff0000, v16
	v_cmp_neq_f32_e32 vcc, s8, v13
	v_cmp_neq_f32_e64 s[2:3], s11, v14
	s_or_b64 s[20:21], vcc, s[2:3]
	s_cbranch_execnz .LBB170_13
.LBB170_12:
	v_and_b32_e32 v14, 0xffff0000, v16
	v_cmp_eq_f32_e32 vcc, s8, v13
	v_cmp_eq_f32_e64 s[2:3], s11, v14
	s_and_b64 s[2:3], vcc, s[2:3]
	s_andn2_b64 s[20:21], s[20:21], exec
	s_and_b64 s[2:3], s[2:3], exec
	s_or_b64 s[20:21], s[20:21], s[2:3]
.LBB170_13:
	s_and_b64 vcc, exec, s[0:1]
	s_waitcnt vmcnt(2)
	v_lshlrev_b32_e32 v13, 16, v9
	s_cbranch_vccnz .LBB170_200
; %bb.14:
	v_and_b32_e32 v14, 0xffff0000, v9
	v_cmp_neq_f32_e32 vcc, s8, v13
	v_cmp_neq_f32_e64 s[2:3], s11, v14
	s_or_b64 s[22:23], vcc, s[2:3]
	s_cbranch_execnz .LBB170_16
.LBB170_15:
	v_and_b32_e32 v9, 0xffff0000, v9
	v_cmp_eq_f32_e32 vcc, s8, v13
	v_cmp_eq_f32_e64 s[2:3], s11, v9
	s_and_b64 s[2:3], vcc, s[2:3]
	s_andn2_b64 s[22:23], s[22:23], exec
	s_and_b64 s[2:3], s[2:3], exec
	s_or_b64 s[22:23], s[22:23], s[2:3]
.LBB170_16:
	s_and_b64 vcc, exec, s[0:1]
	v_lshlrev_b32_e32 v9, 16, v10
	s_cbranch_vccnz .LBB170_201
; %bb.17:
	v_and_b32_e32 v13, 0xffff0000, v10
	v_cmp_neq_f32_e32 vcc, s8, v9
	v_cmp_neq_f32_e64 s[2:3], s11, v13
	s_or_b64 s[24:25], vcc, s[2:3]
	s_cbranch_execnz .LBB170_19
.LBB170_18:
	v_and_b32_e32 v10, 0xffff0000, v10
	v_cmp_eq_f32_e32 vcc, s8, v9
	v_cmp_eq_f32_e64 s[2:3], s11, v10
	s_and_b64 s[2:3], vcc, s[2:3]
	s_andn2_b64 s[24:25], s[24:25], exec
	s_and_b64 s[2:3], s[2:3], exec
	s_or_b64 s[24:25], s[24:25], s[2:3]
.LBB170_19:
	s_and_b64 vcc, exec, s[0:1]
	v_lshlrev_b32_e32 v9, 16, v11
	s_cbranch_vccnz .LBB170_202
; %bb.20:
	v_and_b32_e32 v10, 0xffff0000, v11
	v_cmp_neq_f32_e32 vcc, s8, v9
	v_cmp_neq_f32_e64 s[2:3], s11, v10
	s_or_b64 s[26:27], vcc, s[2:3]
	s_cbranch_execnz .LBB170_22
.LBB170_21:
	v_and_b32_e32 v10, 0xffff0000, v11
	v_cmp_eq_f32_e32 vcc, s8, v9
	v_cmp_eq_f32_e64 s[2:3], s11, v10
	s_and_b64 s[2:3], vcc, s[2:3]
	s_andn2_b64 s[26:27], s[26:27], exec
	s_and_b64 s[2:3], s[2:3], exec
	s_or_b64 s[26:27], s[26:27], s[2:3]
.LBB170_22:
	s_and_b64 vcc, exec, s[0:1]
	v_lshlrev_b32_e32 v9, 16, v12
	s_cbranch_vccnz .LBB170_203
; %bb.23:
	v_and_b32_e32 v10, 0xffff0000, v12
	v_cmp_neq_f32_e32 vcc, s8, v9
	v_cmp_neq_f32_e64 s[2:3], s11, v10
	s_or_b64 s[28:29], vcc, s[2:3]
	s_cbranch_execnz .LBB170_25
.LBB170_24:
	v_and_b32_e32 v10, 0xffff0000, v12
	v_cmp_eq_f32_e32 vcc, s8, v9
	v_cmp_eq_f32_e64 s[2:3], s11, v10
	s_and_b64 s[2:3], vcc, s[2:3]
	s_andn2_b64 s[28:29], s[28:29], exec
	s_and_b64 s[2:3], s[2:3], exec
	s_or_b64 s[28:29], s[28:29], s[2:3]
.LBB170_25:
	s_and_b64 vcc, exec, s[0:1]
	s_waitcnt vmcnt(1)
	v_lshlrev_b32_e32 v9, 16, v5
	s_cbranch_vccnz .LBB170_204
; %bb.26:
	v_and_b32_e32 v10, 0xffff0000, v5
	v_cmp_neq_f32_e32 vcc, s8, v9
	v_cmp_neq_f32_e64 s[2:3], s11, v10
	s_or_b64 s[30:31], vcc, s[2:3]
	s_cbranch_execnz .LBB170_28
.LBB170_27:
	v_and_b32_e32 v5, 0xffff0000, v5
	v_cmp_eq_f32_e32 vcc, s8, v9
	v_cmp_eq_f32_e64 s[2:3], s11, v5
	s_and_b64 s[2:3], vcc, s[2:3]
	s_andn2_b64 s[30:31], s[30:31], exec
	s_and_b64 s[2:3], s[2:3], exec
	s_or_b64 s[30:31], s[30:31], s[2:3]
.LBB170_28:
	s_and_b64 vcc, exec, s[0:1]
	v_lshlrev_b32_e32 v5, 16, v6
	s_cbranch_vccnz .LBB170_205
; %bb.29:
	v_and_b32_e32 v9, 0xffff0000, v6
	v_cmp_neq_f32_e32 vcc, s8, v5
	v_cmp_neq_f32_e64 s[2:3], s11, v9
	s_or_b64 s[34:35], vcc, s[2:3]
	s_cbranch_execnz .LBB170_31
.LBB170_30:
	v_and_b32_e32 v6, 0xffff0000, v6
	v_cmp_eq_f32_e32 vcc, s8, v5
	v_cmp_eq_f32_e64 s[2:3], s11, v6
	s_and_b64 s[2:3], vcc, s[2:3]
	s_andn2_b64 s[34:35], s[34:35], exec
	s_and_b64 s[2:3], s[2:3], exec
	s_or_b64 s[34:35], s[34:35], s[2:3]
.LBB170_31:
	s_and_b64 vcc, exec, s[0:1]
	v_lshlrev_b32_e32 v5, 16, v7
	s_cbranch_vccnz .LBB170_206
; %bb.32:
	v_and_b32_e32 v6, 0xffff0000, v7
	v_cmp_neq_f32_e32 vcc, s8, v5
	v_cmp_neq_f32_e64 s[2:3], s11, v6
	s_or_b64 s[36:37], vcc, s[2:3]
	s_cbranch_execnz .LBB170_34
.LBB170_33:
	v_and_b32_e32 v6, 0xffff0000, v7
	v_cmp_eq_f32_e32 vcc, s8, v5
	v_cmp_eq_f32_e64 s[2:3], s11, v6
	s_and_b64 s[2:3], vcc, s[2:3]
	s_andn2_b64 s[36:37], s[36:37], exec
	s_and_b64 s[2:3], s[2:3], exec
	s_or_b64 s[36:37], s[36:37], s[2:3]
.LBB170_34:
	s_and_b64 vcc, exec, s[0:1]
	v_lshlrev_b32_e32 v5, 16, v8
	s_cbranch_vccnz .LBB170_207
; %bb.35:
	v_and_b32_e32 v6, 0xffff0000, v8
	v_cmp_neq_f32_e32 vcc, s8, v5
	v_cmp_neq_f32_e64 s[2:3], s11, v6
	s_or_b64 s[38:39], vcc, s[2:3]
	s_cbranch_execnz .LBB170_37
.LBB170_36:
	v_and_b32_e32 v6, 0xffff0000, v8
	v_cmp_eq_f32_e32 vcc, s8, v5
	v_cmp_eq_f32_e64 s[2:3], s11, v6
	s_and_b64 s[2:3], vcc, s[2:3]
	s_andn2_b64 s[38:39], s[38:39], exec
	s_and_b64 s[2:3], s[2:3], exec
	s_or_b64 s[38:39], s[38:39], s[2:3]
.LBB170_37:
	s_and_b64 vcc, exec, s[0:1]
	s_waitcnt vmcnt(0)
	v_lshlrev_b32_e32 v5, 16, v1
	s_cbranch_vccnz .LBB170_208
; %bb.38:
	v_and_b32_e32 v6, 0xffff0000, v1
	v_cmp_neq_f32_e32 vcc, s8, v5
	v_cmp_neq_f32_e64 s[2:3], s11, v6
	s_or_b64 s[40:41], vcc, s[2:3]
	s_cbranch_execnz .LBB170_40
.LBB170_39:
	v_and_b32_e32 v1, 0xffff0000, v1
	v_cmp_eq_f32_e32 vcc, s8, v5
	v_cmp_eq_f32_e64 s[2:3], s11, v1
	s_and_b64 s[2:3], vcc, s[2:3]
	s_andn2_b64 s[40:41], s[40:41], exec
	s_and_b64 s[2:3], s[2:3], exec
	s_or_b64 s[40:41], s[40:41], s[2:3]
.LBB170_40:
	s_and_b64 vcc, exec, s[0:1]
	v_lshlrev_b32_e32 v1, 16, v2
	s_cbranch_vccnz .LBB170_209
; %bb.41:
	v_and_b32_e32 v5, 0xffff0000, v2
	v_cmp_neq_f32_e32 vcc, s8, v1
	v_cmp_neq_f32_e64 s[2:3], s11, v5
	s_or_b64 s[42:43], vcc, s[2:3]
	s_cbranch_execnz .LBB170_43
.LBB170_42:
	v_and_b32_e32 v2, 0xffff0000, v2
	v_cmp_eq_f32_e32 vcc, s8, v1
	v_cmp_eq_f32_e64 s[2:3], s11, v2
	s_and_b64 s[2:3], vcc, s[2:3]
	s_andn2_b64 s[42:43], s[42:43], exec
	s_and_b64 s[2:3], s[2:3], exec
	s_or_b64 s[42:43], s[42:43], s[2:3]
.LBB170_43:
	s_and_b64 vcc, exec, s[0:1]
	v_lshlrev_b32_e32 v1, 16, v3
	s_cbranch_vccnz .LBB170_210
; %bb.44:
	v_and_b32_e32 v2, 0xffff0000, v3
	v_cmp_neq_f32_e32 vcc, s8, v1
	v_cmp_neq_f32_e64 s[2:3], s11, v2
	s_or_b64 s[44:45], vcc, s[2:3]
	s_cbranch_execnz .LBB170_46
.LBB170_45:
	v_and_b32_e32 v2, 0xffff0000, v3
	v_cmp_eq_f32_e32 vcc, s8, v1
	v_cmp_eq_f32_e64 s[2:3], s11, v2
	s_and_b64 s[2:3], vcc, s[2:3]
	s_andn2_b64 s[44:45], s[44:45], exec
	s_and_b64 s[2:3], s[2:3], exec
	s_or_b64 s[44:45], s[44:45], s[2:3]
.LBB170_46:
	s_and_b64 vcc, exec, s[0:1]
	v_lshlrev_b32_e32 v1, 16, v4
	s_cbranch_vccnz .LBB170_211
; %bb.47:
	v_and_b32_e32 v2, 0xffff0000, v4
	v_cmp_neq_f32_e32 vcc, s8, v1
	v_cmp_neq_f32_e64 s[0:1], s11, v2
	s_or_b64 s[2:3], vcc, s[0:1]
	s_cbranch_execnz .LBB170_49
.LBB170_48:
	v_and_b32_e32 v2, 0xffff0000, v4
	v_cmp_eq_f32_e32 vcc, s8, v1
	v_cmp_eq_f32_e64 s[0:1], s11, v2
	s_and_b64 s[0:1], vcc, s[0:1]
	s_andn2_b64 s[2:3], s[2:3], exec
	s_and_b64 s[0:1], s[0:1], exec
	s_or_b64 s[2:3], s[2:3], s[0:1]
.LBB170_49:
	v_mov_b32_e32 v1, 0x100
	v_cndmask_b32_e64 v2, 0, v1, s[42:43]
	v_cndmask_b32_e64 v3, 0, 1, s[40:41]
	v_or_b32_e32 v2, v2, v3
	v_mov_b32_e32 v3, 0x10000
	v_cndmask_b32_e64 v5, 0, v1, s[34:35]
	v_cndmask_b32_e64 v6, 0, 1, s[30:31]
	v_mov_b32_e32 v7, 0x1000000
	v_or_b32_e32 v5, v5, v6
	v_cndmask_b32_e64 v6, 0, v3, s[36:37]
	v_cndmask_b32_e64 v8, 0, v7, s[38:39]
	v_or3_b32 v5, v5, v6, v8
	v_cndmask_b32_e64 v6, 0, v1, s[24:25]
	v_cndmask_b32_e64 v8, 0, 1, s[22:23]
	v_or_b32_e32 v6, v6, v8
	v_cndmask_b32_e64 v8, 0, v3, s[26:27]
	v_cndmask_b32_e64 v9, 0, v7, s[28:29]
	v_or3_b32 v6, v6, v8, v9
	v_cndmask_b32_e64 v1, 0, v1, s[16:17]
	v_cndmask_b32_e64 v8, 0, 1, s[4:5]
	v_cndmask_b32_e64 v4, 0, v3, s[44:45]
	v_or_b32_e32 v1, v1, v8
	v_cndmask_b32_e64 v3, 0, v3, s[18:19]
	v_cndmask_b32_e64 v8, 0, v7, s[20:21]
	v_or3_b32 v1, v1, v3, v8
	v_cndmask_b32_e64 v3, 0, v7, s[2:3]
	s_add_u32 s0, s12, s6
	v_or3_b32 v2, v2, v4, v3
	s_addc_u32 s1, s13, s7
	v_lshlrev_b32_e32 v3, 2, v0
	global_store_dword v3, v1, s[0:1]
	global_store_dword v3, v6, s[0:1] offset:1024
	global_store_dword v3, v5, s[0:1] offset:2048
	;; [unrolled: 1-line block ×3, first 2 shown]
	s_mov_b64 s[0:1], 0
.LBB170_50:
	s_and_b64 vcc, exec, s[0:1]
	s_cbranch_vccz .LBB170_195
; %bb.51:
	v_cmp_gt_i32_e64 s[0:1], s33, v0
	v_mov_b32_e32 v4, 0
	v_or_b32_e32 v1, s6, v0
	v_mov_b32_e32 v5, 0
	v_mov_b32_e32 v6, 0
	;; [unrolled: 1-line block ×15, first 2 shown]
	s_and_saveexec_b64 s[2:3], s[0:1]
	s_cbranch_execz .LBB170_83
; %bb.52:
	v_mov_b32_e32 v2, 0
	v_lshlrev_b64 v[3:4], 2, v[1:2]
	v_mov_b32_e32 v5, s15
	v_add_co_u32_e32 v3, vcc, s14, v3
	v_addc_co_u32_e32 v4, vcc, v5, v4, vcc
	global_load_dword v20, v[3:4], off
	v_or_b32_e32 v3, 0x100, v0
	v_cmp_gt_u32_e32 vcc, s33, v3
	v_mov_b32_e32 v15, v2
	v_mov_b32_e32 v19, v2
	;; [unrolled: 1-line block ×14, first 2 shown]
	s_and_saveexec_b64 s[4:5], vcc
	s_cbranch_execz .LBB170_82
; %bb.53:
	v_add_u32_e32 v14, s6, v0
	v_mov_b32_e32 v15, 0
	v_lshlrev_b64 v[2:3], 2, v[14:15]
	v_mov_b32_e32 v4, s15
	v_add_co_u32_e32 v16, vcc, s14, v2
	v_addc_co_u32_e32 v17, vcc, v4, v3, vcc
	global_load_dword v2, v[16:17], off offset:1024
	v_or_b32_e32 v3, 0x200, v0
	v_cmp_gt_u32_e32 vcc, s33, v3
	v_mov_b32_e32 v19, v15
	v_mov_b32_e32 v18, v15
	;; [unrolled: 1-line block ×13, first 2 shown]
	s_and_saveexec_b64 s[16:17], vcc
	s_cbranch_execz .LBB170_81
; %bb.54:
	global_load_dword v15, v[16:17], off offset:2048
	v_or_b32_e32 v3, 0x300, v0
	v_cmp_gt_u32_e32 vcc, s33, v3
	v_mov_b32_e32 v19, 0
	v_mov_b32_e32 v18, 0
	;; [unrolled: 1-line block ×13, first 2 shown]
	s_and_saveexec_b64 s[18:19], vcc
	s_cbranch_execz .LBB170_80
; %bb.55:
	global_load_dword v19, v[16:17], off offset:3072
	v_or_b32_e32 v3, 0x400, v0
	v_cmp_gt_u32_e32 vcc, s33, v3
	v_mov_b32_e32 v18, 0
	v_mov_b32_e32 v14, 0
	;; [unrolled: 1-line block ×12, first 2 shown]
	s_and_saveexec_b64 s[20:21], vcc
	s_cbranch_execz .LBB170_79
; %bb.56:
	v_or_b32_e32 v13, s6, v3
	v_mov_b32_e32 v14, 0
	v_lshlrev_b64 v[3:4], 2, v[13:14]
	v_mov_b32_e32 v5, s15
	v_add_co_u32_e32 v3, vcc, s14, v3
	v_addc_co_u32_e32 v4, vcc, v5, v4, vcc
	global_load_dword v18, v[3:4], off
	v_or_b32_e32 v3, 0x500, v0
	v_cmp_gt_u32_e32 vcc, s33, v3
	v_mov_b32_e32 v13, v14
	v_mov_b32_e32 v12, v14
	;; [unrolled: 1-line block ×10, first 2 shown]
	s_and_saveexec_b64 s[22:23], vcc
	s_cbranch_execz .LBB170_78
; %bb.57:
	v_or_b32_e32 v12, s6, v3
	v_mov_b32_e32 v13, 0
	v_lshlrev_b64 v[3:4], 2, v[12:13]
	v_mov_b32_e32 v5, s15
	v_add_co_u32_e32 v3, vcc, s14, v3
	v_addc_co_u32_e32 v4, vcc, v5, v4, vcc
	global_load_dword v14, v[3:4], off
	v_or_b32_e32 v3, 0x600, v0
	v_cmp_gt_u32_e32 vcc, s33, v3
	v_mov_b32_e32 v12, v13
	v_mov_b32_e32 v11, v13
	;; [unrolled: 1-line block ×9, first 2 shown]
	s_and_saveexec_b64 s[24:25], vcc
	s_cbranch_execz .LBB170_77
; %bb.58:
	v_or_b32_e32 v11, s6, v3
	v_mov_b32_e32 v12, 0
	v_lshlrev_b64 v[3:4], 2, v[11:12]
	v_mov_b32_e32 v5, s15
	v_add_co_u32_e32 v3, vcc, s14, v3
	v_addc_co_u32_e32 v4, vcc, v5, v4, vcc
	global_load_dword v13, v[3:4], off
	v_or_b32_e32 v3, 0x700, v0
	v_cmp_gt_u32_e32 vcc, s33, v3
	v_mov_b32_e32 v11, v12
	v_mov_b32_e32 v10, v12
	;; [unrolled: 1-line block ×8, first 2 shown]
	s_and_saveexec_b64 s[26:27], vcc
	s_cbranch_execz .LBB170_76
; %bb.59:
	v_or_b32_e32 v10, s6, v3
	v_mov_b32_e32 v11, 0
	v_lshlrev_b64 v[3:4], 2, v[10:11]
	v_mov_b32_e32 v5, s15
	v_add_co_u32_e32 v3, vcc, s14, v3
	v_addc_co_u32_e32 v4, vcc, v5, v4, vcc
	global_load_dword v12, v[3:4], off
	v_or_b32_e32 v3, 0x800, v0
	v_cmp_gt_u32_e32 vcc, s33, v3
	v_mov_b32_e32 v10, v11
	v_mov_b32_e32 v9, v11
	v_mov_b32_e32 v8, v11
	v_mov_b32_e32 v7, v11
	v_mov_b32_e32 v6, v11
	v_mov_b32_e32 v5, v11
	v_mov_b32_e32 v4, v11
	s_and_saveexec_b64 s[28:29], vcc
	s_cbranch_execz .LBB170_75
; %bb.60:
	v_or_b32_e32 v9, s6, v3
	v_mov_b32_e32 v10, 0
	v_lshlrev_b64 v[3:4], 2, v[9:10]
	v_mov_b32_e32 v5, s15
	v_add_co_u32_e32 v3, vcc, s14, v3
	v_addc_co_u32_e32 v4, vcc, v5, v4, vcc
	global_load_dword v11, v[3:4], off
	v_or_b32_e32 v3, 0x900, v0
	v_cmp_gt_u32_e32 vcc, s33, v3
	v_mov_b32_e32 v9, v10
	v_mov_b32_e32 v8, v10
	;; [unrolled: 1-line block ×6, first 2 shown]
	s_and_saveexec_b64 s[30:31], vcc
	s_cbranch_execz .LBB170_74
; %bb.61:
	v_or_b32_e32 v8, s6, v3
	v_mov_b32_e32 v9, 0
	v_lshlrev_b64 v[3:4], 2, v[8:9]
	v_mov_b32_e32 v5, s15
	v_add_co_u32_e32 v3, vcc, s14, v3
	v_addc_co_u32_e32 v4, vcc, v5, v4, vcc
	global_load_dword v10, v[3:4], off
	v_or_b32_e32 v3, 0xa00, v0
	v_cmp_gt_u32_e32 vcc, s33, v3
	v_mov_b32_e32 v8, v9
	v_mov_b32_e32 v7, v9
	;; [unrolled: 1-line block ×5, first 2 shown]
	s_and_saveexec_b64 s[34:35], vcc
	s_cbranch_execz .LBB170_73
; %bb.62:
	v_or_b32_e32 v7, s6, v3
	v_mov_b32_e32 v8, 0
	v_lshlrev_b64 v[3:4], 2, v[7:8]
	v_mov_b32_e32 v5, s15
	v_add_co_u32_e32 v3, vcc, s14, v3
	v_addc_co_u32_e32 v4, vcc, v5, v4, vcc
	global_load_dword v9, v[3:4], off
	v_or_b32_e32 v3, 0xb00, v0
	v_cmp_gt_u32_e32 vcc, s33, v3
	v_mov_b32_e32 v7, v8
	v_mov_b32_e32 v6, v8
	;; [unrolled: 1-line block ×4, first 2 shown]
	s_and_saveexec_b64 s[36:37], vcc
	s_cbranch_execz .LBB170_72
; %bb.63:
	v_or_b32_e32 v6, s6, v3
	v_mov_b32_e32 v7, 0
	v_lshlrev_b64 v[3:4], 2, v[6:7]
	v_mov_b32_e32 v5, s15
	v_add_co_u32_e32 v3, vcc, s14, v3
	v_addc_co_u32_e32 v4, vcc, v5, v4, vcc
	global_load_dword v8, v[3:4], off
	v_or_b32_e32 v3, 0xc00, v0
	v_cmp_gt_u32_e32 vcc, s33, v3
	v_mov_b32_e32 v6, v7
	v_mov_b32_e32 v5, v7
	;; [unrolled: 1-line block ×3, first 2 shown]
	s_and_saveexec_b64 s[38:39], vcc
	s_cbranch_execz .LBB170_71
; %bb.64:
	v_or_b32_e32 v5, s6, v3
	v_mov_b32_e32 v6, 0
	v_lshlrev_b64 v[3:4], 2, v[5:6]
	v_mov_b32_e32 v5, s15
	v_add_co_u32_e32 v3, vcc, s14, v3
	v_addc_co_u32_e32 v4, vcc, v5, v4, vcc
	global_load_dword v7, v[3:4], off
	v_or_b32_e32 v3, 0xd00, v0
	v_cmp_gt_u32_e32 vcc, s33, v3
	v_mov_b32_e32 v5, v6
	v_mov_b32_e32 v4, v6
	s_and_saveexec_b64 s[40:41], vcc
	s_cbranch_execz .LBB170_70
; %bb.65:
	v_add_u32_e32 v4, s6, v3
	v_mov_b32_e32 v5, 0
	v_lshlrev_b64 v[3:4], 2, v[4:5]
	v_mov_b32_e32 v6, s15
	v_add_co_u32_e32 v3, vcc, s14, v3
	v_addc_co_u32_e32 v4, vcc, v6, v4, vcc
	global_load_dword v6, v[3:4], off
	v_or_b32_e32 v3, 0xe00, v0
	v_cmp_gt_u32_e32 vcc, s33, v3
	v_mov_b32_e32 v4, v5
	s_and_saveexec_b64 s[42:43], vcc
	s_cbranch_execz .LBB170_69
; %bb.66:
	v_add_u32_e32 v3, s6, v3
	v_mov_b32_e32 v4, 0
	v_lshlrev_b64 v[16:17], 2, v[3:4]
	v_mov_b32_e32 v3, s15
	v_add_co_u32_e32 v16, vcc, s14, v16
	v_addc_co_u32_e32 v17, vcc, v3, v17, vcc
	global_load_dword v5, v[16:17], off
	v_or_b32_e32 v3, 0xf00, v0
	v_cmp_gt_u32_e32 vcc, s33, v3
	s_and_saveexec_b64 s[44:45], vcc
	s_cbranch_execz .LBB170_68
; %bb.67:
	v_add_u32_e32 v3, s6, v3
	v_mov_b32_e32 v4, 0
	v_lshlrev_b64 v[3:4], 2, v[3:4]
	v_mov_b32_e32 v16, s15
	v_add_co_u32_e32 v3, vcc, s14, v3
	v_addc_co_u32_e32 v4, vcc, v16, v4, vcc
	global_load_dword v4, v[3:4], off
.LBB170_68:
	s_or_b64 exec, exec, s[44:45]
.LBB170_69:
	s_or_b64 exec, exec, s[42:43]
.LBB170_70:
	s_or_b64 exec, exec, s[40:41]
.LBB170_71:
	s_or_b64 exec, exec, s[38:39]
.LBB170_72:
	s_or_b64 exec, exec, s[36:37]
.LBB170_73:
	s_or_b64 exec, exec, s[34:35]
.LBB170_74:
	s_or_b64 exec, exec, s[30:31]
.LBB170_75:
	s_or_b64 exec, exec, s[28:29]
.LBB170_76:
	s_or_b64 exec, exec, s[26:27]
.LBB170_77:
	s_or_b64 exec, exec, s[24:25]
.LBB170_78:
	s_or_b64 exec, exec, s[22:23]
.LBB170_79:
	s_or_b64 exec, exec, s[20:21]
.LBB170_80:
	s_or_b64 exec, exec, s[18:19]
.LBB170_81:
	s_or_b64 exec, exec, s[16:17]
.LBB170_82:
	s_or_b64 exec, exec, s[4:5]
.LBB170_83:
	s_or_b64 exec, exec, s[2:3]
	s_cmp_lg_u32 s9, 0
	s_cselect_b64 s[4:5], -1, 0
	s_lshl_b32 s7, s10, 16
	s_and_b32 s14, s10, 0xffff0000
                                        ; implicit-def: $vgpr3
	s_and_saveexec_b64 s[8:9], s[0:1]
	s_cbranch_execz .LBB170_88
; %bb.84:
	s_and_b64 vcc, exec, s[4:5]
	s_waitcnt vmcnt(0)
	v_lshlrev_b32_e32 v3, 16, v20
	s_cbranch_vccz .LBB170_212
; %bb.85:
	v_and_b32_e32 v16, 0xffff0000, v20
	v_cmp_neq_f32_e32 vcc, s7, v3
	v_cmp_neq_f32_e64 s[2:3], s14, v16
	s_or_b64 s[10:11], vcc, s[2:3]
	s_cbranch_execnz .LBB170_87
.LBB170_86:
	v_and_b32_e32 v16, 0xffff0000, v20
	v_cmp_eq_f32_e32 vcc, s7, v3
	v_cmp_eq_f32_e64 s[2:3], s14, v16
	s_and_b64 s[2:3], vcc, s[2:3]
	s_andn2_b64 s[10:11], s[10:11], exec
	s_and_b64 s[2:3], s[2:3], exec
	s_or_b64 s[10:11], s[10:11], s[2:3]
.LBB170_87:
	v_cndmask_b32_e64 v3, 0, 1, s[10:11]
.LBB170_88:
	s_or_b64 exec, exec, s[8:9]
	v_or_b32_e32 v16, 0x100, v0
	v_cndmask_b32_e64 v17, 0, 1, s[4:5]
	v_cmp_gt_i32_e32 vcc, s33, v16
	v_cmp_ne_u32_e64 s[2:3], 1, v17
                                        ; implicit-def: $vgpr17
	s_and_saveexec_b64 s[8:9], vcc
	s_cbranch_execz .LBB170_93
; %bb.89:
	s_and_b64 vcc, exec, s[2:3]
	s_waitcnt vmcnt(0)
	v_lshlrev_b32_e32 v17, 16, v2
	s_cbranch_vccnz .LBB170_213
; %bb.90:
	v_and_b32_e32 v20, 0xffff0000, v2
	v_cmp_neq_f32_e32 vcc, s7, v17
	v_cmp_neq_f32_e64 s[4:5], s14, v20
	s_or_b64 s[10:11], vcc, s[4:5]
	s_cbranch_execnz .LBB170_92
.LBB170_91:
	v_and_b32_e32 v2, 0xffff0000, v2
	v_cmp_eq_f32_e32 vcc, s7, v17
	v_cmp_eq_f32_e64 s[4:5], s14, v2
	s_and_b64 s[4:5], vcc, s[4:5]
	s_andn2_b64 s[10:11], s[10:11], exec
	s_and_b64 s[4:5], s[4:5], exec
	s_or_b64 s[10:11], s[10:11], s[4:5]
.LBB170_92:
	v_cndmask_b32_e64 v17, 0, 1, s[10:11]
.LBB170_93:
	s_or_b64 exec, exec, s[8:9]
	s_waitcnt vmcnt(0)
	v_or_b32_e32 v2, 0x200, v0
	v_cmp_gt_i32_e32 vcc, s33, v2
                                        ; implicit-def: $vgpr2
	s_and_saveexec_b64 s[8:9], vcc
	s_cbranch_execz .LBB170_98
; %bb.94:
	s_and_b64 vcc, exec, s[2:3]
	v_lshlrev_b32_e32 v2, 16, v15
	s_cbranch_vccnz .LBB170_214
; %bb.95:
	v_and_b32_e32 v20, 0xffff0000, v15
	v_cmp_neq_f32_e32 vcc, s7, v2
	v_cmp_neq_f32_e64 s[4:5], s14, v20
	s_or_b64 s[10:11], vcc, s[4:5]
	s_cbranch_execnz .LBB170_97
.LBB170_96:
	v_and_b32_e32 v15, 0xffff0000, v15
	v_cmp_eq_f32_e32 vcc, s7, v2
	v_cmp_eq_f32_e64 s[4:5], s14, v15
	s_and_b64 s[4:5], vcc, s[4:5]
	s_andn2_b64 s[10:11], s[10:11], exec
	s_and_b64 s[4:5], s[4:5], exec
	s_or_b64 s[10:11], s[10:11], s[4:5]
.LBB170_97:
	v_cndmask_b32_e64 v2, 0, 1, s[10:11]
.LBB170_98:
	s_or_b64 exec, exec, s[8:9]
	v_or_b32_e32 v15, 0x300, v0
	v_cmp_gt_i32_e32 vcc, s33, v15
                                        ; implicit-def: $vgpr15
	s_and_saveexec_b64 s[8:9], vcc
	s_cbranch_execz .LBB170_103
; %bb.99:
	s_and_b64 vcc, exec, s[2:3]
	v_lshlrev_b32_e32 v15, 16, v19
	s_cbranch_vccnz .LBB170_215
; %bb.100:
	v_and_b32_e32 v20, 0xffff0000, v19
	v_cmp_neq_f32_e32 vcc, s7, v15
	v_cmp_neq_f32_e64 s[4:5], s14, v20
	s_or_b64 s[10:11], vcc, s[4:5]
	s_cbranch_execnz .LBB170_102
.LBB170_101:
	v_and_b32_e32 v19, 0xffff0000, v19
	v_cmp_eq_f32_e32 vcc, s7, v15
	v_cmp_eq_f32_e64 s[4:5], s14, v19
	s_and_b64 s[4:5], vcc, s[4:5]
	s_andn2_b64 s[10:11], s[10:11], exec
	s_and_b64 s[4:5], s[4:5], exec
	s_or_b64 s[10:11], s[10:11], s[4:5]
.LBB170_102:
	v_cndmask_b32_e64 v15, 0, 1, s[10:11]
.LBB170_103:
	s_or_b64 exec, exec, s[8:9]
	v_or_b32_e32 v19, 0x400, v0
	v_cmp_gt_i32_e32 vcc, s33, v19
                                        ; implicit-def: $vgpr19
	s_and_saveexec_b64 s[8:9], vcc
	s_cbranch_execz .LBB170_108
; %bb.104:
	s_and_b64 vcc, exec, s[2:3]
	v_lshlrev_b32_e32 v19, 16, v18
	s_cbranch_vccnz .LBB170_216
; %bb.105:
	v_and_b32_e32 v20, 0xffff0000, v18
	v_cmp_neq_f32_e32 vcc, s7, v19
	v_cmp_neq_f32_e64 s[4:5], s14, v20
	s_or_b64 s[10:11], vcc, s[4:5]
	s_cbranch_execnz .LBB170_107
.LBB170_106:
	v_and_b32_e32 v18, 0xffff0000, v18
	v_cmp_eq_f32_e32 vcc, s7, v19
	v_cmp_eq_f32_e64 s[4:5], s14, v18
	s_and_b64 s[4:5], vcc, s[4:5]
	s_andn2_b64 s[10:11], s[10:11], exec
	s_and_b64 s[4:5], s[4:5], exec
	s_or_b64 s[10:11], s[10:11], s[4:5]
.LBB170_107:
	v_cndmask_b32_e64 v19, 0, 1, s[10:11]
.LBB170_108:
	s_or_b64 exec, exec, s[8:9]
	v_or_b32_e32 v18, 0x500, v0
	v_cmp_gt_i32_e32 vcc, s33, v18
                                        ; implicit-def: $vgpr18
	s_and_saveexec_b64 s[8:9], vcc
	s_cbranch_execz .LBB170_113
; %bb.109:
	s_and_b64 vcc, exec, s[2:3]
	v_lshlrev_b32_e32 v18, 16, v14
	s_cbranch_vccnz .LBB170_217
; %bb.110:
	v_and_b32_e32 v20, 0xffff0000, v14
	v_cmp_neq_f32_e32 vcc, s7, v18
	v_cmp_neq_f32_e64 s[4:5], s14, v20
	s_or_b64 s[10:11], vcc, s[4:5]
	s_cbranch_execnz .LBB170_112
.LBB170_111:
	v_and_b32_e32 v14, 0xffff0000, v14
	v_cmp_eq_f32_e32 vcc, s7, v18
	v_cmp_eq_f32_e64 s[4:5], s14, v14
	s_and_b64 s[4:5], vcc, s[4:5]
	s_andn2_b64 s[10:11], s[10:11], exec
	s_and_b64 s[4:5], s[4:5], exec
	s_or_b64 s[10:11], s[10:11], s[4:5]
.LBB170_112:
	v_cndmask_b32_e64 v18, 0, 1, s[10:11]
.LBB170_113:
	s_or_b64 exec, exec, s[8:9]
	v_or_b32_e32 v14, 0x600, v0
	v_cmp_gt_i32_e32 vcc, s33, v14
                                        ; implicit-def: $vgpr14
	s_and_saveexec_b64 s[8:9], vcc
	s_cbranch_execz .LBB170_118
; %bb.114:
	s_and_b64 vcc, exec, s[2:3]
	v_lshlrev_b32_e32 v14, 16, v13
	s_cbranch_vccnz .LBB170_218
; %bb.115:
	v_and_b32_e32 v20, 0xffff0000, v13
	v_cmp_neq_f32_e32 vcc, s7, v14
	v_cmp_neq_f32_e64 s[4:5], s14, v20
	s_or_b64 s[10:11], vcc, s[4:5]
	s_cbranch_execnz .LBB170_117
.LBB170_116:
	v_and_b32_e32 v13, 0xffff0000, v13
	v_cmp_eq_f32_e32 vcc, s7, v14
	v_cmp_eq_f32_e64 s[4:5], s14, v13
	s_and_b64 s[4:5], vcc, s[4:5]
	s_andn2_b64 s[10:11], s[10:11], exec
	s_and_b64 s[4:5], s[4:5], exec
	s_or_b64 s[10:11], s[10:11], s[4:5]
.LBB170_117:
	v_cndmask_b32_e64 v14, 0, 1, s[10:11]
.LBB170_118:
	s_or_b64 exec, exec, s[8:9]
	v_or_b32_e32 v13, 0x700, v0
	v_cmp_gt_i32_e32 vcc, s33, v13
                                        ; implicit-def: $vgpr13
	s_and_saveexec_b64 s[8:9], vcc
	s_cbranch_execz .LBB170_123
; %bb.119:
	s_and_b64 vcc, exec, s[2:3]
	v_lshlrev_b32_e32 v13, 16, v12
	s_cbranch_vccnz .LBB170_219
; %bb.120:
	v_and_b32_e32 v20, 0xffff0000, v12
	v_cmp_neq_f32_e32 vcc, s7, v13
	v_cmp_neq_f32_e64 s[4:5], s14, v20
	s_or_b64 s[10:11], vcc, s[4:5]
	s_cbranch_execnz .LBB170_122
.LBB170_121:
	v_and_b32_e32 v12, 0xffff0000, v12
	v_cmp_eq_f32_e32 vcc, s7, v13
	v_cmp_eq_f32_e64 s[4:5], s14, v12
	s_and_b64 s[4:5], vcc, s[4:5]
	s_andn2_b64 s[10:11], s[10:11], exec
	s_and_b64 s[4:5], s[4:5], exec
	s_or_b64 s[10:11], s[10:11], s[4:5]
.LBB170_122:
	v_cndmask_b32_e64 v13, 0, 1, s[10:11]
.LBB170_123:
	s_or_b64 exec, exec, s[8:9]
	v_or_b32_e32 v12, 0x800, v0
	v_cmp_gt_i32_e32 vcc, s33, v12
                                        ; implicit-def: $vgpr12
	s_and_saveexec_b64 s[8:9], vcc
	s_cbranch_execz .LBB170_128
; %bb.124:
	s_and_b64 vcc, exec, s[2:3]
	v_lshlrev_b32_e32 v12, 16, v11
	s_cbranch_vccnz .LBB170_220
; %bb.125:
	v_and_b32_e32 v20, 0xffff0000, v11
	v_cmp_neq_f32_e32 vcc, s7, v12
	v_cmp_neq_f32_e64 s[4:5], s14, v20
	s_or_b64 s[10:11], vcc, s[4:5]
	s_cbranch_execnz .LBB170_127
.LBB170_126:
	v_and_b32_e32 v11, 0xffff0000, v11
	v_cmp_eq_f32_e32 vcc, s7, v12
	v_cmp_eq_f32_e64 s[4:5], s14, v11
	s_and_b64 s[4:5], vcc, s[4:5]
	s_andn2_b64 s[10:11], s[10:11], exec
	s_and_b64 s[4:5], s[4:5], exec
	s_or_b64 s[10:11], s[10:11], s[4:5]
.LBB170_127:
	v_cndmask_b32_e64 v12, 0, 1, s[10:11]
.LBB170_128:
	s_or_b64 exec, exec, s[8:9]
	v_or_b32_e32 v11, 0x900, v0
	v_cmp_gt_i32_e32 vcc, s33, v11
                                        ; implicit-def: $vgpr11
	s_and_saveexec_b64 s[8:9], vcc
	s_cbranch_execz .LBB170_133
; %bb.129:
	s_and_b64 vcc, exec, s[2:3]
	v_lshlrev_b32_e32 v11, 16, v10
	s_cbranch_vccnz .LBB170_221
; %bb.130:
	v_and_b32_e32 v20, 0xffff0000, v10
	v_cmp_neq_f32_e32 vcc, s7, v11
	v_cmp_neq_f32_e64 s[4:5], s14, v20
	s_or_b64 s[10:11], vcc, s[4:5]
	s_cbranch_execnz .LBB170_132
.LBB170_131:
	v_and_b32_e32 v10, 0xffff0000, v10
	v_cmp_eq_f32_e32 vcc, s7, v11
	v_cmp_eq_f32_e64 s[4:5], s14, v10
	s_and_b64 s[4:5], vcc, s[4:5]
	s_andn2_b64 s[10:11], s[10:11], exec
	s_and_b64 s[4:5], s[4:5], exec
	s_or_b64 s[10:11], s[10:11], s[4:5]
.LBB170_132:
	v_cndmask_b32_e64 v11, 0, 1, s[10:11]
.LBB170_133:
	s_or_b64 exec, exec, s[8:9]
	v_or_b32_e32 v10, 0xa00, v0
	v_cmp_gt_i32_e32 vcc, s33, v10
                                        ; implicit-def: $vgpr10
	s_and_saveexec_b64 s[8:9], vcc
	s_cbranch_execz .LBB170_138
; %bb.134:
	s_and_b64 vcc, exec, s[2:3]
	v_lshlrev_b32_e32 v10, 16, v9
	s_cbranch_vccnz .LBB170_222
; %bb.135:
	v_and_b32_e32 v20, 0xffff0000, v9
	v_cmp_neq_f32_e32 vcc, s7, v10
	v_cmp_neq_f32_e64 s[4:5], s14, v20
	s_or_b64 s[10:11], vcc, s[4:5]
	s_cbranch_execnz .LBB170_137
.LBB170_136:
	v_and_b32_e32 v9, 0xffff0000, v9
	v_cmp_eq_f32_e32 vcc, s7, v10
	v_cmp_eq_f32_e64 s[4:5], s14, v9
	s_and_b64 s[4:5], vcc, s[4:5]
	s_andn2_b64 s[10:11], s[10:11], exec
	s_and_b64 s[4:5], s[4:5], exec
	s_or_b64 s[10:11], s[10:11], s[4:5]
.LBB170_137:
	v_cndmask_b32_e64 v10, 0, 1, s[10:11]
.LBB170_138:
	s_or_b64 exec, exec, s[8:9]
	v_or_b32_e32 v9, 0xb00, v0
	v_cmp_gt_i32_e32 vcc, s33, v9
                                        ; implicit-def: $vgpr9
	s_and_saveexec_b64 s[8:9], vcc
	s_cbranch_execz .LBB170_143
; %bb.139:
	s_and_b64 vcc, exec, s[2:3]
	v_lshlrev_b32_e32 v9, 16, v8
	s_cbranch_vccnz .LBB170_223
; %bb.140:
	v_and_b32_e32 v20, 0xffff0000, v8
	v_cmp_neq_f32_e32 vcc, s7, v9
	v_cmp_neq_f32_e64 s[4:5], s14, v20
	s_or_b64 s[10:11], vcc, s[4:5]
	s_cbranch_execnz .LBB170_142
.LBB170_141:
	v_and_b32_e32 v8, 0xffff0000, v8
	v_cmp_eq_f32_e32 vcc, s7, v9
	v_cmp_eq_f32_e64 s[4:5], s14, v8
	s_and_b64 s[4:5], vcc, s[4:5]
	s_andn2_b64 s[10:11], s[10:11], exec
	s_and_b64 s[4:5], s[4:5], exec
	s_or_b64 s[10:11], s[10:11], s[4:5]
.LBB170_142:
	v_cndmask_b32_e64 v9, 0, 1, s[10:11]
.LBB170_143:
	s_or_b64 exec, exec, s[8:9]
	v_or_b32_e32 v8, 0xc00, v0
	v_cmp_gt_i32_e32 vcc, s33, v8
                                        ; implicit-def: $vgpr8
	s_and_saveexec_b64 s[8:9], vcc
	s_cbranch_execz .LBB170_148
; %bb.144:
	s_and_b64 vcc, exec, s[2:3]
	v_lshlrev_b32_e32 v8, 16, v7
	s_cbranch_vccnz .LBB170_224
; %bb.145:
	v_and_b32_e32 v20, 0xffff0000, v7
	v_cmp_neq_f32_e32 vcc, s7, v8
	v_cmp_neq_f32_e64 s[4:5], s14, v20
	s_or_b64 s[10:11], vcc, s[4:5]
	s_cbranch_execnz .LBB170_147
.LBB170_146:
	v_and_b32_e32 v7, 0xffff0000, v7
	v_cmp_eq_f32_e32 vcc, s7, v8
	v_cmp_eq_f32_e64 s[4:5], s14, v7
	s_and_b64 s[4:5], vcc, s[4:5]
	s_andn2_b64 s[10:11], s[10:11], exec
	s_and_b64 s[4:5], s[4:5], exec
	s_or_b64 s[10:11], s[10:11], s[4:5]
.LBB170_147:
	v_cndmask_b32_e64 v8, 0, 1, s[10:11]
.LBB170_148:
	s_or_b64 exec, exec, s[8:9]
	v_or_b32_e32 v7, 0xd00, v0
	v_cmp_gt_i32_e32 vcc, s33, v7
                                        ; implicit-def: $vgpr7
	s_and_saveexec_b64 s[8:9], vcc
	s_cbranch_execz .LBB170_153
; %bb.149:
	s_and_b64 vcc, exec, s[2:3]
	v_lshlrev_b32_e32 v7, 16, v6
	s_cbranch_vccnz .LBB170_225
; %bb.150:
	v_and_b32_e32 v20, 0xffff0000, v6
	v_cmp_neq_f32_e32 vcc, s7, v7
	v_cmp_neq_f32_e64 s[4:5], s14, v20
	s_or_b64 s[10:11], vcc, s[4:5]
	s_cbranch_execnz .LBB170_152
.LBB170_151:
	v_and_b32_e32 v6, 0xffff0000, v6
	v_cmp_eq_f32_e32 vcc, s7, v7
	v_cmp_eq_f32_e64 s[4:5], s14, v6
	s_and_b64 s[4:5], vcc, s[4:5]
	s_andn2_b64 s[10:11], s[10:11], exec
	s_and_b64 s[4:5], s[4:5], exec
	s_or_b64 s[10:11], s[10:11], s[4:5]
.LBB170_152:
	v_cndmask_b32_e64 v7, 0, 1, s[10:11]
.LBB170_153:
	s_or_b64 exec, exec, s[8:9]
	v_or_b32_e32 v6, 0xe00, v0
	v_cmp_gt_i32_e32 vcc, s33, v6
                                        ; implicit-def: $vgpr6
	s_and_saveexec_b64 s[8:9], vcc
	s_cbranch_execz .LBB170_158
; %bb.154:
	s_and_b64 vcc, exec, s[2:3]
	v_lshlrev_b32_e32 v6, 16, v5
	s_cbranch_vccnz .LBB170_226
; %bb.155:
	v_and_b32_e32 v20, 0xffff0000, v5
	v_cmp_neq_f32_e32 vcc, s7, v6
	v_cmp_neq_f32_e64 s[4:5], s14, v20
	s_or_b64 s[10:11], vcc, s[4:5]
	s_cbranch_execnz .LBB170_157
.LBB170_156:
	v_and_b32_e32 v5, 0xffff0000, v5
	v_cmp_eq_f32_e32 vcc, s7, v6
	v_cmp_eq_f32_e64 s[4:5], s14, v5
	s_and_b64 s[4:5], vcc, s[4:5]
	s_andn2_b64 s[10:11], s[10:11], exec
	s_and_b64 s[4:5], s[4:5], exec
	s_or_b64 s[10:11], s[10:11], s[4:5]
.LBB170_157:
	v_cndmask_b32_e64 v6, 0, 1, s[10:11]
.LBB170_158:
	s_or_b64 exec, exec, s[8:9]
	v_or_b32_e32 v5, 0xf00, v0
	v_cmp_gt_i32_e32 vcc, s33, v5
                                        ; implicit-def: $vgpr5
	s_and_saveexec_b64 s[4:5], vcc
	s_cbranch_execz .LBB170_163
; %bb.159:
	s_and_b64 vcc, exec, s[2:3]
	v_lshlrev_b32_e32 v5, 16, v4
	s_cbranch_vccnz .LBB170_227
; %bb.160:
	v_and_b32_e32 v20, 0xffff0000, v4
	v_cmp_neq_f32_e32 vcc, s7, v5
	v_cmp_neq_f32_e64 s[2:3], s14, v20
	s_or_b64 s[8:9], vcc, s[2:3]
	s_cbranch_execnz .LBB170_162
.LBB170_161:
	v_and_b32_e32 v4, 0xffff0000, v4
	v_cmp_eq_f32_e32 vcc, s7, v5
	v_cmp_eq_f32_e64 s[2:3], s14, v4
	s_and_b64 s[2:3], vcc, s[2:3]
	s_andn2_b64 s[8:9], s[8:9], exec
	s_and_b64 s[2:3], s[2:3], exec
	s_or_b64 s[8:9], s[8:9], s[2:3]
.LBB170_162:
	v_cndmask_b32_e64 v5, 0, 1, s[8:9]
.LBB170_163:
	s_or_b64 exec, exec, s[4:5]
	s_and_saveexec_b64 s[2:3], s[0:1]
	s_xor_b64 s[0:1], exec, s[2:3]
	s_cbranch_execz .LBB170_165
; %bb.164:
	v_mov_b32_e32 v0, v16
	global_store_byte v1, v3, s[12:13]
.LBB170_165:
	s_or_b64 exec, exec, s[0:1]
	v_cmp_gt_i32_e32 vcc, s33, v0
	s_and_saveexec_b64 s[0:1], vcc
	s_cbranch_execnz .LBB170_181
; %bb.166:
	s_or_b64 exec, exec, s[0:1]
	v_cmp_gt_i32_e32 vcc, s33, v0
	s_and_saveexec_b64 s[0:1], vcc
	s_cbranch_execnz .LBB170_182
.LBB170_167:
	s_or_b64 exec, exec, s[0:1]
	v_cmp_gt_i32_e32 vcc, s33, v0
	s_and_saveexec_b64 s[0:1], vcc
	s_cbranch_execnz .LBB170_183
.LBB170_168:
	s_or_b64 exec, exec, s[0:1]
	v_cmp_gt_i32_e32 vcc, s33, v0
	s_and_saveexec_b64 s[0:1], vcc
	s_cbranch_execnz .LBB170_184
.LBB170_169:
	s_or_b64 exec, exec, s[0:1]
	v_cmp_gt_i32_e32 vcc, s33, v0
	s_and_saveexec_b64 s[0:1], vcc
	s_cbranch_execnz .LBB170_185
.LBB170_170:
	s_or_b64 exec, exec, s[0:1]
	v_cmp_gt_i32_e32 vcc, s33, v0
	s_and_saveexec_b64 s[0:1], vcc
	s_cbranch_execnz .LBB170_186
.LBB170_171:
	s_or_b64 exec, exec, s[0:1]
	v_cmp_gt_i32_e32 vcc, s33, v0
	s_and_saveexec_b64 s[0:1], vcc
	s_cbranch_execnz .LBB170_187
.LBB170_172:
	s_or_b64 exec, exec, s[0:1]
	v_cmp_gt_i32_e32 vcc, s33, v0
	s_and_saveexec_b64 s[0:1], vcc
	s_cbranch_execnz .LBB170_188
.LBB170_173:
	s_or_b64 exec, exec, s[0:1]
	v_cmp_gt_i32_e32 vcc, s33, v0
	s_and_saveexec_b64 s[0:1], vcc
	s_cbranch_execnz .LBB170_189
.LBB170_174:
	s_or_b64 exec, exec, s[0:1]
	v_cmp_gt_i32_e32 vcc, s33, v0
	s_and_saveexec_b64 s[0:1], vcc
	s_cbranch_execnz .LBB170_190
.LBB170_175:
	s_or_b64 exec, exec, s[0:1]
	v_cmp_gt_i32_e32 vcc, s33, v0
	s_and_saveexec_b64 s[0:1], vcc
	s_cbranch_execnz .LBB170_191
.LBB170_176:
	s_or_b64 exec, exec, s[0:1]
	v_cmp_gt_i32_e32 vcc, s33, v0
	s_and_saveexec_b64 s[0:1], vcc
	s_cbranch_execnz .LBB170_192
.LBB170_177:
	s_or_b64 exec, exec, s[0:1]
	v_cmp_gt_i32_e32 vcc, s33, v0
	s_and_saveexec_b64 s[0:1], vcc
	s_cbranch_execnz .LBB170_193
.LBB170_178:
	s_or_b64 exec, exec, s[0:1]
	v_cmp_gt_i32_e32 vcc, s33, v0
	s_and_saveexec_b64 s[0:1], vcc
	s_cbranch_execnz .LBB170_194
.LBB170_179:
	s_or_b64 exec, exec, s[0:1]
	v_cmp_gt_i32_e32 vcc, s33, v0
	s_and_saveexec_b64 s[0:1], vcc
	s_cbranch_execz .LBB170_195
.LBB170_180:
	v_add_u32_e32 v0, s6, v0
	global_store_byte v0, v5, s[12:13]
	s_endpgm
.LBB170_181:
	v_add_u32_e32 v1, s6, v0
	v_add_u32_e32 v0, 0x100, v0
	global_store_byte v1, v17, s[12:13]
	s_or_b64 exec, exec, s[0:1]
	v_cmp_gt_i32_e32 vcc, s33, v0
	s_and_saveexec_b64 s[0:1], vcc
	s_cbranch_execz .LBB170_167
.LBB170_182:
	v_add_u32_e32 v1, s6, v0
	v_add_u32_e32 v0, 0x100, v0
	global_store_byte v1, v2, s[12:13]
	s_or_b64 exec, exec, s[0:1]
	v_cmp_gt_i32_e32 vcc, s33, v0
	s_and_saveexec_b64 s[0:1], vcc
	s_cbranch_execz .LBB170_168
.LBB170_183:
	v_add_u32_e32 v1, s6, v0
	v_add_u32_e32 v0, 0x100, v0
	global_store_byte v1, v15, s[12:13]
	s_or_b64 exec, exec, s[0:1]
	v_cmp_gt_i32_e32 vcc, s33, v0
	s_and_saveexec_b64 s[0:1], vcc
	s_cbranch_execz .LBB170_169
.LBB170_184:
	v_add_u32_e32 v1, s6, v0
	v_add_u32_e32 v0, 0x100, v0
	global_store_byte v1, v19, s[12:13]
	s_or_b64 exec, exec, s[0:1]
	v_cmp_gt_i32_e32 vcc, s33, v0
	s_and_saveexec_b64 s[0:1], vcc
	s_cbranch_execz .LBB170_170
.LBB170_185:
	v_add_u32_e32 v1, s6, v0
	v_add_u32_e32 v0, 0x100, v0
	global_store_byte v1, v18, s[12:13]
	s_or_b64 exec, exec, s[0:1]
	v_cmp_gt_i32_e32 vcc, s33, v0
	s_and_saveexec_b64 s[0:1], vcc
	s_cbranch_execz .LBB170_171
.LBB170_186:
	v_add_u32_e32 v1, s6, v0
	v_add_u32_e32 v0, 0x100, v0
	global_store_byte v1, v14, s[12:13]
	s_or_b64 exec, exec, s[0:1]
	v_cmp_gt_i32_e32 vcc, s33, v0
	s_and_saveexec_b64 s[0:1], vcc
	s_cbranch_execz .LBB170_172
.LBB170_187:
	v_add_u32_e32 v1, s6, v0
	v_add_u32_e32 v0, 0x100, v0
	global_store_byte v1, v13, s[12:13]
	s_or_b64 exec, exec, s[0:1]
	v_cmp_gt_i32_e32 vcc, s33, v0
	s_and_saveexec_b64 s[0:1], vcc
	s_cbranch_execz .LBB170_173
.LBB170_188:
	v_add_u32_e32 v1, s6, v0
	v_add_u32_e32 v0, 0x100, v0
	global_store_byte v1, v12, s[12:13]
	s_or_b64 exec, exec, s[0:1]
	v_cmp_gt_i32_e32 vcc, s33, v0
	s_and_saveexec_b64 s[0:1], vcc
	s_cbranch_execz .LBB170_174
.LBB170_189:
	v_add_u32_e32 v1, s6, v0
	v_add_u32_e32 v0, 0x100, v0
	global_store_byte v1, v11, s[12:13]
	s_or_b64 exec, exec, s[0:1]
	v_cmp_gt_i32_e32 vcc, s33, v0
	s_and_saveexec_b64 s[0:1], vcc
	s_cbranch_execz .LBB170_175
.LBB170_190:
	v_add_u32_e32 v1, s6, v0
	v_add_u32_e32 v0, 0x100, v0
	global_store_byte v1, v10, s[12:13]
	s_or_b64 exec, exec, s[0:1]
	v_cmp_gt_i32_e32 vcc, s33, v0
	s_and_saveexec_b64 s[0:1], vcc
	s_cbranch_execz .LBB170_176
.LBB170_191:
	v_add_u32_e32 v1, s6, v0
	v_add_u32_e32 v0, 0x100, v0
	global_store_byte v1, v9, s[12:13]
	s_or_b64 exec, exec, s[0:1]
	v_cmp_gt_i32_e32 vcc, s33, v0
	s_and_saveexec_b64 s[0:1], vcc
	s_cbranch_execz .LBB170_177
.LBB170_192:
	v_add_u32_e32 v1, s6, v0
	v_add_u32_e32 v0, 0x100, v0
	global_store_byte v1, v8, s[12:13]
	s_or_b64 exec, exec, s[0:1]
	v_cmp_gt_i32_e32 vcc, s33, v0
	s_and_saveexec_b64 s[0:1], vcc
	s_cbranch_execz .LBB170_178
.LBB170_193:
	v_add_u32_e32 v1, s6, v0
	v_add_u32_e32 v0, 0x100, v0
	global_store_byte v1, v7, s[12:13]
	s_or_b64 exec, exec, s[0:1]
	v_cmp_gt_i32_e32 vcc, s33, v0
	s_and_saveexec_b64 s[0:1], vcc
	s_cbranch_execz .LBB170_179
.LBB170_194:
	v_add_u32_e32 v1, s6, v0
	v_add_u32_e32 v0, 0x100, v0
	global_store_byte v1, v6, s[12:13]
	s_or_b64 exec, exec, s[0:1]
	v_cmp_gt_i32_e32 vcc, s33, v0
	s_and_saveexec_b64 s[0:1], vcc
	s_cbranch_execnz .LBB170_180
.LBB170_195:
	s_endpgm
.LBB170_196:
                                        ; implicit-def: $sgpr4_sgpr5
	s_branch .LBB170_3
.LBB170_197:
                                        ; implicit-def: $sgpr16_sgpr17
	s_branch .LBB170_6
.LBB170_198:
                                        ; implicit-def: $sgpr18_sgpr19
	s_branch .LBB170_9
.LBB170_199:
                                        ; implicit-def: $sgpr20_sgpr21
	s_branch .LBB170_12
.LBB170_200:
                                        ; implicit-def: $sgpr22_sgpr23
	s_branch .LBB170_15
.LBB170_201:
                                        ; implicit-def: $sgpr24_sgpr25
	s_branch .LBB170_18
.LBB170_202:
                                        ; implicit-def: $sgpr26_sgpr27
	s_branch .LBB170_21
.LBB170_203:
                                        ; implicit-def: $sgpr28_sgpr29
	s_branch .LBB170_24
.LBB170_204:
                                        ; implicit-def: $sgpr30_sgpr31
	s_branch .LBB170_27
.LBB170_205:
                                        ; implicit-def: $sgpr34_sgpr35
	s_branch .LBB170_30
.LBB170_206:
                                        ; implicit-def: $sgpr36_sgpr37
	s_branch .LBB170_33
.LBB170_207:
                                        ; implicit-def: $sgpr38_sgpr39
	s_branch .LBB170_36
.LBB170_208:
                                        ; implicit-def: $sgpr40_sgpr41
	s_branch .LBB170_39
.LBB170_209:
                                        ; implicit-def: $sgpr42_sgpr43
	s_branch .LBB170_42
.LBB170_210:
                                        ; implicit-def: $sgpr44_sgpr45
	s_branch .LBB170_45
.LBB170_211:
                                        ; implicit-def: $sgpr2_sgpr3
	s_branch .LBB170_48
.LBB170_212:
                                        ; implicit-def: $sgpr10_sgpr11
	s_branch .LBB170_86
.LBB170_213:
                                        ; implicit-def: $sgpr10_sgpr11
	s_branch .LBB170_91
.LBB170_214:
                                        ; implicit-def: $sgpr10_sgpr11
	s_branch .LBB170_96
.LBB170_215:
                                        ; implicit-def: $sgpr10_sgpr11
	s_branch .LBB170_101
.LBB170_216:
                                        ; implicit-def: $sgpr10_sgpr11
	s_branch .LBB170_106
.LBB170_217:
                                        ; implicit-def: $sgpr10_sgpr11
	s_branch .LBB170_111
.LBB170_218:
                                        ; implicit-def: $sgpr10_sgpr11
	s_branch .LBB170_116
.LBB170_219:
                                        ; implicit-def: $sgpr10_sgpr11
	s_branch .LBB170_121
.LBB170_220:
                                        ; implicit-def: $sgpr10_sgpr11
	s_branch .LBB170_126
.LBB170_221:
                                        ; implicit-def: $sgpr10_sgpr11
	s_branch .LBB170_131
.LBB170_222:
                                        ; implicit-def: $sgpr10_sgpr11
	s_branch .LBB170_136
.LBB170_223:
                                        ; implicit-def: $sgpr10_sgpr11
	s_branch .LBB170_141
.LBB170_224:
                                        ; implicit-def: $sgpr10_sgpr11
	s_branch .LBB170_146
.LBB170_225:
                                        ; implicit-def: $sgpr10_sgpr11
	s_branch .LBB170_151
.LBB170_226:
                                        ; implicit-def: $sgpr10_sgpr11
	s_branch .LBB170_156
.LBB170_227:
                                        ; implicit-def: $sgpr8_sgpr9
	s_branch .LBB170_161
	.section	.rodata,"a",@progbits
	.p2align	6, 0x0
	.amdhsa_kernel _ZN2at6native29vectorized_elementwise_kernelILi4ENS0_13AUnaryFunctorIN3c107complexINS3_8BFloat16EEES6_bNS0_12_GLOBAL__N_116CompareEqFunctorIS6_EEEESt5arrayIPcLm2EEEEviT0_T1_
		.amdhsa_group_segment_fixed_size 0
		.amdhsa_private_segment_fixed_size 0
		.amdhsa_kernarg_size 32
		.amdhsa_user_sgpr_count 6
		.amdhsa_user_sgpr_private_segment_buffer 1
		.amdhsa_user_sgpr_dispatch_ptr 0
		.amdhsa_user_sgpr_queue_ptr 0
		.amdhsa_user_sgpr_kernarg_segment_ptr 1
		.amdhsa_user_sgpr_dispatch_id 0
		.amdhsa_user_sgpr_flat_scratch_init 0
		.amdhsa_user_sgpr_private_segment_size 0
		.amdhsa_uses_dynamic_stack 0
		.amdhsa_system_sgpr_private_segment_wavefront_offset 0
		.amdhsa_system_sgpr_workgroup_id_x 1
		.amdhsa_system_sgpr_workgroup_id_y 0
		.amdhsa_system_sgpr_workgroup_id_z 0
		.amdhsa_system_sgpr_workgroup_info 0
		.amdhsa_system_vgpr_workitem_id 0
		.amdhsa_next_free_vgpr 21
		.amdhsa_next_free_sgpr 46
		.amdhsa_reserve_vcc 1
		.amdhsa_reserve_flat_scratch 0
		.amdhsa_float_round_mode_32 0
		.amdhsa_float_round_mode_16_64 0
		.amdhsa_float_denorm_mode_32 3
		.amdhsa_float_denorm_mode_16_64 3
		.amdhsa_dx10_clamp 1
		.amdhsa_ieee_mode 1
		.amdhsa_fp16_overflow 0
		.amdhsa_exception_fp_ieee_invalid_op 0
		.amdhsa_exception_fp_denorm_src 0
		.amdhsa_exception_fp_ieee_div_zero 0
		.amdhsa_exception_fp_ieee_overflow 0
		.amdhsa_exception_fp_ieee_underflow 0
		.amdhsa_exception_fp_ieee_inexact 0
		.amdhsa_exception_int_div_zero 0
	.end_amdhsa_kernel
	.section	.text._ZN2at6native29vectorized_elementwise_kernelILi4ENS0_13AUnaryFunctorIN3c107complexINS3_8BFloat16EEES6_bNS0_12_GLOBAL__N_116CompareEqFunctorIS6_EEEESt5arrayIPcLm2EEEEviT0_T1_,"axG",@progbits,_ZN2at6native29vectorized_elementwise_kernelILi4ENS0_13AUnaryFunctorIN3c107complexINS3_8BFloat16EEES6_bNS0_12_GLOBAL__N_116CompareEqFunctorIS6_EEEESt5arrayIPcLm2EEEEviT0_T1_,comdat
.Lfunc_end170:
	.size	_ZN2at6native29vectorized_elementwise_kernelILi4ENS0_13AUnaryFunctorIN3c107complexINS3_8BFloat16EEES6_bNS0_12_GLOBAL__N_116CompareEqFunctorIS6_EEEESt5arrayIPcLm2EEEEviT0_T1_, .Lfunc_end170-_ZN2at6native29vectorized_elementwise_kernelILi4ENS0_13AUnaryFunctorIN3c107complexINS3_8BFloat16EEES6_bNS0_12_GLOBAL__N_116CompareEqFunctorIS6_EEEESt5arrayIPcLm2EEEEviT0_T1_
                                        ; -- End function
	.set _ZN2at6native29vectorized_elementwise_kernelILi4ENS0_13AUnaryFunctorIN3c107complexINS3_8BFloat16EEES6_bNS0_12_GLOBAL__N_116CompareEqFunctorIS6_EEEESt5arrayIPcLm2EEEEviT0_T1_.num_vgpr, 21
	.set _ZN2at6native29vectorized_elementwise_kernelILi4ENS0_13AUnaryFunctorIN3c107complexINS3_8BFloat16EEES6_bNS0_12_GLOBAL__N_116CompareEqFunctorIS6_EEEESt5arrayIPcLm2EEEEviT0_T1_.num_agpr, 0
	.set _ZN2at6native29vectorized_elementwise_kernelILi4ENS0_13AUnaryFunctorIN3c107complexINS3_8BFloat16EEES6_bNS0_12_GLOBAL__N_116CompareEqFunctorIS6_EEEESt5arrayIPcLm2EEEEviT0_T1_.numbered_sgpr, 46
	.set _ZN2at6native29vectorized_elementwise_kernelILi4ENS0_13AUnaryFunctorIN3c107complexINS3_8BFloat16EEES6_bNS0_12_GLOBAL__N_116CompareEqFunctorIS6_EEEESt5arrayIPcLm2EEEEviT0_T1_.num_named_barrier, 0
	.set _ZN2at6native29vectorized_elementwise_kernelILi4ENS0_13AUnaryFunctorIN3c107complexINS3_8BFloat16EEES6_bNS0_12_GLOBAL__N_116CompareEqFunctorIS6_EEEESt5arrayIPcLm2EEEEviT0_T1_.private_seg_size, 0
	.set _ZN2at6native29vectorized_elementwise_kernelILi4ENS0_13AUnaryFunctorIN3c107complexINS3_8BFloat16EEES6_bNS0_12_GLOBAL__N_116CompareEqFunctorIS6_EEEESt5arrayIPcLm2EEEEviT0_T1_.uses_vcc, 1
	.set _ZN2at6native29vectorized_elementwise_kernelILi4ENS0_13AUnaryFunctorIN3c107complexINS3_8BFloat16EEES6_bNS0_12_GLOBAL__N_116CompareEqFunctorIS6_EEEESt5arrayIPcLm2EEEEviT0_T1_.uses_flat_scratch, 0
	.set _ZN2at6native29vectorized_elementwise_kernelILi4ENS0_13AUnaryFunctorIN3c107complexINS3_8BFloat16EEES6_bNS0_12_GLOBAL__N_116CompareEqFunctorIS6_EEEESt5arrayIPcLm2EEEEviT0_T1_.has_dyn_sized_stack, 0
	.set _ZN2at6native29vectorized_elementwise_kernelILi4ENS0_13AUnaryFunctorIN3c107complexINS3_8BFloat16EEES6_bNS0_12_GLOBAL__N_116CompareEqFunctorIS6_EEEESt5arrayIPcLm2EEEEviT0_T1_.has_recursion, 0
	.set _ZN2at6native29vectorized_elementwise_kernelILi4ENS0_13AUnaryFunctorIN3c107complexINS3_8BFloat16EEES6_bNS0_12_GLOBAL__N_116CompareEqFunctorIS6_EEEESt5arrayIPcLm2EEEEviT0_T1_.has_indirect_call, 0
	.section	.AMDGPU.csdata,"",@progbits
; Kernel info:
; codeLenInByte = 5728
; TotalNumSgprs: 50
; NumVgprs: 21
; ScratchSize: 0
; MemoryBound: 0
; FloatMode: 240
; IeeeMode: 1
; LDSByteSize: 0 bytes/workgroup (compile time only)
; SGPRBlocks: 6
; VGPRBlocks: 5
; NumSGPRsForWavesPerEU: 50
; NumVGPRsForWavesPerEU: 21
; Occupancy: 10
; WaveLimiterHint : 1
; COMPUTE_PGM_RSRC2:SCRATCH_EN: 0
; COMPUTE_PGM_RSRC2:USER_SGPR: 6
; COMPUTE_PGM_RSRC2:TRAP_HANDLER: 0
; COMPUTE_PGM_RSRC2:TGID_X_EN: 1
; COMPUTE_PGM_RSRC2:TGID_Y_EN: 0
; COMPUTE_PGM_RSRC2:TGID_Z_EN: 0
; COMPUTE_PGM_RSRC2:TIDIG_COMP_CNT: 0
	.section	.text._ZN2at6native29vectorized_elementwise_kernelILi2ENS0_13AUnaryFunctorIN3c107complexINS3_8BFloat16EEES6_bNS0_12_GLOBAL__N_116CompareEqFunctorIS6_EEEESt5arrayIPcLm2EEEEviT0_T1_,"axG",@progbits,_ZN2at6native29vectorized_elementwise_kernelILi2ENS0_13AUnaryFunctorIN3c107complexINS3_8BFloat16EEES6_bNS0_12_GLOBAL__N_116CompareEqFunctorIS6_EEEESt5arrayIPcLm2EEEEviT0_T1_,comdat
	.globl	_ZN2at6native29vectorized_elementwise_kernelILi2ENS0_13AUnaryFunctorIN3c107complexINS3_8BFloat16EEES6_bNS0_12_GLOBAL__N_116CompareEqFunctorIS6_EEEESt5arrayIPcLm2EEEEviT0_T1_ ; -- Begin function _ZN2at6native29vectorized_elementwise_kernelILi2ENS0_13AUnaryFunctorIN3c107complexINS3_8BFloat16EEES6_bNS0_12_GLOBAL__N_116CompareEqFunctorIS6_EEEESt5arrayIPcLm2EEEEviT0_T1_
	.p2align	8
	.type	_ZN2at6native29vectorized_elementwise_kernelILi2ENS0_13AUnaryFunctorIN3c107complexINS3_8BFloat16EEES6_bNS0_12_GLOBAL__N_116CompareEqFunctorIS6_EEEESt5arrayIPcLm2EEEEviT0_T1_,@function
_ZN2at6native29vectorized_elementwise_kernelILi2ENS0_13AUnaryFunctorIN3c107complexINS3_8BFloat16EEES6_bNS0_12_GLOBAL__N_116CompareEqFunctorIS6_EEEESt5arrayIPcLm2EEEEviT0_T1_: ; @_ZN2at6native29vectorized_elementwise_kernelILi2ENS0_13AUnaryFunctorIN3c107complexINS3_8BFloat16EEES6_bNS0_12_GLOBAL__N_116CompareEqFunctorIS6_EEEESt5arrayIPcLm2EEEEviT0_T1_
; %bb.0:
	s_load_dwordx8 s[8:15], s[4:5], 0x0
	s_lshl_b32 s6, s6, 12
	s_mov_b64 s[0:1], -1
	s_waitcnt lgkmcnt(0)
	s_sub_i32 s33, s8, s6
	s_cmpk_gt_i32 s33, 0xfff
	s_cbranch_scc0 .LBB171_50
; %bb.1:
	s_ashr_i32 s7, s6, 31
	s_lshl_b64 s[0:1], s[6:7], 2
	s_add_u32 s0, s14, s0
	s_addc_u32 s1, s15, s1
	v_lshlrev_b32_e32 v3, 3, v0
	v_mov_b32_e32 v1, s1
	v_add_co_u32_e32 v4, vcc, s0, v3
	v_addc_co_u32_e32 v5, vcc, 0, v1, vcc
	v_add_co_u32_e32 v1, vcc, 0x1000, v4
	v_addc_co_u32_e32 v2, vcc, 0, v5, vcc
	v_add_co_u32_e32 v17, vcc, 0x2000, v4
	v_addc_co_u32_e32 v18, vcc, 0, v5, vcc
	v_add_co_u32_e32 v19, vcc, 0x3000, v4
	global_load_dwordx2 v[15:16], v3, s[0:1]
	global_load_dwordx2 v[13:14], v3, s[0:1] offset:2048
	global_load_dwordx2 v[11:12], v[1:2], off
	global_load_dwordx2 v[9:10], v[1:2], off offset:2048
	v_addc_co_u32_e32 v20, vcc, 0, v5, vcc
	global_load_dwordx2 v[7:8], v[17:18], off
	global_load_dwordx2 v[5:6], v[17:18], off offset:2048
	global_load_dwordx2 v[3:4], v[19:20], off
	global_load_dwordx2 v[1:2], v[19:20], off offset:2048
	s_cmp_lg_u32 s9, 0
	s_cselect_b64 s[2:3], -1, 0
	s_lshl_b32 s8, s10, 16
	s_and_b32 s11, s10, 0xffff0000
	s_and_b64 vcc, exec, s[2:3]
	s_waitcnt vmcnt(7)
	v_lshlrev_b32_e32 v17, 16, v15
	s_cbranch_vccz .LBB171_196
; %bb.2:
	v_and_b32_e32 v18, 0xffff0000, v15
	v_cmp_neq_f32_e32 vcc, s8, v17
	v_cmp_neq_f32_e64 s[0:1], s11, v18
	s_or_b64 s[4:5], vcc, s[0:1]
	s_cbranch_execnz .LBB171_4
.LBB171_3:
	v_and_b32_e32 v15, 0xffff0000, v15
	v_cmp_eq_f32_e32 vcc, s8, v17
	v_cmp_eq_f32_e64 s[0:1], s11, v15
	s_and_b64 s[0:1], vcc, s[0:1]
	s_andn2_b64 s[4:5], s[4:5], exec
	s_and_b64 s[0:1], s[0:1], exec
	s_or_b64 s[4:5], s[4:5], s[0:1]
.LBB171_4:
	v_cndmask_b32_e64 v15, 0, 1, s[2:3]
	v_cmp_ne_u32_e64 s[0:1], 1, v15
	s_andn2_b64 vcc, exec, s[2:3]
	v_lshlrev_b32_e32 v15, 16, v16
	s_cbranch_vccnz .LBB171_197
; %bb.5:
	v_and_b32_e32 v17, 0xffff0000, v16
	v_cmp_neq_f32_e32 vcc, s8, v15
	v_cmp_neq_f32_e64 s[2:3], s11, v17
	s_or_b64 s[16:17], vcc, s[2:3]
	s_cbranch_execnz .LBB171_7
.LBB171_6:
	v_and_b32_e32 v16, 0xffff0000, v16
	v_cmp_eq_f32_e32 vcc, s8, v15
	v_cmp_eq_f32_e64 s[2:3], s11, v16
	s_and_b64 s[2:3], vcc, s[2:3]
	s_andn2_b64 s[16:17], s[16:17], exec
	s_and_b64 s[2:3], s[2:3], exec
	s_or_b64 s[16:17], s[16:17], s[2:3]
.LBB171_7:
	s_and_b64 vcc, exec, s[0:1]
	s_waitcnt vmcnt(6)
	v_lshlrev_b32_e32 v15, 16, v13
	s_cbranch_vccnz .LBB171_198
; %bb.8:
	v_and_b32_e32 v16, 0xffff0000, v13
	v_cmp_neq_f32_e32 vcc, s8, v15
	v_cmp_neq_f32_e64 s[2:3], s11, v16
	s_or_b64 s[18:19], vcc, s[2:3]
	s_cbranch_execnz .LBB171_10
.LBB171_9:
	v_and_b32_e32 v13, 0xffff0000, v13
	v_cmp_eq_f32_e32 vcc, s8, v15
	v_cmp_eq_f32_e64 s[2:3], s11, v13
	s_and_b64 s[2:3], vcc, s[2:3]
	s_andn2_b64 s[18:19], s[18:19], exec
	s_and_b64 s[2:3], s[2:3], exec
	s_or_b64 s[18:19], s[18:19], s[2:3]
.LBB171_10:
	s_and_b64 vcc, exec, s[0:1]
	v_lshlrev_b32_e32 v13, 16, v14
	s_cbranch_vccnz .LBB171_199
; %bb.11:
	v_and_b32_e32 v15, 0xffff0000, v14
	v_cmp_neq_f32_e32 vcc, s8, v13
	v_cmp_neq_f32_e64 s[2:3], s11, v15
	s_or_b64 s[20:21], vcc, s[2:3]
	s_cbranch_execnz .LBB171_13
.LBB171_12:
	v_and_b32_e32 v14, 0xffff0000, v14
	v_cmp_eq_f32_e32 vcc, s8, v13
	v_cmp_eq_f32_e64 s[2:3], s11, v14
	s_and_b64 s[2:3], vcc, s[2:3]
	s_andn2_b64 s[20:21], s[20:21], exec
	s_and_b64 s[2:3], s[2:3], exec
	s_or_b64 s[20:21], s[20:21], s[2:3]
.LBB171_13:
	s_and_b64 vcc, exec, s[0:1]
	s_waitcnt vmcnt(5)
	v_lshlrev_b32_e32 v13, 16, v11
	s_cbranch_vccnz .LBB171_200
; %bb.14:
	v_and_b32_e32 v14, 0xffff0000, v11
	v_cmp_neq_f32_e32 vcc, s8, v13
	v_cmp_neq_f32_e64 s[2:3], s11, v14
	s_or_b64 s[22:23], vcc, s[2:3]
	s_cbranch_execnz .LBB171_16
.LBB171_15:
	v_and_b32_e32 v11, 0xffff0000, v11
	v_cmp_eq_f32_e32 vcc, s8, v13
	v_cmp_eq_f32_e64 s[2:3], s11, v11
	s_and_b64 s[2:3], vcc, s[2:3]
	s_andn2_b64 s[22:23], s[22:23], exec
	s_and_b64 s[2:3], s[2:3], exec
	s_or_b64 s[22:23], s[22:23], s[2:3]
.LBB171_16:
	s_and_b64 vcc, exec, s[0:1]
	v_lshlrev_b32_e32 v11, 16, v12
	s_cbranch_vccnz .LBB171_201
; %bb.17:
	v_and_b32_e32 v13, 0xffff0000, v12
	v_cmp_neq_f32_e32 vcc, s8, v11
	v_cmp_neq_f32_e64 s[2:3], s11, v13
	s_or_b64 s[24:25], vcc, s[2:3]
	s_cbranch_execnz .LBB171_19
.LBB171_18:
	v_and_b32_e32 v12, 0xffff0000, v12
	v_cmp_eq_f32_e32 vcc, s8, v11
	v_cmp_eq_f32_e64 s[2:3], s11, v12
	s_and_b64 s[2:3], vcc, s[2:3]
	s_andn2_b64 s[24:25], s[24:25], exec
	s_and_b64 s[2:3], s[2:3], exec
	s_or_b64 s[24:25], s[24:25], s[2:3]
.LBB171_19:
	s_and_b64 vcc, exec, s[0:1]
	s_waitcnt vmcnt(4)
	v_lshlrev_b32_e32 v11, 16, v9
	s_cbranch_vccnz .LBB171_202
; %bb.20:
	v_and_b32_e32 v12, 0xffff0000, v9
	v_cmp_neq_f32_e32 vcc, s8, v11
	v_cmp_neq_f32_e64 s[2:3], s11, v12
	s_or_b64 s[26:27], vcc, s[2:3]
	s_cbranch_execnz .LBB171_22
.LBB171_21:
	v_and_b32_e32 v9, 0xffff0000, v9
	v_cmp_eq_f32_e32 vcc, s8, v11
	v_cmp_eq_f32_e64 s[2:3], s11, v9
	s_and_b64 s[2:3], vcc, s[2:3]
	s_andn2_b64 s[26:27], s[26:27], exec
	s_and_b64 s[2:3], s[2:3], exec
	s_or_b64 s[26:27], s[26:27], s[2:3]
.LBB171_22:
	s_and_b64 vcc, exec, s[0:1]
	v_lshlrev_b32_e32 v9, 16, v10
	s_cbranch_vccnz .LBB171_203
; %bb.23:
	v_and_b32_e32 v11, 0xffff0000, v10
	v_cmp_neq_f32_e32 vcc, s8, v9
	v_cmp_neq_f32_e64 s[2:3], s11, v11
	s_or_b64 s[28:29], vcc, s[2:3]
	s_cbranch_execnz .LBB171_25
.LBB171_24:
	v_and_b32_e32 v10, 0xffff0000, v10
	v_cmp_eq_f32_e32 vcc, s8, v9
	v_cmp_eq_f32_e64 s[2:3], s11, v10
	s_and_b64 s[2:3], vcc, s[2:3]
	s_andn2_b64 s[28:29], s[28:29], exec
	s_and_b64 s[2:3], s[2:3], exec
	s_or_b64 s[28:29], s[28:29], s[2:3]
.LBB171_25:
	s_and_b64 vcc, exec, s[0:1]
	s_waitcnt vmcnt(3)
	v_lshlrev_b32_e32 v9, 16, v7
	s_cbranch_vccnz .LBB171_204
; %bb.26:
	v_and_b32_e32 v10, 0xffff0000, v7
	v_cmp_neq_f32_e32 vcc, s8, v9
	v_cmp_neq_f32_e64 s[2:3], s11, v10
	s_or_b64 s[30:31], vcc, s[2:3]
	s_cbranch_execnz .LBB171_28
.LBB171_27:
	v_and_b32_e32 v7, 0xffff0000, v7
	v_cmp_eq_f32_e32 vcc, s8, v9
	v_cmp_eq_f32_e64 s[2:3], s11, v7
	s_and_b64 s[2:3], vcc, s[2:3]
	s_andn2_b64 s[30:31], s[30:31], exec
	s_and_b64 s[2:3], s[2:3], exec
	s_or_b64 s[30:31], s[30:31], s[2:3]
.LBB171_28:
	s_and_b64 vcc, exec, s[0:1]
	v_lshlrev_b32_e32 v7, 16, v8
	s_cbranch_vccnz .LBB171_205
; %bb.29:
	v_and_b32_e32 v9, 0xffff0000, v8
	v_cmp_neq_f32_e32 vcc, s8, v7
	v_cmp_neq_f32_e64 s[2:3], s11, v9
	s_or_b64 s[34:35], vcc, s[2:3]
	s_cbranch_execnz .LBB171_31
.LBB171_30:
	v_and_b32_e32 v8, 0xffff0000, v8
	v_cmp_eq_f32_e32 vcc, s8, v7
	v_cmp_eq_f32_e64 s[2:3], s11, v8
	s_and_b64 s[2:3], vcc, s[2:3]
	s_andn2_b64 s[34:35], s[34:35], exec
	s_and_b64 s[2:3], s[2:3], exec
	s_or_b64 s[34:35], s[34:35], s[2:3]
.LBB171_31:
	s_and_b64 vcc, exec, s[0:1]
	s_waitcnt vmcnt(2)
	v_lshlrev_b32_e32 v7, 16, v5
	s_cbranch_vccnz .LBB171_206
; %bb.32:
	v_and_b32_e32 v8, 0xffff0000, v5
	v_cmp_neq_f32_e32 vcc, s8, v7
	v_cmp_neq_f32_e64 s[2:3], s11, v8
	s_or_b64 s[36:37], vcc, s[2:3]
	s_cbranch_execnz .LBB171_34
.LBB171_33:
	v_and_b32_e32 v5, 0xffff0000, v5
	v_cmp_eq_f32_e32 vcc, s8, v7
	v_cmp_eq_f32_e64 s[2:3], s11, v5
	s_and_b64 s[2:3], vcc, s[2:3]
	s_andn2_b64 s[36:37], s[36:37], exec
	s_and_b64 s[2:3], s[2:3], exec
	s_or_b64 s[36:37], s[36:37], s[2:3]
.LBB171_34:
	s_and_b64 vcc, exec, s[0:1]
	v_lshlrev_b32_e32 v5, 16, v6
	s_cbranch_vccnz .LBB171_207
; %bb.35:
	v_and_b32_e32 v7, 0xffff0000, v6
	v_cmp_neq_f32_e32 vcc, s8, v5
	v_cmp_neq_f32_e64 s[2:3], s11, v7
	s_or_b64 s[38:39], vcc, s[2:3]
	s_cbranch_execnz .LBB171_37
.LBB171_36:
	v_and_b32_e32 v6, 0xffff0000, v6
	v_cmp_eq_f32_e32 vcc, s8, v5
	v_cmp_eq_f32_e64 s[2:3], s11, v6
	s_and_b64 s[2:3], vcc, s[2:3]
	s_andn2_b64 s[38:39], s[38:39], exec
	s_and_b64 s[2:3], s[2:3], exec
	s_or_b64 s[38:39], s[38:39], s[2:3]
.LBB171_37:
	s_and_b64 vcc, exec, s[0:1]
	s_waitcnt vmcnt(1)
	v_lshlrev_b32_e32 v5, 16, v3
	s_cbranch_vccnz .LBB171_208
; %bb.38:
	v_and_b32_e32 v6, 0xffff0000, v3
	v_cmp_neq_f32_e32 vcc, s8, v5
	v_cmp_neq_f32_e64 s[2:3], s11, v6
	s_or_b64 s[40:41], vcc, s[2:3]
	s_cbranch_execnz .LBB171_40
.LBB171_39:
	v_and_b32_e32 v3, 0xffff0000, v3
	v_cmp_eq_f32_e32 vcc, s8, v5
	v_cmp_eq_f32_e64 s[2:3], s11, v3
	s_and_b64 s[2:3], vcc, s[2:3]
	s_andn2_b64 s[40:41], s[40:41], exec
	s_and_b64 s[2:3], s[2:3], exec
	s_or_b64 s[40:41], s[40:41], s[2:3]
.LBB171_40:
	s_and_b64 vcc, exec, s[0:1]
	v_lshlrev_b32_e32 v3, 16, v4
	s_cbranch_vccnz .LBB171_209
; %bb.41:
	v_and_b32_e32 v5, 0xffff0000, v4
	v_cmp_neq_f32_e32 vcc, s8, v3
	v_cmp_neq_f32_e64 s[2:3], s11, v5
	s_or_b64 s[42:43], vcc, s[2:3]
	s_cbranch_execnz .LBB171_43
.LBB171_42:
	v_and_b32_e32 v4, 0xffff0000, v4
	v_cmp_eq_f32_e32 vcc, s8, v3
	v_cmp_eq_f32_e64 s[2:3], s11, v4
	s_and_b64 s[2:3], vcc, s[2:3]
	s_andn2_b64 s[42:43], s[42:43], exec
	s_and_b64 s[2:3], s[2:3], exec
	s_or_b64 s[42:43], s[42:43], s[2:3]
.LBB171_43:
	s_and_b64 vcc, exec, s[0:1]
	s_waitcnt vmcnt(0)
	v_lshlrev_b32_e32 v3, 16, v1
	s_cbranch_vccnz .LBB171_210
; %bb.44:
	v_and_b32_e32 v4, 0xffff0000, v1
	v_cmp_neq_f32_e32 vcc, s8, v3
	v_cmp_neq_f32_e64 s[2:3], s11, v4
	s_or_b64 s[44:45], vcc, s[2:3]
	s_cbranch_execnz .LBB171_46
.LBB171_45:
	v_and_b32_e32 v1, 0xffff0000, v1
	v_cmp_eq_f32_e32 vcc, s8, v3
	v_cmp_eq_f32_e64 s[2:3], s11, v1
	s_and_b64 s[2:3], vcc, s[2:3]
	s_andn2_b64 s[44:45], s[44:45], exec
	s_and_b64 s[2:3], s[2:3], exec
	s_or_b64 s[44:45], s[44:45], s[2:3]
.LBB171_46:
	s_and_b64 vcc, exec, s[0:1]
	v_lshlrev_b32_e32 v1, 16, v2
	s_cbranch_vccnz .LBB171_211
; %bb.47:
	v_and_b32_e32 v3, 0xffff0000, v2
	v_cmp_neq_f32_e32 vcc, s8, v1
	v_cmp_neq_f32_e64 s[0:1], s11, v3
	s_or_b64 s[2:3], vcc, s[0:1]
	s_cbranch_execnz .LBB171_49
.LBB171_48:
	v_and_b32_e32 v2, 0xffff0000, v2
	v_cmp_eq_f32_e32 vcc, s8, v1
	v_cmp_eq_f32_e64 s[0:1], s11, v2
	s_and_b64 s[0:1], vcc, s[0:1]
	s_andn2_b64 s[2:3], s[2:3], exec
	s_and_b64 s[0:1], s[0:1], exec
	s_or_b64 s[2:3], s[2:3], s[0:1]
.LBB171_49:
	v_mov_b32_e32 v3, 0x100
	v_cndmask_b32_e64 v2, 0, 1, s[40:41]
	v_cndmask_b32_e64 v4, 0, v3, s[42:43]
	v_or_b32_e32 v2, v4, v2
	v_cndmask_b32_e64 v4, 0, 1, s[36:37]
	v_cndmask_b32_e64 v5, 0, v3, s[38:39]
	v_or_b32_e32 v4, v5, v4
	;; [unrolled: 3-line block ×5, first 2 shown]
	v_cndmask_b32_e64 v8, 0, 1, s[18:19]
	v_cndmask_b32_e64 v9, 0, v3, s[20:21]
	;; [unrolled: 1-line block ×3, first 2 shown]
	v_or_b32_e32 v8, v9, v8
	v_cndmask_b32_e64 v9, 0, 1, s[4:5]
	v_cndmask_b32_e64 v10, 0, v3, s[16:17]
	;; [unrolled: 1-line block ×3, first 2 shown]
	s_add_u32 s0, s12, s6
	v_or_b32_e32 v9, v10, v9
	v_or_b32_e32 v1, v3, v1
	s_addc_u32 s1, s13, s7
	v_lshlrev_b32_e32 v3, 1, v0
	global_store_short v3, v9, s[0:1]
	global_store_short v3, v8, s[0:1] offset:512
	global_store_short v3, v7, s[0:1] offset:1024
	global_store_short v3, v6, s[0:1] offset:1536
	global_store_short v3, v5, s[0:1] offset:2048
	global_store_short v3, v4, s[0:1] offset:2560
	global_store_short v3, v2, s[0:1] offset:3072
	global_store_short v3, v1, s[0:1] offset:3584
	s_mov_b64 s[0:1], 0
.LBB171_50:
	s_and_b64 vcc, exec, s[0:1]
	s_cbranch_vccz .LBB171_195
; %bb.51:
	v_cmp_gt_i32_e64 s[0:1], s33, v0
	v_mov_b32_e32 v4, 0
	v_or_b32_e32 v1, s6, v0
	v_mov_b32_e32 v5, 0
	v_mov_b32_e32 v6, 0
	v_mov_b32_e32 v7, 0
	v_mov_b32_e32 v8, 0
	v_mov_b32_e32 v9, 0
	v_mov_b32_e32 v10, 0
	v_mov_b32_e32 v18, 0
	v_mov_b32_e32 v19, 0
	v_mov_b32_e32 v2, 0
	v_mov_b32_e32 v20, 0
	v_mov_b32_e32 v11, 0
	v_mov_b32_e32 v12, 0
	v_mov_b32_e32 v13, 0
	v_mov_b32_e32 v14, 0
	v_mov_b32_e32 v15, 0
	s_and_saveexec_b64 s[2:3], s[0:1]
	s_cbranch_execz .LBB171_83
; %bb.52:
	v_mov_b32_e32 v2, 0
	v_lshlrev_b64 v[3:4], 2, v[1:2]
	v_mov_b32_e32 v5, s15
	v_add_co_u32_e32 v3, vcc, s14, v3
	v_addc_co_u32_e32 v4, vcc, v5, v4, vcc
	global_load_dword v20, v[3:4], off
	v_or_b32_e32 v3, 0x100, v0
	v_cmp_gt_u32_e32 vcc, s33, v3
	v_mov_b32_e32 v15, v2
	v_mov_b32_e32 v19, v2
	;; [unrolled: 1-line block ×14, first 2 shown]
	s_and_saveexec_b64 s[4:5], vcc
	s_cbranch_execz .LBB171_82
; %bb.53:
	v_add_u32_e32 v14, s6, v0
	v_mov_b32_e32 v15, 0
	v_lshlrev_b64 v[2:3], 2, v[14:15]
	v_mov_b32_e32 v4, s15
	v_add_co_u32_e32 v16, vcc, s14, v2
	v_addc_co_u32_e32 v17, vcc, v4, v3, vcc
	global_load_dword v2, v[16:17], off offset:1024
	v_or_b32_e32 v3, 0x200, v0
	v_cmp_gt_u32_e32 vcc, s33, v3
	v_mov_b32_e32 v19, v15
	v_mov_b32_e32 v18, v15
	;; [unrolled: 1-line block ×13, first 2 shown]
	s_and_saveexec_b64 s[16:17], vcc
	s_cbranch_execz .LBB171_81
; %bb.54:
	global_load_dword v15, v[16:17], off offset:2048
	v_or_b32_e32 v3, 0x300, v0
	v_cmp_gt_u32_e32 vcc, s33, v3
	v_mov_b32_e32 v19, 0
	v_mov_b32_e32 v18, 0
	;; [unrolled: 1-line block ×13, first 2 shown]
	s_and_saveexec_b64 s[18:19], vcc
	s_cbranch_execz .LBB171_80
; %bb.55:
	global_load_dword v19, v[16:17], off offset:3072
	v_or_b32_e32 v3, 0x400, v0
	v_cmp_gt_u32_e32 vcc, s33, v3
	v_mov_b32_e32 v18, 0
	v_mov_b32_e32 v14, 0
	v_mov_b32_e32 v13, 0
	v_mov_b32_e32 v12, 0
	v_mov_b32_e32 v11, 0
	v_mov_b32_e32 v10, 0
	v_mov_b32_e32 v9, 0
	v_mov_b32_e32 v8, 0
	v_mov_b32_e32 v7, 0
	v_mov_b32_e32 v6, 0
	v_mov_b32_e32 v5, 0
	v_mov_b32_e32 v4, 0
	s_and_saveexec_b64 s[20:21], vcc
	s_cbranch_execz .LBB171_79
; %bb.56:
	v_or_b32_e32 v13, s6, v3
	v_mov_b32_e32 v14, 0
	v_lshlrev_b64 v[3:4], 2, v[13:14]
	v_mov_b32_e32 v5, s15
	v_add_co_u32_e32 v3, vcc, s14, v3
	v_addc_co_u32_e32 v4, vcc, v5, v4, vcc
	global_load_dword v18, v[3:4], off
	v_or_b32_e32 v3, 0x500, v0
	v_cmp_gt_u32_e32 vcc, s33, v3
	v_mov_b32_e32 v13, v14
	v_mov_b32_e32 v12, v14
	;; [unrolled: 1-line block ×10, first 2 shown]
	s_and_saveexec_b64 s[22:23], vcc
	s_cbranch_execz .LBB171_78
; %bb.57:
	v_or_b32_e32 v12, s6, v3
	v_mov_b32_e32 v13, 0
	v_lshlrev_b64 v[3:4], 2, v[12:13]
	v_mov_b32_e32 v5, s15
	v_add_co_u32_e32 v3, vcc, s14, v3
	v_addc_co_u32_e32 v4, vcc, v5, v4, vcc
	global_load_dword v14, v[3:4], off
	v_or_b32_e32 v3, 0x600, v0
	v_cmp_gt_u32_e32 vcc, s33, v3
	v_mov_b32_e32 v12, v13
	v_mov_b32_e32 v11, v13
	;; [unrolled: 1-line block ×9, first 2 shown]
	s_and_saveexec_b64 s[24:25], vcc
	s_cbranch_execz .LBB171_77
; %bb.58:
	v_or_b32_e32 v11, s6, v3
	v_mov_b32_e32 v12, 0
	v_lshlrev_b64 v[3:4], 2, v[11:12]
	v_mov_b32_e32 v5, s15
	v_add_co_u32_e32 v3, vcc, s14, v3
	v_addc_co_u32_e32 v4, vcc, v5, v4, vcc
	global_load_dword v13, v[3:4], off
	v_or_b32_e32 v3, 0x700, v0
	v_cmp_gt_u32_e32 vcc, s33, v3
	v_mov_b32_e32 v11, v12
	v_mov_b32_e32 v10, v12
	;; [unrolled: 1-line block ×8, first 2 shown]
	s_and_saveexec_b64 s[26:27], vcc
	s_cbranch_execz .LBB171_76
; %bb.59:
	v_or_b32_e32 v10, s6, v3
	v_mov_b32_e32 v11, 0
	v_lshlrev_b64 v[3:4], 2, v[10:11]
	v_mov_b32_e32 v5, s15
	v_add_co_u32_e32 v3, vcc, s14, v3
	v_addc_co_u32_e32 v4, vcc, v5, v4, vcc
	global_load_dword v12, v[3:4], off
	v_or_b32_e32 v3, 0x800, v0
	v_cmp_gt_u32_e32 vcc, s33, v3
	v_mov_b32_e32 v10, v11
	v_mov_b32_e32 v9, v11
	;; [unrolled: 1-line block ×7, first 2 shown]
	s_and_saveexec_b64 s[28:29], vcc
	s_cbranch_execz .LBB171_75
; %bb.60:
	v_or_b32_e32 v9, s6, v3
	v_mov_b32_e32 v10, 0
	v_lshlrev_b64 v[3:4], 2, v[9:10]
	v_mov_b32_e32 v5, s15
	v_add_co_u32_e32 v3, vcc, s14, v3
	v_addc_co_u32_e32 v4, vcc, v5, v4, vcc
	global_load_dword v11, v[3:4], off
	v_or_b32_e32 v3, 0x900, v0
	v_cmp_gt_u32_e32 vcc, s33, v3
	v_mov_b32_e32 v9, v10
	v_mov_b32_e32 v8, v10
	;; [unrolled: 1-line block ×6, first 2 shown]
	s_and_saveexec_b64 s[30:31], vcc
	s_cbranch_execz .LBB171_74
; %bb.61:
	v_or_b32_e32 v8, s6, v3
	v_mov_b32_e32 v9, 0
	v_lshlrev_b64 v[3:4], 2, v[8:9]
	v_mov_b32_e32 v5, s15
	v_add_co_u32_e32 v3, vcc, s14, v3
	v_addc_co_u32_e32 v4, vcc, v5, v4, vcc
	global_load_dword v10, v[3:4], off
	v_or_b32_e32 v3, 0xa00, v0
	v_cmp_gt_u32_e32 vcc, s33, v3
	v_mov_b32_e32 v8, v9
	v_mov_b32_e32 v7, v9
	;; [unrolled: 1-line block ×5, first 2 shown]
	s_and_saveexec_b64 s[34:35], vcc
	s_cbranch_execz .LBB171_73
; %bb.62:
	v_or_b32_e32 v7, s6, v3
	v_mov_b32_e32 v8, 0
	v_lshlrev_b64 v[3:4], 2, v[7:8]
	v_mov_b32_e32 v5, s15
	v_add_co_u32_e32 v3, vcc, s14, v3
	v_addc_co_u32_e32 v4, vcc, v5, v4, vcc
	global_load_dword v9, v[3:4], off
	v_or_b32_e32 v3, 0xb00, v0
	v_cmp_gt_u32_e32 vcc, s33, v3
	v_mov_b32_e32 v7, v8
	v_mov_b32_e32 v6, v8
	;; [unrolled: 1-line block ×4, first 2 shown]
	s_and_saveexec_b64 s[36:37], vcc
	s_cbranch_execz .LBB171_72
; %bb.63:
	v_or_b32_e32 v6, s6, v3
	v_mov_b32_e32 v7, 0
	v_lshlrev_b64 v[3:4], 2, v[6:7]
	v_mov_b32_e32 v5, s15
	v_add_co_u32_e32 v3, vcc, s14, v3
	v_addc_co_u32_e32 v4, vcc, v5, v4, vcc
	global_load_dword v8, v[3:4], off
	v_or_b32_e32 v3, 0xc00, v0
	v_cmp_gt_u32_e32 vcc, s33, v3
	v_mov_b32_e32 v6, v7
	v_mov_b32_e32 v5, v7
	;; [unrolled: 1-line block ×3, first 2 shown]
	s_and_saveexec_b64 s[38:39], vcc
	s_cbranch_execz .LBB171_71
; %bb.64:
	v_or_b32_e32 v5, s6, v3
	v_mov_b32_e32 v6, 0
	v_lshlrev_b64 v[3:4], 2, v[5:6]
	v_mov_b32_e32 v5, s15
	v_add_co_u32_e32 v3, vcc, s14, v3
	v_addc_co_u32_e32 v4, vcc, v5, v4, vcc
	global_load_dword v7, v[3:4], off
	v_or_b32_e32 v3, 0xd00, v0
	v_cmp_gt_u32_e32 vcc, s33, v3
	v_mov_b32_e32 v5, v6
	v_mov_b32_e32 v4, v6
	s_and_saveexec_b64 s[40:41], vcc
	s_cbranch_execz .LBB171_70
; %bb.65:
	v_add_u32_e32 v4, s6, v3
	v_mov_b32_e32 v5, 0
	v_lshlrev_b64 v[3:4], 2, v[4:5]
	v_mov_b32_e32 v6, s15
	v_add_co_u32_e32 v3, vcc, s14, v3
	v_addc_co_u32_e32 v4, vcc, v6, v4, vcc
	global_load_dword v6, v[3:4], off
	v_or_b32_e32 v3, 0xe00, v0
	v_cmp_gt_u32_e32 vcc, s33, v3
	v_mov_b32_e32 v4, v5
	s_and_saveexec_b64 s[42:43], vcc
	s_cbranch_execz .LBB171_69
; %bb.66:
	v_add_u32_e32 v3, s6, v3
	v_mov_b32_e32 v4, 0
	v_lshlrev_b64 v[16:17], 2, v[3:4]
	v_mov_b32_e32 v3, s15
	v_add_co_u32_e32 v16, vcc, s14, v16
	v_addc_co_u32_e32 v17, vcc, v3, v17, vcc
	global_load_dword v5, v[16:17], off
	v_or_b32_e32 v3, 0xf00, v0
	v_cmp_gt_u32_e32 vcc, s33, v3
	s_and_saveexec_b64 s[44:45], vcc
	s_cbranch_execz .LBB171_68
; %bb.67:
	v_add_u32_e32 v3, s6, v3
	v_mov_b32_e32 v4, 0
	v_lshlrev_b64 v[3:4], 2, v[3:4]
	v_mov_b32_e32 v16, s15
	v_add_co_u32_e32 v3, vcc, s14, v3
	v_addc_co_u32_e32 v4, vcc, v16, v4, vcc
	global_load_dword v4, v[3:4], off
.LBB171_68:
	s_or_b64 exec, exec, s[44:45]
.LBB171_69:
	s_or_b64 exec, exec, s[42:43]
.LBB171_70:
	s_or_b64 exec, exec, s[40:41]
.LBB171_71:
	s_or_b64 exec, exec, s[38:39]
.LBB171_72:
	s_or_b64 exec, exec, s[36:37]
.LBB171_73:
	s_or_b64 exec, exec, s[34:35]
.LBB171_74:
	s_or_b64 exec, exec, s[30:31]
.LBB171_75:
	s_or_b64 exec, exec, s[28:29]
.LBB171_76:
	s_or_b64 exec, exec, s[26:27]
.LBB171_77:
	s_or_b64 exec, exec, s[24:25]
.LBB171_78:
	s_or_b64 exec, exec, s[22:23]
.LBB171_79:
	s_or_b64 exec, exec, s[20:21]
.LBB171_80:
	s_or_b64 exec, exec, s[18:19]
.LBB171_81:
	s_or_b64 exec, exec, s[16:17]
.LBB171_82:
	s_or_b64 exec, exec, s[4:5]
.LBB171_83:
	s_or_b64 exec, exec, s[2:3]
	s_cmp_lg_u32 s9, 0
	s_cselect_b64 s[4:5], -1, 0
	s_lshl_b32 s7, s10, 16
	s_and_b32 s14, s10, 0xffff0000
                                        ; implicit-def: $vgpr3
	s_and_saveexec_b64 s[8:9], s[0:1]
	s_cbranch_execz .LBB171_88
; %bb.84:
	s_and_b64 vcc, exec, s[4:5]
	s_waitcnt vmcnt(0)
	v_lshlrev_b32_e32 v3, 16, v20
	s_cbranch_vccz .LBB171_212
; %bb.85:
	v_and_b32_e32 v16, 0xffff0000, v20
	v_cmp_neq_f32_e32 vcc, s7, v3
	v_cmp_neq_f32_e64 s[2:3], s14, v16
	s_or_b64 s[10:11], vcc, s[2:3]
	s_cbranch_execnz .LBB171_87
.LBB171_86:
	v_and_b32_e32 v16, 0xffff0000, v20
	v_cmp_eq_f32_e32 vcc, s7, v3
	v_cmp_eq_f32_e64 s[2:3], s14, v16
	s_and_b64 s[2:3], vcc, s[2:3]
	s_andn2_b64 s[10:11], s[10:11], exec
	s_and_b64 s[2:3], s[2:3], exec
	s_or_b64 s[10:11], s[10:11], s[2:3]
.LBB171_87:
	v_cndmask_b32_e64 v3, 0, 1, s[10:11]
.LBB171_88:
	s_or_b64 exec, exec, s[8:9]
	v_or_b32_e32 v16, 0x100, v0
	v_cndmask_b32_e64 v17, 0, 1, s[4:5]
	v_cmp_gt_i32_e32 vcc, s33, v16
	v_cmp_ne_u32_e64 s[2:3], 1, v17
                                        ; implicit-def: $vgpr17
	s_and_saveexec_b64 s[8:9], vcc
	s_cbranch_execz .LBB171_93
; %bb.89:
	s_and_b64 vcc, exec, s[2:3]
	s_waitcnt vmcnt(0)
	v_lshlrev_b32_e32 v17, 16, v2
	s_cbranch_vccnz .LBB171_213
; %bb.90:
	v_and_b32_e32 v20, 0xffff0000, v2
	v_cmp_neq_f32_e32 vcc, s7, v17
	v_cmp_neq_f32_e64 s[4:5], s14, v20
	s_or_b64 s[10:11], vcc, s[4:5]
	s_cbranch_execnz .LBB171_92
.LBB171_91:
	v_and_b32_e32 v2, 0xffff0000, v2
	v_cmp_eq_f32_e32 vcc, s7, v17
	v_cmp_eq_f32_e64 s[4:5], s14, v2
	s_and_b64 s[4:5], vcc, s[4:5]
	s_andn2_b64 s[10:11], s[10:11], exec
	s_and_b64 s[4:5], s[4:5], exec
	s_or_b64 s[10:11], s[10:11], s[4:5]
.LBB171_92:
	v_cndmask_b32_e64 v17, 0, 1, s[10:11]
.LBB171_93:
	s_or_b64 exec, exec, s[8:9]
	s_waitcnt vmcnt(0)
	v_or_b32_e32 v2, 0x200, v0
	v_cmp_gt_i32_e32 vcc, s33, v2
                                        ; implicit-def: $vgpr2
	s_and_saveexec_b64 s[8:9], vcc
	s_cbranch_execz .LBB171_98
; %bb.94:
	s_and_b64 vcc, exec, s[2:3]
	v_lshlrev_b32_e32 v2, 16, v15
	s_cbranch_vccnz .LBB171_214
; %bb.95:
	v_and_b32_e32 v20, 0xffff0000, v15
	v_cmp_neq_f32_e32 vcc, s7, v2
	v_cmp_neq_f32_e64 s[4:5], s14, v20
	s_or_b64 s[10:11], vcc, s[4:5]
	s_cbranch_execnz .LBB171_97
.LBB171_96:
	v_and_b32_e32 v15, 0xffff0000, v15
	v_cmp_eq_f32_e32 vcc, s7, v2
	v_cmp_eq_f32_e64 s[4:5], s14, v15
	s_and_b64 s[4:5], vcc, s[4:5]
	s_andn2_b64 s[10:11], s[10:11], exec
	s_and_b64 s[4:5], s[4:5], exec
	s_or_b64 s[10:11], s[10:11], s[4:5]
.LBB171_97:
	v_cndmask_b32_e64 v2, 0, 1, s[10:11]
.LBB171_98:
	s_or_b64 exec, exec, s[8:9]
	v_or_b32_e32 v15, 0x300, v0
	v_cmp_gt_i32_e32 vcc, s33, v15
                                        ; implicit-def: $vgpr15
	s_and_saveexec_b64 s[8:9], vcc
	s_cbranch_execz .LBB171_103
; %bb.99:
	s_and_b64 vcc, exec, s[2:3]
	v_lshlrev_b32_e32 v15, 16, v19
	s_cbranch_vccnz .LBB171_215
; %bb.100:
	v_and_b32_e32 v20, 0xffff0000, v19
	v_cmp_neq_f32_e32 vcc, s7, v15
	v_cmp_neq_f32_e64 s[4:5], s14, v20
	s_or_b64 s[10:11], vcc, s[4:5]
	s_cbranch_execnz .LBB171_102
.LBB171_101:
	v_and_b32_e32 v19, 0xffff0000, v19
	v_cmp_eq_f32_e32 vcc, s7, v15
	v_cmp_eq_f32_e64 s[4:5], s14, v19
	s_and_b64 s[4:5], vcc, s[4:5]
	s_andn2_b64 s[10:11], s[10:11], exec
	s_and_b64 s[4:5], s[4:5], exec
	s_or_b64 s[10:11], s[10:11], s[4:5]
.LBB171_102:
	v_cndmask_b32_e64 v15, 0, 1, s[10:11]
.LBB171_103:
	s_or_b64 exec, exec, s[8:9]
	v_or_b32_e32 v19, 0x400, v0
	v_cmp_gt_i32_e32 vcc, s33, v19
                                        ; implicit-def: $vgpr19
	s_and_saveexec_b64 s[8:9], vcc
	s_cbranch_execz .LBB171_108
; %bb.104:
	s_and_b64 vcc, exec, s[2:3]
	v_lshlrev_b32_e32 v19, 16, v18
	s_cbranch_vccnz .LBB171_216
; %bb.105:
	v_and_b32_e32 v20, 0xffff0000, v18
	v_cmp_neq_f32_e32 vcc, s7, v19
	v_cmp_neq_f32_e64 s[4:5], s14, v20
	s_or_b64 s[10:11], vcc, s[4:5]
	s_cbranch_execnz .LBB171_107
.LBB171_106:
	v_and_b32_e32 v18, 0xffff0000, v18
	v_cmp_eq_f32_e32 vcc, s7, v19
	v_cmp_eq_f32_e64 s[4:5], s14, v18
	s_and_b64 s[4:5], vcc, s[4:5]
	s_andn2_b64 s[10:11], s[10:11], exec
	s_and_b64 s[4:5], s[4:5], exec
	s_or_b64 s[10:11], s[10:11], s[4:5]
.LBB171_107:
	v_cndmask_b32_e64 v19, 0, 1, s[10:11]
.LBB171_108:
	s_or_b64 exec, exec, s[8:9]
	v_or_b32_e32 v18, 0x500, v0
	v_cmp_gt_i32_e32 vcc, s33, v18
                                        ; implicit-def: $vgpr18
	s_and_saveexec_b64 s[8:9], vcc
	s_cbranch_execz .LBB171_113
; %bb.109:
	s_and_b64 vcc, exec, s[2:3]
	v_lshlrev_b32_e32 v18, 16, v14
	s_cbranch_vccnz .LBB171_217
; %bb.110:
	v_and_b32_e32 v20, 0xffff0000, v14
	v_cmp_neq_f32_e32 vcc, s7, v18
	v_cmp_neq_f32_e64 s[4:5], s14, v20
	s_or_b64 s[10:11], vcc, s[4:5]
	s_cbranch_execnz .LBB171_112
.LBB171_111:
	v_and_b32_e32 v14, 0xffff0000, v14
	v_cmp_eq_f32_e32 vcc, s7, v18
	v_cmp_eq_f32_e64 s[4:5], s14, v14
	s_and_b64 s[4:5], vcc, s[4:5]
	s_andn2_b64 s[10:11], s[10:11], exec
	s_and_b64 s[4:5], s[4:5], exec
	s_or_b64 s[10:11], s[10:11], s[4:5]
.LBB171_112:
	v_cndmask_b32_e64 v18, 0, 1, s[10:11]
.LBB171_113:
	s_or_b64 exec, exec, s[8:9]
	v_or_b32_e32 v14, 0x600, v0
	v_cmp_gt_i32_e32 vcc, s33, v14
                                        ; implicit-def: $vgpr14
	s_and_saveexec_b64 s[8:9], vcc
	s_cbranch_execz .LBB171_118
; %bb.114:
	s_and_b64 vcc, exec, s[2:3]
	v_lshlrev_b32_e32 v14, 16, v13
	s_cbranch_vccnz .LBB171_218
; %bb.115:
	v_and_b32_e32 v20, 0xffff0000, v13
	v_cmp_neq_f32_e32 vcc, s7, v14
	v_cmp_neq_f32_e64 s[4:5], s14, v20
	s_or_b64 s[10:11], vcc, s[4:5]
	s_cbranch_execnz .LBB171_117
.LBB171_116:
	v_and_b32_e32 v13, 0xffff0000, v13
	v_cmp_eq_f32_e32 vcc, s7, v14
	v_cmp_eq_f32_e64 s[4:5], s14, v13
	s_and_b64 s[4:5], vcc, s[4:5]
	s_andn2_b64 s[10:11], s[10:11], exec
	s_and_b64 s[4:5], s[4:5], exec
	s_or_b64 s[10:11], s[10:11], s[4:5]
.LBB171_117:
	v_cndmask_b32_e64 v14, 0, 1, s[10:11]
.LBB171_118:
	s_or_b64 exec, exec, s[8:9]
	v_or_b32_e32 v13, 0x700, v0
	v_cmp_gt_i32_e32 vcc, s33, v13
                                        ; implicit-def: $vgpr13
	s_and_saveexec_b64 s[8:9], vcc
	s_cbranch_execz .LBB171_123
; %bb.119:
	s_and_b64 vcc, exec, s[2:3]
	v_lshlrev_b32_e32 v13, 16, v12
	s_cbranch_vccnz .LBB171_219
; %bb.120:
	v_and_b32_e32 v20, 0xffff0000, v12
	v_cmp_neq_f32_e32 vcc, s7, v13
	v_cmp_neq_f32_e64 s[4:5], s14, v20
	s_or_b64 s[10:11], vcc, s[4:5]
	s_cbranch_execnz .LBB171_122
.LBB171_121:
	v_and_b32_e32 v12, 0xffff0000, v12
	v_cmp_eq_f32_e32 vcc, s7, v13
	v_cmp_eq_f32_e64 s[4:5], s14, v12
	s_and_b64 s[4:5], vcc, s[4:5]
	s_andn2_b64 s[10:11], s[10:11], exec
	s_and_b64 s[4:5], s[4:5], exec
	s_or_b64 s[10:11], s[10:11], s[4:5]
.LBB171_122:
	v_cndmask_b32_e64 v13, 0, 1, s[10:11]
.LBB171_123:
	s_or_b64 exec, exec, s[8:9]
	v_or_b32_e32 v12, 0x800, v0
	v_cmp_gt_i32_e32 vcc, s33, v12
                                        ; implicit-def: $vgpr12
	s_and_saveexec_b64 s[8:9], vcc
	s_cbranch_execz .LBB171_128
; %bb.124:
	s_and_b64 vcc, exec, s[2:3]
	v_lshlrev_b32_e32 v12, 16, v11
	s_cbranch_vccnz .LBB171_220
; %bb.125:
	v_and_b32_e32 v20, 0xffff0000, v11
	v_cmp_neq_f32_e32 vcc, s7, v12
	v_cmp_neq_f32_e64 s[4:5], s14, v20
	s_or_b64 s[10:11], vcc, s[4:5]
	s_cbranch_execnz .LBB171_127
.LBB171_126:
	v_and_b32_e32 v11, 0xffff0000, v11
	v_cmp_eq_f32_e32 vcc, s7, v12
	v_cmp_eq_f32_e64 s[4:5], s14, v11
	s_and_b64 s[4:5], vcc, s[4:5]
	s_andn2_b64 s[10:11], s[10:11], exec
	s_and_b64 s[4:5], s[4:5], exec
	s_or_b64 s[10:11], s[10:11], s[4:5]
.LBB171_127:
	v_cndmask_b32_e64 v12, 0, 1, s[10:11]
.LBB171_128:
	s_or_b64 exec, exec, s[8:9]
	v_or_b32_e32 v11, 0x900, v0
	v_cmp_gt_i32_e32 vcc, s33, v11
                                        ; implicit-def: $vgpr11
	s_and_saveexec_b64 s[8:9], vcc
	s_cbranch_execz .LBB171_133
; %bb.129:
	s_and_b64 vcc, exec, s[2:3]
	v_lshlrev_b32_e32 v11, 16, v10
	s_cbranch_vccnz .LBB171_221
; %bb.130:
	v_and_b32_e32 v20, 0xffff0000, v10
	v_cmp_neq_f32_e32 vcc, s7, v11
	v_cmp_neq_f32_e64 s[4:5], s14, v20
	s_or_b64 s[10:11], vcc, s[4:5]
	s_cbranch_execnz .LBB171_132
.LBB171_131:
	v_and_b32_e32 v10, 0xffff0000, v10
	v_cmp_eq_f32_e32 vcc, s7, v11
	v_cmp_eq_f32_e64 s[4:5], s14, v10
	s_and_b64 s[4:5], vcc, s[4:5]
	s_andn2_b64 s[10:11], s[10:11], exec
	s_and_b64 s[4:5], s[4:5], exec
	s_or_b64 s[10:11], s[10:11], s[4:5]
.LBB171_132:
	v_cndmask_b32_e64 v11, 0, 1, s[10:11]
.LBB171_133:
	s_or_b64 exec, exec, s[8:9]
	v_or_b32_e32 v10, 0xa00, v0
	v_cmp_gt_i32_e32 vcc, s33, v10
                                        ; implicit-def: $vgpr10
	s_and_saveexec_b64 s[8:9], vcc
	s_cbranch_execz .LBB171_138
; %bb.134:
	s_and_b64 vcc, exec, s[2:3]
	v_lshlrev_b32_e32 v10, 16, v9
	s_cbranch_vccnz .LBB171_222
; %bb.135:
	v_and_b32_e32 v20, 0xffff0000, v9
	v_cmp_neq_f32_e32 vcc, s7, v10
	v_cmp_neq_f32_e64 s[4:5], s14, v20
	s_or_b64 s[10:11], vcc, s[4:5]
	s_cbranch_execnz .LBB171_137
.LBB171_136:
	v_and_b32_e32 v9, 0xffff0000, v9
	v_cmp_eq_f32_e32 vcc, s7, v10
	v_cmp_eq_f32_e64 s[4:5], s14, v9
	s_and_b64 s[4:5], vcc, s[4:5]
	s_andn2_b64 s[10:11], s[10:11], exec
	s_and_b64 s[4:5], s[4:5], exec
	s_or_b64 s[10:11], s[10:11], s[4:5]
.LBB171_137:
	v_cndmask_b32_e64 v10, 0, 1, s[10:11]
.LBB171_138:
	s_or_b64 exec, exec, s[8:9]
	v_or_b32_e32 v9, 0xb00, v0
	v_cmp_gt_i32_e32 vcc, s33, v9
                                        ; implicit-def: $vgpr9
	s_and_saveexec_b64 s[8:9], vcc
	s_cbranch_execz .LBB171_143
; %bb.139:
	s_and_b64 vcc, exec, s[2:3]
	v_lshlrev_b32_e32 v9, 16, v8
	s_cbranch_vccnz .LBB171_223
; %bb.140:
	v_and_b32_e32 v20, 0xffff0000, v8
	v_cmp_neq_f32_e32 vcc, s7, v9
	v_cmp_neq_f32_e64 s[4:5], s14, v20
	s_or_b64 s[10:11], vcc, s[4:5]
	s_cbranch_execnz .LBB171_142
.LBB171_141:
	v_and_b32_e32 v8, 0xffff0000, v8
	v_cmp_eq_f32_e32 vcc, s7, v9
	v_cmp_eq_f32_e64 s[4:5], s14, v8
	s_and_b64 s[4:5], vcc, s[4:5]
	s_andn2_b64 s[10:11], s[10:11], exec
	s_and_b64 s[4:5], s[4:5], exec
	s_or_b64 s[10:11], s[10:11], s[4:5]
.LBB171_142:
	v_cndmask_b32_e64 v9, 0, 1, s[10:11]
.LBB171_143:
	s_or_b64 exec, exec, s[8:9]
	v_or_b32_e32 v8, 0xc00, v0
	v_cmp_gt_i32_e32 vcc, s33, v8
                                        ; implicit-def: $vgpr8
	s_and_saveexec_b64 s[8:9], vcc
	s_cbranch_execz .LBB171_148
; %bb.144:
	s_and_b64 vcc, exec, s[2:3]
	v_lshlrev_b32_e32 v8, 16, v7
	s_cbranch_vccnz .LBB171_224
; %bb.145:
	v_and_b32_e32 v20, 0xffff0000, v7
	v_cmp_neq_f32_e32 vcc, s7, v8
	v_cmp_neq_f32_e64 s[4:5], s14, v20
	s_or_b64 s[10:11], vcc, s[4:5]
	s_cbranch_execnz .LBB171_147
.LBB171_146:
	v_and_b32_e32 v7, 0xffff0000, v7
	v_cmp_eq_f32_e32 vcc, s7, v8
	v_cmp_eq_f32_e64 s[4:5], s14, v7
	s_and_b64 s[4:5], vcc, s[4:5]
	s_andn2_b64 s[10:11], s[10:11], exec
	s_and_b64 s[4:5], s[4:5], exec
	s_or_b64 s[10:11], s[10:11], s[4:5]
.LBB171_147:
	v_cndmask_b32_e64 v8, 0, 1, s[10:11]
.LBB171_148:
	s_or_b64 exec, exec, s[8:9]
	v_or_b32_e32 v7, 0xd00, v0
	v_cmp_gt_i32_e32 vcc, s33, v7
                                        ; implicit-def: $vgpr7
	s_and_saveexec_b64 s[8:9], vcc
	s_cbranch_execz .LBB171_153
; %bb.149:
	s_and_b64 vcc, exec, s[2:3]
	v_lshlrev_b32_e32 v7, 16, v6
	s_cbranch_vccnz .LBB171_225
; %bb.150:
	v_and_b32_e32 v20, 0xffff0000, v6
	v_cmp_neq_f32_e32 vcc, s7, v7
	v_cmp_neq_f32_e64 s[4:5], s14, v20
	s_or_b64 s[10:11], vcc, s[4:5]
	s_cbranch_execnz .LBB171_152
.LBB171_151:
	v_and_b32_e32 v6, 0xffff0000, v6
	v_cmp_eq_f32_e32 vcc, s7, v7
	v_cmp_eq_f32_e64 s[4:5], s14, v6
	s_and_b64 s[4:5], vcc, s[4:5]
	s_andn2_b64 s[10:11], s[10:11], exec
	s_and_b64 s[4:5], s[4:5], exec
	s_or_b64 s[10:11], s[10:11], s[4:5]
.LBB171_152:
	v_cndmask_b32_e64 v7, 0, 1, s[10:11]
.LBB171_153:
	s_or_b64 exec, exec, s[8:9]
	v_or_b32_e32 v6, 0xe00, v0
	v_cmp_gt_i32_e32 vcc, s33, v6
                                        ; implicit-def: $vgpr6
	s_and_saveexec_b64 s[8:9], vcc
	s_cbranch_execz .LBB171_158
; %bb.154:
	s_and_b64 vcc, exec, s[2:3]
	v_lshlrev_b32_e32 v6, 16, v5
	s_cbranch_vccnz .LBB171_226
; %bb.155:
	v_and_b32_e32 v20, 0xffff0000, v5
	v_cmp_neq_f32_e32 vcc, s7, v6
	v_cmp_neq_f32_e64 s[4:5], s14, v20
	s_or_b64 s[10:11], vcc, s[4:5]
	s_cbranch_execnz .LBB171_157
.LBB171_156:
	v_and_b32_e32 v5, 0xffff0000, v5
	v_cmp_eq_f32_e32 vcc, s7, v6
	v_cmp_eq_f32_e64 s[4:5], s14, v5
	s_and_b64 s[4:5], vcc, s[4:5]
	s_andn2_b64 s[10:11], s[10:11], exec
	s_and_b64 s[4:5], s[4:5], exec
	s_or_b64 s[10:11], s[10:11], s[4:5]
.LBB171_157:
	v_cndmask_b32_e64 v6, 0, 1, s[10:11]
.LBB171_158:
	s_or_b64 exec, exec, s[8:9]
	v_or_b32_e32 v5, 0xf00, v0
	v_cmp_gt_i32_e32 vcc, s33, v5
                                        ; implicit-def: $vgpr5
	s_and_saveexec_b64 s[4:5], vcc
	s_cbranch_execz .LBB171_163
; %bb.159:
	s_and_b64 vcc, exec, s[2:3]
	v_lshlrev_b32_e32 v5, 16, v4
	s_cbranch_vccnz .LBB171_227
; %bb.160:
	v_and_b32_e32 v20, 0xffff0000, v4
	v_cmp_neq_f32_e32 vcc, s7, v5
	v_cmp_neq_f32_e64 s[2:3], s14, v20
	s_or_b64 s[8:9], vcc, s[2:3]
	s_cbranch_execnz .LBB171_162
.LBB171_161:
	v_and_b32_e32 v4, 0xffff0000, v4
	v_cmp_eq_f32_e32 vcc, s7, v5
	v_cmp_eq_f32_e64 s[2:3], s14, v4
	s_and_b64 s[2:3], vcc, s[2:3]
	s_andn2_b64 s[8:9], s[8:9], exec
	s_and_b64 s[2:3], s[2:3], exec
	s_or_b64 s[8:9], s[8:9], s[2:3]
.LBB171_162:
	v_cndmask_b32_e64 v5, 0, 1, s[8:9]
.LBB171_163:
	s_or_b64 exec, exec, s[4:5]
	s_and_saveexec_b64 s[2:3], s[0:1]
	s_xor_b64 s[0:1], exec, s[2:3]
	s_cbranch_execz .LBB171_165
; %bb.164:
	v_mov_b32_e32 v0, v16
	global_store_byte v1, v3, s[12:13]
.LBB171_165:
	s_or_b64 exec, exec, s[0:1]
	v_cmp_gt_i32_e32 vcc, s33, v0
	s_and_saveexec_b64 s[0:1], vcc
	s_cbranch_execnz .LBB171_181
; %bb.166:
	s_or_b64 exec, exec, s[0:1]
	v_cmp_gt_i32_e32 vcc, s33, v0
	s_and_saveexec_b64 s[0:1], vcc
	s_cbranch_execnz .LBB171_182
.LBB171_167:
	s_or_b64 exec, exec, s[0:1]
	v_cmp_gt_i32_e32 vcc, s33, v0
	s_and_saveexec_b64 s[0:1], vcc
	s_cbranch_execnz .LBB171_183
.LBB171_168:
	s_or_b64 exec, exec, s[0:1]
	v_cmp_gt_i32_e32 vcc, s33, v0
	s_and_saveexec_b64 s[0:1], vcc
	s_cbranch_execnz .LBB171_184
.LBB171_169:
	s_or_b64 exec, exec, s[0:1]
	v_cmp_gt_i32_e32 vcc, s33, v0
	s_and_saveexec_b64 s[0:1], vcc
	s_cbranch_execnz .LBB171_185
.LBB171_170:
	s_or_b64 exec, exec, s[0:1]
	v_cmp_gt_i32_e32 vcc, s33, v0
	s_and_saveexec_b64 s[0:1], vcc
	s_cbranch_execnz .LBB171_186
.LBB171_171:
	s_or_b64 exec, exec, s[0:1]
	v_cmp_gt_i32_e32 vcc, s33, v0
	s_and_saveexec_b64 s[0:1], vcc
	s_cbranch_execnz .LBB171_187
.LBB171_172:
	s_or_b64 exec, exec, s[0:1]
	v_cmp_gt_i32_e32 vcc, s33, v0
	s_and_saveexec_b64 s[0:1], vcc
	s_cbranch_execnz .LBB171_188
.LBB171_173:
	s_or_b64 exec, exec, s[0:1]
	v_cmp_gt_i32_e32 vcc, s33, v0
	s_and_saveexec_b64 s[0:1], vcc
	s_cbranch_execnz .LBB171_189
.LBB171_174:
	s_or_b64 exec, exec, s[0:1]
	v_cmp_gt_i32_e32 vcc, s33, v0
	s_and_saveexec_b64 s[0:1], vcc
	s_cbranch_execnz .LBB171_190
.LBB171_175:
	s_or_b64 exec, exec, s[0:1]
	v_cmp_gt_i32_e32 vcc, s33, v0
	s_and_saveexec_b64 s[0:1], vcc
	s_cbranch_execnz .LBB171_191
.LBB171_176:
	s_or_b64 exec, exec, s[0:1]
	v_cmp_gt_i32_e32 vcc, s33, v0
	s_and_saveexec_b64 s[0:1], vcc
	s_cbranch_execnz .LBB171_192
.LBB171_177:
	s_or_b64 exec, exec, s[0:1]
	v_cmp_gt_i32_e32 vcc, s33, v0
	s_and_saveexec_b64 s[0:1], vcc
	s_cbranch_execnz .LBB171_193
.LBB171_178:
	s_or_b64 exec, exec, s[0:1]
	v_cmp_gt_i32_e32 vcc, s33, v0
	s_and_saveexec_b64 s[0:1], vcc
	s_cbranch_execnz .LBB171_194
.LBB171_179:
	s_or_b64 exec, exec, s[0:1]
	v_cmp_gt_i32_e32 vcc, s33, v0
	s_and_saveexec_b64 s[0:1], vcc
	s_cbranch_execz .LBB171_195
.LBB171_180:
	v_add_u32_e32 v0, s6, v0
	global_store_byte v0, v5, s[12:13]
	s_endpgm
.LBB171_181:
	v_add_u32_e32 v1, s6, v0
	v_add_u32_e32 v0, 0x100, v0
	global_store_byte v1, v17, s[12:13]
	s_or_b64 exec, exec, s[0:1]
	v_cmp_gt_i32_e32 vcc, s33, v0
	s_and_saveexec_b64 s[0:1], vcc
	s_cbranch_execz .LBB171_167
.LBB171_182:
	v_add_u32_e32 v1, s6, v0
	v_add_u32_e32 v0, 0x100, v0
	global_store_byte v1, v2, s[12:13]
	s_or_b64 exec, exec, s[0:1]
	v_cmp_gt_i32_e32 vcc, s33, v0
	s_and_saveexec_b64 s[0:1], vcc
	s_cbranch_execz .LBB171_168
.LBB171_183:
	v_add_u32_e32 v1, s6, v0
	v_add_u32_e32 v0, 0x100, v0
	global_store_byte v1, v15, s[12:13]
	s_or_b64 exec, exec, s[0:1]
	v_cmp_gt_i32_e32 vcc, s33, v0
	s_and_saveexec_b64 s[0:1], vcc
	s_cbranch_execz .LBB171_169
.LBB171_184:
	v_add_u32_e32 v1, s6, v0
	v_add_u32_e32 v0, 0x100, v0
	global_store_byte v1, v19, s[12:13]
	s_or_b64 exec, exec, s[0:1]
	v_cmp_gt_i32_e32 vcc, s33, v0
	s_and_saveexec_b64 s[0:1], vcc
	s_cbranch_execz .LBB171_170
.LBB171_185:
	v_add_u32_e32 v1, s6, v0
	v_add_u32_e32 v0, 0x100, v0
	global_store_byte v1, v18, s[12:13]
	s_or_b64 exec, exec, s[0:1]
	v_cmp_gt_i32_e32 vcc, s33, v0
	s_and_saveexec_b64 s[0:1], vcc
	s_cbranch_execz .LBB171_171
.LBB171_186:
	v_add_u32_e32 v1, s6, v0
	v_add_u32_e32 v0, 0x100, v0
	global_store_byte v1, v14, s[12:13]
	s_or_b64 exec, exec, s[0:1]
	v_cmp_gt_i32_e32 vcc, s33, v0
	s_and_saveexec_b64 s[0:1], vcc
	s_cbranch_execz .LBB171_172
.LBB171_187:
	v_add_u32_e32 v1, s6, v0
	v_add_u32_e32 v0, 0x100, v0
	global_store_byte v1, v13, s[12:13]
	s_or_b64 exec, exec, s[0:1]
	v_cmp_gt_i32_e32 vcc, s33, v0
	s_and_saveexec_b64 s[0:1], vcc
	s_cbranch_execz .LBB171_173
.LBB171_188:
	v_add_u32_e32 v1, s6, v0
	v_add_u32_e32 v0, 0x100, v0
	global_store_byte v1, v12, s[12:13]
	s_or_b64 exec, exec, s[0:1]
	v_cmp_gt_i32_e32 vcc, s33, v0
	s_and_saveexec_b64 s[0:1], vcc
	s_cbranch_execz .LBB171_174
.LBB171_189:
	v_add_u32_e32 v1, s6, v0
	v_add_u32_e32 v0, 0x100, v0
	global_store_byte v1, v11, s[12:13]
	s_or_b64 exec, exec, s[0:1]
	v_cmp_gt_i32_e32 vcc, s33, v0
	s_and_saveexec_b64 s[0:1], vcc
	s_cbranch_execz .LBB171_175
.LBB171_190:
	v_add_u32_e32 v1, s6, v0
	v_add_u32_e32 v0, 0x100, v0
	global_store_byte v1, v10, s[12:13]
	s_or_b64 exec, exec, s[0:1]
	v_cmp_gt_i32_e32 vcc, s33, v0
	s_and_saveexec_b64 s[0:1], vcc
	s_cbranch_execz .LBB171_176
.LBB171_191:
	v_add_u32_e32 v1, s6, v0
	v_add_u32_e32 v0, 0x100, v0
	global_store_byte v1, v9, s[12:13]
	s_or_b64 exec, exec, s[0:1]
	v_cmp_gt_i32_e32 vcc, s33, v0
	s_and_saveexec_b64 s[0:1], vcc
	s_cbranch_execz .LBB171_177
.LBB171_192:
	v_add_u32_e32 v1, s6, v0
	v_add_u32_e32 v0, 0x100, v0
	global_store_byte v1, v8, s[12:13]
	s_or_b64 exec, exec, s[0:1]
	v_cmp_gt_i32_e32 vcc, s33, v0
	s_and_saveexec_b64 s[0:1], vcc
	s_cbranch_execz .LBB171_178
.LBB171_193:
	v_add_u32_e32 v1, s6, v0
	v_add_u32_e32 v0, 0x100, v0
	global_store_byte v1, v7, s[12:13]
	s_or_b64 exec, exec, s[0:1]
	v_cmp_gt_i32_e32 vcc, s33, v0
	s_and_saveexec_b64 s[0:1], vcc
	s_cbranch_execz .LBB171_179
.LBB171_194:
	v_add_u32_e32 v1, s6, v0
	v_add_u32_e32 v0, 0x100, v0
	global_store_byte v1, v6, s[12:13]
	s_or_b64 exec, exec, s[0:1]
	v_cmp_gt_i32_e32 vcc, s33, v0
	s_and_saveexec_b64 s[0:1], vcc
	s_cbranch_execnz .LBB171_180
.LBB171_195:
	s_endpgm
.LBB171_196:
                                        ; implicit-def: $sgpr4_sgpr5
	s_branch .LBB171_3
.LBB171_197:
                                        ; implicit-def: $sgpr16_sgpr17
	s_branch .LBB171_6
.LBB171_198:
                                        ; implicit-def: $sgpr18_sgpr19
	s_branch .LBB171_9
.LBB171_199:
                                        ; implicit-def: $sgpr20_sgpr21
	s_branch .LBB171_12
.LBB171_200:
                                        ; implicit-def: $sgpr22_sgpr23
	s_branch .LBB171_15
.LBB171_201:
                                        ; implicit-def: $sgpr24_sgpr25
	s_branch .LBB171_18
.LBB171_202:
                                        ; implicit-def: $sgpr26_sgpr27
	s_branch .LBB171_21
.LBB171_203:
                                        ; implicit-def: $sgpr28_sgpr29
	s_branch .LBB171_24
.LBB171_204:
                                        ; implicit-def: $sgpr30_sgpr31
	s_branch .LBB171_27
.LBB171_205:
                                        ; implicit-def: $sgpr34_sgpr35
	s_branch .LBB171_30
.LBB171_206:
                                        ; implicit-def: $sgpr36_sgpr37
	s_branch .LBB171_33
.LBB171_207:
                                        ; implicit-def: $sgpr38_sgpr39
	s_branch .LBB171_36
.LBB171_208:
                                        ; implicit-def: $sgpr40_sgpr41
	s_branch .LBB171_39
.LBB171_209:
                                        ; implicit-def: $sgpr42_sgpr43
	s_branch .LBB171_42
.LBB171_210:
                                        ; implicit-def: $sgpr44_sgpr45
	s_branch .LBB171_45
.LBB171_211:
                                        ; implicit-def: $sgpr2_sgpr3
	s_branch .LBB171_48
.LBB171_212:
                                        ; implicit-def: $sgpr10_sgpr11
	s_branch .LBB171_86
.LBB171_213:
                                        ; implicit-def: $sgpr10_sgpr11
	s_branch .LBB171_91
.LBB171_214:
                                        ; implicit-def: $sgpr10_sgpr11
	s_branch .LBB171_96
.LBB171_215:
                                        ; implicit-def: $sgpr10_sgpr11
	s_branch .LBB171_101
.LBB171_216:
                                        ; implicit-def: $sgpr10_sgpr11
	s_branch .LBB171_106
.LBB171_217:
                                        ; implicit-def: $sgpr10_sgpr11
	s_branch .LBB171_111
.LBB171_218:
                                        ; implicit-def: $sgpr10_sgpr11
	s_branch .LBB171_116
.LBB171_219:
                                        ; implicit-def: $sgpr10_sgpr11
	s_branch .LBB171_121
.LBB171_220:
                                        ; implicit-def: $sgpr10_sgpr11
	s_branch .LBB171_126
.LBB171_221:
                                        ; implicit-def: $sgpr10_sgpr11
	s_branch .LBB171_131
.LBB171_222:
                                        ; implicit-def: $sgpr10_sgpr11
	s_branch .LBB171_136
.LBB171_223:
                                        ; implicit-def: $sgpr10_sgpr11
	s_branch .LBB171_141
.LBB171_224:
                                        ; implicit-def: $sgpr10_sgpr11
	s_branch .LBB171_146
.LBB171_225:
                                        ; implicit-def: $sgpr10_sgpr11
	s_branch .LBB171_151
.LBB171_226:
                                        ; implicit-def: $sgpr10_sgpr11
	s_branch .LBB171_156
.LBB171_227:
                                        ; implicit-def: $sgpr8_sgpr9
	s_branch .LBB171_161
	.section	.rodata,"a",@progbits
	.p2align	6, 0x0
	.amdhsa_kernel _ZN2at6native29vectorized_elementwise_kernelILi2ENS0_13AUnaryFunctorIN3c107complexINS3_8BFloat16EEES6_bNS0_12_GLOBAL__N_116CompareEqFunctorIS6_EEEESt5arrayIPcLm2EEEEviT0_T1_
		.amdhsa_group_segment_fixed_size 0
		.amdhsa_private_segment_fixed_size 0
		.amdhsa_kernarg_size 32
		.amdhsa_user_sgpr_count 6
		.amdhsa_user_sgpr_private_segment_buffer 1
		.amdhsa_user_sgpr_dispatch_ptr 0
		.amdhsa_user_sgpr_queue_ptr 0
		.amdhsa_user_sgpr_kernarg_segment_ptr 1
		.amdhsa_user_sgpr_dispatch_id 0
		.amdhsa_user_sgpr_flat_scratch_init 0
		.amdhsa_user_sgpr_private_segment_size 0
		.amdhsa_uses_dynamic_stack 0
		.amdhsa_system_sgpr_private_segment_wavefront_offset 0
		.amdhsa_system_sgpr_workgroup_id_x 1
		.amdhsa_system_sgpr_workgroup_id_y 0
		.amdhsa_system_sgpr_workgroup_id_z 0
		.amdhsa_system_sgpr_workgroup_info 0
		.amdhsa_system_vgpr_workitem_id 0
		.amdhsa_next_free_vgpr 21
		.amdhsa_next_free_sgpr 46
		.amdhsa_reserve_vcc 1
		.amdhsa_reserve_flat_scratch 0
		.amdhsa_float_round_mode_32 0
		.amdhsa_float_round_mode_16_64 0
		.amdhsa_float_denorm_mode_32 3
		.amdhsa_float_denorm_mode_16_64 3
		.amdhsa_dx10_clamp 1
		.amdhsa_ieee_mode 1
		.amdhsa_fp16_overflow 0
		.amdhsa_exception_fp_ieee_invalid_op 0
		.amdhsa_exception_fp_denorm_src 0
		.amdhsa_exception_fp_ieee_div_zero 0
		.amdhsa_exception_fp_ieee_overflow 0
		.amdhsa_exception_fp_ieee_underflow 0
		.amdhsa_exception_fp_ieee_inexact 0
		.amdhsa_exception_int_div_zero 0
	.end_amdhsa_kernel
	.section	.text._ZN2at6native29vectorized_elementwise_kernelILi2ENS0_13AUnaryFunctorIN3c107complexINS3_8BFloat16EEES6_bNS0_12_GLOBAL__N_116CompareEqFunctorIS6_EEEESt5arrayIPcLm2EEEEviT0_T1_,"axG",@progbits,_ZN2at6native29vectorized_elementwise_kernelILi2ENS0_13AUnaryFunctorIN3c107complexINS3_8BFloat16EEES6_bNS0_12_GLOBAL__N_116CompareEqFunctorIS6_EEEESt5arrayIPcLm2EEEEviT0_T1_,comdat
.Lfunc_end171:
	.size	_ZN2at6native29vectorized_elementwise_kernelILi2ENS0_13AUnaryFunctorIN3c107complexINS3_8BFloat16EEES6_bNS0_12_GLOBAL__N_116CompareEqFunctorIS6_EEEESt5arrayIPcLm2EEEEviT0_T1_, .Lfunc_end171-_ZN2at6native29vectorized_elementwise_kernelILi2ENS0_13AUnaryFunctorIN3c107complexINS3_8BFloat16EEES6_bNS0_12_GLOBAL__N_116CompareEqFunctorIS6_EEEESt5arrayIPcLm2EEEEviT0_T1_
                                        ; -- End function
	.set _ZN2at6native29vectorized_elementwise_kernelILi2ENS0_13AUnaryFunctorIN3c107complexINS3_8BFloat16EEES6_bNS0_12_GLOBAL__N_116CompareEqFunctorIS6_EEEESt5arrayIPcLm2EEEEviT0_T1_.num_vgpr, 21
	.set _ZN2at6native29vectorized_elementwise_kernelILi2ENS0_13AUnaryFunctorIN3c107complexINS3_8BFloat16EEES6_bNS0_12_GLOBAL__N_116CompareEqFunctorIS6_EEEESt5arrayIPcLm2EEEEviT0_T1_.num_agpr, 0
	.set _ZN2at6native29vectorized_elementwise_kernelILi2ENS0_13AUnaryFunctorIN3c107complexINS3_8BFloat16EEES6_bNS0_12_GLOBAL__N_116CompareEqFunctorIS6_EEEESt5arrayIPcLm2EEEEviT0_T1_.numbered_sgpr, 46
	.set _ZN2at6native29vectorized_elementwise_kernelILi2ENS0_13AUnaryFunctorIN3c107complexINS3_8BFloat16EEES6_bNS0_12_GLOBAL__N_116CompareEqFunctorIS6_EEEESt5arrayIPcLm2EEEEviT0_T1_.num_named_barrier, 0
	.set _ZN2at6native29vectorized_elementwise_kernelILi2ENS0_13AUnaryFunctorIN3c107complexINS3_8BFloat16EEES6_bNS0_12_GLOBAL__N_116CompareEqFunctorIS6_EEEESt5arrayIPcLm2EEEEviT0_T1_.private_seg_size, 0
	.set _ZN2at6native29vectorized_elementwise_kernelILi2ENS0_13AUnaryFunctorIN3c107complexINS3_8BFloat16EEES6_bNS0_12_GLOBAL__N_116CompareEqFunctorIS6_EEEESt5arrayIPcLm2EEEEviT0_T1_.uses_vcc, 1
	.set _ZN2at6native29vectorized_elementwise_kernelILi2ENS0_13AUnaryFunctorIN3c107complexINS3_8BFloat16EEES6_bNS0_12_GLOBAL__N_116CompareEqFunctorIS6_EEEESt5arrayIPcLm2EEEEviT0_T1_.uses_flat_scratch, 0
	.set _ZN2at6native29vectorized_elementwise_kernelILi2ENS0_13AUnaryFunctorIN3c107complexINS3_8BFloat16EEES6_bNS0_12_GLOBAL__N_116CompareEqFunctorIS6_EEEESt5arrayIPcLm2EEEEviT0_T1_.has_dyn_sized_stack, 0
	.set _ZN2at6native29vectorized_elementwise_kernelILi2ENS0_13AUnaryFunctorIN3c107complexINS3_8BFloat16EEES6_bNS0_12_GLOBAL__N_116CompareEqFunctorIS6_EEEESt5arrayIPcLm2EEEEviT0_T1_.has_recursion, 0
	.set _ZN2at6native29vectorized_elementwise_kernelILi2ENS0_13AUnaryFunctorIN3c107complexINS3_8BFloat16EEES6_bNS0_12_GLOBAL__N_116CompareEqFunctorIS6_EEEESt5arrayIPcLm2EEEEviT0_T1_.has_indirect_call, 0
	.section	.AMDGPU.csdata,"",@progbits
; Kernel info:
; codeLenInByte = 5776
; TotalNumSgprs: 50
; NumVgprs: 21
; ScratchSize: 0
; MemoryBound: 0
; FloatMode: 240
; IeeeMode: 1
; LDSByteSize: 0 bytes/workgroup (compile time only)
; SGPRBlocks: 6
; VGPRBlocks: 5
; NumSGPRsForWavesPerEU: 50
; NumVGPRsForWavesPerEU: 21
; Occupancy: 10
; WaveLimiterHint : 1
; COMPUTE_PGM_RSRC2:SCRATCH_EN: 0
; COMPUTE_PGM_RSRC2:USER_SGPR: 6
; COMPUTE_PGM_RSRC2:TRAP_HANDLER: 0
; COMPUTE_PGM_RSRC2:TGID_X_EN: 1
; COMPUTE_PGM_RSRC2:TGID_Y_EN: 0
; COMPUTE_PGM_RSRC2:TGID_Z_EN: 0
; COMPUTE_PGM_RSRC2:TIDIG_COMP_CNT: 0
	.section	.text._ZN2at6native27unrolled_elementwise_kernelINS0_13AUnaryFunctorIN3c107complexINS3_8BFloat16EEES6_bNS0_12_GLOBAL__N_116CompareEqFunctorIS6_EEEESt5arrayIPcLm2EELi4E23TrivialOffsetCalculatorILi1EjESF_NS0_6memory15LoadWithoutCastENSG_16StoreWithoutCastEEEviT_T0_T2_T3_T4_T5_,"axG",@progbits,_ZN2at6native27unrolled_elementwise_kernelINS0_13AUnaryFunctorIN3c107complexINS3_8BFloat16EEES6_bNS0_12_GLOBAL__N_116CompareEqFunctorIS6_EEEESt5arrayIPcLm2EELi4E23TrivialOffsetCalculatorILi1EjESF_NS0_6memory15LoadWithoutCastENSG_16StoreWithoutCastEEEviT_T0_T2_T3_T4_T5_,comdat
	.globl	_ZN2at6native27unrolled_elementwise_kernelINS0_13AUnaryFunctorIN3c107complexINS3_8BFloat16EEES6_bNS0_12_GLOBAL__N_116CompareEqFunctorIS6_EEEESt5arrayIPcLm2EELi4E23TrivialOffsetCalculatorILi1EjESF_NS0_6memory15LoadWithoutCastENSG_16StoreWithoutCastEEEviT_T0_T2_T3_T4_T5_ ; -- Begin function _ZN2at6native27unrolled_elementwise_kernelINS0_13AUnaryFunctorIN3c107complexINS3_8BFloat16EEES6_bNS0_12_GLOBAL__N_116CompareEqFunctorIS6_EEEESt5arrayIPcLm2EELi4E23TrivialOffsetCalculatorILi1EjESF_NS0_6memory15LoadWithoutCastENSG_16StoreWithoutCastEEEviT_T0_T2_T3_T4_T5_
	.p2align	8
	.type	_ZN2at6native27unrolled_elementwise_kernelINS0_13AUnaryFunctorIN3c107complexINS3_8BFloat16EEES6_bNS0_12_GLOBAL__N_116CompareEqFunctorIS6_EEEESt5arrayIPcLm2EELi4E23TrivialOffsetCalculatorILi1EjESF_NS0_6memory15LoadWithoutCastENSG_16StoreWithoutCastEEEviT_T0_T2_T3_T4_T5_,@function
_ZN2at6native27unrolled_elementwise_kernelINS0_13AUnaryFunctorIN3c107complexINS3_8BFloat16EEES6_bNS0_12_GLOBAL__N_116CompareEqFunctorIS6_EEEESt5arrayIPcLm2EELi4E23TrivialOffsetCalculatorILi1EjESF_NS0_6memory15LoadWithoutCastENSG_16StoreWithoutCastEEEviT_T0_T2_T3_T4_T5_: ; @_ZN2at6native27unrolled_elementwise_kernelINS0_13AUnaryFunctorIN3c107complexINS3_8BFloat16EEES6_bNS0_12_GLOBAL__N_116CompareEqFunctorIS6_EEEESt5arrayIPcLm2EELi4E23TrivialOffsetCalculatorILi1EjESF_NS0_6memory15LoadWithoutCastENSG_16StoreWithoutCastEEEviT_T0_T2_T3_T4_T5_
; %bb.0:
	s_load_dwordx8 s[8:15], s[4:5], 0x0
	s_waitcnt lgkmcnt(0)
	s_lshl_b32 s11, s6, 10
	v_mov_b32_e32 v5, 0
	v_or_b32_e32 v1, s11, v0
	v_mov_b32_e32 v4, 0
	s_sub_i32 s18, s8, s11
	v_cmp_gt_i32_e64 s[0:1], s18, v0
	v_mov_b32_e32 v3, 0
	v_mov_b32_e32 v2, 0
	;; [unrolled: 1-line block ×3, first 2 shown]
	s_and_saveexec_b64 s[2:3], s[0:1]
	s_cbranch_execz .LBB172_8
; %bb.1:
	v_mov_b32_e32 v2, 0
	v_lshlrev_b64 v[3:4], 2, v[1:2]
	v_mov_b32_e32 v6, s15
	v_add_co_u32_e32 v3, vcc, s14, v3
	v_addc_co_u32_e32 v4, vcc, v6, v4, vcc
	global_load_dword v6, v[3:4], off
	v_or_b32_e32 v7, 0x100, v0
	v_cmp_gt_u32_e32 vcc, s18, v7
	v_mov_b32_e32 v3, v2
	v_mov_b32_e32 v4, v2
	s_and_saveexec_b64 s[4:5], vcc
	s_cbranch_execz .LBB172_7
; %bb.2:
	v_add_u32_e32 v2, s11, v7
	v_mov_b32_e32 v3, 0
	v_lshlrev_b64 v[7:8], 2, v[2:3]
	v_mov_b32_e32 v2, s15
	v_add_co_u32_e32 v7, vcc, s14, v7
	v_addc_co_u32_e32 v8, vcc, v2, v8, vcc
	global_load_dword v2, v[7:8], off
	v_or_b32_e32 v7, 0x200, v0
	v_cmp_gt_u32_e32 vcc, s18, v7
	v_mov_b32_e32 v4, v3
	s_and_saveexec_b64 s[6:7], vcc
	s_cbranch_execz .LBB172_6
; %bb.3:
	v_add_u32_e32 v3, s11, v7
	v_mov_b32_e32 v4, 0
	v_lshlrev_b64 v[7:8], 2, v[3:4]
	v_mov_b32_e32 v3, s15
	v_add_co_u32_e32 v7, vcc, s14, v7
	v_addc_co_u32_e32 v8, vcc, v3, v8, vcc
	global_load_dword v3, v[7:8], off
	v_or_b32_e32 v7, 0x300, v0
	v_cmp_gt_u32_e32 vcc, s18, v7
	s_and_saveexec_b64 s[16:17], vcc
	s_cbranch_execz .LBB172_5
; %bb.4:
	v_add_u32_e32 v7, s11, v7
	v_mov_b32_e32 v8, 0
	v_lshlrev_b64 v[7:8], 2, v[7:8]
	v_mov_b32_e32 v4, s15
	v_add_co_u32_e32 v7, vcc, s14, v7
	v_addc_co_u32_e32 v8, vcc, v4, v8, vcc
	global_load_dword v4, v[7:8], off
.LBB172_5:
	s_or_b64 exec, exec, s[16:17]
.LBB172_6:
	s_or_b64 exec, exec, s[6:7]
.LBB172_7:
	s_or_b64 exec, exec, s[4:5]
.LBB172_8:
	s_or_b64 exec, exec, s[2:3]
	s_cmp_lg_u32 s9, 0
	s_cselect_b64 s[4:5], -1, 0
	s_lshl_b32 s14, s10, 16
	s_and_b32 s10, s10, 0xffff0000
	s_and_saveexec_b64 s[6:7], s[0:1]
	s_cbranch_execz .LBB172_13
; %bb.9:
	s_and_b64 vcc, exec, s[4:5]
	s_waitcnt vmcnt(0)
	v_lshlrev_b32_e32 v5, 16, v6
	s_cbranch_vccz .LBB172_37
; %bb.10:
	v_and_b32_e32 v7, 0xffff0000, v6
	v_cmp_neq_f32_e32 vcc, s14, v5
	v_cmp_neq_f32_e64 s[2:3], s10, v7
	s_or_b64 s[8:9], vcc, s[2:3]
	s_cbranch_execnz .LBB172_12
.LBB172_11:
	v_and_b32_e32 v6, 0xffff0000, v6
	v_cmp_eq_f32_e32 vcc, s14, v5
	v_cmp_eq_f32_e64 s[2:3], s10, v6
	s_and_b64 s[2:3], vcc, s[2:3]
	s_andn2_b64 s[8:9], s[8:9], exec
	s_and_b64 s[2:3], s[2:3], exec
	s_or_b64 s[8:9], s[8:9], s[2:3]
.LBB172_12:
	v_cndmask_b32_e64 v5, 0, 1, s[8:9]
.LBB172_13:
	s_or_b64 exec, exec, s[6:7]
	s_waitcnt vmcnt(0)
	v_or_b32_e32 v6, 0x100, v0
	v_cndmask_b32_e64 v7, 0, 1, s[4:5]
	v_cmp_gt_i32_e32 vcc, s18, v6
	v_cmp_ne_u32_e64 s[2:3], 1, v7
	s_and_saveexec_b64 s[6:7], vcc
	s_cbranch_execz .LBB172_18
; %bb.14:
	s_and_b64 vcc, exec, s[2:3]
	v_lshlrev_b32_e32 v7, 16, v2
	s_cbranch_vccnz .LBB172_38
; %bb.15:
	v_and_b32_e32 v8, 0xffff0000, v2
	v_cmp_neq_f32_e32 vcc, s14, v7
	v_cmp_neq_f32_e64 s[4:5], s10, v8
	s_or_b64 s[8:9], vcc, s[4:5]
	s_cbranch_execnz .LBB172_17
.LBB172_16:
	v_and_b32_e32 v2, 0xffff0000, v2
	v_cmp_eq_f32_e32 vcc, s14, v7
	v_cmp_eq_f32_e64 s[4:5], s10, v2
	s_and_b64 s[4:5], vcc, s[4:5]
	s_andn2_b64 s[8:9], s[8:9], exec
	s_and_b64 s[4:5], s[4:5], exec
	s_or_b64 s[8:9], s[8:9], s[4:5]
.LBB172_17:
	v_cndmask_b32_e64 v2, 0, 1, s[8:9]
	v_lshlrev_b16_e32 v2, 8, v2
	v_or_b32_e32 v2, v5, v2
	v_and_b32_e32 v5, 0xffff, v2
.LBB172_18:
	s_or_b64 exec, exec, s[6:7]
	v_or_b32_e32 v2, 0x200, v0
	v_cmp_gt_i32_e32 vcc, s18, v2
	s_and_saveexec_b64 s[6:7], vcc
	s_cbranch_execz .LBB172_23
; %bb.19:
	s_and_b64 vcc, exec, s[2:3]
	v_lshlrev_b32_e32 v2, 16, v3
	s_cbranch_vccnz .LBB172_39
; %bb.20:
	v_and_b32_e32 v7, 0xffff0000, v3
	v_cmp_neq_f32_e32 vcc, s14, v2
	v_cmp_neq_f32_e64 s[4:5], s10, v7
	s_or_b64 s[8:9], vcc, s[4:5]
	s_cbranch_execnz .LBB172_22
.LBB172_21:
	v_and_b32_e32 v3, 0xffff0000, v3
	v_cmp_eq_f32_e32 vcc, s14, v2
	v_cmp_eq_f32_e64 s[4:5], s10, v3
	s_and_b64 s[4:5], vcc, s[4:5]
	s_andn2_b64 s[8:9], s[8:9], exec
	s_and_b64 s[4:5], s[4:5], exec
	s_or_b64 s[8:9], s[8:9], s[4:5]
.LBB172_22:
	v_cndmask_b32_e64 v2, 0, 1, s[8:9]
	v_lshl_or_b32 v5, v2, 16, v5
.LBB172_23:
	s_or_b64 exec, exec, s[6:7]
	v_or_b32_e32 v2, 0x300, v0
	v_cmp_gt_i32_e32 vcc, s18, v2
	s_and_saveexec_b64 s[4:5], vcc
	s_cbranch_execz .LBB172_28
; %bb.24:
	s_and_b64 vcc, exec, s[2:3]
	v_lshlrev_b32_e32 v2, 16, v4
	s_cbranch_vccnz .LBB172_40
; %bb.25:
	v_and_b32_e32 v3, 0xffff0000, v4
	v_cmp_neq_f32_e32 vcc, s14, v2
	v_cmp_neq_f32_e64 s[2:3], s10, v3
	s_or_b64 s[6:7], vcc, s[2:3]
	s_cbranch_execnz .LBB172_27
.LBB172_26:
	v_and_b32_e32 v3, 0xffff0000, v4
	v_cmp_eq_f32_e32 vcc, s14, v2
	v_cmp_eq_f32_e64 s[2:3], s10, v3
	s_and_b64 s[2:3], vcc, s[2:3]
	s_andn2_b64 s[6:7], s[6:7], exec
	s_and_b64 s[2:3], s[2:3], exec
	s_or_b64 s[6:7], s[6:7], s[2:3]
.LBB172_27:
	v_cndmask_b32_e64 v2, 0, 1, s[6:7]
	v_lshlrev_b16_e32 v2, 8, v2
	v_or_b32_sdwa v2, v5, v2 dst_sel:WORD_1 dst_unused:UNUSED_PAD src0_sel:WORD_1 src1_sel:DWORD
	s_mov_b32 s2, 0xffff
	v_and_or_b32 v5, v5, s2, v2
.LBB172_28:
	s_or_b64 exec, exec, s[4:5]
	s_and_saveexec_b64 s[2:3], s[0:1]
	s_xor_b64 s[0:1], exec, s[2:3]
	s_cbranch_execz .LBB172_30
; %bb.29:
	v_mov_b32_e32 v0, v6
	global_store_byte v1, v5, s[12:13]
.LBB172_30:
	s_or_b64 exec, exec, s[0:1]
	v_cmp_gt_i32_e32 vcc, s18, v0
	s_and_saveexec_b64 s[0:1], vcc
	s_cbranch_execnz .LBB172_34
; %bb.31:
	s_or_b64 exec, exec, s[0:1]
	v_cmp_gt_i32_e32 vcc, s18, v0
	s_and_saveexec_b64 s[0:1], vcc
	s_cbranch_execnz .LBB172_35
.LBB172_32:
	s_or_b64 exec, exec, s[0:1]
	v_cmp_gt_i32_e32 vcc, s18, v0
	s_and_saveexec_b64 s[0:1], vcc
	s_cbranch_execnz .LBB172_36
.LBB172_33:
	s_endpgm
.LBB172_34:
	v_add_u32_e32 v1, 0x100, v0
	v_add_u32_e32 v0, s11, v0
	v_lshrrev_b32_e32 v2, 8, v5
	global_store_byte v0, v2, s[12:13]
	v_mov_b32_e32 v0, v1
	s_or_b64 exec, exec, s[0:1]
	v_cmp_gt_i32_e32 vcc, s18, v0
	s_and_saveexec_b64 s[0:1], vcc
	s_cbranch_execz .LBB172_32
.LBB172_35:
	v_add_u32_e32 v1, 0x100, v0
	v_add_u32_e32 v0, s11, v0
	global_store_byte_d16_hi v0, v5, s[12:13]
	v_mov_b32_e32 v0, v1
	s_or_b64 exec, exec, s[0:1]
	v_cmp_gt_i32_e32 vcc, s18, v0
	s_and_saveexec_b64 s[0:1], vcc
	s_cbranch_execz .LBB172_33
.LBB172_36:
	v_add_u32_e32 v0, s11, v0
	v_lshrrev_b32_e32 v1, 24, v5
	global_store_byte v0, v1, s[12:13]
	s_endpgm
.LBB172_37:
                                        ; implicit-def: $sgpr8_sgpr9
	s_branch .LBB172_11
.LBB172_38:
                                        ; implicit-def: $sgpr8_sgpr9
	s_branch .LBB172_16
.LBB172_39:
                                        ; implicit-def: $sgpr8_sgpr9
	s_branch .LBB172_21
.LBB172_40:
                                        ; implicit-def: $sgpr6_sgpr7
	s_branch .LBB172_26
	.section	.rodata,"a",@progbits
	.p2align	6, 0x0
	.amdhsa_kernel _ZN2at6native27unrolled_elementwise_kernelINS0_13AUnaryFunctorIN3c107complexINS3_8BFloat16EEES6_bNS0_12_GLOBAL__N_116CompareEqFunctorIS6_EEEESt5arrayIPcLm2EELi4E23TrivialOffsetCalculatorILi1EjESF_NS0_6memory15LoadWithoutCastENSG_16StoreWithoutCastEEEviT_T0_T2_T3_T4_T5_
		.amdhsa_group_segment_fixed_size 0
		.amdhsa_private_segment_fixed_size 0
		.amdhsa_kernarg_size 36
		.amdhsa_user_sgpr_count 6
		.amdhsa_user_sgpr_private_segment_buffer 1
		.amdhsa_user_sgpr_dispatch_ptr 0
		.amdhsa_user_sgpr_queue_ptr 0
		.amdhsa_user_sgpr_kernarg_segment_ptr 1
		.amdhsa_user_sgpr_dispatch_id 0
		.amdhsa_user_sgpr_flat_scratch_init 0
		.amdhsa_user_sgpr_private_segment_size 0
		.amdhsa_uses_dynamic_stack 0
		.amdhsa_system_sgpr_private_segment_wavefront_offset 0
		.amdhsa_system_sgpr_workgroup_id_x 1
		.amdhsa_system_sgpr_workgroup_id_y 0
		.amdhsa_system_sgpr_workgroup_id_z 0
		.amdhsa_system_sgpr_workgroup_info 0
		.amdhsa_system_vgpr_workitem_id 0
		.amdhsa_next_free_vgpr 9
		.amdhsa_next_free_sgpr 19
		.amdhsa_reserve_vcc 1
		.amdhsa_reserve_flat_scratch 0
		.amdhsa_float_round_mode_32 0
		.amdhsa_float_round_mode_16_64 0
		.amdhsa_float_denorm_mode_32 3
		.amdhsa_float_denorm_mode_16_64 3
		.amdhsa_dx10_clamp 1
		.amdhsa_ieee_mode 1
		.amdhsa_fp16_overflow 0
		.amdhsa_exception_fp_ieee_invalid_op 0
		.amdhsa_exception_fp_denorm_src 0
		.amdhsa_exception_fp_ieee_div_zero 0
		.amdhsa_exception_fp_ieee_overflow 0
		.amdhsa_exception_fp_ieee_underflow 0
		.amdhsa_exception_fp_ieee_inexact 0
		.amdhsa_exception_int_div_zero 0
	.end_amdhsa_kernel
	.section	.text._ZN2at6native27unrolled_elementwise_kernelINS0_13AUnaryFunctorIN3c107complexINS3_8BFloat16EEES6_bNS0_12_GLOBAL__N_116CompareEqFunctorIS6_EEEESt5arrayIPcLm2EELi4E23TrivialOffsetCalculatorILi1EjESF_NS0_6memory15LoadWithoutCastENSG_16StoreWithoutCastEEEviT_T0_T2_T3_T4_T5_,"axG",@progbits,_ZN2at6native27unrolled_elementwise_kernelINS0_13AUnaryFunctorIN3c107complexINS3_8BFloat16EEES6_bNS0_12_GLOBAL__N_116CompareEqFunctorIS6_EEEESt5arrayIPcLm2EELi4E23TrivialOffsetCalculatorILi1EjESF_NS0_6memory15LoadWithoutCastENSG_16StoreWithoutCastEEEviT_T0_T2_T3_T4_T5_,comdat
.Lfunc_end172:
	.size	_ZN2at6native27unrolled_elementwise_kernelINS0_13AUnaryFunctorIN3c107complexINS3_8BFloat16EEES6_bNS0_12_GLOBAL__N_116CompareEqFunctorIS6_EEEESt5arrayIPcLm2EELi4E23TrivialOffsetCalculatorILi1EjESF_NS0_6memory15LoadWithoutCastENSG_16StoreWithoutCastEEEviT_T0_T2_T3_T4_T5_, .Lfunc_end172-_ZN2at6native27unrolled_elementwise_kernelINS0_13AUnaryFunctorIN3c107complexINS3_8BFloat16EEES6_bNS0_12_GLOBAL__N_116CompareEqFunctorIS6_EEEESt5arrayIPcLm2EELi4E23TrivialOffsetCalculatorILi1EjESF_NS0_6memory15LoadWithoutCastENSG_16StoreWithoutCastEEEviT_T0_T2_T3_T4_T5_
                                        ; -- End function
	.set _ZN2at6native27unrolled_elementwise_kernelINS0_13AUnaryFunctorIN3c107complexINS3_8BFloat16EEES6_bNS0_12_GLOBAL__N_116CompareEqFunctorIS6_EEEESt5arrayIPcLm2EELi4E23TrivialOffsetCalculatorILi1EjESF_NS0_6memory15LoadWithoutCastENSG_16StoreWithoutCastEEEviT_T0_T2_T3_T4_T5_.num_vgpr, 9
	.set _ZN2at6native27unrolled_elementwise_kernelINS0_13AUnaryFunctorIN3c107complexINS3_8BFloat16EEES6_bNS0_12_GLOBAL__N_116CompareEqFunctorIS6_EEEESt5arrayIPcLm2EELi4E23TrivialOffsetCalculatorILi1EjESF_NS0_6memory15LoadWithoutCastENSG_16StoreWithoutCastEEEviT_T0_T2_T3_T4_T5_.num_agpr, 0
	.set _ZN2at6native27unrolled_elementwise_kernelINS0_13AUnaryFunctorIN3c107complexINS3_8BFloat16EEES6_bNS0_12_GLOBAL__N_116CompareEqFunctorIS6_EEEESt5arrayIPcLm2EELi4E23TrivialOffsetCalculatorILi1EjESF_NS0_6memory15LoadWithoutCastENSG_16StoreWithoutCastEEEviT_T0_T2_T3_T4_T5_.numbered_sgpr, 19
	.set _ZN2at6native27unrolled_elementwise_kernelINS0_13AUnaryFunctorIN3c107complexINS3_8BFloat16EEES6_bNS0_12_GLOBAL__N_116CompareEqFunctorIS6_EEEESt5arrayIPcLm2EELi4E23TrivialOffsetCalculatorILi1EjESF_NS0_6memory15LoadWithoutCastENSG_16StoreWithoutCastEEEviT_T0_T2_T3_T4_T5_.num_named_barrier, 0
	.set _ZN2at6native27unrolled_elementwise_kernelINS0_13AUnaryFunctorIN3c107complexINS3_8BFloat16EEES6_bNS0_12_GLOBAL__N_116CompareEqFunctorIS6_EEEESt5arrayIPcLm2EELi4E23TrivialOffsetCalculatorILi1EjESF_NS0_6memory15LoadWithoutCastENSG_16StoreWithoutCastEEEviT_T0_T2_T3_T4_T5_.private_seg_size, 0
	.set _ZN2at6native27unrolled_elementwise_kernelINS0_13AUnaryFunctorIN3c107complexINS3_8BFloat16EEES6_bNS0_12_GLOBAL__N_116CompareEqFunctorIS6_EEEESt5arrayIPcLm2EELi4E23TrivialOffsetCalculatorILi1EjESF_NS0_6memory15LoadWithoutCastENSG_16StoreWithoutCastEEEviT_T0_T2_T3_T4_T5_.uses_vcc, 1
	.set _ZN2at6native27unrolled_elementwise_kernelINS0_13AUnaryFunctorIN3c107complexINS3_8BFloat16EEES6_bNS0_12_GLOBAL__N_116CompareEqFunctorIS6_EEEESt5arrayIPcLm2EELi4E23TrivialOffsetCalculatorILi1EjESF_NS0_6memory15LoadWithoutCastENSG_16StoreWithoutCastEEEviT_T0_T2_T3_T4_T5_.uses_flat_scratch, 0
	.set _ZN2at6native27unrolled_elementwise_kernelINS0_13AUnaryFunctorIN3c107complexINS3_8BFloat16EEES6_bNS0_12_GLOBAL__N_116CompareEqFunctorIS6_EEEESt5arrayIPcLm2EELi4E23TrivialOffsetCalculatorILi1EjESF_NS0_6memory15LoadWithoutCastENSG_16StoreWithoutCastEEEviT_T0_T2_T3_T4_T5_.has_dyn_sized_stack, 0
	.set _ZN2at6native27unrolled_elementwise_kernelINS0_13AUnaryFunctorIN3c107complexINS3_8BFloat16EEES6_bNS0_12_GLOBAL__N_116CompareEqFunctorIS6_EEEESt5arrayIPcLm2EELi4E23TrivialOffsetCalculatorILi1EjESF_NS0_6memory15LoadWithoutCastENSG_16StoreWithoutCastEEEviT_T0_T2_T3_T4_T5_.has_recursion, 0
	.set _ZN2at6native27unrolled_elementwise_kernelINS0_13AUnaryFunctorIN3c107complexINS3_8BFloat16EEES6_bNS0_12_GLOBAL__N_116CompareEqFunctorIS6_EEEESt5arrayIPcLm2EELi4E23TrivialOffsetCalculatorILi1EjESF_NS0_6memory15LoadWithoutCastENSG_16StoreWithoutCastEEEviT_T0_T2_T3_T4_T5_.has_indirect_call, 0
	.section	.AMDGPU.csdata,"",@progbits
; Kernel info:
; codeLenInByte = 1000
; TotalNumSgprs: 23
; NumVgprs: 9
; ScratchSize: 0
; MemoryBound: 0
; FloatMode: 240
; IeeeMode: 1
; LDSByteSize: 0 bytes/workgroup (compile time only)
; SGPRBlocks: 2
; VGPRBlocks: 2
; NumSGPRsForWavesPerEU: 23
; NumVGPRsForWavesPerEU: 9
; Occupancy: 10
; WaveLimiterHint : 0
; COMPUTE_PGM_RSRC2:SCRATCH_EN: 0
; COMPUTE_PGM_RSRC2:USER_SGPR: 6
; COMPUTE_PGM_RSRC2:TRAP_HANDLER: 0
; COMPUTE_PGM_RSRC2:TGID_X_EN: 1
; COMPUTE_PGM_RSRC2:TGID_Y_EN: 0
; COMPUTE_PGM_RSRC2:TGID_Z_EN: 0
; COMPUTE_PGM_RSRC2:TIDIG_COMP_CNT: 0
	.section	.text._ZN2at6native32elementwise_kernel_manual_unrollILi128ELi8EZNS0_22gpu_kernel_impl_nocastINS0_13AUnaryFunctorIN3c107complexINS4_8BFloat16EEES7_bNS0_12_GLOBAL__N_116CompareEqFunctorIS7_EEEEEEvRNS_18TensorIteratorBaseERKT_EUlibE_EEviT1_,"axG",@progbits,_ZN2at6native32elementwise_kernel_manual_unrollILi128ELi8EZNS0_22gpu_kernel_impl_nocastINS0_13AUnaryFunctorIN3c107complexINS4_8BFloat16EEES7_bNS0_12_GLOBAL__N_116CompareEqFunctorIS7_EEEEEEvRNS_18TensorIteratorBaseERKT_EUlibE_EEviT1_,comdat
	.globl	_ZN2at6native32elementwise_kernel_manual_unrollILi128ELi8EZNS0_22gpu_kernel_impl_nocastINS0_13AUnaryFunctorIN3c107complexINS4_8BFloat16EEES7_bNS0_12_GLOBAL__N_116CompareEqFunctorIS7_EEEEEEvRNS_18TensorIteratorBaseERKT_EUlibE_EEviT1_ ; -- Begin function _ZN2at6native32elementwise_kernel_manual_unrollILi128ELi8EZNS0_22gpu_kernel_impl_nocastINS0_13AUnaryFunctorIN3c107complexINS4_8BFloat16EEES7_bNS0_12_GLOBAL__N_116CompareEqFunctorIS7_EEEEEEvRNS_18TensorIteratorBaseERKT_EUlibE_EEviT1_
	.p2align	8
	.type	_ZN2at6native32elementwise_kernel_manual_unrollILi128ELi8EZNS0_22gpu_kernel_impl_nocastINS0_13AUnaryFunctorIN3c107complexINS4_8BFloat16EEES7_bNS0_12_GLOBAL__N_116CompareEqFunctorIS7_EEEEEEvRNS_18TensorIteratorBaseERKT_EUlibE_EEviT1_,@function
_ZN2at6native32elementwise_kernel_manual_unrollILi128ELi8EZNS0_22gpu_kernel_impl_nocastINS0_13AUnaryFunctorIN3c107complexINS4_8BFloat16EEES7_bNS0_12_GLOBAL__N_116CompareEqFunctorIS7_EEEEEEvRNS_18TensorIteratorBaseERKT_EUlibE_EEviT1_: ; @_ZN2at6native32elementwise_kernel_manual_unrollILi128ELi8EZNS0_22gpu_kernel_impl_nocastINS0_13AUnaryFunctorIN3c107complexINS4_8BFloat16EEES7_bNS0_12_GLOBAL__N_116CompareEqFunctorIS7_EEEEEEvRNS_18TensorIteratorBaseERKT_EUlibE_EEviT1_
; %bb.0:
	s_load_dword s59, s[4:5], 0x0
	s_load_dword s33, s[4:5], 0x8
	s_add_u32 s34, s4, 8
	s_addc_u32 s35, s5, 0
	v_lshl_or_b32 v18, s6, 10, v0
	v_or_b32_e32 v24, 0x380, v18
	s_waitcnt lgkmcnt(0)
	s_add_i32 s56, s33, -1
	s_cmp_gt_u32 s56, 1
	v_cmp_le_i32_e32 vcc, s59, v24
	s_cselect_b64 s[36:37], -1, 0
	s_and_saveexec_b64 s[0:1], vcc
	s_xor_b64 s[38:39], exec, s[0:1]
	s_cbranch_execz .LBB173_161
; %bb.1:
	s_load_dwordx4 s[20:23], s[34:35], 0x4
	s_load_dwordx2 s[42:43], s[34:35], 0x14
	s_load_dwordx2 s[0:1], s[34:35], 0x158
	s_cmp_lg_u32 s33, 0
	s_cselect_b64 s[48:49], -1, 0
	s_add_u32 s46, s34, 0xc4
	s_load_dwordx4 s[24:27], s[34:35], 0xc4
	s_load_dwordx4 s[16:19], s[34:35], 0x148
	s_addc_u32 s47, s35, 0
	s_min_u32 s60, s56, 15
	s_cmp_gt_u32 s33, 1
	s_cselect_b64 s[44:45], -1, 0
	s_waitcnt lgkmcnt(0)
	s_cmp_lg_u32 s0, 0
	s_cselect_b64 s[40:41], -1, 0
	s_lshl_b32 s57, s1, 16
	s_and_b32 s58, s1, 0xffff0000
	v_cmp_gt_i32_e32 vcc, s59, v18
	s_and_saveexec_b64 s[50:51], vcc
	s_cbranch_execnz .LBB173_9
; %bb.2:
	s_or_b64 exec, exec, s[50:51]
	v_cmp_gt_i32_e32 vcc, s59, v18
	s_and_saveexec_b64 s[50:51], vcc
	s_cbranch_execnz .LBB173_27
.LBB173_3:
	s_or_b64 exec, exec, s[50:51]
	v_cmp_gt_i32_e32 vcc, s59, v18
	s_and_saveexec_b64 s[50:51], vcc
	s_cbranch_execnz .LBB173_46
.LBB173_4:
	s_or_b64 exec, exec, s[50:51]
	v_cmp_gt_i32_e32 vcc, s59, v18
	s_and_saveexec_b64 s[50:51], vcc
	s_cbranch_execnz .LBB173_65
.LBB173_5:
	s_or_b64 exec, exec, s[50:51]
	v_cmp_gt_i32_e32 vcc, s59, v18
	s_and_saveexec_b64 s[50:51], vcc
	s_cbranch_execnz .LBB173_84
.LBB173_6:
	s_or_b64 exec, exec, s[50:51]
	v_cmp_gt_i32_e32 vcc, s59, v18
	s_and_saveexec_b64 s[50:51], vcc
	s_cbranch_execnz .LBB173_103
.LBB173_7:
	s_or_b64 exec, exec, s[50:51]
	v_cmp_gt_i32_e32 vcc, s59, v18
	s_and_saveexec_b64 s[50:51], vcc
	s_cbranch_execnz .LBB173_122
.LBB173_8:
	s_or_b64 exec, exec, s[50:51]
	v_cmp_gt_i32_e32 vcc, s59, v18
	s_and_saveexec_b64 s[50:51], vcc
	s_cbranch_execnz .LBB173_141
	s_branch .LBB173_160
.LBB173_9:
	s_andn2_b64 vcc, exec, s[36:37]
	s_cbranch_vccnz .LBB173_14
; %bb.10:
	s_andn2_b64 vcc, exec, s[48:49]
	s_cbranch_vccnz .LBB173_15
; %bb.11:
	s_add_i32 s62, s60, 1
	s_cmp_eq_u32 s56, 2
	s_cbranch_scc1 .LBB173_16
; %bb.12:
	s_and_b32 s61, s62, 28
	v_mov_b32_e32 v2, 0
	s_mov_b32 s63, 0
	s_mov_b64 s[52:53], s[34:35]
	s_mov_b64 s[54:55], s[46:47]
	v_mov_b32_e32 v0, 0
	v_mov_b32_e32 v1, v18
.LBB173_13:                             ; =>This Inner Loop Header: Depth=1
	s_load_dwordx8 s[8:15], s[52:53], 0x4
	s_load_dwordx4 s[28:31], s[52:53], 0x24
	s_load_dwordx8 s[0:7], s[54:55], 0x0
	s_add_u32 s52, s52, 48
	s_addc_u32 s53, s53, 0
	s_waitcnt lgkmcnt(0)
	v_mul_hi_u32 v3, s9, v1
	s_add_i32 s63, s63, 4
	s_add_u32 s54, s54, 32
	s_addc_u32 s55, s55, 0
	v_add_u32_e32 v3, v1, v3
	v_lshrrev_b32_e32 v3, s10, v3
	v_mul_lo_u32 v4, v3, s8
	v_mul_hi_u32 v5, s12, v3
	s_cmp_lg_u32 s61, s63
	v_sub_u32_e32 v1, v1, v4
	v_add_u32_e32 v4, v3, v5
	v_mul_lo_u32 v5, v1, s0
	v_mul_lo_u32 v6, v1, s1
	v_lshrrev_b32_e32 v1, s13, v4
	v_mul_lo_u32 v4, v1, s11
	v_mul_hi_u32 v7, s15, v1
	v_sub_u32_e32 v3, v3, v4
	v_add_u32_e32 v4, v1, v7
	v_lshrrev_b32_e32 v4, s28, v4
	v_mul_hi_u32 v8, s30, v4
	v_mul_lo_u32 v9, v4, s14
	v_mul_lo_u32 v7, v3, s2
	;; [unrolled: 1-line block ×3, first 2 shown]
	v_sub_u32_e32 v9, v1, v9
	v_add_u32_e32 v1, v4, v8
	v_lshrrev_b32_e32 v1, s31, v1
	v_mul_lo_u32 v8, v1, s29
	v_mul_lo_u32 v10, v9, s4
	;; [unrolled: 1-line block ×3, first 2 shown]
	v_add3_u32 v0, v5, v0, v7
	v_sub_u32_e32 v4, v4, v8
	v_mul_lo_u32 v8, v4, s6
	v_mul_lo_u32 v4, v4, s7
	v_add3_u32 v2, v6, v2, v3
	v_add3_u32 v0, v10, v0, v8
	v_add3_u32 v2, v9, v2, v4
	s_cbranch_scc1 .LBB173_13
	s_branch .LBB173_17
.LBB173_14:
                                        ; implicit-def: $vgpr0
                                        ; implicit-def: $vgpr2
	s_branch .LBB173_21
.LBB173_15:
	v_mov_b32_e32 v0, 0
	v_mov_b32_e32 v2, 0
	s_branch .LBB173_20
.LBB173_16:
	s_mov_b32 s61, 0
	v_mov_b32_e32 v0, 0
	v_mov_b32_e32 v2, 0
	;; [unrolled: 1-line block ×3, first 2 shown]
.LBB173_17:
	s_and_b32 s4, s62, 3
	s_cmp_eq_u32 s4, 0
	s_cbranch_scc1 .LBB173_20
; %bb.18:
	s_lshl_b32 s0, s61, 3
	s_add_u32 s0, s34, s0
	s_addc_u32 s1, s35, 0
	s_add_u32 s0, s0, 0xc4
	s_addc_u32 s1, s1, 0
	s_mul_i32 s2, s61, 12
	s_add_u32 s2, s34, s2
	s_addc_u32 s3, s35, 0
.LBB173_19:                             ; =>This Inner Loop Header: Depth=1
	s_load_dwordx2 s[6:7], s[2:3], 0x4
	s_load_dword s5, s[2:3], 0xc
	s_load_dwordx2 s[8:9], s[0:1], 0x0
	s_add_u32 s2, s2, 12
	s_addc_u32 s3, s3, 0
	s_waitcnt lgkmcnt(0)
	v_mul_hi_u32 v3, s7, v1
	s_add_u32 s0, s0, 8
	s_addc_u32 s1, s1, 0
	s_add_i32 s4, s4, -1
	v_add_u32_e32 v3, v1, v3
	v_lshrrev_b32_e32 v4, s5, v3
	v_mul_lo_u32 v3, v4, s6
	s_cmp_lg_u32 s4, 0
	v_sub_u32_e32 v3, v1, v3
	v_mad_u64_u32 v[0:1], s[6:7], v3, s8, v[0:1]
	v_mad_u64_u32 v[2:3], s[6:7], v3, s9, v[2:3]
	v_mov_b32_e32 v1, v4
	s_cbranch_scc1 .LBB173_19
.LBB173_20:
	s_cbranch_execnz .LBB173_23
.LBB173_21:
	v_mul_hi_u32 v0, s21, v18
	s_andn2_b64 vcc, exec, s[44:45]
	v_add_u32_e32 v0, v18, v0
	v_lshrrev_b32_e32 v1, s22, v0
	v_mul_lo_u32 v0, v1, s20
	v_sub_u32_e32 v2, v18, v0
	v_mul_lo_u32 v0, v2, s24
	v_mul_lo_u32 v2, v2, s25
	s_cbranch_vccnz .LBB173_23
; %bb.22:
	v_mul_hi_u32 v3, s42, v1
	v_add_u32_e32 v3, v1, v3
	v_lshrrev_b32_e32 v3, s43, v3
	v_mul_lo_u32 v3, v3, s23
	v_sub_u32_e32 v3, v1, v3
	v_mad_u64_u32 v[0:1], s[0:1], v3, s26, v[0:1]
	v_mad_u64_u32 v[2:3], s[0:1], v3, s27, v[2:3]
.LBB173_23:
	global_load_dword v1, v2, s[18:19]
	s_and_b64 vcc, exec, s[40:41]
	s_waitcnt vmcnt(0)
	v_lshlrev_b32_e32 v2, 16, v1
	s_cbranch_vccz .LBB173_33
; %bb.24:
	v_and_b32_e32 v3, 0xffff0000, v1
	v_cmp_neq_f32_e32 vcc, s57, v2
	v_cmp_neq_f32_e64 s[0:1], s58, v3
	s_or_b64 s[2:3], vcc, s[0:1]
	s_cbranch_execnz .LBB173_26
.LBB173_25:
	v_and_b32_e32 v1, 0xffff0000, v1
	v_cmp_eq_f32_e32 vcc, s57, v2
	v_cmp_eq_f32_e64 s[0:1], s58, v1
	s_and_b64 s[0:1], vcc, s[0:1]
	s_andn2_b64 s[2:3], s[2:3], exec
	s_and_b64 s[0:1], s[0:1], exec
	s_or_b64 s[2:3], s[2:3], s[0:1]
.LBB173_26:
	v_cndmask_b32_e64 v1, 0, 1, s[2:3]
	v_add_u32_e32 v18, 0x80, v18
	global_store_byte v0, v1, s[16:17]
	s_or_b64 exec, exec, s[50:51]
	v_cmp_gt_i32_e32 vcc, s59, v18
	s_and_saveexec_b64 s[50:51], vcc
	s_cbranch_execz .LBB173_3
.LBB173_27:
	s_andn2_b64 vcc, exec, s[36:37]
	s_cbranch_vccnz .LBB173_32
; %bb.28:
	s_andn2_b64 vcc, exec, s[48:49]
	s_cbranch_vccnz .LBB173_34
; %bb.29:
	s_add_i32 s62, s60, 1
	s_cmp_eq_u32 s56, 2
	s_cbranch_scc1 .LBB173_35
; %bb.30:
	s_and_b32 s61, s62, 28
	v_mov_b32_e32 v2, 0
	s_mov_b32 s63, 0
	s_mov_b64 s[52:53], s[34:35]
	s_mov_b64 s[54:55], s[46:47]
	v_mov_b32_e32 v0, 0
	v_mov_b32_e32 v1, v18
.LBB173_31:                             ; =>This Inner Loop Header: Depth=1
	s_load_dwordx8 s[8:15], s[52:53], 0x4
	s_load_dwordx4 s[28:31], s[52:53], 0x24
	s_load_dwordx8 s[0:7], s[54:55], 0x0
	s_add_u32 s52, s52, 48
	s_addc_u32 s53, s53, 0
	s_waitcnt lgkmcnt(0)
	v_mul_hi_u32 v3, s9, v1
	s_add_i32 s63, s63, 4
	s_add_u32 s54, s54, 32
	s_addc_u32 s55, s55, 0
	v_add_u32_e32 v3, v1, v3
	v_lshrrev_b32_e32 v3, s10, v3
	v_mul_lo_u32 v4, v3, s8
	v_mul_hi_u32 v5, s12, v3
	s_cmp_eq_u32 s61, s63
	v_sub_u32_e32 v1, v1, v4
	v_add_u32_e32 v4, v3, v5
	v_mul_lo_u32 v5, v1, s0
	v_mul_lo_u32 v6, v1, s1
	v_lshrrev_b32_e32 v1, s13, v4
	v_mul_lo_u32 v4, v1, s11
	v_mul_hi_u32 v7, s15, v1
	v_sub_u32_e32 v3, v3, v4
	v_add_u32_e32 v4, v1, v7
	v_lshrrev_b32_e32 v4, s28, v4
	v_mul_hi_u32 v8, s30, v4
	v_mul_lo_u32 v9, v4, s14
	v_mul_lo_u32 v7, v3, s2
	;; [unrolled: 1-line block ×3, first 2 shown]
	v_sub_u32_e32 v9, v1, v9
	v_add_u32_e32 v1, v4, v8
	v_lshrrev_b32_e32 v1, s31, v1
	v_mul_lo_u32 v8, v1, s29
	v_mul_lo_u32 v10, v9, s4
	;; [unrolled: 1-line block ×3, first 2 shown]
	v_add3_u32 v0, v5, v0, v7
	v_sub_u32_e32 v4, v4, v8
	v_mul_lo_u32 v8, v4, s6
	v_mul_lo_u32 v4, v4, s7
	v_add3_u32 v2, v6, v2, v3
	v_add3_u32 v0, v10, v0, v8
	;; [unrolled: 1-line block ×3, first 2 shown]
	s_cbranch_scc0 .LBB173_31
	s_branch .LBB173_36
.LBB173_32:
                                        ; implicit-def: $vgpr0
                                        ; implicit-def: $vgpr2
	s_branch .LBB173_40
.LBB173_33:
                                        ; implicit-def: $sgpr2_sgpr3
	s_branch .LBB173_25
.LBB173_34:
	v_mov_b32_e32 v0, 0
	v_mov_b32_e32 v2, 0
	s_branch .LBB173_39
.LBB173_35:
	s_mov_b32 s61, 0
	v_mov_b32_e32 v0, 0
	v_mov_b32_e32 v2, 0
	;; [unrolled: 1-line block ×3, first 2 shown]
.LBB173_36:
	s_and_b32 s4, s62, 3
	s_cmp_eq_u32 s4, 0
	s_cbranch_scc1 .LBB173_39
; %bb.37:
	s_lshl_b32 s0, s61, 3
	s_add_u32 s0, s34, s0
	s_addc_u32 s1, s35, 0
	s_add_u32 s0, s0, 0xc4
	s_addc_u32 s1, s1, 0
	s_mul_i32 s2, s61, 12
	s_add_u32 s2, s34, s2
	s_addc_u32 s3, s35, 0
.LBB173_38:                             ; =>This Inner Loop Header: Depth=1
	s_load_dwordx2 s[6:7], s[2:3], 0x4
	s_load_dword s5, s[2:3], 0xc
	s_load_dwordx2 s[8:9], s[0:1], 0x0
	s_add_u32 s2, s2, 12
	s_addc_u32 s3, s3, 0
	s_waitcnt lgkmcnt(0)
	v_mul_hi_u32 v3, s7, v1
	s_add_u32 s0, s0, 8
	s_addc_u32 s1, s1, 0
	s_add_i32 s4, s4, -1
	v_add_u32_e32 v3, v1, v3
	v_lshrrev_b32_e32 v4, s5, v3
	v_mul_lo_u32 v3, v4, s6
	s_cmp_lg_u32 s4, 0
	v_sub_u32_e32 v3, v1, v3
	v_mad_u64_u32 v[0:1], s[6:7], v3, s8, v[0:1]
	v_mad_u64_u32 v[2:3], s[6:7], v3, s9, v[2:3]
	v_mov_b32_e32 v1, v4
	s_cbranch_scc1 .LBB173_38
.LBB173_39:
	s_cbranch_execnz .LBB173_42
.LBB173_40:
	v_mul_hi_u32 v0, s21, v18
	s_andn2_b64 vcc, exec, s[44:45]
	v_add_u32_e32 v0, v18, v0
	v_lshrrev_b32_e32 v1, s22, v0
	v_mul_lo_u32 v0, v1, s20
	v_sub_u32_e32 v2, v18, v0
	v_mul_lo_u32 v0, v2, s24
	v_mul_lo_u32 v2, v2, s25
	s_cbranch_vccnz .LBB173_42
; %bb.41:
	v_mul_hi_u32 v3, s42, v1
	v_add_u32_e32 v3, v1, v3
	v_lshrrev_b32_e32 v3, s43, v3
	v_mul_lo_u32 v3, v3, s23
	v_sub_u32_e32 v3, v1, v3
	v_mad_u64_u32 v[0:1], s[0:1], v3, s26, v[0:1]
	v_mad_u64_u32 v[2:3], s[0:1], v3, s27, v[2:3]
.LBB173_42:
	global_load_dword v1, v2, s[18:19]
	s_andn2_b64 vcc, exec, s[40:41]
	s_waitcnt vmcnt(0)
	v_lshlrev_b32_e32 v2, 16, v1
	s_cbranch_vccnz .LBB173_52
; %bb.43:
	v_and_b32_e32 v3, 0xffff0000, v1
	v_cmp_neq_f32_e32 vcc, s57, v2
	v_cmp_neq_f32_e64 s[0:1], s58, v3
	s_or_b64 s[2:3], vcc, s[0:1]
	s_cbranch_execnz .LBB173_45
.LBB173_44:
	v_and_b32_e32 v1, 0xffff0000, v1
	v_cmp_eq_f32_e32 vcc, s57, v2
	v_cmp_eq_f32_e64 s[0:1], s58, v1
	s_and_b64 s[0:1], vcc, s[0:1]
	s_andn2_b64 s[2:3], s[2:3], exec
	s_and_b64 s[0:1], s[0:1], exec
	s_or_b64 s[2:3], s[2:3], s[0:1]
.LBB173_45:
	v_cndmask_b32_e64 v1, 0, 1, s[2:3]
	v_add_u32_e32 v18, 0x80, v18
	global_store_byte v0, v1, s[16:17]
	s_or_b64 exec, exec, s[50:51]
	v_cmp_gt_i32_e32 vcc, s59, v18
	s_and_saveexec_b64 s[50:51], vcc
	s_cbranch_execz .LBB173_4
.LBB173_46:
	s_andn2_b64 vcc, exec, s[36:37]
	s_cbranch_vccnz .LBB173_51
; %bb.47:
	s_andn2_b64 vcc, exec, s[48:49]
	s_cbranch_vccnz .LBB173_53
; %bb.48:
	s_add_i32 s62, s60, 1
	s_cmp_eq_u32 s56, 2
	s_cbranch_scc1 .LBB173_54
; %bb.49:
	s_and_b32 s61, s62, 28
	v_mov_b32_e32 v2, 0
	s_mov_b32 s63, 0
	s_mov_b64 s[52:53], s[34:35]
	s_mov_b64 s[54:55], s[46:47]
	v_mov_b32_e32 v0, 0
	v_mov_b32_e32 v1, v18
.LBB173_50:                             ; =>This Inner Loop Header: Depth=1
	s_load_dwordx8 s[8:15], s[52:53], 0x4
	s_load_dwordx4 s[28:31], s[52:53], 0x24
	s_load_dwordx8 s[0:7], s[54:55], 0x0
	s_add_u32 s52, s52, 48
	s_addc_u32 s53, s53, 0
	s_waitcnt lgkmcnt(0)
	v_mul_hi_u32 v3, s9, v1
	s_add_i32 s63, s63, 4
	s_add_u32 s54, s54, 32
	s_addc_u32 s55, s55, 0
	v_add_u32_e32 v3, v1, v3
	v_lshrrev_b32_e32 v3, s10, v3
	v_mul_lo_u32 v4, v3, s8
	v_mul_hi_u32 v5, s12, v3
	s_cmp_eq_u32 s61, s63
	v_sub_u32_e32 v1, v1, v4
	v_add_u32_e32 v4, v3, v5
	v_mul_lo_u32 v5, v1, s0
	v_mul_lo_u32 v6, v1, s1
	v_lshrrev_b32_e32 v1, s13, v4
	v_mul_lo_u32 v4, v1, s11
	v_mul_hi_u32 v7, s15, v1
	v_sub_u32_e32 v3, v3, v4
	v_add_u32_e32 v4, v1, v7
	v_lshrrev_b32_e32 v4, s28, v4
	v_mul_hi_u32 v8, s30, v4
	v_mul_lo_u32 v9, v4, s14
	v_mul_lo_u32 v7, v3, s2
	;; [unrolled: 1-line block ×3, first 2 shown]
	v_sub_u32_e32 v9, v1, v9
	v_add_u32_e32 v1, v4, v8
	v_lshrrev_b32_e32 v1, s31, v1
	v_mul_lo_u32 v8, v1, s29
	v_mul_lo_u32 v10, v9, s4
	v_mul_lo_u32 v9, v9, s5
	v_add3_u32 v0, v5, v0, v7
	v_sub_u32_e32 v4, v4, v8
	v_mul_lo_u32 v8, v4, s6
	v_mul_lo_u32 v4, v4, s7
	v_add3_u32 v2, v6, v2, v3
	v_add3_u32 v0, v10, v0, v8
	;; [unrolled: 1-line block ×3, first 2 shown]
	s_cbranch_scc0 .LBB173_50
	s_branch .LBB173_55
.LBB173_51:
                                        ; implicit-def: $vgpr0
                                        ; implicit-def: $vgpr2
	s_branch .LBB173_59
.LBB173_52:
                                        ; implicit-def: $sgpr2_sgpr3
	s_branch .LBB173_44
.LBB173_53:
	v_mov_b32_e32 v0, 0
	v_mov_b32_e32 v2, 0
	s_branch .LBB173_58
.LBB173_54:
	s_mov_b32 s61, 0
	v_mov_b32_e32 v0, 0
	v_mov_b32_e32 v2, 0
	;; [unrolled: 1-line block ×3, first 2 shown]
.LBB173_55:
	s_and_b32 s4, s62, 3
	s_cmp_eq_u32 s4, 0
	s_cbranch_scc1 .LBB173_58
; %bb.56:
	s_lshl_b32 s0, s61, 3
	s_add_u32 s0, s34, s0
	s_addc_u32 s1, s35, 0
	s_add_u32 s0, s0, 0xc4
	s_addc_u32 s1, s1, 0
	s_mul_i32 s2, s61, 12
	s_add_u32 s2, s34, s2
	s_addc_u32 s3, s35, 0
.LBB173_57:                             ; =>This Inner Loop Header: Depth=1
	s_load_dwordx2 s[6:7], s[2:3], 0x4
	s_load_dword s5, s[2:3], 0xc
	s_load_dwordx2 s[8:9], s[0:1], 0x0
	s_add_u32 s2, s2, 12
	s_addc_u32 s3, s3, 0
	s_waitcnt lgkmcnt(0)
	v_mul_hi_u32 v3, s7, v1
	s_add_u32 s0, s0, 8
	s_addc_u32 s1, s1, 0
	s_add_i32 s4, s4, -1
	v_add_u32_e32 v3, v1, v3
	v_lshrrev_b32_e32 v4, s5, v3
	v_mul_lo_u32 v3, v4, s6
	s_cmp_lg_u32 s4, 0
	v_sub_u32_e32 v3, v1, v3
	v_mad_u64_u32 v[0:1], s[6:7], v3, s8, v[0:1]
	v_mad_u64_u32 v[2:3], s[6:7], v3, s9, v[2:3]
	v_mov_b32_e32 v1, v4
	s_cbranch_scc1 .LBB173_57
.LBB173_58:
	s_cbranch_execnz .LBB173_61
.LBB173_59:
	v_mul_hi_u32 v0, s21, v18
	s_andn2_b64 vcc, exec, s[44:45]
	v_add_u32_e32 v0, v18, v0
	v_lshrrev_b32_e32 v1, s22, v0
	v_mul_lo_u32 v0, v1, s20
	v_sub_u32_e32 v2, v18, v0
	v_mul_lo_u32 v0, v2, s24
	v_mul_lo_u32 v2, v2, s25
	s_cbranch_vccnz .LBB173_61
; %bb.60:
	v_mul_hi_u32 v3, s42, v1
	v_add_u32_e32 v3, v1, v3
	v_lshrrev_b32_e32 v3, s43, v3
	v_mul_lo_u32 v3, v3, s23
	v_sub_u32_e32 v3, v1, v3
	v_mad_u64_u32 v[0:1], s[0:1], v3, s26, v[0:1]
	v_mad_u64_u32 v[2:3], s[0:1], v3, s27, v[2:3]
.LBB173_61:
	global_load_dword v1, v2, s[18:19]
	s_andn2_b64 vcc, exec, s[40:41]
	s_waitcnt vmcnt(0)
	v_lshlrev_b32_e32 v2, 16, v1
	s_cbranch_vccnz .LBB173_71
; %bb.62:
	v_and_b32_e32 v3, 0xffff0000, v1
	v_cmp_neq_f32_e32 vcc, s57, v2
	v_cmp_neq_f32_e64 s[0:1], s58, v3
	s_or_b64 s[2:3], vcc, s[0:1]
	s_cbranch_execnz .LBB173_64
.LBB173_63:
	v_and_b32_e32 v1, 0xffff0000, v1
	v_cmp_eq_f32_e32 vcc, s57, v2
	v_cmp_eq_f32_e64 s[0:1], s58, v1
	s_and_b64 s[0:1], vcc, s[0:1]
	s_andn2_b64 s[2:3], s[2:3], exec
	s_and_b64 s[0:1], s[0:1], exec
	s_or_b64 s[2:3], s[2:3], s[0:1]
.LBB173_64:
	v_cndmask_b32_e64 v1, 0, 1, s[2:3]
	v_add_u32_e32 v18, 0x80, v18
	global_store_byte v0, v1, s[16:17]
	s_or_b64 exec, exec, s[50:51]
	v_cmp_gt_i32_e32 vcc, s59, v18
	s_and_saveexec_b64 s[50:51], vcc
	s_cbranch_execz .LBB173_5
.LBB173_65:
	s_andn2_b64 vcc, exec, s[36:37]
	s_cbranch_vccnz .LBB173_70
; %bb.66:
	s_andn2_b64 vcc, exec, s[48:49]
	s_cbranch_vccnz .LBB173_72
; %bb.67:
	s_add_i32 s62, s60, 1
	s_cmp_eq_u32 s56, 2
	s_cbranch_scc1 .LBB173_73
; %bb.68:
	s_and_b32 s61, s62, 28
	v_mov_b32_e32 v2, 0
	s_mov_b32 s63, 0
	s_mov_b64 s[52:53], s[34:35]
	s_mov_b64 s[54:55], s[46:47]
	v_mov_b32_e32 v0, 0
	v_mov_b32_e32 v1, v18
.LBB173_69:                             ; =>This Inner Loop Header: Depth=1
	s_load_dwordx8 s[8:15], s[52:53], 0x4
	s_load_dwordx4 s[28:31], s[52:53], 0x24
	s_load_dwordx8 s[0:7], s[54:55], 0x0
	s_add_u32 s52, s52, 48
	s_addc_u32 s53, s53, 0
	s_waitcnt lgkmcnt(0)
	v_mul_hi_u32 v3, s9, v1
	s_add_i32 s63, s63, 4
	s_add_u32 s54, s54, 32
	s_addc_u32 s55, s55, 0
	v_add_u32_e32 v3, v1, v3
	v_lshrrev_b32_e32 v3, s10, v3
	v_mul_lo_u32 v4, v3, s8
	v_mul_hi_u32 v5, s12, v3
	s_cmp_eq_u32 s61, s63
	v_sub_u32_e32 v1, v1, v4
	v_add_u32_e32 v4, v3, v5
	v_mul_lo_u32 v5, v1, s0
	v_mul_lo_u32 v6, v1, s1
	v_lshrrev_b32_e32 v1, s13, v4
	v_mul_lo_u32 v4, v1, s11
	v_mul_hi_u32 v7, s15, v1
	v_sub_u32_e32 v3, v3, v4
	v_add_u32_e32 v4, v1, v7
	v_lshrrev_b32_e32 v4, s28, v4
	v_mul_hi_u32 v8, s30, v4
	v_mul_lo_u32 v9, v4, s14
	v_mul_lo_u32 v7, v3, s2
	;; [unrolled: 1-line block ×3, first 2 shown]
	v_sub_u32_e32 v9, v1, v9
	v_add_u32_e32 v1, v4, v8
	v_lshrrev_b32_e32 v1, s31, v1
	v_mul_lo_u32 v8, v1, s29
	v_mul_lo_u32 v10, v9, s4
	;; [unrolled: 1-line block ×3, first 2 shown]
	v_add3_u32 v0, v5, v0, v7
	v_sub_u32_e32 v4, v4, v8
	v_mul_lo_u32 v8, v4, s6
	v_mul_lo_u32 v4, v4, s7
	v_add3_u32 v2, v6, v2, v3
	v_add3_u32 v0, v10, v0, v8
	;; [unrolled: 1-line block ×3, first 2 shown]
	s_cbranch_scc0 .LBB173_69
	s_branch .LBB173_74
.LBB173_70:
                                        ; implicit-def: $vgpr0
                                        ; implicit-def: $vgpr2
	s_branch .LBB173_78
.LBB173_71:
                                        ; implicit-def: $sgpr2_sgpr3
	s_branch .LBB173_63
.LBB173_72:
	v_mov_b32_e32 v0, 0
	v_mov_b32_e32 v2, 0
	s_branch .LBB173_77
.LBB173_73:
	s_mov_b32 s61, 0
	v_mov_b32_e32 v0, 0
	v_mov_b32_e32 v2, 0
	;; [unrolled: 1-line block ×3, first 2 shown]
.LBB173_74:
	s_and_b32 s4, s62, 3
	s_cmp_eq_u32 s4, 0
	s_cbranch_scc1 .LBB173_77
; %bb.75:
	s_lshl_b32 s0, s61, 3
	s_add_u32 s0, s34, s0
	s_addc_u32 s1, s35, 0
	s_add_u32 s0, s0, 0xc4
	s_addc_u32 s1, s1, 0
	s_mul_i32 s2, s61, 12
	s_add_u32 s2, s34, s2
	s_addc_u32 s3, s35, 0
.LBB173_76:                             ; =>This Inner Loop Header: Depth=1
	s_load_dwordx2 s[6:7], s[2:3], 0x4
	s_load_dword s5, s[2:3], 0xc
	s_load_dwordx2 s[8:9], s[0:1], 0x0
	s_add_u32 s2, s2, 12
	s_addc_u32 s3, s3, 0
	s_waitcnt lgkmcnt(0)
	v_mul_hi_u32 v3, s7, v1
	s_add_u32 s0, s0, 8
	s_addc_u32 s1, s1, 0
	s_add_i32 s4, s4, -1
	v_add_u32_e32 v3, v1, v3
	v_lshrrev_b32_e32 v4, s5, v3
	v_mul_lo_u32 v3, v4, s6
	s_cmp_lg_u32 s4, 0
	v_sub_u32_e32 v3, v1, v3
	v_mad_u64_u32 v[0:1], s[6:7], v3, s8, v[0:1]
	v_mad_u64_u32 v[2:3], s[6:7], v3, s9, v[2:3]
	v_mov_b32_e32 v1, v4
	s_cbranch_scc1 .LBB173_76
.LBB173_77:
	s_cbranch_execnz .LBB173_80
.LBB173_78:
	v_mul_hi_u32 v0, s21, v18
	s_andn2_b64 vcc, exec, s[44:45]
	v_add_u32_e32 v0, v18, v0
	v_lshrrev_b32_e32 v1, s22, v0
	v_mul_lo_u32 v0, v1, s20
	v_sub_u32_e32 v2, v18, v0
	v_mul_lo_u32 v0, v2, s24
	v_mul_lo_u32 v2, v2, s25
	s_cbranch_vccnz .LBB173_80
; %bb.79:
	v_mul_hi_u32 v3, s42, v1
	v_add_u32_e32 v3, v1, v3
	v_lshrrev_b32_e32 v3, s43, v3
	v_mul_lo_u32 v3, v3, s23
	v_sub_u32_e32 v3, v1, v3
	v_mad_u64_u32 v[0:1], s[0:1], v3, s26, v[0:1]
	v_mad_u64_u32 v[2:3], s[0:1], v3, s27, v[2:3]
.LBB173_80:
	global_load_dword v1, v2, s[18:19]
	s_andn2_b64 vcc, exec, s[40:41]
	s_waitcnt vmcnt(0)
	v_lshlrev_b32_e32 v2, 16, v1
	s_cbranch_vccnz .LBB173_90
; %bb.81:
	v_and_b32_e32 v3, 0xffff0000, v1
	v_cmp_neq_f32_e32 vcc, s57, v2
	v_cmp_neq_f32_e64 s[0:1], s58, v3
	s_or_b64 s[2:3], vcc, s[0:1]
	s_cbranch_execnz .LBB173_83
.LBB173_82:
	v_and_b32_e32 v1, 0xffff0000, v1
	v_cmp_eq_f32_e32 vcc, s57, v2
	v_cmp_eq_f32_e64 s[0:1], s58, v1
	s_and_b64 s[0:1], vcc, s[0:1]
	s_andn2_b64 s[2:3], s[2:3], exec
	s_and_b64 s[0:1], s[0:1], exec
	s_or_b64 s[2:3], s[2:3], s[0:1]
.LBB173_83:
	v_cndmask_b32_e64 v1, 0, 1, s[2:3]
	v_add_u32_e32 v18, 0x80, v18
	global_store_byte v0, v1, s[16:17]
	s_or_b64 exec, exec, s[50:51]
	v_cmp_gt_i32_e32 vcc, s59, v18
	s_and_saveexec_b64 s[50:51], vcc
	s_cbranch_execz .LBB173_6
.LBB173_84:
	s_andn2_b64 vcc, exec, s[36:37]
	s_cbranch_vccnz .LBB173_89
; %bb.85:
	s_andn2_b64 vcc, exec, s[48:49]
	s_cbranch_vccnz .LBB173_91
; %bb.86:
	s_add_i32 s62, s60, 1
	s_cmp_eq_u32 s56, 2
	s_cbranch_scc1 .LBB173_92
; %bb.87:
	s_and_b32 s61, s62, 28
	v_mov_b32_e32 v2, 0
	s_mov_b32 s63, 0
	s_mov_b64 s[52:53], s[34:35]
	s_mov_b64 s[54:55], s[46:47]
	v_mov_b32_e32 v0, 0
	v_mov_b32_e32 v1, v18
.LBB173_88:                             ; =>This Inner Loop Header: Depth=1
	s_load_dwordx8 s[8:15], s[52:53], 0x4
	s_load_dwordx4 s[28:31], s[52:53], 0x24
	s_load_dwordx8 s[0:7], s[54:55], 0x0
	s_add_u32 s52, s52, 48
	s_addc_u32 s53, s53, 0
	s_waitcnt lgkmcnt(0)
	v_mul_hi_u32 v3, s9, v1
	s_add_i32 s63, s63, 4
	s_add_u32 s54, s54, 32
	s_addc_u32 s55, s55, 0
	v_add_u32_e32 v3, v1, v3
	v_lshrrev_b32_e32 v3, s10, v3
	v_mul_lo_u32 v4, v3, s8
	v_mul_hi_u32 v5, s12, v3
	s_cmp_eq_u32 s61, s63
	v_sub_u32_e32 v1, v1, v4
	v_add_u32_e32 v4, v3, v5
	v_mul_lo_u32 v5, v1, s0
	v_mul_lo_u32 v6, v1, s1
	v_lshrrev_b32_e32 v1, s13, v4
	v_mul_lo_u32 v4, v1, s11
	v_mul_hi_u32 v7, s15, v1
	v_sub_u32_e32 v3, v3, v4
	v_add_u32_e32 v4, v1, v7
	v_lshrrev_b32_e32 v4, s28, v4
	v_mul_hi_u32 v8, s30, v4
	v_mul_lo_u32 v9, v4, s14
	v_mul_lo_u32 v7, v3, s2
	;; [unrolled: 1-line block ×3, first 2 shown]
	v_sub_u32_e32 v9, v1, v9
	v_add_u32_e32 v1, v4, v8
	v_lshrrev_b32_e32 v1, s31, v1
	v_mul_lo_u32 v8, v1, s29
	v_mul_lo_u32 v10, v9, s4
	;; [unrolled: 1-line block ×3, first 2 shown]
	v_add3_u32 v0, v5, v0, v7
	v_sub_u32_e32 v4, v4, v8
	v_mul_lo_u32 v8, v4, s6
	v_mul_lo_u32 v4, v4, s7
	v_add3_u32 v2, v6, v2, v3
	v_add3_u32 v0, v10, v0, v8
	;; [unrolled: 1-line block ×3, first 2 shown]
	s_cbranch_scc0 .LBB173_88
	s_branch .LBB173_93
.LBB173_89:
                                        ; implicit-def: $vgpr0
                                        ; implicit-def: $vgpr2
	s_branch .LBB173_97
.LBB173_90:
                                        ; implicit-def: $sgpr2_sgpr3
	s_branch .LBB173_82
.LBB173_91:
	v_mov_b32_e32 v0, 0
	v_mov_b32_e32 v2, 0
	s_branch .LBB173_96
.LBB173_92:
	s_mov_b32 s61, 0
	v_mov_b32_e32 v0, 0
	v_mov_b32_e32 v2, 0
	;; [unrolled: 1-line block ×3, first 2 shown]
.LBB173_93:
	s_and_b32 s4, s62, 3
	s_cmp_eq_u32 s4, 0
	s_cbranch_scc1 .LBB173_96
; %bb.94:
	s_lshl_b32 s0, s61, 3
	s_add_u32 s0, s34, s0
	s_addc_u32 s1, s35, 0
	s_add_u32 s0, s0, 0xc4
	s_addc_u32 s1, s1, 0
	s_mul_i32 s2, s61, 12
	s_add_u32 s2, s34, s2
	s_addc_u32 s3, s35, 0
.LBB173_95:                             ; =>This Inner Loop Header: Depth=1
	s_load_dwordx2 s[6:7], s[2:3], 0x4
	s_load_dword s5, s[2:3], 0xc
	s_load_dwordx2 s[8:9], s[0:1], 0x0
	s_add_u32 s2, s2, 12
	s_addc_u32 s3, s3, 0
	s_waitcnt lgkmcnt(0)
	v_mul_hi_u32 v3, s7, v1
	s_add_u32 s0, s0, 8
	s_addc_u32 s1, s1, 0
	s_add_i32 s4, s4, -1
	v_add_u32_e32 v3, v1, v3
	v_lshrrev_b32_e32 v4, s5, v3
	v_mul_lo_u32 v3, v4, s6
	s_cmp_lg_u32 s4, 0
	v_sub_u32_e32 v3, v1, v3
	v_mad_u64_u32 v[0:1], s[6:7], v3, s8, v[0:1]
	v_mad_u64_u32 v[2:3], s[6:7], v3, s9, v[2:3]
	v_mov_b32_e32 v1, v4
	s_cbranch_scc1 .LBB173_95
.LBB173_96:
	s_cbranch_execnz .LBB173_99
.LBB173_97:
	v_mul_hi_u32 v0, s21, v18
	s_andn2_b64 vcc, exec, s[44:45]
	v_add_u32_e32 v0, v18, v0
	v_lshrrev_b32_e32 v1, s22, v0
	v_mul_lo_u32 v0, v1, s20
	v_sub_u32_e32 v2, v18, v0
	v_mul_lo_u32 v0, v2, s24
	v_mul_lo_u32 v2, v2, s25
	s_cbranch_vccnz .LBB173_99
; %bb.98:
	v_mul_hi_u32 v3, s42, v1
	v_add_u32_e32 v3, v1, v3
	v_lshrrev_b32_e32 v3, s43, v3
	v_mul_lo_u32 v3, v3, s23
	v_sub_u32_e32 v3, v1, v3
	v_mad_u64_u32 v[0:1], s[0:1], v3, s26, v[0:1]
	v_mad_u64_u32 v[2:3], s[0:1], v3, s27, v[2:3]
.LBB173_99:
	global_load_dword v1, v2, s[18:19]
	s_andn2_b64 vcc, exec, s[40:41]
	s_waitcnt vmcnt(0)
	v_lshlrev_b32_e32 v2, 16, v1
	s_cbranch_vccnz .LBB173_109
; %bb.100:
	v_and_b32_e32 v3, 0xffff0000, v1
	v_cmp_neq_f32_e32 vcc, s57, v2
	v_cmp_neq_f32_e64 s[0:1], s58, v3
	s_or_b64 s[2:3], vcc, s[0:1]
	s_cbranch_execnz .LBB173_102
.LBB173_101:
	v_and_b32_e32 v1, 0xffff0000, v1
	v_cmp_eq_f32_e32 vcc, s57, v2
	v_cmp_eq_f32_e64 s[0:1], s58, v1
	s_and_b64 s[0:1], vcc, s[0:1]
	s_andn2_b64 s[2:3], s[2:3], exec
	s_and_b64 s[0:1], s[0:1], exec
	s_or_b64 s[2:3], s[2:3], s[0:1]
.LBB173_102:
	v_cndmask_b32_e64 v1, 0, 1, s[2:3]
	v_add_u32_e32 v18, 0x80, v18
	global_store_byte v0, v1, s[16:17]
	s_or_b64 exec, exec, s[50:51]
	v_cmp_gt_i32_e32 vcc, s59, v18
	s_and_saveexec_b64 s[50:51], vcc
	s_cbranch_execz .LBB173_7
.LBB173_103:
	s_andn2_b64 vcc, exec, s[36:37]
	s_cbranch_vccnz .LBB173_108
; %bb.104:
	s_andn2_b64 vcc, exec, s[48:49]
	s_cbranch_vccnz .LBB173_110
; %bb.105:
	s_add_i32 s62, s60, 1
	s_cmp_eq_u32 s56, 2
	s_cbranch_scc1 .LBB173_111
; %bb.106:
	s_and_b32 s61, s62, 28
	v_mov_b32_e32 v2, 0
	s_mov_b32 s63, 0
	s_mov_b64 s[52:53], s[34:35]
	s_mov_b64 s[54:55], s[46:47]
	v_mov_b32_e32 v0, 0
	v_mov_b32_e32 v1, v18
.LBB173_107:                            ; =>This Inner Loop Header: Depth=1
	s_load_dwordx8 s[8:15], s[52:53], 0x4
	s_load_dwordx4 s[28:31], s[52:53], 0x24
	s_load_dwordx8 s[0:7], s[54:55], 0x0
	s_add_u32 s52, s52, 48
	s_addc_u32 s53, s53, 0
	s_waitcnt lgkmcnt(0)
	v_mul_hi_u32 v3, s9, v1
	s_add_i32 s63, s63, 4
	s_add_u32 s54, s54, 32
	s_addc_u32 s55, s55, 0
	v_add_u32_e32 v3, v1, v3
	v_lshrrev_b32_e32 v3, s10, v3
	v_mul_lo_u32 v4, v3, s8
	v_mul_hi_u32 v5, s12, v3
	s_cmp_eq_u32 s61, s63
	v_sub_u32_e32 v1, v1, v4
	v_add_u32_e32 v4, v3, v5
	v_mul_lo_u32 v5, v1, s0
	v_mul_lo_u32 v6, v1, s1
	v_lshrrev_b32_e32 v1, s13, v4
	v_mul_lo_u32 v4, v1, s11
	v_mul_hi_u32 v7, s15, v1
	v_sub_u32_e32 v3, v3, v4
	v_add_u32_e32 v4, v1, v7
	v_lshrrev_b32_e32 v4, s28, v4
	v_mul_hi_u32 v8, s30, v4
	v_mul_lo_u32 v9, v4, s14
	v_mul_lo_u32 v7, v3, s2
	v_mul_lo_u32 v3, v3, s3
	v_sub_u32_e32 v9, v1, v9
	v_add_u32_e32 v1, v4, v8
	v_lshrrev_b32_e32 v1, s31, v1
	v_mul_lo_u32 v8, v1, s29
	v_mul_lo_u32 v10, v9, s4
	;; [unrolled: 1-line block ×3, first 2 shown]
	v_add3_u32 v0, v5, v0, v7
	v_sub_u32_e32 v4, v4, v8
	v_mul_lo_u32 v8, v4, s6
	v_mul_lo_u32 v4, v4, s7
	v_add3_u32 v2, v6, v2, v3
	v_add3_u32 v0, v10, v0, v8
	;; [unrolled: 1-line block ×3, first 2 shown]
	s_cbranch_scc0 .LBB173_107
	s_branch .LBB173_112
.LBB173_108:
                                        ; implicit-def: $vgpr0
                                        ; implicit-def: $vgpr2
	s_branch .LBB173_116
.LBB173_109:
                                        ; implicit-def: $sgpr2_sgpr3
	s_branch .LBB173_101
.LBB173_110:
	v_mov_b32_e32 v0, 0
	v_mov_b32_e32 v2, 0
	s_branch .LBB173_115
.LBB173_111:
	s_mov_b32 s61, 0
	v_mov_b32_e32 v0, 0
	v_mov_b32_e32 v2, 0
	v_mov_b32_e32 v1, v18
.LBB173_112:
	s_and_b32 s4, s62, 3
	s_cmp_eq_u32 s4, 0
	s_cbranch_scc1 .LBB173_115
; %bb.113:
	s_lshl_b32 s0, s61, 3
	s_add_u32 s0, s34, s0
	s_addc_u32 s1, s35, 0
	s_add_u32 s0, s0, 0xc4
	s_addc_u32 s1, s1, 0
	s_mul_i32 s2, s61, 12
	s_add_u32 s2, s34, s2
	s_addc_u32 s3, s35, 0
.LBB173_114:                            ; =>This Inner Loop Header: Depth=1
	s_load_dwordx2 s[6:7], s[2:3], 0x4
	s_load_dword s5, s[2:3], 0xc
	s_load_dwordx2 s[8:9], s[0:1], 0x0
	s_add_u32 s2, s2, 12
	s_addc_u32 s3, s3, 0
	s_waitcnt lgkmcnt(0)
	v_mul_hi_u32 v3, s7, v1
	s_add_u32 s0, s0, 8
	s_addc_u32 s1, s1, 0
	s_add_i32 s4, s4, -1
	v_add_u32_e32 v3, v1, v3
	v_lshrrev_b32_e32 v4, s5, v3
	v_mul_lo_u32 v3, v4, s6
	s_cmp_lg_u32 s4, 0
	v_sub_u32_e32 v3, v1, v3
	v_mad_u64_u32 v[0:1], s[6:7], v3, s8, v[0:1]
	v_mad_u64_u32 v[2:3], s[6:7], v3, s9, v[2:3]
	v_mov_b32_e32 v1, v4
	s_cbranch_scc1 .LBB173_114
.LBB173_115:
	s_cbranch_execnz .LBB173_118
.LBB173_116:
	v_mul_hi_u32 v0, s21, v18
	s_andn2_b64 vcc, exec, s[44:45]
	v_add_u32_e32 v0, v18, v0
	v_lshrrev_b32_e32 v1, s22, v0
	v_mul_lo_u32 v0, v1, s20
	v_sub_u32_e32 v2, v18, v0
	v_mul_lo_u32 v0, v2, s24
	v_mul_lo_u32 v2, v2, s25
	s_cbranch_vccnz .LBB173_118
; %bb.117:
	v_mul_hi_u32 v3, s42, v1
	v_add_u32_e32 v3, v1, v3
	v_lshrrev_b32_e32 v3, s43, v3
	v_mul_lo_u32 v3, v3, s23
	v_sub_u32_e32 v3, v1, v3
	v_mad_u64_u32 v[0:1], s[0:1], v3, s26, v[0:1]
	v_mad_u64_u32 v[2:3], s[0:1], v3, s27, v[2:3]
.LBB173_118:
	global_load_dword v1, v2, s[18:19]
	s_andn2_b64 vcc, exec, s[40:41]
	s_waitcnt vmcnt(0)
	v_lshlrev_b32_e32 v2, 16, v1
	s_cbranch_vccnz .LBB173_128
; %bb.119:
	v_and_b32_e32 v3, 0xffff0000, v1
	v_cmp_neq_f32_e32 vcc, s57, v2
	v_cmp_neq_f32_e64 s[0:1], s58, v3
	s_or_b64 s[2:3], vcc, s[0:1]
	s_cbranch_execnz .LBB173_121
.LBB173_120:
	v_and_b32_e32 v1, 0xffff0000, v1
	v_cmp_eq_f32_e32 vcc, s57, v2
	v_cmp_eq_f32_e64 s[0:1], s58, v1
	s_and_b64 s[0:1], vcc, s[0:1]
	s_andn2_b64 s[2:3], s[2:3], exec
	s_and_b64 s[0:1], s[0:1], exec
	s_or_b64 s[2:3], s[2:3], s[0:1]
.LBB173_121:
	v_cndmask_b32_e64 v1, 0, 1, s[2:3]
	v_add_u32_e32 v18, 0x80, v18
	global_store_byte v0, v1, s[16:17]
	s_or_b64 exec, exec, s[50:51]
	v_cmp_gt_i32_e32 vcc, s59, v18
	s_and_saveexec_b64 s[50:51], vcc
	s_cbranch_execz .LBB173_8
.LBB173_122:
	s_andn2_b64 vcc, exec, s[36:37]
	s_cbranch_vccnz .LBB173_127
; %bb.123:
	s_andn2_b64 vcc, exec, s[48:49]
	s_cbranch_vccnz .LBB173_129
; %bb.124:
	s_add_i32 s62, s60, 1
	s_cmp_eq_u32 s56, 2
	s_cbranch_scc1 .LBB173_130
; %bb.125:
	s_and_b32 s61, s62, 28
	v_mov_b32_e32 v2, 0
	s_mov_b32 s63, 0
	s_mov_b64 s[52:53], s[34:35]
	s_mov_b64 s[54:55], s[46:47]
	v_mov_b32_e32 v0, 0
	v_mov_b32_e32 v1, v18
.LBB173_126:                            ; =>This Inner Loop Header: Depth=1
	s_load_dwordx8 s[8:15], s[52:53], 0x4
	s_load_dwordx4 s[28:31], s[52:53], 0x24
	s_load_dwordx8 s[0:7], s[54:55], 0x0
	s_add_u32 s52, s52, 48
	s_addc_u32 s53, s53, 0
	s_waitcnt lgkmcnt(0)
	v_mul_hi_u32 v3, s9, v1
	s_add_i32 s63, s63, 4
	s_add_u32 s54, s54, 32
	s_addc_u32 s55, s55, 0
	v_add_u32_e32 v3, v1, v3
	v_lshrrev_b32_e32 v3, s10, v3
	v_mul_lo_u32 v4, v3, s8
	v_mul_hi_u32 v5, s12, v3
	s_cmp_eq_u32 s61, s63
	v_sub_u32_e32 v1, v1, v4
	v_add_u32_e32 v4, v3, v5
	v_mul_lo_u32 v5, v1, s0
	v_mul_lo_u32 v6, v1, s1
	v_lshrrev_b32_e32 v1, s13, v4
	v_mul_lo_u32 v4, v1, s11
	v_mul_hi_u32 v7, s15, v1
	v_sub_u32_e32 v3, v3, v4
	v_add_u32_e32 v4, v1, v7
	v_lshrrev_b32_e32 v4, s28, v4
	v_mul_hi_u32 v8, s30, v4
	v_mul_lo_u32 v9, v4, s14
	v_mul_lo_u32 v7, v3, s2
	v_mul_lo_u32 v3, v3, s3
	v_sub_u32_e32 v9, v1, v9
	v_add_u32_e32 v1, v4, v8
	v_lshrrev_b32_e32 v1, s31, v1
	v_mul_lo_u32 v8, v1, s29
	v_mul_lo_u32 v10, v9, s4
	;; [unrolled: 1-line block ×3, first 2 shown]
	v_add3_u32 v0, v5, v0, v7
	v_sub_u32_e32 v4, v4, v8
	v_mul_lo_u32 v8, v4, s6
	v_mul_lo_u32 v4, v4, s7
	v_add3_u32 v2, v6, v2, v3
	v_add3_u32 v0, v10, v0, v8
	;; [unrolled: 1-line block ×3, first 2 shown]
	s_cbranch_scc0 .LBB173_126
	s_branch .LBB173_131
.LBB173_127:
                                        ; implicit-def: $vgpr0
                                        ; implicit-def: $vgpr2
	s_branch .LBB173_135
.LBB173_128:
                                        ; implicit-def: $sgpr2_sgpr3
	s_branch .LBB173_120
.LBB173_129:
	v_mov_b32_e32 v0, 0
	v_mov_b32_e32 v2, 0
	s_branch .LBB173_134
.LBB173_130:
	s_mov_b32 s61, 0
	v_mov_b32_e32 v0, 0
	v_mov_b32_e32 v2, 0
	;; [unrolled: 1-line block ×3, first 2 shown]
.LBB173_131:
	s_and_b32 s4, s62, 3
	s_cmp_eq_u32 s4, 0
	s_cbranch_scc1 .LBB173_134
; %bb.132:
	s_lshl_b32 s0, s61, 3
	s_add_u32 s0, s34, s0
	s_addc_u32 s1, s35, 0
	s_add_u32 s0, s0, 0xc4
	s_addc_u32 s1, s1, 0
	s_mul_i32 s2, s61, 12
	s_add_u32 s2, s34, s2
	s_addc_u32 s3, s35, 0
.LBB173_133:                            ; =>This Inner Loop Header: Depth=1
	s_load_dwordx2 s[6:7], s[2:3], 0x4
	s_load_dword s5, s[2:3], 0xc
	s_load_dwordx2 s[8:9], s[0:1], 0x0
	s_add_u32 s2, s2, 12
	s_addc_u32 s3, s3, 0
	s_waitcnt lgkmcnt(0)
	v_mul_hi_u32 v3, s7, v1
	s_add_u32 s0, s0, 8
	s_addc_u32 s1, s1, 0
	s_add_i32 s4, s4, -1
	v_add_u32_e32 v3, v1, v3
	v_lshrrev_b32_e32 v4, s5, v3
	v_mul_lo_u32 v3, v4, s6
	s_cmp_lg_u32 s4, 0
	v_sub_u32_e32 v3, v1, v3
	v_mad_u64_u32 v[0:1], s[6:7], v3, s8, v[0:1]
	v_mad_u64_u32 v[2:3], s[6:7], v3, s9, v[2:3]
	v_mov_b32_e32 v1, v4
	s_cbranch_scc1 .LBB173_133
.LBB173_134:
	s_cbranch_execnz .LBB173_137
.LBB173_135:
	v_mul_hi_u32 v0, s21, v18
	s_andn2_b64 vcc, exec, s[44:45]
	v_add_u32_e32 v0, v18, v0
	v_lshrrev_b32_e32 v1, s22, v0
	v_mul_lo_u32 v0, v1, s20
	v_sub_u32_e32 v2, v18, v0
	v_mul_lo_u32 v0, v2, s24
	v_mul_lo_u32 v2, v2, s25
	s_cbranch_vccnz .LBB173_137
; %bb.136:
	v_mul_hi_u32 v3, s42, v1
	v_add_u32_e32 v3, v1, v3
	v_lshrrev_b32_e32 v3, s43, v3
	v_mul_lo_u32 v3, v3, s23
	v_sub_u32_e32 v3, v1, v3
	v_mad_u64_u32 v[0:1], s[0:1], v3, s26, v[0:1]
	v_mad_u64_u32 v[2:3], s[0:1], v3, s27, v[2:3]
.LBB173_137:
	global_load_dword v1, v2, s[18:19]
	s_andn2_b64 vcc, exec, s[40:41]
	s_waitcnt vmcnt(0)
	v_lshlrev_b32_e32 v2, 16, v1
	s_cbranch_vccnz .LBB173_147
; %bb.138:
	v_and_b32_e32 v3, 0xffff0000, v1
	v_cmp_neq_f32_e32 vcc, s57, v2
	v_cmp_neq_f32_e64 s[0:1], s58, v3
	s_or_b64 s[2:3], vcc, s[0:1]
	s_cbranch_execnz .LBB173_140
.LBB173_139:
	v_and_b32_e32 v1, 0xffff0000, v1
	v_cmp_eq_f32_e32 vcc, s57, v2
	v_cmp_eq_f32_e64 s[0:1], s58, v1
	s_and_b64 s[0:1], vcc, s[0:1]
	s_andn2_b64 s[2:3], s[2:3], exec
	s_and_b64 s[0:1], s[0:1], exec
	s_or_b64 s[2:3], s[2:3], s[0:1]
.LBB173_140:
	v_cndmask_b32_e64 v1, 0, 1, s[2:3]
	v_add_u32_e32 v18, 0x80, v18
	global_store_byte v0, v1, s[16:17]
	s_or_b64 exec, exec, s[50:51]
	v_cmp_gt_i32_e32 vcc, s59, v18
	s_and_saveexec_b64 s[50:51], vcc
	s_cbranch_execz .LBB173_160
.LBB173_141:
	s_andn2_b64 vcc, exec, s[36:37]
	s_cbranch_vccnz .LBB173_146
; %bb.142:
	s_andn2_b64 vcc, exec, s[48:49]
	s_cbranch_vccnz .LBB173_148
; %bb.143:
	s_add_i32 s60, s60, 1
	s_cmp_eq_u32 s56, 2
	s_cbranch_scc1 .LBB173_149
; %bb.144:
	s_and_b32 s52, s60, 28
	v_mov_b32_e32 v2, 0
	s_mov_b32 s53, 0
	s_mov_b64 s[48:49], s[34:35]
	v_mov_b32_e32 v0, 0
	v_mov_b32_e32 v1, v18
.LBB173_145:                            ; =>This Inner Loop Header: Depth=1
	s_load_dwordx8 s[8:15], s[48:49], 0x4
	s_load_dwordx4 s[28:31], s[48:49], 0x24
	s_load_dwordx8 s[0:7], s[46:47], 0x0
	s_add_u32 s48, s48, 48
	s_addc_u32 s49, s49, 0
	s_waitcnt lgkmcnt(0)
	v_mul_hi_u32 v3, s9, v1
	s_add_i32 s53, s53, 4
	s_add_u32 s46, s46, 32
	s_addc_u32 s47, s47, 0
	v_add_u32_e32 v3, v1, v3
	v_lshrrev_b32_e32 v3, s10, v3
	v_mul_lo_u32 v4, v3, s8
	v_mul_hi_u32 v5, s12, v3
	s_cmp_eq_u32 s52, s53
	v_sub_u32_e32 v1, v1, v4
	v_add_u32_e32 v4, v3, v5
	v_mul_lo_u32 v5, v1, s0
	v_mul_lo_u32 v6, v1, s1
	v_lshrrev_b32_e32 v1, s13, v4
	v_mul_lo_u32 v4, v1, s11
	v_mul_hi_u32 v7, s15, v1
	v_sub_u32_e32 v3, v3, v4
	v_add_u32_e32 v4, v1, v7
	v_lshrrev_b32_e32 v4, s28, v4
	v_mul_hi_u32 v8, s30, v4
	v_mul_lo_u32 v9, v4, s14
	v_mul_lo_u32 v7, v3, s2
	;; [unrolled: 1-line block ×3, first 2 shown]
	v_sub_u32_e32 v9, v1, v9
	v_add_u32_e32 v1, v4, v8
	v_lshrrev_b32_e32 v1, s31, v1
	v_mul_lo_u32 v8, v1, s29
	v_mul_lo_u32 v10, v9, s4
	;; [unrolled: 1-line block ×3, first 2 shown]
	v_add3_u32 v0, v5, v0, v7
	v_sub_u32_e32 v4, v4, v8
	v_mul_lo_u32 v8, v4, s6
	v_mul_lo_u32 v4, v4, s7
	v_add3_u32 v2, v6, v2, v3
	v_add3_u32 v0, v10, v0, v8
	v_add3_u32 v2, v9, v2, v4
	s_cbranch_scc0 .LBB173_145
	s_branch .LBB173_150
.LBB173_146:
                                        ; implicit-def: $vgpr0
                                        ; implicit-def: $vgpr2
	s_branch .LBB173_154
.LBB173_147:
                                        ; implicit-def: $sgpr2_sgpr3
	s_branch .LBB173_139
.LBB173_148:
	v_mov_b32_e32 v0, 0
	v_mov_b32_e32 v2, 0
	s_branch .LBB173_153
.LBB173_149:
	s_mov_b32 s52, 0
	v_mov_b32_e32 v0, 0
	v_mov_b32_e32 v2, 0
	v_mov_b32_e32 v1, v18
.LBB173_150:
	s_and_b32 s4, s60, 3
	s_cmp_eq_u32 s4, 0
	s_cbranch_scc1 .LBB173_153
; %bb.151:
	s_lshl_b32 s0, s52, 3
	s_add_u32 s0, s34, s0
	s_addc_u32 s1, s35, 0
	s_add_u32 s0, s0, 0xc4
	s_addc_u32 s1, s1, 0
	s_mul_i32 s2, s52, 12
	s_add_u32 s2, s34, s2
	s_addc_u32 s3, s35, 0
.LBB173_152:                            ; =>This Inner Loop Header: Depth=1
	s_load_dwordx2 s[6:7], s[2:3], 0x4
	s_load_dword s5, s[2:3], 0xc
	s_load_dwordx2 s[8:9], s[0:1], 0x0
	s_add_u32 s2, s2, 12
	s_addc_u32 s3, s3, 0
	s_waitcnt lgkmcnt(0)
	v_mul_hi_u32 v3, s7, v1
	s_add_u32 s0, s0, 8
	s_addc_u32 s1, s1, 0
	s_add_i32 s4, s4, -1
	v_add_u32_e32 v3, v1, v3
	v_lshrrev_b32_e32 v4, s5, v3
	v_mul_lo_u32 v3, v4, s6
	s_cmp_lg_u32 s4, 0
	v_sub_u32_e32 v3, v1, v3
	v_mad_u64_u32 v[0:1], s[6:7], v3, s8, v[0:1]
	v_mad_u64_u32 v[2:3], s[6:7], v3, s9, v[2:3]
	v_mov_b32_e32 v1, v4
	s_cbranch_scc1 .LBB173_152
.LBB173_153:
	s_cbranch_execnz .LBB173_156
.LBB173_154:
	v_mul_hi_u32 v0, s21, v18
	s_andn2_b64 vcc, exec, s[44:45]
	v_add_u32_e32 v0, v18, v0
	v_lshrrev_b32_e32 v1, s22, v0
	v_mul_lo_u32 v0, v1, s20
	v_sub_u32_e32 v2, v18, v0
	v_mul_lo_u32 v0, v2, s24
	v_mul_lo_u32 v2, v2, s25
	s_cbranch_vccnz .LBB173_156
; %bb.155:
	v_mul_hi_u32 v3, s42, v1
	v_add_u32_e32 v3, v1, v3
	v_lshrrev_b32_e32 v3, s43, v3
	v_mul_lo_u32 v3, v3, s23
	v_sub_u32_e32 v3, v1, v3
	v_mad_u64_u32 v[0:1], s[0:1], v3, s26, v[0:1]
	v_mad_u64_u32 v[2:3], s[0:1], v3, s27, v[2:3]
.LBB173_156:
	global_load_dword v1, v2, s[18:19]
	s_andn2_b64 vcc, exec, s[40:41]
	s_waitcnt vmcnt(0)
	v_lshlrev_b32_e32 v2, 16, v1
	s_cbranch_vccnz .LBB173_170
; %bb.157:
	v_and_b32_e32 v3, 0xffff0000, v1
	v_cmp_neq_f32_e32 vcc, s57, v2
	v_cmp_neq_f32_e64 s[0:1], s58, v3
	s_or_b64 s[2:3], vcc, s[0:1]
	s_cbranch_execnz .LBB173_159
.LBB173_158:
	v_and_b32_e32 v1, 0xffff0000, v1
	v_cmp_eq_f32_e32 vcc, s57, v2
	v_cmp_eq_f32_e64 s[0:1], s58, v1
	s_and_b64 s[0:1], vcc, s[0:1]
	s_andn2_b64 s[2:3], s[2:3], exec
	s_and_b64 s[0:1], s[0:1], exec
	s_or_b64 s[2:3], s[2:3], s[0:1]
.LBB173_159:
	v_cndmask_b32_e64 v1, 0, 1, s[2:3]
	global_store_byte v0, v1, s[16:17]
.LBB173_160:
	s_or_b64 exec, exec, s[50:51]
                                        ; implicit-def: $vgpr24
                                        ; implicit-def: $vgpr18
.LBB173_161:
	s_andn2_saveexec_b64 s[0:1], s[38:39]
	s_cbranch_execz .LBB173_168
; %bb.162:
	v_cndmask_b32_e64 v0, 0, 1, s[36:37]
	v_cmp_ne_u32_e64 s[0:1], 1, v0
	s_andn2_b64 vcc, exec, s[36:37]
	s_cbranch_vccnz .LBB173_169
; %bb.163:
	s_cmp_lg_u32 s33, 0
	s_mov_b32 s26, 0
	s_cbranch_scc0 .LBB173_171
; %bb.164:
	s_min_u32 s27, s56, 15
	s_add_i32 s27, s27, 1
	s_cmp_eq_u32 s56, 2
	s_cbranch_scc1 .LBB173_172
; %bb.165:
	s_and_b32 s26, s27, 28
	s_add_u32 s2, s34, 0xc4
	s_addc_u32 s3, s35, 0
	v_mov_b32_e32 v3, 0
	s_mov_b32 s28, 0
	s_mov_b64 s[24:25], s[34:35]
	v_mov_b32_e32 v0, 0
	v_mov_b32_e32 v1, v18
.LBB173_166:                            ; =>This Inner Loop Header: Depth=1
	s_load_dwordx8 s[12:19], s[24:25], 0x4
	s_load_dwordx4 s[20:23], s[24:25], 0x24
	s_load_dwordx8 s[4:11], s[2:3], 0x0
	s_add_u32 s24, s24, 48
	s_addc_u32 s25, s25, 0
	s_waitcnt lgkmcnt(0)
	v_mul_hi_u32 v2, s13, v1
	s_add_i32 s28, s28, 4
	s_add_u32 s2, s2, 32
	s_addc_u32 s3, s3, 0
	v_add_u32_e32 v2, v1, v2
	v_lshrrev_b32_e32 v2, s14, v2
	v_mul_lo_u32 v4, v2, s12
	v_mul_hi_u32 v5, s16, v2
	s_cmp_lg_u32 s26, s28
	v_sub_u32_e32 v1, v1, v4
	v_add_u32_e32 v4, v2, v5
	v_mul_lo_u32 v5, v1, s4
	v_mul_lo_u32 v6, v1, s5
	v_lshrrev_b32_e32 v1, s17, v4
	v_mul_lo_u32 v4, v1, s15
	v_mul_hi_u32 v7, s19, v1
	v_sub_u32_e32 v2, v2, v4
	v_add_u32_e32 v4, v1, v7
	v_lshrrev_b32_e32 v4, s20, v4
	v_mul_hi_u32 v8, s22, v4
	v_mul_lo_u32 v9, v4, s18
	v_mul_lo_u32 v7, v2, s6
	;; [unrolled: 1-line block ×3, first 2 shown]
	v_sub_u32_e32 v9, v1, v9
	v_add_u32_e32 v1, v4, v8
	v_lshrrev_b32_e32 v1, s23, v1
	v_mul_lo_u32 v8, v1, s21
	v_mul_lo_u32 v10, v9, s8
	;; [unrolled: 1-line block ×3, first 2 shown]
	v_add3_u32 v0, v5, v0, v7
	v_sub_u32_e32 v4, v4, v8
	v_mul_lo_u32 v8, v4, s10
	v_mul_lo_u32 v4, v4, s11
	v_add3_u32 v2, v6, v3, v2
	v_add3_u32 v0, v10, v0, v8
	;; [unrolled: 1-line block ×3, first 2 shown]
	s_cbranch_scc1 .LBB173_166
; %bb.167:
	s_and_b32 s6, s27, 3
	s_cmp_eq_u32 s6, 0
	s_cbranch_scc0 .LBB173_173
	s_branch .LBB173_175
.LBB173_168:
	s_endpgm
.LBB173_169:
                                        ; implicit-def: $vgpr0
                                        ; implicit-def: $vgpr3
	s_branch .LBB173_176
.LBB173_170:
                                        ; implicit-def: $sgpr2_sgpr3
	s_branch .LBB173_158
.LBB173_171:
	v_mov_b32_e32 v0, 0
	v_mov_b32_e32 v3, 0
	s_branch .LBB173_175
.LBB173_172:
	v_mov_b32_e32 v0, 0
	v_mov_b32_e32 v3, 0
	v_mov_b32_e32 v1, v18
	s_and_b32 s6, s27, 3
	s_cmp_eq_u32 s6, 0
	s_cbranch_scc1 .LBB173_175
.LBB173_173:
	s_lshl_b32 s2, s26, 3
	s_add_u32 s2, s34, s2
	s_addc_u32 s3, s35, 0
	s_add_u32 s2, s2, 0xc4
	s_addc_u32 s3, s3, 0
	s_mul_i32 s4, s26, 12
	s_add_u32 s4, s34, s4
	s_addc_u32 s5, s35, 0
.LBB173_174:                            ; =>This Inner Loop Header: Depth=1
	s_load_dwordx2 s[8:9], s[4:5], 0x4
	s_load_dword s7, s[4:5], 0xc
	s_load_dwordx2 s[10:11], s[2:3], 0x0
	s_add_u32 s4, s4, 12
	s_addc_u32 s5, s5, 0
	s_waitcnt lgkmcnt(0)
	v_mul_hi_u32 v2, s9, v1
	s_add_u32 s2, s2, 8
	s_addc_u32 s3, s3, 0
	s_add_i32 s6, s6, -1
	v_add_u32_e32 v2, v1, v2
	v_lshrrev_b32_e32 v2, s7, v2
	v_mul_lo_u32 v4, v2, s8
	s_cmp_lg_u32 s6, 0
	v_sub_u32_e32 v4, v1, v4
	v_mad_u64_u32 v[0:1], s[8:9], v4, s10, v[0:1]
	v_mad_u64_u32 v[3:4], s[8:9], v4, s11, v[3:4]
	v_mov_b32_e32 v1, v2
	s_cbranch_scc1 .LBB173_174
.LBB173_175:
	s_cbranch_execnz .LBB173_178
.LBB173_176:
	s_load_dwordx4 s[4:7], s[34:35], 0x4
	s_load_dwordx2 s[2:3], s[34:35], 0xc4
	s_cmp_lt_u32 s33, 2
	s_waitcnt lgkmcnt(0)
	v_mul_hi_u32 v0, s5, v18
	v_add_u32_e32 v0, v18, v0
	v_lshrrev_b32_e32 v1, s6, v0
	v_mul_lo_u32 v0, v1, s4
	v_sub_u32_e32 v2, v18, v0
	v_mul_lo_u32 v0, v2, s2
	v_mul_lo_u32 v3, v2, s3
	s_cbranch_scc1 .LBB173_178
; %bb.177:
	s_load_dwordx4 s[4:7], s[34:35], 0x10
	s_load_dwordx2 s[2:3], s[34:35], 0xcc
	s_waitcnt lgkmcnt(0)
	v_mul_hi_u32 v2, s5, v1
	v_add_u32_e32 v2, v1, v2
	v_lshrrev_b32_e32 v2, s6, v2
	v_mul_lo_u32 v2, v2, s4
	v_sub_u32_e32 v2, v1, v2
	v_mad_u64_u32 v[0:1], s[4:5], v2, s2, v[0:1]
	v_mad_u64_u32 v[3:4], s[2:3], v2, s3, v[3:4]
.LBB173_178:
	s_and_b64 vcc, exec, s[0:1]
	v_add_u32_e32 v4, 0x80, v18
	s_cbranch_vccnz .LBB173_184
; %bb.179:
	s_cmp_lg_u32 s33, 0
	s_mov_b32 s26, 0
	s_cbranch_scc0 .LBB173_185
; %bb.180:
	s_min_u32 s27, s56, 15
	s_add_i32 s27, s27, 1
	s_cmp_eq_u32 s56, 2
	s_cbranch_scc1 .LBB173_186
; %bb.181:
	s_and_b32 s26, s27, 28
	s_add_u32 s2, s34, 0xc4
	s_addc_u32 s3, s35, 0
	v_mov_b32_e32 v6, 0
	s_mov_b32 s28, 0
	s_mov_b64 s[24:25], s[34:35]
	v_mov_b32_e32 v1, 0
	v_mov_b32_e32 v2, v4
.LBB173_182:                            ; =>This Inner Loop Header: Depth=1
	s_load_dwordx8 s[12:19], s[24:25], 0x4
	s_load_dwordx4 s[20:23], s[24:25], 0x24
	s_load_dwordx8 s[4:11], s[2:3], 0x0
	s_add_u32 s24, s24, 48
	s_addc_u32 s25, s25, 0
	s_waitcnt lgkmcnt(0)
	v_mul_hi_u32 v5, s13, v2
	s_add_i32 s28, s28, 4
	s_add_u32 s2, s2, 32
	s_addc_u32 s3, s3, 0
	v_add_u32_e32 v5, v2, v5
	v_lshrrev_b32_e32 v5, s14, v5
	v_mul_lo_u32 v7, v5, s12
	v_mul_hi_u32 v8, s16, v5
	s_cmp_lg_u32 s26, s28
	v_sub_u32_e32 v2, v2, v7
	v_add_u32_e32 v7, v5, v8
	v_mul_lo_u32 v8, v2, s4
	v_mul_lo_u32 v9, v2, s5
	v_lshrrev_b32_e32 v2, s17, v7
	v_mul_lo_u32 v7, v2, s15
	v_mul_hi_u32 v10, s19, v2
	v_sub_u32_e32 v5, v5, v7
	v_add_u32_e32 v7, v2, v10
	v_lshrrev_b32_e32 v7, s20, v7
	v_mul_hi_u32 v11, s22, v7
	v_mul_lo_u32 v12, v7, s18
	v_mul_lo_u32 v10, v5, s6
	;; [unrolled: 1-line block ×3, first 2 shown]
	v_sub_u32_e32 v12, v2, v12
	v_add_u32_e32 v2, v7, v11
	v_lshrrev_b32_e32 v2, s23, v2
	v_mul_lo_u32 v11, v2, s21
	v_mul_lo_u32 v13, v12, s8
	;; [unrolled: 1-line block ×3, first 2 shown]
	v_add3_u32 v1, v8, v1, v10
	v_sub_u32_e32 v7, v7, v11
	v_mul_lo_u32 v11, v7, s10
	v_mul_lo_u32 v7, v7, s11
	v_add3_u32 v5, v9, v6, v5
	v_add3_u32 v1, v13, v1, v11
	;; [unrolled: 1-line block ×3, first 2 shown]
	s_cbranch_scc1 .LBB173_182
; %bb.183:
	s_and_b32 s6, s27, 3
	s_cmp_eq_u32 s6, 0
	s_cbranch_scc0 .LBB173_187
	s_branch .LBB173_189
.LBB173_184:
                                        ; implicit-def: $vgpr1
                                        ; implicit-def: $vgpr6
	s_branch .LBB173_190
.LBB173_185:
	v_mov_b32_e32 v1, 0
	v_mov_b32_e32 v6, 0
	s_branch .LBB173_189
.LBB173_186:
	v_mov_b32_e32 v1, 0
	v_mov_b32_e32 v6, 0
	;; [unrolled: 1-line block ×3, first 2 shown]
	s_and_b32 s6, s27, 3
	s_cmp_eq_u32 s6, 0
	s_cbranch_scc1 .LBB173_189
.LBB173_187:
	s_lshl_b32 s2, s26, 3
	s_add_u32 s2, s34, s2
	s_addc_u32 s3, s35, 0
	s_add_u32 s2, s2, 0xc4
	s_addc_u32 s3, s3, 0
	s_mul_i32 s4, s26, 12
	s_add_u32 s4, s34, s4
	s_addc_u32 s5, s35, 0
.LBB173_188:                            ; =>This Inner Loop Header: Depth=1
	s_load_dwordx2 s[8:9], s[4:5], 0x4
	s_load_dword s7, s[4:5], 0xc
	s_load_dwordx2 s[10:11], s[2:3], 0x0
	s_add_u32 s4, s4, 12
	s_addc_u32 s5, s5, 0
	s_waitcnt lgkmcnt(0)
	v_mul_hi_u32 v5, s9, v2
	s_add_u32 s2, s2, 8
	s_addc_u32 s3, s3, 0
	s_add_i32 s6, s6, -1
	v_add_u32_e32 v5, v2, v5
	v_lshrrev_b32_e32 v5, s7, v5
	v_mul_lo_u32 v7, v5, s8
	s_cmp_lg_u32 s6, 0
	v_sub_u32_e32 v7, v2, v7
	v_mad_u64_u32 v[1:2], s[8:9], v7, s10, v[1:2]
	v_mad_u64_u32 v[6:7], s[8:9], v7, s11, v[6:7]
	v_mov_b32_e32 v2, v5
	s_cbranch_scc1 .LBB173_188
.LBB173_189:
	s_cbranch_execnz .LBB173_192
.LBB173_190:
	s_load_dwordx4 s[4:7], s[34:35], 0x4
	s_load_dwordx2 s[2:3], s[34:35], 0xc4
	s_cmp_lt_u32 s33, 2
	s_waitcnt lgkmcnt(0)
	v_mul_hi_u32 v1, s5, v4
	v_add_u32_e32 v1, v4, v1
	v_lshrrev_b32_e32 v2, s6, v1
	v_mul_lo_u32 v1, v2, s4
	v_sub_u32_e32 v4, v4, v1
	v_mul_lo_u32 v1, v4, s2
	v_mul_lo_u32 v6, v4, s3
	s_cbranch_scc1 .LBB173_192
; %bb.191:
	s_load_dwordx4 s[4:7], s[34:35], 0x10
	s_load_dwordx2 s[2:3], s[34:35], 0xcc
	s_waitcnt lgkmcnt(0)
	v_mul_hi_u32 v4, s5, v2
	v_add_u32_e32 v4, v2, v4
	v_lshrrev_b32_e32 v4, s6, v4
	v_mul_lo_u32 v4, v4, s4
	v_sub_u32_e32 v4, v2, v4
	v_mad_u64_u32 v[1:2], s[4:5], v4, s2, v[1:2]
	v_mad_u64_u32 v[6:7], s[2:3], v4, s3, v[6:7]
.LBB173_192:
	s_and_b64 vcc, exec, s[0:1]
	v_add_u32_e32 v2, 0x100, v18
	s_cbranch_vccnz .LBB173_198
; %bb.193:
	s_cmp_lg_u32 s33, 0
	s_mov_b32 s26, 0
	s_cbranch_scc0 .LBB173_199
; %bb.194:
	s_min_u32 s27, s56, 15
	s_add_i32 s27, s27, 1
	s_cmp_eq_u32 s56, 2
	s_cbranch_scc1 .LBB173_200
; %bb.195:
	s_and_b32 s26, s27, 28
	s_add_u32 s2, s34, 0xc4
	s_addc_u32 s3, s35, 0
	v_mov_b32_e32 v7, 0
	s_mov_b32 s28, 0
	s_mov_b64 s[24:25], s[34:35]
	v_mov_b32_e32 v4, 0
	v_mov_b32_e32 v5, v2
.LBB173_196:                            ; =>This Inner Loop Header: Depth=1
	s_load_dwordx8 s[12:19], s[24:25], 0x4
	s_load_dwordx4 s[20:23], s[24:25], 0x24
	s_load_dwordx8 s[4:11], s[2:3], 0x0
	s_add_u32 s24, s24, 48
	s_addc_u32 s25, s25, 0
	s_waitcnt lgkmcnt(0)
	v_mul_hi_u32 v8, s13, v5
	s_add_i32 s28, s28, 4
	s_add_u32 s2, s2, 32
	s_addc_u32 s3, s3, 0
	v_add_u32_e32 v8, v5, v8
	v_lshrrev_b32_e32 v8, s14, v8
	v_mul_lo_u32 v9, v8, s12
	v_mul_hi_u32 v10, s16, v8
	s_cmp_lg_u32 s26, s28
	v_sub_u32_e32 v5, v5, v9
	v_add_u32_e32 v9, v8, v10
	v_mul_lo_u32 v10, v5, s4
	v_mul_lo_u32 v11, v5, s5
	v_lshrrev_b32_e32 v5, s17, v9
	v_mul_lo_u32 v9, v5, s15
	v_mul_hi_u32 v12, s19, v5
	v_sub_u32_e32 v8, v8, v9
	v_add_u32_e32 v9, v5, v12
	v_lshrrev_b32_e32 v9, s20, v9
	v_mul_hi_u32 v13, s22, v9
	v_mul_lo_u32 v14, v9, s18
	v_mul_lo_u32 v12, v8, s6
	;; [unrolled: 1-line block ×3, first 2 shown]
	v_sub_u32_e32 v14, v5, v14
	v_add_u32_e32 v5, v9, v13
	v_lshrrev_b32_e32 v5, s23, v5
	v_mul_lo_u32 v13, v5, s21
	v_mul_lo_u32 v15, v14, s8
	;; [unrolled: 1-line block ×3, first 2 shown]
	v_add3_u32 v4, v10, v4, v12
	v_sub_u32_e32 v9, v9, v13
	v_mul_lo_u32 v13, v9, s10
	v_mul_lo_u32 v9, v9, s11
	v_add3_u32 v7, v11, v7, v8
	v_add3_u32 v4, v15, v4, v13
	;; [unrolled: 1-line block ×3, first 2 shown]
	s_cbranch_scc1 .LBB173_196
; %bb.197:
	s_and_b32 s6, s27, 3
	s_cmp_eq_u32 s6, 0
	s_cbranch_scc0 .LBB173_201
	s_branch .LBB173_203
.LBB173_198:
                                        ; implicit-def: $vgpr4
                                        ; implicit-def: $vgpr7
	s_branch .LBB173_204
.LBB173_199:
	v_mov_b32_e32 v4, 0
	v_mov_b32_e32 v7, 0
	s_branch .LBB173_203
.LBB173_200:
	v_mov_b32_e32 v4, 0
	v_mov_b32_e32 v7, 0
	;; [unrolled: 1-line block ×3, first 2 shown]
	s_and_b32 s6, s27, 3
	s_cmp_eq_u32 s6, 0
	s_cbranch_scc1 .LBB173_203
.LBB173_201:
	s_lshl_b32 s2, s26, 3
	s_add_u32 s2, s34, s2
	s_addc_u32 s3, s35, 0
	s_add_u32 s2, s2, 0xc4
	s_addc_u32 s3, s3, 0
	s_mul_i32 s4, s26, 12
	s_add_u32 s4, s34, s4
	s_addc_u32 s5, s35, 0
.LBB173_202:                            ; =>This Inner Loop Header: Depth=1
	s_load_dwordx2 s[8:9], s[4:5], 0x4
	s_load_dword s7, s[4:5], 0xc
	s_load_dwordx2 s[10:11], s[2:3], 0x0
	s_add_u32 s4, s4, 12
	s_addc_u32 s5, s5, 0
	s_waitcnt lgkmcnt(0)
	v_mul_hi_u32 v8, s9, v5
	s_add_u32 s2, s2, 8
	s_addc_u32 s3, s3, 0
	s_add_i32 s6, s6, -1
	v_add_u32_e32 v8, v5, v8
	v_lshrrev_b32_e32 v9, s7, v8
	v_mul_lo_u32 v8, v9, s8
	s_cmp_lg_u32 s6, 0
	v_sub_u32_e32 v8, v5, v8
	v_mad_u64_u32 v[4:5], s[8:9], v8, s10, v[4:5]
	v_mad_u64_u32 v[7:8], s[8:9], v8, s11, v[7:8]
	v_mov_b32_e32 v5, v9
	s_cbranch_scc1 .LBB173_202
.LBB173_203:
	s_cbranch_execnz .LBB173_206
.LBB173_204:
	s_load_dwordx4 s[4:7], s[34:35], 0x4
	s_load_dwordx2 s[2:3], s[34:35], 0xc4
	s_cmp_lt_u32 s33, 2
	s_waitcnt lgkmcnt(0)
	v_mul_hi_u32 v4, s5, v2
	v_add_u32_e32 v4, v2, v4
	v_lshrrev_b32_e32 v5, s6, v4
	v_mul_lo_u32 v4, v5, s4
	v_sub_u32_e32 v2, v2, v4
	v_mul_lo_u32 v4, v2, s2
	v_mul_lo_u32 v7, v2, s3
	s_cbranch_scc1 .LBB173_206
; %bb.205:
	s_load_dwordx4 s[4:7], s[34:35], 0x10
	s_load_dwordx2 s[2:3], s[34:35], 0xcc
	s_waitcnt lgkmcnt(0)
	v_mul_hi_u32 v2, s5, v5
	v_add_u32_e32 v2, v5, v2
	v_lshrrev_b32_e32 v2, s6, v2
	v_mul_lo_u32 v2, v2, s4
	v_sub_u32_e32 v2, v5, v2
	v_mad_u64_u32 v[4:5], s[4:5], v2, s2, v[4:5]
	v_mad_u64_u32 v[7:8], s[2:3], v2, s3, v[7:8]
.LBB173_206:
	s_and_b64 vcc, exec, s[0:1]
	v_add_u32_e32 v2, 0x180, v18
	s_cbranch_vccnz .LBB173_212
; %bb.207:
	s_cmp_lg_u32 s33, 0
	s_mov_b32 s26, 0
	s_cbranch_scc0 .LBB173_213
; %bb.208:
	s_min_u32 s27, s56, 15
	s_add_i32 s27, s27, 1
	s_cmp_eq_u32 s56, 2
	s_cbranch_scc1 .LBB173_214
; %bb.209:
	s_and_b32 s26, s27, 28
	s_add_u32 s2, s34, 0xc4
	s_addc_u32 s3, s35, 0
	v_mov_b32_e32 v10, 0
	s_mov_b32 s28, 0
	s_mov_b64 s[24:25], s[34:35]
	v_mov_b32_e32 v8, 0
	v_mov_b32_e32 v5, v2
.LBB173_210:                            ; =>This Inner Loop Header: Depth=1
	s_load_dwordx8 s[12:19], s[24:25], 0x4
	s_load_dwordx4 s[20:23], s[24:25], 0x24
	s_load_dwordx8 s[4:11], s[2:3], 0x0
	s_add_u32 s24, s24, 48
	s_addc_u32 s25, s25, 0
	s_waitcnt lgkmcnt(0)
	v_mul_hi_u32 v9, s13, v5
	s_add_i32 s28, s28, 4
	s_add_u32 s2, s2, 32
	s_addc_u32 s3, s3, 0
	v_add_u32_e32 v9, v5, v9
	v_lshrrev_b32_e32 v9, s14, v9
	v_mul_lo_u32 v11, v9, s12
	v_mul_hi_u32 v12, s16, v9
	s_cmp_lg_u32 s26, s28
	v_sub_u32_e32 v5, v5, v11
	v_add_u32_e32 v11, v9, v12
	v_mul_lo_u32 v12, v5, s4
	v_mul_lo_u32 v13, v5, s5
	v_lshrrev_b32_e32 v5, s17, v11
	v_mul_lo_u32 v11, v5, s15
	v_mul_hi_u32 v14, s19, v5
	v_sub_u32_e32 v9, v9, v11
	v_add_u32_e32 v11, v5, v14
	v_lshrrev_b32_e32 v11, s20, v11
	v_mul_hi_u32 v15, s22, v11
	v_mul_lo_u32 v16, v11, s18
	v_mul_lo_u32 v14, v9, s6
	;; [unrolled: 1-line block ×3, first 2 shown]
	v_sub_u32_e32 v16, v5, v16
	v_add_u32_e32 v5, v11, v15
	v_lshrrev_b32_e32 v5, s23, v5
	v_mul_lo_u32 v15, v5, s21
	v_mul_lo_u32 v17, v16, s8
	v_mul_lo_u32 v16, v16, s9
	v_add3_u32 v8, v12, v8, v14
	v_sub_u32_e32 v11, v11, v15
	v_mul_lo_u32 v15, v11, s10
	v_mul_lo_u32 v11, v11, s11
	v_add3_u32 v9, v13, v10, v9
	v_add3_u32 v8, v17, v8, v15
	;; [unrolled: 1-line block ×3, first 2 shown]
	s_cbranch_scc1 .LBB173_210
; %bb.211:
	s_and_b32 s6, s27, 3
	s_cmp_eq_u32 s6, 0
	s_cbranch_scc0 .LBB173_215
	s_branch .LBB173_217
.LBB173_212:
                                        ; implicit-def: $vgpr8
                                        ; implicit-def: $vgpr10
	s_branch .LBB173_218
.LBB173_213:
	v_mov_b32_e32 v8, 0
	v_mov_b32_e32 v10, 0
	s_branch .LBB173_217
.LBB173_214:
	v_mov_b32_e32 v8, 0
	v_mov_b32_e32 v10, 0
	;; [unrolled: 1-line block ×3, first 2 shown]
	s_and_b32 s6, s27, 3
	s_cmp_eq_u32 s6, 0
	s_cbranch_scc1 .LBB173_217
.LBB173_215:
	s_lshl_b32 s2, s26, 3
	s_add_u32 s2, s34, s2
	s_addc_u32 s3, s35, 0
	s_add_u32 s2, s2, 0xc4
	s_addc_u32 s3, s3, 0
	s_mul_i32 s4, s26, 12
	s_add_u32 s4, s34, s4
	s_addc_u32 s5, s35, 0
.LBB173_216:                            ; =>This Inner Loop Header: Depth=1
	s_load_dwordx2 s[8:9], s[4:5], 0x4
	s_load_dword s7, s[4:5], 0xc
	s_load_dwordx2 s[10:11], s[2:3], 0x0
	s_add_u32 s4, s4, 12
	s_addc_u32 s5, s5, 0
	s_waitcnt lgkmcnt(0)
	v_mul_hi_u32 v9, s9, v5
	s_add_u32 s2, s2, 8
	s_addc_u32 s3, s3, 0
	s_add_i32 s6, s6, -1
	v_add_u32_e32 v9, v5, v9
	v_lshrrev_b32_e32 v12, s7, v9
	v_mul_lo_u32 v9, v12, s8
	s_cmp_lg_u32 s6, 0
	v_sub_u32_e32 v5, v5, v9
	v_mad_u64_u32 v[8:9], s[8:9], v5, s10, v[8:9]
	v_mad_u64_u32 v[10:11], s[8:9], v5, s11, v[10:11]
	v_mov_b32_e32 v5, v12
	s_cbranch_scc1 .LBB173_216
.LBB173_217:
	s_cbranch_execnz .LBB173_220
.LBB173_218:
	s_load_dwordx4 s[4:7], s[34:35], 0x4
	s_load_dwordx2 s[2:3], s[34:35], 0xc4
	s_cmp_lt_u32 s33, 2
	s_waitcnt lgkmcnt(0)
	v_mul_hi_u32 v5, s5, v2
	v_add_u32_e32 v5, v2, v5
	v_lshrrev_b32_e32 v5, s6, v5
	v_mul_lo_u32 v8, v5, s4
	v_sub_u32_e32 v2, v2, v8
	v_mul_lo_u32 v8, v2, s2
	v_mul_lo_u32 v10, v2, s3
	s_cbranch_scc1 .LBB173_220
; %bb.219:
	s_load_dwordx4 s[4:7], s[34:35], 0x10
	s_load_dwordx2 s[2:3], s[34:35], 0xcc
	s_waitcnt lgkmcnt(0)
	v_mul_hi_u32 v2, s5, v5
	v_add_u32_e32 v2, v5, v2
	v_lshrrev_b32_e32 v2, s6, v2
	v_mul_lo_u32 v2, v2, s4
	v_sub_u32_e32 v2, v5, v2
	v_mad_u64_u32 v[8:9], s[4:5], v2, s2, v[8:9]
	v_mad_u64_u32 v[10:11], s[2:3], v2, s3, v[10:11]
.LBB173_220:
	s_and_b64 vcc, exec, s[0:1]
	v_add_u32_e32 v2, 0x200, v18
	s_cbranch_vccnz .LBB173_226
; %bb.221:
	s_cmp_lg_u32 s33, 0
	s_mov_b32 s26, 0
	s_cbranch_scc0 .LBB173_227
; %bb.222:
	s_min_u32 s27, s56, 15
	s_add_i32 s27, s27, 1
	s_cmp_eq_u32 s56, 2
	s_cbranch_scc1 .LBB173_228
; %bb.223:
	s_and_b32 s26, s27, 28
	s_add_u32 s2, s34, 0xc4
	s_addc_u32 s3, s35, 0
	v_mov_b32_e32 v13, 0
	s_mov_b32 s28, 0
	s_mov_b64 s[24:25], s[34:35]
	v_mov_b32_e32 v11, 0
	v_mov_b32_e32 v5, v2
.LBB173_224:                            ; =>This Inner Loop Header: Depth=1
	s_load_dwordx8 s[12:19], s[24:25], 0x4
	s_load_dwordx4 s[20:23], s[24:25], 0x24
	s_load_dwordx8 s[4:11], s[2:3], 0x0
	s_add_u32 s24, s24, 48
	s_addc_u32 s25, s25, 0
	s_waitcnt lgkmcnt(0)
	v_mul_hi_u32 v9, s13, v5
	s_add_i32 s28, s28, 4
	s_add_u32 s2, s2, 32
	s_addc_u32 s3, s3, 0
	v_add_u32_e32 v9, v5, v9
	v_lshrrev_b32_e32 v9, s14, v9
	v_mul_lo_u32 v12, v9, s12
	v_mul_hi_u32 v14, s16, v9
	s_cmp_lg_u32 s26, s28
	v_sub_u32_e32 v5, v5, v12
	v_add_u32_e32 v12, v9, v14
	v_mul_lo_u32 v14, v5, s4
	v_mul_lo_u32 v15, v5, s5
	v_lshrrev_b32_e32 v5, s17, v12
	v_mul_lo_u32 v12, v5, s15
	v_mul_hi_u32 v16, s19, v5
	v_sub_u32_e32 v9, v9, v12
	v_add_u32_e32 v12, v5, v16
	v_lshrrev_b32_e32 v12, s20, v12
	v_mul_hi_u32 v17, s22, v12
	v_mul_lo_u32 v19, v12, s18
	v_mul_lo_u32 v16, v9, s6
	v_mul_lo_u32 v9, v9, s7
	v_sub_u32_e32 v19, v5, v19
	v_add_u32_e32 v5, v12, v17
	v_lshrrev_b32_e32 v5, s23, v5
	v_mul_lo_u32 v17, v5, s21
	v_mul_lo_u32 v20, v19, s8
	v_mul_lo_u32 v19, v19, s9
	v_add3_u32 v11, v14, v11, v16
	v_sub_u32_e32 v12, v12, v17
	v_mul_lo_u32 v17, v12, s10
	v_mul_lo_u32 v12, v12, s11
	v_add3_u32 v9, v15, v13, v9
	v_add3_u32 v11, v20, v11, v17
	;; [unrolled: 1-line block ×3, first 2 shown]
	s_cbranch_scc1 .LBB173_224
; %bb.225:
	s_and_b32 s6, s27, 3
	s_cmp_eq_u32 s6, 0
	s_cbranch_scc0 .LBB173_229
	s_branch .LBB173_231
.LBB173_226:
                                        ; implicit-def: $vgpr11
                                        ; implicit-def: $vgpr13
	s_branch .LBB173_232
.LBB173_227:
	v_mov_b32_e32 v11, 0
	v_mov_b32_e32 v13, 0
	s_branch .LBB173_231
.LBB173_228:
	v_mov_b32_e32 v11, 0
	v_mov_b32_e32 v13, 0
	;; [unrolled: 1-line block ×3, first 2 shown]
	s_and_b32 s6, s27, 3
	s_cmp_eq_u32 s6, 0
	s_cbranch_scc1 .LBB173_231
.LBB173_229:
	s_lshl_b32 s2, s26, 3
	s_add_u32 s2, s34, s2
	s_addc_u32 s3, s35, 0
	s_add_u32 s2, s2, 0xc4
	s_addc_u32 s3, s3, 0
	s_mul_i32 s4, s26, 12
	s_add_u32 s4, s34, s4
	s_addc_u32 s5, s35, 0
.LBB173_230:                            ; =>This Inner Loop Header: Depth=1
	s_load_dwordx2 s[8:9], s[4:5], 0x4
	s_load_dword s7, s[4:5], 0xc
	s_load_dwordx2 s[10:11], s[2:3], 0x0
	s_add_u32 s4, s4, 12
	s_addc_u32 s5, s5, 0
	s_waitcnt lgkmcnt(0)
	v_mul_hi_u32 v9, s9, v5
	s_add_u32 s2, s2, 8
	s_addc_u32 s3, s3, 0
	s_add_i32 s6, s6, -1
	v_add_u32_e32 v9, v5, v9
	v_lshrrev_b32_e32 v9, s7, v9
	v_mul_lo_u32 v12, v9, s8
	s_cmp_lg_u32 s6, 0
	v_sub_u32_e32 v5, v5, v12
	v_mad_u64_u32 v[11:12], s[8:9], v5, s10, v[11:12]
	v_mad_u64_u32 v[13:14], s[8:9], v5, s11, v[13:14]
	v_mov_b32_e32 v5, v9
	s_cbranch_scc1 .LBB173_230
.LBB173_231:
	s_cbranch_execnz .LBB173_234
.LBB173_232:
	s_load_dwordx4 s[4:7], s[34:35], 0x4
	s_load_dwordx2 s[2:3], s[34:35], 0xc4
	s_cmp_lt_u32 s33, 2
	s_waitcnt lgkmcnt(0)
	v_mul_hi_u32 v5, s5, v2
	v_add_u32_e32 v5, v2, v5
	v_lshrrev_b32_e32 v5, s6, v5
	v_mul_lo_u32 v9, v5, s4
	v_sub_u32_e32 v2, v2, v9
	v_mul_lo_u32 v11, v2, s2
	v_mul_lo_u32 v13, v2, s3
	s_cbranch_scc1 .LBB173_234
; %bb.233:
	s_load_dwordx4 s[4:7], s[34:35], 0x10
	s_load_dwordx2 s[2:3], s[34:35], 0xcc
	s_waitcnt lgkmcnt(0)
	v_mul_hi_u32 v2, s5, v5
	v_add_u32_e32 v2, v5, v2
	v_lshrrev_b32_e32 v2, s6, v2
	v_mul_lo_u32 v2, v2, s4
	v_sub_u32_e32 v2, v5, v2
	v_mad_u64_u32 v[11:12], s[4:5], v2, s2, v[11:12]
	v_mad_u64_u32 v[13:14], s[2:3], v2, s3, v[13:14]
.LBB173_234:
	s_and_b64 vcc, exec, s[0:1]
	v_add_u32_e32 v2, 0x280, v18
	s_cbranch_vccnz .LBB173_240
; %bb.235:
	s_cmp_lg_u32 s33, 0
	s_mov_b32 s26, 0
	s_cbranch_scc0 .LBB173_241
; %bb.236:
	s_min_u32 s27, s56, 15
	s_add_i32 s27, s27, 1
	s_cmp_eq_u32 s56, 2
	s_cbranch_scc1 .LBB173_242
; %bb.237:
	s_and_b32 s26, s27, 28
	s_add_u32 s2, s34, 0xc4
	s_addc_u32 s3, s35, 0
	v_mov_b32_e32 v16, 0
	s_mov_b32 s28, 0
	s_mov_b64 s[24:25], s[34:35]
	v_mov_b32_e32 v14, 0
	v_mov_b32_e32 v5, v2
.LBB173_238:                            ; =>This Inner Loop Header: Depth=1
	s_load_dwordx8 s[12:19], s[24:25], 0x4
	s_load_dwordx4 s[20:23], s[24:25], 0x24
	s_load_dwordx8 s[4:11], s[2:3], 0x0
	s_add_u32 s24, s24, 48
	s_addc_u32 s25, s25, 0
	s_waitcnt lgkmcnt(0)
	v_mul_hi_u32 v9, s13, v5
	s_add_i32 s28, s28, 4
	s_add_u32 s2, s2, 32
	s_addc_u32 s3, s3, 0
	v_add_u32_e32 v9, v5, v9
	v_lshrrev_b32_e32 v9, s14, v9
	v_mul_lo_u32 v12, v9, s12
	v_mul_hi_u32 v15, s16, v9
	s_cmp_lg_u32 s26, s28
	v_sub_u32_e32 v5, v5, v12
	v_add_u32_e32 v12, v9, v15
	v_mul_lo_u32 v15, v5, s4
	v_mul_lo_u32 v17, v5, s5
	v_lshrrev_b32_e32 v5, s17, v12
	v_mul_lo_u32 v12, v5, s15
	v_mul_hi_u32 v19, s19, v5
	v_sub_u32_e32 v9, v9, v12
	v_add_u32_e32 v12, v5, v19
	v_lshrrev_b32_e32 v12, s20, v12
	v_mul_hi_u32 v20, s22, v12
	v_mul_lo_u32 v21, v12, s18
	v_mul_lo_u32 v19, v9, s6
	v_mul_lo_u32 v9, v9, s7
	v_sub_u32_e32 v21, v5, v21
	v_add_u32_e32 v5, v12, v20
	v_lshrrev_b32_e32 v5, s23, v5
	v_mul_lo_u32 v20, v5, s21
	v_mul_lo_u32 v22, v21, s8
	;; [unrolled: 1-line block ×3, first 2 shown]
	v_add3_u32 v14, v15, v14, v19
	v_sub_u32_e32 v12, v12, v20
	v_mul_lo_u32 v20, v12, s10
	v_mul_lo_u32 v12, v12, s11
	v_add3_u32 v9, v17, v16, v9
	v_add3_u32 v14, v22, v14, v20
	;; [unrolled: 1-line block ×3, first 2 shown]
	s_cbranch_scc1 .LBB173_238
; %bb.239:
	s_and_b32 s6, s27, 3
	s_cmp_eq_u32 s6, 0
	s_cbranch_scc0 .LBB173_243
	s_branch .LBB173_245
.LBB173_240:
                                        ; implicit-def: $vgpr14
                                        ; implicit-def: $vgpr16
	s_branch .LBB173_246
.LBB173_241:
	v_mov_b32_e32 v14, 0
	v_mov_b32_e32 v16, 0
	s_branch .LBB173_245
.LBB173_242:
	v_mov_b32_e32 v14, 0
	v_mov_b32_e32 v16, 0
	;; [unrolled: 1-line block ×3, first 2 shown]
	s_and_b32 s6, s27, 3
	s_cmp_eq_u32 s6, 0
	s_cbranch_scc1 .LBB173_245
.LBB173_243:
	s_lshl_b32 s2, s26, 3
	s_add_u32 s2, s34, s2
	s_addc_u32 s3, s35, 0
	s_add_u32 s2, s2, 0xc4
	s_addc_u32 s3, s3, 0
	s_mul_i32 s4, s26, 12
	s_add_u32 s4, s34, s4
	s_addc_u32 s5, s35, 0
.LBB173_244:                            ; =>This Inner Loop Header: Depth=1
	s_load_dwordx2 s[8:9], s[4:5], 0x4
	s_load_dword s7, s[4:5], 0xc
	s_load_dwordx2 s[10:11], s[2:3], 0x0
	s_add_u32 s4, s4, 12
	s_addc_u32 s5, s5, 0
	s_waitcnt lgkmcnt(0)
	v_mul_hi_u32 v9, s9, v5
	s_add_u32 s2, s2, 8
	s_addc_u32 s3, s3, 0
	s_add_i32 s6, s6, -1
	v_add_u32_e32 v9, v5, v9
	v_lshrrev_b32_e32 v9, s7, v9
	v_mul_lo_u32 v12, v9, s8
	s_cmp_lg_u32 s6, 0
	v_sub_u32_e32 v5, v5, v12
	v_mad_u64_u32 v[14:15], s[8:9], v5, s10, v[14:15]
	v_mad_u64_u32 v[16:17], s[8:9], v5, s11, v[16:17]
	v_mov_b32_e32 v5, v9
	s_cbranch_scc1 .LBB173_244
.LBB173_245:
	s_cbranch_execnz .LBB173_248
.LBB173_246:
	s_load_dwordx4 s[4:7], s[34:35], 0x4
	s_load_dwordx2 s[2:3], s[34:35], 0xc4
	s_cmp_lt_u32 s33, 2
	s_waitcnt lgkmcnt(0)
	v_mul_hi_u32 v5, s5, v2
	v_add_u32_e32 v5, v2, v5
	v_lshrrev_b32_e32 v5, s6, v5
	v_mul_lo_u32 v9, v5, s4
	v_sub_u32_e32 v2, v2, v9
	v_mul_lo_u32 v14, v2, s2
	v_mul_lo_u32 v16, v2, s3
	s_cbranch_scc1 .LBB173_248
; %bb.247:
	s_load_dwordx4 s[4:7], s[34:35], 0x10
	s_load_dwordx2 s[2:3], s[34:35], 0xcc
	s_waitcnt lgkmcnt(0)
	v_mul_hi_u32 v2, s5, v5
	v_add_u32_e32 v2, v5, v2
	v_lshrrev_b32_e32 v2, s6, v2
	v_mul_lo_u32 v2, v2, s4
	v_sub_u32_e32 v2, v5, v2
	v_mad_u64_u32 v[14:15], s[4:5], v2, s2, v[14:15]
	v_mad_u64_u32 v[16:17], s[2:3], v2, s3, v[16:17]
.LBB173_248:
	s_and_b64 vcc, exec, s[0:1]
	v_add_u32_e32 v2, 0x300, v18
	s_cbranch_vccnz .LBB173_254
; %bb.249:
	s_cmp_lg_u32 s33, 0
	s_mov_b32 s26, 0
	s_cbranch_scc0 .LBB173_255
; %bb.250:
	s_min_u32 s27, s56, 15
	s_add_i32 s27, s27, 1
	s_cmp_eq_u32 s56, 2
	s_cbranch_scc1 .LBB173_256
; %bb.251:
	s_and_b32 s26, s27, 28
	s_add_u32 s2, s34, 0xc4
	s_addc_u32 s3, s35, 0
	v_mov_b32_e32 v19, 0
	s_mov_b32 s28, 0
	s_mov_b64 s[24:25], s[34:35]
	v_mov_b32_e32 v17, 0
	v_mov_b32_e32 v5, v2
.LBB173_252:                            ; =>This Inner Loop Header: Depth=1
	s_load_dwordx8 s[12:19], s[24:25], 0x4
	s_load_dwordx4 s[20:23], s[24:25], 0x24
	s_load_dwordx8 s[4:11], s[2:3], 0x0
	s_add_u32 s24, s24, 48
	s_addc_u32 s25, s25, 0
	s_waitcnt lgkmcnt(0)
	v_mul_hi_u32 v9, s13, v5
	s_add_i32 s28, s28, 4
	s_add_u32 s2, s2, 32
	s_addc_u32 s3, s3, 0
	v_add_u32_e32 v9, v5, v9
	v_lshrrev_b32_e32 v9, s14, v9
	v_mul_lo_u32 v12, v9, s12
	v_mul_hi_u32 v15, s16, v9
	s_cmp_lg_u32 s26, s28
	v_sub_u32_e32 v5, v5, v12
	v_add_u32_e32 v12, v9, v15
	v_mul_lo_u32 v15, v5, s4
	v_mul_lo_u32 v18, v5, s5
	v_lshrrev_b32_e32 v5, s17, v12
	v_mul_lo_u32 v12, v5, s15
	v_mul_hi_u32 v20, s19, v5
	v_sub_u32_e32 v9, v9, v12
	v_add_u32_e32 v12, v5, v20
	v_lshrrev_b32_e32 v12, s20, v12
	v_mul_hi_u32 v21, s22, v12
	v_mul_lo_u32 v22, v12, s18
	v_mul_lo_u32 v20, v9, s6
	v_mul_lo_u32 v9, v9, s7
	v_sub_u32_e32 v22, v5, v22
	v_add_u32_e32 v5, v12, v21
	v_lshrrev_b32_e32 v5, s23, v5
	v_mul_lo_u32 v21, v5, s21
	v_mul_lo_u32 v23, v22, s8
	;; [unrolled: 1-line block ×3, first 2 shown]
	v_add3_u32 v15, v15, v17, v20
	v_sub_u32_e32 v12, v12, v21
	v_mul_lo_u32 v21, v12, s10
	v_mul_lo_u32 v12, v12, s11
	v_add3_u32 v9, v18, v19, v9
	v_add3_u32 v17, v23, v15, v21
	;; [unrolled: 1-line block ×3, first 2 shown]
	s_cbranch_scc1 .LBB173_252
; %bb.253:
	s_and_b32 s6, s27, 3
	s_cmp_eq_u32 s6, 0
	s_cbranch_scc0 .LBB173_257
	s_branch .LBB173_259
.LBB173_254:
                                        ; implicit-def: $vgpr17
                                        ; implicit-def: $vgpr19
	s_branch .LBB173_260
.LBB173_255:
	v_mov_b32_e32 v17, 0
	v_mov_b32_e32 v19, 0
	s_branch .LBB173_259
.LBB173_256:
	v_mov_b32_e32 v17, 0
	v_mov_b32_e32 v19, 0
	;; [unrolled: 1-line block ×3, first 2 shown]
	s_and_b32 s6, s27, 3
	s_cmp_eq_u32 s6, 0
	s_cbranch_scc1 .LBB173_259
.LBB173_257:
	s_lshl_b32 s2, s26, 3
	s_add_u32 s2, s34, s2
	s_addc_u32 s3, s35, 0
	s_add_u32 s2, s2, 0xc4
	s_addc_u32 s3, s3, 0
	s_mul_i32 s4, s26, 12
	s_add_u32 s4, s34, s4
	s_addc_u32 s5, s35, 0
.LBB173_258:                            ; =>This Inner Loop Header: Depth=1
	s_load_dwordx2 s[8:9], s[4:5], 0x4
	s_load_dword s7, s[4:5], 0xc
	s_load_dwordx2 s[10:11], s[2:3], 0x0
	s_add_u32 s4, s4, 12
	s_addc_u32 s5, s5, 0
	s_waitcnt lgkmcnt(0)
	v_mul_hi_u32 v9, s9, v5
	s_add_u32 s2, s2, 8
	s_addc_u32 s3, s3, 0
	s_add_i32 s6, s6, -1
	v_add_u32_e32 v9, v5, v9
	v_lshrrev_b32_e32 v9, s7, v9
	v_mul_lo_u32 v12, v9, s8
	s_cmp_lg_u32 s6, 0
	v_sub_u32_e32 v5, v5, v12
	v_mad_u64_u32 v[17:18], s[8:9], v5, s10, v[17:18]
	v_mad_u64_u32 v[19:20], s[8:9], v5, s11, v[19:20]
	v_mov_b32_e32 v5, v9
	s_cbranch_scc1 .LBB173_258
.LBB173_259:
	s_cbranch_execnz .LBB173_262
.LBB173_260:
	s_load_dwordx4 s[4:7], s[34:35], 0x4
	s_load_dwordx2 s[2:3], s[34:35], 0xc4
	s_cmp_lt_u32 s33, 2
	s_waitcnt lgkmcnt(0)
	v_mul_hi_u32 v5, s5, v2
	v_add_u32_e32 v5, v2, v5
	v_lshrrev_b32_e32 v5, s6, v5
	v_mul_lo_u32 v9, v5, s4
	v_sub_u32_e32 v2, v2, v9
	v_mul_lo_u32 v17, v2, s2
	v_mul_lo_u32 v19, v2, s3
	s_cbranch_scc1 .LBB173_262
; %bb.261:
	s_load_dwordx4 s[4:7], s[34:35], 0x10
	s_load_dwordx2 s[2:3], s[34:35], 0xcc
	s_waitcnt lgkmcnt(0)
	v_mul_hi_u32 v2, s5, v5
	v_add_u32_e32 v2, v5, v2
	v_lshrrev_b32_e32 v2, s6, v2
	v_mul_lo_u32 v2, v2, s4
	v_sub_u32_e32 v2, v5, v2
	v_mad_u64_u32 v[17:18], s[4:5], v2, s2, v[17:18]
	v_mad_u64_u32 v[19:20], s[2:3], v2, s3, v[19:20]
.LBB173_262:
	s_and_b64 vcc, exec, s[0:1]
	s_cbranch_vccnz .LBB173_268
; %bb.263:
	s_cmp_lg_u32 s33, 0
	s_mov_b32 s24, 0
	s_cbranch_scc0 .LBB173_269
; %bb.264:
	s_min_u32 s25, s56, 15
	s_add_i32 s25, s25, 1
	s_cmp_eq_u32 s56, 2
	s_cbranch_scc1 .LBB173_270
; %bb.265:
	s_and_b32 s24, s25, 28
	s_add_u32 s20, s34, 0xc4
	s_addc_u32 s21, s35, 0
	v_mov_b32_e32 v22, 0
	s_mov_b32 s26, 0
	s_mov_b64 s[22:23], s[34:35]
	v_mov_b32_e32 v20, 0
	v_mov_b32_e32 v2, v24
.LBB173_266:                            ; =>This Inner Loop Header: Depth=1
	s_load_dwordx8 s[8:15], s[22:23], 0x4
	s_load_dwordx4 s[16:19], s[22:23], 0x24
	s_load_dwordx8 s[0:7], s[20:21], 0x0
	s_add_u32 s22, s22, 48
	s_addc_u32 s23, s23, 0
	s_waitcnt lgkmcnt(0)
	v_mul_hi_u32 v5, s9, v2
	s_add_i32 s26, s26, 4
	s_add_u32 s20, s20, 32
	s_addc_u32 s21, s21, 0
	v_add_u32_e32 v5, v2, v5
	v_lshrrev_b32_e32 v5, s10, v5
	v_mul_lo_u32 v9, v5, s8
	v_mul_hi_u32 v12, s12, v5
	s_cmp_lg_u32 s24, s26
	v_sub_u32_e32 v2, v2, v9
	v_add_u32_e32 v9, v5, v12
	v_mul_lo_u32 v12, v2, s0
	v_mul_lo_u32 v15, v2, s1
	v_lshrrev_b32_e32 v2, s13, v9
	v_mul_lo_u32 v9, v2, s11
	v_mul_hi_u32 v18, s15, v2
	v_sub_u32_e32 v5, v5, v9
	v_add_u32_e32 v9, v2, v18
	v_lshrrev_b32_e32 v9, s16, v9
	v_mul_hi_u32 v21, s18, v9
	v_mul_lo_u32 v23, v9, s14
	v_mul_lo_u32 v18, v5, s2
	;; [unrolled: 1-line block ×3, first 2 shown]
	v_sub_u32_e32 v23, v2, v23
	v_add_u32_e32 v2, v9, v21
	v_lshrrev_b32_e32 v2, s19, v2
	v_mul_lo_u32 v21, v2, s17
	v_mul_lo_u32 v25, v23, s4
	;; [unrolled: 1-line block ×3, first 2 shown]
	v_add3_u32 v12, v12, v20, v18
	v_sub_u32_e32 v9, v9, v21
	v_mul_lo_u32 v21, v9, s6
	v_mul_lo_u32 v9, v9, s7
	v_add3_u32 v5, v15, v22, v5
	v_add3_u32 v20, v25, v12, v21
	;; [unrolled: 1-line block ×3, first 2 shown]
	s_cbranch_scc1 .LBB173_266
; %bb.267:
	s_and_b32 s4, s25, 3
	s_cmp_eq_u32 s4, 0
	s_cbranch_scc0 .LBB173_271
	s_branch .LBB173_273
.LBB173_268:
                                        ; implicit-def: $vgpr20
                                        ; implicit-def: $vgpr22
	s_branch .LBB173_274
.LBB173_269:
	v_mov_b32_e32 v20, 0
	v_mov_b32_e32 v22, 0
	s_branch .LBB173_273
.LBB173_270:
	v_mov_b32_e32 v20, 0
	v_mov_b32_e32 v22, 0
	;; [unrolled: 1-line block ×3, first 2 shown]
	s_and_b32 s4, s25, 3
	s_cmp_eq_u32 s4, 0
	s_cbranch_scc1 .LBB173_273
.LBB173_271:
	s_lshl_b32 s0, s24, 3
	s_add_u32 s0, s34, s0
	s_addc_u32 s1, s35, 0
	s_add_u32 s0, s0, 0xc4
	s_addc_u32 s1, s1, 0
	s_mul_i32 s2, s24, 12
	s_add_u32 s2, s34, s2
	s_addc_u32 s3, s35, 0
.LBB173_272:                            ; =>This Inner Loop Header: Depth=1
	s_load_dwordx2 s[6:7], s[2:3], 0x4
	s_load_dword s5, s[2:3], 0xc
	s_load_dwordx2 s[8:9], s[0:1], 0x0
	s_add_u32 s2, s2, 12
	s_addc_u32 s3, s3, 0
	s_waitcnt lgkmcnt(0)
	v_mul_hi_u32 v5, s7, v2
	s_add_u32 s0, s0, 8
	s_addc_u32 s1, s1, 0
	s_add_i32 s4, s4, -1
	v_add_u32_e32 v5, v2, v5
	v_lshrrev_b32_e32 v5, s5, v5
	v_mul_lo_u32 v9, v5, s6
	s_cmp_lg_u32 s4, 0
	v_sub_u32_e32 v2, v2, v9
	v_mad_u64_u32 v[20:21], s[6:7], v2, s8, v[20:21]
	v_mad_u64_u32 v[22:23], s[6:7], v2, s9, v[22:23]
	v_mov_b32_e32 v2, v5
	s_cbranch_scc1 .LBB173_272
.LBB173_273:
	s_cbranch_execnz .LBB173_276
.LBB173_274:
	s_load_dwordx4 s[0:3], s[34:35], 0x4
	s_load_dwordx2 s[4:5], s[34:35], 0xc4
	s_cmp_lt_u32 s33, 2
	s_waitcnt lgkmcnt(0)
	v_mul_hi_u32 v2, s1, v24
	v_add_u32_e32 v2, v24, v2
	v_lshrrev_b32_e32 v2, s2, v2
	v_mul_lo_u32 v5, v2, s0
	v_sub_u32_e32 v5, v24, v5
	v_mul_lo_u32 v20, v5, s4
	v_mul_lo_u32 v22, v5, s5
	s_cbranch_scc1 .LBB173_276
; %bb.275:
	s_load_dwordx4 s[0:3], s[34:35], 0x10
	s_load_dwordx2 s[4:5], s[34:35], 0xcc
	s_waitcnt lgkmcnt(0)
	v_mul_hi_u32 v5, s1, v2
	v_add_u32_e32 v5, v2, v5
	v_lshrrev_b32_e32 v5, s2, v5
	v_mul_lo_u32 v5, v5, s0
	v_sub_u32_e32 v2, v2, v5
	v_mad_u64_u32 v[20:21], s[0:1], v2, s4, v[20:21]
	v_mad_u64_u32 v[22:23], s[0:1], v2, s5, v[22:23]
.LBB173_276:
	s_load_dwordx4 s[4:7], s[34:35], 0x148
	s_load_dwordx2 s[2:3], s[34:35], 0x158
	s_waitcnt lgkmcnt(0)
	global_load_dword v2, v3, s[6:7]
	s_cmp_lg_u32 s2, 0
	s_cselect_b64 s[10:11], -1, 0
	s_and_b64 vcc, exec, s[10:11]
	s_waitcnt vmcnt(0)
	v_lshlrev_b32_e32 v3, 16, v2
	s_cbranch_vccz .LBB173_301
; %bb.277:
	s_lshl_b32 s0, s3, 16
	v_cmp_neq_f32_e32 vcc, s0, v3
	s_and_b32 s0, s3, 0xffff0000
	v_and_b32_e32 v5, 0xffff0000, v2
	v_cmp_neq_f32_e64 s[0:1], s0, v5
	s_or_b64 s[8:9], vcc, s[0:1]
	s_cbranch_execnz .LBB173_279
.LBB173_278:
	v_and_b32_e32 v2, 0xffff0000, v2
	s_and_b32 s0, s3, 0xffff0000
	s_lshl_b32 s1, s3, 16
	v_cmp_eq_f32_e32 vcc, s1, v3
	v_cmp_eq_f32_e64 s[0:1], s0, v2
	s_and_b64 s[0:1], vcc, s[0:1]
	s_andn2_b64 s[8:9], s[8:9], exec
	s_and_b64 s[0:1], s[0:1], exec
	s_or_b64 s[8:9], s[8:9], s[0:1]
.LBB173_279:
	global_load_dword v2, v6, s[6:7]
	s_and_b64 vcc, exec, s[10:11]
	s_waitcnt vmcnt(0)
	v_lshlrev_b32_e32 v3, 16, v2
	s_cbranch_vccz .LBB173_302
; %bb.280:
	s_lshl_b32 s0, s3, 16
	v_cmp_neq_f32_e32 vcc, s0, v3
	s_and_b32 s0, s3, 0xffff0000
	v_and_b32_e32 v5, 0xffff0000, v2
	v_cmp_neq_f32_e64 s[0:1], s0, v5
	s_or_b64 s[12:13], vcc, s[0:1]
	s_cbranch_execnz .LBB173_282
.LBB173_281:
	v_and_b32_e32 v2, 0xffff0000, v2
	s_and_b32 s0, s3, 0xffff0000
	s_lshl_b32 s1, s3, 16
	v_cmp_eq_f32_e32 vcc, s1, v3
	v_cmp_eq_f32_e64 s[0:1], s0, v2
	s_and_b64 s[0:1], vcc, s[0:1]
	s_andn2_b64 s[12:13], s[12:13], exec
	s_and_b64 s[0:1], s[0:1], exec
	s_or_b64 s[12:13], s[12:13], s[0:1]
.LBB173_282:
	global_load_dword v2, v7, s[6:7]
	s_and_b64 vcc, exec, s[10:11]
	s_waitcnt vmcnt(0)
	v_lshlrev_b32_e32 v3, 16, v2
	s_cbranch_vccz .LBB173_303
; %bb.283:
	s_lshl_b32 s0, s3, 16
	v_cmp_neq_f32_e32 vcc, s0, v3
	s_and_b32 s0, s3, 0xffff0000
	v_and_b32_e32 v5, 0xffff0000, v2
	v_cmp_neq_f32_e64 s[0:1], s0, v5
	s_or_b64 s[14:15], vcc, s[0:1]
	s_cbranch_execnz .LBB173_285
.LBB173_284:
	v_and_b32_e32 v2, 0xffff0000, v2
	s_and_b32 s0, s3, 0xffff0000
	s_lshl_b32 s1, s3, 16
	v_cmp_eq_f32_e32 vcc, s1, v3
	v_cmp_eq_f32_e64 s[0:1], s0, v2
	s_and_b64 s[0:1], vcc, s[0:1]
	s_andn2_b64 s[14:15], s[14:15], exec
	s_and_b64 s[0:1], s[0:1], exec
	s_or_b64 s[14:15], s[14:15], s[0:1]
.LBB173_285:
	global_load_dword v2, v10, s[6:7]
	s_and_b64 vcc, exec, s[10:11]
	s_waitcnt vmcnt(0)
	v_lshlrev_b32_e32 v3, 16, v2
	s_cbranch_vccz .LBB173_304
; %bb.286:
	s_lshl_b32 s0, s3, 16
	v_cmp_neq_f32_e32 vcc, s0, v3
	s_and_b32 s0, s3, 0xffff0000
	v_and_b32_e32 v5, 0xffff0000, v2
	v_cmp_neq_f32_e64 s[0:1], s0, v5
	s_or_b64 s[16:17], vcc, s[0:1]
	s_cbranch_execnz .LBB173_288
.LBB173_287:
	v_and_b32_e32 v2, 0xffff0000, v2
	s_and_b32 s0, s3, 0xffff0000
	s_lshl_b32 s1, s3, 16
	v_cmp_eq_f32_e32 vcc, s1, v3
	v_cmp_eq_f32_e64 s[0:1], s0, v2
	s_and_b64 s[0:1], vcc, s[0:1]
	s_andn2_b64 s[16:17], s[16:17], exec
	s_and_b64 s[0:1], s[0:1], exec
	s_or_b64 s[16:17], s[16:17], s[0:1]
.LBB173_288:
	global_load_dword v2, v13, s[6:7]
	s_and_b64 vcc, exec, s[10:11]
	s_waitcnt vmcnt(0)
	v_lshlrev_b32_e32 v3, 16, v2
	s_cbranch_vccz .LBB173_305
; %bb.289:
	s_lshl_b32 s0, s3, 16
	v_cmp_neq_f32_e32 vcc, s0, v3
	s_and_b32 s0, s3, 0xffff0000
	v_and_b32_e32 v5, 0xffff0000, v2
	v_cmp_neq_f32_e64 s[0:1], s0, v5
	s_or_b64 s[18:19], vcc, s[0:1]
	s_cbranch_execnz .LBB173_291
.LBB173_290:
	v_and_b32_e32 v2, 0xffff0000, v2
	s_and_b32 s0, s3, 0xffff0000
	s_lshl_b32 s1, s3, 16
	v_cmp_eq_f32_e32 vcc, s1, v3
	v_cmp_eq_f32_e64 s[0:1], s0, v2
	s_and_b64 s[0:1], vcc, s[0:1]
	s_andn2_b64 s[18:19], s[18:19], exec
	s_and_b64 s[0:1], s[0:1], exec
	s_or_b64 s[18:19], s[18:19], s[0:1]
.LBB173_291:
	global_load_dword v2, v16, s[6:7]
	s_and_b64 vcc, exec, s[10:11]
	s_waitcnt vmcnt(0)
	v_lshlrev_b32_e32 v3, 16, v2
	s_cbranch_vccz .LBB173_306
; %bb.292:
	s_lshl_b32 s0, s3, 16
	v_cmp_neq_f32_e32 vcc, s0, v3
	s_and_b32 s0, s3, 0xffff0000
	v_and_b32_e32 v5, 0xffff0000, v2
	v_cmp_neq_f32_e64 s[0:1], s0, v5
	s_or_b64 s[20:21], vcc, s[0:1]
	s_cbranch_execnz .LBB173_294
.LBB173_293:
	v_and_b32_e32 v2, 0xffff0000, v2
	s_and_b32 s0, s3, 0xffff0000
	s_lshl_b32 s1, s3, 16
	v_cmp_eq_f32_e32 vcc, s1, v3
	v_cmp_eq_f32_e64 s[0:1], s0, v2
	s_and_b64 s[0:1], vcc, s[0:1]
	s_andn2_b64 s[20:21], s[20:21], exec
	s_and_b64 s[0:1], s[0:1], exec
	s_or_b64 s[20:21], s[20:21], s[0:1]
.LBB173_294:
	global_load_dword v2, v19, s[6:7]
	s_and_b64 vcc, exec, s[10:11]
	s_waitcnt vmcnt(0)
	v_lshlrev_b32_e32 v3, 16, v2
	s_cbranch_vccz .LBB173_307
; %bb.295:
	s_lshl_b32 s0, s3, 16
	v_cmp_neq_f32_e32 vcc, s0, v3
	s_and_b32 s0, s3, 0xffff0000
	v_and_b32_e32 v5, 0xffff0000, v2
	v_cmp_neq_f32_e64 s[0:1], s0, v5
	s_or_b64 s[22:23], vcc, s[0:1]
	s_cbranch_execnz .LBB173_297
.LBB173_296:
	v_and_b32_e32 v2, 0xffff0000, v2
	s_and_b32 s0, s3, 0xffff0000
	s_lshl_b32 s1, s3, 16
	v_cmp_eq_f32_e32 vcc, s1, v3
	v_cmp_eq_f32_e64 s[0:1], s0, v2
	s_and_b64 s[0:1], vcc, s[0:1]
	s_andn2_b64 s[22:23], s[22:23], exec
	s_and_b64 s[0:1], s[0:1], exec
	s_or_b64 s[22:23], s[22:23], s[0:1]
.LBB173_297:
	global_load_dword v2, v22, s[6:7]
	s_and_b64 vcc, exec, s[10:11]
	s_waitcnt vmcnt(0)
	v_lshlrev_b32_e32 v3, 16, v2
	s_cbranch_vccz .LBB173_308
; %bb.298:
	s_lshl_b32 s0, s3, 16
	v_cmp_neq_f32_e32 vcc, s0, v3
	s_and_b32 s0, s3, 0xffff0000
	v_and_b32_e32 v5, 0xffff0000, v2
	v_cmp_neq_f32_e64 s[0:1], s0, v5
	s_or_b64 s[6:7], vcc, s[0:1]
	s_cbranch_execnz .LBB173_300
.LBB173_299:
	v_and_b32_e32 v2, 0xffff0000, v2
	s_and_b32 s0, s3, 0xffff0000
	s_lshl_b32 s1, s3, 16
	v_cmp_eq_f32_e32 vcc, s1, v3
	v_cmp_eq_f32_e64 s[0:1], s0, v2
	s_and_b64 s[0:1], vcc, s[0:1]
	s_andn2_b64 s[2:3], s[6:7], exec
	s_and_b64 s[0:1], s[0:1], exec
	s_or_b64 s[6:7], s[2:3], s[0:1]
.LBB173_300:
	v_cndmask_b32_e64 v10, 0, 1, s[8:9]
	v_cndmask_b32_e64 v2, 0, 1, s[22:23]
	;; [unrolled: 1-line block ×8, first 2 shown]
	global_store_byte v0, v10, s[4:5]
	global_store_byte v1, v9, s[4:5]
	;; [unrolled: 1-line block ×8, first 2 shown]
	s_endpgm
.LBB173_301:
                                        ; implicit-def: $sgpr8_sgpr9
	s_branch .LBB173_278
.LBB173_302:
                                        ; implicit-def: $sgpr12_sgpr13
	s_branch .LBB173_281
.LBB173_303:
                                        ; implicit-def: $sgpr14_sgpr15
	s_branch .LBB173_284
.LBB173_304:
                                        ; implicit-def: $sgpr16_sgpr17
	s_branch .LBB173_287
.LBB173_305:
                                        ; implicit-def: $sgpr18_sgpr19
	s_branch .LBB173_290
.LBB173_306:
                                        ; implicit-def: $sgpr20_sgpr21
	s_branch .LBB173_293
.LBB173_307:
                                        ; implicit-def: $sgpr22_sgpr23
	s_branch .LBB173_296
.LBB173_308:
                                        ; implicit-def: $sgpr6_sgpr7
	s_branch .LBB173_299
	.section	.rodata,"a",@progbits
	.p2align	6, 0x0
	.amdhsa_kernel _ZN2at6native32elementwise_kernel_manual_unrollILi128ELi8EZNS0_22gpu_kernel_impl_nocastINS0_13AUnaryFunctorIN3c107complexINS4_8BFloat16EEES7_bNS0_12_GLOBAL__N_116CompareEqFunctorIS7_EEEEEEvRNS_18TensorIteratorBaseERKT_EUlibE_EEviT1_
		.amdhsa_group_segment_fixed_size 0
		.amdhsa_private_segment_fixed_size 0
		.amdhsa_kernarg_size 360
		.amdhsa_user_sgpr_count 6
		.amdhsa_user_sgpr_private_segment_buffer 1
		.amdhsa_user_sgpr_dispatch_ptr 0
		.amdhsa_user_sgpr_queue_ptr 0
		.amdhsa_user_sgpr_kernarg_segment_ptr 1
		.amdhsa_user_sgpr_dispatch_id 0
		.amdhsa_user_sgpr_flat_scratch_init 0
		.amdhsa_user_sgpr_private_segment_size 0
		.amdhsa_uses_dynamic_stack 0
		.amdhsa_system_sgpr_private_segment_wavefront_offset 0
		.amdhsa_system_sgpr_workgroup_id_x 1
		.amdhsa_system_sgpr_workgroup_id_y 0
		.amdhsa_system_sgpr_workgroup_id_z 0
		.amdhsa_system_sgpr_workgroup_info 0
		.amdhsa_system_vgpr_workitem_id 0
		.amdhsa_next_free_vgpr 26
		.amdhsa_next_free_sgpr 64
		.amdhsa_reserve_vcc 1
		.amdhsa_reserve_flat_scratch 0
		.amdhsa_float_round_mode_32 0
		.amdhsa_float_round_mode_16_64 0
		.amdhsa_float_denorm_mode_32 3
		.amdhsa_float_denorm_mode_16_64 3
		.amdhsa_dx10_clamp 1
		.amdhsa_ieee_mode 1
		.amdhsa_fp16_overflow 0
		.amdhsa_exception_fp_ieee_invalid_op 0
		.amdhsa_exception_fp_denorm_src 0
		.amdhsa_exception_fp_ieee_div_zero 0
		.amdhsa_exception_fp_ieee_overflow 0
		.amdhsa_exception_fp_ieee_underflow 0
		.amdhsa_exception_fp_ieee_inexact 0
		.amdhsa_exception_int_div_zero 0
	.end_amdhsa_kernel
	.section	.text._ZN2at6native32elementwise_kernel_manual_unrollILi128ELi8EZNS0_22gpu_kernel_impl_nocastINS0_13AUnaryFunctorIN3c107complexINS4_8BFloat16EEES7_bNS0_12_GLOBAL__N_116CompareEqFunctorIS7_EEEEEEvRNS_18TensorIteratorBaseERKT_EUlibE_EEviT1_,"axG",@progbits,_ZN2at6native32elementwise_kernel_manual_unrollILi128ELi8EZNS0_22gpu_kernel_impl_nocastINS0_13AUnaryFunctorIN3c107complexINS4_8BFloat16EEES7_bNS0_12_GLOBAL__N_116CompareEqFunctorIS7_EEEEEEvRNS_18TensorIteratorBaseERKT_EUlibE_EEviT1_,comdat
.Lfunc_end173:
	.size	_ZN2at6native32elementwise_kernel_manual_unrollILi128ELi8EZNS0_22gpu_kernel_impl_nocastINS0_13AUnaryFunctorIN3c107complexINS4_8BFloat16EEES7_bNS0_12_GLOBAL__N_116CompareEqFunctorIS7_EEEEEEvRNS_18TensorIteratorBaseERKT_EUlibE_EEviT1_, .Lfunc_end173-_ZN2at6native32elementwise_kernel_manual_unrollILi128ELi8EZNS0_22gpu_kernel_impl_nocastINS0_13AUnaryFunctorIN3c107complexINS4_8BFloat16EEES7_bNS0_12_GLOBAL__N_116CompareEqFunctorIS7_EEEEEEvRNS_18TensorIteratorBaseERKT_EUlibE_EEviT1_
                                        ; -- End function
	.set _ZN2at6native32elementwise_kernel_manual_unrollILi128ELi8EZNS0_22gpu_kernel_impl_nocastINS0_13AUnaryFunctorIN3c107complexINS4_8BFloat16EEES7_bNS0_12_GLOBAL__N_116CompareEqFunctorIS7_EEEEEEvRNS_18TensorIteratorBaseERKT_EUlibE_EEviT1_.num_vgpr, 26
	.set _ZN2at6native32elementwise_kernel_manual_unrollILi128ELi8EZNS0_22gpu_kernel_impl_nocastINS0_13AUnaryFunctorIN3c107complexINS4_8BFloat16EEES7_bNS0_12_GLOBAL__N_116CompareEqFunctorIS7_EEEEEEvRNS_18TensorIteratorBaseERKT_EUlibE_EEviT1_.num_agpr, 0
	.set _ZN2at6native32elementwise_kernel_manual_unrollILi128ELi8EZNS0_22gpu_kernel_impl_nocastINS0_13AUnaryFunctorIN3c107complexINS4_8BFloat16EEES7_bNS0_12_GLOBAL__N_116CompareEqFunctorIS7_EEEEEEvRNS_18TensorIteratorBaseERKT_EUlibE_EEviT1_.numbered_sgpr, 64
	.set _ZN2at6native32elementwise_kernel_manual_unrollILi128ELi8EZNS0_22gpu_kernel_impl_nocastINS0_13AUnaryFunctorIN3c107complexINS4_8BFloat16EEES7_bNS0_12_GLOBAL__N_116CompareEqFunctorIS7_EEEEEEvRNS_18TensorIteratorBaseERKT_EUlibE_EEviT1_.num_named_barrier, 0
	.set _ZN2at6native32elementwise_kernel_manual_unrollILi128ELi8EZNS0_22gpu_kernel_impl_nocastINS0_13AUnaryFunctorIN3c107complexINS4_8BFloat16EEES7_bNS0_12_GLOBAL__N_116CompareEqFunctorIS7_EEEEEEvRNS_18TensorIteratorBaseERKT_EUlibE_EEviT1_.private_seg_size, 0
	.set _ZN2at6native32elementwise_kernel_manual_unrollILi128ELi8EZNS0_22gpu_kernel_impl_nocastINS0_13AUnaryFunctorIN3c107complexINS4_8BFloat16EEES7_bNS0_12_GLOBAL__N_116CompareEqFunctorIS7_EEEEEEvRNS_18TensorIteratorBaseERKT_EUlibE_EEviT1_.uses_vcc, 1
	.set _ZN2at6native32elementwise_kernel_manual_unrollILi128ELi8EZNS0_22gpu_kernel_impl_nocastINS0_13AUnaryFunctorIN3c107complexINS4_8BFloat16EEES7_bNS0_12_GLOBAL__N_116CompareEqFunctorIS7_EEEEEEvRNS_18TensorIteratorBaseERKT_EUlibE_EEviT1_.uses_flat_scratch, 0
	.set _ZN2at6native32elementwise_kernel_manual_unrollILi128ELi8EZNS0_22gpu_kernel_impl_nocastINS0_13AUnaryFunctorIN3c107complexINS4_8BFloat16EEES7_bNS0_12_GLOBAL__N_116CompareEqFunctorIS7_EEEEEEvRNS_18TensorIteratorBaseERKT_EUlibE_EEviT1_.has_dyn_sized_stack, 0
	.set _ZN2at6native32elementwise_kernel_manual_unrollILi128ELi8EZNS0_22gpu_kernel_impl_nocastINS0_13AUnaryFunctorIN3c107complexINS4_8BFloat16EEES7_bNS0_12_GLOBAL__N_116CompareEqFunctorIS7_EEEEEEvRNS_18TensorIteratorBaseERKT_EUlibE_EEviT1_.has_recursion, 0
	.set _ZN2at6native32elementwise_kernel_manual_unrollILi128ELi8EZNS0_22gpu_kernel_impl_nocastINS0_13AUnaryFunctorIN3c107complexINS4_8BFloat16EEES7_bNS0_12_GLOBAL__N_116CompareEqFunctorIS7_EEEEEEvRNS_18TensorIteratorBaseERKT_EUlibE_EEviT1_.has_indirect_call, 0
	.section	.AMDGPU.csdata,"",@progbits
; Kernel info:
; codeLenInByte = 12732
; TotalNumSgprs: 68
; NumVgprs: 26
; ScratchSize: 0
; MemoryBound: 0
; FloatMode: 240
; IeeeMode: 1
; LDSByteSize: 0 bytes/workgroup (compile time only)
; SGPRBlocks: 8
; VGPRBlocks: 6
; NumSGPRsForWavesPerEU: 68
; NumVGPRsForWavesPerEU: 26
; Occupancy: 9
; WaveLimiterHint : 1
; COMPUTE_PGM_RSRC2:SCRATCH_EN: 0
; COMPUTE_PGM_RSRC2:USER_SGPR: 6
; COMPUTE_PGM_RSRC2:TRAP_HANDLER: 0
; COMPUTE_PGM_RSRC2:TGID_X_EN: 1
; COMPUTE_PGM_RSRC2:TGID_Y_EN: 0
; COMPUTE_PGM_RSRC2:TGID_Z_EN: 0
; COMPUTE_PGM_RSRC2:TIDIG_COMP_CNT: 0
	.section	.text._ZN2at6native32elementwise_kernel_manual_unrollILi128ELi4EZNS0_15gpu_kernel_implINS0_13AUnaryFunctorIN3c107complexINS4_8BFloat16EEES7_bNS0_12_GLOBAL__N_116CompareEqFunctorIS7_EEEEEEvRNS_18TensorIteratorBaseERKT_EUlibE_EEviT1_,"axG",@progbits,_ZN2at6native32elementwise_kernel_manual_unrollILi128ELi4EZNS0_15gpu_kernel_implINS0_13AUnaryFunctorIN3c107complexINS4_8BFloat16EEES7_bNS0_12_GLOBAL__N_116CompareEqFunctorIS7_EEEEEEvRNS_18TensorIteratorBaseERKT_EUlibE_EEviT1_,comdat
	.globl	_ZN2at6native32elementwise_kernel_manual_unrollILi128ELi4EZNS0_15gpu_kernel_implINS0_13AUnaryFunctorIN3c107complexINS4_8BFloat16EEES7_bNS0_12_GLOBAL__N_116CompareEqFunctorIS7_EEEEEEvRNS_18TensorIteratorBaseERKT_EUlibE_EEviT1_ ; -- Begin function _ZN2at6native32elementwise_kernel_manual_unrollILi128ELi4EZNS0_15gpu_kernel_implINS0_13AUnaryFunctorIN3c107complexINS4_8BFloat16EEES7_bNS0_12_GLOBAL__N_116CompareEqFunctorIS7_EEEEEEvRNS_18TensorIteratorBaseERKT_EUlibE_EEviT1_
	.p2align	8
	.type	_ZN2at6native32elementwise_kernel_manual_unrollILi128ELi4EZNS0_15gpu_kernel_implINS0_13AUnaryFunctorIN3c107complexINS4_8BFloat16EEES7_bNS0_12_GLOBAL__N_116CompareEqFunctorIS7_EEEEEEvRNS_18TensorIteratorBaseERKT_EUlibE_EEviT1_,@function
_ZN2at6native32elementwise_kernel_manual_unrollILi128ELi4EZNS0_15gpu_kernel_implINS0_13AUnaryFunctorIN3c107complexINS4_8BFloat16EEES7_bNS0_12_GLOBAL__N_116CompareEqFunctorIS7_EEEEEEvRNS_18TensorIteratorBaseERKT_EUlibE_EEviT1_: ; @_ZN2at6native32elementwise_kernel_manual_unrollILi128ELi4EZNS0_15gpu_kernel_implINS0_13AUnaryFunctorIN3c107complexINS4_8BFloat16EEES7_bNS0_12_GLOBAL__N_116CompareEqFunctorIS7_EEEEEEvRNS_18TensorIteratorBaseERKT_EUlibE_EEviT1_
; %bb.0:
	s_load_dword s33, s[4:5], 0x28
	s_load_dword s42, s[4:5], 0x0
	s_load_dwordx8 s[8:15], s[4:5], 0x8
	v_lshl_or_b32 v2, s6, 9, v0
	v_or_b32_e32 v0, 0x180, v2
	s_waitcnt lgkmcnt(0)
	s_bfe_u32 s46, s33, 0x80008
	v_cmp_le_i32_e32 vcc, s42, v0
	s_mov_b64 s[2:3], 0
	s_mov_b64 s[6:7], 0
	s_and_saveexec_b64 s[0:1], vcc
	s_xor_b64 s[4:5], exec, s[0:1]
	s_cbranch_execz .LBB174_1063
; %bb.1:
	s_cmp_lg_u32 s14, 0
	s_cselect_b64 s[6:7], -1, 0
	s_lshl_b32 s47, s15, 16
	s_and_b32 s48, s15, 0xffff0000
	v_cmp_gt_i32_e32 vcc, s42, v2
	s_mov_b64 s[22:23], -1
	s_mov_b64 s[24:25], 0
	s_mov_b64 s[18:19], 0
	s_mov_b64 s[16:17], 0
	s_and_saveexec_b64 s[20:21], vcc
	s_cbranch_execz .LBB174_260
; %bb.2:
	v_mul_lo_u32 v0, v2, s13
	v_mov_b32_e32 v1, s11
	s_and_b32 s26, 0xffff, s46
	s_cmp_lt_i32 s26, 11
	v_ashrrev_i32_e32 v3, 31, v0
	v_add_co_u32_e32 v0, vcc, s10, v0
	v_addc_co_u32_e32 v1, vcc, v1, v3, vcc
	s_cbranch_scc1 .LBB174_9
; %bb.3:
	s_cmp_gt_i32 s26, 25
	s_cbranch_scc0 .LBB174_21
; %bb.4:
	s_cmp_gt_i32 s26, 28
	s_cbranch_scc0 .LBB174_26
	;; [unrolled: 3-line block ×4, first 2 shown]
; %bb.7:
	s_cmp_eq_u32 s26, 46
	s_cbranch_scc0 .LBB174_32
; %bb.8:
	global_load_dword v3, v[0:1], off
	s_mov_b64 s[0:1], -1
	s_waitcnt vmcnt(0)
	v_and_b32_e32 v4, 0xffff0000, v3
	s_branch .LBB174_34
.LBB174_9:
                                        ; implicit-def: $vgpr4
                                        ; implicit-def: $vgpr3
	s_mov_b64 s[0:1], 0
	s_cbranch_execnz .LBB174_209
.LBB174_10:
	s_andn2_b64 vcc, exec, s[0:1]
	s_cbranch_vccnz .LBB174_258
.LBB174_11:
	s_waitcnt vmcnt(0)
	v_or_b32_sdwa v0, v4, v3 dst_sel:DWORD dst_unused:UNUSED_PAD src0_sel:DWORD src1_sel:WORD_0
	s_and_b64 vcc, exec, s[6:7]
	v_lshlrev_b32_e32 v0, 16, v0
	s_cbranch_vccz .LBB174_25
; %bb.12:
	v_and_b32_e32 v1, 0xffff0000, v4
	v_cmp_neq_f32_e32 vcc, s47, v0
	v_cmp_neq_f32_e64 s[0:1], s48, v1
	s_or_b64 s[16:17], vcc, s[0:1]
	s_cbranch_execnz .LBB174_14
.LBB174_13:
	v_and_b32_e32 v1, 0xffff0000, v4
	v_cmp_eq_f32_e32 vcc, s47, v0
	v_cmp_eq_f32_e64 s[0:1], s48, v1
	s_and_b64 s[0:1], vcc, s[0:1]
	s_andn2_b64 s[16:17], s[16:17], exec
	s_and_b64 s[0:1], s[0:1], exec
	s_or_b64 s[16:17], s[16:17], s[0:1]
.LBB174_14:
	v_mul_lo_u32 v0, v2, s12
	v_mov_b32_e32 v1, s9
	s_and_b32 s30, s33, 0xff
	s_cmp_lt_i32 s30, 11
	v_ashrrev_i32_e32 v3, 31, v0
	v_add_co_u32_e32 v0, vcc, s8, v0
	v_addc_co_u32_e32 v1, vcc, v1, v3, vcc
	s_cbranch_scc1 .LBB174_22
; %bb.15:
	s_and_b32 s31, 0xffff, s30
	s_cmp_gt_i32 s31, 25
	s_cbranch_scc0 .LBB174_27
; %bb.16:
	s_cmp_gt_i32 s31, 28
	s_cbranch_scc0 .LBB174_29
; %bb.17:
	;; [unrolled: 3-line block ×4, first 2 shown]
	s_mov_b64 s[26:27], 0
	s_mov_b64 s[0:1], -1
	s_cmp_eq_u32 s31, 46
	s_mov_b64 s[22:23], 0
	s_cbranch_scc0 .LBB174_38
; %bb.20:
	v_cndmask_b32_e64 v3, 0, 1.0, s[16:17]
	v_bfe_u32 v4, v3, 16, 1
	s_movk_i32 s0, 0x7fff
	v_add3_u32 v3, v3, v4, s0
	v_lshrrev_b32_e32 v3, 16, v3
	global_store_dword v[0:1], v3, off
	s_mov_b64 s[22:23], -1
	s_mov_b64 s[0:1], 0
	s_branch .LBB174_38
.LBB174_21:
	s_mov_b64 s[0:1], 0
                                        ; implicit-def: $vgpr4
                                        ; implicit-def: $vgpr3
	s_cbranch_execnz .LBB174_174
	s_branch .LBB174_208
.LBB174_22:
	s_mov_b64 s[0:1], 0
	s_mov_b64 s[22:23], 0
	s_cbranch_execnz .LBB174_107
.LBB174_23:
	s_andn2_b64 vcc, exec, s[22:23]
	s_cbranch_vccnz .LBB174_145
.LBB174_24:
	v_add_u32_e32 v2, 0x80, v2
	s_mov_b64 s[22:23], -1
	s_branch .LBB174_259
.LBB174_25:
                                        ; implicit-def: $sgpr16_sgpr17
	s_branch .LBB174_13
.LBB174_26:
	s_mov_b64 s[16:17], -1
	s_mov_b64 s[0:1], 0
                                        ; implicit-def: $vgpr4
                                        ; implicit-def: $vgpr3
	s_branch .LBB174_155
.LBB174_27:
	s_mov_b64 s[26:27], -1
	s_mov_b64 s[0:1], 0
	s_mov_b64 s[22:23], 0
	s_branch .LBB174_65
.LBB174_28:
	s_mov_b64 s[16:17], -1
	s_mov_b64 s[0:1], 0
                                        ; implicit-def: $vgpr4
                                        ; implicit-def: $vgpr3
	s_branch .LBB174_149
.LBB174_29:
	s_mov_b64 s[26:27], -1
	s_mov_b64 s[0:1], 0
	s_mov_b64 s[22:23], 0
	s_branch .LBB174_48
.LBB174_30:
	s_mov_b64 s[16:17], -1
	s_branch .LBB174_33
.LBB174_31:
	s_mov_b64 s[26:27], -1
	s_mov_b64 s[0:1], 0
	s_mov_b64 s[22:23], 0
	s_branch .LBB174_44
.LBB174_32:
	s_mov_b64 s[18:19], -1
.LBB174_33:
	s_mov_b64 s[0:1], 0
                                        ; implicit-def: $vgpr4
                                        ; implicit-def: $vgpr3
.LBB174_34:
	s_and_b64 vcc, exec, s[16:17]
	s_cbranch_vccz .LBB174_148
; %bb.35:
	s_cmp_eq_u32 s26, 44
	s_cbranch_scc0 .LBB174_146
; %bb.36:
	global_load_ubyte v3, v[0:1], off
	s_movk_i32 s16, 0xff
	v_mov_b32_e32 v4, 0x7f800001
	v_mov_b32_e32 v5, 0x400000
	;; [unrolled: 1-line block ×3, first 2 shown]
	s_mov_b64 s[0:1], -1
	s_mov_b64 s[18:19], 0
	s_waitcnt vmcnt(0)
	v_lshlrev_b32_e32 v7, 23, v3
	v_cmp_ne_u32_e32 vcc, s16, v3
	v_cndmask_b32_e32 v4, v4, v7, vcc
	v_cmp_ne_u32_e32 vcc, 0, v3
	v_cndmask_b32_e32 v3, v5, v4, vcc
	v_add_u32_e32 v4, 0x7fff, v3
	v_cmp_o_f32_e32 vcc, v3, v3
	v_cndmask_b32_sdwa v3, v6, v4, vcc dst_sel:DWORD dst_unused:UNUSED_PAD src0_sel:DWORD src1_sel:WORD_1
	s_branch .LBB174_147
.LBB174_37:
	s_mov_b64 s[26:27], -1
	s_mov_b64 s[0:1], 0
	s_mov_b64 s[22:23], 0
.LBB174_38:
	s_and_b64 vcc, exec, s[26:27]
	s_cbranch_vccz .LBB174_43
; %bb.39:
	s_cmp_eq_u32 s31, 44
	s_mov_b64 s[0:1], -1
	s_cbranch_scc0 .LBB174_43
; %bb.40:
	v_cndmask_b32_e64 v4, 0, 1.0, s[16:17]
	v_lshrrev_b32_e32 v3, 23, v4
	s_movk_i32 s0, 0xff
	v_cmp_ne_u32_e32 vcc, s0, v3
	v_mov_b32_e32 v5, 0xff
	s_and_saveexec_b64 s[22:23], vcc
; %bb.41:
	s_mov_b32 s0, 0x3fffff
	v_and_b32_e32 v5, 0x400000, v4
	v_and_or_b32 v4, v4, s0, v3
	v_cmp_ne_u32_e32 vcc, 0, v5
	v_cmp_ne_u32_e64 s[0:1], 0, v4
	s_and_b64 s[0:1], vcc, s[0:1]
	v_cndmask_b32_e64 v4, 0, 1, s[0:1]
	v_add_u32_e32 v5, v3, v4
; %bb.42:
	s_or_b64 exec, exec, s[22:23]
	s_mov_b64 s[22:23], -1
	s_mov_b64 s[0:1], 0
	global_store_byte v[0:1], v5, off
.LBB174_43:
	s_mov_b64 s[26:27], 0
.LBB174_44:
	s_and_b64 vcc, exec, s[26:27]
	s_cbranch_vccz .LBB174_47
; %bb.45:
	s_cmp_eq_u32 s31, 29
	s_mov_b64 s[0:1], -1
	s_cbranch_scc0 .LBB174_47
; %bb.46:
	s_mov_b32 s0, 0
	v_cndmask_b32_e64 v3, 0, 1, s[16:17]
	v_mov_b32_e32 v4, s0
	global_store_dwordx2 v[0:1], v[3:4], off
	s_mov_b64 s[22:23], -1
	s_mov_b64 s[0:1], 0
.LBB174_47:
	s_mov_b64 s[26:27], 0
.LBB174_48:
	s_and_b64 vcc, exec, s[26:27]
	s_cbranch_vccz .LBB174_64
; %bb.49:
	s_cmp_lt_i32 s31, 27
	s_mov_b64 s[22:23], -1
	s_cbranch_scc1 .LBB174_55
; %bb.50:
	s_cmp_gt_i32 s31, 27
	s_cbranch_scc0 .LBB174_52
; %bb.51:
	v_cndmask_b32_e64 v3, 0, 1, s[16:17]
	s_mov_b64 s[22:23], 0
	global_store_dword v[0:1], v3, off
.LBB174_52:
	s_andn2_b64 vcc, exec, s[22:23]
	s_cbranch_vccnz .LBB174_54
; %bb.53:
	v_cndmask_b32_e64 v3, 0, 1, s[16:17]
	global_store_short v[0:1], v3, off
.LBB174_54:
	s_mov_b64 s[22:23], 0
.LBB174_55:
	s_andn2_b64 vcc, exec, s[22:23]
	s_cbranch_vccnz .LBB174_63
; %bb.56:
	v_cndmask_b32_e64 v4, 0, 1.0, s[16:17]
	s_mov_b32 s22, 0x43800000
	v_cmp_gt_u32_e32 vcc, s22, v4
	v_mov_b32_e32 v5, 0x80
	s_and_saveexec_b64 s[22:23], vcc
	s_cbranch_execz .LBB174_62
; %bb.57:
	s_mov_b32 s26, 0x3bffffff
	v_cmp_lt_u32_e32 vcc, s26, v4
	s_mov_b64 s[26:27], 0
                                        ; implicit-def: $vgpr3
	s_and_saveexec_b64 s[28:29], vcc
	s_xor_b64 s[28:29], exec, s[28:29]
	s_cbranch_execz .LBB174_291
; %bb.58:
	v_bfe_u32 v3, v4, 20, 1
	s_mov_b32 s34, 0x487ffff
	v_add3_u32 v3, v4, v3, s34
	s_mov_b64 s[26:27], exec
	v_lshrrev_b32_e32 v3, 20, v3
                                        ; implicit-def: $vgpr4
	s_andn2_saveexec_b64 s[28:29], s[28:29]
	s_cbranch_execnz .LBB174_292
.LBB174_59:
	s_or_b64 exec, exec, s[28:29]
	v_mov_b32_e32 v5, 0
	s_and_saveexec_b64 s[28:29], s[26:27]
.LBB174_60:
	v_mov_b32_e32 v5, v3
.LBB174_61:
	s_or_b64 exec, exec, s[28:29]
.LBB174_62:
	s_or_b64 exec, exec, s[22:23]
	global_store_byte v[0:1], v5, off
.LBB174_63:
	s_mov_b64 s[22:23], -1
.LBB174_64:
	s_mov_b64 s[26:27], 0
.LBB174_65:
	s_and_b64 vcc, exec, s[26:27]
	s_cbranch_vccz .LBB174_106
; %bb.66:
	s_cmp_gt_i32 s31, 22
	s_mov_b64 s[26:27], -1
	s_cbranch_scc0 .LBB174_98
; %bb.67:
	s_cmp_lt_i32 s31, 24
	s_mov_b64 s[22:23], -1
	s_cbranch_scc1 .LBB174_87
; %bb.68:
	s_cmp_gt_i32 s31, 24
	s_cbranch_scc0 .LBB174_76
; %bb.69:
	v_cndmask_b32_e64 v4, 0, 1.0, s[16:17]
	s_mov_b32 s22, 0x47800000
	v_cmp_gt_u32_e32 vcc, s22, v4
	v_mov_b32_e32 v5, 0x80
	s_and_saveexec_b64 s[22:23], vcc
	s_cbranch_execz .LBB174_75
; %bb.70:
	s_mov_b32 s26, 0x37ffffff
	v_cmp_lt_u32_e32 vcc, s26, v4
	s_mov_b64 s[26:27], 0
                                        ; implicit-def: $vgpr3
	s_and_saveexec_b64 s[28:29], vcc
	s_xor_b64 s[28:29], exec, s[28:29]
	s_cbranch_execz .LBB174_295
; %bb.71:
	v_bfe_u32 v3, v4, 21, 1
	s_mov_b32 s34, 0x88fffff
	v_add3_u32 v3, v4, v3, s34
	s_mov_b64 s[26:27], exec
	v_lshrrev_b32_e32 v3, 21, v3
                                        ; implicit-def: $vgpr4
	s_andn2_saveexec_b64 s[28:29], s[28:29]
	s_cbranch_execnz .LBB174_296
.LBB174_72:
	s_or_b64 exec, exec, s[28:29]
	v_mov_b32_e32 v5, 0
	s_and_saveexec_b64 s[28:29], s[26:27]
.LBB174_73:
	v_mov_b32_e32 v5, v3
.LBB174_74:
	s_or_b64 exec, exec, s[28:29]
.LBB174_75:
	s_or_b64 exec, exec, s[22:23]
	s_mov_b64 s[22:23], 0
	global_store_byte v[0:1], v5, off
.LBB174_76:
	s_and_b64 vcc, exec, s[22:23]
	s_cbranch_vccz .LBB174_86
; %bb.77:
	v_cndmask_b32_e64 v3, 0, 1.0, s[16:17]
	s_mov_b32 s22, 0x43f00000
	v_cmp_gt_u32_e32 vcc, s22, v3
                                        ; implicit-def: $vgpr4
	s_and_saveexec_b64 s[22:23], vcc
	s_xor_b64 s[22:23], exec, s[22:23]
	s_cbranch_execz .LBB174_83
; %bb.78:
	s_mov_b32 s26, 0x3c7fffff
	v_cmp_lt_u32_e32 vcc, s26, v3
                                        ; implicit-def: $vgpr4
	s_and_saveexec_b64 s[26:27], vcc
	s_xor_b64 s[26:27], exec, s[26:27]
; %bb.79:
	v_bfe_u32 v4, v3, 20, 1
	s_mov_b32 s28, 0x407ffff
	v_add3_u32 v3, v3, v4, s28
	v_lshrrev_b32_e32 v4, 20, v3
	v_and_b32_e32 v3, 0xff00000, v3
	s_mov_b32 s28, 0x7f00000
	v_mov_b32_e32 v5, 0x7e
	v_cmp_ne_u32_e32 vcc, s28, v3
	v_cndmask_b32_e32 v4, v5, v4, vcc
                                        ; implicit-def: $vgpr3
; %bb.80:
	s_andn2_saveexec_b64 s[26:27], s[26:27]
; %bb.81:
	v_add_f32_e32 v4, 0x46800000, v3
; %bb.82:
	s_or_b64 exec, exec, s[26:27]
                                        ; implicit-def: $vgpr3
.LBB174_83:
	s_andn2_saveexec_b64 s[22:23], s[22:23]
; %bb.84:
	s_mov_b32 s26, 0x7f800000
	v_mov_b32_e32 v4, 0x7e
	v_mov_b32_e32 v5, 0x7f
	v_cmp_lt_u32_e32 vcc, s26, v3
	v_cndmask_b32_e32 v4, v4, v5, vcc
; %bb.85:
	s_or_b64 exec, exec, s[22:23]
	global_store_byte v[0:1], v4, off
.LBB174_86:
	s_mov_b64 s[22:23], 0
.LBB174_87:
	s_andn2_b64 vcc, exec, s[22:23]
	s_cbranch_vccnz .LBB174_97
; %bb.88:
	v_cndmask_b32_e64 v3, 0, 1.0, s[16:17]
	s_mov_b32 s22, 0x47800000
	v_cmp_gt_u32_e32 vcc, s22, v3
                                        ; implicit-def: $vgpr4
	s_and_saveexec_b64 s[22:23], vcc
	s_xor_b64 s[22:23], exec, s[22:23]
	s_cbranch_execz .LBB174_94
; %bb.89:
	s_mov_b32 s26, 0x387fffff
	v_cmp_lt_u32_e32 vcc, s26, v3
                                        ; implicit-def: $vgpr4
	s_and_saveexec_b64 s[26:27], vcc
	s_xor_b64 s[26:27], exec, s[26:27]
; %bb.90:
	v_bfe_u32 v4, v3, 21, 1
	s_mov_b32 s28, 0x80fffff
	v_add3_u32 v3, v3, v4, s28
	v_lshrrev_b32_e32 v4, 21, v3
                                        ; implicit-def: $vgpr3
; %bb.91:
	s_andn2_saveexec_b64 s[26:27], s[26:27]
; %bb.92:
	v_add_f32_e32 v4, 0x43000000, v3
; %bb.93:
	s_or_b64 exec, exec, s[26:27]
                                        ; implicit-def: $vgpr3
.LBB174_94:
	s_andn2_saveexec_b64 s[22:23], s[22:23]
; %bb.95:
	s_mov_b32 s26, 0x7f800000
	v_mov_b32_e32 v4, 0x7c
	v_mov_b32_e32 v5, 0x7f
	v_cmp_lt_u32_e32 vcc, s26, v3
	v_cndmask_b32_e32 v4, v4, v5, vcc
; %bb.96:
	s_or_b64 exec, exec, s[22:23]
	global_store_byte v[0:1], v4, off
.LBB174_97:
	s_mov_b64 s[26:27], 0
	s_mov_b64 s[22:23], -1
.LBB174_98:
	s_andn2_b64 vcc, exec, s[26:27]
	s_cbranch_vccnz .LBB174_106
; %bb.99:
	s_cmp_gt_i32 s31, 14
	s_mov_b64 s[26:27], -1
	s_cbranch_scc0 .LBB174_103
; %bb.100:
	s_cmp_eq_u32 s31, 15
	s_mov_b64 s[0:1], -1
	s_cbranch_scc0 .LBB174_102
; %bb.101:
	v_cndmask_b32_e64 v3, 0, 1.0, s[16:17]
	v_bfe_u32 v4, v3, 16, 1
	s_movk_i32 s0, 0x7fff
	v_add3_u32 v3, v3, v4, s0
	global_store_short_d16_hi v[0:1], v3, off
	s_mov_b64 s[22:23], -1
	s_mov_b64 s[0:1], 0
.LBB174_102:
	s_mov_b64 s[26:27], 0
.LBB174_103:
	s_and_b64 vcc, exec, s[26:27]
	s_cbranch_vccz .LBB174_106
; %bb.104:
	s_cmp_eq_u32 s31, 11
	s_mov_b64 s[0:1], -1
	s_cbranch_scc0 .LBB174_106
; %bb.105:
	v_cndmask_b32_e64 v3, 0, 1, s[16:17]
	s_mov_b64 s[22:23], -1
	s_mov_b64 s[0:1], 0
	global_store_byte v[0:1], v3, off
.LBB174_106:
	s_branch .LBB174_23
.LBB174_107:
	s_and_b32 s26, 0xffff, s30
	s_cmp_lt_i32 s26, 5
	s_mov_b64 s[22:23], -1
	s_cbranch_scc1 .LBB174_128
; %bb.108:
	s_cmp_lt_i32 s26, 8
	s_cbranch_scc1 .LBB174_118
; %bb.109:
	s_cmp_lt_i32 s26, 9
	s_cbranch_scc1 .LBB174_115
; %bb.110:
	s_cmp_gt_i32 s26, 9
	s_cbranch_scc0 .LBB174_112
; %bb.111:
	v_cndmask_b32_e64 v3, 0, 1, s[16:17]
	v_cvt_f64_u32_e32 v[3:4], v3
	v_mov_b32_e32 v5, 0
	v_mov_b32_e32 v6, v5
	s_mov_b64 s[22:23], 0
	global_store_dwordx4 v[0:1], v[3:6], off
.LBB174_112:
	s_andn2_b64 vcc, exec, s[22:23]
	s_cbranch_vccnz .LBB174_114
; %bb.113:
	v_cndmask_b32_e64 v3, 0, 1.0, s[16:17]
	v_mov_b32_e32 v4, 0
	global_store_dwordx2 v[0:1], v[3:4], off
.LBB174_114:
	s_mov_b64 s[22:23], 0
.LBB174_115:
	s_andn2_b64 vcc, exec, s[22:23]
	s_cbranch_vccnz .LBB174_117
; %bb.116:
	v_cndmask_b32_e64 v3, 0, 1.0, s[16:17]
	v_cvt_f16_f32_e32 v3, v3
	global_store_dword v[0:1], v3, off
.LBB174_117:
	s_mov_b64 s[22:23], 0
.LBB174_118:
	s_andn2_b64 vcc, exec, s[22:23]
	s_cbranch_vccnz .LBB174_127
; %bb.119:
	s_cmp_lt_i32 s26, 6
	s_mov_b64 s[22:23], -1
	s_cbranch_scc1 .LBB174_125
; %bb.120:
	s_cmp_gt_i32 s26, 6
	s_cbranch_scc0 .LBB174_122
; %bb.121:
	v_cndmask_b32_e64 v3, 0, 1, s[16:17]
	v_cvt_f64_u32_e32 v[3:4], v3
	s_mov_b64 s[22:23], 0
	global_store_dwordx2 v[0:1], v[3:4], off
.LBB174_122:
	s_andn2_b64 vcc, exec, s[22:23]
	s_cbranch_vccnz .LBB174_124
; %bb.123:
	v_cndmask_b32_e64 v3, 0, 1.0, s[16:17]
	global_store_dword v[0:1], v3, off
.LBB174_124:
	s_mov_b64 s[22:23], 0
.LBB174_125:
	s_andn2_b64 vcc, exec, s[22:23]
	s_cbranch_vccnz .LBB174_127
; %bb.126:
	v_cndmask_b32_e64 v3, 0, 1.0, s[16:17]
	v_cvt_f16_f32_e32 v3, v3
	global_store_short v[0:1], v3, off
.LBB174_127:
	s_mov_b64 s[22:23], 0
.LBB174_128:
	s_andn2_b64 vcc, exec, s[22:23]
	s_cbranch_vccnz .LBB174_144
; %bb.129:
	s_cmp_lt_i32 s26, 2
	s_mov_b64 s[22:23], -1
	s_cbranch_scc1 .LBB174_139
; %bb.130:
	s_cmp_lt_i32 s26, 3
	s_cbranch_scc1 .LBB174_136
; %bb.131:
	s_cmp_gt_i32 s26, 3
	s_cbranch_scc0 .LBB174_133
; %bb.132:
	s_mov_b32 s22, 0
	v_cndmask_b32_e64 v3, 0, 1, s[16:17]
	v_mov_b32_e32 v4, s22
	global_store_dwordx2 v[0:1], v[3:4], off
	s_mov_b64 s[22:23], 0
.LBB174_133:
	s_andn2_b64 vcc, exec, s[22:23]
	s_cbranch_vccnz .LBB174_135
; %bb.134:
	v_cndmask_b32_e64 v3, 0, 1, s[16:17]
	global_store_dword v[0:1], v3, off
.LBB174_135:
	s_mov_b64 s[22:23], 0
.LBB174_136:
	s_andn2_b64 vcc, exec, s[22:23]
	s_cbranch_vccnz .LBB174_138
; %bb.137:
	v_cndmask_b32_e64 v3, 0, 1, s[16:17]
	global_store_short v[0:1], v3, off
.LBB174_138:
	s_mov_b64 s[22:23], 0
.LBB174_139:
	s_andn2_b64 vcc, exec, s[22:23]
	s_cbranch_vccnz .LBB174_144
; %bb.140:
	s_mov_b64 s[22:23], -1
	s_cmp_gt_i32 s26, 0
	v_cndmask_b32_e64 v3, 0, 1, s[16:17]
	s_cbranch_scc0 .LBB174_142
; %bb.141:
	global_store_byte v[0:1], v3, off
	s_mov_b64 s[22:23], 0
.LBB174_142:
	s_andn2_b64 vcc, exec, s[22:23]
	s_cbranch_vccnz .LBB174_144
; %bb.143:
	global_store_byte v[0:1], v3, off
.LBB174_144:
	s_branch .LBB174_24
.LBB174_145:
	s_mov_b64 s[22:23], 0
                                        ; implicit-def: $vgpr2
	s_branch .LBB174_259
.LBB174_146:
	s_mov_b64 s[18:19], -1
                                        ; implicit-def: $vgpr3
.LBB174_147:
	v_mov_b32_e32 v4, 0
.LBB174_148:
	s_mov_b64 s[16:17], 0
.LBB174_149:
	s_and_b64 vcc, exec, s[16:17]
	s_cbranch_vccz .LBB174_154
; %bb.150:
	s_cmp_eq_u32 s26, 29
	s_cbranch_scc0 .LBB174_152
; %bb.151:
	global_load_dwordx2 v[3:4], v[0:1], off
	s_movk_i32 s16, 0x7fff
	s_mov_b64 s[0:1], -1
	s_mov_b64 s[18:19], 0
	s_waitcnt vmcnt(0)
	v_ffbh_u32_e32 v5, v4
	v_min_u32_e32 v5, 32, v5
	v_lshlrev_b64 v[3:4], v5, v[3:4]
	v_min_u32_e32 v3, 1, v3
	v_or_b32_e32 v3, v4, v3
	v_cvt_f32_u32_e32 v3, v3
	v_sub_u32_e32 v4, 32, v5
	v_ldexp_f32 v3, v3, v4
	v_bfe_u32 v4, v3, 16, 1
	v_add3_u32 v3, v3, v4, s16
	v_lshrrev_b32_e32 v3, 16, v3
	s_branch .LBB174_153
.LBB174_152:
	s_mov_b64 s[18:19], -1
                                        ; implicit-def: $vgpr3
.LBB174_153:
	v_mov_b32_e32 v4, 0
.LBB174_154:
	s_mov_b64 s[16:17], 0
.LBB174_155:
	s_and_b64 vcc, exec, s[16:17]
	s_cbranch_vccz .LBB174_173
; %bb.156:
	s_cmp_lt_i32 s26, 27
	s_cbranch_scc1 .LBB174_159
; %bb.157:
	s_cmp_gt_i32 s26, 27
	s_cbranch_scc0 .LBB174_160
; %bb.158:
	global_load_dword v3, v[0:1], off
	s_movk_i32 s0, 0x7fff
	s_waitcnt vmcnt(0)
	v_cvt_f32_u32_e32 v3, v3
	v_bfe_u32 v4, v3, 16, 1
	v_add3_u32 v3, v3, v4, s0
	v_lshrrev_b32_e32 v3, 16, v3
	s_mov_b64 s[0:1], 0
	s_branch .LBB174_161
.LBB174_159:
	s_mov_b64 s[0:1], -1
                                        ; implicit-def: $vgpr3
	s_branch .LBB174_164
.LBB174_160:
	s_mov_b64 s[0:1], -1
                                        ; implicit-def: $vgpr3
.LBB174_161:
	s_andn2_b64 vcc, exec, s[0:1]
	s_cbranch_vccnz .LBB174_163
; %bb.162:
	global_load_ushort v3, v[0:1], off
	s_movk_i32 s0, 0x7fff
	s_waitcnt vmcnt(0)
	v_cvt_f32_u32_e32 v3, v3
	v_bfe_u32 v4, v3, 16, 1
	v_add3_u32 v3, v3, v4, s0
	v_lshrrev_b32_e32 v3, 16, v3
.LBB174_163:
	s_mov_b64 s[0:1], 0
.LBB174_164:
	s_andn2_b64 vcc, exec, s[0:1]
	s_cbranch_vccnz .LBB174_172
; %bb.165:
	global_load_ubyte v3, v[0:1], off
	s_movk_i32 s0, 0x7f
	s_waitcnt vmcnt(0)
	v_cmp_lt_i16_e32 vcc, s0, v3
	s_mov_b64 s[0:1], 0
	s_and_saveexec_b64 s[16:17], vcc
	s_xor_b64 s[16:17], exec, s[16:17]
	s_cbranch_execz .LBB174_185
; %bb.166:
	s_movk_i32 s0, 0x80
	v_cmp_eq_u16_e32 vcc, s0, v3
	s_mov_b64 s[0:1], -1
	s_and_saveexec_b64 s[22:23], vcc
; %bb.167:
	s_xor_b64 s[0:1], exec, -1
; %bb.168:
	s_or_b64 exec, exec, s[22:23]
	s_and_b64 s[0:1], s[0:1], exec
	s_or_saveexec_b64 s[16:17], s[16:17]
	v_mov_b32_e32 v4, 0x7f800001
	s_xor_b64 exec, exec, s[16:17]
	s_cbranch_execnz .LBB174_186
.LBB174_169:
	s_or_b64 exec, exec, s[16:17]
	s_and_saveexec_b64 s[16:17], s[0:1]
	s_cbranch_execz .LBB174_171
.LBB174_170:
	v_lshlrev_b32_e32 v4, 24, v3
	v_and_b32_e32 v3, 0xffff, v3
	v_and_b32_e32 v5, 7, v3
	v_ffbh_u32_e32 v7, v5
	v_min_u32_e32 v7, 32, v7
	v_subrev_u32_e32 v8, 28, v7
	v_bfe_u32 v6, v3, 3, 4
	v_lshlrev_b32_e32 v3, v8, v3
	v_sub_u32_e32 v7, 29, v7
	v_and_b32_e32 v3, 7, v3
	v_cmp_eq_u32_e32 vcc, 0, v6
	v_cndmask_b32_e32 v6, v6, v7, vcc
	v_cndmask_b32_e32 v3, v5, v3, vcc
	v_mov_b32_e32 v5, 0x3b800000
	v_lshlrev_b32_e32 v3, 20, v3
	v_and_b32_e32 v4, 0x80000000, v4
	v_lshl_add_u32 v5, v6, 23, v5
	v_or3_b32 v4, v4, v5, v3
.LBB174_171:
	s_or_b64 exec, exec, s[16:17]
	v_bfe_u32 v3, v4, 16, 1
	s_movk_i32 s0, 0x7fff
	v_add3_u32 v3, v4, v3, s0
	v_cmp_o_f32_e32 vcc, v4, v4
	v_mov_b32_e32 v4, 0x7fc0
	v_cndmask_b32_sdwa v3, v4, v3, vcc dst_sel:DWORD dst_unused:UNUSED_PAD src0_sel:DWORD src1_sel:WORD_1
.LBB174_172:
	s_mov_b64 s[0:1], -1
	v_mov_b32_e32 v4, 0
.LBB174_173:
	s_branch .LBB174_208
.LBB174_174:
	s_cmp_gt_i32 s26, 22
	s_cbranch_scc0 .LBB174_184
; %bb.175:
	s_cmp_lt_i32 s26, 24
	s_cbranch_scc1 .LBB174_187
; %bb.176:
	s_cmp_gt_i32 s26, 24
	s_cbranch_scc0 .LBB174_188
; %bb.177:
	global_load_ubyte v3, v[0:1], off
	s_movk_i32 s0, 0x7f
	s_waitcnt vmcnt(0)
	v_cmp_lt_i16_e32 vcc, s0, v3
	s_mov_b64 s[0:1], 0
	s_and_saveexec_b64 s[16:17], vcc
	s_xor_b64 s[16:17], exec, s[16:17]
	s_cbranch_execz .LBB174_199
; %bb.178:
	s_movk_i32 s0, 0x80
	v_cmp_eq_u16_e32 vcc, s0, v3
	s_mov_b64 s[0:1], -1
	s_and_saveexec_b64 s[22:23], vcc
; %bb.179:
	s_xor_b64 s[0:1], exec, -1
; %bb.180:
	s_or_b64 exec, exec, s[22:23]
	s_and_b64 s[0:1], s[0:1], exec
	s_or_saveexec_b64 s[16:17], s[16:17]
	v_mov_b32_e32 v4, 0x7f800001
	s_xor_b64 exec, exec, s[16:17]
	s_cbranch_execnz .LBB174_200
.LBB174_181:
	s_or_b64 exec, exec, s[16:17]
	s_and_saveexec_b64 s[16:17], s[0:1]
	s_cbranch_execz .LBB174_183
.LBB174_182:
	v_lshlrev_b32_e32 v4, 24, v3
	v_and_b32_e32 v3, 0xffff, v3
	v_and_b32_e32 v5, 3, v3
	v_ffbh_u32_e32 v7, v5
	v_min_u32_e32 v7, 32, v7
	v_subrev_u32_e32 v8, 29, v7
	v_bfe_u32 v6, v3, 2, 5
	v_lshlrev_b32_e32 v3, v8, v3
	v_sub_u32_e32 v7, 30, v7
	v_and_b32_e32 v3, 3, v3
	v_cmp_eq_u32_e32 vcc, 0, v6
	v_cndmask_b32_e32 v6, v6, v7, vcc
	v_cndmask_b32_e32 v3, v5, v3, vcc
	v_mov_b32_e32 v5, 0x37800000
	v_lshlrev_b32_e32 v3, 21, v3
	v_and_b32_e32 v4, 0x80000000, v4
	v_lshl_add_u32 v5, v6, 23, v5
	v_or3_b32 v4, v4, v5, v3
.LBB174_183:
	s_or_b64 exec, exec, s[16:17]
	v_bfe_u32 v3, v4, 16, 1
	s_movk_i32 s0, 0x7fff
	v_add3_u32 v3, v4, v3, s0
	v_cmp_o_f32_e32 vcc, v4, v4
	v_mov_b32_e32 v4, 0x7fc0
	v_cndmask_b32_sdwa v3, v4, v3, vcc dst_sel:DWORD dst_unused:UNUSED_PAD src0_sel:DWORD src1_sel:WORD_1
	s_mov_b64 s[0:1], 0
	s_branch .LBB174_189
.LBB174_184:
                                        ; implicit-def: $vgpr3
	s_branch .LBB174_195
.LBB174_185:
	s_or_saveexec_b64 s[16:17], s[16:17]
	v_mov_b32_e32 v4, 0x7f800001
	s_xor_b64 exec, exec, s[16:17]
	s_cbranch_execz .LBB174_169
.LBB174_186:
	v_cmp_ne_u16_e32 vcc, 0, v3
	s_andn2_b64 s[0:1], s[0:1], exec
	s_and_b64 s[22:23], vcc, exec
	v_mov_b32_e32 v4, 0
	s_or_b64 s[0:1], s[0:1], s[22:23]
	s_or_b64 exec, exec, s[16:17]
	s_and_saveexec_b64 s[16:17], s[0:1]
	s_cbranch_execnz .LBB174_170
	s_branch .LBB174_171
.LBB174_187:
	s_mov_b64 s[0:1], -1
                                        ; implicit-def: $vgpr3
	s_branch .LBB174_192
.LBB174_188:
	s_mov_b64 s[0:1], -1
                                        ; implicit-def: $vgpr3
.LBB174_189:
	s_and_b64 vcc, exec, s[0:1]
	s_cbranch_vccz .LBB174_191
; %bb.190:
	global_load_ubyte v3, v[0:1], off
	s_mov_b32 s0, 0x7f800000
	s_brev_b32 s1, 1
	s_movk_i32 s16, 0x7fff
	s_waitcnt vmcnt(0)
	v_lshlrev_b32_e32 v3, 24, v3
	v_and_b32_e32 v4, 0x7f000000, v3
	v_ffbh_u32_e32 v5, v4
	v_min_u32_e32 v5, 32, v5
	v_sub_u32_e64 v5, v5, 4 clamp
	v_lshlrev_b32_e32 v7, v5, v4
	v_lshlrev_b32_e32 v5, 23, v5
	v_lshrrev_b32_e32 v7, 4, v7
	v_add_u32_e32 v6, 0x1000000, v4
	v_sub_u32_e32 v5, v7, v5
	v_ashrrev_i32_e32 v6, 8, v6
	v_add_u32_e32 v5, 0x3c000000, v5
	v_and_or_b32 v5, v6, s0, v5
	v_cmp_ne_u32_e32 vcc, 0, v4
	v_cndmask_b32_e32 v4, 0, v5, vcc
	v_and_or_b32 v3, v3, s1, v4
	v_bfe_u32 v4, v4, 16, 1
	v_add3_u32 v4, v3, v4, s16
	v_cmp_o_f32_e32 vcc, v3, v3
	v_mov_b32_e32 v3, 0x7fc0
	v_cndmask_b32_sdwa v3, v3, v4, vcc dst_sel:DWORD dst_unused:UNUSED_PAD src0_sel:DWORD src1_sel:WORD_1
.LBB174_191:
	s_mov_b64 s[0:1], 0
.LBB174_192:
	s_andn2_b64 vcc, exec, s[0:1]
	s_cbranch_vccnz .LBB174_194
; %bb.193:
	global_load_ubyte v3, v[0:1], off
	s_movk_i32 s0, 0x7f00
	s_brev_b32 s1, 16
	s_brev_b32 s16, 1
	s_movk_i32 s17, 0x7fff
	s_waitcnt vmcnt(0)
	v_lshlrev_b16_e32 v4, 8, v3
	v_lshlrev_b32_e32 v3, 25, v3
	v_lshrrev_b32_e32 v5, 4, v3
	v_and_or_b32 v6, v4, s0, 0.5
	v_or_b32_e32 v5, 0x70000000, v5
	v_add_f32_e32 v6, -0.5, v6
	v_mul_f32_e32 v5, 0x7800000, v5
	v_cmp_gt_u32_e32 vcc, s1, v3
	v_bfe_i32 v4, v4, 0, 16
	v_cndmask_b32_e32 v3, v5, v6, vcc
	v_and_or_b32 v4, v4, s16, v3
	v_bfe_u32 v3, v3, 16, 1
	v_add3_u32 v3, v4, v3, s17
	v_cmp_o_f32_e32 vcc, v4, v4
	v_mov_b32_e32 v4, 0x7fc0
	v_cndmask_b32_sdwa v3, v4, v3, vcc dst_sel:DWORD dst_unused:UNUSED_PAD src0_sel:DWORD src1_sel:WORD_1
.LBB174_194:
	s_mov_b64 s[0:1], -1
	s_cbranch_execnz .LBB174_207
.LBB174_195:
	s_cmp_gt_i32 s26, 14
	s_cbranch_scc0 .LBB174_198
; %bb.196:
	s_cmp_eq_u32 s26, 15
	s_cbranch_scc0 .LBB174_201
; %bb.197:
	global_load_ushort v3, v[0:1], off
	s_mov_b64 s[0:1], -1
	s_mov_b64 s[18:19], 0
	s_branch .LBB174_202
.LBB174_198:
	s_mov_b64 s[16:17], -1
                                        ; implicit-def: $vgpr3
	s_branch .LBB174_203
.LBB174_199:
	s_or_saveexec_b64 s[16:17], s[16:17]
	v_mov_b32_e32 v4, 0x7f800001
	s_xor_b64 exec, exec, s[16:17]
	s_cbranch_execz .LBB174_181
.LBB174_200:
	v_cmp_ne_u16_e32 vcc, 0, v3
	s_andn2_b64 s[0:1], s[0:1], exec
	s_and_b64 s[22:23], vcc, exec
	v_mov_b32_e32 v4, 0
	s_or_b64 s[0:1], s[0:1], s[22:23]
	s_or_b64 exec, exec, s[16:17]
	s_and_saveexec_b64 s[16:17], s[0:1]
	s_cbranch_execnz .LBB174_182
	s_branch .LBB174_183
.LBB174_201:
	s_mov_b64 s[18:19], -1
                                        ; implicit-def: $vgpr3
.LBB174_202:
	s_mov_b64 s[16:17], 0
.LBB174_203:
	s_and_b64 vcc, exec, s[16:17]
	s_cbranch_vccz .LBB174_207
; %bb.204:
	s_cmp_eq_u32 s26, 11
	s_cbranch_scc0 .LBB174_206
; %bb.205:
	global_load_ubyte v3, v[0:1], off
	s_mov_b64 s[0:1], -1
	s_mov_b64 s[18:19], 0
	v_mov_b32_e32 v4, 0
	s_waitcnt vmcnt(0)
	v_cmp_ne_u16_e32 vcc, 0, v3
	v_cndmask_b32_e64 v3, 0, 1.0, vcc
	v_lshrrev_b32_e32 v3, 16, v3
	s_branch .LBB174_208
.LBB174_206:
	s_mov_b64 s[18:19], -1
                                        ; implicit-def: $vgpr3
.LBB174_207:
	v_mov_b32_e32 v4, 0
.LBB174_208:
	s_branch .LBB174_10
.LBB174_209:
	s_cmp_lt_i32 s26, 5
	s_cbranch_scc1 .LBB174_214
; %bb.210:
	s_cmp_lt_i32 s26, 8
	s_cbranch_scc1 .LBB174_215
; %bb.211:
	;; [unrolled: 3-line block ×3, first 2 shown]
	s_cmp_gt_i32 s26, 9
	s_cbranch_scc0 .LBB174_217
; %bb.213:
	global_load_dwordx4 v[3:6], v[0:1], off
	s_movk_i32 s0, 0x7fff
	s_waitcnt vmcnt(0)
	v_cvt_f32_f64_e32 v3, v[3:4]
	v_cvt_f32_f64_e32 v4, v[5:6]
	v_mov_b32_e32 v5, 0x7fc0
	v_mov_b32_e32 v6, 0x7fc00000
	v_bfe_u32 v7, v3, 16, 1
	v_bfe_u32 v8, v4, 16, 1
	v_cmp_o_f32_e32 vcc, v3, v3
	v_add3_u32 v3, v3, v7, s0
	v_add3_u32 v7, v4, v8, s0
	v_cndmask_b32_sdwa v3, v5, v3, vcc dst_sel:DWORD dst_unused:UNUSED_PAD src0_sel:DWORD src1_sel:WORD_1
	v_and_b32_e32 v5, 0xffff0000, v7
	v_cmp_o_f32_e32 vcc, v4, v4
	v_cndmask_b32_e32 v4, v6, v5, vcc
	s_mov_b64 s[0:1], 0
	s_branch .LBB174_218
.LBB174_214:
                                        ; implicit-def: $vgpr4
                                        ; implicit-def: $vgpr3
	s_branch .LBB174_237
.LBB174_215:
	s_mov_b64 s[0:1], -1
                                        ; implicit-def: $vgpr4
                                        ; implicit-def: $vgpr3
	s_branch .LBB174_224
.LBB174_216:
	s_mov_b64 s[0:1], -1
                                        ; implicit-def: $vgpr4
                                        ; implicit-def: $vgpr3
	s_branch .LBB174_221
.LBB174_217:
	s_mov_b64 s[0:1], -1
                                        ; implicit-def: $vgpr4
                                        ; implicit-def: $vgpr3
.LBB174_218:
	s_andn2_b64 vcc, exec, s[0:1]
	s_cbranch_vccnz .LBB174_220
; %bb.219:
	global_load_dwordx2 v[3:4], v[0:1], off
	s_movk_i32 s0, 0x7fff
	v_mov_b32_e32 v5, 0x7fc0
	v_mov_b32_e32 v6, 0x7fc00000
	s_waitcnt vmcnt(0)
	v_bfe_u32 v7, v3, 16, 1
	v_bfe_u32 v8, v4, 16, 1
	v_cmp_o_f32_e32 vcc, v3, v3
	v_add3_u32 v3, v3, v7, s0
	v_add3_u32 v7, v4, v8, s0
	v_cndmask_b32_sdwa v3, v5, v3, vcc dst_sel:DWORD dst_unused:UNUSED_PAD src0_sel:DWORD src1_sel:WORD_1
	v_and_b32_e32 v5, 0xffff0000, v7
	v_cmp_o_f32_e32 vcc, v4, v4
	v_cndmask_b32_e32 v4, v6, v5, vcc
.LBB174_220:
	s_mov_b64 s[0:1], 0
.LBB174_221:
	s_andn2_b64 vcc, exec, s[0:1]
	s_cbranch_vccnz .LBB174_223
; %bb.222:
	global_load_dword v4, v[0:1], off
	s_movk_i32 s0, 0x7fff
	s_waitcnt vmcnt(1)
	v_mov_b32_e32 v3, 0x7fc0
	v_mov_b32_e32 v7, 0x7fc00000
	s_waitcnt vmcnt(0)
	v_cvt_f32_f16_e32 v5, v4
	v_cvt_f32_f16_sdwa v6, v4 dst_sel:DWORD dst_unused:UNUSED_PAD src0_sel:WORD_1
	v_cmp_o_f16_e32 vcc, v4, v4
	v_bfe_u32 v8, v5, 16, 1
	v_bfe_u32 v9, v6, 16, 1
	v_add3_u32 v5, v5, v8, s0
	v_add3_u32 v6, v6, v9, s0
	v_cndmask_b32_sdwa v3, v3, v5, vcc dst_sel:DWORD dst_unused:UNUSED_PAD src0_sel:DWORD src1_sel:WORD_1
	v_and_b32_e32 v5, 0xffff0000, v6
	v_cmp_o_f16_sdwa vcc, v4, v4 src0_sel:WORD_1 src1_sel:WORD_1
	v_cndmask_b32_e32 v4, v7, v5, vcc
.LBB174_223:
	s_mov_b64 s[0:1], 0
.LBB174_224:
	s_andn2_b64 vcc, exec, s[0:1]
	s_cbranch_vccnz .LBB174_236
; %bb.225:
	s_cmp_lt_i32 s26, 6
	s_cbranch_scc1 .LBB174_228
; %bb.226:
	s_cmp_gt_i32 s26, 6
	s_cbranch_scc0 .LBB174_229
; %bb.227:
	global_load_dwordx2 v[3:4], v[0:1], off
	s_movk_i32 s0, 0x7fff
	s_waitcnt vmcnt(0)
	v_cvt_f32_f64_e32 v3, v[3:4]
	v_mov_b32_e32 v4, 0x7fc0
	v_bfe_u32 v5, v3, 16, 1
	v_cmp_o_f32_e32 vcc, v3, v3
	v_add3_u32 v3, v3, v5, s0
	v_cndmask_b32_sdwa v3, v4, v3, vcc dst_sel:DWORD dst_unused:UNUSED_PAD src0_sel:DWORD src1_sel:WORD_1
	s_mov_b64 s[0:1], 0
	s_branch .LBB174_230
.LBB174_228:
	s_mov_b64 s[0:1], -1
                                        ; implicit-def: $vgpr3
	s_branch .LBB174_233
.LBB174_229:
	s_mov_b64 s[0:1], -1
                                        ; implicit-def: $vgpr3
.LBB174_230:
	s_andn2_b64 vcc, exec, s[0:1]
	s_cbranch_vccnz .LBB174_232
; %bb.231:
	global_load_dword v3, v[0:1], off
	s_movk_i32 s0, 0x7fff
	v_mov_b32_e32 v4, 0x7fc0
	s_waitcnt vmcnt(0)
	v_bfe_u32 v5, v3, 16, 1
	v_cmp_o_f32_e32 vcc, v3, v3
	v_add3_u32 v3, v3, v5, s0
	v_cndmask_b32_sdwa v3, v4, v3, vcc dst_sel:DWORD dst_unused:UNUSED_PAD src0_sel:DWORD src1_sel:WORD_1
.LBB174_232:
	s_mov_b64 s[0:1], 0
.LBB174_233:
	s_andn2_b64 vcc, exec, s[0:1]
	s_cbranch_vccnz .LBB174_235
; %bb.234:
	global_load_ushort v3, v[0:1], off
	s_movk_i32 s0, 0x7fff
	v_mov_b32_e32 v5, 0x7fc0
	s_waitcnt vmcnt(0)
	v_cvt_f32_f16_e32 v4, v3
	v_cmp_o_f16_e32 vcc, v3, v3
	v_bfe_u32 v3, v4, 16, 1
	v_add3_u32 v3, v4, v3, s0
	v_cndmask_b32_sdwa v3, v5, v3, vcc dst_sel:DWORD dst_unused:UNUSED_PAD src0_sel:DWORD src1_sel:WORD_1
.LBB174_235:
	v_mov_b32_e32 v4, 0
.LBB174_236:
	s_cbranch_execnz .LBB174_257
.LBB174_237:
	s_cmp_lt_i32 s26, 2
	s_cbranch_scc1 .LBB174_241
; %bb.238:
	s_cmp_lt_i32 s26, 3
	s_cbranch_scc1 .LBB174_242
; %bb.239:
	s_cmp_gt_i32 s26, 3
	s_cbranch_scc0 .LBB174_243
; %bb.240:
	global_load_dwordx2 v[3:4], v[0:1], off
	s_movk_i32 s0, 0x7fff
	s_waitcnt vmcnt(0)
	v_xor_b32_e32 v6, v3, v4
	v_ffbh_i32_e32 v5, v4
	v_ashrrev_i32_e32 v6, 31, v6
	v_add_u32_e32 v5, -1, v5
	v_add_u32_e32 v6, 32, v6
	v_min_u32_e32 v5, v5, v6
	v_lshlrev_b64 v[3:4], v5, v[3:4]
	v_min_u32_e32 v3, 1, v3
	v_or_b32_e32 v3, v4, v3
	v_cvt_f32_i32_e32 v3, v3
	v_sub_u32_e32 v4, 32, v5
	v_ldexp_f32 v3, v3, v4
	v_bfe_u32 v4, v3, 16, 1
	v_add3_u32 v3, v3, v4, s0
	v_lshrrev_b32_e32 v3, 16, v3
	s_mov_b64 s[0:1], 0
	s_branch .LBB174_244
.LBB174_241:
	s_mov_b64 s[0:1], -1
                                        ; implicit-def: $vgpr3
	s_branch .LBB174_250
.LBB174_242:
	s_mov_b64 s[0:1], -1
                                        ; implicit-def: $vgpr3
	s_branch .LBB174_247
.LBB174_243:
	s_mov_b64 s[0:1], -1
                                        ; implicit-def: $vgpr3
.LBB174_244:
	s_andn2_b64 vcc, exec, s[0:1]
	s_cbranch_vccnz .LBB174_246
; %bb.245:
	global_load_dword v3, v[0:1], off
	s_movk_i32 s0, 0x7fff
	s_waitcnt vmcnt(0)
	v_cvt_f32_i32_e32 v3, v3
	v_bfe_u32 v4, v3, 16, 1
	v_add3_u32 v3, v3, v4, s0
	v_lshrrev_b32_e32 v3, 16, v3
.LBB174_246:
	s_mov_b64 s[0:1], 0
.LBB174_247:
	s_andn2_b64 vcc, exec, s[0:1]
	s_cbranch_vccnz .LBB174_249
; %bb.248:
	global_load_sshort v3, v[0:1], off
	s_movk_i32 s0, 0x7fff
	s_waitcnt vmcnt(0)
	v_cvt_f32_i32_e32 v3, v3
	v_bfe_u32 v4, v3, 16, 1
	v_add3_u32 v3, v3, v4, s0
	v_lshrrev_b32_e32 v3, 16, v3
.LBB174_249:
	s_mov_b64 s[0:1], 0
.LBB174_250:
	s_andn2_b64 vcc, exec, s[0:1]
	s_cbranch_vccnz .LBB174_256
; %bb.251:
	s_cmp_gt_i32 s26, 0
	s_cbranch_scc0 .LBB174_253
; %bb.252:
	global_load_sbyte v3, v[0:1], off
	s_movk_i32 s0, 0x7fff
	s_waitcnt vmcnt(0)
	v_cvt_f32_i32_e32 v3, v3
	v_bfe_u32 v4, v3, 16, 1
	v_add3_u32 v3, v3, v4, s0
	v_lshrrev_b32_e32 v3, 16, v3
	s_mov_b64 s[0:1], 0
	s_branch .LBB174_254
.LBB174_253:
	s_mov_b64 s[0:1], -1
                                        ; implicit-def: $vgpr3
.LBB174_254:
	s_andn2_b64 vcc, exec, s[0:1]
	s_cbranch_vccnz .LBB174_256
; %bb.255:
	global_load_ubyte v0, v[0:1], off
	s_movk_i32 s0, 0x7fff
	s_waitcnt vmcnt(0)
	v_cvt_f32_ubyte0_e32 v0, v0
	v_bfe_u32 v1, v0, 16, 1
	v_add3_u32 v0, v0, v1, s0
	v_lshrrev_b32_e32 v3, 16, v0
.LBB174_256:
	v_mov_b32_e32 v4, 0
.LBB174_257:
	s_branch .LBB174_11
.LBB174_258:
	s_mov_b64 s[0:1], 0
                                        ; implicit-def: $vgpr2
	s_mov_b64 s[22:23], 0
.LBB174_259:
	s_and_b64 s[16:17], s[0:1], exec
	s_and_b64 s[18:19], s[18:19], exec
	s_orn2_b64 s[22:23], s[22:23], exec
.LBB174_260:
	s_or_b64 exec, exec, s[20:21]
	s_mov_b64 s[26:27], 0
	s_mov_b64 s[0:1], 0
                                        ; implicit-def: $vgpr0_vgpr1
                                        ; implicit-def: $vgpr4
                                        ; implicit-def: $vgpr3
	s_and_saveexec_b64 s[20:21], s[22:23]
	s_cbranch_execz .LBB174_269
; %bb.261:
	v_cmp_gt_i32_e32 vcc, s42, v2
	s_mov_b64 s[0:1], -1
	s_mov_b64 s[22:23], s[18:19]
	s_mov_b64 s[24:25], s[16:17]
	s_and_saveexec_b64 s[26:27], vcc
	s_cbranch_execz .LBB174_530
; %bb.262:
	v_mul_lo_u32 v0, v2, s13
	v_mov_b32_e32 v1, s11
	s_and_b32 s30, 0xffff, s46
	s_cmp_lt_i32 s30, 11
	s_waitcnt vmcnt(0)
	v_ashrrev_i32_e32 v3, 31, v0
	v_add_co_u32_e32 v0, vcc, s10, v0
	v_addc_co_u32_e32 v1, vcc, v1, v3, vcc
	s_cbranch_scc1 .LBB174_272
; %bb.263:
	s_cmp_gt_i32 s30, 25
	s_cbranch_scc0 .LBB174_284
; %bb.264:
	s_cmp_gt_i32 s30, 28
	s_cbranch_scc0 .LBB174_287
	;; [unrolled: 3-line block ×4, first 2 shown]
; %bb.267:
	s_cmp_eq_u32 s30, 46
	s_mov_b64 s[24:25], 0
	s_cbranch_scc0 .LBB174_297
; %bb.268:
	global_load_dword v3, v[0:1], off
	s_mov_b64 s[22:23], 0
	s_waitcnt vmcnt(0)
	v_and_b32_e32 v4, 0xffff0000, v3
	s_branch .LBB174_298
.LBB174_269:
	s_or_b64 exec, exec, s[20:21]
	s_mov_b64 s[20:21], 0
	s_and_saveexec_b64 s[22:23], s[18:19]
	s_cbranch_execnz .LBB174_889
.LBB174_270:
	s_or_b64 exec, exec, s[22:23]
	s_and_saveexec_b64 s[18:19], s[24:25]
	s_xor_b64 s[18:19], exec, s[18:19]
	s_cbranch_execz .LBB174_890
.LBB174_271:
	global_load_ubyte v3, v[0:1], off
	v_mov_b32_e32 v4, 0
	s_or_b64 s[0:1], s[0:1], exec
	s_waitcnt vmcnt(0)
	v_cmp_ne_u16_e32 vcc, 0, v3
	v_cndmask_b32_e64 v3, 0, 1.0, vcc
	v_lshrrev_b32_e32 v3, 16, v3
	s_or_b64 exec, exec, s[18:19]
	s_and_saveexec_b64 s[18:19], s[26:27]
	s_cbranch_execz .LBB174_938
	s_branch .LBB174_891
.LBB174_272:
	s_mov_b64 s[0:1], 0
                                        ; implicit-def: $vgpr4
                                        ; implicit-def: $vgpr3
	s_mov_b64 s[22:23], s[18:19]
	s_cbranch_execnz .LBB174_478
.LBB174_273:
	s_andn2_b64 vcc, exec, s[0:1]
	s_cbranch_vccnz .LBB174_528
.LBB174_274:
	s_waitcnt vmcnt(0)
	v_or_b32_sdwa v0, v4, v3 dst_sel:DWORD dst_unused:UNUSED_PAD src0_sel:DWORD src1_sel:WORD_0
	s_andn2_b64 vcc, exec, s[6:7]
	v_lshlrev_b32_e32 v0, 16, v0
	s_cbranch_vccnz .LBB174_286
; %bb.275:
	v_and_b32_e32 v1, 0xffff0000, v4
	v_cmp_neq_f32_e32 vcc, s47, v0
	v_cmp_neq_f32_e64 s[0:1], s48, v1
	s_or_b64 s[24:25], vcc, s[0:1]
	s_cbranch_execnz .LBB174_277
.LBB174_276:
	v_and_b32_e32 v1, 0xffff0000, v4
	v_cmp_eq_f32_e32 vcc, s47, v0
	v_cmp_eq_f32_e64 s[0:1], s48, v1
	s_and_b64 s[0:1], vcc, s[0:1]
	s_andn2_b64 s[24:25], s[24:25], exec
	s_and_b64 s[0:1], s[0:1], exec
	s_or_b64 s[24:25], s[24:25], s[0:1]
.LBB174_277:
	v_mul_lo_u32 v0, v2, s12
	v_mov_b32_e32 v1, s9
	s_and_b32 s36, s33, 0xff
	s_cmp_lt_i32 s36, 11
	v_ashrrev_i32_e32 v3, 31, v0
	v_add_co_u32_e32 v0, vcc, s8, v0
	v_addc_co_u32_e32 v1, vcc, v1, v3, vcc
	s_cbranch_scc1 .LBB174_285
; %bb.278:
	s_and_b32 s37, 0xffff, s36
	s_cmp_gt_i32 s37, 25
	s_cbranch_scc0 .LBB174_288
; %bb.279:
	s_cmp_gt_i32 s37, 28
	s_cbranch_scc0 .LBB174_290
; %bb.280:
	;; [unrolled: 3-line block ×4, first 2 shown]
	s_mov_b64 s[30:31], 0
	s_mov_b64 s[0:1], -1
	s_cmp_eq_u32 s37, 46
	s_mov_b64 s[28:29], 0
	s_cbranch_scc0 .LBB174_302
; %bb.283:
	v_cndmask_b32_e64 v3, 0, 1.0, s[24:25]
	v_bfe_u32 v4, v3, 16, 1
	s_movk_i32 s0, 0x7fff
	v_add3_u32 v3, v3, v4, s0
	v_lshrrev_b32_e32 v3, 16, v3
	global_store_dword v[0:1], v3, off
	s_mov_b64 s[28:29], -1
	s_mov_b64 s[0:1], 0
	s_branch .LBB174_302
.LBB174_284:
	s_mov_b64 s[24:25], -1
	s_mov_b64 s[0:1], 0
	s_mov_b64 s[22:23], s[18:19]
                                        ; implicit-def: $vgpr4
                                        ; implicit-def: $vgpr3
	s_branch .LBB174_441
.LBB174_285:
	s_mov_b64 s[30:31], -1
	s_mov_b64 s[28:29], 0
	s_mov_b64 s[0:1], s[16:17]
	s_branch .LBB174_371
.LBB174_286:
                                        ; implicit-def: $sgpr24_sgpr25
	s_branch .LBB174_276
.LBB174_287:
	s_mov_b64 s[24:25], -1
	s_mov_b64 s[0:1], 0
	s_mov_b64 s[22:23], s[18:19]
                                        ; implicit-def: $vgpr4
                                        ; implicit-def: $vgpr3
	s_branch .LBB174_422
.LBB174_288:
	s_mov_b64 s[30:31], -1
	s_mov_b64 s[28:29], 0
	s_mov_b64 s[0:1], s[16:17]
	s_branch .LBB174_329
.LBB174_289:
	s_mov_b64 s[24:25], -1
	s_mov_b64 s[0:1], 0
	s_mov_b64 s[22:23], s[18:19]
                                        ; implicit-def: $vgpr4
                                        ; implicit-def: $vgpr3
	s_branch .LBB174_416
.LBB174_290:
	s_mov_b64 s[30:31], -1
	s_mov_b64 s[28:29], 0
	s_mov_b64 s[0:1], s[16:17]
	s_branch .LBB174_312
.LBB174_291:
	s_andn2_saveexec_b64 s[28:29], s[28:29]
	s_cbranch_execz .LBB174_59
.LBB174_292:
	v_add_f32_e32 v3, 0x46000000, v4
	v_and_b32_e32 v3, 0xff, v3
	v_cmp_ne_u32_e32 vcc, 0, v3
	s_andn2_b64 s[26:27], s[26:27], exec
	s_and_b64 s[34:35], vcc, exec
	s_or_b64 s[26:27], s[26:27], s[34:35]
	s_or_b64 exec, exec, s[28:29]
	v_mov_b32_e32 v5, 0
	s_and_saveexec_b64 s[28:29], s[26:27]
	s_cbranch_execnz .LBB174_60
	s_branch .LBB174_61
.LBB174_293:
	s_mov_b64 s[24:25], -1
	s_mov_b64 s[0:1], 0
	s_mov_b64 s[22:23], s[18:19]
                                        ; implicit-def: $vgpr4
                                        ; implicit-def: $vgpr3
	s_branch .LBB174_298
.LBB174_294:
	s_mov_b64 s[30:31], -1
	s_mov_b64 s[28:29], 0
	s_mov_b64 s[0:1], s[16:17]
	s_branch .LBB174_308
.LBB174_295:
	s_andn2_saveexec_b64 s[28:29], s[28:29]
	s_cbranch_execz .LBB174_72
.LBB174_296:
	v_add_f32_e32 v3, 0x42800000, v4
	v_and_b32_e32 v3, 0xff, v3
	v_cmp_ne_u32_e32 vcc, 0, v3
	s_andn2_b64 s[26:27], s[26:27], exec
	s_and_b64 s[34:35], vcc, exec
	s_or_b64 s[26:27], s[26:27], s[34:35]
	s_or_b64 exec, exec, s[28:29]
	v_mov_b32_e32 v5, 0
	s_and_saveexec_b64 s[28:29], s[26:27]
	s_cbranch_execnz .LBB174_73
	s_branch .LBB174_74
.LBB174_297:
	s_mov_b64 s[22:23], -1
                                        ; implicit-def: $vgpr4
                                        ; implicit-def: $vgpr3
	s_mov_b64 s[0:1], 0
.LBB174_298:
	s_and_b64 vcc, exec, s[24:25]
	s_cbranch_vccz .LBB174_415
; %bb.299:
	s_cmp_eq_u32 s30, 44
	s_cbranch_scc0 .LBB174_413
; %bb.300:
	global_load_ubyte v3, v[0:1], off
	s_movk_i32 s22, 0xff
	v_mov_b32_e32 v4, 0x7f800001
	v_mov_b32_e32 v5, 0x400000
	;; [unrolled: 1-line block ×3, first 2 shown]
	s_mov_b64 s[0:1], -1
	s_waitcnt vmcnt(0)
	v_lshlrev_b32_e32 v7, 23, v3
	v_cmp_ne_u32_e32 vcc, s22, v3
	v_cndmask_b32_e32 v4, v4, v7, vcc
	v_cmp_ne_u32_e32 vcc, 0, v3
	v_cndmask_b32_e32 v3, v5, v4, vcc
	v_add_u32_e32 v4, 0x7fff, v3
	v_cmp_o_f32_e32 vcc, v3, v3
	v_cndmask_b32_sdwa v3, v6, v4, vcc dst_sel:DWORD dst_unused:UNUSED_PAD src0_sel:DWORD src1_sel:WORD_1
	s_mov_b64 s[22:23], 0
	s_branch .LBB174_414
.LBB174_301:
	s_mov_b64 s[30:31], -1
	s_mov_b64 s[28:29], 0
	s_mov_b64 s[0:1], s[16:17]
.LBB174_302:
	s_and_b64 vcc, exec, s[30:31]
	s_cbranch_vccz .LBB174_307
; %bb.303:
	s_cmp_eq_u32 s37, 44
	s_mov_b64 s[0:1], -1
	s_cbranch_scc0 .LBB174_307
; %bb.304:
	v_cndmask_b32_e64 v4, 0, 1.0, s[24:25]
	v_lshrrev_b32_e32 v3, 23, v4
	s_movk_i32 s0, 0xff
	v_cmp_ne_u32_e32 vcc, s0, v3
	v_mov_b32_e32 v5, 0xff
	s_and_saveexec_b64 s[28:29], vcc
; %bb.305:
	s_mov_b32 s0, 0x3fffff
	v_and_b32_e32 v5, 0x400000, v4
	v_and_or_b32 v4, v4, s0, v3
	v_cmp_ne_u32_e32 vcc, 0, v5
	v_cmp_ne_u32_e64 s[0:1], 0, v4
	s_and_b64 s[0:1], vcc, s[0:1]
	v_cndmask_b32_e64 v4, 0, 1, s[0:1]
	v_add_u32_e32 v5, v3, v4
; %bb.306:
	s_or_b64 exec, exec, s[28:29]
	s_mov_b64 s[28:29], -1
	s_mov_b64 s[0:1], 0
	global_store_byte v[0:1], v5, off
.LBB174_307:
	s_mov_b64 s[30:31], 0
.LBB174_308:
	s_and_b64 vcc, exec, s[30:31]
	s_cbranch_vccz .LBB174_311
; %bb.309:
	s_cmp_eq_u32 s37, 29
	s_mov_b64 s[0:1], -1
	s_cbranch_scc0 .LBB174_311
; %bb.310:
	s_mov_b32 s0, 0
	v_cndmask_b32_e64 v3, 0, 1, s[24:25]
	v_mov_b32_e32 v4, s0
	global_store_dwordx2 v[0:1], v[3:4], off
	s_mov_b64 s[28:29], -1
	s_mov_b64 s[0:1], 0
.LBB174_311:
	s_mov_b64 s[30:31], 0
.LBB174_312:
	s_and_b64 vcc, exec, s[30:31]
	s_cbranch_vccz .LBB174_328
; %bb.313:
	s_cmp_lt_i32 s37, 27
	s_mov_b64 s[28:29], -1
	s_cbranch_scc1 .LBB174_319
; %bb.314:
	s_cmp_gt_i32 s37, 27
	s_cbranch_scc0 .LBB174_316
; %bb.315:
	v_cndmask_b32_e64 v3, 0, 1, s[24:25]
	s_mov_b64 s[28:29], 0
	global_store_dword v[0:1], v3, off
.LBB174_316:
	s_andn2_b64 vcc, exec, s[28:29]
	s_cbranch_vccnz .LBB174_318
; %bb.317:
	v_cndmask_b32_e64 v3, 0, 1, s[24:25]
	global_store_short v[0:1], v3, off
.LBB174_318:
	s_mov_b64 s[28:29], 0
.LBB174_319:
	s_andn2_b64 vcc, exec, s[28:29]
	s_cbranch_vccnz .LBB174_327
; %bb.320:
	v_cndmask_b32_e64 v4, 0, 1.0, s[24:25]
	s_mov_b32 s28, 0x43800000
	v_cmp_gt_u32_e32 vcc, s28, v4
	v_mov_b32_e32 v5, 0x80
	s_and_saveexec_b64 s[28:29], vcc
	s_cbranch_execz .LBB174_326
; %bb.321:
	s_mov_b32 s30, 0x3bffffff
	v_cmp_lt_u32_e32 vcc, s30, v4
	s_mov_b64 s[30:31], 0
                                        ; implicit-def: $vgpr3
	s_and_saveexec_b64 s[34:35], vcc
	s_xor_b64 s[34:35], exec, s[34:35]
	s_cbranch_execz .LBB174_543
; %bb.322:
	v_bfe_u32 v3, v4, 20, 1
	s_mov_b32 s38, 0x487ffff
	v_add3_u32 v3, v4, v3, s38
	s_mov_b64 s[30:31], exec
	v_lshrrev_b32_e32 v3, 20, v3
                                        ; implicit-def: $vgpr4
	s_andn2_saveexec_b64 s[34:35], s[34:35]
	s_cbranch_execnz .LBB174_544
.LBB174_323:
	s_or_b64 exec, exec, s[34:35]
	v_mov_b32_e32 v5, 0
	s_and_saveexec_b64 s[34:35], s[30:31]
.LBB174_324:
	v_mov_b32_e32 v5, v3
.LBB174_325:
	s_or_b64 exec, exec, s[34:35]
.LBB174_326:
	s_or_b64 exec, exec, s[28:29]
	global_store_byte v[0:1], v5, off
.LBB174_327:
	s_mov_b64 s[28:29], -1
.LBB174_328:
	s_mov_b64 s[30:31], 0
.LBB174_329:
	s_and_b64 vcc, exec, s[30:31]
	s_cbranch_vccz .LBB174_370
; %bb.330:
	s_cmp_gt_i32 s37, 22
	s_mov_b64 s[30:31], -1
	s_cbranch_scc0 .LBB174_362
; %bb.331:
	s_cmp_lt_i32 s37, 24
	s_mov_b64 s[28:29], -1
	s_cbranch_scc1 .LBB174_351
; %bb.332:
	s_cmp_gt_i32 s37, 24
	s_cbranch_scc0 .LBB174_340
; %bb.333:
	v_cndmask_b32_e64 v4, 0, 1.0, s[24:25]
	s_mov_b32 s28, 0x47800000
	v_cmp_gt_u32_e32 vcc, s28, v4
	v_mov_b32_e32 v5, 0x80
	s_and_saveexec_b64 s[28:29], vcc
	s_cbranch_execz .LBB174_339
; %bb.334:
	s_mov_b32 s30, 0x37ffffff
	v_cmp_lt_u32_e32 vcc, s30, v4
	s_mov_b64 s[30:31], 0
                                        ; implicit-def: $vgpr3
	s_and_saveexec_b64 s[34:35], vcc
	s_xor_b64 s[34:35], exec, s[34:35]
	s_cbranch_execz .LBB174_546
; %bb.335:
	v_bfe_u32 v3, v4, 21, 1
	s_mov_b32 s38, 0x88fffff
	v_add3_u32 v3, v4, v3, s38
	s_mov_b64 s[30:31], exec
	v_lshrrev_b32_e32 v3, 21, v3
                                        ; implicit-def: $vgpr4
	s_andn2_saveexec_b64 s[34:35], s[34:35]
	s_cbranch_execnz .LBB174_547
.LBB174_336:
	s_or_b64 exec, exec, s[34:35]
	v_mov_b32_e32 v5, 0
	s_and_saveexec_b64 s[34:35], s[30:31]
.LBB174_337:
	v_mov_b32_e32 v5, v3
.LBB174_338:
	s_or_b64 exec, exec, s[34:35]
.LBB174_339:
	s_or_b64 exec, exec, s[28:29]
	s_mov_b64 s[28:29], 0
	global_store_byte v[0:1], v5, off
.LBB174_340:
	s_and_b64 vcc, exec, s[28:29]
	s_cbranch_vccz .LBB174_350
; %bb.341:
	v_cndmask_b32_e64 v3, 0, 1.0, s[24:25]
	s_mov_b32 s28, 0x43f00000
	v_cmp_gt_u32_e32 vcc, s28, v3
                                        ; implicit-def: $vgpr4
	s_and_saveexec_b64 s[28:29], vcc
	s_xor_b64 s[28:29], exec, s[28:29]
	s_cbranch_execz .LBB174_347
; %bb.342:
	s_mov_b32 s30, 0x3c7fffff
	v_cmp_lt_u32_e32 vcc, s30, v3
                                        ; implicit-def: $vgpr4
	s_and_saveexec_b64 s[30:31], vcc
	s_xor_b64 s[30:31], exec, s[30:31]
; %bb.343:
	v_bfe_u32 v4, v3, 20, 1
	s_mov_b32 s34, 0x407ffff
	v_add3_u32 v3, v3, v4, s34
	v_lshrrev_b32_e32 v4, 20, v3
	v_and_b32_e32 v3, 0xff00000, v3
	s_mov_b32 s34, 0x7f00000
	v_mov_b32_e32 v5, 0x7e
	v_cmp_ne_u32_e32 vcc, s34, v3
	v_cndmask_b32_e32 v4, v5, v4, vcc
                                        ; implicit-def: $vgpr3
; %bb.344:
	s_andn2_saveexec_b64 s[30:31], s[30:31]
; %bb.345:
	v_add_f32_e32 v4, 0x46800000, v3
; %bb.346:
	s_or_b64 exec, exec, s[30:31]
                                        ; implicit-def: $vgpr3
.LBB174_347:
	s_andn2_saveexec_b64 s[28:29], s[28:29]
; %bb.348:
	s_mov_b32 s30, 0x7f800000
	v_mov_b32_e32 v4, 0x7e
	v_mov_b32_e32 v5, 0x7f
	v_cmp_lt_u32_e32 vcc, s30, v3
	v_cndmask_b32_e32 v4, v4, v5, vcc
; %bb.349:
	s_or_b64 exec, exec, s[28:29]
	global_store_byte v[0:1], v4, off
.LBB174_350:
	s_mov_b64 s[28:29], 0
.LBB174_351:
	s_andn2_b64 vcc, exec, s[28:29]
	s_cbranch_vccnz .LBB174_361
; %bb.352:
	v_cndmask_b32_e64 v3, 0, 1.0, s[24:25]
	s_mov_b32 s28, 0x47800000
	v_cmp_gt_u32_e32 vcc, s28, v3
                                        ; implicit-def: $vgpr4
	s_and_saveexec_b64 s[28:29], vcc
	s_xor_b64 s[28:29], exec, s[28:29]
	s_cbranch_execz .LBB174_358
; %bb.353:
	s_mov_b32 s30, 0x387fffff
	v_cmp_lt_u32_e32 vcc, s30, v3
                                        ; implicit-def: $vgpr4
	s_and_saveexec_b64 s[30:31], vcc
	s_xor_b64 s[30:31], exec, s[30:31]
; %bb.354:
	v_bfe_u32 v4, v3, 21, 1
	s_mov_b32 s34, 0x80fffff
	v_add3_u32 v3, v3, v4, s34
	v_lshrrev_b32_e32 v4, 21, v3
                                        ; implicit-def: $vgpr3
; %bb.355:
	s_andn2_saveexec_b64 s[30:31], s[30:31]
; %bb.356:
	v_add_f32_e32 v4, 0x43000000, v3
; %bb.357:
	s_or_b64 exec, exec, s[30:31]
                                        ; implicit-def: $vgpr3
.LBB174_358:
	s_andn2_saveexec_b64 s[28:29], s[28:29]
; %bb.359:
	s_mov_b32 s30, 0x7f800000
	v_mov_b32_e32 v4, 0x7c
	v_mov_b32_e32 v5, 0x7f
	v_cmp_lt_u32_e32 vcc, s30, v3
	v_cndmask_b32_e32 v4, v4, v5, vcc
; %bb.360:
	s_or_b64 exec, exec, s[28:29]
	global_store_byte v[0:1], v4, off
.LBB174_361:
	s_mov_b64 s[30:31], 0
	s_mov_b64 s[28:29], -1
.LBB174_362:
	s_andn2_b64 vcc, exec, s[30:31]
	s_cbranch_vccnz .LBB174_370
; %bb.363:
	s_cmp_gt_i32 s37, 14
	s_mov_b64 s[30:31], -1
	s_cbranch_scc0 .LBB174_367
; %bb.364:
	s_cmp_eq_u32 s37, 15
	s_mov_b64 s[0:1], -1
	s_cbranch_scc0 .LBB174_366
; %bb.365:
	v_cndmask_b32_e64 v3, 0, 1.0, s[24:25]
	v_bfe_u32 v4, v3, 16, 1
	s_movk_i32 s0, 0x7fff
	v_add3_u32 v3, v3, v4, s0
	global_store_short_d16_hi v[0:1], v3, off
	s_mov_b64 s[28:29], -1
	s_mov_b64 s[0:1], 0
.LBB174_366:
	s_mov_b64 s[30:31], 0
.LBB174_367:
	s_and_b64 vcc, exec, s[30:31]
	s_cbranch_vccz .LBB174_370
; %bb.368:
	s_cmp_eq_u32 s37, 11
	s_mov_b64 s[0:1], -1
	s_cbranch_scc0 .LBB174_370
; %bb.369:
	v_cndmask_b32_e64 v3, 0, 1, s[24:25]
	s_mov_b64 s[28:29], -1
	s_mov_b64 s[0:1], 0
	global_store_byte v[0:1], v3, off
.LBB174_370:
	s_mov_b64 s[30:31], 0
.LBB174_371:
	s_and_b64 vcc, exec, s[30:31]
	s_cbranch_vccz .LBB174_410
; %bb.372:
	s_and_b32 s30, 0xffff, s36
	s_cmp_lt_i32 s30, 5
	s_mov_b64 s[28:29], -1
	s_cbranch_scc1 .LBB174_393
; %bb.373:
	s_cmp_lt_i32 s30, 8
	s_cbranch_scc1 .LBB174_383
; %bb.374:
	s_cmp_lt_i32 s30, 9
	s_cbranch_scc1 .LBB174_380
; %bb.375:
	s_cmp_gt_i32 s30, 9
	s_cbranch_scc0 .LBB174_377
; %bb.376:
	v_cndmask_b32_e64 v3, 0, 1, s[24:25]
	v_cvt_f64_u32_e32 v[3:4], v3
	v_mov_b32_e32 v5, 0
	v_mov_b32_e32 v6, v5
	s_mov_b64 s[28:29], 0
	global_store_dwordx4 v[0:1], v[3:6], off
.LBB174_377:
	s_andn2_b64 vcc, exec, s[28:29]
	s_cbranch_vccnz .LBB174_379
; %bb.378:
	v_cndmask_b32_e64 v3, 0, 1.0, s[24:25]
	v_mov_b32_e32 v4, 0
	global_store_dwordx2 v[0:1], v[3:4], off
.LBB174_379:
	s_mov_b64 s[28:29], 0
.LBB174_380:
	s_andn2_b64 vcc, exec, s[28:29]
	s_cbranch_vccnz .LBB174_382
; %bb.381:
	v_cndmask_b32_e64 v3, 0, 1.0, s[24:25]
	v_cvt_f16_f32_e32 v3, v3
	global_store_dword v[0:1], v3, off
.LBB174_382:
	s_mov_b64 s[28:29], 0
.LBB174_383:
	s_andn2_b64 vcc, exec, s[28:29]
	s_cbranch_vccnz .LBB174_392
; %bb.384:
	s_cmp_lt_i32 s30, 6
	s_mov_b64 s[28:29], -1
	s_cbranch_scc1 .LBB174_390
; %bb.385:
	s_cmp_gt_i32 s30, 6
	s_cbranch_scc0 .LBB174_387
; %bb.386:
	v_cndmask_b32_e64 v3, 0, 1, s[24:25]
	v_cvt_f64_u32_e32 v[3:4], v3
	s_mov_b64 s[28:29], 0
	global_store_dwordx2 v[0:1], v[3:4], off
.LBB174_387:
	s_andn2_b64 vcc, exec, s[28:29]
	s_cbranch_vccnz .LBB174_389
; %bb.388:
	v_cndmask_b32_e64 v3, 0, 1.0, s[24:25]
	global_store_dword v[0:1], v3, off
.LBB174_389:
	s_mov_b64 s[28:29], 0
.LBB174_390:
	s_andn2_b64 vcc, exec, s[28:29]
	s_cbranch_vccnz .LBB174_392
; %bb.391:
	v_cndmask_b32_e64 v3, 0, 1.0, s[24:25]
	v_cvt_f16_f32_e32 v3, v3
	global_store_short v[0:1], v3, off
.LBB174_392:
	s_mov_b64 s[28:29], 0
.LBB174_393:
	s_andn2_b64 vcc, exec, s[28:29]
	s_cbranch_vccnz .LBB174_409
; %bb.394:
	s_cmp_lt_i32 s30, 2
	s_mov_b64 s[28:29], -1
	s_cbranch_scc1 .LBB174_404
; %bb.395:
	s_cmp_lt_i32 s30, 3
	s_cbranch_scc1 .LBB174_401
; %bb.396:
	s_cmp_gt_i32 s30, 3
	s_cbranch_scc0 .LBB174_398
; %bb.397:
	s_mov_b32 s28, 0
	v_cndmask_b32_e64 v3, 0, 1, s[24:25]
	v_mov_b32_e32 v4, s28
	s_mov_b64 s[28:29], 0
	global_store_dwordx2 v[0:1], v[3:4], off
.LBB174_398:
	s_andn2_b64 vcc, exec, s[28:29]
	s_cbranch_vccnz .LBB174_400
; %bb.399:
	v_cndmask_b32_e64 v3, 0, 1, s[24:25]
	global_store_dword v[0:1], v3, off
.LBB174_400:
	s_mov_b64 s[28:29], 0
.LBB174_401:
	s_andn2_b64 vcc, exec, s[28:29]
	s_cbranch_vccnz .LBB174_403
; %bb.402:
	v_cndmask_b32_e64 v3, 0, 1, s[24:25]
	global_store_short v[0:1], v3, off
.LBB174_403:
	s_mov_b64 s[28:29], 0
.LBB174_404:
	s_andn2_b64 vcc, exec, s[28:29]
	s_cbranch_vccnz .LBB174_409
; %bb.405:
	s_mov_b64 s[28:29], -1
	s_cmp_gt_i32 s30, 0
	v_cndmask_b32_e64 v3, 0, 1, s[24:25]
	s_cbranch_scc0 .LBB174_407
; %bb.406:
	s_mov_b64 s[28:29], 0
	global_store_byte v[0:1], v3, off
.LBB174_407:
	s_andn2_b64 vcc, exec, s[28:29]
	s_cbranch_vccnz .LBB174_409
; %bb.408:
	global_store_byte v[0:1], v3, off
.LBB174_409:
	s_mov_b64 s[28:29], -1
.LBB174_410:
	s_andn2_b64 vcc, exec, s[28:29]
	s_cbranch_vccnz .LBB174_412
; %bb.411:
	v_add_u32_e32 v2, 0x80, v2
	s_mov_b64 s[28:29], -1
	s_branch .LBB174_529
.LBB174_412:
	s_mov_b64 s[28:29], 0
                                        ; implicit-def: $vgpr2
	s_branch .LBB174_529
.LBB174_413:
	s_mov_b64 s[22:23], -1
                                        ; implicit-def: $vgpr3
.LBB174_414:
	v_mov_b32_e32 v4, 0
.LBB174_415:
	s_mov_b64 s[24:25], 0
.LBB174_416:
	s_and_b64 vcc, exec, s[24:25]
	s_cbranch_vccz .LBB174_421
; %bb.417:
	s_cmp_eq_u32 s30, 29
	s_cbranch_scc0 .LBB174_419
; %bb.418:
	global_load_dwordx2 v[3:4], v[0:1], off
	s_movk_i32 s22, 0x7fff
	s_mov_b64 s[0:1], -1
	s_waitcnt vmcnt(0)
	v_ffbh_u32_e32 v5, v4
	v_min_u32_e32 v5, 32, v5
	v_lshlrev_b64 v[3:4], v5, v[3:4]
	v_min_u32_e32 v3, 1, v3
	v_or_b32_e32 v3, v4, v3
	v_cvt_f32_u32_e32 v3, v3
	v_sub_u32_e32 v4, 32, v5
	v_ldexp_f32 v3, v3, v4
	v_bfe_u32 v4, v3, 16, 1
	v_add3_u32 v3, v3, v4, s22
	v_lshrrev_b32_e32 v3, 16, v3
	s_mov_b64 s[22:23], 0
	s_branch .LBB174_420
.LBB174_419:
	s_mov_b64 s[22:23], -1
                                        ; implicit-def: $vgpr3
.LBB174_420:
	v_mov_b32_e32 v4, 0
.LBB174_421:
	s_mov_b64 s[24:25], 0
.LBB174_422:
	s_and_b64 vcc, exec, s[24:25]
	s_cbranch_vccz .LBB174_440
; %bb.423:
	s_cmp_lt_i32 s30, 27
	s_cbranch_scc1 .LBB174_426
; %bb.424:
	s_cmp_gt_i32 s30, 27
	s_cbranch_scc0 .LBB174_427
; %bb.425:
	global_load_dword v3, v[0:1], off
	s_movk_i32 s0, 0x7fff
	s_waitcnt vmcnt(0)
	v_cvt_f32_u32_e32 v3, v3
	v_bfe_u32 v4, v3, 16, 1
	v_add3_u32 v3, v3, v4, s0
	v_lshrrev_b32_e32 v3, 16, v3
	s_mov_b64 s[0:1], 0
	s_branch .LBB174_428
.LBB174_426:
	s_mov_b64 s[0:1], -1
                                        ; implicit-def: $vgpr3
	s_branch .LBB174_431
.LBB174_427:
	s_mov_b64 s[0:1], -1
                                        ; implicit-def: $vgpr3
.LBB174_428:
	s_andn2_b64 vcc, exec, s[0:1]
	s_cbranch_vccnz .LBB174_430
; %bb.429:
	global_load_ushort v3, v[0:1], off
	s_movk_i32 s0, 0x7fff
	s_waitcnt vmcnt(0)
	v_cvt_f32_u32_e32 v3, v3
	v_bfe_u32 v4, v3, 16, 1
	v_add3_u32 v3, v3, v4, s0
	v_lshrrev_b32_e32 v3, 16, v3
.LBB174_430:
	s_mov_b64 s[0:1], 0
.LBB174_431:
	s_andn2_b64 vcc, exec, s[0:1]
	s_cbranch_vccnz .LBB174_439
; %bb.432:
	global_load_ubyte v3, v[0:1], off
	s_movk_i32 s0, 0x7f
	s_waitcnt vmcnt(0)
	v_cmp_lt_i16_e32 vcc, s0, v3
	s_mov_b64 s[0:1], 0
	s_and_saveexec_b64 s[24:25], vcc
	s_xor_b64 s[24:25], exec, s[24:25]
	s_cbranch_execz .LBB174_453
; %bb.433:
	s_movk_i32 s0, 0x80
	v_cmp_eq_u16_e32 vcc, s0, v3
	s_mov_b64 s[0:1], -1
	s_and_saveexec_b64 s[28:29], vcc
; %bb.434:
	s_xor_b64 s[0:1], exec, -1
; %bb.435:
	s_or_b64 exec, exec, s[28:29]
	s_and_b64 s[0:1], s[0:1], exec
	s_or_saveexec_b64 s[24:25], s[24:25]
	v_mov_b32_e32 v4, 0x7f800001
	s_xor_b64 exec, exec, s[24:25]
	s_cbranch_execnz .LBB174_454
.LBB174_436:
	s_or_b64 exec, exec, s[24:25]
	s_and_saveexec_b64 s[24:25], s[0:1]
	s_cbranch_execz .LBB174_438
.LBB174_437:
	v_lshlrev_b32_e32 v4, 24, v3
	v_and_b32_e32 v3, 0xffff, v3
	v_and_b32_e32 v5, 7, v3
	v_ffbh_u32_e32 v7, v5
	v_min_u32_e32 v7, 32, v7
	v_subrev_u32_e32 v8, 28, v7
	v_bfe_u32 v6, v3, 3, 4
	v_lshlrev_b32_e32 v3, v8, v3
	v_sub_u32_e32 v7, 29, v7
	v_and_b32_e32 v3, 7, v3
	v_cmp_eq_u32_e32 vcc, 0, v6
	v_cndmask_b32_e32 v6, v6, v7, vcc
	v_cndmask_b32_e32 v3, v5, v3, vcc
	v_mov_b32_e32 v5, 0x3b800000
	v_lshlrev_b32_e32 v3, 20, v3
	v_and_b32_e32 v4, 0x80000000, v4
	v_lshl_add_u32 v5, v6, 23, v5
	v_or3_b32 v4, v4, v5, v3
.LBB174_438:
	s_or_b64 exec, exec, s[24:25]
	v_bfe_u32 v3, v4, 16, 1
	s_movk_i32 s0, 0x7fff
	v_add3_u32 v3, v4, v3, s0
	v_cmp_o_f32_e32 vcc, v4, v4
	v_mov_b32_e32 v4, 0x7fc0
	v_cndmask_b32_sdwa v3, v4, v3, vcc dst_sel:DWORD dst_unused:UNUSED_PAD src0_sel:DWORD src1_sel:WORD_1
.LBB174_439:
	s_mov_b64 s[0:1], -1
	v_mov_b32_e32 v4, 0
.LBB174_440:
	s_mov_b64 s[24:25], 0
.LBB174_441:
	s_and_b64 vcc, exec, s[24:25]
	s_cbranch_vccz .LBB174_477
; %bb.442:
	s_cmp_gt_i32 s30, 22
	s_cbranch_scc0 .LBB174_452
; %bb.443:
	s_cmp_lt_i32 s30, 24
	s_cbranch_scc1 .LBB174_455
; %bb.444:
	s_cmp_gt_i32 s30, 24
	s_cbranch_scc0 .LBB174_456
; %bb.445:
	global_load_ubyte v3, v[0:1], off
	s_movk_i32 s0, 0x7f
	s_waitcnt vmcnt(0)
	v_cmp_lt_i16_e32 vcc, s0, v3
	s_mov_b64 s[0:1], 0
	s_and_saveexec_b64 s[24:25], vcc
	s_xor_b64 s[24:25], exec, s[24:25]
	s_cbranch_execz .LBB174_468
; %bb.446:
	s_movk_i32 s0, 0x80
	v_cmp_eq_u16_e32 vcc, s0, v3
	s_mov_b64 s[0:1], -1
	s_and_saveexec_b64 s[28:29], vcc
; %bb.447:
	s_xor_b64 s[0:1], exec, -1
; %bb.448:
	s_or_b64 exec, exec, s[28:29]
	s_and_b64 s[0:1], s[0:1], exec
	s_or_saveexec_b64 s[24:25], s[24:25]
	v_mov_b32_e32 v4, 0x7f800001
	s_xor_b64 exec, exec, s[24:25]
	s_cbranch_execnz .LBB174_469
.LBB174_449:
	s_or_b64 exec, exec, s[24:25]
	s_and_saveexec_b64 s[24:25], s[0:1]
	s_cbranch_execz .LBB174_451
.LBB174_450:
	v_lshlrev_b32_e32 v4, 24, v3
	v_and_b32_e32 v3, 0xffff, v3
	v_and_b32_e32 v5, 3, v3
	v_ffbh_u32_e32 v7, v5
	v_min_u32_e32 v7, 32, v7
	v_subrev_u32_e32 v8, 29, v7
	v_bfe_u32 v6, v3, 2, 5
	v_lshlrev_b32_e32 v3, v8, v3
	v_sub_u32_e32 v7, 30, v7
	v_and_b32_e32 v3, 3, v3
	v_cmp_eq_u32_e32 vcc, 0, v6
	v_cndmask_b32_e32 v6, v6, v7, vcc
	v_cndmask_b32_e32 v3, v5, v3, vcc
	v_mov_b32_e32 v5, 0x37800000
	v_lshlrev_b32_e32 v3, 21, v3
	v_and_b32_e32 v4, 0x80000000, v4
	v_lshl_add_u32 v5, v6, 23, v5
	v_or3_b32 v4, v4, v5, v3
.LBB174_451:
	s_or_b64 exec, exec, s[24:25]
	v_bfe_u32 v3, v4, 16, 1
	s_movk_i32 s0, 0x7fff
	v_add3_u32 v3, v4, v3, s0
	v_cmp_o_f32_e32 vcc, v4, v4
	v_mov_b32_e32 v4, 0x7fc0
	v_cndmask_b32_sdwa v3, v4, v3, vcc dst_sel:DWORD dst_unused:UNUSED_PAD src0_sel:DWORD src1_sel:WORD_1
	s_mov_b64 s[0:1], 0
	s_branch .LBB174_457
.LBB174_452:
	s_mov_b64 s[24:25], -1
                                        ; implicit-def: $vgpr3
	s_branch .LBB174_463
.LBB174_453:
	s_or_saveexec_b64 s[24:25], s[24:25]
	v_mov_b32_e32 v4, 0x7f800001
	s_xor_b64 exec, exec, s[24:25]
	s_cbranch_execz .LBB174_436
.LBB174_454:
	v_cmp_ne_u16_e32 vcc, 0, v3
	s_andn2_b64 s[0:1], s[0:1], exec
	s_and_b64 s[28:29], vcc, exec
	v_mov_b32_e32 v4, 0
	s_or_b64 s[0:1], s[0:1], s[28:29]
	s_or_b64 exec, exec, s[24:25]
	s_and_saveexec_b64 s[24:25], s[0:1]
	s_cbranch_execnz .LBB174_437
	s_branch .LBB174_438
.LBB174_455:
	s_mov_b64 s[0:1], -1
                                        ; implicit-def: $vgpr3
	s_branch .LBB174_460
.LBB174_456:
	s_mov_b64 s[0:1], -1
                                        ; implicit-def: $vgpr3
.LBB174_457:
	s_and_b64 vcc, exec, s[0:1]
	s_cbranch_vccz .LBB174_459
; %bb.458:
	global_load_ubyte v3, v[0:1], off
	s_mov_b32 s0, 0x7f800000
	s_brev_b32 s1, 1
	s_movk_i32 s24, 0x7fff
	s_waitcnt vmcnt(0)
	v_lshlrev_b32_e32 v3, 24, v3
	v_and_b32_e32 v4, 0x7f000000, v3
	v_ffbh_u32_e32 v5, v4
	v_min_u32_e32 v5, 32, v5
	v_sub_u32_e64 v5, v5, 4 clamp
	v_lshlrev_b32_e32 v7, v5, v4
	v_lshlrev_b32_e32 v5, 23, v5
	v_lshrrev_b32_e32 v7, 4, v7
	v_add_u32_e32 v6, 0x1000000, v4
	v_sub_u32_e32 v5, v7, v5
	v_ashrrev_i32_e32 v6, 8, v6
	v_add_u32_e32 v5, 0x3c000000, v5
	v_and_or_b32 v5, v6, s0, v5
	v_cmp_ne_u32_e32 vcc, 0, v4
	v_cndmask_b32_e32 v4, 0, v5, vcc
	v_and_or_b32 v3, v3, s1, v4
	v_bfe_u32 v4, v4, 16, 1
	v_add3_u32 v4, v3, v4, s24
	v_cmp_o_f32_e32 vcc, v3, v3
	v_mov_b32_e32 v3, 0x7fc0
	v_cndmask_b32_sdwa v3, v3, v4, vcc dst_sel:DWORD dst_unused:UNUSED_PAD src0_sel:DWORD src1_sel:WORD_1
.LBB174_459:
	s_mov_b64 s[0:1], 0
.LBB174_460:
	s_andn2_b64 vcc, exec, s[0:1]
	s_cbranch_vccnz .LBB174_462
; %bb.461:
	global_load_ubyte v3, v[0:1], off
	s_movk_i32 s0, 0x7f00
	s_brev_b32 s1, 16
	s_brev_b32 s24, 1
	s_movk_i32 s25, 0x7fff
	s_waitcnt vmcnt(0)
	v_lshlrev_b16_e32 v4, 8, v3
	v_lshlrev_b32_e32 v3, 25, v3
	v_lshrrev_b32_e32 v5, 4, v3
	v_and_or_b32 v6, v4, s0, 0.5
	v_or_b32_e32 v5, 0x70000000, v5
	v_add_f32_e32 v6, -0.5, v6
	v_mul_f32_e32 v5, 0x7800000, v5
	v_cmp_gt_u32_e32 vcc, s1, v3
	v_bfe_i32 v4, v4, 0, 16
	v_cndmask_b32_e32 v3, v5, v6, vcc
	v_and_or_b32 v4, v4, s24, v3
	v_bfe_u32 v3, v3, 16, 1
	v_add3_u32 v3, v4, v3, s25
	v_cmp_o_f32_e32 vcc, v4, v4
	v_mov_b32_e32 v4, 0x7fc0
	v_cndmask_b32_sdwa v3, v4, v3, vcc dst_sel:DWORD dst_unused:UNUSED_PAD src0_sel:DWORD src1_sel:WORD_1
.LBB174_462:
	s_mov_b64 s[24:25], 0
	s_mov_b64 s[0:1], -1
.LBB174_463:
	s_andn2_b64 vcc, exec, s[24:25]
	s_cbranch_vccnz .LBB174_476
; %bb.464:
	s_cmp_gt_i32 s30, 14
	s_cbranch_scc0 .LBB174_467
; %bb.465:
	s_cmp_eq_u32 s30, 15
	s_cbranch_scc0 .LBB174_470
; %bb.466:
	global_load_ushort v3, v[0:1], off
	s_mov_b64 s[0:1], -1
	s_mov_b64 s[22:23], 0
	s_branch .LBB174_471
.LBB174_467:
	s_mov_b64 s[24:25], -1
                                        ; implicit-def: $vgpr3
	s_branch .LBB174_472
.LBB174_468:
	s_or_saveexec_b64 s[24:25], s[24:25]
	v_mov_b32_e32 v4, 0x7f800001
	s_xor_b64 exec, exec, s[24:25]
	s_cbranch_execz .LBB174_449
.LBB174_469:
	v_cmp_ne_u16_e32 vcc, 0, v3
	s_andn2_b64 s[0:1], s[0:1], exec
	s_and_b64 s[28:29], vcc, exec
	v_mov_b32_e32 v4, 0
	s_or_b64 s[0:1], s[0:1], s[28:29]
	s_or_b64 exec, exec, s[24:25]
	s_and_saveexec_b64 s[24:25], s[0:1]
	s_cbranch_execnz .LBB174_450
	s_branch .LBB174_451
.LBB174_470:
	s_mov_b64 s[22:23], -1
                                        ; implicit-def: $vgpr3
.LBB174_471:
	s_mov_b64 s[24:25], 0
.LBB174_472:
	s_and_b64 vcc, exec, s[24:25]
	s_cbranch_vccz .LBB174_476
; %bb.473:
	s_cmp_eq_u32 s30, 11
	s_cbranch_scc0 .LBB174_475
; %bb.474:
	global_load_ubyte v3, v[0:1], off
	s_mov_b64 s[0:1], -1
	s_mov_b64 s[22:23], 0
	v_mov_b32_e32 v4, 0
	s_waitcnt vmcnt(0)
	v_cmp_ne_u16_e32 vcc, 0, v3
	v_cndmask_b32_e64 v3, 0, 1.0, vcc
	v_lshrrev_b32_e32 v3, 16, v3
	s_branch .LBB174_477
.LBB174_475:
	s_mov_b64 s[22:23], -1
                                        ; implicit-def: $vgpr3
.LBB174_476:
	v_mov_b32_e32 v4, 0
.LBB174_477:
	s_branch .LBB174_273
.LBB174_478:
	s_cmp_lt_i32 s30, 5
	s_cbranch_scc1 .LBB174_483
; %bb.479:
	s_cmp_lt_i32 s30, 8
	s_cbranch_scc1 .LBB174_484
; %bb.480:
	;; [unrolled: 3-line block ×3, first 2 shown]
	s_cmp_gt_i32 s30, 9
	s_cbranch_scc0 .LBB174_486
; %bb.482:
	global_load_dwordx4 v[3:6], v[0:1], off
	s_movk_i32 s0, 0x7fff
	s_waitcnt vmcnt(0)
	v_cvt_f32_f64_e32 v3, v[3:4]
	v_cvt_f32_f64_e32 v4, v[5:6]
	v_mov_b32_e32 v5, 0x7fc0
	v_mov_b32_e32 v6, 0x7fc00000
	v_bfe_u32 v7, v3, 16, 1
	v_bfe_u32 v8, v4, 16, 1
	v_cmp_o_f32_e32 vcc, v3, v3
	v_add3_u32 v3, v3, v7, s0
	v_add3_u32 v7, v4, v8, s0
	v_cndmask_b32_sdwa v3, v5, v3, vcc dst_sel:DWORD dst_unused:UNUSED_PAD src0_sel:DWORD src1_sel:WORD_1
	v_and_b32_e32 v5, 0xffff0000, v7
	v_cmp_o_f32_e32 vcc, v4, v4
	v_cndmask_b32_e32 v4, v6, v5, vcc
	s_mov_b64 s[0:1], 0
	s_branch .LBB174_487
.LBB174_483:
	s_mov_b64 s[0:1], -1
                                        ; implicit-def: $vgpr4
                                        ; implicit-def: $vgpr3
	s_branch .LBB174_506
.LBB174_484:
	s_mov_b64 s[0:1], -1
                                        ; implicit-def: $vgpr4
                                        ; implicit-def: $vgpr3
	s_branch .LBB174_493
.LBB174_485:
	s_mov_b64 s[0:1], -1
                                        ; implicit-def: $vgpr4
                                        ; implicit-def: $vgpr3
	s_branch .LBB174_490
.LBB174_486:
	s_mov_b64 s[0:1], -1
                                        ; implicit-def: $vgpr4
                                        ; implicit-def: $vgpr3
.LBB174_487:
	s_andn2_b64 vcc, exec, s[0:1]
	s_cbranch_vccnz .LBB174_489
; %bb.488:
	global_load_dwordx2 v[3:4], v[0:1], off
	s_movk_i32 s0, 0x7fff
	v_mov_b32_e32 v5, 0x7fc0
	v_mov_b32_e32 v6, 0x7fc00000
	s_waitcnt vmcnt(0)
	v_bfe_u32 v7, v3, 16, 1
	v_bfe_u32 v8, v4, 16, 1
	v_cmp_o_f32_e32 vcc, v3, v3
	v_add3_u32 v3, v3, v7, s0
	v_add3_u32 v7, v4, v8, s0
	v_cndmask_b32_sdwa v3, v5, v3, vcc dst_sel:DWORD dst_unused:UNUSED_PAD src0_sel:DWORD src1_sel:WORD_1
	v_and_b32_e32 v5, 0xffff0000, v7
	v_cmp_o_f32_e32 vcc, v4, v4
	v_cndmask_b32_e32 v4, v6, v5, vcc
.LBB174_489:
	s_mov_b64 s[0:1], 0
.LBB174_490:
	s_andn2_b64 vcc, exec, s[0:1]
	s_cbranch_vccnz .LBB174_492
; %bb.491:
	global_load_dword v4, v[0:1], off
	s_movk_i32 s0, 0x7fff
	s_waitcnt vmcnt(1)
	v_mov_b32_e32 v3, 0x7fc0
	v_mov_b32_e32 v7, 0x7fc00000
	s_waitcnt vmcnt(0)
	v_cvt_f32_f16_e32 v5, v4
	v_cvt_f32_f16_sdwa v6, v4 dst_sel:DWORD dst_unused:UNUSED_PAD src0_sel:WORD_1
	v_cmp_o_f16_e32 vcc, v4, v4
	v_bfe_u32 v8, v5, 16, 1
	v_bfe_u32 v9, v6, 16, 1
	v_add3_u32 v5, v5, v8, s0
	v_add3_u32 v6, v6, v9, s0
	v_cndmask_b32_sdwa v3, v3, v5, vcc dst_sel:DWORD dst_unused:UNUSED_PAD src0_sel:DWORD src1_sel:WORD_1
	v_and_b32_e32 v5, 0xffff0000, v6
	v_cmp_o_f16_sdwa vcc, v4, v4 src0_sel:WORD_1 src1_sel:WORD_1
	v_cndmask_b32_e32 v4, v7, v5, vcc
.LBB174_492:
	s_mov_b64 s[0:1], 0
.LBB174_493:
	s_andn2_b64 vcc, exec, s[0:1]
	s_cbranch_vccnz .LBB174_505
; %bb.494:
	s_cmp_lt_i32 s30, 6
	s_cbranch_scc1 .LBB174_497
; %bb.495:
	s_cmp_gt_i32 s30, 6
	s_cbranch_scc0 .LBB174_498
; %bb.496:
	global_load_dwordx2 v[3:4], v[0:1], off
	s_movk_i32 s0, 0x7fff
	s_waitcnt vmcnt(0)
	v_cvt_f32_f64_e32 v3, v[3:4]
	v_mov_b32_e32 v4, 0x7fc0
	v_bfe_u32 v5, v3, 16, 1
	v_cmp_o_f32_e32 vcc, v3, v3
	v_add3_u32 v3, v3, v5, s0
	v_cndmask_b32_sdwa v3, v4, v3, vcc dst_sel:DWORD dst_unused:UNUSED_PAD src0_sel:DWORD src1_sel:WORD_1
	s_mov_b64 s[0:1], 0
	s_branch .LBB174_499
.LBB174_497:
	s_mov_b64 s[0:1], -1
                                        ; implicit-def: $vgpr3
	s_branch .LBB174_502
.LBB174_498:
	s_mov_b64 s[0:1], -1
                                        ; implicit-def: $vgpr3
.LBB174_499:
	s_andn2_b64 vcc, exec, s[0:1]
	s_cbranch_vccnz .LBB174_501
; %bb.500:
	global_load_dword v3, v[0:1], off
	s_movk_i32 s0, 0x7fff
	v_mov_b32_e32 v4, 0x7fc0
	s_waitcnt vmcnt(0)
	v_bfe_u32 v5, v3, 16, 1
	v_cmp_o_f32_e32 vcc, v3, v3
	v_add3_u32 v3, v3, v5, s0
	v_cndmask_b32_sdwa v3, v4, v3, vcc dst_sel:DWORD dst_unused:UNUSED_PAD src0_sel:DWORD src1_sel:WORD_1
.LBB174_501:
	s_mov_b64 s[0:1], 0
.LBB174_502:
	s_andn2_b64 vcc, exec, s[0:1]
	s_cbranch_vccnz .LBB174_504
; %bb.503:
	global_load_ushort v3, v[0:1], off
	s_movk_i32 s0, 0x7fff
	v_mov_b32_e32 v5, 0x7fc0
	s_waitcnt vmcnt(0)
	v_cvt_f32_f16_e32 v4, v3
	v_cmp_o_f16_e32 vcc, v3, v3
	v_bfe_u32 v3, v4, 16, 1
	v_add3_u32 v3, v4, v3, s0
	v_cndmask_b32_sdwa v3, v5, v3, vcc dst_sel:DWORD dst_unused:UNUSED_PAD src0_sel:DWORD src1_sel:WORD_1
.LBB174_504:
	v_mov_b32_e32 v4, 0
.LBB174_505:
	s_mov_b64 s[0:1], 0
.LBB174_506:
	s_andn2_b64 vcc, exec, s[0:1]
	s_cbranch_vccnz .LBB174_527
; %bb.507:
	s_cmp_lt_i32 s30, 2
	s_cbranch_scc1 .LBB174_511
; %bb.508:
	s_cmp_lt_i32 s30, 3
	s_cbranch_scc1 .LBB174_512
; %bb.509:
	s_cmp_gt_i32 s30, 3
	s_cbranch_scc0 .LBB174_513
; %bb.510:
	global_load_dwordx2 v[3:4], v[0:1], off
	s_movk_i32 s0, 0x7fff
	s_waitcnt vmcnt(0)
	v_xor_b32_e32 v6, v3, v4
	v_ffbh_i32_e32 v5, v4
	v_ashrrev_i32_e32 v6, 31, v6
	v_add_u32_e32 v5, -1, v5
	v_add_u32_e32 v6, 32, v6
	v_min_u32_e32 v5, v5, v6
	v_lshlrev_b64 v[3:4], v5, v[3:4]
	v_min_u32_e32 v3, 1, v3
	v_or_b32_e32 v3, v4, v3
	v_cvt_f32_i32_e32 v3, v3
	v_sub_u32_e32 v4, 32, v5
	v_ldexp_f32 v3, v3, v4
	v_bfe_u32 v4, v3, 16, 1
	v_add3_u32 v3, v3, v4, s0
	v_lshrrev_b32_e32 v3, 16, v3
	s_mov_b64 s[0:1], 0
	s_branch .LBB174_514
.LBB174_511:
	s_mov_b64 s[0:1], -1
                                        ; implicit-def: $vgpr3
	s_branch .LBB174_520
.LBB174_512:
	s_mov_b64 s[0:1], -1
                                        ; implicit-def: $vgpr3
	s_branch .LBB174_517
.LBB174_513:
	s_mov_b64 s[0:1], -1
                                        ; implicit-def: $vgpr3
.LBB174_514:
	s_andn2_b64 vcc, exec, s[0:1]
	s_cbranch_vccnz .LBB174_516
; %bb.515:
	global_load_dword v3, v[0:1], off
	s_movk_i32 s0, 0x7fff
	s_waitcnt vmcnt(0)
	v_cvt_f32_i32_e32 v3, v3
	v_bfe_u32 v4, v3, 16, 1
	v_add3_u32 v3, v3, v4, s0
	v_lshrrev_b32_e32 v3, 16, v3
.LBB174_516:
	s_mov_b64 s[0:1], 0
.LBB174_517:
	s_andn2_b64 vcc, exec, s[0:1]
	s_cbranch_vccnz .LBB174_519
; %bb.518:
	global_load_sshort v3, v[0:1], off
	s_movk_i32 s0, 0x7fff
	s_waitcnt vmcnt(0)
	v_cvt_f32_i32_e32 v3, v3
	v_bfe_u32 v4, v3, 16, 1
	v_add3_u32 v3, v3, v4, s0
	v_lshrrev_b32_e32 v3, 16, v3
.LBB174_519:
	s_mov_b64 s[0:1], 0
.LBB174_520:
	s_andn2_b64 vcc, exec, s[0:1]
	s_cbranch_vccnz .LBB174_526
; %bb.521:
	s_cmp_gt_i32 s30, 0
	s_cbranch_scc0 .LBB174_523
; %bb.522:
	global_load_sbyte v3, v[0:1], off
	s_movk_i32 s0, 0x7fff
	s_waitcnt vmcnt(0)
	v_cvt_f32_i32_e32 v3, v3
	v_bfe_u32 v4, v3, 16, 1
	v_add3_u32 v3, v3, v4, s0
	v_lshrrev_b32_e32 v3, 16, v3
	s_mov_b64 s[0:1], 0
	s_branch .LBB174_524
.LBB174_523:
	s_mov_b64 s[0:1], -1
                                        ; implicit-def: $vgpr3
.LBB174_524:
	s_andn2_b64 vcc, exec, s[0:1]
	s_cbranch_vccnz .LBB174_526
; %bb.525:
	global_load_ubyte v0, v[0:1], off
	s_movk_i32 s0, 0x7fff
	s_waitcnt vmcnt(0)
	v_cvt_f32_ubyte0_e32 v0, v0
	v_bfe_u32 v1, v0, 16, 1
	v_add3_u32 v0, v0, v1, s0
	v_lshrrev_b32_e32 v3, 16, v0
.LBB174_526:
	v_mov_b32_e32 v4, 0
.LBB174_527:
	s_branch .LBB174_274
.LBB174_528:
	s_mov_b64 s[28:29], 0
                                        ; implicit-def: $vgpr2
	s_mov_b64 s[0:1], s[16:17]
.LBB174_529:
	s_andn2_b64 s[24:25], s[16:17], exec
	s_and_b64 s[0:1], s[0:1], exec
	s_or_b64 s[24:25], s[24:25], s[0:1]
	s_andn2_b64 s[0:1], s[18:19], exec
	s_and_b64 s[22:23], s[22:23], exec
	s_or_b64 s[22:23], s[0:1], s[22:23]
	s_orn2_b64 s[0:1], s[28:29], exec
.LBB174_530:
	s_or_b64 exec, exec, s[26:27]
	s_mov_b64 s[28:29], 0
	s_mov_b64 s[30:31], 0
	;; [unrolled: 1-line block ×3, first 2 shown]
                                        ; implicit-def: $vgpr0_vgpr1
                                        ; implicit-def: $vgpr4
                                        ; implicit-def: $vgpr3
	s_and_saveexec_b64 s[26:27], s[0:1]
	s_cbranch_execz .LBB174_888
; %bb.531:
	v_cmp_gt_i32_e32 vcc, s42, v2
	s_mov_b64 s[38:39], -1
	s_mov_b64 s[0:1], s[22:23]
	s_mov_b64 s[34:35], s[24:25]
	s_and_saveexec_b64 s[28:29], vcc
	s_cbranch_execz .LBB174_799
; %bb.532:
	v_mul_lo_u32 v0, v2, s13
	v_mov_b32_e32 v1, s11
	s_and_b32 s38, 0xffff, s46
	s_cmp_lt_i32 s38, 11
	s_waitcnt vmcnt(0)
	v_ashrrev_i32_e32 v3, 31, v0
	v_add_co_u32_e32 v0, vcc, s10, v0
	v_addc_co_u32_e32 v1, vcc, v1, v3, vcc
	s_cbranch_scc1 .LBB174_539
; %bb.533:
	s_cmp_gt_i32 s38, 25
	s_cbranch_scc0 .LBB174_540
; %bb.534:
	s_cmp_gt_i32 s38, 28
	s_cbranch_scc0 .LBB174_541
	;; [unrolled: 3-line block ×4, first 2 shown]
; %bb.537:
	s_cmp_eq_u32 s38, 46
	s_mov_b64 s[34:35], 0
	s_cbranch_scc0 .LBB174_548
; %bb.538:
	global_load_dword v3, v[0:1], off
	s_mov_b64 s[0:1], -1
	s_waitcnt vmcnt(0)
	v_and_b32_e32 v4, 0xffff0000, v3
	s_branch .LBB174_549
.LBB174_539:
	s_mov_b64 s[34:35], -1
	s_mov_b64 s[0:1], 0
                                        ; implicit-def: $vgpr4
                                        ; implicit-def: $vgpr3
	s_mov_b64 s[30:31], s[22:23]
	s_branch .LBB174_617
.LBB174_540:
	s_mov_b64 s[34:35], -1
	s_mov_b64 s[0:1], 0
	s_mov_b64 s[30:31], s[22:23]
                                        ; implicit-def: $vgpr4
                                        ; implicit-def: $vgpr3
	s_branch .LBB174_580
.LBB174_541:
	s_mov_b64 s[34:35], -1
	s_mov_b64 s[0:1], 0
	s_mov_b64 s[30:31], s[22:23]
                                        ; implicit-def: $vgpr4
                                        ; implicit-def: $vgpr3
	s_branch .LBB174_561
.LBB174_542:
	s_mov_b64 s[34:35], -1
	s_mov_b64 s[0:1], 0
	s_mov_b64 s[30:31], s[22:23]
                                        ; implicit-def: $vgpr4
                                        ; implicit-def: $vgpr3
	s_branch .LBB174_555
.LBB174_543:
	s_andn2_saveexec_b64 s[34:35], s[34:35]
	s_cbranch_execz .LBB174_323
.LBB174_544:
	v_add_f32_e32 v3, 0x46000000, v4
	v_and_b32_e32 v3, 0xff, v3
	v_cmp_ne_u32_e32 vcc, 0, v3
	s_andn2_b64 s[30:31], s[30:31], exec
	s_and_b64 s[38:39], vcc, exec
	s_or_b64 s[30:31], s[30:31], s[38:39]
	s_or_b64 exec, exec, s[34:35]
	v_mov_b32_e32 v5, 0
	s_and_saveexec_b64 s[34:35], s[30:31]
	s_cbranch_execnz .LBB174_324
	s_branch .LBB174_325
.LBB174_545:
	s_mov_b64 s[34:35], -1
	s_mov_b64 s[0:1], 0
	s_mov_b64 s[30:31], s[22:23]
                                        ; implicit-def: $vgpr4
                                        ; implicit-def: $vgpr3
	s_branch .LBB174_549
.LBB174_546:
	s_andn2_saveexec_b64 s[34:35], s[34:35]
	s_cbranch_execz .LBB174_336
.LBB174_547:
	v_add_f32_e32 v3, 0x42800000, v4
	v_and_b32_e32 v3, 0xff, v3
	v_cmp_ne_u32_e32 vcc, 0, v3
	s_andn2_b64 s[30:31], s[30:31], exec
	s_and_b64 s[38:39], vcc, exec
	s_or_b64 s[30:31], s[30:31], s[38:39]
	s_or_b64 exec, exec, s[34:35]
	v_mov_b32_e32 v5, 0
	s_and_saveexec_b64 s[34:35], s[30:31]
	s_cbranch_execnz .LBB174_337
	s_branch .LBB174_338
.LBB174_548:
	s_mov_b64 s[30:31], -1
                                        ; implicit-def: $vgpr4
                                        ; implicit-def: $vgpr3
	s_mov_b64 s[0:1], 0
.LBB174_549:
	s_and_b64 vcc, exec, s[34:35]
	s_cbranch_vccz .LBB174_554
; %bb.550:
	s_cmp_eq_u32 s38, 44
	s_cbranch_scc0 .LBB174_552
; %bb.551:
	global_load_ubyte v3, v[0:1], off
	s_movk_i32 s30, 0xff
	v_mov_b32_e32 v4, 0x7f800001
	v_mov_b32_e32 v5, 0x400000
	;; [unrolled: 1-line block ×3, first 2 shown]
	s_mov_b64 s[0:1], -1
	s_waitcnt vmcnt(0)
	v_lshlrev_b32_e32 v7, 23, v3
	v_cmp_ne_u32_e32 vcc, s30, v3
	v_cndmask_b32_e32 v4, v4, v7, vcc
	v_cmp_ne_u32_e32 vcc, 0, v3
	v_cndmask_b32_e32 v3, v5, v4, vcc
	v_add_u32_e32 v4, 0x7fff, v3
	v_cmp_o_f32_e32 vcc, v3, v3
	v_cndmask_b32_sdwa v3, v6, v4, vcc dst_sel:DWORD dst_unused:UNUSED_PAD src0_sel:DWORD src1_sel:WORD_1
	s_mov_b64 s[30:31], 0
	s_branch .LBB174_553
.LBB174_552:
	s_mov_b64 s[30:31], -1
                                        ; implicit-def: $vgpr3
.LBB174_553:
	v_mov_b32_e32 v4, 0
.LBB174_554:
	s_mov_b64 s[34:35], 0
.LBB174_555:
	s_and_b64 vcc, exec, s[34:35]
	s_cbranch_vccz .LBB174_560
; %bb.556:
	s_cmp_eq_u32 s38, 29
	s_cbranch_scc0 .LBB174_558
; %bb.557:
	global_load_dwordx2 v[3:4], v[0:1], off
	s_movk_i32 s30, 0x7fff
	s_mov_b64 s[0:1], -1
	s_waitcnt vmcnt(0)
	v_ffbh_u32_e32 v5, v4
	v_min_u32_e32 v5, 32, v5
	v_lshlrev_b64 v[3:4], v5, v[3:4]
	v_min_u32_e32 v3, 1, v3
	v_or_b32_e32 v3, v4, v3
	v_cvt_f32_u32_e32 v3, v3
	v_sub_u32_e32 v4, 32, v5
	v_ldexp_f32 v3, v3, v4
	v_bfe_u32 v4, v3, 16, 1
	v_add3_u32 v3, v3, v4, s30
	v_lshrrev_b32_e32 v3, 16, v3
	s_mov_b64 s[30:31], 0
	s_branch .LBB174_559
.LBB174_558:
	s_mov_b64 s[30:31], -1
                                        ; implicit-def: $vgpr3
.LBB174_559:
	v_mov_b32_e32 v4, 0
.LBB174_560:
	s_mov_b64 s[34:35], 0
.LBB174_561:
	s_and_b64 vcc, exec, s[34:35]
	s_cbranch_vccz .LBB174_579
; %bb.562:
	s_cmp_lt_i32 s38, 27
	s_cbranch_scc1 .LBB174_565
; %bb.563:
	s_cmp_gt_i32 s38, 27
	s_cbranch_scc0 .LBB174_566
; %bb.564:
	global_load_dword v3, v[0:1], off
	s_movk_i32 s0, 0x7fff
	s_waitcnt vmcnt(0)
	v_cvt_f32_u32_e32 v3, v3
	v_bfe_u32 v4, v3, 16, 1
	v_add3_u32 v3, v3, v4, s0
	v_lshrrev_b32_e32 v3, 16, v3
	s_mov_b64 s[0:1], 0
	s_branch .LBB174_567
.LBB174_565:
	s_mov_b64 s[0:1], -1
                                        ; implicit-def: $vgpr3
	s_branch .LBB174_570
.LBB174_566:
	s_mov_b64 s[0:1], -1
                                        ; implicit-def: $vgpr3
.LBB174_567:
	s_andn2_b64 vcc, exec, s[0:1]
	s_cbranch_vccnz .LBB174_569
; %bb.568:
	global_load_ushort v3, v[0:1], off
	s_movk_i32 s0, 0x7fff
	s_waitcnt vmcnt(0)
	v_cvt_f32_u32_e32 v3, v3
	v_bfe_u32 v4, v3, 16, 1
	v_add3_u32 v3, v3, v4, s0
	v_lshrrev_b32_e32 v3, 16, v3
.LBB174_569:
	s_mov_b64 s[0:1], 0
.LBB174_570:
	s_andn2_b64 vcc, exec, s[0:1]
	s_cbranch_vccnz .LBB174_578
; %bb.571:
	global_load_ubyte v3, v[0:1], off
	s_movk_i32 s0, 0x7f
	s_waitcnt vmcnt(0)
	v_cmp_lt_i16_e32 vcc, s0, v3
	s_mov_b64 s[0:1], 0
	s_and_saveexec_b64 s[34:35], vcc
	s_xor_b64 s[34:35], exec, s[34:35]
	s_cbranch_execz .LBB174_592
; %bb.572:
	s_movk_i32 s0, 0x80
	v_cmp_eq_u16_e32 vcc, s0, v3
	s_mov_b64 s[0:1], -1
	s_and_saveexec_b64 s[36:37], vcc
; %bb.573:
	s_xor_b64 s[0:1], exec, -1
; %bb.574:
	s_or_b64 exec, exec, s[36:37]
	s_and_b64 s[0:1], s[0:1], exec
	s_or_saveexec_b64 s[34:35], s[34:35]
	v_mov_b32_e32 v4, 0x7f800001
	s_xor_b64 exec, exec, s[34:35]
	s_cbranch_execnz .LBB174_593
.LBB174_575:
	s_or_b64 exec, exec, s[34:35]
	s_and_saveexec_b64 s[34:35], s[0:1]
	s_cbranch_execz .LBB174_577
.LBB174_576:
	v_lshlrev_b32_e32 v4, 24, v3
	v_and_b32_e32 v3, 0xffff, v3
	v_and_b32_e32 v5, 7, v3
	v_ffbh_u32_e32 v7, v5
	v_min_u32_e32 v7, 32, v7
	v_subrev_u32_e32 v8, 28, v7
	v_bfe_u32 v6, v3, 3, 4
	v_lshlrev_b32_e32 v3, v8, v3
	v_sub_u32_e32 v7, 29, v7
	v_and_b32_e32 v3, 7, v3
	v_cmp_eq_u32_e32 vcc, 0, v6
	v_cndmask_b32_e32 v6, v6, v7, vcc
	v_cndmask_b32_e32 v3, v5, v3, vcc
	v_mov_b32_e32 v5, 0x3b800000
	v_lshlrev_b32_e32 v3, 20, v3
	v_and_b32_e32 v4, 0x80000000, v4
	v_lshl_add_u32 v5, v6, 23, v5
	v_or3_b32 v4, v4, v5, v3
.LBB174_577:
	s_or_b64 exec, exec, s[34:35]
	v_bfe_u32 v3, v4, 16, 1
	s_movk_i32 s0, 0x7fff
	v_add3_u32 v3, v4, v3, s0
	v_cmp_o_f32_e32 vcc, v4, v4
	v_mov_b32_e32 v4, 0x7fc0
	v_cndmask_b32_sdwa v3, v4, v3, vcc dst_sel:DWORD dst_unused:UNUSED_PAD src0_sel:DWORD src1_sel:WORD_1
.LBB174_578:
	s_mov_b64 s[0:1], -1
	v_mov_b32_e32 v4, 0
.LBB174_579:
	s_mov_b64 s[34:35], 0
.LBB174_580:
	s_and_b64 vcc, exec, s[34:35]
	s_cbranch_vccz .LBB174_616
; %bb.581:
	s_cmp_gt_i32 s38, 22
	s_cbranch_scc0 .LBB174_591
; %bb.582:
	s_cmp_lt_i32 s38, 24
	s_cbranch_scc1 .LBB174_594
; %bb.583:
	s_cmp_gt_i32 s38, 24
	s_cbranch_scc0 .LBB174_595
; %bb.584:
	global_load_ubyte v3, v[0:1], off
	s_movk_i32 s0, 0x7f
	s_waitcnt vmcnt(0)
	v_cmp_lt_i16_e32 vcc, s0, v3
	s_mov_b64 s[0:1], 0
	s_and_saveexec_b64 s[34:35], vcc
	s_xor_b64 s[34:35], exec, s[34:35]
	s_cbranch_execz .LBB174_607
; %bb.585:
	s_movk_i32 s0, 0x80
	v_cmp_eq_u16_e32 vcc, s0, v3
	s_mov_b64 s[0:1], -1
	s_and_saveexec_b64 s[36:37], vcc
; %bb.586:
	s_xor_b64 s[0:1], exec, -1
; %bb.587:
	s_or_b64 exec, exec, s[36:37]
	s_and_b64 s[0:1], s[0:1], exec
	s_or_saveexec_b64 s[34:35], s[34:35]
	v_mov_b32_e32 v4, 0x7f800001
	s_xor_b64 exec, exec, s[34:35]
	s_cbranch_execnz .LBB174_608
.LBB174_588:
	s_or_b64 exec, exec, s[34:35]
	s_and_saveexec_b64 s[34:35], s[0:1]
	s_cbranch_execz .LBB174_590
.LBB174_589:
	v_lshlrev_b32_e32 v4, 24, v3
	v_and_b32_e32 v3, 0xffff, v3
	v_and_b32_e32 v5, 3, v3
	v_ffbh_u32_e32 v7, v5
	v_min_u32_e32 v7, 32, v7
	v_subrev_u32_e32 v8, 29, v7
	v_bfe_u32 v6, v3, 2, 5
	v_lshlrev_b32_e32 v3, v8, v3
	v_sub_u32_e32 v7, 30, v7
	v_and_b32_e32 v3, 3, v3
	v_cmp_eq_u32_e32 vcc, 0, v6
	v_cndmask_b32_e32 v6, v6, v7, vcc
	v_cndmask_b32_e32 v3, v5, v3, vcc
	v_mov_b32_e32 v5, 0x37800000
	v_lshlrev_b32_e32 v3, 21, v3
	v_and_b32_e32 v4, 0x80000000, v4
	v_lshl_add_u32 v5, v6, 23, v5
	v_or3_b32 v4, v4, v5, v3
.LBB174_590:
	s_or_b64 exec, exec, s[34:35]
	v_bfe_u32 v3, v4, 16, 1
	s_movk_i32 s0, 0x7fff
	v_add3_u32 v3, v4, v3, s0
	v_cmp_o_f32_e32 vcc, v4, v4
	v_mov_b32_e32 v4, 0x7fc0
	v_cndmask_b32_sdwa v3, v4, v3, vcc dst_sel:DWORD dst_unused:UNUSED_PAD src0_sel:DWORD src1_sel:WORD_1
	s_mov_b64 s[0:1], 0
	s_branch .LBB174_596
.LBB174_591:
	s_mov_b64 s[34:35], -1
                                        ; implicit-def: $vgpr3
	s_branch .LBB174_602
.LBB174_592:
	s_or_saveexec_b64 s[34:35], s[34:35]
	v_mov_b32_e32 v4, 0x7f800001
	s_xor_b64 exec, exec, s[34:35]
	s_cbranch_execz .LBB174_575
.LBB174_593:
	v_cmp_ne_u16_e32 vcc, 0, v3
	s_andn2_b64 s[0:1], s[0:1], exec
	s_and_b64 s[36:37], vcc, exec
	v_mov_b32_e32 v4, 0
	s_or_b64 s[0:1], s[0:1], s[36:37]
	s_or_b64 exec, exec, s[34:35]
	s_and_saveexec_b64 s[34:35], s[0:1]
	s_cbranch_execnz .LBB174_576
	s_branch .LBB174_577
.LBB174_594:
	s_mov_b64 s[0:1], -1
                                        ; implicit-def: $vgpr3
	s_branch .LBB174_599
.LBB174_595:
	s_mov_b64 s[0:1], -1
                                        ; implicit-def: $vgpr3
.LBB174_596:
	s_and_b64 vcc, exec, s[0:1]
	s_cbranch_vccz .LBB174_598
; %bb.597:
	global_load_ubyte v3, v[0:1], off
	s_mov_b32 s0, 0x7f800000
	s_brev_b32 s1, 1
	s_movk_i32 s34, 0x7fff
	s_waitcnt vmcnt(0)
	v_lshlrev_b32_e32 v3, 24, v3
	v_and_b32_e32 v4, 0x7f000000, v3
	v_ffbh_u32_e32 v5, v4
	v_min_u32_e32 v5, 32, v5
	v_sub_u32_e64 v5, v5, 4 clamp
	v_lshlrev_b32_e32 v7, v5, v4
	v_lshlrev_b32_e32 v5, 23, v5
	v_lshrrev_b32_e32 v7, 4, v7
	v_add_u32_e32 v6, 0x1000000, v4
	v_sub_u32_e32 v5, v7, v5
	v_ashrrev_i32_e32 v6, 8, v6
	v_add_u32_e32 v5, 0x3c000000, v5
	v_and_or_b32 v5, v6, s0, v5
	v_cmp_ne_u32_e32 vcc, 0, v4
	v_cndmask_b32_e32 v4, 0, v5, vcc
	v_and_or_b32 v3, v3, s1, v4
	v_bfe_u32 v4, v4, 16, 1
	v_add3_u32 v4, v3, v4, s34
	v_cmp_o_f32_e32 vcc, v3, v3
	v_mov_b32_e32 v3, 0x7fc0
	v_cndmask_b32_sdwa v3, v3, v4, vcc dst_sel:DWORD dst_unused:UNUSED_PAD src0_sel:DWORD src1_sel:WORD_1
.LBB174_598:
	s_mov_b64 s[0:1], 0
.LBB174_599:
	s_andn2_b64 vcc, exec, s[0:1]
	s_cbranch_vccnz .LBB174_601
; %bb.600:
	global_load_ubyte v3, v[0:1], off
	s_movk_i32 s0, 0x7f00
	s_brev_b32 s1, 16
	s_brev_b32 s34, 1
	s_movk_i32 s35, 0x7fff
	s_waitcnt vmcnt(0)
	v_lshlrev_b16_e32 v4, 8, v3
	v_lshlrev_b32_e32 v3, 25, v3
	v_lshrrev_b32_e32 v5, 4, v3
	v_and_or_b32 v6, v4, s0, 0.5
	v_or_b32_e32 v5, 0x70000000, v5
	v_add_f32_e32 v6, -0.5, v6
	v_mul_f32_e32 v5, 0x7800000, v5
	v_cmp_gt_u32_e32 vcc, s1, v3
	v_bfe_i32 v4, v4, 0, 16
	v_cndmask_b32_e32 v3, v5, v6, vcc
	v_and_or_b32 v4, v4, s34, v3
	v_bfe_u32 v3, v3, 16, 1
	v_add3_u32 v3, v4, v3, s35
	v_cmp_o_f32_e32 vcc, v4, v4
	v_mov_b32_e32 v4, 0x7fc0
	v_cndmask_b32_sdwa v3, v4, v3, vcc dst_sel:DWORD dst_unused:UNUSED_PAD src0_sel:DWORD src1_sel:WORD_1
.LBB174_601:
	s_mov_b64 s[34:35], 0
	s_mov_b64 s[0:1], -1
.LBB174_602:
	s_andn2_b64 vcc, exec, s[34:35]
	s_cbranch_vccnz .LBB174_615
; %bb.603:
	s_cmp_gt_i32 s38, 14
	s_cbranch_scc0 .LBB174_606
; %bb.604:
	s_cmp_eq_u32 s38, 15
	s_cbranch_scc0 .LBB174_609
; %bb.605:
	global_load_ushort v3, v[0:1], off
	s_mov_b64 s[0:1], -1
	s_mov_b64 s[30:31], 0
	s_branch .LBB174_610
.LBB174_606:
	s_mov_b64 s[34:35], -1
                                        ; implicit-def: $vgpr3
	s_branch .LBB174_611
.LBB174_607:
	s_or_saveexec_b64 s[34:35], s[34:35]
	v_mov_b32_e32 v4, 0x7f800001
	s_xor_b64 exec, exec, s[34:35]
	s_cbranch_execz .LBB174_588
.LBB174_608:
	v_cmp_ne_u16_e32 vcc, 0, v3
	s_andn2_b64 s[0:1], s[0:1], exec
	s_and_b64 s[36:37], vcc, exec
	v_mov_b32_e32 v4, 0
	s_or_b64 s[0:1], s[0:1], s[36:37]
	s_or_b64 exec, exec, s[34:35]
	s_and_saveexec_b64 s[34:35], s[0:1]
	s_cbranch_execnz .LBB174_589
	s_branch .LBB174_590
.LBB174_609:
	s_mov_b64 s[30:31], -1
                                        ; implicit-def: $vgpr3
.LBB174_610:
	s_mov_b64 s[34:35], 0
.LBB174_611:
	s_and_b64 vcc, exec, s[34:35]
	s_cbranch_vccz .LBB174_615
; %bb.612:
	s_cmp_eq_u32 s38, 11
	s_cbranch_scc0 .LBB174_614
; %bb.613:
	global_load_ubyte v3, v[0:1], off
	s_mov_b64 s[0:1], -1
	s_mov_b64 s[30:31], 0
	v_mov_b32_e32 v4, 0
	s_waitcnt vmcnt(0)
	v_cmp_ne_u16_e32 vcc, 0, v3
	v_cndmask_b32_e64 v3, 0, 1.0, vcc
	v_lshrrev_b32_e32 v3, 16, v3
	s_branch .LBB174_616
.LBB174_614:
	s_mov_b64 s[30:31], -1
                                        ; implicit-def: $vgpr3
.LBB174_615:
	v_mov_b32_e32 v4, 0
.LBB174_616:
	s_mov_b64 s[34:35], 0
.LBB174_617:
	s_and_b64 vcc, exec, s[34:35]
	s_cbranch_vccz .LBB174_668
; %bb.618:
	s_cmp_lt_i32 s38, 5
	s_cbranch_scc1 .LBB174_623
; %bb.619:
	s_cmp_lt_i32 s38, 8
	s_cbranch_scc1 .LBB174_624
	;; [unrolled: 3-line block ×3, first 2 shown]
; %bb.621:
	s_cmp_gt_i32 s38, 9
	s_cbranch_scc0 .LBB174_626
; %bb.622:
	global_load_dwordx4 v[3:6], v[0:1], off
	s_movk_i32 s0, 0x7fff
	s_waitcnt vmcnt(0)
	v_cvt_f32_f64_e32 v3, v[3:4]
	v_cvt_f32_f64_e32 v4, v[5:6]
	v_mov_b32_e32 v5, 0x7fc0
	v_mov_b32_e32 v6, 0x7fc00000
	v_bfe_u32 v7, v3, 16, 1
	v_bfe_u32 v8, v4, 16, 1
	v_cmp_o_f32_e32 vcc, v3, v3
	v_add3_u32 v3, v3, v7, s0
	v_add3_u32 v7, v4, v8, s0
	v_cndmask_b32_sdwa v3, v5, v3, vcc dst_sel:DWORD dst_unused:UNUSED_PAD src0_sel:DWORD src1_sel:WORD_1
	v_and_b32_e32 v5, 0xffff0000, v7
	v_cmp_o_f32_e32 vcc, v4, v4
	v_cndmask_b32_e32 v4, v6, v5, vcc
	s_mov_b64 s[0:1], 0
	s_branch .LBB174_627
.LBB174_623:
	s_mov_b64 s[0:1], -1
                                        ; implicit-def: $vgpr4
                                        ; implicit-def: $vgpr3
	s_branch .LBB174_646
.LBB174_624:
	s_mov_b64 s[0:1], -1
                                        ; implicit-def: $vgpr4
                                        ; implicit-def: $vgpr3
	s_branch .LBB174_633
.LBB174_625:
	s_mov_b64 s[0:1], -1
                                        ; implicit-def: $vgpr4
                                        ; implicit-def: $vgpr3
	s_branch .LBB174_630
.LBB174_626:
	s_mov_b64 s[0:1], -1
                                        ; implicit-def: $vgpr4
                                        ; implicit-def: $vgpr3
.LBB174_627:
	s_andn2_b64 vcc, exec, s[0:1]
	s_cbranch_vccnz .LBB174_629
; %bb.628:
	global_load_dwordx2 v[3:4], v[0:1], off
	s_movk_i32 s0, 0x7fff
	v_mov_b32_e32 v5, 0x7fc0
	v_mov_b32_e32 v6, 0x7fc00000
	s_waitcnt vmcnt(0)
	v_bfe_u32 v7, v3, 16, 1
	v_bfe_u32 v8, v4, 16, 1
	v_cmp_o_f32_e32 vcc, v3, v3
	v_add3_u32 v3, v3, v7, s0
	v_add3_u32 v7, v4, v8, s0
	v_cndmask_b32_sdwa v3, v5, v3, vcc dst_sel:DWORD dst_unused:UNUSED_PAD src0_sel:DWORD src1_sel:WORD_1
	v_and_b32_e32 v5, 0xffff0000, v7
	v_cmp_o_f32_e32 vcc, v4, v4
	v_cndmask_b32_e32 v4, v6, v5, vcc
.LBB174_629:
	s_mov_b64 s[0:1], 0
.LBB174_630:
	s_andn2_b64 vcc, exec, s[0:1]
	s_cbranch_vccnz .LBB174_632
; %bb.631:
	global_load_dword v4, v[0:1], off
	s_movk_i32 s0, 0x7fff
	s_waitcnt vmcnt(1)
	v_mov_b32_e32 v3, 0x7fc0
	v_mov_b32_e32 v7, 0x7fc00000
	s_waitcnt vmcnt(0)
	v_cvt_f32_f16_e32 v5, v4
	v_cvt_f32_f16_sdwa v6, v4 dst_sel:DWORD dst_unused:UNUSED_PAD src0_sel:WORD_1
	v_cmp_o_f16_e32 vcc, v4, v4
	v_bfe_u32 v8, v5, 16, 1
	v_bfe_u32 v9, v6, 16, 1
	v_add3_u32 v5, v5, v8, s0
	v_add3_u32 v6, v6, v9, s0
	v_cndmask_b32_sdwa v3, v3, v5, vcc dst_sel:DWORD dst_unused:UNUSED_PAD src0_sel:DWORD src1_sel:WORD_1
	v_and_b32_e32 v5, 0xffff0000, v6
	v_cmp_o_f16_sdwa vcc, v4, v4 src0_sel:WORD_1 src1_sel:WORD_1
	v_cndmask_b32_e32 v4, v7, v5, vcc
.LBB174_632:
	s_mov_b64 s[0:1], 0
.LBB174_633:
	s_andn2_b64 vcc, exec, s[0:1]
	s_cbranch_vccnz .LBB174_645
; %bb.634:
	s_cmp_lt_i32 s38, 6
	s_cbranch_scc1 .LBB174_637
; %bb.635:
	s_cmp_gt_i32 s38, 6
	s_cbranch_scc0 .LBB174_638
; %bb.636:
	global_load_dwordx2 v[3:4], v[0:1], off
	s_movk_i32 s0, 0x7fff
	s_waitcnt vmcnt(0)
	v_cvt_f32_f64_e32 v3, v[3:4]
	v_mov_b32_e32 v4, 0x7fc0
	v_bfe_u32 v5, v3, 16, 1
	v_cmp_o_f32_e32 vcc, v3, v3
	v_add3_u32 v3, v3, v5, s0
	v_cndmask_b32_sdwa v3, v4, v3, vcc dst_sel:DWORD dst_unused:UNUSED_PAD src0_sel:DWORD src1_sel:WORD_1
	s_mov_b64 s[0:1], 0
	s_branch .LBB174_639
.LBB174_637:
	s_mov_b64 s[0:1], -1
                                        ; implicit-def: $vgpr3
	s_branch .LBB174_642
.LBB174_638:
	s_mov_b64 s[0:1], -1
                                        ; implicit-def: $vgpr3
.LBB174_639:
	s_andn2_b64 vcc, exec, s[0:1]
	s_cbranch_vccnz .LBB174_641
; %bb.640:
	global_load_dword v3, v[0:1], off
	s_movk_i32 s0, 0x7fff
	v_mov_b32_e32 v4, 0x7fc0
	s_waitcnt vmcnt(0)
	v_bfe_u32 v5, v3, 16, 1
	v_cmp_o_f32_e32 vcc, v3, v3
	v_add3_u32 v3, v3, v5, s0
	v_cndmask_b32_sdwa v3, v4, v3, vcc dst_sel:DWORD dst_unused:UNUSED_PAD src0_sel:DWORD src1_sel:WORD_1
.LBB174_641:
	s_mov_b64 s[0:1], 0
.LBB174_642:
	s_andn2_b64 vcc, exec, s[0:1]
	s_cbranch_vccnz .LBB174_644
; %bb.643:
	global_load_ushort v3, v[0:1], off
	s_movk_i32 s0, 0x7fff
	v_mov_b32_e32 v5, 0x7fc0
	s_waitcnt vmcnt(0)
	v_cvt_f32_f16_e32 v4, v3
	v_cmp_o_f16_e32 vcc, v3, v3
	v_bfe_u32 v3, v4, 16, 1
	v_add3_u32 v3, v4, v3, s0
	v_cndmask_b32_sdwa v3, v5, v3, vcc dst_sel:DWORD dst_unused:UNUSED_PAD src0_sel:DWORD src1_sel:WORD_1
.LBB174_644:
	v_mov_b32_e32 v4, 0
.LBB174_645:
	s_mov_b64 s[0:1], 0
.LBB174_646:
	s_andn2_b64 vcc, exec, s[0:1]
	s_cbranch_vccnz .LBB174_667
; %bb.647:
	s_cmp_lt_i32 s38, 2
	s_cbranch_scc1 .LBB174_651
; %bb.648:
	s_cmp_lt_i32 s38, 3
	s_cbranch_scc1 .LBB174_652
; %bb.649:
	s_cmp_gt_i32 s38, 3
	s_cbranch_scc0 .LBB174_653
; %bb.650:
	global_load_dwordx2 v[3:4], v[0:1], off
	s_movk_i32 s0, 0x7fff
	s_waitcnt vmcnt(0)
	v_xor_b32_e32 v6, v3, v4
	v_ffbh_i32_e32 v5, v4
	v_ashrrev_i32_e32 v6, 31, v6
	v_add_u32_e32 v5, -1, v5
	v_add_u32_e32 v6, 32, v6
	v_min_u32_e32 v5, v5, v6
	v_lshlrev_b64 v[3:4], v5, v[3:4]
	v_min_u32_e32 v3, 1, v3
	v_or_b32_e32 v3, v4, v3
	v_cvt_f32_i32_e32 v3, v3
	v_sub_u32_e32 v4, 32, v5
	v_ldexp_f32 v3, v3, v4
	v_bfe_u32 v4, v3, 16, 1
	v_add3_u32 v3, v3, v4, s0
	v_lshrrev_b32_e32 v3, 16, v3
	s_mov_b64 s[0:1], 0
	s_branch .LBB174_654
.LBB174_651:
	s_mov_b64 s[0:1], -1
                                        ; implicit-def: $vgpr3
	s_branch .LBB174_660
.LBB174_652:
	s_mov_b64 s[0:1], -1
                                        ; implicit-def: $vgpr3
	s_branch .LBB174_657
.LBB174_653:
	s_mov_b64 s[0:1], -1
                                        ; implicit-def: $vgpr3
.LBB174_654:
	s_andn2_b64 vcc, exec, s[0:1]
	s_cbranch_vccnz .LBB174_656
; %bb.655:
	global_load_dword v3, v[0:1], off
	s_movk_i32 s0, 0x7fff
	s_waitcnt vmcnt(0)
	v_cvt_f32_i32_e32 v3, v3
	v_bfe_u32 v4, v3, 16, 1
	v_add3_u32 v3, v3, v4, s0
	v_lshrrev_b32_e32 v3, 16, v3
.LBB174_656:
	s_mov_b64 s[0:1], 0
.LBB174_657:
	s_andn2_b64 vcc, exec, s[0:1]
	s_cbranch_vccnz .LBB174_659
; %bb.658:
	global_load_sshort v3, v[0:1], off
	s_movk_i32 s0, 0x7fff
	s_waitcnt vmcnt(0)
	v_cvt_f32_i32_e32 v3, v3
	v_bfe_u32 v4, v3, 16, 1
	v_add3_u32 v3, v3, v4, s0
	v_lshrrev_b32_e32 v3, 16, v3
.LBB174_659:
	s_mov_b64 s[0:1], 0
.LBB174_660:
	s_andn2_b64 vcc, exec, s[0:1]
	s_cbranch_vccnz .LBB174_666
; %bb.661:
	s_cmp_gt_i32 s38, 0
	s_cbranch_scc0 .LBB174_663
; %bb.662:
	global_load_sbyte v3, v[0:1], off
	s_movk_i32 s0, 0x7fff
	s_waitcnt vmcnt(0)
	v_cvt_f32_i32_e32 v3, v3
	v_bfe_u32 v4, v3, 16, 1
	v_add3_u32 v3, v3, v4, s0
	v_lshrrev_b32_e32 v3, 16, v3
	s_mov_b64 s[0:1], 0
	s_branch .LBB174_664
.LBB174_663:
	s_mov_b64 s[0:1], -1
                                        ; implicit-def: $vgpr3
.LBB174_664:
	s_andn2_b64 vcc, exec, s[0:1]
	s_cbranch_vccnz .LBB174_666
; %bb.665:
	global_load_ubyte v0, v[0:1], off
	s_movk_i32 s0, 0x7fff
	s_waitcnt vmcnt(0)
	v_cvt_f32_ubyte0_e32 v0, v0
	v_bfe_u32 v1, v0, 16, 1
	v_add3_u32 v0, v0, v1, s0
	v_lshrrev_b32_e32 v3, 16, v0
.LBB174_666:
	v_mov_b32_e32 v4, 0
.LBB174_667:
	s_mov_b64 s[0:1], -1
.LBB174_668:
	s_andn2_b64 vcc, exec, s[0:1]
	s_cbranch_vccnz .LBB174_671
; %bb.669:
	s_waitcnt vmcnt(0)
	v_or_b32_sdwa v0, v4, v3 dst_sel:DWORD dst_unused:UNUSED_PAD src0_sel:DWORD src1_sel:WORD_0
	s_andn2_b64 vcc, exec, s[6:7]
	v_lshlrev_b32_e32 v0, 16, v0
	s_cbranch_vccnz .LBB174_672
; %bb.670:
	v_and_b32_e32 v1, 0xffff0000, v4
	v_cmp_neq_f32_e32 vcc, s47, v0
	v_cmp_neq_f32_e64 s[0:1], s48, v1
	s_or_b64 s[34:35], vcc, s[0:1]
	s_mov_b64 s[0:1], 0
	s_branch .LBB174_673
.LBB174_671:
	s_mov_b64 s[36:37], 0
                                        ; implicit-def: $vgpr2
	s_mov_b64 s[0:1], s[24:25]
	s_branch .LBB174_798
.LBB174_672:
	s_mov_b64 s[0:1], -1
                                        ; implicit-def: $sgpr34_sgpr35
.LBB174_673:
	s_andn2_b64 vcc, exec, s[0:1]
	s_cbranch_vccnz .LBB174_675
; %bb.674:
	v_and_b32_e32 v1, 0xffff0000, v4
	v_cmp_eq_f32_e32 vcc, s47, v0
	v_cmp_eq_f32_e64 s[0:1], s48, v1
	s_and_b64 s[0:1], vcc, s[0:1]
	s_andn2_b64 s[34:35], s[34:35], exec
	s_and_b64 s[0:1], s[0:1], exec
	s_or_b64 s[34:35], s[34:35], s[0:1]
.LBB174_675:
	v_mul_lo_u32 v0, v2, s12
	v_mov_b32_e32 v1, s9
	s_and_b32 s43, s33, 0xff
	s_cmp_lt_i32 s43, 11
	v_ashrrev_i32_e32 v3, 31, v0
	v_add_co_u32_e32 v0, vcc, s8, v0
	v_addc_co_u32_e32 v1, vcc, v1, v3, vcc
	s_cbranch_scc1 .LBB174_682
; %bb.676:
	s_and_b32 s44, 0xffff, s43
	s_cmp_gt_i32 s44, 25
	s_cbranch_scc0 .LBB174_683
; %bb.677:
	s_cmp_gt_i32 s44, 28
	s_cbranch_scc0 .LBB174_684
; %bb.678:
	;; [unrolled: 3-line block ×4, first 2 shown]
	s_mov_b64 s[38:39], 0
	s_mov_b64 s[0:1], -1
	s_cmp_eq_u32 s44, 46
	s_mov_b64 s[36:37], 0
	s_cbranch_scc0 .LBB174_687
; %bb.681:
	v_cndmask_b32_e64 v3, 0, 1.0, s[34:35]
	v_bfe_u32 v4, v3, 16, 1
	s_movk_i32 s0, 0x7fff
	v_add3_u32 v3, v3, v4, s0
	v_lshrrev_b32_e32 v3, 16, v3
	global_store_dword v[0:1], v3, off
	s_mov_b64 s[36:37], -1
	s_mov_b64 s[0:1], 0
	s_branch .LBB174_687
.LBB174_682:
	s_mov_b64 s[38:39], -1
	s_mov_b64 s[36:37], 0
	s_mov_b64 s[0:1], s[24:25]
	s_branch .LBB174_756
.LBB174_683:
	s_mov_b64 s[38:39], -1
	s_mov_b64 s[36:37], 0
	s_mov_b64 s[0:1], s[24:25]
	s_branch .LBB174_714
.LBB174_684:
	s_mov_b64 s[38:39], -1
	s_mov_b64 s[36:37], 0
	s_mov_b64 s[0:1], s[24:25]
	s_branch .LBB174_697
.LBB174_685:
	s_mov_b64 s[38:39], -1
	s_mov_b64 s[36:37], 0
	s_mov_b64 s[0:1], s[24:25]
	s_branch .LBB174_693
.LBB174_686:
	s_mov_b64 s[38:39], -1
	s_mov_b64 s[36:37], 0
	s_mov_b64 s[0:1], s[24:25]
.LBB174_687:
	s_and_b64 vcc, exec, s[38:39]
	s_cbranch_vccz .LBB174_692
; %bb.688:
	s_cmp_eq_u32 s44, 44
	s_mov_b64 s[0:1], -1
	s_cbranch_scc0 .LBB174_692
; %bb.689:
	v_cndmask_b32_e64 v4, 0, 1.0, s[34:35]
	v_lshrrev_b32_e32 v3, 23, v4
	s_movk_i32 s0, 0xff
	v_cmp_ne_u32_e32 vcc, s0, v3
	v_mov_b32_e32 v5, 0xff
	s_and_saveexec_b64 s[36:37], vcc
; %bb.690:
	s_mov_b32 s0, 0x3fffff
	v_and_b32_e32 v5, 0x400000, v4
	v_and_or_b32 v4, v4, s0, v3
	v_cmp_ne_u32_e32 vcc, 0, v5
	v_cmp_ne_u32_e64 s[0:1], 0, v4
	s_and_b64 s[0:1], vcc, s[0:1]
	v_cndmask_b32_e64 v4, 0, 1, s[0:1]
	v_add_u32_e32 v5, v3, v4
; %bb.691:
	s_or_b64 exec, exec, s[36:37]
	s_mov_b64 s[36:37], -1
	s_mov_b64 s[0:1], 0
	global_store_byte v[0:1], v5, off
.LBB174_692:
	s_mov_b64 s[38:39], 0
.LBB174_693:
	s_and_b64 vcc, exec, s[38:39]
	s_cbranch_vccz .LBB174_696
; %bb.694:
	s_cmp_eq_u32 s44, 29
	s_mov_b64 s[0:1], -1
	s_cbranch_scc0 .LBB174_696
; %bb.695:
	s_mov_b32 s0, 0
	v_cndmask_b32_e64 v3, 0, 1, s[34:35]
	v_mov_b32_e32 v4, s0
	global_store_dwordx2 v[0:1], v[3:4], off
	s_mov_b64 s[36:37], -1
	s_mov_b64 s[0:1], 0
.LBB174_696:
	s_mov_b64 s[38:39], 0
.LBB174_697:
	s_and_b64 vcc, exec, s[38:39]
	s_cbranch_vccz .LBB174_713
; %bb.698:
	s_cmp_lt_i32 s44, 27
	s_mov_b64 s[36:37], -1
	s_cbranch_scc1 .LBB174_704
; %bb.699:
	s_cmp_gt_i32 s44, 27
	s_cbranch_scc0 .LBB174_701
; %bb.700:
	v_cndmask_b32_e64 v3, 0, 1, s[34:35]
	s_mov_b64 s[36:37], 0
	global_store_dword v[0:1], v3, off
.LBB174_701:
	s_andn2_b64 vcc, exec, s[36:37]
	s_cbranch_vccnz .LBB174_703
; %bb.702:
	v_cndmask_b32_e64 v3, 0, 1, s[34:35]
	global_store_short v[0:1], v3, off
.LBB174_703:
	s_mov_b64 s[36:37], 0
.LBB174_704:
	s_andn2_b64 vcc, exec, s[36:37]
	s_cbranch_vccnz .LBB174_712
; %bb.705:
	v_cndmask_b32_e64 v4, 0, 1.0, s[34:35]
	s_mov_b32 s36, 0x43800000
	v_cmp_gt_u32_e32 vcc, s36, v4
	v_mov_b32_e32 v5, 0x80
	s_and_saveexec_b64 s[36:37], vcc
	s_cbranch_execz .LBB174_711
; %bb.706:
	s_mov_b32 s38, 0x3bffffff
	v_cmp_lt_u32_e32 vcc, s38, v4
	s_mov_b64 s[38:39], 0
                                        ; implicit-def: $vgpr3
	s_and_saveexec_b64 s[40:41], vcc
	s_xor_b64 s[40:41], exec, s[40:41]
	s_cbranch_execz .LBB174_812
; %bb.707:
	v_bfe_u32 v3, v4, 20, 1
	s_mov_b32 s45, 0x487ffff
	v_add3_u32 v3, v4, v3, s45
	s_mov_b64 s[38:39], exec
	v_lshrrev_b32_e32 v3, 20, v3
                                        ; implicit-def: $vgpr4
	s_andn2_saveexec_b64 s[40:41], s[40:41]
	s_cbranch_execnz .LBB174_813
.LBB174_708:
	s_or_b64 exec, exec, s[40:41]
	v_mov_b32_e32 v5, 0
	s_and_saveexec_b64 s[40:41], s[38:39]
.LBB174_709:
	v_mov_b32_e32 v5, v3
.LBB174_710:
	s_or_b64 exec, exec, s[40:41]
.LBB174_711:
	s_or_b64 exec, exec, s[36:37]
	global_store_byte v[0:1], v5, off
.LBB174_712:
	s_mov_b64 s[36:37], -1
.LBB174_713:
	s_mov_b64 s[38:39], 0
.LBB174_714:
	s_and_b64 vcc, exec, s[38:39]
	s_cbranch_vccz .LBB174_755
; %bb.715:
	s_cmp_gt_i32 s44, 22
	s_mov_b64 s[38:39], -1
	s_cbranch_scc0 .LBB174_747
; %bb.716:
	s_cmp_lt_i32 s44, 24
	s_mov_b64 s[36:37], -1
	s_cbranch_scc1 .LBB174_736
; %bb.717:
	s_cmp_gt_i32 s44, 24
	s_cbranch_scc0 .LBB174_725
; %bb.718:
	v_cndmask_b32_e64 v4, 0, 1.0, s[34:35]
	s_mov_b32 s36, 0x47800000
	v_cmp_gt_u32_e32 vcc, s36, v4
	v_mov_b32_e32 v5, 0x80
	s_and_saveexec_b64 s[36:37], vcc
	s_cbranch_execz .LBB174_724
; %bb.719:
	s_mov_b32 s38, 0x37ffffff
	v_cmp_lt_u32_e32 vcc, s38, v4
	s_mov_b64 s[38:39], 0
                                        ; implicit-def: $vgpr3
	s_and_saveexec_b64 s[40:41], vcc
	s_xor_b64 s[40:41], exec, s[40:41]
	s_cbranch_execz .LBB174_815
; %bb.720:
	v_bfe_u32 v3, v4, 21, 1
	s_mov_b32 s45, 0x88fffff
	v_add3_u32 v3, v4, v3, s45
	s_mov_b64 s[38:39], exec
	v_lshrrev_b32_e32 v3, 21, v3
                                        ; implicit-def: $vgpr4
	s_andn2_saveexec_b64 s[40:41], s[40:41]
	s_cbranch_execnz .LBB174_816
.LBB174_721:
	s_or_b64 exec, exec, s[40:41]
	v_mov_b32_e32 v5, 0
	s_and_saveexec_b64 s[40:41], s[38:39]
.LBB174_722:
	v_mov_b32_e32 v5, v3
.LBB174_723:
	s_or_b64 exec, exec, s[40:41]
.LBB174_724:
	s_or_b64 exec, exec, s[36:37]
	s_mov_b64 s[36:37], 0
	global_store_byte v[0:1], v5, off
.LBB174_725:
	s_and_b64 vcc, exec, s[36:37]
	s_cbranch_vccz .LBB174_735
; %bb.726:
	v_cndmask_b32_e64 v3, 0, 1.0, s[34:35]
	s_mov_b32 s36, 0x43f00000
	v_cmp_gt_u32_e32 vcc, s36, v3
                                        ; implicit-def: $vgpr4
	s_and_saveexec_b64 s[36:37], vcc
	s_xor_b64 s[36:37], exec, s[36:37]
	s_cbranch_execz .LBB174_732
; %bb.727:
	s_mov_b32 s38, 0x3c7fffff
	v_cmp_lt_u32_e32 vcc, s38, v3
                                        ; implicit-def: $vgpr4
	s_and_saveexec_b64 s[38:39], vcc
	s_xor_b64 s[38:39], exec, s[38:39]
; %bb.728:
	v_bfe_u32 v4, v3, 20, 1
	s_mov_b32 s40, 0x407ffff
	v_add3_u32 v3, v3, v4, s40
	v_lshrrev_b32_e32 v4, 20, v3
	v_and_b32_e32 v3, 0xff00000, v3
	s_mov_b32 s40, 0x7f00000
	v_mov_b32_e32 v5, 0x7e
	v_cmp_ne_u32_e32 vcc, s40, v3
	v_cndmask_b32_e32 v4, v5, v4, vcc
                                        ; implicit-def: $vgpr3
; %bb.729:
	s_andn2_saveexec_b64 s[38:39], s[38:39]
; %bb.730:
	v_add_f32_e32 v4, 0x46800000, v3
; %bb.731:
	s_or_b64 exec, exec, s[38:39]
                                        ; implicit-def: $vgpr3
.LBB174_732:
	s_andn2_saveexec_b64 s[36:37], s[36:37]
; %bb.733:
	s_mov_b32 s38, 0x7f800000
	v_mov_b32_e32 v4, 0x7e
	v_mov_b32_e32 v5, 0x7f
	v_cmp_lt_u32_e32 vcc, s38, v3
	v_cndmask_b32_e32 v4, v4, v5, vcc
; %bb.734:
	s_or_b64 exec, exec, s[36:37]
	global_store_byte v[0:1], v4, off
.LBB174_735:
	s_mov_b64 s[36:37], 0
.LBB174_736:
	s_andn2_b64 vcc, exec, s[36:37]
	s_cbranch_vccnz .LBB174_746
; %bb.737:
	v_cndmask_b32_e64 v3, 0, 1.0, s[34:35]
	s_mov_b32 s36, 0x47800000
	v_cmp_gt_u32_e32 vcc, s36, v3
                                        ; implicit-def: $vgpr4
	s_and_saveexec_b64 s[36:37], vcc
	s_xor_b64 s[36:37], exec, s[36:37]
	s_cbranch_execz .LBB174_743
; %bb.738:
	s_mov_b32 s38, 0x387fffff
	v_cmp_lt_u32_e32 vcc, s38, v3
                                        ; implicit-def: $vgpr4
	s_and_saveexec_b64 s[38:39], vcc
	s_xor_b64 s[38:39], exec, s[38:39]
; %bb.739:
	v_bfe_u32 v4, v3, 21, 1
	s_mov_b32 s40, 0x80fffff
	v_add3_u32 v3, v3, v4, s40
	v_lshrrev_b32_e32 v4, 21, v3
                                        ; implicit-def: $vgpr3
; %bb.740:
	s_andn2_saveexec_b64 s[38:39], s[38:39]
; %bb.741:
	v_add_f32_e32 v4, 0x43000000, v3
; %bb.742:
	s_or_b64 exec, exec, s[38:39]
                                        ; implicit-def: $vgpr3
.LBB174_743:
	s_andn2_saveexec_b64 s[36:37], s[36:37]
; %bb.744:
	s_mov_b32 s38, 0x7f800000
	v_mov_b32_e32 v4, 0x7c
	v_mov_b32_e32 v5, 0x7f
	v_cmp_lt_u32_e32 vcc, s38, v3
	v_cndmask_b32_e32 v4, v4, v5, vcc
; %bb.745:
	s_or_b64 exec, exec, s[36:37]
	global_store_byte v[0:1], v4, off
.LBB174_746:
	s_mov_b64 s[38:39], 0
	s_mov_b64 s[36:37], -1
.LBB174_747:
	s_andn2_b64 vcc, exec, s[38:39]
	s_cbranch_vccnz .LBB174_755
; %bb.748:
	s_cmp_gt_i32 s44, 14
	s_mov_b64 s[38:39], -1
	s_cbranch_scc0 .LBB174_752
; %bb.749:
	s_cmp_eq_u32 s44, 15
	s_mov_b64 s[0:1], -1
	s_cbranch_scc0 .LBB174_751
; %bb.750:
	v_cndmask_b32_e64 v3, 0, 1.0, s[34:35]
	v_bfe_u32 v4, v3, 16, 1
	s_movk_i32 s0, 0x7fff
	v_add3_u32 v3, v3, v4, s0
	global_store_short_d16_hi v[0:1], v3, off
	s_mov_b64 s[36:37], -1
	s_mov_b64 s[0:1], 0
.LBB174_751:
	s_mov_b64 s[38:39], 0
.LBB174_752:
	s_and_b64 vcc, exec, s[38:39]
	s_cbranch_vccz .LBB174_755
; %bb.753:
	s_cmp_eq_u32 s44, 11
	s_mov_b64 s[0:1], -1
	s_cbranch_scc0 .LBB174_755
; %bb.754:
	v_cndmask_b32_e64 v3, 0, 1, s[34:35]
	s_mov_b64 s[36:37], -1
	s_mov_b64 s[0:1], 0
	global_store_byte v[0:1], v3, off
.LBB174_755:
	s_mov_b64 s[38:39], 0
.LBB174_756:
	s_and_b64 vcc, exec, s[38:39]
	s_cbranch_vccz .LBB174_795
; %bb.757:
	s_and_b32 s38, 0xffff, s43
	s_cmp_lt_i32 s38, 5
	s_mov_b64 s[36:37], -1
	s_cbranch_scc1 .LBB174_778
; %bb.758:
	s_cmp_lt_i32 s38, 8
	s_cbranch_scc1 .LBB174_768
; %bb.759:
	s_cmp_lt_i32 s38, 9
	s_cbranch_scc1 .LBB174_765
; %bb.760:
	s_cmp_gt_i32 s38, 9
	s_cbranch_scc0 .LBB174_762
; %bb.761:
	v_cndmask_b32_e64 v3, 0, 1, s[34:35]
	v_cvt_f64_u32_e32 v[3:4], v3
	v_mov_b32_e32 v5, 0
	v_mov_b32_e32 v6, v5
	s_mov_b64 s[36:37], 0
	global_store_dwordx4 v[0:1], v[3:6], off
.LBB174_762:
	s_andn2_b64 vcc, exec, s[36:37]
	s_cbranch_vccnz .LBB174_764
; %bb.763:
	v_cndmask_b32_e64 v3, 0, 1.0, s[34:35]
	v_mov_b32_e32 v4, 0
	global_store_dwordx2 v[0:1], v[3:4], off
.LBB174_764:
	s_mov_b64 s[36:37], 0
.LBB174_765:
	s_andn2_b64 vcc, exec, s[36:37]
	s_cbranch_vccnz .LBB174_767
; %bb.766:
	v_cndmask_b32_e64 v3, 0, 1.0, s[34:35]
	v_cvt_f16_f32_e32 v3, v3
	global_store_dword v[0:1], v3, off
.LBB174_767:
	s_mov_b64 s[36:37], 0
.LBB174_768:
	s_andn2_b64 vcc, exec, s[36:37]
	s_cbranch_vccnz .LBB174_777
; %bb.769:
	s_cmp_lt_i32 s38, 6
	s_mov_b64 s[36:37], -1
	s_cbranch_scc1 .LBB174_775
; %bb.770:
	s_cmp_gt_i32 s38, 6
	s_cbranch_scc0 .LBB174_772
; %bb.771:
	v_cndmask_b32_e64 v3, 0, 1, s[34:35]
	v_cvt_f64_u32_e32 v[3:4], v3
	s_mov_b64 s[36:37], 0
	global_store_dwordx2 v[0:1], v[3:4], off
.LBB174_772:
	s_andn2_b64 vcc, exec, s[36:37]
	s_cbranch_vccnz .LBB174_774
; %bb.773:
	v_cndmask_b32_e64 v3, 0, 1.0, s[34:35]
	global_store_dword v[0:1], v3, off
.LBB174_774:
	s_mov_b64 s[36:37], 0
.LBB174_775:
	s_andn2_b64 vcc, exec, s[36:37]
	s_cbranch_vccnz .LBB174_777
; %bb.776:
	v_cndmask_b32_e64 v3, 0, 1.0, s[34:35]
	v_cvt_f16_f32_e32 v3, v3
	global_store_short v[0:1], v3, off
.LBB174_777:
	s_mov_b64 s[36:37], 0
.LBB174_778:
	s_andn2_b64 vcc, exec, s[36:37]
	s_cbranch_vccnz .LBB174_794
; %bb.779:
	s_cmp_lt_i32 s38, 2
	s_mov_b64 s[36:37], -1
	s_cbranch_scc1 .LBB174_789
; %bb.780:
	s_cmp_lt_i32 s38, 3
	s_cbranch_scc1 .LBB174_786
; %bb.781:
	s_cmp_gt_i32 s38, 3
	s_cbranch_scc0 .LBB174_783
; %bb.782:
	s_mov_b32 s36, 0
	v_cndmask_b32_e64 v3, 0, 1, s[34:35]
	v_mov_b32_e32 v4, s36
	s_mov_b64 s[36:37], 0
	global_store_dwordx2 v[0:1], v[3:4], off
.LBB174_783:
	s_andn2_b64 vcc, exec, s[36:37]
	s_cbranch_vccnz .LBB174_785
; %bb.784:
	v_cndmask_b32_e64 v3, 0, 1, s[34:35]
	global_store_dword v[0:1], v3, off
.LBB174_785:
	s_mov_b64 s[36:37], 0
.LBB174_786:
	s_andn2_b64 vcc, exec, s[36:37]
	s_cbranch_vccnz .LBB174_788
; %bb.787:
	v_cndmask_b32_e64 v3, 0, 1, s[34:35]
	global_store_short v[0:1], v3, off
.LBB174_788:
	s_mov_b64 s[36:37], 0
.LBB174_789:
	s_andn2_b64 vcc, exec, s[36:37]
	s_cbranch_vccnz .LBB174_794
; %bb.790:
	s_mov_b64 s[36:37], -1
	s_cmp_gt_i32 s38, 0
	v_cndmask_b32_e64 v3, 0, 1, s[34:35]
	s_cbranch_scc0 .LBB174_792
; %bb.791:
	s_mov_b64 s[36:37], 0
	global_store_byte v[0:1], v3, off
.LBB174_792:
	s_andn2_b64 vcc, exec, s[36:37]
	s_cbranch_vccnz .LBB174_794
; %bb.793:
	global_store_byte v[0:1], v3, off
.LBB174_794:
	s_mov_b64 s[36:37], -1
.LBB174_795:
	s_andn2_b64 vcc, exec, s[36:37]
	s_cbranch_vccnz .LBB174_797
; %bb.796:
	v_add_u32_e32 v2, 0x80, v2
	s_mov_b64 s[36:37], -1
	s_branch .LBB174_798
.LBB174_797:
	s_mov_b64 s[36:37], 0
                                        ; implicit-def: $vgpr2
.LBB174_798:
	s_andn2_b64 s[34:35], s[24:25], exec
	s_and_b64 s[0:1], s[0:1], exec
	s_or_b64 s[34:35], s[34:35], s[0:1]
	s_andn2_b64 s[0:1], s[22:23], exec
	s_and_b64 s[30:31], s[30:31], exec
	s_or_b64 s[0:1], s[0:1], s[30:31]
	s_orn2_b64 s[38:39], s[36:37], exec
.LBB174_799:
	s_or_b64 exec, exec, s[28:29]
	s_mov_b64 s[36:37], 0
	s_mov_b64 s[30:31], 0
	;; [unrolled: 1-line block ×3, first 2 shown]
                                        ; implicit-def: $vgpr0_vgpr1
                                        ; implicit-def: $vgpr4
                                        ; implicit-def: $vgpr3
	s_and_saveexec_b64 s[28:29], s[38:39]
	s_cbranch_execz .LBB174_887
; %bb.800:
	v_cmp_gt_i32_e32 vcc, s42, v2
	s_mov_b64 s[38:39], 0
	s_mov_b64 s[42:43], s[0:1]
	;; [unrolled: 1-line block ×3, first 2 shown]
                                        ; implicit-def: $vgpr0_vgpr1
                                        ; implicit-def: $vgpr4
                                        ; implicit-def: $vgpr3
	s_and_saveexec_b64 s[30:31], vcc
	s_cbranch_execz .LBB174_886
; %bb.801:
	v_mul_lo_u32 v0, v2, s13
	v_mov_b32_e32 v1, s11
	s_and_b32 s49, 0xffff, s46
	s_cmp_lt_i32 s49, 11
	s_waitcnt vmcnt(0)
	v_ashrrev_i32_e32 v3, 31, v0
	v_add_co_u32_e32 v0, vcc, s10, v0
	v_addc_co_u32_e32 v1, vcc, v1, v3, vcc
	s_cbranch_scc1 .LBB174_808
; %bb.802:
	s_cmp_gt_i32 s49, 25
	s_cbranch_scc0 .LBB174_809
; %bb.803:
	s_cmp_gt_i32 s49, 28
	s_cbranch_scc0 .LBB174_810
	;; [unrolled: 3-line block ×4, first 2 shown]
; %bb.806:
	s_cmp_eq_u32 s49, 46
	s_mov_b64 s[42:43], 0
	s_cbranch_scc0 .LBB174_817
; %bb.807:
	global_load_dword v3, v[0:1], off
	s_mov_b64 s[40:41], -1
	s_waitcnt vmcnt(0)
	v_and_b32_e32 v4, 0xffff0000, v3
	s_branch .LBB174_819
.LBB174_808:
	s_mov_b64 s[42:43], -1
                                        ; implicit-def: $vgpr4
                                        ; implicit-def: $vgpr3
	s_mov_b64 s[36:37], s[0:1]
	s_branch .LBB174_885
.LBB174_809:
	s_mov_b64 s[42:43], -1
	s_mov_b64 s[36:37], s[0:1]
                                        ; implicit-def: $vgpr4
                                        ; implicit-def: $vgpr3
	s_branch .LBB174_850
.LBB174_810:
	s_mov_b64 s[42:43], -1
	s_mov_b64 s[36:37], s[0:1]
                                        ; implicit-def: $vgpr4
                                        ; implicit-def: $vgpr3
	s_branch .LBB174_831
.LBB174_811:
	s_mov_b64 s[42:43], -1
	s_mov_b64 s[36:37], s[0:1]
                                        ; implicit-def: $vgpr4
                                        ; implicit-def: $vgpr3
	s_branch .LBB174_825
.LBB174_812:
	s_andn2_saveexec_b64 s[40:41], s[40:41]
	s_cbranch_execz .LBB174_708
.LBB174_813:
	v_add_f32_e32 v3, 0x46000000, v4
	v_and_b32_e32 v3, 0xff, v3
	v_cmp_ne_u32_e32 vcc, 0, v3
	s_andn2_b64 s[38:39], s[38:39], exec
	s_and_b64 s[50:51], vcc, exec
	s_or_b64 s[38:39], s[38:39], s[50:51]
	s_or_b64 exec, exec, s[40:41]
	v_mov_b32_e32 v5, 0
	s_and_saveexec_b64 s[40:41], s[38:39]
	s_cbranch_execnz .LBB174_709
	s_branch .LBB174_710
.LBB174_814:
	s_mov_b64 s[42:43], -1
	s_mov_b64 s[36:37], s[0:1]
	s_branch .LBB174_818
.LBB174_815:
	s_andn2_saveexec_b64 s[40:41], s[40:41]
	s_cbranch_execz .LBB174_721
.LBB174_816:
	v_add_f32_e32 v3, 0x42800000, v4
	v_and_b32_e32 v3, 0xff, v3
	v_cmp_ne_u32_e32 vcc, 0, v3
	s_andn2_b64 s[38:39], s[38:39], exec
	s_and_b64 s[50:51], vcc, exec
	s_or_b64 s[38:39], s[38:39], s[50:51]
	s_or_b64 exec, exec, s[40:41]
	v_mov_b32_e32 v5, 0
	s_and_saveexec_b64 s[40:41], s[38:39]
	s_cbranch_execnz .LBB174_722
	s_branch .LBB174_723
.LBB174_817:
	s_mov_b64 s[36:37], -1
.LBB174_818:
                                        ; implicit-def: $vgpr4
                                        ; implicit-def: $vgpr3
.LBB174_819:
	s_and_b64 vcc, exec, s[42:43]
	s_cbranch_vccz .LBB174_824
; %bb.820:
	s_cmp_eq_u32 s49, 44
	s_cbranch_scc0 .LBB174_822
; %bb.821:
	global_load_ubyte v3, v[0:1], off
	s_movk_i32 s40, 0xff
	v_mov_b32_e32 v4, 0x7f800001
	v_mov_b32_e32 v5, 0x400000
	;; [unrolled: 1-line block ×3, first 2 shown]
	s_mov_b64 s[36:37], 0
	s_waitcnt vmcnt(0)
	v_lshlrev_b32_e32 v7, 23, v3
	v_cmp_ne_u32_e32 vcc, s40, v3
	v_cndmask_b32_e32 v4, v4, v7, vcc
	v_cmp_ne_u32_e32 vcc, 0, v3
	v_cndmask_b32_e32 v3, v5, v4, vcc
	v_add_u32_e32 v4, 0x7fff, v3
	v_cmp_o_f32_e32 vcc, v3, v3
	v_cndmask_b32_sdwa v3, v6, v4, vcc dst_sel:DWORD dst_unused:UNUSED_PAD src0_sel:DWORD src1_sel:WORD_1
	s_mov_b64 s[40:41], -1
	s_branch .LBB174_823
.LBB174_822:
	s_mov_b64 s[36:37], -1
                                        ; implicit-def: $vgpr3
.LBB174_823:
	v_mov_b32_e32 v4, 0
.LBB174_824:
	s_mov_b64 s[42:43], 0
.LBB174_825:
	s_and_b64 vcc, exec, s[42:43]
	s_cbranch_vccz .LBB174_830
; %bb.826:
	s_cmp_eq_u32 s49, 29
	s_cbranch_scc0 .LBB174_828
; %bb.827:
	global_load_dwordx2 v[3:4], v[0:1], off
	s_movk_i32 s40, 0x7fff
	s_mov_b64 s[36:37], 0
	s_waitcnt vmcnt(0)
	v_ffbh_u32_e32 v5, v4
	v_min_u32_e32 v5, 32, v5
	v_lshlrev_b64 v[3:4], v5, v[3:4]
	v_min_u32_e32 v3, 1, v3
	v_or_b32_e32 v3, v4, v3
	v_cvt_f32_u32_e32 v3, v3
	v_sub_u32_e32 v4, 32, v5
	v_ldexp_f32 v3, v3, v4
	v_bfe_u32 v4, v3, 16, 1
	v_add3_u32 v3, v3, v4, s40
	v_lshrrev_b32_e32 v3, 16, v3
	s_mov_b64 s[40:41], -1
	s_branch .LBB174_829
.LBB174_828:
	s_mov_b64 s[36:37], -1
                                        ; implicit-def: $vgpr3
.LBB174_829:
	v_mov_b32_e32 v4, 0
.LBB174_830:
	s_mov_b64 s[42:43], 0
.LBB174_831:
	s_and_b64 vcc, exec, s[42:43]
	s_cbranch_vccz .LBB174_849
; %bb.832:
	s_cmp_lt_i32 s49, 27
	s_cbranch_scc1 .LBB174_835
; %bb.833:
	s_cmp_gt_i32 s49, 27
	s_cbranch_scc0 .LBB174_836
; %bb.834:
	global_load_dword v3, v[0:1], off
	s_movk_i32 s40, 0x7fff
	s_waitcnt vmcnt(0)
	v_cvt_f32_u32_e32 v3, v3
	v_bfe_u32 v4, v3, 16, 1
	v_add3_u32 v3, v3, v4, s40
	v_lshrrev_b32_e32 v3, 16, v3
	s_mov_b64 s[40:41], 0
	s_branch .LBB174_837
.LBB174_835:
	s_mov_b64 s[40:41], -1
                                        ; implicit-def: $vgpr3
	s_branch .LBB174_840
.LBB174_836:
	s_mov_b64 s[40:41], -1
                                        ; implicit-def: $vgpr3
.LBB174_837:
	s_andn2_b64 vcc, exec, s[40:41]
	s_cbranch_vccnz .LBB174_839
; %bb.838:
	global_load_ushort v3, v[0:1], off
	s_movk_i32 s40, 0x7fff
	s_waitcnt vmcnt(0)
	v_cvt_f32_u32_e32 v3, v3
	v_bfe_u32 v4, v3, 16, 1
	v_add3_u32 v3, v3, v4, s40
	v_lshrrev_b32_e32 v3, 16, v3
.LBB174_839:
	s_mov_b64 s[40:41], 0
.LBB174_840:
	s_andn2_b64 vcc, exec, s[40:41]
	s_cbranch_vccnz .LBB174_848
; %bb.841:
	global_load_ubyte v3, v[0:1], off
	s_movk_i32 s40, 0x7f
	s_waitcnt vmcnt(0)
	v_cmp_lt_i16_e32 vcc, s40, v3
	s_mov_b64 s[40:41], 0
	s_and_saveexec_b64 s[42:43], vcc
	s_xor_b64 s[42:43], exec, s[42:43]
	s_cbranch_execz .LBB174_862
; %bb.842:
	s_movk_i32 s40, 0x80
	v_cmp_eq_u16_e32 vcc, s40, v3
	s_mov_b64 s[40:41], -1
	s_and_saveexec_b64 s[44:45], vcc
; %bb.843:
	s_xor_b64 s[40:41], exec, -1
; %bb.844:
	s_or_b64 exec, exec, s[44:45]
	s_and_b64 s[40:41], s[40:41], exec
	s_or_saveexec_b64 s[42:43], s[42:43]
	v_mov_b32_e32 v4, 0x7f800001
	s_xor_b64 exec, exec, s[42:43]
	s_cbranch_execnz .LBB174_863
.LBB174_845:
	s_or_b64 exec, exec, s[42:43]
	s_and_saveexec_b64 s[42:43], s[40:41]
	s_cbranch_execz .LBB174_847
.LBB174_846:
	v_lshlrev_b32_e32 v4, 24, v3
	v_and_b32_e32 v3, 0xffff, v3
	v_and_b32_e32 v5, 7, v3
	v_ffbh_u32_e32 v7, v5
	v_min_u32_e32 v7, 32, v7
	v_subrev_u32_e32 v8, 28, v7
	v_bfe_u32 v6, v3, 3, 4
	v_lshlrev_b32_e32 v3, v8, v3
	v_sub_u32_e32 v7, 29, v7
	v_and_b32_e32 v3, 7, v3
	v_cmp_eq_u32_e32 vcc, 0, v6
	v_cndmask_b32_e32 v6, v6, v7, vcc
	v_cndmask_b32_e32 v3, v5, v3, vcc
	v_mov_b32_e32 v5, 0x3b800000
	v_lshlrev_b32_e32 v3, 20, v3
	v_and_b32_e32 v4, 0x80000000, v4
	v_lshl_add_u32 v5, v6, 23, v5
	v_or3_b32 v4, v4, v5, v3
.LBB174_847:
	s_or_b64 exec, exec, s[42:43]
	v_bfe_u32 v3, v4, 16, 1
	s_movk_i32 s40, 0x7fff
	v_add3_u32 v3, v4, v3, s40
	v_cmp_o_f32_e32 vcc, v4, v4
	v_mov_b32_e32 v4, 0x7fc0
	v_cndmask_b32_sdwa v3, v4, v3, vcc dst_sel:DWORD dst_unused:UNUSED_PAD src0_sel:DWORD src1_sel:WORD_1
.LBB174_848:
	s_mov_b64 s[40:41], -1
	v_mov_b32_e32 v4, 0
.LBB174_849:
	s_mov_b64 s[42:43], 0
.LBB174_850:
	s_and_b64 vcc, exec, s[42:43]
	s_cbranch_vccz .LBB174_884
; %bb.851:
	s_cmp_gt_i32 s49, 22
	s_cbranch_scc0 .LBB174_861
; %bb.852:
	s_cmp_lt_i32 s49, 24
	s_cbranch_scc1 .LBB174_864
; %bb.853:
	s_cmp_gt_i32 s49, 24
	s_cbranch_scc0 .LBB174_865
; %bb.854:
	global_load_ubyte v3, v[0:1], off
	s_movk_i32 s38, 0x7f
	s_waitcnt vmcnt(0)
	v_cmp_lt_i16_e32 vcc, s38, v3
	s_mov_b64 s[38:39], 0
	s_and_saveexec_b64 s[40:41], vcc
	s_xor_b64 s[40:41], exec, s[40:41]
	s_cbranch_execz .LBB174_877
; %bb.855:
	s_movk_i32 s38, 0x80
	v_cmp_eq_u16_e32 vcc, s38, v3
	s_mov_b64 s[38:39], -1
	s_and_saveexec_b64 s[42:43], vcc
; %bb.856:
	s_xor_b64 s[38:39], exec, -1
; %bb.857:
	s_or_b64 exec, exec, s[42:43]
	s_and_b64 s[38:39], s[38:39], exec
	s_or_saveexec_b64 s[40:41], s[40:41]
	v_mov_b32_e32 v4, 0x7f800001
	s_xor_b64 exec, exec, s[40:41]
	s_cbranch_execnz .LBB174_878
.LBB174_858:
	s_or_b64 exec, exec, s[40:41]
	s_and_saveexec_b64 s[40:41], s[38:39]
	s_cbranch_execz .LBB174_860
.LBB174_859:
	v_lshlrev_b32_e32 v4, 24, v3
	v_and_b32_e32 v3, 0xffff, v3
	v_and_b32_e32 v5, 3, v3
	v_ffbh_u32_e32 v7, v5
	v_min_u32_e32 v7, 32, v7
	v_subrev_u32_e32 v8, 29, v7
	v_bfe_u32 v6, v3, 2, 5
	v_lshlrev_b32_e32 v3, v8, v3
	v_sub_u32_e32 v7, 30, v7
	v_and_b32_e32 v3, 3, v3
	v_cmp_eq_u32_e32 vcc, 0, v6
	v_cndmask_b32_e32 v6, v6, v7, vcc
	v_cndmask_b32_e32 v3, v5, v3, vcc
	v_mov_b32_e32 v5, 0x37800000
	v_lshlrev_b32_e32 v3, 21, v3
	v_and_b32_e32 v4, 0x80000000, v4
	v_lshl_add_u32 v5, v6, 23, v5
	v_or3_b32 v4, v4, v5, v3
.LBB174_860:
	s_or_b64 exec, exec, s[40:41]
	v_bfe_u32 v3, v4, 16, 1
	s_movk_i32 s38, 0x7fff
	v_add3_u32 v3, v4, v3, s38
	v_cmp_o_f32_e32 vcc, v4, v4
	v_mov_b32_e32 v4, 0x7fc0
	v_cndmask_b32_sdwa v3, v4, v3, vcc dst_sel:DWORD dst_unused:UNUSED_PAD src0_sel:DWORD src1_sel:WORD_1
	s_mov_b64 s[38:39], 0
	s_branch .LBB174_866
.LBB174_861:
	s_mov_b64 s[38:39], -1
                                        ; implicit-def: $vgpr3
	s_branch .LBB174_872
.LBB174_862:
	s_or_saveexec_b64 s[42:43], s[42:43]
	v_mov_b32_e32 v4, 0x7f800001
	s_xor_b64 exec, exec, s[42:43]
	s_cbranch_execz .LBB174_845
.LBB174_863:
	v_cmp_ne_u16_e32 vcc, 0, v3
	s_andn2_b64 s[40:41], s[40:41], exec
	s_and_b64 s[44:45], vcc, exec
	v_mov_b32_e32 v4, 0
	s_or_b64 s[40:41], s[40:41], s[44:45]
	s_or_b64 exec, exec, s[42:43]
	s_and_saveexec_b64 s[42:43], s[40:41]
	s_cbranch_execnz .LBB174_846
	s_branch .LBB174_847
.LBB174_864:
	s_mov_b64 s[38:39], -1
                                        ; implicit-def: $vgpr3
	s_branch .LBB174_869
.LBB174_865:
	s_mov_b64 s[38:39], -1
                                        ; implicit-def: $vgpr3
.LBB174_866:
	s_and_b64 vcc, exec, s[38:39]
	s_cbranch_vccz .LBB174_868
; %bb.867:
	global_load_ubyte v3, v[0:1], off
	s_mov_b32 s38, 0x7f800000
	s_brev_b32 s39, 1
	s_movk_i32 s40, 0x7fff
	s_waitcnt vmcnt(0)
	v_lshlrev_b32_e32 v3, 24, v3
	v_and_b32_e32 v4, 0x7f000000, v3
	v_ffbh_u32_e32 v5, v4
	v_min_u32_e32 v5, 32, v5
	v_sub_u32_e64 v5, v5, 4 clamp
	v_lshlrev_b32_e32 v7, v5, v4
	v_lshlrev_b32_e32 v5, 23, v5
	v_lshrrev_b32_e32 v7, 4, v7
	v_add_u32_e32 v6, 0x1000000, v4
	v_sub_u32_e32 v5, v7, v5
	v_ashrrev_i32_e32 v6, 8, v6
	v_add_u32_e32 v5, 0x3c000000, v5
	v_and_or_b32 v5, v6, s38, v5
	v_cmp_ne_u32_e32 vcc, 0, v4
	v_cndmask_b32_e32 v4, 0, v5, vcc
	v_and_or_b32 v3, v3, s39, v4
	v_bfe_u32 v4, v4, 16, 1
	v_add3_u32 v4, v3, v4, s40
	v_cmp_o_f32_e32 vcc, v3, v3
	v_mov_b32_e32 v3, 0x7fc0
	v_cndmask_b32_sdwa v3, v3, v4, vcc dst_sel:DWORD dst_unused:UNUSED_PAD src0_sel:DWORD src1_sel:WORD_1
.LBB174_868:
	s_mov_b64 s[38:39], 0
.LBB174_869:
	s_andn2_b64 vcc, exec, s[38:39]
	s_cbranch_vccnz .LBB174_871
; %bb.870:
	global_load_ubyte v3, v[0:1], off
	s_movk_i32 s38, 0x7f00
	s_brev_b32 s39, 16
	s_brev_b32 s40, 1
	s_movk_i32 s41, 0x7fff
	s_waitcnt vmcnt(0)
	v_lshlrev_b16_e32 v4, 8, v3
	v_lshlrev_b32_e32 v3, 25, v3
	v_lshrrev_b32_e32 v5, 4, v3
	v_and_or_b32 v6, v4, s38, 0.5
	v_or_b32_e32 v5, 0x70000000, v5
	v_add_f32_e32 v6, -0.5, v6
	v_mul_f32_e32 v5, 0x7800000, v5
	v_cmp_gt_u32_e32 vcc, s39, v3
	v_bfe_i32 v4, v4, 0, 16
	v_cndmask_b32_e32 v3, v5, v6, vcc
	v_and_or_b32 v4, v4, s40, v3
	v_bfe_u32 v3, v3, 16, 1
	v_add3_u32 v3, v4, v3, s41
	v_cmp_o_f32_e32 vcc, v4, v4
	v_mov_b32_e32 v4, 0x7fc0
	v_cndmask_b32_sdwa v3, v4, v3, vcc dst_sel:DWORD dst_unused:UNUSED_PAD src0_sel:DWORD src1_sel:WORD_1
.LBB174_871:
	s_mov_b64 s[38:39], 0
	s_mov_b64 s[40:41], -1
.LBB174_872:
	s_andn2_b64 vcc, exec, s[38:39]
	s_mov_b64 s[38:39], 0
	s_cbranch_vccnz .LBB174_883
; %bb.873:
	s_cmp_gt_i32 s49, 14
	s_cbranch_scc0 .LBB174_876
; %bb.874:
	s_cmp_eq_u32 s49, 15
	s_cbranch_scc0 .LBB174_879
; %bb.875:
	global_load_ushort v3, v[0:1], off
	s_mov_b64 s[36:37], 0
	s_mov_b64 s[40:41], -1
	s_branch .LBB174_880
.LBB174_876:
	s_mov_b64 s[42:43], -1
                                        ; implicit-def: $vgpr3
	s_branch .LBB174_881
.LBB174_877:
	s_or_saveexec_b64 s[40:41], s[40:41]
	v_mov_b32_e32 v4, 0x7f800001
	s_xor_b64 exec, exec, s[40:41]
	s_cbranch_execz .LBB174_858
.LBB174_878:
	v_cmp_ne_u16_e32 vcc, 0, v3
	s_andn2_b64 s[38:39], s[38:39], exec
	s_and_b64 s[42:43], vcc, exec
	v_mov_b32_e32 v4, 0
	s_or_b64 s[38:39], s[38:39], s[42:43]
	s_or_b64 exec, exec, s[40:41]
	s_and_saveexec_b64 s[40:41], s[38:39]
	s_cbranch_execnz .LBB174_859
	s_branch .LBB174_860
.LBB174_879:
	s_mov_b64 s[36:37], -1
                                        ; implicit-def: $vgpr3
.LBB174_880:
	s_mov_b64 s[42:43], 0
.LBB174_881:
	s_and_b64 vcc, exec, s[42:43]
	s_cbranch_vccz .LBB174_883
; %bb.882:
	s_cmp_lg_u32 s49, 11
	s_cselect_b64 s[42:43], -1, 0
	s_andn2_b64 s[36:37], s[36:37], exec
	s_and_b64 s[42:43], s[42:43], exec
	s_mov_b64 s[38:39], -1
	s_or_b64 s[36:37], s[36:37], s[42:43]
.LBB174_883:
	v_mov_b32_e32 v4, 0
.LBB174_884:
	s_mov_b64 s[42:43], 0
.LBB174_885:
	s_and_b64 s[44:45], s[42:43], exec
	s_andn2_b64 s[42:43], s[0:1], exec
	s_and_b64 s[36:37], s[36:37], exec
	s_and_b64 s[40:41], s[40:41], exec
	;; [unrolled: 1-line block ×3, first 2 shown]
	s_or_b64 s[42:43], s[42:43], s[36:37]
.LBB174_886:
	s_or_b64 exec, exec, s[30:31]
	s_and_b64 s[36:37], s[38:39], exec
	s_andn2_b64 s[0:1], s[0:1], exec
	s_and_b64 s[38:39], s[42:43], exec
	s_and_b64 s[40:41], s[40:41], exec
	;; [unrolled: 1-line block ×3, first 2 shown]
	s_or_b64 s[0:1], s[0:1], s[38:39]
.LBB174_887:
	s_or_b64 exec, exec, s[28:29]
	s_andn2_b64 s[24:25], s[24:25], exec
	s_and_b64 s[28:29], s[34:35], exec
	s_andn2_b64 s[22:23], s[22:23], exec
	s_and_b64 s[0:1], s[0:1], exec
	s_or_b64 s[24:25], s[24:25], s[28:29]
	s_and_b64 s[34:35], s[40:41], exec
	s_and_b64 s[30:31], s[30:31], exec
	;; [unrolled: 1-line block ×3, first 2 shown]
	s_or_b64 s[22:23], s[22:23], s[0:1]
.LBB174_888:
	s_or_b64 exec, exec, s[26:27]
	s_andn2_b64 s[0:1], s[16:17], exec
	s_and_b64 s[16:17], s[24:25], exec
	s_andn2_b64 s[18:19], s[18:19], exec
	s_and_b64 s[22:23], s[22:23], exec
	s_or_b64 s[16:17], s[0:1], s[16:17]
	s_and_b64 s[0:1], s[34:35], exec
	s_and_b64 s[26:27], s[30:31], exec
	;; [unrolled: 1-line block ×3, first 2 shown]
	s_or_b64 s[18:19], s[18:19], s[22:23]
	s_or_b64 exec, exec, s[20:21]
	s_mov_b64 s[20:21], 0
	s_and_saveexec_b64 s[22:23], s[18:19]
	s_cbranch_execz .LBB174_270
.LBB174_889:
	s_mov_b64 s[20:21], exec
	s_andn2_b64 s[24:25], s[24:25], exec
	s_trap 2
	s_or_b64 exec, exec, s[22:23]
	s_and_saveexec_b64 s[18:19], s[24:25]
	s_xor_b64 s[18:19], exec, s[18:19]
	s_cbranch_execnz .LBB174_271
.LBB174_890:
	s_or_b64 exec, exec, s[18:19]
	s_and_saveexec_b64 s[18:19], s[26:27]
	s_cbranch_execz .LBB174_938
.LBB174_891:
	s_sext_i32_i16 s22, s46
	s_cmp_lt_i32 s22, 5
	s_cbranch_scc1 .LBB174_896
; %bb.892:
	s_cmp_lt_i32 s22, 8
	s_cbranch_scc1 .LBB174_897
; %bb.893:
	s_cmp_lt_i32 s22, 9
	s_cbranch_scc1 .LBB174_898
; %bb.894:
	s_cmp_gt_i32 s22, 9
	s_cbranch_scc0 .LBB174_899
; %bb.895:
	global_load_dwordx4 v[3:6], v[0:1], off
	s_movk_i32 s22, 0x7fff
	s_waitcnt vmcnt(0)
	v_cvt_f32_f64_e32 v3, v[3:4]
	v_cvt_f32_f64_e32 v4, v[5:6]
	v_mov_b32_e32 v5, 0x7fc0
	v_mov_b32_e32 v6, 0x7fc00000
	v_bfe_u32 v7, v3, 16, 1
	v_bfe_u32 v8, v4, 16, 1
	v_cmp_o_f32_e32 vcc, v3, v3
	v_add3_u32 v3, v3, v7, s22
	v_add3_u32 v7, v4, v8, s22
	v_cndmask_b32_sdwa v3, v5, v3, vcc dst_sel:DWORD dst_unused:UNUSED_PAD src0_sel:DWORD src1_sel:WORD_1
	v_and_b32_e32 v5, 0xffff0000, v7
	v_cmp_o_f32_e32 vcc, v4, v4
	v_cndmask_b32_e32 v4, v6, v5, vcc
	s_mov_b64 s[22:23], 0
	s_branch .LBB174_900
.LBB174_896:
                                        ; implicit-def: $vgpr4
                                        ; implicit-def: $vgpr3
	s_branch .LBB174_918
.LBB174_897:
                                        ; implicit-def: $vgpr4
                                        ; implicit-def: $vgpr3
	s_branch .LBB174_906
.LBB174_898:
	s_mov_b64 s[22:23], -1
                                        ; implicit-def: $vgpr4
                                        ; implicit-def: $vgpr3
	s_branch .LBB174_903
.LBB174_899:
	s_mov_b64 s[22:23], -1
                                        ; implicit-def: $vgpr4
                                        ; implicit-def: $vgpr3
.LBB174_900:
	s_andn2_b64 vcc, exec, s[22:23]
	s_cbranch_vccnz .LBB174_902
; %bb.901:
	global_load_dwordx2 v[3:4], v[0:1], off
	s_movk_i32 s22, 0x7fff
	v_mov_b32_e32 v5, 0x7fc0
	v_mov_b32_e32 v6, 0x7fc00000
	s_waitcnt vmcnt(0)
	v_bfe_u32 v7, v3, 16, 1
	v_bfe_u32 v8, v4, 16, 1
	v_cmp_o_f32_e32 vcc, v3, v3
	v_add3_u32 v3, v3, v7, s22
	v_add3_u32 v7, v4, v8, s22
	v_cndmask_b32_sdwa v3, v5, v3, vcc dst_sel:DWORD dst_unused:UNUSED_PAD src0_sel:DWORD src1_sel:WORD_1
	v_and_b32_e32 v5, 0xffff0000, v7
	v_cmp_o_f32_e32 vcc, v4, v4
	v_cndmask_b32_e32 v4, v6, v5, vcc
.LBB174_902:
	s_mov_b64 s[22:23], 0
.LBB174_903:
	s_andn2_b64 vcc, exec, s[22:23]
	s_cbranch_vccnz .LBB174_905
; %bb.904:
	global_load_dword v4, v[0:1], off
	s_movk_i32 s22, 0x7fff
	s_waitcnt vmcnt(1)
	v_mov_b32_e32 v3, 0x7fc0
	v_mov_b32_e32 v7, 0x7fc00000
	s_waitcnt vmcnt(0)
	v_cvt_f32_f16_e32 v5, v4
	v_cvt_f32_f16_sdwa v6, v4 dst_sel:DWORD dst_unused:UNUSED_PAD src0_sel:WORD_1
	v_cmp_o_f16_e32 vcc, v4, v4
	v_bfe_u32 v8, v5, 16, 1
	v_bfe_u32 v9, v6, 16, 1
	v_add3_u32 v5, v5, v8, s22
	v_add3_u32 v6, v6, v9, s22
	v_cndmask_b32_sdwa v3, v3, v5, vcc dst_sel:DWORD dst_unused:UNUSED_PAD src0_sel:DWORD src1_sel:WORD_1
	v_and_b32_e32 v5, 0xffff0000, v6
	v_cmp_o_f16_sdwa vcc, v4, v4 src0_sel:WORD_1 src1_sel:WORD_1
	v_cndmask_b32_e32 v4, v7, v5, vcc
.LBB174_905:
	s_cbranch_execnz .LBB174_917
.LBB174_906:
	s_sext_i32_i16 s22, s46
	s_cmp_lt_i32 s22, 6
	s_cbranch_scc1 .LBB174_909
; %bb.907:
	s_cmp_gt_i32 s22, 6
	s_cbranch_scc0 .LBB174_910
; %bb.908:
	global_load_dwordx2 v[3:4], v[0:1], off
	s_movk_i32 s22, 0x7fff
	s_waitcnt vmcnt(0)
	v_cvt_f32_f64_e32 v3, v[3:4]
	v_mov_b32_e32 v4, 0x7fc0
	v_bfe_u32 v5, v3, 16, 1
	v_cmp_o_f32_e32 vcc, v3, v3
	v_add3_u32 v3, v3, v5, s22
	v_cndmask_b32_sdwa v3, v4, v3, vcc dst_sel:DWORD dst_unused:UNUSED_PAD src0_sel:DWORD src1_sel:WORD_1
	s_mov_b64 s[22:23], 0
	s_branch .LBB174_911
.LBB174_909:
	s_mov_b64 s[22:23], -1
                                        ; implicit-def: $vgpr3
	s_branch .LBB174_914
.LBB174_910:
	s_mov_b64 s[22:23], -1
                                        ; implicit-def: $vgpr3
.LBB174_911:
	s_andn2_b64 vcc, exec, s[22:23]
	s_cbranch_vccnz .LBB174_913
; %bb.912:
	global_load_dword v3, v[0:1], off
	s_movk_i32 s22, 0x7fff
	v_mov_b32_e32 v4, 0x7fc0
	s_waitcnt vmcnt(0)
	v_bfe_u32 v5, v3, 16, 1
	v_cmp_o_f32_e32 vcc, v3, v3
	v_add3_u32 v3, v3, v5, s22
	v_cndmask_b32_sdwa v3, v4, v3, vcc dst_sel:DWORD dst_unused:UNUSED_PAD src0_sel:DWORD src1_sel:WORD_1
.LBB174_913:
	s_mov_b64 s[22:23], 0
.LBB174_914:
	s_andn2_b64 vcc, exec, s[22:23]
	s_cbranch_vccnz .LBB174_916
; %bb.915:
	global_load_ushort v3, v[0:1], off
	s_movk_i32 s22, 0x7fff
	v_mov_b32_e32 v5, 0x7fc0
	s_waitcnt vmcnt(0)
	v_cvt_f32_f16_e32 v4, v3
	v_cmp_o_f16_e32 vcc, v3, v3
	v_bfe_u32 v3, v4, 16, 1
	v_add3_u32 v3, v4, v3, s22
	v_cndmask_b32_sdwa v3, v5, v3, vcc dst_sel:DWORD dst_unused:UNUSED_PAD src0_sel:DWORD src1_sel:WORD_1
.LBB174_916:
	v_mov_b32_e32 v4, 0
.LBB174_917:
	s_cbranch_execnz .LBB174_937
.LBB174_918:
	s_sext_i32_i16 s22, s46
	s_cmp_lt_i32 s22, 2
	s_cbranch_scc1 .LBB174_922
; %bb.919:
	s_cmp_lt_i32 s22, 3
	s_cbranch_scc1 .LBB174_923
; %bb.920:
	s_cmp_gt_i32 s22, 3
	s_cbranch_scc0 .LBB174_924
; %bb.921:
	global_load_dwordx2 v[3:4], v[0:1], off
	s_movk_i32 s22, 0x7fff
	s_waitcnt vmcnt(0)
	v_xor_b32_e32 v6, v3, v4
	v_ffbh_i32_e32 v5, v4
	v_ashrrev_i32_e32 v6, 31, v6
	v_add_u32_e32 v5, -1, v5
	v_add_u32_e32 v6, 32, v6
	v_min_u32_e32 v5, v5, v6
	v_lshlrev_b64 v[3:4], v5, v[3:4]
	v_min_u32_e32 v3, 1, v3
	v_or_b32_e32 v3, v4, v3
	v_cvt_f32_i32_e32 v3, v3
	v_sub_u32_e32 v4, 32, v5
	v_ldexp_f32 v3, v3, v4
	v_bfe_u32 v4, v3, 16, 1
	v_add3_u32 v3, v3, v4, s22
	v_lshrrev_b32_e32 v3, 16, v3
	s_mov_b64 s[22:23], 0
	s_branch .LBB174_925
.LBB174_922:
                                        ; implicit-def: $vgpr3
	s_branch .LBB174_931
.LBB174_923:
	s_mov_b64 s[22:23], -1
                                        ; implicit-def: $vgpr3
	s_branch .LBB174_928
.LBB174_924:
	s_mov_b64 s[22:23], -1
                                        ; implicit-def: $vgpr3
.LBB174_925:
	s_andn2_b64 vcc, exec, s[22:23]
	s_cbranch_vccnz .LBB174_927
; %bb.926:
	global_load_dword v3, v[0:1], off
	s_movk_i32 s22, 0x7fff
	s_waitcnt vmcnt(0)
	v_cvt_f32_i32_e32 v3, v3
	v_bfe_u32 v4, v3, 16, 1
	v_add3_u32 v3, v3, v4, s22
	v_lshrrev_b32_e32 v3, 16, v3
.LBB174_927:
	s_mov_b64 s[22:23], 0
.LBB174_928:
	s_andn2_b64 vcc, exec, s[22:23]
	s_cbranch_vccnz .LBB174_930
; %bb.929:
	global_load_sshort v3, v[0:1], off
	s_movk_i32 s22, 0x7fff
	s_waitcnt vmcnt(0)
	v_cvt_f32_i32_e32 v3, v3
	v_bfe_u32 v4, v3, 16, 1
	v_add3_u32 v3, v3, v4, s22
	v_lshrrev_b32_e32 v3, 16, v3
.LBB174_930:
	s_cbranch_execnz .LBB174_936
.LBB174_931:
	s_sext_i32_i16 s22, s46
	s_cmp_gt_i32 s22, 0
	s_cbranch_scc0 .LBB174_933
; %bb.932:
	global_load_sbyte v3, v[0:1], off
	s_movk_i32 s22, 0x7fff
	s_waitcnt vmcnt(0)
	v_cvt_f32_i32_e32 v3, v3
	v_bfe_u32 v4, v3, 16, 1
	v_add3_u32 v3, v3, v4, s22
	v_lshrrev_b32_e32 v3, 16, v3
	s_mov_b64 s[22:23], 0
	s_branch .LBB174_934
.LBB174_933:
	s_mov_b64 s[22:23], -1
                                        ; implicit-def: $vgpr3
.LBB174_934:
	s_andn2_b64 vcc, exec, s[22:23]
	s_cbranch_vccnz .LBB174_936
; %bb.935:
	global_load_ubyte v0, v[0:1], off
	s_movk_i32 s22, 0x7fff
	s_waitcnt vmcnt(0)
	v_cvt_f32_ubyte0_e32 v0, v0
	v_bfe_u32 v1, v0, 16, 1
	v_add3_u32 v0, v0, v1, s22
	v_lshrrev_b32_e32 v3, 16, v0
.LBB174_936:
	v_mov_b32_e32 v4, 0
.LBB174_937:
	s_or_b64 s[0:1], s[0:1], exec
.LBB174_938:
	s_or_b64 exec, exec, s[18:19]
	s_mov_b64 s[26:27], 0
	s_mov_b64 s[24:25], 0
                                        ; implicit-def: $sgpr18_sgpr19
                                        ; implicit-def: $sgpr30
                                        ; implicit-def: $vgpr0_vgpr1
	s_and_saveexec_b64 s[22:23], s[0:1]
	s_cbranch_execz .LBB174_1016
; %bb.939:
	s_waitcnt vmcnt(0)
	v_or_b32_sdwa v0, v4, v3 dst_sel:DWORD dst_unused:UNUSED_PAD src0_sel:DWORD src1_sel:WORD_0
	s_andn2_b64 vcc, exec, s[6:7]
	v_lshlrev_b32_e32 v0, 16, v0
	s_cbranch_vccnz .LBB174_1020
; %bb.940:
	v_and_b32_e32 v1, 0xffff0000, v4
	v_cmp_neq_f32_e32 vcc, s47, v0
	v_cmp_neq_f32_e64 s[0:1], s48, v1
	s_or_b64 s[18:19], vcc, s[0:1]
	s_cbranch_execnz .LBB174_942
.LBB174_941:
	v_and_b32_e32 v1, 0xffff0000, v4
	v_cmp_eq_f32_e32 vcc, s47, v0
	v_cmp_eq_f32_e64 s[0:1], s48, v1
	s_and_b64 s[0:1], vcc, s[0:1]
	s_andn2_b64 s[6:7], s[18:19], exec
	s_and_b64 s[0:1], s[0:1], exec
	s_or_b64 s[18:19], s[6:7], s[0:1]
.LBB174_942:
	v_mul_lo_u32 v0, v2, s12
	v_mov_b32_e32 v1, s9
	s_and_b32 s30, s33, 0xff
	s_cmp_lt_i32 s30, 11
	v_ashrrev_i32_e32 v2, 31, v0
	v_add_co_u32_e32 v0, vcc, s8, v0
	v_addc_co_u32_e32 v1, vcc, v1, v2, vcc
	s_cbranch_scc1 .LBB174_1019
; %bb.943:
	s_and_b32 s31, 0xffff, s30
	s_mov_b64 s[24:25], -1
	s_cmp_gt_i32 s31, 25
	s_mov_b64 s[0:1], s[16:17]
	s_cbranch_scc0 .LBB174_976
; %bb.944:
	s_mov_b64 s[6:7], -1
	s_cmp_gt_i32 s31, 28
	s_mov_b64 s[0:1], s[16:17]
	s_cbranch_scc0 .LBB174_960
; %bb.945:
	s_cmp_gt_i32 s31, 43
	s_mov_b64 s[0:1], s[16:17]
	s_cbranch_scc0 .LBB174_956
; %bb.946:
	;; [unrolled: 4-line block ×3, first 2 shown]
	s_cmp_eq_u32 s31, 46
	s_mov_b64 s[0:1], -1
	s_cbranch_scc0 .LBB174_949
; %bb.948:
	v_cndmask_b32_e64 v2, 0, 1.0, s[18:19]
	v_bfe_u32 v3, v2, 16, 1
	s_movk_i32 s0, 0x7fff
	v_add3_u32 v2, v2, v3, s0
	v_lshrrev_b32_e32 v2, 16, v2
	global_store_dword v[0:1], v2, off
	s_mov_b64 s[0:1], 0
.LBB174_949:
	s_mov_b64 s[6:7], 0
.LBB174_950:
	s_and_b64 vcc, exec, s[6:7]
	s_cbranch_vccz .LBB174_955
; %bb.951:
	s_cmp_eq_u32 s31, 44
	s_mov_b64 s[0:1], -1
	s_cbranch_scc0 .LBB174_955
; %bb.952:
	v_cndmask_b32_e64 v3, 0, 1.0, s[18:19]
	v_lshrrev_b32_e32 v2, 23, v3
	s_movk_i32 s0, 0xff
	v_cmp_ne_u32_e32 vcc, s0, v2
	v_mov_b32_e32 v4, 0xff
	s_and_saveexec_b64 s[6:7], vcc
; %bb.953:
	s_mov_b32 s0, 0x3fffff
	v_and_b32_e32 v4, 0x400000, v3
	v_and_or_b32 v3, v3, s0, v2
	v_cmp_ne_u32_e32 vcc, 0, v4
	v_cmp_ne_u32_e64 s[0:1], 0, v3
	s_and_b64 s[0:1], vcc, s[0:1]
	v_cndmask_b32_e64 v3, 0, 1, s[0:1]
	v_add_u32_e32 v4, v2, v3
; %bb.954:
	s_or_b64 exec, exec, s[6:7]
	s_mov_b64 s[0:1], 0
	global_store_byte v[0:1], v4, off
.LBB174_955:
	s_mov_b64 s[6:7], 0
.LBB174_956:
	s_and_b64 vcc, exec, s[6:7]
	s_cbranch_vccz .LBB174_959
; %bb.957:
	s_cmp_eq_u32 s31, 29
	s_mov_b64 s[0:1], -1
	s_cbranch_scc0 .LBB174_959
; %bb.958:
	s_mov_b32 s0, 0
	v_cndmask_b32_e64 v2, 0, 1, s[18:19]
	v_mov_b32_e32 v3, s0
	global_store_dwordx2 v[0:1], v[2:3], off
	s_mov_b64 s[0:1], 0
.LBB174_959:
	s_mov_b64 s[6:7], 0
.LBB174_960:
	s_and_b64 vcc, exec, s[6:7]
	s_cbranch_vccz .LBB174_975
; %bb.961:
	s_cmp_lt_i32 s31, 27
	s_mov_b64 s[6:7], -1
	s_cbranch_scc1 .LBB174_967
; %bb.962:
	s_cmp_gt_i32 s31, 27
	v_cndmask_b32_e64 v2, 0, 1, s[18:19]
	s_cbranch_scc0 .LBB174_964
; %bb.963:
	s_mov_b64 s[6:7], 0
	global_store_dword v[0:1], v2, off
.LBB174_964:
	s_andn2_b64 vcc, exec, s[6:7]
	s_cbranch_vccnz .LBB174_966
; %bb.965:
	global_store_short v[0:1], v2, off
.LBB174_966:
	s_mov_b64 s[6:7], 0
.LBB174_967:
	s_andn2_b64 vcc, exec, s[6:7]
	s_cbranch_vccnz .LBB174_975
; %bb.968:
	v_cndmask_b32_e64 v3, 0, 1.0, s[18:19]
	s_mov_b32 s6, 0x43800000
	v_cmp_gt_u32_e32 vcc, s6, v3
	v_mov_b32_e32 v4, 0x80
	s_and_saveexec_b64 s[6:7], vcc
	s_cbranch_execz .LBB174_974
; %bb.969:
	s_mov_b32 s24, 0x3bffffff
	v_cmp_lt_u32_e32 vcc, s24, v3
	s_mov_b64 s[24:25], 0
                                        ; implicit-def: $vgpr2
	s_and_saveexec_b64 s[26:27], vcc
	s_xor_b64 s[26:27], exec, s[26:27]
	s_cbranch_execz .LBB174_1077
; %bb.970:
	v_bfe_u32 v2, v3, 20, 1
	s_mov_b32 s28, 0x487ffff
	v_add3_u32 v2, v3, v2, s28
	s_mov_b64 s[24:25], exec
	v_lshrrev_b32_e32 v2, 20, v2
                                        ; implicit-def: $vgpr3
	s_andn2_saveexec_b64 s[26:27], s[26:27]
	s_cbranch_execnz .LBB174_1078
.LBB174_971:
	s_or_b64 exec, exec, s[26:27]
	v_mov_b32_e32 v4, 0
	s_and_saveexec_b64 s[26:27], s[24:25]
.LBB174_972:
	v_mov_b32_e32 v4, v2
.LBB174_973:
	s_or_b64 exec, exec, s[26:27]
.LBB174_974:
	s_or_b64 exec, exec, s[6:7]
	global_store_byte v[0:1], v4, off
.LBB174_975:
	s_mov_b64 s[24:25], 0
.LBB174_976:
	s_mov_b64 s[6:7], 0
	s_and_b64 vcc, exec, s[24:25]
	s_cbranch_vccz .LBB174_1021
; %bb.977:
	s_cmp_gt_i32 s31, 22
	s_mov_b64 s[24:25], -1
	s_cbranch_scc0 .LBB174_1009
; %bb.978:
	s_cmp_lt_i32 s31, 24
	s_cbranch_scc1 .LBB174_998
; %bb.979:
	s_cmp_gt_i32 s31, 24
	s_cbranch_scc0 .LBB174_987
; %bb.980:
	v_cndmask_b32_e64 v3, 0, 1.0, s[18:19]
	s_mov_b32 s24, 0x47800000
	v_cmp_gt_u32_e32 vcc, s24, v3
	v_mov_b32_e32 v4, 0x80
	s_and_saveexec_b64 s[24:25], vcc
	s_cbranch_execz .LBB174_986
; %bb.981:
	s_mov_b32 s26, 0x37ffffff
	v_cmp_lt_u32_e32 vcc, s26, v3
	s_mov_b64 s[26:27], 0
                                        ; implicit-def: $vgpr2
	s_and_saveexec_b64 s[28:29], vcc
	s_xor_b64 s[28:29], exec, s[28:29]
	s_cbranch_execz .LBB174_1211
; %bb.982:
	v_bfe_u32 v2, v3, 21, 1
	s_mov_b32 s34, 0x88fffff
	v_add3_u32 v2, v3, v2, s34
	s_mov_b64 s[26:27], exec
	v_lshrrev_b32_e32 v2, 21, v2
                                        ; implicit-def: $vgpr3
	s_andn2_saveexec_b64 s[28:29], s[28:29]
	s_cbranch_execnz .LBB174_1212
.LBB174_983:
	s_or_b64 exec, exec, s[28:29]
	v_mov_b32_e32 v4, 0
	s_and_saveexec_b64 s[28:29], s[26:27]
.LBB174_984:
	v_mov_b32_e32 v4, v2
.LBB174_985:
	s_or_b64 exec, exec, s[28:29]
.LBB174_986:
	s_or_b64 exec, exec, s[24:25]
	s_mov_b64 s[24:25], 0
	global_store_byte v[0:1], v4, off
.LBB174_987:
	s_and_b64 vcc, exec, s[24:25]
	s_cbranch_vccz .LBB174_997
; %bb.988:
	v_cndmask_b32_e64 v2, 0, 1.0, s[18:19]
	s_mov_b32 s24, 0x43f00000
	v_cmp_gt_u32_e32 vcc, s24, v2
                                        ; implicit-def: $vgpr3
	s_and_saveexec_b64 s[24:25], vcc
	s_xor_b64 s[24:25], exec, s[24:25]
	s_cbranch_execz .LBB174_994
; %bb.989:
	s_mov_b32 s26, 0x3c7fffff
	v_cmp_lt_u32_e32 vcc, s26, v2
                                        ; implicit-def: $vgpr3
	s_and_saveexec_b64 s[26:27], vcc
	s_xor_b64 s[26:27], exec, s[26:27]
; %bb.990:
	v_bfe_u32 v3, v2, 20, 1
	s_mov_b32 s28, 0x407ffff
	v_add3_u32 v2, v2, v3, s28
	v_lshrrev_b32_e32 v3, 20, v2
	v_and_b32_e32 v2, 0xff00000, v2
	s_mov_b32 s28, 0x7f00000
	v_mov_b32_e32 v4, 0x7e
	v_cmp_ne_u32_e32 vcc, s28, v2
	v_cndmask_b32_e32 v3, v4, v3, vcc
                                        ; implicit-def: $vgpr2
; %bb.991:
	s_andn2_saveexec_b64 s[26:27], s[26:27]
; %bb.992:
	v_add_f32_e32 v3, 0x46800000, v2
; %bb.993:
	s_or_b64 exec, exec, s[26:27]
                                        ; implicit-def: $vgpr2
.LBB174_994:
	s_andn2_saveexec_b64 s[24:25], s[24:25]
; %bb.995:
	s_mov_b32 s26, 0x7f800000
	v_mov_b32_e32 v3, 0x7e
	v_mov_b32_e32 v4, 0x7f
	v_cmp_lt_u32_e32 vcc, s26, v2
	v_cndmask_b32_e32 v3, v3, v4, vcc
; %bb.996:
	s_or_b64 exec, exec, s[24:25]
	global_store_byte v[0:1], v3, off
.LBB174_997:
	s_mov_b64 s[24:25], 0
.LBB174_998:
	s_andn2_b64 vcc, exec, s[24:25]
	s_cbranch_vccnz .LBB174_1008
; %bb.999:
	v_cndmask_b32_e64 v2, 0, 1.0, s[18:19]
	s_mov_b32 s24, 0x47800000
	v_cmp_gt_u32_e32 vcc, s24, v2
                                        ; implicit-def: $vgpr3
	s_and_saveexec_b64 s[24:25], vcc
	s_xor_b64 s[24:25], exec, s[24:25]
	s_cbranch_execz .LBB174_1005
; %bb.1000:
	s_mov_b32 s26, 0x387fffff
	v_cmp_lt_u32_e32 vcc, s26, v2
                                        ; implicit-def: $vgpr3
	s_and_saveexec_b64 s[26:27], vcc
	s_xor_b64 s[26:27], exec, s[26:27]
; %bb.1001:
	v_bfe_u32 v3, v2, 21, 1
	s_mov_b32 s28, 0x80fffff
	v_add3_u32 v2, v2, v3, s28
	v_lshrrev_b32_e32 v3, 21, v2
                                        ; implicit-def: $vgpr2
; %bb.1002:
	s_andn2_saveexec_b64 s[26:27], s[26:27]
; %bb.1003:
	v_add_f32_e32 v3, 0x43000000, v2
; %bb.1004:
	s_or_b64 exec, exec, s[26:27]
                                        ; implicit-def: $vgpr2
.LBB174_1005:
	s_andn2_saveexec_b64 s[24:25], s[24:25]
; %bb.1006:
	s_mov_b32 s26, 0x7f800000
	v_mov_b32_e32 v3, 0x7c
	v_mov_b32_e32 v4, 0x7f
	v_cmp_lt_u32_e32 vcc, s26, v2
	v_cndmask_b32_e32 v3, v3, v4, vcc
; %bb.1007:
	s_or_b64 exec, exec, s[24:25]
	global_store_byte v[0:1], v3, off
.LBB174_1008:
	s_mov_b64 s[24:25], 0
.LBB174_1009:
	s_andn2_b64 vcc, exec, s[24:25]
	s_mov_b64 s[26:27], 0
	s_cbranch_vccnz .LBB174_1022
; %bb.1010:
	s_cmp_gt_i32 s31, 14
	s_mov_b64 s[24:25], -1
	s_cbranch_scc0 .LBB174_1014
; %bb.1011:
	s_cmp_eq_u32 s31, 15
	s_mov_b64 s[0:1], -1
	s_cbranch_scc0 .LBB174_1013
; %bb.1012:
	v_cndmask_b32_e64 v2, 0, 1.0, s[18:19]
	v_bfe_u32 v3, v2, 16, 1
	s_movk_i32 s0, 0x7fff
	v_add3_u32 v2, v2, v3, s0
	global_store_short_d16_hi v[0:1], v2, off
	s_mov_b64 s[0:1], 0
.LBB174_1013:
	s_mov_b64 s[24:25], 0
.LBB174_1014:
	s_and_b64 vcc, exec, s[24:25]
	s_cbranch_vccz .LBB174_1022
; %bb.1015:
	s_cmp_lg_u32 s31, 11
	s_cselect_b64 s[24:25], -1, 0
	s_andn2_b64 s[0:1], s[0:1], exec
	s_and_b64 s[24:25], s[24:25], exec
	s_mov_b64 s[26:27], -1
	s_or_b64 s[0:1], s[0:1], s[24:25]
	s_branch .LBB174_1022
.LBB174_1016:
	s_or_b64 exec, exec, s[22:23]
	s_and_saveexec_b64 s[0:1], s[16:17]
	s_cbranch_execnz .LBB174_1023
.LBB174_1017:
	s_or_b64 exec, exec, s[0:1]
	s_and_saveexec_b64 s[0:1], s[26:27]
	s_xor_b64 s[0:1], exec, s[0:1]
	s_cbranch_execz .LBB174_1024
.LBB174_1018:
	v_cndmask_b32_e64 v2, 0, 1, s[18:19]
	global_store_byte v[0:1], v2, off
	s_or_b64 exec, exec, s[0:1]
	s_and_saveexec_b64 s[0:1], s[24:25]
	s_xor_b64 s[0:1], exec, s[0:1]
	s_cbranch_execz .LBB174_1062
	s_branch .LBB174_1025
.LBB174_1019:
	s_mov_b64 s[6:7], -1
	s_mov_b64 s[0:1], s[16:17]
	s_branch .LBB174_1022
.LBB174_1020:
                                        ; implicit-def: $sgpr18_sgpr19
	s_branch .LBB174_941
.LBB174_1021:
	s_mov_b64 s[26:27], 0
.LBB174_1022:
	s_and_b64 s[24:25], s[6:7], exec
	s_andn2_b64 s[6:7], s[16:17], exec
	s_and_b64 s[0:1], s[0:1], exec
	s_and_b64 s[26:27], s[26:27], exec
	s_or_b64 s[16:17], s[6:7], s[0:1]
	s_or_b64 exec, exec, s[22:23]
	s_and_saveexec_b64 s[0:1], s[16:17]
	s_cbranch_execz .LBB174_1017
.LBB174_1023:
	s_or_b64 s[20:21], s[20:21], exec
	s_andn2_b64 s[26:27], s[26:27], exec
	s_trap 2
	s_or_b64 exec, exec, s[0:1]
	s_and_saveexec_b64 s[0:1], s[26:27]
	s_xor_b64 s[0:1], exec, s[0:1]
	s_cbranch_execnz .LBB174_1018
.LBB174_1024:
	s_or_b64 exec, exec, s[0:1]
	s_and_saveexec_b64 s[0:1], s[24:25]
	s_xor_b64 s[0:1], exec, s[0:1]
	s_cbranch_execz .LBB174_1062
.LBB174_1025:
	s_sext_i32_i16 s16, s30
	s_cmp_lt_i32 s16, 5
	s_mov_b64 s[6:7], -1
	s_cbranch_scc1 .LBB174_1046
; %bb.1026:
	s_cmp_lt_i32 s16, 8
	s_cbranch_scc1 .LBB174_1036
; %bb.1027:
	s_cmp_lt_i32 s16, 9
	s_cbranch_scc1 .LBB174_1033
; %bb.1028:
	s_cmp_gt_i32 s16, 9
	s_cbranch_scc0 .LBB174_1030
; %bb.1029:
	v_cndmask_b32_e64 v2, 0, 1, s[18:19]
	s_waitcnt vmcnt(0)
	v_cvt_f64_u32_e32 v[2:3], v2
	v_mov_b32_e32 v4, 0
	v_mov_b32_e32 v5, v4
	s_mov_b64 s[6:7], 0
	global_store_dwordx4 v[0:1], v[2:5], off
.LBB174_1030:
	s_andn2_b64 vcc, exec, s[6:7]
	s_cbranch_vccnz .LBB174_1032
; %bb.1031:
	v_cndmask_b32_e64 v2, 0, 1.0, s[18:19]
	s_waitcnt vmcnt(0)
	v_mov_b32_e32 v3, 0
	global_store_dwordx2 v[0:1], v[2:3], off
.LBB174_1032:
	s_mov_b64 s[6:7], 0
.LBB174_1033:
	s_andn2_b64 vcc, exec, s[6:7]
	s_cbranch_vccnz .LBB174_1035
; %bb.1034:
	v_cndmask_b32_e64 v2, 0, 1.0, s[18:19]
	v_cvt_f16_f32_e32 v2, v2
	global_store_dword v[0:1], v2, off
.LBB174_1035:
	s_mov_b64 s[6:7], 0
.LBB174_1036:
	s_andn2_b64 vcc, exec, s[6:7]
	s_cbranch_vccnz .LBB174_1045
; %bb.1037:
	s_sext_i32_i16 s16, s30
	s_cmp_lt_i32 s16, 6
	s_mov_b64 s[6:7], -1
	s_cbranch_scc1 .LBB174_1043
; %bb.1038:
	s_cmp_gt_i32 s16, 6
	s_cbranch_scc0 .LBB174_1040
; %bb.1039:
	v_cndmask_b32_e64 v2, 0, 1, s[18:19]
	s_waitcnt vmcnt(0)
	v_cvt_f64_u32_e32 v[2:3], v2
	s_mov_b64 s[6:7], 0
	global_store_dwordx2 v[0:1], v[2:3], off
.LBB174_1040:
	s_andn2_b64 vcc, exec, s[6:7]
	s_cbranch_vccnz .LBB174_1042
; %bb.1041:
	v_cndmask_b32_e64 v2, 0, 1.0, s[18:19]
	global_store_dword v[0:1], v2, off
.LBB174_1042:
	s_mov_b64 s[6:7], 0
.LBB174_1043:
	s_andn2_b64 vcc, exec, s[6:7]
	s_cbranch_vccnz .LBB174_1045
; %bb.1044:
	v_cndmask_b32_e64 v2, 0, 1.0, s[18:19]
	v_cvt_f16_f32_e32 v2, v2
	global_store_short v[0:1], v2, off
.LBB174_1045:
	s_mov_b64 s[6:7], 0
.LBB174_1046:
	s_andn2_b64 vcc, exec, s[6:7]
	s_cbranch_vccnz .LBB174_1062
; %bb.1047:
	s_sext_i32_i16 s16, s30
	s_cmp_lt_i32 s16, 2
	s_mov_b64 s[6:7], -1
	s_cbranch_scc1 .LBB174_1057
; %bb.1048:
	s_cmp_lt_i32 s16, 3
	s_cbranch_scc1 .LBB174_1054
; %bb.1049:
	s_cmp_gt_i32 s16, 3
	s_cbranch_scc0 .LBB174_1051
; %bb.1050:
	s_mov_b32 s6, 0
	v_cndmask_b32_e64 v2, 0, 1, s[18:19]
	s_waitcnt vmcnt(0)
	v_mov_b32_e32 v3, s6
	s_mov_b64 s[6:7], 0
	global_store_dwordx2 v[0:1], v[2:3], off
.LBB174_1051:
	s_andn2_b64 vcc, exec, s[6:7]
	s_cbranch_vccnz .LBB174_1053
; %bb.1052:
	v_cndmask_b32_e64 v2, 0, 1, s[18:19]
	global_store_dword v[0:1], v2, off
.LBB174_1053:
	s_mov_b64 s[6:7], 0
.LBB174_1054:
	s_andn2_b64 vcc, exec, s[6:7]
	s_cbranch_vccnz .LBB174_1056
; %bb.1055:
	v_cndmask_b32_e64 v2, 0, 1, s[18:19]
	global_store_short v[0:1], v2, off
.LBB174_1056:
	s_mov_b64 s[6:7], 0
.LBB174_1057:
	s_andn2_b64 vcc, exec, s[6:7]
	s_cbranch_vccnz .LBB174_1062
; %bb.1058:
	s_sext_i32_i16 s16, s30
	s_mov_b64 s[6:7], -1
	s_cmp_gt_i32 s16, 0
	v_cndmask_b32_e64 v2, 0, 1, s[18:19]
	s_cbranch_scc0 .LBB174_1060
; %bb.1059:
	s_mov_b64 s[6:7], 0
	global_store_byte v[0:1], v2, off
.LBB174_1060:
	s_andn2_b64 vcc, exec, s[6:7]
	s_cbranch_vccnz .LBB174_1062
; %bb.1061:
	global_store_byte v[0:1], v2, off
.LBB174_1062:
	s_or_b64 exec, exec, s[0:1]
	s_and_b64 s[6:7], s[20:21], exec
                                        ; implicit-def: $vgpr2
.LBB174_1063:
	s_or_saveexec_b64 s[4:5], s[4:5]
	s_mov_b64 s[0:1], 0
                                        ; implicit-def: $sgpr22_sgpr23
                                        ; implicit-def: $sgpr28
                                        ; implicit-def: $vgpr0_vgpr1
	s_xor_b64 exec, exec, s[4:5]
	s_cbranch_execz .LBB174_1613
; %bb.1064:
	s_waitcnt vmcnt(0)
	v_mul_lo_u32 v3, s13, v2
	v_mov_b32_e32 v1, s11
	s_and_b32 s30, 0xffff, s46
	s_cmp_lt_i32 s30, 11
	v_ashrrev_i32_e32 v4, 31, v3
	v_add_co_u32_e32 v0, vcc, s10, v3
	v_addc_co_u32_e32 v1, vcc, v1, v4, vcc
	s_cbranch_scc1 .LBB174_1071
; %bb.1065:
	s_cmp_gt_i32 s30, 25
	s_cbranch_scc0 .LBB174_1073
; %bb.1066:
	s_cmp_gt_i32 s30, 28
	s_cbranch_scc0 .LBB174_1074
	;; [unrolled: 3-line block ×4, first 2 shown]
; %bb.1069:
	s_cmp_eq_u32 s30, 46
	s_mov_b64 s[16:17], 0
	s_cbranch_scc0 .LBB174_1079
; %bb.1070:
	global_load_dword v4, v[0:1], off
	s_mov_b64 s[18:19], -1
	s_waitcnt vmcnt(0)
	v_and_b32_e32 v5, 0xffff0000, v4
	s_branch .LBB174_1080
.LBB174_1071:
	s_mov_b64 s[18:19], 0
                                        ; implicit-def: $vgpr5
                                        ; implicit-def: $vgpr4
	s_mov_b64 s[16:17], s[6:7]
	s_cbranch_execnz .LBB174_1146
.LBB174_1072:
	s_andn2_b64 vcc, exec, s[18:19]
	s_cbranch_vccz .LBB174_1193
	s_branch .LBB174_1610
.LBB174_1073:
	s_mov_b64 s[18:19], 0
                                        ; implicit-def: $vgpr5
                                        ; implicit-def: $vgpr4
	s_cbranch_execnz .LBB174_1110
	s_branch .LBB174_1142
.LBB174_1074:
	s_mov_b64 s[18:19], 0
                                        ; implicit-def: $vgpr5
                                        ; implicit-def: $vgpr4
	s_cbranch_execnz .LBB174_1092
	s_branch .LBB174_1109
.LBB174_1075:
	s_mov_b64 s[16:17], -1
	s_mov_b64 s[18:19], 0
                                        ; implicit-def: $vgpr5
                                        ; implicit-def: $vgpr4
	s_branch .LBB174_1086
.LBB174_1076:
	s_mov_b64 s[16:17], -1
	s_mov_b64 s[18:19], 0
                                        ; implicit-def: $vgpr5
                                        ; implicit-def: $vgpr4
	s_branch .LBB174_1080
.LBB174_1077:
	s_andn2_saveexec_b64 s[26:27], s[26:27]
	s_cbranch_execz .LBB174_971
.LBB174_1078:
	v_add_f32_e32 v2, 0x46000000, v3
	v_and_b32_e32 v2, 0xff, v2
	v_cmp_ne_u32_e32 vcc, 0, v2
	s_andn2_b64 s[24:25], s[24:25], exec
	s_and_b64 s[28:29], vcc, exec
	s_or_b64 s[24:25], s[24:25], s[28:29]
	s_or_b64 exec, exec, s[26:27]
	v_mov_b32_e32 v4, 0
	s_and_saveexec_b64 s[26:27], s[24:25]
	s_cbranch_execnz .LBB174_972
	s_branch .LBB174_973
.LBB174_1079:
	s_mov_b64 s[0:1], -1
                                        ; implicit-def: $vgpr5
                                        ; implicit-def: $vgpr4
	s_mov_b64 s[18:19], 0
.LBB174_1080:
	s_and_b64 vcc, exec, s[16:17]
	s_cbranch_vccz .LBB174_1085
; %bb.1081:
	s_cmp_eq_u32 s30, 44
	s_cbranch_scc0 .LBB174_1083
; %bb.1082:
	global_load_ubyte v4, v[0:1], off
	s_movk_i32 s16, 0xff
	v_mov_b32_e32 v5, 0x7f800001
	v_mov_b32_e32 v6, 0x400000
	v_mov_b32_e32 v7, 0x7fc0
	s_mov_b64 s[0:1], 0
	s_mov_b64 s[18:19], -1
	s_waitcnt vmcnt(0)
	v_lshlrev_b32_e32 v8, 23, v4
	v_cmp_ne_u32_e32 vcc, s16, v4
	v_cndmask_b32_e32 v5, v5, v8, vcc
	v_cmp_ne_u32_e32 vcc, 0, v4
	v_cndmask_b32_e32 v4, v6, v5, vcc
	v_add_u32_e32 v5, 0x7fff, v4
	v_cmp_o_f32_e32 vcc, v4, v4
	v_cndmask_b32_sdwa v4, v7, v5, vcc dst_sel:DWORD dst_unused:UNUSED_PAD src0_sel:DWORD src1_sel:WORD_1
	s_branch .LBB174_1084
.LBB174_1083:
	s_mov_b64 s[0:1], -1
                                        ; implicit-def: $vgpr4
.LBB174_1084:
	v_mov_b32_e32 v5, 0
.LBB174_1085:
	s_mov_b64 s[16:17], 0
.LBB174_1086:
	s_and_b64 vcc, exec, s[16:17]
	s_cbranch_vccz .LBB174_1091
; %bb.1087:
	s_cmp_eq_u32 s30, 29
	s_cbranch_scc0 .LBB174_1089
; %bb.1088:
	global_load_dwordx2 v[4:5], v[0:1], off
	s_movk_i32 s16, 0x7fff
	s_mov_b64 s[0:1], 0
	s_mov_b64 s[18:19], -1
	s_waitcnt vmcnt(0)
	v_ffbh_u32_e32 v6, v5
	v_min_u32_e32 v6, 32, v6
	v_lshlrev_b64 v[4:5], v6, v[4:5]
	v_min_u32_e32 v4, 1, v4
	v_or_b32_e32 v4, v5, v4
	v_cvt_f32_u32_e32 v4, v4
	v_sub_u32_e32 v5, 32, v6
	v_ldexp_f32 v4, v4, v5
	v_bfe_u32 v5, v4, 16, 1
	v_add3_u32 v4, v4, v5, s16
	v_lshrrev_b32_e32 v4, 16, v4
	s_branch .LBB174_1090
.LBB174_1089:
	s_mov_b64 s[0:1], -1
                                        ; implicit-def: $vgpr4
.LBB174_1090:
	v_mov_b32_e32 v5, 0
.LBB174_1091:
	s_branch .LBB174_1109
.LBB174_1092:
	s_cmp_lt_i32 s30, 27
	s_cbranch_scc1 .LBB174_1095
; %bb.1093:
	s_cmp_gt_i32 s30, 27
	s_cbranch_scc0 .LBB174_1096
; %bb.1094:
	global_load_dword v4, v[0:1], off
	s_movk_i32 s16, 0x7fff
	s_waitcnt vmcnt(0)
	v_cvt_f32_u32_e32 v4, v4
	v_bfe_u32 v5, v4, 16, 1
	v_add3_u32 v4, v4, v5, s16
	v_lshrrev_b32_e32 v4, 16, v4
	s_mov_b64 s[16:17], 0
	s_branch .LBB174_1097
.LBB174_1095:
	s_mov_b64 s[16:17], -1
                                        ; implicit-def: $vgpr4
	s_branch .LBB174_1100
.LBB174_1096:
	s_mov_b64 s[16:17], -1
                                        ; implicit-def: $vgpr4
.LBB174_1097:
	s_andn2_b64 vcc, exec, s[16:17]
	s_cbranch_vccnz .LBB174_1099
; %bb.1098:
	global_load_ushort v4, v[0:1], off
	s_movk_i32 s16, 0x7fff
	s_waitcnt vmcnt(0)
	v_cvt_f32_u32_e32 v4, v4
	v_bfe_u32 v5, v4, 16, 1
	v_add3_u32 v4, v4, v5, s16
	v_lshrrev_b32_e32 v4, 16, v4
.LBB174_1099:
	s_mov_b64 s[16:17], 0
.LBB174_1100:
	s_andn2_b64 vcc, exec, s[16:17]
	s_cbranch_vccnz .LBB174_1108
; %bb.1101:
	global_load_ubyte v4, v[0:1], off
	s_movk_i32 s16, 0x7f
	s_waitcnt vmcnt(0)
	v_cmp_lt_i16_e32 vcc, s16, v4
	s_mov_b64 s[16:17], 0
	s_and_saveexec_b64 s[18:19], vcc
	s_xor_b64 s[18:19], exec, s[18:19]
	s_cbranch_execz .LBB174_1121
; %bb.1102:
	s_movk_i32 s16, 0x80
	v_cmp_eq_u16_e32 vcc, s16, v4
	s_mov_b64 s[16:17], -1
	s_and_saveexec_b64 s[20:21], vcc
; %bb.1103:
	s_xor_b64 s[16:17], exec, -1
; %bb.1104:
	s_or_b64 exec, exec, s[20:21]
	s_and_b64 s[16:17], s[16:17], exec
	s_or_saveexec_b64 s[18:19], s[18:19]
	v_mov_b32_e32 v5, 0x7f800001
	s_xor_b64 exec, exec, s[18:19]
	s_cbranch_execnz .LBB174_1122
.LBB174_1105:
	s_or_b64 exec, exec, s[18:19]
	s_and_saveexec_b64 s[18:19], s[16:17]
	s_cbranch_execz .LBB174_1107
.LBB174_1106:
	v_lshlrev_b32_e32 v5, 24, v4
	v_and_b32_e32 v4, 0xffff, v4
	v_and_b32_e32 v6, 7, v4
	v_ffbh_u32_e32 v8, v6
	v_min_u32_e32 v8, 32, v8
	v_subrev_u32_e32 v9, 28, v8
	v_bfe_u32 v7, v4, 3, 4
	v_lshlrev_b32_e32 v4, v9, v4
	v_sub_u32_e32 v8, 29, v8
	v_and_b32_e32 v4, 7, v4
	v_cmp_eq_u32_e32 vcc, 0, v7
	v_cndmask_b32_e32 v7, v7, v8, vcc
	v_cndmask_b32_e32 v4, v6, v4, vcc
	v_mov_b32_e32 v6, 0x3b800000
	v_lshlrev_b32_e32 v4, 20, v4
	v_and_b32_e32 v5, 0x80000000, v5
	v_lshl_add_u32 v6, v7, 23, v6
	v_or3_b32 v5, v5, v6, v4
.LBB174_1107:
	s_or_b64 exec, exec, s[18:19]
	v_bfe_u32 v4, v5, 16, 1
	s_movk_i32 s16, 0x7fff
	v_add3_u32 v4, v5, v4, s16
	v_cmp_o_f32_e32 vcc, v5, v5
	v_mov_b32_e32 v5, 0x7fc0
	v_cndmask_b32_sdwa v4, v5, v4, vcc dst_sel:DWORD dst_unused:UNUSED_PAD src0_sel:DWORD src1_sel:WORD_1
.LBB174_1108:
	s_mov_b64 s[18:19], -1
	v_mov_b32_e32 v5, 0
.LBB174_1109:
	s_branch .LBB174_1142
.LBB174_1110:
	s_cmp_gt_i32 s30, 22
	s_cbranch_scc0 .LBB174_1120
; %bb.1111:
	s_cmp_lt_i32 s30, 24
	s_cbranch_scc1 .LBB174_1123
; %bb.1112:
	s_cmp_gt_i32 s30, 24
	s_cbranch_scc0 .LBB174_1124
; %bb.1113:
	global_load_ubyte v4, v[0:1], off
	s_movk_i32 s2, 0x7f
	s_waitcnt vmcnt(0)
	v_cmp_lt_i16_e32 vcc, s2, v4
	s_mov_b64 s[2:3], 0
	s_and_saveexec_b64 s[16:17], vcc
	s_xor_b64 s[16:17], exec, s[16:17]
	s_cbranch_execz .LBB174_1135
; %bb.1114:
	s_movk_i32 s2, 0x80
	v_cmp_eq_u16_e32 vcc, s2, v4
	s_mov_b64 s[2:3], -1
	s_and_saveexec_b64 s[18:19], vcc
; %bb.1115:
	s_xor_b64 s[2:3], exec, -1
; %bb.1116:
	s_or_b64 exec, exec, s[18:19]
	s_and_b64 s[2:3], s[2:3], exec
	s_or_saveexec_b64 s[16:17], s[16:17]
	v_mov_b32_e32 v5, 0x7f800001
	s_xor_b64 exec, exec, s[16:17]
	s_cbranch_execnz .LBB174_1136
.LBB174_1117:
	s_or_b64 exec, exec, s[16:17]
	s_and_saveexec_b64 s[16:17], s[2:3]
	s_cbranch_execz .LBB174_1119
.LBB174_1118:
	v_lshlrev_b32_e32 v5, 24, v4
	v_and_b32_e32 v4, 0xffff, v4
	v_and_b32_e32 v6, 3, v4
	v_ffbh_u32_e32 v8, v6
	v_min_u32_e32 v8, 32, v8
	v_subrev_u32_e32 v9, 29, v8
	v_bfe_u32 v7, v4, 2, 5
	v_lshlrev_b32_e32 v4, v9, v4
	v_sub_u32_e32 v8, 30, v8
	v_and_b32_e32 v4, 3, v4
	v_cmp_eq_u32_e32 vcc, 0, v7
	v_cndmask_b32_e32 v7, v7, v8, vcc
	v_cndmask_b32_e32 v4, v6, v4, vcc
	v_mov_b32_e32 v6, 0x37800000
	v_lshlrev_b32_e32 v4, 21, v4
	v_and_b32_e32 v5, 0x80000000, v5
	v_lshl_add_u32 v6, v7, 23, v6
	v_or3_b32 v5, v5, v6, v4
.LBB174_1119:
	s_or_b64 exec, exec, s[16:17]
	v_bfe_u32 v4, v5, 16, 1
	s_movk_i32 s2, 0x7fff
	v_add3_u32 v4, v5, v4, s2
	v_cmp_o_f32_e32 vcc, v5, v5
	v_mov_b32_e32 v5, 0x7fc0
	v_cndmask_b32_sdwa v4, v5, v4, vcc dst_sel:DWORD dst_unused:UNUSED_PAD src0_sel:DWORD src1_sel:WORD_1
	s_mov_b64 s[2:3], 0
	s_branch .LBB174_1125
.LBB174_1120:
                                        ; implicit-def: $vgpr4
	s_mov_b64 s[2:3], 0
	s_branch .LBB174_1131
.LBB174_1121:
	s_or_saveexec_b64 s[18:19], s[18:19]
	v_mov_b32_e32 v5, 0x7f800001
	s_xor_b64 exec, exec, s[18:19]
	s_cbranch_execz .LBB174_1105
.LBB174_1122:
	v_cmp_ne_u16_e32 vcc, 0, v4
	s_andn2_b64 s[16:17], s[16:17], exec
	s_and_b64 s[20:21], vcc, exec
	v_mov_b32_e32 v5, 0
	s_or_b64 s[16:17], s[16:17], s[20:21]
	s_or_b64 exec, exec, s[18:19]
	s_and_saveexec_b64 s[18:19], s[16:17]
	s_cbranch_execnz .LBB174_1106
	s_branch .LBB174_1107
.LBB174_1123:
	s_mov_b64 s[2:3], -1
                                        ; implicit-def: $vgpr4
	s_branch .LBB174_1128
.LBB174_1124:
	s_mov_b64 s[2:3], -1
                                        ; implicit-def: $vgpr4
.LBB174_1125:
	s_and_b64 vcc, exec, s[2:3]
	s_cbranch_vccz .LBB174_1127
; %bb.1126:
	global_load_ubyte v4, v[0:1], off
	s_mov_b32 s2, 0x7f800000
	s_brev_b32 s3, 1
	s_movk_i32 s16, 0x7fff
	s_waitcnt vmcnt(0)
	v_lshlrev_b32_e32 v4, 24, v4
	v_and_b32_e32 v5, 0x7f000000, v4
	v_ffbh_u32_e32 v6, v5
	v_min_u32_e32 v6, 32, v6
	v_sub_u32_e64 v6, v6, 4 clamp
	v_lshlrev_b32_e32 v8, v6, v5
	v_lshlrev_b32_e32 v6, 23, v6
	v_lshrrev_b32_e32 v8, 4, v8
	v_add_u32_e32 v7, 0x1000000, v5
	v_sub_u32_e32 v6, v8, v6
	v_ashrrev_i32_e32 v7, 8, v7
	v_add_u32_e32 v6, 0x3c000000, v6
	v_and_or_b32 v6, v7, s2, v6
	v_cmp_ne_u32_e32 vcc, 0, v5
	v_cndmask_b32_e32 v5, 0, v6, vcc
	v_and_or_b32 v4, v4, s3, v5
	v_bfe_u32 v5, v5, 16, 1
	v_add3_u32 v5, v4, v5, s16
	v_cmp_o_f32_e32 vcc, v4, v4
	v_mov_b32_e32 v4, 0x7fc0
	v_cndmask_b32_sdwa v4, v4, v5, vcc dst_sel:DWORD dst_unused:UNUSED_PAD src0_sel:DWORD src1_sel:WORD_1
.LBB174_1127:
	s_mov_b64 s[2:3], 0
.LBB174_1128:
	s_andn2_b64 vcc, exec, s[2:3]
	s_cbranch_vccnz .LBB174_1130
; %bb.1129:
	global_load_ubyte v4, v[0:1], off
	s_movk_i32 s2, 0x7f00
	s_brev_b32 s3, 16
	s_brev_b32 s16, 1
	s_movk_i32 s17, 0x7fff
	s_waitcnt vmcnt(0)
	v_lshlrev_b16_e32 v5, 8, v4
	v_lshlrev_b32_e32 v4, 25, v4
	v_lshrrev_b32_e32 v6, 4, v4
	v_and_or_b32 v7, v5, s2, 0.5
	v_or_b32_e32 v6, 0x70000000, v6
	v_add_f32_e32 v7, -0.5, v7
	v_mul_f32_e32 v6, 0x7800000, v6
	v_cmp_gt_u32_e32 vcc, s3, v4
	v_bfe_i32 v5, v5, 0, 16
	v_cndmask_b32_e32 v4, v6, v7, vcc
	v_and_or_b32 v5, v5, s16, v4
	v_bfe_u32 v4, v4, 16, 1
	v_add3_u32 v4, v5, v4, s17
	v_cmp_o_f32_e32 vcc, v5, v5
	v_mov_b32_e32 v5, 0x7fc0
	v_cndmask_b32_sdwa v4, v5, v4, vcc dst_sel:DWORD dst_unused:UNUSED_PAD src0_sel:DWORD src1_sel:WORD_1
.LBB174_1130:
	s_mov_b64 s[18:19], -1
	s_mov_b64 s[2:3], 0
	s_cbranch_execnz .LBB174_1141
.LBB174_1131:
	s_cmp_gt_i32 s30, 14
	s_cbranch_scc0 .LBB174_1134
; %bb.1132:
	s_cmp_eq_u32 s30, 15
	s_cbranch_scc0 .LBB174_1137
; %bb.1133:
	global_load_ushort v4, v[0:1], off
	s_mov_b64 s[0:1], 0
	s_mov_b64 s[18:19], -1
	s_branch .LBB174_1138
.LBB174_1134:
	s_mov_b64 s[16:17], -1
                                        ; implicit-def: $vgpr4
	s_branch .LBB174_1139
.LBB174_1135:
	s_or_saveexec_b64 s[16:17], s[16:17]
	v_mov_b32_e32 v5, 0x7f800001
	s_xor_b64 exec, exec, s[16:17]
	s_cbranch_execz .LBB174_1117
.LBB174_1136:
	v_cmp_ne_u16_e32 vcc, 0, v4
	s_andn2_b64 s[2:3], s[2:3], exec
	s_and_b64 s[18:19], vcc, exec
	v_mov_b32_e32 v5, 0
	s_or_b64 s[2:3], s[2:3], s[18:19]
	s_or_b64 exec, exec, s[16:17]
	s_and_saveexec_b64 s[16:17], s[2:3]
	s_cbranch_execnz .LBB174_1118
	s_branch .LBB174_1119
.LBB174_1137:
	s_mov_b64 s[0:1], -1
                                        ; implicit-def: $vgpr4
.LBB174_1138:
	s_mov_b64 s[16:17], 0
.LBB174_1139:
	s_and_b64 vcc, exec, s[16:17]
	s_cbranch_vccz .LBB174_1141
; %bb.1140:
	s_cmp_lg_u32 s30, 11
	s_mov_b64 s[2:3], -1
	s_cselect_b64 s[0:1], -1, 0
.LBB174_1141:
	v_mov_b32_e32 v5, 0
.LBB174_1142:
	s_and_b64 vcc, exec, s[0:1]
	s_mov_b64 s[16:17], s[6:7]
	s_cbranch_vccnz .LBB174_1209
; %bb.1143:
	s_andn2_b64 vcc, exec, s[2:3]
	s_cbranch_vccnz .LBB174_1145
.LBB174_1144:
	global_load_ubyte v4, v[0:1], off
	s_mov_b64 s[18:19], -1
	v_mov_b32_e32 v5, 0
	s_waitcnt vmcnt(0)
	v_cmp_ne_u16_e32 vcc, 0, v4
	v_cndmask_b32_e64 v4, 0, 1.0, vcc
	v_lshrrev_b32_e32 v4, 16, v4
.LBB174_1145:
	s_branch .LBB174_1072
.LBB174_1146:
	s_cmp_lt_i32 s30, 5
	s_cbranch_scc1 .LBB174_1151
; %bb.1147:
	s_cmp_lt_i32 s30, 8
	s_cbranch_scc1 .LBB174_1153
; %bb.1148:
	;; [unrolled: 3-line block ×3, first 2 shown]
	s_cmp_gt_i32 s30, 9
	s_cbranch_scc0 .LBB174_1155
; %bb.1150:
	global_load_dwordx4 v[4:7], v[0:1], off
	s_movk_i32 s0, 0x7fff
	s_waitcnt vmcnt(0)
	v_cvt_f32_f64_e32 v4, v[4:5]
	v_cvt_f32_f64_e32 v5, v[6:7]
	v_mov_b32_e32 v6, 0x7fc0
	v_mov_b32_e32 v7, 0x7fc00000
	v_bfe_u32 v8, v4, 16, 1
	v_bfe_u32 v9, v5, 16, 1
	v_cmp_o_f32_e32 vcc, v4, v4
	v_add3_u32 v4, v4, v8, s0
	v_add3_u32 v8, v5, v9, s0
	v_cndmask_b32_sdwa v4, v6, v4, vcc dst_sel:DWORD dst_unused:UNUSED_PAD src0_sel:DWORD src1_sel:WORD_1
	v_and_b32_e32 v6, 0xffff0000, v8
	v_cmp_o_f32_e32 vcc, v5, v5
	v_cndmask_b32_e32 v5, v7, v6, vcc
	s_mov_b64 s[0:1], 0
	s_branch .LBB174_1156
.LBB174_1151:
                                        ; implicit-def: $vgpr5
                                        ; implicit-def: $vgpr4
	s_branch .LBB174_1174
.LBB174_1152:
	s_branch .LBB174_1193
.LBB174_1153:
                                        ; implicit-def: $vgpr5
                                        ; implicit-def: $vgpr4
	s_branch .LBB174_1162
.LBB174_1154:
	s_mov_b64 s[0:1], -1
                                        ; implicit-def: $vgpr5
                                        ; implicit-def: $vgpr4
	s_branch .LBB174_1159
.LBB174_1155:
	s_mov_b64 s[0:1], -1
                                        ; implicit-def: $vgpr5
                                        ; implicit-def: $vgpr4
.LBB174_1156:
	s_andn2_b64 vcc, exec, s[0:1]
	s_cbranch_vccnz .LBB174_1158
; %bb.1157:
	global_load_dwordx2 v[4:5], v[0:1], off
	s_movk_i32 s0, 0x7fff
	v_mov_b32_e32 v6, 0x7fc0
	v_mov_b32_e32 v7, 0x7fc00000
	s_waitcnt vmcnt(0)
	v_bfe_u32 v8, v4, 16, 1
	v_bfe_u32 v9, v5, 16, 1
	v_cmp_o_f32_e32 vcc, v4, v4
	v_add3_u32 v4, v4, v8, s0
	v_add3_u32 v8, v5, v9, s0
	v_cndmask_b32_sdwa v4, v6, v4, vcc dst_sel:DWORD dst_unused:UNUSED_PAD src0_sel:DWORD src1_sel:WORD_1
	v_and_b32_e32 v6, 0xffff0000, v8
	v_cmp_o_f32_e32 vcc, v5, v5
	v_cndmask_b32_e32 v5, v7, v6, vcc
.LBB174_1158:
	s_mov_b64 s[0:1], 0
.LBB174_1159:
	s_andn2_b64 vcc, exec, s[0:1]
	s_cbranch_vccnz .LBB174_1161
; %bb.1160:
	global_load_dword v5, v[0:1], off
	s_movk_i32 s0, 0x7fff
	s_waitcnt vmcnt(1)
	v_mov_b32_e32 v4, 0x7fc0
	v_mov_b32_e32 v8, 0x7fc00000
	s_waitcnt vmcnt(0)
	v_cvt_f32_f16_e32 v6, v5
	v_cvt_f32_f16_sdwa v7, v5 dst_sel:DWORD dst_unused:UNUSED_PAD src0_sel:WORD_1
	v_cmp_o_f16_e32 vcc, v5, v5
	v_bfe_u32 v9, v6, 16, 1
	v_bfe_u32 v10, v7, 16, 1
	v_add3_u32 v6, v6, v9, s0
	v_add3_u32 v7, v7, v10, s0
	v_cndmask_b32_sdwa v4, v4, v6, vcc dst_sel:DWORD dst_unused:UNUSED_PAD src0_sel:DWORD src1_sel:WORD_1
	v_and_b32_e32 v6, 0xffff0000, v7
	v_cmp_o_f16_sdwa vcc, v5, v5 src0_sel:WORD_1 src1_sel:WORD_1
	v_cndmask_b32_e32 v5, v8, v6, vcc
.LBB174_1161:
	s_cbranch_execnz .LBB174_1173
.LBB174_1162:
	s_cmp_lt_i32 s30, 6
	s_cbranch_scc1 .LBB174_1165
; %bb.1163:
	s_cmp_gt_i32 s30, 6
	s_cbranch_scc0 .LBB174_1166
; %bb.1164:
	global_load_dwordx2 v[4:5], v[0:1], off
	s_movk_i32 s0, 0x7fff
	s_waitcnt vmcnt(0)
	v_cvt_f32_f64_e32 v4, v[4:5]
	v_mov_b32_e32 v5, 0x7fc0
	v_bfe_u32 v6, v4, 16, 1
	v_cmp_o_f32_e32 vcc, v4, v4
	v_add3_u32 v4, v4, v6, s0
	v_cndmask_b32_sdwa v4, v5, v4, vcc dst_sel:DWORD dst_unused:UNUSED_PAD src0_sel:DWORD src1_sel:WORD_1
	s_mov_b64 s[0:1], 0
	s_branch .LBB174_1167
.LBB174_1165:
	s_mov_b64 s[0:1], -1
                                        ; implicit-def: $vgpr4
	s_branch .LBB174_1170
.LBB174_1166:
	s_mov_b64 s[0:1], -1
                                        ; implicit-def: $vgpr4
.LBB174_1167:
	s_andn2_b64 vcc, exec, s[0:1]
	s_cbranch_vccnz .LBB174_1169
; %bb.1168:
	global_load_dword v4, v[0:1], off
	s_movk_i32 s0, 0x7fff
	v_mov_b32_e32 v5, 0x7fc0
	s_waitcnt vmcnt(0)
	v_bfe_u32 v6, v4, 16, 1
	v_cmp_o_f32_e32 vcc, v4, v4
	v_add3_u32 v4, v4, v6, s0
	v_cndmask_b32_sdwa v4, v5, v4, vcc dst_sel:DWORD dst_unused:UNUSED_PAD src0_sel:DWORD src1_sel:WORD_1
.LBB174_1169:
	s_mov_b64 s[0:1], 0
.LBB174_1170:
	s_andn2_b64 vcc, exec, s[0:1]
	s_cbranch_vccnz .LBB174_1172
; %bb.1171:
	global_load_ushort v4, v[0:1], off
	s_movk_i32 s0, 0x7fff
	v_mov_b32_e32 v6, 0x7fc0
	s_waitcnt vmcnt(0)
	v_cvt_f32_f16_e32 v5, v4
	v_cmp_o_f16_e32 vcc, v4, v4
	v_bfe_u32 v4, v5, 16, 1
	v_add3_u32 v4, v5, v4, s0
	v_cndmask_b32_sdwa v4, v6, v4, vcc dst_sel:DWORD dst_unused:UNUSED_PAD src0_sel:DWORD src1_sel:WORD_1
.LBB174_1172:
	v_mov_b32_e32 v5, 0
.LBB174_1173:
	s_cbranch_execnz .LBB174_1152
.LBB174_1174:
	s_cmp_lt_i32 s30, 2
	s_cbranch_scc1 .LBB174_1178
; %bb.1175:
	s_cmp_lt_i32 s30, 3
	s_cbranch_scc1 .LBB174_1179
; %bb.1176:
	s_cmp_gt_i32 s30, 3
	s_cbranch_scc0 .LBB174_1180
; %bb.1177:
	global_load_dwordx2 v[4:5], v[0:1], off
	s_movk_i32 s0, 0x7fff
	s_waitcnt vmcnt(0)
	v_xor_b32_e32 v7, v4, v5
	v_ffbh_i32_e32 v6, v5
	v_ashrrev_i32_e32 v7, 31, v7
	v_add_u32_e32 v6, -1, v6
	v_add_u32_e32 v7, 32, v7
	v_min_u32_e32 v6, v6, v7
	v_lshlrev_b64 v[4:5], v6, v[4:5]
	v_min_u32_e32 v4, 1, v4
	v_or_b32_e32 v4, v5, v4
	v_cvt_f32_i32_e32 v4, v4
	v_sub_u32_e32 v5, 32, v6
	v_ldexp_f32 v4, v4, v5
	v_bfe_u32 v5, v4, 16, 1
	v_add3_u32 v4, v4, v5, s0
	v_lshrrev_b32_e32 v4, 16, v4
	s_mov_b64 s[0:1], 0
	s_branch .LBB174_1181
.LBB174_1178:
                                        ; implicit-def: $vgpr4
	s_branch .LBB174_1187
.LBB174_1179:
	s_mov_b64 s[0:1], -1
                                        ; implicit-def: $vgpr4
	s_branch .LBB174_1184
.LBB174_1180:
	s_mov_b64 s[0:1], -1
                                        ; implicit-def: $vgpr4
.LBB174_1181:
	s_andn2_b64 vcc, exec, s[0:1]
	s_cbranch_vccnz .LBB174_1183
; %bb.1182:
	global_load_dword v4, v[0:1], off
	s_movk_i32 s0, 0x7fff
	s_waitcnt vmcnt(0)
	v_cvt_f32_i32_e32 v4, v4
	v_bfe_u32 v5, v4, 16, 1
	v_add3_u32 v4, v4, v5, s0
	v_lshrrev_b32_e32 v4, 16, v4
.LBB174_1183:
	s_mov_b64 s[0:1], 0
.LBB174_1184:
	s_andn2_b64 vcc, exec, s[0:1]
	s_cbranch_vccnz .LBB174_1186
; %bb.1185:
	global_load_sshort v4, v[0:1], off
	s_movk_i32 s0, 0x7fff
	s_waitcnt vmcnt(0)
	v_cvt_f32_i32_e32 v4, v4
	v_bfe_u32 v5, v4, 16, 1
	v_add3_u32 v4, v4, v5, s0
	v_lshrrev_b32_e32 v4, 16, v4
.LBB174_1186:
	s_cbranch_execnz .LBB174_1192
.LBB174_1187:
	s_cmp_gt_i32 s30, 0
	s_cbranch_scc0 .LBB174_1189
; %bb.1188:
	global_load_sbyte v4, v[0:1], off
	s_movk_i32 s0, 0x7fff
	s_waitcnt vmcnt(0)
	v_cvt_f32_i32_e32 v4, v4
	v_bfe_u32 v5, v4, 16, 1
	v_add3_u32 v4, v4, v5, s0
	v_lshrrev_b32_e32 v4, 16, v4
	s_mov_b64 s[0:1], 0
	s_branch .LBB174_1190
.LBB174_1189:
	s_mov_b64 s[0:1], -1
                                        ; implicit-def: $vgpr4
.LBB174_1190:
	s_andn2_b64 vcc, exec, s[0:1]
	s_cbranch_vccnz .LBB174_1192
; %bb.1191:
	global_load_ubyte v0, v[0:1], off
	s_movk_i32 s0, 0x7fff
	s_waitcnt vmcnt(0)
	v_cvt_f32_ubyte0_e32 v0, v0
	v_bfe_u32 v1, v0, 16, 1
	v_add3_u32 v0, v0, v1, s0
	v_lshrrev_b32_e32 v4, 16, v0
.LBB174_1192:
	v_mov_b32_e32 v5, 0
.LBB174_1193:
	s_cmp_lg_u32 s14, 0
	s_waitcnt vmcnt(0)
	v_or_b32_sdwa v0, v5, v4 dst_sel:DWORD dst_unused:UNUSED_PAD src0_sel:DWORD src1_sel:WORD_0
	s_cselect_b64 s[22:23], -1, 0
	s_and_b64 vcc, exec, s[22:23]
	v_lshlrev_b32_e32 v0, 16, v0
	s_cbranch_vccz .LBB174_1205
; %bb.1194:
	s_lshl_b32 s0, s15, 16
	v_cmp_neq_f32_e32 vcc, s0, v0
	s_and_b32 s0, s15, 0xffff0000
	v_and_b32_e32 v1, 0xffff0000, v5
	v_cmp_neq_f32_e64 s[0:1], s0, v1
	s_or_b64 s[2:3], vcc, s[0:1]
	s_cbranch_execnz .LBB174_1196
.LBB174_1195:
	v_and_b32_e32 v1, 0xffff0000, v5
	s_and_b32 s0, s15, 0xffff0000
	s_lshl_b32 s1, s15, 16
	v_cmp_eq_f32_e32 vcc, s1, v0
	v_cmp_eq_f32_e64 s[0:1], s0, v1
	s_and_b64 s[0:1], vcc, s[0:1]
	s_andn2_b64 s[2:3], s[2:3], exec
	s_and_b64 s[0:1], s[0:1], exec
	s_or_b64 s[2:3], s[2:3], s[0:1]
.LBB174_1196:
	s_lshl_b32 s13, s13, 7
	v_add_u32_e32 v3, s13, v3
	v_ashrrev_i32_e32 v1, 31, v3
	v_mov_b32_e32 v4, s11
	v_add_co_u32_e32 v0, vcc, s10, v3
	s_cmp_lt_i32 s30, 11
	v_addc_co_u32_e32 v1, vcc, v4, v1, vcc
	s_cbranch_scc1 .LBB174_1203
; %bb.1197:
	s_cmp_gt_i32 s30, 25
	s_mov_b64 s[18:19], 0
	s_cbranch_scc0 .LBB174_1206
; %bb.1198:
	s_cmp_gt_i32 s30, 28
	s_cbranch_scc0 .LBB174_1207
; %bb.1199:
	s_cmp_gt_i32 s30, 43
	;; [unrolled: 3-line block ×3, first 2 shown]
	s_cbranch_scc0 .LBB174_1210
; %bb.1201:
	s_cmp_eq_u32 s30, 46
	s_mov_b64 s[24:25], 0
	s_cbranch_scc0 .LBB174_1213
; %bb.1202:
	global_load_dword v4, v[0:1], off
	s_mov_b64 s[0:1], 0
	s_mov_b64 s[20:21], -1
	s_waitcnt vmcnt(0)
	v_and_b32_e32 v5, 0xffff0000, v4
	s_branch .LBB174_1214
.LBB174_1203:
	s_mov_b64 s[20:21], 0
                                        ; implicit-def: $vgpr5
                                        ; implicit-def: $vgpr4
	s_cbranch_execnz .LBB174_1282
.LBB174_1204:
	s_andn2_b64 vcc, exec, s[20:21]
	s_cbranch_vccnz .LBB174_1610
	s_branch .LBB174_1331
.LBB174_1205:
                                        ; implicit-def: $sgpr2_sgpr3
	s_branch .LBB174_1195
.LBB174_1206:
	s_mov_b64 s[20:21], 0
	s_mov_b64 s[0:1], 0
                                        ; implicit-def: $vgpr5
                                        ; implicit-def: $vgpr4
	s_cbranch_execnz .LBB174_1245
	s_branch .LBB174_1278
.LBB174_1207:
	s_mov_b64 s[24:25], -1
	s_mov_b64 s[20:21], 0
	s_mov_b64 s[0:1], 0
                                        ; implicit-def: $vgpr5
                                        ; implicit-def: $vgpr4
	s_branch .LBB174_1226
.LBB174_1208:
	s_mov_b64 s[24:25], -1
	s_mov_b64 s[20:21], 0
	s_mov_b64 s[0:1], 0
                                        ; implicit-def: $vgpr5
                                        ; implicit-def: $vgpr4
	s_branch .LBB174_1220
.LBB174_1209:
	s_trap 2
	s_or_b64 s[16:17], s[6:7], exec
	s_cbranch_execz .LBB174_1144
	s_branch .LBB174_1145
.LBB174_1210:
	s_mov_b64 s[24:25], -1
	s_mov_b64 s[20:21], 0
	s_mov_b64 s[0:1], 0
                                        ; implicit-def: $vgpr5
                                        ; implicit-def: $vgpr4
	s_branch .LBB174_1214
.LBB174_1211:
	s_andn2_saveexec_b64 s[28:29], s[28:29]
	s_cbranch_execz .LBB174_983
.LBB174_1212:
	v_add_f32_e32 v2, 0x42800000, v3
	v_and_b32_e32 v2, 0xff, v2
	v_cmp_ne_u32_e32 vcc, 0, v2
	s_andn2_b64 s[26:27], s[26:27], exec
	s_and_b64 s[34:35], vcc, exec
	s_or_b64 s[26:27], s[26:27], s[34:35]
	s_or_b64 exec, exec, s[28:29]
	v_mov_b32_e32 v4, 0
	s_and_saveexec_b64 s[28:29], s[26:27]
	s_cbranch_execnz .LBB174_984
	s_branch .LBB174_985
.LBB174_1213:
	s_mov_b64 s[0:1], -1
                                        ; implicit-def: $vgpr5
                                        ; implicit-def: $vgpr4
	s_mov_b64 s[20:21], 0
.LBB174_1214:
	s_and_b64 vcc, exec, s[24:25]
	s_cbranch_vccz .LBB174_1219
; %bb.1215:
	s_cmp_eq_u32 s30, 44
	s_cbranch_scc0 .LBB174_1217
; %bb.1216:
	global_load_ubyte v4, v[0:1], off
	s_movk_i32 s14, 0xff
	v_mov_b32_e32 v5, 0x7f800001
	v_mov_b32_e32 v6, 0x400000
	v_mov_b32_e32 v7, 0x7fc0
	s_mov_b64 s[0:1], 0
	s_mov_b64 s[20:21], -1
	s_waitcnt vmcnt(0)
	v_lshlrev_b32_e32 v8, 23, v4
	v_cmp_ne_u32_e32 vcc, s14, v4
	v_cndmask_b32_e32 v5, v5, v8, vcc
	v_cmp_ne_u32_e32 vcc, 0, v4
	v_cndmask_b32_e32 v4, v6, v5, vcc
	v_add_u32_e32 v5, 0x7fff, v4
	v_cmp_o_f32_e32 vcc, v4, v4
	v_cndmask_b32_sdwa v4, v7, v5, vcc dst_sel:DWORD dst_unused:UNUSED_PAD src0_sel:DWORD src1_sel:WORD_1
	s_branch .LBB174_1218
.LBB174_1217:
	s_mov_b64 s[0:1], -1
                                        ; implicit-def: $vgpr4
.LBB174_1218:
	v_mov_b32_e32 v5, 0
.LBB174_1219:
	s_mov_b64 s[24:25], 0
.LBB174_1220:
	s_and_b64 vcc, exec, s[24:25]
	s_cbranch_vccz .LBB174_1225
; %bb.1221:
	s_cmp_eq_u32 s30, 29
	s_cbranch_scc0 .LBB174_1223
; %bb.1222:
	global_load_dwordx2 v[4:5], v[0:1], off
	s_movk_i32 s14, 0x7fff
	s_mov_b64 s[0:1], 0
	s_mov_b64 s[20:21], -1
	s_waitcnt vmcnt(0)
	v_ffbh_u32_e32 v6, v5
	v_min_u32_e32 v6, 32, v6
	v_lshlrev_b64 v[4:5], v6, v[4:5]
	v_min_u32_e32 v4, 1, v4
	v_or_b32_e32 v4, v5, v4
	v_cvt_f32_u32_e32 v4, v4
	v_sub_u32_e32 v5, 32, v6
	v_ldexp_f32 v4, v4, v5
	v_bfe_u32 v5, v4, 16, 1
	v_add3_u32 v4, v4, v5, s14
	v_lshrrev_b32_e32 v4, 16, v4
	s_branch .LBB174_1224
.LBB174_1223:
	s_mov_b64 s[0:1], -1
                                        ; implicit-def: $vgpr4
.LBB174_1224:
	v_mov_b32_e32 v5, 0
.LBB174_1225:
	s_mov_b64 s[24:25], 0
.LBB174_1226:
	s_and_b64 vcc, exec, s[24:25]
	s_cbranch_vccz .LBB174_1244
; %bb.1227:
	s_cmp_lt_i32 s30, 27
	s_cbranch_scc1 .LBB174_1230
; %bb.1228:
	s_cmp_gt_i32 s30, 27
	s_cbranch_scc0 .LBB174_1231
; %bb.1229:
	global_load_dword v4, v[0:1], off
	s_movk_i32 s14, 0x7fff
	s_mov_b64 s[20:21], 0
	s_waitcnt vmcnt(0)
	v_cvt_f32_u32_e32 v4, v4
	v_bfe_u32 v5, v4, 16, 1
	v_add3_u32 v4, v4, v5, s14
	v_lshrrev_b32_e32 v4, 16, v4
	s_branch .LBB174_1232
.LBB174_1230:
	s_mov_b64 s[20:21], -1
                                        ; implicit-def: $vgpr4
	s_branch .LBB174_1235
.LBB174_1231:
	s_mov_b64 s[20:21], -1
                                        ; implicit-def: $vgpr4
.LBB174_1232:
	s_andn2_b64 vcc, exec, s[20:21]
	s_cbranch_vccnz .LBB174_1234
; %bb.1233:
	global_load_ushort v4, v[0:1], off
	s_movk_i32 s14, 0x7fff
	s_waitcnt vmcnt(0)
	v_cvt_f32_u32_e32 v4, v4
	v_bfe_u32 v5, v4, 16, 1
	v_add3_u32 v4, v4, v5, s14
	v_lshrrev_b32_e32 v4, 16, v4
.LBB174_1234:
	s_mov_b64 s[20:21], 0
.LBB174_1235:
	s_andn2_b64 vcc, exec, s[20:21]
	s_cbranch_vccnz .LBB174_1243
; %bb.1236:
	global_load_ubyte v4, v[0:1], off
	s_movk_i32 s14, 0x7f
	s_mov_b64 s[20:21], 0
	s_waitcnt vmcnt(0)
	v_cmp_lt_i16_e32 vcc, s14, v4
	s_and_saveexec_b64 s[24:25], vcc
	s_xor_b64 s[24:25], exec, s[24:25]
	s_cbranch_execz .LBB174_1256
; %bb.1237:
	s_movk_i32 s14, 0x80
	v_cmp_eq_u16_e32 vcc, s14, v4
	s_mov_b64 s[20:21], -1
	s_and_saveexec_b64 s[26:27], vcc
; %bb.1238:
	s_xor_b64 s[20:21], exec, -1
; %bb.1239:
	s_or_b64 exec, exec, s[26:27]
	s_and_b64 s[20:21], s[20:21], exec
	s_or_saveexec_b64 s[24:25], s[24:25]
	v_mov_b32_e32 v5, 0x7f800001
	s_xor_b64 exec, exec, s[24:25]
	s_cbranch_execnz .LBB174_1257
.LBB174_1240:
	s_or_b64 exec, exec, s[24:25]
	s_and_saveexec_b64 s[24:25], s[20:21]
	s_cbranch_execz .LBB174_1242
.LBB174_1241:
	v_lshlrev_b32_e32 v5, 24, v4
	v_and_b32_e32 v4, 0xffff, v4
	v_and_b32_e32 v6, 7, v4
	v_ffbh_u32_e32 v8, v6
	v_min_u32_e32 v8, 32, v8
	v_subrev_u32_e32 v9, 28, v8
	v_bfe_u32 v7, v4, 3, 4
	v_lshlrev_b32_e32 v4, v9, v4
	v_sub_u32_e32 v8, 29, v8
	v_and_b32_e32 v4, 7, v4
	v_cmp_eq_u32_e32 vcc, 0, v7
	v_cndmask_b32_e32 v7, v7, v8, vcc
	v_cndmask_b32_e32 v4, v6, v4, vcc
	v_mov_b32_e32 v6, 0x3b800000
	v_lshlrev_b32_e32 v4, 20, v4
	v_and_b32_e32 v5, 0x80000000, v5
	v_lshl_add_u32 v6, v7, 23, v6
	v_or3_b32 v5, v5, v6, v4
.LBB174_1242:
	s_or_b64 exec, exec, s[24:25]
	v_bfe_u32 v4, v5, 16, 1
	s_movk_i32 s14, 0x7fff
	v_add3_u32 v4, v5, v4, s14
	v_cmp_o_f32_e32 vcc, v5, v5
	v_mov_b32_e32 v5, 0x7fc0
	v_cndmask_b32_sdwa v4, v5, v4, vcc dst_sel:DWORD dst_unused:UNUSED_PAD src0_sel:DWORD src1_sel:WORD_1
.LBB174_1243:
	s_mov_b64 s[20:21], -1
	v_mov_b32_e32 v5, 0
.LBB174_1244:
	s_branch .LBB174_1278
.LBB174_1245:
	s_cmp_gt_i32 s30, 22
	s_cbranch_scc0 .LBB174_1255
; %bb.1246:
	s_cmp_lt_i32 s30, 24
	s_cbranch_scc1 .LBB174_1258
; %bb.1247:
	s_cmp_gt_i32 s30, 24
	s_cbranch_scc0 .LBB174_1259
; %bb.1248:
	global_load_ubyte v4, v[0:1], off
	s_movk_i32 s14, 0x7f
	s_waitcnt vmcnt(0)
	v_cmp_lt_i16_e32 vcc, s14, v4
	s_and_saveexec_b64 s[20:21], vcc
	s_xor_b64 s[20:21], exec, s[20:21]
	s_cbranch_execz .LBB174_1271
; %bb.1249:
	s_movk_i32 s14, 0x80
	v_cmp_eq_u16_e32 vcc, s14, v4
	s_mov_b64 s[18:19], -1
	s_and_saveexec_b64 s[24:25], vcc
; %bb.1250:
	s_xor_b64 s[18:19], exec, -1
; %bb.1251:
	s_or_b64 exec, exec, s[24:25]
	s_and_b64 s[18:19], s[18:19], exec
	s_or_saveexec_b64 s[20:21], s[20:21]
	v_mov_b32_e32 v5, 0x7f800001
	s_xor_b64 exec, exec, s[20:21]
	s_cbranch_execnz .LBB174_1272
.LBB174_1252:
	s_or_b64 exec, exec, s[20:21]
	s_and_saveexec_b64 s[20:21], s[18:19]
	s_cbranch_execz .LBB174_1254
.LBB174_1253:
	v_lshlrev_b32_e32 v5, 24, v4
	v_and_b32_e32 v4, 0xffff, v4
	v_and_b32_e32 v6, 3, v4
	v_ffbh_u32_e32 v8, v6
	v_min_u32_e32 v8, 32, v8
	v_subrev_u32_e32 v9, 29, v8
	v_bfe_u32 v7, v4, 2, 5
	v_lshlrev_b32_e32 v4, v9, v4
	v_sub_u32_e32 v8, 30, v8
	v_and_b32_e32 v4, 3, v4
	v_cmp_eq_u32_e32 vcc, 0, v7
	v_cndmask_b32_e32 v7, v7, v8, vcc
	v_cndmask_b32_e32 v4, v6, v4, vcc
	v_mov_b32_e32 v6, 0x37800000
	v_lshlrev_b32_e32 v4, 21, v4
	v_and_b32_e32 v5, 0x80000000, v5
	v_lshl_add_u32 v6, v7, 23, v6
	v_or3_b32 v5, v5, v6, v4
.LBB174_1254:
	s_or_b64 exec, exec, s[20:21]
	v_bfe_u32 v4, v5, 16, 1
	s_movk_i32 s14, 0x7fff
	v_add3_u32 v4, v5, v4, s14
	v_cmp_o_f32_e32 vcc, v5, v5
	v_mov_b32_e32 v5, 0x7fc0
	v_cndmask_b32_sdwa v4, v5, v4, vcc dst_sel:DWORD dst_unused:UNUSED_PAD src0_sel:DWORD src1_sel:WORD_1
	s_mov_b64 s[18:19], 0
	s_branch .LBB174_1260
.LBB174_1255:
	s_mov_b64 s[18:19], -1
                                        ; implicit-def: $vgpr4
	s_branch .LBB174_1266
.LBB174_1256:
	s_or_saveexec_b64 s[24:25], s[24:25]
	v_mov_b32_e32 v5, 0x7f800001
	s_xor_b64 exec, exec, s[24:25]
	s_cbranch_execz .LBB174_1240
.LBB174_1257:
	v_cmp_ne_u16_e32 vcc, 0, v4
	s_andn2_b64 s[20:21], s[20:21], exec
	s_and_b64 s[26:27], vcc, exec
	v_mov_b32_e32 v5, 0
	s_or_b64 s[20:21], s[20:21], s[26:27]
	s_or_b64 exec, exec, s[24:25]
	s_and_saveexec_b64 s[24:25], s[20:21]
	s_cbranch_execnz .LBB174_1241
	s_branch .LBB174_1242
.LBB174_1258:
	s_mov_b64 s[18:19], -1
                                        ; implicit-def: $vgpr4
	s_branch .LBB174_1263
.LBB174_1259:
	s_mov_b64 s[18:19], -1
                                        ; implicit-def: $vgpr4
.LBB174_1260:
	s_and_b64 vcc, exec, s[18:19]
	s_cbranch_vccz .LBB174_1262
; %bb.1261:
	global_load_ubyte v4, v[0:1], off
	s_mov_b32 s14, 0x7f800000
	s_brev_b32 s18, 1
	s_movk_i32 s19, 0x7fff
	s_waitcnt vmcnt(0)
	v_lshlrev_b32_e32 v4, 24, v4
	v_and_b32_e32 v5, 0x7f000000, v4
	v_ffbh_u32_e32 v6, v5
	v_min_u32_e32 v6, 32, v6
	v_sub_u32_e64 v6, v6, 4 clamp
	v_lshlrev_b32_e32 v8, v6, v5
	v_lshlrev_b32_e32 v6, 23, v6
	v_lshrrev_b32_e32 v8, 4, v8
	v_add_u32_e32 v7, 0x1000000, v5
	v_sub_u32_e32 v6, v8, v6
	v_ashrrev_i32_e32 v7, 8, v7
	v_add_u32_e32 v6, 0x3c000000, v6
	v_and_or_b32 v6, v7, s14, v6
	v_cmp_ne_u32_e32 vcc, 0, v5
	v_cndmask_b32_e32 v5, 0, v6, vcc
	v_and_or_b32 v4, v4, s18, v5
	v_bfe_u32 v5, v5, 16, 1
	v_add3_u32 v5, v4, v5, s19
	v_cmp_o_f32_e32 vcc, v4, v4
	v_mov_b32_e32 v4, 0x7fc0
	v_cndmask_b32_sdwa v4, v4, v5, vcc dst_sel:DWORD dst_unused:UNUSED_PAD src0_sel:DWORD src1_sel:WORD_1
.LBB174_1262:
	s_mov_b64 s[18:19], 0
.LBB174_1263:
	s_andn2_b64 vcc, exec, s[18:19]
	s_cbranch_vccnz .LBB174_1265
; %bb.1264:
	global_load_ubyte v4, v[0:1], off
	s_movk_i32 s14, 0x7f00
	s_brev_b32 s18, 16
	s_brev_b32 s19, 1
	s_movk_i32 s20, 0x7fff
	s_waitcnt vmcnt(0)
	v_lshlrev_b16_e32 v5, 8, v4
	v_lshlrev_b32_e32 v4, 25, v4
	v_lshrrev_b32_e32 v6, 4, v4
	v_and_or_b32 v7, v5, s14, 0.5
	v_or_b32_e32 v6, 0x70000000, v6
	v_add_f32_e32 v7, -0.5, v7
	v_mul_f32_e32 v6, 0x7800000, v6
	v_cmp_gt_u32_e32 vcc, s18, v4
	v_bfe_i32 v5, v5, 0, 16
	v_cndmask_b32_e32 v4, v6, v7, vcc
	v_and_or_b32 v5, v5, s19, v4
	v_bfe_u32 v4, v4, 16, 1
	v_add3_u32 v4, v5, v4, s20
	v_cmp_o_f32_e32 vcc, v5, v5
	v_mov_b32_e32 v5, 0x7fc0
	v_cndmask_b32_sdwa v4, v5, v4, vcc dst_sel:DWORD dst_unused:UNUSED_PAD src0_sel:DWORD src1_sel:WORD_1
.LBB174_1265:
	s_mov_b64 s[18:19], 0
	s_mov_b64 s[20:21], -1
.LBB174_1266:
	s_andn2_b64 vcc, exec, s[18:19]
	s_mov_b64 s[18:19], 0
	s_cbranch_vccnz .LBB174_1277
; %bb.1267:
	s_cmp_gt_i32 s30, 14
	s_cbranch_scc0 .LBB174_1270
; %bb.1268:
	s_cmp_eq_u32 s30, 15
	s_cbranch_scc0 .LBB174_1273
; %bb.1269:
	global_load_ushort v4, v[0:1], off
	s_mov_b64 s[0:1], 0
	s_mov_b64 s[20:21], -1
	s_branch .LBB174_1274
.LBB174_1270:
	s_mov_b64 s[24:25], -1
                                        ; implicit-def: $vgpr4
	s_branch .LBB174_1275
.LBB174_1271:
	s_or_saveexec_b64 s[20:21], s[20:21]
	v_mov_b32_e32 v5, 0x7f800001
	s_xor_b64 exec, exec, s[20:21]
	s_cbranch_execz .LBB174_1252
.LBB174_1272:
	v_cmp_ne_u16_e32 vcc, 0, v4
	s_andn2_b64 s[18:19], s[18:19], exec
	s_and_b64 s[24:25], vcc, exec
	v_mov_b32_e32 v5, 0
	s_or_b64 s[18:19], s[18:19], s[24:25]
	s_or_b64 exec, exec, s[20:21]
	s_and_saveexec_b64 s[20:21], s[18:19]
	s_cbranch_execnz .LBB174_1253
	s_branch .LBB174_1254
.LBB174_1273:
	s_mov_b64 s[0:1], -1
                                        ; implicit-def: $vgpr4
.LBB174_1274:
	s_mov_b64 s[24:25], 0
.LBB174_1275:
	s_and_b64 vcc, exec, s[24:25]
	s_cbranch_vccz .LBB174_1277
; %bb.1276:
	s_cmp_lg_u32 s30, 11
	s_mov_b64 s[18:19], -1
	s_cselect_b64 s[0:1], -1, 0
.LBB174_1277:
	v_mov_b32_e32 v5, 0
.LBB174_1278:
	s_and_b64 vcc, exec, s[0:1]
	s_cbranch_vccnz .LBB174_1359
; %bb.1279:
	s_andn2_b64 vcc, exec, s[18:19]
	s_cbranch_vccnz .LBB174_1281
.LBB174_1280:
	global_load_ubyte v4, v[0:1], off
	s_mov_b64 s[20:21], -1
	v_mov_b32_e32 v5, 0
	s_waitcnt vmcnt(0)
	v_cmp_ne_u16_e32 vcc, 0, v4
	v_cndmask_b32_e64 v4, 0, 1.0, vcc
	v_lshrrev_b32_e32 v4, 16, v4
.LBB174_1281:
	s_branch .LBB174_1204
.LBB174_1282:
	s_cmp_lt_i32 s30, 5
	s_cbranch_scc1 .LBB174_1287
; %bb.1283:
	s_cmp_lt_i32 s30, 8
	s_cbranch_scc1 .LBB174_1289
; %bb.1284:
	;; [unrolled: 3-line block ×3, first 2 shown]
	s_cmp_gt_i32 s30, 9
	s_cbranch_scc0 .LBB174_1291
; %bb.1286:
	global_load_dwordx4 v[4:7], v[0:1], off
	s_movk_i32 s0, 0x7fff
	s_waitcnt vmcnt(0)
	v_cvt_f32_f64_e32 v4, v[4:5]
	v_cvt_f32_f64_e32 v5, v[6:7]
	v_mov_b32_e32 v6, 0x7fc0
	v_mov_b32_e32 v7, 0x7fc00000
	v_bfe_u32 v8, v4, 16, 1
	v_bfe_u32 v9, v5, 16, 1
	v_cmp_o_f32_e32 vcc, v4, v4
	v_add3_u32 v4, v4, v8, s0
	v_add3_u32 v8, v5, v9, s0
	v_cndmask_b32_sdwa v4, v6, v4, vcc dst_sel:DWORD dst_unused:UNUSED_PAD src0_sel:DWORD src1_sel:WORD_1
	v_and_b32_e32 v6, 0xffff0000, v8
	v_cmp_o_f32_e32 vcc, v5, v5
	v_cndmask_b32_e32 v5, v7, v6, vcc
	s_mov_b64 s[0:1], 0
	s_branch .LBB174_1292
.LBB174_1287:
                                        ; implicit-def: $vgpr5
                                        ; implicit-def: $vgpr4
	s_branch .LBB174_1311
.LBB174_1288:
	s_branch .LBB174_1331
.LBB174_1289:
	s_mov_b64 s[0:1], -1
                                        ; implicit-def: $vgpr5
                                        ; implicit-def: $vgpr4
	s_branch .LBB174_1298
.LBB174_1290:
	s_mov_b64 s[0:1], -1
                                        ; implicit-def: $vgpr5
                                        ; implicit-def: $vgpr4
	s_branch .LBB174_1295
.LBB174_1291:
	s_mov_b64 s[0:1], -1
                                        ; implicit-def: $vgpr5
                                        ; implicit-def: $vgpr4
.LBB174_1292:
	s_andn2_b64 vcc, exec, s[0:1]
	s_cbranch_vccnz .LBB174_1294
; %bb.1293:
	global_load_dwordx2 v[4:5], v[0:1], off
	s_movk_i32 s0, 0x7fff
	v_mov_b32_e32 v6, 0x7fc0
	v_mov_b32_e32 v7, 0x7fc00000
	s_waitcnt vmcnt(0)
	v_bfe_u32 v8, v4, 16, 1
	v_bfe_u32 v9, v5, 16, 1
	v_cmp_o_f32_e32 vcc, v4, v4
	v_add3_u32 v4, v4, v8, s0
	v_add3_u32 v8, v5, v9, s0
	v_cndmask_b32_sdwa v4, v6, v4, vcc dst_sel:DWORD dst_unused:UNUSED_PAD src0_sel:DWORD src1_sel:WORD_1
	v_and_b32_e32 v6, 0xffff0000, v8
	v_cmp_o_f32_e32 vcc, v5, v5
	v_cndmask_b32_e32 v5, v7, v6, vcc
.LBB174_1294:
	s_mov_b64 s[0:1], 0
.LBB174_1295:
	s_andn2_b64 vcc, exec, s[0:1]
	s_cbranch_vccnz .LBB174_1297
; %bb.1296:
	global_load_dword v5, v[0:1], off
	s_movk_i32 s0, 0x7fff
	s_waitcnt vmcnt(1)
	v_mov_b32_e32 v4, 0x7fc0
	v_mov_b32_e32 v8, 0x7fc00000
	s_waitcnt vmcnt(0)
	v_cvt_f32_f16_e32 v6, v5
	v_cvt_f32_f16_sdwa v7, v5 dst_sel:DWORD dst_unused:UNUSED_PAD src0_sel:WORD_1
	v_cmp_o_f16_e32 vcc, v5, v5
	v_bfe_u32 v9, v6, 16, 1
	v_bfe_u32 v10, v7, 16, 1
	v_add3_u32 v6, v6, v9, s0
	v_add3_u32 v7, v7, v10, s0
	v_cndmask_b32_sdwa v4, v4, v6, vcc dst_sel:DWORD dst_unused:UNUSED_PAD src0_sel:DWORD src1_sel:WORD_1
	v_and_b32_e32 v6, 0xffff0000, v7
	v_cmp_o_f16_sdwa vcc, v5, v5 src0_sel:WORD_1 src1_sel:WORD_1
	v_cndmask_b32_e32 v5, v8, v6, vcc
.LBB174_1297:
	s_mov_b64 s[0:1], 0
.LBB174_1298:
	s_andn2_b64 vcc, exec, s[0:1]
	s_cbranch_vccnz .LBB174_1310
; %bb.1299:
	s_cmp_lt_i32 s30, 6
	s_cbranch_scc1 .LBB174_1302
; %bb.1300:
	s_cmp_gt_i32 s30, 6
	s_cbranch_scc0 .LBB174_1303
; %bb.1301:
	global_load_dwordx2 v[4:5], v[0:1], off
	s_movk_i32 s0, 0x7fff
	s_waitcnt vmcnt(0)
	v_cvt_f32_f64_e32 v4, v[4:5]
	v_mov_b32_e32 v5, 0x7fc0
	v_bfe_u32 v6, v4, 16, 1
	v_cmp_o_f32_e32 vcc, v4, v4
	v_add3_u32 v4, v4, v6, s0
	v_cndmask_b32_sdwa v4, v5, v4, vcc dst_sel:DWORD dst_unused:UNUSED_PAD src0_sel:DWORD src1_sel:WORD_1
	s_mov_b64 s[0:1], 0
	s_branch .LBB174_1304
.LBB174_1302:
	s_mov_b64 s[0:1], -1
                                        ; implicit-def: $vgpr4
	s_branch .LBB174_1307
.LBB174_1303:
	s_mov_b64 s[0:1], -1
                                        ; implicit-def: $vgpr4
.LBB174_1304:
	s_andn2_b64 vcc, exec, s[0:1]
	s_cbranch_vccnz .LBB174_1306
; %bb.1305:
	global_load_dword v4, v[0:1], off
	s_movk_i32 s0, 0x7fff
	v_mov_b32_e32 v5, 0x7fc0
	s_waitcnt vmcnt(0)
	v_bfe_u32 v6, v4, 16, 1
	v_cmp_o_f32_e32 vcc, v4, v4
	v_add3_u32 v4, v4, v6, s0
	v_cndmask_b32_sdwa v4, v5, v4, vcc dst_sel:DWORD dst_unused:UNUSED_PAD src0_sel:DWORD src1_sel:WORD_1
.LBB174_1306:
	s_mov_b64 s[0:1], 0
.LBB174_1307:
	s_andn2_b64 vcc, exec, s[0:1]
	s_cbranch_vccnz .LBB174_1309
; %bb.1308:
	global_load_ushort v4, v[0:1], off
	s_movk_i32 s0, 0x7fff
	v_mov_b32_e32 v6, 0x7fc0
	s_waitcnt vmcnt(0)
	v_cvt_f32_f16_e32 v5, v4
	v_cmp_o_f16_e32 vcc, v4, v4
	v_bfe_u32 v4, v5, 16, 1
	v_add3_u32 v4, v5, v4, s0
	v_cndmask_b32_sdwa v4, v6, v4, vcc dst_sel:DWORD dst_unused:UNUSED_PAD src0_sel:DWORD src1_sel:WORD_1
.LBB174_1309:
	v_mov_b32_e32 v5, 0
.LBB174_1310:
	s_cbranch_execnz .LBB174_1288
.LBB174_1311:
	s_cmp_lt_i32 s30, 2
	s_cbranch_scc1 .LBB174_1315
; %bb.1312:
	s_cmp_lt_i32 s30, 3
	s_cbranch_scc1 .LBB174_1316
; %bb.1313:
	s_cmp_gt_i32 s30, 3
	s_cbranch_scc0 .LBB174_1317
; %bb.1314:
	global_load_dwordx2 v[4:5], v[0:1], off
	s_movk_i32 s0, 0x7fff
	s_waitcnt vmcnt(0)
	v_xor_b32_e32 v7, v4, v5
	v_ffbh_i32_e32 v6, v5
	v_ashrrev_i32_e32 v7, 31, v7
	v_add_u32_e32 v6, -1, v6
	v_add_u32_e32 v7, 32, v7
	v_min_u32_e32 v6, v6, v7
	v_lshlrev_b64 v[4:5], v6, v[4:5]
	v_min_u32_e32 v4, 1, v4
	v_or_b32_e32 v4, v5, v4
	v_cvt_f32_i32_e32 v4, v4
	v_sub_u32_e32 v5, 32, v6
	v_ldexp_f32 v4, v4, v5
	v_bfe_u32 v5, v4, 16, 1
	v_add3_u32 v4, v4, v5, s0
	v_lshrrev_b32_e32 v4, 16, v4
	s_mov_b64 s[0:1], 0
	s_branch .LBB174_1318
.LBB174_1315:
	s_mov_b64 s[0:1], -1
                                        ; implicit-def: $vgpr4
	s_branch .LBB174_1324
.LBB174_1316:
	s_mov_b64 s[0:1], -1
                                        ; implicit-def: $vgpr4
	s_branch .LBB174_1321
.LBB174_1317:
	s_mov_b64 s[0:1], -1
                                        ; implicit-def: $vgpr4
.LBB174_1318:
	s_andn2_b64 vcc, exec, s[0:1]
	s_cbranch_vccnz .LBB174_1320
; %bb.1319:
	global_load_dword v4, v[0:1], off
	s_movk_i32 s0, 0x7fff
	s_waitcnt vmcnt(0)
	v_cvt_f32_i32_e32 v4, v4
	v_bfe_u32 v5, v4, 16, 1
	v_add3_u32 v4, v4, v5, s0
	v_lshrrev_b32_e32 v4, 16, v4
.LBB174_1320:
	s_mov_b64 s[0:1], 0
.LBB174_1321:
	s_andn2_b64 vcc, exec, s[0:1]
	s_cbranch_vccnz .LBB174_1323
; %bb.1322:
	global_load_sshort v4, v[0:1], off
	s_movk_i32 s0, 0x7fff
	s_waitcnt vmcnt(0)
	v_cvt_f32_i32_e32 v4, v4
	v_bfe_u32 v5, v4, 16, 1
	v_add3_u32 v4, v4, v5, s0
	v_lshrrev_b32_e32 v4, 16, v4
.LBB174_1323:
	s_mov_b64 s[0:1], 0
.LBB174_1324:
	s_andn2_b64 vcc, exec, s[0:1]
	s_cbranch_vccnz .LBB174_1330
; %bb.1325:
	s_cmp_gt_i32 s30, 0
	s_cbranch_scc0 .LBB174_1327
; %bb.1326:
	global_load_sbyte v4, v[0:1], off
	s_movk_i32 s0, 0x7fff
	s_waitcnt vmcnt(0)
	v_cvt_f32_i32_e32 v4, v4
	v_bfe_u32 v5, v4, 16, 1
	v_add3_u32 v4, v4, v5, s0
	v_lshrrev_b32_e32 v4, 16, v4
	s_mov_b64 s[0:1], 0
	s_branch .LBB174_1328
.LBB174_1327:
	s_mov_b64 s[0:1], -1
                                        ; implicit-def: $vgpr4
.LBB174_1328:
	s_andn2_b64 vcc, exec, s[0:1]
	s_cbranch_vccnz .LBB174_1330
; %bb.1329:
	global_load_ubyte v0, v[0:1], off
	s_movk_i32 s0, 0x7fff
	s_waitcnt vmcnt(0)
	v_cvt_f32_ubyte0_e32 v0, v0
	v_bfe_u32 v1, v0, 16, 1
	v_add3_u32 v0, v0, v1, s0
	v_lshrrev_b32_e32 v4, 16, v0
.LBB174_1330:
	v_mov_b32_e32 v5, 0
.LBB174_1331:
	s_waitcnt vmcnt(0)
	v_or_b32_sdwa v0, v5, v4 dst_sel:DWORD dst_unused:UNUSED_PAD src0_sel:DWORD src1_sel:WORD_0
	s_and_b64 vcc, exec, s[22:23]
	v_lshlrev_b32_e32 v0, 16, v0
	s_cbranch_vccz .LBB174_1343
; %bb.1332:
	s_lshl_b32 s0, s15, 16
	v_cmp_neq_f32_e32 vcc, s0, v0
	s_and_b32 s0, s15, 0xffff0000
	v_and_b32_e32 v1, 0xffff0000, v5
	v_cmp_neq_f32_e64 s[0:1], s0, v1
	s_or_b64 s[18:19], vcc, s[0:1]
	s_cbranch_execnz .LBB174_1334
.LBB174_1333:
	v_and_b32_e32 v1, 0xffff0000, v5
	s_and_b32 s0, s15, 0xffff0000
	s_lshl_b32 s1, s15, 16
	v_cmp_eq_f32_e32 vcc, s1, v0
	v_cmp_eq_f32_e64 s[0:1], s0, v1
	s_and_b64 s[0:1], vcc, s[0:1]
	s_andn2_b64 s[18:19], s[18:19], exec
	s_and_b64 s[0:1], s[0:1], exec
	s_or_b64 s[18:19], s[18:19], s[0:1]
.LBB174_1334:
	v_add_u32_e32 v3, s13, v3
	v_ashrrev_i32_e32 v1, 31, v3
	v_mov_b32_e32 v4, s11
	v_add_co_u32_e32 v0, vcc, s10, v3
	s_cmp_lt_i32 s30, 11
	v_addc_co_u32_e32 v1, vcc, v4, v1, vcc
	s_cbranch_scc1 .LBB174_1341
; %bb.1335:
	s_cmp_gt_i32 s30, 25
	s_mov_b64 s[20:21], 0
	s_cbranch_scc0 .LBB174_1344
; %bb.1336:
	s_cmp_gt_i32 s30, 28
	s_cbranch_scc0 .LBB174_1355
; %bb.1337:
	s_cmp_gt_i32 s30, 43
	;; [unrolled: 3-line block ×3, first 2 shown]
	s_cbranch_scc0 .LBB174_1360
; %bb.1339:
	s_cmp_eq_u32 s30, 46
	s_mov_b64 s[26:27], 0
	s_cbranch_scc0 .LBB174_1418
; %bb.1340:
	global_load_dword v4, v[0:1], off
	s_mov_b64 s[0:1], 0
	s_mov_b64 s[24:25], -1
	s_waitcnt vmcnt(0)
	v_and_b32_e32 v5, 0xffff0000, v4
	s_branch .LBB174_1419
.LBB174_1341:
	s_mov_b64 s[24:25], 0
                                        ; implicit-def: $vgpr5
                                        ; implicit-def: $vgpr4
	s_cbranch_execnz .LBB174_1349
.LBB174_1342:
	s_andn2_b64 vcc, exec, s[24:25]
	s_cbranch_vccnz .LBB174_1610
	s_branch .LBB174_1403
.LBB174_1343:
                                        ; implicit-def: $sgpr18_sgpr19
	s_branch .LBB174_1333
.LBB174_1344:
	s_mov_b64 s[24:25], 0
	s_mov_b64 s[0:1], 0
                                        ; implicit-def: $vgpr5
                                        ; implicit-def: $vgpr4
	s_cbranch_execnz .LBB174_1451
.LBB174_1345:
	s_and_b64 vcc, exec, s[0:1]
	s_cbranch_vccnz .LBB174_1484
.LBB174_1346:
	s_andn2_b64 vcc, exec, s[20:21]
	s_cbranch_vccnz .LBB174_1348
.LBB174_1347:
	global_load_ubyte v4, v[0:1], off
	s_mov_b64 s[24:25], -1
	v_mov_b32_e32 v5, 0
	s_waitcnt vmcnt(0)
	v_cmp_ne_u16_e32 vcc, 0, v4
	v_cndmask_b32_e64 v4, 0, 1.0, vcc
	v_lshrrev_b32_e32 v4, 16, v4
.LBB174_1348:
	s_branch .LBB174_1342
.LBB174_1349:
	s_cmp_lt_i32 s30, 5
	s_cbranch_scc1 .LBB174_1354
; %bb.1350:
	s_cmp_lt_i32 s30, 8
	s_cbranch_scc1 .LBB174_1356
; %bb.1351:
	;; [unrolled: 3-line block ×3, first 2 shown]
	s_cmp_gt_i32 s30, 9
	s_cbranch_scc0 .LBB174_1361
; %bb.1353:
	global_load_dwordx4 v[4:7], v[0:1], off
	s_movk_i32 s0, 0x7fff
	s_waitcnt vmcnt(0)
	v_cvt_f32_f64_e32 v4, v[4:5]
	v_cvt_f32_f64_e32 v5, v[6:7]
	v_mov_b32_e32 v6, 0x7fc0
	v_mov_b32_e32 v7, 0x7fc00000
	v_bfe_u32 v8, v4, 16, 1
	v_bfe_u32 v9, v5, 16, 1
	v_cmp_o_f32_e32 vcc, v4, v4
	v_add3_u32 v4, v4, v8, s0
	v_add3_u32 v8, v5, v9, s0
	v_cndmask_b32_sdwa v4, v6, v4, vcc dst_sel:DWORD dst_unused:UNUSED_PAD src0_sel:DWORD src1_sel:WORD_1
	v_and_b32_e32 v6, 0xffff0000, v8
	v_cmp_o_f32_e32 vcc, v5, v5
	v_cndmask_b32_e32 v5, v7, v6, vcc
	s_mov_b64 s[0:1], 0
	s_branch .LBB174_1362
.LBB174_1354:
	s_mov_b64 s[0:1], -1
                                        ; implicit-def: $vgpr5
                                        ; implicit-def: $vgpr4
	s_branch .LBB174_1381
.LBB174_1355:
	s_mov_b64 s[26:27], -1
	s_mov_b64 s[24:25], 0
	s_mov_b64 s[0:1], 0
                                        ; implicit-def: $vgpr5
                                        ; implicit-def: $vgpr4
	s_branch .LBB174_1432
.LBB174_1356:
	s_mov_b64 s[0:1], -1
                                        ; implicit-def: $vgpr5
                                        ; implicit-def: $vgpr4
	s_branch .LBB174_1368
.LBB174_1357:
	s_mov_b64 s[26:27], -1
	s_mov_b64 s[24:25], 0
	s_mov_b64 s[0:1], 0
                                        ; implicit-def: $vgpr5
                                        ; implicit-def: $vgpr4
	s_branch .LBB174_1426
.LBB174_1358:
	s_mov_b64 s[0:1], -1
                                        ; implicit-def: $vgpr5
                                        ; implicit-def: $vgpr4
	s_branch .LBB174_1365
.LBB174_1359:
	s_trap 2
	s_or_b64 s[16:17], s[16:17], exec
	s_cbranch_execz .LBB174_1280
	s_branch .LBB174_1281
.LBB174_1360:
	s_mov_b64 s[26:27], -1
	s_mov_b64 s[24:25], 0
	s_mov_b64 s[0:1], 0
                                        ; implicit-def: $vgpr5
                                        ; implicit-def: $vgpr4
	s_branch .LBB174_1419
.LBB174_1361:
	s_mov_b64 s[0:1], -1
                                        ; implicit-def: $vgpr5
                                        ; implicit-def: $vgpr4
.LBB174_1362:
	s_andn2_b64 vcc, exec, s[0:1]
	s_cbranch_vccnz .LBB174_1364
; %bb.1363:
	global_load_dwordx2 v[4:5], v[0:1], off
	s_movk_i32 s0, 0x7fff
	v_mov_b32_e32 v6, 0x7fc0
	v_mov_b32_e32 v7, 0x7fc00000
	s_waitcnt vmcnt(0)
	v_bfe_u32 v8, v4, 16, 1
	v_bfe_u32 v9, v5, 16, 1
	v_cmp_o_f32_e32 vcc, v4, v4
	v_add3_u32 v4, v4, v8, s0
	v_add3_u32 v8, v5, v9, s0
	v_cndmask_b32_sdwa v4, v6, v4, vcc dst_sel:DWORD dst_unused:UNUSED_PAD src0_sel:DWORD src1_sel:WORD_1
	v_and_b32_e32 v6, 0xffff0000, v8
	v_cmp_o_f32_e32 vcc, v5, v5
	v_cndmask_b32_e32 v5, v7, v6, vcc
.LBB174_1364:
	s_mov_b64 s[0:1], 0
.LBB174_1365:
	s_andn2_b64 vcc, exec, s[0:1]
	s_cbranch_vccnz .LBB174_1367
; %bb.1366:
	global_load_dword v5, v[0:1], off
	s_movk_i32 s0, 0x7fff
	s_waitcnt vmcnt(1)
	v_mov_b32_e32 v4, 0x7fc0
	v_mov_b32_e32 v8, 0x7fc00000
	s_waitcnt vmcnt(0)
	v_cvt_f32_f16_e32 v6, v5
	v_cvt_f32_f16_sdwa v7, v5 dst_sel:DWORD dst_unused:UNUSED_PAD src0_sel:WORD_1
	v_cmp_o_f16_e32 vcc, v5, v5
	v_bfe_u32 v9, v6, 16, 1
	v_bfe_u32 v10, v7, 16, 1
	v_add3_u32 v6, v6, v9, s0
	v_add3_u32 v7, v7, v10, s0
	v_cndmask_b32_sdwa v4, v4, v6, vcc dst_sel:DWORD dst_unused:UNUSED_PAD src0_sel:DWORD src1_sel:WORD_1
	v_and_b32_e32 v6, 0xffff0000, v7
	v_cmp_o_f16_sdwa vcc, v5, v5 src0_sel:WORD_1 src1_sel:WORD_1
	v_cndmask_b32_e32 v5, v8, v6, vcc
.LBB174_1367:
	s_mov_b64 s[0:1], 0
.LBB174_1368:
	s_andn2_b64 vcc, exec, s[0:1]
	s_cbranch_vccnz .LBB174_1380
; %bb.1369:
	s_cmp_lt_i32 s30, 6
	s_cbranch_scc1 .LBB174_1372
; %bb.1370:
	s_cmp_gt_i32 s30, 6
	s_cbranch_scc0 .LBB174_1373
; %bb.1371:
	global_load_dwordx2 v[4:5], v[0:1], off
	s_movk_i32 s0, 0x7fff
	s_waitcnt vmcnt(0)
	v_cvt_f32_f64_e32 v4, v[4:5]
	v_mov_b32_e32 v5, 0x7fc0
	v_bfe_u32 v6, v4, 16, 1
	v_cmp_o_f32_e32 vcc, v4, v4
	v_add3_u32 v4, v4, v6, s0
	v_cndmask_b32_sdwa v4, v5, v4, vcc dst_sel:DWORD dst_unused:UNUSED_PAD src0_sel:DWORD src1_sel:WORD_1
	s_mov_b64 s[0:1], 0
	s_branch .LBB174_1374
.LBB174_1372:
	s_mov_b64 s[0:1], -1
                                        ; implicit-def: $vgpr4
	s_branch .LBB174_1377
.LBB174_1373:
	s_mov_b64 s[0:1], -1
                                        ; implicit-def: $vgpr4
.LBB174_1374:
	s_andn2_b64 vcc, exec, s[0:1]
	s_cbranch_vccnz .LBB174_1376
; %bb.1375:
	global_load_dword v4, v[0:1], off
	s_movk_i32 s0, 0x7fff
	v_mov_b32_e32 v5, 0x7fc0
	s_waitcnt vmcnt(0)
	v_bfe_u32 v6, v4, 16, 1
	v_cmp_o_f32_e32 vcc, v4, v4
	v_add3_u32 v4, v4, v6, s0
	v_cndmask_b32_sdwa v4, v5, v4, vcc dst_sel:DWORD dst_unused:UNUSED_PAD src0_sel:DWORD src1_sel:WORD_1
.LBB174_1376:
	s_mov_b64 s[0:1], 0
.LBB174_1377:
	s_andn2_b64 vcc, exec, s[0:1]
	s_cbranch_vccnz .LBB174_1379
; %bb.1378:
	global_load_ushort v4, v[0:1], off
	s_movk_i32 s0, 0x7fff
	v_mov_b32_e32 v6, 0x7fc0
	s_waitcnt vmcnt(0)
	v_cvt_f32_f16_e32 v5, v4
	v_cmp_o_f16_e32 vcc, v4, v4
	v_bfe_u32 v4, v5, 16, 1
	v_add3_u32 v4, v5, v4, s0
	v_cndmask_b32_sdwa v4, v6, v4, vcc dst_sel:DWORD dst_unused:UNUSED_PAD src0_sel:DWORD src1_sel:WORD_1
.LBB174_1379:
	v_mov_b32_e32 v5, 0
.LBB174_1380:
	s_mov_b64 s[0:1], 0
.LBB174_1381:
	s_andn2_b64 vcc, exec, s[0:1]
	s_cbranch_vccnz .LBB174_1402
; %bb.1382:
	s_cmp_lt_i32 s30, 2
	s_cbranch_scc1 .LBB174_1386
; %bb.1383:
	s_cmp_lt_i32 s30, 3
	s_cbranch_scc1 .LBB174_1387
; %bb.1384:
	s_cmp_gt_i32 s30, 3
	s_cbranch_scc0 .LBB174_1388
; %bb.1385:
	global_load_dwordx2 v[4:5], v[0:1], off
	s_movk_i32 s0, 0x7fff
	s_waitcnt vmcnt(0)
	v_xor_b32_e32 v7, v4, v5
	v_ffbh_i32_e32 v6, v5
	v_ashrrev_i32_e32 v7, 31, v7
	v_add_u32_e32 v6, -1, v6
	v_add_u32_e32 v7, 32, v7
	v_min_u32_e32 v6, v6, v7
	v_lshlrev_b64 v[4:5], v6, v[4:5]
	v_min_u32_e32 v4, 1, v4
	v_or_b32_e32 v4, v5, v4
	v_cvt_f32_i32_e32 v4, v4
	v_sub_u32_e32 v5, 32, v6
	v_ldexp_f32 v4, v4, v5
	v_bfe_u32 v5, v4, 16, 1
	v_add3_u32 v4, v4, v5, s0
	v_lshrrev_b32_e32 v4, 16, v4
	s_mov_b64 s[0:1], 0
	s_branch .LBB174_1389
.LBB174_1386:
	s_mov_b64 s[0:1], -1
                                        ; implicit-def: $vgpr4
	s_branch .LBB174_1395
.LBB174_1387:
	s_mov_b64 s[0:1], -1
                                        ; implicit-def: $vgpr4
	s_branch .LBB174_1392
.LBB174_1388:
	s_mov_b64 s[0:1], -1
                                        ; implicit-def: $vgpr4
.LBB174_1389:
	s_andn2_b64 vcc, exec, s[0:1]
	s_cbranch_vccnz .LBB174_1391
; %bb.1390:
	global_load_dword v4, v[0:1], off
	s_movk_i32 s0, 0x7fff
	s_waitcnt vmcnt(0)
	v_cvt_f32_i32_e32 v4, v4
	v_bfe_u32 v5, v4, 16, 1
	v_add3_u32 v4, v4, v5, s0
	v_lshrrev_b32_e32 v4, 16, v4
.LBB174_1391:
	s_mov_b64 s[0:1], 0
.LBB174_1392:
	s_andn2_b64 vcc, exec, s[0:1]
	s_cbranch_vccnz .LBB174_1394
; %bb.1393:
	global_load_sshort v4, v[0:1], off
	s_movk_i32 s0, 0x7fff
	s_waitcnt vmcnt(0)
	v_cvt_f32_i32_e32 v4, v4
	v_bfe_u32 v5, v4, 16, 1
	v_add3_u32 v4, v4, v5, s0
	v_lshrrev_b32_e32 v4, 16, v4
.LBB174_1394:
	s_mov_b64 s[0:1], 0
.LBB174_1395:
	s_andn2_b64 vcc, exec, s[0:1]
	s_cbranch_vccnz .LBB174_1401
; %bb.1396:
	s_cmp_gt_i32 s30, 0
	s_cbranch_scc0 .LBB174_1398
; %bb.1397:
	global_load_sbyte v4, v[0:1], off
	s_movk_i32 s0, 0x7fff
	s_waitcnt vmcnt(0)
	v_cvt_f32_i32_e32 v4, v4
	v_bfe_u32 v5, v4, 16, 1
	v_add3_u32 v4, v4, v5, s0
	v_lshrrev_b32_e32 v4, 16, v4
	s_mov_b64 s[0:1], 0
	s_branch .LBB174_1399
.LBB174_1398:
	s_mov_b64 s[0:1], -1
                                        ; implicit-def: $vgpr4
.LBB174_1399:
	s_andn2_b64 vcc, exec, s[0:1]
	s_cbranch_vccnz .LBB174_1401
; %bb.1400:
	global_load_ubyte v0, v[0:1], off
	s_movk_i32 s0, 0x7fff
	s_waitcnt vmcnt(0)
	v_cvt_f32_ubyte0_e32 v0, v0
	v_bfe_u32 v1, v0, 16, 1
	v_add3_u32 v0, v0, v1, s0
	v_lshrrev_b32_e32 v4, 16, v0
.LBB174_1401:
	v_mov_b32_e32 v5, 0
.LBB174_1402:
.LBB174_1403:
	s_waitcnt vmcnt(0)
	v_or_b32_sdwa v0, v5, v4 dst_sel:DWORD dst_unused:UNUSED_PAD src0_sel:DWORD src1_sel:WORD_0
	s_and_b64 vcc, exec, s[22:23]
	v_lshlrev_b32_e32 v0, 16, v0
	s_cbranch_vccz .LBB174_1414
; %bb.1404:
	s_lshl_b32 s0, s15, 16
	v_cmp_neq_f32_e32 vcc, s0, v0
	s_and_b32 s0, s15, 0xffff0000
	v_and_b32_e32 v1, 0xffff0000, v5
	v_cmp_neq_f32_e64 s[0:1], s0, v1
	s_or_b64 s[20:21], vcc, s[0:1]
	s_cbranch_execnz .LBB174_1406
.LBB174_1405:
	v_and_b32_e32 v1, 0xffff0000, v5
	s_and_b32 s0, s15, 0xffff0000
	s_lshl_b32 s1, s15, 16
	v_cmp_eq_f32_e32 vcc, s1, v0
	v_cmp_eq_f32_e64 s[0:1], s0, v1
	s_and_b64 s[0:1], vcc, s[0:1]
	s_andn2_b64 s[20:21], s[20:21], exec
	s_and_b64 s[0:1], s[0:1], exec
	s_or_b64 s[20:21], s[20:21], s[0:1]
.LBB174_1406:
	v_add_u32_e32 v0, s13, v3
	v_ashrrev_i32_e32 v1, 31, v0
	v_mov_b32_e32 v3, s11
	v_add_co_u32_e32 v0, vcc, s10, v0
	s_cmp_lt_i32 s30, 11
	v_addc_co_u32_e32 v1, vcc, v3, v1, vcc
	s_cbranch_scc1 .LBB174_1413
; %bb.1407:
	s_cmp_gt_i32 s30, 25
	s_mov_b64 s[10:11], 0
	s_cbranch_scc0 .LBB174_1415
; %bb.1408:
	s_cmp_gt_i32 s30, 28
	s_cbranch_scc0 .LBB174_1416
; %bb.1409:
	s_cmp_gt_i32 s30, 43
	;; [unrolled: 3-line block ×3, first 2 shown]
	s_cbranch_scc0 .LBB174_1422
; %bb.1411:
	s_cmp_eq_u32 s30, 46
	s_mov_b64 s[26:27], 0
	s_cbranch_scc0 .LBB174_1485
; %bb.1412:
	global_load_dword v3, v[0:1], off
	s_mov_b64 s[0:1], 0
	s_mov_b64 s[24:25], -1
	s_waitcnt vmcnt(0)
	v_and_b32_e32 v4, 0xffff0000, v3
	s_branch .LBB174_1486
.LBB174_1413:
	s_mov_b64 s[0:1], -1
	s_mov_b64 s[24:25], 0
                                        ; implicit-def: $vgpr4
                                        ; implicit-def: $vgpr3
	s_branch .LBB174_1532
.LBB174_1414:
                                        ; implicit-def: $sgpr20_sgpr21
	s_branch .LBB174_1405
.LBB174_1415:
	s_mov_b64 s[26:27], -1
	s_mov_b64 s[24:25], 0
	s_mov_b64 s[0:1], 0
                                        ; implicit-def: $vgpr4
                                        ; implicit-def: $vgpr3
	s_branch .LBB174_1517
.LBB174_1416:
	s_mov_b64 s[26:27], -1
	s_mov_b64 s[24:25], 0
	s_mov_b64 s[0:1], 0
                                        ; implicit-def: $vgpr4
                                        ; implicit-def: $vgpr3
	s_branch .LBB174_1498
.LBB174_1417:
	s_mov_b64 s[26:27], -1
	s_mov_b64 s[24:25], 0
	s_mov_b64 s[0:1], 0
                                        ; implicit-def: $vgpr4
                                        ; implicit-def: $vgpr3
	s_branch .LBB174_1492
.LBB174_1418:
	s_mov_b64 s[0:1], -1
                                        ; implicit-def: $vgpr5
                                        ; implicit-def: $vgpr4
	s_mov_b64 s[24:25], 0
.LBB174_1419:
	s_and_b64 vcc, exec, s[26:27]
	s_cbranch_vccz .LBB174_1425
; %bb.1420:
	s_cmp_eq_u32 s30, 44
	s_cbranch_scc0 .LBB174_1423
; %bb.1421:
	global_load_ubyte v4, v[0:1], off
	s_movk_i32 s14, 0xff
	v_mov_b32_e32 v5, 0x7f800001
	v_mov_b32_e32 v6, 0x400000
	;; [unrolled: 1-line block ×3, first 2 shown]
	s_mov_b64 s[0:1], 0
	s_mov_b64 s[24:25], -1
	s_waitcnt vmcnt(0)
	v_lshlrev_b32_e32 v8, 23, v4
	v_cmp_ne_u32_e32 vcc, s14, v4
	v_cndmask_b32_e32 v5, v5, v8, vcc
	v_cmp_ne_u32_e32 vcc, 0, v4
	v_cndmask_b32_e32 v4, v6, v5, vcc
	v_add_u32_e32 v5, 0x7fff, v4
	v_cmp_o_f32_e32 vcc, v4, v4
	v_cndmask_b32_sdwa v4, v7, v5, vcc dst_sel:DWORD dst_unused:UNUSED_PAD src0_sel:DWORD src1_sel:WORD_1
	s_branch .LBB174_1424
.LBB174_1422:
	s_mov_b64 s[26:27], -1
	s_mov_b64 s[24:25], 0
	s_mov_b64 s[0:1], 0
                                        ; implicit-def: $vgpr4
                                        ; implicit-def: $vgpr3
	s_branch .LBB174_1486
.LBB174_1423:
	s_mov_b64 s[0:1], -1
                                        ; implicit-def: $vgpr4
.LBB174_1424:
	v_mov_b32_e32 v5, 0
.LBB174_1425:
	s_mov_b64 s[26:27], 0
.LBB174_1426:
	s_and_b64 vcc, exec, s[26:27]
	s_cbranch_vccz .LBB174_1431
; %bb.1427:
	s_cmp_eq_u32 s30, 29
	s_cbranch_scc0 .LBB174_1429
; %bb.1428:
	global_load_dwordx2 v[4:5], v[0:1], off
	s_movk_i32 s14, 0x7fff
	s_mov_b64 s[0:1], 0
	s_mov_b64 s[24:25], -1
	s_waitcnt vmcnt(0)
	v_ffbh_u32_e32 v6, v5
	v_min_u32_e32 v6, 32, v6
	v_lshlrev_b64 v[4:5], v6, v[4:5]
	v_min_u32_e32 v4, 1, v4
	v_or_b32_e32 v4, v5, v4
	v_cvt_f32_u32_e32 v4, v4
	v_sub_u32_e32 v5, 32, v6
	v_ldexp_f32 v4, v4, v5
	v_bfe_u32 v5, v4, 16, 1
	v_add3_u32 v4, v4, v5, s14
	v_lshrrev_b32_e32 v4, 16, v4
	s_branch .LBB174_1430
.LBB174_1429:
	s_mov_b64 s[0:1], -1
                                        ; implicit-def: $vgpr4
.LBB174_1430:
	v_mov_b32_e32 v5, 0
.LBB174_1431:
	s_mov_b64 s[26:27], 0
.LBB174_1432:
	s_and_b64 vcc, exec, s[26:27]
	s_cbranch_vccz .LBB174_1450
; %bb.1433:
	s_cmp_lt_i32 s30, 27
	s_cbranch_scc1 .LBB174_1436
; %bb.1434:
	s_cmp_gt_i32 s30, 27
	s_cbranch_scc0 .LBB174_1437
; %bb.1435:
	global_load_dword v4, v[0:1], off
	s_movk_i32 s14, 0x7fff
	s_mov_b64 s[24:25], 0
	s_waitcnt vmcnt(0)
	v_cvt_f32_u32_e32 v4, v4
	v_bfe_u32 v5, v4, 16, 1
	v_add3_u32 v4, v4, v5, s14
	v_lshrrev_b32_e32 v4, 16, v4
	s_branch .LBB174_1438
.LBB174_1436:
	s_mov_b64 s[24:25], -1
                                        ; implicit-def: $vgpr4
	s_branch .LBB174_1441
.LBB174_1437:
	s_mov_b64 s[24:25], -1
                                        ; implicit-def: $vgpr4
.LBB174_1438:
	s_andn2_b64 vcc, exec, s[24:25]
	s_cbranch_vccnz .LBB174_1440
; %bb.1439:
	global_load_ushort v4, v[0:1], off
	s_movk_i32 s14, 0x7fff
	s_waitcnt vmcnt(0)
	v_cvt_f32_u32_e32 v4, v4
	v_bfe_u32 v5, v4, 16, 1
	v_add3_u32 v4, v4, v5, s14
	v_lshrrev_b32_e32 v4, 16, v4
.LBB174_1440:
	s_mov_b64 s[24:25], 0
.LBB174_1441:
	s_andn2_b64 vcc, exec, s[24:25]
	s_cbranch_vccnz .LBB174_1449
; %bb.1442:
	global_load_ubyte v4, v[0:1], off
	s_movk_i32 s14, 0x7f
	s_mov_b64 s[24:25], 0
	s_waitcnt vmcnt(0)
	v_cmp_lt_i16_e32 vcc, s14, v4
	s_and_saveexec_b64 s[26:27], vcc
	s_xor_b64 s[26:27], exec, s[26:27]
	s_cbranch_execz .LBB174_1462
; %bb.1443:
	s_movk_i32 s14, 0x80
	v_cmp_eq_u16_e32 vcc, s14, v4
	s_mov_b64 s[24:25], -1
	s_and_saveexec_b64 s[28:29], vcc
; %bb.1444:
	s_xor_b64 s[24:25], exec, -1
; %bb.1445:
	s_or_b64 exec, exec, s[28:29]
	s_and_b64 s[24:25], s[24:25], exec
	s_or_saveexec_b64 s[26:27], s[26:27]
	v_mov_b32_e32 v5, 0x7f800001
	s_xor_b64 exec, exec, s[26:27]
	s_cbranch_execnz .LBB174_1463
.LBB174_1446:
	s_or_b64 exec, exec, s[26:27]
	s_and_saveexec_b64 s[26:27], s[24:25]
	s_cbranch_execz .LBB174_1448
.LBB174_1447:
	v_lshlrev_b32_e32 v5, 24, v4
	v_and_b32_e32 v4, 0xffff, v4
	v_and_b32_e32 v6, 7, v4
	v_ffbh_u32_e32 v8, v6
	v_min_u32_e32 v8, 32, v8
	v_subrev_u32_e32 v9, 28, v8
	v_bfe_u32 v7, v4, 3, 4
	v_lshlrev_b32_e32 v4, v9, v4
	v_sub_u32_e32 v8, 29, v8
	v_and_b32_e32 v4, 7, v4
	v_cmp_eq_u32_e32 vcc, 0, v7
	v_cndmask_b32_e32 v7, v7, v8, vcc
	v_cndmask_b32_e32 v4, v6, v4, vcc
	v_mov_b32_e32 v6, 0x3b800000
	v_lshlrev_b32_e32 v4, 20, v4
	v_and_b32_e32 v5, 0x80000000, v5
	v_lshl_add_u32 v6, v7, 23, v6
	v_or3_b32 v5, v5, v6, v4
.LBB174_1448:
	s_or_b64 exec, exec, s[26:27]
	v_bfe_u32 v4, v5, 16, 1
	s_movk_i32 s14, 0x7fff
	v_add3_u32 v4, v5, v4, s14
	v_cmp_o_f32_e32 vcc, v5, v5
	v_mov_b32_e32 v5, 0x7fc0
	v_cndmask_b32_sdwa v4, v5, v4, vcc dst_sel:DWORD dst_unused:UNUSED_PAD src0_sel:DWORD src1_sel:WORD_1
.LBB174_1449:
	s_mov_b64 s[24:25], -1
	v_mov_b32_e32 v5, 0
.LBB174_1450:
	s_branch .LBB174_1345
.LBB174_1451:
	s_cmp_gt_i32 s30, 22
	s_cbranch_scc0 .LBB174_1461
; %bb.1452:
	s_cmp_lt_i32 s30, 24
	s_cbranch_scc1 .LBB174_1464
; %bb.1453:
	s_cmp_gt_i32 s30, 24
	s_cbranch_scc0 .LBB174_1465
; %bb.1454:
	global_load_ubyte v4, v[0:1], off
	s_movk_i32 s14, 0x7f
	s_waitcnt vmcnt(0)
	v_cmp_lt_i16_e32 vcc, s14, v4
	s_and_saveexec_b64 s[24:25], vcc
	s_xor_b64 s[24:25], exec, s[24:25]
	s_cbranch_execz .LBB174_1477
; %bb.1455:
	s_movk_i32 s14, 0x80
	v_cmp_eq_u16_e32 vcc, s14, v4
	s_mov_b64 s[20:21], -1
	s_and_saveexec_b64 s[26:27], vcc
; %bb.1456:
	s_xor_b64 s[20:21], exec, -1
; %bb.1457:
	s_or_b64 exec, exec, s[26:27]
	s_and_b64 s[20:21], s[20:21], exec
	s_or_saveexec_b64 s[24:25], s[24:25]
	v_mov_b32_e32 v5, 0x7f800001
	s_xor_b64 exec, exec, s[24:25]
	s_cbranch_execnz .LBB174_1478
.LBB174_1458:
	s_or_b64 exec, exec, s[24:25]
	s_and_saveexec_b64 s[24:25], s[20:21]
	s_cbranch_execz .LBB174_1460
.LBB174_1459:
	v_lshlrev_b32_e32 v5, 24, v4
	v_and_b32_e32 v4, 0xffff, v4
	v_and_b32_e32 v6, 3, v4
	v_ffbh_u32_e32 v8, v6
	v_min_u32_e32 v8, 32, v8
	v_subrev_u32_e32 v9, 29, v8
	v_bfe_u32 v7, v4, 2, 5
	v_lshlrev_b32_e32 v4, v9, v4
	v_sub_u32_e32 v8, 30, v8
	v_and_b32_e32 v4, 3, v4
	v_cmp_eq_u32_e32 vcc, 0, v7
	v_cndmask_b32_e32 v7, v7, v8, vcc
	v_cndmask_b32_e32 v4, v6, v4, vcc
	v_mov_b32_e32 v6, 0x37800000
	v_lshlrev_b32_e32 v4, 21, v4
	v_and_b32_e32 v5, 0x80000000, v5
	v_lshl_add_u32 v6, v7, 23, v6
	v_or3_b32 v5, v5, v6, v4
.LBB174_1460:
	s_or_b64 exec, exec, s[24:25]
	v_bfe_u32 v4, v5, 16, 1
	s_movk_i32 s14, 0x7fff
	v_add3_u32 v4, v5, v4, s14
	v_cmp_o_f32_e32 vcc, v5, v5
	v_mov_b32_e32 v5, 0x7fc0
	v_cndmask_b32_sdwa v4, v5, v4, vcc dst_sel:DWORD dst_unused:UNUSED_PAD src0_sel:DWORD src1_sel:WORD_1
	s_mov_b64 s[20:21], 0
	s_branch .LBB174_1466
.LBB174_1461:
	s_mov_b64 s[20:21], -1
                                        ; implicit-def: $vgpr4
	s_branch .LBB174_1472
.LBB174_1462:
	s_or_saveexec_b64 s[26:27], s[26:27]
	v_mov_b32_e32 v5, 0x7f800001
	s_xor_b64 exec, exec, s[26:27]
	s_cbranch_execz .LBB174_1446
.LBB174_1463:
	v_cmp_ne_u16_e32 vcc, 0, v4
	s_andn2_b64 s[24:25], s[24:25], exec
	s_and_b64 s[28:29], vcc, exec
	v_mov_b32_e32 v5, 0
	s_or_b64 s[24:25], s[24:25], s[28:29]
	s_or_b64 exec, exec, s[26:27]
	s_and_saveexec_b64 s[26:27], s[24:25]
	s_cbranch_execnz .LBB174_1447
	s_branch .LBB174_1448
.LBB174_1464:
	s_mov_b64 s[20:21], -1
                                        ; implicit-def: $vgpr4
	s_branch .LBB174_1469
.LBB174_1465:
	s_mov_b64 s[20:21], -1
                                        ; implicit-def: $vgpr4
.LBB174_1466:
	s_and_b64 vcc, exec, s[20:21]
	s_cbranch_vccz .LBB174_1468
; %bb.1467:
	global_load_ubyte v4, v[0:1], off
	s_mov_b32 s14, 0x7f800000
	s_brev_b32 s20, 1
	s_movk_i32 s21, 0x7fff
	s_waitcnt vmcnt(0)
	v_lshlrev_b32_e32 v4, 24, v4
	v_and_b32_e32 v5, 0x7f000000, v4
	v_ffbh_u32_e32 v6, v5
	v_min_u32_e32 v6, 32, v6
	v_sub_u32_e64 v6, v6, 4 clamp
	v_lshlrev_b32_e32 v8, v6, v5
	v_lshlrev_b32_e32 v6, 23, v6
	v_lshrrev_b32_e32 v8, 4, v8
	v_add_u32_e32 v7, 0x1000000, v5
	v_sub_u32_e32 v6, v8, v6
	v_ashrrev_i32_e32 v7, 8, v7
	v_add_u32_e32 v6, 0x3c000000, v6
	v_and_or_b32 v6, v7, s14, v6
	v_cmp_ne_u32_e32 vcc, 0, v5
	v_cndmask_b32_e32 v5, 0, v6, vcc
	v_and_or_b32 v4, v4, s20, v5
	v_bfe_u32 v5, v5, 16, 1
	v_add3_u32 v5, v4, v5, s21
	v_cmp_o_f32_e32 vcc, v4, v4
	v_mov_b32_e32 v4, 0x7fc0
	v_cndmask_b32_sdwa v4, v4, v5, vcc dst_sel:DWORD dst_unused:UNUSED_PAD src0_sel:DWORD src1_sel:WORD_1
.LBB174_1468:
	s_mov_b64 s[20:21], 0
.LBB174_1469:
	s_andn2_b64 vcc, exec, s[20:21]
	s_cbranch_vccnz .LBB174_1471
; %bb.1470:
	global_load_ubyte v4, v[0:1], off
	s_movk_i32 s14, 0x7f00
	s_brev_b32 s20, 16
	s_brev_b32 s21, 1
	s_movk_i32 s24, 0x7fff
	s_waitcnt vmcnt(0)
	v_lshlrev_b16_e32 v5, 8, v4
	v_lshlrev_b32_e32 v4, 25, v4
	v_lshrrev_b32_e32 v6, 4, v4
	v_and_or_b32 v7, v5, s14, 0.5
	v_or_b32_e32 v6, 0x70000000, v6
	v_add_f32_e32 v7, -0.5, v7
	v_mul_f32_e32 v6, 0x7800000, v6
	v_cmp_gt_u32_e32 vcc, s20, v4
	v_bfe_i32 v5, v5, 0, 16
	v_cndmask_b32_e32 v4, v6, v7, vcc
	v_and_or_b32 v5, v5, s21, v4
	v_bfe_u32 v4, v4, 16, 1
	v_add3_u32 v4, v5, v4, s24
	v_cmp_o_f32_e32 vcc, v5, v5
	v_mov_b32_e32 v5, 0x7fc0
	v_cndmask_b32_sdwa v4, v5, v4, vcc dst_sel:DWORD dst_unused:UNUSED_PAD src0_sel:DWORD src1_sel:WORD_1
.LBB174_1471:
	s_mov_b64 s[20:21], 0
	s_mov_b64 s[24:25], -1
.LBB174_1472:
	s_andn2_b64 vcc, exec, s[20:21]
	s_mov_b64 s[20:21], 0
	s_cbranch_vccnz .LBB174_1483
; %bb.1473:
	s_cmp_gt_i32 s30, 14
	s_cbranch_scc0 .LBB174_1476
; %bb.1474:
	s_cmp_eq_u32 s30, 15
	s_cbranch_scc0 .LBB174_1479
; %bb.1475:
	global_load_ushort v4, v[0:1], off
	s_mov_b64 s[0:1], 0
	s_mov_b64 s[24:25], -1
	s_branch .LBB174_1480
.LBB174_1476:
	s_mov_b64 s[26:27], -1
                                        ; implicit-def: $vgpr4
	s_branch .LBB174_1481
.LBB174_1477:
	s_or_saveexec_b64 s[24:25], s[24:25]
	v_mov_b32_e32 v5, 0x7f800001
	s_xor_b64 exec, exec, s[24:25]
	s_cbranch_execz .LBB174_1458
.LBB174_1478:
	v_cmp_ne_u16_e32 vcc, 0, v4
	s_andn2_b64 s[20:21], s[20:21], exec
	s_and_b64 s[26:27], vcc, exec
	v_mov_b32_e32 v5, 0
	s_or_b64 s[20:21], s[20:21], s[26:27]
	s_or_b64 exec, exec, s[24:25]
	s_and_saveexec_b64 s[24:25], s[20:21]
	s_cbranch_execnz .LBB174_1459
	s_branch .LBB174_1460
.LBB174_1479:
	s_mov_b64 s[0:1], -1
                                        ; implicit-def: $vgpr4
.LBB174_1480:
	s_mov_b64 s[26:27], 0
.LBB174_1481:
	s_and_b64 vcc, exec, s[26:27]
	s_cbranch_vccz .LBB174_1483
; %bb.1482:
	s_cmp_lg_u32 s30, 11
	s_mov_b64 s[20:21], -1
	s_cselect_b64 s[0:1], -1, 0
.LBB174_1483:
	v_mov_b32_e32 v5, 0
	s_and_b64 vcc, exec, s[0:1]
	s_cbranch_vccz .LBB174_1346
.LBB174_1484:
	s_trap 2
	s_or_b64 s[16:17], s[16:17], exec
	s_cbranch_execz .LBB174_1347
	s_branch .LBB174_1348
.LBB174_1485:
	s_mov_b64 s[0:1], -1
                                        ; implicit-def: $vgpr4
                                        ; implicit-def: $vgpr3
	s_mov_b64 s[24:25], 0
.LBB174_1486:
	s_and_b64 vcc, exec, s[26:27]
	s_cbranch_vccz .LBB174_1491
; %bb.1487:
	s_cmp_eq_u32 s30, 44
	s_cbranch_scc0 .LBB174_1489
; %bb.1488:
	global_load_ubyte v3, v[0:1], off
	s_movk_i32 s13, 0xff
	v_mov_b32_e32 v4, 0x7f800001
	v_mov_b32_e32 v5, 0x400000
	;; [unrolled: 1-line block ×3, first 2 shown]
	s_mov_b64 s[0:1], 0
	s_mov_b64 s[24:25], -1
	s_waitcnt vmcnt(0)
	v_lshlrev_b32_e32 v7, 23, v3
	v_cmp_ne_u32_e32 vcc, s13, v3
	v_cndmask_b32_e32 v4, v4, v7, vcc
	v_cmp_ne_u32_e32 vcc, 0, v3
	v_cndmask_b32_e32 v3, v5, v4, vcc
	v_add_u32_e32 v4, 0x7fff, v3
	v_cmp_o_f32_e32 vcc, v3, v3
	v_cndmask_b32_sdwa v3, v6, v4, vcc dst_sel:DWORD dst_unused:UNUSED_PAD src0_sel:DWORD src1_sel:WORD_1
	s_branch .LBB174_1490
.LBB174_1489:
	s_mov_b64 s[0:1], -1
                                        ; implicit-def: $vgpr3
.LBB174_1490:
	v_mov_b32_e32 v4, 0
.LBB174_1491:
	s_mov_b64 s[26:27], 0
.LBB174_1492:
	s_and_b64 vcc, exec, s[26:27]
	s_cbranch_vccz .LBB174_1497
; %bb.1493:
	s_cmp_eq_u32 s30, 29
	s_cbranch_scc0 .LBB174_1495
; %bb.1494:
	global_load_dwordx2 v[3:4], v[0:1], off
	s_movk_i32 s13, 0x7fff
	s_mov_b64 s[0:1], 0
	s_mov_b64 s[24:25], -1
	s_waitcnt vmcnt(0)
	v_ffbh_u32_e32 v5, v4
	v_min_u32_e32 v5, 32, v5
	v_lshlrev_b64 v[3:4], v5, v[3:4]
	v_min_u32_e32 v3, 1, v3
	v_or_b32_e32 v3, v4, v3
	v_cvt_f32_u32_e32 v3, v3
	v_sub_u32_e32 v4, 32, v5
	v_ldexp_f32 v3, v3, v4
	v_bfe_u32 v4, v3, 16, 1
	v_add3_u32 v3, v3, v4, s13
	v_lshrrev_b32_e32 v3, 16, v3
	s_branch .LBB174_1496
.LBB174_1495:
	s_mov_b64 s[0:1], -1
                                        ; implicit-def: $vgpr3
.LBB174_1496:
	v_mov_b32_e32 v4, 0
.LBB174_1497:
	s_mov_b64 s[26:27], 0
.LBB174_1498:
	s_and_b64 vcc, exec, s[26:27]
	s_cbranch_vccz .LBB174_1516
; %bb.1499:
	s_cmp_lt_i32 s30, 27
	s_cbranch_scc1 .LBB174_1502
; %bb.1500:
	s_cmp_gt_i32 s30, 27
	s_cbranch_scc0 .LBB174_1503
; %bb.1501:
	global_load_dword v3, v[0:1], off
	s_movk_i32 s13, 0x7fff
	s_mov_b64 s[24:25], 0
	s_waitcnt vmcnt(0)
	v_cvt_f32_u32_e32 v3, v3
	v_bfe_u32 v4, v3, 16, 1
	v_add3_u32 v3, v3, v4, s13
	v_lshrrev_b32_e32 v3, 16, v3
	s_branch .LBB174_1504
.LBB174_1502:
	s_mov_b64 s[24:25], -1
                                        ; implicit-def: $vgpr3
	s_branch .LBB174_1507
.LBB174_1503:
	s_mov_b64 s[24:25], -1
                                        ; implicit-def: $vgpr3
.LBB174_1504:
	s_andn2_b64 vcc, exec, s[24:25]
	s_cbranch_vccnz .LBB174_1506
; %bb.1505:
	global_load_ushort v3, v[0:1], off
	s_movk_i32 s13, 0x7fff
	s_waitcnt vmcnt(0)
	v_cvt_f32_u32_e32 v3, v3
	v_bfe_u32 v4, v3, 16, 1
	v_add3_u32 v3, v3, v4, s13
	v_lshrrev_b32_e32 v3, 16, v3
.LBB174_1506:
	s_mov_b64 s[24:25], 0
.LBB174_1507:
	s_andn2_b64 vcc, exec, s[24:25]
	s_cbranch_vccnz .LBB174_1515
; %bb.1508:
	global_load_ubyte v3, v[0:1], off
	s_movk_i32 s13, 0x7f
	s_mov_b64 s[24:25], 0
	s_waitcnt vmcnt(0)
	v_cmp_lt_i16_e32 vcc, s13, v3
	s_and_saveexec_b64 s[26:27], vcc
	s_xor_b64 s[26:27], exec, s[26:27]
	s_cbranch_execz .LBB174_1541
; %bb.1509:
	s_movk_i32 s13, 0x80
	v_cmp_eq_u16_e32 vcc, s13, v3
	s_mov_b64 s[24:25], -1
	s_and_saveexec_b64 s[28:29], vcc
; %bb.1510:
	s_xor_b64 s[24:25], exec, -1
; %bb.1511:
	s_or_b64 exec, exec, s[28:29]
	s_and_b64 s[24:25], s[24:25], exec
	s_or_saveexec_b64 s[26:27], s[26:27]
	v_mov_b32_e32 v4, 0x7f800001
	s_xor_b64 exec, exec, s[26:27]
	s_cbranch_execnz .LBB174_1542
.LBB174_1512:
	s_or_b64 exec, exec, s[26:27]
	s_and_saveexec_b64 s[26:27], s[24:25]
	s_cbranch_execz .LBB174_1514
.LBB174_1513:
	v_lshlrev_b32_e32 v4, 24, v3
	v_and_b32_e32 v3, 0xffff, v3
	v_and_b32_e32 v5, 7, v3
	v_ffbh_u32_e32 v7, v5
	v_min_u32_e32 v7, 32, v7
	v_subrev_u32_e32 v8, 28, v7
	v_bfe_u32 v6, v3, 3, 4
	v_lshlrev_b32_e32 v3, v8, v3
	v_sub_u32_e32 v7, 29, v7
	v_and_b32_e32 v3, 7, v3
	v_cmp_eq_u32_e32 vcc, 0, v6
	v_cndmask_b32_e32 v6, v6, v7, vcc
	v_cndmask_b32_e32 v3, v5, v3, vcc
	v_mov_b32_e32 v5, 0x3b800000
	v_lshlrev_b32_e32 v3, 20, v3
	v_and_b32_e32 v4, 0x80000000, v4
	v_lshl_add_u32 v5, v6, 23, v5
	v_or3_b32 v4, v4, v5, v3
.LBB174_1514:
	s_or_b64 exec, exec, s[26:27]
	v_bfe_u32 v3, v4, 16, 1
	s_movk_i32 s13, 0x7fff
	v_add3_u32 v3, v4, v3, s13
	v_cmp_o_f32_e32 vcc, v4, v4
	v_mov_b32_e32 v4, 0x7fc0
	v_cndmask_b32_sdwa v3, v4, v3, vcc dst_sel:DWORD dst_unused:UNUSED_PAD src0_sel:DWORD src1_sel:WORD_1
.LBB174_1515:
	s_mov_b64 s[24:25], -1
	v_mov_b32_e32 v4, 0
.LBB174_1516:
	s_mov_b64 s[26:27], 0
.LBB174_1517:
	s_and_b64 vcc, exec, s[26:27]
	s_cbranch_vccz .LBB174_1528
; %bb.1518:
	s_cmp_gt_i32 s30, 22
	s_cbranch_scc0 .LBB174_1539
; %bb.1519:
	s_cmp_lt_i32 s30, 24
	s_cbranch_scc1 .LBB174_1543
; %bb.1520:
	s_cmp_gt_i32 s30, 24
	s_cbranch_scc0 .LBB174_1545
; %bb.1521:
	global_load_ubyte v3, v[0:1], off
	s_movk_i32 s10, 0x7f
	s_waitcnt vmcnt(0)
	v_cmp_lt_i16_e32 vcc, s10, v3
	s_mov_b64 s[10:11], 0
	s_and_saveexec_b64 s[24:25], vcc
	s_xor_b64 s[24:25], exec, s[24:25]
	s_cbranch_execz .LBB174_1557
; %bb.1522:
	s_movk_i32 s10, 0x80
	v_cmp_eq_u16_e32 vcc, s10, v3
	s_mov_b64 s[10:11], -1
	s_and_saveexec_b64 s[26:27], vcc
; %bb.1523:
	s_xor_b64 s[10:11], exec, -1
; %bb.1524:
	s_or_b64 exec, exec, s[26:27]
	s_and_b64 s[10:11], s[10:11], exec
	s_or_saveexec_b64 s[24:25], s[24:25]
	v_mov_b32_e32 v4, 0x7f800001
	s_xor_b64 exec, exec, s[24:25]
	s_cbranch_execnz .LBB174_1558
.LBB174_1525:
	s_or_b64 exec, exec, s[24:25]
	s_and_saveexec_b64 s[24:25], s[10:11]
	s_cbranch_execz .LBB174_1527
.LBB174_1526:
	v_lshlrev_b32_e32 v4, 24, v3
	v_and_b32_e32 v3, 0xffff, v3
	v_and_b32_e32 v5, 3, v3
	v_ffbh_u32_e32 v7, v5
	v_min_u32_e32 v7, 32, v7
	v_subrev_u32_e32 v8, 29, v7
	v_bfe_u32 v6, v3, 2, 5
	v_lshlrev_b32_e32 v3, v8, v3
	v_sub_u32_e32 v7, 30, v7
	v_and_b32_e32 v3, 3, v3
	v_cmp_eq_u32_e32 vcc, 0, v6
	v_cndmask_b32_e32 v6, v6, v7, vcc
	v_cndmask_b32_e32 v3, v5, v3, vcc
	v_mov_b32_e32 v5, 0x37800000
	v_lshlrev_b32_e32 v3, 21, v3
	v_and_b32_e32 v4, 0x80000000, v4
	v_lshl_add_u32 v5, v6, 23, v5
	v_or3_b32 v4, v4, v5, v3
.LBB174_1527:
	s_or_b64 exec, exec, s[24:25]
	v_bfe_u32 v3, v4, 16, 1
	s_movk_i32 s10, 0x7fff
	v_add3_u32 v3, v4, v3, s10
	v_cmp_o_f32_e32 vcc, v4, v4
	v_mov_b32_e32 v4, 0x7fc0
	v_cndmask_b32_sdwa v3, v4, v3, vcc dst_sel:DWORD dst_unused:UNUSED_PAD src0_sel:DWORD src1_sel:WORD_1
	s_mov_b64 s[10:11], 0
	s_branch .LBB174_1546
.LBB174_1528:
	s_and_b64 vcc, exec, s[0:1]
	s_cbranch_vccnz .LBB174_1576
.LBB174_1529:
	s_andn2_b64 vcc, exec, s[10:11]
	s_cbranch_vccnz .LBB174_1531
.LBB174_1530:
	global_load_ubyte v3, v[0:1], off
	s_mov_b64 s[24:25], -1
	v_mov_b32_e32 v4, 0
	s_waitcnt vmcnt(0)
	v_cmp_ne_u16_e32 vcc, 0, v3
	v_cndmask_b32_e64 v3, 0, 1.0, vcc
	v_lshrrev_b32_e32 v3, 16, v3
.LBB174_1531:
	s_mov_b64 s[0:1], 0
.LBB174_1532:
	s_and_b64 vcc, exec, s[0:1]
	s_cbranch_vccz .LBB174_1607
; %bb.1533:
	s_cmp_lt_i32 s30, 5
	s_cbranch_scc1 .LBB174_1538
; %bb.1534:
	s_cmp_lt_i32 s30, 8
	s_cbranch_scc1 .LBB174_1540
	;; [unrolled: 3-line block ×3, first 2 shown]
; %bb.1536:
	s_cmp_gt_i32 s30, 9
	s_cbranch_scc0 .LBB174_1559
; %bb.1537:
	global_load_dwordx4 v[3:6], v[0:1], off
	s_movk_i32 s0, 0x7fff
	s_waitcnt vmcnt(0)
	v_cvt_f32_f64_e32 v3, v[3:4]
	v_cvt_f32_f64_e32 v4, v[5:6]
	v_mov_b32_e32 v5, 0x7fc0
	v_mov_b32_e32 v6, 0x7fc00000
	v_bfe_u32 v7, v3, 16, 1
	v_bfe_u32 v8, v4, 16, 1
	v_cmp_o_f32_e32 vcc, v3, v3
	v_add3_u32 v3, v3, v7, s0
	v_add3_u32 v7, v4, v8, s0
	v_cndmask_b32_sdwa v3, v5, v3, vcc dst_sel:DWORD dst_unused:UNUSED_PAD src0_sel:DWORD src1_sel:WORD_1
	v_and_b32_e32 v5, 0xffff0000, v7
	v_cmp_o_f32_e32 vcc, v4, v4
	v_cndmask_b32_e32 v4, v6, v5, vcc
	s_mov_b64 s[0:1], 0
	s_branch .LBB174_1560
.LBB174_1538:
	s_mov_b64 s[0:1], -1
                                        ; implicit-def: $vgpr4
                                        ; implicit-def: $vgpr3
	s_branch .LBB174_1585
.LBB174_1539:
	s_mov_b64 s[10:11], -1
                                        ; implicit-def: $vgpr3
	s_branch .LBB174_1552
.LBB174_1540:
	s_mov_b64 s[0:1], -1
                                        ; implicit-def: $vgpr4
                                        ; implicit-def: $vgpr3
	s_branch .LBB174_1566
.LBB174_1541:
	s_or_saveexec_b64 s[26:27], s[26:27]
	v_mov_b32_e32 v4, 0x7f800001
	s_xor_b64 exec, exec, s[26:27]
	s_cbranch_execz .LBB174_1512
.LBB174_1542:
	v_cmp_ne_u16_e32 vcc, 0, v3
	s_andn2_b64 s[24:25], s[24:25], exec
	s_and_b64 s[28:29], vcc, exec
	v_mov_b32_e32 v4, 0
	s_or_b64 s[24:25], s[24:25], s[28:29]
	s_or_b64 exec, exec, s[26:27]
	s_and_saveexec_b64 s[26:27], s[24:25]
	s_cbranch_execnz .LBB174_1513
	s_branch .LBB174_1514
.LBB174_1543:
	s_mov_b64 s[10:11], -1
                                        ; implicit-def: $vgpr3
	s_branch .LBB174_1549
.LBB174_1544:
	s_mov_b64 s[0:1], -1
                                        ; implicit-def: $vgpr4
                                        ; implicit-def: $vgpr3
	s_branch .LBB174_1563
.LBB174_1545:
	s_mov_b64 s[10:11], -1
                                        ; implicit-def: $vgpr3
.LBB174_1546:
	s_and_b64 vcc, exec, s[10:11]
	s_cbranch_vccz .LBB174_1548
; %bb.1547:
	global_load_ubyte v3, v[0:1], off
	s_mov_b32 s10, 0x7f800000
	s_brev_b32 s11, 1
	s_movk_i32 s13, 0x7fff
	s_waitcnt vmcnt(0)
	v_lshlrev_b32_e32 v3, 24, v3
	v_and_b32_e32 v4, 0x7f000000, v3
	v_ffbh_u32_e32 v5, v4
	v_min_u32_e32 v5, 32, v5
	v_sub_u32_e64 v5, v5, 4 clamp
	v_lshlrev_b32_e32 v7, v5, v4
	v_lshlrev_b32_e32 v5, 23, v5
	v_lshrrev_b32_e32 v7, 4, v7
	v_add_u32_e32 v6, 0x1000000, v4
	v_sub_u32_e32 v5, v7, v5
	v_ashrrev_i32_e32 v6, 8, v6
	v_add_u32_e32 v5, 0x3c000000, v5
	v_and_or_b32 v5, v6, s10, v5
	v_cmp_ne_u32_e32 vcc, 0, v4
	v_cndmask_b32_e32 v4, 0, v5, vcc
	v_and_or_b32 v3, v3, s11, v4
	v_bfe_u32 v4, v4, 16, 1
	v_add3_u32 v4, v3, v4, s13
	v_cmp_o_f32_e32 vcc, v3, v3
	v_mov_b32_e32 v3, 0x7fc0
	v_cndmask_b32_sdwa v3, v3, v4, vcc dst_sel:DWORD dst_unused:UNUSED_PAD src0_sel:DWORD src1_sel:WORD_1
.LBB174_1548:
	s_mov_b64 s[10:11], 0
.LBB174_1549:
	s_andn2_b64 vcc, exec, s[10:11]
	s_cbranch_vccnz .LBB174_1551
; %bb.1550:
	global_load_ubyte v3, v[0:1], off
	s_movk_i32 s10, 0x7f00
	s_brev_b32 s11, 16
	s_brev_b32 s13, 1
	s_movk_i32 s14, 0x7fff
	s_waitcnt vmcnt(0)
	v_lshlrev_b16_e32 v4, 8, v3
	v_lshlrev_b32_e32 v3, 25, v3
	v_lshrrev_b32_e32 v5, 4, v3
	v_and_or_b32 v6, v4, s10, 0.5
	v_or_b32_e32 v5, 0x70000000, v5
	v_add_f32_e32 v6, -0.5, v6
	v_mul_f32_e32 v5, 0x7800000, v5
	v_cmp_gt_u32_e32 vcc, s11, v3
	v_bfe_i32 v4, v4, 0, 16
	v_cndmask_b32_e32 v3, v5, v6, vcc
	v_and_or_b32 v4, v4, s13, v3
	v_bfe_u32 v3, v3, 16, 1
	v_add3_u32 v3, v4, v3, s14
	v_cmp_o_f32_e32 vcc, v4, v4
	v_mov_b32_e32 v4, 0x7fc0
	v_cndmask_b32_sdwa v3, v4, v3, vcc dst_sel:DWORD dst_unused:UNUSED_PAD src0_sel:DWORD src1_sel:WORD_1
.LBB174_1551:
	s_mov_b64 s[10:11], 0
	s_mov_b64 s[24:25], -1
.LBB174_1552:
	s_andn2_b64 vcc, exec, s[10:11]
	s_mov_b64 s[10:11], 0
	s_cbranch_vccnz .LBB174_1575
; %bb.1553:
	s_cmp_gt_i32 s30, 14
	s_cbranch_scc0 .LBB174_1556
; %bb.1554:
	s_cmp_eq_u32 s30, 15
	s_cbranch_scc0 .LBB174_1571
; %bb.1555:
	global_load_ushort v3, v[0:1], off
	s_mov_b64 s[0:1], 0
	s_mov_b64 s[24:25], -1
	s_branch .LBB174_1572
.LBB174_1556:
	s_mov_b64 s[26:27], -1
                                        ; implicit-def: $vgpr3
	s_branch .LBB174_1573
.LBB174_1557:
	s_or_saveexec_b64 s[24:25], s[24:25]
	v_mov_b32_e32 v4, 0x7f800001
	s_xor_b64 exec, exec, s[24:25]
	s_cbranch_execz .LBB174_1525
.LBB174_1558:
	v_cmp_ne_u16_e32 vcc, 0, v3
	s_andn2_b64 s[10:11], s[10:11], exec
	s_and_b64 s[26:27], vcc, exec
	v_mov_b32_e32 v4, 0
	s_or_b64 s[10:11], s[10:11], s[26:27]
	s_or_b64 exec, exec, s[24:25]
	s_and_saveexec_b64 s[24:25], s[10:11]
	s_cbranch_execnz .LBB174_1526
	s_branch .LBB174_1527
.LBB174_1559:
	s_mov_b64 s[0:1], -1
                                        ; implicit-def: $vgpr4
                                        ; implicit-def: $vgpr3
.LBB174_1560:
	s_andn2_b64 vcc, exec, s[0:1]
	s_cbranch_vccnz .LBB174_1562
; %bb.1561:
	global_load_dwordx2 v[3:4], v[0:1], off
	s_movk_i32 s0, 0x7fff
	v_mov_b32_e32 v5, 0x7fc0
	v_mov_b32_e32 v6, 0x7fc00000
	s_waitcnt vmcnt(0)
	v_bfe_u32 v7, v3, 16, 1
	v_bfe_u32 v8, v4, 16, 1
	v_cmp_o_f32_e32 vcc, v3, v3
	v_add3_u32 v3, v3, v7, s0
	v_add3_u32 v7, v4, v8, s0
	v_cndmask_b32_sdwa v3, v5, v3, vcc dst_sel:DWORD dst_unused:UNUSED_PAD src0_sel:DWORD src1_sel:WORD_1
	v_and_b32_e32 v5, 0xffff0000, v7
	v_cmp_o_f32_e32 vcc, v4, v4
	v_cndmask_b32_e32 v4, v6, v5, vcc
.LBB174_1562:
	s_mov_b64 s[0:1], 0
.LBB174_1563:
	s_andn2_b64 vcc, exec, s[0:1]
	s_cbranch_vccnz .LBB174_1565
; %bb.1564:
	global_load_dword v4, v[0:1], off
	s_movk_i32 s0, 0x7fff
	s_waitcnt vmcnt(1)
	v_mov_b32_e32 v3, 0x7fc0
	v_mov_b32_e32 v7, 0x7fc00000
	s_waitcnt vmcnt(0)
	v_cvt_f32_f16_e32 v5, v4
	v_cvt_f32_f16_sdwa v6, v4 dst_sel:DWORD dst_unused:UNUSED_PAD src0_sel:WORD_1
	v_cmp_o_f16_e32 vcc, v4, v4
	v_bfe_u32 v8, v5, 16, 1
	v_bfe_u32 v9, v6, 16, 1
	v_add3_u32 v5, v5, v8, s0
	v_add3_u32 v6, v6, v9, s0
	v_cndmask_b32_sdwa v3, v3, v5, vcc dst_sel:DWORD dst_unused:UNUSED_PAD src0_sel:DWORD src1_sel:WORD_1
	v_and_b32_e32 v5, 0xffff0000, v6
	v_cmp_o_f16_sdwa vcc, v4, v4 src0_sel:WORD_1 src1_sel:WORD_1
	v_cndmask_b32_e32 v4, v7, v5, vcc
.LBB174_1565:
	s_mov_b64 s[0:1], 0
.LBB174_1566:
	s_andn2_b64 vcc, exec, s[0:1]
	s_cbranch_vccnz .LBB174_1584
; %bb.1567:
	s_cmp_lt_i32 s30, 6
	s_cbranch_scc1 .LBB174_1570
; %bb.1568:
	s_cmp_gt_i32 s30, 6
	s_cbranch_scc0 .LBB174_1577
; %bb.1569:
	global_load_dwordx2 v[3:4], v[0:1], off
	s_movk_i32 s0, 0x7fff
	s_waitcnt vmcnt(0)
	v_cvt_f32_f64_e32 v3, v[3:4]
	v_mov_b32_e32 v4, 0x7fc0
	v_bfe_u32 v5, v3, 16, 1
	v_cmp_o_f32_e32 vcc, v3, v3
	v_add3_u32 v3, v3, v5, s0
	v_cndmask_b32_sdwa v3, v4, v3, vcc dst_sel:DWORD dst_unused:UNUSED_PAD src0_sel:DWORD src1_sel:WORD_1
	s_mov_b64 s[0:1], 0
	s_branch .LBB174_1578
.LBB174_1570:
	s_mov_b64 s[0:1], -1
                                        ; implicit-def: $vgpr3
	s_branch .LBB174_1581
.LBB174_1571:
	s_mov_b64 s[0:1], -1
                                        ; implicit-def: $vgpr3
.LBB174_1572:
	s_mov_b64 s[26:27], 0
.LBB174_1573:
	s_and_b64 vcc, exec, s[26:27]
	s_cbranch_vccz .LBB174_1575
; %bb.1574:
	s_cmp_lg_u32 s30, 11
	s_mov_b64 s[10:11], -1
	s_cselect_b64 s[0:1], -1, 0
.LBB174_1575:
	v_mov_b32_e32 v4, 0
	s_and_b64 vcc, exec, s[0:1]
	s_cbranch_vccz .LBB174_1529
.LBB174_1576:
	s_trap 2
	s_or_b64 s[16:17], s[16:17], exec
	s_cbranch_execz .LBB174_1530
	s_branch .LBB174_1531
.LBB174_1577:
	s_mov_b64 s[0:1], -1
                                        ; implicit-def: $vgpr3
.LBB174_1578:
	s_andn2_b64 vcc, exec, s[0:1]
	s_cbranch_vccnz .LBB174_1580
; %bb.1579:
	global_load_dword v3, v[0:1], off
	s_movk_i32 s0, 0x7fff
	v_mov_b32_e32 v4, 0x7fc0
	s_waitcnt vmcnt(0)
	v_bfe_u32 v5, v3, 16, 1
	v_cmp_o_f32_e32 vcc, v3, v3
	v_add3_u32 v3, v3, v5, s0
	v_cndmask_b32_sdwa v3, v4, v3, vcc dst_sel:DWORD dst_unused:UNUSED_PAD src0_sel:DWORD src1_sel:WORD_1
.LBB174_1580:
	s_mov_b64 s[0:1], 0
.LBB174_1581:
	s_andn2_b64 vcc, exec, s[0:1]
	s_cbranch_vccnz .LBB174_1583
; %bb.1582:
	global_load_ushort v3, v[0:1], off
	s_movk_i32 s0, 0x7fff
	v_mov_b32_e32 v5, 0x7fc0
	s_waitcnt vmcnt(0)
	v_cvt_f32_f16_e32 v4, v3
	v_cmp_o_f16_e32 vcc, v3, v3
	v_bfe_u32 v3, v4, 16, 1
	v_add3_u32 v3, v4, v3, s0
	v_cndmask_b32_sdwa v3, v5, v3, vcc dst_sel:DWORD dst_unused:UNUSED_PAD src0_sel:DWORD src1_sel:WORD_1
.LBB174_1583:
	v_mov_b32_e32 v4, 0
.LBB174_1584:
	s_mov_b64 s[0:1], 0
.LBB174_1585:
	s_andn2_b64 vcc, exec, s[0:1]
	s_cbranch_vccnz .LBB174_1606
; %bb.1586:
	s_cmp_lt_i32 s30, 2
	s_cbranch_scc1 .LBB174_1590
; %bb.1587:
	s_cmp_lt_i32 s30, 3
	s_cbranch_scc1 .LBB174_1591
; %bb.1588:
	s_cmp_gt_i32 s30, 3
	s_cbranch_scc0 .LBB174_1592
; %bb.1589:
	global_load_dwordx2 v[3:4], v[0:1], off
	s_movk_i32 s0, 0x7fff
	s_waitcnt vmcnt(0)
	v_xor_b32_e32 v6, v3, v4
	v_ffbh_i32_e32 v5, v4
	v_ashrrev_i32_e32 v6, 31, v6
	v_add_u32_e32 v5, -1, v5
	v_add_u32_e32 v6, 32, v6
	v_min_u32_e32 v5, v5, v6
	v_lshlrev_b64 v[3:4], v5, v[3:4]
	v_min_u32_e32 v3, 1, v3
	v_or_b32_e32 v3, v4, v3
	v_cvt_f32_i32_e32 v3, v3
	v_sub_u32_e32 v4, 32, v5
	v_ldexp_f32 v3, v3, v4
	v_bfe_u32 v4, v3, 16, 1
	v_add3_u32 v3, v3, v4, s0
	v_lshrrev_b32_e32 v3, 16, v3
	s_mov_b64 s[0:1], 0
	s_branch .LBB174_1593
.LBB174_1590:
	s_mov_b64 s[0:1], -1
                                        ; implicit-def: $vgpr3
	s_branch .LBB174_1599
.LBB174_1591:
	s_mov_b64 s[0:1], -1
                                        ; implicit-def: $vgpr3
	s_branch .LBB174_1596
.LBB174_1592:
	s_mov_b64 s[0:1], -1
                                        ; implicit-def: $vgpr3
.LBB174_1593:
	s_andn2_b64 vcc, exec, s[0:1]
	s_cbranch_vccnz .LBB174_1595
; %bb.1594:
	global_load_dword v3, v[0:1], off
	s_movk_i32 s0, 0x7fff
	s_waitcnt vmcnt(0)
	v_cvt_f32_i32_e32 v3, v3
	v_bfe_u32 v4, v3, 16, 1
	v_add3_u32 v3, v3, v4, s0
	v_lshrrev_b32_e32 v3, 16, v3
.LBB174_1595:
	s_mov_b64 s[0:1], 0
.LBB174_1596:
	s_andn2_b64 vcc, exec, s[0:1]
	s_cbranch_vccnz .LBB174_1598
; %bb.1597:
	global_load_sshort v3, v[0:1], off
	s_movk_i32 s0, 0x7fff
	s_waitcnt vmcnt(0)
	v_cvt_f32_i32_e32 v3, v3
	v_bfe_u32 v4, v3, 16, 1
	v_add3_u32 v3, v3, v4, s0
	v_lshrrev_b32_e32 v3, 16, v3
.LBB174_1598:
	s_mov_b64 s[0:1], 0
.LBB174_1599:
	s_andn2_b64 vcc, exec, s[0:1]
	s_cbranch_vccnz .LBB174_1605
; %bb.1600:
	s_cmp_gt_i32 s30, 0
	s_cbranch_scc0 .LBB174_1602
; %bb.1601:
	global_load_sbyte v3, v[0:1], off
	s_movk_i32 s0, 0x7fff
	s_waitcnt vmcnt(0)
	v_cvt_f32_i32_e32 v3, v3
	v_bfe_u32 v4, v3, 16, 1
	v_add3_u32 v3, v3, v4, s0
	v_lshrrev_b32_e32 v3, 16, v3
	s_mov_b64 s[0:1], 0
	s_branch .LBB174_1603
.LBB174_1602:
	s_mov_b64 s[0:1], -1
                                        ; implicit-def: $vgpr3
.LBB174_1603:
	s_andn2_b64 vcc, exec, s[0:1]
	s_cbranch_vccnz .LBB174_1605
; %bb.1604:
	global_load_ubyte v0, v[0:1], off
	s_movk_i32 s0, 0x7fff
	s_waitcnt vmcnt(0)
	v_cvt_f32_ubyte0_e32 v0, v0
	v_bfe_u32 v1, v0, 16, 1
	v_add3_u32 v0, v0, v1, s0
	v_lshrrev_b32_e32 v3, 16, v0
.LBB174_1605:
	v_mov_b32_e32 v4, 0
.LBB174_1606:
	s_mov_b64 s[24:25], -1
.LBB174_1607:
	s_andn2_b64 vcc, exec, s[24:25]
	s_cbranch_vccnz .LBB174_1610
; %bb.1608:
	s_waitcnt vmcnt(0)
	v_or_b32_sdwa v0, v4, v3 dst_sel:DWORD dst_unused:UNUSED_PAD src0_sel:DWORD src1_sel:WORD_0
	s_and_b64 vcc, exec, s[22:23]
	v_lshlrev_b32_e32 v0, 16, v0
	s_cbranch_vccz .LBB174_1656
; %bb.1609:
	s_lshl_b32 s0, s15, 16
	v_cmp_neq_f32_e32 vcc, s0, v0
	s_and_b32 s0, s15, 0xffff0000
	v_and_b32_e32 v1, 0xffff0000, v4
	v_cmp_neq_f32_e64 s[0:1], s0, v1
	s_or_b64 s[22:23], vcc, s[0:1]
	s_mov_b64 s[0:1], 0
	s_branch .LBB174_1657
.LBB174_1610:
	s_mov_b64 s[0:1], 0
                                        ; implicit-def: $sgpr22_sgpr23
.LBB174_1611:
                                        ; implicit-def: $sgpr28
                                        ; implicit-def: $vgpr0_vgpr1
	s_mov_b64 s[2:3], 0
.LBB174_1612:
	s_andn2_b64 s[6:7], s[6:7], exec
	s_and_b64 s[8:9], s[16:17], exec
	s_and_b64 s[0:1], s[0:1], exec
	;; [unrolled: 1-line block ×3, first 2 shown]
	s_or_b64 s[6:7], s[6:7], s[8:9]
.LBB174_1613:
	s_or_b64 exec, exec, s[4:5]
	s_and_saveexec_b64 s[4:5], s[6:7]
	s_cbranch_execz .LBB174_1616
; %bb.1614:
	; divergent unreachable
	s_or_b64 exec, exec, s[4:5]
	s_and_saveexec_b64 s[4:5], s[2:3]
	s_xor_b64 s[2:3], exec, s[4:5]
	s_cbranch_execnz .LBB174_1617
.LBB174_1615:
	s_or_b64 exec, exec, s[2:3]
	s_and_saveexec_b64 s[2:3], s[0:1]
	s_cbranch_execnz .LBB174_1618
	s_branch .LBB174_1655
.LBB174_1616:
	s_or_b64 exec, exec, s[4:5]
	s_and_saveexec_b64 s[4:5], s[2:3]
	s_xor_b64 s[2:3], exec, s[4:5]
	s_cbranch_execz .LBB174_1615
.LBB174_1617:
	v_cndmask_b32_e64 v2, 0, 1, s[22:23]
	global_store_byte v[0:1], v2, off
	s_or_b64 exec, exec, s[2:3]
	s_and_saveexec_b64 s[2:3], s[0:1]
	s_cbranch_execz .LBB174_1655
.LBB174_1618:
	s_sext_i32_i16 s2, s28
	s_cmp_lt_i32 s2, 5
	s_mov_b64 s[0:1], -1
	s_cbranch_scc1 .LBB174_1639
; %bb.1619:
	s_cmp_lt_i32 s2, 8
	s_cbranch_scc1 .LBB174_1629
; %bb.1620:
	s_cmp_lt_i32 s2, 9
	s_cbranch_scc1 .LBB174_1626
; %bb.1621:
	s_cmp_gt_i32 s2, 9
	s_cbranch_scc0 .LBB174_1623
; %bb.1622:
	v_cndmask_b32_e64 v2, 0, 1, s[22:23]
	s_waitcnt vmcnt(0)
	v_cvt_f64_u32_e32 v[2:3], v2
	v_mov_b32_e32 v4, 0
	v_mov_b32_e32 v5, v4
	s_mov_b64 s[0:1], 0
	global_store_dwordx4 v[0:1], v[2:5], off
.LBB174_1623:
	s_andn2_b64 vcc, exec, s[0:1]
	s_cbranch_vccnz .LBB174_1625
; %bb.1624:
	v_cndmask_b32_e64 v2, 0, 1.0, s[22:23]
	s_waitcnt vmcnt(0)
	v_mov_b32_e32 v3, 0
	global_store_dwordx2 v[0:1], v[2:3], off
.LBB174_1625:
	s_mov_b64 s[0:1], 0
.LBB174_1626:
	s_andn2_b64 vcc, exec, s[0:1]
	s_cbranch_vccnz .LBB174_1628
; %bb.1627:
	v_cndmask_b32_e64 v2, 0, 1.0, s[22:23]
	v_cvt_f16_f32_e32 v2, v2
	global_store_dword v[0:1], v2, off
.LBB174_1628:
	s_mov_b64 s[0:1], 0
.LBB174_1629:
	s_andn2_b64 vcc, exec, s[0:1]
	s_cbranch_vccnz .LBB174_1638
; %bb.1630:
	s_sext_i32_i16 s2, s28
	s_cmp_lt_i32 s2, 6
	s_mov_b64 s[0:1], -1
	s_cbranch_scc1 .LBB174_1636
; %bb.1631:
	s_cmp_gt_i32 s2, 6
	s_cbranch_scc0 .LBB174_1633
; %bb.1632:
	v_cndmask_b32_e64 v2, 0, 1, s[22:23]
	s_waitcnt vmcnt(0)
	v_cvt_f64_u32_e32 v[2:3], v2
	s_mov_b64 s[0:1], 0
	global_store_dwordx2 v[0:1], v[2:3], off
.LBB174_1633:
	s_andn2_b64 vcc, exec, s[0:1]
	s_cbranch_vccnz .LBB174_1635
; %bb.1634:
	v_cndmask_b32_e64 v2, 0, 1.0, s[22:23]
	global_store_dword v[0:1], v2, off
.LBB174_1635:
	s_mov_b64 s[0:1], 0
.LBB174_1636:
	s_andn2_b64 vcc, exec, s[0:1]
	s_cbranch_vccnz .LBB174_1638
; %bb.1637:
	v_cndmask_b32_e64 v2, 0, 1.0, s[22:23]
	v_cvt_f16_f32_e32 v2, v2
	global_store_short v[0:1], v2, off
.LBB174_1638:
	s_mov_b64 s[0:1], 0
.LBB174_1639:
	s_andn2_b64 vcc, exec, s[0:1]
	s_cbranch_vccnz .LBB174_1655
; %bb.1640:
	s_sext_i32_i16 s2, s28
	s_cmp_lt_i32 s2, 2
	s_mov_b64 s[0:1], -1
	s_cbranch_scc1 .LBB174_1650
; %bb.1641:
	s_cmp_lt_i32 s2, 3
	s_cbranch_scc1 .LBB174_1647
; %bb.1642:
	s_cmp_gt_i32 s2, 3
	s_cbranch_scc0 .LBB174_1644
; %bb.1643:
	s_mov_b32 s0, 0
	v_cndmask_b32_e64 v2, 0, 1, s[22:23]
	s_waitcnt vmcnt(0)
	v_mov_b32_e32 v3, s0
	global_store_dwordx2 v[0:1], v[2:3], off
	s_mov_b64 s[0:1], 0
.LBB174_1644:
	s_andn2_b64 vcc, exec, s[0:1]
	s_cbranch_vccnz .LBB174_1646
; %bb.1645:
	v_cndmask_b32_e64 v2, 0, 1, s[22:23]
	global_store_dword v[0:1], v2, off
.LBB174_1646:
	s_mov_b64 s[0:1], 0
.LBB174_1647:
	s_andn2_b64 vcc, exec, s[0:1]
	s_cbranch_vccnz .LBB174_1649
; %bb.1648:
	v_cndmask_b32_e64 v2, 0, 1, s[22:23]
	global_store_short v[0:1], v2, off
.LBB174_1649:
	s_mov_b64 s[0:1], 0
.LBB174_1650:
	s_andn2_b64 vcc, exec, s[0:1]
	s_cbranch_vccnz .LBB174_1655
; %bb.1651:
	s_sext_i32_i16 s2, s28
	s_mov_b64 s[0:1], -1
	s_cmp_gt_i32 s2, 0
	v_cndmask_b32_e64 v2, 0, 1, s[22:23]
	s_cbranch_scc0 .LBB174_1653
; %bb.1652:
	global_store_byte v[0:1], v2, off
	s_mov_b64 s[0:1], 0
.LBB174_1653:
	s_andn2_b64 vcc, exec, s[0:1]
	s_cbranch_vccnz .LBB174_1655
; %bb.1654:
	global_store_byte v[0:1], v2, off
	s_endpgm
.LBB174_1655:
	s_endpgm
.LBB174_1656:
	s_mov_b64 s[0:1], -1
                                        ; implicit-def: $sgpr22_sgpr23
.LBB174_1657:
	s_andn2_b64 vcc, exec, s[0:1]
	s_cbranch_vccnz .LBB174_1659
; %bb.1658:
	v_and_b32_e32 v1, 0xffff0000, v4
	s_and_b32 s0, s15, 0xffff0000
	s_lshl_b32 s1, s15, 16
	v_cmp_eq_f32_e32 vcc, s1, v0
	v_cmp_eq_f32_e64 s[0:1], s0, v1
	s_and_b64 s[0:1], vcc, s[0:1]
	s_andn2_b64 s[10:11], s[22:23], exec
	s_and_b64 s[0:1], s[0:1], exec
	s_or_b64 s[22:23], s[10:11], s[0:1]
.LBB174_1659:
	v_mul_lo_u32 v2, s12, v2
	v_mov_b32_e32 v1, s9
	s_and_b32 s28, s33, 0xff
	s_cmp_lt_i32 s28, 11
	v_ashrrev_i32_e32 v3, 31, v2
	v_add_co_u32_e32 v0, vcc, s8, v2
	v_addc_co_u32_e32 v1, vcc, v1, v3, vcc
	s_cbranch_scc1 .LBB174_1737
; %bb.1660:
	s_and_b32 s13, 0xffff, s28
	s_mov_b64 s[24:25], -1
	s_mov_b64 s[10:11], 0
	s_cmp_gt_i32 s13, 25
	s_mov_b64 s[14:15], 0
	s_mov_b64 s[0:1], 0
	s_cbranch_scc0 .LBB174_1693
; %bb.1661:
	s_cmp_gt_i32 s13, 28
	s_cbranch_scc0 .LBB174_1676
; %bb.1662:
	s_cmp_gt_i32 s13, 43
	;; [unrolled: 3-line block ×3, first 2 shown]
	s_cbranch_scc0 .LBB174_1666
; %bb.1664:
	s_mov_b64 s[0:1], -1
	s_mov_b64 s[24:25], 0
	s_cmp_eq_u32 s13, 46
	s_cbranch_scc0 .LBB174_1666
; %bb.1665:
	v_cndmask_b32_e64 v3, 0, 1.0, s[2:3]
	v_bfe_u32 v4, v3, 16, 1
	s_movk_i32 s0, 0x7fff
	v_add3_u32 v3, v3, v4, s0
	v_lshrrev_b32_e32 v3, 16, v3
	global_store_dword v[0:1], v3, off
	s_mov_b64 s[0:1], 0
	s_mov_b64 s[14:15], -1
.LBB174_1666:
	s_and_b64 vcc, exec, s[24:25]
	s_cbranch_vccz .LBB174_1671
; %bb.1667:
	s_cmp_eq_u32 s13, 44
	s_mov_b64 s[0:1], -1
	s_cbranch_scc0 .LBB174_1671
; %bb.1668:
	v_cndmask_b32_e64 v4, 0, 1.0, s[2:3]
	v_lshrrev_b32_e32 v3, 23, v4
	s_movk_i32 s0, 0xff
	v_cmp_ne_u32_e32 vcc, s0, v3
	v_mov_b32_e32 v5, 0xff
	s_and_saveexec_b64 s[14:15], vcc
; %bb.1669:
	s_mov_b32 s0, 0x3fffff
	v_and_b32_e32 v5, 0x400000, v4
	v_and_or_b32 v4, v4, s0, v3
	v_cmp_ne_u32_e32 vcc, 0, v5
	v_cmp_ne_u32_e64 s[0:1], 0, v4
	s_and_b64 s[0:1], vcc, s[0:1]
	v_cndmask_b32_e64 v4, 0, 1, s[0:1]
	v_add_u32_e32 v5, v3, v4
; %bb.1670:
	s_or_b64 exec, exec, s[14:15]
	s_mov_b64 s[0:1], 0
	s_mov_b64 s[14:15], -1
	global_store_byte v[0:1], v5, off
.LBB174_1671:
	s_mov_b64 s[24:25], 0
.LBB174_1672:
	s_and_b64 vcc, exec, s[24:25]
	s_cbranch_vccz .LBB174_1675
; %bb.1673:
	s_cmp_eq_u32 s13, 29
	s_mov_b64 s[0:1], -1
	s_cbranch_scc0 .LBB174_1675
; %bb.1674:
	s_mov_b32 s0, 0
	v_cndmask_b32_e64 v3, 0, 1, s[2:3]
	v_mov_b32_e32 v4, s0
	global_store_dwordx2 v[0:1], v[3:4], off
	s_mov_b64 s[0:1], 0
	s_mov_b64 s[14:15], -1
.LBB174_1675:
	s_mov_b64 s[24:25], 0
.LBB174_1676:
	s_and_b64 vcc, exec, s[24:25]
	s_cbranch_vccz .LBB174_1692
; %bb.1677:
	s_cmp_lt_i32 s13, 27
	s_mov_b64 s[14:15], -1
	s_cbranch_scc1 .LBB174_1683
; %bb.1678:
	s_cmp_gt_i32 s13, 27
	s_cbranch_scc0 .LBB174_1680
; %bb.1679:
	v_cndmask_b32_e64 v3, 0, 1, s[2:3]
	s_mov_b64 s[14:15], 0
	global_store_dword v[0:1], v3, off
.LBB174_1680:
	s_andn2_b64 vcc, exec, s[14:15]
	s_cbranch_vccnz .LBB174_1682
; %bb.1681:
	v_cndmask_b32_e64 v3, 0, 1, s[2:3]
	global_store_short v[0:1], v3, off
.LBB174_1682:
	s_mov_b64 s[14:15], 0
.LBB174_1683:
	s_andn2_b64 vcc, exec, s[14:15]
	s_cbranch_vccnz .LBB174_1691
; %bb.1684:
	v_cndmask_b32_e64 v4, 0, 1.0, s[2:3]
	s_mov_b32 s14, 0x43800000
	v_cmp_gt_u32_e32 vcc, s14, v4
	v_mov_b32_e32 v5, 0x80
	s_and_saveexec_b64 s[14:15], vcc
	s_cbranch_execz .LBB174_1690
; %bb.1685:
	s_mov_b32 s24, 0x3bffffff
	v_cmp_lt_u32_e32 vcc, s24, v4
	s_mov_b64 s[24:25], 0
                                        ; implicit-def: $vgpr3
	s_and_saveexec_b64 s[26:27], vcc
	s_xor_b64 s[26:27], exec, s[26:27]
	s_cbranch_execz .LBB174_2094
; %bb.1686:
	v_bfe_u32 v3, v4, 20, 1
	s_mov_b32 s29, 0x487ffff
	v_add3_u32 v3, v4, v3, s29
	s_mov_b64 s[24:25], exec
	v_lshrrev_b32_e32 v3, 20, v3
                                        ; implicit-def: $vgpr4
	s_andn2_saveexec_b64 s[26:27], s[26:27]
	s_cbranch_execnz .LBB174_2095
.LBB174_1687:
	s_or_b64 exec, exec, s[26:27]
	v_mov_b32_e32 v5, 0
	s_and_saveexec_b64 s[26:27], s[24:25]
.LBB174_1688:
	v_mov_b32_e32 v5, v3
.LBB174_1689:
	s_or_b64 exec, exec, s[26:27]
.LBB174_1690:
	s_or_b64 exec, exec, s[14:15]
	global_store_byte v[0:1], v5, off
.LBB174_1691:
	s_mov_b64 s[14:15], -1
.LBB174_1692:
	s_mov_b64 s[24:25], 0
.LBB174_1693:
	s_and_b64 vcc, exec, s[24:25]
	s_cbranch_vccz .LBB174_1733
; %bb.1694:
	s_cmp_gt_i32 s13, 22
	s_mov_b64 s[10:11], -1
	s_cbranch_scc0 .LBB174_1726
; %bb.1695:
	s_cmp_lt_i32 s13, 24
	s_cbranch_scc1 .LBB174_1715
; %bb.1696:
	s_cmp_gt_i32 s13, 24
	s_cbranch_scc0 .LBB174_1704
; %bb.1697:
	v_cndmask_b32_e64 v4, 0, 1.0, s[2:3]
	s_mov_b32 s10, 0x47800000
	v_cmp_gt_u32_e32 vcc, s10, v4
	v_mov_b32_e32 v5, 0x80
	s_and_saveexec_b64 s[10:11], vcc
	s_cbranch_execz .LBB174_1703
; %bb.1698:
	s_mov_b32 s14, 0x37ffffff
	v_cmp_lt_u32_e32 vcc, s14, v4
	s_mov_b64 s[14:15], 0
                                        ; implicit-def: $vgpr3
	s_and_saveexec_b64 s[24:25], vcc
	s_xor_b64 s[24:25], exec, s[24:25]
	s_cbranch_execz .LBB174_2097
; %bb.1699:
	v_bfe_u32 v3, v4, 21, 1
	s_mov_b32 s26, 0x88fffff
	v_add3_u32 v3, v4, v3, s26
	s_mov_b64 s[14:15], exec
	v_lshrrev_b32_e32 v3, 21, v3
                                        ; implicit-def: $vgpr4
	s_andn2_saveexec_b64 s[24:25], s[24:25]
	s_cbranch_execnz .LBB174_2098
.LBB174_1700:
	s_or_b64 exec, exec, s[24:25]
	v_mov_b32_e32 v5, 0
	s_and_saveexec_b64 s[24:25], s[14:15]
.LBB174_1701:
	v_mov_b32_e32 v5, v3
.LBB174_1702:
	s_or_b64 exec, exec, s[24:25]
.LBB174_1703:
	s_or_b64 exec, exec, s[10:11]
	s_mov_b64 s[10:11], 0
	global_store_byte v[0:1], v5, off
.LBB174_1704:
	s_and_b64 vcc, exec, s[10:11]
	s_cbranch_vccz .LBB174_1714
; %bb.1705:
	v_cndmask_b32_e64 v3, 0, 1.0, s[2:3]
	s_mov_b32 s10, 0x43f00000
	v_cmp_gt_u32_e32 vcc, s10, v3
                                        ; implicit-def: $vgpr4
	s_and_saveexec_b64 s[10:11], vcc
	s_xor_b64 s[10:11], exec, s[10:11]
	s_cbranch_execz .LBB174_1711
; %bb.1706:
	s_mov_b32 s14, 0x3c7fffff
	v_cmp_lt_u32_e32 vcc, s14, v3
                                        ; implicit-def: $vgpr4
	s_and_saveexec_b64 s[14:15], vcc
	s_xor_b64 s[14:15], exec, s[14:15]
; %bb.1707:
	v_bfe_u32 v4, v3, 20, 1
	s_mov_b32 s24, 0x407ffff
	v_add3_u32 v3, v3, v4, s24
	v_lshrrev_b32_e32 v4, 20, v3
	v_and_b32_e32 v3, 0xff00000, v3
	s_mov_b32 s24, 0x7f00000
	v_mov_b32_e32 v5, 0x7e
	v_cmp_ne_u32_e32 vcc, s24, v3
	v_cndmask_b32_e32 v4, v5, v4, vcc
                                        ; implicit-def: $vgpr3
; %bb.1708:
	s_andn2_saveexec_b64 s[14:15], s[14:15]
; %bb.1709:
	v_add_f32_e32 v4, 0x46800000, v3
; %bb.1710:
	s_or_b64 exec, exec, s[14:15]
                                        ; implicit-def: $vgpr3
.LBB174_1711:
	s_andn2_saveexec_b64 s[10:11], s[10:11]
; %bb.1712:
	s_mov_b32 s14, 0x7f800000
	v_mov_b32_e32 v4, 0x7e
	v_mov_b32_e32 v5, 0x7f
	v_cmp_lt_u32_e32 vcc, s14, v3
	v_cndmask_b32_e32 v4, v4, v5, vcc
; %bb.1713:
	s_or_b64 exec, exec, s[10:11]
	global_store_byte v[0:1], v4, off
.LBB174_1714:
	s_mov_b64 s[10:11], 0
.LBB174_1715:
	s_andn2_b64 vcc, exec, s[10:11]
	s_cbranch_vccnz .LBB174_1725
; %bb.1716:
	v_cndmask_b32_e64 v3, 0, 1.0, s[2:3]
	s_mov_b32 s10, 0x47800000
	v_cmp_gt_u32_e32 vcc, s10, v3
                                        ; implicit-def: $vgpr4
	s_and_saveexec_b64 s[10:11], vcc
	s_xor_b64 s[10:11], exec, s[10:11]
	s_cbranch_execz .LBB174_1722
; %bb.1717:
	s_mov_b32 s14, 0x387fffff
	v_cmp_lt_u32_e32 vcc, s14, v3
                                        ; implicit-def: $vgpr4
	s_and_saveexec_b64 s[14:15], vcc
	s_xor_b64 s[14:15], exec, s[14:15]
; %bb.1718:
	v_bfe_u32 v4, v3, 21, 1
	s_mov_b32 s24, 0x80fffff
	v_add3_u32 v3, v3, v4, s24
	v_lshrrev_b32_e32 v4, 21, v3
                                        ; implicit-def: $vgpr3
; %bb.1719:
	s_andn2_saveexec_b64 s[14:15], s[14:15]
; %bb.1720:
	v_add_f32_e32 v4, 0x43000000, v3
; %bb.1721:
	s_or_b64 exec, exec, s[14:15]
                                        ; implicit-def: $vgpr3
.LBB174_1722:
	s_andn2_saveexec_b64 s[10:11], s[10:11]
; %bb.1723:
	s_mov_b32 s14, 0x7f800000
	v_mov_b32_e32 v4, 0x7c
	v_mov_b32_e32 v5, 0x7f
	v_cmp_lt_u32_e32 vcc, s14, v3
	v_cndmask_b32_e32 v4, v4, v5, vcc
; %bb.1724:
	s_or_b64 exec, exec, s[10:11]
	global_store_byte v[0:1], v4, off
.LBB174_1725:
	s_mov_b64 s[10:11], 0
	s_mov_b64 s[14:15], -1
.LBB174_1726:
	s_andn2_b64 vcc, exec, s[10:11]
	s_mov_b64 s[10:11], 0
	s_cbranch_vccnz .LBB174_1733
; %bb.1727:
	s_cmp_gt_i32 s13, 14
	s_mov_b64 s[24:25], -1
	s_cbranch_scc0 .LBB174_1731
; %bb.1728:
	s_cmp_eq_u32 s13, 15
	s_mov_b64 s[0:1], -1
	s_cbranch_scc0 .LBB174_1730
; %bb.1729:
	v_cndmask_b32_e64 v3, 0, 1.0, s[2:3]
	v_bfe_u32 v4, v3, 16, 1
	s_movk_i32 s0, 0x7fff
	v_add3_u32 v3, v3, v4, s0
	global_store_short_d16_hi v[0:1], v3, off
	s_mov_b64 s[0:1], 0
	s_mov_b64 s[14:15], -1
.LBB174_1730:
	s_mov_b64 s[24:25], 0
.LBB174_1731:
	s_and_b64 vcc, exec, s[24:25]
	s_cbranch_vccz .LBB174_1733
; %bb.1732:
	s_cmp_lg_u32 s13, 11
	s_mov_b64 s[10:11], -1
	s_cselect_b64 s[0:1], -1, 0
.LBB174_1733:
	s_and_b64 vcc, exec, s[0:1]
	s_cbranch_vccnz .LBB174_2096
; %bb.1734:
	s_andn2_b64 vcc, exec, s[10:11]
	s_cbranch_vccnz .LBB174_1736
.LBB174_1735:
	v_cndmask_b32_e64 v3, 0, 1, s[2:3]
	s_mov_b64 s[14:15], -1
	global_store_byte v[0:1], v3, off
.LBB174_1736:
	s_mov_b64 s[0:1], 0
	s_branch .LBB174_1738
.LBB174_1737:
	s_mov_b64 s[0:1], -1
	s_mov_b64 s[14:15], 0
.LBB174_1738:
	s_and_b64 vcc, exec, s[0:1]
	s_cbranch_vccz .LBB174_1777
; %bb.1739:
	s_and_b32 s10, 0xffff, s28
	s_cmp_lt_i32 s10, 5
	s_mov_b64 s[0:1], -1
	s_cbranch_scc1 .LBB174_1760
; %bb.1740:
	s_cmp_lt_i32 s10, 8
	s_cbranch_scc1 .LBB174_1750
; %bb.1741:
	s_cmp_lt_i32 s10, 9
	s_cbranch_scc1 .LBB174_1747
; %bb.1742:
	s_cmp_gt_i32 s10, 9
	s_cbranch_scc0 .LBB174_1744
; %bb.1743:
	v_cndmask_b32_e64 v3, 0, 1, s[2:3]
	v_cvt_f64_u32_e32 v[3:4], v3
	v_mov_b32_e32 v5, 0
	v_mov_b32_e32 v6, v5
	s_mov_b64 s[0:1], 0
	global_store_dwordx4 v[0:1], v[3:6], off
.LBB174_1744:
	s_andn2_b64 vcc, exec, s[0:1]
	s_cbranch_vccnz .LBB174_1746
; %bb.1745:
	v_cndmask_b32_e64 v3, 0, 1.0, s[2:3]
	v_mov_b32_e32 v4, 0
	global_store_dwordx2 v[0:1], v[3:4], off
.LBB174_1746:
	s_mov_b64 s[0:1], 0
.LBB174_1747:
	s_andn2_b64 vcc, exec, s[0:1]
	s_cbranch_vccnz .LBB174_1749
; %bb.1748:
	v_cndmask_b32_e64 v3, 0, 1.0, s[2:3]
	v_cvt_f16_f32_e32 v3, v3
	global_store_dword v[0:1], v3, off
.LBB174_1749:
	s_mov_b64 s[0:1], 0
.LBB174_1750:
	s_andn2_b64 vcc, exec, s[0:1]
	s_cbranch_vccnz .LBB174_1759
; %bb.1751:
	s_cmp_lt_i32 s10, 6
	s_mov_b64 s[0:1], -1
	s_cbranch_scc1 .LBB174_1757
; %bb.1752:
	s_cmp_gt_i32 s10, 6
	s_cbranch_scc0 .LBB174_1754
; %bb.1753:
	v_cndmask_b32_e64 v3, 0, 1, s[2:3]
	v_cvt_f64_u32_e32 v[3:4], v3
	s_mov_b64 s[0:1], 0
	global_store_dwordx2 v[0:1], v[3:4], off
.LBB174_1754:
	s_andn2_b64 vcc, exec, s[0:1]
	s_cbranch_vccnz .LBB174_1756
; %bb.1755:
	v_cndmask_b32_e64 v3, 0, 1.0, s[2:3]
	global_store_dword v[0:1], v3, off
.LBB174_1756:
	s_mov_b64 s[0:1], 0
.LBB174_1757:
	s_andn2_b64 vcc, exec, s[0:1]
	s_cbranch_vccnz .LBB174_1759
; %bb.1758:
	v_cndmask_b32_e64 v3, 0, 1.0, s[2:3]
	v_cvt_f16_f32_e32 v3, v3
	global_store_short v[0:1], v3, off
.LBB174_1759:
	s_mov_b64 s[0:1], 0
.LBB174_1760:
	s_andn2_b64 vcc, exec, s[0:1]
	s_cbranch_vccnz .LBB174_1776
; %bb.1761:
	s_cmp_lt_i32 s10, 2
	s_mov_b64 s[0:1], -1
	s_cbranch_scc1 .LBB174_1771
; %bb.1762:
	s_cmp_lt_i32 s10, 3
	s_cbranch_scc1 .LBB174_1768
; %bb.1763:
	s_cmp_gt_i32 s10, 3
	s_cbranch_scc0 .LBB174_1765
; %bb.1764:
	s_mov_b32 s0, 0
	v_cndmask_b32_e64 v3, 0, 1, s[2:3]
	v_mov_b32_e32 v4, s0
	global_store_dwordx2 v[0:1], v[3:4], off
	s_mov_b64 s[0:1], 0
.LBB174_1765:
	s_andn2_b64 vcc, exec, s[0:1]
	s_cbranch_vccnz .LBB174_1767
; %bb.1766:
	v_cndmask_b32_e64 v3, 0, 1, s[2:3]
	global_store_dword v[0:1], v3, off
.LBB174_1767:
	s_mov_b64 s[0:1], 0
.LBB174_1768:
	s_andn2_b64 vcc, exec, s[0:1]
	s_cbranch_vccnz .LBB174_1770
; %bb.1769:
	v_cndmask_b32_e64 v3, 0, 1, s[2:3]
	global_store_short v[0:1], v3, off
.LBB174_1770:
	s_mov_b64 s[0:1], 0
.LBB174_1771:
	s_andn2_b64 vcc, exec, s[0:1]
	s_cbranch_vccnz .LBB174_1776
; %bb.1772:
	s_mov_b64 s[0:1], -1
	s_cmp_gt_i32 s10, 0
	v_cndmask_b32_e64 v3, 0, 1, s[2:3]
	s_cbranch_scc0 .LBB174_1774
; %bb.1773:
	global_store_byte v[0:1], v3, off
	s_mov_b64 s[0:1], 0
.LBB174_1774:
	s_andn2_b64 vcc, exec, s[0:1]
	s_cbranch_vccnz .LBB174_1776
; %bb.1775:
	global_store_byte v[0:1], v3, off
.LBB174_1776:
	s_mov_b64 s[14:15], -1
.LBB174_1777:
	s_andn2_b64 vcc, exec, s[14:15]
	s_cbranch_vccnz .LBB174_2092
; %bb.1778:
	s_lshl_b32 s24, s12, 7
	v_add_u32_e32 v2, s24, v2
	v_ashrrev_i32_e32 v1, 31, v2
	v_mov_b32_e32 v3, s9
	v_add_co_u32_e32 v0, vcc, s8, v2
	s_cmp_lt_i32 s28, 11
	v_addc_co_u32_e32 v1, vcc, v3, v1, vcc
	s_cbranch_scc1 .LBB174_1856
; %bb.1779:
	s_and_b32 s25, 0xffff, s28
	s_mov_b64 s[12:13], -1
	s_mov_b64 s[2:3], 0
	s_cmp_gt_i32 s25, 25
	s_mov_b64 s[10:11], 0
	s_mov_b64 s[0:1], 0
	s_cbranch_scc0 .LBB174_1812
; %bb.1780:
	s_cmp_gt_i32 s25, 28
	s_cbranch_scc0 .LBB174_1795
; %bb.1781:
	s_cmp_gt_i32 s25, 43
	;; [unrolled: 3-line block ×3, first 2 shown]
	s_cbranch_scc0 .LBB174_1785
; %bb.1783:
	s_mov_b64 s[0:1], -1
	s_mov_b64 s[12:13], 0
	s_cmp_eq_u32 s25, 46
	s_cbranch_scc0 .LBB174_1785
; %bb.1784:
	v_cndmask_b32_e64 v3, 0, 1.0, s[18:19]
	v_bfe_u32 v4, v3, 16, 1
	s_movk_i32 s0, 0x7fff
	v_add3_u32 v3, v3, v4, s0
	v_lshrrev_b32_e32 v3, 16, v3
	global_store_dword v[0:1], v3, off
	s_mov_b64 s[0:1], 0
	s_mov_b64 s[10:11], -1
.LBB174_1785:
	s_and_b64 vcc, exec, s[12:13]
	s_cbranch_vccz .LBB174_1790
; %bb.1786:
	s_cmp_eq_u32 s25, 44
	s_mov_b64 s[0:1], -1
	s_cbranch_scc0 .LBB174_1790
; %bb.1787:
	v_cndmask_b32_e64 v4, 0, 1.0, s[18:19]
	v_lshrrev_b32_e32 v3, 23, v4
	s_movk_i32 s0, 0xff
	v_cmp_ne_u32_e32 vcc, s0, v3
	v_mov_b32_e32 v5, 0xff
	s_and_saveexec_b64 s[10:11], vcc
; %bb.1788:
	s_mov_b32 s0, 0x3fffff
	v_and_b32_e32 v5, 0x400000, v4
	v_and_or_b32 v4, v4, s0, v3
	v_cmp_ne_u32_e32 vcc, 0, v5
	v_cmp_ne_u32_e64 s[0:1], 0, v4
	s_and_b64 s[0:1], vcc, s[0:1]
	v_cndmask_b32_e64 v4, 0, 1, s[0:1]
	v_add_u32_e32 v5, v3, v4
; %bb.1789:
	s_or_b64 exec, exec, s[10:11]
	s_mov_b64 s[0:1], 0
	s_mov_b64 s[10:11], -1
	global_store_byte v[0:1], v5, off
.LBB174_1790:
	s_mov_b64 s[12:13], 0
.LBB174_1791:
	s_and_b64 vcc, exec, s[12:13]
	s_cbranch_vccz .LBB174_1794
; %bb.1792:
	s_cmp_eq_u32 s25, 29
	s_mov_b64 s[0:1], -1
	s_cbranch_scc0 .LBB174_1794
; %bb.1793:
	s_mov_b32 s0, 0
	v_cndmask_b32_e64 v3, 0, 1, s[18:19]
	v_mov_b32_e32 v4, s0
	global_store_dwordx2 v[0:1], v[3:4], off
	s_mov_b64 s[0:1], 0
	s_mov_b64 s[10:11], -1
.LBB174_1794:
	s_mov_b64 s[12:13], 0
.LBB174_1795:
	s_and_b64 vcc, exec, s[12:13]
	s_cbranch_vccz .LBB174_1811
; %bb.1796:
	s_cmp_lt_i32 s25, 27
	s_mov_b64 s[10:11], -1
	s_cbranch_scc1 .LBB174_1802
; %bb.1797:
	s_cmp_gt_i32 s25, 27
	s_cbranch_scc0 .LBB174_1799
; %bb.1798:
	v_cndmask_b32_e64 v3, 0, 1, s[18:19]
	s_mov_b64 s[10:11], 0
	global_store_dword v[0:1], v3, off
.LBB174_1799:
	s_andn2_b64 vcc, exec, s[10:11]
	s_cbranch_vccnz .LBB174_1801
; %bb.1800:
	v_cndmask_b32_e64 v3, 0, 1, s[18:19]
	global_store_short v[0:1], v3, off
.LBB174_1801:
	s_mov_b64 s[10:11], 0
.LBB174_1802:
	s_andn2_b64 vcc, exec, s[10:11]
	s_cbranch_vccnz .LBB174_1810
; %bb.1803:
	v_cndmask_b32_e64 v4, 0, 1.0, s[18:19]
	s_mov_b32 s10, 0x43800000
	v_cmp_gt_u32_e32 vcc, s10, v4
	v_mov_b32_e32 v5, 0x80
	s_and_saveexec_b64 s[10:11], vcc
	s_cbranch_execz .LBB174_1809
; %bb.1804:
	s_mov_b32 s12, 0x3bffffff
	v_cmp_lt_u32_e32 vcc, s12, v4
	s_mov_b64 s[12:13], 0
                                        ; implicit-def: $vgpr3
	s_and_saveexec_b64 s[14:15], vcc
	s_xor_b64 s[14:15], exec, s[14:15]
	s_cbranch_execz .LBB174_2099
; %bb.1805:
	v_bfe_u32 v3, v4, 20, 1
	s_mov_b32 s26, 0x487ffff
	v_add3_u32 v3, v4, v3, s26
	s_mov_b64 s[12:13], exec
	v_lshrrev_b32_e32 v3, 20, v3
                                        ; implicit-def: $vgpr4
	s_andn2_saveexec_b64 s[14:15], s[14:15]
	s_cbranch_execnz .LBB174_2100
.LBB174_1806:
	s_or_b64 exec, exec, s[14:15]
	v_mov_b32_e32 v5, 0
	s_and_saveexec_b64 s[14:15], s[12:13]
.LBB174_1807:
	v_mov_b32_e32 v5, v3
.LBB174_1808:
	s_or_b64 exec, exec, s[14:15]
.LBB174_1809:
	s_or_b64 exec, exec, s[10:11]
	global_store_byte v[0:1], v5, off
.LBB174_1810:
	s_mov_b64 s[10:11], -1
.LBB174_1811:
	s_mov_b64 s[12:13], 0
.LBB174_1812:
	s_and_b64 vcc, exec, s[12:13]
	s_cbranch_vccz .LBB174_1852
; %bb.1813:
	s_cmp_gt_i32 s25, 22
	s_mov_b64 s[2:3], -1
	s_cbranch_scc0 .LBB174_1845
; %bb.1814:
	s_cmp_lt_i32 s25, 24
	s_cbranch_scc1 .LBB174_1834
; %bb.1815:
	s_cmp_gt_i32 s25, 24
	s_cbranch_scc0 .LBB174_1823
; %bb.1816:
	v_cndmask_b32_e64 v4, 0, 1.0, s[18:19]
	s_mov_b32 s2, 0x47800000
	v_cmp_gt_u32_e32 vcc, s2, v4
	v_mov_b32_e32 v5, 0x80
	s_and_saveexec_b64 s[2:3], vcc
	s_cbranch_execz .LBB174_1822
; %bb.1817:
	s_mov_b32 s10, 0x37ffffff
	v_cmp_lt_u32_e32 vcc, s10, v4
	s_mov_b64 s[10:11], 0
                                        ; implicit-def: $vgpr3
	s_and_saveexec_b64 s[12:13], vcc
	s_xor_b64 s[12:13], exec, s[12:13]
	s_cbranch_execz .LBB174_2102
; %bb.1818:
	v_bfe_u32 v3, v4, 21, 1
	s_mov_b32 s14, 0x88fffff
	v_add3_u32 v3, v4, v3, s14
	s_mov_b64 s[10:11], exec
	v_lshrrev_b32_e32 v3, 21, v3
                                        ; implicit-def: $vgpr4
	s_andn2_saveexec_b64 s[12:13], s[12:13]
	s_cbranch_execnz .LBB174_2103
.LBB174_1819:
	s_or_b64 exec, exec, s[12:13]
	v_mov_b32_e32 v5, 0
	s_and_saveexec_b64 s[12:13], s[10:11]
.LBB174_1820:
	v_mov_b32_e32 v5, v3
.LBB174_1821:
	s_or_b64 exec, exec, s[12:13]
.LBB174_1822:
	s_or_b64 exec, exec, s[2:3]
	s_mov_b64 s[2:3], 0
	global_store_byte v[0:1], v5, off
.LBB174_1823:
	s_and_b64 vcc, exec, s[2:3]
	s_cbranch_vccz .LBB174_1833
; %bb.1824:
	v_cndmask_b32_e64 v3, 0, 1.0, s[18:19]
	s_mov_b32 s2, 0x43f00000
	v_cmp_gt_u32_e32 vcc, s2, v3
                                        ; implicit-def: $vgpr4
	s_and_saveexec_b64 s[2:3], vcc
	s_xor_b64 s[2:3], exec, s[2:3]
	s_cbranch_execz .LBB174_1830
; %bb.1825:
	s_mov_b32 s10, 0x3c7fffff
	v_cmp_lt_u32_e32 vcc, s10, v3
                                        ; implicit-def: $vgpr4
	s_and_saveexec_b64 s[10:11], vcc
	s_xor_b64 s[10:11], exec, s[10:11]
; %bb.1826:
	v_bfe_u32 v4, v3, 20, 1
	s_mov_b32 s12, 0x407ffff
	v_add3_u32 v3, v3, v4, s12
	v_lshrrev_b32_e32 v4, 20, v3
	v_and_b32_e32 v3, 0xff00000, v3
	s_mov_b32 s12, 0x7f00000
	v_mov_b32_e32 v5, 0x7e
	v_cmp_ne_u32_e32 vcc, s12, v3
	v_cndmask_b32_e32 v4, v5, v4, vcc
                                        ; implicit-def: $vgpr3
; %bb.1827:
	s_andn2_saveexec_b64 s[10:11], s[10:11]
; %bb.1828:
	v_add_f32_e32 v4, 0x46800000, v3
; %bb.1829:
	s_or_b64 exec, exec, s[10:11]
                                        ; implicit-def: $vgpr3
.LBB174_1830:
	s_andn2_saveexec_b64 s[2:3], s[2:3]
; %bb.1831:
	s_mov_b32 s10, 0x7f800000
	v_mov_b32_e32 v4, 0x7e
	v_mov_b32_e32 v5, 0x7f
	v_cmp_lt_u32_e32 vcc, s10, v3
	v_cndmask_b32_e32 v4, v4, v5, vcc
; %bb.1832:
	s_or_b64 exec, exec, s[2:3]
	global_store_byte v[0:1], v4, off
.LBB174_1833:
	s_mov_b64 s[2:3], 0
.LBB174_1834:
	s_andn2_b64 vcc, exec, s[2:3]
	s_cbranch_vccnz .LBB174_1844
; %bb.1835:
	v_cndmask_b32_e64 v3, 0, 1.0, s[18:19]
	s_mov_b32 s2, 0x47800000
	v_cmp_gt_u32_e32 vcc, s2, v3
                                        ; implicit-def: $vgpr4
	s_and_saveexec_b64 s[2:3], vcc
	s_xor_b64 s[2:3], exec, s[2:3]
	s_cbranch_execz .LBB174_1841
; %bb.1836:
	s_mov_b32 s10, 0x387fffff
	v_cmp_lt_u32_e32 vcc, s10, v3
                                        ; implicit-def: $vgpr4
	s_and_saveexec_b64 s[10:11], vcc
	s_xor_b64 s[10:11], exec, s[10:11]
; %bb.1837:
	v_bfe_u32 v4, v3, 21, 1
	s_mov_b32 s12, 0x80fffff
	v_add3_u32 v3, v3, v4, s12
	v_lshrrev_b32_e32 v4, 21, v3
                                        ; implicit-def: $vgpr3
; %bb.1838:
	s_andn2_saveexec_b64 s[10:11], s[10:11]
; %bb.1839:
	v_add_f32_e32 v4, 0x43000000, v3
; %bb.1840:
	s_or_b64 exec, exec, s[10:11]
                                        ; implicit-def: $vgpr3
.LBB174_1841:
	s_andn2_saveexec_b64 s[2:3], s[2:3]
; %bb.1842:
	s_mov_b32 s10, 0x7f800000
	v_mov_b32_e32 v4, 0x7c
	v_mov_b32_e32 v5, 0x7f
	v_cmp_lt_u32_e32 vcc, s10, v3
	v_cndmask_b32_e32 v4, v4, v5, vcc
; %bb.1843:
	s_or_b64 exec, exec, s[2:3]
	global_store_byte v[0:1], v4, off
.LBB174_1844:
	s_mov_b64 s[2:3], 0
	s_mov_b64 s[10:11], -1
.LBB174_1845:
	s_andn2_b64 vcc, exec, s[2:3]
	s_mov_b64 s[2:3], 0
	s_cbranch_vccnz .LBB174_1852
; %bb.1846:
	s_cmp_gt_i32 s25, 14
	s_mov_b64 s[12:13], -1
	s_cbranch_scc0 .LBB174_1850
; %bb.1847:
	s_cmp_eq_u32 s25, 15
	s_mov_b64 s[0:1], -1
	s_cbranch_scc0 .LBB174_1849
; %bb.1848:
	v_cndmask_b32_e64 v3, 0, 1.0, s[18:19]
	v_bfe_u32 v4, v3, 16, 1
	s_movk_i32 s0, 0x7fff
	v_add3_u32 v3, v3, v4, s0
	global_store_short_d16_hi v[0:1], v3, off
	s_mov_b64 s[0:1], 0
	s_mov_b64 s[10:11], -1
.LBB174_1849:
	s_mov_b64 s[12:13], 0
.LBB174_1850:
	s_and_b64 vcc, exec, s[12:13]
	s_cbranch_vccz .LBB174_1852
; %bb.1851:
	s_cmp_lg_u32 s25, 11
	s_mov_b64 s[2:3], -1
	s_cselect_b64 s[0:1], -1, 0
.LBB174_1852:
	s_and_b64 vcc, exec, s[0:1]
	s_cbranch_vccnz .LBB174_2101
; %bb.1853:
	s_andn2_b64 vcc, exec, s[2:3]
	s_cbranch_vccnz .LBB174_1855
.LBB174_1854:
	v_cndmask_b32_e64 v3, 0, 1, s[18:19]
	s_mov_b64 s[10:11], -1
	global_store_byte v[0:1], v3, off
.LBB174_1855:
	s_mov_b64 s[0:1], 0
	s_branch .LBB174_1857
.LBB174_1856:
	s_mov_b64 s[0:1], -1
	s_mov_b64 s[10:11], 0
.LBB174_1857:
	s_and_b64 vcc, exec, s[0:1]
	s_cbranch_vccz .LBB174_1896
; %bb.1858:
	s_and_b32 s2, 0xffff, s28
	s_cmp_lt_i32 s2, 5
	s_mov_b64 s[0:1], -1
	s_cbranch_scc1 .LBB174_1879
; %bb.1859:
	s_cmp_lt_i32 s2, 8
	s_cbranch_scc1 .LBB174_1869
; %bb.1860:
	s_cmp_lt_i32 s2, 9
	s_cbranch_scc1 .LBB174_1866
; %bb.1861:
	s_cmp_gt_i32 s2, 9
	s_cbranch_scc0 .LBB174_1863
; %bb.1862:
	v_cndmask_b32_e64 v3, 0, 1, s[18:19]
	v_cvt_f64_u32_e32 v[3:4], v3
	v_mov_b32_e32 v5, 0
	v_mov_b32_e32 v6, v5
	s_mov_b64 s[0:1], 0
	global_store_dwordx4 v[0:1], v[3:6], off
.LBB174_1863:
	s_andn2_b64 vcc, exec, s[0:1]
	s_cbranch_vccnz .LBB174_1865
; %bb.1864:
	v_cndmask_b32_e64 v3, 0, 1.0, s[18:19]
	v_mov_b32_e32 v4, 0
	global_store_dwordx2 v[0:1], v[3:4], off
.LBB174_1865:
	s_mov_b64 s[0:1], 0
.LBB174_1866:
	s_andn2_b64 vcc, exec, s[0:1]
	s_cbranch_vccnz .LBB174_1868
; %bb.1867:
	v_cndmask_b32_e64 v3, 0, 1.0, s[18:19]
	v_cvt_f16_f32_e32 v3, v3
	global_store_dword v[0:1], v3, off
.LBB174_1868:
	s_mov_b64 s[0:1], 0
.LBB174_1869:
	s_andn2_b64 vcc, exec, s[0:1]
	s_cbranch_vccnz .LBB174_1878
; %bb.1870:
	s_cmp_lt_i32 s2, 6
	s_mov_b64 s[0:1], -1
	s_cbranch_scc1 .LBB174_1876
; %bb.1871:
	s_cmp_gt_i32 s2, 6
	s_cbranch_scc0 .LBB174_1873
; %bb.1872:
	v_cndmask_b32_e64 v3, 0, 1, s[18:19]
	v_cvt_f64_u32_e32 v[3:4], v3
	s_mov_b64 s[0:1], 0
	global_store_dwordx2 v[0:1], v[3:4], off
.LBB174_1873:
	s_andn2_b64 vcc, exec, s[0:1]
	s_cbranch_vccnz .LBB174_1875
; %bb.1874:
	v_cndmask_b32_e64 v3, 0, 1.0, s[18:19]
	global_store_dword v[0:1], v3, off
.LBB174_1875:
	s_mov_b64 s[0:1], 0
.LBB174_1876:
	s_andn2_b64 vcc, exec, s[0:1]
	s_cbranch_vccnz .LBB174_1878
; %bb.1877:
	v_cndmask_b32_e64 v3, 0, 1.0, s[18:19]
	v_cvt_f16_f32_e32 v3, v3
	global_store_short v[0:1], v3, off
.LBB174_1878:
	s_mov_b64 s[0:1], 0
.LBB174_1879:
	s_andn2_b64 vcc, exec, s[0:1]
	s_cbranch_vccnz .LBB174_1895
; %bb.1880:
	s_cmp_lt_i32 s2, 2
	s_mov_b64 s[0:1], -1
	s_cbranch_scc1 .LBB174_1890
; %bb.1881:
	s_cmp_lt_i32 s2, 3
	s_cbranch_scc1 .LBB174_1887
; %bb.1882:
	s_cmp_gt_i32 s2, 3
	s_cbranch_scc0 .LBB174_1884
; %bb.1883:
	s_mov_b32 s0, 0
	v_cndmask_b32_e64 v3, 0, 1, s[18:19]
	v_mov_b32_e32 v4, s0
	global_store_dwordx2 v[0:1], v[3:4], off
	s_mov_b64 s[0:1], 0
.LBB174_1884:
	s_andn2_b64 vcc, exec, s[0:1]
	s_cbranch_vccnz .LBB174_1886
; %bb.1885:
	v_cndmask_b32_e64 v3, 0, 1, s[18:19]
	global_store_dword v[0:1], v3, off
.LBB174_1886:
	s_mov_b64 s[0:1], 0
.LBB174_1887:
	s_andn2_b64 vcc, exec, s[0:1]
	s_cbranch_vccnz .LBB174_1889
; %bb.1888:
	v_cndmask_b32_e64 v3, 0, 1, s[18:19]
	global_store_short v[0:1], v3, off
.LBB174_1889:
	s_mov_b64 s[0:1], 0
.LBB174_1890:
	s_andn2_b64 vcc, exec, s[0:1]
	s_cbranch_vccnz .LBB174_1895
; %bb.1891:
	s_mov_b64 s[0:1], -1
	s_cmp_gt_i32 s2, 0
	v_cndmask_b32_e64 v3, 0, 1, s[18:19]
	s_cbranch_scc0 .LBB174_1893
; %bb.1892:
	global_store_byte v[0:1], v3, off
	s_mov_b64 s[0:1], 0
.LBB174_1893:
	s_andn2_b64 vcc, exec, s[0:1]
	s_cbranch_vccnz .LBB174_1895
; %bb.1894:
	global_store_byte v[0:1], v3, off
.LBB174_1895:
	s_mov_b64 s[10:11], -1
.LBB174_1896:
	s_andn2_b64 vcc, exec, s[10:11]
	s_cbranch_vccnz .LBB174_2092
; %bb.1897:
	v_add_u32_e32 v2, s24, v2
	v_ashrrev_i32_e32 v1, 31, v2
	v_mov_b32_e32 v3, s9
	v_add_co_u32_e32 v0, vcc, s8, v2
	s_cmp_lt_i32 s28, 11
	v_addc_co_u32_e32 v1, vcc, v3, v1, vcc
	s_cbranch_scc1 .LBB174_1975
; %bb.1898:
	s_and_b32 s18, 0xffff, s28
	s_mov_b64 s[12:13], -1
	s_mov_b64 s[2:3], 0
	s_cmp_gt_i32 s18, 25
	s_mov_b64 s[10:11], 0
	s_mov_b64 s[0:1], 0
	s_cbranch_scc0 .LBB174_1931
; %bb.1899:
	s_cmp_gt_i32 s18, 28
	s_cbranch_scc0 .LBB174_1914
; %bb.1900:
	s_cmp_gt_i32 s18, 43
	;; [unrolled: 3-line block ×3, first 2 shown]
	s_cbranch_scc0 .LBB174_1904
; %bb.1902:
	s_mov_b64 s[0:1], -1
	s_mov_b64 s[12:13], 0
	s_cmp_eq_u32 s18, 46
	s_cbranch_scc0 .LBB174_1904
; %bb.1903:
	v_cndmask_b32_e64 v3, 0, 1.0, s[20:21]
	v_bfe_u32 v4, v3, 16, 1
	s_movk_i32 s0, 0x7fff
	v_add3_u32 v3, v3, v4, s0
	v_lshrrev_b32_e32 v3, 16, v3
	global_store_dword v[0:1], v3, off
	s_mov_b64 s[0:1], 0
	s_mov_b64 s[10:11], -1
.LBB174_1904:
	s_and_b64 vcc, exec, s[12:13]
	s_cbranch_vccz .LBB174_1909
; %bb.1905:
	s_cmp_eq_u32 s18, 44
	s_mov_b64 s[0:1], -1
	s_cbranch_scc0 .LBB174_1909
; %bb.1906:
	v_cndmask_b32_e64 v4, 0, 1.0, s[20:21]
	v_lshrrev_b32_e32 v3, 23, v4
	s_movk_i32 s0, 0xff
	v_cmp_ne_u32_e32 vcc, s0, v3
	v_mov_b32_e32 v5, 0xff
	s_and_saveexec_b64 s[10:11], vcc
; %bb.1907:
	s_mov_b32 s0, 0x3fffff
	v_and_b32_e32 v5, 0x400000, v4
	v_and_or_b32 v4, v4, s0, v3
	v_cmp_ne_u32_e32 vcc, 0, v5
	v_cmp_ne_u32_e64 s[0:1], 0, v4
	s_and_b64 s[0:1], vcc, s[0:1]
	v_cndmask_b32_e64 v4, 0, 1, s[0:1]
	v_add_u32_e32 v5, v3, v4
; %bb.1908:
	s_or_b64 exec, exec, s[10:11]
	s_mov_b64 s[0:1], 0
	s_mov_b64 s[10:11], -1
	global_store_byte v[0:1], v5, off
.LBB174_1909:
	s_mov_b64 s[12:13], 0
.LBB174_1910:
	s_and_b64 vcc, exec, s[12:13]
	s_cbranch_vccz .LBB174_1913
; %bb.1911:
	s_cmp_eq_u32 s18, 29
	s_mov_b64 s[0:1], -1
	s_cbranch_scc0 .LBB174_1913
; %bb.1912:
	s_mov_b32 s0, 0
	v_cndmask_b32_e64 v3, 0, 1, s[20:21]
	v_mov_b32_e32 v4, s0
	global_store_dwordx2 v[0:1], v[3:4], off
	s_mov_b64 s[0:1], 0
	s_mov_b64 s[10:11], -1
.LBB174_1913:
	s_mov_b64 s[12:13], 0
.LBB174_1914:
	s_and_b64 vcc, exec, s[12:13]
	s_cbranch_vccz .LBB174_1930
; %bb.1915:
	s_cmp_lt_i32 s18, 27
	s_mov_b64 s[10:11], -1
	s_cbranch_scc1 .LBB174_1921
; %bb.1916:
	s_cmp_gt_i32 s18, 27
	s_cbranch_scc0 .LBB174_1918
; %bb.1917:
	v_cndmask_b32_e64 v3, 0, 1, s[20:21]
	s_mov_b64 s[10:11], 0
	global_store_dword v[0:1], v3, off
.LBB174_1918:
	s_andn2_b64 vcc, exec, s[10:11]
	s_cbranch_vccnz .LBB174_1920
; %bb.1919:
	v_cndmask_b32_e64 v3, 0, 1, s[20:21]
	global_store_short v[0:1], v3, off
.LBB174_1920:
	s_mov_b64 s[10:11], 0
.LBB174_1921:
	s_andn2_b64 vcc, exec, s[10:11]
	s_cbranch_vccnz .LBB174_1929
; %bb.1922:
	v_cndmask_b32_e64 v4, 0, 1.0, s[20:21]
	s_mov_b32 s10, 0x43800000
	v_cmp_gt_u32_e32 vcc, s10, v4
	v_mov_b32_e32 v5, 0x80
	s_and_saveexec_b64 s[10:11], vcc
	s_cbranch_execz .LBB174_1928
; %bb.1923:
	s_mov_b32 s12, 0x3bffffff
	v_cmp_lt_u32_e32 vcc, s12, v4
	s_mov_b64 s[12:13], 0
                                        ; implicit-def: $vgpr3
	s_and_saveexec_b64 s[14:15], vcc
	s_xor_b64 s[14:15], exec, s[14:15]
	s_cbranch_execz .LBB174_2104
; %bb.1924:
	v_bfe_u32 v3, v4, 20, 1
	s_mov_b32 s19, 0x487ffff
	v_add3_u32 v3, v4, v3, s19
	s_mov_b64 s[12:13], exec
	v_lshrrev_b32_e32 v3, 20, v3
                                        ; implicit-def: $vgpr4
	s_andn2_saveexec_b64 s[14:15], s[14:15]
	s_cbranch_execnz .LBB174_2105
.LBB174_1925:
	s_or_b64 exec, exec, s[14:15]
	v_mov_b32_e32 v5, 0
	s_and_saveexec_b64 s[14:15], s[12:13]
.LBB174_1926:
	v_mov_b32_e32 v5, v3
.LBB174_1927:
	s_or_b64 exec, exec, s[14:15]
.LBB174_1928:
	s_or_b64 exec, exec, s[10:11]
	global_store_byte v[0:1], v5, off
.LBB174_1929:
	s_mov_b64 s[10:11], -1
.LBB174_1930:
	s_mov_b64 s[12:13], 0
.LBB174_1931:
	s_and_b64 vcc, exec, s[12:13]
	s_cbranch_vccz .LBB174_1971
; %bb.1932:
	s_cmp_gt_i32 s18, 22
	s_mov_b64 s[2:3], -1
	s_cbranch_scc0 .LBB174_1964
; %bb.1933:
	s_cmp_lt_i32 s18, 24
	s_cbranch_scc1 .LBB174_1953
; %bb.1934:
	s_cmp_gt_i32 s18, 24
	s_cbranch_scc0 .LBB174_1942
; %bb.1935:
	v_cndmask_b32_e64 v4, 0, 1.0, s[20:21]
	s_mov_b32 s2, 0x47800000
	v_cmp_gt_u32_e32 vcc, s2, v4
	v_mov_b32_e32 v5, 0x80
	s_and_saveexec_b64 s[2:3], vcc
	s_cbranch_execz .LBB174_1941
; %bb.1936:
	s_mov_b32 s10, 0x37ffffff
	v_cmp_lt_u32_e32 vcc, s10, v4
	s_mov_b64 s[10:11], 0
                                        ; implicit-def: $vgpr3
	s_and_saveexec_b64 s[12:13], vcc
	s_xor_b64 s[12:13], exec, s[12:13]
	s_cbranch_execz .LBB174_2107
; %bb.1937:
	v_bfe_u32 v3, v4, 21, 1
	s_mov_b32 s14, 0x88fffff
	v_add3_u32 v3, v4, v3, s14
	s_mov_b64 s[10:11], exec
	v_lshrrev_b32_e32 v3, 21, v3
                                        ; implicit-def: $vgpr4
	s_andn2_saveexec_b64 s[12:13], s[12:13]
	s_cbranch_execnz .LBB174_2108
.LBB174_1938:
	s_or_b64 exec, exec, s[12:13]
	v_mov_b32_e32 v5, 0
	s_and_saveexec_b64 s[12:13], s[10:11]
.LBB174_1939:
	v_mov_b32_e32 v5, v3
.LBB174_1940:
	s_or_b64 exec, exec, s[12:13]
.LBB174_1941:
	s_or_b64 exec, exec, s[2:3]
	s_mov_b64 s[2:3], 0
	global_store_byte v[0:1], v5, off
.LBB174_1942:
	s_and_b64 vcc, exec, s[2:3]
	s_cbranch_vccz .LBB174_1952
; %bb.1943:
	v_cndmask_b32_e64 v3, 0, 1.0, s[20:21]
	s_mov_b32 s2, 0x43f00000
	v_cmp_gt_u32_e32 vcc, s2, v3
                                        ; implicit-def: $vgpr4
	s_and_saveexec_b64 s[2:3], vcc
	s_xor_b64 s[2:3], exec, s[2:3]
	s_cbranch_execz .LBB174_1949
; %bb.1944:
	s_mov_b32 s10, 0x3c7fffff
	v_cmp_lt_u32_e32 vcc, s10, v3
                                        ; implicit-def: $vgpr4
	s_and_saveexec_b64 s[10:11], vcc
	s_xor_b64 s[10:11], exec, s[10:11]
; %bb.1945:
	v_bfe_u32 v4, v3, 20, 1
	s_mov_b32 s12, 0x407ffff
	v_add3_u32 v3, v3, v4, s12
	v_lshrrev_b32_e32 v4, 20, v3
	v_and_b32_e32 v3, 0xff00000, v3
	s_mov_b32 s12, 0x7f00000
	v_mov_b32_e32 v5, 0x7e
	v_cmp_ne_u32_e32 vcc, s12, v3
	v_cndmask_b32_e32 v4, v5, v4, vcc
                                        ; implicit-def: $vgpr3
; %bb.1946:
	s_andn2_saveexec_b64 s[10:11], s[10:11]
; %bb.1947:
	v_add_f32_e32 v4, 0x46800000, v3
; %bb.1948:
	s_or_b64 exec, exec, s[10:11]
                                        ; implicit-def: $vgpr3
.LBB174_1949:
	s_andn2_saveexec_b64 s[2:3], s[2:3]
; %bb.1950:
	s_mov_b32 s10, 0x7f800000
	v_mov_b32_e32 v4, 0x7e
	v_mov_b32_e32 v5, 0x7f
	v_cmp_lt_u32_e32 vcc, s10, v3
	v_cndmask_b32_e32 v4, v4, v5, vcc
; %bb.1951:
	s_or_b64 exec, exec, s[2:3]
	global_store_byte v[0:1], v4, off
.LBB174_1952:
	s_mov_b64 s[2:3], 0
.LBB174_1953:
	s_andn2_b64 vcc, exec, s[2:3]
	s_cbranch_vccnz .LBB174_1963
; %bb.1954:
	v_cndmask_b32_e64 v3, 0, 1.0, s[20:21]
	s_mov_b32 s2, 0x47800000
	v_cmp_gt_u32_e32 vcc, s2, v3
                                        ; implicit-def: $vgpr4
	s_and_saveexec_b64 s[2:3], vcc
	s_xor_b64 s[2:3], exec, s[2:3]
	s_cbranch_execz .LBB174_1960
; %bb.1955:
	s_mov_b32 s10, 0x387fffff
	v_cmp_lt_u32_e32 vcc, s10, v3
                                        ; implicit-def: $vgpr4
	s_and_saveexec_b64 s[10:11], vcc
	s_xor_b64 s[10:11], exec, s[10:11]
; %bb.1956:
	v_bfe_u32 v4, v3, 21, 1
	s_mov_b32 s12, 0x80fffff
	v_add3_u32 v3, v3, v4, s12
	v_lshrrev_b32_e32 v4, 21, v3
                                        ; implicit-def: $vgpr3
; %bb.1957:
	s_andn2_saveexec_b64 s[10:11], s[10:11]
; %bb.1958:
	v_add_f32_e32 v4, 0x43000000, v3
; %bb.1959:
	s_or_b64 exec, exec, s[10:11]
                                        ; implicit-def: $vgpr3
.LBB174_1960:
	s_andn2_saveexec_b64 s[2:3], s[2:3]
; %bb.1961:
	s_mov_b32 s10, 0x7f800000
	v_mov_b32_e32 v4, 0x7c
	v_mov_b32_e32 v5, 0x7f
	v_cmp_lt_u32_e32 vcc, s10, v3
	v_cndmask_b32_e32 v4, v4, v5, vcc
; %bb.1962:
	s_or_b64 exec, exec, s[2:3]
	global_store_byte v[0:1], v4, off
.LBB174_1963:
	s_mov_b64 s[2:3], 0
	s_mov_b64 s[10:11], -1
.LBB174_1964:
	s_andn2_b64 vcc, exec, s[2:3]
	s_mov_b64 s[2:3], 0
	s_cbranch_vccnz .LBB174_1971
; %bb.1965:
	s_cmp_gt_i32 s18, 14
	s_mov_b64 s[12:13], -1
	s_cbranch_scc0 .LBB174_1969
; %bb.1966:
	s_cmp_eq_u32 s18, 15
	s_mov_b64 s[0:1], -1
	s_cbranch_scc0 .LBB174_1968
; %bb.1967:
	v_cndmask_b32_e64 v3, 0, 1.0, s[20:21]
	v_bfe_u32 v4, v3, 16, 1
	s_movk_i32 s0, 0x7fff
	v_add3_u32 v3, v3, v4, s0
	global_store_short_d16_hi v[0:1], v3, off
	s_mov_b64 s[0:1], 0
	s_mov_b64 s[10:11], -1
.LBB174_1968:
	s_mov_b64 s[12:13], 0
.LBB174_1969:
	s_and_b64 vcc, exec, s[12:13]
	s_cbranch_vccz .LBB174_1971
; %bb.1970:
	s_cmp_lg_u32 s18, 11
	s_mov_b64 s[2:3], -1
	s_cselect_b64 s[0:1], -1, 0
.LBB174_1971:
	s_and_b64 vcc, exec, s[0:1]
	s_cbranch_vccnz .LBB174_2106
; %bb.1972:
	s_andn2_b64 vcc, exec, s[2:3]
	s_cbranch_vccnz .LBB174_1974
.LBB174_1973:
	v_cndmask_b32_e64 v3, 0, 1, s[20:21]
	s_mov_b64 s[10:11], -1
	global_store_byte v[0:1], v3, off
.LBB174_1974:
	s_mov_b64 s[0:1], 0
	s_branch .LBB174_1976
.LBB174_1975:
	s_mov_b64 s[0:1], -1
	s_mov_b64 s[10:11], 0
.LBB174_1976:
	s_and_b64 vcc, exec, s[0:1]
	s_cbranch_vccz .LBB174_2015
; %bb.1977:
	s_and_b32 s2, 0xffff, s28
	s_cmp_lt_i32 s2, 5
	s_mov_b64 s[0:1], -1
	s_cbranch_scc1 .LBB174_1998
; %bb.1978:
	s_cmp_lt_i32 s2, 8
	s_cbranch_scc1 .LBB174_1988
; %bb.1979:
	s_cmp_lt_i32 s2, 9
	s_cbranch_scc1 .LBB174_1985
; %bb.1980:
	s_cmp_gt_i32 s2, 9
	s_cbranch_scc0 .LBB174_1982
; %bb.1981:
	v_cndmask_b32_e64 v3, 0, 1, s[20:21]
	v_cvt_f64_u32_e32 v[3:4], v3
	v_mov_b32_e32 v5, 0
	v_mov_b32_e32 v6, v5
	s_mov_b64 s[0:1], 0
	global_store_dwordx4 v[0:1], v[3:6], off
.LBB174_1982:
	s_andn2_b64 vcc, exec, s[0:1]
	s_cbranch_vccnz .LBB174_1984
; %bb.1983:
	v_cndmask_b32_e64 v3, 0, 1.0, s[20:21]
	v_mov_b32_e32 v4, 0
	global_store_dwordx2 v[0:1], v[3:4], off
.LBB174_1984:
	s_mov_b64 s[0:1], 0
.LBB174_1985:
	s_andn2_b64 vcc, exec, s[0:1]
	s_cbranch_vccnz .LBB174_1987
; %bb.1986:
	v_cndmask_b32_e64 v3, 0, 1.0, s[20:21]
	v_cvt_f16_f32_e32 v3, v3
	global_store_dword v[0:1], v3, off
.LBB174_1987:
	s_mov_b64 s[0:1], 0
.LBB174_1988:
	s_andn2_b64 vcc, exec, s[0:1]
	s_cbranch_vccnz .LBB174_1997
; %bb.1989:
	s_cmp_lt_i32 s2, 6
	s_mov_b64 s[0:1], -1
	s_cbranch_scc1 .LBB174_1995
; %bb.1990:
	s_cmp_gt_i32 s2, 6
	s_cbranch_scc0 .LBB174_1992
; %bb.1991:
	v_cndmask_b32_e64 v3, 0, 1, s[20:21]
	v_cvt_f64_u32_e32 v[3:4], v3
	s_mov_b64 s[0:1], 0
	global_store_dwordx2 v[0:1], v[3:4], off
.LBB174_1992:
	s_andn2_b64 vcc, exec, s[0:1]
	s_cbranch_vccnz .LBB174_1994
; %bb.1993:
	v_cndmask_b32_e64 v3, 0, 1.0, s[20:21]
	global_store_dword v[0:1], v3, off
.LBB174_1994:
	s_mov_b64 s[0:1], 0
.LBB174_1995:
	s_andn2_b64 vcc, exec, s[0:1]
	s_cbranch_vccnz .LBB174_1997
; %bb.1996:
	v_cndmask_b32_e64 v3, 0, 1.0, s[20:21]
	v_cvt_f16_f32_e32 v3, v3
	global_store_short v[0:1], v3, off
.LBB174_1997:
	s_mov_b64 s[0:1], 0
.LBB174_1998:
	s_andn2_b64 vcc, exec, s[0:1]
	s_cbranch_vccnz .LBB174_2014
; %bb.1999:
	s_cmp_lt_i32 s2, 2
	s_mov_b64 s[0:1], -1
	s_cbranch_scc1 .LBB174_2009
; %bb.2000:
	s_cmp_lt_i32 s2, 3
	s_cbranch_scc1 .LBB174_2006
; %bb.2001:
	s_cmp_gt_i32 s2, 3
	s_cbranch_scc0 .LBB174_2003
; %bb.2002:
	s_mov_b32 s0, 0
	v_cndmask_b32_e64 v3, 0, 1, s[20:21]
	v_mov_b32_e32 v4, s0
	global_store_dwordx2 v[0:1], v[3:4], off
	s_mov_b64 s[0:1], 0
.LBB174_2003:
	s_andn2_b64 vcc, exec, s[0:1]
	s_cbranch_vccnz .LBB174_2005
; %bb.2004:
	v_cndmask_b32_e64 v3, 0, 1, s[20:21]
	global_store_dword v[0:1], v3, off
.LBB174_2005:
	s_mov_b64 s[0:1], 0
.LBB174_2006:
	s_andn2_b64 vcc, exec, s[0:1]
	s_cbranch_vccnz .LBB174_2008
; %bb.2007:
	v_cndmask_b32_e64 v3, 0, 1, s[20:21]
	global_store_short v[0:1], v3, off
.LBB174_2008:
	s_mov_b64 s[0:1], 0
.LBB174_2009:
	s_andn2_b64 vcc, exec, s[0:1]
	s_cbranch_vccnz .LBB174_2014
; %bb.2010:
	s_mov_b64 s[0:1], -1
	s_cmp_gt_i32 s2, 0
	v_cndmask_b32_e64 v3, 0, 1, s[20:21]
	s_cbranch_scc0 .LBB174_2012
; %bb.2011:
	global_store_byte v[0:1], v3, off
	s_mov_b64 s[0:1], 0
.LBB174_2012:
	s_andn2_b64 vcc, exec, s[0:1]
	s_cbranch_vccnz .LBB174_2014
; %bb.2013:
	global_store_byte v[0:1], v3, off
.LBB174_2014:
	s_mov_b64 s[10:11], -1
.LBB174_2015:
	s_andn2_b64 vcc, exec, s[10:11]
	s_cbranch_vccnz .LBB174_2092
; %bb.2016:
	v_add_u32_e32 v0, s24, v2
	v_ashrrev_i32_e32 v1, 31, v0
	v_mov_b32_e32 v2, s9
	v_add_co_u32_e32 v0, vcc, s8, v0
	s_cmp_lt_i32 s28, 11
	v_addc_co_u32_e32 v1, vcc, v2, v1, vcc
	s_cbranch_scc1 .LBB174_2093
; %bb.2017:
	s_and_b32 s14, 0xffff, s28
	s_mov_b64 s[8:9], -1
	s_mov_b64 s[2:3], 0
	s_cmp_gt_i32 s14, 25
	s_mov_b64 s[0:1], 0
	s_cbranch_scc0 .LBB174_2050
; %bb.2018:
	s_cmp_gt_i32 s14, 28
	s_cbranch_scc0 .LBB174_2034
; %bb.2019:
	s_cmp_gt_i32 s14, 43
	;; [unrolled: 3-line block ×3, first 2 shown]
	s_cbranch_scc0 .LBB174_2024
; %bb.2021:
	s_cmp_eq_u32 s14, 46
	s_mov_b64 s[0:1], -1
	s_cbranch_scc0 .LBB174_2023
; %bb.2022:
	v_cndmask_b32_e64 v2, 0, 1.0, s[22:23]
	v_bfe_u32 v3, v2, 16, 1
	s_movk_i32 s0, 0x7fff
	v_add3_u32 v2, v2, v3, s0
	v_lshrrev_b32_e32 v2, 16, v2
	global_store_dword v[0:1], v2, off
	s_mov_b64 s[0:1], 0
.LBB174_2023:
	s_mov_b64 s[8:9], 0
.LBB174_2024:
	s_and_b64 vcc, exec, s[8:9]
	s_cbranch_vccz .LBB174_2029
; %bb.2025:
	s_cmp_eq_u32 s14, 44
	s_mov_b64 s[0:1], -1
	s_cbranch_scc0 .LBB174_2029
; %bb.2026:
	v_cndmask_b32_e64 v3, 0, 1.0, s[22:23]
	v_lshrrev_b32_e32 v2, 23, v3
	s_movk_i32 s0, 0xff
	v_cmp_ne_u32_e32 vcc, s0, v2
	v_mov_b32_e32 v4, 0xff
	s_and_saveexec_b64 s[8:9], vcc
; %bb.2027:
	s_mov_b32 s0, 0x3fffff
	v_and_b32_e32 v4, 0x400000, v3
	v_and_or_b32 v3, v3, s0, v2
	v_cmp_ne_u32_e32 vcc, 0, v4
	v_cmp_ne_u32_e64 s[0:1], 0, v3
	s_and_b64 s[0:1], vcc, s[0:1]
	v_cndmask_b32_e64 v3, 0, 1, s[0:1]
	v_add_u32_e32 v4, v2, v3
; %bb.2028:
	s_or_b64 exec, exec, s[8:9]
	s_mov_b64 s[0:1], 0
	global_store_byte v[0:1], v4, off
.LBB174_2029:
	s_mov_b64 s[8:9], 0
.LBB174_2030:
	s_and_b64 vcc, exec, s[8:9]
	s_cbranch_vccz .LBB174_2033
; %bb.2031:
	s_cmp_eq_u32 s14, 29
	s_mov_b64 s[0:1], -1
	s_cbranch_scc0 .LBB174_2033
; %bb.2032:
	s_mov_b32 s0, 0
	v_cndmask_b32_e64 v2, 0, 1, s[22:23]
	v_mov_b32_e32 v3, s0
	global_store_dwordx2 v[0:1], v[2:3], off
	s_mov_b64 s[0:1], 0
.LBB174_2033:
	s_mov_b64 s[8:9], 0
.LBB174_2034:
	s_and_b64 vcc, exec, s[8:9]
	s_cbranch_vccz .LBB174_2049
; %bb.2035:
	s_cmp_lt_i32 s14, 27
	s_mov_b64 s[8:9], -1
	s_cbranch_scc1 .LBB174_2041
; %bb.2036:
	s_cmp_gt_i32 s14, 27
	v_cndmask_b32_e64 v2, 0, 1, s[22:23]
	s_cbranch_scc0 .LBB174_2038
; %bb.2037:
	global_store_dword v[0:1], v2, off
	s_mov_b64 s[8:9], 0
.LBB174_2038:
	s_andn2_b64 vcc, exec, s[8:9]
	s_cbranch_vccnz .LBB174_2040
; %bb.2039:
	global_store_short v[0:1], v2, off
.LBB174_2040:
	s_mov_b64 s[8:9], 0
.LBB174_2041:
	s_andn2_b64 vcc, exec, s[8:9]
	s_cbranch_vccnz .LBB174_2049
; %bb.2042:
	v_cndmask_b32_e64 v3, 0, 1.0, s[22:23]
	s_mov_b32 s8, 0x43800000
	v_cmp_gt_u32_e32 vcc, s8, v3
	v_mov_b32_e32 v4, 0x80
	s_and_saveexec_b64 s[8:9], vcc
	s_cbranch_execz .LBB174_2048
; %bb.2043:
	s_mov_b32 s10, 0x3bffffff
	v_cmp_lt_u32_e32 vcc, s10, v3
	s_mov_b64 s[10:11], 0
                                        ; implicit-def: $vgpr2
	s_and_saveexec_b64 s[12:13], vcc
	s_xor_b64 s[12:13], exec, s[12:13]
	s_cbranch_execz .LBB174_2109
; %bb.2044:
	v_bfe_u32 v2, v3, 20, 1
	s_mov_b32 s15, 0x487ffff
	v_add3_u32 v2, v3, v2, s15
	s_mov_b64 s[10:11], exec
	v_lshrrev_b32_e32 v2, 20, v2
                                        ; implicit-def: $vgpr3
	s_andn2_saveexec_b64 s[12:13], s[12:13]
	s_cbranch_execnz .LBB174_2110
.LBB174_2045:
	s_or_b64 exec, exec, s[12:13]
	v_mov_b32_e32 v4, 0
	s_and_saveexec_b64 s[12:13], s[10:11]
.LBB174_2046:
	v_mov_b32_e32 v4, v2
.LBB174_2047:
	s_or_b64 exec, exec, s[12:13]
.LBB174_2048:
	s_or_b64 exec, exec, s[8:9]
	global_store_byte v[0:1], v4, off
.LBB174_2049:
	s_mov_b64 s[8:9], 0
.LBB174_2050:
	s_and_b64 vcc, exec, s[8:9]
	s_cbranch_vccz .LBB174_2090
; %bb.2051:
	s_cmp_gt_i32 s14, 22
	s_mov_b64 s[2:3], -1
	s_cbranch_scc0 .LBB174_2083
; %bb.2052:
	s_cmp_lt_i32 s14, 24
	s_cbranch_scc1 .LBB174_2072
; %bb.2053:
	s_cmp_gt_i32 s14, 24
	s_cbranch_scc0 .LBB174_2061
; %bb.2054:
	v_cndmask_b32_e64 v3, 0, 1.0, s[22:23]
	s_mov_b32 s2, 0x47800000
	v_cmp_gt_u32_e32 vcc, s2, v3
	v_mov_b32_e32 v4, 0x80
	s_and_saveexec_b64 s[2:3], vcc
	s_cbranch_execz .LBB174_2060
; %bb.2055:
	s_mov_b32 s8, 0x37ffffff
	v_cmp_lt_u32_e32 vcc, s8, v3
	s_mov_b64 s[8:9], 0
                                        ; implicit-def: $vgpr2
	s_and_saveexec_b64 s[10:11], vcc
	s_xor_b64 s[10:11], exec, s[10:11]
	s_cbranch_execz .LBB174_2112
; %bb.2056:
	v_bfe_u32 v2, v3, 21, 1
	s_mov_b32 s12, 0x88fffff
	v_add3_u32 v2, v3, v2, s12
	s_mov_b64 s[8:9], exec
	v_lshrrev_b32_e32 v2, 21, v2
                                        ; implicit-def: $vgpr3
	s_andn2_saveexec_b64 s[10:11], s[10:11]
	s_cbranch_execnz .LBB174_2113
.LBB174_2057:
	s_or_b64 exec, exec, s[10:11]
	v_mov_b32_e32 v4, 0
	s_and_saveexec_b64 s[10:11], s[8:9]
.LBB174_2058:
	v_mov_b32_e32 v4, v2
.LBB174_2059:
	s_or_b64 exec, exec, s[10:11]
.LBB174_2060:
	s_or_b64 exec, exec, s[2:3]
	s_mov_b64 s[2:3], 0
	global_store_byte v[0:1], v4, off
.LBB174_2061:
	s_and_b64 vcc, exec, s[2:3]
	s_cbranch_vccz .LBB174_2071
; %bb.2062:
	v_cndmask_b32_e64 v2, 0, 1.0, s[22:23]
	s_mov_b32 s2, 0x43f00000
	v_cmp_gt_u32_e32 vcc, s2, v2
                                        ; implicit-def: $vgpr3
	s_and_saveexec_b64 s[2:3], vcc
	s_xor_b64 s[2:3], exec, s[2:3]
	s_cbranch_execz .LBB174_2068
; %bb.2063:
	s_mov_b32 s8, 0x3c7fffff
	v_cmp_lt_u32_e32 vcc, s8, v2
                                        ; implicit-def: $vgpr3
	s_and_saveexec_b64 s[8:9], vcc
	s_xor_b64 s[8:9], exec, s[8:9]
; %bb.2064:
	v_bfe_u32 v3, v2, 20, 1
	s_mov_b32 s10, 0x407ffff
	v_add3_u32 v2, v2, v3, s10
	v_lshrrev_b32_e32 v3, 20, v2
	v_and_b32_e32 v2, 0xff00000, v2
	s_mov_b32 s10, 0x7f00000
	v_mov_b32_e32 v4, 0x7e
	v_cmp_ne_u32_e32 vcc, s10, v2
	v_cndmask_b32_e32 v3, v4, v3, vcc
                                        ; implicit-def: $vgpr2
; %bb.2065:
	s_andn2_saveexec_b64 s[8:9], s[8:9]
; %bb.2066:
	v_add_f32_e32 v3, 0x46800000, v2
; %bb.2067:
	s_or_b64 exec, exec, s[8:9]
                                        ; implicit-def: $vgpr2
.LBB174_2068:
	s_andn2_saveexec_b64 s[2:3], s[2:3]
; %bb.2069:
	s_mov_b32 s8, 0x7f800000
	v_mov_b32_e32 v3, 0x7e
	v_mov_b32_e32 v4, 0x7f
	v_cmp_lt_u32_e32 vcc, s8, v2
	v_cndmask_b32_e32 v3, v3, v4, vcc
; %bb.2070:
	s_or_b64 exec, exec, s[2:3]
	global_store_byte v[0:1], v3, off
.LBB174_2071:
	s_mov_b64 s[2:3], 0
.LBB174_2072:
	s_andn2_b64 vcc, exec, s[2:3]
	s_cbranch_vccnz .LBB174_2082
; %bb.2073:
	v_cndmask_b32_e64 v2, 0, 1.0, s[22:23]
	s_mov_b32 s2, 0x47800000
	v_cmp_gt_u32_e32 vcc, s2, v2
                                        ; implicit-def: $vgpr3
	s_and_saveexec_b64 s[2:3], vcc
	s_xor_b64 s[2:3], exec, s[2:3]
	s_cbranch_execz .LBB174_2079
; %bb.2074:
	s_mov_b32 s8, 0x387fffff
	v_cmp_lt_u32_e32 vcc, s8, v2
                                        ; implicit-def: $vgpr3
	s_and_saveexec_b64 s[8:9], vcc
	s_xor_b64 s[8:9], exec, s[8:9]
; %bb.2075:
	v_bfe_u32 v3, v2, 21, 1
	s_mov_b32 s10, 0x80fffff
	v_add3_u32 v2, v2, v3, s10
	v_lshrrev_b32_e32 v3, 21, v2
                                        ; implicit-def: $vgpr2
; %bb.2076:
	s_andn2_saveexec_b64 s[8:9], s[8:9]
; %bb.2077:
	v_add_f32_e32 v3, 0x43000000, v2
; %bb.2078:
	s_or_b64 exec, exec, s[8:9]
                                        ; implicit-def: $vgpr2
.LBB174_2079:
	s_andn2_saveexec_b64 s[2:3], s[2:3]
; %bb.2080:
	s_mov_b32 s8, 0x7f800000
	v_mov_b32_e32 v3, 0x7c
	v_mov_b32_e32 v4, 0x7f
	v_cmp_lt_u32_e32 vcc, s8, v2
	v_cndmask_b32_e32 v3, v3, v4, vcc
; %bb.2081:
	s_or_b64 exec, exec, s[2:3]
	global_store_byte v[0:1], v3, off
.LBB174_2082:
	s_mov_b64 s[2:3], 0
.LBB174_2083:
	s_andn2_b64 vcc, exec, s[2:3]
	s_mov_b64 s[2:3], 0
	s_cbranch_vccnz .LBB174_2090
; %bb.2084:
	s_cmp_gt_i32 s14, 14
	s_mov_b64 s[8:9], -1
	s_cbranch_scc0 .LBB174_2088
; %bb.2085:
	s_cmp_eq_u32 s14, 15
	s_mov_b64 s[0:1], -1
	s_cbranch_scc0 .LBB174_2087
; %bb.2086:
	v_cndmask_b32_e64 v2, 0, 1.0, s[22:23]
	v_bfe_u32 v3, v2, 16, 1
	s_movk_i32 s0, 0x7fff
	v_add3_u32 v2, v2, v3, s0
	global_store_short_d16_hi v[0:1], v2, off
	s_mov_b64 s[0:1], 0
.LBB174_2087:
	s_mov_b64 s[8:9], 0
.LBB174_2088:
	s_and_b64 vcc, exec, s[8:9]
	s_cbranch_vccz .LBB174_2090
; %bb.2089:
	s_cmp_lg_u32 s14, 11
	s_mov_b64 s[2:3], -1
	s_cselect_b64 s[0:1], -1, 0
.LBB174_2090:
	s_and_b64 vcc, exec, s[0:1]
	s_cbranch_vccnz .LBB174_2111
.LBB174_2091:
	s_mov_b64 s[0:1], 0
	s_branch .LBB174_1612
.LBB174_2092:
	s_mov_b64 s[0:1], 0
	s_branch .LBB174_1611
.LBB174_2093:
	s_mov_b64 s[2:3], 0
	s_mov_b64 s[0:1], -1
	s_branch .LBB174_1612
.LBB174_2094:
	s_andn2_saveexec_b64 s[26:27], s[26:27]
	s_cbranch_execz .LBB174_1687
.LBB174_2095:
	v_add_f32_e32 v3, 0x46000000, v4
	v_and_b32_e32 v3, 0xff, v3
	v_cmp_ne_u32_e32 vcc, 0, v3
	s_andn2_b64 s[24:25], s[24:25], exec
	s_and_b64 s[30:31], vcc, exec
	s_or_b64 s[24:25], s[24:25], s[30:31]
	s_or_b64 exec, exec, s[26:27]
	v_mov_b32_e32 v5, 0
	s_and_saveexec_b64 s[26:27], s[24:25]
	s_cbranch_execnz .LBB174_1688
	s_branch .LBB174_1689
.LBB174_2096:
	s_trap 2
	s_or_b64 s[16:17], s[16:17], exec
	s_cbranch_execz .LBB174_1735
	s_branch .LBB174_1736
.LBB174_2097:
	s_andn2_saveexec_b64 s[24:25], s[24:25]
	s_cbranch_execz .LBB174_1700
.LBB174_2098:
	v_add_f32_e32 v3, 0x42800000, v4
	v_and_b32_e32 v3, 0xff, v3
	v_cmp_ne_u32_e32 vcc, 0, v3
	s_andn2_b64 s[14:15], s[14:15], exec
	s_and_b64 s[26:27], vcc, exec
	s_or_b64 s[14:15], s[14:15], s[26:27]
	s_or_b64 exec, exec, s[24:25]
	v_mov_b32_e32 v5, 0
	s_and_saveexec_b64 s[24:25], s[14:15]
	s_cbranch_execnz .LBB174_1701
	s_branch .LBB174_1702
.LBB174_2099:
	s_andn2_saveexec_b64 s[14:15], s[14:15]
	s_cbranch_execz .LBB174_1806
.LBB174_2100:
	v_add_f32_e32 v3, 0x46000000, v4
	v_and_b32_e32 v3, 0xff, v3
	v_cmp_ne_u32_e32 vcc, 0, v3
	s_andn2_b64 s[12:13], s[12:13], exec
	s_and_b64 s[26:27], vcc, exec
	s_or_b64 s[12:13], s[12:13], s[26:27]
	s_or_b64 exec, exec, s[14:15]
	v_mov_b32_e32 v5, 0
	s_and_saveexec_b64 s[14:15], s[12:13]
	s_cbranch_execnz .LBB174_1807
	s_branch .LBB174_1808
.LBB174_2101:
	s_trap 2
	s_or_b64 s[16:17], s[16:17], exec
	s_cbranch_execz .LBB174_1854
	s_branch .LBB174_1855
.LBB174_2102:
	s_andn2_saveexec_b64 s[12:13], s[12:13]
	s_cbranch_execz .LBB174_1819
.LBB174_2103:
	v_add_f32_e32 v3, 0x42800000, v4
	v_and_b32_e32 v3, 0xff, v3
	v_cmp_ne_u32_e32 vcc, 0, v3
	s_andn2_b64 s[10:11], s[10:11], exec
	s_and_b64 s[14:15], vcc, exec
	s_or_b64 s[10:11], s[10:11], s[14:15]
	s_or_b64 exec, exec, s[12:13]
	v_mov_b32_e32 v5, 0
	s_and_saveexec_b64 s[12:13], s[10:11]
	s_cbranch_execnz .LBB174_1820
	s_branch .LBB174_1821
.LBB174_2104:
	s_andn2_saveexec_b64 s[14:15], s[14:15]
	s_cbranch_execz .LBB174_1925
.LBB174_2105:
	v_add_f32_e32 v3, 0x46000000, v4
	v_and_b32_e32 v3, 0xff, v3
	v_cmp_ne_u32_e32 vcc, 0, v3
	s_andn2_b64 s[12:13], s[12:13], exec
	s_and_b64 s[26:27], vcc, exec
	s_or_b64 s[12:13], s[12:13], s[26:27]
	s_or_b64 exec, exec, s[14:15]
	v_mov_b32_e32 v5, 0
	s_and_saveexec_b64 s[14:15], s[12:13]
	s_cbranch_execnz .LBB174_1926
	s_branch .LBB174_1927
.LBB174_2106:
	s_trap 2
	s_or_b64 s[16:17], s[16:17], exec
	s_cbranch_execz .LBB174_1973
	s_branch .LBB174_1974
.LBB174_2107:
	s_andn2_saveexec_b64 s[12:13], s[12:13]
	s_cbranch_execz .LBB174_1938
.LBB174_2108:
	v_add_f32_e32 v3, 0x42800000, v4
	v_and_b32_e32 v3, 0xff, v3
	v_cmp_ne_u32_e32 vcc, 0, v3
	s_andn2_b64 s[10:11], s[10:11], exec
	s_and_b64 s[14:15], vcc, exec
	s_or_b64 s[10:11], s[10:11], s[14:15]
	s_or_b64 exec, exec, s[12:13]
	v_mov_b32_e32 v5, 0
	s_and_saveexec_b64 s[12:13], s[10:11]
	s_cbranch_execnz .LBB174_1939
	s_branch .LBB174_1940
.LBB174_2109:
	s_andn2_saveexec_b64 s[12:13], s[12:13]
	s_cbranch_execz .LBB174_2045
.LBB174_2110:
	v_add_f32_e32 v2, 0x46000000, v3
	v_and_b32_e32 v2, 0xff, v2
	v_cmp_ne_u32_e32 vcc, 0, v2
	s_andn2_b64 s[10:11], s[10:11], exec
	s_and_b64 s[18:19], vcc, exec
	s_or_b64 s[10:11], s[10:11], s[18:19]
	s_or_b64 exec, exec, s[12:13]
	v_mov_b32_e32 v4, 0
	s_and_saveexec_b64 s[12:13], s[10:11]
	s_cbranch_execnz .LBB174_2046
	s_branch .LBB174_2047
.LBB174_2111:
	s_mov_b64 s[2:3], 0
	s_or_b64 s[16:17], s[16:17], exec
	s_trap 2
	s_branch .LBB174_2091
.LBB174_2112:
	s_andn2_saveexec_b64 s[10:11], s[10:11]
	s_cbranch_execz .LBB174_2057
.LBB174_2113:
	v_add_f32_e32 v2, 0x42800000, v3
	v_and_b32_e32 v2, 0xff, v2
	v_cmp_ne_u32_e32 vcc, 0, v2
	s_andn2_b64 s[8:9], s[8:9], exec
	s_and_b64 s[12:13], vcc, exec
	s_or_b64 s[8:9], s[8:9], s[12:13]
	s_or_b64 exec, exec, s[10:11]
	v_mov_b32_e32 v4, 0
	s_and_saveexec_b64 s[10:11], s[8:9]
	s_cbranch_execnz .LBB174_2058
	s_branch .LBB174_2059
	.section	.rodata,"a",@progbits
	.p2align	6, 0x0
	.amdhsa_kernel _ZN2at6native32elementwise_kernel_manual_unrollILi128ELi4EZNS0_15gpu_kernel_implINS0_13AUnaryFunctorIN3c107complexINS4_8BFloat16EEES7_bNS0_12_GLOBAL__N_116CompareEqFunctorIS7_EEEEEEvRNS_18TensorIteratorBaseERKT_EUlibE_EEviT1_
		.amdhsa_group_segment_fixed_size 0
		.amdhsa_private_segment_fixed_size 0
		.amdhsa_kernarg_size 48
		.amdhsa_user_sgpr_count 6
		.amdhsa_user_sgpr_private_segment_buffer 1
		.amdhsa_user_sgpr_dispatch_ptr 0
		.amdhsa_user_sgpr_queue_ptr 0
		.amdhsa_user_sgpr_kernarg_segment_ptr 1
		.amdhsa_user_sgpr_dispatch_id 0
		.amdhsa_user_sgpr_flat_scratch_init 0
		.amdhsa_user_sgpr_private_segment_size 0
		.amdhsa_uses_dynamic_stack 0
		.amdhsa_system_sgpr_private_segment_wavefront_offset 0
		.amdhsa_system_sgpr_workgroup_id_x 1
		.amdhsa_system_sgpr_workgroup_id_y 0
		.amdhsa_system_sgpr_workgroup_id_z 0
		.amdhsa_system_sgpr_workgroup_info 0
		.amdhsa_system_vgpr_workitem_id 0
		.amdhsa_next_free_vgpr 11
		.amdhsa_next_free_sgpr 52
		.amdhsa_reserve_vcc 1
		.amdhsa_reserve_flat_scratch 0
		.amdhsa_float_round_mode_32 0
		.amdhsa_float_round_mode_16_64 0
		.amdhsa_float_denorm_mode_32 3
		.amdhsa_float_denorm_mode_16_64 3
		.amdhsa_dx10_clamp 1
		.amdhsa_ieee_mode 1
		.amdhsa_fp16_overflow 0
		.amdhsa_exception_fp_ieee_invalid_op 0
		.amdhsa_exception_fp_denorm_src 0
		.amdhsa_exception_fp_ieee_div_zero 0
		.amdhsa_exception_fp_ieee_overflow 0
		.amdhsa_exception_fp_ieee_underflow 0
		.amdhsa_exception_fp_ieee_inexact 0
		.amdhsa_exception_int_div_zero 0
	.end_amdhsa_kernel
	.section	.text._ZN2at6native32elementwise_kernel_manual_unrollILi128ELi4EZNS0_15gpu_kernel_implINS0_13AUnaryFunctorIN3c107complexINS4_8BFloat16EEES7_bNS0_12_GLOBAL__N_116CompareEqFunctorIS7_EEEEEEvRNS_18TensorIteratorBaseERKT_EUlibE_EEviT1_,"axG",@progbits,_ZN2at6native32elementwise_kernel_manual_unrollILi128ELi4EZNS0_15gpu_kernel_implINS0_13AUnaryFunctorIN3c107complexINS4_8BFloat16EEES7_bNS0_12_GLOBAL__N_116CompareEqFunctorIS7_EEEEEEvRNS_18TensorIteratorBaseERKT_EUlibE_EEviT1_,comdat
.Lfunc_end174:
	.size	_ZN2at6native32elementwise_kernel_manual_unrollILi128ELi4EZNS0_15gpu_kernel_implINS0_13AUnaryFunctorIN3c107complexINS4_8BFloat16EEES7_bNS0_12_GLOBAL__N_116CompareEqFunctorIS7_EEEEEEvRNS_18TensorIteratorBaseERKT_EUlibE_EEviT1_, .Lfunc_end174-_ZN2at6native32elementwise_kernel_manual_unrollILi128ELi4EZNS0_15gpu_kernel_implINS0_13AUnaryFunctorIN3c107complexINS4_8BFloat16EEES7_bNS0_12_GLOBAL__N_116CompareEqFunctorIS7_EEEEEEvRNS_18TensorIteratorBaseERKT_EUlibE_EEviT1_
                                        ; -- End function
	.set _ZN2at6native32elementwise_kernel_manual_unrollILi128ELi4EZNS0_15gpu_kernel_implINS0_13AUnaryFunctorIN3c107complexINS4_8BFloat16EEES7_bNS0_12_GLOBAL__N_116CompareEqFunctorIS7_EEEEEEvRNS_18TensorIteratorBaseERKT_EUlibE_EEviT1_.num_vgpr, 11
	.set _ZN2at6native32elementwise_kernel_manual_unrollILi128ELi4EZNS0_15gpu_kernel_implINS0_13AUnaryFunctorIN3c107complexINS4_8BFloat16EEES7_bNS0_12_GLOBAL__N_116CompareEqFunctorIS7_EEEEEEvRNS_18TensorIteratorBaseERKT_EUlibE_EEviT1_.num_agpr, 0
	.set _ZN2at6native32elementwise_kernel_manual_unrollILi128ELi4EZNS0_15gpu_kernel_implINS0_13AUnaryFunctorIN3c107complexINS4_8BFloat16EEES7_bNS0_12_GLOBAL__N_116CompareEqFunctorIS7_EEEEEEvRNS_18TensorIteratorBaseERKT_EUlibE_EEviT1_.numbered_sgpr, 52
	.set _ZN2at6native32elementwise_kernel_manual_unrollILi128ELi4EZNS0_15gpu_kernel_implINS0_13AUnaryFunctorIN3c107complexINS4_8BFloat16EEES7_bNS0_12_GLOBAL__N_116CompareEqFunctorIS7_EEEEEEvRNS_18TensorIteratorBaseERKT_EUlibE_EEviT1_.num_named_barrier, 0
	.set _ZN2at6native32elementwise_kernel_manual_unrollILi128ELi4EZNS0_15gpu_kernel_implINS0_13AUnaryFunctorIN3c107complexINS4_8BFloat16EEES7_bNS0_12_GLOBAL__N_116CompareEqFunctorIS7_EEEEEEvRNS_18TensorIteratorBaseERKT_EUlibE_EEviT1_.private_seg_size, 0
	.set _ZN2at6native32elementwise_kernel_manual_unrollILi128ELi4EZNS0_15gpu_kernel_implINS0_13AUnaryFunctorIN3c107complexINS4_8BFloat16EEES7_bNS0_12_GLOBAL__N_116CompareEqFunctorIS7_EEEEEEvRNS_18TensorIteratorBaseERKT_EUlibE_EEviT1_.uses_vcc, 1
	.set _ZN2at6native32elementwise_kernel_manual_unrollILi128ELi4EZNS0_15gpu_kernel_implINS0_13AUnaryFunctorIN3c107complexINS4_8BFloat16EEES7_bNS0_12_GLOBAL__N_116CompareEqFunctorIS7_EEEEEEvRNS_18TensorIteratorBaseERKT_EUlibE_EEviT1_.uses_flat_scratch, 0
	.set _ZN2at6native32elementwise_kernel_manual_unrollILi128ELi4EZNS0_15gpu_kernel_implINS0_13AUnaryFunctorIN3c107complexINS4_8BFloat16EEES7_bNS0_12_GLOBAL__N_116CompareEqFunctorIS7_EEEEEEvRNS_18TensorIteratorBaseERKT_EUlibE_EEviT1_.has_dyn_sized_stack, 0
	.set _ZN2at6native32elementwise_kernel_manual_unrollILi128ELi4EZNS0_15gpu_kernel_implINS0_13AUnaryFunctorIN3c107complexINS4_8BFloat16EEES7_bNS0_12_GLOBAL__N_116CompareEqFunctorIS7_EEEEEEvRNS_18TensorIteratorBaseERKT_EUlibE_EEviT1_.has_recursion, 0
	.set _ZN2at6native32elementwise_kernel_manual_unrollILi128ELi4EZNS0_15gpu_kernel_implINS0_13AUnaryFunctorIN3c107complexINS4_8BFloat16EEES7_bNS0_12_GLOBAL__N_116CompareEqFunctorIS7_EEEEEEvRNS_18TensorIteratorBaseERKT_EUlibE_EEviT1_.has_indirect_call, 0
	.section	.AMDGPU.csdata,"",@progbits
; Kernel info:
; codeLenInByte = 37944
; TotalNumSgprs: 56
; NumVgprs: 11
; ScratchSize: 0
; MemoryBound: 0
; FloatMode: 240
; IeeeMode: 1
; LDSByteSize: 0 bytes/workgroup (compile time only)
; SGPRBlocks: 6
; VGPRBlocks: 2
; NumSGPRsForWavesPerEU: 56
; NumVGPRsForWavesPerEU: 11
; Occupancy: 10
; WaveLimiterHint : 0
; COMPUTE_PGM_RSRC2:SCRATCH_EN: 0
; COMPUTE_PGM_RSRC2:USER_SGPR: 6
; COMPUTE_PGM_RSRC2:TRAP_HANDLER: 0
; COMPUTE_PGM_RSRC2:TGID_X_EN: 1
; COMPUTE_PGM_RSRC2:TGID_Y_EN: 0
; COMPUTE_PGM_RSRC2:TGID_Z_EN: 0
; COMPUTE_PGM_RSRC2:TIDIG_COMP_CNT: 0
	.section	.text._ZN2at6native32elementwise_kernel_manual_unrollILi128ELi4EZNS0_15gpu_kernel_implINS0_13AUnaryFunctorIN3c107complexINS4_8BFloat16EEES7_bNS0_12_GLOBAL__N_116CompareEqFunctorIS7_EEEEEEvRNS_18TensorIteratorBaseERKT_EUlibE0_EEviT1_,"axG",@progbits,_ZN2at6native32elementwise_kernel_manual_unrollILi128ELi4EZNS0_15gpu_kernel_implINS0_13AUnaryFunctorIN3c107complexINS4_8BFloat16EEES7_bNS0_12_GLOBAL__N_116CompareEqFunctorIS7_EEEEEEvRNS_18TensorIteratorBaseERKT_EUlibE0_EEviT1_,comdat
	.globl	_ZN2at6native32elementwise_kernel_manual_unrollILi128ELi4EZNS0_15gpu_kernel_implINS0_13AUnaryFunctorIN3c107complexINS4_8BFloat16EEES7_bNS0_12_GLOBAL__N_116CompareEqFunctorIS7_EEEEEEvRNS_18TensorIteratorBaseERKT_EUlibE0_EEviT1_ ; -- Begin function _ZN2at6native32elementwise_kernel_manual_unrollILi128ELi4EZNS0_15gpu_kernel_implINS0_13AUnaryFunctorIN3c107complexINS4_8BFloat16EEES7_bNS0_12_GLOBAL__N_116CompareEqFunctorIS7_EEEEEEvRNS_18TensorIteratorBaseERKT_EUlibE0_EEviT1_
	.p2align	8
	.type	_ZN2at6native32elementwise_kernel_manual_unrollILi128ELi4EZNS0_15gpu_kernel_implINS0_13AUnaryFunctorIN3c107complexINS4_8BFloat16EEES7_bNS0_12_GLOBAL__N_116CompareEqFunctorIS7_EEEEEEvRNS_18TensorIteratorBaseERKT_EUlibE0_EEviT1_,@function
_ZN2at6native32elementwise_kernel_manual_unrollILi128ELi4EZNS0_15gpu_kernel_implINS0_13AUnaryFunctorIN3c107complexINS4_8BFloat16EEES7_bNS0_12_GLOBAL__N_116CompareEqFunctorIS7_EEEEEEvRNS_18TensorIteratorBaseERKT_EUlibE0_EEviT1_: ; @_ZN2at6native32elementwise_kernel_manual_unrollILi128ELi4EZNS0_15gpu_kernel_implINS0_13AUnaryFunctorIN3c107complexINS4_8BFloat16EEES7_bNS0_12_GLOBAL__N_116CompareEqFunctorIS7_EEEEEEvRNS_18TensorIteratorBaseERKT_EUlibE0_EEviT1_
; %bb.0:
	s_load_dword s72, s[4:5], 0x0
	s_load_dword s33, s[4:5], 0x8
	s_add_u32 s34, s4, 8
	s_addc_u32 s35, s5, 0
	v_lshl_or_b32 v8, s6, 9, v0
	v_or_b32_e32 v15, 0x180, v8
	s_waitcnt lgkmcnt(0)
	s_add_i32 s74, s33, -1
	s_cmp_gt_u32 s74, 1
	v_cmp_le_i32_e32 vcc, s72, v15
	s_cselect_b64 s[40:41], -1, 0
	s_mov_b64 s[6:7], 0
	s_mov_b64 s[28:29], 0
	s_and_saveexec_b64 s[0:1], vcc
	s_xor_b64 s[42:43], exec, s[0:1]
	s_cbranch_execz .LBB175_1122
; %bb.1:
	s_load_dwordx4 s[28:31], s[34:35], 0x4
	s_load_dwordx2 s[46:47], s[34:35], 0x14
	s_load_dwordx2 s[0:1], s[34:35], 0x158
	s_load_dword s75, s[34:35], 0x160
	s_cmp_lg_u32 s33, 0
	s_cselect_b64 s[52:53], -1, 0
	s_add_u32 s50, s34, 0xc4
	s_addc_u32 s51, s35, 0
	s_min_u32 s79, s74, 15
	s_load_dwordx4 s[36:39], s[34:35], 0xc4
	s_load_dwordx4 s[24:27], s[34:35], 0x148
	s_cmp_gt_u32 s33, 1
	s_cselect_b64 s[48:49], -1, 0
	s_waitcnt lgkmcnt(0)
	s_bfe_u32 s78, s75, 0x80008
	s_cmp_lg_u32 s0, 0
	s_cselect_b64 s[44:45], -1, 0
	s_lshl_b32 s76, s1, 16
	s_and_b32 s77, s1, 0xffff0000
	v_cmp_gt_i32_e32 vcc, s72, v8
	s_mov_b64 s[2:3], -1
	s_mov_b64 s[62:63], 0
	s_mov_b64 s[56:57], 0
	;; [unrolled: 1-line block ×3, first 2 shown]
	s_and_saveexec_b64 s[58:59], vcc
	s_cbranch_execz .LBB175_274
; %bb.2:
	s_andn2_b64 vcc, exec, s[40:41]
	s_cbranch_vccnz .LBB175_7
; %bb.3:
	s_andn2_b64 vcc, exec, s[52:53]
	s_cbranch_vccnz .LBB175_8
; %bb.4:
	s_add_i32 s61, s79, 1
	s_cmp_eq_u32 s74, 2
	s_cbranch_scc1 .LBB175_9
; %bb.5:
	s_and_b32 s60, s61, 28
	v_mov_b32_e32 v2, 0
	s_mov_b32 s64, 0
	s_mov_b64 s[54:55], s[34:35]
	s_mov_b64 s[56:57], s[50:51]
	v_mov_b32_e32 v0, 0
	v_mov_b32_e32 v1, v8
.LBB175_6:                              ; =>This Inner Loop Header: Depth=1
	s_load_dwordx8 s[16:23], s[54:55], 0x4
	s_load_dwordx4 s[0:3], s[54:55], 0x24
	s_load_dwordx8 s[8:15], s[56:57], 0x0
	s_add_u32 s54, s54, 48
	s_addc_u32 s55, s55, 0
	s_waitcnt lgkmcnt(0)
	v_mul_hi_u32 v3, s17, v1
	s_add_i32 s64, s64, 4
	s_add_u32 s56, s56, 32
	s_addc_u32 s57, s57, 0
	v_add_u32_e32 v3, v1, v3
	v_lshrrev_b32_e32 v3, s18, v3
	v_mul_lo_u32 v4, v3, s16
	v_mul_hi_u32 v5, s20, v3
	s_cmp_lg_u32 s60, s64
	v_sub_u32_e32 v1, v1, v4
	v_add_u32_e32 v4, v3, v5
	v_mul_lo_u32 v5, v1, s8
	v_mul_lo_u32 v6, v1, s9
	v_lshrrev_b32_e32 v1, s21, v4
	v_mul_lo_u32 v4, v1, s19
	v_mul_hi_u32 v7, s23, v1
	v_sub_u32_e32 v3, v3, v4
	v_add_u32_e32 v4, v1, v7
	v_lshrrev_b32_e32 v4, s0, v4
	v_mul_hi_u32 v9, s2, v4
	v_mul_lo_u32 v10, v4, s22
	v_mul_lo_u32 v7, v3, s10
	;; [unrolled: 1-line block ×3, first 2 shown]
	v_sub_u32_e32 v10, v1, v10
	v_add_u32_e32 v1, v4, v9
	v_lshrrev_b32_e32 v1, s3, v1
	v_mul_lo_u32 v9, v1, s1
	v_mul_lo_u32 v11, v10, s12
	;; [unrolled: 1-line block ×3, first 2 shown]
	v_add3_u32 v0, v5, v0, v7
	v_sub_u32_e32 v4, v4, v9
	v_mul_lo_u32 v9, v4, s14
	v_mul_lo_u32 v4, v4, s15
	v_add3_u32 v2, v6, v2, v3
	v_add3_u32 v0, v11, v0, v9
	;; [unrolled: 1-line block ×3, first 2 shown]
	s_cbranch_scc1 .LBB175_6
	s_branch .LBB175_10
.LBB175_7:
                                        ; implicit-def: $vgpr0
                                        ; implicit-def: $vgpr2
	s_branch .LBB175_14
.LBB175_8:
	v_mov_b32_e32 v0, 0
	v_mov_b32_e32 v2, 0
	s_branch .LBB175_13
.LBB175_9:
	s_mov_b32 s60, 0
	v_mov_b32_e32 v0, 0
	v_mov_b32_e32 v2, 0
	;; [unrolled: 1-line block ×3, first 2 shown]
.LBB175_10:
	s_and_b32 s8, s61, 3
	s_cmp_eq_u32 s8, 0
	s_cbranch_scc1 .LBB175_13
; %bb.11:
	s_lshl_b32 s0, s60, 3
	s_add_u32 s0, s34, s0
	s_addc_u32 s1, s35, 0
	s_add_u32 s0, s0, 0xc4
	s_addc_u32 s1, s1, 0
	s_mul_i32 s2, s60, 12
	s_add_u32 s2, s34, s2
	s_addc_u32 s3, s35, 0
.LBB175_12:                             ; =>This Inner Loop Header: Depth=1
	s_load_dwordx2 s[10:11], s[2:3], 0x4
	s_load_dword s9, s[2:3], 0xc
	s_load_dwordx2 s[12:13], s[0:1], 0x0
	s_add_u32 s2, s2, 12
	s_addc_u32 s3, s3, 0
	s_waitcnt lgkmcnt(0)
	v_mul_hi_u32 v3, s11, v1
	s_add_u32 s0, s0, 8
	s_addc_u32 s1, s1, 0
	s_add_i32 s8, s8, -1
	v_add_u32_e32 v3, v1, v3
	v_lshrrev_b32_e32 v4, s9, v3
	v_mul_lo_u32 v3, v4, s10
	s_cmp_lg_u32 s8, 0
	v_sub_u32_e32 v3, v1, v3
	v_mad_u64_u32 v[0:1], s[10:11], v3, s12, v[0:1]
	v_mad_u64_u32 v[2:3], s[10:11], v3, s13, v[2:3]
	v_mov_b32_e32 v1, v4
	s_cbranch_scc1 .LBB175_12
.LBB175_13:
	s_cbranch_execnz .LBB175_16
.LBB175_14:
	v_mul_hi_u32 v0, s29, v8
	s_andn2_b64 vcc, exec, s[48:49]
	v_add_u32_e32 v0, v8, v0
	v_lshrrev_b32_e32 v1, s30, v0
	v_mul_lo_u32 v0, v1, s28
	v_sub_u32_e32 v2, v8, v0
	v_mul_lo_u32 v0, v2, s36
	v_mul_lo_u32 v2, v2, s37
	s_cbranch_vccnz .LBB175_16
; %bb.15:
	v_mul_hi_u32 v3, s46, v1
	v_add_u32_e32 v3, v1, v3
	v_lshrrev_b32_e32 v3, s47, v3
	v_mul_lo_u32 v3, v3, s31
	v_sub_u32_e32 v3, v1, v3
	v_mad_u64_u32 v[0:1], s[0:1], v3, s38, v[0:1]
	v_mad_u64_u32 v[2:3], s[0:1], v3, s39, v[2:3]
.LBB175_16:
	v_mov_b32_e32 v3, s27
	s_and_b32 s12, 0xffff, s78
	v_add_co_u32_e32 v1, vcc, s26, v2
	s_cmp_lt_i32 s12, 11
	v_addc_co_u32_e32 v2, vcc, 0, v3, vcc
	s_cbranch_scc1 .LBB175_23
; %bb.17:
	s_cmp_gt_i32 s12, 25
	s_cbranch_scc0 .LBB175_35
; %bb.18:
	s_cmp_gt_i32 s12, 28
	s_cbranch_scc0 .LBB175_39
	;; [unrolled: 3-line block ×4, first 2 shown]
; %bb.21:
	s_cmp_eq_u32 s12, 46
	s_mov_b64 s[8:9], 0
	s_cbranch_scc0 .LBB175_45
; %bb.22:
	global_load_dword v3, v[1:2], off
	s_mov_b64 s[0:1], -1
	s_mov_b64 s[2:3], 0
	s_waitcnt vmcnt(0)
	v_and_b32_e32 v4, 0xffff0000, v3
	s_branch .LBB175_47
.LBB175_23:
	s_mov_b64 s[2:3], 0
                                        ; implicit-def: $vgpr4
                                        ; implicit-def: $vgpr3
	s_mov_b64 s[0:1], 0
	s_cbranch_execnz .LBB175_222
.LBB175_24:
	s_andn2_b64 vcc, exec, s[0:1]
	s_cbranch_vccnz .LBB175_271
.LBB175_25:
	s_waitcnt vmcnt(0)
	v_or_b32_sdwa v1, v4, v3 dst_sel:DWORD dst_unused:UNUSED_PAD src0_sel:DWORD src1_sel:WORD_0
	s_and_b64 vcc, exec, s[44:45]
	v_lshlrev_b32_e32 v1, 16, v1
	s_cbranch_vccz .LBB175_38
; %bb.26:
	v_and_b32_e32 v2, 0xffff0000, v4
	v_cmp_neq_f32_e32 vcc, s76, v1
	v_cmp_neq_f32_e64 s[0:1], s77, v2
	s_or_b64 s[8:9], vcc, s[0:1]
	s_cbranch_execnz .LBB175_28
.LBB175_27:
	v_and_b32_e32 v2, 0xffff0000, v4
	v_cmp_eq_f32_e32 vcc, s76, v1
	v_cmp_eq_f32_e64 s[0:1], s77, v2
	s_and_b64 s[0:1], vcc, s[0:1]
	s_andn2_b64 s[8:9], s[8:9], exec
	s_and_b64 s[0:1], s[0:1], exec
	s_or_b64 s[8:9], s[8:9], s[0:1]
.LBB175_28:
	v_mov_b32_e32 v1, s25
	s_and_b32 s16, s75, 0xff
	v_add_co_u32_e32 v0, vcc, s24, v0
	s_cmp_lt_i32 s16, 11
	v_addc_co_u32_e32 v1, vcc, 0, v1, vcc
	s_cbranch_scc1 .LBB175_36
; %bb.29:
	s_and_b32 s17, 0xffff, s16
	s_cmp_gt_i32 s17, 25
	s_cbranch_scc0 .LBB175_40
; %bb.30:
	s_cmp_gt_i32 s17, 28
	s_cbranch_scc0 .LBB175_42
; %bb.31:
	;; [unrolled: 3-line block ×4, first 2 shown]
	s_mov_b64 s[12:13], 0
	s_mov_b64 s[0:1], -1
	s_cmp_eq_u32 s17, 46
	s_mov_b64 s[10:11], 0
	s_cbranch_scc0 .LBB175_51
; %bb.34:
	v_cndmask_b32_e64 v2, 0, 1.0, s[8:9]
	v_bfe_u32 v3, v2, 16, 1
	s_movk_i32 s0, 0x7fff
	v_add3_u32 v2, v2, v3, s0
	v_lshrrev_b32_e32 v2, 16, v2
	global_store_dword v[0:1], v2, off
	s_mov_b64 s[10:11], -1
	s_mov_b64 s[0:1], 0
	s_branch .LBB175_51
.LBB175_35:
	s_mov_b64 s[2:3], 0
	s_mov_b64 s[0:1], 0
                                        ; implicit-def: $vgpr4
                                        ; implicit-def: $vgpr3
	s_cbranch_execnz .LBB175_187
	s_branch .LBB175_221
.LBB175_36:
	s_mov_b64 s[0:1], 0
	s_mov_b64 s[10:11], 0
	s_cbranch_execnz .LBB175_120
.LBB175_37:
	s_andn2_b64 vcc, exec, s[10:11]
	s_cbranch_vccnz .LBB175_272
	s_branch .LBB175_158
.LBB175_38:
                                        ; implicit-def: $sgpr8_sgpr9
	s_branch .LBB175_27
.LBB175_39:
	s_mov_b64 s[8:9], -1
	s_mov_b64 s[2:3], 0
	s_mov_b64 s[0:1], 0
                                        ; implicit-def: $vgpr4
                                        ; implicit-def: $vgpr3
	s_branch .LBB175_168
.LBB175_40:
	s_mov_b64 s[12:13], -1
	s_mov_b64 s[0:1], 0
	s_mov_b64 s[10:11], 0
	s_branch .LBB175_78
.LBB175_41:
	s_mov_b64 s[8:9], -1
	s_mov_b64 s[2:3], 0
	s_mov_b64 s[0:1], 0
                                        ; implicit-def: $vgpr4
                                        ; implicit-def: $vgpr3
	s_branch .LBB175_162
.LBB175_42:
	s_mov_b64 s[12:13], -1
	s_mov_b64 s[0:1], 0
	s_mov_b64 s[10:11], 0
	s_branch .LBB175_61
.LBB175_43:
	s_mov_b64 s[8:9], -1
	s_mov_b64 s[2:3], 0
	s_branch .LBB175_46
.LBB175_44:
	s_mov_b64 s[12:13], -1
	s_mov_b64 s[0:1], 0
	s_mov_b64 s[10:11], 0
	s_branch .LBB175_57
.LBB175_45:
	s_mov_b64 s[2:3], -1
.LBB175_46:
	s_mov_b64 s[0:1], 0
                                        ; implicit-def: $vgpr4
                                        ; implicit-def: $vgpr3
.LBB175_47:
	s_and_b64 vcc, exec, s[8:9]
	s_cbranch_vccz .LBB175_161
; %bb.48:
	s_cmp_eq_u32 s12, 44
	s_cbranch_scc0 .LBB175_159
; %bb.49:
	global_load_ubyte v3, v[1:2], off
	s_movk_i32 s2, 0xff
	v_mov_b32_e32 v4, 0x7f800001
	v_mov_b32_e32 v5, 0x400000
	;; [unrolled: 1-line block ×3, first 2 shown]
	s_mov_b64 s[0:1], -1
	s_waitcnt vmcnt(0)
	v_lshlrev_b32_e32 v7, 23, v3
	v_cmp_ne_u32_e32 vcc, s2, v3
	v_cndmask_b32_e32 v4, v4, v7, vcc
	v_cmp_ne_u32_e32 vcc, 0, v3
	v_cndmask_b32_e32 v3, v5, v4, vcc
	v_add_u32_e32 v4, 0x7fff, v3
	v_cmp_o_f32_e32 vcc, v3, v3
	v_cndmask_b32_sdwa v3, v6, v4, vcc dst_sel:DWORD dst_unused:UNUSED_PAD src0_sel:DWORD src1_sel:WORD_1
	s_mov_b64 s[2:3], 0
	s_branch .LBB175_160
.LBB175_50:
	s_mov_b64 s[12:13], -1
	s_mov_b64 s[0:1], 0
	s_mov_b64 s[10:11], 0
.LBB175_51:
	s_and_b64 vcc, exec, s[12:13]
	s_cbranch_vccz .LBB175_56
; %bb.52:
	s_cmp_eq_u32 s17, 44
	s_mov_b64 s[0:1], -1
	s_cbranch_scc0 .LBB175_56
; %bb.53:
	v_cndmask_b32_e64 v3, 0, 1.0, s[8:9]
	v_lshrrev_b32_e32 v2, 23, v3
	s_movk_i32 s0, 0xff
	v_cmp_ne_u32_e32 vcc, s0, v2
	v_mov_b32_e32 v4, 0xff
	s_and_saveexec_b64 s[10:11], vcc
; %bb.54:
	s_mov_b32 s0, 0x3fffff
	v_and_b32_e32 v4, 0x400000, v3
	v_and_or_b32 v3, v3, s0, v2
	v_cmp_ne_u32_e32 vcc, 0, v4
	v_cmp_ne_u32_e64 s[0:1], 0, v3
	s_and_b64 s[0:1], vcc, s[0:1]
	v_cndmask_b32_e64 v3, 0, 1, s[0:1]
	v_add_u32_e32 v4, v2, v3
; %bb.55:
	s_or_b64 exec, exec, s[10:11]
	s_mov_b64 s[10:11], -1
	s_mov_b64 s[0:1], 0
	global_store_byte v[0:1], v4, off
.LBB175_56:
	s_mov_b64 s[12:13], 0
.LBB175_57:
	s_and_b64 vcc, exec, s[12:13]
	s_cbranch_vccz .LBB175_60
; %bb.58:
	s_cmp_eq_u32 s17, 29
	s_mov_b64 s[0:1], -1
	s_cbranch_scc0 .LBB175_60
; %bb.59:
	s_mov_b32 s0, 0
	v_cndmask_b32_e64 v2, 0, 1, s[8:9]
	v_mov_b32_e32 v3, s0
	global_store_dwordx2 v[0:1], v[2:3], off
	s_mov_b64 s[10:11], -1
	s_mov_b64 s[0:1], 0
.LBB175_60:
	s_mov_b64 s[12:13], 0
.LBB175_61:
	s_and_b64 vcc, exec, s[12:13]
	s_cbranch_vccz .LBB175_77
; %bb.62:
	s_cmp_lt_i32 s17, 27
	s_mov_b64 s[10:11], -1
	s_cbranch_scc1 .LBB175_68
; %bb.63:
	s_cmp_gt_i32 s17, 27
	s_cbranch_scc0 .LBB175_65
; %bb.64:
	v_cndmask_b32_e64 v2, 0, 1, s[8:9]
	s_mov_b64 s[10:11], 0
	global_store_dword v[0:1], v2, off
.LBB175_65:
	s_andn2_b64 vcc, exec, s[10:11]
	s_cbranch_vccnz .LBB175_67
; %bb.66:
	v_cndmask_b32_e64 v2, 0, 1, s[8:9]
	global_store_short v[0:1], v2, off
.LBB175_67:
	s_mov_b64 s[10:11], 0
.LBB175_68:
	s_andn2_b64 vcc, exec, s[10:11]
	s_cbranch_vccnz .LBB175_76
; %bb.69:
	v_cndmask_b32_e64 v3, 0, 1.0, s[8:9]
	s_mov_b32 s10, 0x43800000
	v_cmp_gt_u32_e32 vcc, s10, v3
	v_mov_b32_e32 v4, 0x80
	s_and_saveexec_b64 s[10:11], vcc
	s_cbranch_execz .LBB175_75
; %bb.70:
	s_mov_b32 s12, 0x3bffffff
	v_cmp_lt_u32_e32 vcc, s12, v3
	s_mov_b64 s[12:13], 0
                                        ; implicit-def: $vgpr2
	s_and_saveexec_b64 s[14:15], vcc
	s_xor_b64 s[14:15], exec, s[14:15]
	s_cbranch_execz .LBB175_319
; %bb.71:
	v_bfe_u32 v2, v3, 20, 1
	s_mov_b32 s18, 0x487ffff
	v_add3_u32 v2, v3, v2, s18
	s_mov_b64 s[12:13], exec
	v_lshrrev_b32_e32 v2, 20, v2
                                        ; implicit-def: $vgpr3
	s_andn2_saveexec_b64 s[14:15], s[14:15]
	s_cbranch_execnz .LBB175_320
.LBB175_72:
	s_or_b64 exec, exec, s[14:15]
	v_mov_b32_e32 v4, 0
	s_and_saveexec_b64 s[14:15], s[12:13]
.LBB175_73:
	v_mov_b32_e32 v4, v2
.LBB175_74:
	s_or_b64 exec, exec, s[14:15]
.LBB175_75:
	s_or_b64 exec, exec, s[10:11]
	global_store_byte v[0:1], v4, off
.LBB175_76:
	s_mov_b64 s[10:11], -1
.LBB175_77:
	s_mov_b64 s[12:13], 0
.LBB175_78:
	s_and_b64 vcc, exec, s[12:13]
	s_cbranch_vccz .LBB175_119
; %bb.79:
	s_cmp_gt_i32 s17, 22
	s_mov_b64 s[12:13], -1
	s_cbranch_scc0 .LBB175_111
; %bb.80:
	s_cmp_lt_i32 s17, 24
	s_mov_b64 s[10:11], -1
	s_cbranch_scc1 .LBB175_100
; %bb.81:
	s_cmp_gt_i32 s17, 24
	s_cbranch_scc0 .LBB175_89
; %bb.82:
	v_cndmask_b32_e64 v3, 0, 1.0, s[8:9]
	s_mov_b32 s10, 0x47800000
	v_cmp_gt_u32_e32 vcc, s10, v3
	v_mov_b32_e32 v4, 0x80
	s_and_saveexec_b64 s[10:11], vcc
	s_cbranch_execz .LBB175_88
; %bb.83:
	s_mov_b32 s12, 0x37ffffff
	v_cmp_lt_u32_e32 vcc, s12, v3
	s_mov_b64 s[12:13], 0
                                        ; implicit-def: $vgpr2
	s_and_saveexec_b64 s[14:15], vcc
	s_xor_b64 s[14:15], exec, s[14:15]
	s_cbranch_execz .LBB175_323
; %bb.84:
	v_bfe_u32 v2, v3, 21, 1
	s_mov_b32 s18, 0x88fffff
	v_add3_u32 v2, v3, v2, s18
	s_mov_b64 s[12:13], exec
	v_lshrrev_b32_e32 v2, 21, v2
                                        ; implicit-def: $vgpr3
	s_andn2_saveexec_b64 s[14:15], s[14:15]
	s_cbranch_execnz .LBB175_324
.LBB175_85:
	s_or_b64 exec, exec, s[14:15]
	v_mov_b32_e32 v4, 0
	s_and_saveexec_b64 s[14:15], s[12:13]
.LBB175_86:
	v_mov_b32_e32 v4, v2
.LBB175_87:
	s_or_b64 exec, exec, s[14:15]
.LBB175_88:
	s_or_b64 exec, exec, s[10:11]
	s_mov_b64 s[10:11], 0
	global_store_byte v[0:1], v4, off
.LBB175_89:
	s_and_b64 vcc, exec, s[10:11]
	s_cbranch_vccz .LBB175_99
; %bb.90:
	v_cndmask_b32_e64 v2, 0, 1.0, s[8:9]
	s_mov_b32 s10, 0x43f00000
	v_cmp_gt_u32_e32 vcc, s10, v2
                                        ; implicit-def: $vgpr3
	s_and_saveexec_b64 s[10:11], vcc
	s_xor_b64 s[10:11], exec, s[10:11]
	s_cbranch_execz .LBB175_96
; %bb.91:
	s_mov_b32 s12, 0x3c7fffff
	v_cmp_lt_u32_e32 vcc, s12, v2
                                        ; implicit-def: $vgpr3
	s_and_saveexec_b64 s[12:13], vcc
	s_xor_b64 s[12:13], exec, s[12:13]
; %bb.92:
	v_bfe_u32 v3, v2, 20, 1
	s_mov_b32 s14, 0x407ffff
	v_add3_u32 v2, v2, v3, s14
	v_lshrrev_b32_e32 v3, 20, v2
	v_and_b32_e32 v2, 0xff00000, v2
	s_mov_b32 s14, 0x7f00000
	v_mov_b32_e32 v4, 0x7e
	v_cmp_ne_u32_e32 vcc, s14, v2
	v_cndmask_b32_e32 v3, v4, v3, vcc
                                        ; implicit-def: $vgpr2
; %bb.93:
	s_andn2_saveexec_b64 s[12:13], s[12:13]
; %bb.94:
	v_add_f32_e32 v3, 0x46800000, v2
; %bb.95:
	s_or_b64 exec, exec, s[12:13]
                                        ; implicit-def: $vgpr2
.LBB175_96:
	s_andn2_saveexec_b64 s[10:11], s[10:11]
; %bb.97:
	s_mov_b32 s12, 0x7f800000
	v_mov_b32_e32 v3, 0x7e
	v_mov_b32_e32 v4, 0x7f
	v_cmp_lt_u32_e32 vcc, s12, v2
	v_cndmask_b32_e32 v3, v3, v4, vcc
; %bb.98:
	s_or_b64 exec, exec, s[10:11]
	global_store_byte v[0:1], v3, off
.LBB175_99:
	s_mov_b64 s[10:11], 0
.LBB175_100:
	s_andn2_b64 vcc, exec, s[10:11]
	s_cbranch_vccnz .LBB175_110
; %bb.101:
	v_cndmask_b32_e64 v2, 0, 1.0, s[8:9]
	s_mov_b32 s10, 0x47800000
	v_cmp_gt_u32_e32 vcc, s10, v2
                                        ; implicit-def: $vgpr3
	s_and_saveexec_b64 s[10:11], vcc
	s_xor_b64 s[10:11], exec, s[10:11]
	s_cbranch_execz .LBB175_107
; %bb.102:
	s_mov_b32 s12, 0x387fffff
	v_cmp_lt_u32_e32 vcc, s12, v2
                                        ; implicit-def: $vgpr3
	s_and_saveexec_b64 s[12:13], vcc
	s_xor_b64 s[12:13], exec, s[12:13]
; %bb.103:
	v_bfe_u32 v3, v2, 21, 1
	s_mov_b32 s14, 0x80fffff
	v_add3_u32 v2, v2, v3, s14
	v_lshrrev_b32_e32 v3, 21, v2
                                        ; implicit-def: $vgpr2
; %bb.104:
	s_andn2_saveexec_b64 s[12:13], s[12:13]
; %bb.105:
	v_add_f32_e32 v3, 0x43000000, v2
; %bb.106:
	s_or_b64 exec, exec, s[12:13]
                                        ; implicit-def: $vgpr2
.LBB175_107:
	s_andn2_saveexec_b64 s[10:11], s[10:11]
; %bb.108:
	s_mov_b32 s12, 0x7f800000
	v_mov_b32_e32 v3, 0x7c
	v_mov_b32_e32 v4, 0x7f
	v_cmp_lt_u32_e32 vcc, s12, v2
	v_cndmask_b32_e32 v3, v3, v4, vcc
; %bb.109:
	s_or_b64 exec, exec, s[10:11]
	global_store_byte v[0:1], v3, off
.LBB175_110:
	s_mov_b64 s[12:13], 0
	s_mov_b64 s[10:11], -1
.LBB175_111:
	s_andn2_b64 vcc, exec, s[12:13]
	s_cbranch_vccnz .LBB175_119
; %bb.112:
	s_cmp_gt_i32 s17, 14
	s_mov_b64 s[12:13], -1
	s_cbranch_scc0 .LBB175_116
; %bb.113:
	s_cmp_eq_u32 s17, 15
	s_mov_b64 s[0:1], -1
	s_cbranch_scc0 .LBB175_115
; %bb.114:
	v_cndmask_b32_e64 v2, 0, 1.0, s[8:9]
	v_bfe_u32 v3, v2, 16, 1
	s_movk_i32 s0, 0x7fff
	v_add3_u32 v2, v2, v3, s0
	global_store_short_d16_hi v[0:1], v2, off
	s_mov_b64 s[10:11], -1
	s_mov_b64 s[0:1], 0
.LBB175_115:
	s_mov_b64 s[12:13], 0
.LBB175_116:
	s_and_b64 vcc, exec, s[12:13]
	s_cbranch_vccz .LBB175_119
; %bb.117:
	s_cmp_eq_u32 s17, 11
	s_mov_b64 s[0:1], -1
	s_cbranch_scc0 .LBB175_119
; %bb.118:
	v_cndmask_b32_e64 v2, 0, 1, s[8:9]
	s_mov_b64 s[10:11], -1
	s_mov_b64 s[0:1], 0
	global_store_byte v[0:1], v2, off
.LBB175_119:
	s_branch .LBB175_37
.LBB175_120:
	s_and_b32 s12, 0xffff, s16
	s_cmp_lt_i32 s12, 5
	s_mov_b64 s[10:11], -1
	s_cbranch_scc1 .LBB175_141
; %bb.121:
	s_cmp_lt_i32 s12, 8
	s_cbranch_scc1 .LBB175_131
; %bb.122:
	s_cmp_lt_i32 s12, 9
	s_cbranch_scc1 .LBB175_128
; %bb.123:
	s_cmp_gt_i32 s12, 9
	s_cbranch_scc0 .LBB175_125
; %bb.124:
	v_cndmask_b32_e64 v2, 0, 1, s[8:9]
	v_cvt_f64_u32_e32 v[2:3], v2
	v_mov_b32_e32 v4, 0
	v_mov_b32_e32 v5, v4
	s_mov_b64 s[10:11], 0
	global_store_dwordx4 v[0:1], v[2:5], off
.LBB175_125:
	s_andn2_b64 vcc, exec, s[10:11]
	s_cbranch_vccnz .LBB175_127
; %bb.126:
	v_cndmask_b32_e64 v2, 0, 1.0, s[8:9]
	v_mov_b32_e32 v3, 0
	global_store_dwordx2 v[0:1], v[2:3], off
.LBB175_127:
	s_mov_b64 s[10:11], 0
.LBB175_128:
	s_andn2_b64 vcc, exec, s[10:11]
	s_cbranch_vccnz .LBB175_130
; %bb.129:
	v_cndmask_b32_e64 v2, 0, 1.0, s[8:9]
	v_cvt_f16_f32_e32 v2, v2
	global_store_dword v[0:1], v2, off
.LBB175_130:
	s_mov_b64 s[10:11], 0
.LBB175_131:
	s_andn2_b64 vcc, exec, s[10:11]
	s_cbranch_vccnz .LBB175_140
; %bb.132:
	s_cmp_lt_i32 s12, 6
	s_mov_b64 s[10:11], -1
	s_cbranch_scc1 .LBB175_138
; %bb.133:
	s_cmp_gt_i32 s12, 6
	s_cbranch_scc0 .LBB175_135
; %bb.134:
	v_cndmask_b32_e64 v2, 0, 1, s[8:9]
	v_cvt_f64_u32_e32 v[2:3], v2
	s_mov_b64 s[10:11], 0
	global_store_dwordx2 v[0:1], v[2:3], off
.LBB175_135:
	s_andn2_b64 vcc, exec, s[10:11]
	s_cbranch_vccnz .LBB175_137
; %bb.136:
	v_cndmask_b32_e64 v2, 0, 1.0, s[8:9]
	global_store_dword v[0:1], v2, off
.LBB175_137:
	s_mov_b64 s[10:11], 0
.LBB175_138:
	s_andn2_b64 vcc, exec, s[10:11]
	s_cbranch_vccnz .LBB175_140
; %bb.139:
	v_cndmask_b32_e64 v2, 0, 1.0, s[8:9]
	v_cvt_f16_f32_e32 v2, v2
	global_store_short v[0:1], v2, off
.LBB175_140:
	s_mov_b64 s[10:11], 0
.LBB175_141:
	s_andn2_b64 vcc, exec, s[10:11]
	s_cbranch_vccnz .LBB175_157
; %bb.142:
	s_cmp_lt_i32 s12, 2
	s_mov_b64 s[10:11], -1
	s_cbranch_scc1 .LBB175_152
; %bb.143:
	s_cmp_lt_i32 s12, 3
	s_cbranch_scc1 .LBB175_149
; %bb.144:
	s_cmp_gt_i32 s12, 3
	s_cbranch_scc0 .LBB175_146
; %bb.145:
	s_mov_b32 s10, 0
	v_cndmask_b32_e64 v2, 0, 1, s[8:9]
	v_mov_b32_e32 v3, s10
	global_store_dwordx2 v[0:1], v[2:3], off
	s_mov_b64 s[10:11], 0
.LBB175_146:
	s_andn2_b64 vcc, exec, s[10:11]
	s_cbranch_vccnz .LBB175_148
; %bb.147:
	v_cndmask_b32_e64 v2, 0, 1, s[8:9]
	global_store_dword v[0:1], v2, off
.LBB175_148:
	s_mov_b64 s[10:11], 0
.LBB175_149:
	s_andn2_b64 vcc, exec, s[10:11]
	s_cbranch_vccnz .LBB175_151
; %bb.150:
	v_cndmask_b32_e64 v2, 0, 1, s[8:9]
	global_store_short v[0:1], v2, off
.LBB175_151:
	s_mov_b64 s[10:11], 0
.LBB175_152:
	s_andn2_b64 vcc, exec, s[10:11]
	s_cbranch_vccnz .LBB175_157
; %bb.153:
	s_cmp_gt_i32 s12, 0
	s_mov_b64 s[10:11], -1
	s_cbranch_scc0 .LBB175_155
; %bb.154:
	v_cndmask_b32_e64 v2, 0, 1, s[8:9]
	global_store_byte v[0:1], v2, off
	s_mov_b64 s[10:11], 0
.LBB175_155:
	s_andn2_b64 vcc, exec, s[10:11]
	s_cbranch_vccnz .LBB175_157
; %bb.156:
	v_cndmask_b32_e64 v2, 0, 1, s[8:9]
	global_store_byte v[0:1], v2, off
.LBB175_157:
.LBB175_158:
	v_add_u32_e32 v8, 0x80, v8
	s_mov_b64 s[8:9], -1
	s_branch .LBB175_273
.LBB175_159:
	s_mov_b64 s[2:3], -1
                                        ; implicit-def: $vgpr3
.LBB175_160:
	v_mov_b32_e32 v4, 0
.LBB175_161:
	s_mov_b64 s[8:9], 0
.LBB175_162:
	s_and_b64 vcc, exec, s[8:9]
	s_cbranch_vccz .LBB175_167
; %bb.163:
	s_cmp_eq_u32 s12, 29
	s_cbranch_scc0 .LBB175_165
; %bb.164:
	global_load_dwordx2 v[3:4], v[1:2], off
	s_movk_i32 s2, 0x7fff
	s_mov_b64 s[0:1], -1
	s_waitcnt vmcnt(0)
	v_ffbh_u32_e32 v5, v4
	v_min_u32_e32 v5, 32, v5
	v_lshlrev_b64 v[3:4], v5, v[3:4]
	v_min_u32_e32 v3, 1, v3
	v_or_b32_e32 v3, v4, v3
	v_cvt_f32_u32_e32 v3, v3
	v_sub_u32_e32 v4, 32, v5
	v_ldexp_f32 v3, v3, v4
	v_bfe_u32 v4, v3, 16, 1
	v_add3_u32 v3, v3, v4, s2
	v_lshrrev_b32_e32 v3, 16, v3
	s_mov_b64 s[2:3], 0
	s_branch .LBB175_166
.LBB175_165:
	s_mov_b64 s[2:3], -1
                                        ; implicit-def: $vgpr3
.LBB175_166:
	v_mov_b32_e32 v4, 0
.LBB175_167:
	s_mov_b64 s[8:9], 0
.LBB175_168:
	s_and_b64 vcc, exec, s[8:9]
	s_cbranch_vccz .LBB175_186
; %bb.169:
	s_cmp_lt_i32 s12, 27
	s_cbranch_scc1 .LBB175_172
; %bb.170:
	s_cmp_gt_i32 s12, 27
	s_cbranch_scc0 .LBB175_173
; %bb.171:
	global_load_dword v3, v[1:2], off
	s_movk_i32 s0, 0x7fff
	s_waitcnt vmcnt(0)
	v_cvt_f32_u32_e32 v3, v3
	v_bfe_u32 v4, v3, 16, 1
	v_add3_u32 v3, v3, v4, s0
	v_lshrrev_b32_e32 v3, 16, v3
	s_mov_b64 s[0:1], 0
	s_branch .LBB175_174
.LBB175_172:
	s_mov_b64 s[0:1], -1
                                        ; implicit-def: $vgpr3
	s_branch .LBB175_177
.LBB175_173:
	s_mov_b64 s[0:1], -1
                                        ; implicit-def: $vgpr3
.LBB175_174:
	s_andn2_b64 vcc, exec, s[0:1]
	s_cbranch_vccnz .LBB175_176
; %bb.175:
	global_load_ushort v3, v[1:2], off
	s_movk_i32 s0, 0x7fff
	s_waitcnt vmcnt(0)
	v_cvt_f32_u32_e32 v3, v3
	v_bfe_u32 v4, v3, 16, 1
	v_add3_u32 v3, v3, v4, s0
	v_lshrrev_b32_e32 v3, 16, v3
.LBB175_176:
	s_mov_b64 s[0:1], 0
.LBB175_177:
	s_andn2_b64 vcc, exec, s[0:1]
	s_cbranch_vccnz .LBB175_185
; %bb.178:
	global_load_ubyte v3, v[1:2], off
	s_movk_i32 s0, 0x7f
	s_waitcnt vmcnt(0)
	v_cmp_lt_i16_e32 vcc, s0, v3
	s_mov_b64 s[0:1], 0
	s_and_saveexec_b64 s[8:9], vcc
	s_xor_b64 s[8:9], exec, s[8:9]
	s_cbranch_execz .LBB175_198
; %bb.179:
	s_movk_i32 s0, 0x80
	v_cmp_eq_u16_e32 vcc, s0, v3
	s_mov_b64 s[0:1], -1
	s_and_saveexec_b64 s[10:11], vcc
; %bb.180:
	s_xor_b64 s[0:1], exec, -1
; %bb.181:
	s_or_b64 exec, exec, s[10:11]
	s_and_b64 s[0:1], s[0:1], exec
	s_or_saveexec_b64 s[8:9], s[8:9]
	v_mov_b32_e32 v4, 0x7f800001
	s_xor_b64 exec, exec, s[8:9]
	s_cbranch_execnz .LBB175_199
.LBB175_182:
	s_or_b64 exec, exec, s[8:9]
	s_and_saveexec_b64 s[8:9], s[0:1]
	s_cbranch_execz .LBB175_184
.LBB175_183:
	v_lshlrev_b32_e32 v4, 24, v3
	v_and_b32_e32 v3, 0xffff, v3
	v_and_b32_e32 v5, 7, v3
	v_ffbh_u32_e32 v7, v5
	v_min_u32_e32 v7, 32, v7
	v_subrev_u32_e32 v9, 28, v7
	v_bfe_u32 v6, v3, 3, 4
	v_lshlrev_b32_e32 v3, v9, v3
	v_sub_u32_e32 v7, 29, v7
	v_and_b32_e32 v3, 7, v3
	v_cmp_eq_u32_e32 vcc, 0, v6
	v_cndmask_b32_e32 v6, v6, v7, vcc
	v_cndmask_b32_e32 v3, v5, v3, vcc
	v_mov_b32_e32 v5, 0x3b800000
	v_lshlrev_b32_e32 v3, 20, v3
	v_and_b32_e32 v4, 0x80000000, v4
	v_lshl_add_u32 v5, v6, 23, v5
	v_or3_b32 v4, v4, v5, v3
.LBB175_184:
	s_or_b64 exec, exec, s[8:9]
	v_bfe_u32 v3, v4, 16, 1
	s_movk_i32 s0, 0x7fff
	v_add3_u32 v3, v4, v3, s0
	v_cmp_o_f32_e32 vcc, v4, v4
	v_mov_b32_e32 v4, 0x7fc0
	v_cndmask_b32_sdwa v3, v4, v3, vcc dst_sel:DWORD dst_unused:UNUSED_PAD src0_sel:DWORD src1_sel:WORD_1
.LBB175_185:
	s_mov_b64 s[0:1], -1
	v_mov_b32_e32 v4, 0
.LBB175_186:
	s_branch .LBB175_221
.LBB175_187:
	s_cmp_gt_i32 s12, 22
	s_cbranch_scc0 .LBB175_197
; %bb.188:
	s_cmp_lt_i32 s12, 24
	s_cbranch_scc1 .LBB175_200
; %bb.189:
	s_cmp_gt_i32 s12, 24
	s_cbranch_scc0 .LBB175_201
; %bb.190:
	global_load_ubyte v3, v[1:2], off
	s_movk_i32 s0, 0x7f
	s_waitcnt vmcnt(0)
	v_cmp_lt_i16_e32 vcc, s0, v3
	s_mov_b64 s[0:1], 0
	s_and_saveexec_b64 s[8:9], vcc
	s_xor_b64 s[8:9], exec, s[8:9]
	s_cbranch_execz .LBB175_212
; %bb.191:
	s_movk_i32 s0, 0x80
	v_cmp_eq_u16_e32 vcc, s0, v3
	s_mov_b64 s[0:1], -1
	s_and_saveexec_b64 s[10:11], vcc
; %bb.192:
	s_xor_b64 s[0:1], exec, -1
; %bb.193:
	s_or_b64 exec, exec, s[10:11]
	s_and_b64 s[0:1], s[0:1], exec
	s_or_saveexec_b64 s[8:9], s[8:9]
	v_mov_b32_e32 v4, 0x7f800001
	s_xor_b64 exec, exec, s[8:9]
	s_cbranch_execnz .LBB175_213
.LBB175_194:
	s_or_b64 exec, exec, s[8:9]
	s_and_saveexec_b64 s[8:9], s[0:1]
	s_cbranch_execz .LBB175_196
.LBB175_195:
	v_lshlrev_b32_e32 v4, 24, v3
	v_and_b32_e32 v3, 0xffff, v3
	v_and_b32_e32 v5, 3, v3
	v_ffbh_u32_e32 v7, v5
	v_min_u32_e32 v7, 32, v7
	v_subrev_u32_e32 v9, 29, v7
	v_bfe_u32 v6, v3, 2, 5
	v_lshlrev_b32_e32 v3, v9, v3
	v_sub_u32_e32 v7, 30, v7
	v_and_b32_e32 v3, 3, v3
	v_cmp_eq_u32_e32 vcc, 0, v6
	v_cndmask_b32_e32 v6, v6, v7, vcc
	v_cndmask_b32_e32 v3, v5, v3, vcc
	v_mov_b32_e32 v5, 0x37800000
	v_lshlrev_b32_e32 v3, 21, v3
	v_and_b32_e32 v4, 0x80000000, v4
	v_lshl_add_u32 v5, v6, 23, v5
	v_or3_b32 v4, v4, v5, v3
.LBB175_196:
	s_or_b64 exec, exec, s[8:9]
	v_bfe_u32 v3, v4, 16, 1
	s_movk_i32 s0, 0x7fff
	v_add3_u32 v3, v4, v3, s0
	v_cmp_o_f32_e32 vcc, v4, v4
	v_mov_b32_e32 v4, 0x7fc0
	v_cndmask_b32_sdwa v3, v4, v3, vcc dst_sel:DWORD dst_unused:UNUSED_PAD src0_sel:DWORD src1_sel:WORD_1
	s_mov_b64 s[0:1], 0
	s_branch .LBB175_202
.LBB175_197:
                                        ; implicit-def: $vgpr3
	s_branch .LBB175_208
.LBB175_198:
	s_or_saveexec_b64 s[8:9], s[8:9]
	v_mov_b32_e32 v4, 0x7f800001
	s_xor_b64 exec, exec, s[8:9]
	s_cbranch_execz .LBB175_182
.LBB175_199:
	v_cmp_ne_u16_e32 vcc, 0, v3
	s_andn2_b64 s[0:1], s[0:1], exec
	s_and_b64 s[10:11], vcc, exec
	v_mov_b32_e32 v4, 0
	s_or_b64 s[0:1], s[0:1], s[10:11]
	s_or_b64 exec, exec, s[8:9]
	s_and_saveexec_b64 s[8:9], s[0:1]
	s_cbranch_execnz .LBB175_183
	s_branch .LBB175_184
.LBB175_200:
	s_mov_b64 s[0:1], -1
                                        ; implicit-def: $vgpr3
	s_branch .LBB175_205
.LBB175_201:
	s_mov_b64 s[0:1], -1
                                        ; implicit-def: $vgpr3
.LBB175_202:
	s_and_b64 vcc, exec, s[0:1]
	s_cbranch_vccz .LBB175_204
; %bb.203:
	global_load_ubyte v3, v[1:2], off
	s_mov_b32 s0, 0x7f800000
	s_brev_b32 s1, 1
	s_movk_i32 s8, 0x7fff
	s_waitcnt vmcnt(0)
	v_lshlrev_b32_e32 v3, 24, v3
	v_and_b32_e32 v4, 0x7f000000, v3
	v_ffbh_u32_e32 v5, v4
	v_min_u32_e32 v5, 32, v5
	v_sub_u32_e64 v5, v5, 4 clamp
	v_lshlrev_b32_e32 v7, v5, v4
	v_lshlrev_b32_e32 v5, 23, v5
	v_lshrrev_b32_e32 v7, 4, v7
	v_add_u32_e32 v6, 0x1000000, v4
	v_sub_u32_e32 v5, v7, v5
	v_ashrrev_i32_e32 v6, 8, v6
	v_add_u32_e32 v5, 0x3c000000, v5
	v_and_or_b32 v5, v6, s0, v5
	v_cmp_ne_u32_e32 vcc, 0, v4
	v_cndmask_b32_e32 v4, 0, v5, vcc
	v_and_or_b32 v3, v3, s1, v4
	v_bfe_u32 v4, v4, 16, 1
	v_add3_u32 v4, v3, v4, s8
	v_cmp_o_f32_e32 vcc, v3, v3
	v_mov_b32_e32 v3, 0x7fc0
	v_cndmask_b32_sdwa v3, v3, v4, vcc dst_sel:DWORD dst_unused:UNUSED_PAD src0_sel:DWORD src1_sel:WORD_1
.LBB175_204:
	s_mov_b64 s[0:1], 0
.LBB175_205:
	s_andn2_b64 vcc, exec, s[0:1]
	s_cbranch_vccnz .LBB175_207
; %bb.206:
	global_load_ubyte v3, v[1:2], off
	s_movk_i32 s0, 0x7f00
	s_brev_b32 s1, 16
	s_brev_b32 s8, 1
	s_movk_i32 s9, 0x7fff
	s_waitcnt vmcnt(0)
	v_lshlrev_b16_e32 v4, 8, v3
	v_lshlrev_b32_e32 v3, 25, v3
	v_lshrrev_b32_e32 v5, 4, v3
	v_and_or_b32 v6, v4, s0, 0.5
	v_or_b32_e32 v5, 0x70000000, v5
	v_add_f32_e32 v6, -0.5, v6
	v_mul_f32_e32 v5, 0x7800000, v5
	v_cmp_gt_u32_e32 vcc, s1, v3
	v_bfe_i32 v4, v4, 0, 16
	v_cndmask_b32_e32 v3, v5, v6, vcc
	v_and_or_b32 v4, v4, s8, v3
	v_bfe_u32 v3, v3, 16, 1
	v_add3_u32 v3, v4, v3, s9
	v_cmp_o_f32_e32 vcc, v4, v4
	v_mov_b32_e32 v4, 0x7fc0
	v_cndmask_b32_sdwa v3, v4, v3, vcc dst_sel:DWORD dst_unused:UNUSED_PAD src0_sel:DWORD src1_sel:WORD_1
.LBB175_207:
	s_mov_b64 s[0:1], -1
	s_cbranch_execnz .LBB175_220
.LBB175_208:
	s_cmp_gt_i32 s12, 14
	s_cbranch_scc0 .LBB175_211
; %bb.209:
	s_cmp_eq_u32 s12, 15
	s_cbranch_scc0 .LBB175_214
; %bb.210:
	global_load_ushort v3, v[1:2], off
	s_mov_b64 s[0:1], -1
	s_mov_b64 s[2:3], 0
	s_branch .LBB175_215
.LBB175_211:
	s_mov_b64 s[8:9], -1
                                        ; implicit-def: $vgpr3
	s_branch .LBB175_216
.LBB175_212:
	s_or_saveexec_b64 s[8:9], s[8:9]
	v_mov_b32_e32 v4, 0x7f800001
	s_xor_b64 exec, exec, s[8:9]
	s_cbranch_execz .LBB175_194
.LBB175_213:
	v_cmp_ne_u16_e32 vcc, 0, v3
	s_andn2_b64 s[0:1], s[0:1], exec
	s_and_b64 s[10:11], vcc, exec
	v_mov_b32_e32 v4, 0
	s_or_b64 s[0:1], s[0:1], s[10:11]
	s_or_b64 exec, exec, s[8:9]
	s_and_saveexec_b64 s[8:9], s[0:1]
	s_cbranch_execnz .LBB175_195
	s_branch .LBB175_196
.LBB175_214:
	s_mov_b64 s[2:3], -1
                                        ; implicit-def: $vgpr3
.LBB175_215:
	s_mov_b64 s[8:9], 0
.LBB175_216:
	s_and_b64 vcc, exec, s[8:9]
	s_cbranch_vccz .LBB175_220
; %bb.217:
	s_cmp_eq_u32 s12, 11
	s_cbranch_scc0 .LBB175_219
; %bb.218:
	global_load_ubyte v3, v[1:2], off
	s_mov_b64 s[0:1], -1
	s_mov_b64 s[2:3], 0
	v_mov_b32_e32 v4, 0
	s_waitcnt vmcnt(0)
	v_cmp_ne_u16_e32 vcc, 0, v3
	v_cndmask_b32_e64 v3, 0, 1.0, vcc
	v_lshrrev_b32_e32 v3, 16, v3
	s_branch .LBB175_221
.LBB175_219:
	s_mov_b64 s[2:3], -1
                                        ; implicit-def: $vgpr3
.LBB175_220:
	v_mov_b32_e32 v4, 0
.LBB175_221:
	s_branch .LBB175_24
.LBB175_222:
	s_cmp_lt_i32 s12, 5
	s_cbranch_scc1 .LBB175_227
; %bb.223:
	s_cmp_lt_i32 s12, 8
	s_cbranch_scc1 .LBB175_228
; %bb.224:
	;; [unrolled: 3-line block ×3, first 2 shown]
	s_cmp_gt_i32 s12, 9
	s_cbranch_scc0 .LBB175_230
; %bb.226:
	global_load_dwordx4 v[3:6], v[1:2], off
	s_movk_i32 s0, 0x7fff
	s_waitcnt vmcnt(0)
	v_cvt_f32_f64_e32 v3, v[3:4]
	v_cvt_f32_f64_e32 v4, v[5:6]
	v_mov_b32_e32 v5, 0x7fc0
	v_mov_b32_e32 v6, 0x7fc00000
	v_bfe_u32 v7, v3, 16, 1
	v_bfe_u32 v9, v4, 16, 1
	v_cmp_o_f32_e32 vcc, v3, v3
	v_add3_u32 v3, v3, v7, s0
	v_add3_u32 v7, v4, v9, s0
	v_cndmask_b32_sdwa v3, v5, v3, vcc dst_sel:DWORD dst_unused:UNUSED_PAD src0_sel:DWORD src1_sel:WORD_1
	v_and_b32_e32 v5, 0xffff0000, v7
	v_cmp_o_f32_e32 vcc, v4, v4
	v_cndmask_b32_e32 v4, v6, v5, vcc
	s_mov_b64 s[0:1], 0
	s_branch .LBB175_231
.LBB175_227:
                                        ; implicit-def: $vgpr4
                                        ; implicit-def: $vgpr3
	s_branch .LBB175_250
.LBB175_228:
	s_mov_b64 s[0:1], -1
                                        ; implicit-def: $vgpr4
                                        ; implicit-def: $vgpr3
	s_branch .LBB175_237
.LBB175_229:
	s_mov_b64 s[0:1], -1
                                        ; implicit-def: $vgpr4
                                        ; implicit-def: $vgpr3
	s_branch .LBB175_234
.LBB175_230:
	s_mov_b64 s[0:1], -1
                                        ; implicit-def: $vgpr4
                                        ; implicit-def: $vgpr3
.LBB175_231:
	s_andn2_b64 vcc, exec, s[0:1]
	s_cbranch_vccnz .LBB175_233
; %bb.232:
	global_load_dwordx2 v[3:4], v[1:2], off
	s_movk_i32 s0, 0x7fff
	v_mov_b32_e32 v5, 0x7fc0
	v_mov_b32_e32 v6, 0x7fc00000
	s_waitcnt vmcnt(0)
	v_bfe_u32 v7, v3, 16, 1
	v_bfe_u32 v9, v4, 16, 1
	v_cmp_o_f32_e32 vcc, v3, v3
	v_add3_u32 v3, v3, v7, s0
	v_add3_u32 v7, v4, v9, s0
	v_cndmask_b32_sdwa v3, v5, v3, vcc dst_sel:DWORD dst_unused:UNUSED_PAD src0_sel:DWORD src1_sel:WORD_1
	v_and_b32_e32 v5, 0xffff0000, v7
	v_cmp_o_f32_e32 vcc, v4, v4
	v_cndmask_b32_e32 v4, v6, v5, vcc
.LBB175_233:
	s_mov_b64 s[0:1], 0
.LBB175_234:
	s_andn2_b64 vcc, exec, s[0:1]
	s_cbranch_vccnz .LBB175_236
; %bb.235:
	global_load_dword v4, v[1:2], off
	s_movk_i32 s0, 0x7fff
	s_waitcnt vmcnt(1)
	v_mov_b32_e32 v3, 0x7fc0
	v_mov_b32_e32 v7, 0x7fc00000
	s_waitcnt vmcnt(0)
	v_cvt_f32_f16_e32 v5, v4
	v_cvt_f32_f16_sdwa v6, v4 dst_sel:DWORD dst_unused:UNUSED_PAD src0_sel:WORD_1
	v_cmp_o_f16_e32 vcc, v4, v4
	v_bfe_u32 v9, v5, 16, 1
	v_bfe_u32 v10, v6, 16, 1
	v_add3_u32 v5, v5, v9, s0
	v_add3_u32 v6, v6, v10, s0
	v_cndmask_b32_sdwa v3, v3, v5, vcc dst_sel:DWORD dst_unused:UNUSED_PAD src0_sel:DWORD src1_sel:WORD_1
	v_and_b32_e32 v5, 0xffff0000, v6
	v_cmp_o_f16_sdwa vcc, v4, v4 src0_sel:WORD_1 src1_sel:WORD_1
	v_cndmask_b32_e32 v4, v7, v5, vcc
.LBB175_236:
	s_mov_b64 s[0:1], 0
.LBB175_237:
	s_andn2_b64 vcc, exec, s[0:1]
	s_cbranch_vccnz .LBB175_249
; %bb.238:
	s_cmp_lt_i32 s12, 6
	s_cbranch_scc1 .LBB175_241
; %bb.239:
	s_cmp_gt_i32 s12, 6
	s_cbranch_scc0 .LBB175_242
; %bb.240:
	global_load_dwordx2 v[3:4], v[1:2], off
	s_movk_i32 s0, 0x7fff
	s_waitcnt vmcnt(0)
	v_cvt_f32_f64_e32 v3, v[3:4]
	v_mov_b32_e32 v4, 0x7fc0
	v_bfe_u32 v5, v3, 16, 1
	v_cmp_o_f32_e32 vcc, v3, v3
	v_add3_u32 v3, v3, v5, s0
	v_cndmask_b32_sdwa v3, v4, v3, vcc dst_sel:DWORD dst_unused:UNUSED_PAD src0_sel:DWORD src1_sel:WORD_1
	s_mov_b64 s[0:1], 0
	s_branch .LBB175_243
.LBB175_241:
	s_mov_b64 s[0:1], -1
                                        ; implicit-def: $vgpr3
	s_branch .LBB175_246
.LBB175_242:
	s_mov_b64 s[0:1], -1
                                        ; implicit-def: $vgpr3
.LBB175_243:
	s_andn2_b64 vcc, exec, s[0:1]
	s_cbranch_vccnz .LBB175_245
; %bb.244:
	global_load_dword v3, v[1:2], off
	s_movk_i32 s0, 0x7fff
	v_mov_b32_e32 v4, 0x7fc0
	s_waitcnt vmcnt(0)
	v_bfe_u32 v5, v3, 16, 1
	v_cmp_o_f32_e32 vcc, v3, v3
	v_add3_u32 v3, v3, v5, s0
	v_cndmask_b32_sdwa v3, v4, v3, vcc dst_sel:DWORD dst_unused:UNUSED_PAD src0_sel:DWORD src1_sel:WORD_1
.LBB175_245:
	s_mov_b64 s[0:1], 0
.LBB175_246:
	s_andn2_b64 vcc, exec, s[0:1]
	s_cbranch_vccnz .LBB175_248
; %bb.247:
	global_load_ushort v3, v[1:2], off
	s_movk_i32 s0, 0x7fff
	v_mov_b32_e32 v5, 0x7fc0
	s_waitcnt vmcnt(0)
	v_cvt_f32_f16_e32 v4, v3
	v_cmp_o_f16_e32 vcc, v3, v3
	v_bfe_u32 v3, v4, 16, 1
	v_add3_u32 v3, v4, v3, s0
	v_cndmask_b32_sdwa v3, v5, v3, vcc dst_sel:DWORD dst_unused:UNUSED_PAD src0_sel:DWORD src1_sel:WORD_1
.LBB175_248:
	v_mov_b32_e32 v4, 0
.LBB175_249:
	s_cbranch_execnz .LBB175_270
.LBB175_250:
	s_cmp_lt_i32 s12, 2
	s_cbranch_scc1 .LBB175_254
; %bb.251:
	s_cmp_lt_i32 s12, 3
	s_cbranch_scc1 .LBB175_255
; %bb.252:
	s_cmp_gt_i32 s12, 3
	s_cbranch_scc0 .LBB175_256
; %bb.253:
	global_load_dwordx2 v[3:4], v[1:2], off
	s_movk_i32 s0, 0x7fff
	s_waitcnt vmcnt(0)
	v_xor_b32_e32 v6, v3, v4
	v_ffbh_i32_e32 v5, v4
	v_ashrrev_i32_e32 v6, 31, v6
	v_add_u32_e32 v5, -1, v5
	v_add_u32_e32 v6, 32, v6
	v_min_u32_e32 v5, v5, v6
	v_lshlrev_b64 v[3:4], v5, v[3:4]
	v_min_u32_e32 v3, 1, v3
	v_or_b32_e32 v3, v4, v3
	v_cvt_f32_i32_e32 v3, v3
	v_sub_u32_e32 v4, 32, v5
	v_ldexp_f32 v3, v3, v4
	v_bfe_u32 v4, v3, 16, 1
	v_add3_u32 v3, v3, v4, s0
	v_lshrrev_b32_e32 v3, 16, v3
	s_mov_b64 s[0:1], 0
	s_branch .LBB175_257
.LBB175_254:
	s_mov_b64 s[0:1], -1
                                        ; implicit-def: $vgpr3
	s_branch .LBB175_263
.LBB175_255:
	s_mov_b64 s[0:1], -1
                                        ; implicit-def: $vgpr3
	s_branch .LBB175_260
.LBB175_256:
	s_mov_b64 s[0:1], -1
                                        ; implicit-def: $vgpr3
.LBB175_257:
	s_andn2_b64 vcc, exec, s[0:1]
	s_cbranch_vccnz .LBB175_259
; %bb.258:
	global_load_dword v3, v[1:2], off
	s_movk_i32 s0, 0x7fff
	s_waitcnt vmcnt(0)
	v_cvt_f32_i32_e32 v3, v3
	v_bfe_u32 v4, v3, 16, 1
	v_add3_u32 v3, v3, v4, s0
	v_lshrrev_b32_e32 v3, 16, v3
.LBB175_259:
	s_mov_b64 s[0:1], 0
.LBB175_260:
	s_andn2_b64 vcc, exec, s[0:1]
	s_cbranch_vccnz .LBB175_262
; %bb.261:
	global_load_sshort v3, v[1:2], off
	s_movk_i32 s0, 0x7fff
	s_waitcnt vmcnt(0)
	v_cvt_f32_i32_e32 v3, v3
	v_bfe_u32 v4, v3, 16, 1
	v_add3_u32 v3, v3, v4, s0
	v_lshrrev_b32_e32 v3, 16, v3
.LBB175_262:
	s_mov_b64 s[0:1], 0
.LBB175_263:
	s_andn2_b64 vcc, exec, s[0:1]
	s_cbranch_vccnz .LBB175_269
; %bb.264:
	s_cmp_gt_i32 s12, 0
	s_cbranch_scc0 .LBB175_266
; %bb.265:
	global_load_sbyte v3, v[1:2], off
	s_movk_i32 s0, 0x7fff
	s_waitcnt vmcnt(0)
	v_cvt_f32_i32_e32 v3, v3
	v_bfe_u32 v4, v3, 16, 1
	v_add3_u32 v3, v3, v4, s0
	v_lshrrev_b32_e32 v3, 16, v3
	s_mov_b64 s[0:1], 0
	s_branch .LBB175_267
.LBB175_266:
	s_mov_b64 s[0:1], -1
                                        ; implicit-def: $vgpr3
.LBB175_267:
	s_andn2_b64 vcc, exec, s[0:1]
	s_cbranch_vccnz .LBB175_269
; %bb.268:
	global_load_ubyte v1, v[1:2], off
	s_movk_i32 s0, 0x7fff
	s_waitcnt vmcnt(0)
	v_cvt_f32_ubyte0_e32 v1, v1
	v_bfe_u32 v2, v1, 16, 1
	v_add3_u32 v1, v1, v2, s0
	v_lshrrev_b32_e32 v3, 16, v1
.LBB175_269:
	v_mov_b32_e32 v4, 0
.LBB175_270:
	s_branch .LBB175_25
.LBB175_271:
	s_mov_b64 s[0:1], 0
.LBB175_272:
	s_mov_b64 s[8:9], 0
                                        ; implicit-def: $vgpr8
.LBB175_273:
	s_and_b64 s[54:55], s[0:1], exec
	s_and_b64 s[56:57], s[2:3], exec
	s_orn2_b64 s[2:3], s[8:9], exec
.LBB175_274:
	s_or_b64 exec, exec, s[58:59]
	s_mov_b64 s[10:11], 0
	s_mov_b64 s[0:1], 0
                                        ; implicit-def: $vgpr1_vgpr2
                                        ; implicit-def: $vgpr0
                                        ; implicit-def: $vgpr4
                                        ; implicit-def: $vgpr3
	s_and_saveexec_b64 s[58:59], s[2:3]
	s_cbranch_execz .LBB175_281
; %bb.275:
	v_cmp_gt_i32_e32 vcc, s72, v8
	s_mov_b64 s[0:1], -1
	s_mov_b64 s[60:61], s[56:57]
	s_mov_b64 s[62:63], s[54:55]
	s_and_saveexec_b64 s[64:65], vcc
	s_cbranch_execz .LBB175_559
; %bb.276:
	s_andn2_b64 vcc, exec, s[40:41]
	s_cbranch_vccnz .LBB175_284
; %bb.277:
	s_andn2_b64 vcc, exec, s[52:53]
	s_cbranch_vccnz .LBB175_285
; %bb.278:
	s_add_i32 s67, s79, 1
	s_cmp_eq_u32 s74, 2
	s_cbranch_scc1 .LBB175_286
; %bb.279:
	s_and_b32 s66, s67, 28
	v_mov_b32_e32 v2, 0
	s_mov_b32 s68, 0
	s_mov_b64 s[60:61], s[34:35]
	s_mov_b64 s[62:63], s[50:51]
	v_mov_b32_e32 v0, 0
	v_mov_b32_e32 v1, v8
.LBB175_280:                            ; =>This Inner Loop Header: Depth=1
	s_load_dwordx8 s[16:23], s[60:61], 0x4
	s_load_dwordx4 s[0:3], s[60:61], 0x24
	s_load_dwordx8 s[8:15], s[62:63], 0x0
	s_add_u32 s60, s60, 48
	s_addc_u32 s61, s61, 0
	s_waitcnt vmcnt(0) lgkmcnt(0)
	v_mul_hi_u32 v3, s17, v1
	s_add_i32 s68, s68, 4
	s_add_u32 s62, s62, 32
	s_addc_u32 s63, s63, 0
	v_add_u32_e32 v3, v1, v3
	v_lshrrev_b32_e32 v3, s18, v3
	v_mul_lo_u32 v4, v3, s16
	v_mul_hi_u32 v5, s20, v3
	s_cmp_eq_u32 s66, s68
	v_sub_u32_e32 v1, v1, v4
	v_add_u32_e32 v4, v3, v5
	v_mul_lo_u32 v5, v1, s8
	v_mul_lo_u32 v6, v1, s9
	v_lshrrev_b32_e32 v1, s21, v4
	v_mul_lo_u32 v4, v1, s19
	v_mul_hi_u32 v7, s23, v1
	v_sub_u32_e32 v3, v3, v4
	v_add_u32_e32 v4, v1, v7
	v_lshrrev_b32_e32 v4, s0, v4
	v_mul_hi_u32 v9, s2, v4
	v_mul_lo_u32 v10, v4, s22
	v_mul_lo_u32 v7, v3, s10
	;; [unrolled: 1-line block ×3, first 2 shown]
	v_sub_u32_e32 v10, v1, v10
	v_add_u32_e32 v1, v4, v9
	v_lshrrev_b32_e32 v1, s3, v1
	v_mul_lo_u32 v9, v1, s1
	v_mul_lo_u32 v11, v10, s12
	;; [unrolled: 1-line block ×3, first 2 shown]
	v_add3_u32 v0, v5, v0, v7
	v_sub_u32_e32 v4, v4, v9
	v_mul_lo_u32 v9, v4, s14
	v_mul_lo_u32 v4, v4, s15
	v_add3_u32 v2, v6, v2, v3
	v_add3_u32 v0, v11, v0, v9
	;; [unrolled: 1-line block ×3, first 2 shown]
	s_cbranch_scc0 .LBB175_280
	s_branch .LBB175_287
.LBB175_281:
	s_or_b64 exec, exec, s[58:59]
	s_mov_b64 s[2:3], 0
	s_and_saveexec_b64 s[8:9], s[56:57]
	s_cbranch_execnz .LBB175_948
.LBB175_282:
	s_or_b64 exec, exec, s[8:9]
	s_and_saveexec_b64 s[8:9], s[62:63]
	s_xor_b64 s[8:9], exec, s[8:9]
	s_cbranch_execz .LBB175_949
.LBB175_283:
	global_load_ubyte v3, v[1:2], off
	v_mov_b32_e32 v4, 0
	s_or_b64 s[0:1], s[0:1], exec
	s_waitcnt vmcnt(0)
	v_cmp_ne_u16_e32 vcc, 0, v3
	v_cndmask_b32_e64 v3, 0, 1.0, vcc
	v_lshrrev_b32_e32 v3, 16, v3
	s_or_b64 exec, exec, s[8:9]
	s_and_saveexec_b64 s[8:9], s[10:11]
	s_cbranch_execz .LBB175_997
	s_branch .LBB175_950
.LBB175_284:
                                        ; implicit-def: $vgpr0
                                        ; implicit-def: $vgpr2
	s_andn2_b64 vcc, exec, s[0:1]
	s_cbranch_vccz .LBB175_291
	s_branch .LBB175_293
.LBB175_285:
	v_mov_b32_e32 v0, 0
	v_mov_b32_e32 v2, 0
	s_branch .LBB175_290
.LBB175_286:
	s_mov_b32 s66, 0
	v_mov_b32_e32 v0, 0
	v_mov_b32_e32 v2, 0
	;; [unrolled: 1-line block ×3, first 2 shown]
.LBB175_287:
	s_and_b32 s8, s67, 3
	s_cmp_eq_u32 s8, 0
	s_cbranch_scc1 .LBB175_290
; %bb.288:
	s_lshl_b32 s0, s66, 3
	s_add_u32 s0, s34, s0
	s_addc_u32 s1, s35, 0
	s_add_u32 s0, s0, 0xc4
	s_addc_u32 s1, s1, 0
	s_mul_i32 s2, s66, 12
	s_add_u32 s2, s34, s2
	s_addc_u32 s3, s35, 0
.LBB175_289:                            ; =>This Inner Loop Header: Depth=1
	s_load_dwordx2 s[10:11], s[2:3], 0x4
	s_load_dword s9, s[2:3], 0xc
	s_load_dwordx2 s[12:13], s[0:1], 0x0
	s_add_u32 s2, s2, 12
	s_addc_u32 s3, s3, 0
	s_waitcnt vmcnt(0) lgkmcnt(0)
	v_mul_hi_u32 v3, s11, v1
	s_add_u32 s0, s0, 8
	s_addc_u32 s1, s1, 0
	s_add_i32 s8, s8, -1
	v_add_u32_e32 v3, v1, v3
	v_lshrrev_b32_e32 v4, s9, v3
	v_mul_lo_u32 v3, v4, s10
	s_cmp_lg_u32 s8, 0
	v_sub_u32_e32 v3, v1, v3
	v_mad_u64_u32 v[0:1], s[10:11], v3, s12, v[0:1]
	v_mad_u64_u32 v[2:3], s[10:11], v3, s13, v[2:3]
	v_mov_b32_e32 v1, v4
	s_cbranch_scc1 .LBB175_289
.LBB175_290:
	s_cbranch_execnz .LBB175_293
.LBB175_291:
	v_mul_hi_u32 v0, s29, v8
	s_andn2_b64 vcc, exec, s[48:49]
	v_add_u32_e32 v0, v8, v0
	v_lshrrev_b32_e32 v1, s30, v0
	v_mul_lo_u32 v0, v1, s28
	v_sub_u32_e32 v2, v8, v0
	v_mul_lo_u32 v0, v2, s36
	v_mul_lo_u32 v2, v2, s37
	s_cbranch_vccnz .LBB175_293
; %bb.292:
	s_waitcnt vmcnt(0)
	v_mul_hi_u32 v3, s46, v1
	v_add_u32_e32 v3, v1, v3
	v_lshrrev_b32_e32 v3, s47, v3
	v_mul_lo_u32 v3, v3, s31
	v_sub_u32_e32 v3, v1, v3
	v_mad_u64_u32 v[0:1], s[0:1], v3, s38, v[0:1]
	v_mad_u64_u32 v[2:3], s[0:1], v3, s39, v[2:3]
.LBB175_293:
	s_waitcnt vmcnt(0)
	v_mov_b32_e32 v3, s27
	s_and_b32 s12, 0xffff, s78
	v_add_co_u32_e32 v1, vcc, s26, v2
	s_cmp_lt_i32 s12, 11
	v_addc_co_u32_e32 v2, vcc, 0, v3, vcc
	s_cbranch_scc1 .LBB175_300
; %bb.294:
	s_cmp_gt_i32 s12, 25
	s_cbranch_scc0 .LBB175_312
; %bb.295:
	s_cmp_gt_i32 s12, 28
	s_cbranch_scc0 .LBB175_315
	;; [unrolled: 3-line block ×4, first 2 shown]
; %bb.298:
	s_cmp_eq_u32 s12, 46
	s_mov_b64 s[8:9], 0
	s_cbranch_scc0 .LBB175_325
; %bb.299:
	global_load_dword v3, v[1:2], off
	s_mov_b64 s[0:1], -1
	s_mov_b64 s[2:3], 0
	s_waitcnt vmcnt(0)
	v_and_b32_e32 v4, 0xffff0000, v3
	s_branch .LBB175_326
.LBB175_300:
	s_mov_b64 s[0:1], 0
                                        ; implicit-def: $vgpr4
                                        ; implicit-def: $vgpr3
	s_mov_b64 s[2:3], s[56:57]
	s_cbranch_execnz .LBB175_506
.LBB175_301:
	s_andn2_b64 vcc, exec, s[0:1]
	s_cbranch_vccnz .LBB175_556
.LBB175_302:
	s_waitcnt vmcnt(0)
	v_or_b32_sdwa v1, v4, v3 dst_sel:DWORD dst_unused:UNUSED_PAD src0_sel:DWORD src1_sel:WORD_0
	s_andn2_b64 vcc, exec, s[44:45]
	v_lshlrev_b32_e32 v1, 16, v1
	s_cbranch_vccnz .LBB175_314
; %bb.303:
	v_and_b32_e32 v2, 0xffff0000, v4
	v_cmp_neq_f32_e32 vcc, s76, v1
	v_cmp_neq_f32_e64 s[0:1], s77, v2
	s_or_b64 s[8:9], vcc, s[0:1]
	s_cbranch_execnz .LBB175_305
.LBB175_304:
	v_and_b32_e32 v2, 0xffff0000, v4
	v_cmp_eq_f32_e32 vcc, s76, v1
	v_cmp_eq_f32_e64 s[0:1], s77, v2
	s_and_b64 s[0:1], vcc, s[0:1]
	s_andn2_b64 s[8:9], s[8:9], exec
	s_and_b64 s[0:1], s[0:1], exec
	s_or_b64 s[8:9], s[8:9], s[0:1]
.LBB175_305:
	v_mov_b32_e32 v1, s25
	s_and_b32 s16, s75, 0xff
	v_add_co_u32_e32 v0, vcc, s24, v0
	s_cmp_lt_i32 s16, 11
	v_addc_co_u32_e32 v1, vcc, 0, v1, vcc
	s_cbranch_scc1 .LBB175_313
; %bb.306:
	s_and_b32 s17, 0xffff, s16
	s_cmp_gt_i32 s17, 25
	s_cbranch_scc0 .LBB175_316
; %bb.307:
	s_cmp_gt_i32 s17, 28
	s_cbranch_scc0 .LBB175_318
; %bb.308:
	;; [unrolled: 3-line block ×4, first 2 shown]
	s_mov_b64 s[12:13], 0
	s_mov_b64 s[0:1], -1
	s_cmp_eq_u32 s17, 46
	s_mov_b64 s[10:11], 0
	s_cbranch_scc0 .LBB175_330
; %bb.311:
	v_cndmask_b32_e64 v2, 0, 1.0, s[8:9]
	v_bfe_u32 v3, v2, 16, 1
	s_movk_i32 s0, 0x7fff
	v_add3_u32 v2, v2, v3, s0
	v_lshrrev_b32_e32 v2, 16, v2
	global_store_dword v[0:1], v2, off
	s_mov_b64 s[10:11], -1
	s_mov_b64 s[0:1], 0
	s_branch .LBB175_330
.LBB175_312:
	s_mov_b64 s[8:9], -1
	s_mov_b64 s[0:1], 0
	s_mov_b64 s[2:3], s[56:57]
                                        ; implicit-def: $vgpr4
                                        ; implicit-def: $vgpr3
	s_branch .LBB175_469
.LBB175_313:
	s_mov_b64 s[12:13], -1
	s_mov_b64 s[10:11], 0
	s_mov_b64 s[0:1], s[54:55]
	s_branch .LBB175_399
.LBB175_314:
                                        ; implicit-def: $sgpr8_sgpr9
	s_branch .LBB175_304
.LBB175_315:
	s_mov_b64 s[8:9], -1
	s_mov_b64 s[0:1], 0
	s_mov_b64 s[2:3], s[56:57]
                                        ; implicit-def: $vgpr4
                                        ; implicit-def: $vgpr3
	s_branch .LBB175_450
.LBB175_316:
	s_mov_b64 s[12:13], -1
	s_mov_b64 s[10:11], 0
	s_mov_b64 s[0:1], s[54:55]
	s_branch .LBB175_357
.LBB175_317:
	s_mov_b64 s[8:9], -1
	s_mov_b64 s[0:1], 0
	s_mov_b64 s[2:3], s[56:57]
                                        ; implicit-def: $vgpr4
                                        ; implicit-def: $vgpr3
	s_branch .LBB175_444
.LBB175_318:
	s_mov_b64 s[12:13], -1
	s_mov_b64 s[10:11], 0
	s_mov_b64 s[0:1], s[54:55]
	s_branch .LBB175_340
.LBB175_319:
	s_andn2_saveexec_b64 s[14:15], s[14:15]
	s_cbranch_execz .LBB175_72
.LBB175_320:
	v_add_f32_e32 v2, 0x46000000, v3
	v_and_b32_e32 v2, 0xff, v2
	v_cmp_ne_u32_e32 vcc, 0, v2
	s_andn2_b64 s[12:13], s[12:13], exec
	s_and_b64 s[18:19], vcc, exec
	s_or_b64 s[12:13], s[12:13], s[18:19]
	s_or_b64 exec, exec, s[14:15]
	v_mov_b32_e32 v4, 0
	s_and_saveexec_b64 s[14:15], s[12:13]
	s_cbranch_execnz .LBB175_73
	s_branch .LBB175_74
.LBB175_321:
	s_mov_b64 s[8:9], -1
	s_mov_b64 s[0:1], 0
	s_mov_b64 s[2:3], s[56:57]
                                        ; implicit-def: $vgpr4
                                        ; implicit-def: $vgpr3
	s_branch .LBB175_326
.LBB175_322:
	s_mov_b64 s[12:13], -1
	s_mov_b64 s[10:11], 0
	s_mov_b64 s[0:1], s[54:55]
	s_branch .LBB175_336
.LBB175_323:
	s_andn2_saveexec_b64 s[14:15], s[14:15]
	s_cbranch_execz .LBB175_85
.LBB175_324:
	v_add_f32_e32 v2, 0x42800000, v3
	v_and_b32_e32 v2, 0xff, v2
	v_cmp_ne_u32_e32 vcc, 0, v2
	s_andn2_b64 s[12:13], s[12:13], exec
	s_and_b64 s[18:19], vcc, exec
	s_or_b64 s[12:13], s[12:13], s[18:19]
	s_or_b64 exec, exec, s[14:15]
	v_mov_b32_e32 v4, 0
	s_and_saveexec_b64 s[14:15], s[12:13]
	s_cbranch_execnz .LBB175_86
	s_branch .LBB175_87
.LBB175_325:
	s_mov_b64 s[2:3], -1
                                        ; implicit-def: $vgpr4
                                        ; implicit-def: $vgpr3
	s_mov_b64 s[0:1], 0
.LBB175_326:
	s_and_b64 vcc, exec, s[8:9]
	s_cbranch_vccz .LBB175_443
; %bb.327:
	s_cmp_eq_u32 s12, 44
	s_cbranch_scc0 .LBB175_441
; %bb.328:
	global_load_ubyte v3, v[1:2], off
	s_movk_i32 s2, 0xff
	v_mov_b32_e32 v4, 0x7f800001
	v_mov_b32_e32 v5, 0x400000
	v_mov_b32_e32 v6, 0x7fc0
	s_mov_b64 s[0:1], -1
	s_waitcnt vmcnt(0)
	v_lshlrev_b32_e32 v7, 23, v3
	v_cmp_ne_u32_e32 vcc, s2, v3
	v_cndmask_b32_e32 v4, v4, v7, vcc
	v_cmp_ne_u32_e32 vcc, 0, v3
	v_cndmask_b32_e32 v3, v5, v4, vcc
	v_add_u32_e32 v4, 0x7fff, v3
	v_cmp_o_f32_e32 vcc, v3, v3
	v_cndmask_b32_sdwa v3, v6, v4, vcc dst_sel:DWORD dst_unused:UNUSED_PAD src0_sel:DWORD src1_sel:WORD_1
	s_mov_b64 s[2:3], 0
	s_branch .LBB175_442
.LBB175_329:
	s_mov_b64 s[12:13], -1
	s_mov_b64 s[10:11], 0
	s_mov_b64 s[0:1], s[54:55]
.LBB175_330:
	s_and_b64 vcc, exec, s[12:13]
	s_cbranch_vccz .LBB175_335
; %bb.331:
	s_cmp_eq_u32 s17, 44
	s_mov_b64 s[0:1], -1
	s_cbranch_scc0 .LBB175_335
; %bb.332:
	v_cndmask_b32_e64 v3, 0, 1.0, s[8:9]
	v_lshrrev_b32_e32 v2, 23, v3
	s_movk_i32 s0, 0xff
	v_cmp_ne_u32_e32 vcc, s0, v2
	v_mov_b32_e32 v4, 0xff
	s_and_saveexec_b64 s[10:11], vcc
; %bb.333:
	s_mov_b32 s0, 0x3fffff
	v_and_b32_e32 v4, 0x400000, v3
	v_and_or_b32 v3, v3, s0, v2
	v_cmp_ne_u32_e32 vcc, 0, v4
	v_cmp_ne_u32_e64 s[0:1], 0, v3
	s_and_b64 s[0:1], vcc, s[0:1]
	v_cndmask_b32_e64 v3, 0, 1, s[0:1]
	v_add_u32_e32 v4, v2, v3
; %bb.334:
	s_or_b64 exec, exec, s[10:11]
	s_mov_b64 s[10:11], -1
	s_mov_b64 s[0:1], 0
	global_store_byte v[0:1], v4, off
.LBB175_335:
	s_mov_b64 s[12:13], 0
.LBB175_336:
	s_and_b64 vcc, exec, s[12:13]
	s_cbranch_vccz .LBB175_339
; %bb.337:
	s_cmp_eq_u32 s17, 29
	s_mov_b64 s[0:1], -1
	s_cbranch_scc0 .LBB175_339
; %bb.338:
	s_mov_b32 s0, 0
	v_cndmask_b32_e64 v2, 0, 1, s[8:9]
	v_mov_b32_e32 v3, s0
	global_store_dwordx2 v[0:1], v[2:3], off
	s_mov_b64 s[10:11], -1
	s_mov_b64 s[0:1], 0
.LBB175_339:
	s_mov_b64 s[12:13], 0
.LBB175_340:
	s_and_b64 vcc, exec, s[12:13]
	s_cbranch_vccz .LBB175_356
; %bb.341:
	s_cmp_lt_i32 s17, 27
	s_mov_b64 s[10:11], -1
	s_cbranch_scc1 .LBB175_347
; %bb.342:
	s_cmp_gt_i32 s17, 27
	s_cbranch_scc0 .LBB175_344
; %bb.343:
	v_cndmask_b32_e64 v2, 0, 1, s[8:9]
	s_mov_b64 s[10:11], 0
	global_store_dword v[0:1], v2, off
.LBB175_344:
	s_andn2_b64 vcc, exec, s[10:11]
	s_cbranch_vccnz .LBB175_346
; %bb.345:
	v_cndmask_b32_e64 v2, 0, 1, s[8:9]
	global_store_short v[0:1], v2, off
.LBB175_346:
	s_mov_b64 s[10:11], 0
.LBB175_347:
	s_andn2_b64 vcc, exec, s[10:11]
	s_cbranch_vccnz .LBB175_355
; %bb.348:
	v_cndmask_b32_e64 v3, 0, 1.0, s[8:9]
	s_mov_b32 s10, 0x43800000
	v_cmp_gt_u32_e32 vcc, s10, v3
	v_mov_b32_e32 v4, 0x80
	s_and_saveexec_b64 s[10:11], vcc
	s_cbranch_execz .LBB175_354
; %bb.349:
	s_mov_b32 s12, 0x3bffffff
	v_cmp_lt_u32_e32 vcc, s12, v3
	s_mov_b64 s[12:13], 0
                                        ; implicit-def: $vgpr2
	s_and_saveexec_b64 s[14:15], vcc
	s_xor_b64 s[14:15], exec, s[14:15]
	s_cbranch_execz .LBB175_587
; %bb.350:
	v_bfe_u32 v2, v3, 20, 1
	s_mov_b32 s18, 0x487ffff
	v_add3_u32 v2, v3, v2, s18
	s_mov_b64 s[12:13], exec
	v_lshrrev_b32_e32 v2, 20, v2
                                        ; implicit-def: $vgpr3
	s_andn2_saveexec_b64 s[14:15], s[14:15]
	s_cbranch_execnz .LBB175_588
.LBB175_351:
	s_or_b64 exec, exec, s[14:15]
	v_mov_b32_e32 v4, 0
	s_and_saveexec_b64 s[14:15], s[12:13]
.LBB175_352:
	v_mov_b32_e32 v4, v2
.LBB175_353:
	s_or_b64 exec, exec, s[14:15]
.LBB175_354:
	s_or_b64 exec, exec, s[10:11]
	global_store_byte v[0:1], v4, off
.LBB175_355:
	s_mov_b64 s[10:11], -1
.LBB175_356:
	s_mov_b64 s[12:13], 0
.LBB175_357:
	s_and_b64 vcc, exec, s[12:13]
	s_cbranch_vccz .LBB175_398
; %bb.358:
	s_cmp_gt_i32 s17, 22
	s_mov_b64 s[12:13], -1
	s_cbranch_scc0 .LBB175_390
; %bb.359:
	s_cmp_lt_i32 s17, 24
	s_mov_b64 s[10:11], -1
	s_cbranch_scc1 .LBB175_379
; %bb.360:
	s_cmp_gt_i32 s17, 24
	s_cbranch_scc0 .LBB175_368
; %bb.361:
	v_cndmask_b32_e64 v3, 0, 1.0, s[8:9]
	s_mov_b32 s10, 0x47800000
	v_cmp_gt_u32_e32 vcc, s10, v3
	v_mov_b32_e32 v4, 0x80
	s_and_saveexec_b64 s[10:11], vcc
	s_cbranch_execz .LBB175_367
; %bb.362:
	s_mov_b32 s12, 0x37ffffff
	v_cmp_lt_u32_e32 vcc, s12, v3
	s_mov_b64 s[12:13], 0
                                        ; implicit-def: $vgpr2
	s_and_saveexec_b64 s[14:15], vcc
	s_xor_b64 s[14:15], exec, s[14:15]
	s_cbranch_execz .LBB175_590
; %bb.363:
	v_bfe_u32 v2, v3, 21, 1
	s_mov_b32 s18, 0x88fffff
	v_add3_u32 v2, v3, v2, s18
	s_mov_b64 s[12:13], exec
	v_lshrrev_b32_e32 v2, 21, v2
                                        ; implicit-def: $vgpr3
	s_andn2_saveexec_b64 s[14:15], s[14:15]
	s_cbranch_execnz .LBB175_591
.LBB175_364:
	s_or_b64 exec, exec, s[14:15]
	v_mov_b32_e32 v4, 0
	s_and_saveexec_b64 s[14:15], s[12:13]
.LBB175_365:
	v_mov_b32_e32 v4, v2
.LBB175_366:
	s_or_b64 exec, exec, s[14:15]
.LBB175_367:
	s_or_b64 exec, exec, s[10:11]
	s_mov_b64 s[10:11], 0
	global_store_byte v[0:1], v4, off
.LBB175_368:
	s_and_b64 vcc, exec, s[10:11]
	s_cbranch_vccz .LBB175_378
; %bb.369:
	v_cndmask_b32_e64 v2, 0, 1.0, s[8:9]
	s_mov_b32 s10, 0x43f00000
	v_cmp_gt_u32_e32 vcc, s10, v2
                                        ; implicit-def: $vgpr3
	s_and_saveexec_b64 s[10:11], vcc
	s_xor_b64 s[10:11], exec, s[10:11]
	s_cbranch_execz .LBB175_375
; %bb.370:
	s_mov_b32 s12, 0x3c7fffff
	v_cmp_lt_u32_e32 vcc, s12, v2
                                        ; implicit-def: $vgpr3
	s_and_saveexec_b64 s[12:13], vcc
	s_xor_b64 s[12:13], exec, s[12:13]
; %bb.371:
	v_bfe_u32 v3, v2, 20, 1
	s_mov_b32 s14, 0x407ffff
	v_add3_u32 v2, v2, v3, s14
	v_lshrrev_b32_e32 v3, 20, v2
	v_and_b32_e32 v2, 0xff00000, v2
	s_mov_b32 s14, 0x7f00000
	v_mov_b32_e32 v4, 0x7e
	v_cmp_ne_u32_e32 vcc, s14, v2
	v_cndmask_b32_e32 v3, v4, v3, vcc
                                        ; implicit-def: $vgpr2
; %bb.372:
	s_andn2_saveexec_b64 s[12:13], s[12:13]
; %bb.373:
	v_add_f32_e32 v3, 0x46800000, v2
; %bb.374:
	s_or_b64 exec, exec, s[12:13]
                                        ; implicit-def: $vgpr2
.LBB175_375:
	s_andn2_saveexec_b64 s[10:11], s[10:11]
; %bb.376:
	s_mov_b32 s12, 0x7f800000
	v_mov_b32_e32 v3, 0x7e
	v_mov_b32_e32 v4, 0x7f
	v_cmp_lt_u32_e32 vcc, s12, v2
	v_cndmask_b32_e32 v3, v3, v4, vcc
; %bb.377:
	s_or_b64 exec, exec, s[10:11]
	global_store_byte v[0:1], v3, off
.LBB175_378:
	s_mov_b64 s[10:11], 0
.LBB175_379:
	s_andn2_b64 vcc, exec, s[10:11]
	s_cbranch_vccnz .LBB175_389
; %bb.380:
	v_cndmask_b32_e64 v2, 0, 1.0, s[8:9]
	s_mov_b32 s10, 0x47800000
	v_cmp_gt_u32_e32 vcc, s10, v2
                                        ; implicit-def: $vgpr3
	s_and_saveexec_b64 s[10:11], vcc
	s_xor_b64 s[10:11], exec, s[10:11]
	s_cbranch_execz .LBB175_386
; %bb.381:
	s_mov_b32 s12, 0x387fffff
	v_cmp_lt_u32_e32 vcc, s12, v2
                                        ; implicit-def: $vgpr3
	s_and_saveexec_b64 s[12:13], vcc
	s_xor_b64 s[12:13], exec, s[12:13]
; %bb.382:
	v_bfe_u32 v3, v2, 21, 1
	s_mov_b32 s14, 0x80fffff
	v_add3_u32 v2, v2, v3, s14
	v_lshrrev_b32_e32 v3, 21, v2
                                        ; implicit-def: $vgpr2
; %bb.383:
	s_andn2_saveexec_b64 s[12:13], s[12:13]
; %bb.384:
	v_add_f32_e32 v3, 0x43000000, v2
; %bb.385:
	s_or_b64 exec, exec, s[12:13]
                                        ; implicit-def: $vgpr2
.LBB175_386:
	s_andn2_saveexec_b64 s[10:11], s[10:11]
; %bb.387:
	s_mov_b32 s12, 0x7f800000
	v_mov_b32_e32 v3, 0x7c
	v_mov_b32_e32 v4, 0x7f
	v_cmp_lt_u32_e32 vcc, s12, v2
	v_cndmask_b32_e32 v3, v3, v4, vcc
; %bb.388:
	s_or_b64 exec, exec, s[10:11]
	global_store_byte v[0:1], v3, off
.LBB175_389:
	s_mov_b64 s[12:13], 0
	s_mov_b64 s[10:11], -1
.LBB175_390:
	s_andn2_b64 vcc, exec, s[12:13]
	s_cbranch_vccnz .LBB175_398
; %bb.391:
	s_cmp_gt_i32 s17, 14
	s_mov_b64 s[12:13], -1
	s_cbranch_scc0 .LBB175_395
; %bb.392:
	s_cmp_eq_u32 s17, 15
	s_mov_b64 s[0:1], -1
	s_cbranch_scc0 .LBB175_394
; %bb.393:
	v_cndmask_b32_e64 v2, 0, 1.0, s[8:9]
	v_bfe_u32 v3, v2, 16, 1
	s_movk_i32 s0, 0x7fff
	v_add3_u32 v2, v2, v3, s0
	global_store_short_d16_hi v[0:1], v2, off
	s_mov_b64 s[10:11], -1
	s_mov_b64 s[0:1], 0
.LBB175_394:
	s_mov_b64 s[12:13], 0
.LBB175_395:
	s_and_b64 vcc, exec, s[12:13]
	s_cbranch_vccz .LBB175_398
; %bb.396:
	s_cmp_eq_u32 s17, 11
	s_mov_b64 s[0:1], -1
	s_cbranch_scc0 .LBB175_398
; %bb.397:
	v_cndmask_b32_e64 v2, 0, 1, s[8:9]
	s_mov_b64 s[10:11], -1
	s_mov_b64 s[0:1], 0
	global_store_byte v[0:1], v2, off
.LBB175_398:
	s_mov_b64 s[12:13], 0
.LBB175_399:
	s_and_b64 vcc, exec, s[12:13]
	s_cbranch_vccz .LBB175_438
; %bb.400:
	s_and_b32 s12, 0xffff, s16
	s_cmp_lt_i32 s12, 5
	s_mov_b64 s[10:11], -1
	s_cbranch_scc1 .LBB175_421
; %bb.401:
	s_cmp_lt_i32 s12, 8
	s_cbranch_scc1 .LBB175_411
; %bb.402:
	s_cmp_lt_i32 s12, 9
	s_cbranch_scc1 .LBB175_408
; %bb.403:
	s_cmp_gt_i32 s12, 9
	s_cbranch_scc0 .LBB175_405
; %bb.404:
	v_cndmask_b32_e64 v2, 0, 1, s[8:9]
	v_cvt_f64_u32_e32 v[2:3], v2
	v_mov_b32_e32 v4, 0
	v_mov_b32_e32 v5, v4
	s_mov_b64 s[10:11], 0
	global_store_dwordx4 v[0:1], v[2:5], off
.LBB175_405:
	s_andn2_b64 vcc, exec, s[10:11]
	s_cbranch_vccnz .LBB175_407
; %bb.406:
	v_cndmask_b32_e64 v2, 0, 1.0, s[8:9]
	v_mov_b32_e32 v3, 0
	global_store_dwordx2 v[0:1], v[2:3], off
.LBB175_407:
	s_mov_b64 s[10:11], 0
.LBB175_408:
	s_andn2_b64 vcc, exec, s[10:11]
	s_cbranch_vccnz .LBB175_410
; %bb.409:
	v_cndmask_b32_e64 v2, 0, 1.0, s[8:9]
	v_cvt_f16_f32_e32 v2, v2
	global_store_dword v[0:1], v2, off
.LBB175_410:
	s_mov_b64 s[10:11], 0
.LBB175_411:
	s_andn2_b64 vcc, exec, s[10:11]
	s_cbranch_vccnz .LBB175_420
; %bb.412:
	s_cmp_lt_i32 s12, 6
	s_mov_b64 s[10:11], -1
	s_cbranch_scc1 .LBB175_418
; %bb.413:
	s_cmp_gt_i32 s12, 6
	s_cbranch_scc0 .LBB175_415
; %bb.414:
	v_cndmask_b32_e64 v2, 0, 1, s[8:9]
	v_cvt_f64_u32_e32 v[2:3], v2
	s_mov_b64 s[10:11], 0
	global_store_dwordx2 v[0:1], v[2:3], off
.LBB175_415:
	s_andn2_b64 vcc, exec, s[10:11]
	s_cbranch_vccnz .LBB175_417
; %bb.416:
	v_cndmask_b32_e64 v2, 0, 1.0, s[8:9]
	global_store_dword v[0:1], v2, off
.LBB175_417:
	s_mov_b64 s[10:11], 0
.LBB175_418:
	s_andn2_b64 vcc, exec, s[10:11]
	s_cbranch_vccnz .LBB175_420
; %bb.419:
	v_cndmask_b32_e64 v2, 0, 1.0, s[8:9]
	v_cvt_f16_f32_e32 v2, v2
	global_store_short v[0:1], v2, off
.LBB175_420:
	s_mov_b64 s[10:11], 0
.LBB175_421:
	s_andn2_b64 vcc, exec, s[10:11]
	s_cbranch_vccnz .LBB175_437
; %bb.422:
	s_cmp_lt_i32 s12, 2
	s_mov_b64 s[10:11], -1
	s_cbranch_scc1 .LBB175_432
; %bb.423:
	s_cmp_lt_i32 s12, 3
	s_cbranch_scc1 .LBB175_429
; %bb.424:
	s_cmp_gt_i32 s12, 3
	s_cbranch_scc0 .LBB175_426
; %bb.425:
	s_mov_b32 s10, 0
	v_cndmask_b32_e64 v2, 0, 1, s[8:9]
	v_mov_b32_e32 v3, s10
	s_mov_b64 s[10:11], 0
	global_store_dwordx2 v[0:1], v[2:3], off
.LBB175_426:
	s_andn2_b64 vcc, exec, s[10:11]
	s_cbranch_vccnz .LBB175_428
; %bb.427:
	v_cndmask_b32_e64 v2, 0, 1, s[8:9]
	global_store_dword v[0:1], v2, off
.LBB175_428:
	s_mov_b64 s[10:11], 0
.LBB175_429:
	s_andn2_b64 vcc, exec, s[10:11]
	s_cbranch_vccnz .LBB175_431
; %bb.430:
	v_cndmask_b32_e64 v2, 0, 1, s[8:9]
	global_store_short v[0:1], v2, off
.LBB175_431:
	s_mov_b64 s[10:11], 0
.LBB175_432:
	s_andn2_b64 vcc, exec, s[10:11]
	s_cbranch_vccnz .LBB175_437
; %bb.433:
	s_mov_b64 s[10:11], -1
	s_cmp_gt_i32 s12, 0
	v_cndmask_b32_e64 v2, 0, 1, s[8:9]
	s_cbranch_scc0 .LBB175_435
; %bb.434:
	s_mov_b64 s[10:11], 0
	global_store_byte v[0:1], v2, off
.LBB175_435:
	s_andn2_b64 vcc, exec, s[10:11]
	s_cbranch_vccnz .LBB175_437
; %bb.436:
	global_store_byte v[0:1], v2, off
.LBB175_437:
	s_mov_b64 s[10:11], -1
.LBB175_438:
	s_andn2_b64 vcc, exec, s[10:11]
	s_cbranch_vccnz .LBB175_440
; %bb.439:
	v_add_u32_e32 v8, 0x80, v8
	s_mov_b64 s[8:9], -1
	s_branch .LBB175_558
.LBB175_440:
	s_mov_b64 s[8:9], 0
	s_branch .LBB175_557
.LBB175_441:
	s_mov_b64 s[2:3], -1
                                        ; implicit-def: $vgpr3
.LBB175_442:
	v_mov_b32_e32 v4, 0
.LBB175_443:
	s_mov_b64 s[8:9], 0
.LBB175_444:
	s_and_b64 vcc, exec, s[8:9]
	s_cbranch_vccz .LBB175_449
; %bb.445:
	s_cmp_eq_u32 s12, 29
	s_cbranch_scc0 .LBB175_447
; %bb.446:
	global_load_dwordx2 v[3:4], v[1:2], off
	s_movk_i32 s2, 0x7fff
	s_mov_b64 s[0:1], -1
	s_waitcnt vmcnt(0)
	v_ffbh_u32_e32 v5, v4
	v_min_u32_e32 v5, 32, v5
	v_lshlrev_b64 v[3:4], v5, v[3:4]
	v_min_u32_e32 v3, 1, v3
	v_or_b32_e32 v3, v4, v3
	v_cvt_f32_u32_e32 v3, v3
	v_sub_u32_e32 v4, 32, v5
	v_ldexp_f32 v3, v3, v4
	v_bfe_u32 v4, v3, 16, 1
	v_add3_u32 v3, v3, v4, s2
	v_lshrrev_b32_e32 v3, 16, v3
	s_mov_b64 s[2:3], 0
	s_branch .LBB175_448
.LBB175_447:
	s_mov_b64 s[2:3], -1
                                        ; implicit-def: $vgpr3
.LBB175_448:
	v_mov_b32_e32 v4, 0
.LBB175_449:
	s_mov_b64 s[8:9], 0
.LBB175_450:
	s_and_b64 vcc, exec, s[8:9]
	s_cbranch_vccz .LBB175_468
; %bb.451:
	s_cmp_lt_i32 s12, 27
	s_cbranch_scc1 .LBB175_454
; %bb.452:
	s_cmp_gt_i32 s12, 27
	s_cbranch_scc0 .LBB175_455
; %bb.453:
	global_load_dword v3, v[1:2], off
	s_movk_i32 s0, 0x7fff
	s_waitcnt vmcnt(0)
	v_cvt_f32_u32_e32 v3, v3
	v_bfe_u32 v4, v3, 16, 1
	v_add3_u32 v3, v3, v4, s0
	v_lshrrev_b32_e32 v3, 16, v3
	s_mov_b64 s[0:1], 0
	s_branch .LBB175_456
.LBB175_454:
	s_mov_b64 s[0:1], -1
                                        ; implicit-def: $vgpr3
	s_branch .LBB175_459
.LBB175_455:
	s_mov_b64 s[0:1], -1
                                        ; implicit-def: $vgpr3
.LBB175_456:
	s_andn2_b64 vcc, exec, s[0:1]
	s_cbranch_vccnz .LBB175_458
; %bb.457:
	global_load_ushort v3, v[1:2], off
	s_movk_i32 s0, 0x7fff
	s_waitcnt vmcnt(0)
	v_cvt_f32_u32_e32 v3, v3
	v_bfe_u32 v4, v3, 16, 1
	v_add3_u32 v3, v3, v4, s0
	v_lshrrev_b32_e32 v3, 16, v3
.LBB175_458:
	s_mov_b64 s[0:1], 0
.LBB175_459:
	s_andn2_b64 vcc, exec, s[0:1]
	s_cbranch_vccnz .LBB175_467
; %bb.460:
	global_load_ubyte v3, v[1:2], off
	s_movk_i32 s0, 0x7f
	s_waitcnt vmcnt(0)
	v_cmp_lt_i16_e32 vcc, s0, v3
	s_mov_b64 s[0:1], 0
	s_and_saveexec_b64 s[8:9], vcc
	s_xor_b64 s[8:9], exec, s[8:9]
	s_cbranch_execz .LBB175_481
; %bb.461:
	s_movk_i32 s0, 0x80
	v_cmp_eq_u16_e32 vcc, s0, v3
	s_mov_b64 s[0:1], -1
	s_and_saveexec_b64 s[10:11], vcc
; %bb.462:
	s_xor_b64 s[0:1], exec, -1
; %bb.463:
	s_or_b64 exec, exec, s[10:11]
	s_and_b64 s[0:1], s[0:1], exec
	s_or_saveexec_b64 s[8:9], s[8:9]
	v_mov_b32_e32 v4, 0x7f800001
	s_xor_b64 exec, exec, s[8:9]
	s_cbranch_execnz .LBB175_482
.LBB175_464:
	s_or_b64 exec, exec, s[8:9]
	s_and_saveexec_b64 s[8:9], s[0:1]
	s_cbranch_execz .LBB175_466
.LBB175_465:
	v_lshlrev_b32_e32 v4, 24, v3
	v_and_b32_e32 v3, 0xffff, v3
	v_and_b32_e32 v5, 7, v3
	v_ffbh_u32_e32 v7, v5
	v_min_u32_e32 v7, 32, v7
	v_subrev_u32_e32 v9, 28, v7
	v_bfe_u32 v6, v3, 3, 4
	v_lshlrev_b32_e32 v3, v9, v3
	v_sub_u32_e32 v7, 29, v7
	v_and_b32_e32 v3, 7, v3
	v_cmp_eq_u32_e32 vcc, 0, v6
	v_cndmask_b32_e32 v6, v6, v7, vcc
	v_cndmask_b32_e32 v3, v5, v3, vcc
	v_mov_b32_e32 v5, 0x3b800000
	v_lshlrev_b32_e32 v3, 20, v3
	v_and_b32_e32 v4, 0x80000000, v4
	v_lshl_add_u32 v5, v6, 23, v5
	v_or3_b32 v4, v4, v5, v3
.LBB175_466:
	s_or_b64 exec, exec, s[8:9]
	v_bfe_u32 v3, v4, 16, 1
	s_movk_i32 s0, 0x7fff
	v_add3_u32 v3, v4, v3, s0
	v_cmp_o_f32_e32 vcc, v4, v4
	v_mov_b32_e32 v4, 0x7fc0
	v_cndmask_b32_sdwa v3, v4, v3, vcc dst_sel:DWORD dst_unused:UNUSED_PAD src0_sel:DWORD src1_sel:WORD_1
.LBB175_467:
	s_mov_b64 s[0:1], -1
	v_mov_b32_e32 v4, 0
.LBB175_468:
	s_mov_b64 s[8:9], 0
.LBB175_469:
	s_and_b64 vcc, exec, s[8:9]
	s_cbranch_vccz .LBB175_505
; %bb.470:
	s_cmp_gt_i32 s12, 22
	s_cbranch_scc0 .LBB175_480
; %bb.471:
	s_cmp_lt_i32 s12, 24
	s_cbranch_scc1 .LBB175_483
; %bb.472:
	s_cmp_gt_i32 s12, 24
	s_cbranch_scc0 .LBB175_484
; %bb.473:
	global_load_ubyte v3, v[1:2], off
	s_movk_i32 s0, 0x7f
	s_waitcnt vmcnt(0)
	v_cmp_lt_i16_e32 vcc, s0, v3
	s_mov_b64 s[0:1], 0
	s_and_saveexec_b64 s[8:9], vcc
	s_xor_b64 s[8:9], exec, s[8:9]
	s_cbranch_execz .LBB175_496
; %bb.474:
	s_movk_i32 s0, 0x80
	v_cmp_eq_u16_e32 vcc, s0, v3
	s_mov_b64 s[0:1], -1
	s_and_saveexec_b64 s[10:11], vcc
; %bb.475:
	s_xor_b64 s[0:1], exec, -1
; %bb.476:
	s_or_b64 exec, exec, s[10:11]
	s_and_b64 s[0:1], s[0:1], exec
	s_or_saveexec_b64 s[8:9], s[8:9]
	v_mov_b32_e32 v4, 0x7f800001
	s_xor_b64 exec, exec, s[8:9]
	s_cbranch_execnz .LBB175_497
.LBB175_477:
	s_or_b64 exec, exec, s[8:9]
	s_and_saveexec_b64 s[8:9], s[0:1]
	s_cbranch_execz .LBB175_479
.LBB175_478:
	v_lshlrev_b32_e32 v4, 24, v3
	v_and_b32_e32 v3, 0xffff, v3
	v_and_b32_e32 v5, 3, v3
	v_ffbh_u32_e32 v7, v5
	v_min_u32_e32 v7, 32, v7
	v_subrev_u32_e32 v9, 29, v7
	v_bfe_u32 v6, v3, 2, 5
	v_lshlrev_b32_e32 v3, v9, v3
	v_sub_u32_e32 v7, 30, v7
	v_and_b32_e32 v3, 3, v3
	v_cmp_eq_u32_e32 vcc, 0, v6
	v_cndmask_b32_e32 v6, v6, v7, vcc
	v_cndmask_b32_e32 v3, v5, v3, vcc
	v_mov_b32_e32 v5, 0x37800000
	v_lshlrev_b32_e32 v3, 21, v3
	v_and_b32_e32 v4, 0x80000000, v4
	v_lshl_add_u32 v5, v6, 23, v5
	v_or3_b32 v4, v4, v5, v3
.LBB175_479:
	s_or_b64 exec, exec, s[8:9]
	v_bfe_u32 v3, v4, 16, 1
	s_movk_i32 s0, 0x7fff
	v_add3_u32 v3, v4, v3, s0
	v_cmp_o_f32_e32 vcc, v4, v4
	v_mov_b32_e32 v4, 0x7fc0
	v_cndmask_b32_sdwa v3, v4, v3, vcc dst_sel:DWORD dst_unused:UNUSED_PAD src0_sel:DWORD src1_sel:WORD_1
	s_mov_b64 s[0:1], 0
	s_branch .LBB175_485
.LBB175_480:
	s_mov_b64 s[8:9], -1
                                        ; implicit-def: $vgpr3
	s_branch .LBB175_491
.LBB175_481:
	s_or_saveexec_b64 s[8:9], s[8:9]
	v_mov_b32_e32 v4, 0x7f800001
	s_xor_b64 exec, exec, s[8:9]
	s_cbranch_execz .LBB175_464
.LBB175_482:
	v_cmp_ne_u16_e32 vcc, 0, v3
	s_andn2_b64 s[0:1], s[0:1], exec
	s_and_b64 s[10:11], vcc, exec
	v_mov_b32_e32 v4, 0
	s_or_b64 s[0:1], s[0:1], s[10:11]
	s_or_b64 exec, exec, s[8:9]
	s_and_saveexec_b64 s[8:9], s[0:1]
	s_cbranch_execnz .LBB175_465
	s_branch .LBB175_466
.LBB175_483:
	s_mov_b64 s[0:1], -1
                                        ; implicit-def: $vgpr3
	s_branch .LBB175_488
.LBB175_484:
	s_mov_b64 s[0:1], -1
                                        ; implicit-def: $vgpr3
.LBB175_485:
	s_and_b64 vcc, exec, s[0:1]
	s_cbranch_vccz .LBB175_487
; %bb.486:
	global_load_ubyte v3, v[1:2], off
	s_mov_b32 s0, 0x7f800000
	s_brev_b32 s1, 1
	s_movk_i32 s8, 0x7fff
	s_waitcnt vmcnt(0)
	v_lshlrev_b32_e32 v3, 24, v3
	v_and_b32_e32 v4, 0x7f000000, v3
	v_ffbh_u32_e32 v5, v4
	v_min_u32_e32 v5, 32, v5
	v_sub_u32_e64 v5, v5, 4 clamp
	v_lshlrev_b32_e32 v7, v5, v4
	v_lshlrev_b32_e32 v5, 23, v5
	v_lshrrev_b32_e32 v7, 4, v7
	v_add_u32_e32 v6, 0x1000000, v4
	v_sub_u32_e32 v5, v7, v5
	v_ashrrev_i32_e32 v6, 8, v6
	v_add_u32_e32 v5, 0x3c000000, v5
	v_and_or_b32 v5, v6, s0, v5
	v_cmp_ne_u32_e32 vcc, 0, v4
	v_cndmask_b32_e32 v4, 0, v5, vcc
	v_and_or_b32 v3, v3, s1, v4
	v_bfe_u32 v4, v4, 16, 1
	v_add3_u32 v4, v3, v4, s8
	v_cmp_o_f32_e32 vcc, v3, v3
	v_mov_b32_e32 v3, 0x7fc0
	v_cndmask_b32_sdwa v3, v3, v4, vcc dst_sel:DWORD dst_unused:UNUSED_PAD src0_sel:DWORD src1_sel:WORD_1
.LBB175_487:
	s_mov_b64 s[0:1], 0
.LBB175_488:
	s_andn2_b64 vcc, exec, s[0:1]
	s_cbranch_vccnz .LBB175_490
; %bb.489:
	global_load_ubyte v3, v[1:2], off
	s_movk_i32 s0, 0x7f00
	s_brev_b32 s1, 16
	s_brev_b32 s8, 1
	s_movk_i32 s9, 0x7fff
	s_waitcnt vmcnt(0)
	v_lshlrev_b16_e32 v4, 8, v3
	v_lshlrev_b32_e32 v3, 25, v3
	v_lshrrev_b32_e32 v5, 4, v3
	v_and_or_b32 v6, v4, s0, 0.5
	v_or_b32_e32 v5, 0x70000000, v5
	v_add_f32_e32 v6, -0.5, v6
	v_mul_f32_e32 v5, 0x7800000, v5
	v_cmp_gt_u32_e32 vcc, s1, v3
	v_bfe_i32 v4, v4, 0, 16
	v_cndmask_b32_e32 v3, v5, v6, vcc
	v_and_or_b32 v4, v4, s8, v3
	v_bfe_u32 v3, v3, 16, 1
	v_add3_u32 v3, v4, v3, s9
	v_cmp_o_f32_e32 vcc, v4, v4
	v_mov_b32_e32 v4, 0x7fc0
	v_cndmask_b32_sdwa v3, v4, v3, vcc dst_sel:DWORD dst_unused:UNUSED_PAD src0_sel:DWORD src1_sel:WORD_1
.LBB175_490:
	s_mov_b64 s[8:9], 0
	s_mov_b64 s[0:1], -1
.LBB175_491:
	s_andn2_b64 vcc, exec, s[8:9]
	s_cbranch_vccnz .LBB175_504
; %bb.492:
	s_cmp_gt_i32 s12, 14
	s_cbranch_scc0 .LBB175_495
; %bb.493:
	s_cmp_eq_u32 s12, 15
	s_cbranch_scc0 .LBB175_498
; %bb.494:
	global_load_ushort v3, v[1:2], off
	s_mov_b64 s[0:1], -1
	s_mov_b64 s[2:3], 0
	s_branch .LBB175_499
.LBB175_495:
	s_mov_b64 s[8:9], -1
                                        ; implicit-def: $vgpr3
	s_branch .LBB175_500
.LBB175_496:
	s_or_saveexec_b64 s[8:9], s[8:9]
	v_mov_b32_e32 v4, 0x7f800001
	s_xor_b64 exec, exec, s[8:9]
	s_cbranch_execz .LBB175_477
.LBB175_497:
	v_cmp_ne_u16_e32 vcc, 0, v3
	s_andn2_b64 s[0:1], s[0:1], exec
	s_and_b64 s[10:11], vcc, exec
	v_mov_b32_e32 v4, 0
	s_or_b64 s[0:1], s[0:1], s[10:11]
	s_or_b64 exec, exec, s[8:9]
	s_and_saveexec_b64 s[8:9], s[0:1]
	s_cbranch_execnz .LBB175_478
	s_branch .LBB175_479
.LBB175_498:
	s_mov_b64 s[2:3], -1
                                        ; implicit-def: $vgpr3
.LBB175_499:
	s_mov_b64 s[8:9], 0
.LBB175_500:
	s_and_b64 vcc, exec, s[8:9]
	s_cbranch_vccz .LBB175_504
; %bb.501:
	s_cmp_eq_u32 s12, 11
	s_cbranch_scc0 .LBB175_503
; %bb.502:
	global_load_ubyte v3, v[1:2], off
	s_mov_b64 s[0:1], -1
	s_mov_b64 s[2:3], 0
	v_mov_b32_e32 v4, 0
	s_waitcnt vmcnt(0)
	v_cmp_ne_u16_e32 vcc, 0, v3
	v_cndmask_b32_e64 v3, 0, 1.0, vcc
	v_lshrrev_b32_e32 v3, 16, v3
	s_branch .LBB175_505
.LBB175_503:
	s_mov_b64 s[2:3], -1
                                        ; implicit-def: $vgpr3
.LBB175_504:
	v_mov_b32_e32 v4, 0
.LBB175_505:
	s_branch .LBB175_301
.LBB175_506:
	s_cmp_lt_i32 s12, 5
	s_cbranch_scc1 .LBB175_511
; %bb.507:
	s_cmp_lt_i32 s12, 8
	s_cbranch_scc1 .LBB175_512
; %bb.508:
	;; [unrolled: 3-line block ×3, first 2 shown]
	s_cmp_gt_i32 s12, 9
	s_cbranch_scc0 .LBB175_514
; %bb.510:
	global_load_dwordx4 v[3:6], v[1:2], off
	s_movk_i32 s0, 0x7fff
	s_waitcnt vmcnt(0)
	v_cvt_f32_f64_e32 v3, v[3:4]
	v_cvt_f32_f64_e32 v4, v[5:6]
	v_mov_b32_e32 v5, 0x7fc0
	v_mov_b32_e32 v6, 0x7fc00000
	v_bfe_u32 v7, v3, 16, 1
	v_bfe_u32 v9, v4, 16, 1
	v_cmp_o_f32_e32 vcc, v3, v3
	v_add3_u32 v3, v3, v7, s0
	v_add3_u32 v7, v4, v9, s0
	v_cndmask_b32_sdwa v3, v5, v3, vcc dst_sel:DWORD dst_unused:UNUSED_PAD src0_sel:DWORD src1_sel:WORD_1
	v_and_b32_e32 v5, 0xffff0000, v7
	v_cmp_o_f32_e32 vcc, v4, v4
	v_cndmask_b32_e32 v4, v6, v5, vcc
	s_mov_b64 s[0:1], 0
	s_branch .LBB175_515
.LBB175_511:
	s_mov_b64 s[0:1], -1
                                        ; implicit-def: $vgpr4
                                        ; implicit-def: $vgpr3
	s_branch .LBB175_534
.LBB175_512:
	s_mov_b64 s[0:1], -1
                                        ; implicit-def: $vgpr4
                                        ; implicit-def: $vgpr3
	s_branch .LBB175_521
.LBB175_513:
	s_mov_b64 s[0:1], -1
                                        ; implicit-def: $vgpr4
                                        ; implicit-def: $vgpr3
	s_branch .LBB175_518
.LBB175_514:
	s_mov_b64 s[0:1], -1
                                        ; implicit-def: $vgpr4
                                        ; implicit-def: $vgpr3
.LBB175_515:
	s_andn2_b64 vcc, exec, s[0:1]
	s_cbranch_vccnz .LBB175_517
; %bb.516:
	global_load_dwordx2 v[3:4], v[1:2], off
	s_movk_i32 s0, 0x7fff
	v_mov_b32_e32 v5, 0x7fc0
	v_mov_b32_e32 v6, 0x7fc00000
	s_waitcnt vmcnt(0)
	v_bfe_u32 v7, v3, 16, 1
	v_bfe_u32 v9, v4, 16, 1
	v_cmp_o_f32_e32 vcc, v3, v3
	v_add3_u32 v3, v3, v7, s0
	v_add3_u32 v7, v4, v9, s0
	v_cndmask_b32_sdwa v3, v5, v3, vcc dst_sel:DWORD dst_unused:UNUSED_PAD src0_sel:DWORD src1_sel:WORD_1
	v_and_b32_e32 v5, 0xffff0000, v7
	v_cmp_o_f32_e32 vcc, v4, v4
	v_cndmask_b32_e32 v4, v6, v5, vcc
.LBB175_517:
	s_mov_b64 s[0:1], 0
.LBB175_518:
	s_andn2_b64 vcc, exec, s[0:1]
	s_cbranch_vccnz .LBB175_520
; %bb.519:
	global_load_dword v4, v[1:2], off
	s_movk_i32 s0, 0x7fff
	s_waitcnt vmcnt(1)
	v_mov_b32_e32 v3, 0x7fc0
	v_mov_b32_e32 v7, 0x7fc00000
	s_waitcnt vmcnt(0)
	v_cvt_f32_f16_e32 v5, v4
	v_cvt_f32_f16_sdwa v6, v4 dst_sel:DWORD dst_unused:UNUSED_PAD src0_sel:WORD_1
	v_cmp_o_f16_e32 vcc, v4, v4
	v_bfe_u32 v9, v5, 16, 1
	v_bfe_u32 v10, v6, 16, 1
	v_add3_u32 v5, v5, v9, s0
	v_add3_u32 v6, v6, v10, s0
	v_cndmask_b32_sdwa v3, v3, v5, vcc dst_sel:DWORD dst_unused:UNUSED_PAD src0_sel:DWORD src1_sel:WORD_1
	v_and_b32_e32 v5, 0xffff0000, v6
	v_cmp_o_f16_sdwa vcc, v4, v4 src0_sel:WORD_1 src1_sel:WORD_1
	v_cndmask_b32_e32 v4, v7, v5, vcc
.LBB175_520:
	s_mov_b64 s[0:1], 0
.LBB175_521:
	s_andn2_b64 vcc, exec, s[0:1]
	s_cbranch_vccnz .LBB175_533
; %bb.522:
	s_cmp_lt_i32 s12, 6
	s_cbranch_scc1 .LBB175_525
; %bb.523:
	s_cmp_gt_i32 s12, 6
	s_cbranch_scc0 .LBB175_526
; %bb.524:
	global_load_dwordx2 v[3:4], v[1:2], off
	s_movk_i32 s0, 0x7fff
	s_waitcnt vmcnt(0)
	v_cvt_f32_f64_e32 v3, v[3:4]
	v_mov_b32_e32 v4, 0x7fc0
	v_bfe_u32 v5, v3, 16, 1
	v_cmp_o_f32_e32 vcc, v3, v3
	v_add3_u32 v3, v3, v5, s0
	v_cndmask_b32_sdwa v3, v4, v3, vcc dst_sel:DWORD dst_unused:UNUSED_PAD src0_sel:DWORD src1_sel:WORD_1
	s_mov_b64 s[0:1], 0
	s_branch .LBB175_527
.LBB175_525:
	s_mov_b64 s[0:1], -1
                                        ; implicit-def: $vgpr3
	s_branch .LBB175_530
.LBB175_526:
	s_mov_b64 s[0:1], -1
                                        ; implicit-def: $vgpr3
.LBB175_527:
	s_andn2_b64 vcc, exec, s[0:1]
	s_cbranch_vccnz .LBB175_529
; %bb.528:
	global_load_dword v3, v[1:2], off
	s_movk_i32 s0, 0x7fff
	v_mov_b32_e32 v4, 0x7fc0
	s_waitcnt vmcnt(0)
	v_bfe_u32 v5, v3, 16, 1
	v_cmp_o_f32_e32 vcc, v3, v3
	v_add3_u32 v3, v3, v5, s0
	v_cndmask_b32_sdwa v3, v4, v3, vcc dst_sel:DWORD dst_unused:UNUSED_PAD src0_sel:DWORD src1_sel:WORD_1
.LBB175_529:
	s_mov_b64 s[0:1], 0
.LBB175_530:
	s_andn2_b64 vcc, exec, s[0:1]
	s_cbranch_vccnz .LBB175_532
; %bb.531:
	global_load_ushort v3, v[1:2], off
	s_movk_i32 s0, 0x7fff
	v_mov_b32_e32 v5, 0x7fc0
	s_waitcnt vmcnt(0)
	v_cvt_f32_f16_e32 v4, v3
	v_cmp_o_f16_e32 vcc, v3, v3
	v_bfe_u32 v3, v4, 16, 1
	v_add3_u32 v3, v4, v3, s0
	v_cndmask_b32_sdwa v3, v5, v3, vcc dst_sel:DWORD dst_unused:UNUSED_PAD src0_sel:DWORD src1_sel:WORD_1
.LBB175_532:
	v_mov_b32_e32 v4, 0
.LBB175_533:
	s_mov_b64 s[0:1], 0
.LBB175_534:
	s_andn2_b64 vcc, exec, s[0:1]
	s_cbranch_vccnz .LBB175_555
; %bb.535:
	s_cmp_lt_i32 s12, 2
	s_cbranch_scc1 .LBB175_539
; %bb.536:
	s_cmp_lt_i32 s12, 3
	s_cbranch_scc1 .LBB175_540
; %bb.537:
	s_cmp_gt_i32 s12, 3
	s_cbranch_scc0 .LBB175_541
; %bb.538:
	global_load_dwordx2 v[3:4], v[1:2], off
	s_movk_i32 s0, 0x7fff
	s_waitcnt vmcnt(0)
	v_xor_b32_e32 v6, v3, v4
	v_ffbh_i32_e32 v5, v4
	v_ashrrev_i32_e32 v6, 31, v6
	v_add_u32_e32 v5, -1, v5
	v_add_u32_e32 v6, 32, v6
	v_min_u32_e32 v5, v5, v6
	v_lshlrev_b64 v[3:4], v5, v[3:4]
	v_min_u32_e32 v3, 1, v3
	v_or_b32_e32 v3, v4, v3
	v_cvt_f32_i32_e32 v3, v3
	v_sub_u32_e32 v4, 32, v5
	v_ldexp_f32 v3, v3, v4
	v_bfe_u32 v4, v3, 16, 1
	v_add3_u32 v3, v3, v4, s0
	v_lshrrev_b32_e32 v3, 16, v3
	s_mov_b64 s[0:1], 0
	s_branch .LBB175_542
.LBB175_539:
	s_mov_b64 s[0:1], -1
                                        ; implicit-def: $vgpr3
	s_branch .LBB175_548
.LBB175_540:
	s_mov_b64 s[0:1], -1
                                        ; implicit-def: $vgpr3
	s_branch .LBB175_545
.LBB175_541:
	s_mov_b64 s[0:1], -1
                                        ; implicit-def: $vgpr3
.LBB175_542:
	s_andn2_b64 vcc, exec, s[0:1]
	s_cbranch_vccnz .LBB175_544
; %bb.543:
	global_load_dword v3, v[1:2], off
	s_movk_i32 s0, 0x7fff
	s_waitcnt vmcnt(0)
	v_cvt_f32_i32_e32 v3, v3
	v_bfe_u32 v4, v3, 16, 1
	v_add3_u32 v3, v3, v4, s0
	v_lshrrev_b32_e32 v3, 16, v3
.LBB175_544:
	s_mov_b64 s[0:1], 0
.LBB175_545:
	s_andn2_b64 vcc, exec, s[0:1]
	s_cbranch_vccnz .LBB175_547
; %bb.546:
	global_load_sshort v3, v[1:2], off
	s_movk_i32 s0, 0x7fff
	s_waitcnt vmcnt(0)
	v_cvt_f32_i32_e32 v3, v3
	v_bfe_u32 v4, v3, 16, 1
	v_add3_u32 v3, v3, v4, s0
	v_lshrrev_b32_e32 v3, 16, v3
.LBB175_547:
	s_mov_b64 s[0:1], 0
.LBB175_548:
	s_andn2_b64 vcc, exec, s[0:1]
	s_cbranch_vccnz .LBB175_554
; %bb.549:
	s_cmp_gt_i32 s12, 0
	s_cbranch_scc0 .LBB175_551
; %bb.550:
	global_load_sbyte v3, v[1:2], off
	s_movk_i32 s0, 0x7fff
	s_waitcnt vmcnt(0)
	v_cvt_f32_i32_e32 v3, v3
	v_bfe_u32 v4, v3, 16, 1
	v_add3_u32 v3, v3, v4, s0
	v_lshrrev_b32_e32 v3, 16, v3
	s_mov_b64 s[0:1], 0
	s_branch .LBB175_552
.LBB175_551:
	s_mov_b64 s[0:1], -1
                                        ; implicit-def: $vgpr3
.LBB175_552:
	s_andn2_b64 vcc, exec, s[0:1]
	s_cbranch_vccnz .LBB175_554
; %bb.553:
	global_load_ubyte v1, v[1:2], off
	s_movk_i32 s0, 0x7fff
	s_waitcnt vmcnt(0)
	v_cvt_f32_ubyte0_e32 v1, v1
	v_bfe_u32 v2, v1, 16, 1
	v_add3_u32 v1, v1, v2, s0
	v_lshrrev_b32_e32 v3, 16, v1
.LBB175_554:
	v_mov_b32_e32 v4, 0
.LBB175_555:
	s_branch .LBB175_302
.LBB175_556:
	s_mov_b64 s[8:9], 0
	s_mov_b64 s[0:1], s[54:55]
.LBB175_557:
                                        ; implicit-def: $vgpr8
.LBB175_558:
	s_andn2_b64 s[10:11], s[54:55], exec
	s_and_b64 s[0:1], s[0:1], exec
	s_or_b64 s[62:63], s[10:11], s[0:1]
	s_andn2_b64 s[0:1], s[56:57], exec
	s_and_b64 s[2:3], s[2:3], exec
	s_or_b64 s[60:61], s[0:1], s[2:3]
	s_orn2_b64 s[0:1], s[8:9], exec
.LBB175_559:
	s_or_b64 exec, exec, s[64:65]
	s_mov_b64 s[2:3], 0
	s_mov_b64 s[8:9], 0
	;; [unrolled: 1-line block ×3, first 2 shown]
                                        ; implicit-def: $vgpr1_vgpr2
                                        ; implicit-def: $vgpr0
                                        ; implicit-def: $vgpr4
                                        ; implicit-def: $vgpr3
	s_and_saveexec_b64 s[64:65], s[0:1]
	s_cbranch_execz .LBB175_947
; %bb.560:
	v_cmp_gt_i32_e32 vcc, s72, v8
	s_mov_b64 s[2:3], -1
	s_mov_b64 s[68:69], s[60:61]
	s_mov_b64 s[70:71], s[62:63]
	s_and_saveexec_b64 s[66:67], vcc
	s_cbranch_execz .LBB175_844
; %bb.561:
	s_andn2_b64 vcc, exec, s[40:41]
	s_cbranch_vccnz .LBB175_566
; %bb.562:
	s_andn2_b64 vcc, exec, s[52:53]
	s_cbranch_vccnz .LBB175_567
; %bb.563:
	s_add_i32 s80, s79, 1
	s_cmp_eq_u32 s74, 2
	s_cbranch_scc1 .LBB175_568
; %bb.564:
	s_and_b32 s73, s80, 28
	v_mov_b32_e32 v2, 0
	s_mov_b32 s81, 0
	s_mov_b64 s[68:69], s[34:35]
	s_mov_b64 s[70:71], s[50:51]
	v_mov_b32_e32 v0, 0
	v_mov_b32_e32 v1, v8
.LBB175_565:                            ; =>This Inner Loop Header: Depth=1
	s_load_dwordx8 s[16:23], s[68:69], 0x4
	s_load_dwordx4 s[0:3], s[68:69], 0x24
	s_load_dwordx8 s[8:15], s[70:71], 0x0
	s_add_u32 s68, s68, 48
	s_addc_u32 s69, s69, 0
	s_waitcnt vmcnt(0) lgkmcnt(0)
	v_mul_hi_u32 v3, s17, v1
	s_add_i32 s81, s81, 4
	s_add_u32 s70, s70, 32
	s_addc_u32 s71, s71, 0
	v_add_u32_e32 v3, v1, v3
	v_lshrrev_b32_e32 v3, s18, v3
	v_mul_lo_u32 v4, v3, s16
	v_mul_hi_u32 v5, s20, v3
	s_cmp_eq_u32 s73, s81
	v_sub_u32_e32 v1, v1, v4
	v_add_u32_e32 v4, v3, v5
	v_mul_lo_u32 v5, v1, s8
	v_mul_lo_u32 v6, v1, s9
	v_lshrrev_b32_e32 v1, s21, v4
	v_mul_lo_u32 v4, v1, s19
	v_mul_hi_u32 v7, s23, v1
	v_sub_u32_e32 v3, v3, v4
	v_add_u32_e32 v4, v1, v7
	v_lshrrev_b32_e32 v4, s0, v4
	v_mul_hi_u32 v9, s2, v4
	v_mul_lo_u32 v10, v4, s22
	v_mul_lo_u32 v7, v3, s10
	;; [unrolled: 1-line block ×3, first 2 shown]
	v_sub_u32_e32 v10, v1, v10
	v_add_u32_e32 v1, v4, v9
	v_lshrrev_b32_e32 v1, s3, v1
	v_mul_lo_u32 v9, v1, s1
	v_mul_lo_u32 v11, v10, s12
	;; [unrolled: 1-line block ×3, first 2 shown]
	v_add3_u32 v0, v5, v0, v7
	v_sub_u32_e32 v4, v4, v9
	v_mul_lo_u32 v9, v4, s14
	v_mul_lo_u32 v4, v4, s15
	v_add3_u32 v2, v6, v2, v3
	v_add3_u32 v0, v11, v0, v9
	;; [unrolled: 1-line block ×3, first 2 shown]
	s_cbranch_scc0 .LBB175_565
	s_branch .LBB175_569
.LBB175_566:
	s_mov_b64 s[0:1], -1
                                        ; implicit-def: $vgpr0
                                        ; implicit-def: $vgpr2
	s_branch .LBB175_573
.LBB175_567:
	v_mov_b32_e32 v0, 0
	v_mov_b32_e32 v2, 0
	s_branch .LBB175_572
.LBB175_568:
	s_mov_b32 s73, 0
	v_mov_b32_e32 v0, 0
	v_mov_b32_e32 v2, 0
	v_mov_b32_e32 v1, v8
.LBB175_569:
	s_and_b32 s8, s80, 3
	s_cmp_eq_u32 s8, 0
	s_cbranch_scc1 .LBB175_572
; %bb.570:
	s_lshl_b32 s0, s73, 3
	s_add_u32 s0, s34, s0
	s_addc_u32 s1, s35, 0
	s_add_u32 s0, s0, 0xc4
	s_addc_u32 s1, s1, 0
	s_mul_i32 s2, s73, 12
	s_add_u32 s2, s34, s2
	s_addc_u32 s3, s35, 0
.LBB175_571:                            ; =>This Inner Loop Header: Depth=1
	s_load_dwordx2 s[10:11], s[2:3], 0x4
	s_load_dword s9, s[2:3], 0xc
	s_load_dwordx2 s[12:13], s[0:1], 0x0
	s_add_u32 s2, s2, 12
	s_addc_u32 s3, s3, 0
	s_waitcnt vmcnt(0) lgkmcnt(0)
	v_mul_hi_u32 v3, s11, v1
	s_add_u32 s0, s0, 8
	s_addc_u32 s1, s1, 0
	s_add_i32 s8, s8, -1
	v_add_u32_e32 v3, v1, v3
	v_lshrrev_b32_e32 v4, s9, v3
	v_mul_lo_u32 v3, v4, s10
	s_cmp_lg_u32 s8, 0
	v_sub_u32_e32 v3, v1, v3
	v_mad_u64_u32 v[0:1], s[10:11], v3, s12, v[0:1]
	v_mad_u64_u32 v[2:3], s[10:11], v3, s13, v[2:3]
	v_mov_b32_e32 v1, v4
	s_cbranch_scc1 .LBB175_571
.LBB175_572:
	s_mov_b64 s[0:1], 0
.LBB175_573:
	s_andn2_b64 vcc, exec, s[0:1]
	s_cbranch_vccnz .LBB175_576
; %bb.574:
	v_mul_hi_u32 v0, s29, v8
	s_andn2_b64 vcc, exec, s[48:49]
	v_add_u32_e32 v0, v8, v0
	v_lshrrev_b32_e32 v1, s30, v0
	v_mul_lo_u32 v0, v1, s28
	v_sub_u32_e32 v2, v8, v0
	v_mul_lo_u32 v0, v2, s36
	v_mul_lo_u32 v2, v2, s37
	s_cbranch_vccnz .LBB175_576
; %bb.575:
	s_waitcnt vmcnt(0)
	v_mul_hi_u32 v3, s46, v1
	v_add_u32_e32 v3, v1, v3
	v_lshrrev_b32_e32 v3, s47, v3
	v_mul_lo_u32 v3, v3, s31
	v_sub_u32_e32 v3, v1, v3
	v_mad_u64_u32 v[0:1], s[0:1], v3, s38, v[0:1]
	v_mad_u64_u32 v[2:3], s[0:1], v3, s39, v[2:3]
.LBB175_576:
	s_waitcnt vmcnt(0)
	v_mov_b32_e32 v3, s27
	s_and_b32 s12, 0xffff, s78
	v_add_co_u32_e32 v1, vcc, s26, v2
	s_cmp_lt_i32 s12, 11
	v_addc_co_u32_e32 v2, vcc, 0, v3, vcc
	s_cbranch_scc1 .LBB175_583
; %bb.577:
	s_cmp_gt_i32 s12, 25
	s_cbranch_scc0 .LBB175_584
; %bb.578:
	s_cmp_gt_i32 s12, 28
	s_cbranch_scc0 .LBB175_585
	;; [unrolled: 3-line block ×4, first 2 shown]
; %bb.581:
	s_cmp_eq_u32 s12, 46
	s_mov_b64 s[8:9], 0
	s_cbranch_scc0 .LBB175_592
; %bb.582:
	global_load_dword v3, v[1:2], off
	s_mov_b64 s[0:1], -1
	s_mov_b64 s[2:3], 0
	s_waitcnt vmcnt(0)
	v_and_b32_e32 v4, 0xffff0000, v3
	s_branch .LBB175_593
.LBB175_583:
	s_mov_b64 s[8:9], -1
	s_mov_b64 s[0:1], 0
                                        ; implicit-def: $vgpr4
                                        ; implicit-def: $vgpr3
	s_mov_b64 s[2:3], s[60:61]
	s_branch .LBB175_661
.LBB175_584:
	s_mov_b64 s[8:9], -1
	s_mov_b64 s[0:1], 0
	s_mov_b64 s[2:3], s[60:61]
                                        ; implicit-def: $vgpr4
                                        ; implicit-def: $vgpr3
	s_branch .LBB175_624
.LBB175_585:
	s_mov_b64 s[8:9], -1
	s_mov_b64 s[0:1], 0
	s_mov_b64 s[2:3], s[60:61]
                                        ; implicit-def: $vgpr4
                                        ; implicit-def: $vgpr3
	s_branch .LBB175_605
.LBB175_586:
	s_mov_b64 s[8:9], -1
	s_mov_b64 s[0:1], 0
	s_mov_b64 s[2:3], s[60:61]
                                        ; implicit-def: $vgpr4
                                        ; implicit-def: $vgpr3
	s_branch .LBB175_599
.LBB175_587:
	s_andn2_saveexec_b64 s[14:15], s[14:15]
	s_cbranch_execz .LBB175_351
.LBB175_588:
	v_add_f32_e32 v2, 0x46000000, v3
	v_and_b32_e32 v2, 0xff, v2
	v_cmp_ne_u32_e32 vcc, 0, v2
	s_andn2_b64 s[12:13], s[12:13], exec
	s_and_b64 s[18:19], vcc, exec
	s_or_b64 s[12:13], s[12:13], s[18:19]
	s_or_b64 exec, exec, s[14:15]
	v_mov_b32_e32 v4, 0
	s_and_saveexec_b64 s[14:15], s[12:13]
	s_cbranch_execnz .LBB175_352
	s_branch .LBB175_353
.LBB175_589:
	s_mov_b64 s[8:9], -1
	s_mov_b64 s[0:1], 0
	s_mov_b64 s[2:3], s[60:61]
                                        ; implicit-def: $vgpr4
                                        ; implicit-def: $vgpr3
	s_branch .LBB175_593
.LBB175_590:
	s_andn2_saveexec_b64 s[14:15], s[14:15]
	s_cbranch_execz .LBB175_364
.LBB175_591:
	v_add_f32_e32 v2, 0x42800000, v3
	v_and_b32_e32 v2, 0xff, v2
	v_cmp_ne_u32_e32 vcc, 0, v2
	s_andn2_b64 s[12:13], s[12:13], exec
	s_and_b64 s[18:19], vcc, exec
	s_or_b64 s[12:13], s[12:13], s[18:19]
	s_or_b64 exec, exec, s[14:15]
	v_mov_b32_e32 v4, 0
	s_and_saveexec_b64 s[14:15], s[12:13]
	s_cbranch_execnz .LBB175_365
	s_branch .LBB175_366
.LBB175_592:
	s_mov_b64 s[2:3], -1
                                        ; implicit-def: $vgpr4
                                        ; implicit-def: $vgpr3
	s_mov_b64 s[0:1], 0
.LBB175_593:
	s_and_b64 vcc, exec, s[8:9]
	s_cbranch_vccz .LBB175_598
; %bb.594:
	s_cmp_eq_u32 s12, 44
	s_cbranch_scc0 .LBB175_596
; %bb.595:
	global_load_ubyte v3, v[1:2], off
	s_movk_i32 s2, 0xff
	v_mov_b32_e32 v4, 0x7f800001
	v_mov_b32_e32 v5, 0x400000
	;; [unrolled: 1-line block ×3, first 2 shown]
	s_mov_b64 s[0:1], -1
	s_waitcnt vmcnt(0)
	v_lshlrev_b32_e32 v7, 23, v3
	v_cmp_ne_u32_e32 vcc, s2, v3
	v_cndmask_b32_e32 v4, v4, v7, vcc
	v_cmp_ne_u32_e32 vcc, 0, v3
	v_cndmask_b32_e32 v3, v5, v4, vcc
	v_add_u32_e32 v4, 0x7fff, v3
	v_cmp_o_f32_e32 vcc, v3, v3
	v_cndmask_b32_sdwa v3, v6, v4, vcc dst_sel:DWORD dst_unused:UNUSED_PAD src0_sel:DWORD src1_sel:WORD_1
	s_mov_b64 s[2:3], 0
	s_branch .LBB175_597
.LBB175_596:
	s_mov_b64 s[2:3], -1
                                        ; implicit-def: $vgpr3
.LBB175_597:
	v_mov_b32_e32 v4, 0
.LBB175_598:
	s_mov_b64 s[8:9], 0
.LBB175_599:
	s_and_b64 vcc, exec, s[8:9]
	s_cbranch_vccz .LBB175_604
; %bb.600:
	s_cmp_eq_u32 s12, 29
	s_cbranch_scc0 .LBB175_602
; %bb.601:
	global_load_dwordx2 v[3:4], v[1:2], off
	s_movk_i32 s2, 0x7fff
	s_mov_b64 s[0:1], -1
	s_waitcnt vmcnt(0)
	v_ffbh_u32_e32 v5, v4
	v_min_u32_e32 v5, 32, v5
	v_lshlrev_b64 v[3:4], v5, v[3:4]
	v_min_u32_e32 v3, 1, v3
	v_or_b32_e32 v3, v4, v3
	v_cvt_f32_u32_e32 v3, v3
	v_sub_u32_e32 v4, 32, v5
	v_ldexp_f32 v3, v3, v4
	v_bfe_u32 v4, v3, 16, 1
	v_add3_u32 v3, v3, v4, s2
	v_lshrrev_b32_e32 v3, 16, v3
	s_mov_b64 s[2:3], 0
	s_branch .LBB175_603
.LBB175_602:
	s_mov_b64 s[2:3], -1
                                        ; implicit-def: $vgpr3
.LBB175_603:
	v_mov_b32_e32 v4, 0
.LBB175_604:
	s_mov_b64 s[8:9], 0
.LBB175_605:
	s_and_b64 vcc, exec, s[8:9]
	s_cbranch_vccz .LBB175_623
; %bb.606:
	s_cmp_lt_i32 s12, 27
	s_cbranch_scc1 .LBB175_609
; %bb.607:
	s_cmp_gt_i32 s12, 27
	s_cbranch_scc0 .LBB175_610
; %bb.608:
	global_load_dword v3, v[1:2], off
	s_movk_i32 s0, 0x7fff
	s_waitcnt vmcnt(0)
	v_cvt_f32_u32_e32 v3, v3
	v_bfe_u32 v4, v3, 16, 1
	v_add3_u32 v3, v3, v4, s0
	v_lshrrev_b32_e32 v3, 16, v3
	s_mov_b64 s[0:1], 0
	s_branch .LBB175_611
.LBB175_609:
	s_mov_b64 s[0:1], -1
                                        ; implicit-def: $vgpr3
	s_branch .LBB175_614
.LBB175_610:
	s_mov_b64 s[0:1], -1
                                        ; implicit-def: $vgpr3
.LBB175_611:
	s_andn2_b64 vcc, exec, s[0:1]
	s_cbranch_vccnz .LBB175_613
; %bb.612:
	global_load_ushort v3, v[1:2], off
	s_movk_i32 s0, 0x7fff
	s_waitcnt vmcnt(0)
	v_cvt_f32_u32_e32 v3, v3
	v_bfe_u32 v4, v3, 16, 1
	v_add3_u32 v3, v3, v4, s0
	v_lshrrev_b32_e32 v3, 16, v3
.LBB175_613:
	s_mov_b64 s[0:1], 0
.LBB175_614:
	s_andn2_b64 vcc, exec, s[0:1]
	s_cbranch_vccnz .LBB175_622
; %bb.615:
	global_load_ubyte v3, v[1:2], off
	s_movk_i32 s0, 0x7f
	s_waitcnt vmcnt(0)
	v_cmp_lt_i16_e32 vcc, s0, v3
	s_mov_b64 s[0:1], 0
	s_and_saveexec_b64 s[8:9], vcc
	s_xor_b64 s[8:9], exec, s[8:9]
	s_cbranch_execz .LBB175_636
; %bb.616:
	s_movk_i32 s0, 0x80
	v_cmp_eq_u16_e32 vcc, s0, v3
	s_mov_b64 s[0:1], -1
	s_and_saveexec_b64 s[10:11], vcc
; %bb.617:
	s_xor_b64 s[0:1], exec, -1
; %bb.618:
	s_or_b64 exec, exec, s[10:11]
	s_and_b64 s[0:1], s[0:1], exec
	s_or_saveexec_b64 s[8:9], s[8:9]
	v_mov_b32_e32 v4, 0x7f800001
	s_xor_b64 exec, exec, s[8:9]
	s_cbranch_execnz .LBB175_637
.LBB175_619:
	s_or_b64 exec, exec, s[8:9]
	s_and_saveexec_b64 s[8:9], s[0:1]
	s_cbranch_execz .LBB175_621
.LBB175_620:
	v_lshlrev_b32_e32 v4, 24, v3
	v_and_b32_e32 v3, 0xffff, v3
	v_and_b32_e32 v5, 7, v3
	v_ffbh_u32_e32 v7, v5
	v_min_u32_e32 v7, 32, v7
	v_subrev_u32_e32 v9, 28, v7
	v_bfe_u32 v6, v3, 3, 4
	v_lshlrev_b32_e32 v3, v9, v3
	v_sub_u32_e32 v7, 29, v7
	v_and_b32_e32 v3, 7, v3
	v_cmp_eq_u32_e32 vcc, 0, v6
	v_cndmask_b32_e32 v6, v6, v7, vcc
	v_cndmask_b32_e32 v3, v5, v3, vcc
	v_mov_b32_e32 v5, 0x3b800000
	v_lshlrev_b32_e32 v3, 20, v3
	v_and_b32_e32 v4, 0x80000000, v4
	v_lshl_add_u32 v5, v6, 23, v5
	v_or3_b32 v4, v4, v5, v3
.LBB175_621:
	s_or_b64 exec, exec, s[8:9]
	v_bfe_u32 v3, v4, 16, 1
	s_movk_i32 s0, 0x7fff
	v_add3_u32 v3, v4, v3, s0
	v_cmp_o_f32_e32 vcc, v4, v4
	v_mov_b32_e32 v4, 0x7fc0
	v_cndmask_b32_sdwa v3, v4, v3, vcc dst_sel:DWORD dst_unused:UNUSED_PAD src0_sel:DWORD src1_sel:WORD_1
.LBB175_622:
	s_mov_b64 s[0:1], -1
	v_mov_b32_e32 v4, 0
.LBB175_623:
	s_mov_b64 s[8:9], 0
.LBB175_624:
	s_and_b64 vcc, exec, s[8:9]
	s_cbranch_vccz .LBB175_660
; %bb.625:
	s_cmp_gt_i32 s12, 22
	s_cbranch_scc0 .LBB175_635
; %bb.626:
	s_cmp_lt_i32 s12, 24
	s_cbranch_scc1 .LBB175_638
; %bb.627:
	s_cmp_gt_i32 s12, 24
	s_cbranch_scc0 .LBB175_639
; %bb.628:
	global_load_ubyte v3, v[1:2], off
	s_movk_i32 s0, 0x7f
	s_waitcnt vmcnt(0)
	v_cmp_lt_i16_e32 vcc, s0, v3
	s_mov_b64 s[0:1], 0
	s_and_saveexec_b64 s[8:9], vcc
	s_xor_b64 s[8:9], exec, s[8:9]
	s_cbranch_execz .LBB175_651
; %bb.629:
	s_movk_i32 s0, 0x80
	v_cmp_eq_u16_e32 vcc, s0, v3
	s_mov_b64 s[0:1], -1
	s_and_saveexec_b64 s[10:11], vcc
; %bb.630:
	s_xor_b64 s[0:1], exec, -1
; %bb.631:
	s_or_b64 exec, exec, s[10:11]
	s_and_b64 s[0:1], s[0:1], exec
	s_or_saveexec_b64 s[8:9], s[8:9]
	v_mov_b32_e32 v4, 0x7f800001
	s_xor_b64 exec, exec, s[8:9]
	s_cbranch_execnz .LBB175_652
.LBB175_632:
	s_or_b64 exec, exec, s[8:9]
	s_and_saveexec_b64 s[8:9], s[0:1]
	s_cbranch_execz .LBB175_634
.LBB175_633:
	v_lshlrev_b32_e32 v4, 24, v3
	v_and_b32_e32 v3, 0xffff, v3
	v_and_b32_e32 v5, 3, v3
	v_ffbh_u32_e32 v7, v5
	v_min_u32_e32 v7, 32, v7
	v_subrev_u32_e32 v9, 29, v7
	v_bfe_u32 v6, v3, 2, 5
	v_lshlrev_b32_e32 v3, v9, v3
	v_sub_u32_e32 v7, 30, v7
	v_and_b32_e32 v3, 3, v3
	v_cmp_eq_u32_e32 vcc, 0, v6
	v_cndmask_b32_e32 v6, v6, v7, vcc
	v_cndmask_b32_e32 v3, v5, v3, vcc
	v_mov_b32_e32 v5, 0x37800000
	v_lshlrev_b32_e32 v3, 21, v3
	v_and_b32_e32 v4, 0x80000000, v4
	v_lshl_add_u32 v5, v6, 23, v5
	v_or3_b32 v4, v4, v5, v3
.LBB175_634:
	s_or_b64 exec, exec, s[8:9]
	v_bfe_u32 v3, v4, 16, 1
	s_movk_i32 s0, 0x7fff
	v_add3_u32 v3, v4, v3, s0
	v_cmp_o_f32_e32 vcc, v4, v4
	v_mov_b32_e32 v4, 0x7fc0
	v_cndmask_b32_sdwa v3, v4, v3, vcc dst_sel:DWORD dst_unused:UNUSED_PAD src0_sel:DWORD src1_sel:WORD_1
	s_mov_b64 s[0:1], 0
	s_branch .LBB175_640
.LBB175_635:
	s_mov_b64 s[8:9], -1
                                        ; implicit-def: $vgpr3
	s_branch .LBB175_646
.LBB175_636:
	s_or_saveexec_b64 s[8:9], s[8:9]
	v_mov_b32_e32 v4, 0x7f800001
	s_xor_b64 exec, exec, s[8:9]
	s_cbranch_execz .LBB175_619
.LBB175_637:
	v_cmp_ne_u16_e32 vcc, 0, v3
	s_andn2_b64 s[0:1], s[0:1], exec
	s_and_b64 s[10:11], vcc, exec
	v_mov_b32_e32 v4, 0
	s_or_b64 s[0:1], s[0:1], s[10:11]
	s_or_b64 exec, exec, s[8:9]
	s_and_saveexec_b64 s[8:9], s[0:1]
	s_cbranch_execnz .LBB175_620
	s_branch .LBB175_621
.LBB175_638:
	s_mov_b64 s[0:1], -1
                                        ; implicit-def: $vgpr3
	s_branch .LBB175_643
.LBB175_639:
	s_mov_b64 s[0:1], -1
                                        ; implicit-def: $vgpr3
.LBB175_640:
	s_and_b64 vcc, exec, s[0:1]
	s_cbranch_vccz .LBB175_642
; %bb.641:
	global_load_ubyte v3, v[1:2], off
	s_mov_b32 s0, 0x7f800000
	s_brev_b32 s1, 1
	s_movk_i32 s8, 0x7fff
	s_waitcnt vmcnt(0)
	v_lshlrev_b32_e32 v3, 24, v3
	v_and_b32_e32 v4, 0x7f000000, v3
	v_ffbh_u32_e32 v5, v4
	v_min_u32_e32 v5, 32, v5
	v_sub_u32_e64 v5, v5, 4 clamp
	v_lshlrev_b32_e32 v7, v5, v4
	v_lshlrev_b32_e32 v5, 23, v5
	v_lshrrev_b32_e32 v7, 4, v7
	v_add_u32_e32 v6, 0x1000000, v4
	v_sub_u32_e32 v5, v7, v5
	v_ashrrev_i32_e32 v6, 8, v6
	v_add_u32_e32 v5, 0x3c000000, v5
	v_and_or_b32 v5, v6, s0, v5
	v_cmp_ne_u32_e32 vcc, 0, v4
	v_cndmask_b32_e32 v4, 0, v5, vcc
	v_and_or_b32 v3, v3, s1, v4
	v_bfe_u32 v4, v4, 16, 1
	v_add3_u32 v4, v3, v4, s8
	v_cmp_o_f32_e32 vcc, v3, v3
	v_mov_b32_e32 v3, 0x7fc0
	v_cndmask_b32_sdwa v3, v3, v4, vcc dst_sel:DWORD dst_unused:UNUSED_PAD src0_sel:DWORD src1_sel:WORD_1
.LBB175_642:
	s_mov_b64 s[0:1], 0
.LBB175_643:
	s_andn2_b64 vcc, exec, s[0:1]
	s_cbranch_vccnz .LBB175_645
; %bb.644:
	global_load_ubyte v3, v[1:2], off
	s_movk_i32 s0, 0x7f00
	s_brev_b32 s1, 16
	s_brev_b32 s8, 1
	s_movk_i32 s9, 0x7fff
	s_waitcnt vmcnt(0)
	v_lshlrev_b16_e32 v4, 8, v3
	v_lshlrev_b32_e32 v3, 25, v3
	v_lshrrev_b32_e32 v5, 4, v3
	v_and_or_b32 v6, v4, s0, 0.5
	v_or_b32_e32 v5, 0x70000000, v5
	v_add_f32_e32 v6, -0.5, v6
	v_mul_f32_e32 v5, 0x7800000, v5
	v_cmp_gt_u32_e32 vcc, s1, v3
	v_bfe_i32 v4, v4, 0, 16
	v_cndmask_b32_e32 v3, v5, v6, vcc
	v_and_or_b32 v4, v4, s8, v3
	v_bfe_u32 v3, v3, 16, 1
	v_add3_u32 v3, v4, v3, s9
	v_cmp_o_f32_e32 vcc, v4, v4
	v_mov_b32_e32 v4, 0x7fc0
	v_cndmask_b32_sdwa v3, v4, v3, vcc dst_sel:DWORD dst_unused:UNUSED_PAD src0_sel:DWORD src1_sel:WORD_1
.LBB175_645:
	s_mov_b64 s[8:9], 0
	s_mov_b64 s[0:1], -1
.LBB175_646:
	s_andn2_b64 vcc, exec, s[8:9]
	s_cbranch_vccnz .LBB175_659
; %bb.647:
	s_cmp_gt_i32 s12, 14
	s_cbranch_scc0 .LBB175_650
; %bb.648:
	s_cmp_eq_u32 s12, 15
	s_cbranch_scc0 .LBB175_653
; %bb.649:
	global_load_ushort v3, v[1:2], off
	s_mov_b64 s[0:1], -1
	s_mov_b64 s[2:3], 0
	s_branch .LBB175_654
.LBB175_650:
	s_mov_b64 s[8:9], -1
                                        ; implicit-def: $vgpr3
	s_branch .LBB175_655
.LBB175_651:
	s_or_saveexec_b64 s[8:9], s[8:9]
	v_mov_b32_e32 v4, 0x7f800001
	s_xor_b64 exec, exec, s[8:9]
	s_cbranch_execz .LBB175_632
.LBB175_652:
	v_cmp_ne_u16_e32 vcc, 0, v3
	s_andn2_b64 s[0:1], s[0:1], exec
	s_and_b64 s[10:11], vcc, exec
	v_mov_b32_e32 v4, 0
	s_or_b64 s[0:1], s[0:1], s[10:11]
	s_or_b64 exec, exec, s[8:9]
	s_and_saveexec_b64 s[8:9], s[0:1]
	s_cbranch_execnz .LBB175_633
	s_branch .LBB175_634
.LBB175_653:
	s_mov_b64 s[2:3], -1
                                        ; implicit-def: $vgpr3
.LBB175_654:
	s_mov_b64 s[8:9], 0
.LBB175_655:
	s_and_b64 vcc, exec, s[8:9]
	s_cbranch_vccz .LBB175_659
; %bb.656:
	s_cmp_eq_u32 s12, 11
	s_cbranch_scc0 .LBB175_658
; %bb.657:
	global_load_ubyte v3, v[1:2], off
	s_mov_b64 s[0:1], -1
	s_mov_b64 s[2:3], 0
	v_mov_b32_e32 v4, 0
	s_waitcnt vmcnt(0)
	v_cmp_ne_u16_e32 vcc, 0, v3
	v_cndmask_b32_e64 v3, 0, 1.0, vcc
	v_lshrrev_b32_e32 v3, 16, v3
	s_branch .LBB175_660
.LBB175_658:
	s_mov_b64 s[2:3], -1
                                        ; implicit-def: $vgpr3
.LBB175_659:
	v_mov_b32_e32 v4, 0
.LBB175_660:
	s_mov_b64 s[8:9], 0
.LBB175_661:
	s_and_b64 vcc, exec, s[8:9]
	s_cbranch_vccz .LBB175_712
; %bb.662:
	s_cmp_lt_i32 s12, 5
	s_cbranch_scc1 .LBB175_667
; %bb.663:
	s_cmp_lt_i32 s12, 8
	s_cbranch_scc1 .LBB175_668
	;; [unrolled: 3-line block ×3, first 2 shown]
; %bb.665:
	s_cmp_gt_i32 s12, 9
	s_cbranch_scc0 .LBB175_670
; %bb.666:
	global_load_dwordx4 v[3:6], v[1:2], off
	s_movk_i32 s0, 0x7fff
	s_waitcnt vmcnt(0)
	v_cvt_f32_f64_e32 v3, v[3:4]
	v_cvt_f32_f64_e32 v4, v[5:6]
	v_mov_b32_e32 v5, 0x7fc0
	v_mov_b32_e32 v6, 0x7fc00000
	v_bfe_u32 v7, v3, 16, 1
	v_bfe_u32 v9, v4, 16, 1
	v_cmp_o_f32_e32 vcc, v3, v3
	v_add3_u32 v3, v3, v7, s0
	v_add3_u32 v7, v4, v9, s0
	v_cndmask_b32_sdwa v3, v5, v3, vcc dst_sel:DWORD dst_unused:UNUSED_PAD src0_sel:DWORD src1_sel:WORD_1
	v_and_b32_e32 v5, 0xffff0000, v7
	v_cmp_o_f32_e32 vcc, v4, v4
	v_cndmask_b32_e32 v4, v6, v5, vcc
	s_mov_b64 s[0:1], 0
	s_branch .LBB175_671
.LBB175_667:
	s_mov_b64 s[0:1], -1
                                        ; implicit-def: $vgpr4
                                        ; implicit-def: $vgpr3
	s_branch .LBB175_690
.LBB175_668:
	s_mov_b64 s[0:1], -1
                                        ; implicit-def: $vgpr4
                                        ; implicit-def: $vgpr3
	s_branch .LBB175_677
.LBB175_669:
	s_mov_b64 s[0:1], -1
                                        ; implicit-def: $vgpr4
                                        ; implicit-def: $vgpr3
	s_branch .LBB175_674
.LBB175_670:
	s_mov_b64 s[0:1], -1
                                        ; implicit-def: $vgpr4
                                        ; implicit-def: $vgpr3
.LBB175_671:
	s_andn2_b64 vcc, exec, s[0:1]
	s_cbranch_vccnz .LBB175_673
; %bb.672:
	global_load_dwordx2 v[3:4], v[1:2], off
	s_movk_i32 s0, 0x7fff
	v_mov_b32_e32 v5, 0x7fc0
	v_mov_b32_e32 v6, 0x7fc00000
	s_waitcnt vmcnt(0)
	v_bfe_u32 v7, v3, 16, 1
	v_bfe_u32 v9, v4, 16, 1
	v_cmp_o_f32_e32 vcc, v3, v3
	v_add3_u32 v3, v3, v7, s0
	v_add3_u32 v7, v4, v9, s0
	v_cndmask_b32_sdwa v3, v5, v3, vcc dst_sel:DWORD dst_unused:UNUSED_PAD src0_sel:DWORD src1_sel:WORD_1
	v_and_b32_e32 v5, 0xffff0000, v7
	v_cmp_o_f32_e32 vcc, v4, v4
	v_cndmask_b32_e32 v4, v6, v5, vcc
.LBB175_673:
	s_mov_b64 s[0:1], 0
.LBB175_674:
	s_andn2_b64 vcc, exec, s[0:1]
	s_cbranch_vccnz .LBB175_676
; %bb.675:
	global_load_dword v4, v[1:2], off
	s_movk_i32 s0, 0x7fff
	s_waitcnt vmcnt(1)
	v_mov_b32_e32 v3, 0x7fc0
	v_mov_b32_e32 v7, 0x7fc00000
	s_waitcnt vmcnt(0)
	v_cvt_f32_f16_e32 v5, v4
	v_cvt_f32_f16_sdwa v6, v4 dst_sel:DWORD dst_unused:UNUSED_PAD src0_sel:WORD_1
	v_cmp_o_f16_e32 vcc, v4, v4
	v_bfe_u32 v9, v5, 16, 1
	v_bfe_u32 v10, v6, 16, 1
	v_add3_u32 v5, v5, v9, s0
	v_add3_u32 v6, v6, v10, s0
	v_cndmask_b32_sdwa v3, v3, v5, vcc dst_sel:DWORD dst_unused:UNUSED_PAD src0_sel:DWORD src1_sel:WORD_1
	v_and_b32_e32 v5, 0xffff0000, v6
	v_cmp_o_f16_sdwa vcc, v4, v4 src0_sel:WORD_1 src1_sel:WORD_1
	v_cndmask_b32_e32 v4, v7, v5, vcc
.LBB175_676:
	s_mov_b64 s[0:1], 0
.LBB175_677:
	s_andn2_b64 vcc, exec, s[0:1]
	s_cbranch_vccnz .LBB175_689
; %bb.678:
	s_cmp_lt_i32 s12, 6
	s_cbranch_scc1 .LBB175_681
; %bb.679:
	s_cmp_gt_i32 s12, 6
	s_cbranch_scc0 .LBB175_682
; %bb.680:
	global_load_dwordx2 v[3:4], v[1:2], off
	s_movk_i32 s0, 0x7fff
	s_waitcnt vmcnt(0)
	v_cvt_f32_f64_e32 v3, v[3:4]
	v_mov_b32_e32 v4, 0x7fc0
	v_bfe_u32 v5, v3, 16, 1
	v_cmp_o_f32_e32 vcc, v3, v3
	v_add3_u32 v3, v3, v5, s0
	v_cndmask_b32_sdwa v3, v4, v3, vcc dst_sel:DWORD dst_unused:UNUSED_PAD src0_sel:DWORD src1_sel:WORD_1
	s_mov_b64 s[0:1], 0
	s_branch .LBB175_683
.LBB175_681:
	s_mov_b64 s[0:1], -1
                                        ; implicit-def: $vgpr3
	s_branch .LBB175_686
.LBB175_682:
	s_mov_b64 s[0:1], -1
                                        ; implicit-def: $vgpr3
.LBB175_683:
	s_andn2_b64 vcc, exec, s[0:1]
	s_cbranch_vccnz .LBB175_685
; %bb.684:
	global_load_dword v3, v[1:2], off
	s_movk_i32 s0, 0x7fff
	v_mov_b32_e32 v4, 0x7fc0
	s_waitcnt vmcnt(0)
	v_bfe_u32 v5, v3, 16, 1
	v_cmp_o_f32_e32 vcc, v3, v3
	v_add3_u32 v3, v3, v5, s0
	v_cndmask_b32_sdwa v3, v4, v3, vcc dst_sel:DWORD dst_unused:UNUSED_PAD src0_sel:DWORD src1_sel:WORD_1
.LBB175_685:
	s_mov_b64 s[0:1], 0
.LBB175_686:
	s_andn2_b64 vcc, exec, s[0:1]
	s_cbranch_vccnz .LBB175_688
; %bb.687:
	global_load_ushort v3, v[1:2], off
	s_movk_i32 s0, 0x7fff
	v_mov_b32_e32 v5, 0x7fc0
	s_waitcnt vmcnt(0)
	v_cvt_f32_f16_e32 v4, v3
	v_cmp_o_f16_e32 vcc, v3, v3
	v_bfe_u32 v3, v4, 16, 1
	v_add3_u32 v3, v4, v3, s0
	v_cndmask_b32_sdwa v3, v5, v3, vcc dst_sel:DWORD dst_unused:UNUSED_PAD src0_sel:DWORD src1_sel:WORD_1
.LBB175_688:
	v_mov_b32_e32 v4, 0
.LBB175_689:
	s_mov_b64 s[0:1], 0
.LBB175_690:
	s_andn2_b64 vcc, exec, s[0:1]
	s_cbranch_vccnz .LBB175_711
; %bb.691:
	s_cmp_lt_i32 s12, 2
	s_cbranch_scc1 .LBB175_695
; %bb.692:
	s_cmp_lt_i32 s12, 3
	s_cbranch_scc1 .LBB175_696
; %bb.693:
	s_cmp_gt_i32 s12, 3
	s_cbranch_scc0 .LBB175_697
; %bb.694:
	global_load_dwordx2 v[3:4], v[1:2], off
	s_movk_i32 s0, 0x7fff
	s_waitcnt vmcnt(0)
	v_xor_b32_e32 v6, v3, v4
	v_ffbh_i32_e32 v5, v4
	v_ashrrev_i32_e32 v6, 31, v6
	v_add_u32_e32 v5, -1, v5
	v_add_u32_e32 v6, 32, v6
	v_min_u32_e32 v5, v5, v6
	v_lshlrev_b64 v[3:4], v5, v[3:4]
	v_min_u32_e32 v3, 1, v3
	v_or_b32_e32 v3, v4, v3
	v_cvt_f32_i32_e32 v3, v3
	v_sub_u32_e32 v4, 32, v5
	v_ldexp_f32 v3, v3, v4
	v_bfe_u32 v4, v3, 16, 1
	v_add3_u32 v3, v3, v4, s0
	v_lshrrev_b32_e32 v3, 16, v3
	s_mov_b64 s[0:1], 0
	s_branch .LBB175_698
.LBB175_695:
	s_mov_b64 s[0:1], -1
                                        ; implicit-def: $vgpr3
	s_branch .LBB175_704
.LBB175_696:
	s_mov_b64 s[0:1], -1
                                        ; implicit-def: $vgpr3
	s_branch .LBB175_701
.LBB175_697:
	s_mov_b64 s[0:1], -1
                                        ; implicit-def: $vgpr3
.LBB175_698:
	s_andn2_b64 vcc, exec, s[0:1]
	s_cbranch_vccnz .LBB175_700
; %bb.699:
	global_load_dword v3, v[1:2], off
	s_movk_i32 s0, 0x7fff
	s_waitcnt vmcnt(0)
	v_cvt_f32_i32_e32 v3, v3
	v_bfe_u32 v4, v3, 16, 1
	v_add3_u32 v3, v3, v4, s0
	v_lshrrev_b32_e32 v3, 16, v3
.LBB175_700:
	s_mov_b64 s[0:1], 0
.LBB175_701:
	s_andn2_b64 vcc, exec, s[0:1]
	s_cbranch_vccnz .LBB175_703
; %bb.702:
	global_load_sshort v3, v[1:2], off
	s_movk_i32 s0, 0x7fff
	s_waitcnt vmcnt(0)
	v_cvt_f32_i32_e32 v3, v3
	v_bfe_u32 v4, v3, 16, 1
	v_add3_u32 v3, v3, v4, s0
	v_lshrrev_b32_e32 v3, 16, v3
.LBB175_703:
	s_mov_b64 s[0:1], 0
.LBB175_704:
	s_andn2_b64 vcc, exec, s[0:1]
	s_cbranch_vccnz .LBB175_710
; %bb.705:
	s_cmp_gt_i32 s12, 0
	s_cbranch_scc0 .LBB175_707
; %bb.706:
	global_load_sbyte v3, v[1:2], off
	s_movk_i32 s0, 0x7fff
	s_waitcnt vmcnt(0)
	v_cvt_f32_i32_e32 v3, v3
	v_bfe_u32 v4, v3, 16, 1
	v_add3_u32 v3, v3, v4, s0
	v_lshrrev_b32_e32 v3, 16, v3
	s_mov_b64 s[0:1], 0
	s_branch .LBB175_708
.LBB175_707:
	s_mov_b64 s[0:1], -1
                                        ; implicit-def: $vgpr3
.LBB175_708:
	s_andn2_b64 vcc, exec, s[0:1]
	s_cbranch_vccnz .LBB175_710
; %bb.709:
	global_load_ubyte v1, v[1:2], off
	s_movk_i32 s0, 0x7fff
	s_waitcnt vmcnt(0)
	v_cvt_f32_ubyte0_e32 v1, v1
	v_bfe_u32 v2, v1, 16, 1
	v_add3_u32 v1, v1, v2, s0
	v_lshrrev_b32_e32 v3, 16, v1
.LBB175_710:
	v_mov_b32_e32 v4, 0
.LBB175_711:
	s_mov_b64 s[0:1], -1
.LBB175_712:
	s_andn2_b64 vcc, exec, s[0:1]
	s_cbranch_vccnz .LBB175_715
; %bb.713:
	s_waitcnt vmcnt(0)
	v_or_b32_sdwa v1, v4, v3 dst_sel:DWORD dst_unused:UNUSED_PAD src0_sel:DWORD src1_sel:WORD_0
	s_andn2_b64 vcc, exec, s[44:45]
	v_lshlrev_b32_e32 v1, 16, v1
	s_cbranch_vccnz .LBB175_716
; %bb.714:
	v_and_b32_e32 v2, 0xffff0000, v4
	v_cmp_neq_f32_e32 vcc, s76, v1
	v_cmp_neq_f32_e64 s[0:1], s77, v2
	s_or_b64 s[8:9], vcc, s[0:1]
	s_mov_b64 s[0:1], 0
	s_branch .LBB175_717
.LBB175_715:
	s_mov_b64 s[8:9], 0
	s_mov_b64 s[0:1], s[62:63]
	s_branch .LBB175_842
.LBB175_716:
	s_mov_b64 s[0:1], -1
                                        ; implicit-def: $sgpr8_sgpr9
.LBB175_717:
	s_andn2_b64 vcc, exec, s[0:1]
	s_cbranch_vccnz .LBB175_719
; %bb.718:
	v_and_b32_e32 v2, 0xffff0000, v4
	v_cmp_eq_f32_e32 vcc, s76, v1
	v_cmp_eq_f32_e64 s[0:1], s77, v2
	s_and_b64 s[0:1], vcc, s[0:1]
	s_andn2_b64 s[8:9], s[8:9], exec
	s_and_b64 s[0:1], s[0:1], exec
	s_or_b64 s[8:9], s[8:9], s[0:1]
.LBB175_719:
	v_mov_b32_e32 v1, s25
	s_and_b32 s16, s75, 0xff
	v_add_co_u32_e32 v0, vcc, s24, v0
	s_cmp_lt_i32 s16, 11
	v_addc_co_u32_e32 v1, vcc, 0, v1, vcc
	s_cbranch_scc1 .LBB175_726
; %bb.720:
	s_and_b32 s17, 0xffff, s16
	s_cmp_gt_i32 s17, 25
	s_cbranch_scc0 .LBB175_727
; %bb.721:
	s_cmp_gt_i32 s17, 28
	s_cbranch_scc0 .LBB175_728
; %bb.722:
	;; [unrolled: 3-line block ×4, first 2 shown]
	s_mov_b64 s[12:13], 0
	s_mov_b64 s[0:1], -1
	s_cmp_eq_u32 s17, 46
	s_mov_b64 s[10:11], 0
	s_cbranch_scc0 .LBB175_731
; %bb.725:
	v_cndmask_b32_e64 v2, 0, 1.0, s[8:9]
	v_bfe_u32 v3, v2, 16, 1
	s_movk_i32 s0, 0x7fff
	v_add3_u32 v2, v2, v3, s0
	v_lshrrev_b32_e32 v2, 16, v2
	global_store_dword v[0:1], v2, off
	s_mov_b64 s[10:11], -1
	s_mov_b64 s[0:1], 0
	s_branch .LBB175_731
.LBB175_726:
	s_mov_b64 s[12:13], -1
	s_mov_b64 s[10:11], 0
	s_mov_b64 s[0:1], s[62:63]
	s_branch .LBB175_800
.LBB175_727:
	s_mov_b64 s[12:13], -1
	s_mov_b64 s[10:11], 0
	s_mov_b64 s[0:1], s[62:63]
	s_branch .LBB175_758
.LBB175_728:
	s_mov_b64 s[12:13], -1
	s_mov_b64 s[10:11], 0
	s_mov_b64 s[0:1], s[62:63]
	s_branch .LBB175_741
.LBB175_729:
	s_mov_b64 s[12:13], -1
	s_mov_b64 s[10:11], 0
	s_mov_b64 s[0:1], s[62:63]
	s_branch .LBB175_737
.LBB175_730:
	s_mov_b64 s[12:13], -1
	s_mov_b64 s[10:11], 0
	s_mov_b64 s[0:1], s[62:63]
.LBB175_731:
	s_and_b64 vcc, exec, s[12:13]
	s_cbranch_vccz .LBB175_736
; %bb.732:
	s_cmp_eq_u32 s17, 44
	s_mov_b64 s[0:1], -1
	s_cbranch_scc0 .LBB175_736
; %bb.733:
	v_cndmask_b32_e64 v3, 0, 1.0, s[8:9]
	v_lshrrev_b32_e32 v2, 23, v3
	s_movk_i32 s0, 0xff
	v_cmp_ne_u32_e32 vcc, s0, v2
	v_mov_b32_e32 v4, 0xff
	s_and_saveexec_b64 s[10:11], vcc
; %bb.734:
	s_mov_b32 s0, 0x3fffff
	v_and_b32_e32 v4, 0x400000, v3
	v_and_or_b32 v3, v3, s0, v2
	v_cmp_ne_u32_e32 vcc, 0, v4
	v_cmp_ne_u32_e64 s[0:1], 0, v3
	s_and_b64 s[0:1], vcc, s[0:1]
	v_cndmask_b32_e64 v3, 0, 1, s[0:1]
	v_add_u32_e32 v4, v2, v3
; %bb.735:
	s_or_b64 exec, exec, s[10:11]
	s_mov_b64 s[10:11], -1
	s_mov_b64 s[0:1], 0
	global_store_byte v[0:1], v4, off
.LBB175_736:
	s_mov_b64 s[12:13], 0
.LBB175_737:
	s_and_b64 vcc, exec, s[12:13]
	s_cbranch_vccz .LBB175_740
; %bb.738:
	s_cmp_eq_u32 s17, 29
	s_mov_b64 s[0:1], -1
	s_cbranch_scc0 .LBB175_740
; %bb.739:
	s_mov_b32 s0, 0
	v_cndmask_b32_e64 v2, 0, 1, s[8:9]
	v_mov_b32_e32 v3, s0
	global_store_dwordx2 v[0:1], v[2:3], off
	s_mov_b64 s[10:11], -1
	s_mov_b64 s[0:1], 0
.LBB175_740:
	s_mov_b64 s[12:13], 0
.LBB175_741:
	s_and_b64 vcc, exec, s[12:13]
	s_cbranch_vccz .LBB175_757
; %bb.742:
	s_cmp_lt_i32 s17, 27
	s_mov_b64 s[10:11], -1
	s_cbranch_scc1 .LBB175_748
; %bb.743:
	s_cmp_gt_i32 s17, 27
	s_cbranch_scc0 .LBB175_745
; %bb.744:
	v_cndmask_b32_e64 v2, 0, 1, s[8:9]
	s_mov_b64 s[10:11], 0
	global_store_dword v[0:1], v2, off
.LBB175_745:
	s_andn2_b64 vcc, exec, s[10:11]
	s_cbranch_vccnz .LBB175_747
; %bb.746:
	v_cndmask_b32_e64 v2, 0, 1, s[8:9]
	global_store_short v[0:1], v2, off
.LBB175_747:
	s_mov_b64 s[10:11], 0
.LBB175_748:
	s_andn2_b64 vcc, exec, s[10:11]
	s_cbranch_vccnz .LBB175_756
; %bb.749:
	v_cndmask_b32_e64 v3, 0, 1.0, s[8:9]
	s_mov_b32 s10, 0x43800000
	v_cmp_gt_u32_e32 vcc, s10, v3
	v_mov_b32_e32 v4, 0x80
	s_and_saveexec_b64 s[10:11], vcc
	s_cbranch_execz .LBB175_755
; %bb.750:
	s_mov_b32 s12, 0x3bffffff
	v_cmp_lt_u32_e32 vcc, s12, v3
	s_mov_b64 s[12:13], 0
                                        ; implicit-def: $vgpr2
	s_and_saveexec_b64 s[14:15], vcc
	s_xor_b64 s[14:15], exec, s[14:15]
	s_cbranch_execz .LBB175_872
; %bb.751:
	v_bfe_u32 v2, v3, 20, 1
	s_mov_b32 s18, 0x487ffff
	v_add3_u32 v2, v3, v2, s18
	s_mov_b64 s[12:13], exec
	v_lshrrev_b32_e32 v2, 20, v2
                                        ; implicit-def: $vgpr3
	s_andn2_saveexec_b64 s[14:15], s[14:15]
	s_cbranch_execnz .LBB175_873
.LBB175_752:
	s_or_b64 exec, exec, s[14:15]
	v_mov_b32_e32 v4, 0
	s_and_saveexec_b64 s[14:15], s[12:13]
.LBB175_753:
	v_mov_b32_e32 v4, v2
.LBB175_754:
	s_or_b64 exec, exec, s[14:15]
.LBB175_755:
	s_or_b64 exec, exec, s[10:11]
	global_store_byte v[0:1], v4, off
.LBB175_756:
	s_mov_b64 s[10:11], -1
.LBB175_757:
	s_mov_b64 s[12:13], 0
.LBB175_758:
	s_and_b64 vcc, exec, s[12:13]
	s_cbranch_vccz .LBB175_799
; %bb.759:
	s_cmp_gt_i32 s17, 22
	s_mov_b64 s[12:13], -1
	s_cbranch_scc0 .LBB175_791
; %bb.760:
	s_cmp_lt_i32 s17, 24
	s_mov_b64 s[10:11], -1
	s_cbranch_scc1 .LBB175_780
; %bb.761:
	s_cmp_gt_i32 s17, 24
	s_cbranch_scc0 .LBB175_769
; %bb.762:
	v_cndmask_b32_e64 v3, 0, 1.0, s[8:9]
	s_mov_b32 s10, 0x47800000
	v_cmp_gt_u32_e32 vcc, s10, v3
	v_mov_b32_e32 v4, 0x80
	s_and_saveexec_b64 s[10:11], vcc
	s_cbranch_execz .LBB175_768
; %bb.763:
	s_mov_b32 s12, 0x37ffffff
	v_cmp_lt_u32_e32 vcc, s12, v3
	s_mov_b64 s[12:13], 0
                                        ; implicit-def: $vgpr2
	s_and_saveexec_b64 s[14:15], vcc
	s_xor_b64 s[14:15], exec, s[14:15]
	s_cbranch_execz .LBB175_875
; %bb.764:
	v_bfe_u32 v2, v3, 21, 1
	s_mov_b32 s18, 0x88fffff
	v_add3_u32 v2, v3, v2, s18
	s_mov_b64 s[12:13], exec
	v_lshrrev_b32_e32 v2, 21, v2
                                        ; implicit-def: $vgpr3
	s_andn2_saveexec_b64 s[14:15], s[14:15]
	s_cbranch_execnz .LBB175_876
.LBB175_765:
	s_or_b64 exec, exec, s[14:15]
	v_mov_b32_e32 v4, 0
	s_and_saveexec_b64 s[14:15], s[12:13]
.LBB175_766:
	v_mov_b32_e32 v4, v2
.LBB175_767:
	s_or_b64 exec, exec, s[14:15]
.LBB175_768:
	s_or_b64 exec, exec, s[10:11]
	s_mov_b64 s[10:11], 0
	global_store_byte v[0:1], v4, off
.LBB175_769:
	s_and_b64 vcc, exec, s[10:11]
	s_cbranch_vccz .LBB175_779
; %bb.770:
	v_cndmask_b32_e64 v2, 0, 1.0, s[8:9]
	s_mov_b32 s10, 0x43f00000
	v_cmp_gt_u32_e32 vcc, s10, v2
                                        ; implicit-def: $vgpr3
	s_and_saveexec_b64 s[10:11], vcc
	s_xor_b64 s[10:11], exec, s[10:11]
	s_cbranch_execz .LBB175_776
; %bb.771:
	s_mov_b32 s12, 0x3c7fffff
	v_cmp_lt_u32_e32 vcc, s12, v2
                                        ; implicit-def: $vgpr3
	s_and_saveexec_b64 s[12:13], vcc
	s_xor_b64 s[12:13], exec, s[12:13]
; %bb.772:
	v_bfe_u32 v3, v2, 20, 1
	s_mov_b32 s14, 0x407ffff
	v_add3_u32 v2, v2, v3, s14
	v_lshrrev_b32_e32 v3, 20, v2
	v_and_b32_e32 v2, 0xff00000, v2
	s_mov_b32 s14, 0x7f00000
	v_mov_b32_e32 v4, 0x7e
	v_cmp_ne_u32_e32 vcc, s14, v2
	v_cndmask_b32_e32 v3, v4, v3, vcc
                                        ; implicit-def: $vgpr2
; %bb.773:
	s_andn2_saveexec_b64 s[12:13], s[12:13]
; %bb.774:
	v_add_f32_e32 v3, 0x46800000, v2
; %bb.775:
	s_or_b64 exec, exec, s[12:13]
                                        ; implicit-def: $vgpr2
.LBB175_776:
	s_andn2_saveexec_b64 s[10:11], s[10:11]
; %bb.777:
	s_mov_b32 s12, 0x7f800000
	v_mov_b32_e32 v3, 0x7e
	v_mov_b32_e32 v4, 0x7f
	v_cmp_lt_u32_e32 vcc, s12, v2
	v_cndmask_b32_e32 v3, v3, v4, vcc
; %bb.778:
	s_or_b64 exec, exec, s[10:11]
	global_store_byte v[0:1], v3, off
.LBB175_779:
	s_mov_b64 s[10:11], 0
.LBB175_780:
	s_andn2_b64 vcc, exec, s[10:11]
	s_cbranch_vccnz .LBB175_790
; %bb.781:
	v_cndmask_b32_e64 v2, 0, 1.0, s[8:9]
	s_mov_b32 s10, 0x47800000
	v_cmp_gt_u32_e32 vcc, s10, v2
                                        ; implicit-def: $vgpr3
	s_and_saveexec_b64 s[10:11], vcc
	s_xor_b64 s[10:11], exec, s[10:11]
	s_cbranch_execz .LBB175_787
; %bb.782:
	s_mov_b32 s12, 0x387fffff
	v_cmp_lt_u32_e32 vcc, s12, v2
                                        ; implicit-def: $vgpr3
	s_and_saveexec_b64 s[12:13], vcc
	s_xor_b64 s[12:13], exec, s[12:13]
; %bb.783:
	v_bfe_u32 v3, v2, 21, 1
	s_mov_b32 s14, 0x80fffff
	v_add3_u32 v2, v2, v3, s14
	v_lshrrev_b32_e32 v3, 21, v2
                                        ; implicit-def: $vgpr2
; %bb.784:
	s_andn2_saveexec_b64 s[12:13], s[12:13]
; %bb.785:
	v_add_f32_e32 v3, 0x43000000, v2
; %bb.786:
	s_or_b64 exec, exec, s[12:13]
                                        ; implicit-def: $vgpr2
.LBB175_787:
	s_andn2_saveexec_b64 s[10:11], s[10:11]
; %bb.788:
	s_mov_b32 s12, 0x7f800000
	v_mov_b32_e32 v3, 0x7c
	v_mov_b32_e32 v4, 0x7f
	v_cmp_lt_u32_e32 vcc, s12, v2
	v_cndmask_b32_e32 v3, v3, v4, vcc
; %bb.789:
	s_or_b64 exec, exec, s[10:11]
	global_store_byte v[0:1], v3, off
.LBB175_790:
	s_mov_b64 s[12:13], 0
	s_mov_b64 s[10:11], -1
.LBB175_791:
	s_andn2_b64 vcc, exec, s[12:13]
	s_cbranch_vccnz .LBB175_799
; %bb.792:
	s_cmp_gt_i32 s17, 14
	s_mov_b64 s[12:13], -1
	s_cbranch_scc0 .LBB175_796
; %bb.793:
	s_cmp_eq_u32 s17, 15
	s_mov_b64 s[0:1], -1
	s_cbranch_scc0 .LBB175_795
; %bb.794:
	v_cndmask_b32_e64 v2, 0, 1.0, s[8:9]
	v_bfe_u32 v3, v2, 16, 1
	s_movk_i32 s0, 0x7fff
	v_add3_u32 v2, v2, v3, s0
	global_store_short_d16_hi v[0:1], v2, off
	s_mov_b64 s[10:11], -1
	s_mov_b64 s[0:1], 0
.LBB175_795:
	s_mov_b64 s[12:13], 0
.LBB175_796:
	s_and_b64 vcc, exec, s[12:13]
	s_cbranch_vccz .LBB175_799
; %bb.797:
	s_cmp_eq_u32 s17, 11
	s_mov_b64 s[0:1], -1
	s_cbranch_scc0 .LBB175_799
; %bb.798:
	v_cndmask_b32_e64 v2, 0, 1, s[8:9]
	s_mov_b64 s[10:11], -1
	s_mov_b64 s[0:1], 0
	global_store_byte v[0:1], v2, off
.LBB175_799:
	s_mov_b64 s[12:13], 0
.LBB175_800:
	s_and_b64 vcc, exec, s[12:13]
	s_cbranch_vccz .LBB175_839
; %bb.801:
	s_and_b32 s12, 0xffff, s16
	s_cmp_lt_i32 s12, 5
	s_mov_b64 s[10:11], -1
	s_cbranch_scc1 .LBB175_822
; %bb.802:
	s_cmp_lt_i32 s12, 8
	s_cbranch_scc1 .LBB175_812
; %bb.803:
	s_cmp_lt_i32 s12, 9
	s_cbranch_scc1 .LBB175_809
; %bb.804:
	s_cmp_gt_i32 s12, 9
	s_cbranch_scc0 .LBB175_806
; %bb.805:
	v_cndmask_b32_e64 v2, 0, 1, s[8:9]
	v_cvt_f64_u32_e32 v[2:3], v2
	v_mov_b32_e32 v4, 0
	v_mov_b32_e32 v5, v4
	s_mov_b64 s[10:11], 0
	global_store_dwordx4 v[0:1], v[2:5], off
.LBB175_806:
	s_andn2_b64 vcc, exec, s[10:11]
	s_cbranch_vccnz .LBB175_808
; %bb.807:
	v_cndmask_b32_e64 v2, 0, 1.0, s[8:9]
	v_mov_b32_e32 v3, 0
	global_store_dwordx2 v[0:1], v[2:3], off
.LBB175_808:
	s_mov_b64 s[10:11], 0
.LBB175_809:
	s_andn2_b64 vcc, exec, s[10:11]
	s_cbranch_vccnz .LBB175_811
; %bb.810:
	v_cndmask_b32_e64 v2, 0, 1.0, s[8:9]
	v_cvt_f16_f32_e32 v2, v2
	global_store_dword v[0:1], v2, off
.LBB175_811:
	s_mov_b64 s[10:11], 0
.LBB175_812:
	s_andn2_b64 vcc, exec, s[10:11]
	s_cbranch_vccnz .LBB175_821
; %bb.813:
	s_cmp_lt_i32 s12, 6
	s_mov_b64 s[10:11], -1
	s_cbranch_scc1 .LBB175_819
; %bb.814:
	s_cmp_gt_i32 s12, 6
	s_cbranch_scc0 .LBB175_816
; %bb.815:
	v_cndmask_b32_e64 v2, 0, 1, s[8:9]
	v_cvt_f64_u32_e32 v[2:3], v2
	s_mov_b64 s[10:11], 0
	global_store_dwordx2 v[0:1], v[2:3], off
.LBB175_816:
	s_andn2_b64 vcc, exec, s[10:11]
	s_cbranch_vccnz .LBB175_818
; %bb.817:
	v_cndmask_b32_e64 v2, 0, 1.0, s[8:9]
	global_store_dword v[0:1], v2, off
.LBB175_818:
	s_mov_b64 s[10:11], 0
.LBB175_819:
	s_andn2_b64 vcc, exec, s[10:11]
	s_cbranch_vccnz .LBB175_821
; %bb.820:
	v_cndmask_b32_e64 v2, 0, 1.0, s[8:9]
	v_cvt_f16_f32_e32 v2, v2
	global_store_short v[0:1], v2, off
.LBB175_821:
	s_mov_b64 s[10:11], 0
.LBB175_822:
	s_andn2_b64 vcc, exec, s[10:11]
	s_cbranch_vccnz .LBB175_838
; %bb.823:
	s_cmp_lt_i32 s12, 2
	s_mov_b64 s[10:11], -1
	s_cbranch_scc1 .LBB175_833
; %bb.824:
	s_cmp_lt_i32 s12, 3
	s_cbranch_scc1 .LBB175_830
; %bb.825:
	s_cmp_gt_i32 s12, 3
	s_cbranch_scc0 .LBB175_827
; %bb.826:
	s_mov_b32 s10, 0
	v_cndmask_b32_e64 v2, 0, 1, s[8:9]
	v_mov_b32_e32 v3, s10
	s_mov_b64 s[10:11], 0
	global_store_dwordx2 v[0:1], v[2:3], off
.LBB175_827:
	s_andn2_b64 vcc, exec, s[10:11]
	s_cbranch_vccnz .LBB175_829
; %bb.828:
	v_cndmask_b32_e64 v2, 0, 1, s[8:9]
	global_store_dword v[0:1], v2, off
.LBB175_829:
	s_mov_b64 s[10:11], 0
.LBB175_830:
	s_andn2_b64 vcc, exec, s[10:11]
	s_cbranch_vccnz .LBB175_832
; %bb.831:
	v_cndmask_b32_e64 v2, 0, 1, s[8:9]
	global_store_short v[0:1], v2, off
.LBB175_832:
	s_mov_b64 s[10:11], 0
.LBB175_833:
	s_andn2_b64 vcc, exec, s[10:11]
	s_cbranch_vccnz .LBB175_838
; %bb.834:
	s_mov_b64 s[10:11], -1
	s_cmp_gt_i32 s12, 0
	v_cndmask_b32_e64 v2, 0, 1, s[8:9]
	s_cbranch_scc0 .LBB175_836
; %bb.835:
	s_mov_b64 s[10:11], 0
	global_store_byte v[0:1], v2, off
.LBB175_836:
	s_andn2_b64 vcc, exec, s[10:11]
	s_cbranch_vccnz .LBB175_838
; %bb.837:
	global_store_byte v[0:1], v2, off
.LBB175_838:
	s_mov_b64 s[10:11], -1
.LBB175_839:
	s_andn2_b64 vcc, exec, s[10:11]
	s_cbranch_vccnz .LBB175_841
; %bb.840:
	v_add_u32_e32 v8, 0x80, v8
	s_mov_b64 s[8:9], -1
	s_branch .LBB175_843
.LBB175_841:
	s_mov_b64 s[8:9], 0
.LBB175_842:
                                        ; implicit-def: $vgpr8
.LBB175_843:
	s_andn2_b64 s[10:11], s[62:63], exec
	s_and_b64 s[0:1], s[0:1], exec
	s_or_b64 s[70:71], s[10:11], s[0:1]
	s_andn2_b64 s[0:1], s[60:61], exec
	s_and_b64 s[2:3], s[2:3], exec
	s_or_b64 s[68:69], s[0:1], s[2:3]
	s_orn2_b64 s[2:3], s[8:9], exec
.LBB175_844:
	s_or_b64 exec, exec, s[66:67]
	s_mov_b64 s[0:1], 0
	s_mov_b64 s[8:9], 0
	s_mov_b64 s[10:11], 0
                                        ; implicit-def: $vgpr1_vgpr2
                                        ; implicit-def: $vgpr0
                                        ; implicit-def: $vgpr4
                                        ; implicit-def: $vgpr3
	s_and_saveexec_b64 s[66:67], s[2:3]
	s_cbranch_execz .LBB175_946
; %bb.845:
	v_cmp_gt_i32_e32 vcc, s72, v8
	s_mov_b64 s[2:3], 0
	s_mov_b64 s[12:13], s[68:69]
                                        ; implicit-def: $vgpr1_vgpr2
                                        ; implicit-def: $vgpr0
                                        ; implicit-def: $vgpr4
                                        ; implicit-def: $vgpr3
	s_and_saveexec_b64 s[72:73], vcc
	s_cbranch_execz .LBB175_945
; %bb.846:
	s_andn2_b64 vcc, exec, s[40:41]
	s_cbranch_vccnz .LBB175_851
; %bb.847:
	s_andn2_b64 vcc, exec, s[52:53]
	s_cbranch_vccnz .LBB175_852
; %bb.848:
	s_add_i32 s80, s79, 1
	s_cmp_eq_u32 s74, 2
	s_cbranch_scc1 .LBB175_853
; %bb.849:
	s_and_b32 s79, s80, 28
	v_mov_b32_e32 v2, 0
	s_mov_b32 s81, 0
	s_mov_b64 s[52:53], s[34:35]
	v_mov_b32_e32 v0, 0
	v_mov_b32_e32 v1, v8
.LBB175_850:                            ; =>This Inner Loop Header: Depth=1
	s_load_dwordx8 s[16:23], s[52:53], 0x4
	s_load_dwordx4 s[0:3], s[52:53], 0x24
	s_load_dwordx8 s[8:15], s[50:51], 0x0
	s_add_u32 s52, s52, 48
	s_addc_u32 s53, s53, 0
	s_waitcnt vmcnt(0) lgkmcnt(0)
	v_mul_hi_u32 v3, s17, v1
	s_add_i32 s81, s81, 4
	s_add_u32 s50, s50, 32
	s_addc_u32 s51, s51, 0
	v_add_u32_e32 v3, v1, v3
	v_lshrrev_b32_e32 v3, s18, v3
	v_mul_lo_u32 v4, v3, s16
	v_mul_hi_u32 v5, s20, v3
	s_cmp_eq_u32 s79, s81
	v_sub_u32_e32 v1, v1, v4
	v_add_u32_e32 v4, v3, v5
	v_mul_lo_u32 v5, v1, s8
	v_mul_lo_u32 v6, v1, s9
	v_lshrrev_b32_e32 v1, s21, v4
	v_mul_lo_u32 v4, v1, s19
	v_mul_hi_u32 v7, s23, v1
	v_sub_u32_e32 v3, v3, v4
	v_add_u32_e32 v4, v1, v7
	v_lshrrev_b32_e32 v4, s0, v4
	v_mul_hi_u32 v9, s2, v4
	v_mul_lo_u32 v10, v4, s22
	v_mul_lo_u32 v7, v3, s10
	;; [unrolled: 1-line block ×3, first 2 shown]
	v_sub_u32_e32 v10, v1, v10
	v_add_u32_e32 v1, v4, v9
	v_lshrrev_b32_e32 v1, s3, v1
	v_mul_lo_u32 v9, v1, s1
	v_mul_lo_u32 v11, v10, s12
	;; [unrolled: 1-line block ×3, first 2 shown]
	v_add3_u32 v0, v5, v0, v7
	v_sub_u32_e32 v4, v4, v9
	v_mul_lo_u32 v9, v4, s14
	v_mul_lo_u32 v4, v4, s15
	v_add3_u32 v2, v6, v2, v3
	v_add3_u32 v0, v11, v0, v9
	;; [unrolled: 1-line block ×3, first 2 shown]
	s_cbranch_scc0 .LBB175_850
	s_branch .LBB175_854
.LBB175_851:
	s_mov_b64 s[0:1], -1
                                        ; implicit-def: $vgpr0
                                        ; implicit-def: $vgpr2
	s_branch .LBB175_858
.LBB175_852:
	v_mov_b32_e32 v0, 0
	v_mov_b32_e32 v2, 0
	s_branch .LBB175_857
.LBB175_853:
	s_mov_b32 s79, 0
	v_mov_b32_e32 v0, 0
	v_mov_b32_e32 v2, 0
	;; [unrolled: 1-line block ×3, first 2 shown]
.LBB175_854:
	s_and_b32 s8, s80, 3
	s_cmp_eq_u32 s8, 0
	s_cbranch_scc1 .LBB175_857
; %bb.855:
	s_lshl_b32 s0, s79, 3
	s_add_u32 s0, s34, s0
	s_addc_u32 s1, s35, 0
	s_add_u32 s0, s0, 0xc4
	s_addc_u32 s1, s1, 0
	s_mul_i32 s2, s79, 12
	s_add_u32 s2, s34, s2
	s_addc_u32 s3, s35, 0
.LBB175_856:                            ; =>This Inner Loop Header: Depth=1
	s_load_dwordx2 s[10:11], s[2:3], 0x4
	s_load_dword s9, s[2:3], 0xc
	s_load_dwordx2 s[12:13], s[0:1], 0x0
	s_add_u32 s2, s2, 12
	s_addc_u32 s3, s3, 0
	s_waitcnt vmcnt(0) lgkmcnt(0)
	v_mul_hi_u32 v3, s11, v1
	s_add_u32 s0, s0, 8
	s_addc_u32 s1, s1, 0
	s_add_i32 s8, s8, -1
	v_add_u32_e32 v3, v1, v3
	v_lshrrev_b32_e32 v4, s9, v3
	v_mul_lo_u32 v3, v4, s10
	s_cmp_lg_u32 s8, 0
	v_sub_u32_e32 v3, v1, v3
	v_mad_u64_u32 v[0:1], s[10:11], v3, s12, v[0:1]
	v_mad_u64_u32 v[2:3], s[10:11], v3, s13, v[2:3]
	v_mov_b32_e32 v1, v4
	s_cbranch_scc1 .LBB175_856
.LBB175_857:
	s_mov_b64 s[0:1], 0
.LBB175_858:
	s_andn2_b64 vcc, exec, s[0:1]
	s_cbranch_vccnz .LBB175_861
; %bb.859:
	v_mul_hi_u32 v0, s29, v8
	s_andn2_b64 vcc, exec, s[48:49]
	v_add_u32_e32 v0, v8, v0
	v_lshrrev_b32_e32 v1, s30, v0
	v_mul_lo_u32 v0, v1, s28
	v_sub_u32_e32 v2, v8, v0
	v_mul_lo_u32 v0, v2, s36
	v_mul_lo_u32 v2, v2, s37
	s_cbranch_vccnz .LBB175_861
; %bb.860:
	s_waitcnt vmcnt(0)
	v_mul_hi_u32 v3, s46, v1
	v_add_u32_e32 v3, v1, v3
	v_lshrrev_b32_e32 v3, s47, v3
	v_mul_lo_u32 v3, v3, s31
	v_sub_u32_e32 v3, v1, v3
	v_mad_u64_u32 v[0:1], s[0:1], v3, s38, v[0:1]
	v_mad_u64_u32 v[2:3], s[0:1], v3, s39, v[2:3]
.LBB175_861:
	s_waitcnt vmcnt(0)
	v_mov_b32_e32 v3, s27
	s_and_b32 s14, 0xffff, s78
	v_add_co_u32_e32 v1, vcc, s26, v2
	s_cmp_lt_i32 s14, 11
	v_addc_co_u32_e32 v2, vcc, 0, v3, vcc
	s_cbranch_scc1 .LBB175_868
; %bb.862:
	s_cmp_gt_i32 s14, 25
	s_mov_b64 s[2:3], 0
	s_cbranch_scc0 .LBB175_869
; %bb.863:
	s_cmp_gt_i32 s14, 28
	s_cbranch_scc0 .LBB175_870
; %bb.864:
	s_cmp_gt_i32 s14, 43
	;; [unrolled: 3-line block ×3, first 2 shown]
	s_cbranch_scc0 .LBB175_874
; %bb.866:
	s_cmp_eq_u32 s14, 46
	s_mov_b64 s[10:11], 0
	s_cbranch_scc0 .LBB175_877
; %bb.867:
	global_load_dword v3, v[1:2], off
	s_mov_b64 s[0:1], 0
	s_mov_b64 s[8:9], -1
	s_waitcnt vmcnt(0)
	v_and_b32_e32 v4, 0xffff0000, v3
	s_branch .LBB175_878
.LBB175_868:
	s_mov_b64 s[12:13], -1
	s_mov_b64 s[8:9], 0
	s_mov_b64 s[2:3], 0
	;; [unrolled: 1-line block ×3, first 2 shown]
                                        ; implicit-def: $vgpr4
                                        ; implicit-def: $vgpr3
	s_branch .LBB175_944
.LBB175_869:
	s_mov_b64 s[10:11], -1
	s_mov_b64 s[8:9], 0
	s_mov_b64 s[0:1], s[68:69]
                                        ; implicit-def: $vgpr4
                                        ; implicit-def: $vgpr3
	s_branch .LBB175_909
.LBB175_870:
	s_mov_b64 s[10:11], -1
	s_mov_b64 s[8:9], 0
	s_mov_b64 s[0:1], s[68:69]
                                        ; implicit-def: $vgpr4
                                        ; implicit-def: $vgpr3
	s_branch .LBB175_890
.LBB175_871:
	s_mov_b64 s[10:11], -1
	s_mov_b64 s[8:9], 0
	s_mov_b64 s[0:1], s[68:69]
                                        ; implicit-def: $vgpr4
                                        ; implicit-def: $vgpr3
	s_branch .LBB175_884
.LBB175_872:
	s_andn2_saveexec_b64 s[14:15], s[14:15]
	s_cbranch_execz .LBB175_752
.LBB175_873:
	v_add_f32_e32 v2, 0x46000000, v3
	v_and_b32_e32 v2, 0xff, v2
	v_cmp_ne_u32_e32 vcc, 0, v2
	s_andn2_b64 s[12:13], s[12:13], exec
	s_and_b64 s[18:19], vcc, exec
	s_or_b64 s[12:13], s[12:13], s[18:19]
	s_or_b64 exec, exec, s[14:15]
	v_mov_b32_e32 v4, 0
	s_and_saveexec_b64 s[14:15], s[12:13]
	s_cbranch_execnz .LBB175_753
	s_branch .LBB175_754
.LBB175_874:
	s_mov_b64 s[10:11], -1
	s_mov_b64 s[8:9], 0
	s_mov_b64 s[0:1], s[68:69]
                                        ; implicit-def: $vgpr4
                                        ; implicit-def: $vgpr3
	s_branch .LBB175_878
.LBB175_875:
	s_andn2_saveexec_b64 s[14:15], s[14:15]
	s_cbranch_execz .LBB175_765
.LBB175_876:
	v_add_f32_e32 v2, 0x42800000, v3
	v_and_b32_e32 v2, 0xff, v2
	v_cmp_ne_u32_e32 vcc, 0, v2
	s_andn2_b64 s[12:13], s[12:13], exec
	s_and_b64 s[18:19], vcc, exec
	s_or_b64 s[12:13], s[12:13], s[18:19]
	s_or_b64 exec, exec, s[14:15]
	v_mov_b32_e32 v4, 0
	s_and_saveexec_b64 s[14:15], s[12:13]
	s_cbranch_execnz .LBB175_766
	s_branch .LBB175_767
.LBB175_877:
	s_mov_b64 s[0:1], -1
                                        ; implicit-def: $vgpr4
                                        ; implicit-def: $vgpr3
	s_mov_b64 s[8:9], 0
.LBB175_878:
	s_and_b64 vcc, exec, s[10:11]
	s_cbranch_vccz .LBB175_883
; %bb.879:
	s_cmp_eq_u32 s14, 44
	s_cbranch_scc0 .LBB175_881
; %bb.880:
	global_load_ubyte v3, v[1:2], off
	s_movk_i32 s8, 0xff
	v_mov_b32_e32 v4, 0x7f800001
	v_mov_b32_e32 v5, 0x400000
	;; [unrolled: 1-line block ×3, first 2 shown]
	s_mov_b64 s[0:1], 0
	s_waitcnt vmcnt(0)
	v_lshlrev_b32_e32 v7, 23, v3
	v_cmp_ne_u32_e32 vcc, s8, v3
	v_cndmask_b32_e32 v4, v4, v7, vcc
	v_cmp_ne_u32_e32 vcc, 0, v3
	v_cndmask_b32_e32 v3, v5, v4, vcc
	v_add_u32_e32 v4, 0x7fff, v3
	v_cmp_o_f32_e32 vcc, v3, v3
	v_cndmask_b32_sdwa v3, v6, v4, vcc dst_sel:DWORD dst_unused:UNUSED_PAD src0_sel:DWORD src1_sel:WORD_1
	s_mov_b64 s[8:9], -1
	s_branch .LBB175_882
.LBB175_881:
	s_mov_b64 s[0:1], -1
                                        ; implicit-def: $vgpr3
.LBB175_882:
	v_mov_b32_e32 v4, 0
.LBB175_883:
	s_mov_b64 s[10:11], 0
.LBB175_884:
	s_and_b64 vcc, exec, s[10:11]
	s_cbranch_vccz .LBB175_889
; %bb.885:
	s_cmp_eq_u32 s14, 29
	s_cbranch_scc0 .LBB175_887
; %bb.886:
	global_load_dwordx2 v[3:4], v[1:2], off
	s_movk_i32 s8, 0x7fff
	s_mov_b64 s[0:1], 0
	s_waitcnt vmcnt(0)
	v_ffbh_u32_e32 v5, v4
	v_min_u32_e32 v5, 32, v5
	v_lshlrev_b64 v[3:4], v5, v[3:4]
	v_min_u32_e32 v3, 1, v3
	v_or_b32_e32 v3, v4, v3
	v_cvt_f32_u32_e32 v3, v3
	v_sub_u32_e32 v4, 32, v5
	v_ldexp_f32 v3, v3, v4
	v_bfe_u32 v4, v3, 16, 1
	v_add3_u32 v3, v3, v4, s8
	v_lshrrev_b32_e32 v3, 16, v3
	s_mov_b64 s[8:9], -1
	s_branch .LBB175_888
.LBB175_887:
	s_mov_b64 s[0:1], -1
                                        ; implicit-def: $vgpr3
.LBB175_888:
	v_mov_b32_e32 v4, 0
.LBB175_889:
	s_mov_b64 s[10:11], 0
.LBB175_890:
	s_and_b64 vcc, exec, s[10:11]
	s_cbranch_vccz .LBB175_908
; %bb.891:
	s_cmp_lt_i32 s14, 27
	s_cbranch_scc1 .LBB175_894
; %bb.892:
	s_cmp_gt_i32 s14, 27
	s_cbranch_scc0 .LBB175_895
; %bb.893:
	global_load_dword v3, v[1:2], off
	s_movk_i32 s8, 0x7fff
	s_waitcnt vmcnt(0)
	v_cvt_f32_u32_e32 v3, v3
	v_bfe_u32 v4, v3, 16, 1
	v_add3_u32 v3, v3, v4, s8
	v_lshrrev_b32_e32 v3, 16, v3
	s_mov_b64 s[8:9], 0
	s_branch .LBB175_896
.LBB175_894:
	s_mov_b64 s[8:9], -1
                                        ; implicit-def: $vgpr3
	s_branch .LBB175_899
.LBB175_895:
	s_mov_b64 s[8:9], -1
                                        ; implicit-def: $vgpr3
.LBB175_896:
	s_andn2_b64 vcc, exec, s[8:9]
	s_cbranch_vccnz .LBB175_898
; %bb.897:
	global_load_ushort v3, v[1:2], off
	s_movk_i32 s8, 0x7fff
	s_waitcnt vmcnt(0)
	v_cvt_f32_u32_e32 v3, v3
	v_bfe_u32 v4, v3, 16, 1
	v_add3_u32 v3, v3, v4, s8
	v_lshrrev_b32_e32 v3, 16, v3
.LBB175_898:
	s_mov_b64 s[8:9], 0
.LBB175_899:
	s_andn2_b64 vcc, exec, s[8:9]
	s_cbranch_vccnz .LBB175_907
; %bb.900:
	global_load_ubyte v3, v[1:2], off
	s_movk_i32 s8, 0x7f
	s_waitcnt vmcnt(0)
	v_cmp_lt_i16_e32 vcc, s8, v3
	s_mov_b64 s[8:9], 0
	s_and_saveexec_b64 s[10:11], vcc
	s_xor_b64 s[10:11], exec, s[10:11]
	s_cbranch_execz .LBB175_921
; %bb.901:
	s_movk_i32 s8, 0x80
	v_cmp_eq_u16_e32 vcc, s8, v3
	s_mov_b64 s[8:9], -1
	s_and_saveexec_b64 s[12:13], vcc
; %bb.902:
	s_xor_b64 s[8:9], exec, -1
; %bb.903:
	s_or_b64 exec, exec, s[12:13]
	s_and_b64 s[8:9], s[8:9], exec
	s_or_saveexec_b64 s[10:11], s[10:11]
	v_mov_b32_e32 v4, 0x7f800001
	s_xor_b64 exec, exec, s[10:11]
	s_cbranch_execnz .LBB175_922
.LBB175_904:
	s_or_b64 exec, exec, s[10:11]
	s_and_saveexec_b64 s[10:11], s[8:9]
	s_cbranch_execz .LBB175_906
.LBB175_905:
	v_lshlrev_b32_e32 v4, 24, v3
	v_and_b32_e32 v3, 0xffff, v3
	v_and_b32_e32 v5, 7, v3
	v_ffbh_u32_e32 v7, v5
	v_min_u32_e32 v7, 32, v7
	v_subrev_u32_e32 v8, 28, v7
	v_bfe_u32 v6, v3, 3, 4
	v_lshlrev_b32_e32 v3, v8, v3
	v_sub_u32_e32 v7, 29, v7
	v_and_b32_e32 v3, 7, v3
	v_cmp_eq_u32_e32 vcc, 0, v6
	v_cndmask_b32_e32 v6, v6, v7, vcc
	v_cndmask_b32_e32 v3, v5, v3, vcc
	v_mov_b32_e32 v5, 0x3b800000
	v_lshlrev_b32_e32 v3, 20, v3
	v_and_b32_e32 v4, 0x80000000, v4
	v_lshl_add_u32 v5, v6, 23, v5
	v_or3_b32 v4, v4, v5, v3
.LBB175_906:
	s_or_b64 exec, exec, s[10:11]
	v_bfe_u32 v3, v4, 16, 1
	s_movk_i32 s8, 0x7fff
	v_add3_u32 v3, v4, v3, s8
	v_cmp_o_f32_e32 vcc, v4, v4
	v_mov_b32_e32 v4, 0x7fc0
	v_cndmask_b32_sdwa v3, v4, v3, vcc dst_sel:DWORD dst_unused:UNUSED_PAD src0_sel:DWORD src1_sel:WORD_1
.LBB175_907:
	s_mov_b64 s[8:9], -1
	v_mov_b32_e32 v4, 0
.LBB175_908:
	s_mov_b64 s[10:11], 0
.LBB175_909:
	s_and_b64 vcc, exec, s[10:11]
	s_cbranch_vccz .LBB175_943
; %bb.910:
	s_cmp_gt_i32 s14, 22
	s_cbranch_scc0 .LBB175_920
; %bb.911:
	s_cmp_lt_i32 s14, 24
	s_cbranch_scc1 .LBB175_923
; %bb.912:
	s_cmp_gt_i32 s14, 24
	s_cbranch_scc0 .LBB175_924
; %bb.913:
	global_load_ubyte v3, v[1:2], off
	s_movk_i32 s2, 0x7f
	s_waitcnt vmcnt(0)
	v_cmp_lt_i16_e32 vcc, s2, v3
	s_mov_b64 s[2:3], 0
	s_and_saveexec_b64 s[8:9], vcc
	s_xor_b64 s[8:9], exec, s[8:9]
	s_cbranch_execz .LBB175_936
; %bb.914:
	s_movk_i32 s2, 0x80
	v_cmp_eq_u16_e32 vcc, s2, v3
	s_mov_b64 s[2:3], -1
	s_and_saveexec_b64 s[10:11], vcc
; %bb.915:
	s_xor_b64 s[2:3], exec, -1
; %bb.916:
	s_or_b64 exec, exec, s[10:11]
	s_and_b64 s[2:3], s[2:3], exec
	s_or_saveexec_b64 s[8:9], s[8:9]
	v_mov_b32_e32 v4, 0x7f800001
	s_xor_b64 exec, exec, s[8:9]
	s_cbranch_execnz .LBB175_937
.LBB175_917:
	s_or_b64 exec, exec, s[8:9]
	s_and_saveexec_b64 s[8:9], s[2:3]
	s_cbranch_execz .LBB175_919
.LBB175_918:
	v_lshlrev_b32_e32 v4, 24, v3
	v_and_b32_e32 v3, 0xffff, v3
	v_and_b32_e32 v5, 3, v3
	v_ffbh_u32_e32 v7, v5
	v_min_u32_e32 v7, 32, v7
	v_subrev_u32_e32 v8, 29, v7
	v_bfe_u32 v6, v3, 2, 5
	v_lshlrev_b32_e32 v3, v8, v3
	v_sub_u32_e32 v7, 30, v7
	v_and_b32_e32 v3, 3, v3
	v_cmp_eq_u32_e32 vcc, 0, v6
	v_cndmask_b32_e32 v6, v6, v7, vcc
	v_cndmask_b32_e32 v3, v5, v3, vcc
	v_mov_b32_e32 v5, 0x37800000
	v_lshlrev_b32_e32 v3, 21, v3
	v_and_b32_e32 v4, 0x80000000, v4
	v_lshl_add_u32 v5, v6, 23, v5
	v_or3_b32 v4, v4, v5, v3
.LBB175_919:
	s_or_b64 exec, exec, s[8:9]
	v_bfe_u32 v3, v4, 16, 1
	s_movk_i32 s2, 0x7fff
	v_add3_u32 v3, v4, v3, s2
	v_cmp_o_f32_e32 vcc, v4, v4
	v_mov_b32_e32 v4, 0x7fc0
	v_cndmask_b32_sdwa v3, v4, v3, vcc dst_sel:DWORD dst_unused:UNUSED_PAD src0_sel:DWORD src1_sel:WORD_1
	s_mov_b64 s[2:3], 0
	s_branch .LBB175_925
.LBB175_920:
	s_mov_b64 s[2:3], -1
                                        ; implicit-def: $vgpr3
	s_branch .LBB175_931
.LBB175_921:
	s_or_saveexec_b64 s[10:11], s[10:11]
	v_mov_b32_e32 v4, 0x7f800001
	s_xor_b64 exec, exec, s[10:11]
	s_cbranch_execz .LBB175_904
.LBB175_922:
	v_cmp_ne_u16_e32 vcc, 0, v3
	s_andn2_b64 s[8:9], s[8:9], exec
	s_and_b64 s[12:13], vcc, exec
	v_mov_b32_e32 v4, 0
	s_or_b64 s[8:9], s[8:9], s[12:13]
	s_or_b64 exec, exec, s[10:11]
	s_and_saveexec_b64 s[10:11], s[8:9]
	s_cbranch_execnz .LBB175_905
	s_branch .LBB175_906
.LBB175_923:
	s_mov_b64 s[2:3], -1
                                        ; implicit-def: $vgpr3
	s_branch .LBB175_928
.LBB175_924:
	s_mov_b64 s[2:3], -1
                                        ; implicit-def: $vgpr3
.LBB175_925:
	s_and_b64 vcc, exec, s[2:3]
	s_cbranch_vccz .LBB175_927
; %bb.926:
	global_load_ubyte v3, v[1:2], off
	s_mov_b32 s2, 0x7f800000
	s_brev_b32 s3, 1
	s_movk_i32 s8, 0x7fff
	s_waitcnt vmcnt(0)
	v_lshlrev_b32_e32 v3, 24, v3
	v_and_b32_e32 v4, 0x7f000000, v3
	v_ffbh_u32_e32 v5, v4
	v_min_u32_e32 v5, 32, v5
	v_sub_u32_e64 v5, v5, 4 clamp
	v_lshlrev_b32_e32 v7, v5, v4
	v_lshlrev_b32_e32 v5, 23, v5
	v_lshrrev_b32_e32 v7, 4, v7
	v_add_u32_e32 v6, 0x1000000, v4
	v_sub_u32_e32 v5, v7, v5
	v_ashrrev_i32_e32 v6, 8, v6
	v_add_u32_e32 v5, 0x3c000000, v5
	v_and_or_b32 v5, v6, s2, v5
	v_cmp_ne_u32_e32 vcc, 0, v4
	v_cndmask_b32_e32 v4, 0, v5, vcc
	v_and_or_b32 v3, v3, s3, v4
	v_bfe_u32 v4, v4, 16, 1
	v_add3_u32 v4, v3, v4, s8
	v_cmp_o_f32_e32 vcc, v3, v3
	v_mov_b32_e32 v3, 0x7fc0
	v_cndmask_b32_sdwa v3, v3, v4, vcc dst_sel:DWORD dst_unused:UNUSED_PAD src0_sel:DWORD src1_sel:WORD_1
.LBB175_927:
	s_mov_b64 s[2:3], 0
.LBB175_928:
	s_andn2_b64 vcc, exec, s[2:3]
	s_cbranch_vccnz .LBB175_930
; %bb.929:
	global_load_ubyte v3, v[1:2], off
	s_movk_i32 s2, 0x7f00
	s_brev_b32 s3, 16
	s_brev_b32 s8, 1
	s_movk_i32 s9, 0x7fff
	s_waitcnt vmcnt(0)
	v_lshlrev_b16_e32 v4, 8, v3
	v_lshlrev_b32_e32 v3, 25, v3
	v_lshrrev_b32_e32 v5, 4, v3
	v_and_or_b32 v6, v4, s2, 0.5
	v_or_b32_e32 v5, 0x70000000, v5
	v_add_f32_e32 v6, -0.5, v6
	v_mul_f32_e32 v5, 0x7800000, v5
	v_cmp_gt_u32_e32 vcc, s3, v3
	v_bfe_i32 v4, v4, 0, 16
	v_cndmask_b32_e32 v3, v5, v6, vcc
	v_and_or_b32 v4, v4, s8, v3
	v_bfe_u32 v3, v3, 16, 1
	v_add3_u32 v3, v4, v3, s9
	v_cmp_o_f32_e32 vcc, v4, v4
	v_mov_b32_e32 v4, 0x7fc0
	v_cndmask_b32_sdwa v3, v4, v3, vcc dst_sel:DWORD dst_unused:UNUSED_PAD src0_sel:DWORD src1_sel:WORD_1
.LBB175_930:
	s_mov_b64 s[2:3], 0
	s_mov_b64 s[8:9], -1
.LBB175_931:
	s_andn2_b64 vcc, exec, s[2:3]
	s_mov_b64 s[2:3], 0
	s_cbranch_vccnz .LBB175_942
; %bb.932:
	s_cmp_gt_i32 s14, 14
	s_cbranch_scc0 .LBB175_935
; %bb.933:
	s_cmp_eq_u32 s14, 15
	s_cbranch_scc0 .LBB175_938
; %bb.934:
	global_load_ushort v3, v[1:2], off
	s_mov_b64 s[0:1], 0
	s_mov_b64 s[8:9], -1
	s_branch .LBB175_939
.LBB175_935:
	s_mov_b64 s[10:11], -1
                                        ; implicit-def: $vgpr3
	s_branch .LBB175_940
.LBB175_936:
	s_or_saveexec_b64 s[8:9], s[8:9]
	v_mov_b32_e32 v4, 0x7f800001
	s_xor_b64 exec, exec, s[8:9]
	s_cbranch_execz .LBB175_917
.LBB175_937:
	v_cmp_ne_u16_e32 vcc, 0, v3
	s_andn2_b64 s[2:3], s[2:3], exec
	s_and_b64 s[10:11], vcc, exec
	v_mov_b32_e32 v4, 0
	s_or_b64 s[2:3], s[2:3], s[10:11]
	s_or_b64 exec, exec, s[8:9]
	s_and_saveexec_b64 s[8:9], s[2:3]
	s_cbranch_execnz .LBB175_918
	s_branch .LBB175_919
.LBB175_938:
	s_mov_b64 s[0:1], -1
                                        ; implicit-def: $vgpr3
.LBB175_939:
	s_mov_b64 s[10:11], 0
.LBB175_940:
	s_and_b64 vcc, exec, s[10:11]
	s_cbranch_vccz .LBB175_942
; %bb.941:
	s_cmp_lg_u32 s14, 11
	s_cselect_b64 s[10:11], -1, 0
	s_andn2_b64 s[0:1], s[0:1], exec
	s_and_b64 s[10:11], s[10:11], exec
	s_mov_b64 s[2:3], -1
	s_or_b64 s[0:1], s[0:1], s[10:11]
.LBB175_942:
	v_mov_b32_e32 v4, 0
.LBB175_943:
	s_mov_b64 s[12:13], 0
.LBB175_944:
	s_and_b64 s[10:11], s[8:9], exec
	s_and_b64 s[8:9], s[12:13], exec
	s_andn2_b64 s[12:13], s[68:69], exec
	s_and_b64 s[0:1], s[0:1], exec
	s_and_b64 s[2:3], s[2:3], exec
	s_or_b64 s[12:13], s[12:13], s[0:1]
.LBB175_945:
	s_or_b64 exec, exec, s[72:73]
	s_and_b64 s[0:1], s[2:3], exec
	s_andn2_b64 s[2:3], s[68:69], exec
	s_and_b64 s[12:13], s[12:13], exec
	s_and_b64 s[10:11], s[10:11], exec
	s_and_b64 s[8:9], s[8:9], exec
	s_or_b64 s[68:69], s[2:3], s[12:13]
.LBB175_946:
	s_or_b64 exec, exec, s[66:67]
	s_andn2_b64 s[2:3], s[62:63], exec
	s_and_b64 s[12:13], s[70:71], exec
	s_or_b64 s[62:63], s[2:3], s[12:13]
	s_and_b64 s[2:3], s[0:1], exec
	s_andn2_b64 s[0:1], s[60:61], exec
	s_and_b64 s[12:13], s[68:69], exec
	s_and_b64 s[10:11], s[10:11], exec
	;; [unrolled: 1-line block ×3, first 2 shown]
	s_or_b64 s[60:61], s[0:1], s[12:13]
.LBB175_947:
	s_or_b64 exec, exec, s[64:65]
	s_andn2_b64 s[0:1], s[54:55], exec
	s_and_b64 s[12:13], s[62:63], exec
	s_or_b64 s[54:55], s[0:1], s[12:13]
	s_and_b64 s[0:1], s[10:11], exec
	s_and_b64 s[10:11], s[8:9], exec
	;; [unrolled: 1-line block ×3, first 2 shown]
	s_andn2_b64 s[2:3], s[56:57], exec
	s_and_b64 s[8:9], s[60:61], exec
	s_or_b64 s[56:57], s[2:3], s[8:9]
	s_or_b64 exec, exec, s[58:59]
	s_mov_b64 s[2:3], 0
	s_and_saveexec_b64 s[8:9], s[56:57]
	s_cbranch_execz .LBB175_282
.LBB175_948:
	s_mov_b64 s[2:3], exec
	s_andn2_b64 s[62:63], s[62:63], exec
	s_trap 2
	s_or_b64 exec, exec, s[8:9]
	s_and_saveexec_b64 s[8:9], s[62:63]
	s_xor_b64 s[8:9], exec, s[8:9]
	s_cbranch_execnz .LBB175_283
.LBB175_949:
	s_or_b64 exec, exec, s[8:9]
	s_and_saveexec_b64 s[8:9], s[10:11]
	s_cbranch_execz .LBB175_997
.LBB175_950:
	s_sext_i32_i16 s10, s78
	s_cmp_lt_i32 s10, 5
	s_cbranch_scc1 .LBB175_955
; %bb.951:
	s_cmp_lt_i32 s10, 8
	s_cbranch_scc1 .LBB175_956
; %bb.952:
	;; [unrolled: 3-line block ×3, first 2 shown]
	s_cmp_gt_i32 s10, 9
	s_cbranch_scc0 .LBB175_958
; %bb.954:
	global_load_dwordx4 v[3:6], v[1:2], off
	s_movk_i32 s10, 0x7fff
	s_waitcnt vmcnt(0)
	v_cvt_f32_f64_e32 v3, v[3:4]
	v_cvt_f32_f64_e32 v4, v[5:6]
	v_mov_b32_e32 v5, 0x7fc0
	v_mov_b32_e32 v6, 0x7fc00000
	v_bfe_u32 v7, v3, 16, 1
	v_bfe_u32 v8, v4, 16, 1
	v_cmp_o_f32_e32 vcc, v3, v3
	v_add3_u32 v3, v3, v7, s10
	v_add3_u32 v7, v4, v8, s10
	v_cndmask_b32_sdwa v3, v5, v3, vcc dst_sel:DWORD dst_unused:UNUSED_PAD src0_sel:DWORD src1_sel:WORD_1
	v_and_b32_e32 v5, 0xffff0000, v7
	v_cmp_o_f32_e32 vcc, v4, v4
	v_cndmask_b32_e32 v4, v6, v5, vcc
	s_mov_b64 s[10:11], 0
	s_branch .LBB175_959
.LBB175_955:
                                        ; implicit-def: $vgpr4
                                        ; implicit-def: $vgpr3
	s_branch .LBB175_977
.LBB175_956:
                                        ; implicit-def: $vgpr4
                                        ; implicit-def: $vgpr3
	s_branch .LBB175_965
.LBB175_957:
	s_mov_b64 s[10:11], -1
                                        ; implicit-def: $vgpr4
                                        ; implicit-def: $vgpr3
	s_branch .LBB175_962
.LBB175_958:
	s_mov_b64 s[10:11], -1
                                        ; implicit-def: $vgpr4
                                        ; implicit-def: $vgpr3
.LBB175_959:
	s_andn2_b64 vcc, exec, s[10:11]
	s_cbranch_vccnz .LBB175_961
; %bb.960:
	global_load_dwordx2 v[3:4], v[1:2], off
	s_movk_i32 s10, 0x7fff
	v_mov_b32_e32 v5, 0x7fc0
	v_mov_b32_e32 v6, 0x7fc00000
	s_waitcnt vmcnt(0)
	v_bfe_u32 v7, v3, 16, 1
	v_bfe_u32 v8, v4, 16, 1
	v_cmp_o_f32_e32 vcc, v3, v3
	v_add3_u32 v3, v3, v7, s10
	v_add3_u32 v7, v4, v8, s10
	v_cndmask_b32_sdwa v3, v5, v3, vcc dst_sel:DWORD dst_unused:UNUSED_PAD src0_sel:DWORD src1_sel:WORD_1
	v_and_b32_e32 v5, 0xffff0000, v7
	v_cmp_o_f32_e32 vcc, v4, v4
	v_cndmask_b32_e32 v4, v6, v5, vcc
.LBB175_961:
	s_mov_b64 s[10:11], 0
.LBB175_962:
	s_andn2_b64 vcc, exec, s[10:11]
	s_cbranch_vccnz .LBB175_964
; %bb.963:
	global_load_dword v4, v[1:2], off
	s_movk_i32 s10, 0x7fff
	s_waitcnt vmcnt(1)
	v_mov_b32_e32 v3, 0x7fc0
	v_mov_b32_e32 v7, 0x7fc00000
	s_waitcnt vmcnt(0)
	v_cvt_f32_f16_e32 v5, v4
	v_cvt_f32_f16_sdwa v6, v4 dst_sel:DWORD dst_unused:UNUSED_PAD src0_sel:WORD_1
	v_cmp_o_f16_e32 vcc, v4, v4
	v_bfe_u32 v8, v5, 16, 1
	v_bfe_u32 v9, v6, 16, 1
	v_add3_u32 v5, v5, v8, s10
	v_add3_u32 v6, v6, v9, s10
	v_cndmask_b32_sdwa v3, v3, v5, vcc dst_sel:DWORD dst_unused:UNUSED_PAD src0_sel:DWORD src1_sel:WORD_1
	v_and_b32_e32 v5, 0xffff0000, v6
	v_cmp_o_f16_sdwa vcc, v4, v4 src0_sel:WORD_1 src1_sel:WORD_1
	v_cndmask_b32_e32 v4, v7, v5, vcc
.LBB175_964:
	s_cbranch_execnz .LBB175_976
.LBB175_965:
	s_sext_i32_i16 s10, s78
	s_cmp_lt_i32 s10, 6
	s_cbranch_scc1 .LBB175_968
; %bb.966:
	s_cmp_gt_i32 s10, 6
	s_cbranch_scc0 .LBB175_969
; %bb.967:
	global_load_dwordx2 v[3:4], v[1:2], off
	s_movk_i32 s10, 0x7fff
	s_waitcnt vmcnt(0)
	v_cvt_f32_f64_e32 v3, v[3:4]
	v_mov_b32_e32 v4, 0x7fc0
	v_bfe_u32 v5, v3, 16, 1
	v_cmp_o_f32_e32 vcc, v3, v3
	v_add3_u32 v3, v3, v5, s10
	v_cndmask_b32_sdwa v3, v4, v3, vcc dst_sel:DWORD dst_unused:UNUSED_PAD src0_sel:DWORD src1_sel:WORD_1
	s_mov_b64 s[10:11], 0
	s_branch .LBB175_970
.LBB175_968:
	s_mov_b64 s[10:11], -1
                                        ; implicit-def: $vgpr3
	s_branch .LBB175_973
.LBB175_969:
	s_mov_b64 s[10:11], -1
                                        ; implicit-def: $vgpr3
.LBB175_970:
	s_andn2_b64 vcc, exec, s[10:11]
	s_cbranch_vccnz .LBB175_972
; %bb.971:
	global_load_dword v3, v[1:2], off
	s_movk_i32 s10, 0x7fff
	v_mov_b32_e32 v4, 0x7fc0
	s_waitcnt vmcnt(0)
	v_bfe_u32 v5, v3, 16, 1
	v_cmp_o_f32_e32 vcc, v3, v3
	v_add3_u32 v3, v3, v5, s10
	v_cndmask_b32_sdwa v3, v4, v3, vcc dst_sel:DWORD dst_unused:UNUSED_PAD src0_sel:DWORD src1_sel:WORD_1
.LBB175_972:
	s_mov_b64 s[10:11], 0
.LBB175_973:
	s_andn2_b64 vcc, exec, s[10:11]
	s_cbranch_vccnz .LBB175_975
; %bb.974:
	global_load_ushort v3, v[1:2], off
	s_movk_i32 s10, 0x7fff
	v_mov_b32_e32 v5, 0x7fc0
	s_waitcnt vmcnt(0)
	v_cvt_f32_f16_e32 v4, v3
	v_cmp_o_f16_e32 vcc, v3, v3
	v_bfe_u32 v3, v4, 16, 1
	v_add3_u32 v3, v4, v3, s10
	v_cndmask_b32_sdwa v3, v5, v3, vcc dst_sel:DWORD dst_unused:UNUSED_PAD src0_sel:DWORD src1_sel:WORD_1
.LBB175_975:
	v_mov_b32_e32 v4, 0
.LBB175_976:
	s_cbranch_execnz .LBB175_996
.LBB175_977:
	s_sext_i32_i16 s10, s78
	s_cmp_lt_i32 s10, 2
	s_cbranch_scc1 .LBB175_981
; %bb.978:
	s_cmp_lt_i32 s10, 3
	s_cbranch_scc1 .LBB175_982
; %bb.979:
	s_cmp_gt_i32 s10, 3
	s_cbranch_scc0 .LBB175_983
; %bb.980:
	global_load_dwordx2 v[3:4], v[1:2], off
	s_movk_i32 s10, 0x7fff
	s_waitcnt vmcnt(0)
	v_xor_b32_e32 v6, v3, v4
	v_ffbh_i32_e32 v5, v4
	v_ashrrev_i32_e32 v6, 31, v6
	v_add_u32_e32 v5, -1, v5
	v_add_u32_e32 v6, 32, v6
	v_min_u32_e32 v5, v5, v6
	v_lshlrev_b64 v[3:4], v5, v[3:4]
	v_min_u32_e32 v3, 1, v3
	v_or_b32_e32 v3, v4, v3
	v_cvt_f32_i32_e32 v3, v3
	v_sub_u32_e32 v4, 32, v5
	v_ldexp_f32 v3, v3, v4
	v_bfe_u32 v4, v3, 16, 1
	v_add3_u32 v3, v3, v4, s10
	v_lshrrev_b32_e32 v3, 16, v3
	s_mov_b64 s[10:11], 0
	s_branch .LBB175_984
.LBB175_981:
                                        ; implicit-def: $vgpr3
	s_branch .LBB175_990
.LBB175_982:
	s_mov_b64 s[10:11], -1
                                        ; implicit-def: $vgpr3
	s_branch .LBB175_987
.LBB175_983:
	s_mov_b64 s[10:11], -1
                                        ; implicit-def: $vgpr3
.LBB175_984:
	s_andn2_b64 vcc, exec, s[10:11]
	s_cbranch_vccnz .LBB175_986
; %bb.985:
	global_load_dword v3, v[1:2], off
	s_movk_i32 s10, 0x7fff
	s_waitcnt vmcnt(0)
	v_cvt_f32_i32_e32 v3, v3
	v_bfe_u32 v4, v3, 16, 1
	v_add3_u32 v3, v3, v4, s10
	v_lshrrev_b32_e32 v3, 16, v3
.LBB175_986:
	s_mov_b64 s[10:11], 0
.LBB175_987:
	s_andn2_b64 vcc, exec, s[10:11]
	s_cbranch_vccnz .LBB175_989
; %bb.988:
	global_load_sshort v3, v[1:2], off
	s_movk_i32 s10, 0x7fff
	s_waitcnt vmcnt(0)
	v_cvt_f32_i32_e32 v3, v3
	v_bfe_u32 v4, v3, 16, 1
	v_add3_u32 v3, v3, v4, s10
	v_lshrrev_b32_e32 v3, 16, v3
.LBB175_989:
	s_cbranch_execnz .LBB175_995
.LBB175_990:
	s_sext_i32_i16 s10, s78
	s_cmp_gt_i32 s10, 0
	s_cbranch_scc0 .LBB175_992
; %bb.991:
	global_load_sbyte v3, v[1:2], off
	s_movk_i32 s10, 0x7fff
	s_waitcnt vmcnt(0)
	v_cvt_f32_i32_e32 v3, v3
	v_bfe_u32 v4, v3, 16, 1
	v_add3_u32 v3, v3, v4, s10
	v_lshrrev_b32_e32 v3, 16, v3
	s_mov_b64 s[10:11], 0
	s_branch .LBB175_993
.LBB175_992:
	s_mov_b64 s[10:11], -1
                                        ; implicit-def: $vgpr3
.LBB175_993:
	s_andn2_b64 vcc, exec, s[10:11]
	s_cbranch_vccnz .LBB175_995
; %bb.994:
	global_load_ubyte v1, v[1:2], off
	s_movk_i32 s10, 0x7fff
	s_waitcnt vmcnt(0)
	v_cvt_f32_ubyte0_e32 v1, v1
	v_bfe_u32 v2, v1, 16, 1
	v_add3_u32 v1, v1, v2, s10
	v_lshrrev_b32_e32 v3, 16, v1
.LBB175_995:
	v_mov_b32_e32 v4, 0
.LBB175_996:
	s_or_b64 s[0:1], s[0:1], exec
.LBB175_997:
	s_or_b64 exec, exec, s[8:9]
	s_mov_b64 s[14:15], 0
	s_mov_b64 s[12:13], 0
                                        ; implicit-def: $sgpr8_sgpr9
                                        ; implicit-def: $sgpr20
                                        ; implicit-def: $vgpr1_vgpr2
	s_and_saveexec_b64 s[10:11], s[0:1]
	s_cbranch_execz .LBB175_1075
; %bb.998:
	s_waitcnt vmcnt(0)
	v_or_b32_sdwa v1, v4, v3 dst_sel:DWORD dst_unused:UNUSED_PAD src0_sel:DWORD src1_sel:WORD_0
	s_andn2_b64 vcc, exec, s[44:45]
	v_lshlrev_b32_e32 v1, 16, v1
	s_cbranch_vccnz .LBB175_1079
; %bb.999:
	v_and_b32_e32 v2, 0xffff0000, v4
	v_cmp_neq_f32_e32 vcc, s76, v1
	v_cmp_neq_f32_e64 s[0:1], s77, v2
	s_or_b64 s[8:9], vcc, s[0:1]
	s_cbranch_execnz .LBB175_1001
.LBB175_1000:
	v_and_b32_e32 v2, 0xffff0000, v4
	v_cmp_eq_f32_e32 vcc, s76, v1
	v_cmp_eq_f32_e64 s[0:1], s77, v2
	s_and_b64 s[0:1], vcc, s[0:1]
	s_andn2_b64 s[8:9], s[8:9], exec
	s_and_b64 s[0:1], s[0:1], exec
	s_or_b64 s[8:9], s[8:9], s[0:1]
.LBB175_1001:
	v_mov_b32_e32 v2, s25
	s_and_b32 s20, s75, 0xff
	v_add_co_u32_e32 v1, vcc, s24, v0
	s_cmp_lt_i32 s20, 11
	v_addc_co_u32_e32 v2, vcc, 0, v2, vcc
	s_cbranch_scc1 .LBB175_1078
; %bb.1002:
	s_and_b32 s21, 0xffff, s20
	s_mov_b64 s[14:15], -1
	s_cmp_gt_i32 s21, 25
	s_mov_b64 s[0:1], s[54:55]
	s_cbranch_scc0 .LBB175_1035
; %bb.1003:
	s_mov_b64 s[12:13], -1
	s_cmp_gt_i32 s21, 28
	s_mov_b64 s[0:1], s[54:55]
	s_cbranch_scc0 .LBB175_1019
; %bb.1004:
	s_cmp_gt_i32 s21, 43
	s_mov_b64 s[0:1], s[54:55]
	s_cbranch_scc0 .LBB175_1015
; %bb.1005:
	;; [unrolled: 4-line block ×3, first 2 shown]
	s_cmp_eq_u32 s21, 46
	s_mov_b64 s[0:1], -1
	s_cbranch_scc0 .LBB175_1008
; %bb.1007:
	v_cndmask_b32_e64 v0, 0, 1.0, s[8:9]
	v_bfe_u32 v3, v0, 16, 1
	s_movk_i32 s0, 0x7fff
	v_add3_u32 v0, v0, v3, s0
	v_lshrrev_b32_e32 v0, 16, v0
	global_store_dword v[1:2], v0, off
	s_mov_b64 s[0:1], 0
.LBB175_1008:
	s_mov_b64 s[12:13], 0
.LBB175_1009:
	s_and_b64 vcc, exec, s[12:13]
	s_cbranch_vccz .LBB175_1014
; %bb.1010:
	s_cmp_eq_u32 s21, 44
	s_mov_b64 s[0:1], -1
	s_cbranch_scc0 .LBB175_1014
; %bb.1011:
	v_cndmask_b32_e64 v3, 0, 1.0, s[8:9]
	v_lshrrev_b32_e32 v0, 23, v3
	s_movk_i32 s0, 0xff
	v_cmp_ne_u32_e32 vcc, s0, v0
	v_mov_b32_e32 v4, 0xff
	s_and_saveexec_b64 s[12:13], vcc
; %bb.1012:
	s_mov_b32 s0, 0x3fffff
	v_and_b32_e32 v4, 0x400000, v3
	v_and_or_b32 v3, v3, s0, v0
	v_cmp_ne_u32_e32 vcc, 0, v4
	v_cmp_ne_u32_e64 s[0:1], 0, v3
	s_and_b64 s[0:1], vcc, s[0:1]
	v_cndmask_b32_e64 v3, 0, 1, s[0:1]
	v_add_u32_e32 v4, v0, v3
; %bb.1013:
	s_or_b64 exec, exec, s[12:13]
	s_mov_b64 s[0:1], 0
	global_store_byte v[1:2], v4, off
.LBB175_1014:
	s_mov_b64 s[12:13], 0
.LBB175_1015:
	s_and_b64 vcc, exec, s[12:13]
	s_cbranch_vccz .LBB175_1018
; %bb.1016:
	s_cmp_eq_u32 s21, 29
	s_mov_b64 s[0:1], -1
	s_cbranch_scc0 .LBB175_1018
; %bb.1017:
	s_mov_b32 s0, 0
	v_cndmask_b32_e64 v3, 0, 1, s[8:9]
	v_mov_b32_e32 v4, s0
	global_store_dwordx2 v[1:2], v[3:4], off
	s_mov_b64 s[0:1], 0
.LBB175_1018:
	s_mov_b64 s[12:13], 0
.LBB175_1019:
	s_and_b64 vcc, exec, s[12:13]
	s_cbranch_vccz .LBB175_1034
; %bb.1020:
	s_cmp_lt_i32 s21, 27
	s_mov_b64 s[12:13], -1
	s_cbranch_scc1 .LBB175_1026
; %bb.1021:
	s_cmp_gt_i32 s21, 27
	s_cbranch_scc0 .LBB175_1023
; %bb.1022:
	v_cndmask_b32_e64 v0, 0, 1, s[8:9]
	s_mov_b64 s[12:13], 0
	global_store_dword v[1:2], v0, off
.LBB175_1023:
	s_andn2_b64 vcc, exec, s[12:13]
	s_cbranch_vccnz .LBB175_1025
; %bb.1024:
	v_cndmask_b32_e64 v0, 0, 1, s[8:9]
	global_store_short v[1:2], v0, off
.LBB175_1025:
	s_mov_b64 s[12:13], 0
.LBB175_1026:
	s_andn2_b64 vcc, exec, s[12:13]
	s_cbranch_vccnz .LBB175_1034
; %bb.1027:
	v_cndmask_b32_e64 v3, 0, 1.0, s[8:9]
	s_mov_b32 s12, 0x43800000
	v_cmp_gt_u32_e32 vcc, s12, v3
	v_mov_b32_e32 v4, 0x80
	s_and_saveexec_b64 s[12:13], vcc
	s_cbranch_execz .LBB175_1033
; %bb.1028:
	s_mov_b32 s14, 0x3bffffff
	v_cmp_lt_u32_e32 vcc, s14, v3
	s_mov_b64 s[14:15], 0
                                        ; implicit-def: $vgpr0
	s_and_saveexec_b64 s[16:17], vcc
	s_xor_b64 s[16:17], exec, s[16:17]
	s_cbranch_execz .LBB175_1192
; %bb.1029:
	v_bfe_u32 v0, v3, 20, 1
	s_mov_b32 s18, 0x487ffff
	v_add3_u32 v0, v3, v0, s18
	s_mov_b64 s[14:15], exec
	v_lshrrev_b32_e32 v0, 20, v0
                                        ; implicit-def: $vgpr3
	s_andn2_saveexec_b64 s[16:17], s[16:17]
	s_cbranch_execnz .LBB175_1193
.LBB175_1030:
	s_or_b64 exec, exec, s[16:17]
	v_mov_b32_e32 v4, 0
	s_and_saveexec_b64 s[16:17], s[14:15]
.LBB175_1031:
	v_mov_b32_e32 v4, v0
.LBB175_1032:
	s_or_b64 exec, exec, s[16:17]
.LBB175_1033:
	s_or_b64 exec, exec, s[12:13]
	global_store_byte v[1:2], v4, off
.LBB175_1034:
	s_mov_b64 s[14:15], 0
.LBB175_1035:
	s_mov_b64 s[12:13], 0
	s_and_b64 vcc, exec, s[14:15]
	s_cbranch_vccz .LBB175_1080
; %bb.1036:
	s_cmp_gt_i32 s21, 22
	s_mov_b64 s[14:15], -1
	s_cbranch_scc0 .LBB175_1068
; %bb.1037:
	s_cmp_lt_i32 s21, 24
	s_cbranch_scc1 .LBB175_1057
; %bb.1038:
	s_cmp_gt_i32 s21, 24
	s_cbranch_scc0 .LBB175_1046
; %bb.1039:
	v_cndmask_b32_e64 v3, 0, 1.0, s[8:9]
	s_mov_b32 s14, 0x47800000
	v_cmp_gt_u32_e32 vcc, s14, v3
	v_mov_b32_e32 v4, 0x80
	s_and_saveexec_b64 s[14:15], vcc
	s_cbranch_execz .LBB175_1045
; %bb.1040:
	s_mov_b32 s16, 0x37ffffff
	v_cmp_lt_u32_e32 vcc, s16, v3
	s_mov_b64 s[16:17], 0
                                        ; implicit-def: $vgpr0
	s_and_saveexec_b64 s[18:19], vcc
	s_xor_b64 s[18:19], exec, s[18:19]
	s_cbranch_execz .LBB175_1326
; %bb.1041:
	v_bfe_u32 v0, v3, 21, 1
	s_mov_b32 s22, 0x88fffff
	v_add3_u32 v0, v3, v0, s22
	s_mov_b64 s[16:17], exec
	v_lshrrev_b32_e32 v0, 21, v0
                                        ; implicit-def: $vgpr3
	s_andn2_saveexec_b64 s[18:19], s[18:19]
	s_cbranch_execnz .LBB175_1327
.LBB175_1042:
	s_or_b64 exec, exec, s[18:19]
	v_mov_b32_e32 v4, 0
	s_and_saveexec_b64 s[18:19], s[16:17]
.LBB175_1043:
	v_mov_b32_e32 v4, v0
.LBB175_1044:
	s_or_b64 exec, exec, s[18:19]
.LBB175_1045:
	s_or_b64 exec, exec, s[14:15]
	s_mov_b64 s[14:15], 0
	global_store_byte v[1:2], v4, off
.LBB175_1046:
	s_and_b64 vcc, exec, s[14:15]
	s_cbranch_vccz .LBB175_1056
; %bb.1047:
	v_cndmask_b32_e64 v0, 0, 1.0, s[8:9]
	s_mov_b32 s14, 0x43f00000
	v_cmp_gt_u32_e32 vcc, s14, v0
                                        ; implicit-def: $vgpr3
	s_and_saveexec_b64 s[14:15], vcc
	s_xor_b64 s[14:15], exec, s[14:15]
	s_cbranch_execz .LBB175_1053
; %bb.1048:
	s_mov_b32 s16, 0x3c7fffff
	v_cmp_lt_u32_e32 vcc, s16, v0
                                        ; implicit-def: $vgpr3
	s_and_saveexec_b64 s[16:17], vcc
	s_xor_b64 s[16:17], exec, s[16:17]
; %bb.1049:
	v_bfe_u32 v3, v0, 20, 1
	s_mov_b32 s18, 0x407ffff
	v_add3_u32 v0, v0, v3, s18
	v_lshrrev_b32_e32 v3, 20, v0
	v_and_b32_e32 v0, 0xff00000, v0
	s_mov_b32 s18, 0x7f00000
	v_mov_b32_e32 v4, 0x7e
	v_cmp_ne_u32_e32 vcc, s18, v0
	v_cndmask_b32_e32 v3, v4, v3, vcc
                                        ; implicit-def: $vgpr0
; %bb.1050:
	s_andn2_saveexec_b64 s[16:17], s[16:17]
; %bb.1051:
	v_add_f32_e32 v3, 0x46800000, v0
; %bb.1052:
	s_or_b64 exec, exec, s[16:17]
                                        ; implicit-def: $vgpr0
.LBB175_1053:
	s_andn2_saveexec_b64 s[14:15], s[14:15]
; %bb.1054:
	s_mov_b32 s16, 0x7f800000
	v_mov_b32_e32 v3, 0x7e
	v_mov_b32_e32 v4, 0x7f
	v_cmp_lt_u32_e32 vcc, s16, v0
	v_cndmask_b32_e32 v3, v3, v4, vcc
; %bb.1055:
	s_or_b64 exec, exec, s[14:15]
	global_store_byte v[1:2], v3, off
.LBB175_1056:
	s_mov_b64 s[14:15], 0
.LBB175_1057:
	s_andn2_b64 vcc, exec, s[14:15]
	s_cbranch_vccnz .LBB175_1067
; %bb.1058:
	v_cndmask_b32_e64 v0, 0, 1.0, s[8:9]
	s_mov_b32 s14, 0x47800000
	v_cmp_gt_u32_e32 vcc, s14, v0
                                        ; implicit-def: $vgpr3
	s_and_saveexec_b64 s[14:15], vcc
	s_xor_b64 s[14:15], exec, s[14:15]
	s_cbranch_execz .LBB175_1064
; %bb.1059:
	s_mov_b32 s16, 0x387fffff
	v_cmp_lt_u32_e32 vcc, s16, v0
                                        ; implicit-def: $vgpr3
	s_and_saveexec_b64 s[16:17], vcc
	s_xor_b64 s[16:17], exec, s[16:17]
; %bb.1060:
	v_bfe_u32 v3, v0, 21, 1
	s_mov_b32 s18, 0x80fffff
	v_add3_u32 v0, v0, v3, s18
	v_lshrrev_b32_e32 v3, 21, v0
                                        ; implicit-def: $vgpr0
; %bb.1061:
	s_andn2_saveexec_b64 s[16:17], s[16:17]
; %bb.1062:
	v_add_f32_e32 v3, 0x43000000, v0
; %bb.1063:
	s_or_b64 exec, exec, s[16:17]
                                        ; implicit-def: $vgpr0
.LBB175_1064:
	s_andn2_saveexec_b64 s[14:15], s[14:15]
; %bb.1065:
	s_mov_b32 s16, 0x7f800000
	v_mov_b32_e32 v3, 0x7c
	v_mov_b32_e32 v4, 0x7f
	v_cmp_lt_u32_e32 vcc, s16, v0
	v_cndmask_b32_e32 v3, v3, v4, vcc
; %bb.1066:
	s_or_b64 exec, exec, s[14:15]
	global_store_byte v[1:2], v3, off
.LBB175_1067:
	s_mov_b64 s[14:15], 0
.LBB175_1068:
	s_andn2_b64 vcc, exec, s[14:15]
	s_mov_b64 s[14:15], 0
	s_cbranch_vccnz .LBB175_1081
; %bb.1069:
	s_cmp_gt_i32 s21, 14
	s_mov_b64 s[16:17], -1
	s_cbranch_scc0 .LBB175_1073
; %bb.1070:
	s_cmp_eq_u32 s21, 15
	s_mov_b64 s[0:1], -1
	s_cbranch_scc0 .LBB175_1072
; %bb.1071:
	v_cndmask_b32_e64 v0, 0, 1.0, s[8:9]
	v_bfe_u32 v3, v0, 16, 1
	s_movk_i32 s0, 0x7fff
	v_add3_u32 v0, v0, v3, s0
	global_store_short_d16_hi v[1:2], v0, off
	s_mov_b64 s[0:1], 0
.LBB175_1072:
	s_mov_b64 s[16:17], 0
.LBB175_1073:
	s_and_b64 vcc, exec, s[16:17]
	s_cbranch_vccz .LBB175_1081
; %bb.1074:
	s_cmp_lg_u32 s21, 11
	s_cselect_b64 s[16:17], -1, 0
	s_andn2_b64 s[0:1], s[0:1], exec
	s_and_b64 s[16:17], s[16:17], exec
	s_mov_b64 s[14:15], -1
	s_or_b64 s[0:1], s[0:1], s[16:17]
	s_branch .LBB175_1081
.LBB175_1075:
	s_or_b64 exec, exec, s[10:11]
	s_and_saveexec_b64 s[0:1], s[54:55]
	s_cbranch_execnz .LBB175_1082
.LBB175_1076:
	s_or_b64 exec, exec, s[0:1]
	s_and_saveexec_b64 s[0:1], s[14:15]
	s_xor_b64 s[0:1], exec, s[0:1]
	s_cbranch_execz .LBB175_1083
.LBB175_1077:
	v_cndmask_b32_e64 v0, 0, 1, s[8:9]
	global_store_byte v[1:2], v0, off
	s_or_b64 exec, exec, s[0:1]
	s_and_saveexec_b64 s[0:1], s[12:13]
	s_xor_b64 s[0:1], exec, s[0:1]
	s_cbranch_execz .LBB175_1121
	s_branch .LBB175_1084
.LBB175_1078:
	s_mov_b64 s[12:13], -1
	s_mov_b64 s[0:1], s[54:55]
	s_branch .LBB175_1081
.LBB175_1079:
                                        ; implicit-def: $sgpr8_sgpr9
	s_branch .LBB175_1000
.LBB175_1080:
	s_mov_b64 s[14:15], 0
.LBB175_1081:
	s_andn2_b64 s[16:17], s[54:55], exec
	s_and_b64 s[0:1], s[0:1], exec
	s_and_b64 s[12:13], s[12:13], exec
	s_and_b64 s[14:15], s[14:15], exec
	s_or_b64 s[54:55], s[16:17], s[0:1]
	s_or_b64 exec, exec, s[10:11]
	s_and_saveexec_b64 s[0:1], s[54:55]
	s_cbranch_execz .LBB175_1076
.LBB175_1082:
	s_or_b64 s[2:3], s[2:3], exec
	s_andn2_b64 s[14:15], s[14:15], exec
	s_trap 2
	s_or_b64 exec, exec, s[0:1]
	s_and_saveexec_b64 s[0:1], s[14:15]
	s_xor_b64 s[0:1], exec, s[0:1]
	s_cbranch_execnz .LBB175_1077
.LBB175_1083:
	s_or_b64 exec, exec, s[0:1]
	s_and_saveexec_b64 s[0:1], s[12:13]
	s_xor_b64 s[0:1], exec, s[0:1]
	s_cbranch_execz .LBB175_1121
.LBB175_1084:
	s_sext_i32_i16 s12, s20
	s_cmp_lt_i32 s12, 5
	s_mov_b64 s[10:11], -1
	s_cbranch_scc1 .LBB175_1105
; %bb.1085:
	s_cmp_lt_i32 s12, 8
	s_cbranch_scc1 .LBB175_1095
; %bb.1086:
	s_cmp_lt_i32 s12, 9
	s_cbranch_scc1 .LBB175_1092
; %bb.1087:
	s_cmp_gt_i32 s12, 9
	s_cbranch_scc0 .LBB175_1089
; %bb.1088:
	v_cndmask_b32_e64 v0, 0, 1, s[8:9]
	s_waitcnt vmcnt(0)
	v_cvt_f64_u32_e32 v[3:4], v0
	v_mov_b32_e32 v5, 0
	v_mov_b32_e32 v6, v5
	s_mov_b64 s[10:11], 0
	global_store_dwordx4 v[1:2], v[3:6], off
.LBB175_1089:
	s_andn2_b64 vcc, exec, s[10:11]
	s_cbranch_vccnz .LBB175_1091
; %bb.1090:
	s_waitcnt vmcnt(0)
	v_cndmask_b32_e64 v3, 0, 1.0, s[8:9]
	v_mov_b32_e32 v4, 0
	global_store_dwordx2 v[1:2], v[3:4], off
.LBB175_1091:
	s_mov_b64 s[10:11], 0
.LBB175_1092:
	s_andn2_b64 vcc, exec, s[10:11]
	s_cbranch_vccnz .LBB175_1094
; %bb.1093:
	v_cndmask_b32_e64 v0, 0, 1.0, s[8:9]
	v_cvt_f16_f32_e32 v0, v0
	global_store_dword v[1:2], v0, off
.LBB175_1094:
	s_mov_b64 s[10:11], 0
.LBB175_1095:
	s_andn2_b64 vcc, exec, s[10:11]
	s_cbranch_vccnz .LBB175_1104
; %bb.1096:
	s_sext_i32_i16 s12, s20
	s_cmp_lt_i32 s12, 6
	s_mov_b64 s[10:11], -1
	s_cbranch_scc1 .LBB175_1102
; %bb.1097:
	s_cmp_gt_i32 s12, 6
	s_cbranch_scc0 .LBB175_1099
; %bb.1098:
	v_cndmask_b32_e64 v0, 0, 1, s[8:9]
	s_waitcnt vmcnt(0)
	v_cvt_f64_u32_e32 v[3:4], v0
	s_mov_b64 s[10:11], 0
	global_store_dwordx2 v[1:2], v[3:4], off
.LBB175_1099:
	s_andn2_b64 vcc, exec, s[10:11]
	s_cbranch_vccnz .LBB175_1101
; %bb.1100:
	v_cndmask_b32_e64 v0, 0, 1.0, s[8:9]
	global_store_dword v[1:2], v0, off
.LBB175_1101:
	s_mov_b64 s[10:11], 0
.LBB175_1102:
	s_andn2_b64 vcc, exec, s[10:11]
	s_cbranch_vccnz .LBB175_1104
; %bb.1103:
	v_cndmask_b32_e64 v0, 0, 1.0, s[8:9]
	v_cvt_f16_f32_e32 v0, v0
	global_store_short v[1:2], v0, off
.LBB175_1104:
	s_mov_b64 s[10:11], 0
.LBB175_1105:
	s_andn2_b64 vcc, exec, s[10:11]
	s_cbranch_vccnz .LBB175_1121
; %bb.1106:
	s_sext_i32_i16 s12, s20
	s_cmp_lt_i32 s12, 2
	s_mov_b64 s[10:11], -1
	s_cbranch_scc1 .LBB175_1116
; %bb.1107:
	s_cmp_lt_i32 s12, 3
	s_cbranch_scc1 .LBB175_1113
; %bb.1108:
	s_cmp_gt_i32 s12, 3
	s_cbranch_scc0 .LBB175_1110
; %bb.1109:
	s_mov_b32 s10, 0
	s_waitcnt vmcnt(0)
	v_cndmask_b32_e64 v3, 0, 1, s[8:9]
	v_mov_b32_e32 v4, s10
	s_mov_b64 s[10:11], 0
	global_store_dwordx2 v[1:2], v[3:4], off
.LBB175_1110:
	s_andn2_b64 vcc, exec, s[10:11]
	s_cbranch_vccnz .LBB175_1112
; %bb.1111:
	v_cndmask_b32_e64 v0, 0, 1, s[8:9]
	global_store_dword v[1:2], v0, off
.LBB175_1112:
	s_mov_b64 s[10:11], 0
.LBB175_1113:
	s_andn2_b64 vcc, exec, s[10:11]
	s_cbranch_vccnz .LBB175_1115
; %bb.1114:
	v_cndmask_b32_e64 v0, 0, 1, s[8:9]
	global_store_short v[1:2], v0, off
.LBB175_1115:
	s_mov_b64 s[10:11], 0
.LBB175_1116:
	s_andn2_b64 vcc, exec, s[10:11]
	s_cbranch_vccnz .LBB175_1121
; %bb.1117:
	s_sext_i32_i16 s10, s20
	s_cmp_gt_i32 s10, 0
	s_mov_b64 s[10:11], -1
	s_cbranch_scc0 .LBB175_1119
; %bb.1118:
	v_cndmask_b32_e64 v0, 0, 1, s[8:9]
	s_mov_b64 s[10:11], 0
	global_store_byte v[1:2], v0, off
.LBB175_1119:
	s_andn2_b64 vcc, exec, s[10:11]
	s_cbranch_vccnz .LBB175_1121
; %bb.1120:
	v_cndmask_b32_e64 v0, 0, 1, s[8:9]
	global_store_byte v[1:2], v0, off
.LBB175_1121:
	s_or_b64 exec, exec, s[0:1]
	s_and_b64 s[28:29], s[2:3], exec
                                        ; implicit-def: $vgpr15
                                        ; implicit-def: $vgpr8
.LBB175_1122:
	s_or_saveexec_b64 s[30:31], s[42:43]
	s_mov_b64 s[0:1], 0
                                        ; implicit-def: $sgpr10_sgpr11
                                        ; implicit-def: $vgpr0_vgpr1
                                        ; implicit-def: $sgpr22
	s_xor_b64 exec, exec, s[30:31]
	s_cbranch_execz .LBB175_1728
; %bb.1123:
	v_cndmask_b32_e64 v0, 0, 1, s[40:41]
	v_cmp_ne_u32_e64 s[0:1], 1, v0
	s_andn2_b64 vcc, exec, s[40:41]
	s_cbranch_vccnz .LBB175_1129
; %bb.1124:
	s_cmp_lg_u32 s33, 0
	s_mov_b32 s36, 0
	s_cbranch_scc0 .LBB175_1130
; %bb.1125:
	s_min_u32 s37, s74, 15
	s_add_i32 s37, s37, 1
	s_cmp_eq_u32 s74, 2
	s_cbranch_scc1 .LBB175_1131
; %bb.1126:
	s_and_b32 s36, s37, 28
	s_add_u32 s2, s34, 0xc4
	s_addc_u32 s3, s35, 0
	v_mov_b32_e32 v13, 0
	s_mov_b32 s38, 0
	s_mov_b64 s[6:7], s[34:35]
	v_mov_b32_e32 v6, 0
	v_mov_b32_e32 v0, v8
.LBB175_1127:                           ; =>This Inner Loop Header: Depth=1
	s_load_dwordx8 s[16:23], s[6:7], 0x4
	s_load_dwordx4 s[24:27], s[6:7], 0x24
	s_load_dwordx8 s[8:15], s[2:3], 0x0
	s_add_u32 s6, s6, 48
	s_addc_u32 s7, s7, 0
	s_waitcnt lgkmcnt(0)
	v_mul_hi_u32 v1, s17, v0
	s_add_i32 s38, s38, 4
	s_add_u32 s2, s2, 32
	s_addc_u32 s3, s3, 0
	v_add_u32_e32 v1, v0, v1
	v_lshrrev_b32_e32 v1, s18, v1
	v_mul_lo_u32 v2, v1, s16
	s_waitcnt vmcnt(0)
	v_mul_hi_u32 v3, s20, v1
	s_cmp_lg_u32 s36, s38
	v_sub_u32_e32 v0, v0, v2
	v_add_u32_e32 v2, v1, v3
	v_mul_lo_u32 v3, v0, s8
	v_mul_lo_u32 v4, v0, s9
	v_lshrrev_b32_e32 v0, s21, v2
	v_mul_lo_u32 v2, v0, s19
	v_mul_hi_u32 v5, s23, v0
	v_sub_u32_e32 v1, v1, v2
	v_add_u32_e32 v2, v0, v5
	v_lshrrev_b32_e32 v2, s24, v2
	v_mul_hi_u32 v7, s26, v2
	v_mul_lo_u32 v9, v2, s22
	v_mul_lo_u32 v5, v1, s10
	;; [unrolled: 1-line block ×3, first 2 shown]
	v_sub_u32_e32 v9, v0, v9
	v_add_u32_e32 v0, v2, v7
	v_lshrrev_b32_e32 v0, s27, v0
	v_mul_lo_u32 v7, v0, s25
	v_mul_lo_u32 v10, v9, s12
	;; [unrolled: 1-line block ×3, first 2 shown]
	v_add3_u32 v3, v3, v6, v5
	v_sub_u32_e32 v2, v2, v7
	v_mul_lo_u32 v7, v2, s14
	v_mul_lo_u32 v2, v2, s15
	v_add3_u32 v1, v4, v13, v1
	v_add3_u32 v6, v10, v3, v7
	v_add3_u32 v13, v9, v1, v2
	s_cbranch_scc1 .LBB175_1127
; %bb.1128:
	s_and_b32 s8, s37, 3
	s_cmp_eq_u32 s8, 0
	s_cbranch_scc0 .LBB175_1132
	s_branch .LBB175_1134
.LBB175_1129:
                                        ; implicit-def: $vgpr6
                                        ; implicit-def: $vgpr13
	s_branch .LBB175_1135
.LBB175_1130:
	v_mov_b32_e32 v6, 0
	v_mov_b32_e32 v13, 0
	s_branch .LBB175_1134
.LBB175_1131:
	v_mov_b32_e32 v6, 0
	v_mov_b32_e32 v13, 0
	;; [unrolled: 1-line block ×3, first 2 shown]
	s_and_b32 s8, s37, 3
	s_cmp_eq_u32 s8, 0
	s_cbranch_scc1 .LBB175_1134
.LBB175_1132:
	s_lshl_b32 s2, s36, 3
	s_add_u32 s2, s34, s2
	s_addc_u32 s3, s35, 0
	s_add_u32 s2, s2, 0xc4
	s_addc_u32 s3, s3, 0
	s_mul_i32 s6, s36, 12
	s_add_u32 s6, s34, s6
	s_addc_u32 s7, s35, 0
.LBB175_1133:                           ; =>This Inner Loop Header: Depth=1
	s_load_dwordx2 s[10:11], s[6:7], 0x4
	s_load_dword s9, s[6:7], 0xc
	s_load_dwordx2 s[12:13], s[2:3], 0x0
	s_add_u32 s6, s6, 12
	s_addc_u32 s7, s7, 0
	s_waitcnt lgkmcnt(0)
	v_mul_hi_u32 v1, s11, v0
	s_add_u32 s2, s2, 8
	s_addc_u32 s3, s3, 0
	s_add_i32 s8, s8, -1
	v_add_u32_e32 v1, v0, v1
	v_lshrrev_b32_e32 v1, s9, v1
	v_mul_lo_u32 v2, v1, s10
	s_cmp_lg_u32 s8, 0
	v_sub_u32_e32 v0, v0, v2
	v_mad_u64_u32 v[6:7], s[10:11], v0, s12, v[6:7]
	v_mad_u64_u32 v[13:14], s[10:11], v0, s13, v[13:14]
	v_mov_b32_e32 v0, v1
	s_cbranch_scc1 .LBB175_1133
.LBB175_1134:
	s_cbranch_execnz .LBB175_1137
.LBB175_1135:
	s_load_dwordx4 s[8:11], s[34:35], 0x4
	s_load_dwordx2 s[2:3], s[34:35], 0xc4
	s_cmp_lt_u32 s33, 2
	s_waitcnt lgkmcnt(0)
	v_mul_hi_u32 v0, s9, v8
	v_add_u32_e32 v0, v8, v0
	v_lshrrev_b32_e32 v0, s10, v0
	v_mul_lo_u32 v1, v0, s8
	v_sub_u32_e32 v1, v8, v1
	v_mul_lo_u32 v6, v1, s2
	v_mul_lo_u32 v13, v1, s3
	s_cbranch_scc1 .LBB175_1137
; %bb.1136:
	s_load_dwordx4 s[8:11], s[34:35], 0x10
	s_load_dwordx2 s[2:3], s[34:35], 0xcc
	s_waitcnt lgkmcnt(0)
	v_mul_hi_u32 v1, s9, v0
	v_add_u32_e32 v1, v0, v1
	v_lshrrev_b32_e32 v1, s10, v1
	v_mul_lo_u32 v1, v1, s8
	v_sub_u32_e32 v0, v0, v1
	v_mad_u64_u32 v[6:7], s[6:7], v0, s2, v[6:7]
	v_mad_u64_u32 v[13:14], s[2:3], v0, s3, v[13:14]
.LBB175_1137:
	s_and_b64 vcc, exec, s[0:1]
	v_add_u32_e32 v0, 0x80, v8
	s_cbranch_vccnz .LBB175_1143
; %bb.1138:
	s_cmp_lg_u32 s33, 0
	s_mov_b32 s36, 0
	s_cbranch_scc0 .LBB175_1144
; %bb.1139:
	s_min_u32 s37, s74, 15
	s_add_i32 s37, s37, 1
	s_cmp_eq_u32 s74, 2
	s_cbranch_scc1 .LBB175_1145
; %bb.1140:
	s_and_b32 s36, s37, 28
	s_add_u32 s2, s34, 0xc4
	s_addc_u32 s3, s35, 0
	v_mov_b32_e32 v11, 0
	s_mov_b32 s38, 0
	s_mov_b64 s[6:7], s[34:35]
	v_mov_b32_e32 v4, 0
	v_mov_b32_e32 v1, v0
.LBB175_1141:                           ; =>This Inner Loop Header: Depth=1
	s_load_dwordx8 s[16:23], s[6:7], 0x4
	s_load_dwordx4 s[24:27], s[6:7], 0x24
	s_load_dwordx8 s[8:15], s[2:3], 0x0
	s_add_u32 s6, s6, 48
	s_addc_u32 s7, s7, 0
	s_waitcnt lgkmcnt(0)
	v_mul_hi_u32 v2, s17, v1
	s_add_i32 s38, s38, 4
	s_add_u32 s2, s2, 32
	s_addc_u32 s3, s3, 0
	v_add_u32_e32 v2, v1, v2
	v_lshrrev_b32_e32 v2, s18, v2
	s_waitcnt vmcnt(0)
	v_mul_lo_u32 v3, v2, s16
	v_mul_hi_u32 v5, s20, v2
	s_cmp_lg_u32 s36, s38
	v_sub_u32_e32 v1, v1, v3
	v_add_u32_e32 v3, v2, v5
	v_mul_lo_u32 v5, v1, s8
	v_mul_lo_u32 v7, v1, s9
	v_lshrrev_b32_e32 v1, s21, v3
	v_mul_lo_u32 v3, v1, s19
	v_mul_hi_u32 v9, s23, v1
	v_sub_u32_e32 v2, v2, v3
	v_add_u32_e32 v3, v1, v9
	v_lshrrev_b32_e32 v3, s24, v3
	v_mul_hi_u32 v10, s26, v3
	v_mul_lo_u32 v12, v3, s22
	v_mul_lo_u32 v9, v2, s10
	;; [unrolled: 1-line block ×3, first 2 shown]
	v_sub_u32_e32 v12, v1, v12
	v_add_u32_e32 v1, v3, v10
	v_lshrrev_b32_e32 v1, s27, v1
	v_mul_lo_u32 v10, v1, s25
	v_mul_lo_u32 v14, v12, s12
	;; [unrolled: 1-line block ×3, first 2 shown]
	v_add3_u32 v4, v5, v4, v9
	v_sub_u32_e32 v3, v3, v10
	v_mul_lo_u32 v10, v3, s14
	v_mul_lo_u32 v3, v3, s15
	v_add3_u32 v2, v7, v11, v2
	v_add3_u32 v4, v14, v4, v10
	;; [unrolled: 1-line block ×3, first 2 shown]
	s_cbranch_scc1 .LBB175_1141
; %bb.1142:
	s_and_b32 s8, s37, 3
	s_cmp_eq_u32 s8, 0
	s_cbranch_scc0 .LBB175_1146
	s_branch .LBB175_1148
.LBB175_1143:
                                        ; implicit-def: $vgpr4
                                        ; implicit-def: $vgpr11
	s_branch .LBB175_1149
.LBB175_1144:
	v_mov_b32_e32 v4, 0
	v_mov_b32_e32 v11, 0
	s_branch .LBB175_1148
.LBB175_1145:
	v_mov_b32_e32 v4, 0
	v_mov_b32_e32 v11, 0
	;; [unrolled: 1-line block ×3, first 2 shown]
	s_and_b32 s8, s37, 3
	s_cmp_eq_u32 s8, 0
	s_cbranch_scc1 .LBB175_1148
.LBB175_1146:
	s_lshl_b32 s2, s36, 3
	s_add_u32 s2, s34, s2
	s_addc_u32 s3, s35, 0
	s_add_u32 s2, s2, 0xc4
	s_addc_u32 s3, s3, 0
	s_mul_i32 s6, s36, 12
	s_add_u32 s6, s34, s6
	s_addc_u32 s7, s35, 0
.LBB175_1147:                           ; =>This Inner Loop Header: Depth=1
	s_load_dwordx2 s[10:11], s[6:7], 0x4
	s_load_dword s9, s[6:7], 0xc
	s_load_dwordx2 s[12:13], s[2:3], 0x0
	s_add_u32 s6, s6, 12
	s_addc_u32 s7, s7, 0
	s_waitcnt lgkmcnt(0)
	v_mul_hi_u32 v2, s11, v1
	s_add_u32 s2, s2, 8
	s_addc_u32 s3, s3, 0
	s_add_i32 s8, s8, -1
	v_add_u32_e32 v2, v1, v2
	v_lshrrev_b32_e32 v2, s9, v2
	s_waitcnt vmcnt(0)
	v_mul_lo_u32 v3, v2, s10
	s_cmp_lg_u32 s8, 0
	v_sub_u32_e32 v1, v1, v3
	v_mad_u64_u32 v[4:5], s[10:11], v1, s12, v[4:5]
	v_mad_u64_u32 v[11:12], s[10:11], v1, s13, v[11:12]
	v_mov_b32_e32 v1, v2
	s_cbranch_scc1 .LBB175_1147
.LBB175_1148:
	s_cbranch_execnz .LBB175_1151
.LBB175_1149:
	s_load_dwordx4 s[8:11], s[34:35], 0x4
	s_load_dwordx2 s[2:3], s[34:35], 0xc4
	s_cmp_lt_u32 s33, 2
	s_waitcnt lgkmcnt(0)
	v_mul_hi_u32 v1, s9, v0
	v_add_u32_e32 v1, v0, v1
	v_lshrrev_b32_e32 v1, s10, v1
	v_mul_lo_u32 v2, v1, s8
	v_sub_u32_e32 v0, v0, v2
	v_mul_lo_u32 v4, v0, s2
	v_mul_lo_u32 v11, v0, s3
	s_cbranch_scc1 .LBB175_1151
; %bb.1150:
	s_load_dwordx4 s[8:11], s[34:35], 0x10
	s_load_dwordx2 s[2:3], s[34:35], 0xcc
	s_waitcnt lgkmcnt(0)
	v_mul_hi_u32 v0, s9, v1
	v_add_u32_e32 v0, v1, v0
	v_lshrrev_b32_e32 v0, s10, v0
	v_mul_lo_u32 v0, v0, s8
	v_sub_u32_e32 v0, v1, v0
	v_mad_u64_u32 v[4:5], s[6:7], v0, s2, v[4:5]
	v_mad_u64_u32 v[11:12], s[2:3], v0, s3, v[11:12]
.LBB175_1151:
	s_and_b64 vcc, exec, s[0:1]
	v_add_u32_e32 v0, 0x100, v8
	s_cbranch_vccnz .LBB175_1157
; %bb.1152:
	s_cmp_lg_u32 s33, 0
	s_mov_b32 s36, 0
	s_cbranch_scc0 .LBB175_1158
; %bb.1153:
	s_min_u32 s37, s74, 15
	s_add_i32 s37, s37, 1
	s_cmp_eq_u32 s74, 2
	s_cbranch_scc1 .LBB175_1159
; %bb.1154:
	s_and_b32 s36, s37, 28
	s_add_u32 s2, s34, 0xc4
	s_addc_u32 s3, s35, 0
	v_mov_b32_e32 v9, 0
	s_mov_b32 s38, 0
	s_mov_b64 s[6:7], s[34:35]
	v_mov_b32_e32 v2, 0
	v_mov_b32_e32 v1, v0
.LBB175_1155:                           ; =>This Inner Loop Header: Depth=1
	s_load_dwordx8 s[16:23], s[6:7], 0x4
	s_load_dwordx4 s[24:27], s[6:7], 0x24
	s_load_dwordx8 s[8:15], s[2:3], 0x0
	s_add_u32 s6, s6, 48
	s_addc_u32 s7, s7, 0
	s_waitcnt vmcnt(0) lgkmcnt(0)
	v_mul_hi_u32 v3, s17, v1
	s_add_i32 s38, s38, 4
	s_add_u32 s2, s2, 32
	s_addc_u32 s3, s3, 0
	v_add_u32_e32 v3, v1, v3
	v_lshrrev_b32_e32 v3, s18, v3
	v_mul_lo_u32 v5, v3, s16
	v_mul_hi_u32 v7, s20, v3
	s_cmp_lg_u32 s36, s38
	v_sub_u32_e32 v1, v1, v5
	v_add_u32_e32 v5, v3, v7
	v_mul_lo_u32 v7, v1, s8
	v_mul_lo_u32 v8, v1, s9
	v_lshrrev_b32_e32 v1, s21, v5
	v_mul_lo_u32 v5, v1, s19
	v_mul_hi_u32 v10, s23, v1
	v_sub_u32_e32 v3, v3, v5
	v_add_u32_e32 v5, v1, v10
	v_lshrrev_b32_e32 v5, s24, v5
	v_mul_hi_u32 v12, s26, v5
	v_mul_lo_u32 v14, v5, s22
	v_mul_lo_u32 v10, v3, s10
	;; [unrolled: 1-line block ×3, first 2 shown]
	v_sub_u32_e32 v14, v1, v14
	v_add_u32_e32 v1, v5, v12
	v_lshrrev_b32_e32 v1, s27, v1
	v_mul_lo_u32 v12, v1, s25
	v_mul_lo_u32 v16, v14, s12
	;; [unrolled: 1-line block ×3, first 2 shown]
	v_add3_u32 v2, v7, v2, v10
	v_sub_u32_e32 v5, v5, v12
	v_mul_lo_u32 v12, v5, s14
	v_mul_lo_u32 v5, v5, s15
	v_add3_u32 v3, v8, v9, v3
	v_add3_u32 v2, v16, v2, v12
	;; [unrolled: 1-line block ×3, first 2 shown]
	s_cbranch_scc1 .LBB175_1155
; %bb.1156:
	s_and_b32 s8, s37, 3
	s_cmp_eq_u32 s8, 0
	s_cbranch_scc0 .LBB175_1160
	s_branch .LBB175_1162
.LBB175_1157:
                                        ; implicit-def: $vgpr2
                                        ; implicit-def: $vgpr9
	s_branch .LBB175_1163
.LBB175_1158:
	v_mov_b32_e32 v2, 0
	v_mov_b32_e32 v9, 0
	s_branch .LBB175_1162
.LBB175_1159:
	v_mov_b32_e32 v2, 0
	v_mov_b32_e32 v9, 0
	;; [unrolled: 1-line block ×3, first 2 shown]
	s_and_b32 s8, s37, 3
	s_cmp_eq_u32 s8, 0
	s_cbranch_scc1 .LBB175_1162
.LBB175_1160:
	s_lshl_b32 s2, s36, 3
	s_add_u32 s2, s34, s2
	s_addc_u32 s3, s35, 0
	s_add_u32 s2, s2, 0xc4
	s_addc_u32 s3, s3, 0
	s_mul_i32 s6, s36, 12
	s_add_u32 s6, s34, s6
	s_addc_u32 s7, s35, 0
.LBB175_1161:                           ; =>This Inner Loop Header: Depth=1
	s_load_dwordx2 s[10:11], s[6:7], 0x4
	s_load_dword s9, s[6:7], 0xc
	s_load_dwordx2 s[12:13], s[2:3], 0x0
	s_add_u32 s6, s6, 12
	s_addc_u32 s7, s7, 0
	s_waitcnt vmcnt(0) lgkmcnt(0)
	v_mul_hi_u32 v3, s11, v1
	s_add_u32 s2, s2, 8
	s_addc_u32 s3, s3, 0
	s_add_i32 s8, s8, -1
	v_add_u32_e32 v3, v1, v3
	v_lshrrev_b32_e32 v5, s9, v3
	v_mul_lo_u32 v3, v5, s10
	s_cmp_lg_u32 s8, 0
	v_sub_u32_e32 v1, v1, v3
	v_mad_u64_u32 v[2:3], s[10:11], v1, s12, v[2:3]
	v_mad_u64_u32 v[9:10], s[10:11], v1, s13, v[9:10]
	v_mov_b32_e32 v1, v5
	s_cbranch_scc1 .LBB175_1161
.LBB175_1162:
	s_cbranch_execnz .LBB175_1165
.LBB175_1163:
	s_load_dwordx4 s[8:11], s[34:35], 0x4
	s_load_dwordx2 s[2:3], s[34:35], 0xc4
	s_cmp_lt_u32 s33, 2
	s_waitcnt lgkmcnt(0)
	v_mul_hi_u32 v1, s9, v0
	v_add_u32_e32 v1, v0, v1
	v_lshrrev_b32_e32 v1, s10, v1
	v_mul_lo_u32 v2, v1, s8
	v_sub_u32_e32 v0, v0, v2
	v_mul_lo_u32 v2, v0, s2
	v_mul_lo_u32 v9, v0, s3
	s_cbranch_scc1 .LBB175_1165
; %bb.1164:
	s_load_dwordx4 s[8:11], s[34:35], 0x10
	s_load_dwordx2 s[2:3], s[34:35], 0xcc
	s_waitcnt lgkmcnt(0)
	v_mul_hi_u32 v0, s9, v1
	v_add_u32_e32 v0, v1, v0
	v_lshrrev_b32_e32 v0, s10, v0
	v_mul_lo_u32 v0, v0, s8
	v_sub_u32_e32 v0, v1, v0
	s_waitcnt vmcnt(0)
	v_mad_u64_u32 v[2:3], s[6:7], v0, s2, v[2:3]
	v_mad_u64_u32 v[9:10], s[2:3], v0, s3, v[9:10]
.LBB175_1165:
	s_and_b64 vcc, exec, s[0:1]
	s_cbranch_vccnz .LBB175_1171
; %bb.1166:
	s_cmp_lg_u32 s33, 0
	s_mov_b32 s26, 0
	s_cbranch_scc0 .LBB175_1172
; %bb.1167:
	s_min_u32 s27, s74, 15
	s_add_i32 s27, s27, 1
	s_cmp_eq_u32 s74, 2
	s_cbranch_scc1 .LBB175_1173
; %bb.1168:
	s_and_b32 s26, s27, 28
	s_add_u32 s6, s34, 0xc4
	s_addc_u32 s7, s35, 0
	v_mov_b32_e32 v7, 0
	s_mov_b32 s36, 0
	s_mov_b64 s[24:25], s[34:35]
	v_mov_b32_e32 v0, 0
	v_mov_b32_e32 v1, v15
.LBB175_1169:                           ; =>This Inner Loop Header: Depth=1
	s_load_dwordx8 s[16:23], s[24:25], 0x4
	s_load_dwordx4 s[0:3], s[24:25], 0x24
	s_load_dwordx8 s[8:15], s[6:7], 0x0
	s_add_u32 s24, s24, 48
	s_addc_u32 s25, s25, 0
	s_waitcnt vmcnt(0) lgkmcnt(0)
	v_mul_hi_u32 v3, s17, v1
	s_add_i32 s36, s36, 4
	s_add_u32 s6, s6, 32
	s_addc_u32 s7, s7, 0
	v_add_u32_e32 v3, v1, v3
	v_lshrrev_b32_e32 v3, s18, v3
	v_mul_lo_u32 v5, v3, s16
	v_mul_hi_u32 v8, s20, v3
	s_cmp_lg_u32 s26, s36
	v_sub_u32_e32 v1, v1, v5
	v_add_u32_e32 v5, v3, v8
	v_mul_lo_u32 v8, v1, s8
	v_mul_lo_u32 v10, v1, s9
	v_lshrrev_b32_e32 v1, s21, v5
	v_mul_lo_u32 v5, v1, s19
	v_mul_hi_u32 v12, s23, v1
	v_sub_u32_e32 v3, v3, v5
	v_add_u32_e32 v5, v1, v12
	v_lshrrev_b32_e32 v5, s0, v5
	v_mul_hi_u32 v14, s2, v5
	v_mul_lo_u32 v16, v5, s22
	v_mul_lo_u32 v12, v3, s10
	;; [unrolled: 1-line block ×3, first 2 shown]
	v_sub_u32_e32 v16, v1, v16
	v_add_u32_e32 v1, v5, v14
	v_lshrrev_b32_e32 v1, s3, v1
	v_mul_lo_u32 v14, v1, s1
	v_mul_lo_u32 v17, v16, s12
	;; [unrolled: 1-line block ×3, first 2 shown]
	v_add3_u32 v0, v8, v0, v12
	v_sub_u32_e32 v5, v5, v14
	v_mul_lo_u32 v14, v5, s14
	v_mul_lo_u32 v5, v5, s15
	v_add3_u32 v3, v10, v7, v3
	v_add3_u32 v0, v17, v0, v14
	;; [unrolled: 1-line block ×3, first 2 shown]
	s_cbranch_scc1 .LBB175_1169
; %bb.1170:
	s_and_b32 s6, s27, 3
	s_cmp_eq_u32 s6, 0
	s_cbranch_scc0 .LBB175_1174
	s_branch .LBB175_1176
.LBB175_1171:
                                        ; implicit-def: $vgpr0
                                        ; implicit-def: $vgpr7
	s_branch .LBB175_1177
.LBB175_1172:
	v_mov_b32_e32 v0, 0
	v_mov_b32_e32 v7, 0
	s_branch .LBB175_1176
.LBB175_1173:
	v_mov_b32_e32 v0, 0
	v_mov_b32_e32 v7, 0
	;; [unrolled: 1-line block ×3, first 2 shown]
	s_and_b32 s6, s27, 3
	s_cmp_eq_u32 s6, 0
	s_cbranch_scc1 .LBB175_1176
.LBB175_1174:
	s_lshl_b32 s0, s26, 3
	s_add_u32 s0, s34, s0
	s_addc_u32 s1, s35, 0
	s_add_u32 s0, s0, 0xc4
	s_addc_u32 s1, s1, 0
	s_mul_i32 s2, s26, 12
	s_add_u32 s2, s34, s2
	s_addc_u32 s3, s35, 0
.LBB175_1175:                           ; =>This Inner Loop Header: Depth=1
	s_load_dwordx2 s[8:9], s[2:3], 0x4
	s_load_dword s7, s[2:3], 0xc
	s_load_dwordx2 s[10:11], s[0:1], 0x0
	s_add_u32 s2, s2, 12
	s_addc_u32 s3, s3, 0
	s_waitcnt vmcnt(0) lgkmcnt(0)
	v_mul_hi_u32 v3, s9, v1
	s_add_u32 s0, s0, 8
	s_addc_u32 s1, s1, 0
	s_add_i32 s6, s6, -1
	v_add_u32_e32 v3, v1, v3
	v_lshrrev_b32_e32 v3, s7, v3
	v_mul_lo_u32 v5, v3, s8
	s_cmp_lg_u32 s6, 0
	v_sub_u32_e32 v5, v1, v5
	v_mad_u64_u32 v[0:1], s[8:9], v5, s10, v[0:1]
	v_mad_u64_u32 v[7:8], s[8:9], v5, s11, v[7:8]
	v_mov_b32_e32 v1, v3
	s_cbranch_scc1 .LBB175_1175
.LBB175_1176:
	s_cbranch_execnz .LBB175_1179
.LBB175_1177:
	s_load_dwordx4 s[0:3], s[34:35], 0x4
	s_load_dwordx2 s[6:7], s[34:35], 0xc4
	s_cmp_lt_u32 s33, 2
	s_waitcnt lgkmcnt(0)
	v_mul_hi_u32 v0, s1, v15
	v_add_u32_e32 v0, v15, v0
	v_lshrrev_b32_e32 v1, s2, v0
	v_mul_lo_u32 v0, v1, s0
	s_waitcnt vmcnt(0)
	v_sub_u32_e32 v3, v15, v0
	v_mul_lo_u32 v0, v3, s6
	v_mul_lo_u32 v7, v3, s7
	s_cbranch_scc1 .LBB175_1179
; %bb.1178:
	s_load_dwordx4 s[0:3], s[34:35], 0x10
	s_load_dwordx2 s[6:7], s[34:35], 0xcc
	s_waitcnt lgkmcnt(0)
	v_mul_hi_u32 v3, s1, v1
	v_add_u32_e32 v3, v1, v3
	v_lshrrev_b32_e32 v3, s2, v3
	v_mul_lo_u32 v3, v3, s0
	v_sub_u32_e32 v3, v1, v3
	v_mad_u64_u32 v[0:1], s[0:1], v3, s6, v[0:1]
	v_mad_u64_u32 v[7:8], s[0:1], v3, s7, v[7:8]
.LBB175_1179:
	s_load_dwordx4 s[8:11], s[34:35], 0x148
	s_load_dword s18, s[4:5], 0x168
	s_waitcnt lgkmcnt(0)
	v_mov_b32_e32 v1, s11
	s_bfe_u32 s14, s18, 0x80008
	v_add_co_u32_e32 v12, vcc, s10, v13
	s_cmp_lt_i32 s14, 11
	v_addc_co_u32_e32 v13, vcc, 0, v1, vcc
	s_cbranch_scc1 .LBB175_1186
; %bb.1180:
	s_and_b32 s15, 0xffff, s14
	s_cmp_gt_i32 s15, 25
	s_mov_b64 s[4:5], 0
	s_cbranch_scc0 .LBB175_1188
; %bb.1181:
	s_cmp_gt_i32 s15, 28
	s_cbranch_scc0 .LBB175_1189
; %bb.1182:
	s_cmp_gt_i32 s15, 43
	;; [unrolled: 3-line block ×3, first 2 shown]
	s_cbranch_scc0 .LBB175_1191
; %bb.1184:
	s_cmp_eq_u32 s15, 46
	s_mov_b64 s[2:3], 0
	s_cbranch_scc0 .LBB175_1194
; %bb.1185:
	global_load_dword v1, v[12:13], off
	s_mov_b64 s[0:1], 0
	s_mov_b64 s[6:7], -1
	s_waitcnt vmcnt(0)
	v_and_b32_e32 v3, 0xffff0000, v1
	s_branch .LBB175_1195
.LBB175_1186:
	s_mov_b64 s[6:7], 0
                                        ; implicit-def: $vgpr3
                                        ; implicit-def: $vgpr1
	s_mov_b64 s[2:3], s[28:29]
	s_cbranch_execnz .LBB175_1261
.LBB175_1187:
	s_andn2_b64 vcc, exec, s[6:7]
	s_cbranch_vccz .LBB175_1308
	s_branch .LBB175_1725
.LBB175_1188:
	s_mov_b64 s[6:7], 0
	s_mov_b64 s[0:1], 0
                                        ; implicit-def: $vgpr3
                                        ; implicit-def: $vgpr1
	s_cbranch_execnz .LBB175_1225
	s_branch .LBB175_1257
.LBB175_1189:
	s_mov_b64 s[6:7], 0
	s_mov_b64 s[0:1], 0
                                        ; implicit-def: $vgpr3
                                        ; implicit-def: $vgpr1
	s_cbranch_execnz .LBB175_1207
	s_branch .LBB175_1224
.LBB175_1190:
	s_mov_b64 s[2:3], -1
	s_mov_b64 s[6:7], 0
	s_mov_b64 s[0:1], 0
                                        ; implicit-def: $vgpr3
                                        ; implicit-def: $vgpr1
	s_branch .LBB175_1201
.LBB175_1191:
	s_mov_b64 s[2:3], -1
	s_mov_b64 s[6:7], 0
	s_mov_b64 s[0:1], 0
                                        ; implicit-def: $vgpr3
                                        ; implicit-def: $vgpr1
	s_branch .LBB175_1195
.LBB175_1192:
	s_andn2_saveexec_b64 s[16:17], s[16:17]
	s_cbranch_execz .LBB175_1030
.LBB175_1193:
	v_add_f32_e32 v0, 0x46000000, v3
	v_and_b32_e32 v0, 0xff, v0
	v_cmp_ne_u32_e32 vcc, 0, v0
	s_andn2_b64 s[14:15], s[14:15], exec
	s_and_b64 s[18:19], vcc, exec
	s_or_b64 s[14:15], s[14:15], s[18:19]
	s_or_b64 exec, exec, s[16:17]
	v_mov_b32_e32 v4, 0
	s_and_saveexec_b64 s[16:17], s[14:15]
	s_cbranch_execnz .LBB175_1031
	s_branch .LBB175_1032
.LBB175_1194:
	s_mov_b64 s[0:1], -1
                                        ; implicit-def: $vgpr3
                                        ; implicit-def: $vgpr1
	s_mov_b64 s[6:7], 0
.LBB175_1195:
	s_and_b64 vcc, exec, s[2:3]
	s_cbranch_vccz .LBB175_1200
; %bb.1196:
	s_cmp_eq_u32 s15, 44
	s_cbranch_scc0 .LBB175_1198
; %bb.1197:
	global_load_ubyte v1, v[12:13], off
	s_movk_i32 s2, 0xff
	s_waitcnt vmcnt(1)
	v_mov_b32_e32 v3, 0x7f800001
	v_mov_b32_e32 v5, 0x400000
	;; [unrolled: 1-line block ×3, first 2 shown]
	s_mov_b64 s[0:1], 0
	s_mov_b64 s[6:7], -1
	s_waitcnt vmcnt(0)
	v_lshlrev_b32_e32 v10, 23, v1
	v_cmp_ne_u32_e32 vcc, s2, v1
	v_cndmask_b32_e32 v3, v3, v10, vcc
	v_cmp_ne_u32_e32 vcc, 0, v1
	v_cndmask_b32_e32 v1, v5, v3, vcc
	v_add_u32_e32 v3, 0x7fff, v1
	v_cmp_o_f32_e32 vcc, v1, v1
	v_cndmask_b32_sdwa v1, v8, v3, vcc dst_sel:DWORD dst_unused:UNUSED_PAD src0_sel:DWORD src1_sel:WORD_1
	s_branch .LBB175_1199
.LBB175_1198:
	s_mov_b64 s[0:1], -1
                                        ; implicit-def: $vgpr1
.LBB175_1199:
	s_waitcnt vmcnt(0)
	v_mov_b32_e32 v3, 0
.LBB175_1200:
	s_mov_b64 s[2:3], 0
.LBB175_1201:
	s_and_b64 vcc, exec, s[2:3]
	s_cbranch_vccz .LBB175_1206
; %bb.1202:
	s_cmp_eq_u32 s15, 29
	s_cbranch_scc0 .LBB175_1204
; %bb.1203:
	global_load_dwordx2 v[14:15], v[12:13], off
	s_movk_i32 s2, 0x7fff
	s_mov_b64 s[0:1], 0
	s_mov_b64 s[6:7], -1
	s_waitcnt vmcnt(0)
	v_ffbh_u32_e32 v1, v15
	v_min_u32_e32 v1, 32, v1
	v_lshlrev_b64 v[14:15], v1, v[14:15]
	v_sub_u32_e32 v1, 32, v1
	v_min_u32_e32 v3, 1, v14
	v_or_b32_e32 v3, v15, v3
	v_cvt_f32_u32_e32 v3, v3
	v_ldexp_f32 v1, v3, v1
	v_bfe_u32 v3, v1, 16, 1
	v_add3_u32 v1, v1, v3, s2
	v_lshrrev_b32_e32 v1, 16, v1
	s_branch .LBB175_1205
.LBB175_1204:
	s_mov_b64 s[0:1], -1
                                        ; implicit-def: $vgpr1
.LBB175_1205:
	s_waitcnt vmcnt(0)
	v_mov_b32_e32 v3, 0
.LBB175_1206:
	s_branch .LBB175_1224
.LBB175_1207:
	s_cmp_lt_i32 s15, 27
	s_cbranch_scc1 .LBB175_1210
; %bb.1208:
	s_cmp_gt_i32 s15, 27
	s_cbranch_scc0 .LBB175_1211
; %bb.1209:
	global_load_dword v1, v[12:13], off
	s_movk_i32 s2, 0x7fff
	s_waitcnt vmcnt(0)
	v_cvt_f32_u32_e32 v1, v1
	v_bfe_u32 v3, v1, 16, 1
	v_add3_u32 v1, v1, v3, s2
	v_lshrrev_b32_e32 v1, 16, v1
	s_mov_b64 s[2:3], 0
	s_branch .LBB175_1212
.LBB175_1210:
	s_mov_b64 s[2:3], -1
                                        ; implicit-def: $vgpr1
	s_branch .LBB175_1215
.LBB175_1211:
	s_mov_b64 s[2:3], -1
                                        ; implicit-def: $vgpr1
.LBB175_1212:
	s_andn2_b64 vcc, exec, s[2:3]
	s_cbranch_vccnz .LBB175_1214
; %bb.1213:
	global_load_ushort v1, v[12:13], off
	s_movk_i32 s2, 0x7fff
	s_waitcnt vmcnt(0)
	v_cvt_f32_u32_e32 v1, v1
	v_bfe_u32 v3, v1, 16, 1
	v_add3_u32 v1, v1, v3, s2
	v_lshrrev_b32_e32 v1, 16, v1
.LBB175_1214:
	s_mov_b64 s[2:3], 0
.LBB175_1215:
	s_andn2_b64 vcc, exec, s[2:3]
	s_cbranch_vccnz .LBB175_1223
; %bb.1216:
	global_load_ubyte v1, v[12:13], off
	s_movk_i32 s2, 0x7f
	s_waitcnt vmcnt(0)
	v_cmp_lt_i16_e32 vcc, s2, v1
	s_mov_b64 s[2:3], 0
	s_and_saveexec_b64 s[6:7], vcc
	s_xor_b64 s[6:7], exec, s[6:7]
	s_cbranch_execz .LBB175_1236
; %bb.1217:
	s_movk_i32 s2, 0x80
	v_cmp_eq_u16_e32 vcc, s2, v1
	s_mov_b64 s[2:3], -1
	s_and_saveexec_b64 s[12:13], vcc
; %bb.1218:
	s_xor_b64 s[2:3], exec, -1
; %bb.1219:
	s_or_b64 exec, exec, s[12:13]
	s_and_b64 s[2:3], s[2:3], exec
	s_or_saveexec_b64 s[6:7], s[6:7]
	v_mov_b32_e32 v3, 0x7f800001
	s_xor_b64 exec, exec, s[6:7]
	s_cbranch_execnz .LBB175_1237
.LBB175_1220:
	s_or_b64 exec, exec, s[6:7]
	s_and_saveexec_b64 s[6:7], s[2:3]
	s_cbranch_execz .LBB175_1222
.LBB175_1221:
	v_lshlrev_b32_e32 v3, 24, v1
	v_and_b32_e32 v1, 0xffff, v1
	v_and_b32_e32 v5, 7, v1
	v_ffbh_u32_e32 v10, v5
	v_min_u32_e32 v10, 32, v10
	v_subrev_u32_e32 v14, 28, v10
	v_bfe_u32 v8, v1, 3, 4
	v_lshlrev_b32_e32 v1, v14, v1
	v_sub_u32_e32 v10, 29, v10
	v_and_b32_e32 v1, 7, v1
	v_cmp_eq_u32_e32 vcc, 0, v8
	v_cndmask_b32_e32 v8, v8, v10, vcc
	v_cndmask_b32_e32 v1, v5, v1, vcc
	v_mov_b32_e32 v5, 0x3b800000
	v_lshlrev_b32_e32 v1, 20, v1
	v_and_b32_e32 v3, 0x80000000, v3
	v_lshl_add_u32 v5, v8, 23, v5
	v_or3_b32 v3, v3, v5, v1
.LBB175_1222:
	s_or_b64 exec, exec, s[6:7]
	v_bfe_u32 v1, v3, 16, 1
	s_movk_i32 s2, 0x7fff
	v_add3_u32 v1, v3, v1, s2
	v_cmp_o_f32_e32 vcc, v3, v3
	v_mov_b32_e32 v3, 0x7fc0
	v_cndmask_b32_sdwa v1, v3, v1, vcc dst_sel:DWORD dst_unused:UNUSED_PAD src0_sel:DWORD src1_sel:WORD_1
.LBB175_1223:
	s_mov_b64 s[6:7], -1
	s_waitcnt vmcnt(0)
	v_mov_b32_e32 v3, 0
.LBB175_1224:
	s_branch .LBB175_1257
.LBB175_1225:
	s_cmp_gt_i32 s15, 22
	s_cbranch_scc0 .LBB175_1235
; %bb.1226:
	s_cmp_lt_i32 s15, 24
	s_cbranch_scc1 .LBB175_1238
; %bb.1227:
	s_cmp_gt_i32 s15, 24
	s_cbranch_scc0 .LBB175_1239
; %bb.1228:
	global_load_ubyte v1, v[12:13], off
	s_movk_i32 s2, 0x7f
	s_waitcnt vmcnt(0)
	v_cmp_lt_i16_e32 vcc, s2, v1
	s_mov_b64 s[2:3], 0
	s_and_saveexec_b64 s[4:5], vcc
	s_xor_b64 s[4:5], exec, s[4:5]
	s_cbranch_execz .LBB175_1250
; %bb.1229:
	s_movk_i32 s2, 0x80
	v_cmp_eq_u16_e32 vcc, s2, v1
	s_mov_b64 s[2:3], -1
	s_and_saveexec_b64 s[6:7], vcc
; %bb.1230:
	s_xor_b64 s[2:3], exec, -1
; %bb.1231:
	s_or_b64 exec, exec, s[6:7]
	s_and_b64 s[2:3], s[2:3], exec
	s_or_saveexec_b64 s[4:5], s[4:5]
	v_mov_b32_e32 v3, 0x7f800001
	s_xor_b64 exec, exec, s[4:5]
	s_cbranch_execnz .LBB175_1251
.LBB175_1232:
	s_or_b64 exec, exec, s[4:5]
	s_and_saveexec_b64 s[4:5], s[2:3]
	s_cbranch_execz .LBB175_1234
.LBB175_1233:
	v_lshlrev_b32_e32 v3, 24, v1
	v_and_b32_e32 v1, 0xffff, v1
	v_and_b32_e32 v5, 3, v1
	v_ffbh_u32_e32 v10, v5
	v_min_u32_e32 v10, 32, v10
	v_subrev_u32_e32 v14, 29, v10
	v_bfe_u32 v8, v1, 2, 5
	v_lshlrev_b32_e32 v1, v14, v1
	v_sub_u32_e32 v10, 30, v10
	v_and_b32_e32 v1, 3, v1
	v_cmp_eq_u32_e32 vcc, 0, v8
	v_cndmask_b32_e32 v8, v8, v10, vcc
	v_cndmask_b32_e32 v1, v5, v1, vcc
	v_mov_b32_e32 v5, 0x37800000
	v_lshlrev_b32_e32 v1, 21, v1
	v_and_b32_e32 v3, 0x80000000, v3
	v_lshl_add_u32 v5, v8, 23, v5
	v_or3_b32 v3, v3, v5, v1
.LBB175_1234:
	s_or_b64 exec, exec, s[4:5]
	v_bfe_u32 v1, v3, 16, 1
	s_movk_i32 s2, 0x7fff
	v_add3_u32 v1, v3, v1, s2
	v_cmp_o_f32_e32 vcc, v3, v3
	v_mov_b32_e32 v3, 0x7fc0
	v_cndmask_b32_sdwa v1, v3, v1, vcc dst_sel:DWORD dst_unused:UNUSED_PAD src0_sel:DWORD src1_sel:WORD_1
	s_mov_b64 s[2:3], 0
	s_branch .LBB175_1240
.LBB175_1235:
                                        ; implicit-def: $vgpr1
	s_mov_b64 s[4:5], 0
	s_branch .LBB175_1246
.LBB175_1236:
	s_or_saveexec_b64 s[6:7], s[6:7]
	v_mov_b32_e32 v3, 0x7f800001
	s_xor_b64 exec, exec, s[6:7]
	s_cbranch_execz .LBB175_1220
.LBB175_1237:
	v_cmp_ne_u16_e32 vcc, 0, v1
	s_andn2_b64 s[2:3], s[2:3], exec
	s_and_b64 s[12:13], vcc, exec
	v_mov_b32_e32 v3, 0
	s_or_b64 s[2:3], s[2:3], s[12:13]
	s_or_b64 exec, exec, s[6:7]
	s_and_saveexec_b64 s[6:7], s[2:3]
	s_cbranch_execnz .LBB175_1221
	s_branch .LBB175_1222
.LBB175_1238:
	s_mov_b64 s[2:3], -1
                                        ; implicit-def: $vgpr1
	s_branch .LBB175_1243
.LBB175_1239:
	s_mov_b64 s[2:3], -1
                                        ; implicit-def: $vgpr1
.LBB175_1240:
	s_and_b64 vcc, exec, s[2:3]
	s_cbranch_vccz .LBB175_1242
; %bb.1241:
	global_load_ubyte v1, v[12:13], off
	s_mov_b32 s2, 0x7f800000
	s_brev_b32 s3, 1
	s_movk_i32 s4, 0x7fff
	s_waitcnt vmcnt(0)
	v_lshlrev_b32_e32 v1, 24, v1
	v_and_b32_e32 v3, 0x7f000000, v1
	v_ffbh_u32_e32 v5, v3
	v_min_u32_e32 v5, 32, v5
	v_sub_u32_e64 v5, v5, 4 clamp
	v_lshlrev_b32_e32 v10, v5, v3
	v_lshlrev_b32_e32 v5, 23, v5
	v_lshrrev_b32_e32 v10, 4, v10
	v_add_u32_e32 v8, 0x1000000, v3
	v_sub_u32_e32 v5, v10, v5
	v_ashrrev_i32_e32 v8, 8, v8
	v_add_u32_e32 v5, 0x3c000000, v5
	v_and_or_b32 v5, v8, s2, v5
	v_cmp_ne_u32_e32 vcc, 0, v3
	v_cndmask_b32_e32 v3, 0, v5, vcc
	v_and_or_b32 v1, v1, s3, v3
	v_bfe_u32 v3, v3, 16, 1
	v_add3_u32 v3, v1, v3, s4
	v_cmp_o_f32_e32 vcc, v1, v1
	v_mov_b32_e32 v1, 0x7fc0
	v_cndmask_b32_sdwa v1, v1, v3, vcc dst_sel:DWORD dst_unused:UNUSED_PAD src0_sel:DWORD src1_sel:WORD_1
.LBB175_1242:
	s_mov_b64 s[2:3], 0
.LBB175_1243:
	s_andn2_b64 vcc, exec, s[2:3]
	s_cbranch_vccnz .LBB175_1245
; %bb.1244:
	global_load_ubyte v1, v[12:13], off
	s_movk_i32 s2, 0x7f00
	s_brev_b32 s3, 16
	s_brev_b32 s4, 1
	s_movk_i32 s5, 0x7fff
	s_waitcnt vmcnt(0)
	v_lshlrev_b16_e32 v3, 8, v1
	v_lshlrev_b32_e32 v1, 25, v1
	v_lshrrev_b32_e32 v5, 4, v1
	v_and_or_b32 v8, v3, s2, 0.5
	v_or_b32_e32 v5, 0x70000000, v5
	v_add_f32_e32 v8, -0.5, v8
	v_mul_f32_e32 v5, 0x7800000, v5
	v_cmp_gt_u32_e32 vcc, s3, v1
	v_bfe_i32 v3, v3, 0, 16
	v_cndmask_b32_e32 v1, v5, v8, vcc
	v_and_or_b32 v3, v3, s4, v1
	v_bfe_u32 v1, v1, 16, 1
	v_add3_u32 v1, v3, v1, s5
	v_cmp_o_f32_e32 vcc, v3, v3
	v_mov_b32_e32 v3, 0x7fc0
	v_cndmask_b32_sdwa v1, v3, v1, vcc dst_sel:DWORD dst_unused:UNUSED_PAD src0_sel:DWORD src1_sel:WORD_1
.LBB175_1245:
	s_mov_b64 s[6:7], -1
	s_mov_b64 s[4:5], 0
	s_cbranch_execnz .LBB175_1256
.LBB175_1246:
	s_cmp_gt_i32 s15, 14
	s_cbranch_scc0 .LBB175_1249
; %bb.1247:
	s_cmp_eq_u32 s15, 15
	s_cbranch_scc0 .LBB175_1252
; %bb.1248:
	global_load_ushort v1, v[12:13], off
	s_mov_b64 s[0:1], 0
	s_mov_b64 s[6:7], -1
	s_branch .LBB175_1253
.LBB175_1249:
	s_mov_b64 s[2:3], -1
                                        ; implicit-def: $vgpr1
	s_branch .LBB175_1254
.LBB175_1250:
	s_or_saveexec_b64 s[4:5], s[4:5]
	v_mov_b32_e32 v3, 0x7f800001
	s_xor_b64 exec, exec, s[4:5]
	s_cbranch_execz .LBB175_1232
.LBB175_1251:
	v_cmp_ne_u16_e32 vcc, 0, v1
	s_andn2_b64 s[2:3], s[2:3], exec
	s_and_b64 s[6:7], vcc, exec
	v_mov_b32_e32 v3, 0
	s_or_b64 s[2:3], s[2:3], s[6:7]
	s_or_b64 exec, exec, s[4:5]
	s_and_saveexec_b64 s[4:5], s[2:3]
	s_cbranch_execnz .LBB175_1233
	s_branch .LBB175_1234
.LBB175_1252:
	s_mov_b64 s[0:1], -1
                                        ; implicit-def: $vgpr1
.LBB175_1253:
	s_mov_b64 s[2:3], 0
.LBB175_1254:
	s_and_b64 vcc, exec, s[2:3]
	s_cbranch_vccz .LBB175_1256
; %bb.1255:
	s_cmp_lg_u32 s15, 11
	s_mov_b64 s[4:5], -1
	s_cselect_b64 s[0:1], -1, 0
.LBB175_1256:
	s_waitcnt vmcnt(0)
	v_mov_b32_e32 v3, 0
.LBB175_1257:
	s_and_b64 vcc, exec, s[0:1]
	s_mov_b64 s[2:3], s[28:29]
	s_cbranch_vccnz .LBB175_1324
; %bb.1258:
	s_andn2_b64 vcc, exec, s[4:5]
	s_cbranch_vccnz .LBB175_1260
.LBB175_1259:
	global_load_ubyte v1, v[12:13], off
	s_mov_b64 s[6:7], -1
	s_waitcnt vmcnt(1)
	v_mov_b32_e32 v3, 0
	s_waitcnt vmcnt(0)
	v_cmp_ne_u16_e32 vcc, 0, v1
	v_cndmask_b32_e64 v1, 0, 1.0, vcc
	v_lshrrev_b32_e32 v1, 16, v1
.LBB175_1260:
	s_branch .LBB175_1187
.LBB175_1261:
	s_and_b32 s4, 0xffff, s14
	s_cmp_lt_i32 s4, 5
	s_cbranch_scc1 .LBB175_1266
; %bb.1262:
	s_cmp_lt_i32 s4, 8
	s_cbranch_scc1 .LBB175_1268
; %bb.1263:
	;; [unrolled: 3-line block ×3, first 2 shown]
	s_cmp_gt_i32 s4, 9
	s_cbranch_scc0 .LBB175_1270
; %bb.1265:
	global_load_dwordx4 v[14:17], v[12:13], off
	s_movk_i32 s0, 0x7fff
	v_mov_b32_e32 v5, 0x7fc0
	v_mov_b32_e32 v8, 0x7fc00000
	s_waitcnt vmcnt(0)
	v_cvt_f32_f64_e32 v1, v[14:15]
	v_cvt_f32_f64_e32 v3, v[16:17]
	v_bfe_u32 v10, v1, 16, 1
	v_bfe_u32 v14, v3, 16, 1
	v_cmp_o_f32_e32 vcc, v1, v1
	v_add3_u32 v1, v1, v10, s0
	v_add3_u32 v10, v3, v14, s0
	v_cndmask_b32_sdwa v1, v5, v1, vcc dst_sel:DWORD dst_unused:UNUSED_PAD src0_sel:DWORD src1_sel:WORD_1
	v_and_b32_e32 v5, 0xffff0000, v10
	v_cmp_o_f32_e32 vcc, v3, v3
	v_cndmask_b32_e32 v3, v8, v5, vcc
	s_mov_b64 s[0:1], 0
	s_branch .LBB175_1271
.LBB175_1266:
                                        ; implicit-def: $vgpr3
                                        ; implicit-def: $vgpr1
	s_branch .LBB175_1289
.LBB175_1267:
	s_branch .LBB175_1308
.LBB175_1268:
                                        ; implicit-def: $vgpr3
                                        ; implicit-def: $vgpr1
	s_branch .LBB175_1277
.LBB175_1269:
	s_mov_b64 s[0:1], -1
                                        ; implicit-def: $vgpr3
                                        ; implicit-def: $vgpr1
	s_branch .LBB175_1274
.LBB175_1270:
	s_mov_b64 s[0:1], -1
                                        ; implicit-def: $vgpr3
                                        ; implicit-def: $vgpr1
.LBB175_1271:
	s_andn2_b64 vcc, exec, s[0:1]
	s_cbranch_vccnz .LBB175_1273
; %bb.1272:
	global_load_dwordx2 v[14:15], v[12:13], off
	s_movk_i32 s0, 0x7fff
	v_mov_b32_e32 v1, 0x7fc0
	s_waitcnt vmcnt(1)
	v_mov_b32_e32 v3, 0x7fc00000
	s_waitcnt vmcnt(0)
	v_bfe_u32 v5, v14, 16, 1
	v_bfe_u32 v8, v15, 16, 1
	v_cmp_o_f32_e32 vcc, v14, v14
	v_add3_u32 v5, v14, v5, s0
	v_add3_u32 v8, v15, v8, s0
	v_cndmask_b32_sdwa v1, v1, v5, vcc dst_sel:DWORD dst_unused:UNUSED_PAD src0_sel:DWORD src1_sel:WORD_1
	v_and_b32_e32 v5, 0xffff0000, v8
	v_cmp_o_f32_e32 vcc, v15, v15
	v_cndmask_b32_e32 v3, v3, v5, vcc
.LBB175_1273:
	s_mov_b64 s[0:1], 0
.LBB175_1274:
	s_andn2_b64 vcc, exec, s[0:1]
	s_cbranch_vccnz .LBB175_1276
; %bb.1275:
	global_load_dword v3, v[12:13], off
	s_movk_i32 s0, 0x7fff
	v_mov_b32_e32 v1, 0x7fc0
	v_mov_b32_e32 v10, 0x7fc00000
	s_waitcnt vmcnt(0)
	v_cvt_f32_f16_e32 v5, v3
	v_cvt_f32_f16_sdwa v8, v3 dst_sel:DWORD dst_unused:UNUSED_PAD src0_sel:WORD_1
	v_cmp_o_f16_e32 vcc, v3, v3
	v_bfe_u32 v14, v5, 16, 1
	v_bfe_u32 v15, v8, 16, 1
	v_add3_u32 v5, v5, v14, s0
	v_add3_u32 v8, v8, v15, s0
	v_cndmask_b32_sdwa v1, v1, v5, vcc dst_sel:DWORD dst_unused:UNUSED_PAD src0_sel:DWORD src1_sel:WORD_1
	v_and_b32_e32 v5, 0xffff0000, v8
	v_cmp_o_f16_sdwa vcc, v3, v3 src0_sel:WORD_1 src1_sel:WORD_1
	v_cndmask_b32_e32 v3, v10, v5, vcc
.LBB175_1276:
	s_cbranch_execnz .LBB175_1288
.LBB175_1277:
	s_cmp_lt_i32 s4, 6
	s_cbranch_scc1 .LBB175_1280
; %bb.1278:
	s_cmp_gt_i32 s4, 6
	s_cbranch_scc0 .LBB175_1281
; %bb.1279:
	global_load_dwordx2 v[14:15], v[12:13], off
	s_movk_i32 s0, 0x7fff
	s_waitcnt vmcnt(1)
	v_mov_b32_e32 v3, 0x7fc0
	s_waitcnt vmcnt(0)
	v_cvt_f32_f64_e32 v1, v[14:15]
	v_bfe_u32 v5, v1, 16, 1
	v_cmp_o_f32_e32 vcc, v1, v1
	v_add3_u32 v1, v1, v5, s0
	v_cndmask_b32_sdwa v1, v3, v1, vcc dst_sel:DWORD dst_unused:UNUSED_PAD src0_sel:DWORD src1_sel:WORD_1
	s_mov_b64 s[0:1], 0
	s_branch .LBB175_1282
.LBB175_1280:
	s_mov_b64 s[0:1], -1
                                        ; implicit-def: $vgpr1
	s_branch .LBB175_1285
.LBB175_1281:
	s_mov_b64 s[0:1], -1
                                        ; implicit-def: $vgpr1
.LBB175_1282:
	s_andn2_b64 vcc, exec, s[0:1]
	s_cbranch_vccnz .LBB175_1284
; %bb.1283:
	global_load_dword v1, v[12:13], off
	s_movk_i32 s0, 0x7fff
	s_waitcnt vmcnt(1)
	v_mov_b32_e32 v3, 0x7fc0
	s_waitcnt vmcnt(0)
	v_bfe_u32 v5, v1, 16, 1
	v_cmp_o_f32_e32 vcc, v1, v1
	v_add3_u32 v1, v1, v5, s0
	v_cndmask_b32_sdwa v1, v3, v1, vcc dst_sel:DWORD dst_unused:UNUSED_PAD src0_sel:DWORD src1_sel:WORD_1
.LBB175_1284:
	s_mov_b64 s[0:1], 0
.LBB175_1285:
	s_andn2_b64 vcc, exec, s[0:1]
	s_cbranch_vccnz .LBB175_1287
; %bb.1286:
	global_load_ushort v1, v[12:13], off
	s_movk_i32 s0, 0x7fff
	v_mov_b32_e32 v5, 0x7fc0
	s_waitcnt vmcnt(0)
	v_cvt_f32_f16_e32 v3, v1
	v_cmp_o_f16_e32 vcc, v1, v1
	v_bfe_u32 v1, v3, 16, 1
	v_add3_u32 v1, v3, v1, s0
	v_cndmask_b32_sdwa v1, v5, v1, vcc dst_sel:DWORD dst_unused:UNUSED_PAD src0_sel:DWORD src1_sel:WORD_1
.LBB175_1287:
	s_waitcnt vmcnt(0)
	v_mov_b32_e32 v3, 0
.LBB175_1288:
	s_cbranch_execnz .LBB175_1267
.LBB175_1289:
	s_cmp_lt_i32 s4, 2
	s_cbranch_scc1 .LBB175_1293
; %bb.1290:
	s_cmp_lt_i32 s4, 3
	s_cbranch_scc1 .LBB175_1294
; %bb.1291:
	s_cmp_gt_i32 s4, 3
	s_cbranch_scc0 .LBB175_1295
; %bb.1292:
	global_load_dwordx2 v[14:15], v[12:13], off
	s_movk_i32 s0, 0x7fff
	s_waitcnt vmcnt(0)
	v_xor_b32_e32 v3, v14, v15
	v_ffbh_i32_e32 v1, v15
	v_ashrrev_i32_e32 v3, 31, v3
	v_add_u32_e32 v1, -1, v1
	v_add_u32_e32 v3, 32, v3
	v_min_u32_e32 v1, v1, v3
	v_lshlrev_b64 v[14:15], v1, v[14:15]
	v_sub_u32_e32 v1, 32, v1
	v_min_u32_e32 v3, 1, v14
	v_or_b32_e32 v3, v15, v3
	v_cvt_f32_i32_e32 v3, v3
	v_ldexp_f32 v1, v3, v1
	v_bfe_u32 v3, v1, 16, 1
	v_add3_u32 v1, v1, v3, s0
	v_lshrrev_b32_e32 v1, 16, v1
	s_mov_b64 s[0:1], 0
	s_branch .LBB175_1296
.LBB175_1293:
                                        ; implicit-def: $vgpr1
	s_branch .LBB175_1302
.LBB175_1294:
	s_mov_b64 s[0:1], -1
                                        ; implicit-def: $vgpr1
	s_branch .LBB175_1299
.LBB175_1295:
	s_mov_b64 s[0:1], -1
                                        ; implicit-def: $vgpr1
.LBB175_1296:
	s_andn2_b64 vcc, exec, s[0:1]
	s_cbranch_vccnz .LBB175_1298
; %bb.1297:
	global_load_dword v1, v[12:13], off
	s_movk_i32 s0, 0x7fff
	s_waitcnt vmcnt(0)
	v_cvt_f32_i32_e32 v1, v1
	v_bfe_u32 v3, v1, 16, 1
	v_add3_u32 v1, v1, v3, s0
	v_lshrrev_b32_e32 v1, 16, v1
.LBB175_1298:
	s_mov_b64 s[0:1], 0
.LBB175_1299:
	s_andn2_b64 vcc, exec, s[0:1]
	s_cbranch_vccnz .LBB175_1301
; %bb.1300:
	global_load_sshort v1, v[12:13], off
	s_movk_i32 s0, 0x7fff
	s_waitcnt vmcnt(0)
	v_cvt_f32_i32_e32 v1, v1
	v_bfe_u32 v3, v1, 16, 1
	v_add3_u32 v1, v1, v3, s0
	v_lshrrev_b32_e32 v1, 16, v1
.LBB175_1301:
	s_cbranch_execnz .LBB175_1307
.LBB175_1302:
	s_cmp_gt_i32 s4, 0
	s_cbranch_scc0 .LBB175_1304
; %bb.1303:
	global_load_sbyte v1, v[12:13], off
	s_movk_i32 s0, 0x7fff
	s_waitcnt vmcnt(0)
	v_cvt_f32_i32_e32 v1, v1
	v_bfe_u32 v3, v1, 16, 1
	v_add3_u32 v1, v1, v3, s0
	v_lshrrev_b32_e32 v1, 16, v1
	s_mov_b64 s[0:1], 0
	s_branch .LBB175_1305
.LBB175_1304:
	s_mov_b64 s[0:1], -1
                                        ; implicit-def: $vgpr1
.LBB175_1305:
	s_andn2_b64 vcc, exec, s[0:1]
	s_cbranch_vccnz .LBB175_1307
; %bb.1306:
	global_load_ubyte v1, v[12:13], off
	s_movk_i32 s0, 0x7fff
	s_waitcnt vmcnt(0)
	v_cvt_f32_ubyte0_e32 v1, v1
	v_bfe_u32 v3, v1, 16, 1
	v_add3_u32 v1, v1, v3, s0
	v_lshrrev_b32_e32 v1, 16, v1
.LBB175_1307:
	s_waitcnt vmcnt(0)
	v_mov_b32_e32 v3, 0
.LBB175_1308:
	s_load_dwordx2 s[14:15], s[34:35], 0x158
	s_waitcnt vmcnt(0)
	v_or_b32_sdwa v1, v3, v1 dst_sel:DWORD dst_unused:UNUSED_PAD src0_sel:DWORD src1_sel:WORD_0
	v_lshlrev_b32_e32 v1, 16, v1
	s_waitcnt lgkmcnt(0)
	s_cmp_lg_u32 s14, 0
	s_cselect_b64 s[16:17], -1, 0
	s_and_b64 vcc, exec, s[16:17]
	s_cbranch_vccz .LBB175_1320
; %bb.1309:
	s_lshl_b32 s0, s15, 16
	v_cmp_neq_f32_e32 vcc, s0, v1
	s_and_b32 s0, s15, 0xffff0000
	v_and_b32_e32 v5, 0xffff0000, v3
	v_cmp_neq_f32_e64 s[0:1], s0, v5
	s_or_b64 s[4:5], vcc, s[0:1]
	s_cbranch_execnz .LBB175_1311
.LBB175_1310:
	v_and_b32_e32 v3, 0xffff0000, v3
	s_and_b32 s0, s15, 0xffff0000
	s_lshl_b32 s1, s15, 16
	v_cmp_eq_f32_e32 vcc, s1, v1
	v_cmp_eq_f32_e64 s[0:1], s0, v3
	s_and_b64 s[0:1], vcc, s[0:1]
	s_andn2_b64 s[4:5], s[4:5], exec
	s_and_b64 s[0:1], s[0:1], exec
	s_or_b64 s[4:5], s[4:5], s[0:1]
.LBB175_1311:
	s_lshr_b32 s0, s18, 8
	v_mov_b32_e32 v1, s11
	s_and_b32 s14, s0, 0xff
	v_add_co_u32_e32 v10, vcc, s10, v11
	s_cmp_lt_i32 s14, 11
	v_addc_co_u32_e32 v11, vcc, 0, v1, vcc
	s_cbranch_scc1 .LBB175_1318
; %bb.1312:
	s_and_b32 s22, 0xffff, s14
	s_cmp_gt_i32 s22, 25
	s_mov_b64 s[6:7], 0
	s_cbranch_scc0 .LBB175_1321
; %bb.1313:
	s_cmp_gt_i32 s22, 28
	s_cbranch_scc0 .LBB175_1322
; %bb.1314:
	s_cmp_gt_i32 s22, 43
	;; [unrolled: 3-line block ×3, first 2 shown]
	s_cbranch_scc0 .LBB175_1325
; %bb.1316:
	s_cmp_eq_u32 s22, 46
	s_mov_b64 s[18:19], 0
	s_cbranch_scc0 .LBB175_1328
; %bb.1317:
	global_load_dword v1, v[10:11], off
	s_mov_b64 s[0:1], 0
	s_mov_b64 s[12:13], -1
	s_waitcnt vmcnt(0)
	v_and_b32_e32 v3, 0xffff0000, v1
	s_branch .LBB175_1329
.LBB175_1318:
	s_mov_b64 s[12:13], 0
                                        ; implicit-def: $vgpr3
                                        ; implicit-def: $vgpr1
	s_cbranch_execnz .LBB175_1397
.LBB175_1319:
	s_andn2_b64 vcc, exec, s[12:13]
	s_cbranch_vccnz .LBB175_1725
	s_branch .LBB175_1446
.LBB175_1320:
                                        ; implicit-def: $sgpr4_sgpr5
	s_branch .LBB175_1310
.LBB175_1321:
	s_mov_b64 s[12:13], 0
	s_mov_b64 s[0:1], 0
                                        ; implicit-def: $vgpr3
                                        ; implicit-def: $vgpr1
	s_cbranch_execnz .LBB175_1360
	s_branch .LBB175_1393
.LBB175_1322:
	s_mov_b64 s[18:19], -1
	s_mov_b64 s[12:13], 0
	s_mov_b64 s[0:1], 0
                                        ; implicit-def: $vgpr3
                                        ; implicit-def: $vgpr1
	s_branch .LBB175_1341
.LBB175_1323:
	s_mov_b64 s[18:19], -1
	s_mov_b64 s[12:13], 0
	s_mov_b64 s[0:1], 0
                                        ; implicit-def: $vgpr3
                                        ; implicit-def: $vgpr1
	s_branch .LBB175_1335
.LBB175_1324:
	s_trap 2
	s_or_b64 s[2:3], s[28:29], exec
	s_cbranch_execz .LBB175_1259
	s_branch .LBB175_1260
.LBB175_1325:
	s_mov_b64 s[18:19], -1
	s_mov_b64 s[12:13], 0
	s_mov_b64 s[0:1], 0
                                        ; implicit-def: $vgpr3
                                        ; implicit-def: $vgpr1
	s_branch .LBB175_1329
.LBB175_1326:
	s_andn2_saveexec_b64 s[18:19], s[18:19]
	s_cbranch_execz .LBB175_1042
.LBB175_1327:
	v_add_f32_e32 v0, 0x42800000, v3
	v_and_b32_e32 v0, 0xff, v0
	v_cmp_ne_u32_e32 vcc, 0, v0
	s_andn2_b64 s[16:17], s[16:17], exec
	s_and_b64 s[22:23], vcc, exec
	s_or_b64 s[16:17], s[16:17], s[22:23]
	s_or_b64 exec, exec, s[18:19]
	v_mov_b32_e32 v4, 0
	s_and_saveexec_b64 s[18:19], s[16:17]
	s_cbranch_execnz .LBB175_1043
	s_branch .LBB175_1044
.LBB175_1328:
	s_mov_b64 s[0:1], -1
                                        ; implicit-def: $vgpr3
                                        ; implicit-def: $vgpr1
	s_mov_b64 s[12:13], 0
.LBB175_1329:
	s_and_b64 vcc, exec, s[18:19]
	s_cbranch_vccz .LBB175_1334
; %bb.1330:
	s_cmp_eq_u32 s22, 44
	s_cbranch_scc0 .LBB175_1332
; %bb.1331:
	global_load_ubyte v1, v[10:11], off
	s_movk_i32 s12, 0xff
	v_mov_b32_e32 v3, 0x7f800001
	v_mov_b32_e32 v5, 0x400000
	;; [unrolled: 1-line block ×3, first 2 shown]
	s_mov_b64 s[0:1], 0
	s_waitcnt vmcnt(0)
	v_lshlrev_b32_e32 v12, 23, v1
	v_cmp_ne_u32_e32 vcc, s12, v1
	v_cndmask_b32_e32 v3, v3, v12, vcc
	v_cmp_ne_u32_e32 vcc, 0, v1
	v_cndmask_b32_e32 v1, v5, v3, vcc
	v_add_u32_e32 v3, 0x7fff, v1
	v_cmp_o_f32_e32 vcc, v1, v1
	v_cndmask_b32_sdwa v1, v8, v3, vcc dst_sel:DWORD dst_unused:UNUSED_PAD src0_sel:DWORD src1_sel:WORD_1
	s_mov_b64 s[12:13], -1
	s_branch .LBB175_1333
.LBB175_1332:
	s_mov_b64 s[0:1], -1
                                        ; implicit-def: $vgpr1
.LBB175_1333:
	v_mov_b32_e32 v3, 0
.LBB175_1334:
	s_mov_b64 s[18:19], 0
.LBB175_1335:
	s_and_b64 vcc, exec, s[18:19]
	s_cbranch_vccz .LBB175_1340
; %bb.1336:
	s_cmp_eq_u32 s22, 29
	s_cbranch_scc0 .LBB175_1338
; %bb.1337:
	global_load_dwordx2 v[12:13], v[10:11], off
	s_movk_i32 s12, 0x7fff
	s_mov_b64 s[0:1], 0
	s_waitcnt vmcnt(0)
	v_ffbh_u32_e32 v1, v13
	v_min_u32_e32 v1, 32, v1
	v_lshlrev_b64 v[12:13], v1, v[12:13]
	v_sub_u32_e32 v1, 32, v1
	v_min_u32_e32 v3, 1, v12
	v_or_b32_e32 v3, v13, v3
	v_cvt_f32_u32_e32 v3, v3
	v_ldexp_f32 v1, v3, v1
	v_bfe_u32 v3, v1, 16, 1
	v_add3_u32 v1, v1, v3, s12
	v_lshrrev_b32_e32 v1, 16, v1
	s_mov_b64 s[12:13], -1
	s_branch .LBB175_1339
.LBB175_1338:
	s_mov_b64 s[0:1], -1
                                        ; implicit-def: $vgpr1
.LBB175_1339:
	v_mov_b32_e32 v3, 0
.LBB175_1340:
	s_mov_b64 s[18:19], 0
.LBB175_1341:
	s_and_b64 vcc, exec, s[18:19]
	s_cbranch_vccz .LBB175_1359
; %bb.1342:
	s_cmp_lt_i32 s22, 27
	s_cbranch_scc1 .LBB175_1345
; %bb.1343:
	s_cmp_gt_i32 s22, 27
	s_cbranch_scc0 .LBB175_1346
; %bb.1344:
	global_load_dword v1, v[10:11], off
	s_movk_i32 s12, 0x7fff
	s_waitcnt vmcnt(0)
	v_cvt_f32_u32_e32 v1, v1
	v_bfe_u32 v3, v1, 16, 1
	v_add3_u32 v1, v1, v3, s12
	v_lshrrev_b32_e32 v1, 16, v1
	s_mov_b64 s[12:13], 0
	s_branch .LBB175_1347
.LBB175_1345:
	s_mov_b64 s[12:13], -1
                                        ; implicit-def: $vgpr1
	s_branch .LBB175_1350
.LBB175_1346:
	s_mov_b64 s[12:13], -1
                                        ; implicit-def: $vgpr1
.LBB175_1347:
	s_andn2_b64 vcc, exec, s[12:13]
	s_cbranch_vccnz .LBB175_1349
; %bb.1348:
	global_load_ushort v1, v[10:11], off
	s_movk_i32 s12, 0x7fff
	s_waitcnt vmcnt(0)
	v_cvt_f32_u32_e32 v1, v1
	v_bfe_u32 v3, v1, 16, 1
	v_add3_u32 v1, v1, v3, s12
	v_lshrrev_b32_e32 v1, 16, v1
.LBB175_1349:
	s_mov_b64 s[12:13], 0
.LBB175_1350:
	s_andn2_b64 vcc, exec, s[12:13]
	s_cbranch_vccnz .LBB175_1358
; %bb.1351:
	global_load_ubyte v1, v[10:11], off
	s_movk_i32 s12, 0x7f
	s_waitcnt vmcnt(0)
	v_cmp_lt_i16_e32 vcc, s12, v1
	s_mov_b64 s[12:13], 0
	s_and_saveexec_b64 s[18:19], vcc
	s_xor_b64 s[18:19], exec, s[18:19]
	s_cbranch_execz .LBB175_1371
; %bb.1352:
	s_movk_i32 s12, 0x80
	v_cmp_eq_u16_e32 vcc, s12, v1
	s_mov_b64 s[12:13], -1
	s_and_saveexec_b64 s[20:21], vcc
; %bb.1353:
	s_xor_b64 s[12:13], exec, -1
; %bb.1354:
	s_or_b64 exec, exec, s[20:21]
	s_and_b64 s[12:13], s[12:13], exec
	s_or_saveexec_b64 s[18:19], s[18:19]
	v_mov_b32_e32 v3, 0x7f800001
	s_xor_b64 exec, exec, s[18:19]
	s_cbranch_execnz .LBB175_1372
.LBB175_1355:
	s_or_b64 exec, exec, s[18:19]
	s_and_saveexec_b64 s[18:19], s[12:13]
	s_cbranch_execz .LBB175_1357
.LBB175_1356:
	v_lshlrev_b32_e32 v3, 24, v1
	v_and_b32_e32 v1, 0xffff, v1
	v_and_b32_e32 v5, 7, v1
	v_ffbh_u32_e32 v12, v5
	v_min_u32_e32 v12, 32, v12
	v_subrev_u32_e32 v13, 28, v12
	v_bfe_u32 v8, v1, 3, 4
	v_lshlrev_b32_e32 v1, v13, v1
	v_sub_u32_e32 v12, 29, v12
	v_and_b32_e32 v1, 7, v1
	v_cmp_eq_u32_e32 vcc, 0, v8
	v_cndmask_b32_e32 v8, v8, v12, vcc
	v_cndmask_b32_e32 v1, v5, v1, vcc
	v_mov_b32_e32 v5, 0x3b800000
	v_lshlrev_b32_e32 v1, 20, v1
	v_and_b32_e32 v3, 0x80000000, v3
	v_lshl_add_u32 v5, v8, 23, v5
	v_or3_b32 v3, v3, v5, v1
.LBB175_1357:
	s_or_b64 exec, exec, s[18:19]
	v_bfe_u32 v1, v3, 16, 1
	s_movk_i32 s12, 0x7fff
	v_add3_u32 v1, v3, v1, s12
	v_cmp_o_f32_e32 vcc, v3, v3
	v_mov_b32_e32 v3, 0x7fc0
	v_cndmask_b32_sdwa v1, v3, v1, vcc dst_sel:DWORD dst_unused:UNUSED_PAD src0_sel:DWORD src1_sel:WORD_1
.LBB175_1358:
	s_mov_b64 s[12:13], -1
	v_mov_b32_e32 v3, 0
.LBB175_1359:
	s_branch .LBB175_1393
.LBB175_1360:
	s_cmp_gt_i32 s22, 22
	s_cbranch_scc0 .LBB175_1370
; %bb.1361:
	s_cmp_lt_i32 s22, 24
	s_cbranch_scc1 .LBB175_1373
; %bb.1362:
	s_cmp_gt_i32 s22, 24
	s_cbranch_scc0 .LBB175_1374
; %bb.1363:
	global_load_ubyte v1, v[10:11], off
	s_movk_i32 s6, 0x7f
	s_waitcnt vmcnt(0)
	v_cmp_lt_i16_e32 vcc, s6, v1
	s_mov_b64 s[6:7], 0
	s_and_saveexec_b64 s[12:13], vcc
	s_xor_b64 s[12:13], exec, s[12:13]
	s_cbranch_execz .LBB175_1386
; %bb.1364:
	s_movk_i32 s6, 0x80
	v_cmp_eq_u16_e32 vcc, s6, v1
	s_mov_b64 s[6:7], -1
	s_and_saveexec_b64 s[18:19], vcc
; %bb.1365:
	s_xor_b64 s[6:7], exec, -1
; %bb.1366:
	s_or_b64 exec, exec, s[18:19]
	s_and_b64 s[6:7], s[6:7], exec
	s_or_saveexec_b64 s[12:13], s[12:13]
	v_mov_b32_e32 v3, 0x7f800001
	s_xor_b64 exec, exec, s[12:13]
	s_cbranch_execnz .LBB175_1387
.LBB175_1367:
	s_or_b64 exec, exec, s[12:13]
	s_and_saveexec_b64 s[12:13], s[6:7]
	s_cbranch_execz .LBB175_1369
.LBB175_1368:
	v_lshlrev_b32_e32 v3, 24, v1
	v_and_b32_e32 v1, 0xffff, v1
	v_and_b32_e32 v5, 3, v1
	v_ffbh_u32_e32 v12, v5
	v_min_u32_e32 v12, 32, v12
	v_subrev_u32_e32 v13, 29, v12
	v_bfe_u32 v8, v1, 2, 5
	v_lshlrev_b32_e32 v1, v13, v1
	v_sub_u32_e32 v12, 30, v12
	v_and_b32_e32 v1, 3, v1
	v_cmp_eq_u32_e32 vcc, 0, v8
	v_cndmask_b32_e32 v8, v8, v12, vcc
	v_cndmask_b32_e32 v1, v5, v1, vcc
	v_mov_b32_e32 v5, 0x37800000
	v_lshlrev_b32_e32 v1, 21, v1
	v_and_b32_e32 v3, 0x80000000, v3
	v_lshl_add_u32 v5, v8, 23, v5
	v_or3_b32 v3, v3, v5, v1
.LBB175_1369:
	s_or_b64 exec, exec, s[12:13]
	v_bfe_u32 v1, v3, 16, 1
	s_movk_i32 s6, 0x7fff
	v_add3_u32 v1, v3, v1, s6
	v_cmp_o_f32_e32 vcc, v3, v3
	v_mov_b32_e32 v3, 0x7fc0
	v_cndmask_b32_sdwa v1, v3, v1, vcc dst_sel:DWORD dst_unused:UNUSED_PAD src0_sel:DWORD src1_sel:WORD_1
	s_mov_b64 s[6:7], 0
	s_branch .LBB175_1375
.LBB175_1370:
	s_mov_b64 s[6:7], -1
                                        ; implicit-def: $vgpr1
	s_branch .LBB175_1381
.LBB175_1371:
	s_or_saveexec_b64 s[18:19], s[18:19]
	v_mov_b32_e32 v3, 0x7f800001
	s_xor_b64 exec, exec, s[18:19]
	s_cbranch_execz .LBB175_1355
.LBB175_1372:
	v_cmp_ne_u16_e32 vcc, 0, v1
	s_andn2_b64 s[12:13], s[12:13], exec
	s_and_b64 s[20:21], vcc, exec
	v_mov_b32_e32 v3, 0
	s_or_b64 s[12:13], s[12:13], s[20:21]
	s_or_b64 exec, exec, s[18:19]
	s_and_saveexec_b64 s[18:19], s[12:13]
	s_cbranch_execnz .LBB175_1356
	s_branch .LBB175_1357
.LBB175_1373:
	s_mov_b64 s[6:7], -1
                                        ; implicit-def: $vgpr1
	s_branch .LBB175_1378
.LBB175_1374:
	s_mov_b64 s[6:7], -1
                                        ; implicit-def: $vgpr1
.LBB175_1375:
	s_and_b64 vcc, exec, s[6:7]
	s_cbranch_vccz .LBB175_1377
; %bb.1376:
	global_load_ubyte v1, v[10:11], off
	s_mov_b32 s6, 0x7f800000
	s_brev_b32 s7, 1
	s_movk_i32 s12, 0x7fff
	s_waitcnt vmcnt(0)
	v_lshlrev_b32_e32 v1, 24, v1
	v_and_b32_e32 v3, 0x7f000000, v1
	v_ffbh_u32_e32 v5, v3
	v_min_u32_e32 v5, 32, v5
	v_sub_u32_e64 v5, v5, 4 clamp
	v_lshlrev_b32_e32 v12, v5, v3
	v_lshlrev_b32_e32 v5, 23, v5
	v_lshrrev_b32_e32 v12, 4, v12
	v_add_u32_e32 v8, 0x1000000, v3
	v_sub_u32_e32 v5, v12, v5
	v_ashrrev_i32_e32 v8, 8, v8
	v_add_u32_e32 v5, 0x3c000000, v5
	v_and_or_b32 v5, v8, s6, v5
	v_cmp_ne_u32_e32 vcc, 0, v3
	v_cndmask_b32_e32 v3, 0, v5, vcc
	v_and_or_b32 v1, v1, s7, v3
	v_bfe_u32 v3, v3, 16, 1
	v_add3_u32 v3, v1, v3, s12
	v_cmp_o_f32_e32 vcc, v1, v1
	v_mov_b32_e32 v1, 0x7fc0
	v_cndmask_b32_sdwa v1, v1, v3, vcc dst_sel:DWORD dst_unused:UNUSED_PAD src0_sel:DWORD src1_sel:WORD_1
.LBB175_1377:
	s_mov_b64 s[6:7], 0
.LBB175_1378:
	s_andn2_b64 vcc, exec, s[6:7]
	s_cbranch_vccnz .LBB175_1380
; %bb.1379:
	global_load_ubyte v1, v[10:11], off
	s_movk_i32 s6, 0x7f00
	s_brev_b32 s7, 16
	s_brev_b32 s12, 1
	s_movk_i32 s13, 0x7fff
	s_waitcnt vmcnt(0)
	v_lshlrev_b16_e32 v3, 8, v1
	v_lshlrev_b32_e32 v1, 25, v1
	v_lshrrev_b32_e32 v5, 4, v1
	v_and_or_b32 v8, v3, s6, 0.5
	v_or_b32_e32 v5, 0x70000000, v5
	v_add_f32_e32 v8, -0.5, v8
	v_mul_f32_e32 v5, 0x7800000, v5
	v_cmp_gt_u32_e32 vcc, s7, v1
	v_bfe_i32 v3, v3, 0, 16
	v_cndmask_b32_e32 v1, v5, v8, vcc
	v_and_or_b32 v3, v3, s12, v1
	v_bfe_u32 v1, v1, 16, 1
	v_add3_u32 v1, v3, v1, s13
	v_cmp_o_f32_e32 vcc, v3, v3
	v_mov_b32_e32 v3, 0x7fc0
	v_cndmask_b32_sdwa v1, v3, v1, vcc dst_sel:DWORD dst_unused:UNUSED_PAD src0_sel:DWORD src1_sel:WORD_1
.LBB175_1380:
	s_mov_b64 s[6:7], 0
	s_mov_b64 s[12:13], -1
.LBB175_1381:
	s_andn2_b64 vcc, exec, s[6:7]
	s_mov_b64 s[6:7], 0
	s_cbranch_vccnz .LBB175_1392
; %bb.1382:
	s_cmp_gt_i32 s22, 14
	s_cbranch_scc0 .LBB175_1385
; %bb.1383:
	s_cmp_eq_u32 s22, 15
	s_cbranch_scc0 .LBB175_1388
; %bb.1384:
	global_load_ushort v1, v[10:11], off
	s_mov_b64 s[0:1], 0
	s_mov_b64 s[12:13], -1
	s_branch .LBB175_1389
.LBB175_1385:
	s_mov_b64 s[18:19], -1
                                        ; implicit-def: $vgpr1
	s_branch .LBB175_1390
.LBB175_1386:
	s_or_saveexec_b64 s[12:13], s[12:13]
	v_mov_b32_e32 v3, 0x7f800001
	s_xor_b64 exec, exec, s[12:13]
	s_cbranch_execz .LBB175_1367
.LBB175_1387:
	v_cmp_ne_u16_e32 vcc, 0, v1
	s_andn2_b64 s[6:7], s[6:7], exec
	s_and_b64 s[18:19], vcc, exec
	v_mov_b32_e32 v3, 0
	s_or_b64 s[6:7], s[6:7], s[18:19]
	s_or_b64 exec, exec, s[12:13]
	s_and_saveexec_b64 s[12:13], s[6:7]
	s_cbranch_execnz .LBB175_1368
	s_branch .LBB175_1369
.LBB175_1388:
	s_mov_b64 s[0:1], -1
                                        ; implicit-def: $vgpr1
.LBB175_1389:
	s_mov_b64 s[18:19], 0
.LBB175_1390:
	s_and_b64 vcc, exec, s[18:19]
	s_cbranch_vccz .LBB175_1392
; %bb.1391:
	s_cmp_lg_u32 s22, 11
	s_mov_b64 s[6:7], -1
	s_cselect_b64 s[0:1], -1, 0
.LBB175_1392:
	v_mov_b32_e32 v3, 0
.LBB175_1393:
	s_and_b64 vcc, exec, s[0:1]
	s_cbranch_vccnz .LBB175_1474
; %bb.1394:
	s_andn2_b64 vcc, exec, s[6:7]
	s_cbranch_vccnz .LBB175_1396
.LBB175_1395:
	global_load_ubyte v1, v[10:11], off
	s_mov_b64 s[12:13], -1
	v_mov_b32_e32 v3, 0
	s_waitcnt vmcnt(0)
	v_cmp_ne_u16_e32 vcc, 0, v1
	v_cndmask_b32_e64 v1, 0, 1.0, vcc
	v_lshrrev_b32_e32 v1, 16, v1
.LBB175_1396:
	s_branch .LBB175_1319
.LBB175_1397:
	s_and_b32 s6, 0xffff, s14
	s_cmp_lt_i32 s6, 5
	s_cbranch_scc1 .LBB175_1402
; %bb.1398:
	s_cmp_lt_i32 s6, 8
	s_cbranch_scc1 .LBB175_1404
; %bb.1399:
	;; [unrolled: 3-line block ×3, first 2 shown]
	s_cmp_gt_i32 s6, 9
	s_cbranch_scc0 .LBB175_1406
; %bb.1401:
	global_load_dwordx4 v[12:15], v[10:11], off
	s_movk_i32 s0, 0x7fff
	v_mov_b32_e32 v5, 0x7fc0
	v_mov_b32_e32 v8, 0x7fc00000
	s_waitcnt vmcnt(0)
	v_cvt_f32_f64_e32 v1, v[12:13]
	v_cvt_f32_f64_e32 v3, v[14:15]
	v_bfe_u32 v12, v1, 16, 1
	v_bfe_u32 v13, v3, 16, 1
	v_cmp_o_f32_e32 vcc, v1, v1
	v_add3_u32 v1, v1, v12, s0
	v_add3_u32 v12, v3, v13, s0
	v_cndmask_b32_sdwa v1, v5, v1, vcc dst_sel:DWORD dst_unused:UNUSED_PAD src0_sel:DWORD src1_sel:WORD_1
	v_and_b32_e32 v5, 0xffff0000, v12
	v_cmp_o_f32_e32 vcc, v3, v3
	v_cndmask_b32_e32 v3, v8, v5, vcc
	s_mov_b64 s[0:1], 0
	s_branch .LBB175_1407
.LBB175_1402:
                                        ; implicit-def: $vgpr3
                                        ; implicit-def: $vgpr1
	s_branch .LBB175_1426
.LBB175_1403:
	s_branch .LBB175_1446
.LBB175_1404:
	s_mov_b64 s[0:1], -1
                                        ; implicit-def: $vgpr3
                                        ; implicit-def: $vgpr1
	s_branch .LBB175_1413
.LBB175_1405:
	s_mov_b64 s[0:1], -1
                                        ; implicit-def: $vgpr3
                                        ; implicit-def: $vgpr1
	s_branch .LBB175_1410
.LBB175_1406:
	s_mov_b64 s[0:1], -1
                                        ; implicit-def: $vgpr3
                                        ; implicit-def: $vgpr1
.LBB175_1407:
	s_andn2_b64 vcc, exec, s[0:1]
	s_cbranch_vccnz .LBB175_1409
; %bb.1408:
	global_load_dwordx2 v[12:13], v[10:11], off
	s_movk_i32 s0, 0x7fff
	s_waitcnt vmcnt(1)
	v_mov_b32_e32 v1, 0x7fc0
	v_mov_b32_e32 v3, 0x7fc00000
	s_waitcnt vmcnt(0)
	v_bfe_u32 v5, v12, 16, 1
	v_bfe_u32 v8, v13, 16, 1
	v_cmp_o_f32_e32 vcc, v12, v12
	v_add3_u32 v5, v12, v5, s0
	v_add3_u32 v8, v13, v8, s0
	v_cndmask_b32_sdwa v1, v1, v5, vcc dst_sel:DWORD dst_unused:UNUSED_PAD src0_sel:DWORD src1_sel:WORD_1
	v_and_b32_e32 v5, 0xffff0000, v8
	v_cmp_o_f32_e32 vcc, v13, v13
	v_cndmask_b32_e32 v3, v3, v5, vcc
.LBB175_1409:
	s_mov_b64 s[0:1], 0
.LBB175_1410:
	s_andn2_b64 vcc, exec, s[0:1]
	s_cbranch_vccnz .LBB175_1412
; %bb.1411:
	global_load_dword v3, v[10:11], off
	s_movk_i32 s0, 0x7fff
	s_waitcnt vmcnt(1)
	v_mov_b32_e32 v1, 0x7fc0
	v_mov_b32_e32 v12, 0x7fc00000
	s_waitcnt vmcnt(0)
	v_cvt_f32_f16_e32 v5, v3
	v_cvt_f32_f16_sdwa v8, v3 dst_sel:DWORD dst_unused:UNUSED_PAD src0_sel:WORD_1
	v_cmp_o_f16_e32 vcc, v3, v3
	v_bfe_u32 v13, v5, 16, 1
	v_bfe_u32 v14, v8, 16, 1
	v_add3_u32 v5, v5, v13, s0
	v_add3_u32 v8, v8, v14, s0
	v_cndmask_b32_sdwa v1, v1, v5, vcc dst_sel:DWORD dst_unused:UNUSED_PAD src0_sel:DWORD src1_sel:WORD_1
	v_and_b32_e32 v5, 0xffff0000, v8
	v_cmp_o_f16_sdwa vcc, v3, v3 src0_sel:WORD_1 src1_sel:WORD_1
	v_cndmask_b32_e32 v3, v12, v5, vcc
.LBB175_1412:
	s_mov_b64 s[0:1], 0
.LBB175_1413:
	s_andn2_b64 vcc, exec, s[0:1]
	s_cbranch_vccnz .LBB175_1425
; %bb.1414:
	s_cmp_lt_i32 s6, 6
	s_cbranch_scc1 .LBB175_1417
; %bb.1415:
	s_cmp_gt_i32 s6, 6
	s_cbranch_scc0 .LBB175_1418
; %bb.1416:
	global_load_dwordx2 v[12:13], v[10:11], off
	s_movk_i32 s0, 0x7fff
	v_mov_b32_e32 v3, 0x7fc0
	s_waitcnt vmcnt(0)
	v_cvt_f32_f64_e32 v1, v[12:13]
	v_bfe_u32 v5, v1, 16, 1
	v_cmp_o_f32_e32 vcc, v1, v1
	v_add3_u32 v1, v1, v5, s0
	v_cndmask_b32_sdwa v1, v3, v1, vcc dst_sel:DWORD dst_unused:UNUSED_PAD src0_sel:DWORD src1_sel:WORD_1
	s_mov_b64 s[0:1], 0
	s_branch .LBB175_1419
.LBB175_1417:
	s_mov_b64 s[0:1], -1
                                        ; implicit-def: $vgpr1
	s_branch .LBB175_1422
.LBB175_1418:
	s_mov_b64 s[0:1], -1
                                        ; implicit-def: $vgpr1
.LBB175_1419:
	s_andn2_b64 vcc, exec, s[0:1]
	s_cbranch_vccnz .LBB175_1421
; %bb.1420:
	global_load_dword v1, v[10:11], off
	s_movk_i32 s0, 0x7fff
	v_mov_b32_e32 v3, 0x7fc0
	s_waitcnt vmcnt(0)
	v_bfe_u32 v5, v1, 16, 1
	v_cmp_o_f32_e32 vcc, v1, v1
	v_add3_u32 v1, v1, v5, s0
	v_cndmask_b32_sdwa v1, v3, v1, vcc dst_sel:DWORD dst_unused:UNUSED_PAD src0_sel:DWORD src1_sel:WORD_1
.LBB175_1421:
	s_mov_b64 s[0:1], 0
.LBB175_1422:
	s_andn2_b64 vcc, exec, s[0:1]
	s_cbranch_vccnz .LBB175_1424
; %bb.1423:
	global_load_ushort v1, v[10:11], off
	s_movk_i32 s0, 0x7fff
	v_mov_b32_e32 v5, 0x7fc0
	s_waitcnt vmcnt(0)
	v_cvt_f32_f16_e32 v3, v1
	v_cmp_o_f16_e32 vcc, v1, v1
	v_bfe_u32 v1, v3, 16, 1
	v_add3_u32 v1, v3, v1, s0
	v_cndmask_b32_sdwa v1, v5, v1, vcc dst_sel:DWORD dst_unused:UNUSED_PAD src0_sel:DWORD src1_sel:WORD_1
.LBB175_1424:
	v_mov_b32_e32 v3, 0
.LBB175_1425:
	s_cbranch_execnz .LBB175_1403
.LBB175_1426:
	s_cmp_lt_i32 s6, 2
	s_cbranch_scc1 .LBB175_1430
; %bb.1427:
	s_cmp_lt_i32 s6, 3
	s_cbranch_scc1 .LBB175_1431
; %bb.1428:
	s_cmp_gt_i32 s6, 3
	s_cbranch_scc0 .LBB175_1432
; %bb.1429:
	global_load_dwordx2 v[12:13], v[10:11], off
	s_movk_i32 s0, 0x7fff
	s_waitcnt vmcnt(0)
	v_xor_b32_e32 v3, v12, v13
	v_ffbh_i32_e32 v1, v13
	v_ashrrev_i32_e32 v3, 31, v3
	v_add_u32_e32 v1, -1, v1
	v_add_u32_e32 v3, 32, v3
	v_min_u32_e32 v1, v1, v3
	v_lshlrev_b64 v[12:13], v1, v[12:13]
	v_sub_u32_e32 v1, 32, v1
	v_min_u32_e32 v3, 1, v12
	v_or_b32_e32 v3, v13, v3
	v_cvt_f32_i32_e32 v3, v3
	v_ldexp_f32 v1, v3, v1
	v_bfe_u32 v3, v1, 16, 1
	v_add3_u32 v1, v1, v3, s0
	v_lshrrev_b32_e32 v1, 16, v1
	s_mov_b64 s[0:1], 0
	s_branch .LBB175_1433
.LBB175_1430:
	s_mov_b64 s[0:1], -1
                                        ; implicit-def: $vgpr1
	s_branch .LBB175_1439
.LBB175_1431:
	s_mov_b64 s[0:1], -1
                                        ; implicit-def: $vgpr1
	s_branch .LBB175_1436
.LBB175_1432:
	s_mov_b64 s[0:1], -1
                                        ; implicit-def: $vgpr1
.LBB175_1433:
	s_andn2_b64 vcc, exec, s[0:1]
	s_cbranch_vccnz .LBB175_1435
; %bb.1434:
	global_load_dword v1, v[10:11], off
	s_movk_i32 s0, 0x7fff
	s_waitcnt vmcnt(0)
	v_cvt_f32_i32_e32 v1, v1
	v_bfe_u32 v3, v1, 16, 1
	v_add3_u32 v1, v1, v3, s0
	v_lshrrev_b32_e32 v1, 16, v1
.LBB175_1435:
	s_mov_b64 s[0:1], 0
.LBB175_1436:
	s_andn2_b64 vcc, exec, s[0:1]
	s_cbranch_vccnz .LBB175_1438
; %bb.1437:
	global_load_sshort v1, v[10:11], off
	s_movk_i32 s0, 0x7fff
	s_waitcnt vmcnt(0)
	v_cvt_f32_i32_e32 v1, v1
	v_bfe_u32 v3, v1, 16, 1
	v_add3_u32 v1, v1, v3, s0
	v_lshrrev_b32_e32 v1, 16, v1
.LBB175_1438:
	s_mov_b64 s[0:1], 0
.LBB175_1439:
	s_andn2_b64 vcc, exec, s[0:1]
	s_cbranch_vccnz .LBB175_1445
; %bb.1440:
	s_cmp_gt_i32 s6, 0
	s_cbranch_scc0 .LBB175_1442
; %bb.1441:
	global_load_sbyte v1, v[10:11], off
	s_movk_i32 s0, 0x7fff
	s_waitcnt vmcnt(0)
	v_cvt_f32_i32_e32 v1, v1
	v_bfe_u32 v3, v1, 16, 1
	v_add3_u32 v1, v1, v3, s0
	v_lshrrev_b32_e32 v1, 16, v1
	s_mov_b64 s[0:1], 0
	s_branch .LBB175_1443
.LBB175_1442:
	s_mov_b64 s[0:1], -1
                                        ; implicit-def: $vgpr1
.LBB175_1443:
	s_andn2_b64 vcc, exec, s[0:1]
	s_cbranch_vccnz .LBB175_1445
; %bb.1444:
	global_load_ubyte v1, v[10:11], off
	s_movk_i32 s0, 0x7fff
	s_waitcnt vmcnt(0)
	v_cvt_f32_ubyte0_e32 v1, v1
	v_bfe_u32 v3, v1, 16, 1
	v_add3_u32 v1, v1, v3, s0
	v_lshrrev_b32_e32 v1, 16, v1
.LBB175_1445:
	v_mov_b32_e32 v3, 0
.LBB175_1446:
	s_waitcnt vmcnt(0)
	v_or_b32_sdwa v1, v3, v1 dst_sel:DWORD dst_unused:UNUSED_PAD src0_sel:DWORD src1_sel:WORD_0
	s_and_b64 vcc, exec, s[16:17]
	v_lshlrev_b32_e32 v1, 16, v1
	s_cbranch_vccz .LBB175_1458
; %bb.1447:
	s_lshl_b32 s0, s15, 16
	v_cmp_neq_f32_e32 vcc, s0, v1
	s_and_b32 s0, s15, 0xffff0000
	v_and_b32_e32 v5, 0xffff0000, v3
	v_cmp_neq_f32_e64 s[0:1], s0, v5
	s_or_b64 s[6:7], vcc, s[0:1]
	s_cbranch_execnz .LBB175_1449
.LBB175_1448:
	v_and_b32_e32 v3, 0xffff0000, v3
	s_and_b32 s0, s15, 0xffff0000
	s_lshl_b32 s1, s15, 16
	v_cmp_eq_f32_e32 vcc, s1, v1
	v_cmp_eq_f32_e64 s[0:1], s0, v3
	s_and_b64 s[0:1], vcc, s[0:1]
	s_andn2_b64 s[6:7], s[6:7], exec
	s_and_b64 s[0:1], s[0:1], exec
	s_or_b64 s[6:7], s[6:7], s[0:1]
.LBB175_1449:
	v_mov_b32_e32 v1, s11
	v_add_co_u32_e32 v8, vcc, s10, v9
	s_cmp_lt_i32 s14, 11
	v_addc_co_u32_e32 v9, vcc, 0, v1, vcc
	s_cbranch_scc1 .LBB175_1456
; %bb.1450:
	s_and_b32 s24, 0xffff, s14
	s_cmp_gt_i32 s24, 25
	s_mov_b64 s[12:13], 0
	s_cbranch_scc0 .LBB175_1459
; %bb.1451:
	s_cmp_gt_i32 s24, 28
	s_cbranch_scc0 .LBB175_1470
; %bb.1452:
	s_cmp_gt_i32 s24, 43
	;; [unrolled: 3-line block ×3, first 2 shown]
	s_cbranch_scc0 .LBB175_1475
; %bb.1454:
	s_cmp_eq_u32 s24, 46
	s_mov_b64 s[20:21], 0
	s_cbranch_scc0 .LBB175_1533
; %bb.1455:
	global_load_dword v1, v[8:9], off
	s_mov_b64 s[0:1], 0
	s_mov_b64 s[18:19], -1
	s_waitcnt vmcnt(0)
	v_and_b32_e32 v3, 0xffff0000, v1
	s_branch .LBB175_1534
.LBB175_1456:
	s_mov_b64 s[18:19], 0
                                        ; implicit-def: $vgpr3
                                        ; implicit-def: $vgpr1
	s_cbranch_execnz .LBB175_1464
.LBB175_1457:
	s_andn2_b64 vcc, exec, s[18:19]
	s_cbranch_vccnz .LBB175_1725
	s_branch .LBB175_1518
.LBB175_1458:
                                        ; implicit-def: $sgpr6_sgpr7
	s_branch .LBB175_1448
.LBB175_1459:
	s_mov_b64 s[18:19], 0
	s_mov_b64 s[0:1], 0
                                        ; implicit-def: $vgpr3
                                        ; implicit-def: $vgpr1
	s_cbranch_execnz .LBB175_1566
.LBB175_1460:
	s_and_b64 vcc, exec, s[0:1]
	s_cbranch_vccnz .LBB175_1599
.LBB175_1461:
	s_andn2_b64 vcc, exec, s[12:13]
	s_cbranch_vccnz .LBB175_1463
.LBB175_1462:
	global_load_ubyte v1, v[8:9], off
	s_mov_b64 s[18:19], -1
	v_mov_b32_e32 v3, 0
	s_waitcnt vmcnt(0)
	v_cmp_ne_u16_e32 vcc, 0, v1
	v_cndmask_b32_e64 v1, 0, 1.0, vcc
	v_lshrrev_b32_e32 v1, 16, v1
.LBB175_1463:
	s_branch .LBB175_1457
.LBB175_1464:
	s_and_b32 s12, 0xffff, s14
	s_cmp_lt_i32 s12, 5
	s_cbranch_scc1 .LBB175_1469
; %bb.1465:
	s_cmp_lt_i32 s12, 8
	s_cbranch_scc1 .LBB175_1471
; %bb.1466:
	;; [unrolled: 3-line block ×3, first 2 shown]
	s_cmp_gt_i32 s12, 9
	s_cbranch_scc0 .LBB175_1476
; %bb.1468:
	global_load_dwordx4 v[10:13], v[8:9], off
	s_movk_i32 s0, 0x7fff
	v_mov_b32_e32 v5, 0x7fc0
	s_waitcnt vmcnt(0)
	v_cvt_f32_f64_e32 v1, v[10:11]
	v_cvt_f32_f64_e32 v3, v[12:13]
	v_mov_b32_e32 v10, 0x7fc00000
	v_bfe_u32 v11, v1, 16, 1
	v_bfe_u32 v12, v3, 16, 1
	v_cmp_o_f32_e32 vcc, v1, v1
	v_add3_u32 v1, v1, v11, s0
	v_add3_u32 v11, v3, v12, s0
	v_cndmask_b32_sdwa v1, v5, v1, vcc dst_sel:DWORD dst_unused:UNUSED_PAD src0_sel:DWORD src1_sel:WORD_1
	v_and_b32_e32 v5, 0xffff0000, v11
	v_cmp_o_f32_e32 vcc, v3, v3
	v_cndmask_b32_e32 v3, v10, v5, vcc
	s_mov_b64 s[0:1], 0
	s_branch .LBB175_1477
.LBB175_1469:
	s_mov_b64 s[0:1], -1
                                        ; implicit-def: $vgpr3
                                        ; implicit-def: $vgpr1
	s_branch .LBB175_1496
.LBB175_1470:
	s_mov_b64 s[20:21], -1
	s_mov_b64 s[18:19], 0
	s_mov_b64 s[0:1], 0
                                        ; implicit-def: $vgpr3
                                        ; implicit-def: $vgpr1
	s_branch .LBB175_1547
.LBB175_1471:
	s_mov_b64 s[0:1], -1
                                        ; implicit-def: $vgpr3
                                        ; implicit-def: $vgpr1
	s_branch .LBB175_1483
.LBB175_1472:
	s_mov_b64 s[20:21], -1
	s_mov_b64 s[18:19], 0
	s_mov_b64 s[0:1], 0
                                        ; implicit-def: $vgpr3
                                        ; implicit-def: $vgpr1
	s_branch .LBB175_1541
.LBB175_1473:
	s_mov_b64 s[0:1], -1
                                        ; implicit-def: $vgpr3
                                        ; implicit-def: $vgpr1
	s_branch .LBB175_1480
.LBB175_1474:
	s_trap 2
	s_or_b64 s[2:3], s[2:3], exec
	s_cbranch_execz .LBB175_1395
	s_branch .LBB175_1396
.LBB175_1475:
	s_mov_b64 s[20:21], -1
	s_mov_b64 s[18:19], 0
	s_mov_b64 s[0:1], 0
                                        ; implicit-def: $vgpr3
                                        ; implicit-def: $vgpr1
	s_branch .LBB175_1534
.LBB175_1476:
	s_mov_b64 s[0:1], -1
                                        ; implicit-def: $vgpr3
                                        ; implicit-def: $vgpr1
.LBB175_1477:
	s_andn2_b64 vcc, exec, s[0:1]
	s_cbranch_vccnz .LBB175_1479
; %bb.1478:
	global_load_dwordx2 v[10:11], v[8:9], off
	s_movk_i32 s0, 0x7fff
	s_waitcnt vmcnt(1)
	v_mov_b32_e32 v1, 0x7fc0
	v_mov_b32_e32 v3, 0x7fc00000
	s_waitcnt vmcnt(0)
	v_bfe_u32 v5, v10, 16, 1
	v_bfe_u32 v12, v11, 16, 1
	v_cmp_o_f32_e32 vcc, v10, v10
	v_add3_u32 v5, v10, v5, s0
	v_add3_u32 v10, v11, v12, s0
	v_cndmask_b32_sdwa v1, v1, v5, vcc dst_sel:DWORD dst_unused:UNUSED_PAD src0_sel:DWORD src1_sel:WORD_1
	v_and_b32_e32 v5, 0xffff0000, v10
	v_cmp_o_f32_e32 vcc, v11, v11
	v_cndmask_b32_e32 v3, v3, v5, vcc
.LBB175_1479:
	s_mov_b64 s[0:1], 0
.LBB175_1480:
	s_andn2_b64 vcc, exec, s[0:1]
	s_cbranch_vccnz .LBB175_1482
; %bb.1481:
	global_load_dword v3, v[8:9], off
	s_movk_i32 s0, 0x7fff
	s_waitcnt vmcnt(1)
	v_mov_b32_e32 v1, 0x7fc0
	v_mov_b32_e32 v11, 0x7fc00000
	s_waitcnt vmcnt(0)
	v_cvt_f32_f16_e32 v5, v3
	v_cvt_f32_f16_sdwa v10, v3 dst_sel:DWORD dst_unused:UNUSED_PAD src0_sel:WORD_1
	v_cmp_o_f16_e32 vcc, v3, v3
	v_bfe_u32 v12, v5, 16, 1
	v_bfe_u32 v13, v10, 16, 1
	v_add3_u32 v5, v5, v12, s0
	v_add3_u32 v10, v10, v13, s0
	v_cndmask_b32_sdwa v1, v1, v5, vcc dst_sel:DWORD dst_unused:UNUSED_PAD src0_sel:DWORD src1_sel:WORD_1
	v_and_b32_e32 v5, 0xffff0000, v10
	v_cmp_o_f16_sdwa vcc, v3, v3 src0_sel:WORD_1 src1_sel:WORD_1
	v_cndmask_b32_e32 v3, v11, v5, vcc
.LBB175_1482:
	s_mov_b64 s[0:1], 0
.LBB175_1483:
	s_andn2_b64 vcc, exec, s[0:1]
	s_cbranch_vccnz .LBB175_1495
; %bb.1484:
	s_cmp_lt_i32 s12, 6
	s_cbranch_scc1 .LBB175_1487
; %bb.1485:
	s_cmp_gt_i32 s12, 6
	s_cbranch_scc0 .LBB175_1488
; %bb.1486:
	global_load_dwordx2 v[10:11], v[8:9], off
	s_movk_i32 s0, 0x7fff
	v_mov_b32_e32 v3, 0x7fc0
	s_waitcnt vmcnt(0)
	v_cvt_f32_f64_e32 v1, v[10:11]
	v_bfe_u32 v5, v1, 16, 1
	v_cmp_o_f32_e32 vcc, v1, v1
	v_add3_u32 v1, v1, v5, s0
	v_cndmask_b32_sdwa v1, v3, v1, vcc dst_sel:DWORD dst_unused:UNUSED_PAD src0_sel:DWORD src1_sel:WORD_1
	s_mov_b64 s[0:1], 0
	s_branch .LBB175_1489
.LBB175_1487:
	s_mov_b64 s[0:1], -1
                                        ; implicit-def: $vgpr1
	s_branch .LBB175_1492
.LBB175_1488:
	s_mov_b64 s[0:1], -1
                                        ; implicit-def: $vgpr1
.LBB175_1489:
	s_andn2_b64 vcc, exec, s[0:1]
	s_cbranch_vccnz .LBB175_1491
; %bb.1490:
	global_load_dword v1, v[8:9], off
	s_movk_i32 s0, 0x7fff
	v_mov_b32_e32 v3, 0x7fc0
	s_waitcnt vmcnt(0)
	v_bfe_u32 v5, v1, 16, 1
	v_cmp_o_f32_e32 vcc, v1, v1
	v_add3_u32 v1, v1, v5, s0
	v_cndmask_b32_sdwa v1, v3, v1, vcc dst_sel:DWORD dst_unused:UNUSED_PAD src0_sel:DWORD src1_sel:WORD_1
.LBB175_1491:
	s_mov_b64 s[0:1], 0
.LBB175_1492:
	s_andn2_b64 vcc, exec, s[0:1]
	s_cbranch_vccnz .LBB175_1494
; %bb.1493:
	global_load_ushort v1, v[8:9], off
	s_movk_i32 s0, 0x7fff
	v_mov_b32_e32 v5, 0x7fc0
	s_waitcnt vmcnt(0)
	v_cvt_f32_f16_e32 v3, v1
	v_cmp_o_f16_e32 vcc, v1, v1
	v_bfe_u32 v1, v3, 16, 1
	v_add3_u32 v1, v3, v1, s0
	v_cndmask_b32_sdwa v1, v5, v1, vcc dst_sel:DWORD dst_unused:UNUSED_PAD src0_sel:DWORD src1_sel:WORD_1
.LBB175_1494:
	v_mov_b32_e32 v3, 0
.LBB175_1495:
	s_mov_b64 s[0:1], 0
.LBB175_1496:
	s_andn2_b64 vcc, exec, s[0:1]
	s_cbranch_vccnz .LBB175_1517
; %bb.1497:
	s_cmp_lt_i32 s12, 2
	s_cbranch_scc1 .LBB175_1501
; %bb.1498:
	s_cmp_lt_i32 s12, 3
	s_cbranch_scc1 .LBB175_1502
; %bb.1499:
	s_cmp_gt_i32 s12, 3
	s_cbranch_scc0 .LBB175_1503
; %bb.1500:
	global_load_dwordx2 v[10:11], v[8:9], off
	s_movk_i32 s0, 0x7fff
	s_waitcnt vmcnt(0)
	v_xor_b32_e32 v3, v10, v11
	v_ffbh_i32_e32 v1, v11
	v_ashrrev_i32_e32 v3, 31, v3
	v_add_u32_e32 v1, -1, v1
	v_add_u32_e32 v3, 32, v3
	v_min_u32_e32 v1, v1, v3
	v_lshlrev_b64 v[10:11], v1, v[10:11]
	v_sub_u32_e32 v1, 32, v1
	v_min_u32_e32 v3, 1, v10
	v_or_b32_e32 v3, v11, v3
	v_cvt_f32_i32_e32 v3, v3
	v_ldexp_f32 v1, v3, v1
	v_bfe_u32 v3, v1, 16, 1
	v_add3_u32 v1, v1, v3, s0
	v_lshrrev_b32_e32 v1, 16, v1
	s_mov_b64 s[0:1], 0
	s_branch .LBB175_1504
.LBB175_1501:
	s_mov_b64 s[0:1], -1
                                        ; implicit-def: $vgpr1
	s_branch .LBB175_1510
.LBB175_1502:
	s_mov_b64 s[0:1], -1
                                        ; implicit-def: $vgpr1
	s_branch .LBB175_1507
.LBB175_1503:
	s_mov_b64 s[0:1], -1
                                        ; implicit-def: $vgpr1
.LBB175_1504:
	s_andn2_b64 vcc, exec, s[0:1]
	s_cbranch_vccnz .LBB175_1506
; %bb.1505:
	global_load_dword v1, v[8:9], off
	s_movk_i32 s0, 0x7fff
	s_waitcnt vmcnt(0)
	v_cvt_f32_i32_e32 v1, v1
	v_bfe_u32 v3, v1, 16, 1
	v_add3_u32 v1, v1, v3, s0
	v_lshrrev_b32_e32 v1, 16, v1
.LBB175_1506:
	s_mov_b64 s[0:1], 0
.LBB175_1507:
	s_andn2_b64 vcc, exec, s[0:1]
	s_cbranch_vccnz .LBB175_1509
; %bb.1508:
	global_load_sshort v1, v[8:9], off
	s_movk_i32 s0, 0x7fff
	s_waitcnt vmcnt(0)
	v_cvt_f32_i32_e32 v1, v1
	v_bfe_u32 v3, v1, 16, 1
	v_add3_u32 v1, v1, v3, s0
	v_lshrrev_b32_e32 v1, 16, v1
.LBB175_1509:
	s_mov_b64 s[0:1], 0
.LBB175_1510:
	s_andn2_b64 vcc, exec, s[0:1]
	s_cbranch_vccnz .LBB175_1516
; %bb.1511:
	s_cmp_gt_i32 s12, 0
	s_cbranch_scc0 .LBB175_1513
; %bb.1512:
	global_load_sbyte v1, v[8:9], off
	s_movk_i32 s0, 0x7fff
	s_waitcnt vmcnt(0)
	v_cvt_f32_i32_e32 v1, v1
	v_bfe_u32 v3, v1, 16, 1
	v_add3_u32 v1, v1, v3, s0
	v_lshrrev_b32_e32 v1, 16, v1
	s_mov_b64 s[0:1], 0
	s_branch .LBB175_1514
.LBB175_1513:
	s_mov_b64 s[0:1], -1
                                        ; implicit-def: $vgpr1
.LBB175_1514:
	s_andn2_b64 vcc, exec, s[0:1]
	s_cbranch_vccnz .LBB175_1516
; %bb.1515:
	global_load_ubyte v1, v[8:9], off
	s_movk_i32 s0, 0x7fff
	s_waitcnt vmcnt(0)
	v_cvt_f32_ubyte0_e32 v1, v1
	v_bfe_u32 v3, v1, 16, 1
	v_add3_u32 v1, v1, v3, s0
	v_lshrrev_b32_e32 v1, 16, v1
.LBB175_1516:
	v_mov_b32_e32 v3, 0
.LBB175_1517:
.LBB175_1518:
	s_waitcnt vmcnt(0)
	v_or_b32_sdwa v1, v3, v1 dst_sel:DWORD dst_unused:UNUSED_PAD src0_sel:DWORD src1_sel:WORD_0
	s_and_b64 vcc, exec, s[16:17]
	v_lshlrev_b32_e32 v1, 16, v1
	s_cbranch_vccz .LBB175_1529
; %bb.1519:
	s_lshl_b32 s0, s15, 16
	v_cmp_neq_f32_e32 vcc, s0, v1
	s_and_b32 s0, s15, 0xffff0000
	v_and_b32_e32 v5, 0xffff0000, v3
	v_cmp_neq_f32_e64 s[0:1], s0, v5
	s_or_b64 s[12:13], vcc, s[0:1]
	s_cbranch_execnz .LBB175_1521
.LBB175_1520:
	v_and_b32_e32 v3, 0xffff0000, v3
	s_and_b32 s0, s15, 0xffff0000
	s_lshl_b32 s1, s15, 16
	v_cmp_eq_f32_e32 vcc, s1, v1
	v_cmp_eq_f32_e64 s[0:1], s0, v3
	s_and_b64 s[0:1], vcc, s[0:1]
	s_andn2_b64 s[12:13], s[12:13], exec
	s_and_b64 s[0:1], s[0:1], exec
	s_or_b64 s[12:13], s[12:13], s[0:1]
.LBB175_1521:
	v_mov_b32_e32 v1, s11
	v_add_co_u32_e32 v7, vcc, s10, v7
	s_cmp_lt_i32 s14, 11
	v_addc_co_u32_e32 v8, vcc, 0, v1, vcc
	s_cbranch_scc1 .LBB175_1528
; %bb.1522:
	s_and_b32 s24, 0xffff, s14
	s_cmp_gt_i32 s24, 25
	s_mov_b64 s[10:11], 0
	s_cbranch_scc0 .LBB175_1530
; %bb.1523:
	s_cmp_gt_i32 s24, 28
	s_cbranch_scc0 .LBB175_1531
; %bb.1524:
	s_cmp_gt_i32 s24, 43
	;; [unrolled: 3-line block ×3, first 2 shown]
	s_cbranch_scc0 .LBB175_1537
; %bb.1526:
	s_cmp_eq_u32 s24, 46
	s_mov_b64 s[20:21], 0
	s_cbranch_scc0 .LBB175_1600
; %bb.1527:
	global_load_dword v1, v[7:8], off
	s_mov_b64 s[0:1], 0
	s_mov_b64 s[18:19], -1
	s_waitcnt vmcnt(0)
	v_and_b32_e32 v3, 0xffff0000, v1
	s_branch .LBB175_1601
.LBB175_1528:
	s_mov_b64 s[0:1], -1
	s_mov_b64 s[18:19], 0
                                        ; implicit-def: $vgpr3
                                        ; implicit-def: $vgpr1
	s_branch .LBB175_1647
.LBB175_1529:
                                        ; implicit-def: $sgpr12_sgpr13
	s_branch .LBB175_1520
.LBB175_1530:
	s_mov_b64 s[20:21], -1
	s_mov_b64 s[18:19], 0
	s_mov_b64 s[0:1], 0
                                        ; implicit-def: $vgpr3
                                        ; implicit-def: $vgpr1
	s_branch .LBB175_1632
.LBB175_1531:
	s_mov_b64 s[20:21], -1
	s_mov_b64 s[18:19], 0
	s_mov_b64 s[0:1], 0
                                        ; implicit-def: $vgpr3
                                        ; implicit-def: $vgpr1
	s_branch .LBB175_1613
.LBB175_1532:
	s_mov_b64 s[20:21], -1
	s_mov_b64 s[18:19], 0
	s_mov_b64 s[0:1], 0
                                        ; implicit-def: $vgpr3
                                        ; implicit-def: $vgpr1
	s_branch .LBB175_1607
.LBB175_1533:
	s_mov_b64 s[0:1], -1
                                        ; implicit-def: $vgpr3
                                        ; implicit-def: $vgpr1
	s_mov_b64 s[18:19], 0
.LBB175_1534:
	s_and_b64 vcc, exec, s[20:21]
	s_cbranch_vccz .LBB175_1540
; %bb.1535:
	s_cmp_eq_u32 s24, 44
	s_cbranch_scc0 .LBB175_1538
; %bb.1536:
	global_load_ubyte v1, v[8:9], off
	s_movk_i32 s18, 0xff
	v_mov_b32_e32 v3, 0x7f800001
	v_mov_b32_e32 v5, 0x400000
	;; [unrolled: 1-line block ×3, first 2 shown]
	s_mov_b64 s[0:1], 0
	s_waitcnt vmcnt(0)
	v_lshlrev_b32_e32 v11, 23, v1
	v_cmp_ne_u32_e32 vcc, s18, v1
	v_cndmask_b32_e32 v3, v3, v11, vcc
	v_cmp_ne_u32_e32 vcc, 0, v1
	v_cndmask_b32_e32 v1, v5, v3, vcc
	v_add_u32_e32 v3, 0x7fff, v1
	v_cmp_o_f32_e32 vcc, v1, v1
	v_cndmask_b32_sdwa v1, v10, v3, vcc dst_sel:DWORD dst_unused:UNUSED_PAD src0_sel:DWORD src1_sel:WORD_1
	s_mov_b64 s[18:19], -1
	s_branch .LBB175_1539
.LBB175_1537:
	s_mov_b64 s[20:21], -1
	s_mov_b64 s[18:19], 0
	s_mov_b64 s[0:1], 0
                                        ; implicit-def: $vgpr3
                                        ; implicit-def: $vgpr1
	s_branch .LBB175_1601
.LBB175_1538:
	s_mov_b64 s[0:1], -1
                                        ; implicit-def: $vgpr1
.LBB175_1539:
	v_mov_b32_e32 v3, 0
.LBB175_1540:
	s_mov_b64 s[20:21], 0
.LBB175_1541:
	s_and_b64 vcc, exec, s[20:21]
	s_cbranch_vccz .LBB175_1546
; %bb.1542:
	s_cmp_eq_u32 s24, 29
	s_cbranch_scc0 .LBB175_1544
; %bb.1543:
	global_load_dwordx2 v[10:11], v[8:9], off
	s_movk_i32 s18, 0x7fff
	s_mov_b64 s[0:1], 0
	s_waitcnt vmcnt(0)
	v_ffbh_u32_e32 v1, v11
	v_min_u32_e32 v1, 32, v1
	v_lshlrev_b64 v[10:11], v1, v[10:11]
	v_sub_u32_e32 v1, 32, v1
	v_min_u32_e32 v3, 1, v10
	v_or_b32_e32 v3, v11, v3
	v_cvt_f32_u32_e32 v3, v3
	v_ldexp_f32 v1, v3, v1
	v_bfe_u32 v3, v1, 16, 1
	v_add3_u32 v1, v1, v3, s18
	v_lshrrev_b32_e32 v1, 16, v1
	s_mov_b64 s[18:19], -1
	s_branch .LBB175_1545
.LBB175_1544:
	s_mov_b64 s[0:1], -1
                                        ; implicit-def: $vgpr1
.LBB175_1545:
	v_mov_b32_e32 v3, 0
.LBB175_1546:
	s_mov_b64 s[20:21], 0
.LBB175_1547:
	s_and_b64 vcc, exec, s[20:21]
	s_cbranch_vccz .LBB175_1565
; %bb.1548:
	s_cmp_lt_i32 s24, 27
	s_cbranch_scc1 .LBB175_1551
; %bb.1549:
	s_cmp_gt_i32 s24, 27
	s_cbranch_scc0 .LBB175_1552
; %bb.1550:
	global_load_dword v1, v[8:9], off
	s_movk_i32 s18, 0x7fff
	s_waitcnt vmcnt(0)
	v_cvt_f32_u32_e32 v1, v1
	v_bfe_u32 v3, v1, 16, 1
	v_add3_u32 v1, v1, v3, s18
	v_lshrrev_b32_e32 v1, 16, v1
	s_mov_b64 s[18:19], 0
	s_branch .LBB175_1553
.LBB175_1551:
	s_mov_b64 s[18:19], -1
                                        ; implicit-def: $vgpr1
	s_branch .LBB175_1556
.LBB175_1552:
	s_mov_b64 s[18:19], -1
                                        ; implicit-def: $vgpr1
.LBB175_1553:
	s_andn2_b64 vcc, exec, s[18:19]
	s_cbranch_vccnz .LBB175_1555
; %bb.1554:
	global_load_ushort v1, v[8:9], off
	s_movk_i32 s18, 0x7fff
	s_waitcnt vmcnt(0)
	v_cvt_f32_u32_e32 v1, v1
	v_bfe_u32 v3, v1, 16, 1
	v_add3_u32 v1, v1, v3, s18
	v_lshrrev_b32_e32 v1, 16, v1
.LBB175_1555:
	s_mov_b64 s[18:19], 0
.LBB175_1556:
	s_andn2_b64 vcc, exec, s[18:19]
	s_cbranch_vccnz .LBB175_1564
; %bb.1557:
	global_load_ubyte v1, v[8:9], off
	s_movk_i32 s18, 0x7f
	s_waitcnt vmcnt(0)
	v_cmp_lt_i16_e32 vcc, s18, v1
	s_mov_b64 s[18:19], 0
	s_and_saveexec_b64 s[20:21], vcc
	s_xor_b64 s[20:21], exec, s[20:21]
	s_cbranch_execz .LBB175_1577
; %bb.1558:
	s_movk_i32 s18, 0x80
	v_cmp_eq_u16_e32 vcc, s18, v1
	s_mov_b64 s[18:19], -1
	s_and_saveexec_b64 s[22:23], vcc
; %bb.1559:
	s_xor_b64 s[18:19], exec, -1
; %bb.1560:
	s_or_b64 exec, exec, s[22:23]
	s_and_b64 s[18:19], s[18:19], exec
	s_or_saveexec_b64 s[20:21], s[20:21]
	v_mov_b32_e32 v3, 0x7f800001
	s_xor_b64 exec, exec, s[20:21]
	s_cbranch_execnz .LBB175_1578
.LBB175_1561:
	s_or_b64 exec, exec, s[20:21]
	s_and_saveexec_b64 s[20:21], s[18:19]
	s_cbranch_execz .LBB175_1563
.LBB175_1562:
	v_lshlrev_b32_e32 v3, 24, v1
	v_and_b32_e32 v1, 0xffff, v1
	v_and_b32_e32 v5, 7, v1
	v_ffbh_u32_e32 v11, v5
	v_min_u32_e32 v11, 32, v11
	v_subrev_u32_e32 v12, 28, v11
	v_bfe_u32 v10, v1, 3, 4
	v_lshlrev_b32_e32 v1, v12, v1
	v_sub_u32_e32 v11, 29, v11
	v_and_b32_e32 v1, 7, v1
	v_cmp_eq_u32_e32 vcc, 0, v10
	v_cndmask_b32_e32 v10, v10, v11, vcc
	v_cndmask_b32_e32 v1, v5, v1, vcc
	v_mov_b32_e32 v5, 0x3b800000
	v_lshlrev_b32_e32 v1, 20, v1
	v_and_b32_e32 v3, 0x80000000, v3
	v_lshl_add_u32 v5, v10, 23, v5
	v_or3_b32 v3, v3, v5, v1
.LBB175_1563:
	s_or_b64 exec, exec, s[20:21]
	v_bfe_u32 v1, v3, 16, 1
	s_movk_i32 s18, 0x7fff
	v_add3_u32 v1, v3, v1, s18
	v_cmp_o_f32_e32 vcc, v3, v3
	v_mov_b32_e32 v3, 0x7fc0
	v_cndmask_b32_sdwa v1, v3, v1, vcc dst_sel:DWORD dst_unused:UNUSED_PAD src0_sel:DWORD src1_sel:WORD_1
.LBB175_1564:
	s_mov_b64 s[18:19], -1
	v_mov_b32_e32 v3, 0
.LBB175_1565:
	s_branch .LBB175_1460
.LBB175_1566:
	s_cmp_gt_i32 s24, 22
	s_cbranch_scc0 .LBB175_1576
; %bb.1567:
	s_cmp_lt_i32 s24, 24
	s_cbranch_scc1 .LBB175_1579
; %bb.1568:
	s_cmp_gt_i32 s24, 24
	s_cbranch_scc0 .LBB175_1580
; %bb.1569:
	global_load_ubyte v1, v[8:9], off
	s_movk_i32 s12, 0x7f
	s_waitcnt vmcnt(0)
	v_cmp_lt_i16_e32 vcc, s12, v1
	s_mov_b64 s[12:13], 0
	s_and_saveexec_b64 s[18:19], vcc
	s_xor_b64 s[18:19], exec, s[18:19]
	s_cbranch_execz .LBB175_1592
; %bb.1570:
	s_movk_i32 s12, 0x80
	v_cmp_eq_u16_e32 vcc, s12, v1
	s_mov_b64 s[12:13], -1
	s_and_saveexec_b64 s[20:21], vcc
; %bb.1571:
	s_xor_b64 s[12:13], exec, -1
; %bb.1572:
	s_or_b64 exec, exec, s[20:21]
	s_and_b64 s[12:13], s[12:13], exec
	s_or_saveexec_b64 s[18:19], s[18:19]
	v_mov_b32_e32 v3, 0x7f800001
	s_xor_b64 exec, exec, s[18:19]
	s_cbranch_execnz .LBB175_1593
.LBB175_1573:
	s_or_b64 exec, exec, s[18:19]
	s_and_saveexec_b64 s[18:19], s[12:13]
	s_cbranch_execz .LBB175_1575
.LBB175_1574:
	v_lshlrev_b32_e32 v3, 24, v1
	v_and_b32_e32 v1, 0xffff, v1
	v_and_b32_e32 v5, 3, v1
	v_ffbh_u32_e32 v11, v5
	v_min_u32_e32 v11, 32, v11
	v_subrev_u32_e32 v12, 29, v11
	v_bfe_u32 v10, v1, 2, 5
	v_lshlrev_b32_e32 v1, v12, v1
	v_sub_u32_e32 v11, 30, v11
	v_and_b32_e32 v1, 3, v1
	v_cmp_eq_u32_e32 vcc, 0, v10
	v_cndmask_b32_e32 v10, v10, v11, vcc
	v_cndmask_b32_e32 v1, v5, v1, vcc
	v_mov_b32_e32 v5, 0x37800000
	v_lshlrev_b32_e32 v1, 21, v1
	v_and_b32_e32 v3, 0x80000000, v3
	v_lshl_add_u32 v5, v10, 23, v5
	v_or3_b32 v3, v3, v5, v1
.LBB175_1575:
	s_or_b64 exec, exec, s[18:19]
	v_bfe_u32 v1, v3, 16, 1
	s_movk_i32 s12, 0x7fff
	v_add3_u32 v1, v3, v1, s12
	v_cmp_o_f32_e32 vcc, v3, v3
	v_mov_b32_e32 v3, 0x7fc0
	v_cndmask_b32_sdwa v1, v3, v1, vcc dst_sel:DWORD dst_unused:UNUSED_PAD src0_sel:DWORD src1_sel:WORD_1
	s_mov_b64 s[12:13], 0
	s_branch .LBB175_1581
.LBB175_1576:
	s_mov_b64 s[12:13], -1
                                        ; implicit-def: $vgpr1
	s_branch .LBB175_1587
.LBB175_1577:
	s_or_saveexec_b64 s[20:21], s[20:21]
	v_mov_b32_e32 v3, 0x7f800001
	s_xor_b64 exec, exec, s[20:21]
	s_cbranch_execz .LBB175_1561
.LBB175_1578:
	v_cmp_ne_u16_e32 vcc, 0, v1
	s_andn2_b64 s[18:19], s[18:19], exec
	s_and_b64 s[22:23], vcc, exec
	v_mov_b32_e32 v3, 0
	s_or_b64 s[18:19], s[18:19], s[22:23]
	s_or_b64 exec, exec, s[20:21]
	s_and_saveexec_b64 s[20:21], s[18:19]
	s_cbranch_execnz .LBB175_1562
	s_branch .LBB175_1563
.LBB175_1579:
	s_mov_b64 s[12:13], -1
                                        ; implicit-def: $vgpr1
	s_branch .LBB175_1584
.LBB175_1580:
	s_mov_b64 s[12:13], -1
                                        ; implicit-def: $vgpr1
.LBB175_1581:
	s_and_b64 vcc, exec, s[12:13]
	s_cbranch_vccz .LBB175_1583
; %bb.1582:
	global_load_ubyte v1, v[8:9], off
	s_mov_b32 s12, 0x7f800000
	s_brev_b32 s13, 1
	s_movk_i32 s18, 0x7fff
	s_waitcnt vmcnt(0)
	v_lshlrev_b32_e32 v1, 24, v1
	v_and_b32_e32 v3, 0x7f000000, v1
	v_ffbh_u32_e32 v5, v3
	v_min_u32_e32 v5, 32, v5
	v_sub_u32_e64 v5, v5, 4 clamp
	v_lshlrev_b32_e32 v11, v5, v3
	v_lshlrev_b32_e32 v5, 23, v5
	v_lshrrev_b32_e32 v11, 4, v11
	v_add_u32_e32 v10, 0x1000000, v3
	v_sub_u32_e32 v5, v11, v5
	v_ashrrev_i32_e32 v10, 8, v10
	v_add_u32_e32 v5, 0x3c000000, v5
	v_and_or_b32 v5, v10, s12, v5
	v_cmp_ne_u32_e32 vcc, 0, v3
	v_cndmask_b32_e32 v3, 0, v5, vcc
	v_and_or_b32 v1, v1, s13, v3
	v_bfe_u32 v3, v3, 16, 1
	v_add3_u32 v3, v1, v3, s18
	v_cmp_o_f32_e32 vcc, v1, v1
	v_mov_b32_e32 v1, 0x7fc0
	v_cndmask_b32_sdwa v1, v1, v3, vcc dst_sel:DWORD dst_unused:UNUSED_PAD src0_sel:DWORD src1_sel:WORD_1
.LBB175_1583:
	s_mov_b64 s[12:13], 0
.LBB175_1584:
	s_andn2_b64 vcc, exec, s[12:13]
	s_cbranch_vccnz .LBB175_1586
; %bb.1585:
	global_load_ubyte v1, v[8:9], off
	s_movk_i32 s12, 0x7f00
	s_brev_b32 s13, 16
	s_brev_b32 s18, 1
	s_movk_i32 s19, 0x7fff
	s_waitcnt vmcnt(0)
	v_lshlrev_b16_e32 v3, 8, v1
	v_lshlrev_b32_e32 v1, 25, v1
	v_lshrrev_b32_e32 v5, 4, v1
	v_and_or_b32 v10, v3, s12, 0.5
	v_or_b32_e32 v5, 0x70000000, v5
	v_add_f32_e32 v10, -0.5, v10
	v_mul_f32_e32 v5, 0x7800000, v5
	v_cmp_gt_u32_e32 vcc, s13, v1
	v_bfe_i32 v3, v3, 0, 16
	v_cndmask_b32_e32 v1, v5, v10, vcc
	v_and_or_b32 v3, v3, s18, v1
	v_bfe_u32 v1, v1, 16, 1
	v_add3_u32 v1, v3, v1, s19
	v_cmp_o_f32_e32 vcc, v3, v3
	v_mov_b32_e32 v3, 0x7fc0
	v_cndmask_b32_sdwa v1, v3, v1, vcc dst_sel:DWORD dst_unused:UNUSED_PAD src0_sel:DWORD src1_sel:WORD_1
.LBB175_1586:
	s_mov_b64 s[12:13], 0
	s_mov_b64 s[18:19], -1
.LBB175_1587:
	s_andn2_b64 vcc, exec, s[12:13]
	s_mov_b64 s[12:13], 0
	s_cbranch_vccnz .LBB175_1598
; %bb.1588:
	s_cmp_gt_i32 s24, 14
	s_cbranch_scc0 .LBB175_1591
; %bb.1589:
	s_cmp_eq_u32 s24, 15
	s_cbranch_scc0 .LBB175_1594
; %bb.1590:
	global_load_ushort v1, v[8:9], off
	s_mov_b64 s[0:1], 0
	s_mov_b64 s[18:19], -1
	s_branch .LBB175_1595
.LBB175_1591:
	s_mov_b64 s[20:21], -1
                                        ; implicit-def: $vgpr1
	s_branch .LBB175_1596
.LBB175_1592:
	s_or_saveexec_b64 s[18:19], s[18:19]
	v_mov_b32_e32 v3, 0x7f800001
	s_xor_b64 exec, exec, s[18:19]
	s_cbranch_execz .LBB175_1573
.LBB175_1593:
	v_cmp_ne_u16_e32 vcc, 0, v1
	s_andn2_b64 s[12:13], s[12:13], exec
	s_and_b64 s[20:21], vcc, exec
	v_mov_b32_e32 v3, 0
	s_or_b64 s[12:13], s[12:13], s[20:21]
	s_or_b64 exec, exec, s[18:19]
	s_and_saveexec_b64 s[18:19], s[12:13]
	s_cbranch_execnz .LBB175_1574
	s_branch .LBB175_1575
.LBB175_1594:
	s_mov_b64 s[0:1], -1
                                        ; implicit-def: $vgpr1
.LBB175_1595:
	s_mov_b64 s[20:21], 0
.LBB175_1596:
	s_and_b64 vcc, exec, s[20:21]
	s_cbranch_vccz .LBB175_1598
; %bb.1597:
	s_cmp_lg_u32 s24, 11
	s_mov_b64 s[12:13], -1
	s_cselect_b64 s[0:1], -1, 0
.LBB175_1598:
	v_mov_b32_e32 v3, 0
	s_and_b64 vcc, exec, s[0:1]
	s_cbranch_vccz .LBB175_1461
.LBB175_1599:
	s_trap 2
	s_or_b64 s[2:3], s[2:3], exec
	s_cbranch_execz .LBB175_1462
	s_branch .LBB175_1463
.LBB175_1600:
	s_mov_b64 s[0:1], -1
                                        ; implicit-def: $vgpr3
                                        ; implicit-def: $vgpr1
	s_mov_b64 s[18:19], 0
.LBB175_1601:
	s_and_b64 vcc, exec, s[20:21]
	s_cbranch_vccz .LBB175_1606
; %bb.1602:
	s_cmp_eq_u32 s24, 44
	s_cbranch_scc0 .LBB175_1604
; %bb.1603:
	global_load_ubyte v1, v[7:8], off
	s_movk_i32 s18, 0xff
	v_mov_b32_e32 v3, 0x7f800001
	v_mov_b32_e32 v5, 0x400000
	;; [unrolled: 1-line block ×3, first 2 shown]
	s_mov_b64 s[0:1], 0
	s_waitcnt vmcnt(0)
	v_lshlrev_b32_e32 v10, 23, v1
	v_cmp_ne_u32_e32 vcc, s18, v1
	v_cndmask_b32_e32 v3, v3, v10, vcc
	v_cmp_ne_u32_e32 vcc, 0, v1
	v_cndmask_b32_e32 v1, v5, v3, vcc
	v_add_u32_e32 v3, 0x7fff, v1
	v_cmp_o_f32_e32 vcc, v1, v1
	v_cndmask_b32_sdwa v1, v9, v3, vcc dst_sel:DWORD dst_unused:UNUSED_PAD src0_sel:DWORD src1_sel:WORD_1
	s_mov_b64 s[18:19], -1
	s_branch .LBB175_1605
.LBB175_1604:
	s_mov_b64 s[0:1], -1
                                        ; implicit-def: $vgpr1
.LBB175_1605:
	v_mov_b32_e32 v3, 0
.LBB175_1606:
	s_mov_b64 s[20:21], 0
.LBB175_1607:
	s_and_b64 vcc, exec, s[20:21]
	s_cbranch_vccz .LBB175_1612
; %bb.1608:
	s_cmp_eq_u32 s24, 29
	s_cbranch_scc0 .LBB175_1610
; %bb.1609:
	global_load_dwordx2 v[9:10], v[7:8], off
	s_movk_i32 s18, 0x7fff
	s_mov_b64 s[0:1], 0
	s_waitcnt vmcnt(0)
	v_ffbh_u32_e32 v1, v10
	v_min_u32_e32 v1, 32, v1
	v_lshlrev_b64 v[9:10], v1, v[9:10]
	v_sub_u32_e32 v1, 32, v1
	v_min_u32_e32 v3, 1, v9
	v_or_b32_e32 v3, v10, v3
	v_cvt_f32_u32_e32 v3, v3
	v_ldexp_f32 v1, v3, v1
	v_bfe_u32 v3, v1, 16, 1
	v_add3_u32 v1, v1, v3, s18
	v_lshrrev_b32_e32 v1, 16, v1
	s_mov_b64 s[18:19], -1
	s_branch .LBB175_1611
.LBB175_1610:
	s_mov_b64 s[0:1], -1
                                        ; implicit-def: $vgpr1
.LBB175_1611:
	v_mov_b32_e32 v3, 0
.LBB175_1612:
	s_mov_b64 s[20:21], 0
.LBB175_1613:
	s_and_b64 vcc, exec, s[20:21]
	s_cbranch_vccz .LBB175_1631
; %bb.1614:
	s_cmp_lt_i32 s24, 27
	s_cbranch_scc1 .LBB175_1617
; %bb.1615:
	s_cmp_gt_i32 s24, 27
	s_cbranch_scc0 .LBB175_1618
; %bb.1616:
	global_load_dword v1, v[7:8], off
	s_movk_i32 s18, 0x7fff
	s_waitcnt vmcnt(0)
	v_cvt_f32_u32_e32 v1, v1
	v_bfe_u32 v3, v1, 16, 1
	v_add3_u32 v1, v1, v3, s18
	v_lshrrev_b32_e32 v1, 16, v1
	s_mov_b64 s[18:19], 0
	s_branch .LBB175_1619
.LBB175_1617:
	s_mov_b64 s[18:19], -1
                                        ; implicit-def: $vgpr1
	s_branch .LBB175_1622
.LBB175_1618:
	s_mov_b64 s[18:19], -1
                                        ; implicit-def: $vgpr1
.LBB175_1619:
	s_andn2_b64 vcc, exec, s[18:19]
	s_cbranch_vccnz .LBB175_1621
; %bb.1620:
	global_load_ushort v1, v[7:8], off
	s_movk_i32 s18, 0x7fff
	s_waitcnt vmcnt(0)
	v_cvt_f32_u32_e32 v1, v1
	v_bfe_u32 v3, v1, 16, 1
	v_add3_u32 v1, v1, v3, s18
	v_lshrrev_b32_e32 v1, 16, v1
.LBB175_1621:
	s_mov_b64 s[18:19], 0
.LBB175_1622:
	s_andn2_b64 vcc, exec, s[18:19]
	s_cbranch_vccnz .LBB175_1630
; %bb.1623:
	global_load_ubyte v1, v[7:8], off
	s_movk_i32 s18, 0x7f
	s_waitcnt vmcnt(0)
	v_cmp_lt_i16_e32 vcc, s18, v1
	s_mov_b64 s[18:19], 0
	s_and_saveexec_b64 s[20:21], vcc
	s_xor_b64 s[20:21], exec, s[20:21]
	s_cbranch_execz .LBB175_1656
; %bb.1624:
	s_movk_i32 s18, 0x80
	v_cmp_eq_u16_e32 vcc, s18, v1
	s_mov_b64 s[18:19], -1
	s_and_saveexec_b64 s[22:23], vcc
; %bb.1625:
	s_xor_b64 s[18:19], exec, -1
; %bb.1626:
	s_or_b64 exec, exec, s[22:23]
	s_and_b64 s[18:19], s[18:19], exec
	s_or_saveexec_b64 s[20:21], s[20:21]
	v_mov_b32_e32 v3, 0x7f800001
	s_xor_b64 exec, exec, s[20:21]
	s_cbranch_execnz .LBB175_1657
.LBB175_1627:
	s_or_b64 exec, exec, s[20:21]
	s_and_saveexec_b64 s[20:21], s[18:19]
	s_cbranch_execz .LBB175_1629
.LBB175_1628:
	v_lshlrev_b32_e32 v3, 24, v1
	v_and_b32_e32 v1, 0xffff, v1
	v_and_b32_e32 v5, 7, v1
	v_ffbh_u32_e32 v10, v5
	v_min_u32_e32 v10, 32, v10
	v_subrev_u32_e32 v11, 28, v10
	v_bfe_u32 v9, v1, 3, 4
	v_lshlrev_b32_e32 v1, v11, v1
	v_sub_u32_e32 v10, 29, v10
	v_and_b32_e32 v1, 7, v1
	v_cmp_eq_u32_e32 vcc, 0, v9
	v_cndmask_b32_e32 v9, v9, v10, vcc
	v_cndmask_b32_e32 v1, v5, v1, vcc
	v_mov_b32_e32 v5, 0x3b800000
	v_lshlrev_b32_e32 v1, 20, v1
	v_and_b32_e32 v3, 0x80000000, v3
	v_lshl_add_u32 v5, v9, 23, v5
	v_or3_b32 v3, v3, v5, v1
.LBB175_1629:
	s_or_b64 exec, exec, s[20:21]
	v_bfe_u32 v1, v3, 16, 1
	s_movk_i32 s18, 0x7fff
	v_add3_u32 v1, v3, v1, s18
	v_cmp_o_f32_e32 vcc, v3, v3
	v_mov_b32_e32 v3, 0x7fc0
	v_cndmask_b32_sdwa v1, v3, v1, vcc dst_sel:DWORD dst_unused:UNUSED_PAD src0_sel:DWORD src1_sel:WORD_1
.LBB175_1630:
	s_mov_b64 s[18:19], -1
	v_mov_b32_e32 v3, 0
.LBB175_1631:
	s_mov_b64 s[20:21], 0
.LBB175_1632:
	s_and_b64 vcc, exec, s[20:21]
	s_cbranch_vccz .LBB175_1643
; %bb.1633:
	s_cmp_gt_i32 s24, 22
	s_cbranch_scc0 .LBB175_1654
; %bb.1634:
	s_cmp_lt_i32 s24, 24
	s_cbranch_scc1 .LBB175_1658
; %bb.1635:
	s_cmp_gt_i32 s24, 24
	s_cbranch_scc0 .LBB175_1660
; %bb.1636:
	global_load_ubyte v1, v[7:8], off
	s_movk_i32 s10, 0x7f
	s_waitcnt vmcnt(0)
	v_cmp_lt_i16_e32 vcc, s10, v1
	s_mov_b64 s[10:11], 0
	s_and_saveexec_b64 s[18:19], vcc
	s_xor_b64 s[18:19], exec, s[18:19]
	s_cbranch_execz .LBB175_1672
; %bb.1637:
	s_movk_i32 s10, 0x80
	v_cmp_eq_u16_e32 vcc, s10, v1
	s_mov_b64 s[10:11], -1
	s_and_saveexec_b64 s[20:21], vcc
; %bb.1638:
	s_xor_b64 s[10:11], exec, -1
; %bb.1639:
	s_or_b64 exec, exec, s[20:21]
	s_and_b64 s[10:11], s[10:11], exec
	s_or_saveexec_b64 s[18:19], s[18:19]
	v_mov_b32_e32 v3, 0x7f800001
	s_xor_b64 exec, exec, s[18:19]
	s_cbranch_execnz .LBB175_1673
.LBB175_1640:
	s_or_b64 exec, exec, s[18:19]
	s_and_saveexec_b64 s[18:19], s[10:11]
	s_cbranch_execz .LBB175_1642
.LBB175_1641:
	v_lshlrev_b32_e32 v3, 24, v1
	v_and_b32_e32 v1, 0xffff, v1
	v_and_b32_e32 v5, 3, v1
	v_ffbh_u32_e32 v10, v5
	v_min_u32_e32 v10, 32, v10
	v_subrev_u32_e32 v11, 29, v10
	v_bfe_u32 v9, v1, 2, 5
	v_lshlrev_b32_e32 v1, v11, v1
	v_sub_u32_e32 v10, 30, v10
	v_and_b32_e32 v1, 3, v1
	v_cmp_eq_u32_e32 vcc, 0, v9
	v_cndmask_b32_e32 v9, v9, v10, vcc
	v_cndmask_b32_e32 v1, v5, v1, vcc
	v_mov_b32_e32 v5, 0x37800000
	v_lshlrev_b32_e32 v1, 21, v1
	v_and_b32_e32 v3, 0x80000000, v3
	v_lshl_add_u32 v5, v9, 23, v5
	v_or3_b32 v3, v3, v5, v1
.LBB175_1642:
	s_or_b64 exec, exec, s[18:19]
	v_bfe_u32 v1, v3, 16, 1
	s_movk_i32 s10, 0x7fff
	v_add3_u32 v1, v3, v1, s10
	v_cmp_o_f32_e32 vcc, v3, v3
	v_mov_b32_e32 v3, 0x7fc0
	v_cndmask_b32_sdwa v1, v3, v1, vcc dst_sel:DWORD dst_unused:UNUSED_PAD src0_sel:DWORD src1_sel:WORD_1
	s_mov_b64 s[10:11], 0
	s_branch .LBB175_1661
.LBB175_1643:
	s_and_b64 vcc, exec, s[0:1]
	s_cbranch_vccnz .LBB175_1691
.LBB175_1644:
	s_andn2_b64 vcc, exec, s[10:11]
	s_cbranch_vccnz .LBB175_1646
.LBB175_1645:
	global_load_ubyte v1, v[7:8], off
	s_mov_b64 s[18:19], -1
	v_mov_b32_e32 v3, 0
	s_waitcnt vmcnt(0)
	v_cmp_ne_u16_e32 vcc, 0, v1
	v_cndmask_b32_e64 v1, 0, 1.0, vcc
	v_lshrrev_b32_e32 v1, 16, v1
.LBB175_1646:
	s_mov_b64 s[0:1], 0
.LBB175_1647:
	s_and_b64 vcc, exec, s[0:1]
	s_cbranch_vccz .LBB175_1722
; %bb.1648:
	s_and_b32 s10, 0xffff, s14
	s_cmp_lt_i32 s10, 5
	s_cbranch_scc1 .LBB175_1653
; %bb.1649:
	s_cmp_lt_i32 s10, 8
	s_cbranch_scc1 .LBB175_1655
; %bb.1650:
	;; [unrolled: 3-line block ×3, first 2 shown]
	s_cmp_gt_i32 s10, 9
	s_cbranch_scc0 .LBB175_1674
; %bb.1652:
	global_load_dwordx4 v[9:12], v[7:8], off
	s_movk_i32 s0, 0x7fff
	v_mov_b32_e32 v5, 0x7fc0
	s_waitcnt vmcnt(0)
	v_cvt_f32_f64_e32 v1, v[9:10]
	v_cvt_f32_f64_e32 v3, v[11:12]
	v_mov_b32_e32 v9, 0x7fc00000
	v_bfe_u32 v10, v1, 16, 1
	v_bfe_u32 v11, v3, 16, 1
	v_cmp_o_f32_e32 vcc, v1, v1
	v_add3_u32 v1, v1, v10, s0
	v_add3_u32 v10, v3, v11, s0
	v_cndmask_b32_sdwa v1, v5, v1, vcc dst_sel:DWORD dst_unused:UNUSED_PAD src0_sel:DWORD src1_sel:WORD_1
	v_and_b32_e32 v5, 0xffff0000, v10
	v_cmp_o_f32_e32 vcc, v3, v3
	v_cndmask_b32_e32 v3, v9, v5, vcc
	s_mov_b64 s[0:1], 0
	s_branch .LBB175_1675
.LBB175_1653:
	s_mov_b64 s[0:1], -1
                                        ; implicit-def: $vgpr3
                                        ; implicit-def: $vgpr1
	s_branch .LBB175_1700
.LBB175_1654:
	s_mov_b64 s[10:11], -1
                                        ; implicit-def: $vgpr1
	s_branch .LBB175_1667
.LBB175_1655:
	s_mov_b64 s[0:1], -1
                                        ; implicit-def: $vgpr3
                                        ; implicit-def: $vgpr1
	s_branch .LBB175_1681
.LBB175_1656:
	s_or_saveexec_b64 s[20:21], s[20:21]
	v_mov_b32_e32 v3, 0x7f800001
	s_xor_b64 exec, exec, s[20:21]
	s_cbranch_execz .LBB175_1627
.LBB175_1657:
	v_cmp_ne_u16_e32 vcc, 0, v1
	s_andn2_b64 s[18:19], s[18:19], exec
	s_and_b64 s[22:23], vcc, exec
	v_mov_b32_e32 v3, 0
	s_or_b64 s[18:19], s[18:19], s[22:23]
	s_or_b64 exec, exec, s[20:21]
	s_and_saveexec_b64 s[20:21], s[18:19]
	s_cbranch_execnz .LBB175_1628
	s_branch .LBB175_1629
.LBB175_1658:
	s_mov_b64 s[10:11], -1
                                        ; implicit-def: $vgpr1
	s_branch .LBB175_1664
.LBB175_1659:
	s_mov_b64 s[0:1], -1
                                        ; implicit-def: $vgpr3
                                        ; implicit-def: $vgpr1
	s_branch .LBB175_1678
.LBB175_1660:
	s_mov_b64 s[10:11], -1
                                        ; implicit-def: $vgpr1
.LBB175_1661:
	s_and_b64 vcc, exec, s[10:11]
	s_cbranch_vccz .LBB175_1663
; %bb.1662:
	global_load_ubyte v1, v[7:8], off
	s_mov_b32 s10, 0x7f800000
	s_brev_b32 s11, 1
	s_movk_i32 s18, 0x7fff
	s_waitcnt vmcnt(0)
	v_lshlrev_b32_e32 v1, 24, v1
	v_and_b32_e32 v3, 0x7f000000, v1
	v_ffbh_u32_e32 v5, v3
	v_min_u32_e32 v5, 32, v5
	v_sub_u32_e64 v5, v5, 4 clamp
	v_lshlrev_b32_e32 v10, v5, v3
	v_lshlrev_b32_e32 v5, 23, v5
	v_lshrrev_b32_e32 v10, 4, v10
	v_add_u32_e32 v9, 0x1000000, v3
	v_sub_u32_e32 v5, v10, v5
	v_ashrrev_i32_e32 v9, 8, v9
	v_add_u32_e32 v5, 0x3c000000, v5
	v_and_or_b32 v5, v9, s10, v5
	v_cmp_ne_u32_e32 vcc, 0, v3
	v_cndmask_b32_e32 v3, 0, v5, vcc
	v_and_or_b32 v1, v1, s11, v3
	v_bfe_u32 v3, v3, 16, 1
	v_add3_u32 v3, v1, v3, s18
	v_cmp_o_f32_e32 vcc, v1, v1
	v_mov_b32_e32 v1, 0x7fc0
	v_cndmask_b32_sdwa v1, v1, v3, vcc dst_sel:DWORD dst_unused:UNUSED_PAD src0_sel:DWORD src1_sel:WORD_1
.LBB175_1663:
	s_mov_b64 s[10:11], 0
.LBB175_1664:
	s_andn2_b64 vcc, exec, s[10:11]
	s_cbranch_vccnz .LBB175_1666
; %bb.1665:
	global_load_ubyte v1, v[7:8], off
	s_movk_i32 s10, 0x7f00
	s_brev_b32 s11, 16
	s_brev_b32 s18, 1
	s_movk_i32 s19, 0x7fff
	s_waitcnt vmcnt(0)
	v_lshlrev_b16_e32 v3, 8, v1
	v_lshlrev_b32_e32 v1, 25, v1
	v_lshrrev_b32_e32 v5, 4, v1
	v_and_or_b32 v9, v3, s10, 0.5
	v_or_b32_e32 v5, 0x70000000, v5
	v_add_f32_e32 v9, -0.5, v9
	v_mul_f32_e32 v5, 0x7800000, v5
	v_cmp_gt_u32_e32 vcc, s11, v1
	v_bfe_i32 v3, v3, 0, 16
	v_cndmask_b32_e32 v1, v5, v9, vcc
	v_and_or_b32 v3, v3, s18, v1
	v_bfe_u32 v1, v1, 16, 1
	v_add3_u32 v1, v3, v1, s19
	v_cmp_o_f32_e32 vcc, v3, v3
	v_mov_b32_e32 v3, 0x7fc0
	v_cndmask_b32_sdwa v1, v3, v1, vcc dst_sel:DWORD dst_unused:UNUSED_PAD src0_sel:DWORD src1_sel:WORD_1
.LBB175_1666:
	s_mov_b64 s[10:11], 0
	s_mov_b64 s[18:19], -1
.LBB175_1667:
	s_andn2_b64 vcc, exec, s[10:11]
	s_mov_b64 s[10:11], 0
	s_cbranch_vccnz .LBB175_1690
; %bb.1668:
	s_cmp_gt_i32 s24, 14
	s_cbranch_scc0 .LBB175_1671
; %bb.1669:
	s_cmp_eq_u32 s24, 15
	s_cbranch_scc0 .LBB175_1686
; %bb.1670:
	global_load_ushort v1, v[7:8], off
	s_mov_b64 s[0:1], 0
	s_mov_b64 s[18:19], -1
	s_branch .LBB175_1687
.LBB175_1671:
	s_mov_b64 s[20:21], -1
                                        ; implicit-def: $vgpr1
	s_branch .LBB175_1688
.LBB175_1672:
	s_or_saveexec_b64 s[18:19], s[18:19]
	v_mov_b32_e32 v3, 0x7f800001
	s_xor_b64 exec, exec, s[18:19]
	s_cbranch_execz .LBB175_1640
.LBB175_1673:
	v_cmp_ne_u16_e32 vcc, 0, v1
	s_andn2_b64 s[10:11], s[10:11], exec
	s_and_b64 s[20:21], vcc, exec
	v_mov_b32_e32 v3, 0
	s_or_b64 s[10:11], s[10:11], s[20:21]
	s_or_b64 exec, exec, s[18:19]
	s_and_saveexec_b64 s[18:19], s[10:11]
	s_cbranch_execnz .LBB175_1641
	s_branch .LBB175_1642
.LBB175_1674:
	s_mov_b64 s[0:1], -1
                                        ; implicit-def: $vgpr3
                                        ; implicit-def: $vgpr1
.LBB175_1675:
	s_andn2_b64 vcc, exec, s[0:1]
	s_cbranch_vccnz .LBB175_1677
; %bb.1676:
	global_load_dwordx2 v[9:10], v[7:8], off
	s_movk_i32 s0, 0x7fff
	s_waitcnt vmcnt(1)
	v_mov_b32_e32 v1, 0x7fc0
	v_mov_b32_e32 v3, 0x7fc00000
	s_waitcnt vmcnt(0)
	v_bfe_u32 v5, v9, 16, 1
	v_bfe_u32 v11, v10, 16, 1
	v_cmp_o_f32_e32 vcc, v9, v9
	v_add3_u32 v5, v9, v5, s0
	v_add3_u32 v9, v10, v11, s0
	v_cndmask_b32_sdwa v1, v1, v5, vcc dst_sel:DWORD dst_unused:UNUSED_PAD src0_sel:DWORD src1_sel:WORD_1
	v_and_b32_e32 v5, 0xffff0000, v9
	v_cmp_o_f32_e32 vcc, v10, v10
	v_cndmask_b32_e32 v3, v3, v5, vcc
.LBB175_1677:
	s_mov_b64 s[0:1], 0
.LBB175_1678:
	s_andn2_b64 vcc, exec, s[0:1]
	s_cbranch_vccnz .LBB175_1680
; %bb.1679:
	global_load_dword v3, v[7:8], off
	s_movk_i32 s0, 0x7fff
	s_waitcnt vmcnt(1)
	v_mov_b32_e32 v1, 0x7fc0
	v_mov_b32_e32 v10, 0x7fc00000
	s_waitcnt vmcnt(0)
	v_cvt_f32_f16_e32 v5, v3
	v_cvt_f32_f16_sdwa v9, v3 dst_sel:DWORD dst_unused:UNUSED_PAD src0_sel:WORD_1
	v_cmp_o_f16_e32 vcc, v3, v3
	v_bfe_u32 v11, v5, 16, 1
	v_bfe_u32 v12, v9, 16, 1
	v_add3_u32 v5, v5, v11, s0
	v_add3_u32 v9, v9, v12, s0
	v_cndmask_b32_sdwa v1, v1, v5, vcc dst_sel:DWORD dst_unused:UNUSED_PAD src0_sel:DWORD src1_sel:WORD_1
	v_and_b32_e32 v5, 0xffff0000, v9
	v_cmp_o_f16_sdwa vcc, v3, v3 src0_sel:WORD_1 src1_sel:WORD_1
	v_cndmask_b32_e32 v3, v10, v5, vcc
.LBB175_1680:
	s_mov_b64 s[0:1], 0
.LBB175_1681:
	s_andn2_b64 vcc, exec, s[0:1]
	s_cbranch_vccnz .LBB175_1699
; %bb.1682:
	s_cmp_lt_i32 s10, 6
	s_cbranch_scc1 .LBB175_1685
; %bb.1683:
	s_cmp_gt_i32 s10, 6
	s_cbranch_scc0 .LBB175_1692
; %bb.1684:
	global_load_dwordx2 v[9:10], v[7:8], off
	s_movk_i32 s0, 0x7fff
	v_mov_b32_e32 v3, 0x7fc0
	s_waitcnt vmcnt(0)
	v_cvt_f32_f64_e32 v1, v[9:10]
	v_bfe_u32 v5, v1, 16, 1
	v_cmp_o_f32_e32 vcc, v1, v1
	v_add3_u32 v1, v1, v5, s0
	v_cndmask_b32_sdwa v1, v3, v1, vcc dst_sel:DWORD dst_unused:UNUSED_PAD src0_sel:DWORD src1_sel:WORD_1
	s_mov_b64 s[0:1], 0
	s_branch .LBB175_1693
.LBB175_1685:
	s_mov_b64 s[0:1], -1
                                        ; implicit-def: $vgpr1
	s_branch .LBB175_1696
.LBB175_1686:
	s_mov_b64 s[0:1], -1
                                        ; implicit-def: $vgpr1
.LBB175_1687:
	s_mov_b64 s[20:21], 0
.LBB175_1688:
	s_and_b64 vcc, exec, s[20:21]
	s_cbranch_vccz .LBB175_1690
; %bb.1689:
	s_cmp_lg_u32 s24, 11
	s_mov_b64 s[10:11], -1
	s_cselect_b64 s[0:1], -1, 0
.LBB175_1690:
	v_mov_b32_e32 v3, 0
	s_and_b64 vcc, exec, s[0:1]
	s_cbranch_vccz .LBB175_1644
.LBB175_1691:
	s_trap 2
	s_or_b64 s[2:3], s[2:3], exec
	s_cbranch_execz .LBB175_1645
	s_branch .LBB175_1646
.LBB175_1692:
	s_mov_b64 s[0:1], -1
                                        ; implicit-def: $vgpr1
.LBB175_1693:
	s_andn2_b64 vcc, exec, s[0:1]
	s_cbranch_vccnz .LBB175_1695
; %bb.1694:
	global_load_dword v1, v[7:8], off
	s_movk_i32 s0, 0x7fff
	v_mov_b32_e32 v3, 0x7fc0
	s_waitcnt vmcnt(0)
	v_bfe_u32 v5, v1, 16, 1
	v_cmp_o_f32_e32 vcc, v1, v1
	v_add3_u32 v1, v1, v5, s0
	v_cndmask_b32_sdwa v1, v3, v1, vcc dst_sel:DWORD dst_unused:UNUSED_PAD src0_sel:DWORD src1_sel:WORD_1
.LBB175_1695:
	s_mov_b64 s[0:1], 0
.LBB175_1696:
	s_andn2_b64 vcc, exec, s[0:1]
	s_cbranch_vccnz .LBB175_1698
; %bb.1697:
	global_load_ushort v1, v[7:8], off
	s_movk_i32 s0, 0x7fff
	v_mov_b32_e32 v5, 0x7fc0
	s_waitcnt vmcnt(0)
	v_cvt_f32_f16_e32 v3, v1
	v_cmp_o_f16_e32 vcc, v1, v1
	v_bfe_u32 v1, v3, 16, 1
	v_add3_u32 v1, v3, v1, s0
	v_cndmask_b32_sdwa v1, v5, v1, vcc dst_sel:DWORD dst_unused:UNUSED_PAD src0_sel:DWORD src1_sel:WORD_1
.LBB175_1698:
	v_mov_b32_e32 v3, 0
.LBB175_1699:
	s_mov_b64 s[0:1], 0
.LBB175_1700:
	s_andn2_b64 vcc, exec, s[0:1]
	s_cbranch_vccnz .LBB175_1721
; %bb.1701:
	s_cmp_lt_i32 s10, 2
	s_cbranch_scc1 .LBB175_1705
; %bb.1702:
	s_cmp_lt_i32 s10, 3
	s_cbranch_scc1 .LBB175_1706
; %bb.1703:
	s_cmp_gt_i32 s10, 3
	s_cbranch_scc0 .LBB175_1707
; %bb.1704:
	global_load_dwordx2 v[9:10], v[7:8], off
	s_movk_i32 s0, 0x7fff
	s_waitcnt vmcnt(0)
	v_xor_b32_e32 v3, v9, v10
	v_ffbh_i32_e32 v1, v10
	v_ashrrev_i32_e32 v3, 31, v3
	v_add_u32_e32 v1, -1, v1
	v_add_u32_e32 v3, 32, v3
	v_min_u32_e32 v1, v1, v3
	v_lshlrev_b64 v[9:10], v1, v[9:10]
	v_sub_u32_e32 v1, 32, v1
	v_min_u32_e32 v3, 1, v9
	v_or_b32_e32 v3, v10, v3
	v_cvt_f32_i32_e32 v3, v3
	v_ldexp_f32 v1, v3, v1
	v_bfe_u32 v3, v1, 16, 1
	v_add3_u32 v1, v1, v3, s0
	v_lshrrev_b32_e32 v1, 16, v1
	s_mov_b64 s[0:1], 0
	s_branch .LBB175_1708
.LBB175_1705:
	s_mov_b64 s[0:1], -1
                                        ; implicit-def: $vgpr1
	s_branch .LBB175_1714
.LBB175_1706:
	s_mov_b64 s[0:1], -1
                                        ; implicit-def: $vgpr1
	s_branch .LBB175_1711
.LBB175_1707:
	s_mov_b64 s[0:1], -1
                                        ; implicit-def: $vgpr1
.LBB175_1708:
	s_andn2_b64 vcc, exec, s[0:1]
	s_cbranch_vccnz .LBB175_1710
; %bb.1709:
	global_load_dword v1, v[7:8], off
	s_movk_i32 s0, 0x7fff
	s_waitcnt vmcnt(0)
	v_cvt_f32_i32_e32 v1, v1
	v_bfe_u32 v3, v1, 16, 1
	v_add3_u32 v1, v1, v3, s0
	v_lshrrev_b32_e32 v1, 16, v1
.LBB175_1710:
	s_mov_b64 s[0:1], 0
.LBB175_1711:
	s_andn2_b64 vcc, exec, s[0:1]
	s_cbranch_vccnz .LBB175_1713
; %bb.1712:
	global_load_sshort v1, v[7:8], off
	s_movk_i32 s0, 0x7fff
	s_waitcnt vmcnt(0)
	v_cvt_f32_i32_e32 v1, v1
	v_bfe_u32 v3, v1, 16, 1
	v_add3_u32 v1, v1, v3, s0
	v_lshrrev_b32_e32 v1, 16, v1
.LBB175_1713:
	s_mov_b64 s[0:1], 0
.LBB175_1714:
	s_andn2_b64 vcc, exec, s[0:1]
	s_cbranch_vccnz .LBB175_1720
; %bb.1715:
	s_cmp_gt_i32 s10, 0
	s_cbranch_scc0 .LBB175_1717
; %bb.1716:
	global_load_sbyte v1, v[7:8], off
	s_movk_i32 s0, 0x7fff
	s_waitcnt vmcnt(0)
	v_cvt_f32_i32_e32 v1, v1
	v_bfe_u32 v3, v1, 16, 1
	v_add3_u32 v1, v1, v3, s0
	v_lshrrev_b32_e32 v1, 16, v1
	s_mov_b64 s[0:1], 0
	s_branch .LBB175_1718
.LBB175_1717:
	s_mov_b64 s[0:1], -1
                                        ; implicit-def: $vgpr1
.LBB175_1718:
	s_andn2_b64 vcc, exec, s[0:1]
	s_cbranch_vccnz .LBB175_1720
; %bb.1719:
	global_load_ubyte v1, v[7:8], off
	s_movk_i32 s0, 0x7fff
	s_waitcnt vmcnt(0)
	v_cvt_f32_ubyte0_e32 v1, v1
	v_bfe_u32 v3, v1, 16, 1
	v_add3_u32 v1, v1, v3, s0
	v_lshrrev_b32_e32 v1, 16, v1
.LBB175_1720:
	v_mov_b32_e32 v3, 0
.LBB175_1721:
	s_mov_b64 s[18:19], -1
.LBB175_1722:
	s_andn2_b64 vcc, exec, s[18:19]
	s_cbranch_vccnz .LBB175_1725
; %bb.1723:
	s_waitcnt vmcnt(0)
	v_or_b32_sdwa v1, v3, v1 dst_sel:DWORD dst_unused:UNUSED_PAD src0_sel:DWORD src1_sel:WORD_0
	s_and_b64 vcc, exec, s[16:17]
	v_lshlrev_b32_e32 v1, 16, v1
	s_cbranch_vccz .LBB175_1771
; %bb.1724:
	s_lshl_b32 s0, s15, 16
	v_cmp_neq_f32_e32 vcc, s0, v1
	s_and_b32 s0, s15, 0xffff0000
	v_and_b32_e32 v5, 0xffff0000, v3
	v_cmp_neq_f32_e64 s[0:1], s0, v5
	s_or_b64 s[10:11], vcc, s[0:1]
	s_mov_b64 s[0:1], 0
	s_branch .LBB175_1772
.LBB175_1725:
	s_mov_b64 s[0:1], 0
                                        ; implicit-def: $sgpr10_sgpr11
.LBB175_1726:
                                        ; implicit-def: $vgpr0_vgpr1
                                        ; implicit-def: $sgpr22
	s_mov_b64 s[4:5], 0
.LBB175_1727:
	s_and_b64 s[6:7], s[4:5], exec
	s_andn2_b64 s[4:5], s[28:29], exec
	s_and_b64 s[2:3], s[2:3], exec
	s_and_b64 s[0:1], s[0:1], exec
	s_or_b64 s[28:29], s[4:5], s[2:3]
.LBB175_1728:
	s_or_b64 exec, exec, s[30:31]
	s_and_saveexec_b64 s[2:3], s[28:29]
	s_cbranch_execz .LBB175_1731
; %bb.1729:
	; divergent unreachable
	s_or_b64 exec, exec, s[2:3]
	s_and_saveexec_b64 s[2:3], s[6:7]
	s_xor_b64 s[2:3], exec, s[2:3]
	s_cbranch_execnz .LBB175_1732
.LBB175_1730:
	s_or_b64 exec, exec, s[2:3]
	s_and_saveexec_b64 s[2:3], s[0:1]
	s_cbranch_execnz .LBB175_1733
	s_branch .LBB175_1770
.LBB175_1731:
	s_or_b64 exec, exec, s[2:3]
	s_and_saveexec_b64 s[2:3], s[6:7]
	s_xor_b64 s[2:3], exec, s[2:3]
	s_cbranch_execz .LBB175_1730
.LBB175_1732:
	v_cndmask_b32_e64 v2, 0, 1, s[10:11]
	s_waitcnt vmcnt(0)
	global_store_byte v[0:1], v2, off
	s_or_b64 exec, exec, s[2:3]
	s_and_saveexec_b64 s[2:3], s[0:1]
	s_cbranch_execz .LBB175_1770
.LBB175_1733:
	s_sext_i32_i16 s2, s22
	s_cmp_lt_i32 s2, 5
	s_mov_b64 s[0:1], -1
	s_cbranch_scc1 .LBB175_1754
; %bb.1734:
	s_cmp_lt_i32 s2, 8
	s_cbranch_scc1 .LBB175_1744
; %bb.1735:
	s_cmp_lt_i32 s2, 9
	s_cbranch_scc1 .LBB175_1741
; %bb.1736:
	s_cmp_gt_i32 s2, 9
	s_cbranch_scc0 .LBB175_1738
; %bb.1737:
	v_cndmask_b32_e64 v2, 0, 1, s[10:11]
	s_waitcnt vmcnt(0)
	v_cvt_f64_u32_e32 v[2:3], v2
	v_mov_b32_e32 v4, 0
	v_mov_b32_e32 v5, v4
	s_mov_b64 s[0:1], 0
	global_store_dwordx4 v[0:1], v[2:5], off
.LBB175_1738:
	s_andn2_b64 vcc, exec, s[0:1]
	s_cbranch_vccnz .LBB175_1740
; %bb.1739:
	v_cndmask_b32_e64 v2, 0, 1.0, s[10:11]
	s_waitcnt vmcnt(0)
	v_mov_b32_e32 v3, 0
	global_store_dwordx2 v[0:1], v[2:3], off
.LBB175_1740:
	s_mov_b64 s[0:1], 0
.LBB175_1741:
	s_andn2_b64 vcc, exec, s[0:1]
	s_cbranch_vccnz .LBB175_1743
; %bb.1742:
	v_cndmask_b32_e64 v2, 0, 1.0, s[10:11]
	v_cvt_f16_f32_e32 v2, v2
	s_waitcnt vmcnt(0)
	global_store_dword v[0:1], v2, off
.LBB175_1743:
	s_mov_b64 s[0:1], 0
.LBB175_1744:
	s_andn2_b64 vcc, exec, s[0:1]
	s_cbranch_vccnz .LBB175_1753
; %bb.1745:
	s_sext_i32_i16 s2, s22
	s_cmp_lt_i32 s2, 6
	s_mov_b64 s[0:1], -1
	s_cbranch_scc1 .LBB175_1751
; %bb.1746:
	s_cmp_gt_i32 s2, 6
	s_cbranch_scc0 .LBB175_1748
; %bb.1747:
	v_cndmask_b32_e64 v2, 0, 1, s[10:11]
	s_waitcnt vmcnt(0)
	v_cvt_f64_u32_e32 v[2:3], v2
	s_mov_b64 s[0:1], 0
	global_store_dwordx2 v[0:1], v[2:3], off
.LBB175_1748:
	s_andn2_b64 vcc, exec, s[0:1]
	s_cbranch_vccnz .LBB175_1750
; %bb.1749:
	v_cndmask_b32_e64 v2, 0, 1.0, s[10:11]
	s_waitcnt vmcnt(0)
	global_store_dword v[0:1], v2, off
.LBB175_1750:
	s_mov_b64 s[0:1], 0
.LBB175_1751:
	s_andn2_b64 vcc, exec, s[0:1]
	s_cbranch_vccnz .LBB175_1753
; %bb.1752:
	v_cndmask_b32_e64 v2, 0, 1.0, s[10:11]
	v_cvt_f16_f32_e32 v2, v2
	s_waitcnt vmcnt(0)
	global_store_short v[0:1], v2, off
.LBB175_1753:
	s_mov_b64 s[0:1], 0
.LBB175_1754:
	s_andn2_b64 vcc, exec, s[0:1]
	s_cbranch_vccnz .LBB175_1770
; %bb.1755:
	s_sext_i32_i16 s2, s22
	s_cmp_lt_i32 s2, 2
	s_mov_b64 s[0:1], -1
	s_cbranch_scc1 .LBB175_1765
; %bb.1756:
	s_cmp_lt_i32 s2, 3
	s_cbranch_scc1 .LBB175_1762
; %bb.1757:
	s_cmp_gt_i32 s2, 3
	s_cbranch_scc0 .LBB175_1759
; %bb.1758:
	s_mov_b32 s0, 0
	v_cndmask_b32_e64 v2, 0, 1, s[10:11]
	s_waitcnt vmcnt(0)
	v_mov_b32_e32 v3, s0
	global_store_dwordx2 v[0:1], v[2:3], off
	s_mov_b64 s[0:1], 0
.LBB175_1759:
	s_andn2_b64 vcc, exec, s[0:1]
	s_cbranch_vccnz .LBB175_1761
; %bb.1760:
	v_cndmask_b32_e64 v2, 0, 1, s[10:11]
	s_waitcnt vmcnt(0)
	global_store_dword v[0:1], v2, off
.LBB175_1761:
	s_mov_b64 s[0:1], 0
.LBB175_1762:
	s_andn2_b64 vcc, exec, s[0:1]
	s_cbranch_vccnz .LBB175_1764
; %bb.1763:
	v_cndmask_b32_e64 v2, 0, 1, s[10:11]
	s_waitcnt vmcnt(0)
	global_store_short v[0:1], v2, off
.LBB175_1764:
	s_mov_b64 s[0:1], 0
.LBB175_1765:
	s_andn2_b64 vcc, exec, s[0:1]
	s_cbranch_vccnz .LBB175_1770
; %bb.1766:
	s_sext_i32_i16 s0, s22
	s_cmp_gt_i32 s0, 0
	s_mov_b64 s[0:1], -1
	s_cbranch_scc0 .LBB175_1768
; %bb.1767:
	v_cndmask_b32_e64 v2, 0, 1, s[10:11]
	s_waitcnt vmcnt(0)
	global_store_byte v[0:1], v2, off
	s_mov_b64 s[0:1], 0
.LBB175_1768:
	s_andn2_b64 vcc, exec, s[0:1]
	s_cbranch_vccnz .LBB175_1770
; %bb.1769:
	v_cndmask_b32_e64 v2, 0, 1, s[10:11]
	s_waitcnt vmcnt(0)
	global_store_byte v[0:1], v2, off
	s_endpgm
.LBB175_1770:
	s_endpgm
.LBB175_1771:
	s_mov_b64 s[0:1], -1
                                        ; implicit-def: $sgpr10_sgpr11
.LBB175_1772:
	s_andn2_b64 vcc, exec, s[0:1]
	s_cbranch_vccnz .LBB175_1774
; %bb.1773:
	v_and_b32_e32 v3, 0xffff0000, v3
	s_and_b32 s0, s15, 0xffff0000
	s_lshl_b32 s1, s15, 16
	v_cmp_eq_f32_e32 vcc, s1, v1
	v_cmp_eq_f32_e64 s[0:1], s0, v3
	s_and_b64 s[0:1], vcc, s[0:1]
	s_andn2_b64 s[10:11], s[10:11], exec
	s_and_b64 s[0:1], s[0:1], exec
	s_or_b64 s[10:11], s[10:11], s[0:1]
.LBB175_1774:
	s_load_dword s0, s[34:35], 0x160
	v_mov_b32_e32 v1, s9
	v_add_co_u32_e32 v5, vcc, s8, v6
	v_addc_co_u32_e32 v6, vcc, 0, v1, vcc
	s_waitcnt lgkmcnt(0)
	s_and_b32 s22, s0, 0xff
	s_cmp_lt_i32 s22, 11
	s_cbranch_scc1 .LBB175_1852
; %bb.1775:
	s_and_b32 s23, 0xffff, s22
	s_mov_b64 s[18:19], -1
	s_mov_b64 s[14:15], 0
	s_cmp_gt_i32 s23, 25
	s_mov_b64 s[16:17], 0
	s_mov_b64 s[0:1], 0
	s_cbranch_scc0 .LBB175_1808
; %bb.1776:
	s_cmp_gt_i32 s23, 28
	s_cbranch_scc0 .LBB175_1791
; %bb.1777:
	s_cmp_gt_i32 s23, 43
	;; [unrolled: 3-line block ×3, first 2 shown]
	s_cbranch_scc0 .LBB175_1781
; %bb.1779:
	s_mov_b64 s[0:1], -1
	s_mov_b64 s[18:19], 0
	s_cmp_eq_u32 s23, 46
	s_cbranch_scc0 .LBB175_1781
; %bb.1780:
	v_cndmask_b32_e64 v1, 0, 1.0, s[4:5]
	v_bfe_u32 v3, v1, 16, 1
	s_movk_i32 s0, 0x7fff
	v_add3_u32 v1, v1, v3, s0
	v_lshrrev_b32_e32 v1, 16, v1
	global_store_dword v[5:6], v1, off
	s_mov_b64 s[0:1], 0
	s_mov_b64 s[16:17], -1
.LBB175_1781:
	s_and_b64 vcc, exec, s[18:19]
	s_cbranch_vccz .LBB175_1786
; %bb.1782:
	s_cmp_eq_u32 s23, 44
	s_mov_b64 s[0:1], -1
	s_cbranch_scc0 .LBB175_1786
; %bb.1783:
	v_cndmask_b32_e64 v3, 0, 1.0, s[4:5]
	v_lshrrev_b32_e32 v1, 23, v3
	s_movk_i32 s0, 0xff
	v_cmp_ne_u32_e32 vcc, s0, v1
	v_mov_b32_e32 v7, 0xff
	s_and_saveexec_b64 s[16:17], vcc
; %bb.1784:
	s_mov_b32 s0, 0x3fffff
	v_and_b32_e32 v7, 0x400000, v3
	v_and_or_b32 v3, v3, s0, v1
	v_cmp_ne_u32_e32 vcc, 0, v7
	v_cmp_ne_u32_e64 s[0:1], 0, v3
	s_and_b64 s[0:1], vcc, s[0:1]
	v_cndmask_b32_e64 v3, 0, 1, s[0:1]
	v_add_u32_e32 v7, v1, v3
; %bb.1785:
	s_or_b64 exec, exec, s[16:17]
	s_mov_b64 s[0:1], 0
	s_mov_b64 s[16:17], -1
	global_store_byte v[5:6], v7, off
.LBB175_1786:
	s_mov_b64 s[18:19], 0
.LBB175_1787:
	s_and_b64 vcc, exec, s[18:19]
	s_cbranch_vccz .LBB175_1790
; %bb.1788:
	s_cmp_eq_u32 s23, 29
	s_mov_b64 s[0:1], -1
	s_cbranch_scc0 .LBB175_1790
; %bb.1789:
	s_mov_b32 s0, 0
	v_cndmask_b32_e64 v7, 0, 1, s[4:5]
	v_mov_b32_e32 v8, s0
	global_store_dwordx2 v[5:6], v[7:8], off
	s_mov_b64 s[0:1], 0
	s_mov_b64 s[16:17], -1
.LBB175_1790:
	s_mov_b64 s[18:19], 0
.LBB175_1791:
	s_and_b64 vcc, exec, s[18:19]
	s_cbranch_vccz .LBB175_1807
; %bb.1792:
	s_cmp_lt_i32 s23, 27
	s_mov_b64 s[16:17], -1
	s_cbranch_scc1 .LBB175_1798
; %bb.1793:
	s_cmp_gt_i32 s23, 27
	s_cbranch_scc0 .LBB175_1795
; %bb.1794:
	v_cndmask_b32_e64 v1, 0, 1, s[4:5]
	s_mov_b64 s[16:17], 0
	global_store_dword v[5:6], v1, off
.LBB175_1795:
	s_andn2_b64 vcc, exec, s[16:17]
	s_cbranch_vccnz .LBB175_1797
; %bb.1796:
	v_cndmask_b32_e64 v1, 0, 1, s[4:5]
	global_store_short v[5:6], v1, off
.LBB175_1797:
	s_mov_b64 s[16:17], 0
.LBB175_1798:
	s_andn2_b64 vcc, exec, s[16:17]
	s_cbranch_vccnz .LBB175_1806
; %bb.1799:
	v_cndmask_b32_e64 v3, 0, 1.0, s[4:5]
	s_mov_b32 s16, 0x43800000
	v_cmp_gt_u32_e32 vcc, s16, v3
	v_mov_b32_e32 v7, 0x80
	s_and_saveexec_b64 s[16:17], vcc
	s_cbranch_execz .LBB175_1805
; %bb.1800:
	s_mov_b32 s18, 0x3bffffff
	v_cmp_lt_u32_e32 vcc, s18, v3
	s_mov_b64 s[18:19], 0
                                        ; implicit-def: $vgpr1
	s_and_saveexec_b64 s[20:21], vcc
	s_xor_b64 s[20:21], exec, s[20:21]
	s_cbranch_execz .LBB175_2209
; %bb.1801:
	v_bfe_u32 v1, v3, 20, 1
	s_mov_b32 s24, 0x487ffff
	v_add3_u32 v1, v3, v1, s24
	s_mov_b64 s[18:19], exec
	v_lshrrev_b32_e32 v1, 20, v1
                                        ; implicit-def: $vgpr3
	s_andn2_saveexec_b64 s[20:21], s[20:21]
	s_cbranch_execnz .LBB175_2210
.LBB175_1802:
	s_or_b64 exec, exec, s[20:21]
	v_mov_b32_e32 v7, 0
	s_and_saveexec_b64 s[20:21], s[18:19]
.LBB175_1803:
	v_mov_b32_e32 v7, v1
.LBB175_1804:
	s_or_b64 exec, exec, s[20:21]
.LBB175_1805:
	s_or_b64 exec, exec, s[16:17]
	global_store_byte v[5:6], v7, off
.LBB175_1806:
	s_mov_b64 s[16:17], -1
.LBB175_1807:
	s_mov_b64 s[18:19], 0
.LBB175_1808:
	s_and_b64 vcc, exec, s[18:19]
	s_cbranch_vccz .LBB175_1848
; %bb.1809:
	s_cmp_gt_i32 s23, 22
	s_mov_b64 s[14:15], -1
	s_cbranch_scc0 .LBB175_1841
; %bb.1810:
	s_cmp_lt_i32 s23, 24
	s_cbranch_scc1 .LBB175_1830
; %bb.1811:
	s_cmp_gt_i32 s23, 24
	s_cbranch_scc0 .LBB175_1819
; %bb.1812:
	v_cndmask_b32_e64 v3, 0, 1.0, s[4:5]
	s_mov_b32 s14, 0x47800000
	v_cmp_gt_u32_e32 vcc, s14, v3
	v_mov_b32_e32 v7, 0x80
	s_and_saveexec_b64 s[14:15], vcc
	s_cbranch_execz .LBB175_1818
; %bb.1813:
	s_mov_b32 s16, 0x37ffffff
	v_cmp_lt_u32_e32 vcc, s16, v3
	s_mov_b64 s[16:17], 0
                                        ; implicit-def: $vgpr1
	s_and_saveexec_b64 s[18:19], vcc
	s_xor_b64 s[18:19], exec, s[18:19]
	s_cbranch_execz .LBB175_2212
; %bb.1814:
	v_bfe_u32 v1, v3, 21, 1
	s_mov_b32 s20, 0x88fffff
	v_add3_u32 v1, v3, v1, s20
	s_mov_b64 s[16:17], exec
	v_lshrrev_b32_e32 v1, 21, v1
                                        ; implicit-def: $vgpr3
	s_andn2_saveexec_b64 s[18:19], s[18:19]
	s_cbranch_execnz .LBB175_2213
.LBB175_1815:
	s_or_b64 exec, exec, s[18:19]
	v_mov_b32_e32 v7, 0
	s_and_saveexec_b64 s[18:19], s[16:17]
.LBB175_1816:
	v_mov_b32_e32 v7, v1
.LBB175_1817:
	s_or_b64 exec, exec, s[18:19]
.LBB175_1818:
	s_or_b64 exec, exec, s[14:15]
	s_mov_b64 s[14:15], 0
	global_store_byte v[5:6], v7, off
.LBB175_1819:
	s_and_b64 vcc, exec, s[14:15]
	s_cbranch_vccz .LBB175_1829
; %bb.1820:
	v_cndmask_b32_e64 v1, 0, 1.0, s[4:5]
	s_mov_b32 s14, 0x43f00000
	v_cmp_gt_u32_e32 vcc, s14, v1
                                        ; implicit-def: $vgpr3
	s_and_saveexec_b64 s[14:15], vcc
	s_xor_b64 s[14:15], exec, s[14:15]
	s_cbranch_execz .LBB175_1826
; %bb.1821:
	s_mov_b32 s16, 0x3c7fffff
	v_cmp_lt_u32_e32 vcc, s16, v1
                                        ; implicit-def: $vgpr3
	s_and_saveexec_b64 s[16:17], vcc
	s_xor_b64 s[16:17], exec, s[16:17]
; %bb.1822:
	v_bfe_u32 v3, v1, 20, 1
	s_mov_b32 s18, 0x407ffff
	v_add3_u32 v1, v1, v3, s18
	v_lshrrev_b32_e32 v3, 20, v1
	v_and_b32_e32 v1, 0xff00000, v1
	s_mov_b32 s18, 0x7f00000
	v_mov_b32_e32 v7, 0x7e
	v_cmp_ne_u32_e32 vcc, s18, v1
	v_cndmask_b32_e32 v3, v7, v3, vcc
                                        ; implicit-def: $vgpr1
; %bb.1823:
	s_andn2_saveexec_b64 s[16:17], s[16:17]
; %bb.1824:
	v_add_f32_e32 v3, 0x46800000, v1
; %bb.1825:
	s_or_b64 exec, exec, s[16:17]
                                        ; implicit-def: $vgpr1
.LBB175_1826:
	s_andn2_saveexec_b64 s[14:15], s[14:15]
; %bb.1827:
	s_mov_b32 s16, 0x7f800000
	v_mov_b32_e32 v3, 0x7e
	v_mov_b32_e32 v7, 0x7f
	v_cmp_lt_u32_e32 vcc, s16, v1
	v_cndmask_b32_e32 v3, v3, v7, vcc
; %bb.1828:
	s_or_b64 exec, exec, s[14:15]
	global_store_byte v[5:6], v3, off
.LBB175_1829:
	s_mov_b64 s[14:15], 0
.LBB175_1830:
	s_andn2_b64 vcc, exec, s[14:15]
	s_cbranch_vccnz .LBB175_1840
; %bb.1831:
	v_cndmask_b32_e64 v1, 0, 1.0, s[4:5]
	s_mov_b32 s14, 0x47800000
	v_cmp_gt_u32_e32 vcc, s14, v1
                                        ; implicit-def: $vgpr3
	s_and_saveexec_b64 s[14:15], vcc
	s_xor_b64 s[14:15], exec, s[14:15]
	s_cbranch_execz .LBB175_1837
; %bb.1832:
	s_mov_b32 s16, 0x387fffff
	v_cmp_lt_u32_e32 vcc, s16, v1
                                        ; implicit-def: $vgpr3
	s_and_saveexec_b64 s[16:17], vcc
	s_xor_b64 s[16:17], exec, s[16:17]
; %bb.1833:
	v_bfe_u32 v3, v1, 21, 1
	s_mov_b32 s18, 0x80fffff
	v_add3_u32 v1, v1, v3, s18
	v_lshrrev_b32_e32 v3, 21, v1
                                        ; implicit-def: $vgpr1
; %bb.1834:
	s_andn2_saveexec_b64 s[16:17], s[16:17]
; %bb.1835:
	v_add_f32_e32 v3, 0x43000000, v1
; %bb.1836:
	s_or_b64 exec, exec, s[16:17]
                                        ; implicit-def: $vgpr1
.LBB175_1837:
	s_andn2_saveexec_b64 s[14:15], s[14:15]
; %bb.1838:
	s_mov_b32 s16, 0x7f800000
	v_mov_b32_e32 v3, 0x7c
	v_mov_b32_e32 v7, 0x7f
	v_cmp_lt_u32_e32 vcc, s16, v1
	v_cndmask_b32_e32 v3, v3, v7, vcc
; %bb.1839:
	s_or_b64 exec, exec, s[14:15]
	global_store_byte v[5:6], v3, off
.LBB175_1840:
	s_mov_b64 s[14:15], 0
	s_mov_b64 s[16:17], -1
.LBB175_1841:
	s_andn2_b64 vcc, exec, s[14:15]
	s_mov_b64 s[14:15], 0
	s_cbranch_vccnz .LBB175_1848
; %bb.1842:
	s_cmp_gt_i32 s23, 14
	s_mov_b64 s[18:19], -1
	s_cbranch_scc0 .LBB175_1846
; %bb.1843:
	s_cmp_eq_u32 s23, 15
	s_mov_b64 s[0:1], -1
	s_cbranch_scc0 .LBB175_1845
; %bb.1844:
	v_cndmask_b32_e64 v1, 0, 1.0, s[4:5]
	v_bfe_u32 v3, v1, 16, 1
	s_movk_i32 s0, 0x7fff
	v_add3_u32 v1, v1, v3, s0
	global_store_short_d16_hi v[5:6], v1, off
	s_mov_b64 s[0:1], 0
	s_mov_b64 s[16:17], -1
.LBB175_1845:
	s_mov_b64 s[18:19], 0
.LBB175_1846:
	s_and_b64 vcc, exec, s[18:19]
	s_cbranch_vccz .LBB175_1848
; %bb.1847:
	s_cmp_lg_u32 s23, 11
	s_mov_b64 s[14:15], -1
	s_cselect_b64 s[0:1], -1, 0
.LBB175_1848:
	s_and_b64 vcc, exec, s[0:1]
	s_cbranch_vccnz .LBB175_2211
; %bb.1849:
	s_andn2_b64 vcc, exec, s[14:15]
	s_cbranch_vccnz .LBB175_1851
.LBB175_1850:
	v_cndmask_b32_e64 v1, 0, 1, s[4:5]
	s_mov_b64 s[16:17], -1
	global_store_byte v[5:6], v1, off
.LBB175_1851:
	s_mov_b64 s[0:1], 0
	s_branch .LBB175_1853
.LBB175_1852:
	s_mov_b64 s[0:1], -1
	s_mov_b64 s[16:17], 0
.LBB175_1853:
	s_and_b64 vcc, exec, s[0:1]
	s_cbranch_vccz .LBB175_1892
; %bb.1854:
	s_and_b32 s14, 0xffff, s22
	s_cmp_lt_i32 s14, 5
	s_mov_b64 s[0:1], -1
	s_cbranch_scc1 .LBB175_1875
; %bb.1855:
	s_cmp_lt_i32 s14, 8
	s_cbranch_scc1 .LBB175_1865
; %bb.1856:
	s_cmp_lt_i32 s14, 9
	s_cbranch_scc1 .LBB175_1862
; %bb.1857:
	s_cmp_gt_i32 s14, 9
	s_cbranch_scc0 .LBB175_1859
; %bb.1858:
	v_cndmask_b32_e64 v1, 0, 1, s[4:5]
	v_cvt_f64_u32_e32 v[7:8], v1
	v_mov_b32_e32 v9, 0
	v_mov_b32_e32 v10, v9
	s_mov_b64 s[0:1], 0
	global_store_dwordx4 v[5:6], v[7:10], off
.LBB175_1859:
	s_andn2_b64 vcc, exec, s[0:1]
	s_cbranch_vccnz .LBB175_1861
; %bb.1860:
	v_cndmask_b32_e64 v7, 0, 1.0, s[4:5]
	v_mov_b32_e32 v8, 0
	global_store_dwordx2 v[5:6], v[7:8], off
.LBB175_1861:
	s_mov_b64 s[0:1], 0
.LBB175_1862:
	s_andn2_b64 vcc, exec, s[0:1]
	s_cbranch_vccnz .LBB175_1864
; %bb.1863:
	v_cndmask_b32_e64 v1, 0, 1.0, s[4:5]
	v_cvt_f16_f32_e32 v1, v1
	global_store_dword v[5:6], v1, off
.LBB175_1864:
	s_mov_b64 s[0:1], 0
.LBB175_1865:
	s_andn2_b64 vcc, exec, s[0:1]
	s_cbranch_vccnz .LBB175_1874
; %bb.1866:
	s_cmp_lt_i32 s14, 6
	s_mov_b64 s[0:1], -1
	s_cbranch_scc1 .LBB175_1872
; %bb.1867:
	s_cmp_gt_i32 s14, 6
	s_cbranch_scc0 .LBB175_1869
; %bb.1868:
	v_cndmask_b32_e64 v1, 0, 1, s[4:5]
	v_cvt_f64_u32_e32 v[7:8], v1
	s_mov_b64 s[0:1], 0
	global_store_dwordx2 v[5:6], v[7:8], off
.LBB175_1869:
	s_andn2_b64 vcc, exec, s[0:1]
	s_cbranch_vccnz .LBB175_1871
; %bb.1870:
	v_cndmask_b32_e64 v1, 0, 1.0, s[4:5]
	global_store_dword v[5:6], v1, off
.LBB175_1871:
	s_mov_b64 s[0:1], 0
.LBB175_1872:
	s_andn2_b64 vcc, exec, s[0:1]
	s_cbranch_vccnz .LBB175_1874
; %bb.1873:
	v_cndmask_b32_e64 v1, 0, 1.0, s[4:5]
	v_cvt_f16_f32_e32 v1, v1
	global_store_short v[5:6], v1, off
.LBB175_1874:
	s_mov_b64 s[0:1], 0
.LBB175_1875:
	s_andn2_b64 vcc, exec, s[0:1]
	s_cbranch_vccnz .LBB175_1891
; %bb.1876:
	s_cmp_lt_i32 s14, 2
	s_mov_b64 s[0:1], -1
	s_cbranch_scc1 .LBB175_1886
; %bb.1877:
	s_cmp_lt_i32 s14, 3
	s_cbranch_scc1 .LBB175_1883
; %bb.1878:
	s_cmp_gt_i32 s14, 3
	s_cbranch_scc0 .LBB175_1880
; %bb.1879:
	s_mov_b32 s0, 0
	v_cndmask_b32_e64 v7, 0, 1, s[4:5]
	v_mov_b32_e32 v8, s0
	global_store_dwordx2 v[5:6], v[7:8], off
	s_mov_b64 s[0:1], 0
.LBB175_1880:
	s_andn2_b64 vcc, exec, s[0:1]
	s_cbranch_vccnz .LBB175_1882
; %bb.1881:
	v_cndmask_b32_e64 v1, 0, 1, s[4:5]
	global_store_dword v[5:6], v1, off
.LBB175_1882:
	s_mov_b64 s[0:1], 0
.LBB175_1883:
	s_andn2_b64 vcc, exec, s[0:1]
	s_cbranch_vccnz .LBB175_1885
; %bb.1884:
	v_cndmask_b32_e64 v1, 0, 1, s[4:5]
	global_store_short v[5:6], v1, off
.LBB175_1885:
	s_mov_b64 s[0:1], 0
.LBB175_1886:
	s_andn2_b64 vcc, exec, s[0:1]
	s_cbranch_vccnz .LBB175_1891
; %bb.1887:
	s_mov_b64 s[0:1], -1
	s_cmp_gt_i32 s14, 0
	v_cndmask_b32_e64 v1, 0, 1, s[4:5]
	s_cbranch_scc0 .LBB175_1889
; %bb.1888:
	global_store_byte v[5:6], v1, off
	s_mov_b64 s[0:1], 0
.LBB175_1889:
	s_andn2_b64 vcc, exec, s[0:1]
	s_cbranch_vccnz .LBB175_1891
; %bb.1890:
	global_store_byte v[5:6], v1, off
.LBB175_1891:
	s_mov_b64 s[16:17], -1
.LBB175_1892:
	s_andn2_b64 vcc, exec, s[16:17]
	s_cbranch_vccnz .LBB175_2207
; %bb.1893:
	v_mov_b32_e32 v1, s9
	s_and_b32 s20, 0xffff, s22
	v_add_co_u32_e32 v3, vcc, s8, v4
	s_cmp_lt_i32 s20, 11
	v_addc_co_u32_e32 v4, vcc, 0, v1, vcc
	s_cbranch_scc1 .LBB175_1971
; %bb.1894:
	s_mov_b64 s[16:17], -1
	s_mov_b64 s[4:5], 0
	s_cmp_gt_i32 s20, 25
	s_mov_b64 s[14:15], 0
	s_mov_b64 s[0:1], 0
	s_cbranch_scc0 .LBB175_1927
; %bb.1895:
	s_cmp_gt_i32 s20, 28
	s_cbranch_scc0 .LBB175_1910
; %bb.1896:
	s_cmp_gt_i32 s20, 43
	;; [unrolled: 3-line block ×3, first 2 shown]
	s_cbranch_scc0 .LBB175_1900
; %bb.1898:
	s_mov_b64 s[0:1], -1
	s_mov_b64 s[16:17], 0
	s_cmp_eq_u32 s20, 46
	s_cbranch_scc0 .LBB175_1900
; %bb.1899:
	v_cndmask_b32_e64 v1, 0, 1.0, s[6:7]
	v_bfe_u32 v5, v1, 16, 1
	s_movk_i32 s0, 0x7fff
	v_add3_u32 v1, v1, v5, s0
	v_lshrrev_b32_e32 v1, 16, v1
	global_store_dword v[3:4], v1, off
	s_mov_b64 s[0:1], 0
	s_mov_b64 s[14:15], -1
.LBB175_1900:
	s_and_b64 vcc, exec, s[16:17]
	s_cbranch_vccz .LBB175_1905
; %bb.1901:
	s_cmp_eq_u32 s20, 44
	s_mov_b64 s[0:1], -1
	s_cbranch_scc0 .LBB175_1905
; %bb.1902:
	v_cndmask_b32_e64 v5, 0, 1.0, s[6:7]
	v_lshrrev_b32_e32 v1, 23, v5
	s_movk_i32 s0, 0xff
	v_cmp_ne_u32_e32 vcc, s0, v1
	v_mov_b32_e32 v6, 0xff
	s_and_saveexec_b64 s[14:15], vcc
; %bb.1903:
	s_mov_b32 s0, 0x3fffff
	v_and_b32_e32 v6, 0x400000, v5
	v_and_or_b32 v5, v5, s0, v1
	v_cmp_ne_u32_e32 vcc, 0, v6
	v_cmp_ne_u32_e64 s[0:1], 0, v5
	s_and_b64 s[0:1], vcc, s[0:1]
	v_cndmask_b32_e64 v5, 0, 1, s[0:1]
	v_add_u32_e32 v6, v1, v5
; %bb.1904:
	s_or_b64 exec, exec, s[14:15]
	s_mov_b64 s[0:1], 0
	s_mov_b64 s[14:15], -1
	global_store_byte v[3:4], v6, off
.LBB175_1905:
	s_mov_b64 s[16:17], 0
.LBB175_1906:
	s_and_b64 vcc, exec, s[16:17]
	s_cbranch_vccz .LBB175_1909
; %bb.1907:
	s_cmp_eq_u32 s20, 29
	s_mov_b64 s[0:1], -1
	s_cbranch_scc0 .LBB175_1909
; %bb.1908:
	s_mov_b32 s0, 0
	v_cndmask_b32_e64 v5, 0, 1, s[6:7]
	v_mov_b32_e32 v6, s0
	global_store_dwordx2 v[3:4], v[5:6], off
	s_mov_b64 s[0:1], 0
	s_mov_b64 s[14:15], -1
.LBB175_1909:
	s_mov_b64 s[16:17], 0
.LBB175_1910:
	s_and_b64 vcc, exec, s[16:17]
	s_cbranch_vccz .LBB175_1926
; %bb.1911:
	s_cmp_lt_i32 s20, 27
	s_mov_b64 s[14:15], -1
	s_cbranch_scc1 .LBB175_1917
; %bb.1912:
	s_cmp_gt_i32 s20, 27
	s_cbranch_scc0 .LBB175_1914
; %bb.1913:
	v_cndmask_b32_e64 v1, 0, 1, s[6:7]
	s_mov_b64 s[14:15], 0
	global_store_dword v[3:4], v1, off
.LBB175_1914:
	s_andn2_b64 vcc, exec, s[14:15]
	s_cbranch_vccnz .LBB175_1916
; %bb.1915:
	v_cndmask_b32_e64 v1, 0, 1, s[6:7]
	global_store_short v[3:4], v1, off
.LBB175_1916:
	s_mov_b64 s[14:15], 0
.LBB175_1917:
	s_andn2_b64 vcc, exec, s[14:15]
	s_cbranch_vccnz .LBB175_1925
; %bb.1918:
	v_cndmask_b32_e64 v5, 0, 1.0, s[6:7]
	s_mov_b32 s14, 0x43800000
	v_cmp_gt_u32_e32 vcc, s14, v5
	v_mov_b32_e32 v6, 0x80
	s_and_saveexec_b64 s[14:15], vcc
	s_cbranch_execz .LBB175_1924
; %bb.1919:
	s_mov_b32 s16, 0x3bffffff
	v_cmp_lt_u32_e32 vcc, s16, v5
	s_mov_b64 s[16:17], 0
                                        ; implicit-def: $vgpr1
	s_and_saveexec_b64 s[18:19], vcc
	s_xor_b64 s[18:19], exec, s[18:19]
	s_cbranch_execz .LBB175_2214
; %bb.1920:
	v_bfe_u32 v1, v5, 20, 1
	s_mov_b32 s21, 0x487ffff
	v_add3_u32 v1, v5, v1, s21
	s_mov_b64 s[16:17], exec
	v_lshrrev_b32_e32 v1, 20, v1
                                        ; implicit-def: $vgpr5
	s_andn2_saveexec_b64 s[18:19], s[18:19]
	s_cbranch_execnz .LBB175_2215
.LBB175_1921:
	s_or_b64 exec, exec, s[18:19]
	v_mov_b32_e32 v6, 0
	s_and_saveexec_b64 s[18:19], s[16:17]
.LBB175_1922:
	v_mov_b32_e32 v6, v1
.LBB175_1923:
	s_or_b64 exec, exec, s[18:19]
.LBB175_1924:
	s_or_b64 exec, exec, s[14:15]
	global_store_byte v[3:4], v6, off
.LBB175_1925:
	s_mov_b64 s[14:15], -1
.LBB175_1926:
	s_mov_b64 s[16:17], 0
.LBB175_1927:
	s_and_b64 vcc, exec, s[16:17]
	s_cbranch_vccz .LBB175_1967
; %bb.1928:
	s_cmp_gt_i32 s20, 22
	s_mov_b64 s[4:5], -1
	s_cbranch_scc0 .LBB175_1960
; %bb.1929:
	s_cmp_lt_i32 s20, 24
	s_cbranch_scc1 .LBB175_1949
; %bb.1930:
	s_cmp_gt_i32 s20, 24
	s_cbranch_scc0 .LBB175_1938
; %bb.1931:
	v_cndmask_b32_e64 v5, 0, 1.0, s[6:7]
	s_mov_b32 s4, 0x47800000
	v_cmp_gt_u32_e32 vcc, s4, v5
	v_mov_b32_e32 v6, 0x80
	s_and_saveexec_b64 s[4:5], vcc
	s_cbranch_execz .LBB175_1937
; %bb.1932:
	s_mov_b32 s14, 0x37ffffff
	v_cmp_lt_u32_e32 vcc, s14, v5
	s_mov_b64 s[14:15], 0
                                        ; implicit-def: $vgpr1
	s_and_saveexec_b64 s[16:17], vcc
	s_xor_b64 s[16:17], exec, s[16:17]
	s_cbranch_execz .LBB175_2217
; %bb.1933:
	v_bfe_u32 v1, v5, 21, 1
	s_mov_b32 s18, 0x88fffff
	v_add3_u32 v1, v5, v1, s18
	s_mov_b64 s[14:15], exec
	v_lshrrev_b32_e32 v1, 21, v1
                                        ; implicit-def: $vgpr5
	s_andn2_saveexec_b64 s[16:17], s[16:17]
	s_cbranch_execnz .LBB175_2218
.LBB175_1934:
	s_or_b64 exec, exec, s[16:17]
	v_mov_b32_e32 v6, 0
	s_and_saveexec_b64 s[16:17], s[14:15]
.LBB175_1935:
	v_mov_b32_e32 v6, v1
.LBB175_1936:
	s_or_b64 exec, exec, s[16:17]
.LBB175_1937:
	s_or_b64 exec, exec, s[4:5]
	s_mov_b64 s[4:5], 0
	global_store_byte v[3:4], v6, off
.LBB175_1938:
	s_and_b64 vcc, exec, s[4:5]
	s_cbranch_vccz .LBB175_1948
; %bb.1939:
	v_cndmask_b32_e64 v1, 0, 1.0, s[6:7]
	s_mov_b32 s4, 0x43f00000
	v_cmp_gt_u32_e32 vcc, s4, v1
                                        ; implicit-def: $vgpr5
	s_and_saveexec_b64 s[4:5], vcc
	s_xor_b64 s[4:5], exec, s[4:5]
	s_cbranch_execz .LBB175_1945
; %bb.1940:
	s_mov_b32 s14, 0x3c7fffff
	v_cmp_lt_u32_e32 vcc, s14, v1
                                        ; implicit-def: $vgpr5
	s_and_saveexec_b64 s[14:15], vcc
	s_xor_b64 s[14:15], exec, s[14:15]
; %bb.1941:
	v_bfe_u32 v5, v1, 20, 1
	s_mov_b32 s16, 0x407ffff
	v_add3_u32 v1, v1, v5, s16
	v_lshrrev_b32_e32 v5, 20, v1
	v_and_b32_e32 v1, 0xff00000, v1
	s_mov_b32 s16, 0x7f00000
	v_mov_b32_e32 v6, 0x7e
	v_cmp_ne_u32_e32 vcc, s16, v1
	v_cndmask_b32_e32 v5, v6, v5, vcc
                                        ; implicit-def: $vgpr1
; %bb.1942:
	s_andn2_saveexec_b64 s[14:15], s[14:15]
; %bb.1943:
	v_add_f32_e32 v5, 0x46800000, v1
; %bb.1944:
	s_or_b64 exec, exec, s[14:15]
                                        ; implicit-def: $vgpr1
.LBB175_1945:
	s_andn2_saveexec_b64 s[4:5], s[4:5]
; %bb.1946:
	s_mov_b32 s14, 0x7f800000
	v_mov_b32_e32 v5, 0x7e
	v_mov_b32_e32 v6, 0x7f
	v_cmp_lt_u32_e32 vcc, s14, v1
	v_cndmask_b32_e32 v5, v5, v6, vcc
; %bb.1947:
	s_or_b64 exec, exec, s[4:5]
	global_store_byte v[3:4], v5, off
.LBB175_1948:
	s_mov_b64 s[4:5], 0
.LBB175_1949:
	s_andn2_b64 vcc, exec, s[4:5]
	s_cbranch_vccnz .LBB175_1959
; %bb.1950:
	v_cndmask_b32_e64 v1, 0, 1.0, s[6:7]
	s_mov_b32 s4, 0x47800000
	v_cmp_gt_u32_e32 vcc, s4, v1
                                        ; implicit-def: $vgpr5
	s_and_saveexec_b64 s[4:5], vcc
	s_xor_b64 s[4:5], exec, s[4:5]
	s_cbranch_execz .LBB175_1956
; %bb.1951:
	s_mov_b32 s14, 0x387fffff
	v_cmp_lt_u32_e32 vcc, s14, v1
                                        ; implicit-def: $vgpr5
	s_and_saveexec_b64 s[14:15], vcc
	s_xor_b64 s[14:15], exec, s[14:15]
; %bb.1952:
	v_bfe_u32 v5, v1, 21, 1
	s_mov_b32 s16, 0x80fffff
	v_add3_u32 v1, v1, v5, s16
	v_lshrrev_b32_e32 v5, 21, v1
                                        ; implicit-def: $vgpr1
; %bb.1953:
	s_andn2_saveexec_b64 s[14:15], s[14:15]
; %bb.1954:
	v_add_f32_e32 v5, 0x43000000, v1
; %bb.1955:
	s_or_b64 exec, exec, s[14:15]
                                        ; implicit-def: $vgpr1
.LBB175_1956:
	s_andn2_saveexec_b64 s[4:5], s[4:5]
; %bb.1957:
	s_mov_b32 s14, 0x7f800000
	v_mov_b32_e32 v5, 0x7c
	v_mov_b32_e32 v6, 0x7f
	v_cmp_lt_u32_e32 vcc, s14, v1
	v_cndmask_b32_e32 v5, v5, v6, vcc
; %bb.1958:
	s_or_b64 exec, exec, s[4:5]
	global_store_byte v[3:4], v5, off
.LBB175_1959:
	s_mov_b64 s[4:5], 0
	s_mov_b64 s[14:15], -1
.LBB175_1960:
	s_andn2_b64 vcc, exec, s[4:5]
	s_mov_b64 s[4:5], 0
	s_cbranch_vccnz .LBB175_1967
; %bb.1961:
	s_cmp_gt_i32 s20, 14
	s_mov_b64 s[16:17], -1
	s_cbranch_scc0 .LBB175_1965
; %bb.1962:
	s_cmp_eq_u32 s20, 15
	s_mov_b64 s[0:1], -1
	s_cbranch_scc0 .LBB175_1964
; %bb.1963:
	v_cndmask_b32_e64 v1, 0, 1.0, s[6:7]
	v_bfe_u32 v5, v1, 16, 1
	s_movk_i32 s0, 0x7fff
	v_add3_u32 v1, v1, v5, s0
	global_store_short_d16_hi v[3:4], v1, off
	s_mov_b64 s[0:1], 0
	s_mov_b64 s[14:15], -1
.LBB175_1964:
	s_mov_b64 s[16:17], 0
.LBB175_1965:
	s_and_b64 vcc, exec, s[16:17]
	s_cbranch_vccz .LBB175_1967
; %bb.1966:
	s_cmp_lg_u32 s20, 11
	s_mov_b64 s[4:5], -1
	s_cselect_b64 s[0:1], -1, 0
.LBB175_1967:
	s_and_b64 vcc, exec, s[0:1]
	s_cbranch_vccnz .LBB175_2216
; %bb.1968:
	s_andn2_b64 vcc, exec, s[4:5]
	s_cbranch_vccnz .LBB175_1970
.LBB175_1969:
	v_cndmask_b32_e64 v1, 0, 1, s[6:7]
	s_mov_b64 s[14:15], -1
	global_store_byte v[3:4], v1, off
.LBB175_1970:
	s_mov_b64 s[0:1], 0
	s_branch .LBB175_1972
.LBB175_1971:
	s_mov_b64 s[0:1], -1
	s_mov_b64 s[14:15], 0
.LBB175_1972:
	s_and_b64 vcc, exec, s[0:1]
	s_cbranch_vccz .LBB175_2011
; %bb.1973:
	s_cmp_lt_i32 s20, 5
	s_mov_b64 s[0:1], -1
	s_cbranch_scc1 .LBB175_1994
; %bb.1974:
	s_cmp_lt_i32 s20, 8
	s_cbranch_scc1 .LBB175_1984
; %bb.1975:
	s_cmp_lt_i32 s20, 9
	s_cbranch_scc1 .LBB175_1981
; %bb.1976:
	s_cmp_gt_i32 s20, 9
	s_cbranch_scc0 .LBB175_1978
; %bb.1977:
	v_cndmask_b32_e64 v1, 0, 1, s[6:7]
	v_cvt_f64_u32_e32 v[5:6], v1
	v_mov_b32_e32 v7, 0
	v_mov_b32_e32 v8, v7
	s_mov_b64 s[0:1], 0
	global_store_dwordx4 v[3:4], v[5:8], off
.LBB175_1978:
	s_andn2_b64 vcc, exec, s[0:1]
	s_cbranch_vccnz .LBB175_1980
; %bb.1979:
	v_cndmask_b32_e64 v5, 0, 1.0, s[6:7]
	v_mov_b32_e32 v6, 0
	global_store_dwordx2 v[3:4], v[5:6], off
.LBB175_1980:
	s_mov_b64 s[0:1], 0
.LBB175_1981:
	s_andn2_b64 vcc, exec, s[0:1]
	s_cbranch_vccnz .LBB175_1983
; %bb.1982:
	v_cndmask_b32_e64 v1, 0, 1.0, s[6:7]
	v_cvt_f16_f32_e32 v1, v1
	global_store_dword v[3:4], v1, off
.LBB175_1983:
	s_mov_b64 s[0:1], 0
.LBB175_1984:
	s_andn2_b64 vcc, exec, s[0:1]
	s_cbranch_vccnz .LBB175_1993
; %bb.1985:
	s_cmp_lt_i32 s20, 6
	s_mov_b64 s[0:1], -1
	s_cbranch_scc1 .LBB175_1991
; %bb.1986:
	s_cmp_gt_i32 s20, 6
	s_cbranch_scc0 .LBB175_1988
; %bb.1987:
	v_cndmask_b32_e64 v1, 0, 1, s[6:7]
	v_cvt_f64_u32_e32 v[5:6], v1
	s_mov_b64 s[0:1], 0
	global_store_dwordx2 v[3:4], v[5:6], off
.LBB175_1988:
	s_andn2_b64 vcc, exec, s[0:1]
	s_cbranch_vccnz .LBB175_1990
; %bb.1989:
	v_cndmask_b32_e64 v1, 0, 1.0, s[6:7]
	global_store_dword v[3:4], v1, off
.LBB175_1990:
	s_mov_b64 s[0:1], 0
.LBB175_1991:
	s_andn2_b64 vcc, exec, s[0:1]
	s_cbranch_vccnz .LBB175_1993
; %bb.1992:
	v_cndmask_b32_e64 v1, 0, 1.0, s[6:7]
	v_cvt_f16_f32_e32 v1, v1
	global_store_short v[3:4], v1, off
.LBB175_1993:
	s_mov_b64 s[0:1], 0
.LBB175_1994:
	s_andn2_b64 vcc, exec, s[0:1]
	s_cbranch_vccnz .LBB175_2010
; %bb.1995:
	s_cmp_lt_i32 s20, 2
	s_mov_b64 s[0:1], -1
	s_cbranch_scc1 .LBB175_2005
; %bb.1996:
	s_cmp_lt_i32 s20, 3
	s_cbranch_scc1 .LBB175_2002
; %bb.1997:
	s_cmp_gt_i32 s20, 3
	s_cbranch_scc0 .LBB175_1999
; %bb.1998:
	s_mov_b32 s0, 0
	v_cndmask_b32_e64 v5, 0, 1, s[6:7]
	v_mov_b32_e32 v6, s0
	global_store_dwordx2 v[3:4], v[5:6], off
	s_mov_b64 s[0:1], 0
.LBB175_1999:
	s_andn2_b64 vcc, exec, s[0:1]
	s_cbranch_vccnz .LBB175_2001
; %bb.2000:
	v_cndmask_b32_e64 v1, 0, 1, s[6:7]
	global_store_dword v[3:4], v1, off
.LBB175_2001:
	s_mov_b64 s[0:1], 0
.LBB175_2002:
	s_andn2_b64 vcc, exec, s[0:1]
	s_cbranch_vccnz .LBB175_2004
; %bb.2003:
	v_cndmask_b32_e64 v1, 0, 1, s[6:7]
	global_store_short v[3:4], v1, off
.LBB175_2004:
	s_mov_b64 s[0:1], 0
.LBB175_2005:
	s_andn2_b64 vcc, exec, s[0:1]
	s_cbranch_vccnz .LBB175_2010
; %bb.2006:
	s_mov_b64 s[0:1], -1
	s_cmp_gt_i32 s20, 0
	v_cndmask_b32_e64 v1, 0, 1, s[6:7]
	s_cbranch_scc0 .LBB175_2008
; %bb.2007:
	global_store_byte v[3:4], v1, off
	s_mov_b64 s[0:1], 0
.LBB175_2008:
	s_andn2_b64 vcc, exec, s[0:1]
	s_cbranch_vccnz .LBB175_2010
; %bb.2009:
	global_store_byte v[3:4], v1, off
.LBB175_2010:
	s_mov_b64 s[14:15], -1
.LBB175_2011:
	s_andn2_b64 vcc, exec, s[14:15]
	s_cbranch_vccnz .LBB175_2207
; %bb.2012:
	v_mov_b32_e32 v3, s9
	v_add_co_u32_e32 v1, vcc, s8, v2
	s_cmp_lt_i32 s20, 11
	v_addc_co_u32_e32 v2, vcc, 0, v3, vcc
	s_cbranch_scc1 .LBB175_2090
; %bb.2013:
	s_mov_b64 s[14:15], -1
	s_mov_b64 s[4:5], 0
	s_cmp_gt_i32 s20, 25
	s_mov_b64 s[6:7], 0
	s_mov_b64 s[0:1], 0
	s_cbranch_scc0 .LBB175_2046
; %bb.2014:
	s_cmp_gt_i32 s20, 28
	s_cbranch_scc0 .LBB175_2029
; %bb.2015:
	s_cmp_gt_i32 s20, 43
	s_cbranch_scc0 .LBB175_2025
; %bb.2016:
	s_cmp_gt_i32 s20, 45
	s_cbranch_scc0 .LBB175_2019
; %bb.2017:
	s_mov_b64 s[0:1], -1
	s_mov_b64 s[14:15], 0
	s_cmp_eq_u32 s20, 46
	s_cbranch_scc0 .LBB175_2019
; %bb.2018:
	v_cndmask_b32_e64 v3, 0, 1.0, s[12:13]
	v_bfe_u32 v4, v3, 16, 1
	s_movk_i32 s0, 0x7fff
	v_add3_u32 v3, v3, v4, s0
	v_lshrrev_b32_e32 v3, 16, v3
	global_store_dword v[1:2], v3, off
	s_mov_b64 s[0:1], 0
	s_mov_b64 s[6:7], -1
.LBB175_2019:
	s_and_b64 vcc, exec, s[14:15]
	s_cbranch_vccz .LBB175_2024
; %bb.2020:
	s_cmp_eq_u32 s20, 44
	s_mov_b64 s[0:1], -1
	s_cbranch_scc0 .LBB175_2024
; %bb.2021:
	v_cndmask_b32_e64 v4, 0, 1.0, s[12:13]
	v_lshrrev_b32_e32 v3, 23, v4
	s_movk_i32 s0, 0xff
	v_cmp_ne_u32_e32 vcc, s0, v3
	v_mov_b32_e32 v5, 0xff
	s_and_saveexec_b64 s[6:7], vcc
; %bb.2022:
	s_mov_b32 s0, 0x3fffff
	v_and_b32_e32 v5, 0x400000, v4
	v_and_or_b32 v4, v4, s0, v3
	v_cmp_ne_u32_e32 vcc, 0, v5
	v_cmp_ne_u32_e64 s[0:1], 0, v4
	s_and_b64 s[0:1], vcc, s[0:1]
	v_cndmask_b32_e64 v4, 0, 1, s[0:1]
	v_add_u32_e32 v5, v3, v4
; %bb.2023:
	s_or_b64 exec, exec, s[6:7]
	s_mov_b64 s[0:1], 0
	s_mov_b64 s[6:7], -1
	global_store_byte v[1:2], v5, off
.LBB175_2024:
	s_mov_b64 s[14:15], 0
.LBB175_2025:
	s_and_b64 vcc, exec, s[14:15]
	s_cbranch_vccz .LBB175_2028
; %bb.2026:
	s_cmp_eq_u32 s20, 29
	s_mov_b64 s[0:1], -1
	s_cbranch_scc0 .LBB175_2028
; %bb.2027:
	s_mov_b32 s0, 0
	v_cndmask_b32_e64 v3, 0, 1, s[12:13]
	v_mov_b32_e32 v4, s0
	global_store_dwordx2 v[1:2], v[3:4], off
	s_mov_b64 s[0:1], 0
	s_mov_b64 s[6:7], -1
.LBB175_2028:
	s_mov_b64 s[14:15], 0
.LBB175_2029:
	s_and_b64 vcc, exec, s[14:15]
	s_cbranch_vccz .LBB175_2045
; %bb.2030:
	s_cmp_lt_i32 s20, 27
	s_mov_b64 s[6:7], -1
	s_cbranch_scc1 .LBB175_2036
; %bb.2031:
	s_cmp_gt_i32 s20, 27
	s_cbranch_scc0 .LBB175_2033
; %bb.2032:
	v_cndmask_b32_e64 v3, 0, 1, s[12:13]
	s_mov_b64 s[6:7], 0
	global_store_dword v[1:2], v3, off
.LBB175_2033:
	s_andn2_b64 vcc, exec, s[6:7]
	s_cbranch_vccnz .LBB175_2035
; %bb.2034:
	v_cndmask_b32_e64 v3, 0, 1, s[12:13]
	global_store_short v[1:2], v3, off
.LBB175_2035:
	s_mov_b64 s[6:7], 0
.LBB175_2036:
	s_andn2_b64 vcc, exec, s[6:7]
	s_cbranch_vccnz .LBB175_2044
; %bb.2037:
	v_cndmask_b32_e64 v4, 0, 1.0, s[12:13]
	s_mov_b32 s6, 0x43800000
	v_cmp_gt_u32_e32 vcc, s6, v4
	v_mov_b32_e32 v5, 0x80
	s_and_saveexec_b64 s[6:7], vcc
	s_cbranch_execz .LBB175_2043
; %bb.2038:
	s_mov_b32 s14, 0x3bffffff
	v_cmp_lt_u32_e32 vcc, s14, v4
	s_mov_b64 s[14:15], 0
                                        ; implicit-def: $vgpr3
	s_and_saveexec_b64 s[16:17], vcc
	s_xor_b64 s[16:17], exec, s[16:17]
	s_cbranch_execz .LBB175_2219
; %bb.2039:
	v_bfe_u32 v3, v4, 20, 1
	s_mov_b32 s18, 0x487ffff
	v_add3_u32 v3, v4, v3, s18
	s_mov_b64 s[14:15], exec
	v_lshrrev_b32_e32 v3, 20, v3
                                        ; implicit-def: $vgpr4
	s_andn2_saveexec_b64 s[16:17], s[16:17]
	s_cbranch_execnz .LBB175_2220
.LBB175_2040:
	s_or_b64 exec, exec, s[16:17]
	v_mov_b32_e32 v5, 0
	s_and_saveexec_b64 s[16:17], s[14:15]
.LBB175_2041:
	v_mov_b32_e32 v5, v3
.LBB175_2042:
	s_or_b64 exec, exec, s[16:17]
.LBB175_2043:
	s_or_b64 exec, exec, s[6:7]
	global_store_byte v[1:2], v5, off
.LBB175_2044:
	s_mov_b64 s[6:7], -1
.LBB175_2045:
	s_mov_b64 s[14:15], 0
.LBB175_2046:
	s_and_b64 vcc, exec, s[14:15]
	s_cbranch_vccz .LBB175_2086
; %bb.2047:
	s_cmp_gt_i32 s20, 22
	s_mov_b64 s[4:5], -1
	s_cbranch_scc0 .LBB175_2079
; %bb.2048:
	s_cmp_lt_i32 s20, 24
	s_cbranch_scc1 .LBB175_2068
; %bb.2049:
	s_cmp_gt_i32 s20, 24
	s_cbranch_scc0 .LBB175_2057
; %bb.2050:
	v_cndmask_b32_e64 v4, 0, 1.0, s[12:13]
	s_mov_b32 s4, 0x47800000
	v_cmp_gt_u32_e32 vcc, s4, v4
	v_mov_b32_e32 v5, 0x80
	s_and_saveexec_b64 s[4:5], vcc
	s_cbranch_execz .LBB175_2056
; %bb.2051:
	s_mov_b32 s6, 0x37ffffff
	v_cmp_lt_u32_e32 vcc, s6, v4
	s_mov_b64 s[6:7], 0
                                        ; implicit-def: $vgpr3
	s_and_saveexec_b64 s[14:15], vcc
	s_xor_b64 s[14:15], exec, s[14:15]
	s_cbranch_execz .LBB175_2222
; %bb.2052:
	v_bfe_u32 v3, v4, 21, 1
	s_mov_b32 s16, 0x88fffff
	v_add3_u32 v3, v4, v3, s16
	s_mov_b64 s[6:7], exec
	v_lshrrev_b32_e32 v3, 21, v3
                                        ; implicit-def: $vgpr4
	s_andn2_saveexec_b64 s[14:15], s[14:15]
	s_cbranch_execnz .LBB175_2223
.LBB175_2053:
	s_or_b64 exec, exec, s[14:15]
	v_mov_b32_e32 v5, 0
	s_and_saveexec_b64 s[14:15], s[6:7]
.LBB175_2054:
	v_mov_b32_e32 v5, v3
.LBB175_2055:
	s_or_b64 exec, exec, s[14:15]
.LBB175_2056:
	s_or_b64 exec, exec, s[4:5]
	s_mov_b64 s[4:5], 0
	global_store_byte v[1:2], v5, off
.LBB175_2057:
	s_and_b64 vcc, exec, s[4:5]
	s_cbranch_vccz .LBB175_2067
; %bb.2058:
	v_cndmask_b32_e64 v3, 0, 1.0, s[12:13]
	s_mov_b32 s4, 0x43f00000
	v_cmp_gt_u32_e32 vcc, s4, v3
                                        ; implicit-def: $vgpr4
	s_and_saveexec_b64 s[4:5], vcc
	s_xor_b64 s[4:5], exec, s[4:5]
	s_cbranch_execz .LBB175_2064
; %bb.2059:
	s_mov_b32 s6, 0x3c7fffff
	v_cmp_lt_u32_e32 vcc, s6, v3
                                        ; implicit-def: $vgpr4
	s_and_saveexec_b64 s[6:7], vcc
	s_xor_b64 s[6:7], exec, s[6:7]
; %bb.2060:
	v_bfe_u32 v4, v3, 20, 1
	s_mov_b32 s14, 0x407ffff
	v_add3_u32 v3, v3, v4, s14
	v_lshrrev_b32_e32 v4, 20, v3
	v_and_b32_e32 v3, 0xff00000, v3
	s_mov_b32 s14, 0x7f00000
	v_mov_b32_e32 v5, 0x7e
	v_cmp_ne_u32_e32 vcc, s14, v3
	v_cndmask_b32_e32 v4, v5, v4, vcc
                                        ; implicit-def: $vgpr3
; %bb.2061:
	s_andn2_saveexec_b64 s[6:7], s[6:7]
; %bb.2062:
	v_add_f32_e32 v4, 0x46800000, v3
; %bb.2063:
	s_or_b64 exec, exec, s[6:7]
                                        ; implicit-def: $vgpr3
.LBB175_2064:
	s_andn2_saveexec_b64 s[4:5], s[4:5]
; %bb.2065:
	s_mov_b32 s6, 0x7f800000
	v_mov_b32_e32 v4, 0x7e
	v_mov_b32_e32 v5, 0x7f
	v_cmp_lt_u32_e32 vcc, s6, v3
	v_cndmask_b32_e32 v4, v4, v5, vcc
; %bb.2066:
	s_or_b64 exec, exec, s[4:5]
	global_store_byte v[1:2], v4, off
.LBB175_2067:
	s_mov_b64 s[4:5], 0
.LBB175_2068:
	s_andn2_b64 vcc, exec, s[4:5]
	s_cbranch_vccnz .LBB175_2078
; %bb.2069:
	v_cndmask_b32_e64 v3, 0, 1.0, s[12:13]
	s_mov_b32 s4, 0x47800000
	v_cmp_gt_u32_e32 vcc, s4, v3
                                        ; implicit-def: $vgpr4
	s_and_saveexec_b64 s[4:5], vcc
	s_xor_b64 s[4:5], exec, s[4:5]
	s_cbranch_execz .LBB175_2075
; %bb.2070:
	s_mov_b32 s6, 0x387fffff
	v_cmp_lt_u32_e32 vcc, s6, v3
                                        ; implicit-def: $vgpr4
	s_and_saveexec_b64 s[6:7], vcc
	s_xor_b64 s[6:7], exec, s[6:7]
; %bb.2071:
	v_bfe_u32 v4, v3, 21, 1
	s_mov_b32 s14, 0x80fffff
	v_add3_u32 v3, v3, v4, s14
	v_lshrrev_b32_e32 v4, 21, v3
                                        ; implicit-def: $vgpr3
; %bb.2072:
	s_andn2_saveexec_b64 s[6:7], s[6:7]
; %bb.2073:
	v_add_f32_e32 v4, 0x43000000, v3
; %bb.2074:
	s_or_b64 exec, exec, s[6:7]
                                        ; implicit-def: $vgpr3
.LBB175_2075:
	s_andn2_saveexec_b64 s[4:5], s[4:5]
; %bb.2076:
	s_mov_b32 s6, 0x7f800000
	v_mov_b32_e32 v4, 0x7c
	v_mov_b32_e32 v5, 0x7f
	v_cmp_lt_u32_e32 vcc, s6, v3
	v_cndmask_b32_e32 v4, v4, v5, vcc
; %bb.2077:
	s_or_b64 exec, exec, s[4:5]
	global_store_byte v[1:2], v4, off
.LBB175_2078:
	s_mov_b64 s[4:5], 0
	s_mov_b64 s[6:7], -1
.LBB175_2079:
	s_andn2_b64 vcc, exec, s[4:5]
	s_mov_b64 s[4:5], 0
	s_cbranch_vccnz .LBB175_2086
; %bb.2080:
	s_cmp_gt_i32 s20, 14
	s_mov_b64 s[14:15], -1
	s_cbranch_scc0 .LBB175_2084
; %bb.2081:
	s_cmp_eq_u32 s20, 15
	s_mov_b64 s[0:1], -1
	s_cbranch_scc0 .LBB175_2083
; %bb.2082:
	v_cndmask_b32_e64 v3, 0, 1.0, s[12:13]
	v_bfe_u32 v4, v3, 16, 1
	s_movk_i32 s0, 0x7fff
	v_add3_u32 v3, v3, v4, s0
	global_store_short_d16_hi v[1:2], v3, off
	s_mov_b64 s[0:1], 0
	s_mov_b64 s[6:7], -1
.LBB175_2083:
	s_mov_b64 s[14:15], 0
.LBB175_2084:
	s_and_b64 vcc, exec, s[14:15]
	s_cbranch_vccz .LBB175_2086
; %bb.2085:
	s_cmp_lg_u32 s20, 11
	s_mov_b64 s[4:5], -1
	s_cselect_b64 s[0:1], -1, 0
.LBB175_2086:
	s_and_b64 vcc, exec, s[0:1]
	s_cbranch_vccnz .LBB175_2221
; %bb.2087:
	s_andn2_b64 vcc, exec, s[4:5]
	s_cbranch_vccnz .LBB175_2089
.LBB175_2088:
	v_cndmask_b32_e64 v3, 0, 1, s[12:13]
	s_mov_b64 s[6:7], -1
	global_store_byte v[1:2], v3, off
.LBB175_2089:
	s_mov_b64 s[0:1], 0
	s_branch .LBB175_2091
.LBB175_2090:
	s_mov_b64 s[0:1], -1
	s_mov_b64 s[6:7], 0
.LBB175_2091:
	s_and_b64 vcc, exec, s[0:1]
	s_cbranch_vccz .LBB175_2130
; %bb.2092:
	s_cmp_lt_i32 s20, 5
	s_mov_b64 s[0:1], -1
	s_cbranch_scc1 .LBB175_2113
; %bb.2093:
	s_cmp_lt_i32 s20, 8
	s_cbranch_scc1 .LBB175_2103
; %bb.2094:
	s_cmp_lt_i32 s20, 9
	s_cbranch_scc1 .LBB175_2100
; %bb.2095:
	s_cmp_gt_i32 s20, 9
	s_cbranch_scc0 .LBB175_2097
; %bb.2096:
	v_cndmask_b32_e64 v3, 0, 1, s[12:13]
	v_cvt_f64_u32_e32 v[3:4], v3
	v_mov_b32_e32 v5, 0
	v_mov_b32_e32 v6, v5
	s_mov_b64 s[0:1], 0
	global_store_dwordx4 v[1:2], v[3:6], off
.LBB175_2097:
	s_andn2_b64 vcc, exec, s[0:1]
	s_cbranch_vccnz .LBB175_2099
; %bb.2098:
	v_cndmask_b32_e64 v3, 0, 1.0, s[12:13]
	v_mov_b32_e32 v4, 0
	global_store_dwordx2 v[1:2], v[3:4], off
.LBB175_2099:
	s_mov_b64 s[0:1], 0
.LBB175_2100:
	s_andn2_b64 vcc, exec, s[0:1]
	s_cbranch_vccnz .LBB175_2102
; %bb.2101:
	v_cndmask_b32_e64 v3, 0, 1.0, s[12:13]
	v_cvt_f16_f32_e32 v3, v3
	global_store_dword v[1:2], v3, off
.LBB175_2102:
	s_mov_b64 s[0:1], 0
.LBB175_2103:
	s_andn2_b64 vcc, exec, s[0:1]
	s_cbranch_vccnz .LBB175_2112
; %bb.2104:
	s_cmp_lt_i32 s20, 6
	s_mov_b64 s[0:1], -1
	s_cbranch_scc1 .LBB175_2110
; %bb.2105:
	s_cmp_gt_i32 s20, 6
	s_cbranch_scc0 .LBB175_2107
; %bb.2106:
	v_cndmask_b32_e64 v3, 0, 1, s[12:13]
	v_cvt_f64_u32_e32 v[3:4], v3
	s_mov_b64 s[0:1], 0
	global_store_dwordx2 v[1:2], v[3:4], off
.LBB175_2107:
	s_andn2_b64 vcc, exec, s[0:1]
	s_cbranch_vccnz .LBB175_2109
; %bb.2108:
	v_cndmask_b32_e64 v3, 0, 1.0, s[12:13]
	global_store_dword v[1:2], v3, off
.LBB175_2109:
	s_mov_b64 s[0:1], 0
.LBB175_2110:
	s_andn2_b64 vcc, exec, s[0:1]
	s_cbranch_vccnz .LBB175_2112
; %bb.2111:
	v_cndmask_b32_e64 v3, 0, 1.0, s[12:13]
	v_cvt_f16_f32_e32 v3, v3
	global_store_short v[1:2], v3, off
.LBB175_2112:
	s_mov_b64 s[0:1], 0
.LBB175_2113:
	s_andn2_b64 vcc, exec, s[0:1]
	s_cbranch_vccnz .LBB175_2129
; %bb.2114:
	s_cmp_lt_i32 s20, 2
	s_mov_b64 s[0:1], -1
	s_cbranch_scc1 .LBB175_2124
; %bb.2115:
	s_cmp_lt_i32 s20, 3
	s_cbranch_scc1 .LBB175_2121
; %bb.2116:
	s_cmp_gt_i32 s20, 3
	s_cbranch_scc0 .LBB175_2118
; %bb.2117:
	s_mov_b32 s0, 0
	v_cndmask_b32_e64 v3, 0, 1, s[12:13]
	v_mov_b32_e32 v4, s0
	global_store_dwordx2 v[1:2], v[3:4], off
	s_mov_b64 s[0:1], 0
.LBB175_2118:
	s_andn2_b64 vcc, exec, s[0:1]
	s_cbranch_vccnz .LBB175_2120
; %bb.2119:
	v_cndmask_b32_e64 v3, 0, 1, s[12:13]
	global_store_dword v[1:2], v3, off
.LBB175_2120:
	s_mov_b64 s[0:1], 0
.LBB175_2121:
	s_andn2_b64 vcc, exec, s[0:1]
	s_cbranch_vccnz .LBB175_2123
; %bb.2122:
	v_cndmask_b32_e64 v3, 0, 1, s[12:13]
	global_store_short v[1:2], v3, off
.LBB175_2123:
	s_mov_b64 s[0:1], 0
.LBB175_2124:
	s_andn2_b64 vcc, exec, s[0:1]
	s_cbranch_vccnz .LBB175_2129
; %bb.2125:
	s_cmp_gt_i32 s20, 0
	s_mov_b64 s[0:1], -1
	s_cbranch_scc0 .LBB175_2127
; %bb.2126:
	v_cndmask_b32_e64 v3, 0, 1, s[12:13]
	global_store_byte v[1:2], v3, off
	s_mov_b64 s[0:1], 0
.LBB175_2127:
	s_andn2_b64 vcc, exec, s[0:1]
	s_cbranch_vccnz .LBB175_2129
; %bb.2128:
	v_cndmask_b32_e64 v3, 0, 1, s[12:13]
	global_store_byte v[1:2], v3, off
.LBB175_2129:
	s_mov_b64 s[6:7], -1
.LBB175_2130:
	s_andn2_b64 vcc, exec, s[6:7]
	s_cbranch_vccnz .LBB175_2207
; %bb.2131:
	v_mov_b32_e32 v1, s9
	v_add_co_u32_e32 v0, vcc, s8, v0
	s_cmp_lt_i32 s20, 11
	v_addc_co_u32_e32 v1, vcc, 0, v1, vcc
	s_cbranch_scc1 .LBB175_2208
; %bb.2132:
	s_mov_b64 s[6:7], -1
	s_mov_b64 s[4:5], 0
	s_cmp_gt_i32 s20, 25
	s_mov_b64 s[0:1], 0
	s_cbranch_scc0 .LBB175_2165
; %bb.2133:
	s_cmp_gt_i32 s20, 28
	s_cbranch_scc0 .LBB175_2149
; %bb.2134:
	s_cmp_gt_i32 s20, 43
	;; [unrolled: 3-line block ×3, first 2 shown]
	s_cbranch_scc0 .LBB175_2139
; %bb.2136:
	s_cmp_eq_u32 s20, 46
	s_mov_b64 s[0:1], -1
	s_cbranch_scc0 .LBB175_2138
; %bb.2137:
	v_cndmask_b32_e64 v2, 0, 1.0, s[10:11]
	v_bfe_u32 v3, v2, 16, 1
	s_movk_i32 s0, 0x7fff
	v_add3_u32 v2, v2, v3, s0
	v_lshrrev_b32_e32 v2, 16, v2
	global_store_dword v[0:1], v2, off
	s_mov_b64 s[0:1], 0
.LBB175_2138:
	s_mov_b64 s[6:7], 0
.LBB175_2139:
	s_and_b64 vcc, exec, s[6:7]
	s_cbranch_vccz .LBB175_2144
; %bb.2140:
	s_cmp_eq_u32 s20, 44
	s_mov_b64 s[0:1], -1
	s_cbranch_scc0 .LBB175_2144
; %bb.2141:
	v_cndmask_b32_e64 v3, 0, 1.0, s[10:11]
	v_lshrrev_b32_e32 v2, 23, v3
	s_movk_i32 s0, 0xff
	v_cmp_ne_u32_e32 vcc, s0, v2
	v_mov_b32_e32 v4, 0xff
	s_and_saveexec_b64 s[6:7], vcc
; %bb.2142:
	s_mov_b32 s0, 0x3fffff
	v_and_b32_e32 v4, 0x400000, v3
	v_and_or_b32 v3, v3, s0, v2
	v_cmp_ne_u32_e32 vcc, 0, v4
	v_cmp_ne_u32_e64 s[0:1], 0, v3
	s_and_b64 s[0:1], vcc, s[0:1]
	v_cndmask_b32_e64 v3, 0, 1, s[0:1]
	v_add_u32_e32 v4, v2, v3
; %bb.2143:
	s_or_b64 exec, exec, s[6:7]
	s_mov_b64 s[0:1], 0
	global_store_byte v[0:1], v4, off
.LBB175_2144:
	s_mov_b64 s[6:7], 0
.LBB175_2145:
	s_and_b64 vcc, exec, s[6:7]
	s_cbranch_vccz .LBB175_2148
; %bb.2146:
	s_cmp_eq_u32 s20, 29
	s_mov_b64 s[0:1], -1
	s_cbranch_scc0 .LBB175_2148
; %bb.2147:
	s_mov_b32 s0, 0
	v_cndmask_b32_e64 v2, 0, 1, s[10:11]
	v_mov_b32_e32 v3, s0
	global_store_dwordx2 v[0:1], v[2:3], off
	s_mov_b64 s[0:1], 0
.LBB175_2148:
	s_mov_b64 s[6:7], 0
.LBB175_2149:
	s_and_b64 vcc, exec, s[6:7]
	s_cbranch_vccz .LBB175_2164
; %bb.2150:
	s_cmp_lt_i32 s20, 27
	s_mov_b64 s[6:7], -1
	s_cbranch_scc1 .LBB175_2156
; %bb.2151:
	s_cmp_gt_i32 s20, 27
	s_cbranch_scc0 .LBB175_2153
; %bb.2152:
	v_cndmask_b32_e64 v2, 0, 1, s[10:11]
	global_store_dword v[0:1], v2, off
	s_mov_b64 s[6:7], 0
.LBB175_2153:
	s_andn2_b64 vcc, exec, s[6:7]
	s_cbranch_vccnz .LBB175_2155
; %bb.2154:
	v_cndmask_b32_e64 v2, 0, 1, s[10:11]
	global_store_short v[0:1], v2, off
.LBB175_2155:
	s_mov_b64 s[6:7], 0
.LBB175_2156:
	s_andn2_b64 vcc, exec, s[6:7]
	s_cbranch_vccnz .LBB175_2164
; %bb.2157:
	v_cndmask_b32_e64 v3, 0, 1.0, s[10:11]
	s_mov_b32 s6, 0x43800000
	v_cmp_gt_u32_e32 vcc, s6, v3
	v_mov_b32_e32 v4, 0x80
	s_and_saveexec_b64 s[6:7], vcc
	s_cbranch_execz .LBB175_2163
; %bb.2158:
	s_mov_b32 s8, 0x3bffffff
	v_cmp_lt_u32_e32 vcc, s8, v3
	s_mov_b64 s[8:9], 0
                                        ; implicit-def: $vgpr2
	s_and_saveexec_b64 s[12:13], vcc
	s_xor_b64 s[12:13], exec, s[12:13]
	s_cbranch_execz .LBB175_2224
; %bb.2159:
	v_bfe_u32 v2, v3, 20, 1
	s_mov_b32 s14, 0x487ffff
	v_add3_u32 v2, v3, v2, s14
	s_mov_b64 s[8:9], exec
	v_lshrrev_b32_e32 v2, 20, v2
                                        ; implicit-def: $vgpr3
	s_andn2_saveexec_b64 s[12:13], s[12:13]
	s_cbranch_execnz .LBB175_2225
.LBB175_2160:
	s_or_b64 exec, exec, s[12:13]
	v_mov_b32_e32 v4, 0
	s_and_saveexec_b64 s[12:13], s[8:9]
.LBB175_2161:
	v_mov_b32_e32 v4, v2
.LBB175_2162:
	s_or_b64 exec, exec, s[12:13]
.LBB175_2163:
	s_or_b64 exec, exec, s[6:7]
	global_store_byte v[0:1], v4, off
.LBB175_2164:
	s_mov_b64 s[6:7], 0
.LBB175_2165:
	s_and_b64 vcc, exec, s[6:7]
	s_cbranch_vccz .LBB175_2205
; %bb.2166:
	s_cmp_gt_i32 s20, 22
	s_mov_b64 s[4:5], -1
	s_cbranch_scc0 .LBB175_2198
; %bb.2167:
	s_cmp_lt_i32 s20, 24
	s_cbranch_scc1 .LBB175_2187
; %bb.2168:
	s_cmp_gt_i32 s20, 24
	s_cbranch_scc0 .LBB175_2176
; %bb.2169:
	v_cndmask_b32_e64 v3, 0, 1.0, s[10:11]
	s_mov_b32 s4, 0x47800000
	v_cmp_gt_u32_e32 vcc, s4, v3
	v_mov_b32_e32 v4, 0x80
	s_and_saveexec_b64 s[4:5], vcc
	s_cbranch_execz .LBB175_2175
; %bb.2170:
	s_mov_b32 s6, 0x37ffffff
	v_cmp_lt_u32_e32 vcc, s6, v3
	s_mov_b64 s[6:7], 0
                                        ; implicit-def: $vgpr2
	s_and_saveexec_b64 s[8:9], vcc
	s_xor_b64 s[8:9], exec, s[8:9]
	s_cbranch_execz .LBB175_2227
; %bb.2171:
	v_bfe_u32 v2, v3, 21, 1
	s_mov_b32 s12, 0x88fffff
	v_add3_u32 v2, v3, v2, s12
	s_mov_b64 s[6:7], exec
	v_lshrrev_b32_e32 v2, 21, v2
                                        ; implicit-def: $vgpr3
	s_andn2_saveexec_b64 s[8:9], s[8:9]
	s_cbranch_execnz .LBB175_2228
.LBB175_2172:
	s_or_b64 exec, exec, s[8:9]
	v_mov_b32_e32 v4, 0
	s_and_saveexec_b64 s[8:9], s[6:7]
.LBB175_2173:
	v_mov_b32_e32 v4, v2
.LBB175_2174:
	s_or_b64 exec, exec, s[8:9]
.LBB175_2175:
	s_or_b64 exec, exec, s[4:5]
	s_mov_b64 s[4:5], 0
	global_store_byte v[0:1], v4, off
.LBB175_2176:
	s_and_b64 vcc, exec, s[4:5]
	s_cbranch_vccz .LBB175_2186
; %bb.2177:
	v_cndmask_b32_e64 v2, 0, 1.0, s[10:11]
	s_mov_b32 s4, 0x43f00000
	v_cmp_gt_u32_e32 vcc, s4, v2
                                        ; implicit-def: $vgpr3
	s_and_saveexec_b64 s[4:5], vcc
	s_xor_b64 s[4:5], exec, s[4:5]
	s_cbranch_execz .LBB175_2183
; %bb.2178:
	s_mov_b32 s6, 0x3c7fffff
	v_cmp_lt_u32_e32 vcc, s6, v2
                                        ; implicit-def: $vgpr3
	s_and_saveexec_b64 s[6:7], vcc
	s_xor_b64 s[6:7], exec, s[6:7]
; %bb.2179:
	v_bfe_u32 v3, v2, 20, 1
	s_mov_b32 s8, 0x407ffff
	v_add3_u32 v2, v2, v3, s8
	v_lshrrev_b32_e32 v3, 20, v2
	v_and_b32_e32 v2, 0xff00000, v2
	s_mov_b32 s8, 0x7f00000
	v_mov_b32_e32 v4, 0x7e
	v_cmp_ne_u32_e32 vcc, s8, v2
	v_cndmask_b32_e32 v3, v4, v3, vcc
                                        ; implicit-def: $vgpr2
; %bb.2180:
	s_andn2_saveexec_b64 s[6:7], s[6:7]
; %bb.2181:
	v_add_f32_e32 v3, 0x46800000, v2
; %bb.2182:
	s_or_b64 exec, exec, s[6:7]
                                        ; implicit-def: $vgpr2
.LBB175_2183:
	s_andn2_saveexec_b64 s[4:5], s[4:5]
; %bb.2184:
	s_mov_b32 s6, 0x7f800000
	v_mov_b32_e32 v3, 0x7e
	v_mov_b32_e32 v4, 0x7f
	v_cmp_lt_u32_e32 vcc, s6, v2
	v_cndmask_b32_e32 v3, v3, v4, vcc
; %bb.2185:
	s_or_b64 exec, exec, s[4:5]
	global_store_byte v[0:1], v3, off
.LBB175_2186:
	s_mov_b64 s[4:5], 0
.LBB175_2187:
	s_andn2_b64 vcc, exec, s[4:5]
	s_cbranch_vccnz .LBB175_2197
; %bb.2188:
	v_cndmask_b32_e64 v2, 0, 1.0, s[10:11]
	s_mov_b32 s4, 0x47800000
	v_cmp_gt_u32_e32 vcc, s4, v2
                                        ; implicit-def: $vgpr3
	s_and_saveexec_b64 s[4:5], vcc
	s_xor_b64 s[4:5], exec, s[4:5]
	s_cbranch_execz .LBB175_2194
; %bb.2189:
	s_mov_b32 s6, 0x387fffff
	v_cmp_lt_u32_e32 vcc, s6, v2
                                        ; implicit-def: $vgpr3
	s_and_saveexec_b64 s[6:7], vcc
	s_xor_b64 s[6:7], exec, s[6:7]
; %bb.2190:
	v_bfe_u32 v3, v2, 21, 1
	s_mov_b32 s8, 0x80fffff
	v_add3_u32 v2, v2, v3, s8
	v_lshrrev_b32_e32 v3, 21, v2
                                        ; implicit-def: $vgpr2
; %bb.2191:
	s_andn2_saveexec_b64 s[6:7], s[6:7]
; %bb.2192:
	v_add_f32_e32 v3, 0x43000000, v2
; %bb.2193:
	s_or_b64 exec, exec, s[6:7]
                                        ; implicit-def: $vgpr2
.LBB175_2194:
	s_andn2_saveexec_b64 s[4:5], s[4:5]
; %bb.2195:
	s_mov_b32 s6, 0x7f800000
	v_mov_b32_e32 v3, 0x7c
	v_mov_b32_e32 v4, 0x7f
	v_cmp_lt_u32_e32 vcc, s6, v2
	v_cndmask_b32_e32 v3, v3, v4, vcc
; %bb.2196:
	s_or_b64 exec, exec, s[4:5]
	global_store_byte v[0:1], v3, off
.LBB175_2197:
	s_mov_b64 s[4:5], 0
.LBB175_2198:
	s_andn2_b64 vcc, exec, s[4:5]
	s_mov_b64 s[4:5], 0
	s_cbranch_vccnz .LBB175_2205
; %bb.2199:
	s_cmp_gt_i32 s20, 14
	s_mov_b64 s[6:7], -1
	s_cbranch_scc0 .LBB175_2203
; %bb.2200:
	s_cmp_eq_u32 s20, 15
	s_mov_b64 s[0:1], -1
	s_cbranch_scc0 .LBB175_2202
; %bb.2201:
	v_cndmask_b32_e64 v2, 0, 1.0, s[10:11]
	v_bfe_u32 v3, v2, 16, 1
	s_movk_i32 s0, 0x7fff
	v_add3_u32 v2, v2, v3, s0
	global_store_short_d16_hi v[0:1], v2, off
	s_mov_b64 s[0:1], 0
.LBB175_2202:
	s_mov_b64 s[6:7], 0
.LBB175_2203:
	s_and_b64 vcc, exec, s[6:7]
	s_cbranch_vccz .LBB175_2205
; %bb.2204:
	s_cmp_lg_u32 s20, 11
	s_mov_b64 s[4:5], -1
	s_cselect_b64 s[0:1], -1, 0
.LBB175_2205:
	s_and_b64 vcc, exec, s[0:1]
	s_cbranch_vccnz .LBB175_2226
.LBB175_2206:
	s_mov_b64 s[0:1], 0
	s_branch .LBB175_1727
.LBB175_2207:
	s_mov_b64 s[0:1], 0
	s_branch .LBB175_1726
.LBB175_2208:
	s_mov_b64 s[4:5], 0
	s_mov_b64 s[0:1], -1
	s_branch .LBB175_1727
.LBB175_2209:
	s_andn2_saveexec_b64 s[20:21], s[20:21]
	s_cbranch_execz .LBB175_1802
.LBB175_2210:
	v_add_f32_e32 v1, 0x46000000, v3
	v_and_b32_e32 v1, 0xff, v1
	v_cmp_ne_u32_e32 vcc, 0, v1
	s_andn2_b64 s[18:19], s[18:19], exec
	s_and_b64 s[24:25], vcc, exec
	s_or_b64 s[18:19], s[18:19], s[24:25]
	s_or_b64 exec, exec, s[20:21]
	v_mov_b32_e32 v7, 0
	s_and_saveexec_b64 s[20:21], s[18:19]
	s_cbranch_execnz .LBB175_1803
	s_branch .LBB175_1804
.LBB175_2211:
	s_trap 2
	s_or_b64 s[2:3], s[2:3], exec
	s_cbranch_execz .LBB175_1850
	s_branch .LBB175_1851
.LBB175_2212:
	s_andn2_saveexec_b64 s[18:19], s[18:19]
	s_cbranch_execz .LBB175_1815
.LBB175_2213:
	v_add_f32_e32 v1, 0x42800000, v3
	v_and_b32_e32 v1, 0xff, v1
	v_cmp_ne_u32_e32 vcc, 0, v1
	s_andn2_b64 s[16:17], s[16:17], exec
	s_and_b64 s[20:21], vcc, exec
	s_or_b64 s[16:17], s[16:17], s[20:21]
	s_or_b64 exec, exec, s[18:19]
	v_mov_b32_e32 v7, 0
	s_and_saveexec_b64 s[18:19], s[16:17]
	s_cbranch_execnz .LBB175_1816
	s_branch .LBB175_1817
.LBB175_2214:
	s_andn2_saveexec_b64 s[18:19], s[18:19]
	s_cbranch_execz .LBB175_1921
.LBB175_2215:
	v_add_f32_e32 v1, 0x46000000, v5
	v_and_b32_e32 v1, 0xff, v1
	v_cmp_ne_u32_e32 vcc, 0, v1
	s_andn2_b64 s[16:17], s[16:17], exec
	s_and_b64 s[24:25], vcc, exec
	s_or_b64 s[16:17], s[16:17], s[24:25]
	s_or_b64 exec, exec, s[18:19]
	v_mov_b32_e32 v6, 0
	s_and_saveexec_b64 s[18:19], s[16:17]
	s_cbranch_execnz .LBB175_1922
	s_branch .LBB175_1923
.LBB175_2216:
	s_trap 2
	s_or_b64 s[2:3], s[2:3], exec
	s_cbranch_execz .LBB175_1969
	s_branch .LBB175_1970
.LBB175_2217:
	s_andn2_saveexec_b64 s[16:17], s[16:17]
	s_cbranch_execz .LBB175_1934
.LBB175_2218:
	v_add_f32_e32 v1, 0x42800000, v5
	v_and_b32_e32 v1, 0xff, v1
	v_cmp_ne_u32_e32 vcc, 0, v1
	s_andn2_b64 s[14:15], s[14:15], exec
	s_and_b64 s[18:19], vcc, exec
	s_or_b64 s[14:15], s[14:15], s[18:19]
	s_or_b64 exec, exec, s[16:17]
	v_mov_b32_e32 v6, 0
	s_and_saveexec_b64 s[16:17], s[14:15]
	s_cbranch_execnz .LBB175_1935
	s_branch .LBB175_1936
.LBB175_2219:
	s_andn2_saveexec_b64 s[16:17], s[16:17]
	s_cbranch_execz .LBB175_2040
.LBB175_2220:
	v_add_f32_e32 v3, 0x46000000, v4
	v_and_b32_e32 v3, 0xff, v3
	v_cmp_ne_u32_e32 vcc, 0, v3
	s_andn2_b64 s[14:15], s[14:15], exec
	s_and_b64 s[18:19], vcc, exec
	s_or_b64 s[14:15], s[14:15], s[18:19]
	s_or_b64 exec, exec, s[16:17]
	v_mov_b32_e32 v5, 0
	s_and_saveexec_b64 s[16:17], s[14:15]
	s_cbranch_execnz .LBB175_2041
	s_branch .LBB175_2042
.LBB175_2221:
	s_trap 2
	s_or_b64 s[2:3], s[2:3], exec
	s_cbranch_execz .LBB175_2088
	s_branch .LBB175_2089
.LBB175_2222:
	s_andn2_saveexec_b64 s[14:15], s[14:15]
	s_cbranch_execz .LBB175_2053
.LBB175_2223:
	v_add_f32_e32 v3, 0x42800000, v4
	v_and_b32_e32 v3, 0xff, v3
	v_cmp_ne_u32_e32 vcc, 0, v3
	s_andn2_b64 s[6:7], s[6:7], exec
	s_and_b64 s[16:17], vcc, exec
	s_or_b64 s[6:7], s[6:7], s[16:17]
	s_or_b64 exec, exec, s[14:15]
	v_mov_b32_e32 v5, 0
	s_and_saveexec_b64 s[14:15], s[6:7]
	s_cbranch_execnz .LBB175_2054
	s_branch .LBB175_2055
.LBB175_2224:
	s_andn2_saveexec_b64 s[12:13], s[12:13]
	s_cbranch_execz .LBB175_2160
.LBB175_2225:
	v_add_f32_e32 v2, 0x46000000, v3
	v_and_b32_e32 v2, 0xff, v2
	v_cmp_ne_u32_e32 vcc, 0, v2
	s_andn2_b64 s[8:9], s[8:9], exec
	s_and_b64 s[14:15], vcc, exec
	s_or_b64 s[8:9], s[8:9], s[14:15]
	s_or_b64 exec, exec, s[12:13]
	v_mov_b32_e32 v4, 0
	s_and_saveexec_b64 s[12:13], s[8:9]
	s_cbranch_execnz .LBB175_2161
	s_branch .LBB175_2162
.LBB175_2226:
	s_mov_b64 s[4:5], 0
	s_or_b64 s[2:3], s[2:3], exec
	s_trap 2
	s_branch .LBB175_2206
.LBB175_2227:
	s_andn2_saveexec_b64 s[8:9], s[8:9]
	s_cbranch_execz .LBB175_2172
.LBB175_2228:
	v_add_f32_e32 v2, 0x42800000, v3
	v_and_b32_e32 v2, 0xff, v2
	v_cmp_ne_u32_e32 vcc, 0, v2
	s_andn2_b64 s[6:7], s[6:7], exec
	s_and_b64 s[12:13], vcc, exec
	s_or_b64 s[6:7], s[6:7], s[12:13]
	s_or_b64 exec, exec, s[8:9]
	v_mov_b32_e32 v4, 0
	s_and_saveexec_b64 s[8:9], s[6:7]
	s_cbranch_execnz .LBB175_2173
	s_branch .LBB175_2174
	.section	.rodata,"a",@progbits
	.p2align	6, 0x0
	.amdhsa_kernel _ZN2at6native32elementwise_kernel_manual_unrollILi128ELi4EZNS0_15gpu_kernel_implINS0_13AUnaryFunctorIN3c107complexINS4_8BFloat16EEES7_bNS0_12_GLOBAL__N_116CompareEqFunctorIS7_EEEEEEvRNS_18TensorIteratorBaseERKT_EUlibE0_EEviT1_
		.amdhsa_group_segment_fixed_size 0
		.amdhsa_private_segment_fixed_size 0
		.amdhsa_kernarg_size 368
		.amdhsa_user_sgpr_count 6
		.amdhsa_user_sgpr_private_segment_buffer 1
		.amdhsa_user_sgpr_dispatch_ptr 0
		.amdhsa_user_sgpr_queue_ptr 0
		.amdhsa_user_sgpr_kernarg_segment_ptr 1
		.amdhsa_user_sgpr_dispatch_id 0
		.amdhsa_user_sgpr_flat_scratch_init 0
		.amdhsa_user_sgpr_private_segment_size 0
		.amdhsa_uses_dynamic_stack 0
		.amdhsa_system_sgpr_private_segment_wavefront_offset 0
		.amdhsa_system_sgpr_workgroup_id_x 1
		.amdhsa_system_sgpr_workgroup_id_y 0
		.amdhsa_system_sgpr_workgroup_id_z 0
		.amdhsa_system_sgpr_workgroup_info 0
		.amdhsa_system_vgpr_workitem_id 0
		.amdhsa_next_free_vgpr 18
		.amdhsa_next_free_sgpr 82
		.amdhsa_reserve_vcc 1
		.amdhsa_reserve_flat_scratch 0
		.amdhsa_float_round_mode_32 0
		.amdhsa_float_round_mode_16_64 0
		.amdhsa_float_denorm_mode_32 3
		.amdhsa_float_denorm_mode_16_64 3
		.amdhsa_dx10_clamp 1
		.amdhsa_ieee_mode 1
		.amdhsa_fp16_overflow 0
		.amdhsa_exception_fp_ieee_invalid_op 0
		.amdhsa_exception_fp_denorm_src 0
		.amdhsa_exception_fp_ieee_div_zero 0
		.amdhsa_exception_fp_ieee_overflow 0
		.amdhsa_exception_fp_ieee_underflow 0
		.amdhsa_exception_fp_ieee_inexact 0
		.amdhsa_exception_int_div_zero 0
	.end_amdhsa_kernel
	.section	.text._ZN2at6native32elementwise_kernel_manual_unrollILi128ELi4EZNS0_15gpu_kernel_implINS0_13AUnaryFunctorIN3c107complexINS4_8BFloat16EEES7_bNS0_12_GLOBAL__N_116CompareEqFunctorIS7_EEEEEEvRNS_18TensorIteratorBaseERKT_EUlibE0_EEviT1_,"axG",@progbits,_ZN2at6native32elementwise_kernel_manual_unrollILi128ELi4EZNS0_15gpu_kernel_implINS0_13AUnaryFunctorIN3c107complexINS4_8BFloat16EEES7_bNS0_12_GLOBAL__N_116CompareEqFunctorIS7_EEEEEEvRNS_18TensorIteratorBaseERKT_EUlibE0_EEviT1_,comdat
.Lfunc_end175:
	.size	_ZN2at6native32elementwise_kernel_manual_unrollILi128ELi4EZNS0_15gpu_kernel_implINS0_13AUnaryFunctorIN3c107complexINS4_8BFloat16EEES7_bNS0_12_GLOBAL__N_116CompareEqFunctorIS7_EEEEEEvRNS_18TensorIteratorBaseERKT_EUlibE0_EEviT1_, .Lfunc_end175-_ZN2at6native32elementwise_kernel_manual_unrollILi128ELi4EZNS0_15gpu_kernel_implINS0_13AUnaryFunctorIN3c107complexINS4_8BFloat16EEES7_bNS0_12_GLOBAL__N_116CompareEqFunctorIS7_EEEEEEvRNS_18TensorIteratorBaseERKT_EUlibE0_EEviT1_
                                        ; -- End function
	.set _ZN2at6native32elementwise_kernel_manual_unrollILi128ELi4EZNS0_15gpu_kernel_implINS0_13AUnaryFunctorIN3c107complexINS4_8BFloat16EEES7_bNS0_12_GLOBAL__N_116CompareEqFunctorIS7_EEEEEEvRNS_18TensorIteratorBaseERKT_EUlibE0_EEviT1_.num_vgpr, 18
	.set _ZN2at6native32elementwise_kernel_manual_unrollILi128ELi4EZNS0_15gpu_kernel_implINS0_13AUnaryFunctorIN3c107complexINS4_8BFloat16EEES7_bNS0_12_GLOBAL__N_116CompareEqFunctorIS7_EEEEEEvRNS_18TensorIteratorBaseERKT_EUlibE0_EEviT1_.num_agpr, 0
	.set _ZN2at6native32elementwise_kernel_manual_unrollILi128ELi4EZNS0_15gpu_kernel_implINS0_13AUnaryFunctorIN3c107complexINS4_8BFloat16EEES7_bNS0_12_GLOBAL__N_116CompareEqFunctorIS7_EEEEEEvRNS_18TensorIteratorBaseERKT_EUlibE0_EEviT1_.numbered_sgpr, 82
	.set _ZN2at6native32elementwise_kernel_manual_unrollILi128ELi4EZNS0_15gpu_kernel_implINS0_13AUnaryFunctorIN3c107complexINS4_8BFloat16EEES7_bNS0_12_GLOBAL__N_116CompareEqFunctorIS7_EEEEEEvRNS_18TensorIteratorBaseERKT_EUlibE0_EEviT1_.num_named_barrier, 0
	.set _ZN2at6native32elementwise_kernel_manual_unrollILi128ELi4EZNS0_15gpu_kernel_implINS0_13AUnaryFunctorIN3c107complexINS4_8BFloat16EEES7_bNS0_12_GLOBAL__N_116CompareEqFunctorIS7_EEEEEEvRNS_18TensorIteratorBaseERKT_EUlibE0_EEviT1_.private_seg_size, 0
	.set _ZN2at6native32elementwise_kernel_manual_unrollILi128ELi4EZNS0_15gpu_kernel_implINS0_13AUnaryFunctorIN3c107complexINS4_8BFloat16EEES7_bNS0_12_GLOBAL__N_116CompareEqFunctorIS7_EEEEEEvRNS_18TensorIteratorBaseERKT_EUlibE0_EEviT1_.uses_vcc, 1
	.set _ZN2at6native32elementwise_kernel_manual_unrollILi128ELi4EZNS0_15gpu_kernel_implINS0_13AUnaryFunctorIN3c107complexINS4_8BFloat16EEES7_bNS0_12_GLOBAL__N_116CompareEqFunctorIS7_EEEEEEvRNS_18TensorIteratorBaseERKT_EUlibE0_EEviT1_.uses_flat_scratch, 0
	.set _ZN2at6native32elementwise_kernel_manual_unrollILi128ELi4EZNS0_15gpu_kernel_implINS0_13AUnaryFunctorIN3c107complexINS4_8BFloat16EEES7_bNS0_12_GLOBAL__N_116CompareEqFunctorIS7_EEEEEEvRNS_18TensorIteratorBaseERKT_EUlibE0_EEviT1_.has_dyn_sized_stack, 0
	.set _ZN2at6native32elementwise_kernel_manual_unrollILi128ELi4EZNS0_15gpu_kernel_implINS0_13AUnaryFunctorIN3c107complexINS4_8BFloat16EEES7_bNS0_12_GLOBAL__N_116CompareEqFunctorIS7_EEEEEEvRNS_18TensorIteratorBaseERKT_EUlibE0_EEviT1_.has_recursion, 0
	.set _ZN2at6native32elementwise_kernel_manual_unrollILi128ELi4EZNS0_15gpu_kernel_implINS0_13AUnaryFunctorIN3c107complexINS4_8BFloat16EEES7_bNS0_12_GLOBAL__N_116CompareEqFunctorIS7_EEEEEEvRNS_18TensorIteratorBaseERKT_EUlibE0_EEviT1_.has_indirect_call, 0
	.section	.AMDGPU.csdata,"",@progbits
; Kernel info:
; codeLenInByte = 43384
; TotalNumSgprs: 86
; NumVgprs: 18
; ScratchSize: 0
; MemoryBound: 0
; FloatMode: 240
; IeeeMode: 1
; LDSByteSize: 0 bytes/workgroup (compile time only)
; SGPRBlocks: 10
; VGPRBlocks: 4
; NumSGPRsForWavesPerEU: 86
; NumVGPRsForWavesPerEU: 18
; Occupancy: 9
; WaveLimiterHint : 1
; COMPUTE_PGM_RSRC2:SCRATCH_EN: 0
; COMPUTE_PGM_RSRC2:USER_SGPR: 6
; COMPUTE_PGM_RSRC2:TRAP_HANDLER: 0
; COMPUTE_PGM_RSRC2:TGID_X_EN: 1
; COMPUTE_PGM_RSRC2:TGID_Y_EN: 0
; COMPUTE_PGM_RSRC2:TGID_Z_EN: 0
; COMPUTE_PGM_RSRC2:TIDIG_COMP_CNT: 0
	.section	.text._ZN2at6native29vectorized_elementwise_kernelILi16ENS0_13BinaryFunctorIN3c104HalfES4_bNS0_12_GLOBAL__N_116CompareEqFunctorIS4_EEEESt5arrayIPcLm3EEEEviT0_T1_,"axG",@progbits,_ZN2at6native29vectorized_elementwise_kernelILi16ENS0_13BinaryFunctorIN3c104HalfES4_bNS0_12_GLOBAL__N_116CompareEqFunctorIS4_EEEESt5arrayIPcLm3EEEEviT0_T1_,comdat
	.globl	_ZN2at6native29vectorized_elementwise_kernelILi16ENS0_13BinaryFunctorIN3c104HalfES4_bNS0_12_GLOBAL__N_116CompareEqFunctorIS4_EEEESt5arrayIPcLm3EEEEviT0_T1_ ; -- Begin function _ZN2at6native29vectorized_elementwise_kernelILi16ENS0_13BinaryFunctorIN3c104HalfES4_bNS0_12_GLOBAL__N_116CompareEqFunctorIS4_EEEESt5arrayIPcLm3EEEEviT0_T1_
	.p2align	8
	.type	_ZN2at6native29vectorized_elementwise_kernelILi16ENS0_13BinaryFunctorIN3c104HalfES4_bNS0_12_GLOBAL__N_116CompareEqFunctorIS4_EEEESt5arrayIPcLm3EEEEviT0_T1_,@function
_ZN2at6native29vectorized_elementwise_kernelILi16ENS0_13BinaryFunctorIN3c104HalfES4_bNS0_12_GLOBAL__N_116CompareEqFunctorIS4_EEEESt5arrayIPcLm3EEEEviT0_T1_: ; @_ZN2at6native29vectorized_elementwise_kernelILi16ENS0_13BinaryFunctorIN3c104HalfES4_bNS0_12_GLOBAL__N_116CompareEqFunctorIS4_EEEESt5arrayIPcLm3EEEEviT0_T1_
; %bb.0:
	s_load_dwordx2 s[12:13], s[4:5], 0x0
	s_load_dwordx4 s[8:11], s[4:5], 0x8
	s_load_dwordx2 s[14:15], s[4:5], 0x18
	s_lshl_b32 s2, s6, 12
	s_mov_b64 s[0:1], -1
	s_waitcnt lgkmcnt(0)
	s_sub_i32 s6, s12, s2
	s_cmpk_gt_i32 s6, 0xfff
	s_cbranch_scc0 .LBB176_2
; %bb.1:
	s_ashr_i32 s3, s2, 31
	s_lshl_b64 s[0:1], s[2:3], 1
	s_add_u32 s4, s10, s0
	s_addc_u32 s5, s11, s1
	s_add_u32 s0, s14, s0
	v_lshlrev_b32_e32 v17, 5, v0
	s_addc_u32 s1, s15, s1
	global_load_dwordx4 v[1:4], v17, s[0:1]
	global_load_dwordx4 v[5:8], v17, s[4:5]
	global_load_dwordx4 v[9:12], v17, s[4:5] offset:16
	global_load_dwordx4 v[13:16], v17, s[0:1] offset:16
	s_cmp_eq_u32 s13, 0
	v_mov_b32_e32 v17, 1
	s_waitcnt vmcnt(2)
	v_cmp_eq_f16_e32 vcc, v5, v1
	v_cndmask_b32_e64 v18, 0, 1, vcc
	v_cmp_neq_f16_e32 vcc, v5, v1
	v_cndmask_b32_e64 v19, 0, 1, vcc
	v_cmp_eq_f16_sdwa s[0:1], v5, v1 src0_sel:WORD_1 src1_sel:WORD_1
	v_cmp_eq_f16_e32 vcc, v6, v2
	v_cndmask_b32_e64 v20, 0, 1, s[0:1]
	v_cmp_neq_f16_sdwa s[0:1], v5, v1 src0_sel:WORD_1 src1_sel:WORD_1
	v_cndmask_b32_e64 v5, 0, 1, vcc
	v_cmp_neq_f16_e32 vcc, v6, v2
	v_cndmask_b32_e64 v1, 0, 1, s[0:1]
	v_cndmask_b32_e64 v21, 0, 1, vcc
	v_cmp_eq_f16_sdwa s[0:1], v6, v2 src0_sel:WORD_1 src1_sel:WORD_1
	v_cmp_eq_f16_e32 vcc, v7, v3
	v_cndmask_b32_e64 v22, 0, 1, s[0:1]
	v_cmp_neq_f16_sdwa s[0:1], v6, v2 src0_sel:WORD_1 src1_sel:WORD_1
	v_cndmask_b32_e64 v6, 0, 1, vcc
	v_cmp_neq_f16_e32 vcc, v7, v3
	v_cndmask_b32_e64 v2, 0, 1, s[0:1]
	;; [unrolled: 8-line block ×3, first 2 shown]
	v_cndmask_b32_e64 v25, 0, 1, vcc
	v_cmp_eq_f16_sdwa s[0:1], v8, v4 src0_sel:WORD_1 src1_sel:WORD_1
	s_waitcnt vmcnt(0)
	v_cmp_eq_f16_e32 vcc, v9, v13
	v_cndmask_b32_e64 v26, 0, 1, s[0:1]
	v_cmp_neq_f16_sdwa s[0:1], v8, v4 src0_sel:WORD_1 src1_sel:WORD_1
	v_cndmask_b32_e64 v8, 0, 1, vcc
	v_cmp_neq_f16_e32 vcc, v9, v13
	v_cndmask_b32_e64 v4, 0, 1, s[0:1]
	v_cndmask_b32_e64 v27, 0, 1, vcc
	v_cmp_eq_f16_sdwa s[0:1], v9, v13 src0_sel:WORD_1 src1_sel:WORD_1
	v_cmp_eq_f16_e32 vcc, v10, v14
	v_cndmask_b32_e64 v28, 0, 1, s[0:1]
	v_cmp_neq_f16_sdwa s[0:1], v9, v13 src0_sel:WORD_1 src1_sel:WORD_1
	v_cndmask_b32_e64 v13, 0, 1, vcc
	v_cmp_neq_f16_e32 vcc, v10, v14
	v_cndmask_b32_e64 v9, 0, 1, s[0:1]
	v_cndmask_b32_e64 v29, 0, 1, vcc
	v_cmp_eq_f16_sdwa s[0:1], v10, v14 src0_sel:WORD_1 src1_sel:WORD_1
	v_cmp_eq_f16_e32 vcc, v11, v15
	v_cndmask_b32_e64 v30, 0, 1, s[0:1]
	v_cmp_neq_f16_sdwa s[0:1], v10, v14 src0_sel:WORD_1 src1_sel:WORD_1
	v_cndmask_b32_e64 v14, 0, 1, vcc
	s_cselect_b64 vcc, -1, 0
	v_cndmask_b32_e64 v10, 0, 1, s[0:1]
	v_cndmask_b32_e32 v4, v4, v26, vcc
	v_cmp_neq_f16_e64 s[0:1], v11, v15
	v_cndmask_b32_e32 v1, v1, v20, vcc
	v_cndmask_b32_e32 v2, v2, v22, vcc
	;; [unrolled: 1-line block ×7, first 2 shown]
	v_and_b32_sdwa v20, v4, v17 dst_sel:BYTE_1 dst_unused:UNUSED_PAD src0_sel:DWORD src1_sel:DWORD
	v_cndmask_b32_e64 v4, 0, 1, s[0:1]
	v_cmp_eq_f16_sdwa s[0:1], v11, v15 src0_sel:WORD_1 src1_sel:WORD_1
	v_cndmask_b32_e32 v18, v19, v18, vcc
	v_and_b32_sdwa v19, v2, v17 dst_sel:BYTE_1 dst_unused:UNUSED_PAD src0_sel:DWORD src1_sel:DWORD
	v_and_b32_e32 v2, 1, v6
	v_and_b32_sdwa v6, v3, v17 dst_sel:BYTE_1 dst_unused:UNUSED_PAD src0_sel:DWORD src1_sel:DWORD
	v_and_b32_e32 v3, 1, v8
	;; [unrolled: 2-line block ×3, first 2 shown]
	v_cndmask_b32_e64 v13, 0, 1, s[0:1]
	v_cmp_neq_f16_sdwa s[0:1], v11, v15 src0_sel:WORD_1 src1_sel:WORD_1
	v_cndmask_b32_e64 v11, 0, 1, s[0:1]
	v_cmp_eq_f16_e64 s[0:1], v12, v16
	v_cndmask_b32_e32 v11, v11, v13, vcc
	v_cndmask_b32_e64 v13, 0, 1, s[0:1]
	v_cmp_neq_f16_e64 s[0:1], v12, v16
	v_cndmask_b32_e32 v4, v4, v14, vcc
	v_cndmask_b32_e64 v14, 0, 1, s[0:1]
	v_cmp_eq_f16_sdwa s[0:1], v12, v16 src0_sel:WORD_1 src1_sel:WORD_1
	v_cndmask_b32_e32 v13, v14, v13, vcc
	v_cndmask_b32_e64 v14, 0, 1, s[0:1]
	v_cmp_neq_f16_sdwa s[0:1], v12, v16 src0_sel:WORD_1 src1_sel:WORD_1
	v_cndmask_b32_e64 v12, 0, 1, s[0:1]
	v_cndmask_b32_e32 v5, v21, v5, vcc
	v_cndmask_b32_e32 v7, v25, v7, vcc
	;; [unrolled: 1-line block ×4, first 2 shown]
	v_and_b32_e32 v18, 1, v18
	v_and_b32_sdwa v1, v1, v17 dst_sel:BYTE_1 dst_unused:UNUSED_PAD src0_sel:DWORD src1_sel:DWORD
	v_and_b32_e32 v5, 1, v5
	v_and_b32_e32 v7, 1, v7
	v_and_b32_sdwa v10, v10, v17 dst_sel:BYTE_1 dst_unused:UNUSED_PAD src0_sel:DWORD src1_sel:DWORD
	v_and_b32_e32 v4, 1, v4
	v_and_b32_sdwa v11, v11, v17 dst_sel:BYTE_1 dst_unused:UNUSED_PAD src0_sel:DWORD src1_sel:DWORD
	;; [unrolled: 2-line block ×3, first 2 shown]
	s_add_u32 s0, s8, s2
	v_or_b32_e32 v4, v4, v11
	v_or_b32_sdwa v11, v13, v12 dst_sel:WORD_1 dst_unused:UNUSED_PAD src0_sel:DWORD src1_sel:DWORD
	v_or_b32_e32 v3, v3, v8
	v_or_b32_sdwa v8, v9, v10 dst_sel:WORD_1 dst_unused:UNUSED_PAD src0_sel:DWORD src1_sel:DWORD
	v_or_b32_e32 v2, v2, v6
	v_or_b32_sdwa v6, v7, v20 dst_sel:WORD_1 dst_unused:UNUSED_PAD src0_sel:DWORD src1_sel:DWORD
	v_or_b32_e32 v1, v18, v1
	v_or_b32_sdwa v5, v5, v19 dst_sel:WORD_1 dst_unused:UNUSED_PAD src0_sel:DWORD src1_sel:DWORD
	s_addc_u32 s1, s9, s3
	v_lshlrev_b32_e32 v14, 4, v0
	v_or_b32_sdwa v4, v4, v11 dst_sel:DWORD dst_unused:UNUSED_PAD src0_sel:WORD_0 src1_sel:DWORD
	v_or_b32_sdwa v3, v3, v8 dst_sel:DWORD dst_unused:UNUSED_PAD src0_sel:WORD_0 src1_sel:DWORD
	;; [unrolled: 1-line block ×4, first 2 shown]
	global_store_dwordx4 v14, v[1:4], s[0:1]
	s_mov_b64 s[0:1], 0
.LBB176_2:
	s_andn2_b64 vcc, exec, s[0:1]
	s_cbranch_vccnz .LBB176_52
; %bb.3:
	v_cmp_gt_i32_e32 vcc, s6, v0
	v_mov_b32_e32 v3, 0
	v_or_b32_e32 v1, s2, v0
	v_mov_b32_e32 v2, 0
	v_mov_b32_e32 v4, 0
	;; [unrolled: 1-line block ×3, first 2 shown]
	s_and_saveexec_b64 s[4:5], vcc
	s_cbranch_execz .LBB176_5
; %bb.4:
	v_mov_b32_e32 v2, 0
	v_lshlrev_b64 v[4:5], 1, v[1:2]
	v_mov_b32_e32 v2, s15
	v_add_co_u32_e64 v6, s[0:1], s14, v4
	v_addc_co_u32_e64 v7, s[0:1], v2, v5, s[0:1]
	v_mov_b32_e32 v2, s11
	v_add_co_u32_e64 v8, s[0:1], s10, v4
	v_addc_co_u32_e64 v9, s[0:1], v2, v5, s[0:1]
	global_load_ushort v2, v[8:9], off
	global_load_ushort v4, v[6:7], off
	v_or_b32_e32 v13, 0x100, v0
.LBB176_5:
	s_or_b64 exec, exec, s[4:5]
	v_cmp_gt_i32_e64 s[0:1], s6, v13
	v_mov_b32_e32 v6, 0
	s_and_saveexec_b64 s[4:5], s[0:1]
	s_cbranch_execz .LBB176_7
; %bb.6:
	v_add_u32_e32 v5, s2, v13
	v_mov_b32_e32 v6, 0
	v_lshlrev_b64 v[5:6], 1, v[5:6]
	v_mov_b32_e32 v3, s15
	v_add_co_u32_e64 v7, s[0:1], s14, v5
	v_addc_co_u32_e64 v8, s[0:1], v3, v6, s[0:1]
	v_mov_b32_e32 v3, s11
	v_add_co_u32_e64 v9, s[0:1], s10, v5
	v_addc_co_u32_e64 v10, s[0:1], v3, v6, s[0:1]
	global_load_ushort v3, v[9:10], off
	global_load_ushort v6, v[7:8], off
	v_add_u32_e32 v13, 0x100, v13
.LBB176_7:
	s_or_b64 exec, exec, s[4:5]
	v_cmp_gt_i32_e64 s[0:1], s6, v13
	v_mov_b32_e32 v5, 0
	v_mov_b32_e32 v7, 0
	v_mov_b32_e32 v8, 0
	s_and_saveexec_b64 s[4:5], s[0:1]
	s_cbranch_execz .LBB176_9
; %bb.8:
	v_add_u32_e32 v7, s2, v13
	v_mov_b32_e32 v8, 0
	v_lshlrev_b64 v[7:8], 1, v[7:8]
	v_mov_b32_e32 v10, s15
	v_add_co_u32_e64 v9, s[0:1], s14, v7
	v_addc_co_u32_e64 v10, s[0:1], v10, v8, s[0:1]
	v_mov_b32_e32 v12, s11
	v_add_co_u32_e64 v11, s[0:1], s10, v7
	v_addc_co_u32_e64 v12, s[0:1], v12, v8, s[0:1]
	global_load_ushort v7, v[11:12], off
	global_load_ushort v8, v[9:10], off
	v_add_u32_e32 v13, 0x100, v13
.LBB176_9:
	s_or_b64 exec, exec, s[4:5]
	v_cmp_gt_i32_e64 s[0:1], s6, v13
	v_mov_b32_e32 v10, 0
	s_and_saveexec_b64 s[4:5], s[0:1]
	s_cbranch_execz .LBB176_11
; %bb.10:
	v_add_u32_e32 v9, s2, v13
	v_mov_b32_e32 v10, 0
	v_lshlrev_b64 v[9:10], 1, v[9:10]
	v_mov_b32_e32 v5, s15
	v_add_co_u32_e64 v11, s[0:1], s14, v9
	v_addc_co_u32_e64 v12, s[0:1], v5, v10, s[0:1]
	v_mov_b32_e32 v5, s11
	v_add_co_u32_e64 v14, s[0:1], s10, v9
	v_addc_co_u32_e64 v15, s[0:1], v5, v10, s[0:1]
	global_load_ushort v5, v[14:15], off
	global_load_ushort v10, v[11:12], off
	v_add_u32_e32 v13, 0x100, v13
.LBB176_11:
	s_or_b64 exec, exec, s[4:5]
	v_cmp_gt_i32_e64 s[0:1], s6, v13
	v_mov_b32_e32 v9, 0
	v_mov_b32_e32 v11, 0
	v_mov_b32_e32 v12, 0
	s_and_saveexec_b64 s[4:5], s[0:1]
	s_cbranch_execz .LBB176_13
; %bb.12:
	v_add_u32_e32 v11, s2, v13
	v_mov_b32_e32 v12, 0
	v_lshlrev_b64 v[11:12], 1, v[11:12]
	v_mov_b32_e32 v15, s15
	v_add_co_u32_e64 v14, s[0:1], s14, v11
	v_addc_co_u32_e64 v15, s[0:1], v15, v12, s[0:1]
	v_mov_b32_e32 v17, s11
	v_add_co_u32_e64 v16, s[0:1], s10, v11
	v_addc_co_u32_e64 v17, s[0:1], v17, v12, s[0:1]
	global_load_ushort v11, v[16:17], off
	global_load_ushort v12, v[14:15], off
	v_add_u32_e32 v13, 0x100, v13
.LBB176_13:
	;; [unrolled: 40-line block ×7, first 2 shown]
	s_or_b64 exec, exec, s[4:5]
	v_cmp_gt_i32_e64 s[0:1], s6, v13
	v_mov_b32_e32 v34, 0
	s_and_saveexec_b64 s[4:5], s[0:1]
	s_cbranch_execz .LBB176_35
; %bb.34:
	v_add_u32_e32 v34, s2, v13
	v_mov_b32_e32 v35, 0
	v_lshlrev_b64 v[34:35], 1, v[34:35]
	v_mov_b32_e32 v13, s15
	v_add_co_u32_e64 v36, s[0:1], s14, v34
	v_addc_co_u32_e64 v37, s[0:1], v13, v35, s[0:1]
	v_mov_b32_e32 v13, s11
	v_add_co_u32_e64 v38, s[0:1], s10, v34
	v_addc_co_u32_e64 v39, s[0:1], v13, v35, s[0:1]
	global_load_ushort v30, v[38:39], off
	global_load_ushort v34, v[36:37], off
.LBB176_35:
	s_or_b64 exec, exec, s[4:5]
	s_cmp_eq_u32 s13, 0
	s_cselect_b64 s[0:1], -1, 0
	s_and_saveexec_b64 s[4:5], vcc
	s_cbranch_execnz .LBB176_53
; %bb.36:
	s_or_b64 exec, exec, s[4:5]
	v_cmp_gt_i32_e32 vcc, s6, v0
	s_and_saveexec_b64 s[4:5], vcc
	s_cbranch_execnz .LBB176_54
.LBB176_37:
	s_or_b64 exec, exec, s[4:5]
	v_cmp_gt_i32_e32 vcc, s6, v0
	s_and_saveexec_b64 s[4:5], vcc
	s_cbranch_execnz .LBB176_55
.LBB176_38:
	s_or_b64 exec, exec, s[4:5]
	v_cmp_gt_i32_e32 vcc, s6, v0
	s_and_saveexec_b64 s[4:5], vcc
	s_cbranch_execnz .LBB176_56
.LBB176_39:
	s_or_b64 exec, exec, s[4:5]
	v_cmp_gt_i32_e32 vcc, s6, v0
	s_and_saveexec_b64 s[4:5], vcc
	s_cbranch_execnz .LBB176_57
.LBB176_40:
	s_or_b64 exec, exec, s[4:5]
	v_cmp_gt_i32_e32 vcc, s6, v0
	s_and_saveexec_b64 s[4:5], vcc
	s_cbranch_execnz .LBB176_58
.LBB176_41:
	s_or_b64 exec, exec, s[4:5]
	v_cmp_gt_i32_e32 vcc, s6, v0
	s_and_saveexec_b64 s[4:5], vcc
	s_cbranch_execnz .LBB176_59
.LBB176_42:
	s_or_b64 exec, exec, s[4:5]
	v_cmp_gt_i32_e32 vcc, s6, v0
	s_and_saveexec_b64 s[4:5], vcc
	s_cbranch_execnz .LBB176_60
.LBB176_43:
	s_or_b64 exec, exec, s[4:5]
	v_cmp_gt_i32_e32 vcc, s6, v0
	s_and_saveexec_b64 s[4:5], vcc
	s_cbranch_execnz .LBB176_61
.LBB176_44:
	s_or_b64 exec, exec, s[4:5]
	v_cmp_gt_i32_e32 vcc, s6, v0
	s_and_saveexec_b64 s[4:5], vcc
	s_cbranch_execnz .LBB176_62
.LBB176_45:
	s_or_b64 exec, exec, s[4:5]
	v_cmp_gt_i32_e32 vcc, s6, v0
	s_and_saveexec_b64 s[4:5], vcc
	s_cbranch_execnz .LBB176_63
.LBB176_46:
	s_or_b64 exec, exec, s[4:5]
	v_cmp_gt_i32_e32 vcc, s6, v0
	s_and_saveexec_b64 s[4:5], vcc
	s_cbranch_execnz .LBB176_64
.LBB176_47:
	s_or_b64 exec, exec, s[4:5]
	v_cmp_gt_i32_e32 vcc, s6, v0
	s_and_saveexec_b64 s[4:5], vcc
	s_cbranch_execnz .LBB176_65
.LBB176_48:
	s_or_b64 exec, exec, s[4:5]
	v_cmp_gt_i32_e32 vcc, s6, v0
	s_and_saveexec_b64 s[4:5], vcc
	s_cbranch_execnz .LBB176_66
.LBB176_49:
	s_or_b64 exec, exec, s[4:5]
	v_cmp_gt_i32_e32 vcc, s6, v0
	s_and_saveexec_b64 s[4:5], vcc
	s_cbranch_execnz .LBB176_67
.LBB176_50:
	s_or_b64 exec, exec, s[4:5]
	v_cmp_gt_i32_e32 vcc, s6, v0
	s_and_saveexec_b64 s[4:5], vcc
	s_cbranch_execz .LBB176_52
.LBB176_51:
	s_waitcnt vmcnt(0)
	v_cmp_eq_f16_e32 vcc, v30, v34
	v_cndmask_b32_e64 v1, 0, 1, vcc
	v_cmp_neq_f16_e32 vcc, v30, v34
	v_cndmask_b32_e64 v2, 0, 1, vcc
	v_cndmask_b32_e64 v1, v2, v1, s[0:1]
	v_and_b32_e32 v1, 1, v1
	v_add_u32_e32 v0, s2, v0
	global_store_byte v0, v1, s[8:9]
.LBB176_52:
	s_endpgm
.LBB176_53:
	s_waitcnt vmcnt(0)
	v_cmp_eq_f16_e32 vcc, v2, v4
	v_cndmask_b32_e64 v13, 0, 1, vcc
	v_cmp_neq_f16_e32 vcc, v2, v4
	v_cndmask_b32_e64 v2, 0, 1, vcc
	v_cndmask_b32_e64 v2, v2, v13, s[0:1]
	v_or_b32_e32 v0, 0x100, v0
	v_and_b32_e32 v2, 1, v2
	global_store_byte v1, v2, s[8:9]
	s_or_b64 exec, exec, s[4:5]
	v_cmp_gt_i32_e32 vcc, s6, v0
	s_and_saveexec_b64 s[4:5], vcc
	s_cbranch_execz .LBB176_37
.LBB176_54:
	s_waitcnt vmcnt(0)
	v_cmp_eq_f16_e32 vcc, v3, v6
	v_cndmask_b32_e64 v1, 0, 1, vcc
	v_cmp_neq_f16_e32 vcc, v3, v6
	v_cndmask_b32_e64 v2, 0, 1, vcc
	v_cndmask_b32_e64 v1, v2, v1, s[0:1]
	v_and_b32_e32 v1, 1, v1
	v_add_u32_e32 v2, s2, v0
	v_add_u32_e32 v0, 0x100, v0
	global_store_byte v2, v1, s[8:9]
	s_or_b64 exec, exec, s[4:5]
	v_cmp_gt_i32_e32 vcc, s6, v0
	s_and_saveexec_b64 s[4:5], vcc
	s_cbranch_execz .LBB176_38
.LBB176_55:
	s_waitcnt vmcnt(0)
	v_cmp_eq_f16_e32 vcc, v7, v8
	v_cndmask_b32_e64 v1, 0, 1, vcc
	v_cmp_neq_f16_e32 vcc, v7, v8
	v_cndmask_b32_e64 v2, 0, 1, vcc
	v_cndmask_b32_e64 v1, v2, v1, s[0:1]
	v_and_b32_e32 v1, 1, v1
	v_add_u32_e32 v2, s2, v0
	v_add_u32_e32 v0, 0x100, v0
	global_store_byte v2, v1, s[8:9]
	s_or_b64 exec, exec, s[4:5]
	v_cmp_gt_i32_e32 vcc, s6, v0
	s_and_saveexec_b64 s[4:5], vcc
	s_cbranch_execz .LBB176_39
.LBB176_56:
	s_waitcnt vmcnt(0)
	v_cmp_eq_f16_e32 vcc, v5, v10
	v_cndmask_b32_e64 v1, 0, 1, vcc
	v_cmp_neq_f16_e32 vcc, v5, v10
	v_cndmask_b32_e64 v2, 0, 1, vcc
	v_cndmask_b32_e64 v1, v2, v1, s[0:1]
	v_and_b32_e32 v1, 1, v1
	v_add_u32_e32 v2, s2, v0
	v_add_u32_e32 v0, 0x100, v0
	global_store_byte v2, v1, s[8:9]
	s_or_b64 exec, exec, s[4:5]
	v_cmp_gt_i32_e32 vcc, s6, v0
	s_and_saveexec_b64 s[4:5], vcc
	s_cbranch_execz .LBB176_40
.LBB176_57:
	s_waitcnt vmcnt(0)
	v_cmp_eq_f16_e32 vcc, v11, v12
	v_cndmask_b32_e64 v1, 0, 1, vcc
	v_cmp_neq_f16_e32 vcc, v11, v12
	v_cndmask_b32_e64 v2, 0, 1, vcc
	v_cndmask_b32_e64 v1, v2, v1, s[0:1]
	v_and_b32_e32 v1, 1, v1
	v_add_u32_e32 v2, s2, v0
	v_add_u32_e32 v0, 0x100, v0
	global_store_byte v2, v1, s[8:9]
	s_or_b64 exec, exec, s[4:5]
	v_cmp_gt_i32_e32 vcc, s6, v0
	s_and_saveexec_b64 s[4:5], vcc
	s_cbranch_execz .LBB176_41
.LBB176_58:
	s_waitcnt vmcnt(0)
	v_cmp_eq_f16_e32 vcc, v9, v15
	v_cndmask_b32_e64 v1, 0, 1, vcc
	v_cmp_neq_f16_e32 vcc, v9, v15
	v_cndmask_b32_e64 v2, 0, 1, vcc
	v_cndmask_b32_e64 v1, v2, v1, s[0:1]
	v_and_b32_e32 v1, 1, v1
	v_add_u32_e32 v2, s2, v0
	v_add_u32_e32 v0, 0x100, v0
	global_store_byte v2, v1, s[8:9]
	s_or_b64 exec, exec, s[4:5]
	v_cmp_gt_i32_e32 vcc, s6, v0
	s_and_saveexec_b64 s[4:5], vcc
	s_cbranch_execz .LBB176_42
.LBB176_59:
	s_waitcnt vmcnt(0)
	v_cmp_eq_f16_e32 vcc, v16, v17
	v_cndmask_b32_e64 v1, 0, 1, vcc
	v_cmp_neq_f16_e32 vcc, v16, v17
	v_cndmask_b32_e64 v2, 0, 1, vcc
	v_cndmask_b32_e64 v1, v2, v1, s[0:1]
	v_and_b32_e32 v1, 1, v1
	v_add_u32_e32 v2, s2, v0
	v_add_u32_e32 v0, 0x100, v0
	global_store_byte v2, v1, s[8:9]
	s_or_b64 exec, exec, s[4:5]
	v_cmp_gt_i32_e32 vcc, s6, v0
	s_and_saveexec_b64 s[4:5], vcc
	s_cbranch_execz .LBB176_43
.LBB176_60:
	s_waitcnt vmcnt(0)
	v_cmp_eq_f16_e32 vcc, v14, v19
	v_cndmask_b32_e64 v1, 0, 1, vcc
	v_cmp_neq_f16_e32 vcc, v14, v19
	v_cndmask_b32_e64 v2, 0, 1, vcc
	v_cndmask_b32_e64 v1, v2, v1, s[0:1]
	v_and_b32_e32 v1, 1, v1
	v_add_u32_e32 v2, s2, v0
	v_add_u32_e32 v0, 0x100, v0
	global_store_byte v2, v1, s[8:9]
	s_or_b64 exec, exec, s[4:5]
	v_cmp_gt_i32_e32 vcc, s6, v0
	s_and_saveexec_b64 s[4:5], vcc
	s_cbranch_execz .LBB176_44
.LBB176_61:
	s_waitcnt vmcnt(0)
	v_cmp_eq_f16_e32 vcc, v20, v21
	v_cndmask_b32_e64 v1, 0, 1, vcc
	v_cmp_neq_f16_e32 vcc, v20, v21
	v_cndmask_b32_e64 v2, 0, 1, vcc
	v_cndmask_b32_e64 v1, v2, v1, s[0:1]
	v_and_b32_e32 v1, 1, v1
	v_add_u32_e32 v2, s2, v0
	v_add_u32_e32 v0, 0x100, v0
	global_store_byte v2, v1, s[8:9]
	s_or_b64 exec, exec, s[4:5]
	v_cmp_gt_i32_e32 vcc, s6, v0
	s_and_saveexec_b64 s[4:5], vcc
	s_cbranch_execz .LBB176_45
.LBB176_62:
	s_waitcnt vmcnt(0)
	v_cmp_eq_f16_e32 vcc, v18, v23
	v_cndmask_b32_e64 v1, 0, 1, vcc
	v_cmp_neq_f16_e32 vcc, v18, v23
	v_cndmask_b32_e64 v2, 0, 1, vcc
	v_cndmask_b32_e64 v1, v2, v1, s[0:1]
	v_and_b32_e32 v1, 1, v1
	v_add_u32_e32 v2, s2, v0
	v_add_u32_e32 v0, 0x100, v0
	global_store_byte v2, v1, s[8:9]
	s_or_b64 exec, exec, s[4:5]
	v_cmp_gt_i32_e32 vcc, s6, v0
	s_and_saveexec_b64 s[4:5], vcc
	s_cbranch_execz .LBB176_46
.LBB176_63:
	s_waitcnt vmcnt(0)
	v_cmp_eq_f16_e32 vcc, v24, v25
	v_cndmask_b32_e64 v1, 0, 1, vcc
	v_cmp_neq_f16_e32 vcc, v24, v25
	v_cndmask_b32_e64 v2, 0, 1, vcc
	v_cndmask_b32_e64 v1, v2, v1, s[0:1]
	v_and_b32_e32 v1, 1, v1
	v_add_u32_e32 v2, s2, v0
	v_add_u32_e32 v0, 0x100, v0
	global_store_byte v2, v1, s[8:9]
	s_or_b64 exec, exec, s[4:5]
	v_cmp_gt_i32_e32 vcc, s6, v0
	s_and_saveexec_b64 s[4:5], vcc
	s_cbranch_execz .LBB176_47
.LBB176_64:
	s_waitcnt vmcnt(0)
	v_cmp_eq_f16_e32 vcc, v22, v27
	v_cndmask_b32_e64 v1, 0, 1, vcc
	v_cmp_neq_f16_e32 vcc, v22, v27
	v_cndmask_b32_e64 v2, 0, 1, vcc
	v_cndmask_b32_e64 v1, v2, v1, s[0:1]
	v_and_b32_e32 v1, 1, v1
	v_add_u32_e32 v2, s2, v0
	v_add_u32_e32 v0, 0x100, v0
	global_store_byte v2, v1, s[8:9]
	s_or_b64 exec, exec, s[4:5]
	v_cmp_gt_i32_e32 vcc, s6, v0
	s_and_saveexec_b64 s[4:5], vcc
	s_cbranch_execz .LBB176_48
.LBB176_65:
	s_waitcnt vmcnt(0)
	v_cmp_eq_f16_e32 vcc, v28, v29
	v_cndmask_b32_e64 v1, 0, 1, vcc
	v_cmp_neq_f16_e32 vcc, v28, v29
	v_cndmask_b32_e64 v2, 0, 1, vcc
	v_cndmask_b32_e64 v1, v2, v1, s[0:1]
	v_and_b32_e32 v1, 1, v1
	v_add_u32_e32 v2, s2, v0
	v_add_u32_e32 v0, 0x100, v0
	global_store_byte v2, v1, s[8:9]
	s_or_b64 exec, exec, s[4:5]
	v_cmp_gt_i32_e32 vcc, s6, v0
	s_and_saveexec_b64 s[4:5], vcc
	s_cbranch_execz .LBB176_49
.LBB176_66:
	s_waitcnt vmcnt(0)
	v_cmp_eq_f16_e32 vcc, v26, v31
	v_cndmask_b32_e64 v1, 0, 1, vcc
	v_cmp_neq_f16_e32 vcc, v26, v31
	v_cndmask_b32_e64 v2, 0, 1, vcc
	v_cndmask_b32_e64 v1, v2, v1, s[0:1]
	v_and_b32_e32 v1, 1, v1
	v_add_u32_e32 v2, s2, v0
	v_add_u32_e32 v0, 0x100, v0
	global_store_byte v2, v1, s[8:9]
	s_or_b64 exec, exec, s[4:5]
	v_cmp_gt_i32_e32 vcc, s6, v0
	s_and_saveexec_b64 s[4:5], vcc
	s_cbranch_execz .LBB176_50
.LBB176_67:
	s_waitcnt vmcnt(0)
	v_cmp_eq_f16_e32 vcc, v32, v33
	v_cndmask_b32_e64 v1, 0, 1, vcc
	v_cmp_neq_f16_e32 vcc, v32, v33
	v_cndmask_b32_e64 v2, 0, 1, vcc
	v_cndmask_b32_e64 v1, v2, v1, s[0:1]
	v_and_b32_e32 v1, 1, v1
	v_add_u32_e32 v2, s2, v0
	v_add_u32_e32 v0, 0x100, v0
	global_store_byte v2, v1, s[8:9]
	s_or_b64 exec, exec, s[4:5]
	v_cmp_gt_i32_e32 vcc, s6, v0
	s_and_saveexec_b64 s[4:5], vcc
	s_cbranch_execnz .LBB176_51
	s_branch .LBB176_52
	.section	.rodata,"a",@progbits
	.p2align	6, 0x0
	.amdhsa_kernel _ZN2at6native29vectorized_elementwise_kernelILi16ENS0_13BinaryFunctorIN3c104HalfES4_bNS0_12_GLOBAL__N_116CompareEqFunctorIS4_EEEESt5arrayIPcLm3EEEEviT0_T1_
		.amdhsa_group_segment_fixed_size 0
		.amdhsa_private_segment_fixed_size 0
		.amdhsa_kernarg_size 32
		.amdhsa_user_sgpr_count 6
		.amdhsa_user_sgpr_private_segment_buffer 1
		.amdhsa_user_sgpr_dispatch_ptr 0
		.amdhsa_user_sgpr_queue_ptr 0
		.amdhsa_user_sgpr_kernarg_segment_ptr 1
		.amdhsa_user_sgpr_dispatch_id 0
		.amdhsa_user_sgpr_flat_scratch_init 0
		.amdhsa_user_sgpr_private_segment_size 0
		.amdhsa_uses_dynamic_stack 0
		.amdhsa_system_sgpr_private_segment_wavefront_offset 0
		.amdhsa_system_sgpr_workgroup_id_x 1
		.amdhsa_system_sgpr_workgroup_id_y 0
		.amdhsa_system_sgpr_workgroup_id_z 0
		.amdhsa_system_sgpr_workgroup_info 0
		.amdhsa_system_vgpr_workitem_id 0
		.amdhsa_next_free_vgpr 40
		.amdhsa_next_free_sgpr 16
		.amdhsa_reserve_vcc 1
		.amdhsa_reserve_flat_scratch 0
		.amdhsa_float_round_mode_32 0
		.amdhsa_float_round_mode_16_64 0
		.amdhsa_float_denorm_mode_32 3
		.amdhsa_float_denorm_mode_16_64 3
		.amdhsa_dx10_clamp 1
		.amdhsa_ieee_mode 1
		.amdhsa_fp16_overflow 0
		.amdhsa_exception_fp_ieee_invalid_op 0
		.amdhsa_exception_fp_denorm_src 0
		.amdhsa_exception_fp_ieee_div_zero 0
		.amdhsa_exception_fp_ieee_overflow 0
		.amdhsa_exception_fp_ieee_underflow 0
		.amdhsa_exception_fp_ieee_inexact 0
		.amdhsa_exception_int_div_zero 0
	.end_amdhsa_kernel
	.section	.text._ZN2at6native29vectorized_elementwise_kernelILi16ENS0_13BinaryFunctorIN3c104HalfES4_bNS0_12_GLOBAL__N_116CompareEqFunctorIS4_EEEESt5arrayIPcLm3EEEEviT0_T1_,"axG",@progbits,_ZN2at6native29vectorized_elementwise_kernelILi16ENS0_13BinaryFunctorIN3c104HalfES4_bNS0_12_GLOBAL__N_116CompareEqFunctorIS4_EEEESt5arrayIPcLm3EEEEviT0_T1_,comdat
.Lfunc_end176:
	.size	_ZN2at6native29vectorized_elementwise_kernelILi16ENS0_13BinaryFunctorIN3c104HalfES4_bNS0_12_GLOBAL__N_116CompareEqFunctorIS4_EEEESt5arrayIPcLm3EEEEviT0_T1_, .Lfunc_end176-_ZN2at6native29vectorized_elementwise_kernelILi16ENS0_13BinaryFunctorIN3c104HalfES4_bNS0_12_GLOBAL__N_116CompareEqFunctorIS4_EEEESt5arrayIPcLm3EEEEviT0_T1_
                                        ; -- End function
	.set _ZN2at6native29vectorized_elementwise_kernelILi16ENS0_13BinaryFunctorIN3c104HalfES4_bNS0_12_GLOBAL__N_116CompareEqFunctorIS4_EEEESt5arrayIPcLm3EEEEviT0_T1_.num_vgpr, 40
	.set _ZN2at6native29vectorized_elementwise_kernelILi16ENS0_13BinaryFunctorIN3c104HalfES4_bNS0_12_GLOBAL__N_116CompareEqFunctorIS4_EEEESt5arrayIPcLm3EEEEviT0_T1_.num_agpr, 0
	.set _ZN2at6native29vectorized_elementwise_kernelILi16ENS0_13BinaryFunctorIN3c104HalfES4_bNS0_12_GLOBAL__N_116CompareEqFunctorIS4_EEEESt5arrayIPcLm3EEEEviT0_T1_.numbered_sgpr, 16
	.set _ZN2at6native29vectorized_elementwise_kernelILi16ENS0_13BinaryFunctorIN3c104HalfES4_bNS0_12_GLOBAL__N_116CompareEqFunctorIS4_EEEESt5arrayIPcLm3EEEEviT0_T1_.num_named_barrier, 0
	.set _ZN2at6native29vectorized_elementwise_kernelILi16ENS0_13BinaryFunctorIN3c104HalfES4_bNS0_12_GLOBAL__N_116CompareEqFunctorIS4_EEEESt5arrayIPcLm3EEEEviT0_T1_.private_seg_size, 0
	.set _ZN2at6native29vectorized_elementwise_kernelILi16ENS0_13BinaryFunctorIN3c104HalfES4_bNS0_12_GLOBAL__N_116CompareEqFunctorIS4_EEEESt5arrayIPcLm3EEEEviT0_T1_.uses_vcc, 1
	.set _ZN2at6native29vectorized_elementwise_kernelILi16ENS0_13BinaryFunctorIN3c104HalfES4_bNS0_12_GLOBAL__N_116CompareEqFunctorIS4_EEEESt5arrayIPcLm3EEEEviT0_T1_.uses_flat_scratch, 0
	.set _ZN2at6native29vectorized_elementwise_kernelILi16ENS0_13BinaryFunctorIN3c104HalfES4_bNS0_12_GLOBAL__N_116CompareEqFunctorIS4_EEEESt5arrayIPcLm3EEEEviT0_T1_.has_dyn_sized_stack, 0
	.set _ZN2at6native29vectorized_elementwise_kernelILi16ENS0_13BinaryFunctorIN3c104HalfES4_bNS0_12_GLOBAL__N_116CompareEqFunctorIS4_EEEESt5arrayIPcLm3EEEEviT0_T1_.has_recursion, 0
	.set _ZN2at6native29vectorized_elementwise_kernelILi16ENS0_13BinaryFunctorIN3c104HalfES4_bNS0_12_GLOBAL__N_116CompareEqFunctorIS4_EEEESt5arrayIPcLm3EEEEviT0_T1_.has_indirect_call, 0
	.section	.AMDGPU.csdata,"",@progbits
; Kernel info:
; codeLenInByte = 4032
; TotalNumSgprs: 20
; NumVgprs: 40
; ScratchSize: 0
; MemoryBound: 0
; FloatMode: 240
; IeeeMode: 1
; LDSByteSize: 0 bytes/workgroup (compile time only)
; SGPRBlocks: 2
; VGPRBlocks: 9
; NumSGPRsForWavesPerEU: 20
; NumVGPRsForWavesPerEU: 40
; Occupancy: 6
; WaveLimiterHint : 0
; COMPUTE_PGM_RSRC2:SCRATCH_EN: 0
; COMPUTE_PGM_RSRC2:USER_SGPR: 6
; COMPUTE_PGM_RSRC2:TRAP_HANDLER: 0
; COMPUTE_PGM_RSRC2:TGID_X_EN: 1
; COMPUTE_PGM_RSRC2:TGID_Y_EN: 0
; COMPUTE_PGM_RSRC2:TGID_Z_EN: 0
; COMPUTE_PGM_RSRC2:TIDIG_COMP_CNT: 0
	.section	.text._ZN2at6native29vectorized_elementwise_kernelILi8ENS0_13BinaryFunctorIN3c104HalfES4_bNS0_12_GLOBAL__N_116CompareEqFunctorIS4_EEEESt5arrayIPcLm3EEEEviT0_T1_,"axG",@progbits,_ZN2at6native29vectorized_elementwise_kernelILi8ENS0_13BinaryFunctorIN3c104HalfES4_bNS0_12_GLOBAL__N_116CompareEqFunctorIS4_EEEESt5arrayIPcLm3EEEEviT0_T1_,comdat
	.globl	_ZN2at6native29vectorized_elementwise_kernelILi8ENS0_13BinaryFunctorIN3c104HalfES4_bNS0_12_GLOBAL__N_116CompareEqFunctorIS4_EEEESt5arrayIPcLm3EEEEviT0_T1_ ; -- Begin function _ZN2at6native29vectorized_elementwise_kernelILi8ENS0_13BinaryFunctorIN3c104HalfES4_bNS0_12_GLOBAL__N_116CompareEqFunctorIS4_EEEESt5arrayIPcLm3EEEEviT0_T1_
	.p2align	8
	.type	_ZN2at6native29vectorized_elementwise_kernelILi8ENS0_13BinaryFunctorIN3c104HalfES4_bNS0_12_GLOBAL__N_116CompareEqFunctorIS4_EEEESt5arrayIPcLm3EEEEviT0_T1_,@function
_ZN2at6native29vectorized_elementwise_kernelILi8ENS0_13BinaryFunctorIN3c104HalfES4_bNS0_12_GLOBAL__N_116CompareEqFunctorIS4_EEEESt5arrayIPcLm3EEEEviT0_T1_: ; @_ZN2at6native29vectorized_elementwise_kernelILi8ENS0_13BinaryFunctorIN3c104HalfES4_bNS0_12_GLOBAL__N_116CompareEqFunctorIS4_EEEESt5arrayIPcLm3EEEEviT0_T1_
; %bb.0:
	s_load_dwordx2 s[12:13], s[4:5], 0x0
	s_load_dwordx4 s[8:11], s[4:5], 0x8
	s_load_dwordx2 s[14:15], s[4:5], 0x18
	s_lshl_b32 s2, s6, 12
	s_mov_b64 s[0:1], -1
	s_waitcnt lgkmcnt(0)
	s_sub_i32 s6, s12, s2
	s_cmpk_gt_i32 s6, 0xfff
	s_cbranch_scc0 .LBB177_2
; %bb.1:
	s_ashr_i32 s3, s2, 31
	s_lshl_b64 s[0:1], s[2:3], 1
	s_add_u32 s4, s10, s0
	s_addc_u32 s5, s11, s1
	v_lshlrev_b32_e32 v13, 4, v0
	s_add_u32 s0, s14, s0
	s_addc_u32 s1, s15, s1
	global_load_dwordx4 v[1:4], v13, s[4:5]
	global_load_dwordx4 v[5:8], v13, s[0:1]
	v_mov_b32_e32 v9, s5
	v_add_co_u32_e32 v10, vcc, s4, v13
	v_addc_co_u32_e32 v11, vcc, 0, v9, vcc
	v_add_co_u32_e32 v9, vcc, 0x1000, v10
	v_addc_co_u32_e32 v10, vcc, 0, v11, vcc
	v_mov_b32_e32 v14, s1
	v_add_co_u32_e32 v13, vcc, s0, v13
	s_movk_i32 s7, 0x1000
	v_addc_co_u32_e32 v14, vcc, 0, v14, vcc
	v_add_co_u32_e32 v13, vcc, s7, v13
	v_addc_co_u32_e32 v14, vcc, 0, v14, vcc
	global_load_dwordx4 v[9:12], v[9:10], off
	s_cmp_eq_u32 s13, 0
	global_load_dwordx4 v[13:16], v[13:14], off
	v_mov_b32_e32 v17, 0x100
	v_mov_b32_e32 v18, 0x10000
	;; [unrolled: 1-line block ×3, first 2 shown]
	v_or3_b32 v20, 0, 0, 0
	s_waitcnt vmcnt(2)
	v_cmp_eq_f16_e32 vcc, v1, v5
	v_cndmask_b32_e64 v21, 0, 1, vcc
	v_cmp_neq_f16_e32 vcc, v1, v5
	v_cndmask_b32_e64 v22, 0, 1, vcc
	v_cmp_eq_f16_sdwa s[0:1], v1, v5 src0_sel:WORD_1 src1_sel:WORD_1
	v_cmp_eq_f16_e32 vcc, v2, v6
	v_cndmask_b32_e64 v23, 0, 1, s[0:1]
	v_cmp_neq_f16_sdwa s[0:1], v1, v5 src0_sel:WORD_1 src1_sel:WORD_1
	v_cndmask_b32_e64 v5, 0, 1, vcc
	v_cmp_neq_f16_e32 vcc, v2, v6
	v_cndmask_b32_e64 v1, 0, 1, s[0:1]
	v_cndmask_b32_e64 v24, 0, 1, vcc
	v_cmp_eq_f16_sdwa s[0:1], v2, v6 src0_sel:WORD_1 src1_sel:WORD_1
	v_cmp_eq_f16_e32 vcc, v3, v7
	v_cndmask_b32_e64 v25, 0, 1, s[0:1]
	v_cmp_neq_f16_sdwa s[0:1], v2, v6 src0_sel:WORD_1 src1_sel:WORD_1
	v_cndmask_b32_e64 v6, 0, 1, vcc
	v_cmp_neq_f16_e32 vcc, v3, v7
	v_cndmask_b32_e64 v2, 0, 1, s[0:1]
	v_cndmask_b32_e64 v26, 0, 1, vcc
	v_cmp_eq_f16_sdwa s[0:1], v3, v7 src0_sel:WORD_1 src1_sel:WORD_1
	v_cmp_eq_f16_e32 vcc, v4, v8
	v_cndmask_b32_e64 v27, 0, 1, s[0:1]
	v_cmp_neq_f16_sdwa s[0:1], v3, v7 src0_sel:WORD_1 src1_sel:WORD_1
	v_cndmask_b32_e64 v7, 0, 1, vcc
	v_cmp_neq_f16_e32 vcc, v4, v8
	v_cndmask_b32_e64 v28, 0, 1, vcc
	s_cselect_b64 vcc, -1, 0
	v_cndmask_b32_e32 v1, v1, v23, vcc
	v_cndmask_b32_e32 v5, v24, v5, vcc
	v_and_b32_e32 v1, 1, v1
	v_cndmask_b32_e64 v3, 0, 1, s[0:1]
	v_cndmask_b32_e32 v2, v2, v25, vcc
	v_and_b32_e32 v5, 1, v5
	v_cmp_eq_u32_e64 s[0:1], 1, v1
	v_cndmask_b32_e32 v6, v26, v6, vcc
	v_and_b32_e32 v2, 1, v2
	v_cndmask_b32_e64 v1, 0, v17, s[0:1]
	v_cmp_eq_u32_e64 s[0:1], 1, v5
	v_cndmask_b32_e32 v3, v3, v27, vcc
	v_and_b32_e32 v6, 1, v6
	v_cndmask_b32_e64 v5, 0, v18, s[0:1]
	v_cmp_eq_u32_e64 s[0:1], 1, v2
	v_cndmask_b32_e32 v21, v22, v21, vcc
	v_cndmask_b32_e32 v7, v28, v7, vcc
	v_and_b32_e32 v3, 1, v3
	v_cndmask_b32_e64 v2, 0, v19, s[0:1]
	v_cmp_eq_u32_e64 s[0:1], 1, v6
	v_and_b32_e32 v21, 1, v21
	v_and_b32_e32 v7, 1, v7
	v_cndmask_b32_e64 v6, 0, 1, s[0:1]
	v_cmp_eq_u32_e64 s[0:1], 1, v3
	v_cndmask_b32_e64 v3, 0, v17, s[0:1]
	v_or_b32_e32 v1, v1, v21
	v_cmp_eq_u32_e64 s[0:1], 1, v7
	v_or3_b32 v1, v1, v5, v2
	v_cndmask_b32_e64 v2, 0, v18, s[0:1]
	v_cmp_eq_f16_sdwa s[0:1], v4, v8 src0_sel:WORD_1 src1_sel:WORD_1
	v_cndmask_b32_e64 v5, 0, 1, s[0:1]
	v_cmp_neq_f16_sdwa s[0:1], v4, v8 src0_sel:WORD_1 src1_sel:WORD_1
	v_cndmask_b32_e64 v4, 0, 1, s[0:1]
	v_cndmask_b32_e32 v4, v4, v5, vcc
	v_and_b32_e32 v4, 1, v4
	v_cmp_eq_u32_e64 s[0:1], 1, v4
	v_or3_b32 v3, v20, v6, v3
	v_cndmask_b32_e64 v4, 0, v19, s[0:1]
	s_waitcnt vmcnt(0)
	v_cmp_eq_f16_e64 s[0:1], v9, v13
	v_or3_b32 v2, v3, v2, v4
	v_cndmask_b32_e64 v3, 0, 1, s[0:1]
	v_cmp_neq_f16_e64 s[0:1], v9, v13
	v_cndmask_b32_e64 v4, 0, 1, s[0:1]
	v_cmp_eq_f16_sdwa s[0:1], v9, v13 src0_sel:WORD_1 src1_sel:WORD_1
	v_cndmask_b32_e32 v3, v4, v3, vcc
	v_cndmask_b32_e64 v4, 0, 1, s[0:1]
	v_cmp_neq_f16_sdwa s[0:1], v9, v13 src0_sel:WORD_1 src1_sel:WORD_1
	v_cndmask_b32_e64 v5, 0, 1, s[0:1]
	v_cndmask_b32_e32 v4, v5, v4, vcc
	v_and_b32_e32 v4, 1, v4
	v_cmp_eq_u32_e64 s[0:1], 1, v4
	v_and_b32_e32 v3, 1, v3
	v_cndmask_b32_e64 v4, 0, v17, s[0:1]
	v_cmp_eq_f16_e64 s[0:1], v10, v14
	v_or_b32_e32 v3, v4, v3
	v_cndmask_b32_e64 v4, 0, 1, s[0:1]
	v_cmp_neq_f16_e64 s[0:1], v10, v14
	v_cndmask_b32_e64 v5, 0, 1, s[0:1]
	v_cndmask_b32_e32 v4, v5, v4, vcc
	v_and_b32_e32 v4, 1, v4
	v_cmp_eq_u32_e64 s[0:1], 1, v4
	v_cndmask_b32_e64 v4, 0, v18, s[0:1]
	v_cmp_eq_f16_sdwa s[0:1], v10, v14 src0_sel:WORD_1 src1_sel:WORD_1
	v_cndmask_b32_e64 v5, 0, 1, s[0:1]
	v_cmp_neq_f16_sdwa s[0:1], v10, v14 src0_sel:WORD_1 src1_sel:WORD_1
	v_cndmask_b32_e64 v6, 0, 1, s[0:1]
	v_cndmask_b32_e32 v5, v6, v5, vcc
	v_and_b32_e32 v5, 1, v5
	v_cmp_eq_u32_e64 s[0:1], 1, v5
	v_cndmask_b32_e64 v5, 0, v19, s[0:1]
	v_cmp_eq_f16_e64 s[0:1], v11, v15
	v_or3_b32 v3, v3, v4, v5
	v_cndmask_b32_e64 v4, 0, 1, s[0:1]
	v_cmp_neq_f16_e64 s[0:1], v11, v15
	v_cndmask_b32_e64 v5, 0, 1, s[0:1]
	v_cndmask_b32_e32 v4, v5, v4, vcc
	v_and_b32_e32 v4, 1, v4
	v_cmp_eq_u32_e64 s[0:1], 1, v4
	v_cndmask_b32_e64 v4, 0, 1, s[0:1]
	v_cmp_eq_f16_sdwa s[0:1], v11, v15 src0_sel:WORD_1 src1_sel:WORD_1
	v_cndmask_b32_e64 v5, 0, 1, s[0:1]
	v_cmp_neq_f16_sdwa s[0:1], v11, v15 src0_sel:WORD_1 src1_sel:WORD_1
	v_cndmask_b32_e64 v6, 0, 1, s[0:1]
	v_cndmask_b32_e32 v5, v6, v5, vcc
	v_and_b32_e32 v5, 1, v5
	v_cmp_eq_u32_e64 s[0:1], 1, v5
	v_cndmask_b32_e64 v5, 0, v17, s[0:1]
	v_cmp_eq_f16_e64 s[0:1], v12, v16
	v_cndmask_b32_e64 v6, 0, 1, s[0:1]
	v_cmp_neq_f16_e64 s[0:1], v12, v16
	v_cndmask_b32_e64 v7, 0, 1, s[0:1]
	v_cndmask_b32_e32 v6, v7, v6, vcc
	v_and_b32_e32 v6, 1, v6
	v_cmp_eq_u32_e64 s[0:1], 1, v6
	v_cndmask_b32_e64 v6, 0, v18, s[0:1]
	v_cmp_eq_f16_sdwa s[0:1], v12, v16 src0_sel:WORD_1 src1_sel:WORD_1
	v_or3_b32 v4, v20, v4, v5
	v_cndmask_b32_e64 v5, 0, 1, s[0:1]
	v_cmp_neq_f16_sdwa s[0:1], v12, v16 src0_sel:WORD_1 src1_sel:WORD_1
	v_cndmask_b32_e64 v7, 0, 1, s[0:1]
	v_cndmask_b32_e32 v5, v7, v5, vcc
	v_and_b32_e32 v5, 1, v5
	v_cmp_eq_u32_e32 vcc, 1, v5
	v_or3_b32 v1, v1, 0, 0
	v_cndmask_b32_e32 v5, 0, v19, vcc
	s_add_u32 s0, s8, s2
	v_or3_b32 v1, v1, 0, 0
	v_or3_b32 v3, v3, 0, 0
	v_or3_b32 v4, v4, v6, v5
	s_addc_u32 s1, s9, s3
	v_lshlrev_b32_e32 v5, 3, v0
	v_or3_b32 v3, v3, 0, 0
	global_store_dwordx2 v5, v[1:2], s[0:1]
	global_store_dwordx2 v5, v[3:4], s[0:1] offset:2048
	s_mov_b64 s[0:1], 0
.LBB177_2:
	s_andn2_b64 vcc, exec, s[0:1]
	s_cbranch_vccnz .LBB177_52
; %bb.3:
	v_cmp_gt_i32_e32 vcc, s6, v0
	v_mov_b32_e32 v3, 0
	v_or_b32_e32 v1, s2, v0
	v_mov_b32_e32 v2, 0
	v_mov_b32_e32 v4, 0
	;; [unrolled: 1-line block ×3, first 2 shown]
	s_and_saveexec_b64 s[4:5], vcc
	s_cbranch_execz .LBB177_5
; %bb.4:
	v_mov_b32_e32 v2, 0
	v_lshlrev_b64 v[4:5], 1, v[1:2]
	v_mov_b32_e32 v2, s15
	v_add_co_u32_e64 v6, s[0:1], s14, v4
	v_addc_co_u32_e64 v7, s[0:1], v2, v5, s[0:1]
	v_mov_b32_e32 v2, s11
	v_add_co_u32_e64 v8, s[0:1], s10, v4
	v_addc_co_u32_e64 v9, s[0:1], v2, v5, s[0:1]
	global_load_ushort v2, v[8:9], off
	global_load_ushort v4, v[6:7], off
	v_or_b32_e32 v13, 0x100, v0
.LBB177_5:
	s_or_b64 exec, exec, s[4:5]
	v_cmp_gt_i32_e64 s[0:1], s6, v13
	v_mov_b32_e32 v6, 0
	s_and_saveexec_b64 s[4:5], s[0:1]
	s_cbranch_execz .LBB177_7
; %bb.6:
	v_add_u32_e32 v5, s2, v13
	v_mov_b32_e32 v6, 0
	v_lshlrev_b64 v[5:6], 1, v[5:6]
	v_mov_b32_e32 v3, s15
	v_add_co_u32_e64 v7, s[0:1], s14, v5
	v_addc_co_u32_e64 v8, s[0:1], v3, v6, s[0:1]
	v_mov_b32_e32 v3, s11
	v_add_co_u32_e64 v9, s[0:1], s10, v5
	v_addc_co_u32_e64 v10, s[0:1], v3, v6, s[0:1]
	global_load_ushort v3, v[9:10], off
	global_load_ushort v6, v[7:8], off
	v_add_u32_e32 v13, 0x100, v13
.LBB177_7:
	s_or_b64 exec, exec, s[4:5]
	v_cmp_gt_i32_e64 s[0:1], s6, v13
	v_mov_b32_e32 v5, 0
	v_mov_b32_e32 v7, 0
	v_mov_b32_e32 v8, 0
	s_and_saveexec_b64 s[4:5], s[0:1]
	s_cbranch_execz .LBB177_9
; %bb.8:
	v_add_u32_e32 v7, s2, v13
	v_mov_b32_e32 v8, 0
	v_lshlrev_b64 v[7:8], 1, v[7:8]
	v_mov_b32_e32 v10, s15
	v_add_co_u32_e64 v9, s[0:1], s14, v7
	v_addc_co_u32_e64 v10, s[0:1], v10, v8, s[0:1]
	v_mov_b32_e32 v12, s11
	v_add_co_u32_e64 v11, s[0:1], s10, v7
	v_addc_co_u32_e64 v12, s[0:1], v12, v8, s[0:1]
	global_load_ushort v7, v[11:12], off
	global_load_ushort v8, v[9:10], off
	v_add_u32_e32 v13, 0x100, v13
.LBB177_9:
	s_or_b64 exec, exec, s[4:5]
	v_cmp_gt_i32_e64 s[0:1], s6, v13
	v_mov_b32_e32 v10, 0
	s_and_saveexec_b64 s[4:5], s[0:1]
	s_cbranch_execz .LBB177_11
; %bb.10:
	v_add_u32_e32 v9, s2, v13
	v_mov_b32_e32 v10, 0
	v_lshlrev_b64 v[9:10], 1, v[9:10]
	v_mov_b32_e32 v5, s15
	v_add_co_u32_e64 v11, s[0:1], s14, v9
	v_addc_co_u32_e64 v12, s[0:1], v5, v10, s[0:1]
	v_mov_b32_e32 v5, s11
	v_add_co_u32_e64 v14, s[0:1], s10, v9
	v_addc_co_u32_e64 v15, s[0:1], v5, v10, s[0:1]
	global_load_ushort v5, v[14:15], off
	global_load_ushort v10, v[11:12], off
	v_add_u32_e32 v13, 0x100, v13
.LBB177_11:
	s_or_b64 exec, exec, s[4:5]
	v_cmp_gt_i32_e64 s[0:1], s6, v13
	v_mov_b32_e32 v9, 0
	v_mov_b32_e32 v11, 0
	v_mov_b32_e32 v12, 0
	s_and_saveexec_b64 s[4:5], s[0:1]
	s_cbranch_execz .LBB177_13
; %bb.12:
	v_add_u32_e32 v11, s2, v13
	v_mov_b32_e32 v12, 0
	v_lshlrev_b64 v[11:12], 1, v[11:12]
	v_mov_b32_e32 v15, s15
	v_add_co_u32_e64 v14, s[0:1], s14, v11
	v_addc_co_u32_e64 v15, s[0:1], v15, v12, s[0:1]
	v_mov_b32_e32 v17, s11
	v_add_co_u32_e64 v16, s[0:1], s10, v11
	v_addc_co_u32_e64 v17, s[0:1], v17, v12, s[0:1]
	global_load_ushort v11, v[16:17], off
	global_load_ushort v12, v[14:15], off
	v_add_u32_e32 v13, 0x100, v13
.LBB177_13:
	;; [unrolled: 40-line block ×7, first 2 shown]
	s_or_b64 exec, exec, s[4:5]
	v_cmp_gt_i32_e64 s[0:1], s6, v13
	v_mov_b32_e32 v34, 0
	s_and_saveexec_b64 s[4:5], s[0:1]
	s_cbranch_execz .LBB177_35
; %bb.34:
	v_add_u32_e32 v34, s2, v13
	v_mov_b32_e32 v35, 0
	v_lshlrev_b64 v[34:35], 1, v[34:35]
	v_mov_b32_e32 v13, s15
	v_add_co_u32_e64 v36, s[0:1], s14, v34
	v_addc_co_u32_e64 v37, s[0:1], v13, v35, s[0:1]
	v_mov_b32_e32 v13, s11
	v_add_co_u32_e64 v38, s[0:1], s10, v34
	v_addc_co_u32_e64 v39, s[0:1], v13, v35, s[0:1]
	global_load_ushort v30, v[38:39], off
	global_load_ushort v34, v[36:37], off
.LBB177_35:
	s_or_b64 exec, exec, s[4:5]
	s_cmp_eq_u32 s13, 0
	s_cselect_b64 s[0:1], -1, 0
	s_and_saveexec_b64 s[4:5], vcc
	s_cbranch_execnz .LBB177_53
; %bb.36:
	s_or_b64 exec, exec, s[4:5]
	v_cmp_gt_i32_e32 vcc, s6, v0
	s_and_saveexec_b64 s[4:5], vcc
	s_cbranch_execnz .LBB177_54
.LBB177_37:
	s_or_b64 exec, exec, s[4:5]
	v_cmp_gt_i32_e32 vcc, s6, v0
	s_and_saveexec_b64 s[4:5], vcc
	s_cbranch_execnz .LBB177_55
.LBB177_38:
	s_or_b64 exec, exec, s[4:5]
	v_cmp_gt_i32_e32 vcc, s6, v0
	s_and_saveexec_b64 s[4:5], vcc
	s_cbranch_execnz .LBB177_56
.LBB177_39:
	s_or_b64 exec, exec, s[4:5]
	v_cmp_gt_i32_e32 vcc, s6, v0
	s_and_saveexec_b64 s[4:5], vcc
	s_cbranch_execnz .LBB177_57
.LBB177_40:
	s_or_b64 exec, exec, s[4:5]
	v_cmp_gt_i32_e32 vcc, s6, v0
	s_and_saveexec_b64 s[4:5], vcc
	s_cbranch_execnz .LBB177_58
.LBB177_41:
	s_or_b64 exec, exec, s[4:5]
	v_cmp_gt_i32_e32 vcc, s6, v0
	s_and_saveexec_b64 s[4:5], vcc
	s_cbranch_execnz .LBB177_59
.LBB177_42:
	s_or_b64 exec, exec, s[4:5]
	v_cmp_gt_i32_e32 vcc, s6, v0
	s_and_saveexec_b64 s[4:5], vcc
	s_cbranch_execnz .LBB177_60
.LBB177_43:
	s_or_b64 exec, exec, s[4:5]
	v_cmp_gt_i32_e32 vcc, s6, v0
	s_and_saveexec_b64 s[4:5], vcc
	s_cbranch_execnz .LBB177_61
.LBB177_44:
	s_or_b64 exec, exec, s[4:5]
	v_cmp_gt_i32_e32 vcc, s6, v0
	s_and_saveexec_b64 s[4:5], vcc
	s_cbranch_execnz .LBB177_62
.LBB177_45:
	s_or_b64 exec, exec, s[4:5]
	v_cmp_gt_i32_e32 vcc, s6, v0
	s_and_saveexec_b64 s[4:5], vcc
	s_cbranch_execnz .LBB177_63
.LBB177_46:
	s_or_b64 exec, exec, s[4:5]
	v_cmp_gt_i32_e32 vcc, s6, v0
	s_and_saveexec_b64 s[4:5], vcc
	s_cbranch_execnz .LBB177_64
.LBB177_47:
	s_or_b64 exec, exec, s[4:5]
	v_cmp_gt_i32_e32 vcc, s6, v0
	s_and_saveexec_b64 s[4:5], vcc
	s_cbranch_execnz .LBB177_65
.LBB177_48:
	s_or_b64 exec, exec, s[4:5]
	v_cmp_gt_i32_e32 vcc, s6, v0
	s_and_saveexec_b64 s[4:5], vcc
	s_cbranch_execnz .LBB177_66
.LBB177_49:
	s_or_b64 exec, exec, s[4:5]
	v_cmp_gt_i32_e32 vcc, s6, v0
	s_and_saveexec_b64 s[4:5], vcc
	s_cbranch_execnz .LBB177_67
.LBB177_50:
	s_or_b64 exec, exec, s[4:5]
	v_cmp_gt_i32_e32 vcc, s6, v0
	s_and_saveexec_b64 s[4:5], vcc
	s_cbranch_execz .LBB177_52
.LBB177_51:
	s_waitcnt vmcnt(0)
	v_cmp_eq_f16_e32 vcc, v30, v34
	v_cndmask_b32_e64 v1, 0, 1, vcc
	v_cmp_neq_f16_e32 vcc, v30, v34
	v_cndmask_b32_e64 v2, 0, 1, vcc
	v_cndmask_b32_e64 v1, v2, v1, s[0:1]
	v_and_b32_e32 v1, 1, v1
	v_add_u32_e32 v0, s2, v0
	global_store_byte v0, v1, s[8:9]
.LBB177_52:
	s_endpgm
.LBB177_53:
	s_waitcnt vmcnt(0)
	v_cmp_eq_f16_e32 vcc, v2, v4
	v_cndmask_b32_e64 v13, 0, 1, vcc
	v_cmp_neq_f16_e32 vcc, v2, v4
	v_cndmask_b32_e64 v2, 0, 1, vcc
	v_cndmask_b32_e64 v2, v2, v13, s[0:1]
	v_or_b32_e32 v0, 0x100, v0
	v_and_b32_e32 v2, 1, v2
	global_store_byte v1, v2, s[8:9]
	s_or_b64 exec, exec, s[4:5]
	v_cmp_gt_i32_e32 vcc, s6, v0
	s_and_saveexec_b64 s[4:5], vcc
	s_cbranch_execz .LBB177_37
.LBB177_54:
	s_waitcnt vmcnt(0)
	v_cmp_eq_f16_e32 vcc, v3, v6
	v_cndmask_b32_e64 v1, 0, 1, vcc
	v_cmp_neq_f16_e32 vcc, v3, v6
	v_cndmask_b32_e64 v2, 0, 1, vcc
	v_cndmask_b32_e64 v1, v2, v1, s[0:1]
	v_and_b32_e32 v1, 1, v1
	v_add_u32_e32 v2, s2, v0
	v_add_u32_e32 v0, 0x100, v0
	global_store_byte v2, v1, s[8:9]
	s_or_b64 exec, exec, s[4:5]
	v_cmp_gt_i32_e32 vcc, s6, v0
	s_and_saveexec_b64 s[4:5], vcc
	s_cbranch_execz .LBB177_38
.LBB177_55:
	s_waitcnt vmcnt(0)
	v_cmp_eq_f16_e32 vcc, v7, v8
	v_cndmask_b32_e64 v1, 0, 1, vcc
	v_cmp_neq_f16_e32 vcc, v7, v8
	v_cndmask_b32_e64 v2, 0, 1, vcc
	v_cndmask_b32_e64 v1, v2, v1, s[0:1]
	v_and_b32_e32 v1, 1, v1
	v_add_u32_e32 v2, s2, v0
	v_add_u32_e32 v0, 0x100, v0
	global_store_byte v2, v1, s[8:9]
	s_or_b64 exec, exec, s[4:5]
	v_cmp_gt_i32_e32 vcc, s6, v0
	s_and_saveexec_b64 s[4:5], vcc
	s_cbranch_execz .LBB177_39
.LBB177_56:
	s_waitcnt vmcnt(0)
	v_cmp_eq_f16_e32 vcc, v5, v10
	v_cndmask_b32_e64 v1, 0, 1, vcc
	v_cmp_neq_f16_e32 vcc, v5, v10
	v_cndmask_b32_e64 v2, 0, 1, vcc
	v_cndmask_b32_e64 v1, v2, v1, s[0:1]
	v_and_b32_e32 v1, 1, v1
	v_add_u32_e32 v2, s2, v0
	v_add_u32_e32 v0, 0x100, v0
	global_store_byte v2, v1, s[8:9]
	s_or_b64 exec, exec, s[4:5]
	v_cmp_gt_i32_e32 vcc, s6, v0
	s_and_saveexec_b64 s[4:5], vcc
	s_cbranch_execz .LBB177_40
.LBB177_57:
	s_waitcnt vmcnt(0)
	v_cmp_eq_f16_e32 vcc, v11, v12
	v_cndmask_b32_e64 v1, 0, 1, vcc
	v_cmp_neq_f16_e32 vcc, v11, v12
	v_cndmask_b32_e64 v2, 0, 1, vcc
	v_cndmask_b32_e64 v1, v2, v1, s[0:1]
	v_and_b32_e32 v1, 1, v1
	v_add_u32_e32 v2, s2, v0
	v_add_u32_e32 v0, 0x100, v0
	global_store_byte v2, v1, s[8:9]
	s_or_b64 exec, exec, s[4:5]
	v_cmp_gt_i32_e32 vcc, s6, v0
	s_and_saveexec_b64 s[4:5], vcc
	s_cbranch_execz .LBB177_41
.LBB177_58:
	s_waitcnt vmcnt(0)
	v_cmp_eq_f16_e32 vcc, v9, v15
	v_cndmask_b32_e64 v1, 0, 1, vcc
	v_cmp_neq_f16_e32 vcc, v9, v15
	v_cndmask_b32_e64 v2, 0, 1, vcc
	v_cndmask_b32_e64 v1, v2, v1, s[0:1]
	v_and_b32_e32 v1, 1, v1
	v_add_u32_e32 v2, s2, v0
	v_add_u32_e32 v0, 0x100, v0
	global_store_byte v2, v1, s[8:9]
	s_or_b64 exec, exec, s[4:5]
	v_cmp_gt_i32_e32 vcc, s6, v0
	s_and_saveexec_b64 s[4:5], vcc
	s_cbranch_execz .LBB177_42
.LBB177_59:
	s_waitcnt vmcnt(0)
	v_cmp_eq_f16_e32 vcc, v16, v17
	v_cndmask_b32_e64 v1, 0, 1, vcc
	v_cmp_neq_f16_e32 vcc, v16, v17
	v_cndmask_b32_e64 v2, 0, 1, vcc
	v_cndmask_b32_e64 v1, v2, v1, s[0:1]
	v_and_b32_e32 v1, 1, v1
	v_add_u32_e32 v2, s2, v0
	v_add_u32_e32 v0, 0x100, v0
	global_store_byte v2, v1, s[8:9]
	s_or_b64 exec, exec, s[4:5]
	v_cmp_gt_i32_e32 vcc, s6, v0
	s_and_saveexec_b64 s[4:5], vcc
	s_cbranch_execz .LBB177_43
.LBB177_60:
	s_waitcnt vmcnt(0)
	v_cmp_eq_f16_e32 vcc, v14, v19
	v_cndmask_b32_e64 v1, 0, 1, vcc
	v_cmp_neq_f16_e32 vcc, v14, v19
	v_cndmask_b32_e64 v2, 0, 1, vcc
	v_cndmask_b32_e64 v1, v2, v1, s[0:1]
	v_and_b32_e32 v1, 1, v1
	v_add_u32_e32 v2, s2, v0
	v_add_u32_e32 v0, 0x100, v0
	global_store_byte v2, v1, s[8:9]
	s_or_b64 exec, exec, s[4:5]
	v_cmp_gt_i32_e32 vcc, s6, v0
	s_and_saveexec_b64 s[4:5], vcc
	s_cbranch_execz .LBB177_44
.LBB177_61:
	s_waitcnt vmcnt(0)
	v_cmp_eq_f16_e32 vcc, v20, v21
	v_cndmask_b32_e64 v1, 0, 1, vcc
	v_cmp_neq_f16_e32 vcc, v20, v21
	v_cndmask_b32_e64 v2, 0, 1, vcc
	v_cndmask_b32_e64 v1, v2, v1, s[0:1]
	v_and_b32_e32 v1, 1, v1
	v_add_u32_e32 v2, s2, v0
	v_add_u32_e32 v0, 0x100, v0
	global_store_byte v2, v1, s[8:9]
	s_or_b64 exec, exec, s[4:5]
	v_cmp_gt_i32_e32 vcc, s6, v0
	s_and_saveexec_b64 s[4:5], vcc
	s_cbranch_execz .LBB177_45
.LBB177_62:
	s_waitcnt vmcnt(0)
	v_cmp_eq_f16_e32 vcc, v18, v23
	v_cndmask_b32_e64 v1, 0, 1, vcc
	v_cmp_neq_f16_e32 vcc, v18, v23
	v_cndmask_b32_e64 v2, 0, 1, vcc
	v_cndmask_b32_e64 v1, v2, v1, s[0:1]
	v_and_b32_e32 v1, 1, v1
	v_add_u32_e32 v2, s2, v0
	v_add_u32_e32 v0, 0x100, v0
	global_store_byte v2, v1, s[8:9]
	s_or_b64 exec, exec, s[4:5]
	v_cmp_gt_i32_e32 vcc, s6, v0
	s_and_saveexec_b64 s[4:5], vcc
	s_cbranch_execz .LBB177_46
.LBB177_63:
	s_waitcnt vmcnt(0)
	v_cmp_eq_f16_e32 vcc, v24, v25
	v_cndmask_b32_e64 v1, 0, 1, vcc
	v_cmp_neq_f16_e32 vcc, v24, v25
	v_cndmask_b32_e64 v2, 0, 1, vcc
	v_cndmask_b32_e64 v1, v2, v1, s[0:1]
	v_and_b32_e32 v1, 1, v1
	v_add_u32_e32 v2, s2, v0
	v_add_u32_e32 v0, 0x100, v0
	global_store_byte v2, v1, s[8:9]
	s_or_b64 exec, exec, s[4:5]
	v_cmp_gt_i32_e32 vcc, s6, v0
	s_and_saveexec_b64 s[4:5], vcc
	s_cbranch_execz .LBB177_47
.LBB177_64:
	s_waitcnt vmcnt(0)
	v_cmp_eq_f16_e32 vcc, v22, v27
	v_cndmask_b32_e64 v1, 0, 1, vcc
	v_cmp_neq_f16_e32 vcc, v22, v27
	v_cndmask_b32_e64 v2, 0, 1, vcc
	v_cndmask_b32_e64 v1, v2, v1, s[0:1]
	v_and_b32_e32 v1, 1, v1
	v_add_u32_e32 v2, s2, v0
	v_add_u32_e32 v0, 0x100, v0
	global_store_byte v2, v1, s[8:9]
	s_or_b64 exec, exec, s[4:5]
	v_cmp_gt_i32_e32 vcc, s6, v0
	s_and_saveexec_b64 s[4:5], vcc
	s_cbranch_execz .LBB177_48
.LBB177_65:
	s_waitcnt vmcnt(0)
	v_cmp_eq_f16_e32 vcc, v28, v29
	v_cndmask_b32_e64 v1, 0, 1, vcc
	v_cmp_neq_f16_e32 vcc, v28, v29
	v_cndmask_b32_e64 v2, 0, 1, vcc
	v_cndmask_b32_e64 v1, v2, v1, s[0:1]
	v_and_b32_e32 v1, 1, v1
	v_add_u32_e32 v2, s2, v0
	v_add_u32_e32 v0, 0x100, v0
	global_store_byte v2, v1, s[8:9]
	s_or_b64 exec, exec, s[4:5]
	v_cmp_gt_i32_e32 vcc, s6, v0
	s_and_saveexec_b64 s[4:5], vcc
	s_cbranch_execz .LBB177_49
.LBB177_66:
	s_waitcnt vmcnt(0)
	v_cmp_eq_f16_e32 vcc, v26, v31
	v_cndmask_b32_e64 v1, 0, 1, vcc
	v_cmp_neq_f16_e32 vcc, v26, v31
	v_cndmask_b32_e64 v2, 0, 1, vcc
	v_cndmask_b32_e64 v1, v2, v1, s[0:1]
	v_and_b32_e32 v1, 1, v1
	v_add_u32_e32 v2, s2, v0
	v_add_u32_e32 v0, 0x100, v0
	global_store_byte v2, v1, s[8:9]
	s_or_b64 exec, exec, s[4:5]
	v_cmp_gt_i32_e32 vcc, s6, v0
	s_and_saveexec_b64 s[4:5], vcc
	s_cbranch_execz .LBB177_50
.LBB177_67:
	s_waitcnt vmcnt(0)
	v_cmp_eq_f16_e32 vcc, v32, v33
	v_cndmask_b32_e64 v1, 0, 1, vcc
	v_cmp_neq_f16_e32 vcc, v32, v33
	v_cndmask_b32_e64 v2, 0, 1, vcc
	v_cndmask_b32_e64 v1, v2, v1, s[0:1]
	v_and_b32_e32 v1, 1, v1
	v_add_u32_e32 v2, s2, v0
	v_add_u32_e32 v0, 0x100, v0
	global_store_byte v2, v1, s[8:9]
	s_or_b64 exec, exec, s[4:5]
	v_cmp_gt_i32_e32 vcc, s6, v0
	s_and_saveexec_b64 s[4:5], vcc
	s_cbranch_execnz .LBB177_51
	s_branch .LBB177_52
	.section	.rodata,"a",@progbits
	.p2align	6, 0x0
	.amdhsa_kernel _ZN2at6native29vectorized_elementwise_kernelILi8ENS0_13BinaryFunctorIN3c104HalfES4_bNS0_12_GLOBAL__N_116CompareEqFunctorIS4_EEEESt5arrayIPcLm3EEEEviT0_T1_
		.amdhsa_group_segment_fixed_size 0
		.amdhsa_private_segment_fixed_size 0
		.amdhsa_kernarg_size 32
		.amdhsa_user_sgpr_count 6
		.amdhsa_user_sgpr_private_segment_buffer 1
		.amdhsa_user_sgpr_dispatch_ptr 0
		.amdhsa_user_sgpr_queue_ptr 0
		.amdhsa_user_sgpr_kernarg_segment_ptr 1
		.amdhsa_user_sgpr_dispatch_id 0
		.amdhsa_user_sgpr_flat_scratch_init 0
		.amdhsa_user_sgpr_private_segment_size 0
		.amdhsa_uses_dynamic_stack 0
		.amdhsa_system_sgpr_private_segment_wavefront_offset 0
		.amdhsa_system_sgpr_workgroup_id_x 1
		.amdhsa_system_sgpr_workgroup_id_y 0
		.amdhsa_system_sgpr_workgroup_id_z 0
		.amdhsa_system_sgpr_workgroup_info 0
		.amdhsa_system_vgpr_workitem_id 0
		.amdhsa_next_free_vgpr 40
		.amdhsa_next_free_sgpr 16
		.amdhsa_reserve_vcc 1
		.amdhsa_reserve_flat_scratch 0
		.amdhsa_float_round_mode_32 0
		.amdhsa_float_round_mode_16_64 0
		.amdhsa_float_denorm_mode_32 3
		.amdhsa_float_denorm_mode_16_64 3
		.amdhsa_dx10_clamp 1
		.amdhsa_ieee_mode 1
		.amdhsa_fp16_overflow 0
		.amdhsa_exception_fp_ieee_invalid_op 0
		.amdhsa_exception_fp_denorm_src 0
		.amdhsa_exception_fp_ieee_div_zero 0
		.amdhsa_exception_fp_ieee_overflow 0
		.amdhsa_exception_fp_ieee_underflow 0
		.amdhsa_exception_fp_ieee_inexact 0
		.amdhsa_exception_int_div_zero 0
	.end_amdhsa_kernel
	.section	.text._ZN2at6native29vectorized_elementwise_kernelILi8ENS0_13BinaryFunctorIN3c104HalfES4_bNS0_12_GLOBAL__N_116CompareEqFunctorIS4_EEEESt5arrayIPcLm3EEEEviT0_T1_,"axG",@progbits,_ZN2at6native29vectorized_elementwise_kernelILi8ENS0_13BinaryFunctorIN3c104HalfES4_bNS0_12_GLOBAL__N_116CompareEqFunctorIS4_EEEESt5arrayIPcLm3EEEEviT0_T1_,comdat
.Lfunc_end177:
	.size	_ZN2at6native29vectorized_elementwise_kernelILi8ENS0_13BinaryFunctorIN3c104HalfES4_bNS0_12_GLOBAL__N_116CompareEqFunctorIS4_EEEESt5arrayIPcLm3EEEEviT0_T1_, .Lfunc_end177-_ZN2at6native29vectorized_elementwise_kernelILi8ENS0_13BinaryFunctorIN3c104HalfES4_bNS0_12_GLOBAL__N_116CompareEqFunctorIS4_EEEESt5arrayIPcLm3EEEEviT0_T1_
                                        ; -- End function
	.set _ZN2at6native29vectorized_elementwise_kernelILi8ENS0_13BinaryFunctorIN3c104HalfES4_bNS0_12_GLOBAL__N_116CompareEqFunctorIS4_EEEESt5arrayIPcLm3EEEEviT0_T1_.num_vgpr, 40
	.set _ZN2at6native29vectorized_elementwise_kernelILi8ENS0_13BinaryFunctorIN3c104HalfES4_bNS0_12_GLOBAL__N_116CompareEqFunctorIS4_EEEESt5arrayIPcLm3EEEEviT0_T1_.num_agpr, 0
	.set _ZN2at6native29vectorized_elementwise_kernelILi8ENS0_13BinaryFunctorIN3c104HalfES4_bNS0_12_GLOBAL__N_116CompareEqFunctorIS4_EEEESt5arrayIPcLm3EEEEviT0_T1_.numbered_sgpr, 16
	.set _ZN2at6native29vectorized_elementwise_kernelILi8ENS0_13BinaryFunctorIN3c104HalfES4_bNS0_12_GLOBAL__N_116CompareEqFunctorIS4_EEEESt5arrayIPcLm3EEEEviT0_T1_.num_named_barrier, 0
	.set _ZN2at6native29vectorized_elementwise_kernelILi8ENS0_13BinaryFunctorIN3c104HalfES4_bNS0_12_GLOBAL__N_116CompareEqFunctorIS4_EEEESt5arrayIPcLm3EEEEviT0_T1_.private_seg_size, 0
	.set _ZN2at6native29vectorized_elementwise_kernelILi8ENS0_13BinaryFunctorIN3c104HalfES4_bNS0_12_GLOBAL__N_116CompareEqFunctorIS4_EEEESt5arrayIPcLm3EEEEviT0_T1_.uses_vcc, 1
	.set _ZN2at6native29vectorized_elementwise_kernelILi8ENS0_13BinaryFunctorIN3c104HalfES4_bNS0_12_GLOBAL__N_116CompareEqFunctorIS4_EEEESt5arrayIPcLm3EEEEviT0_T1_.uses_flat_scratch, 0
	.set _ZN2at6native29vectorized_elementwise_kernelILi8ENS0_13BinaryFunctorIN3c104HalfES4_bNS0_12_GLOBAL__N_116CompareEqFunctorIS4_EEEESt5arrayIPcLm3EEEEviT0_T1_.has_dyn_sized_stack, 0
	.set _ZN2at6native29vectorized_elementwise_kernelILi8ENS0_13BinaryFunctorIN3c104HalfES4_bNS0_12_GLOBAL__N_116CompareEqFunctorIS4_EEEESt5arrayIPcLm3EEEEviT0_T1_.has_recursion, 0
	.set _ZN2at6native29vectorized_elementwise_kernelILi8ENS0_13BinaryFunctorIN3c104HalfES4_bNS0_12_GLOBAL__N_116CompareEqFunctorIS4_EEEESt5arrayIPcLm3EEEEviT0_T1_.has_indirect_call, 0
	.section	.AMDGPU.csdata,"",@progbits
; Kernel info:
; codeLenInByte = 4328
; TotalNumSgprs: 20
; NumVgprs: 40
; ScratchSize: 0
; MemoryBound: 0
; FloatMode: 240
; IeeeMode: 1
; LDSByteSize: 0 bytes/workgroup (compile time only)
; SGPRBlocks: 2
; VGPRBlocks: 9
; NumSGPRsForWavesPerEU: 20
; NumVGPRsForWavesPerEU: 40
; Occupancy: 6
; WaveLimiterHint : 1
; COMPUTE_PGM_RSRC2:SCRATCH_EN: 0
; COMPUTE_PGM_RSRC2:USER_SGPR: 6
; COMPUTE_PGM_RSRC2:TRAP_HANDLER: 0
; COMPUTE_PGM_RSRC2:TGID_X_EN: 1
; COMPUTE_PGM_RSRC2:TGID_Y_EN: 0
; COMPUTE_PGM_RSRC2:TGID_Z_EN: 0
; COMPUTE_PGM_RSRC2:TIDIG_COMP_CNT: 0
	.section	.text._ZN2at6native29vectorized_elementwise_kernelILi4ENS0_13BinaryFunctorIN3c104HalfES4_bNS0_12_GLOBAL__N_116CompareEqFunctorIS4_EEEESt5arrayIPcLm3EEEEviT0_T1_,"axG",@progbits,_ZN2at6native29vectorized_elementwise_kernelILi4ENS0_13BinaryFunctorIN3c104HalfES4_bNS0_12_GLOBAL__N_116CompareEqFunctorIS4_EEEESt5arrayIPcLm3EEEEviT0_T1_,comdat
	.globl	_ZN2at6native29vectorized_elementwise_kernelILi4ENS0_13BinaryFunctorIN3c104HalfES4_bNS0_12_GLOBAL__N_116CompareEqFunctorIS4_EEEESt5arrayIPcLm3EEEEviT0_T1_ ; -- Begin function _ZN2at6native29vectorized_elementwise_kernelILi4ENS0_13BinaryFunctorIN3c104HalfES4_bNS0_12_GLOBAL__N_116CompareEqFunctorIS4_EEEESt5arrayIPcLm3EEEEviT0_T1_
	.p2align	8
	.type	_ZN2at6native29vectorized_elementwise_kernelILi4ENS0_13BinaryFunctorIN3c104HalfES4_bNS0_12_GLOBAL__N_116CompareEqFunctorIS4_EEEESt5arrayIPcLm3EEEEviT0_T1_,@function
_ZN2at6native29vectorized_elementwise_kernelILi4ENS0_13BinaryFunctorIN3c104HalfES4_bNS0_12_GLOBAL__N_116CompareEqFunctorIS4_EEEESt5arrayIPcLm3EEEEviT0_T1_: ; @_ZN2at6native29vectorized_elementwise_kernelILi4ENS0_13BinaryFunctorIN3c104HalfES4_bNS0_12_GLOBAL__N_116CompareEqFunctorIS4_EEEESt5arrayIPcLm3EEEEviT0_T1_
; %bb.0:
	s_load_dwordx2 s[12:13], s[4:5], 0x0
	s_load_dwordx4 s[8:11], s[4:5], 0x8
	s_load_dwordx2 s[14:15], s[4:5], 0x18
	s_lshl_b32 s2, s6, 12
	s_mov_b64 s[0:1], -1
	s_waitcnt lgkmcnt(0)
	s_sub_i32 s6, s12, s2
	s_cmpk_gt_i32 s6, 0xfff
	s_cbranch_scc0 .LBB178_2
; %bb.1:
	s_ashr_i32 s3, s2, 31
	s_lshl_b64 s[0:1], s[2:3], 1
	s_add_u32 s4, s10, s0
	s_addc_u32 s5, s11, s1
	v_lshlrev_b32_e32 v13, 3, v0
	s_add_u32 s0, s14, s0
	s_addc_u32 s1, s15, s1
	global_load_dwordx2 v[1:2], v13, s[4:5]
	global_load_dwordx2 v[3:4], v13, s[0:1]
	global_load_dwordx2 v[5:6], v13, s[4:5] offset:2048
	global_load_dwordx2 v[7:8], v13, s[0:1] offset:2048
	v_mov_b32_e32 v9, s5
	v_add_co_u32_e32 v10, vcc, s4, v13
	s_movk_i32 s7, 0x1000
	v_addc_co_u32_e32 v11, vcc, 0, v9, vcc
	v_add_co_u32_e32 v9, vcc, s7, v10
	v_addc_co_u32_e32 v10, vcc, 0, v11, vcc
	v_mov_b32_e32 v14, s1
	v_add_co_u32_e32 v13, vcc, s0, v13
	v_addc_co_u32_e32 v14, vcc, 0, v14, vcc
	v_add_co_u32_e32 v13, vcc, s7, v13
	v_addc_co_u32_e32 v14, vcc, 0, v14, vcc
	global_load_dwordx2 v[11:12], v[9:10], off
	global_load_dwordx2 v[15:16], v[13:14], off
	global_load_dwordx2 v[17:18], v[9:10], off offset:2048
	global_load_dwordx2 v[19:20], v[13:14], off offset:2048
	s_cmp_eq_u32 s13, 0
	v_mov_b32_e32 v21, 0x100
	v_mov_b32_e32 v22, 0x10000
	;; [unrolled: 1-line block ×3, first 2 shown]
	s_waitcnt vmcnt(6)
	v_cmp_eq_f16_e32 vcc, v1, v3
	v_cndmask_b32_e64 v9, 0, 1, vcc
	v_cmp_neq_f16_e32 vcc, v1, v3
	v_cndmask_b32_e64 v10, 0, 1, vcc
	v_cmp_eq_f16_sdwa s[0:1], v1, v3 src0_sel:WORD_1 src1_sel:WORD_1
	v_cmp_eq_f16_e32 vcc, v2, v4
	v_cndmask_b32_e64 v13, 0, 1, s[0:1]
	v_cmp_neq_f16_sdwa s[0:1], v1, v3 src0_sel:WORD_1 src1_sel:WORD_1
	v_cndmask_b32_e64 v3, 0, 1, vcc
	v_cmp_neq_f16_e32 vcc, v2, v4
	v_cndmask_b32_e64 v1, 0, 1, s[0:1]
	v_cndmask_b32_e64 v14, 0, 1, vcc
	v_cmp_eq_f16_sdwa s[0:1], v2, v4 src0_sel:WORD_1 src1_sel:WORD_1
	s_waitcnt vmcnt(4)
	v_cmp_eq_f16_e32 vcc, v5, v7
	v_cndmask_b32_e64 v24, 0, 1, s[0:1]
	v_cmp_neq_f16_sdwa s[0:1], v2, v4 src0_sel:WORD_1 src1_sel:WORD_1
	v_cndmask_b32_e64 v4, 0, 1, vcc
	v_cmp_neq_f16_e32 vcc, v5, v7
	v_cndmask_b32_e64 v2, 0, 1, s[0:1]
	v_cndmask_b32_e64 v25, 0, 1, vcc
	v_cmp_eq_f16_sdwa s[0:1], v5, v7 src0_sel:WORD_1 src1_sel:WORD_1
	v_cmp_eq_f16_e32 vcc, v6, v8
	v_cndmask_b32_e64 v26, 0, 1, s[0:1]
	v_cmp_neq_f16_sdwa s[0:1], v5, v7 src0_sel:WORD_1 src1_sel:WORD_1
	v_cndmask_b32_e64 v7, 0, 1, vcc
	v_cmp_neq_f16_e32 vcc, v6, v8
	v_cndmask_b32_e64 v27, 0, 1, vcc
	s_cselect_b64 vcc, -1, 0
	v_cndmask_b32_e32 v1, v1, v13, vcc
	v_cndmask_b32_e32 v3, v14, v3, vcc
	v_and_b32_e32 v1, 1, v1
	v_cndmask_b32_e64 v5, 0, 1, s[0:1]
	v_cndmask_b32_e32 v2, v2, v24, vcc
	v_and_b32_e32 v3, 1, v3
	v_cmp_eq_u32_e64 s[0:1], 1, v1
	v_cndmask_b32_e32 v5, v5, v26, vcc
	v_and_b32_e32 v2, 1, v2
	v_cndmask_b32_e64 v1, 0, v21, s[0:1]
	v_cmp_eq_u32_e64 s[0:1], 1, v3
	v_cndmask_b32_e32 v7, v27, v7, vcc
	v_and_b32_e32 v5, 1, v5
	v_cndmask_b32_e64 v3, 0, v22, s[0:1]
	v_cmp_eq_u32_e64 s[0:1], 1, v2
	v_and_b32_e32 v7, 1, v7
	v_cndmask_b32_e64 v2, 0, v23, s[0:1]
	v_cmp_eq_u32_e64 s[0:1], 1, v5
	v_cndmask_b32_e32 v9, v10, v9, vcc
	v_cndmask_b32_e64 v5, 0, v21, s[0:1]
	v_cmp_eq_u32_e64 s[0:1], 1, v7
	v_cndmask_b32_e64 v7, 0, v22, s[0:1]
	v_and_or_b32 v1, v9, 1, v1
	v_cmp_eq_f16_sdwa s[0:1], v6, v8 src0_sel:WORD_1 src1_sel:WORD_1
	v_or3_b32 v1, v1, v3, v2
	v_cndmask_b32_e64 v2, 0, 1, s[0:1]
	v_cmp_neq_f16_sdwa s[0:1], v6, v8 src0_sel:WORD_1 src1_sel:WORD_1
	v_cndmask_b32_e64 v3, 0, 1, s[0:1]
	v_cndmask_b32_e32 v2, v3, v2, vcc
	v_and_b32_e32 v2, 1, v2
	v_cmp_eq_u32_e64 s[0:1], 1, v2
	v_cndmask_b32_e32 v4, v25, v4, vcc
	v_cndmask_b32_e64 v2, 0, v23, s[0:1]
	s_waitcnt vmcnt(2)
	v_cmp_eq_f16_e64 s[0:1], v11, v15
	v_and_or_b32 v4, v4, 1, v5
	v_cndmask_b32_e64 v3, 0, 1, s[0:1]
	v_cmp_neq_f16_e64 s[0:1], v11, v15
	v_or3_b32 v2, v4, v7, v2
	v_cndmask_b32_e64 v4, 0, 1, s[0:1]
	v_cmp_eq_f16_sdwa s[0:1], v11, v15 src0_sel:WORD_1 src1_sel:WORD_1
	v_cndmask_b32_e32 v3, v4, v3, vcc
	v_cndmask_b32_e64 v4, 0, 1, s[0:1]
	v_cmp_neq_f16_sdwa s[0:1], v11, v15 src0_sel:WORD_1 src1_sel:WORD_1
	v_cndmask_b32_e64 v5, 0, 1, s[0:1]
	v_cndmask_b32_e32 v4, v5, v4, vcc
	v_and_b32_e32 v4, 1, v4
	v_cmp_eq_u32_e64 s[0:1], 1, v4
	v_cndmask_b32_e64 v4, 0, v21, s[0:1]
	v_cmp_eq_f16_e64 s[0:1], v12, v16
	v_and_or_b32 v3, v3, 1, v4
	v_cndmask_b32_e64 v4, 0, 1, s[0:1]
	v_cmp_neq_f16_e64 s[0:1], v12, v16
	v_cndmask_b32_e64 v5, 0, 1, s[0:1]
	v_cndmask_b32_e32 v4, v5, v4, vcc
	v_and_b32_e32 v4, 1, v4
	v_cmp_eq_u32_e64 s[0:1], 1, v4
	v_cndmask_b32_e64 v4, 0, v22, s[0:1]
	v_cmp_eq_f16_sdwa s[0:1], v12, v16 src0_sel:WORD_1 src1_sel:WORD_1
	v_cndmask_b32_e64 v5, 0, 1, s[0:1]
	v_cmp_neq_f16_sdwa s[0:1], v12, v16 src0_sel:WORD_1 src1_sel:WORD_1
	v_cndmask_b32_e64 v6, 0, 1, s[0:1]
	v_cndmask_b32_e32 v5, v6, v5, vcc
	v_and_b32_e32 v5, 1, v5
	v_cmp_eq_u32_e64 s[0:1], 1, v5
	v_cndmask_b32_e64 v5, 0, v23, s[0:1]
	s_waitcnt vmcnt(0)
	v_cmp_eq_f16_e64 s[0:1], v17, v19
	v_or3_b32 v3, v3, v4, v5
	v_cndmask_b32_e64 v4, 0, 1, s[0:1]
	v_cmp_neq_f16_e64 s[0:1], v17, v19
	v_cndmask_b32_e64 v5, 0, 1, s[0:1]
	v_cmp_eq_f16_sdwa s[0:1], v17, v19 src0_sel:WORD_1 src1_sel:WORD_1
	v_cndmask_b32_e32 v4, v5, v4, vcc
	v_cndmask_b32_e64 v5, 0, 1, s[0:1]
	v_cmp_neq_f16_sdwa s[0:1], v17, v19 src0_sel:WORD_1 src1_sel:WORD_1
	v_cndmask_b32_e64 v6, 0, 1, s[0:1]
	v_cndmask_b32_e32 v5, v6, v5, vcc
	v_and_b32_e32 v5, 1, v5
	v_cmp_eq_u32_e64 s[0:1], 1, v5
	v_cndmask_b32_e64 v5, 0, v21, s[0:1]
	v_cmp_eq_f16_e64 s[0:1], v18, v20
	v_and_or_b32 v4, v4, 1, v5
	v_cndmask_b32_e64 v5, 0, 1, s[0:1]
	v_cmp_neq_f16_e64 s[0:1], v18, v20
	v_cndmask_b32_e64 v6, 0, 1, s[0:1]
	v_cndmask_b32_e32 v5, v6, v5, vcc
	v_and_b32_e32 v5, 1, v5
	v_cmp_eq_u32_e64 s[0:1], 1, v5
	v_cndmask_b32_e64 v5, 0, v22, s[0:1]
	v_cmp_eq_f16_sdwa s[0:1], v18, v20 src0_sel:WORD_1 src1_sel:WORD_1
	v_cndmask_b32_e64 v6, 0, 1, s[0:1]
	v_cmp_neq_f16_sdwa s[0:1], v18, v20 src0_sel:WORD_1 src1_sel:WORD_1
	v_cndmask_b32_e64 v7, 0, 1, s[0:1]
	v_cndmask_b32_e32 v6, v7, v6, vcc
	v_and_b32_e32 v6, 1, v6
	v_cmp_eq_u32_e32 vcc, 1, v6
	v_cndmask_b32_e32 v6, 0, v23, vcc
	s_add_u32 s0, s8, s2
	v_or3_b32 v4, v4, v5, v6
	s_addc_u32 s1, s9, s3
	v_lshlrev_b32_e32 v5, 2, v0
	global_store_dword v5, v1, s[0:1]
	global_store_dword v5, v2, s[0:1] offset:1024
	global_store_dword v5, v3, s[0:1] offset:2048
	;; [unrolled: 1-line block ×3, first 2 shown]
	s_mov_b64 s[0:1], 0
.LBB178_2:
	s_andn2_b64 vcc, exec, s[0:1]
	s_cbranch_vccnz .LBB178_52
; %bb.3:
	v_cmp_gt_i32_e32 vcc, s6, v0
	v_mov_b32_e32 v3, 0
	v_or_b32_e32 v1, s2, v0
	v_mov_b32_e32 v2, 0
	v_mov_b32_e32 v4, 0
	;; [unrolled: 1-line block ×3, first 2 shown]
	s_and_saveexec_b64 s[4:5], vcc
	s_cbranch_execz .LBB178_5
; %bb.4:
	v_mov_b32_e32 v2, 0
	v_lshlrev_b64 v[4:5], 1, v[1:2]
	v_mov_b32_e32 v2, s15
	v_add_co_u32_e64 v6, s[0:1], s14, v4
	v_addc_co_u32_e64 v7, s[0:1], v2, v5, s[0:1]
	v_mov_b32_e32 v2, s11
	v_add_co_u32_e64 v8, s[0:1], s10, v4
	v_addc_co_u32_e64 v9, s[0:1], v2, v5, s[0:1]
	global_load_ushort v2, v[8:9], off
	global_load_ushort v4, v[6:7], off
	v_or_b32_e32 v13, 0x100, v0
.LBB178_5:
	s_or_b64 exec, exec, s[4:5]
	v_cmp_gt_i32_e64 s[0:1], s6, v13
	v_mov_b32_e32 v6, 0
	s_and_saveexec_b64 s[4:5], s[0:1]
	s_cbranch_execz .LBB178_7
; %bb.6:
	v_add_u32_e32 v5, s2, v13
	v_mov_b32_e32 v6, 0
	v_lshlrev_b64 v[5:6], 1, v[5:6]
	v_mov_b32_e32 v3, s15
	v_add_co_u32_e64 v7, s[0:1], s14, v5
	v_addc_co_u32_e64 v8, s[0:1], v3, v6, s[0:1]
	v_mov_b32_e32 v3, s11
	v_add_co_u32_e64 v9, s[0:1], s10, v5
	v_addc_co_u32_e64 v10, s[0:1], v3, v6, s[0:1]
	global_load_ushort v3, v[9:10], off
	global_load_ushort v6, v[7:8], off
	v_add_u32_e32 v13, 0x100, v13
.LBB178_7:
	s_or_b64 exec, exec, s[4:5]
	v_cmp_gt_i32_e64 s[0:1], s6, v13
	v_mov_b32_e32 v5, 0
	v_mov_b32_e32 v7, 0
	v_mov_b32_e32 v8, 0
	s_and_saveexec_b64 s[4:5], s[0:1]
	s_cbranch_execz .LBB178_9
; %bb.8:
	v_add_u32_e32 v7, s2, v13
	v_mov_b32_e32 v8, 0
	v_lshlrev_b64 v[7:8], 1, v[7:8]
	v_mov_b32_e32 v10, s15
	v_add_co_u32_e64 v9, s[0:1], s14, v7
	v_addc_co_u32_e64 v10, s[0:1], v10, v8, s[0:1]
	v_mov_b32_e32 v12, s11
	v_add_co_u32_e64 v11, s[0:1], s10, v7
	v_addc_co_u32_e64 v12, s[0:1], v12, v8, s[0:1]
	global_load_ushort v7, v[11:12], off
	global_load_ushort v8, v[9:10], off
	v_add_u32_e32 v13, 0x100, v13
.LBB178_9:
	s_or_b64 exec, exec, s[4:5]
	v_cmp_gt_i32_e64 s[0:1], s6, v13
	v_mov_b32_e32 v10, 0
	s_and_saveexec_b64 s[4:5], s[0:1]
	s_cbranch_execz .LBB178_11
; %bb.10:
	v_add_u32_e32 v9, s2, v13
	v_mov_b32_e32 v10, 0
	v_lshlrev_b64 v[9:10], 1, v[9:10]
	v_mov_b32_e32 v5, s15
	v_add_co_u32_e64 v11, s[0:1], s14, v9
	v_addc_co_u32_e64 v12, s[0:1], v5, v10, s[0:1]
	v_mov_b32_e32 v5, s11
	v_add_co_u32_e64 v14, s[0:1], s10, v9
	v_addc_co_u32_e64 v15, s[0:1], v5, v10, s[0:1]
	global_load_ushort v5, v[14:15], off
	global_load_ushort v10, v[11:12], off
	v_add_u32_e32 v13, 0x100, v13
.LBB178_11:
	s_or_b64 exec, exec, s[4:5]
	v_cmp_gt_i32_e64 s[0:1], s6, v13
	v_mov_b32_e32 v9, 0
	v_mov_b32_e32 v11, 0
	v_mov_b32_e32 v12, 0
	s_and_saveexec_b64 s[4:5], s[0:1]
	s_cbranch_execz .LBB178_13
; %bb.12:
	v_add_u32_e32 v11, s2, v13
	v_mov_b32_e32 v12, 0
	v_lshlrev_b64 v[11:12], 1, v[11:12]
	v_mov_b32_e32 v15, s15
	v_add_co_u32_e64 v14, s[0:1], s14, v11
	v_addc_co_u32_e64 v15, s[0:1], v15, v12, s[0:1]
	v_mov_b32_e32 v17, s11
	v_add_co_u32_e64 v16, s[0:1], s10, v11
	v_addc_co_u32_e64 v17, s[0:1], v17, v12, s[0:1]
	global_load_ushort v11, v[16:17], off
	global_load_ushort v12, v[14:15], off
	v_add_u32_e32 v13, 0x100, v13
.LBB178_13:
	;; [unrolled: 40-line block ×7, first 2 shown]
	s_or_b64 exec, exec, s[4:5]
	v_cmp_gt_i32_e64 s[0:1], s6, v13
	v_mov_b32_e32 v34, 0
	s_and_saveexec_b64 s[4:5], s[0:1]
	s_cbranch_execz .LBB178_35
; %bb.34:
	v_add_u32_e32 v34, s2, v13
	v_mov_b32_e32 v35, 0
	v_lshlrev_b64 v[34:35], 1, v[34:35]
	v_mov_b32_e32 v13, s15
	v_add_co_u32_e64 v36, s[0:1], s14, v34
	v_addc_co_u32_e64 v37, s[0:1], v13, v35, s[0:1]
	v_mov_b32_e32 v13, s11
	v_add_co_u32_e64 v38, s[0:1], s10, v34
	v_addc_co_u32_e64 v39, s[0:1], v13, v35, s[0:1]
	global_load_ushort v30, v[38:39], off
	global_load_ushort v34, v[36:37], off
.LBB178_35:
	s_or_b64 exec, exec, s[4:5]
	s_cmp_eq_u32 s13, 0
	s_cselect_b64 s[0:1], -1, 0
	s_and_saveexec_b64 s[4:5], vcc
	s_cbranch_execnz .LBB178_53
; %bb.36:
	s_or_b64 exec, exec, s[4:5]
	v_cmp_gt_i32_e32 vcc, s6, v0
	s_and_saveexec_b64 s[4:5], vcc
	s_cbranch_execnz .LBB178_54
.LBB178_37:
	s_or_b64 exec, exec, s[4:5]
	v_cmp_gt_i32_e32 vcc, s6, v0
	s_and_saveexec_b64 s[4:5], vcc
	s_cbranch_execnz .LBB178_55
.LBB178_38:
	s_or_b64 exec, exec, s[4:5]
	v_cmp_gt_i32_e32 vcc, s6, v0
	s_and_saveexec_b64 s[4:5], vcc
	s_cbranch_execnz .LBB178_56
.LBB178_39:
	s_or_b64 exec, exec, s[4:5]
	v_cmp_gt_i32_e32 vcc, s6, v0
	s_and_saveexec_b64 s[4:5], vcc
	s_cbranch_execnz .LBB178_57
.LBB178_40:
	s_or_b64 exec, exec, s[4:5]
	v_cmp_gt_i32_e32 vcc, s6, v0
	s_and_saveexec_b64 s[4:5], vcc
	s_cbranch_execnz .LBB178_58
.LBB178_41:
	s_or_b64 exec, exec, s[4:5]
	v_cmp_gt_i32_e32 vcc, s6, v0
	s_and_saveexec_b64 s[4:5], vcc
	s_cbranch_execnz .LBB178_59
.LBB178_42:
	s_or_b64 exec, exec, s[4:5]
	v_cmp_gt_i32_e32 vcc, s6, v0
	s_and_saveexec_b64 s[4:5], vcc
	s_cbranch_execnz .LBB178_60
.LBB178_43:
	s_or_b64 exec, exec, s[4:5]
	v_cmp_gt_i32_e32 vcc, s6, v0
	s_and_saveexec_b64 s[4:5], vcc
	s_cbranch_execnz .LBB178_61
.LBB178_44:
	s_or_b64 exec, exec, s[4:5]
	v_cmp_gt_i32_e32 vcc, s6, v0
	s_and_saveexec_b64 s[4:5], vcc
	s_cbranch_execnz .LBB178_62
.LBB178_45:
	s_or_b64 exec, exec, s[4:5]
	v_cmp_gt_i32_e32 vcc, s6, v0
	s_and_saveexec_b64 s[4:5], vcc
	s_cbranch_execnz .LBB178_63
.LBB178_46:
	s_or_b64 exec, exec, s[4:5]
	v_cmp_gt_i32_e32 vcc, s6, v0
	s_and_saveexec_b64 s[4:5], vcc
	s_cbranch_execnz .LBB178_64
.LBB178_47:
	s_or_b64 exec, exec, s[4:5]
	v_cmp_gt_i32_e32 vcc, s6, v0
	s_and_saveexec_b64 s[4:5], vcc
	s_cbranch_execnz .LBB178_65
.LBB178_48:
	s_or_b64 exec, exec, s[4:5]
	v_cmp_gt_i32_e32 vcc, s6, v0
	s_and_saveexec_b64 s[4:5], vcc
	s_cbranch_execnz .LBB178_66
.LBB178_49:
	s_or_b64 exec, exec, s[4:5]
	v_cmp_gt_i32_e32 vcc, s6, v0
	s_and_saveexec_b64 s[4:5], vcc
	s_cbranch_execnz .LBB178_67
.LBB178_50:
	s_or_b64 exec, exec, s[4:5]
	v_cmp_gt_i32_e32 vcc, s6, v0
	s_and_saveexec_b64 s[4:5], vcc
	s_cbranch_execz .LBB178_52
.LBB178_51:
	s_waitcnt vmcnt(0)
	v_cmp_eq_f16_e32 vcc, v30, v34
	v_cndmask_b32_e64 v1, 0, 1, vcc
	v_cmp_neq_f16_e32 vcc, v30, v34
	v_cndmask_b32_e64 v2, 0, 1, vcc
	v_cndmask_b32_e64 v1, v2, v1, s[0:1]
	v_and_b32_e32 v1, 1, v1
	v_add_u32_e32 v0, s2, v0
	global_store_byte v0, v1, s[8:9]
.LBB178_52:
	s_endpgm
.LBB178_53:
	s_waitcnt vmcnt(0)
	v_cmp_eq_f16_e32 vcc, v2, v4
	v_cndmask_b32_e64 v13, 0, 1, vcc
	v_cmp_neq_f16_e32 vcc, v2, v4
	v_cndmask_b32_e64 v2, 0, 1, vcc
	v_cndmask_b32_e64 v2, v2, v13, s[0:1]
	v_or_b32_e32 v0, 0x100, v0
	v_and_b32_e32 v2, 1, v2
	global_store_byte v1, v2, s[8:9]
	s_or_b64 exec, exec, s[4:5]
	v_cmp_gt_i32_e32 vcc, s6, v0
	s_and_saveexec_b64 s[4:5], vcc
	s_cbranch_execz .LBB178_37
.LBB178_54:
	s_waitcnt vmcnt(0)
	v_cmp_eq_f16_e32 vcc, v3, v6
	v_cndmask_b32_e64 v1, 0, 1, vcc
	v_cmp_neq_f16_e32 vcc, v3, v6
	v_cndmask_b32_e64 v2, 0, 1, vcc
	v_cndmask_b32_e64 v1, v2, v1, s[0:1]
	v_and_b32_e32 v1, 1, v1
	v_add_u32_e32 v2, s2, v0
	v_add_u32_e32 v0, 0x100, v0
	global_store_byte v2, v1, s[8:9]
	s_or_b64 exec, exec, s[4:5]
	v_cmp_gt_i32_e32 vcc, s6, v0
	s_and_saveexec_b64 s[4:5], vcc
	s_cbranch_execz .LBB178_38
.LBB178_55:
	s_waitcnt vmcnt(0)
	v_cmp_eq_f16_e32 vcc, v7, v8
	v_cndmask_b32_e64 v1, 0, 1, vcc
	v_cmp_neq_f16_e32 vcc, v7, v8
	v_cndmask_b32_e64 v2, 0, 1, vcc
	v_cndmask_b32_e64 v1, v2, v1, s[0:1]
	v_and_b32_e32 v1, 1, v1
	v_add_u32_e32 v2, s2, v0
	v_add_u32_e32 v0, 0x100, v0
	global_store_byte v2, v1, s[8:9]
	s_or_b64 exec, exec, s[4:5]
	v_cmp_gt_i32_e32 vcc, s6, v0
	s_and_saveexec_b64 s[4:5], vcc
	s_cbranch_execz .LBB178_39
.LBB178_56:
	s_waitcnt vmcnt(0)
	v_cmp_eq_f16_e32 vcc, v5, v10
	v_cndmask_b32_e64 v1, 0, 1, vcc
	v_cmp_neq_f16_e32 vcc, v5, v10
	v_cndmask_b32_e64 v2, 0, 1, vcc
	v_cndmask_b32_e64 v1, v2, v1, s[0:1]
	v_and_b32_e32 v1, 1, v1
	v_add_u32_e32 v2, s2, v0
	v_add_u32_e32 v0, 0x100, v0
	global_store_byte v2, v1, s[8:9]
	s_or_b64 exec, exec, s[4:5]
	v_cmp_gt_i32_e32 vcc, s6, v0
	s_and_saveexec_b64 s[4:5], vcc
	s_cbranch_execz .LBB178_40
.LBB178_57:
	s_waitcnt vmcnt(0)
	v_cmp_eq_f16_e32 vcc, v11, v12
	v_cndmask_b32_e64 v1, 0, 1, vcc
	v_cmp_neq_f16_e32 vcc, v11, v12
	v_cndmask_b32_e64 v2, 0, 1, vcc
	v_cndmask_b32_e64 v1, v2, v1, s[0:1]
	v_and_b32_e32 v1, 1, v1
	v_add_u32_e32 v2, s2, v0
	v_add_u32_e32 v0, 0x100, v0
	global_store_byte v2, v1, s[8:9]
	s_or_b64 exec, exec, s[4:5]
	v_cmp_gt_i32_e32 vcc, s6, v0
	s_and_saveexec_b64 s[4:5], vcc
	s_cbranch_execz .LBB178_41
.LBB178_58:
	s_waitcnt vmcnt(0)
	v_cmp_eq_f16_e32 vcc, v9, v15
	v_cndmask_b32_e64 v1, 0, 1, vcc
	v_cmp_neq_f16_e32 vcc, v9, v15
	v_cndmask_b32_e64 v2, 0, 1, vcc
	v_cndmask_b32_e64 v1, v2, v1, s[0:1]
	v_and_b32_e32 v1, 1, v1
	v_add_u32_e32 v2, s2, v0
	v_add_u32_e32 v0, 0x100, v0
	global_store_byte v2, v1, s[8:9]
	s_or_b64 exec, exec, s[4:5]
	v_cmp_gt_i32_e32 vcc, s6, v0
	s_and_saveexec_b64 s[4:5], vcc
	s_cbranch_execz .LBB178_42
.LBB178_59:
	s_waitcnt vmcnt(0)
	v_cmp_eq_f16_e32 vcc, v16, v17
	v_cndmask_b32_e64 v1, 0, 1, vcc
	v_cmp_neq_f16_e32 vcc, v16, v17
	v_cndmask_b32_e64 v2, 0, 1, vcc
	v_cndmask_b32_e64 v1, v2, v1, s[0:1]
	v_and_b32_e32 v1, 1, v1
	v_add_u32_e32 v2, s2, v0
	v_add_u32_e32 v0, 0x100, v0
	global_store_byte v2, v1, s[8:9]
	s_or_b64 exec, exec, s[4:5]
	v_cmp_gt_i32_e32 vcc, s6, v0
	s_and_saveexec_b64 s[4:5], vcc
	s_cbranch_execz .LBB178_43
.LBB178_60:
	s_waitcnt vmcnt(0)
	v_cmp_eq_f16_e32 vcc, v14, v19
	v_cndmask_b32_e64 v1, 0, 1, vcc
	v_cmp_neq_f16_e32 vcc, v14, v19
	v_cndmask_b32_e64 v2, 0, 1, vcc
	v_cndmask_b32_e64 v1, v2, v1, s[0:1]
	v_and_b32_e32 v1, 1, v1
	v_add_u32_e32 v2, s2, v0
	v_add_u32_e32 v0, 0x100, v0
	global_store_byte v2, v1, s[8:9]
	s_or_b64 exec, exec, s[4:5]
	v_cmp_gt_i32_e32 vcc, s6, v0
	s_and_saveexec_b64 s[4:5], vcc
	s_cbranch_execz .LBB178_44
.LBB178_61:
	s_waitcnt vmcnt(0)
	v_cmp_eq_f16_e32 vcc, v20, v21
	v_cndmask_b32_e64 v1, 0, 1, vcc
	v_cmp_neq_f16_e32 vcc, v20, v21
	v_cndmask_b32_e64 v2, 0, 1, vcc
	v_cndmask_b32_e64 v1, v2, v1, s[0:1]
	v_and_b32_e32 v1, 1, v1
	v_add_u32_e32 v2, s2, v0
	v_add_u32_e32 v0, 0x100, v0
	global_store_byte v2, v1, s[8:9]
	s_or_b64 exec, exec, s[4:5]
	v_cmp_gt_i32_e32 vcc, s6, v0
	s_and_saveexec_b64 s[4:5], vcc
	s_cbranch_execz .LBB178_45
.LBB178_62:
	s_waitcnt vmcnt(0)
	v_cmp_eq_f16_e32 vcc, v18, v23
	v_cndmask_b32_e64 v1, 0, 1, vcc
	v_cmp_neq_f16_e32 vcc, v18, v23
	v_cndmask_b32_e64 v2, 0, 1, vcc
	v_cndmask_b32_e64 v1, v2, v1, s[0:1]
	v_and_b32_e32 v1, 1, v1
	v_add_u32_e32 v2, s2, v0
	v_add_u32_e32 v0, 0x100, v0
	global_store_byte v2, v1, s[8:9]
	s_or_b64 exec, exec, s[4:5]
	v_cmp_gt_i32_e32 vcc, s6, v0
	s_and_saveexec_b64 s[4:5], vcc
	s_cbranch_execz .LBB178_46
.LBB178_63:
	s_waitcnt vmcnt(0)
	v_cmp_eq_f16_e32 vcc, v24, v25
	v_cndmask_b32_e64 v1, 0, 1, vcc
	v_cmp_neq_f16_e32 vcc, v24, v25
	v_cndmask_b32_e64 v2, 0, 1, vcc
	v_cndmask_b32_e64 v1, v2, v1, s[0:1]
	v_and_b32_e32 v1, 1, v1
	v_add_u32_e32 v2, s2, v0
	v_add_u32_e32 v0, 0x100, v0
	global_store_byte v2, v1, s[8:9]
	s_or_b64 exec, exec, s[4:5]
	v_cmp_gt_i32_e32 vcc, s6, v0
	s_and_saveexec_b64 s[4:5], vcc
	s_cbranch_execz .LBB178_47
.LBB178_64:
	s_waitcnt vmcnt(0)
	v_cmp_eq_f16_e32 vcc, v22, v27
	v_cndmask_b32_e64 v1, 0, 1, vcc
	v_cmp_neq_f16_e32 vcc, v22, v27
	v_cndmask_b32_e64 v2, 0, 1, vcc
	v_cndmask_b32_e64 v1, v2, v1, s[0:1]
	v_and_b32_e32 v1, 1, v1
	v_add_u32_e32 v2, s2, v0
	v_add_u32_e32 v0, 0x100, v0
	global_store_byte v2, v1, s[8:9]
	s_or_b64 exec, exec, s[4:5]
	v_cmp_gt_i32_e32 vcc, s6, v0
	s_and_saveexec_b64 s[4:5], vcc
	s_cbranch_execz .LBB178_48
.LBB178_65:
	s_waitcnt vmcnt(0)
	v_cmp_eq_f16_e32 vcc, v28, v29
	v_cndmask_b32_e64 v1, 0, 1, vcc
	v_cmp_neq_f16_e32 vcc, v28, v29
	v_cndmask_b32_e64 v2, 0, 1, vcc
	v_cndmask_b32_e64 v1, v2, v1, s[0:1]
	v_and_b32_e32 v1, 1, v1
	v_add_u32_e32 v2, s2, v0
	v_add_u32_e32 v0, 0x100, v0
	global_store_byte v2, v1, s[8:9]
	s_or_b64 exec, exec, s[4:5]
	v_cmp_gt_i32_e32 vcc, s6, v0
	s_and_saveexec_b64 s[4:5], vcc
	s_cbranch_execz .LBB178_49
.LBB178_66:
	s_waitcnt vmcnt(0)
	v_cmp_eq_f16_e32 vcc, v26, v31
	v_cndmask_b32_e64 v1, 0, 1, vcc
	v_cmp_neq_f16_e32 vcc, v26, v31
	v_cndmask_b32_e64 v2, 0, 1, vcc
	v_cndmask_b32_e64 v1, v2, v1, s[0:1]
	v_and_b32_e32 v1, 1, v1
	v_add_u32_e32 v2, s2, v0
	v_add_u32_e32 v0, 0x100, v0
	global_store_byte v2, v1, s[8:9]
	s_or_b64 exec, exec, s[4:5]
	v_cmp_gt_i32_e32 vcc, s6, v0
	s_and_saveexec_b64 s[4:5], vcc
	s_cbranch_execz .LBB178_50
.LBB178_67:
	s_waitcnt vmcnt(0)
	v_cmp_eq_f16_e32 vcc, v32, v33
	v_cndmask_b32_e64 v1, 0, 1, vcc
	v_cmp_neq_f16_e32 vcc, v32, v33
	v_cndmask_b32_e64 v2, 0, 1, vcc
	v_cndmask_b32_e64 v1, v2, v1, s[0:1]
	v_and_b32_e32 v1, 1, v1
	v_add_u32_e32 v2, s2, v0
	v_add_u32_e32 v0, 0x100, v0
	global_store_byte v2, v1, s[8:9]
	s_or_b64 exec, exec, s[4:5]
	v_cmp_gt_i32_e32 vcc, s6, v0
	s_and_saveexec_b64 s[4:5], vcc
	s_cbranch_execnz .LBB178_51
	s_branch .LBB178_52
	.section	.rodata,"a",@progbits
	.p2align	6, 0x0
	.amdhsa_kernel _ZN2at6native29vectorized_elementwise_kernelILi4ENS0_13BinaryFunctorIN3c104HalfES4_bNS0_12_GLOBAL__N_116CompareEqFunctorIS4_EEEESt5arrayIPcLm3EEEEviT0_T1_
		.amdhsa_group_segment_fixed_size 0
		.amdhsa_private_segment_fixed_size 0
		.amdhsa_kernarg_size 32
		.amdhsa_user_sgpr_count 6
		.amdhsa_user_sgpr_private_segment_buffer 1
		.amdhsa_user_sgpr_dispatch_ptr 0
		.amdhsa_user_sgpr_queue_ptr 0
		.amdhsa_user_sgpr_kernarg_segment_ptr 1
		.amdhsa_user_sgpr_dispatch_id 0
		.amdhsa_user_sgpr_flat_scratch_init 0
		.amdhsa_user_sgpr_private_segment_size 0
		.amdhsa_uses_dynamic_stack 0
		.amdhsa_system_sgpr_private_segment_wavefront_offset 0
		.amdhsa_system_sgpr_workgroup_id_x 1
		.amdhsa_system_sgpr_workgroup_id_y 0
		.amdhsa_system_sgpr_workgroup_id_z 0
		.amdhsa_system_sgpr_workgroup_info 0
		.amdhsa_system_vgpr_workitem_id 0
		.amdhsa_next_free_vgpr 40
		.amdhsa_next_free_sgpr 16
		.amdhsa_reserve_vcc 1
		.amdhsa_reserve_flat_scratch 0
		.amdhsa_float_round_mode_32 0
		.amdhsa_float_round_mode_16_64 0
		.amdhsa_float_denorm_mode_32 3
		.amdhsa_float_denorm_mode_16_64 3
		.amdhsa_dx10_clamp 1
		.amdhsa_ieee_mode 1
		.amdhsa_fp16_overflow 0
		.amdhsa_exception_fp_ieee_invalid_op 0
		.amdhsa_exception_fp_denorm_src 0
		.amdhsa_exception_fp_ieee_div_zero 0
		.amdhsa_exception_fp_ieee_overflow 0
		.amdhsa_exception_fp_ieee_underflow 0
		.amdhsa_exception_fp_ieee_inexact 0
		.amdhsa_exception_int_div_zero 0
	.end_amdhsa_kernel
	.section	.text._ZN2at6native29vectorized_elementwise_kernelILi4ENS0_13BinaryFunctorIN3c104HalfES4_bNS0_12_GLOBAL__N_116CompareEqFunctorIS4_EEEESt5arrayIPcLm3EEEEviT0_T1_,"axG",@progbits,_ZN2at6native29vectorized_elementwise_kernelILi4ENS0_13BinaryFunctorIN3c104HalfES4_bNS0_12_GLOBAL__N_116CompareEqFunctorIS4_EEEESt5arrayIPcLm3EEEEviT0_T1_,comdat
.Lfunc_end178:
	.size	_ZN2at6native29vectorized_elementwise_kernelILi4ENS0_13BinaryFunctorIN3c104HalfES4_bNS0_12_GLOBAL__N_116CompareEqFunctorIS4_EEEESt5arrayIPcLm3EEEEviT0_T1_, .Lfunc_end178-_ZN2at6native29vectorized_elementwise_kernelILi4ENS0_13BinaryFunctorIN3c104HalfES4_bNS0_12_GLOBAL__N_116CompareEqFunctorIS4_EEEESt5arrayIPcLm3EEEEviT0_T1_
                                        ; -- End function
	.set _ZN2at6native29vectorized_elementwise_kernelILi4ENS0_13BinaryFunctorIN3c104HalfES4_bNS0_12_GLOBAL__N_116CompareEqFunctorIS4_EEEESt5arrayIPcLm3EEEEviT0_T1_.num_vgpr, 40
	.set _ZN2at6native29vectorized_elementwise_kernelILi4ENS0_13BinaryFunctorIN3c104HalfES4_bNS0_12_GLOBAL__N_116CompareEqFunctorIS4_EEEESt5arrayIPcLm3EEEEviT0_T1_.num_agpr, 0
	.set _ZN2at6native29vectorized_elementwise_kernelILi4ENS0_13BinaryFunctorIN3c104HalfES4_bNS0_12_GLOBAL__N_116CompareEqFunctorIS4_EEEESt5arrayIPcLm3EEEEviT0_T1_.numbered_sgpr, 16
	.set _ZN2at6native29vectorized_elementwise_kernelILi4ENS0_13BinaryFunctorIN3c104HalfES4_bNS0_12_GLOBAL__N_116CompareEqFunctorIS4_EEEESt5arrayIPcLm3EEEEviT0_T1_.num_named_barrier, 0
	.set _ZN2at6native29vectorized_elementwise_kernelILi4ENS0_13BinaryFunctorIN3c104HalfES4_bNS0_12_GLOBAL__N_116CompareEqFunctorIS4_EEEESt5arrayIPcLm3EEEEviT0_T1_.private_seg_size, 0
	.set _ZN2at6native29vectorized_elementwise_kernelILi4ENS0_13BinaryFunctorIN3c104HalfES4_bNS0_12_GLOBAL__N_116CompareEqFunctorIS4_EEEESt5arrayIPcLm3EEEEviT0_T1_.uses_vcc, 1
	.set _ZN2at6native29vectorized_elementwise_kernelILi4ENS0_13BinaryFunctorIN3c104HalfES4_bNS0_12_GLOBAL__N_116CompareEqFunctorIS4_EEEESt5arrayIPcLm3EEEEviT0_T1_.uses_flat_scratch, 0
	.set _ZN2at6native29vectorized_elementwise_kernelILi4ENS0_13BinaryFunctorIN3c104HalfES4_bNS0_12_GLOBAL__N_116CompareEqFunctorIS4_EEEESt5arrayIPcLm3EEEEviT0_T1_.has_dyn_sized_stack, 0
	.set _ZN2at6native29vectorized_elementwise_kernelILi4ENS0_13BinaryFunctorIN3c104HalfES4_bNS0_12_GLOBAL__N_116CompareEqFunctorIS4_EEEESt5arrayIPcLm3EEEEviT0_T1_.has_recursion, 0
	.set _ZN2at6native29vectorized_elementwise_kernelILi4ENS0_13BinaryFunctorIN3c104HalfES4_bNS0_12_GLOBAL__N_116CompareEqFunctorIS4_EEEESt5arrayIPcLm3EEEEviT0_T1_.has_indirect_call, 0
	.section	.AMDGPU.csdata,"",@progbits
; Kernel info:
; codeLenInByte = 4300
; TotalNumSgprs: 20
; NumVgprs: 40
; ScratchSize: 0
; MemoryBound: 0
; FloatMode: 240
; IeeeMode: 1
; LDSByteSize: 0 bytes/workgroup (compile time only)
; SGPRBlocks: 2
; VGPRBlocks: 9
; NumSGPRsForWavesPerEU: 20
; NumVGPRsForWavesPerEU: 40
; Occupancy: 6
; WaveLimiterHint : 1
; COMPUTE_PGM_RSRC2:SCRATCH_EN: 0
; COMPUTE_PGM_RSRC2:USER_SGPR: 6
; COMPUTE_PGM_RSRC2:TRAP_HANDLER: 0
; COMPUTE_PGM_RSRC2:TGID_X_EN: 1
; COMPUTE_PGM_RSRC2:TGID_Y_EN: 0
; COMPUTE_PGM_RSRC2:TGID_Z_EN: 0
; COMPUTE_PGM_RSRC2:TIDIG_COMP_CNT: 0
	.section	.text._ZN2at6native29vectorized_elementwise_kernelILi2ENS0_13BinaryFunctorIN3c104HalfES4_bNS0_12_GLOBAL__N_116CompareEqFunctorIS4_EEEESt5arrayIPcLm3EEEEviT0_T1_,"axG",@progbits,_ZN2at6native29vectorized_elementwise_kernelILi2ENS0_13BinaryFunctorIN3c104HalfES4_bNS0_12_GLOBAL__N_116CompareEqFunctorIS4_EEEESt5arrayIPcLm3EEEEviT0_T1_,comdat
	.globl	_ZN2at6native29vectorized_elementwise_kernelILi2ENS0_13BinaryFunctorIN3c104HalfES4_bNS0_12_GLOBAL__N_116CompareEqFunctorIS4_EEEESt5arrayIPcLm3EEEEviT0_T1_ ; -- Begin function _ZN2at6native29vectorized_elementwise_kernelILi2ENS0_13BinaryFunctorIN3c104HalfES4_bNS0_12_GLOBAL__N_116CompareEqFunctorIS4_EEEESt5arrayIPcLm3EEEEviT0_T1_
	.p2align	8
	.type	_ZN2at6native29vectorized_elementwise_kernelILi2ENS0_13BinaryFunctorIN3c104HalfES4_bNS0_12_GLOBAL__N_116CompareEqFunctorIS4_EEEESt5arrayIPcLm3EEEEviT0_T1_,@function
_ZN2at6native29vectorized_elementwise_kernelILi2ENS0_13BinaryFunctorIN3c104HalfES4_bNS0_12_GLOBAL__N_116CompareEqFunctorIS4_EEEESt5arrayIPcLm3EEEEviT0_T1_: ; @_ZN2at6native29vectorized_elementwise_kernelILi2ENS0_13BinaryFunctorIN3c104HalfES4_bNS0_12_GLOBAL__N_116CompareEqFunctorIS4_EEEESt5arrayIPcLm3EEEEviT0_T1_
; %bb.0:
	s_load_dwordx2 s[12:13], s[4:5], 0x0
	s_load_dwordx4 s[8:11], s[4:5], 0x8
	s_load_dwordx2 s[14:15], s[4:5], 0x18
	s_lshl_b32 s2, s6, 12
	s_mov_b64 s[0:1], -1
	s_waitcnt lgkmcnt(0)
	s_sub_i32 s6, s12, s2
	s_cmpk_gt_i32 s6, 0xfff
	s_cbranch_scc0 .LBB179_2
; %bb.1:
	s_ashr_i32 s3, s2, 31
	s_lshl_b64 s[0:1], s[2:3], 1
	s_add_u32 s4, s10, s0
	s_addc_u32 s5, s11, s1
	v_lshlrev_b32_e32 v3, 2, v0
	s_add_u32 s0, s14, s0
	s_addc_u32 s1, s15, s1
	global_load_dword v5, v3, s[4:5]
	global_load_dword v6, v3, s[0:1]
	global_load_dword v7, v3, s[4:5] offset:1024
	global_load_dword v8, v3, s[0:1] offset:1024
	global_load_dword v9, v3, s[4:5] offset:2048
	global_load_dword v10, v3, s[0:1] offset:2048
	v_mov_b32_e32 v1, s5
	v_add_co_u32_e32 v2, vcc, s4, v3
	global_load_dword v11, v3, s[4:5] offset:3072
	global_load_dword v12, v3, s[0:1] offset:3072
	s_movk_i32 s7, 0x1000
	v_addc_co_u32_e32 v4, vcc, 0, v1, vcc
	v_add_co_u32_e32 v1, vcc, s7, v2
	v_addc_co_u32_e32 v2, vcc, 0, v4, vcc
	v_mov_b32_e32 v4, s1
	v_add_co_u32_e32 v3, vcc, s0, v3
	v_addc_co_u32_e32 v4, vcc, 0, v4, vcc
	v_add_co_u32_e32 v3, vcc, s7, v3
	v_addc_co_u32_e32 v4, vcc, 0, v4, vcc
	global_load_dword v13, v[1:2], off
	global_load_dword v14, v[3:4], off
	global_load_dword v16, v[3:4], off offset:1024
	global_load_dword v17, v[1:2], off offset:1024
	;; [unrolled: 1-line block ×6, first 2 shown]
	s_cmp_eq_u32 s13, 0
	v_mov_b32_e32 v15, 0x100
	s_waitcnt vmcnt(14)
	v_cmp_eq_f16_e32 vcc, v5, v6
	v_cndmask_b32_e64 v1, 0, 1, vcc
	v_cmp_neq_f16_e32 vcc, v5, v6
	v_cndmask_b32_e64 v2, 0, 1, vcc
	v_cmp_eq_f16_sdwa s[0:1], v5, v6 src0_sel:WORD_1 src1_sel:WORD_1
	s_waitcnt vmcnt(12)
	v_cmp_eq_f16_e32 vcc, v7, v8
	v_cndmask_b32_e64 v3, 0, 1, s[0:1]
	v_cmp_neq_f16_sdwa s[0:1], v5, v6 src0_sel:WORD_1 src1_sel:WORD_1
	v_cndmask_b32_e64 v5, 0, 1, vcc
	v_cmp_neq_f16_e32 vcc, v7, v8
	v_cndmask_b32_e64 v4, 0, 1, s[0:1]
	v_cndmask_b32_e64 v6, 0, 1, vcc
	v_cmp_eq_f16_sdwa s[0:1], v7, v8 src0_sel:WORD_1 src1_sel:WORD_1
	s_waitcnt vmcnt(10)
	v_cmp_eq_f16_e32 vcc, v9, v10
	v_cndmask_b32_e64 v22, 0, 1, s[0:1]
	v_cmp_neq_f16_sdwa s[0:1], v7, v8 src0_sel:WORD_1 src1_sel:WORD_1
	v_cndmask_b32_e64 v8, 0, 1, vcc
	v_cmp_neq_f16_e32 vcc, v9, v10
	v_cndmask_b32_e64 v7, 0, 1, s[0:1]
	v_cndmask_b32_e64 v23, 0, 1, vcc
	v_cmp_eq_f16_sdwa s[0:1], v9, v10 src0_sel:WORD_1 src1_sel:WORD_1
	s_cselect_b64 vcc, -1, 0
	v_cndmask_b32_e64 v24, 0, 1, s[0:1]
	v_cmp_neq_f16_sdwa s[0:1], v9, v10 src0_sel:WORD_1 src1_sel:WORD_1
	v_cndmask_b32_e32 v1, v2, v1, vcc
	v_cndmask_b32_e32 v2, v4, v3, vcc
	v_cndmask_b32_e64 v9, 0, 1, s[0:1]
	v_cndmask_b32_e32 v4, v7, v22, vcc
	v_and_b32_e32 v2, 1, v2
	v_cndmask_b32_e32 v3, v6, v5, vcc
	v_cndmask_b32_e32 v6, v9, v24, vcc
	v_and_b32_e32 v4, 1, v4
	v_cmp_eq_u32_e64 s[0:1], 1, v2
	v_and_b32_e32 v6, 1, v6
	v_cndmask_b32_e64 v2, 0, v15, s[0:1]
	v_cmp_eq_u32_e64 s[0:1], 1, v4
	v_cndmask_b32_e64 v4, 0, v15, s[0:1]
	v_cmp_eq_u32_e64 s[0:1], 1, v6
	v_cndmask_b32_e32 v5, v23, v8, vcc
	v_and_b32_e32 v1, 1, v1
	v_and_b32_e32 v3, 1, v3
	v_cndmask_b32_e64 v6, 0, v15, s[0:1]
	s_waitcnt vmcnt(8)
	v_cmp_eq_f16_e64 s[0:1], v11, v12
	v_and_b32_e32 v5, 1, v5
	v_or_b32_e32 v1, v2, v1
	v_or_b32_e32 v2, v4, v3
	v_cndmask_b32_e64 v4, 0, 1, s[0:1]
	v_cmp_neq_f16_e64 s[0:1], v11, v12
	v_or_b32_e32 v3, v6, v5
	v_cndmask_b32_e64 v5, 0, 1, s[0:1]
	v_cmp_eq_f16_sdwa s[0:1], v11, v12 src0_sel:WORD_1 src1_sel:WORD_1
	v_cndmask_b32_e32 v4, v5, v4, vcc
	v_cndmask_b32_e64 v5, 0, 1, s[0:1]
	v_cmp_neq_f16_sdwa s[0:1], v11, v12 src0_sel:WORD_1 src1_sel:WORD_1
	v_cndmask_b32_e64 v6, 0, 1, s[0:1]
	v_cndmask_b32_e32 v5, v6, v5, vcc
	v_and_b32_e32 v5, 1, v5
	v_cmp_eq_u32_e64 s[0:1], 1, v5
	v_and_b32_e32 v4, 1, v4
	v_cndmask_b32_e64 v5, 0, v15, s[0:1]
	s_waitcnt vmcnt(6)
	v_cmp_eq_f16_e64 s[0:1], v13, v14
	v_or_b32_e32 v4, v5, v4
	v_cndmask_b32_e64 v5, 0, 1, s[0:1]
	v_cmp_neq_f16_e64 s[0:1], v13, v14
	v_cndmask_b32_e64 v6, 0, 1, s[0:1]
	v_cmp_eq_f16_sdwa s[0:1], v13, v14 src0_sel:WORD_1 src1_sel:WORD_1
	v_cndmask_b32_e32 v5, v6, v5, vcc
	v_cndmask_b32_e64 v6, 0, 1, s[0:1]
	v_cmp_neq_f16_sdwa s[0:1], v13, v14 src0_sel:WORD_1 src1_sel:WORD_1
	v_cndmask_b32_e64 v7, 0, 1, s[0:1]
	v_cndmask_b32_e32 v6, v7, v6, vcc
	v_and_b32_e32 v6, 1, v6
	v_cmp_eq_u32_e64 s[0:1], 1, v6
	v_and_b32_e32 v5, 1, v5
	v_cndmask_b32_e64 v6, 0, v15, s[0:1]
	s_waitcnt vmcnt(4)
	v_cmp_eq_f16_e64 s[0:1], v17, v16
	v_or_b32_e32 v5, v6, v5
	v_cndmask_b32_e64 v6, 0, 1, s[0:1]
	v_cmp_neq_f16_e64 s[0:1], v17, v16
	;; [unrolled: 16-line block ×4, first 2 shown]
	v_cndmask_b32_e64 v9, 0, 1, s[0:1]
	v_cmp_eq_f16_sdwa s[0:1], v19, v21 src0_sel:WORD_1 src1_sel:WORD_1
	v_cndmask_b32_e32 v8, v9, v8, vcc
	v_cndmask_b32_e64 v9, 0, 1, s[0:1]
	v_cmp_neq_f16_sdwa s[0:1], v19, v21 src0_sel:WORD_1 src1_sel:WORD_1
	v_cndmask_b32_e64 v10, 0, 1, s[0:1]
	v_cndmask_b32_e32 v9, v10, v9, vcc
	v_and_b32_e32 v9, 1, v9
	v_cmp_eq_u32_e32 vcc, 1, v9
	v_and_b32_e32 v8, 1, v8
	v_cndmask_b32_e32 v9, 0, v15, vcc
	s_add_u32 s0, s8, s2
	v_or_b32_e32 v8, v9, v8
	s_addc_u32 s1, s9, s3
	v_lshlrev_b32_e32 v9, 1, v0
	global_store_short v9, v1, s[0:1]
	global_store_short v9, v2, s[0:1] offset:512
	global_store_short v9, v3, s[0:1] offset:1024
	;; [unrolled: 1-line block ×7, first 2 shown]
	s_mov_b64 s[0:1], 0
.LBB179_2:
	s_andn2_b64 vcc, exec, s[0:1]
	s_cbranch_vccnz .LBB179_52
; %bb.3:
	v_cmp_gt_i32_e32 vcc, s6, v0
	v_mov_b32_e32 v3, 0
	v_or_b32_e32 v1, s2, v0
	v_mov_b32_e32 v2, 0
	v_mov_b32_e32 v4, 0
	;; [unrolled: 1-line block ×3, first 2 shown]
	s_and_saveexec_b64 s[4:5], vcc
	s_cbranch_execz .LBB179_5
; %bb.4:
	v_mov_b32_e32 v2, 0
	v_lshlrev_b64 v[4:5], 1, v[1:2]
	v_mov_b32_e32 v2, s15
	v_add_co_u32_e64 v6, s[0:1], s14, v4
	v_addc_co_u32_e64 v7, s[0:1], v2, v5, s[0:1]
	v_mov_b32_e32 v2, s11
	v_add_co_u32_e64 v8, s[0:1], s10, v4
	v_addc_co_u32_e64 v9, s[0:1], v2, v5, s[0:1]
	global_load_ushort v2, v[8:9], off
	global_load_ushort v4, v[6:7], off
	v_or_b32_e32 v13, 0x100, v0
.LBB179_5:
	s_or_b64 exec, exec, s[4:5]
	v_cmp_gt_i32_e64 s[0:1], s6, v13
	v_mov_b32_e32 v6, 0
	s_and_saveexec_b64 s[4:5], s[0:1]
	s_cbranch_execz .LBB179_7
; %bb.6:
	v_add_u32_e32 v5, s2, v13
	v_mov_b32_e32 v6, 0
	v_lshlrev_b64 v[5:6], 1, v[5:6]
	v_mov_b32_e32 v3, s15
	v_add_co_u32_e64 v7, s[0:1], s14, v5
	v_addc_co_u32_e64 v8, s[0:1], v3, v6, s[0:1]
	v_mov_b32_e32 v3, s11
	v_add_co_u32_e64 v9, s[0:1], s10, v5
	v_addc_co_u32_e64 v10, s[0:1], v3, v6, s[0:1]
	global_load_ushort v3, v[9:10], off
	global_load_ushort v6, v[7:8], off
	v_add_u32_e32 v13, 0x100, v13
.LBB179_7:
	s_or_b64 exec, exec, s[4:5]
	v_cmp_gt_i32_e64 s[0:1], s6, v13
	v_mov_b32_e32 v5, 0
	v_mov_b32_e32 v7, 0
	v_mov_b32_e32 v8, 0
	s_and_saveexec_b64 s[4:5], s[0:1]
	s_cbranch_execz .LBB179_9
; %bb.8:
	v_add_u32_e32 v7, s2, v13
	v_mov_b32_e32 v8, 0
	v_lshlrev_b64 v[7:8], 1, v[7:8]
	v_mov_b32_e32 v10, s15
	v_add_co_u32_e64 v9, s[0:1], s14, v7
	v_addc_co_u32_e64 v10, s[0:1], v10, v8, s[0:1]
	v_mov_b32_e32 v12, s11
	v_add_co_u32_e64 v11, s[0:1], s10, v7
	v_addc_co_u32_e64 v12, s[0:1], v12, v8, s[0:1]
	global_load_ushort v7, v[11:12], off
	global_load_ushort v8, v[9:10], off
	v_add_u32_e32 v13, 0x100, v13
.LBB179_9:
	s_or_b64 exec, exec, s[4:5]
	v_cmp_gt_i32_e64 s[0:1], s6, v13
	v_mov_b32_e32 v10, 0
	s_and_saveexec_b64 s[4:5], s[0:1]
	s_cbranch_execz .LBB179_11
; %bb.10:
	v_add_u32_e32 v9, s2, v13
	v_mov_b32_e32 v10, 0
	v_lshlrev_b64 v[9:10], 1, v[9:10]
	v_mov_b32_e32 v5, s15
	v_add_co_u32_e64 v11, s[0:1], s14, v9
	v_addc_co_u32_e64 v12, s[0:1], v5, v10, s[0:1]
	v_mov_b32_e32 v5, s11
	v_add_co_u32_e64 v14, s[0:1], s10, v9
	v_addc_co_u32_e64 v15, s[0:1], v5, v10, s[0:1]
	global_load_ushort v5, v[14:15], off
	global_load_ushort v10, v[11:12], off
	v_add_u32_e32 v13, 0x100, v13
.LBB179_11:
	s_or_b64 exec, exec, s[4:5]
	v_cmp_gt_i32_e64 s[0:1], s6, v13
	v_mov_b32_e32 v9, 0
	v_mov_b32_e32 v11, 0
	v_mov_b32_e32 v12, 0
	s_and_saveexec_b64 s[4:5], s[0:1]
	s_cbranch_execz .LBB179_13
; %bb.12:
	v_add_u32_e32 v11, s2, v13
	v_mov_b32_e32 v12, 0
	v_lshlrev_b64 v[11:12], 1, v[11:12]
	v_mov_b32_e32 v15, s15
	v_add_co_u32_e64 v14, s[0:1], s14, v11
	v_addc_co_u32_e64 v15, s[0:1], v15, v12, s[0:1]
	v_mov_b32_e32 v17, s11
	v_add_co_u32_e64 v16, s[0:1], s10, v11
	v_addc_co_u32_e64 v17, s[0:1], v17, v12, s[0:1]
	global_load_ushort v11, v[16:17], off
	global_load_ushort v12, v[14:15], off
	v_add_u32_e32 v13, 0x100, v13
.LBB179_13:
	s_or_b64 exec, exec, s[4:5]
	v_cmp_gt_i32_e64 s[0:1], s6, v13
	v_mov_b32_e32 v15, 0
	s_and_saveexec_b64 s[4:5], s[0:1]
	s_cbranch_execz .LBB179_15
; %bb.14:
	v_add_u32_e32 v14, s2, v13
	v_mov_b32_e32 v15, 0
	v_lshlrev_b64 v[14:15], 1, v[14:15]
	v_mov_b32_e32 v9, s15
	v_add_co_u32_e64 v16, s[0:1], s14, v14
	v_addc_co_u32_e64 v17, s[0:1], v9, v15, s[0:1]
	v_mov_b32_e32 v9, s11
	v_add_co_u32_e64 v18, s[0:1], s10, v14
	v_addc_co_u32_e64 v19, s[0:1], v9, v15, s[0:1]
	global_load_ushort v9, v[18:19], off
	global_load_ushort v15, v[16:17], off
	v_add_u32_e32 v13, 0x100, v13
.LBB179_15:
	s_or_b64 exec, exec, s[4:5]
	v_cmp_gt_i32_e64 s[0:1], s6, v13
	v_mov_b32_e32 v14, 0
	v_mov_b32_e32 v16, 0
	v_mov_b32_e32 v17, 0
	s_and_saveexec_b64 s[4:5], s[0:1]
	s_cbranch_execz .LBB179_17
; %bb.16:
	v_add_u32_e32 v16, s2, v13
	v_mov_b32_e32 v17, 0
	v_lshlrev_b64 v[16:17], 1, v[16:17]
	v_mov_b32_e32 v19, s15
	v_add_co_u32_e64 v18, s[0:1], s14, v16
	v_addc_co_u32_e64 v19, s[0:1], v19, v17, s[0:1]
	v_mov_b32_e32 v21, s11
	v_add_co_u32_e64 v20, s[0:1], s10, v16
	v_addc_co_u32_e64 v21, s[0:1], v21, v17, s[0:1]
	global_load_ushort v16, v[20:21], off
	global_load_ushort v17, v[18:19], off
	v_add_u32_e32 v13, 0x100, v13
.LBB179_17:
	s_or_b64 exec, exec, s[4:5]
	v_cmp_gt_i32_e64 s[0:1], s6, v13
	v_mov_b32_e32 v19, 0
	s_and_saveexec_b64 s[4:5], s[0:1]
	s_cbranch_execz .LBB179_19
; %bb.18:
	v_add_u32_e32 v18, s2, v13
	v_mov_b32_e32 v19, 0
	v_lshlrev_b64 v[18:19], 1, v[18:19]
	v_mov_b32_e32 v14, s15
	v_add_co_u32_e64 v20, s[0:1], s14, v18
	v_addc_co_u32_e64 v21, s[0:1], v14, v19, s[0:1]
	v_mov_b32_e32 v14, s11
	v_add_co_u32_e64 v22, s[0:1], s10, v18
	v_addc_co_u32_e64 v23, s[0:1], v14, v19, s[0:1]
	global_load_ushort v14, v[22:23], off
	global_load_ushort v19, v[20:21], off
	v_add_u32_e32 v13, 0x100, v13
.LBB179_19:
	s_or_b64 exec, exec, s[4:5]
	v_cmp_gt_i32_e64 s[0:1], s6, v13
	v_mov_b32_e32 v18, 0
	v_mov_b32_e32 v20, 0
	v_mov_b32_e32 v21, 0
	s_and_saveexec_b64 s[4:5], s[0:1]
	s_cbranch_execz .LBB179_21
; %bb.20:
	v_add_u32_e32 v20, s2, v13
	v_mov_b32_e32 v21, 0
	v_lshlrev_b64 v[20:21], 1, v[20:21]
	v_mov_b32_e32 v23, s15
	v_add_co_u32_e64 v22, s[0:1], s14, v20
	v_addc_co_u32_e64 v23, s[0:1], v23, v21, s[0:1]
	v_mov_b32_e32 v25, s11
	v_add_co_u32_e64 v24, s[0:1], s10, v20
	v_addc_co_u32_e64 v25, s[0:1], v25, v21, s[0:1]
	global_load_ushort v20, v[24:25], off
	global_load_ushort v21, v[22:23], off
	v_add_u32_e32 v13, 0x100, v13
.LBB179_21:
	s_or_b64 exec, exec, s[4:5]
	v_cmp_gt_i32_e64 s[0:1], s6, v13
	v_mov_b32_e32 v23, 0
	s_and_saveexec_b64 s[4:5], s[0:1]
	s_cbranch_execz .LBB179_23
; %bb.22:
	v_add_u32_e32 v22, s2, v13
	v_mov_b32_e32 v23, 0
	v_lshlrev_b64 v[22:23], 1, v[22:23]
	v_mov_b32_e32 v18, s15
	v_add_co_u32_e64 v24, s[0:1], s14, v22
	v_addc_co_u32_e64 v25, s[0:1], v18, v23, s[0:1]
	v_mov_b32_e32 v18, s11
	v_add_co_u32_e64 v26, s[0:1], s10, v22
	v_addc_co_u32_e64 v27, s[0:1], v18, v23, s[0:1]
	global_load_ushort v18, v[26:27], off
	global_load_ushort v23, v[24:25], off
	v_add_u32_e32 v13, 0x100, v13
.LBB179_23:
	s_or_b64 exec, exec, s[4:5]
	v_cmp_gt_i32_e64 s[0:1], s6, v13
	v_mov_b32_e32 v22, 0
	v_mov_b32_e32 v24, 0
	v_mov_b32_e32 v25, 0
	s_and_saveexec_b64 s[4:5], s[0:1]
	s_cbranch_execz .LBB179_25
; %bb.24:
	v_add_u32_e32 v24, s2, v13
	v_mov_b32_e32 v25, 0
	v_lshlrev_b64 v[24:25], 1, v[24:25]
	v_mov_b32_e32 v27, s15
	v_add_co_u32_e64 v26, s[0:1], s14, v24
	v_addc_co_u32_e64 v27, s[0:1], v27, v25, s[0:1]
	v_mov_b32_e32 v29, s11
	v_add_co_u32_e64 v28, s[0:1], s10, v24
	v_addc_co_u32_e64 v29, s[0:1], v29, v25, s[0:1]
	global_load_ushort v24, v[28:29], off
	global_load_ushort v25, v[26:27], off
	v_add_u32_e32 v13, 0x100, v13
.LBB179_25:
	s_or_b64 exec, exec, s[4:5]
	v_cmp_gt_i32_e64 s[0:1], s6, v13
	v_mov_b32_e32 v27, 0
	s_and_saveexec_b64 s[4:5], s[0:1]
	s_cbranch_execz .LBB179_27
; %bb.26:
	v_add_u32_e32 v26, s2, v13
	v_mov_b32_e32 v27, 0
	v_lshlrev_b64 v[26:27], 1, v[26:27]
	v_mov_b32_e32 v22, s15
	v_add_co_u32_e64 v28, s[0:1], s14, v26
	v_addc_co_u32_e64 v29, s[0:1], v22, v27, s[0:1]
	v_mov_b32_e32 v22, s11
	v_add_co_u32_e64 v30, s[0:1], s10, v26
	v_addc_co_u32_e64 v31, s[0:1], v22, v27, s[0:1]
	global_load_ushort v22, v[30:31], off
	global_load_ushort v27, v[28:29], off
	v_add_u32_e32 v13, 0x100, v13
.LBB179_27:
	s_or_b64 exec, exec, s[4:5]
	v_cmp_gt_i32_e64 s[0:1], s6, v13
	v_mov_b32_e32 v26, 0
	v_mov_b32_e32 v28, 0
	v_mov_b32_e32 v29, 0
	s_and_saveexec_b64 s[4:5], s[0:1]
	s_cbranch_execz .LBB179_29
; %bb.28:
	v_add_u32_e32 v28, s2, v13
	v_mov_b32_e32 v29, 0
	v_lshlrev_b64 v[28:29], 1, v[28:29]
	v_mov_b32_e32 v31, s15
	v_add_co_u32_e64 v30, s[0:1], s14, v28
	v_addc_co_u32_e64 v31, s[0:1], v31, v29, s[0:1]
	v_mov_b32_e32 v33, s11
	v_add_co_u32_e64 v32, s[0:1], s10, v28
	v_addc_co_u32_e64 v33, s[0:1], v33, v29, s[0:1]
	global_load_ushort v28, v[32:33], off
	global_load_ushort v29, v[30:31], off
	v_add_u32_e32 v13, 0x100, v13
.LBB179_29:
	s_or_b64 exec, exec, s[4:5]
	v_cmp_gt_i32_e64 s[0:1], s6, v13
	v_mov_b32_e32 v31, 0
	s_and_saveexec_b64 s[4:5], s[0:1]
	s_cbranch_execz .LBB179_31
; %bb.30:
	v_add_u32_e32 v30, s2, v13
	v_mov_b32_e32 v31, 0
	v_lshlrev_b64 v[30:31], 1, v[30:31]
	v_mov_b32_e32 v26, s15
	v_add_co_u32_e64 v32, s[0:1], s14, v30
	v_addc_co_u32_e64 v33, s[0:1], v26, v31, s[0:1]
	v_mov_b32_e32 v26, s11
	v_add_co_u32_e64 v34, s[0:1], s10, v30
	v_addc_co_u32_e64 v35, s[0:1], v26, v31, s[0:1]
	global_load_ushort v26, v[34:35], off
	global_load_ushort v31, v[32:33], off
	v_add_u32_e32 v13, 0x100, v13
.LBB179_31:
	s_or_b64 exec, exec, s[4:5]
	v_cmp_gt_i32_e64 s[0:1], s6, v13
	v_mov_b32_e32 v30, 0
	v_mov_b32_e32 v32, 0
	v_mov_b32_e32 v33, 0
	s_and_saveexec_b64 s[4:5], s[0:1]
	s_cbranch_execz .LBB179_33
; %bb.32:
	v_add_u32_e32 v32, s2, v13
	v_mov_b32_e32 v33, 0
	v_lshlrev_b64 v[32:33], 1, v[32:33]
	v_mov_b32_e32 v35, s15
	v_add_co_u32_e64 v34, s[0:1], s14, v32
	v_addc_co_u32_e64 v35, s[0:1], v35, v33, s[0:1]
	v_mov_b32_e32 v37, s11
	v_add_co_u32_e64 v36, s[0:1], s10, v32
	v_addc_co_u32_e64 v37, s[0:1], v37, v33, s[0:1]
	global_load_ushort v32, v[36:37], off
	global_load_ushort v33, v[34:35], off
	v_add_u32_e32 v13, 0x100, v13
.LBB179_33:
	s_or_b64 exec, exec, s[4:5]
	v_cmp_gt_i32_e64 s[0:1], s6, v13
	v_mov_b32_e32 v34, 0
	s_and_saveexec_b64 s[4:5], s[0:1]
	s_cbranch_execz .LBB179_35
; %bb.34:
	v_add_u32_e32 v34, s2, v13
	v_mov_b32_e32 v35, 0
	v_lshlrev_b64 v[34:35], 1, v[34:35]
	v_mov_b32_e32 v13, s15
	v_add_co_u32_e64 v36, s[0:1], s14, v34
	v_addc_co_u32_e64 v37, s[0:1], v13, v35, s[0:1]
	v_mov_b32_e32 v13, s11
	v_add_co_u32_e64 v38, s[0:1], s10, v34
	v_addc_co_u32_e64 v39, s[0:1], v13, v35, s[0:1]
	global_load_ushort v30, v[38:39], off
	global_load_ushort v34, v[36:37], off
.LBB179_35:
	s_or_b64 exec, exec, s[4:5]
	s_cmp_eq_u32 s13, 0
	s_cselect_b64 s[0:1], -1, 0
	s_and_saveexec_b64 s[4:5], vcc
	s_cbranch_execnz .LBB179_53
; %bb.36:
	s_or_b64 exec, exec, s[4:5]
	v_cmp_gt_i32_e32 vcc, s6, v0
	s_and_saveexec_b64 s[4:5], vcc
	s_cbranch_execnz .LBB179_54
.LBB179_37:
	s_or_b64 exec, exec, s[4:5]
	v_cmp_gt_i32_e32 vcc, s6, v0
	s_and_saveexec_b64 s[4:5], vcc
	s_cbranch_execnz .LBB179_55
.LBB179_38:
	s_or_b64 exec, exec, s[4:5]
	v_cmp_gt_i32_e32 vcc, s6, v0
	s_and_saveexec_b64 s[4:5], vcc
	s_cbranch_execnz .LBB179_56
.LBB179_39:
	s_or_b64 exec, exec, s[4:5]
	v_cmp_gt_i32_e32 vcc, s6, v0
	s_and_saveexec_b64 s[4:5], vcc
	s_cbranch_execnz .LBB179_57
.LBB179_40:
	s_or_b64 exec, exec, s[4:5]
	v_cmp_gt_i32_e32 vcc, s6, v0
	s_and_saveexec_b64 s[4:5], vcc
	s_cbranch_execnz .LBB179_58
.LBB179_41:
	s_or_b64 exec, exec, s[4:5]
	v_cmp_gt_i32_e32 vcc, s6, v0
	s_and_saveexec_b64 s[4:5], vcc
	s_cbranch_execnz .LBB179_59
.LBB179_42:
	s_or_b64 exec, exec, s[4:5]
	v_cmp_gt_i32_e32 vcc, s6, v0
	s_and_saveexec_b64 s[4:5], vcc
	s_cbranch_execnz .LBB179_60
.LBB179_43:
	s_or_b64 exec, exec, s[4:5]
	v_cmp_gt_i32_e32 vcc, s6, v0
	s_and_saveexec_b64 s[4:5], vcc
	s_cbranch_execnz .LBB179_61
.LBB179_44:
	s_or_b64 exec, exec, s[4:5]
	v_cmp_gt_i32_e32 vcc, s6, v0
	s_and_saveexec_b64 s[4:5], vcc
	s_cbranch_execnz .LBB179_62
.LBB179_45:
	s_or_b64 exec, exec, s[4:5]
	v_cmp_gt_i32_e32 vcc, s6, v0
	s_and_saveexec_b64 s[4:5], vcc
	s_cbranch_execnz .LBB179_63
.LBB179_46:
	s_or_b64 exec, exec, s[4:5]
	v_cmp_gt_i32_e32 vcc, s6, v0
	s_and_saveexec_b64 s[4:5], vcc
	s_cbranch_execnz .LBB179_64
.LBB179_47:
	s_or_b64 exec, exec, s[4:5]
	v_cmp_gt_i32_e32 vcc, s6, v0
	s_and_saveexec_b64 s[4:5], vcc
	s_cbranch_execnz .LBB179_65
.LBB179_48:
	s_or_b64 exec, exec, s[4:5]
	v_cmp_gt_i32_e32 vcc, s6, v0
	s_and_saveexec_b64 s[4:5], vcc
	s_cbranch_execnz .LBB179_66
.LBB179_49:
	s_or_b64 exec, exec, s[4:5]
	v_cmp_gt_i32_e32 vcc, s6, v0
	s_and_saveexec_b64 s[4:5], vcc
	s_cbranch_execnz .LBB179_67
.LBB179_50:
	s_or_b64 exec, exec, s[4:5]
	v_cmp_gt_i32_e32 vcc, s6, v0
	s_and_saveexec_b64 s[4:5], vcc
	s_cbranch_execz .LBB179_52
.LBB179_51:
	s_waitcnt vmcnt(0)
	v_cmp_eq_f16_e32 vcc, v30, v34
	v_cndmask_b32_e64 v1, 0, 1, vcc
	v_cmp_neq_f16_e32 vcc, v30, v34
	v_cndmask_b32_e64 v2, 0, 1, vcc
	v_cndmask_b32_e64 v1, v2, v1, s[0:1]
	v_and_b32_e32 v1, 1, v1
	v_add_u32_e32 v0, s2, v0
	global_store_byte v0, v1, s[8:9]
.LBB179_52:
	s_endpgm
.LBB179_53:
	s_waitcnt vmcnt(0)
	v_cmp_eq_f16_e32 vcc, v2, v4
	v_cndmask_b32_e64 v13, 0, 1, vcc
	v_cmp_neq_f16_e32 vcc, v2, v4
	v_cndmask_b32_e64 v2, 0, 1, vcc
	v_cndmask_b32_e64 v2, v2, v13, s[0:1]
	v_or_b32_e32 v0, 0x100, v0
	v_and_b32_e32 v2, 1, v2
	global_store_byte v1, v2, s[8:9]
	s_or_b64 exec, exec, s[4:5]
	v_cmp_gt_i32_e32 vcc, s6, v0
	s_and_saveexec_b64 s[4:5], vcc
	s_cbranch_execz .LBB179_37
.LBB179_54:
	s_waitcnt vmcnt(0)
	v_cmp_eq_f16_e32 vcc, v3, v6
	v_cndmask_b32_e64 v1, 0, 1, vcc
	v_cmp_neq_f16_e32 vcc, v3, v6
	v_cndmask_b32_e64 v2, 0, 1, vcc
	v_cndmask_b32_e64 v1, v2, v1, s[0:1]
	v_and_b32_e32 v1, 1, v1
	v_add_u32_e32 v2, s2, v0
	v_add_u32_e32 v0, 0x100, v0
	global_store_byte v2, v1, s[8:9]
	s_or_b64 exec, exec, s[4:5]
	v_cmp_gt_i32_e32 vcc, s6, v0
	s_and_saveexec_b64 s[4:5], vcc
	s_cbranch_execz .LBB179_38
.LBB179_55:
	s_waitcnt vmcnt(0)
	v_cmp_eq_f16_e32 vcc, v7, v8
	v_cndmask_b32_e64 v1, 0, 1, vcc
	v_cmp_neq_f16_e32 vcc, v7, v8
	v_cndmask_b32_e64 v2, 0, 1, vcc
	v_cndmask_b32_e64 v1, v2, v1, s[0:1]
	v_and_b32_e32 v1, 1, v1
	v_add_u32_e32 v2, s2, v0
	v_add_u32_e32 v0, 0x100, v0
	global_store_byte v2, v1, s[8:9]
	s_or_b64 exec, exec, s[4:5]
	v_cmp_gt_i32_e32 vcc, s6, v0
	s_and_saveexec_b64 s[4:5], vcc
	s_cbranch_execz .LBB179_39
.LBB179_56:
	s_waitcnt vmcnt(0)
	v_cmp_eq_f16_e32 vcc, v5, v10
	v_cndmask_b32_e64 v1, 0, 1, vcc
	v_cmp_neq_f16_e32 vcc, v5, v10
	v_cndmask_b32_e64 v2, 0, 1, vcc
	v_cndmask_b32_e64 v1, v2, v1, s[0:1]
	v_and_b32_e32 v1, 1, v1
	v_add_u32_e32 v2, s2, v0
	v_add_u32_e32 v0, 0x100, v0
	global_store_byte v2, v1, s[8:9]
	s_or_b64 exec, exec, s[4:5]
	v_cmp_gt_i32_e32 vcc, s6, v0
	s_and_saveexec_b64 s[4:5], vcc
	s_cbranch_execz .LBB179_40
.LBB179_57:
	s_waitcnt vmcnt(0)
	v_cmp_eq_f16_e32 vcc, v11, v12
	v_cndmask_b32_e64 v1, 0, 1, vcc
	v_cmp_neq_f16_e32 vcc, v11, v12
	v_cndmask_b32_e64 v2, 0, 1, vcc
	v_cndmask_b32_e64 v1, v2, v1, s[0:1]
	v_and_b32_e32 v1, 1, v1
	v_add_u32_e32 v2, s2, v0
	v_add_u32_e32 v0, 0x100, v0
	global_store_byte v2, v1, s[8:9]
	s_or_b64 exec, exec, s[4:5]
	v_cmp_gt_i32_e32 vcc, s6, v0
	s_and_saveexec_b64 s[4:5], vcc
	s_cbranch_execz .LBB179_41
.LBB179_58:
	s_waitcnt vmcnt(0)
	v_cmp_eq_f16_e32 vcc, v9, v15
	v_cndmask_b32_e64 v1, 0, 1, vcc
	v_cmp_neq_f16_e32 vcc, v9, v15
	v_cndmask_b32_e64 v2, 0, 1, vcc
	v_cndmask_b32_e64 v1, v2, v1, s[0:1]
	v_and_b32_e32 v1, 1, v1
	v_add_u32_e32 v2, s2, v0
	v_add_u32_e32 v0, 0x100, v0
	global_store_byte v2, v1, s[8:9]
	s_or_b64 exec, exec, s[4:5]
	v_cmp_gt_i32_e32 vcc, s6, v0
	s_and_saveexec_b64 s[4:5], vcc
	s_cbranch_execz .LBB179_42
.LBB179_59:
	s_waitcnt vmcnt(0)
	v_cmp_eq_f16_e32 vcc, v16, v17
	v_cndmask_b32_e64 v1, 0, 1, vcc
	v_cmp_neq_f16_e32 vcc, v16, v17
	v_cndmask_b32_e64 v2, 0, 1, vcc
	v_cndmask_b32_e64 v1, v2, v1, s[0:1]
	v_and_b32_e32 v1, 1, v1
	v_add_u32_e32 v2, s2, v0
	v_add_u32_e32 v0, 0x100, v0
	global_store_byte v2, v1, s[8:9]
	s_or_b64 exec, exec, s[4:5]
	v_cmp_gt_i32_e32 vcc, s6, v0
	s_and_saveexec_b64 s[4:5], vcc
	s_cbranch_execz .LBB179_43
.LBB179_60:
	s_waitcnt vmcnt(0)
	v_cmp_eq_f16_e32 vcc, v14, v19
	v_cndmask_b32_e64 v1, 0, 1, vcc
	v_cmp_neq_f16_e32 vcc, v14, v19
	v_cndmask_b32_e64 v2, 0, 1, vcc
	v_cndmask_b32_e64 v1, v2, v1, s[0:1]
	v_and_b32_e32 v1, 1, v1
	v_add_u32_e32 v2, s2, v0
	v_add_u32_e32 v0, 0x100, v0
	global_store_byte v2, v1, s[8:9]
	s_or_b64 exec, exec, s[4:5]
	v_cmp_gt_i32_e32 vcc, s6, v0
	s_and_saveexec_b64 s[4:5], vcc
	s_cbranch_execz .LBB179_44
.LBB179_61:
	s_waitcnt vmcnt(0)
	v_cmp_eq_f16_e32 vcc, v20, v21
	v_cndmask_b32_e64 v1, 0, 1, vcc
	v_cmp_neq_f16_e32 vcc, v20, v21
	v_cndmask_b32_e64 v2, 0, 1, vcc
	v_cndmask_b32_e64 v1, v2, v1, s[0:1]
	v_and_b32_e32 v1, 1, v1
	v_add_u32_e32 v2, s2, v0
	v_add_u32_e32 v0, 0x100, v0
	global_store_byte v2, v1, s[8:9]
	s_or_b64 exec, exec, s[4:5]
	v_cmp_gt_i32_e32 vcc, s6, v0
	s_and_saveexec_b64 s[4:5], vcc
	s_cbranch_execz .LBB179_45
.LBB179_62:
	s_waitcnt vmcnt(0)
	v_cmp_eq_f16_e32 vcc, v18, v23
	v_cndmask_b32_e64 v1, 0, 1, vcc
	v_cmp_neq_f16_e32 vcc, v18, v23
	v_cndmask_b32_e64 v2, 0, 1, vcc
	v_cndmask_b32_e64 v1, v2, v1, s[0:1]
	v_and_b32_e32 v1, 1, v1
	v_add_u32_e32 v2, s2, v0
	v_add_u32_e32 v0, 0x100, v0
	global_store_byte v2, v1, s[8:9]
	s_or_b64 exec, exec, s[4:5]
	v_cmp_gt_i32_e32 vcc, s6, v0
	s_and_saveexec_b64 s[4:5], vcc
	s_cbranch_execz .LBB179_46
.LBB179_63:
	s_waitcnt vmcnt(0)
	v_cmp_eq_f16_e32 vcc, v24, v25
	v_cndmask_b32_e64 v1, 0, 1, vcc
	v_cmp_neq_f16_e32 vcc, v24, v25
	v_cndmask_b32_e64 v2, 0, 1, vcc
	v_cndmask_b32_e64 v1, v2, v1, s[0:1]
	v_and_b32_e32 v1, 1, v1
	v_add_u32_e32 v2, s2, v0
	v_add_u32_e32 v0, 0x100, v0
	global_store_byte v2, v1, s[8:9]
	s_or_b64 exec, exec, s[4:5]
	v_cmp_gt_i32_e32 vcc, s6, v0
	s_and_saveexec_b64 s[4:5], vcc
	s_cbranch_execz .LBB179_47
.LBB179_64:
	s_waitcnt vmcnt(0)
	v_cmp_eq_f16_e32 vcc, v22, v27
	v_cndmask_b32_e64 v1, 0, 1, vcc
	v_cmp_neq_f16_e32 vcc, v22, v27
	v_cndmask_b32_e64 v2, 0, 1, vcc
	v_cndmask_b32_e64 v1, v2, v1, s[0:1]
	v_and_b32_e32 v1, 1, v1
	v_add_u32_e32 v2, s2, v0
	v_add_u32_e32 v0, 0x100, v0
	global_store_byte v2, v1, s[8:9]
	s_or_b64 exec, exec, s[4:5]
	v_cmp_gt_i32_e32 vcc, s6, v0
	s_and_saveexec_b64 s[4:5], vcc
	s_cbranch_execz .LBB179_48
.LBB179_65:
	s_waitcnt vmcnt(0)
	v_cmp_eq_f16_e32 vcc, v28, v29
	v_cndmask_b32_e64 v1, 0, 1, vcc
	v_cmp_neq_f16_e32 vcc, v28, v29
	v_cndmask_b32_e64 v2, 0, 1, vcc
	v_cndmask_b32_e64 v1, v2, v1, s[0:1]
	v_and_b32_e32 v1, 1, v1
	v_add_u32_e32 v2, s2, v0
	v_add_u32_e32 v0, 0x100, v0
	global_store_byte v2, v1, s[8:9]
	s_or_b64 exec, exec, s[4:5]
	v_cmp_gt_i32_e32 vcc, s6, v0
	s_and_saveexec_b64 s[4:5], vcc
	s_cbranch_execz .LBB179_49
.LBB179_66:
	s_waitcnt vmcnt(0)
	v_cmp_eq_f16_e32 vcc, v26, v31
	v_cndmask_b32_e64 v1, 0, 1, vcc
	v_cmp_neq_f16_e32 vcc, v26, v31
	v_cndmask_b32_e64 v2, 0, 1, vcc
	v_cndmask_b32_e64 v1, v2, v1, s[0:1]
	v_and_b32_e32 v1, 1, v1
	v_add_u32_e32 v2, s2, v0
	v_add_u32_e32 v0, 0x100, v0
	global_store_byte v2, v1, s[8:9]
	s_or_b64 exec, exec, s[4:5]
	v_cmp_gt_i32_e32 vcc, s6, v0
	s_and_saveexec_b64 s[4:5], vcc
	s_cbranch_execz .LBB179_50
.LBB179_67:
	s_waitcnt vmcnt(0)
	v_cmp_eq_f16_e32 vcc, v32, v33
	v_cndmask_b32_e64 v1, 0, 1, vcc
	v_cmp_neq_f16_e32 vcc, v32, v33
	v_cndmask_b32_e64 v2, 0, 1, vcc
	v_cndmask_b32_e64 v1, v2, v1, s[0:1]
	v_and_b32_e32 v1, 1, v1
	v_add_u32_e32 v2, s2, v0
	v_add_u32_e32 v0, 0x100, v0
	global_store_byte v2, v1, s[8:9]
	s_or_b64 exec, exec, s[4:5]
	v_cmp_gt_i32_e32 vcc, s6, v0
	s_and_saveexec_b64 s[4:5], vcc
	s_cbranch_execnz .LBB179_51
	s_branch .LBB179_52
	.section	.rodata,"a",@progbits
	.p2align	6, 0x0
	.amdhsa_kernel _ZN2at6native29vectorized_elementwise_kernelILi2ENS0_13BinaryFunctorIN3c104HalfES4_bNS0_12_GLOBAL__N_116CompareEqFunctorIS4_EEEESt5arrayIPcLm3EEEEviT0_T1_
		.amdhsa_group_segment_fixed_size 0
		.amdhsa_private_segment_fixed_size 0
		.amdhsa_kernarg_size 32
		.amdhsa_user_sgpr_count 6
		.amdhsa_user_sgpr_private_segment_buffer 1
		.amdhsa_user_sgpr_dispatch_ptr 0
		.amdhsa_user_sgpr_queue_ptr 0
		.amdhsa_user_sgpr_kernarg_segment_ptr 1
		.amdhsa_user_sgpr_dispatch_id 0
		.amdhsa_user_sgpr_flat_scratch_init 0
		.amdhsa_user_sgpr_private_segment_size 0
		.amdhsa_uses_dynamic_stack 0
		.amdhsa_system_sgpr_private_segment_wavefront_offset 0
		.amdhsa_system_sgpr_workgroup_id_x 1
		.amdhsa_system_sgpr_workgroup_id_y 0
		.amdhsa_system_sgpr_workgroup_id_z 0
		.amdhsa_system_sgpr_workgroup_info 0
		.amdhsa_system_vgpr_workitem_id 0
		.amdhsa_next_free_vgpr 40
		.amdhsa_next_free_sgpr 16
		.amdhsa_reserve_vcc 1
		.amdhsa_reserve_flat_scratch 0
		.amdhsa_float_round_mode_32 0
		.amdhsa_float_round_mode_16_64 0
		.amdhsa_float_denorm_mode_32 3
		.amdhsa_float_denorm_mode_16_64 3
		.amdhsa_dx10_clamp 1
		.amdhsa_ieee_mode 1
		.amdhsa_fp16_overflow 0
		.amdhsa_exception_fp_ieee_invalid_op 0
		.amdhsa_exception_fp_denorm_src 0
		.amdhsa_exception_fp_ieee_div_zero 0
		.amdhsa_exception_fp_ieee_overflow 0
		.amdhsa_exception_fp_ieee_underflow 0
		.amdhsa_exception_fp_ieee_inexact 0
		.amdhsa_exception_int_div_zero 0
	.end_amdhsa_kernel
	.section	.text._ZN2at6native29vectorized_elementwise_kernelILi2ENS0_13BinaryFunctorIN3c104HalfES4_bNS0_12_GLOBAL__N_116CompareEqFunctorIS4_EEEESt5arrayIPcLm3EEEEviT0_T1_,"axG",@progbits,_ZN2at6native29vectorized_elementwise_kernelILi2ENS0_13BinaryFunctorIN3c104HalfES4_bNS0_12_GLOBAL__N_116CompareEqFunctorIS4_EEEESt5arrayIPcLm3EEEEviT0_T1_,comdat
.Lfunc_end179:
	.size	_ZN2at6native29vectorized_elementwise_kernelILi2ENS0_13BinaryFunctorIN3c104HalfES4_bNS0_12_GLOBAL__N_116CompareEqFunctorIS4_EEEESt5arrayIPcLm3EEEEviT0_T1_, .Lfunc_end179-_ZN2at6native29vectorized_elementwise_kernelILi2ENS0_13BinaryFunctorIN3c104HalfES4_bNS0_12_GLOBAL__N_116CompareEqFunctorIS4_EEEESt5arrayIPcLm3EEEEviT0_T1_
                                        ; -- End function
	.set _ZN2at6native29vectorized_elementwise_kernelILi2ENS0_13BinaryFunctorIN3c104HalfES4_bNS0_12_GLOBAL__N_116CompareEqFunctorIS4_EEEESt5arrayIPcLm3EEEEviT0_T1_.num_vgpr, 40
	.set _ZN2at6native29vectorized_elementwise_kernelILi2ENS0_13BinaryFunctorIN3c104HalfES4_bNS0_12_GLOBAL__N_116CompareEqFunctorIS4_EEEESt5arrayIPcLm3EEEEviT0_T1_.num_agpr, 0
	.set _ZN2at6native29vectorized_elementwise_kernelILi2ENS0_13BinaryFunctorIN3c104HalfES4_bNS0_12_GLOBAL__N_116CompareEqFunctorIS4_EEEESt5arrayIPcLm3EEEEviT0_T1_.numbered_sgpr, 16
	.set _ZN2at6native29vectorized_elementwise_kernelILi2ENS0_13BinaryFunctorIN3c104HalfES4_bNS0_12_GLOBAL__N_116CompareEqFunctorIS4_EEEESt5arrayIPcLm3EEEEviT0_T1_.num_named_barrier, 0
	.set _ZN2at6native29vectorized_elementwise_kernelILi2ENS0_13BinaryFunctorIN3c104HalfES4_bNS0_12_GLOBAL__N_116CompareEqFunctorIS4_EEEESt5arrayIPcLm3EEEEviT0_T1_.private_seg_size, 0
	.set _ZN2at6native29vectorized_elementwise_kernelILi2ENS0_13BinaryFunctorIN3c104HalfES4_bNS0_12_GLOBAL__N_116CompareEqFunctorIS4_EEEESt5arrayIPcLm3EEEEviT0_T1_.uses_vcc, 1
	.set _ZN2at6native29vectorized_elementwise_kernelILi2ENS0_13BinaryFunctorIN3c104HalfES4_bNS0_12_GLOBAL__N_116CompareEqFunctorIS4_EEEESt5arrayIPcLm3EEEEviT0_T1_.uses_flat_scratch, 0
	.set _ZN2at6native29vectorized_elementwise_kernelILi2ENS0_13BinaryFunctorIN3c104HalfES4_bNS0_12_GLOBAL__N_116CompareEqFunctorIS4_EEEESt5arrayIPcLm3EEEEviT0_T1_.has_dyn_sized_stack, 0
	.set _ZN2at6native29vectorized_elementwise_kernelILi2ENS0_13BinaryFunctorIN3c104HalfES4_bNS0_12_GLOBAL__N_116CompareEqFunctorIS4_EEEESt5arrayIPcLm3EEEEviT0_T1_.has_recursion, 0
	.set _ZN2at6native29vectorized_elementwise_kernelILi2ENS0_13BinaryFunctorIN3c104HalfES4_bNS0_12_GLOBAL__N_116CompareEqFunctorIS4_EEEESt5arrayIPcLm3EEEEviT0_T1_.has_indirect_call, 0
	.section	.AMDGPU.csdata,"",@progbits
; Kernel info:
; codeLenInByte = 4324
; TotalNumSgprs: 20
; NumVgprs: 40
; ScratchSize: 0
; MemoryBound: 0
; FloatMode: 240
; IeeeMode: 1
; LDSByteSize: 0 bytes/workgroup (compile time only)
; SGPRBlocks: 2
; VGPRBlocks: 9
; NumSGPRsForWavesPerEU: 20
; NumVGPRsForWavesPerEU: 40
; Occupancy: 6
; WaveLimiterHint : 1
; COMPUTE_PGM_RSRC2:SCRATCH_EN: 0
; COMPUTE_PGM_RSRC2:USER_SGPR: 6
; COMPUTE_PGM_RSRC2:TRAP_HANDLER: 0
; COMPUTE_PGM_RSRC2:TGID_X_EN: 1
; COMPUTE_PGM_RSRC2:TGID_Y_EN: 0
; COMPUTE_PGM_RSRC2:TGID_Z_EN: 0
; COMPUTE_PGM_RSRC2:TIDIG_COMP_CNT: 0
	.section	.text._ZN2at6native27unrolled_elementwise_kernelINS0_13BinaryFunctorIN3c104HalfES4_bNS0_12_GLOBAL__N_116CompareEqFunctorIS4_EEEESt5arrayIPcLm3EELi4E23TrivialOffsetCalculatorILi2EjESC_ILi1EjENS0_6memory15LoadWithoutCastENSF_16StoreWithoutCastEEEviT_T0_T2_T3_T4_T5_,"axG",@progbits,_ZN2at6native27unrolled_elementwise_kernelINS0_13BinaryFunctorIN3c104HalfES4_bNS0_12_GLOBAL__N_116CompareEqFunctorIS4_EEEESt5arrayIPcLm3EELi4E23TrivialOffsetCalculatorILi2EjESC_ILi1EjENS0_6memory15LoadWithoutCastENSF_16StoreWithoutCastEEEviT_T0_T2_T3_T4_T5_,comdat
	.globl	_ZN2at6native27unrolled_elementwise_kernelINS0_13BinaryFunctorIN3c104HalfES4_bNS0_12_GLOBAL__N_116CompareEqFunctorIS4_EEEESt5arrayIPcLm3EELi4E23TrivialOffsetCalculatorILi2EjESC_ILi1EjENS0_6memory15LoadWithoutCastENSF_16StoreWithoutCastEEEviT_T0_T2_T3_T4_T5_ ; -- Begin function _ZN2at6native27unrolled_elementwise_kernelINS0_13BinaryFunctorIN3c104HalfES4_bNS0_12_GLOBAL__N_116CompareEqFunctorIS4_EEEESt5arrayIPcLm3EELi4E23TrivialOffsetCalculatorILi2EjESC_ILi1EjENS0_6memory15LoadWithoutCastENSF_16StoreWithoutCastEEEviT_T0_T2_T3_T4_T5_
	.p2align	8
	.type	_ZN2at6native27unrolled_elementwise_kernelINS0_13BinaryFunctorIN3c104HalfES4_bNS0_12_GLOBAL__N_116CompareEqFunctorIS4_EEEESt5arrayIPcLm3EELi4E23TrivialOffsetCalculatorILi2EjESC_ILi1EjENS0_6memory15LoadWithoutCastENSF_16StoreWithoutCastEEEviT_T0_T2_T3_T4_T5_,@function
_ZN2at6native27unrolled_elementwise_kernelINS0_13BinaryFunctorIN3c104HalfES4_bNS0_12_GLOBAL__N_116CompareEqFunctorIS4_EEEESt5arrayIPcLm3EELi4E23TrivialOffsetCalculatorILi2EjESC_ILi1EjENS0_6memory15LoadWithoutCastENSF_16StoreWithoutCastEEEviT_T0_T2_T3_T4_T5_: ; @_ZN2at6native27unrolled_elementwise_kernelINS0_13BinaryFunctorIN3c104HalfES4_bNS0_12_GLOBAL__N_116CompareEqFunctorIS4_EEEESt5arrayIPcLm3EELi4E23TrivialOffsetCalculatorILi2EjESC_ILi1EjENS0_6memory15LoadWithoutCastENSF_16StoreWithoutCastEEEviT_T0_T2_T3_T4_T5_
; %bb.0:
	s_load_dwordx2 s[2:3], s[4:5], 0x0
	s_load_dwordx4 s[8:11], s[4:5], 0x8
	s_load_dwordx2 s[12:13], s[4:5], 0x18
	s_lshl_b32 s6, s6, 10
	v_mov_b32_e32 v3, 0
	s_waitcnt lgkmcnt(0)
	s_sub_i32 s7, s2, s6
	v_cmp_gt_i32_e32 vcc, s7, v0
	v_or_b32_e32 v1, s6, v0
	v_mov_b32_e32 v2, 0
	v_mov_b32_e32 v4, 0
	;; [unrolled: 1-line block ×3, first 2 shown]
	s_and_saveexec_b64 s[4:5], vcc
	s_cbranch_execz .LBB180_2
; %bb.1:
	v_mov_b32_e32 v2, 0
	v_lshlrev_b64 v[4:5], 1, v[1:2]
	v_mov_b32_e32 v2, s11
	v_add_co_u32_e64 v6, s[0:1], s10, v4
	v_addc_co_u32_e64 v7, s[0:1], v2, v5, s[0:1]
	v_mov_b32_e32 v2, s13
	v_add_co_u32_e64 v8, s[0:1], s12, v4
	v_addc_co_u32_e64 v9, s[0:1], v2, v5, s[0:1]
	global_load_ushort v2, v[6:7], off
	global_load_ushort v4, v[8:9], off
	v_or_b32_e32 v6, 0x100, v0
.LBB180_2:
	s_or_b64 exec, exec, s[4:5]
	v_cmp_gt_i32_e64 s[0:1], s7, v6
	v_mov_b32_e32 v5, 0
	s_and_saveexec_b64 s[4:5], s[0:1]
	s_cbranch_execz .LBB180_4
; %bb.3:
	v_add_u32_e32 v7, s6, v6
	v_mov_b32_e32 v8, 0
	v_lshlrev_b64 v[7:8], 1, v[7:8]
	v_mov_b32_e32 v3, s11
	v_add_co_u32_e64 v9, s[0:1], s10, v7
	v_addc_co_u32_e64 v10, s[0:1], v3, v8, s[0:1]
	v_mov_b32_e32 v3, s13
	v_add_co_u32_e64 v7, s[0:1], s12, v7
	v_addc_co_u32_e64 v8, s[0:1], v3, v8, s[0:1]
	global_load_ushort v3, v[9:10], off
	global_load_ushort v5, v[7:8], off
	v_add_u32_e32 v6, 0x100, v6
.LBB180_4:
	s_or_b64 exec, exec, s[4:5]
	v_cmp_gt_i32_e64 s[0:1], s7, v6
	v_mov_b32_e32 v7, 0
	v_mov_b32_e32 v8, 0
	;; [unrolled: 1-line block ×3, first 2 shown]
	s_and_saveexec_b64 s[4:5], s[0:1]
	s_cbranch_execz .LBB180_6
; %bb.5:
	v_add_u32_e32 v8, s6, v6
	v_mov_b32_e32 v9, 0
	v_lshlrev_b64 v[8:9], 1, v[8:9]
	v_mov_b32_e32 v11, s11
	v_add_co_u32_e64 v10, s[0:1], s10, v8
	v_addc_co_u32_e64 v11, s[0:1], v11, v9, s[0:1]
	v_mov_b32_e32 v13, s13
	v_add_co_u32_e64 v12, s[0:1], s12, v8
	v_addc_co_u32_e64 v13, s[0:1], v13, v9, s[0:1]
	global_load_ushort v8, v[10:11], off
	global_load_ushort v9, v[12:13], off
	v_add_u32_e32 v6, 0x100, v6
.LBB180_6:
	s_or_b64 exec, exec, s[4:5]
	v_cmp_gt_i32_e64 s[0:1], s7, v6
	v_mov_b32_e32 v10, 0
	s_and_saveexec_b64 s[4:5], s[0:1]
	s_cbranch_execz .LBB180_8
; %bb.7:
	v_add_u32_e32 v6, s6, v6
	v_mov_b32_e32 v7, 0
	v_lshlrev_b64 v[6:7], 1, v[6:7]
	v_mov_b32_e32 v10, s11
	v_add_co_u32_e64 v11, s[0:1], s10, v6
	v_addc_co_u32_e64 v12, s[0:1], v10, v7, s[0:1]
	v_mov_b32_e32 v10, s13
	v_add_co_u32_e64 v13, s[0:1], s12, v6
	v_addc_co_u32_e64 v14, s[0:1], v10, v7, s[0:1]
	global_load_ushort v7, v[11:12], off
	global_load_ushort v10, v[13:14], off
.LBB180_8:
	s_or_b64 exec, exec, s[4:5]
	s_waitcnt vmcnt(0)
	v_cmp_eq_f16_e64 s[0:1], v2, v4
	s_cmp_eq_u32 s3, 0
	v_cndmask_b32_e64 v6, 0, 1, s[0:1]
	v_cmp_neq_f16_e64 s[0:1], v2, v4
	v_cndmask_b32_e64 v2, 0, 1, s[0:1]
	s_cselect_b64 s[0:1], -1, 0
	v_cmp_eq_f16_e64 s[2:3], v3, v5
	v_cndmask_b32_e64 v2, v2, v6, s[0:1]
	v_cndmask_b32_e64 v6, 0, 1, s[2:3]
	v_cmp_neq_f16_e64 s[2:3], v3, v5
	v_cndmask_b32_e64 v3, 0, 1, s[2:3]
	v_cndmask_b32_e64 v4, 0, 1, vcc
	v_cndmask_b32_e64 v3, v3, v6, s[0:1]
	v_mov_b32_e32 v5, 1
	v_and_b32_e32 v2, v4, v2
	v_and_b32_sdwa v3, v3, v5 dst_sel:BYTE_1 dst_unused:UNUSED_PAD src0_sel:DWORD src1_sel:DWORD
	v_or_b32_e32 v4, 0x100, v0
	v_or_b32_e32 v3, v2, v3
	v_and_b32_e32 v3, 0xffff, v3
	v_cmp_gt_i32_e64 s[2:3], s7, v4
	v_cndmask_b32_e64 v2, v2, v3, s[2:3]
	v_cmp_eq_f16_e64 s[2:3], v8, v9
	v_cndmask_b32_e64 v6, 0, 1, s[2:3]
	v_cmp_neq_f16_e64 s[2:3], v8, v9
	v_cndmask_b32_e64 v8, 0, 1, s[2:3]
	v_cndmask_b32_e64 v6, v8, v6, s[0:1]
	v_or_b32_e32 v3, 0x200, v0
	v_and_b32_sdwa v6, v6, v5 dst_sel:WORD_1 dst_unused:UNUSED_PAD src0_sel:DWORD src1_sel:DWORD
	v_or_b32_e32 v6, v2, v6
	v_cmp_gt_i32_e64 s[2:3], s7, v3
	v_cndmask_b32_e64 v2, v2, v6, s[2:3]
	s_movk_i32 s2, 0xff
	v_and_b32_sdwa v3, v2, s2 dst_sel:DWORD dst_unused:UNUSED_PAD src0_sel:WORD_1 src1_sel:DWORD
	v_cmp_eq_f16_e64 s[2:3], v7, v10
	v_cndmask_b32_e64 v8, 0, 1, s[2:3]
	v_cmp_neq_f16_e64 s[2:3], v7, v10
	v_cndmask_b32_e64 v7, 0, 1, s[2:3]
	v_cndmask_b32_e64 v7, v7, v8, s[0:1]
	v_and_b32_sdwa v5, v7, v5 dst_sel:BYTE_1 dst_unused:UNUSED_PAD src0_sel:DWORD src1_sel:DWORD
	s_mov_b32 s4, 0xffff
	v_or_b32_e32 v6, 0x300, v0
	v_or_b32_sdwa v3, v3, v5 dst_sel:WORD_1 dst_unused:UNUSED_PAD src0_sel:DWORD src1_sel:DWORD
	v_and_or_b32 v3, v2, s4, v3
	v_cmp_gt_i32_e64 s[0:1], s7, v6
	v_cndmask_b32_e64 v2, v2, v3, s[0:1]
	s_and_saveexec_b64 s[0:1], vcc
	s_cbranch_execnz .LBB180_13
; %bb.9:
	s_or_b64 exec, exec, s[0:1]
	v_cmp_gt_i32_e32 vcc, s7, v0
	s_and_saveexec_b64 s[0:1], vcc
	s_cbranch_execnz .LBB180_14
.LBB180_10:
	s_or_b64 exec, exec, s[0:1]
	v_cmp_gt_i32_e32 vcc, s7, v0
	s_and_saveexec_b64 s[0:1], vcc
	s_cbranch_execnz .LBB180_15
.LBB180_11:
	s_or_b64 exec, exec, s[0:1]
	v_cmp_gt_i32_e32 vcc, s7, v0
	s_and_saveexec_b64 s[0:1], vcc
	s_cbranch_execnz .LBB180_16
.LBB180_12:
	s_endpgm
.LBB180_13:
	v_mov_b32_e32 v0, v4
	global_store_byte v1, v2, s[8:9]
	s_or_b64 exec, exec, s[0:1]
	v_cmp_gt_i32_e32 vcc, s7, v0
	s_and_saveexec_b64 s[0:1], vcc
	s_cbranch_execz .LBB180_10
.LBB180_14:
	v_add_u32_e32 v1, 0x100, v0
	v_add_u32_e32 v0, s6, v0
	v_lshrrev_b32_e32 v3, 8, v2
	global_store_byte v0, v3, s[8:9]
	v_mov_b32_e32 v0, v1
	s_or_b64 exec, exec, s[0:1]
	v_cmp_gt_i32_e32 vcc, s7, v0
	s_and_saveexec_b64 s[0:1], vcc
	s_cbranch_execz .LBB180_11
.LBB180_15:
	v_add_u32_e32 v1, 0x100, v0
	v_add_u32_e32 v0, s6, v0
	global_store_byte_d16_hi v0, v2, s[8:9]
	v_mov_b32_e32 v0, v1
	s_or_b64 exec, exec, s[0:1]
	v_cmp_gt_i32_e32 vcc, s7, v0
	s_and_saveexec_b64 s[0:1], vcc
	s_cbranch_execz .LBB180_12
.LBB180_16:
	v_add_u32_e32 v0, s6, v0
	v_lshrrev_b32_e32 v1, 24, v2
	global_store_byte v0, v1, s[8:9]
	s_endpgm
	.section	.rodata,"a",@progbits
	.p2align	6, 0x0
	.amdhsa_kernel _ZN2at6native27unrolled_elementwise_kernelINS0_13BinaryFunctorIN3c104HalfES4_bNS0_12_GLOBAL__N_116CompareEqFunctorIS4_EEEESt5arrayIPcLm3EELi4E23TrivialOffsetCalculatorILi2EjESC_ILi1EjENS0_6memory15LoadWithoutCastENSF_16StoreWithoutCastEEEviT_T0_T2_T3_T4_T5_
		.amdhsa_group_segment_fixed_size 0
		.amdhsa_private_segment_fixed_size 0
		.amdhsa_kernarg_size 36
		.amdhsa_user_sgpr_count 6
		.amdhsa_user_sgpr_private_segment_buffer 1
		.amdhsa_user_sgpr_dispatch_ptr 0
		.amdhsa_user_sgpr_queue_ptr 0
		.amdhsa_user_sgpr_kernarg_segment_ptr 1
		.amdhsa_user_sgpr_dispatch_id 0
		.amdhsa_user_sgpr_flat_scratch_init 0
		.amdhsa_user_sgpr_private_segment_size 0
		.amdhsa_uses_dynamic_stack 0
		.amdhsa_system_sgpr_private_segment_wavefront_offset 0
		.amdhsa_system_sgpr_workgroup_id_x 1
		.amdhsa_system_sgpr_workgroup_id_y 0
		.amdhsa_system_sgpr_workgroup_id_z 0
		.amdhsa_system_sgpr_workgroup_info 0
		.amdhsa_system_vgpr_workitem_id 0
		.amdhsa_next_free_vgpr 15
		.amdhsa_next_free_sgpr 14
		.amdhsa_reserve_vcc 1
		.amdhsa_reserve_flat_scratch 0
		.amdhsa_float_round_mode_32 0
		.amdhsa_float_round_mode_16_64 0
		.amdhsa_float_denorm_mode_32 3
		.amdhsa_float_denorm_mode_16_64 3
		.amdhsa_dx10_clamp 1
		.amdhsa_ieee_mode 1
		.amdhsa_fp16_overflow 0
		.amdhsa_exception_fp_ieee_invalid_op 0
		.amdhsa_exception_fp_denorm_src 0
		.amdhsa_exception_fp_ieee_div_zero 0
		.amdhsa_exception_fp_ieee_overflow 0
		.amdhsa_exception_fp_ieee_underflow 0
		.amdhsa_exception_fp_ieee_inexact 0
		.amdhsa_exception_int_div_zero 0
	.end_amdhsa_kernel
	.section	.text._ZN2at6native27unrolled_elementwise_kernelINS0_13BinaryFunctorIN3c104HalfES4_bNS0_12_GLOBAL__N_116CompareEqFunctorIS4_EEEESt5arrayIPcLm3EELi4E23TrivialOffsetCalculatorILi2EjESC_ILi1EjENS0_6memory15LoadWithoutCastENSF_16StoreWithoutCastEEEviT_T0_T2_T3_T4_T5_,"axG",@progbits,_ZN2at6native27unrolled_elementwise_kernelINS0_13BinaryFunctorIN3c104HalfES4_bNS0_12_GLOBAL__N_116CompareEqFunctorIS4_EEEESt5arrayIPcLm3EELi4E23TrivialOffsetCalculatorILi2EjESC_ILi1EjENS0_6memory15LoadWithoutCastENSF_16StoreWithoutCastEEEviT_T0_T2_T3_T4_T5_,comdat
.Lfunc_end180:
	.size	_ZN2at6native27unrolled_elementwise_kernelINS0_13BinaryFunctorIN3c104HalfES4_bNS0_12_GLOBAL__N_116CompareEqFunctorIS4_EEEESt5arrayIPcLm3EELi4E23TrivialOffsetCalculatorILi2EjESC_ILi1EjENS0_6memory15LoadWithoutCastENSF_16StoreWithoutCastEEEviT_T0_T2_T3_T4_T5_, .Lfunc_end180-_ZN2at6native27unrolled_elementwise_kernelINS0_13BinaryFunctorIN3c104HalfES4_bNS0_12_GLOBAL__N_116CompareEqFunctorIS4_EEEESt5arrayIPcLm3EELi4E23TrivialOffsetCalculatorILi2EjESC_ILi1EjENS0_6memory15LoadWithoutCastENSF_16StoreWithoutCastEEEviT_T0_T2_T3_T4_T5_
                                        ; -- End function
	.set _ZN2at6native27unrolled_elementwise_kernelINS0_13BinaryFunctorIN3c104HalfES4_bNS0_12_GLOBAL__N_116CompareEqFunctorIS4_EEEESt5arrayIPcLm3EELi4E23TrivialOffsetCalculatorILi2EjESC_ILi1EjENS0_6memory15LoadWithoutCastENSF_16StoreWithoutCastEEEviT_T0_T2_T3_T4_T5_.num_vgpr, 15
	.set _ZN2at6native27unrolled_elementwise_kernelINS0_13BinaryFunctorIN3c104HalfES4_bNS0_12_GLOBAL__N_116CompareEqFunctorIS4_EEEESt5arrayIPcLm3EELi4E23TrivialOffsetCalculatorILi2EjESC_ILi1EjENS0_6memory15LoadWithoutCastENSF_16StoreWithoutCastEEEviT_T0_T2_T3_T4_T5_.num_agpr, 0
	.set _ZN2at6native27unrolled_elementwise_kernelINS0_13BinaryFunctorIN3c104HalfES4_bNS0_12_GLOBAL__N_116CompareEqFunctorIS4_EEEESt5arrayIPcLm3EELi4E23TrivialOffsetCalculatorILi2EjESC_ILi1EjENS0_6memory15LoadWithoutCastENSF_16StoreWithoutCastEEEviT_T0_T2_T3_T4_T5_.numbered_sgpr, 14
	.set _ZN2at6native27unrolled_elementwise_kernelINS0_13BinaryFunctorIN3c104HalfES4_bNS0_12_GLOBAL__N_116CompareEqFunctorIS4_EEEESt5arrayIPcLm3EELi4E23TrivialOffsetCalculatorILi2EjESC_ILi1EjENS0_6memory15LoadWithoutCastENSF_16StoreWithoutCastEEEviT_T0_T2_T3_T4_T5_.num_named_barrier, 0
	.set _ZN2at6native27unrolled_elementwise_kernelINS0_13BinaryFunctorIN3c104HalfES4_bNS0_12_GLOBAL__N_116CompareEqFunctorIS4_EEEESt5arrayIPcLm3EELi4E23TrivialOffsetCalculatorILi2EjESC_ILi1EjENS0_6memory15LoadWithoutCastENSF_16StoreWithoutCastEEEviT_T0_T2_T3_T4_T5_.private_seg_size, 0
	.set _ZN2at6native27unrolled_elementwise_kernelINS0_13BinaryFunctorIN3c104HalfES4_bNS0_12_GLOBAL__N_116CompareEqFunctorIS4_EEEESt5arrayIPcLm3EELi4E23TrivialOffsetCalculatorILi2EjESC_ILi1EjENS0_6memory15LoadWithoutCastENSF_16StoreWithoutCastEEEviT_T0_T2_T3_T4_T5_.uses_vcc, 1
	.set _ZN2at6native27unrolled_elementwise_kernelINS0_13BinaryFunctorIN3c104HalfES4_bNS0_12_GLOBAL__N_116CompareEqFunctorIS4_EEEESt5arrayIPcLm3EELi4E23TrivialOffsetCalculatorILi2EjESC_ILi1EjENS0_6memory15LoadWithoutCastENSF_16StoreWithoutCastEEEviT_T0_T2_T3_T4_T5_.uses_flat_scratch, 0
	.set _ZN2at6native27unrolled_elementwise_kernelINS0_13BinaryFunctorIN3c104HalfES4_bNS0_12_GLOBAL__N_116CompareEqFunctorIS4_EEEESt5arrayIPcLm3EELi4E23TrivialOffsetCalculatorILi2EjESC_ILi1EjENS0_6memory15LoadWithoutCastENSF_16StoreWithoutCastEEEviT_T0_T2_T3_T4_T5_.has_dyn_sized_stack, 0
	.set _ZN2at6native27unrolled_elementwise_kernelINS0_13BinaryFunctorIN3c104HalfES4_bNS0_12_GLOBAL__N_116CompareEqFunctorIS4_EEEESt5arrayIPcLm3EELi4E23TrivialOffsetCalculatorILi2EjESC_ILi1EjENS0_6memory15LoadWithoutCastENSF_16StoreWithoutCastEEEviT_T0_T2_T3_T4_T5_.has_recursion, 0
	.set _ZN2at6native27unrolled_elementwise_kernelINS0_13BinaryFunctorIN3c104HalfES4_bNS0_12_GLOBAL__N_116CompareEqFunctorIS4_EEEESt5arrayIPcLm3EELi4E23TrivialOffsetCalculatorILi2EjESC_ILi1EjENS0_6memory15LoadWithoutCastENSF_16StoreWithoutCastEEEviT_T0_T2_T3_T4_T5_.has_indirect_call, 0
	.section	.AMDGPU.csdata,"",@progbits
; Kernel info:
; codeLenInByte = 988
; TotalNumSgprs: 18
; NumVgprs: 15
; ScratchSize: 0
; MemoryBound: 0
; FloatMode: 240
; IeeeMode: 1
; LDSByteSize: 0 bytes/workgroup (compile time only)
; SGPRBlocks: 2
; VGPRBlocks: 3
; NumSGPRsForWavesPerEU: 18
; NumVGPRsForWavesPerEU: 15
; Occupancy: 10
; WaveLimiterHint : 0
; COMPUTE_PGM_RSRC2:SCRATCH_EN: 0
; COMPUTE_PGM_RSRC2:USER_SGPR: 6
; COMPUTE_PGM_RSRC2:TRAP_HANDLER: 0
; COMPUTE_PGM_RSRC2:TGID_X_EN: 1
; COMPUTE_PGM_RSRC2:TGID_Y_EN: 0
; COMPUTE_PGM_RSRC2:TGID_Z_EN: 0
; COMPUTE_PGM_RSRC2:TIDIG_COMP_CNT: 0
	.section	.text._ZN2at6native32elementwise_kernel_manual_unrollILi128ELi8EZNS0_22gpu_kernel_impl_nocastINS0_13BinaryFunctorIN3c104HalfES5_bNS0_12_GLOBAL__N_116CompareEqFunctorIS5_EEEEEEvRNS_18TensorIteratorBaseERKT_EUlibE_EEviT1_,"axG",@progbits,_ZN2at6native32elementwise_kernel_manual_unrollILi128ELi8EZNS0_22gpu_kernel_impl_nocastINS0_13BinaryFunctorIN3c104HalfES5_bNS0_12_GLOBAL__N_116CompareEqFunctorIS5_EEEEEEvRNS_18TensorIteratorBaseERKT_EUlibE_EEviT1_,comdat
	.globl	_ZN2at6native32elementwise_kernel_manual_unrollILi128ELi8EZNS0_22gpu_kernel_impl_nocastINS0_13BinaryFunctorIN3c104HalfES5_bNS0_12_GLOBAL__N_116CompareEqFunctorIS5_EEEEEEvRNS_18TensorIteratorBaseERKT_EUlibE_EEviT1_ ; -- Begin function _ZN2at6native32elementwise_kernel_manual_unrollILi128ELi8EZNS0_22gpu_kernel_impl_nocastINS0_13BinaryFunctorIN3c104HalfES5_bNS0_12_GLOBAL__N_116CompareEqFunctorIS5_EEEEEEvRNS_18TensorIteratorBaseERKT_EUlibE_EEviT1_
	.p2align	8
	.type	_ZN2at6native32elementwise_kernel_manual_unrollILi128ELi8EZNS0_22gpu_kernel_impl_nocastINS0_13BinaryFunctorIN3c104HalfES5_bNS0_12_GLOBAL__N_116CompareEqFunctorIS5_EEEEEEvRNS_18TensorIteratorBaseERKT_EUlibE_EEviT1_,@function
_ZN2at6native32elementwise_kernel_manual_unrollILi128ELi8EZNS0_22gpu_kernel_impl_nocastINS0_13BinaryFunctorIN3c104HalfES5_bNS0_12_GLOBAL__N_116CompareEqFunctorIS5_EEEEEEvRNS_18TensorIteratorBaseERKT_EUlibE_EEviT1_: ; @_ZN2at6native32elementwise_kernel_manual_unrollILi128ELi8EZNS0_22gpu_kernel_impl_nocastINS0_13BinaryFunctorIN3c104HalfES5_bNS0_12_GLOBAL__N_116CompareEqFunctorIS5_EEEEEEvRNS_18TensorIteratorBaseERKT_EUlibE_EEviT1_
; %bb.0:
	s_load_dword s38, s[4:5], 0x0
	s_load_dword s33, s[4:5], 0x8
	s_add_u32 s2, s4, 8
	s_addc_u32 s3, s5, 0
	v_lshl_or_b32 v31, s6, 10, v0
	v_or_b32_e32 v41, 0x380, v31
	s_waitcnt lgkmcnt(0)
	s_add_i32 s36, s33, -1
	s_cmp_gt_u32 s36, 1
	v_cmp_le_i32_e32 vcc, s38, v41
	s_cselect_b64 s[16:17], -1, 0
	s_and_saveexec_b64 s[0:1], vcc
	s_xor_b64 s[18:19], exec, s[0:1]
	s_cbranch_execz .LBB181_106
; %bb.1:
	s_load_dwordx4 s[12:15], s[2:3], 0x4
	s_load_dwordx2 s[24:25], s[2:3], 0x14
	s_load_dwordx4 s[8:11], s[2:3], 0xc4
	s_load_dwordx2 s[22:23], s[2:3], 0xd4
	s_load_dword s0, s[2:3], 0x1a0
	s_cmp_lg_u32 s33, 0
	s_load_dwordx2 s[20:21], s[2:3], 0x198
	s_load_dwordx4 s[4:7], s[2:3], 0x188
	s_cselect_b64 s[28:29], -1, 0
	s_min_u32 s37, s36, 15
	s_cmp_gt_u32 s33, 1
	s_cselect_b64 s[26:27], -1, 0
	s_waitcnt lgkmcnt(0)
	s_cmp_eq_u32 s0, 0
	s_cselect_b64 s[0:1], -1, 0
	v_cmp_gt_i32_e32 vcc, s38, v31
	s_and_saveexec_b64 s[30:31], vcc
	s_cbranch_execnz .LBB181_9
; %bb.2:
	s_or_b64 exec, exec, s[30:31]
	v_cmp_gt_i32_e32 vcc, s38, v31
	s_and_saveexec_b64 s[30:31], vcc
	s_cbranch_execnz .LBB181_21
.LBB181_3:
	s_or_b64 exec, exec, s[30:31]
	v_cmp_gt_i32_e32 vcc, s38, v31
	s_and_saveexec_b64 s[30:31], vcc
	s_cbranch_execnz .LBB181_33
.LBB181_4:
	s_or_b64 exec, exec, s[30:31]
	v_cmp_gt_i32_e32 vcc, s38, v31
	s_and_saveexec_b64 s[30:31], vcc
	s_cbranch_execnz .LBB181_45
.LBB181_5:
	s_or_b64 exec, exec, s[30:31]
	v_cmp_gt_i32_e32 vcc, s38, v31
	s_and_saveexec_b64 s[30:31], vcc
	s_cbranch_execnz .LBB181_57
.LBB181_6:
	s_or_b64 exec, exec, s[30:31]
	v_cmp_gt_i32_e32 vcc, s38, v31
	s_and_saveexec_b64 s[30:31], vcc
	s_cbranch_execnz .LBB181_69
.LBB181_7:
	s_or_b64 exec, exec, s[30:31]
	v_cmp_gt_i32_e32 vcc, s38, v31
	s_and_saveexec_b64 s[30:31], vcc
	s_cbranch_execnz .LBB181_81
.LBB181_8:
	s_or_b64 exec, exec, s[30:31]
	v_cmp_gt_i32_e32 vcc, s38, v31
	s_and_saveexec_b64 s[30:31], vcc
	s_cbranch_execnz .LBB181_93
	s_branch .LBB181_105
.LBB181_9:
	s_andn2_b64 vcc, exec, s[16:17]
	s_cbranch_vccnz .LBB181_15
; %bb.10:
	s_andn2_b64 vcc, exec, s[28:29]
	s_cbranch_vccnz .LBB181_16
; %bb.11:
	s_add_i32 s34, s37, 1
	s_and_b32 s39, s34, 30
	s_add_u32 s34, s2, 0xffffffe8
	s_addc_u32 s35, s3, -1
	v_mov_b32_e32 v2, 0
	v_mov_b32_e32 v4, 0
	v_mov_b32_e32 v0, 0
	v_mov_b32_e32 v1, v31
.LBB181_12:                             ; =>This Inner Loop Header: Depth=1
	s_load_dwordx4 s[40:43], s[34:35], 0x1c
	s_load_dwordx2 s[48:49], s[34:35], 0x2c
	s_load_dwordx2 s[50:51], s[34:35], 0xec
	s_load_dwordx4 s[44:47], s[34:35], 0xdc
	s_add_u32 s34, s34, 24
	s_waitcnt lgkmcnt(0)
	v_mul_hi_u32 v3, s41, v1
	s_addc_u32 s35, s35, 0
	s_add_i32 s39, s39, -2
	s_cmp_lg_u32 s39, 0
	v_add_u32_e32 v3, v1, v3
	v_lshrrev_b32_e32 v3, s42, v3
	v_mul_lo_u32 v5, v3, s40
	v_mul_hi_u32 v6, s48, v3
	v_sub_u32_e32 v5, v1, v5
	v_add_u32_e32 v1, v3, v6
	v_lshrrev_b32_e32 v1, s49, v1
	v_mul_lo_u32 v8, v1, s43
	v_mul_lo_u32 v6, v5, s44
	;; [unrolled: 1-line block ×4, first 2 shown]
	v_sub_u32_e32 v3, v3, v8
	v_mul_lo_u32 v8, v3, s47
	v_mul_lo_u32 v9, v3, s50
	;; [unrolled: 1-line block ×3, first 2 shown]
	v_add3_u32 v0, v6, v0, v8
	v_add3_u32 v4, v7, v4, v9
	;; [unrolled: 1-line block ×3, first 2 shown]
	s_cbranch_scc1 .LBB181_12
; %bb.13:
	s_bitcmp1_b32 s37, 0
	s_cselect_b64 s[40:41], -1, 0
	s_and_b64 vcc, exec, s[40:41]
	s_cbranch_vccnz .LBB181_17
; %bb.14:
	s_load_dwordx2 s[40:41], s[34:35], 0x1c
	s_load_dword s39, s[34:35], 0x24
	s_load_dwordx2 s[42:43], s[34:35], 0xdc
	s_waitcnt lgkmcnt(0)
	v_mul_hi_u32 v3, s41, v1
	v_add_u32_e32 v3, v1, v3
	v_lshrrev_b32_e32 v3, s39, v3
	v_mul_lo_u32 v3, v3, s40
	s_load_dword s39, s[34:35], 0xe4
	v_sub_u32_e32 v3, v1, v3
	v_mad_u64_u32 v[0:1], s[34:35], v3, s42, v[0:1]
	v_mad_u64_u32 v[4:5], s[34:35], v3, s43, v[4:5]
	s_waitcnt lgkmcnt(0)
	v_mad_u64_u32 v[2:3], s[34:35], v3, s39, v[2:3]
	s_cbranch_execz .LBB181_18
	s_branch .LBB181_20
.LBB181_15:
                                        ; implicit-def: $vgpr0
                                        ; implicit-def: $vgpr4
                                        ; implicit-def: $vgpr2
	s_branch .LBB181_18
.LBB181_16:
	v_mov_b32_e32 v0, 0
	v_mov_b32_e32 v4, 0
	;; [unrolled: 1-line block ×3, first 2 shown]
.LBB181_17:
	s_cbranch_execnz .LBB181_20
.LBB181_18:
	v_mul_hi_u32 v0, s13, v31
	s_andn2_b64 vcc, exec, s[26:27]
	v_add_u32_e32 v0, v31, v0
	v_lshrrev_b32_e32 v1, s14, v0
	v_mul_lo_u32 v0, v1, s12
	v_sub_u32_e32 v2, v31, v0
	v_mul_lo_u32 v0, v2, s8
	v_mul_lo_u32 v4, v2, s9
	;; [unrolled: 1-line block ×3, first 2 shown]
	s_cbranch_vccnz .LBB181_20
; %bb.19:
	v_mul_hi_u32 v3, s24, v1
	v_add_u32_e32 v3, v1, v3
	v_lshrrev_b32_e32 v3, s25, v3
	v_mul_lo_u32 v3, v3, s15
	v_sub_u32_e32 v3, v1, v3
	v_mad_u64_u32 v[0:1], s[34:35], v3, s11, v[0:1]
	v_mad_u64_u32 v[4:5], s[34:35], v3, s22, v[4:5]
	;; [unrolled: 1-line block ×3, first 2 shown]
.LBB181_20:
	global_load_ushort v1, v4, s[6:7]
	global_load_ushort v3, v2, s[20:21]
	v_add_u32_e32 v31, 0x80, v31
	s_waitcnt vmcnt(0)
	v_cmp_eq_f16_e32 vcc, v1, v3
	v_cndmask_b32_e64 v2, 0, 1, vcc
	v_cmp_neq_f16_e32 vcc, v1, v3
	v_cndmask_b32_e64 v1, 0, 1, vcc
	v_cndmask_b32_e64 v1, v1, v2, s[0:1]
	v_and_b32_e32 v1, 1, v1
	global_store_byte v0, v1, s[4:5]
	s_or_b64 exec, exec, s[30:31]
	v_cmp_gt_i32_e32 vcc, s38, v31
	s_and_saveexec_b64 s[30:31], vcc
	s_cbranch_execz .LBB181_3
.LBB181_21:
	s_andn2_b64 vcc, exec, s[16:17]
	s_cbranch_vccnz .LBB181_27
; %bb.22:
	s_andn2_b64 vcc, exec, s[28:29]
	s_cbranch_vccnz .LBB181_28
; %bb.23:
	s_add_i32 s34, s37, 1
	s_and_b32 s39, s34, 30
	s_add_u32 s34, s2, 0xffffffe8
	s_addc_u32 s35, s3, -1
	v_mov_b32_e32 v2, 0
	v_mov_b32_e32 v4, 0
	;; [unrolled: 1-line block ×4, first 2 shown]
.LBB181_24:                             ; =>This Inner Loop Header: Depth=1
	s_load_dwordx4 s[40:43], s[34:35], 0x1c
	s_load_dwordx2 s[48:49], s[34:35], 0x2c
	s_load_dwordx2 s[50:51], s[34:35], 0xec
	s_load_dwordx4 s[44:47], s[34:35], 0xdc
	s_add_u32 s34, s34, 24
	s_waitcnt lgkmcnt(0)
	v_mul_hi_u32 v3, s41, v1
	s_addc_u32 s35, s35, 0
	s_add_i32 s39, s39, -2
	s_cmp_eq_u32 s39, 0
	v_add_u32_e32 v3, v1, v3
	v_lshrrev_b32_e32 v3, s42, v3
	v_mul_lo_u32 v5, v3, s40
	v_mul_hi_u32 v6, s48, v3
	v_sub_u32_e32 v5, v1, v5
	v_add_u32_e32 v1, v3, v6
	v_lshrrev_b32_e32 v1, s49, v1
	v_mul_lo_u32 v8, v1, s43
	v_mul_lo_u32 v6, v5, s44
	;; [unrolled: 1-line block ×4, first 2 shown]
	v_sub_u32_e32 v3, v3, v8
	v_mul_lo_u32 v8, v3, s47
	v_mul_lo_u32 v9, v3, s50
	;; [unrolled: 1-line block ×3, first 2 shown]
	v_add3_u32 v0, v6, v0, v8
	v_add3_u32 v4, v7, v4, v9
	;; [unrolled: 1-line block ×3, first 2 shown]
	s_cbranch_scc0 .LBB181_24
; %bb.25:
	s_bitcmp1_b32 s37, 0
	s_cselect_b64 s[40:41], -1, 0
	s_and_b64 vcc, exec, s[40:41]
	s_cbranch_vccnz .LBB181_29
; %bb.26:
	s_load_dwordx2 s[40:41], s[34:35], 0x1c
	s_load_dword s39, s[34:35], 0x24
	s_load_dwordx2 s[42:43], s[34:35], 0xdc
	s_waitcnt lgkmcnt(0)
	v_mul_hi_u32 v3, s41, v1
	v_add_u32_e32 v3, v1, v3
	v_lshrrev_b32_e32 v3, s39, v3
	v_mul_lo_u32 v3, v3, s40
	s_load_dword s39, s[34:35], 0xe4
	v_sub_u32_e32 v3, v1, v3
	v_mad_u64_u32 v[0:1], s[34:35], v3, s42, v[0:1]
	v_mad_u64_u32 v[4:5], s[34:35], v3, s43, v[4:5]
	s_waitcnt lgkmcnt(0)
	v_mad_u64_u32 v[2:3], s[34:35], v3, s39, v[2:3]
	s_branch .LBB181_29
.LBB181_27:
                                        ; implicit-def: $vgpr0
                                        ; implicit-def: $vgpr4
                                        ; implicit-def: $vgpr2
	s_branch .LBB181_30
.LBB181_28:
	v_mov_b32_e32 v0, 0
	v_mov_b32_e32 v4, 0
	;; [unrolled: 1-line block ×3, first 2 shown]
.LBB181_29:
	s_cbranch_execnz .LBB181_32
.LBB181_30:
	v_mul_hi_u32 v0, s13, v31
	s_andn2_b64 vcc, exec, s[26:27]
	v_add_u32_e32 v0, v31, v0
	v_lshrrev_b32_e32 v1, s14, v0
	v_mul_lo_u32 v0, v1, s12
	v_sub_u32_e32 v2, v31, v0
	v_mul_lo_u32 v0, v2, s8
	v_mul_lo_u32 v4, v2, s9
	;; [unrolled: 1-line block ×3, first 2 shown]
	s_cbranch_vccnz .LBB181_32
; %bb.31:
	v_mul_hi_u32 v3, s24, v1
	v_add_u32_e32 v3, v1, v3
	v_lshrrev_b32_e32 v3, s25, v3
	v_mul_lo_u32 v3, v3, s15
	v_sub_u32_e32 v3, v1, v3
	v_mad_u64_u32 v[0:1], s[34:35], v3, s11, v[0:1]
	v_mad_u64_u32 v[4:5], s[34:35], v3, s22, v[4:5]
	;; [unrolled: 1-line block ×3, first 2 shown]
.LBB181_32:
	global_load_ushort v1, v4, s[6:7]
	global_load_ushort v3, v2, s[20:21]
	v_add_u32_e32 v31, 0x80, v31
	s_waitcnt vmcnt(0)
	v_cmp_eq_f16_e32 vcc, v1, v3
	v_cndmask_b32_e64 v2, 0, 1, vcc
	v_cmp_neq_f16_e32 vcc, v1, v3
	v_cndmask_b32_e64 v1, 0, 1, vcc
	v_cndmask_b32_e64 v1, v1, v2, s[0:1]
	v_and_b32_e32 v1, 1, v1
	global_store_byte v0, v1, s[4:5]
	s_or_b64 exec, exec, s[30:31]
	v_cmp_gt_i32_e32 vcc, s38, v31
	s_and_saveexec_b64 s[30:31], vcc
	s_cbranch_execz .LBB181_4
.LBB181_33:
	s_andn2_b64 vcc, exec, s[16:17]
	s_cbranch_vccnz .LBB181_39
; %bb.34:
	s_andn2_b64 vcc, exec, s[28:29]
	s_cbranch_vccnz .LBB181_40
; %bb.35:
	s_add_i32 s34, s37, 1
	s_and_b32 s39, s34, 30
	s_add_u32 s34, s2, 0xffffffe8
	s_addc_u32 s35, s3, -1
	v_mov_b32_e32 v2, 0
	v_mov_b32_e32 v4, 0
	;; [unrolled: 1-line block ×4, first 2 shown]
.LBB181_36:                             ; =>This Inner Loop Header: Depth=1
	s_load_dwordx4 s[40:43], s[34:35], 0x1c
	s_load_dwordx2 s[48:49], s[34:35], 0x2c
	s_load_dwordx2 s[50:51], s[34:35], 0xec
	s_load_dwordx4 s[44:47], s[34:35], 0xdc
	s_add_u32 s34, s34, 24
	s_waitcnt lgkmcnt(0)
	v_mul_hi_u32 v3, s41, v1
	s_addc_u32 s35, s35, 0
	s_add_i32 s39, s39, -2
	s_cmp_eq_u32 s39, 0
	v_add_u32_e32 v3, v1, v3
	v_lshrrev_b32_e32 v3, s42, v3
	v_mul_lo_u32 v5, v3, s40
	v_mul_hi_u32 v6, s48, v3
	v_sub_u32_e32 v5, v1, v5
	v_add_u32_e32 v1, v3, v6
	v_lshrrev_b32_e32 v1, s49, v1
	v_mul_lo_u32 v8, v1, s43
	v_mul_lo_u32 v6, v5, s44
	v_mul_lo_u32 v7, v5, s45
	v_mul_lo_u32 v5, v5, s46
	v_sub_u32_e32 v3, v3, v8
	v_mul_lo_u32 v8, v3, s47
	v_mul_lo_u32 v9, v3, s50
	;; [unrolled: 1-line block ×3, first 2 shown]
	v_add3_u32 v0, v6, v0, v8
	v_add3_u32 v4, v7, v4, v9
	;; [unrolled: 1-line block ×3, first 2 shown]
	s_cbranch_scc0 .LBB181_36
; %bb.37:
	s_bitcmp1_b32 s37, 0
	s_cselect_b64 s[40:41], -1, 0
	s_and_b64 vcc, exec, s[40:41]
	s_cbranch_vccnz .LBB181_41
; %bb.38:
	s_load_dwordx2 s[40:41], s[34:35], 0x1c
	s_load_dword s39, s[34:35], 0x24
	s_load_dwordx2 s[42:43], s[34:35], 0xdc
	s_waitcnt lgkmcnt(0)
	v_mul_hi_u32 v3, s41, v1
	v_add_u32_e32 v3, v1, v3
	v_lshrrev_b32_e32 v3, s39, v3
	v_mul_lo_u32 v3, v3, s40
	s_load_dword s39, s[34:35], 0xe4
	v_sub_u32_e32 v3, v1, v3
	v_mad_u64_u32 v[0:1], s[34:35], v3, s42, v[0:1]
	v_mad_u64_u32 v[4:5], s[34:35], v3, s43, v[4:5]
	s_waitcnt lgkmcnt(0)
	v_mad_u64_u32 v[2:3], s[34:35], v3, s39, v[2:3]
	s_branch .LBB181_41
.LBB181_39:
                                        ; implicit-def: $vgpr0
                                        ; implicit-def: $vgpr4
                                        ; implicit-def: $vgpr2
	s_branch .LBB181_42
.LBB181_40:
	v_mov_b32_e32 v0, 0
	v_mov_b32_e32 v4, 0
	;; [unrolled: 1-line block ×3, first 2 shown]
.LBB181_41:
	s_cbranch_execnz .LBB181_44
.LBB181_42:
	v_mul_hi_u32 v0, s13, v31
	s_andn2_b64 vcc, exec, s[26:27]
	v_add_u32_e32 v0, v31, v0
	v_lshrrev_b32_e32 v1, s14, v0
	v_mul_lo_u32 v0, v1, s12
	v_sub_u32_e32 v2, v31, v0
	v_mul_lo_u32 v0, v2, s8
	v_mul_lo_u32 v4, v2, s9
	;; [unrolled: 1-line block ×3, first 2 shown]
	s_cbranch_vccnz .LBB181_44
; %bb.43:
	v_mul_hi_u32 v3, s24, v1
	v_add_u32_e32 v3, v1, v3
	v_lshrrev_b32_e32 v3, s25, v3
	v_mul_lo_u32 v3, v3, s15
	v_sub_u32_e32 v3, v1, v3
	v_mad_u64_u32 v[0:1], s[34:35], v3, s11, v[0:1]
	v_mad_u64_u32 v[4:5], s[34:35], v3, s22, v[4:5]
	;; [unrolled: 1-line block ×3, first 2 shown]
.LBB181_44:
	global_load_ushort v1, v4, s[6:7]
	global_load_ushort v3, v2, s[20:21]
	v_add_u32_e32 v31, 0x80, v31
	s_waitcnt vmcnt(0)
	v_cmp_eq_f16_e32 vcc, v1, v3
	v_cndmask_b32_e64 v2, 0, 1, vcc
	v_cmp_neq_f16_e32 vcc, v1, v3
	v_cndmask_b32_e64 v1, 0, 1, vcc
	v_cndmask_b32_e64 v1, v1, v2, s[0:1]
	v_and_b32_e32 v1, 1, v1
	global_store_byte v0, v1, s[4:5]
	s_or_b64 exec, exec, s[30:31]
	v_cmp_gt_i32_e32 vcc, s38, v31
	s_and_saveexec_b64 s[30:31], vcc
	s_cbranch_execz .LBB181_5
.LBB181_45:
	s_andn2_b64 vcc, exec, s[16:17]
	s_cbranch_vccnz .LBB181_51
; %bb.46:
	s_andn2_b64 vcc, exec, s[28:29]
	s_cbranch_vccnz .LBB181_52
; %bb.47:
	s_add_i32 s34, s37, 1
	s_and_b32 s39, s34, 30
	s_add_u32 s34, s2, 0xffffffe8
	s_addc_u32 s35, s3, -1
	v_mov_b32_e32 v2, 0
	v_mov_b32_e32 v4, 0
	v_mov_b32_e32 v0, 0
	v_mov_b32_e32 v1, v31
.LBB181_48:                             ; =>This Inner Loop Header: Depth=1
	s_load_dwordx4 s[40:43], s[34:35], 0x1c
	s_load_dwordx2 s[48:49], s[34:35], 0x2c
	s_load_dwordx2 s[50:51], s[34:35], 0xec
	s_load_dwordx4 s[44:47], s[34:35], 0xdc
	s_add_u32 s34, s34, 24
	s_waitcnt lgkmcnt(0)
	v_mul_hi_u32 v3, s41, v1
	s_addc_u32 s35, s35, 0
	s_add_i32 s39, s39, -2
	s_cmp_eq_u32 s39, 0
	v_add_u32_e32 v3, v1, v3
	v_lshrrev_b32_e32 v3, s42, v3
	v_mul_lo_u32 v5, v3, s40
	v_mul_hi_u32 v6, s48, v3
	v_sub_u32_e32 v5, v1, v5
	v_add_u32_e32 v1, v3, v6
	v_lshrrev_b32_e32 v1, s49, v1
	v_mul_lo_u32 v8, v1, s43
	v_mul_lo_u32 v6, v5, s44
	;; [unrolled: 1-line block ×4, first 2 shown]
	v_sub_u32_e32 v3, v3, v8
	v_mul_lo_u32 v8, v3, s47
	v_mul_lo_u32 v9, v3, s50
	;; [unrolled: 1-line block ×3, first 2 shown]
	v_add3_u32 v0, v6, v0, v8
	v_add3_u32 v4, v7, v4, v9
	v_add3_u32 v2, v5, v2, v3
	s_cbranch_scc0 .LBB181_48
; %bb.49:
	s_bitcmp1_b32 s37, 0
	s_cselect_b64 s[40:41], -1, 0
	s_and_b64 vcc, exec, s[40:41]
	s_cbranch_vccnz .LBB181_53
; %bb.50:
	s_load_dwordx2 s[40:41], s[34:35], 0x1c
	s_load_dword s39, s[34:35], 0x24
	s_load_dwordx2 s[42:43], s[34:35], 0xdc
	s_waitcnt lgkmcnt(0)
	v_mul_hi_u32 v3, s41, v1
	v_add_u32_e32 v3, v1, v3
	v_lshrrev_b32_e32 v3, s39, v3
	v_mul_lo_u32 v3, v3, s40
	s_load_dword s39, s[34:35], 0xe4
	v_sub_u32_e32 v3, v1, v3
	v_mad_u64_u32 v[0:1], s[34:35], v3, s42, v[0:1]
	v_mad_u64_u32 v[4:5], s[34:35], v3, s43, v[4:5]
	s_waitcnt lgkmcnt(0)
	v_mad_u64_u32 v[2:3], s[34:35], v3, s39, v[2:3]
	s_branch .LBB181_53
.LBB181_51:
                                        ; implicit-def: $vgpr0
                                        ; implicit-def: $vgpr4
                                        ; implicit-def: $vgpr2
	s_branch .LBB181_54
.LBB181_52:
	v_mov_b32_e32 v0, 0
	v_mov_b32_e32 v4, 0
	;; [unrolled: 1-line block ×3, first 2 shown]
.LBB181_53:
	s_cbranch_execnz .LBB181_56
.LBB181_54:
	v_mul_hi_u32 v0, s13, v31
	s_andn2_b64 vcc, exec, s[26:27]
	v_add_u32_e32 v0, v31, v0
	v_lshrrev_b32_e32 v1, s14, v0
	v_mul_lo_u32 v0, v1, s12
	v_sub_u32_e32 v2, v31, v0
	v_mul_lo_u32 v0, v2, s8
	v_mul_lo_u32 v4, v2, s9
	;; [unrolled: 1-line block ×3, first 2 shown]
	s_cbranch_vccnz .LBB181_56
; %bb.55:
	v_mul_hi_u32 v3, s24, v1
	v_add_u32_e32 v3, v1, v3
	v_lshrrev_b32_e32 v3, s25, v3
	v_mul_lo_u32 v3, v3, s15
	v_sub_u32_e32 v3, v1, v3
	v_mad_u64_u32 v[0:1], s[34:35], v3, s11, v[0:1]
	v_mad_u64_u32 v[4:5], s[34:35], v3, s22, v[4:5]
	;; [unrolled: 1-line block ×3, first 2 shown]
.LBB181_56:
	global_load_ushort v1, v4, s[6:7]
	global_load_ushort v3, v2, s[20:21]
	v_add_u32_e32 v31, 0x80, v31
	s_waitcnt vmcnt(0)
	v_cmp_eq_f16_e32 vcc, v1, v3
	v_cndmask_b32_e64 v2, 0, 1, vcc
	v_cmp_neq_f16_e32 vcc, v1, v3
	v_cndmask_b32_e64 v1, 0, 1, vcc
	v_cndmask_b32_e64 v1, v1, v2, s[0:1]
	v_and_b32_e32 v1, 1, v1
	global_store_byte v0, v1, s[4:5]
	s_or_b64 exec, exec, s[30:31]
	v_cmp_gt_i32_e32 vcc, s38, v31
	s_and_saveexec_b64 s[30:31], vcc
	s_cbranch_execz .LBB181_6
.LBB181_57:
	s_andn2_b64 vcc, exec, s[16:17]
	s_cbranch_vccnz .LBB181_63
; %bb.58:
	s_andn2_b64 vcc, exec, s[28:29]
	s_cbranch_vccnz .LBB181_64
; %bb.59:
	s_add_i32 s34, s37, 1
	s_and_b32 s39, s34, 30
	s_add_u32 s34, s2, 0xffffffe8
	s_addc_u32 s35, s3, -1
	v_mov_b32_e32 v2, 0
	v_mov_b32_e32 v4, 0
	;; [unrolled: 1-line block ×4, first 2 shown]
.LBB181_60:                             ; =>This Inner Loop Header: Depth=1
	s_load_dwordx4 s[40:43], s[34:35], 0x1c
	s_load_dwordx2 s[48:49], s[34:35], 0x2c
	s_load_dwordx2 s[50:51], s[34:35], 0xec
	s_load_dwordx4 s[44:47], s[34:35], 0xdc
	s_add_u32 s34, s34, 24
	s_waitcnt lgkmcnt(0)
	v_mul_hi_u32 v3, s41, v1
	s_addc_u32 s35, s35, 0
	s_add_i32 s39, s39, -2
	s_cmp_eq_u32 s39, 0
	v_add_u32_e32 v3, v1, v3
	v_lshrrev_b32_e32 v3, s42, v3
	v_mul_lo_u32 v5, v3, s40
	v_mul_hi_u32 v6, s48, v3
	v_sub_u32_e32 v5, v1, v5
	v_add_u32_e32 v1, v3, v6
	v_lshrrev_b32_e32 v1, s49, v1
	v_mul_lo_u32 v8, v1, s43
	v_mul_lo_u32 v6, v5, s44
	;; [unrolled: 1-line block ×4, first 2 shown]
	v_sub_u32_e32 v3, v3, v8
	v_mul_lo_u32 v8, v3, s47
	v_mul_lo_u32 v9, v3, s50
	v_mul_lo_u32 v3, v3, s51
	v_add3_u32 v0, v6, v0, v8
	v_add3_u32 v4, v7, v4, v9
	;; [unrolled: 1-line block ×3, first 2 shown]
	s_cbranch_scc0 .LBB181_60
; %bb.61:
	s_bitcmp1_b32 s37, 0
	s_cselect_b64 s[40:41], -1, 0
	s_and_b64 vcc, exec, s[40:41]
	s_cbranch_vccnz .LBB181_65
; %bb.62:
	s_load_dwordx2 s[40:41], s[34:35], 0x1c
	s_load_dword s39, s[34:35], 0x24
	s_load_dwordx2 s[42:43], s[34:35], 0xdc
	s_waitcnt lgkmcnt(0)
	v_mul_hi_u32 v3, s41, v1
	v_add_u32_e32 v3, v1, v3
	v_lshrrev_b32_e32 v3, s39, v3
	v_mul_lo_u32 v3, v3, s40
	s_load_dword s39, s[34:35], 0xe4
	v_sub_u32_e32 v3, v1, v3
	v_mad_u64_u32 v[0:1], s[34:35], v3, s42, v[0:1]
	v_mad_u64_u32 v[4:5], s[34:35], v3, s43, v[4:5]
	s_waitcnt lgkmcnt(0)
	v_mad_u64_u32 v[2:3], s[34:35], v3, s39, v[2:3]
	s_branch .LBB181_65
.LBB181_63:
                                        ; implicit-def: $vgpr0
                                        ; implicit-def: $vgpr4
                                        ; implicit-def: $vgpr2
	s_branch .LBB181_66
.LBB181_64:
	v_mov_b32_e32 v0, 0
	v_mov_b32_e32 v4, 0
	;; [unrolled: 1-line block ×3, first 2 shown]
.LBB181_65:
	s_cbranch_execnz .LBB181_68
.LBB181_66:
	v_mul_hi_u32 v0, s13, v31
	s_andn2_b64 vcc, exec, s[26:27]
	v_add_u32_e32 v0, v31, v0
	v_lshrrev_b32_e32 v1, s14, v0
	v_mul_lo_u32 v0, v1, s12
	v_sub_u32_e32 v2, v31, v0
	v_mul_lo_u32 v0, v2, s8
	v_mul_lo_u32 v4, v2, s9
	v_mul_lo_u32 v2, v2, s10
	s_cbranch_vccnz .LBB181_68
; %bb.67:
	v_mul_hi_u32 v3, s24, v1
	v_add_u32_e32 v3, v1, v3
	v_lshrrev_b32_e32 v3, s25, v3
	v_mul_lo_u32 v3, v3, s15
	v_sub_u32_e32 v3, v1, v3
	v_mad_u64_u32 v[0:1], s[34:35], v3, s11, v[0:1]
	v_mad_u64_u32 v[4:5], s[34:35], v3, s22, v[4:5]
	;; [unrolled: 1-line block ×3, first 2 shown]
.LBB181_68:
	global_load_ushort v1, v4, s[6:7]
	global_load_ushort v3, v2, s[20:21]
	v_add_u32_e32 v31, 0x80, v31
	s_waitcnt vmcnt(0)
	v_cmp_eq_f16_e32 vcc, v1, v3
	v_cndmask_b32_e64 v2, 0, 1, vcc
	v_cmp_neq_f16_e32 vcc, v1, v3
	v_cndmask_b32_e64 v1, 0, 1, vcc
	v_cndmask_b32_e64 v1, v1, v2, s[0:1]
	v_and_b32_e32 v1, 1, v1
	global_store_byte v0, v1, s[4:5]
	s_or_b64 exec, exec, s[30:31]
	v_cmp_gt_i32_e32 vcc, s38, v31
	s_and_saveexec_b64 s[30:31], vcc
	s_cbranch_execz .LBB181_7
.LBB181_69:
	s_andn2_b64 vcc, exec, s[16:17]
	s_cbranch_vccnz .LBB181_75
; %bb.70:
	s_andn2_b64 vcc, exec, s[28:29]
	s_cbranch_vccnz .LBB181_76
; %bb.71:
	s_add_i32 s34, s37, 1
	s_and_b32 s39, s34, 30
	s_add_u32 s34, s2, 0xffffffe8
	s_addc_u32 s35, s3, -1
	v_mov_b32_e32 v2, 0
	v_mov_b32_e32 v4, 0
	;; [unrolled: 1-line block ×4, first 2 shown]
.LBB181_72:                             ; =>This Inner Loop Header: Depth=1
	s_load_dwordx4 s[40:43], s[34:35], 0x1c
	s_load_dwordx2 s[48:49], s[34:35], 0x2c
	s_load_dwordx2 s[50:51], s[34:35], 0xec
	s_load_dwordx4 s[44:47], s[34:35], 0xdc
	s_add_u32 s34, s34, 24
	s_waitcnt lgkmcnt(0)
	v_mul_hi_u32 v3, s41, v1
	s_addc_u32 s35, s35, 0
	s_add_i32 s39, s39, -2
	s_cmp_eq_u32 s39, 0
	v_add_u32_e32 v3, v1, v3
	v_lshrrev_b32_e32 v3, s42, v3
	v_mul_lo_u32 v5, v3, s40
	v_mul_hi_u32 v6, s48, v3
	v_sub_u32_e32 v5, v1, v5
	v_add_u32_e32 v1, v3, v6
	v_lshrrev_b32_e32 v1, s49, v1
	v_mul_lo_u32 v8, v1, s43
	v_mul_lo_u32 v6, v5, s44
	;; [unrolled: 1-line block ×4, first 2 shown]
	v_sub_u32_e32 v3, v3, v8
	v_mul_lo_u32 v8, v3, s47
	v_mul_lo_u32 v9, v3, s50
	;; [unrolled: 1-line block ×3, first 2 shown]
	v_add3_u32 v0, v6, v0, v8
	v_add3_u32 v4, v7, v4, v9
	v_add3_u32 v2, v5, v2, v3
	s_cbranch_scc0 .LBB181_72
; %bb.73:
	s_bitcmp1_b32 s37, 0
	s_cselect_b64 s[40:41], -1, 0
	s_and_b64 vcc, exec, s[40:41]
	s_cbranch_vccnz .LBB181_77
; %bb.74:
	s_load_dwordx2 s[40:41], s[34:35], 0x1c
	s_load_dword s39, s[34:35], 0x24
	s_load_dwordx2 s[42:43], s[34:35], 0xdc
	s_waitcnt lgkmcnt(0)
	v_mul_hi_u32 v3, s41, v1
	v_add_u32_e32 v3, v1, v3
	v_lshrrev_b32_e32 v3, s39, v3
	v_mul_lo_u32 v3, v3, s40
	s_load_dword s39, s[34:35], 0xe4
	v_sub_u32_e32 v3, v1, v3
	v_mad_u64_u32 v[0:1], s[34:35], v3, s42, v[0:1]
	v_mad_u64_u32 v[4:5], s[34:35], v3, s43, v[4:5]
	s_waitcnt lgkmcnt(0)
	v_mad_u64_u32 v[2:3], s[34:35], v3, s39, v[2:3]
	s_branch .LBB181_77
.LBB181_75:
                                        ; implicit-def: $vgpr0
                                        ; implicit-def: $vgpr4
                                        ; implicit-def: $vgpr2
	s_branch .LBB181_78
.LBB181_76:
	v_mov_b32_e32 v0, 0
	v_mov_b32_e32 v4, 0
	;; [unrolled: 1-line block ×3, first 2 shown]
.LBB181_77:
	s_cbranch_execnz .LBB181_80
.LBB181_78:
	v_mul_hi_u32 v0, s13, v31
	s_andn2_b64 vcc, exec, s[26:27]
	v_add_u32_e32 v0, v31, v0
	v_lshrrev_b32_e32 v1, s14, v0
	v_mul_lo_u32 v0, v1, s12
	v_sub_u32_e32 v2, v31, v0
	v_mul_lo_u32 v0, v2, s8
	v_mul_lo_u32 v4, v2, s9
	;; [unrolled: 1-line block ×3, first 2 shown]
	s_cbranch_vccnz .LBB181_80
; %bb.79:
	v_mul_hi_u32 v3, s24, v1
	v_add_u32_e32 v3, v1, v3
	v_lshrrev_b32_e32 v3, s25, v3
	v_mul_lo_u32 v3, v3, s15
	v_sub_u32_e32 v3, v1, v3
	v_mad_u64_u32 v[0:1], s[34:35], v3, s11, v[0:1]
	v_mad_u64_u32 v[4:5], s[34:35], v3, s22, v[4:5]
	;; [unrolled: 1-line block ×3, first 2 shown]
.LBB181_80:
	global_load_ushort v1, v4, s[6:7]
	global_load_ushort v3, v2, s[20:21]
	v_add_u32_e32 v31, 0x80, v31
	s_waitcnt vmcnt(0)
	v_cmp_eq_f16_e32 vcc, v1, v3
	v_cndmask_b32_e64 v2, 0, 1, vcc
	v_cmp_neq_f16_e32 vcc, v1, v3
	v_cndmask_b32_e64 v1, 0, 1, vcc
	v_cndmask_b32_e64 v1, v1, v2, s[0:1]
	v_and_b32_e32 v1, 1, v1
	global_store_byte v0, v1, s[4:5]
	s_or_b64 exec, exec, s[30:31]
	v_cmp_gt_i32_e32 vcc, s38, v31
	s_and_saveexec_b64 s[30:31], vcc
	s_cbranch_execz .LBB181_8
.LBB181_81:
	s_andn2_b64 vcc, exec, s[16:17]
	s_cbranch_vccnz .LBB181_87
; %bb.82:
	s_andn2_b64 vcc, exec, s[28:29]
	s_cbranch_vccnz .LBB181_88
; %bb.83:
	s_add_i32 s34, s37, 1
	s_and_b32 s39, s34, 30
	s_add_u32 s34, s2, 0xffffffe8
	s_addc_u32 s35, s3, -1
	v_mov_b32_e32 v2, 0
	v_mov_b32_e32 v4, 0
	;; [unrolled: 1-line block ×4, first 2 shown]
.LBB181_84:                             ; =>This Inner Loop Header: Depth=1
	s_load_dwordx4 s[40:43], s[34:35], 0x1c
	s_load_dwordx2 s[48:49], s[34:35], 0x2c
	s_load_dwordx2 s[50:51], s[34:35], 0xec
	s_load_dwordx4 s[44:47], s[34:35], 0xdc
	s_add_u32 s34, s34, 24
	s_waitcnt lgkmcnt(0)
	v_mul_hi_u32 v3, s41, v1
	s_addc_u32 s35, s35, 0
	s_add_i32 s39, s39, -2
	s_cmp_eq_u32 s39, 0
	v_add_u32_e32 v3, v1, v3
	v_lshrrev_b32_e32 v3, s42, v3
	v_mul_lo_u32 v5, v3, s40
	v_mul_hi_u32 v6, s48, v3
	v_sub_u32_e32 v5, v1, v5
	v_add_u32_e32 v1, v3, v6
	v_lshrrev_b32_e32 v1, s49, v1
	v_mul_lo_u32 v8, v1, s43
	v_mul_lo_u32 v6, v5, s44
	;; [unrolled: 1-line block ×4, first 2 shown]
	v_sub_u32_e32 v3, v3, v8
	v_mul_lo_u32 v8, v3, s47
	v_mul_lo_u32 v9, v3, s50
	;; [unrolled: 1-line block ×3, first 2 shown]
	v_add3_u32 v0, v6, v0, v8
	v_add3_u32 v4, v7, v4, v9
	;; [unrolled: 1-line block ×3, first 2 shown]
	s_cbranch_scc0 .LBB181_84
; %bb.85:
	s_bitcmp1_b32 s37, 0
	s_cselect_b64 s[40:41], -1, 0
	s_and_b64 vcc, exec, s[40:41]
	s_cbranch_vccnz .LBB181_89
; %bb.86:
	s_load_dwordx2 s[40:41], s[34:35], 0x1c
	s_load_dword s39, s[34:35], 0x24
	s_load_dwordx2 s[42:43], s[34:35], 0xdc
	s_waitcnt lgkmcnt(0)
	v_mul_hi_u32 v3, s41, v1
	v_add_u32_e32 v3, v1, v3
	v_lshrrev_b32_e32 v3, s39, v3
	v_mul_lo_u32 v3, v3, s40
	s_load_dword s39, s[34:35], 0xe4
	v_sub_u32_e32 v3, v1, v3
	v_mad_u64_u32 v[0:1], s[34:35], v3, s42, v[0:1]
	v_mad_u64_u32 v[4:5], s[34:35], v3, s43, v[4:5]
	s_waitcnt lgkmcnt(0)
	v_mad_u64_u32 v[2:3], s[34:35], v3, s39, v[2:3]
	s_branch .LBB181_89
.LBB181_87:
                                        ; implicit-def: $vgpr0
                                        ; implicit-def: $vgpr4
                                        ; implicit-def: $vgpr2
	s_branch .LBB181_90
.LBB181_88:
	v_mov_b32_e32 v0, 0
	v_mov_b32_e32 v4, 0
	;; [unrolled: 1-line block ×3, first 2 shown]
.LBB181_89:
	s_cbranch_execnz .LBB181_92
.LBB181_90:
	v_mul_hi_u32 v0, s13, v31
	s_andn2_b64 vcc, exec, s[26:27]
	v_add_u32_e32 v0, v31, v0
	v_lshrrev_b32_e32 v1, s14, v0
	v_mul_lo_u32 v0, v1, s12
	v_sub_u32_e32 v2, v31, v0
	v_mul_lo_u32 v0, v2, s8
	v_mul_lo_u32 v4, v2, s9
	;; [unrolled: 1-line block ×3, first 2 shown]
	s_cbranch_vccnz .LBB181_92
; %bb.91:
	v_mul_hi_u32 v3, s24, v1
	v_add_u32_e32 v3, v1, v3
	v_lshrrev_b32_e32 v3, s25, v3
	v_mul_lo_u32 v3, v3, s15
	v_sub_u32_e32 v3, v1, v3
	v_mad_u64_u32 v[0:1], s[34:35], v3, s11, v[0:1]
	v_mad_u64_u32 v[4:5], s[34:35], v3, s22, v[4:5]
	;; [unrolled: 1-line block ×3, first 2 shown]
.LBB181_92:
	global_load_ushort v1, v4, s[6:7]
	global_load_ushort v3, v2, s[20:21]
	v_add_u32_e32 v31, 0x80, v31
	s_waitcnt vmcnt(0)
	v_cmp_eq_f16_e32 vcc, v1, v3
	v_cndmask_b32_e64 v2, 0, 1, vcc
	v_cmp_neq_f16_e32 vcc, v1, v3
	v_cndmask_b32_e64 v1, 0, 1, vcc
	v_cndmask_b32_e64 v1, v1, v2, s[0:1]
	v_and_b32_e32 v1, 1, v1
	global_store_byte v0, v1, s[4:5]
	s_or_b64 exec, exec, s[30:31]
	v_cmp_gt_i32_e32 vcc, s38, v31
	s_and_saveexec_b64 s[30:31], vcc
	s_cbranch_execz .LBB181_105
.LBB181_93:
	s_andn2_b64 vcc, exec, s[16:17]
	s_cbranch_vccnz .LBB181_99
; %bb.94:
	s_andn2_b64 vcc, exec, s[28:29]
	s_cbranch_vccnz .LBB181_100
; %bb.95:
	s_add_i32 s28, s37, 1
	s_and_b32 s34, s28, 30
	s_add_u32 s28, s2, 0xffffffe8
	s_addc_u32 s29, s3, -1
	v_mov_b32_e32 v4, 0
	v_mov_b32_e32 v2, 0
	;; [unrolled: 1-line block ×4, first 2 shown]
.LBB181_96:                             ; =>This Inner Loop Header: Depth=1
	s_load_dwordx4 s[40:43], s[28:29], 0x1c
	s_load_dwordx2 s[38:39], s[28:29], 0x2c
	s_load_dwordx2 s[48:49], s[28:29], 0xec
	s_load_dwordx4 s[44:47], s[28:29], 0xdc
	s_add_u32 s28, s28, 24
	s_waitcnt lgkmcnt(0)
	v_mul_hi_u32 v3, s41, v1
	s_addc_u32 s29, s29, 0
	s_add_i32 s34, s34, -2
	s_cmp_eq_u32 s34, 0
	v_add_u32_e32 v3, v1, v3
	v_lshrrev_b32_e32 v3, s42, v3
	v_mul_lo_u32 v5, v3, s40
	v_mul_hi_u32 v6, s38, v3
	v_sub_u32_e32 v5, v1, v5
	v_add_u32_e32 v1, v3, v6
	v_lshrrev_b32_e32 v1, s39, v1
	v_mul_lo_u32 v8, v1, s43
	v_mul_lo_u32 v6, v5, s44
	;; [unrolled: 1-line block ×4, first 2 shown]
	v_sub_u32_e32 v3, v3, v8
	v_mul_lo_u32 v8, v3, s47
	v_mul_lo_u32 v9, v3, s48
	;; [unrolled: 1-line block ×3, first 2 shown]
	v_add3_u32 v0, v6, v0, v8
	v_add3_u32 v2, v7, v2, v9
	;; [unrolled: 1-line block ×3, first 2 shown]
	s_cbranch_scc0 .LBB181_96
; %bb.97:
	s_bitcmp1_b32 s37, 0
	s_cselect_b64 s[34:35], -1, 0
	s_and_b64 vcc, exec, s[34:35]
	s_cbranch_vccnz .LBB181_101
; %bb.98:
	s_load_dwordx2 s[34:35], s[28:29], 0x1c
	s_load_dword s37, s[28:29], 0x24
	s_load_dwordx2 s[38:39], s[28:29], 0xdc
	s_waitcnt lgkmcnt(0)
	v_mul_hi_u32 v3, s35, v1
	v_add_u32_e32 v3, v1, v3
	v_lshrrev_b32_e32 v3, s37, v3
	v_mul_lo_u32 v3, v3, s34
	s_load_dword s34, s[28:29], 0xe4
	v_sub_u32_e32 v5, v1, v3
	v_mad_u64_u32 v[0:1], s[28:29], v5, s38, v[0:1]
	v_mad_u64_u32 v[2:3], s[28:29], v5, s39, v[2:3]
	s_waitcnt lgkmcnt(0)
	v_mad_u64_u32 v[4:5], s[28:29], v5, s34, v[4:5]
	s_branch .LBB181_101
.LBB181_99:
                                        ; implicit-def: $vgpr0
                                        ; implicit-def: $vgpr2
                                        ; implicit-def: $vgpr4
	s_branch .LBB181_102
.LBB181_100:
	v_mov_b32_e32 v0, 0
	v_mov_b32_e32 v2, 0
	;; [unrolled: 1-line block ×3, first 2 shown]
.LBB181_101:
	s_cbranch_execnz .LBB181_104
.LBB181_102:
	v_mul_hi_u32 v0, s13, v31
	s_andn2_b64 vcc, exec, s[26:27]
	v_add_u32_e32 v0, v31, v0
	v_lshrrev_b32_e32 v1, s14, v0
	v_mul_lo_u32 v0, v1, s12
	v_sub_u32_e32 v3, v31, v0
	v_mul_lo_u32 v0, v3, s8
	v_mul_lo_u32 v2, v3, s9
	;; [unrolled: 1-line block ×3, first 2 shown]
	s_cbranch_vccnz .LBB181_104
; %bb.103:
	v_mul_hi_u32 v3, s24, v1
	v_add_u32_e32 v3, v1, v3
	v_lshrrev_b32_e32 v3, s25, v3
	v_mul_lo_u32 v3, v3, s15
	v_sub_u32_e32 v5, v1, v3
	v_mad_u64_u32 v[0:1], s[8:9], v5, s11, v[0:1]
	v_mad_u64_u32 v[2:3], s[8:9], v5, s22, v[2:3]
	;; [unrolled: 1-line block ×3, first 2 shown]
.LBB181_104:
	global_load_ushort v1, v2, s[6:7]
	global_load_ushort v3, v4, s[20:21]
	s_waitcnt vmcnt(0)
	v_cmp_eq_f16_e32 vcc, v1, v3
	v_cndmask_b32_e64 v2, 0, 1, vcc
	v_cmp_neq_f16_e32 vcc, v1, v3
	v_cndmask_b32_e64 v1, 0, 1, vcc
	v_cndmask_b32_e64 v1, v1, v2, s[0:1]
	v_and_b32_e32 v1, 1, v1
	global_store_byte v0, v1, s[4:5]
.LBB181_105:
	s_or_b64 exec, exec, s[30:31]
                                        ; implicit-def: $vgpr41
                                        ; implicit-def: $vgpr31
.LBB181_106:
	s_andn2_saveexec_b64 s[0:1], s[18:19]
	s_cbranch_execz .LBB181_113
; %bb.107:
	v_cndmask_b32_e64 v0, 0, 1, s[16:17]
	v_cmp_ne_u32_e64 s[0:1], 1, v0
	s_andn2_b64 vcc, exec, s[16:17]
	s_cbranch_vccnz .LBB181_114
; %bb.108:
	s_cmp_lg_u32 s33, 0
	s_cbranch_scc0 .LBB181_115
; %bb.109:
	s_min_u32 s6, s36, 15
	s_add_i32 s4, s6, 1
	s_and_b32 s7, s4, 30
	s_add_u32 s4, s2, 0xffffffe8
	s_addc_u32 s5, s3, -1
	v_mov_b32_e32 v2, 0
	v_mov_b32_e32 v4, 0
	;; [unrolled: 1-line block ×4, first 2 shown]
.LBB181_110:                            ; =>This Inner Loop Header: Depth=1
	s_load_dwordx4 s[8:11], s[4:5], 0x1c
	s_load_dwordx2 s[16:17], s[4:5], 0x2c
	s_load_dwordx2 s[18:19], s[4:5], 0xec
	s_load_dwordx4 s[12:15], s[4:5], 0xdc
	s_add_u32 s4, s4, 24
	s_waitcnt lgkmcnt(0)
	v_mul_hi_u32 v3, s9, v1
	s_addc_u32 s5, s5, 0
	s_add_i32 s7, s7, -2
	s_cmp_lg_u32 s7, 0
	v_add_u32_e32 v3, v1, v3
	v_lshrrev_b32_e32 v3, s10, v3
	v_mul_lo_u32 v5, v3, s8
	v_mul_hi_u32 v6, s16, v3
	v_sub_u32_e32 v5, v1, v5
	v_add_u32_e32 v1, v3, v6
	v_lshrrev_b32_e32 v1, s17, v1
	v_mul_lo_u32 v8, v1, s11
	v_mul_lo_u32 v6, v5, s12
	;; [unrolled: 1-line block ×4, first 2 shown]
	v_sub_u32_e32 v3, v3, v8
	v_mul_lo_u32 v8, v3, s15
	v_mul_lo_u32 v9, v3, s18
	v_mul_lo_u32 v3, v3, s19
	v_add3_u32 v0, v6, v0, v8
	v_add3_u32 v4, v7, v4, v9
	;; [unrolled: 1-line block ×3, first 2 shown]
	s_cbranch_scc1 .LBB181_110
; %bb.111:
	s_bitcmp1_b32 s6, 0
	s_cselect_b64 s[6:7], -1, 0
	s_and_b64 vcc, exec, s[6:7]
	s_cbranch_vccnz .LBB181_116
; %bb.112:
	s_load_dwordx2 s[6:7], s[4:5], 0x1c
	s_load_dword s10, s[4:5], 0x24
	s_load_dwordx2 s[8:9], s[4:5], 0xdc
	s_waitcnt lgkmcnt(0)
	v_mul_hi_u32 v3, s7, v1
	v_add_u32_e32 v3, v1, v3
	v_lshrrev_b32_e32 v3, s10, v3
	v_mul_lo_u32 v3, v3, s6
	s_load_dword s6, s[4:5], 0xe4
	v_sub_u32_e32 v3, v1, v3
	v_mad_u64_u32 v[0:1], s[4:5], v3, s8, v[0:1]
	v_mad_u64_u32 v[4:5], s[4:5], v3, s9, v[4:5]
	s_waitcnt lgkmcnt(0)
	v_mad_u64_u32 v[2:3], s[4:5], v3, s6, v[2:3]
	s_cbranch_execz .LBB181_117
	s_branch .LBB181_119
.LBB181_113:
	s_endpgm
.LBB181_114:
                                        ; implicit-def: $vgpr0
                                        ; implicit-def: $vgpr4
                                        ; implicit-def: $vgpr2
	s_branch .LBB181_117
.LBB181_115:
	v_mov_b32_e32 v0, 0
	v_mov_b32_e32 v4, 0
	;; [unrolled: 1-line block ×3, first 2 shown]
.LBB181_116:
	s_cbranch_execnz .LBB181_119
.LBB181_117:
	s_load_dwordx4 s[4:7], s[2:3], 0x4
	s_load_dwordx4 s[8:11], s[2:3], 0xc4
	s_cmp_lt_u32 s33, 2
	s_waitcnt lgkmcnt(0)
	v_mul_hi_u32 v0, s5, v31
	v_add_u32_e32 v0, v31, v0
	v_lshrrev_b32_e32 v1, s6, v0
	v_mul_lo_u32 v0, v1, s4
	v_sub_u32_e32 v2, v31, v0
	v_mul_lo_u32 v0, v2, s8
	v_mul_lo_u32 v4, v2, s9
	;; [unrolled: 1-line block ×3, first 2 shown]
	s_cbranch_scc1 .LBB181_119
; %bb.118:
	s_load_dwordx4 s[4:7], s[2:3], 0x10
	s_load_dwordx4 s[8:11], s[2:3], 0xd0
	s_waitcnt lgkmcnt(0)
	v_mul_hi_u32 v3, s5, v1
	v_add_u32_e32 v3, v1, v3
	v_lshrrev_b32_e32 v3, s6, v3
	v_mul_lo_u32 v3, v3, s4
	v_sub_u32_e32 v3, v1, v3
	v_mad_u64_u32 v[0:1], s[4:5], v3, s8, v[0:1]
	v_mad_u64_u32 v[4:5], s[4:5], v3, s9, v[4:5]
	;; [unrolled: 1-line block ×3, first 2 shown]
.LBB181_119:
	s_and_b64 vcc, exec, s[0:1]
	v_add_u32_e32 v1, 0x80, v31
	s_cbranch_vccnz .LBB181_125
; %bb.120:
	s_cmp_lg_u32 s33, 0
	s_cbranch_scc0 .LBB181_126
; %bb.121:
	s_min_u32 s6, s36, 15
	s_add_i32 s4, s6, 1
	s_and_b32 s7, s4, 30
	s_add_u32 s4, s2, 0xffffffe8
	s_addc_u32 s5, s3, -1
	v_mov_b32_e32 v7, 0
	v_mov_b32_e32 v9, 0
	;; [unrolled: 1-line block ×4, first 2 shown]
.LBB181_122:                            ; =>This Inner Loop Header: Depth=1
	s_load_dwordx4 s[8:11], s[4:5], 0x1c
	s_load_dwordx2 s[16:17], s[4:5], 0x2c
	s_load_dwordx2 s[18:19], s[4:5], 0xec
	s_load_dwordx4 s[12:15], s[4:5], 0xdc
	s_add_u32 s4, s4, 24
	s_waitcnt lgkmcnt(0)
	v_mul_hi_u32 v6, s9, v3
	s_addc_u32 s5, s5, 0
	s_add_i32 s7, s7, -2
	s_cmp_lg_u32 s7, 0
	v_add_u32_e32 v6, v3, v6
	v_lshrrev_b32_e32 v6, s10, v6
	v_mul_lo_u32 v8, v6, s8
	v_mul_hi_u32 v10, s16, v6
	v_sub_u32_e32 v8, v3, v8
	v_add_u32_e32 v3, v6, v10
	v_lshrrev_b32_e32 v3, s17, v3
	v_mul_lo_u32 v12, v3, s11
	v_mul_lo_u32 v10, v8, s12
	;; [unrolled: 1-line block ×4, first 2 shown]
	v_sub_u32_e32 v6, v6, v12
	v_mul_lo_u32 v12, v6, s15
	v_mul_lo_u32 v13, v6, s18
	;; [unrolled: 1-line block ×3, first 2 shown]
	v_add3_u32 v5, v10, v5, v12
	v_add3_u32 v9, v11, v9, v13
	;; [unrolled: 1-line block ×3, first 2 shown]
	s_cbranch_scc1 .LBB181_122
; %bb.123:
	s_bitcmp1_b32 s6, 0
	s_cselect_b64 s[6:7], -1, 0
	s_and_b64 vcc, exec, s[6:7]
	s_cbranch_vccnz .LBB181_127
; %bb.124:
	s_load_dwordx2 s[6:7], s[4:5], 0x1c
	s_load_dword s10, s[4:5], 0x24
	s_load_dwordx2 s[8:9], s[4:5], 0xdc
	s_waitcnt lgkmcnt(0)
	v_mul_hi_u32 v6, s7, v3
	v_add_u32_e32 v6, v3, v6
	v_lshrrev_b32_e32 v6, s10, v6
	v_mul_lo_u32 v6, v6, s6
	s_load_dword s6, s[4:5], 0xe4
	v_sub_u32_e32 v3, v3, v6
	v_mad_u64_u32 v[5:6], s[4:5], v3, s8, v[5:6]
	v_mad_u64_u32 v[9:10], s[4:5], v3, s9, v[9:10]
	s_waitcnt lgkmcnt(0)
	v_mad_u64_u32 v[7:8], s[4:5], v3, s6, v[7:8]
	s_cbranch_execz .LBB181_128
	s_branch .LBB181_130
.LBB181_125:
                                        ; implicit-def: $vgpr5
                                        ; implicit-def: $vgpr9
                                        ; implicit-def: $vgpr7
	s_branch .LBB181_128
.LBB181_126:
	v_mov_b32_e32 v5, 0
	v_mov_b32_e32 v9, 0
	;; [unrolled: 1-line block ×3, first 2 shown]
.LBB181_127:
	s_cbranch_execnz .LBB181_130
.LBB181_128:
	s_load_dwordx4 s[4:7], s[2:3], 0x4
	s_load_dwordx4 s[8:11], s[2:3], 0xc4
	s_cmp_lt_u32 s33, 2
	s_waitcnt lgkmcnt(0)
	v_mul_hi_u32 v3, s5, v1
	v_add_u32_e32 v3, v1, v3
	v_lshrrev_b32_e32 v3, s6, v3
	v_mul_lo_u32 v5, v3, s4
	v_sub_u32_e32 v1, v1, v5
	v_mul_lo_u32 v5, v1, s8
	v_mul_lo_u32 v9, v1, s9
	;; [unrolled: 1-line block ×3, first 2 shown]
	s_cbranch_scc1 .LBB181_130
; %bb.129:
	s_load_dwordx4 s[4:7], s[2:3], 0x10
	s_load_dwordx4 s[8:11], s[2:3], 0xd0
	s_waitcnt lgkmcnt(0)
	v_mul_hi_u32 v1, s5, v3
	v_add_u32_e32 v1, v3, v1
	v_lshrrev_b32_e32 v1, s6, v1
	v_mul_lo_u32 v1, v1, s4
	v_sub_u32_e32 v1, v3, v1
	v_mad_u64_u32 v[5:6], s[4:5], v1, s8, v[5:6]
	v_mad_u64_u32 v[9:10], s[4:5], v1, s9, v[9:10]
	;; [unrolled: 1-line block ×3, first 2 shown]
.LBB181_130:
	s_and_b64 vcc, exec, s[0:1]
	v_add_u32_e32 v1, 0x100, v31
	s_cbranch_vccnz .LBB181_136
; %bb.131:
	s_cmp_lg_u32 s33, 0
	s_cbranch_scc0 .LBB181_137
; %bb.132:
	s_min_u32 s6, s36, 15
	s_add_i32 s4, s6, 1
	s_and_b32 s7, s4, 30
	s_add_u32 s4, s2, 0xffffffe8
	s_addc_u32 s5, s3, -1
	v_mov_b32_e32 v12, 0
	v_mov_b32_e32 v14, 0
	v_mov_b32_e32 v10, 0
	v_mov_b32_e32 v3, v1
.LBB181_133:                            ; =>This Inner Loop Header: Depth=1
	s_load_dwordx4 s[8:11], s[4:5], 0x1c
	s_load_dwordx2 s[16:17], s[4:5], 0x2c
	s_load_dwordx2 s[18:19], s[4:5], 0xec
	s_load_dwordx4 s[12:15], s[4:5], 0xdc
	s_add_u32 s4, s4, 24
	s_waitcnt lgkmcnt(0)
	v_mul_hi_u32 v6, s9, v3
	s_addc_u32 s5, s5, 0
	s_add_i32 s7, s7, -2
	s_cmp_lg_u32 s7, 0
	v_add_u32_e32 v6, v3, v6
	v_lshrrev_b32_e32 v6, s10, v6
	v_mul_lo_u32 v8, v6, s8
	v_mul_hi_u32 v11, s16, v6
	v_sub_u32_e32 v8, v3, v8
	v_add_u32_e32 v3, v6, v11
	v_lshrrev_b32_e32 v3, s17, v3
	v_mul_lo_u32 v15, v3, s11
	v_mul_lo_u32 v11, v8, s12
	;; [unrolled: 1-line block ×4, first 2 shown]
	v_sub_u32_e32 v6, v6, v15
	v_mul_lo_u32 v15, v6, s15
	v_mul_lo_u32 v16, v6, s18
	;; [unrolled: 1-line block ×3, first 2 shown]
	v_add3_u32 v10, v11, v10, v15
	v_add3_u32 v14, v13, v14, v16
	v_add3_u32 v12, v8, v12, v6
	s_cbranch_scc1 .LBB181_133
; %bb.134:
	s_bitcmp1_b32 s6, 0
	s_cselect_b64 s[6:7], -1, 0
	s_and_b64 vcc, exec, s[6:7]
	s_cbranch_vccnz .LBB181_138
; %bb.135:
	s_load_dwordx2 s[6:7], s[4:5], 0x1c
	s_load_dword s10, s[4:5], 0x24
	s_load_dwordx2 s[8:9], s[4:5], 0xdc
	s_waitcnt lgkmcnt(0)
	v_mul_hi_u32 v6, s7, v3
	v_add_u32_e32 v6, v3, v6
	v_lshrrev_b32_e32 v6, s10, v6
	v_mul_lo_u32 v6, v6, s6
	s_load_dword s6, s[4:5], 0xe4
	v_sub_u32_e32 v3, v3, v6
	v_mad_u64_u32 v[10:11], s[4:5], v3, s8, v[10:11]
	v_mad_u64_u32 v[14:15], s[4:5], v3, s9, v[14:15]
	s_waitcnt lgkmcnt(0)
	v_mad_u64_u32 v[12:13], s[4:5], v3, s6, v[12:13]
	s_cbranch_execz .LBB181_139
	s_branch .LBB181_141
.LBB181_136:
                                        ; implicit-def: $vgpr10
                                        ; implicit-def: $vgpr14
                                        ; implicit-def: $vgpr12
	s_branch .LBB181_139
.LBB181_137:
	v_mov_b32_e32 v10, 0
	v_mov_b32_e32 v14, 0
	;; [unrolled: 1-line block ×3, first 2 shown]
.LBB181_138:
	s_cbranch_execnz .LBB181_141
.LBB181_139:
	s_load_dwordx4 s[4:7], s[2:3], 0x4
	s_load_dwordx4 s[8:11], s[2:3], 0xc4
	s_cmp_lt_u32 s33, 2
	s_waitcnt lgkmcnt(0)
	v_mul_hi_u32 v3, s5, v1
	v_add_u32_e32 v3, v1, v3
	v_lshrrev_b32_e32 v3, s6, v3
	v_mul_lo_u32 v6, v3, s4
	v_sub_u32_e32 v1, v1, v6
	v_mul_lo_u32 v10, v1, s8
	v_mul_lo_u32 v14, v1, s9
	;; [unrolled: 1-line block ×3, first 2 shown]
	s_cbranch_scc1 .LBB181_141
; %bb.140:
	s_load_dwordx4 s[4:7], s[2:3], 0x10
	s_load_dwordx4 s[8:11], s[2:3], 0xd0
	s_waitcnt lgkmcnt(0)
	v_mul_hi_u32 v1, s5, v3
	v_add_u32_e32 v1, v3, v1
	v_lshrrev_b32_e32 v1, s6, v1
	v_mul_lo_u32 v1, v1, s4
	v_sub_u32_e32 v1, v3, v1
	v_mad_u64_u32 v[10:11], s[4:5], v1, s8, v[10:11]
	v_mad_u64_u32 v[14:15], s[4:5], v1, s9, v[14:15]
	v_mad_u64_u32 v[12:13], s[4:5], v1, s10, v[12:13]
.LBB181_141:
	s_and_b64 vcc, exec, s[0:1]
	v_add_u32_e32 v1, 0x180, v31
	s_cbranch_vccnz .LBB181_147
; %bb.142:
	s_cmp_lg_u32 s33, 0
	s_cbranch_scc0 .LBB181_148
; %bb.143:
	s_min_u32 s6, s36, 15
	s_add_i32 s4, s6, 1
	s_and_b32 s7, s4, 30
	s_add_u32 s4, s2, 0xffffffe8
	s_addc_u32 s5, s3, -1
	v_mov_b32_e32 v17, 0
	v_mov_b32_e32 v19, 0
	;; [unrolled: 1-line block ×4, first 2 shown]
.LBB181_144:                            ; =>This Inner Loop Header: Depth=1
	s_load_dwordx4 s[8:11], s[4:5], 0x1c
	s_load_dwordx2 s[16:17], s[4:5], 0x2c
	s_load_dwordx2 s[18:19], s[4:5], 0xec
	s_load_dwordx4 s[12:15], s[4:5], 0xdc
	s_add_u32 s4, s4, 24
	s_waitcnt lgkmcnt(0)
	v_mul_hi_u32 v6, s9, v3
	s_addc_u32 s5, s5, 0
	s_add_i32 s7, s7, -2
	s_cmp_lg_u32 s7, 0
	v_add_u32_e32 v6, v3, v6
	v_lshrrev_b32_e32 v6, s10, v6
	v_mul_lo_u32 v8, v6, s8
	v_mul_hi_u32 v11, s16, v6
	v_sub_u32_e32 v8, v3, v8
	v_add_u32_e32 v3, v6, v11
	v_lshrrev_b32_e32 v3, s17, v3
	v_mul_lo_u32 v16, v3, s11
	v_mul_lo_u32 v11, v8, s12
	v_mul_lo_u32 v13, v8, s13
	v_mul_lo_u32 v8, v8, s14
	v_sub_u32_e32 v6, v6, v16
	v_mul_lo_u32 v16, v6, s15
	v_mul_lo_u32 v18, v6, s18
	;; [unrolled: 1-line block ×3, first 2 shown]
	v_add3_u32 v15, v11, v15, v16
	v_add3_u32 v19, v13, v19, v18
	;; [unrolled: 1-line block ×3, first 2 shown]
	s_cbranch_scc1 .LBB181_144
; %bb.145:
	s_bitcmp1_b32 s6, 0
	s_cselect_b64 s[6:7], -1, 0
	s_and_b64 vcc, exec, s[6:7]
	s_cbranch_vccnz .LBB181_149
; %bb.146:
	s_load_dwordx2 s[6:7], s[4:5], 0x1c
	s_load_dword s10, s[4:5], 0x24
	s_load_dwordx2 s[8:9], s[4:5], 0xdc
	s_waitcnt lgkmcnt(0)
	v_mul_hi_u32 v6, s7, v3
	v_add_u32_e32 v6, v3, v6
	v_lshrrev_b32_e32 v6, s10, v6
	v_mul_lo_u32 v6, v6, s6
	s_load_dword s6, s[4:5], 0xe4
	v_sub_u32_e32 v3, v3, v6
	v_mad_u64_u32 v[15:16], s[4:5], v3, s8, v[15:16]
	v_mad_u64_u32 v[19:20], s[4:5], v3, s9, v[19:20]
	s_waitcnt lgkmcnt(0)
	v_mad_u64_u32 v[17:18], s[4:5], v3, s6, v[17:18]
	s_cbranch_execz .LBB181_150
	s_branch .LBB181_152
.LBB181_147:
                                        ; implicit-def: $vgpr15
                                        ; implicit-def: $vgpr19
                                        ; implicit-def: $vgpr17
	s_branch .LBB181_150
.LBB181_148:
	v_mov_b32_e32 v15, 0
	v_mov_b32_e32 v19, 0
	;; [unrolled: 1-line block ×3, first 2 shown]
.LBB181_149:
	s_cbranch_execnz .LBB181_152
.LBB181_150:
	s_load_dwordx4 s[4:7], s[2:3], 0x4
	s_load_dwordx4 s[8:11], s[2:3], 0xc4
	s_cmp_lt_u32 s33, 2
	s_waitcnt lgkmcnt(0)
	v_mul_hi_u32 v3, s5, v1
	v_add_u32_e32 v3, v1, v3
	v_lshrrev_b32_e32 v3, s6, v3
	v_mul_lo_u32 v6, v3, s4
	v_sub_u32_e32 v1, v1, v6
	v_mul_lo_u32 v15, v1, s8
	v_mul_lo_u32 v19, v1, s9
	;; [unrolled: 1-line block ×3, first 2 shown]
	s_cbranch_scc1 .LBB181_152
; %bb.151:
	s_load_dwordx4 s[4:7], s[2:3], 0x10
	s_load_dwordx4 s[8:11], s[2:3], 0xd0
	s_waitcnt lgkmcnt(0)
	v_mul_hi_u32 v1, s5, v3
	v_add_u32_e32 v1, v3, v1
	v_lshrrev_b32_e32 v1, s6, v1
	v_mul_lo_u32 v1, v1, s4
	v_sub_u32_e32 v1, v3, v1
	v_mad_u64_u32 v[15:16], s[4:5], v1, s8, v[15:16]
	v_mad_u64_u32 v[19:20], s[4:5], v1, s9, v[19:20]
	;; [unrolled: 1-line block ×3, first 2 shown]
.LBB181_152:
	s_and_b64 vcc, exec, s[0:1]
	v_add_u32_e32 v1, 0x200, v31
	s_cbranch_vccnz .LBB181_158
; %bb.153:
	s_cmp_lg_u32 s33, 0
	s_cbranch_scc0 .LBB181_159
; %bb.154:
	s_min_u32 s6, s36, 15
	s_add_i32 s4, s6, 1
	s_and_b32 s7, s4, 30
	s_add_u32 s4, s2, 0xffffffe8
	s_addc_u32 s5, s3, -1
	v_mov_b32_e32 v22, 0
	v_mov_b32_e32 v24, 0
	v_mov_b32_e32 v20, 0
	v_mov_b32_e32 v3, v1
.LBB181_155:                            ; =>This Inner Loop Header: Depth=1
	s_load_dwordx4 s[8:11], s[4:5], 0x1c
	s_load_dwordx2 s[16:17], s[4:5], 0x2c
	s_load_dwordx2 s[18:19], s[4:5], 0xec
	s_load_dwordx4 s[12:15], s[4:5], 0xdc
	s_add_u32 s4, s4, 24
	s_waitcnt lgkmcnt(0)
	v_mul_hi_u32 v6, s9, v3
	s_addc_u32 s5, s5, 0
	s_add_i32 s7, s7, -2
	s_cmp_lg_u32 s7, 0
	v_add_u32_e32 v6, v3, v6
	v_lshrrev_b32_e32 v6, s10, v6
	v_mul_lo_u32 v8, v6, s8
	v_mul_hi_u32 v11, s16, v6
	v_sub_u32_e32 v8, v3, v8
	v_add_u32_e32 v3, v6, v11
	v_lshrrev_b32_e32 v3, s17, v3
	v_mul_lo_u32 v16, v3, s11
	v_mul_lo_u32 v11, v8, s12
	;; [unrolled: 1-line block ×4, first 2 shown]
	v_sub_u32_e32 v6, v6, v16
	v_mul_lo_u32 v16, v6, s15
	v_mul_lo_u32 v18, v6, s18
	;; [unrolled: 1-line block ×3, first 2 shown]
	v_add3_u32 v20, v11, v20, v16
	v_add3_u32 v24, v13, v24, v18
	;; [unrolled: 1-line block ×3, first 2 shown]
	s_cbranch_scc1 .LBB181_155
; %bb.156:
	s_bitcmp1_b32 s6, 0
	s_cselect_b64 s[6:7], -1, 0
	s_and_b64 vcc, exec, s[6:7]
	s_cbranch_vccnz .LBB181_160
; %bb.157:
	s_load_dwordx2 s[6:7], s[4:5], 0x1c
	s_load_dword s10, s[4:5], 0x24
	s_load_dwordx2 s[8:9], s[4:5], 0xdc
	s_waitcnt lgkmcnt(0)
	v_mul_hi_u32 v6, s7, v3
	v_add_u32_e32 v6, v3, v6
	v_lshrrev_b32_e32 v6, s10, v6
	v_mul_lo_u32 v6, v6, s6
	s_load_dword s6, s[4:5], 0xe4
	v_sub_u32_e32 v3, v3, v6
	v_mad_u64_u32 v[20:21], s[4:5], v3, s8, v[20:21]
	v_mad_u64_u32 v[24:25], s[4:5], v3, s9, v[24:25]
	s_waitcnt lgkmcnt(0)
	v_mad_u64_u32 v[22:23], s[4:5], v3, s6, v[22:23]
	s_cbranch_execz .LBB181_161
	s_branch .LBB181_163
.LBB181_158:
                                        ; implicit-def: $vgpr20
                                        ; implicit-def: $vgpr24
                                        ; implicit-def: $vgpr22
	s_branch .LBB181_161
.LBB181_159:
	v_mov_b32_e32 v20, 0
	v_mov_b32_e32 v24, 0
	;; [unrolled: 1-line block ×3, first 2 shown]
.LBB181_160:
	s_cbranch_execnz .LBB181_163
.LBB181_161:
	s_load_dwordx4 s[4:7], s[2:3], 0x4
	s_load_dwordx4 s[8:11], s[2:3], 0xc4
	s_cmp_lt_u32 s33, 2
	s_waitcnt lgkmcnt(0)
	v_mul_hi_u32 v3, s5, v1
	v_add_u32_e32 v3, v1, v3
	v_lshrrev_b32_e32 v3, s6, v3
	v_mul_lo_u32 v6, v3, s4
	v_sub_u32_e32 v1, v1, v6
	v_mul_lo_u32 v20, v1, s8
	v_mul_lo_u32 v24, v1, s9
	;; [unrolled: 1-line block ×3, first 2 shown]
	s_cbranch_scc1 .LBB181_163
; %bb.162:
	s_load_dwordx4 s[4:7], s[2:3], 0x10
	s_load_dwordx4 s[8:11], s[2:3], 0xd0
	s_waitcnt lgkmcnt(0)
	v_mul_hi_u32 v1, s5, v3
	v_add_u32_e32 v1, v3, v1
	v_lshrrev_b32_e32 v1, s6, v1
	v_mul_lo_u32 v1, v1, s4
	v_sub_u32_e32 v1, v3, v1
	v_mad_u64_u32 v[20:21], s[4:5], v1, s8, v[20:21]
	v_mad_u64_u32 v[24:25], s[4:5], v1, s9, v[24:25]
	;; [unrolled: 1-line block ×3, first 2 shown]
.LBB181_163:
	s_and_b64 vcc, exec, s[0:1]
	v_add_u32_e32 v1, 0x280, v31
	s_cbranch_vccnz .LBB181_169
; %bb.164:
	s_cmp_lg_u32 s33, 0
	s_cbranch_scc0 .LBB181_170
; %bb.165:
	s_min_u32 s6, s36, 15
	s_add_i32 s4, s6, 1
	s_and_b32 s7, s4, 30
	s_add_u32 s4, s2, 0xffffffe8
	s_addc_u32 s5, s3, -1
	v_mov_b32_e32 v27, 0
	v_mov_b32_e32 v29, 0
	;; [unrolled: 1-line block ×4, first 2 shown]
.LBB181_166:                            ; =>This Inner Loop Header: Depth=1
	s_load_dwordx4 s[8:11], s[4:5], 0x1c
	s_load_dwordx2 s[16:17], s[4:5], 0x2c
	s_load_dwordx2 s[18:19], s[4:5], 0xec
	s_load_dwordx4 s[12:15], s[4:5], 0xdc
	s_add_u32 s4, s4, 24
	s_waitcnt lgkmcnt(0)
	v_mul_hi_u32 v6, s9, v3
	s_addc_u32 s5, s5, 0
	s_add_i32 s7, s7, -2
	s_cmp_lg_u32 s7, 0
	v_add_u32_e32 v6, v3, v6
	v_lshrrev_b32_e32 v6, s10, v6
	v_mul_lo_u32 v8, v6, s8
	v_mul_hi_u32 v11, s16, v6
	v_sub_u32_e32 v8, v3, v8
	v_add_u32_e32 v3, v6, v11
	v_lshrrev_b32_e32 v3, s17, v3
	v_mul_lo_u32 v16, v3, s11
	v_mul_lo_u32 v11, v8, s12
	v_mul_lo_u32 v13, v8, s13
	v_mul_lo_u32 v8, v8, s14
	v_sub_u32_e32 v6, v6, v16
	v_mul_lo_u32 v16, v6, s15
	v_mul_lo_u32 v18, v6, s18
	;; [unrolled: 1-line block ×3, first 2 shown]
	v_add3_u32 v25, v11, v25, v16
	v_add3_u32 v29, v13, v29, v18
	v_add3_u32 v27, v8, v27, v6
	s_cbranch_scc1 .LBB181_166
; %bb.167:
	s_bitcmp1_b32 s6, 0
	s_cselect_b64 s[6:7], -1, 0
	s_and_b64 vcc, exec, s[6:7]
	s_cbranch_vccnz .LBB181_171
; %bb.168:
	s_load_dwordx2 s[6:7], s[4:5], 0x1c
	s_load_dword s10, s[4:5], 0x24
	s_load_dwordx2 s[8:9], s[4:5], 0xdc
	s_waitcnt lgkmcnt(0)
	v_mul_hi_u32 v6, s7, v3
	v_add_u32_e32 v6, v3, v6
	v_lshrrev_b32_e32 v6, s10, v6
	v_mul_lo_u32 v6, v6, s6
	s_load_dword s6, s[4:5], 0xe4
	v_sub_u32_e32 v3, v3, v6
	v_mad_u64_u32 v[25:26], s[4:5], v3, s8, v[25:26]
	v_mad_u64_u32 v[29:30], s[4:5], v3, s9, v[29:30]
	s_waitcnt lgkmcnt(0)
	v_mad_u64_u32 v[27:28], s[4:5], v3, s6, v[27:28]
	s_cbranch_execz .LBB181_172
	s_branch .LBB181_174
.LBB181_169:
                                        ; implicit-def: $vgpr25
                                        ; implicit-def: $vgpr29
                                        ; implicit-def: $vgpr27
	s_branch .LBB181_172
.LBB181_170:
	v_mov_b32_e32 v25, 0
	v_mov_b32_e32 v29, 0
	;; [unrolled: 1-line block ×3, first 2 shown]
.LBB181_171:
	s_cbranch_execnz .LBB181_174
.LBB181_172:
	s_load_dwordx4 s[4:7], s[2:3], 0x4
	s_load_dwordx4 s[8:11], s[2:3], 0xc4
	s_cmp_lt_u32 s33, 2
	s_waitcnt lgkmcnt(0)
	v_mul_hi_u32 v3, s5, v1
	v_add_u32_e32 v3, v1, v3
	v_lshrrev_b32_e32 v3, s6, v3
	v_mul_lo_u32 v6, v3, s4
	v_sub_u32_e32 v1, v1, v6
	v_mul_lo_u32 v25, v1, s8
	v_mul_lo_u32 v29, v1, s9
	;; [unrolled: 1-line block ×3, first 2 shown]
	s_cbranch_scc1 .LBB181_174
; %bb.173:
	s_load_dwordx4 s[4:7], s[2:3], 0x10
	s_load_dwordx4 s[8:11], s[2:3], 0xd0
	s_waitcnt lgkmcnt(0)
	v_mul_hi_u32 v1, s5, v3
	v_add_u32_e32 v1, v3, v1
	v_lshrrev_b32_e32 v1, s6, v1
	v_mul_lo_u32 v1, v1, s4
	v_sub_u32_e32 v1, v3, v1
	v_mad_u64_u32 v[25:26], s[4:5], v1, s8, v[25:26]
	v_mad_u64_u32 v[29:30], s[4:5], v1, s9, v[29:30]
	;; [unrolled: 1-line block ×3, first 2 shown]
.LBB181_174:
	s_and_b64 vcc, exec, s[0:1]
	v_add_u32_e32 v1, 0x300, v31
	s_cbranch_vccnz .LBB181_180
; %bb.175:
	s_cmp_lg_u32 s33, 0
	s_cbranch_scc0 .LBB181_181
; %bb.176:
	s_min_u32 s6, s36, 15
	s_add_i32 s4, s6, 1
	s_and_b32 s7, s4, 30
	s_add_u32 s4, s2, 0xffffffe8
	s_addc_u32 s5, s3, -1
	v_mov_b32_e32 v34, 0
	v_mov_b32_e32 v32, 0
	;; [unrolled: 1-line block ×4, first 2 shown]
.LBB181_177:                            ; =>This Inner Loop Header: Depth=1
	s_load_dwordx4 s[8:11], s[4:5], 0x1c
	s_load_dwordx2 s[16:17], s[4:5], 0x2c
	s_load_dwordx2 s[18:19], s[4:5], 0xec
	s_load_dwordx4 s[12:15], s[4:5], 0xdc
	s_add_u32 s4, s4, 24
	s_waitcnt lgkmcnt(0)
	v_mul_hi_u32 v6, s9, v3
	s_addc_u32 s5, s5, 0
	s_add_i32 s7, s7, -2
	s_cmp_lg_u32 s7, 0
	v_add_u32_e32 v6, v3, v6
	v_lshrrev_b32_e32 v6, s10, v6
	v_mul_lo_u32 v8, v6, s8
	v_mul_hi_u32 v11, s16, v6
	v_sub_u32_e32 v8, v3, v8
	v_add_u32_e32 v3, v6, v11
	v_lshrrev_b32_e32 v3, s17, v3
	v_mul_lo_u32 v16, v3, s11
	v_mul_lo_u32 v11, v8, s12
	;; [unrolled: 1-line block ×4, first 2 shown]
	v_sub_u32_e32 v6, v6, v16
	v_mul_lo_u32 v16, v6, s15
	v_mul_lo_u32 v18, v6, s18
	;; [unrolled: 1-line block ×3, first 2 shown]
	v_add3_u32 v30, v11, v30, v16
	v_add3_u32 v32, v13, v32, v18
	v_add3_u32 v34, v8, v34, v6
	s_cbranch_scc1 .LBB181_177
; %bb.178:
	s_bitcmp1_b32 s6, 0
	s_cselect_b64 s[6:7], -1, 0
	s_and_b64 vcc, exec, s[6:7]
	s_cbranch_vccnz .LBB181_182
; %bb.179:
	s_load_dwordx2 s[6:7], s[4:5], 0x1c
	s_load_dword s10, s[4:5], 0x24
	s_load_dwordx2 s[8:9], s[4:5], 0xdc
	s_waitcnt lgkmcnt(0)
	v_mul_hi_u32 v6, s7, v3
	v_add_u32_e32 v6, v3, v6
	v_lshrrev_b32_e32 v6, s10, v6
	v_mul_lo_u32 v6, v6, s6
	s_load_dword s6, s[4:5], 0xe4
	v_sub_u32_e32 v3, v3, v6
	v_mad_u64_u32 v[30:31], s[4:5], v3, s8, v[30:31]
	v_mad_u64_u32 v[32:33], s[4:5], v3, s9, v[32:33]
	s_waitcnt lgkmcnt(0)
	v_mad_u64_u32 v[34:35], s[4:5], v3, s6, v[34:35]
	s_cbranch_execz .LBB181_183
	s_branch .LBB181_185
.LBB181_180:
                                        ; implicit-def: $vgpr30
                                        ; implicit-def: $vgpr32
                                        ; implicit-def: $vgpr34
	s_branch .LBB181_183
.LBB181_181:
	v_mov_b32_e32 v30, 0
	v_mov_b32_e32 v32, 0
	;; [unrolled: 1-line block ×3, first 2 shown]
.LBB181_182:
	s_cbranch_execnz .LBB181_185
.LBB181_183:
	s_load_dwordx4 s[4:7], s[2:3], 0x4
	s_load_dwordx4 s[8:11], s[2:3], 0xc4
	s_cmp_lt_u32 s33, 2
	s_waitcnt lgkmcnt(0)
	v_mul_hi_u32 v3, s5, v1
	v_add_u32_e32 v3, v1, v3
	v_lshrrev_b32_e32 v3, s6, v3
	v_mul_lo_u32 v6, v3, s4
	v_sub_u32_e32 v1, v1, v6
	v_mul_lo_u32 v30, v1, s8
	v_mul_lo_u32 v32, v1, s9
	;; [unrolled: 1-line block ×3, first 2 shown]
	s_cbranch_scc1 .LBB181_185
; %bb.184:
	s_load_dwordx4 s[4:7], s[2:3], 0x10
	s_load_dwordx4 s[8:11], s[2:3], 0xd0
	s_waitcnt lgkmcnt(0)
	v_mul_hi_u32 v1, s5, v3
	v_add_u32_e32 v1, v3, v1
	v_lshrrev_b32_e32 v1, s6, v1
	v_mul_lo_u32 v1, v1, s4
	v_sub_u32_e32 v1, v3, v1
	v_mad_u64_u32 v[30:31], s[4:5], v1, s8, v[30:31]
	v_mad_u64_u32 v[32:33], s[4:5], v1, s9, v[32:33]
	;; [unrolled: 1-line block ×3, first 2 shown]
.LBB181_185:
	s_and_b64 vcc, exec, s[0:1]
	s_cbranch_vccnz .LBB181_191
; %bb.186:
	s_cmp_lg_u32 s33, 0
	s_cbranch_scc0 .LBB181_192
; %bb.187:
	s_min_u32 s4, s36, 15
	s_add_i32 s0, s4, 1
	s_and_b32 s5, s0, 30
	s_add_u32 s0, s2, 0xffffffe8
	s_addc_u32 s1, s3, -1
	v_mov_b32_e32 v39, 0
	v_mov_b32_e32 v37, 0
	;; [unrolled: 1-line block ×4, first 2 shown]
.LBB181_188:                            ; =>This Inner Loop Header: Depth=1
	s_load_dwordx4 s[8:11], s[0:1], 0x1c
	s_load_dwordx2 s[6:7], s[0:1], 0x2c
	s_load_dwordx2 s[16:17], s[0:1], 0xec
	s_load_dwordx4 s[12:15], s[0:1], 0xdc
	s_add_u32 s0, s0, 24
	s_waitcnt lgkmcnt(0)
	v_mul_hi_u32 v3, s9, v1
	s_addc_u32 s1, s1, 0
	s_add_i32 s5, s5, -2
	s_cmp_lg_u32 s5, 0
	v_add_u32_e32 v3, v1, v3
	v_lshrrev_b32_e32 v3, s10, v3
	v_mul_lo_u32 v6, v3, s8
	v_mul_hi_u32 v8, s6, v3
	v_sub_u32_e32 v6, v1, v6
	v_add_u32_e32 v1, v3, v8
	v_lshrrev_b32_e32 v1, s7, v1
	v_mul_lo_u32 v13, v1, s11
	v_mul_lo_u32 v8, v6, s12
	;; [unrolled: 1-line block ×4, first 2 shown]
	v_sub_u32_e32 v3, v3, v13
	v_mul_lo_u32 v13, v3, s15
	v_mul_lo_u32 v16, v3, s16
	;; [unrolled: 1-line block ×3, first 2 shown]
	v_add3_u32 v35, v8, v35, v13
	v_add3_u32 v37, v11, v37, v16
	v_add3_u32 v39, v6, v39, v3
	s_cbranch_scc1 .LBB181_188
; %bb.189:
	s_bitcmp1_b32 s4, 0
	s_cselect_b64 s[4:5], -1, 0
	s_and_b64 vcc, exec, s[4:5]
	s_cbranch_vccnz .LBB181_193
; %bb.190:
	s_load_dwordx2 s[4:5], s[0:1], 0x1c
	s_load_dword s8, s[0:1], 0x24
	s_load_dwordx2 s[6:7], s[0:1], 0xdc
	s_waitcnt lgkmcnt(0)
	v_mul_hi_u32 v3, s5, v1
	v_add_u32_e32 v3, v1, v3
	v_lshrrev_b32_e32 v3, s8, v3
	v_mul_lo_u32 v3, v3, s4
	s_load_dword s4, s[0:1], 0xe4
	v_sub_u32_e32 v1, v1, v3
	v_mad_u64_u32 v[35:36], s[0:1], v1, s6, v[35:36]
	v_mad_u64_u32 v[37:38], s[0:1], v1, s7, v[37:38]
	s_waitcnt lgkmcnt(0)
	v_mad_u64_u32 v[39:40], s[0:1], v1, s4, v[39:40]
	s_cbranch_execz .LBB181_194
	s_branch .LBB181_196
.LBB181_191:
                                        ; implicit-def: $vgpr35
                                        ; implicit-def: $vgpr37
                                        ; implicit-def: $vgpr39
	s_branch .LBB181_194
.LBB181_192:
	v_mov_b32_e32 v35, 0
	v_mov_b32_e32 v37, 0
	;; [unrolled: 1-line block ×3, first 2 shown]
.LBB181_193:
	s_cbranch_execnz .LBB181_196
.LBB181_194:
	s_load_dwordx4 s[4:7], s[2:3], 0x4
	s_load_dwordx4 s[8:11], s[2:3], 0xc4
	s_cmp_lt_u32 s33, 2
	s_waitcnt lgkmcnt(0)
	v_mul_hi_u32 v1, s5, v41
	v_add_u32_e32 v1, v41, v1
	v_lshrrev_b32_e32 v1, s6, v1
	v_mul_lo_u32 v3, v1, s4
	v_sub_u32_e32 v3, v41, v3
	v_mul_lo_u32 v35, v3, s8
	v_mul_lo_u32 v37, v3, s9
	;; [unrolled: 1-line block ×3, first 2 shown]
	s_cbranch_scc1 .LBB181_196
; %bb.195:
	s_load_dwordx4 s[4:7], s[2:3], 0x10
	s_load_dwordx4 s[8:11], s[2:3], 0xd0
	s_waitcnt lgkmcnt(0)
	v_mul_hi_u32 v3, s5, v1
	v_add_u32_e32 v3, v1, v3
	v_lshrrev_b32_e32 v3, s6, v3
	v_mul_lo_u32 v3, v3, s4
	v_sub_u32_e32 v1, v1, v3
	v_mad_u64_u32 v[35:36], s[0:1], v1, s8, v[35:36]
	v_mad_u64_u32 v[37:38], s[0:1], v1, s9, v[37:38]
	;; [unrolled: 1-line block ×3, first 2 shown]
.LBB181_196:
	s_load_dwordx4 s[4:7], s[2:3], 0x188
	s_load_dwordx2 s[0:1], s[2:3], 0x198
	s_waitcnt lgkmcnt(0)
	global_load_ushort v1, v4, s[6:7]
	s_nop 0
	global_load_ushort v3, v2, s[0:1]
	global_load_ushort v6, v9, s[6:7]
	;; [unrolled: 1-line block ×7, first 2 shown]
                                        ; kill: killed $vgpr4
                                        ; kill: killed $vgpr9
                                        ; kill: killed $vgpr2
                                        ; kill: killed $vgpr14
                                        ; kill: killed $vgpr7
                                        ; kill: killed $vgpr19
                                        ; kill: killed $vgpr12
                                        ; kill: killed $vgpr17
	global_load_ushort v2, v24, s[6:7]
	global_load_ushort v4, v22, s[0:1]
	;; [unrolled: 1-line block ×8, first 2 shown]
	s_load_dword s0, s[2:3], 0x1a0
	s_waitcnt lgkmcnt(0)
	s_cmp_eq_u32 s0, 0
	s_waitcnt vmcnt(14)
	v_cmp_neq_f16_e32 vcc, v1, v3
	v_cmp_eq_f16_e64 s[0:1], v1, v3
	v_cndmask_b32_e64 v3, 0, 1, vcc
	s_waitcnt vmcnt(12)
	v_cmp_neq_f16_e32 vcc, v6, v8
	v_cndmask_b32_e64 v1, 0, 1, s[0:1]
	v_cmp_eq_f16_e64 s[0:1], v6, v8
	v_cndmask_b32_e64 v8, 0, 1, vcc
	s_waitcnt vmcnt(10)
	v_cmp_neq_f16_e32 vcc, v11, v13
	v_cndmask_b32_e64 v6, 0, 1, s[0:1]
	;; [unrolled: 5-line block ×3, first 2 shown]
	v_cmp_eq_f16_e64 s[0:1], v16, v18
	v_cndmask_b32_e64 v18, 0, 1, vcc
	v_cndmask_b32_e64 v16, 0, 1, s[0:1]
	s_waitcnt vmcnt(6)
	v_cmp_neq_f16_e32 vcc, v2, v4
	v_cmp_eq_f16_e64 s[0:1], v2, v4
	v_cndmask_b32_e64 v4, 0, 1, vcc
	s_waitcnt vmcnt(4)
	v_cmp_neq_f16_e32 vcc, v7, v9
	v_cndmask_b32_e64 v2, 0, 1, s[0:1]
	v_cmp_eq_f16_e64 s[0:1], v7, v9
	v_cndmask_b32_e64 v9, 0, 1, vcc
	s_waitcnt vmcnt(2)
	v_cmp_neq_f16_e32 vcc, v12, v14
	v_cndmask_b32_e64 v7, 0, 1, s[0:1]
	;; [unrolled: 5-line block ×3, first 2 shown]
	v_cmp_eq_f16_e64 s[0:1], v17, v19
	v_cndmask_b32_e64 v19, 0, 1, vcc
	s_cselect_b64 vcc, -1, 0
	v_cndmask_b32_e64 v17, 0, 1, s[0:1]
	v_cndmask_b32_e32 v1, v3, v1, vcc
	v_cndmask_b32_e32 v3, v8, v6, vcc
	;; [unrolled: 1-line block ×8, first 2 shown]
	v_and_b32_e32 v1, 1, v1
	v_and_b32_e32 v3, 1, v3
	;; [unrolled: 1-line block ×8, first 2 shown]
	global_store_byte v0, v1, s[4:5]
	global_store_byte v5, v3, s[4:5]
	;; [unrolled: 1-line block ×8, first 2 shown]
	s_endpgm
	.section	.rodata,"a",@progbits
	.p2align	6, 0x0
	.amdhsa_kernel _ZN2at6native32elementwise_kernel_manual_unrollILi128ELi8EZNS0_22gpu_kernel_impl_nocastINS0_13BinaryFunctorIN3c104HalfES5_bNS0_12_GLOBAL__N_116CompareEqFunctorIS5_EEEEEEvRNS_18TensorIteratorBaseERKT_EUlibE_EEviT1_
		.amdhsa_group_segment_fixed_size 0
		.amdhsa_private_segment_fixed_size 0
		.amdhsa_kernarg_size 432
		.amdhsa_user_sgpr_count 6
		.amdhsa_user_sgpr_private_segment_buffer 1
		.amdhsa_user_sgpr_dispatch_ptr 0
		.amdhsa_user_sgpr_queue_ptr 0
		.amdhsa_user_sgpr_kernarg_segment_ptr 1
		.amdhsa_user_sgpr_dispatch_id 0
		.amdhsa_user_sgpr_flat_scratch_init 0
		.amdhsa_user_sgpr_private_segment_size 0
		.amdhsa_uses_dynamic_stack 0
		.amdhsa_system_sgpr_private_segment_wavefront_offset 0
		.amdhsa_system_sgpr_workgroup_id_x 1
		.amdhsa_system_sgpr_workgroup_id_y 0
		.amdhsa_system_sgpr_workgroup_id_z 0
		.amdhsa_system_sgpr_workgroup_info 0
		.amdhsa_system_vgpr_workitem_id 0
		.amdhsa_next_free_vgpr 42
		.amdhsa_next_free_sgpr 52
		.amdhsa_reserve_vcc 1
		.amdhsa_reserve_flat_scratch 0
		.amdhsa_float_round_mode_32 0
		.amdhsa_float_round_mode_16_64 0
		.amdhsa_float_denorm_mode_32 3
		.amdhsa_float_denorm_mode_16_64 3
		.amdhsa_dx10_clamp 1
		.amdhsa_ieee_mode 1
		.amdhsa_fp16_overflow 0
		.amdhsa_exception_fp_ieee_invalid_op 0
		.amdhsa_exception_fp_denorm_src 0
		.amdhsa_exception_fp_ieee_div_zero 0
		.amdhsa_exception_fp_ieee_overflow 0
		.amdhsa_exception_fp_ieee_underflow 0
		.amdhsa_exception_fp_ieee_inexact 0
		.amdhsa_exception_int_div_zero 0
	.end_amdhsa_kernel
	.section	.text._ZN2at6native32elementwise_kernel_manual_unrollILi128ELi8EZNS0_22gpu_kernel_impl_nocastINS0_13BinaryFunctorIN3c104HalfES5_bNS0_12_GLOBAL__N_116CompareEqFunctorIS5_EEEEEEvRNS_18TensorIteratorBaseERKT_EUlibE_EEviT1_,"axG",@progbits,_ZN2at6native32elementwise_kernel_manual_unrollILi128ELi8EZNS0_22gpu_kernel_impl_nocastINS0_13BinaryFunctorIN3c104HalfES5_bNS0_12_GLOBAL__N_116CompareEqFunctorIS5_EEEEEEvRNS_18TensorIteratorBaseERKT_EUlibE_EEviT1_,comdat
.Lfunc_end181:
	.size	_ZN2at6native32elementwise_kernel_manual_unrollILi128ELi8EZNS0_22gpu_kernel_impl_nocastINS0_13BinaryFunctorIN3c104HalfES5_bNS0_12_GLOBAL__N_116CompareEqFunctorIS5_EEEEEEvRNS_18TensorIteratorBaseERKT_EUlibE_EEviT1_, .Lfunc_end181-_ZN2at6native32elementwise_kernel_manual_unrollILi128ELi8EZNS0_22gpu_kernel_impl_nocastINS0_13BinaryFunctorIN3c104HalfES5_bNS0_12_GLOBAL__N_116CompareEqFunctorIS5_EEEEEEvRNS_18TensorIteratorBaseERKT_EUlibE_EEviT1_
                                        ; -- End function
	.set _ZN2at6native32elementwise_kernel_manual_unrollILi128ELi8EZNS0_22gpu_kernel_impl_nocastINS0_13BinaryFunctorIN3c104HalfES5_bNS0_12_GLOBAL__N_116CompareEqFunctorIS5_EEEEEEvRNS_18TensorIteratorBaseERKT_EUlibE_EEviT1_.num_vgpr, 42
	.set _ZN2at6native32elementwise_kernel_manual_unrollILi128ELi8EZNS0_22gpu_kernel_impl_nocastINS0_13BinaryFunctorIN3c104HalfES5_bNS0_12_GLOBAL__N_116CompareEqFunctorIS5_EEEEEEvRNS_18TensorIteratorBaseERKT_EUlibE_EEviT1_.num_agpr, 0
	.set _ZN2at6native32elementwise_kernel_manual_unrollILi128ELi8EZNS0_22gpu_kernel_impl_nocastINS0_13BinaryFunctorIN3c104HalfES5_bNS0_12_GLOBAL__N_116CompareEqFunctorIS5_EEEEEEvRNS_18TensorIteratorBaseERKT_EUlibE_EEviT1_.numbered_sgpr, 52
	.set _ZN2at6native32elementwise_kernel_manual_unrollILi128ELi8EZNS0_22gpu_kernel_impl_nocastINS0_13BinaryFunctorIN3c104HalfES5_bNS0_12_GLOBAL__N_116CompareEqFunctorIS5_EEEEEEvRNS_18TensorIteratorBaseERKT_EUlibE_EEviT1_.num_named_barrier, 0
	.set _ZN2at6native32elementwise_kernel_manual_unrollILi128ELi8EZNS0_22gpu_kernel_impl_nocastINS0_13BinaryFunctorIN3c104HalfES5_bNS0_12_GLOBAL__N_116CompareEqFunctorIS5_EEEEEEvRNS_18TensorIteratorBaseERKT_EUlibE_EEviT1_.private_seg_size, 0
	.set _ZN2at6native32elementwise_kernel_manual_unrollILi128ELi8EZNS0_22gpu_kernel_impl_nocastINS0_13BinaryFunctorIN3c104HalfES5_bNS0_12_GLOBAL__N_116CompareEqFunctorIS5_EEEEEEvRNS_18TensorIteratorBaseERKT_EUlibE_EEviT1_.uses_vcc, 1
	.set _ZN2at6native32elementwise_kernel_manual_unrollILi128ELi8EZNS0_22gpu_kernel_impl_nocastINS0_13BinaryFunctorIN3c104HalfES5_bNS0_12_GLOBAL__N_116CompareEqFunctorIS5_EEEEEEvRNS_18TensorIteratorBaseERKT_EUlibE_EEviT1_.uses_flat_scratch, 0
	.set _ZN2at6native32elementwise_kernel_manual_unrollILi128ELi8EZNS0_22gpu_kernel_impl_nocastINS0_13BinaryFunctorIN3c104HalfES5_bNS0_12_GLOBAL__N_116CompareEqFunctorIS5_EEEEEEvRNS_18TensorIteratorBaseERKT_EUlibE_EEviT1_.has_dyn_sized_stack, 0
	.set _ZN2at6native32elementwise_kernel_manual_unrollILi128ELi8EZNS0_22gpu_kernel_impl_nocastINS0_13BinaryFunctorIN3c104HalfES5_bNS0_12_GLOBAL__N_116CompareEqFunctorIS5_EEEEEEvRNS_18TensorIteratorBaseERKT_EUlibE_EEviT1_.has_recursion, 0
	.set _ZN2at6native32elementwise_kernel_manual_unrollILi128ELi8EZNS0_22gpu_kernel_impl_nocastINS0_13BinaryFunctorIN3c104HalfES5_bNS0_12_GLOBAL__N_116CompareEqFunctorIS5_EEEEEEvRNS_18TensorIteratorBaseERKT_EUlibE_EEviT1_.has_indirect_call, 0
	.section	.AMDGPU.csdata,"",@progbits
; Kernel info:
; codeLenInByte = 9676
; TotalNumSgprs: 56
; NumVgprs: 42
; ScratchSize: 0
; MemoryBound: 0
; FloatMode: 240
; IeeeMode: 1
; LDSByteSize: 0 bytes/workgroup (compile time only)
; SGPRBlocks: 6
; VGPRBlocks: 10
; NumSGPRsForWavesPerEU: 56
; NumVGPRsForWavesPerEU: 42
; Occupancy: 5
; WaveLimiterHint : 1
; COMPUTE_PGM_RSRC2:SCRATCH_EN: 0
; COMPUTE_PGM_RSRC2:USER_SGPR: 6
; COMPUTE_PGM_RSRC2:TRAP_HANDLER: 0
; COMPUTE_PGM_RSRC2:TGID_X_EN: 1
; COMPUTE_PGM_RSRC2:TGID_Y_EN: 0
; COMPUTE_PGM_RSRC2:TGID_Z_EN: 0
; COMPUTE_PGM_RSRC2:TIDIG_COMP_CNT: 0
	.section	.text._ZN2at6native32elementwise_kernel_manual_unrollILi128ELi4EZNS0_15gpu_kernel_implINS0_13BinaryFunctorIN3c104HalfES5_bNS0_12_GLOBAL__N_116CompareEqFunctorIS5_EEEEEEvRNS_18TensorIteratorBaseERKT_EUlibE_EEviT1_,"axG",@progbits,_ZN2at6native32elementwise_kernel_manual_unrollILi128ELi4EZNS0_15gpu_kernel_implINS0_13BinaryFunctorIN3c104HalfES5_bNS0_12_GLOBAL__N_116CompareEqFunctorIS5_EEEEEEvRNS_18TensorIteratorBaseERKT_EUlibE_EEviT1_,comdat
	.globl	_ZN2at6native32elementwise_kernel_manual_unrollILi128ELi4EZNS0_15gpu_kernel_implINS0_13BinaryFunctorIN3c104HalfES5_bNS0_12_GLOBAL__N_116CompareEqFunctorIS5_EEEEEEvRNS_18TensorIteratorBaseERKT_EUlibE_EEviT1_ ; -- Begin function _ZN2at6native32elementwise_kernel_manual_unrollILi128ELi4EZNS0_15gpu_kernel_implINS0_13BinaryFunctorIN3c104HalfES5_bNS0_12_GLOBAL__N_116CompareEqFunctorIS5_EEEEEEvRNS_18TensorIteratorBaseERKT_EUlibE_EEviT1_
	.p2align	8
	.type	_ZN2at6native32elementwise_kernel_manual_unrollILi128ELi4EZNS0_15gpu_kernel_implINS0_13BinaryFunctorIN3c104HalfES5_bNS0_12_GLOBAL__N_116CompareEqFunctorIS5_EEEEEEvRNS_18TensorIteratorBaseERKT_EUlibE_EEviT1_,@function
_ZN2at6native32elementwise_kernel_manual_unrollILi128ELi4EZNS0_15gpu_kernel_implINS0_13BinaryFunctorIN3c104HalfES5_bNS0_12_GLOBAL__N_116CompareEqFunctorIS5_EEEEEEvRNS_18TensorIteratorBaseERKT_EUlibE_EEviT1_: ; @_ZN2at6native32elementwise_kernel_manual_unrollILi128ELi4EZNS0_15gpu_kernel_implINS0_13BinaryFunctorIN3c104HalfES5_bNS0_12_GLOBAL__N_116CompareEqFunctorIS5_EEEEEEvRNS_18TensorIteratorBaseERKT_EUlibE_EEviT1_
; %bb.0:
	s_load_dword s33, s[4:5], 0x30
	s_load_dword s50, s[4:5], 0x0
	s_load_dwordx4 s[8:11], s[4:5], 0x8
	s_load_dwordx2 s[16:17], s[4:5], 0x18
	s_load_dwordx4 s[12:15], s[4:5], 0x20
	v_lshl_or_b32 v2, s6, 9, v0
	v_or_b32_e32 v0, 0x180, v2
	s_waitcnt lgkmcnt(0)
	s_lshr_b32 s57, s33, 8
	s_lshr_b32 s56, s33, 16
	v_cmp_le_i32_e32 vcc, s50, v0
	s_mov_b64 s[6:7], 0
	s_mov_b64 s[20:21], 0
	s_and_saveexec_b64 s[0:1], vcc
	s_xor_b64 s[18:19], exec, s[0:1]
	s_cbranch_execz .LBB182_1544
; %bb.1:
	s_cmp_eq_u32 s15, 0
	s_cselect_b64 s[0:1], -1, 0
	v_cmp_gt_i32_e32 vcc, s50, v2
	s_mov_b64 s[2:3], -1
	s_mov_b64 s[30:31], 0
	s_mov_b64 s[24:25], 0
	;; [unrolled: 1-line block ×3, first 2 shown]
	s_and_saveexec_b64 s[26:27], vcc
	s_cbranch_execz .LBB182_383
; %bb.2:
	v_mul_lo_u32 v0, v2, s13
	v_mov_b32_e32 v1, s11
	s_and_b32 s22, s57, 0xff
	s_cmp_lt_i32 s22, 11
	v_ashrrev_i32_e32 v3, 31, v0
	v_add_co_u32_e32 v0, vcc, s10, v0
	v_addc_co_u32_e32 v1, vcc, v1, v3, vcc
	s_cbranch_scc1 .LBB182_9
; %bb.3:
	s_and_b32 s23, 0xffff, s22
	s_cmp_gt_i32 s23, 25
	s_cbranch_scc0 .LBB182_18
; %bb.4:
	s_cmp_gt_i32 s23, 28
	s_cbranch_scc0 .LBB182_28
; %bb.5:
	;; [unrolled: 3-line block ×4, first 2 shown]
	s_cmp_eq_u32 s23, 46
	s_mov_b64 s[4:5], 0
	s_cbranch_scc0 .LBB182_37
; %bb.8:
	global_load_dword v3, v[0:1], off
	s_waitcnt vmcnt(0)
	v_lshlrev_b32_e32 v3, 16, v3
	v_cvt_f16_f32_e32 v3, v3
	s_branch .LBB182_39
.LBB182_9:
                                        ; implicit-def: $vgpr3
	s_mov_b64 s[2:3], 0
	s_cbranch_execnz .LBB182_105
.LBB182_10:
	s_andn2_b64 vcc, exec, s[2:3]
	s_cbranch_vccnz .LBB182_152
.LBB182_11:
	v_mul_lo_u32 v0, v2, s14
	v_mov_b32_e32 v1, s17
	s_and_b32 s28, s56, 0xff
	s_cmp_lt_i32 s28, 11
	v_ashrrev_i32_e32 v4, 31, v0
	v_add_co_u32_e32 v0, vcc, s16, v0
	v_addc_co_u32_e32 v1, vcc, v1, v4, vcc
	s_cbranch_scc1 .LBB182_19
; %bb.12:
	s_and_b32 s29, 0xffff, s28
	s_cmp_gt_i32 s29, 25
	s_cbranch_scc0 .LBB182_29
; %bb.13:
	s_cmp_gt_i32 s29, 28
	s_cbranch_scc0 .LBB182_32
; %bb.14:
	;; [unrolled: 3-line block ×4, first 2 shown]
	s_cmp_eq_u32 s29, 46
	s_mov_b64 s[4:5], 0
	s_cbranch_scc0 .LBB182_153
; %bb.17:
	global_load_dword v4, v[0:1], off
	s_mov_b64 s[2:3], -1
	s_mov_b64 s[22:23], 0
	s_waitcnt vmcnt(0)
	v_lshlrev_b32_e32 v4, 16, v4
	v_cvt_f16_f32_e32 v4, v4
	s_branch .LBB182_155
.LBB182_18:
	s_mov_b64 s[2:3], 0
                                        ; implicit-def: $vgpr3
	s_cbranch_execnz .LBB182_70
	s_branch .LBB182_104
.LBB182_19:
	s_mov_b64 s[22:23], 0
                                        ; implicit-def: $vgpr4
	s_mov_b64 s[2:3], 0
	s_cbranch_execnz .LBB182_332
.LBB182_20:
	s_andn2_b64 vcc, exec, s[2:3]
	s_cbranch_vccnz .LBB182_380
.LBB182_21:
	s_waitcnt vmcnt(0)
	v_cmp_eq_f16_e32 vcc, v3, v4
	v_cndmask_b32_e64 v0, 0, 1, vcc
	v_cmp_neq_f16_e32 vcc, v3, v4
	v_mul_lo_u32 v3, v2, s12
	v_cndmask_b32_e64 v1, 0, 1, vcc
	v_cndmask_b32_e64 v0, v1, v0, s[0:1]
	v_and_b32_e32 v0, 1, v0
	v_cmp_eq_u32_e64 s[2:3], 1, v0
	v_ashrrev_i32_e32 v1, 31, v3
	v_mov_b32_e32 v4, s9
	s_and_b32 s36, s33, 0xff
	v_add_co_u32_e32 v0, vcc, s8, v3
	s_cmp_lt_i32 s36, 11
	v_addc_co_u32_e32 v1, vcc, v4, v1, vcc
	s_cbranch_scc1 .LBB182_30
; %bb.22:
	s_and_b32 s37, 0xffff, s36
	s_cmp_gt_i32 s37, 25
	s_cbranch_scc0 .LBB182_33
; %bb.23:
	s_cmp_gt_i32 s37, 28
	s_cbranch_scc0 .LBB182_36
; %bb.24:
	;; [unrolled: 3-line block ×4, first 2 shown]
	s_mov_b64 s[28:29], 0
	s_mov_b64 s[4:5], -1
	s_cmp_eq_u32 s37, 46
	s_mov_b64 s[20:21], 0
	s_cbranch_scc0 .LBB182_159
; %bb.27:
	v_cndmask_b32_e64 v3, 0, 1.0, s[2:3]
	v_bfe_u32 v4, v3, 16, 1
	s_movk_i32 s4, 0x7fff
	v_add3_u32 v3, v3, v4, s4
	v_lshrrev_b32_e32 v3, 16, v3
	global_store_dword v[0:1], v3, off
	s_mov_b64 s[20:21], -1
	s_mov_b64 s[4:5], 0
	s_branch .LBB182_159
.LBB182_28:
	s_mov_b64 s[4:5], -1
	s_mov_b64 s[2:3], 0
                                        ; implicit-def: $vgpr3
	s_branch .LBB182_51
.LBB182_29:
	s_mov_b64 s[4:5], -1
	s_mov_b64 s[22:23], 0
	s_mov_b64 s[2:3], 0
                                        ; implicit-def: $vgpr4
	s_branch .LBB182_296
.LBB182_30:
	s_mov_b64 s[28:29], -1
	s_mov_b64 s[4:5], 0
	s_mov_b64 s[20:21], 0
	s_branch .LBB182_228
.LBB182_31:
	s_mov_b64 s[4:5], -1
	s_mov_b64 s[2:3], 0
                                        ; implicit-def: $vgpr3
	s_branch .LBB182_46
.LBB182_32:
	s_mov_b64 s[4:5], -1
	s_mov_b64 s[22:23], 0
	s_mov_b64 s[2:3], 0
                                        ; implicit-def: $vgpr4
	s_branch .LBB182_277
.LBB182_33:
	s_mov_b64 s[28:29], -1
	s_mov_b64 s[4:5], 0
	s_mov_b64 s[20:21], 0
	s_branch .LBB182_186
.LBB182_34:
	s_mov_b64 s[4:5], -1
	s_branch .LBB182_38
.LBB182_35:
	s_mov_b64 s[4:5], -1
	s_mov_b64 s[22:23], 0
	s_mov_b64 s[2:3], 0
                                        ; implicit-def: $vgpr4
	s_branch .LBB182_272
.LBB182_36:
	s_mov_b64 s[28:29], -1
	s_mov_b64 s[4:5], 0
	s_mov_b64 s[20:21], 0
	s_branch .LBB182_169
.LBB182_37:
	s_mov_b64 s[24:25], -1
.LBB182_38:
	s_mov_b64 s[2:3], 0
                                        ; implicit-def: $vgpr3
.LBB182_39:
	s_and_b64 vcc, exec, s[4:5]
	s_cbranch_vccz .LBB182_45
; %bb.40:
	s_cmp_eq_u32 s23, 44
	s_cbranch_scc0 .LBB182_44
; %bb.41:
	global_load_ubyte v3, v[0:1], off
	s_movk_i32 s4, 0xff
	v_mov_b32_e32 v5, 0x7e00
	s_mov_b64 s[2:3], -1
	s_mov_b64 s[24:25], 0
	s_waitcnt vmcnt(0)
	v_lshlrev_b32_e32 v4, 23, v3
	v_cvt_f16_f32_e32 v4, v4
	v_cmp_ne_u32_e32 vcc, s4, v3
	v_cndmask_b32_e32 v4, v5, v4, vcc
	v_cmp_ne_u32_e32 vcc, 0, v3
	v_cndmask_b32_e32 v3, 0, v4, vcc
	s_branch .LBB182_45
.LBB182_42:
	s_mov_b64 s[4:5], -1
	s_mov_b64 s[22:23], 0
	s_branch .LBB182_154
.LBB182_43:
	s_mov_b64 s[28:29], -1
	s_mov_b64 s[4:5], 0
	s_mov_b64 s[20:21], 0
	s_branch .LBB182_165
.LBB182_44:
	s_mov_b64 s[24:25], -1
                                        ; implicit-def: $vgpr3
.LBB182_45:
	s_mov_b64 s[4:5], 0
.LBB182_46:
	s_and_b64 vcc, exec, s[4:5]
	s_cbranch_vccz .LBB182_50
; %bb.47:
	s_cmp_eq_u32 s23, 29
	s_cbranch_scc0 .LBB182_49
; %bb.48:
	global_load_dwordx2 v[3:4], v[0:1], off
	s_mov_b64 s[2:3], -1
	s_mov_b64 s[24:25], 0
	s_mov_b64 s[4:5], 0
	s_waitcnt vmcnt(0)
	v_ffbh_u32_e32 v5, v4
	v_min_u32_e32 v5, 32, v5
	v_lshlrev_b64 v[3:4], v5, v[3:4]
	v_min_u32_e32 v3, 1, v3
	v_or_b32_e32 v3, v4, v3
	v_cvt_f32_u32_e32 v3, v3
	v_sub_u32_e32 v4, 32, v5
	v_ldexp_f32 v3, v3, v4
	v_cvt_f16_f32_e32 v3, v3
	s_branch .LBB182_51
.LBB182_49:
	s_mov_b64 s[24:25], -1
                                        ; implicit-def: $vgpr3
.LBB182_50:
	s_mov_b64 s[4:5], 0
.LBB182_51:
	s_and_b64 vcc, exec, s[4:5]
	s_cbranch_vccz .LBB182_69
; %bb.52:
	s_cmp_lt_i32 s23, 27
	s_cbranch_scc1 .LBB182_55
; %bb.53:
	s_cmp_gt_i32 s23, 27
	s_cbranch_scc0 .LBB182_56
; %bb.54:
	global_load_dword v3, v[0:1], off
	s_mov_b64 s[2:3], 0
	s_waitcnt vmcnt(0)
	v_cvt_f32_u32_e32 v3, v3
	v_cvt_f16_f32_e32 v3, v3
	s_branch .LBB182_57
.LBB182_55:
	s_mov_b64 s[2:3], -1
                                        ; implicit-def: $vgpr3
	s_branch .LBB182_60
.LBB182_56:
	s_mov_b64 s[2:3], -1
                                        ; implicit-def: $vgpr3
.LBB182_57:
	s_andn2_b64 vcc, exec, s[2:3]
	s_cbranch_vccnz .LBB182_59
; %bb.58:
	global_load_ushort v3, v[0:1], off
	s_waitcnt vmcnt(0)
	v_cvt_f16_u16_e32 v3, v3
.LBB182_59:
	s_mov_b64 s[2:3], 0
.LBB182_60:
	s_andn2_b64 vcc, exec, s[2:3]
	s_cbranch_vccnz .LBB182_68
; %bb.61:
	global_load_ubyte v4, v[0:1], off
	s_movk_i32 s2, 0x7f
	s_waitcnt vmcnt(0)
	v_cmp_lt_i16_e32 vcc, s2, v4
	s_mov_b64 s[2:3], 0
	s_and_saveexec_b64 s[4:5], vcc
	s_xor_b64 s[4:5], exec, s[4:5]
	s_cbranch_execz .LBB182_81
; %bb.62:
	s_movk_i32 s2, 0x80
	v_cmp_eq_u16_e32 vcc, s2, v4
	s_mov_b64 s[2:3], -1
	s_and_saveexec_b64 s[20:21], vcc
; %bb.63:
	s_xor_b64 s[2:3], exec, -1
; %bb.64:
	s_or_b64 exec, exec, s[20:21]
	s_and_b64 s[2:3], s[2:3], exec
	s_or_saveexec_b64 s[4:5], s[4:5]
	v_mov_b32_e32 v3, 0x7e00
	s_xor_b64 exec, exec, s[4:5]
	s_cbranch_execnz .LBB182_82
.LBB182_65:
	s_or_b64 exec, exec, s[4:5]
	s_and_saveexec_b64 s[4:5], s[2:3]
	s_cbranch_execz .LBB182_67
.LBB182_66:
	v_lshlrev_b32_e32 v3, 24, v4
	v_and_b32_e32 v4, 0xffff, v4
	v_and_b32_e32 v5, 7, v4
	v_ffbh_u32_e32 v7, v5
	v_min_u32_e32 v7, 32, v7
	v_subrev_u32_e32 v8, 28, v7
	v_bfe_u32 v6, v4, 3, 4
	v_lshlrev_b32_e32 v4, v8, v4
	v_sub_u32_e32 v7, 29, v7
	v_and_b32_e32 v4, 7, v4
	v_cmp_eq_u32_e32 vcc, 0, v6
	v_cndmask_b32_e32 v6, v6, v7, vcc
	v_cndmask_b32_e32 v4, v5, v4, vcc
	v_mov_b32_e32 v5, 0x3b800000
	v_lshlrev_b32_e32 v4, 20, v4
	v_and_b32_e32 v3, 0x80000000, v3
	v_lshl_add_u32 v5, v6, 23, v5
	v_or3_b32 v3, v3, v5, v4
	v_cvt_f16_f32_e32 v3, v3
.LBB182_67:
	s_or_b64 exec, exec, s[4:5]
.LBB182_68:
	s_mov_b64 s[2:3], -1
.LBB182_69:
	s_branch .LBB182_104
.LBB182_70:
	s_cmp_gt_i32 s23, 22
	s_cbranch_scc0 .LBB182_80
; %bb.71:
	s_cmp_lt_i32 s23, 24
	s_cbranch_scc1 .LBB182_83
; %bb.72:
	s_cmp_gt_i32 s23, 24
	s_cbranch_scc0 .LBB182_84
; %bb.73:
	global_load_ubyte v4, v[0:1], off
	s_movk_i32 s2, 0x7f
	s_waitcnt vmcnt(0)
	v_cmp_lt_i16_e32 vcc, s2, v4
	s_mov_b64 s[2:3], 0
	s_and_saveexec_b64 s[4:5], vcc
	s_xor_b64 s[4:5], exec, s[4:5]
	s_cbranch_execz .LBB182_96
; %bb.74:
	s_movk_i32 s2, 0x80
	v_cmp_eq_u16_e32 vcc, s2, v4
	s_mov_b64 s[2:3], -1
	s_and_saveexec_b64 s[20:21], vcc
; %bb.75:
	s_xor_b64 s[2:3], exec, -1
; %bb.76:
	s_or_b64 exec, exec, s[20:21]
	s_and_b64 s[2:3], s[2:3], exec
	s_or_saveexec_b64 s[4:5], s[4:5]
	v_mov_b32_e32 v3, 0x7e00
	s_xor_b64 exec, exec, s[4:5]
	s_cbranch_execnz .LBB182_97
.LBB182_77:
	s_or_b64 exec, exec, s[4:5]
	s_and_saveexec_b64 s[4:5], s[2:3]
	s_cbranch_execz .LBB182_79
.LBB182_78:
	v_lshlrev_b32_e32 v3, 24, v4
	v_and_b32_e32 v4, 0xffff, v4
	v_and_b32_e32 v5, 3, v4
	v_ffbh_u32_e32 v7, v5
	v_min_u32_e32 v7, 32, v7
	v_subrev_u32_e32 v8, 29, v7
	v_bfe_u32 v6, v4, 2, 5
	v_lshlrev_b32_e32 v4, v8, v4
	v_sub_u32_e32 v7, 30, v7
	v_and_b32_e32 v4, 3, v4
	v_cmp_eq_u32_e32 vcc, 0, v6
	v_cndmask_b32_e32 v6, v6, v7, vcc
	v_cndmask_b32_e32 v4, v5, v4, vcc
	v_mov_b32_e32 v5, 0x37800000
	v_lshlrev_b32_e32 v4, 21, v4
	v_and_b32_e32 v3, 0x80000000, v3
	v_lshl_add_u32 v5, v6, 23, v5
	v_or3_b32 v3, v3, v5, v4
	v_cvt_f16_f32_e32 v3, v3
.LBB182_79:
	s_or_b64 exec, exec, s[4:5]
	s_mov_b64 s[2:3], 0
	s_branch .LBB182_85
.LBB182_80:
	s_mov_b64 s[4:5], -1
                                        ; implicit-def: $vgpr3
	s_branch .LBB182_91
.LBB182_81:
	s_or_saveexec_b64 s[4:5], s[4:5]
	v_mov_b32_e32 v3, 0x7e00
	s_xor_b64 exec, exec, s[4:5]
	s_cbranch_execz .LBB182_65
.LBB182_82:
	v_cmp_ne_u16_e32 vcc, 0, v4
	s_andn2_b64 s[2:3], s[2:3], exec
	s_and_b64 s[20:21], vcc, exec
	s_or_b64 s[2:3], s[2:3], s[20:21]
	v_mov_b32_e32 v3, v4
	s_or_b64 exec, exec, s[4:5]
	s_and_saveexec_b64 s[4:5], s[2:3]
	s_cbranch_execnz .LBB182_66
	s_branch .LBB182_67
.LBB182_83:
	s_mov_b64 s[2:3], -1
                                        ; implicit-def: $vgpr3
	s_branch .LBB182_88
.LBB182_84:
	s_mov_b64 s[2:3], -1
                                        ; implicit-def: $vgpr3
.LBB182_85:
	s_and_b64 vcc, exec, s[2:3]
	s_cbranch_vccz .LBB182_87
; %bb.86:
	global_load_ubyte v3, v[0:1], off
	s_mov_b32 s2, 0x7f800000
	s_waitcnt vmcnt(0)
	v_lshlrev_b32_e32 v3, 24, v3
	v_and_b32_e32 v4, 0x7f000000, v3
	v_ffbh_u32_e32 v5, v4
	v_min_u32_e32 v5, 32, v5
	v_sub_u32_e64 v5, v5, 4 clamp
	v_lshlrev_b32_e32 v7, v5, v4
	v_lshlrev_b32_e32 v5, 23, v5
	v_lshrrev_b32_e32 v7, 4, v7
	v_add_u32_e32 v6, 0x1000000, v4
	v_sub_u32_e32 v5, v7, v5
	v_ashrrev_i32_e32 v6, 8, v6
	v_add_u32_e32 v5, 0x3c000000, v5
	v_and_or_b32 v5, v6, s2, v5
	v_cmp_ne_u32_e32 vcc, 0, v4
	v_cndmask_b32_e32 v4, 0, v5, vcc
	s_brev_b32 s2, 1
	v_and_or_b32 v3, v3, s2, v4
	v_cvt_f16_f32_e32 v3, v3
.LBB182_87:
	s_mov_b64 s[2:3], 0
.LBB182_88:
	s_andn2_b64 vcc, exec, s[2:3]
	s_cbranch_vccnz .LBB182_90
; %bb.89:
	global_load_ubyte v3, v[0:1], off
	s_movk_i32 s2, 0x7f00
	s_brev_b32 s3, 16
	s_waitcnt vmcnt(0)
	v_lshlrev_b16_e32 v4, 8, v3
	v_lshlrev_b32_e32 v3, 25, v3
	v_lshrrev_b32_e32 v5, 4, v3
	v_and_or_b32 v6, v4, s2, 0.5
	v_or_b32_e32 v5, 0x70000000, v5
	v_add_f32_e32 v6, -0.5, v6
	v_mul_f32_e32 v5, 0x7800000, v5
	v_cmp_gt_u32_e32 vcc, s3, v3
	v_bfe_i32 v4, v4, 0, 16
	v_cndmask_b32_e32 v3, v5, v6, vcc
	s_brev_b32 s2, 1
	v_and_or_b32 v3, v4, s2, v3
	v_cvt_f16_f32_e32 v3, v3
.LBB182_90:
	s_mov_b64 s[4:5], 0
	s_mov_b64 s[2:3], -1
.LBB182_91:
	s_andn2_b64 vcc, exec, s[4:5]
	s_cbranch_vccnz .LBB182_104
; %bb.92:
	s_cmp_gt_i32 s23, 14
	s_cbranch_scc0 .LBB182_95
; %bb.93:
	s_cmp_eq_u32 s23, 15
	s_cbranch_scc0 .LBB182_98
; %bb.94:
	global_load_ushort v3, v[0:1], off
	s_mov_b64 s[2:3], -1
	s_mov_b64 s[24:25], 0
	s_waitcnt vmcnt(0)
	v_lshlrev_b32_e32 v3, 16, v3
	v_cvt_f16_f32_e32 v3, v3
	s_branch .LBB182_99
.LBB182_95:
	s_mov_b64 s[4:5], -1
                                        ; implicit-def: $vgpr3
	s_branch .LBB182_100
.LBB182_96:
	s_or_saveexec_b64 s[4:5], s[4:5]
	v_mov_b32_e32 v3, 0x7e00
	s_xor_b64 exec, exec, s[4:5]
	s_cbranch_execz .LBB182_77
.LBB182_97:
	v_cmp_ne_u16_e32 vcc, 0, v4
	s_andn2_b64 s[2:3], s[2:3], exec
	s_and_b64 s[20:21], vcc, exec
	s_or_b64 s[2:3], s[2:3], s[20:21]
	v_mov_b32_e32 v3, v4
	s_or_b64 exec, exec, s[4:5]
	s_and_saveexec_b64 s[4:5], s[2:3]
	s_cbranch_execnz .LBB182_78
	s_branch .LBB182_79
.LBB182_98:
	s_mov_b64 s[24:25], -1
                                        ; implicit-def: $vgpr3
.LBB182_99:
	s_mov_b64 s[4:5], 0
.LBB182_100:
	s_and_b64 vcc, exec, s[4:5]
	s_cbranch_vccz .LBB182_104
; %bb.101:
	s_cmp_eq_u32 s23, 11
	s_cbranch_scc0 .LBB182_103
; %bb.102:
	global_load_ubyte v3, v[0:1], off
	v_mov_b32_e32 v4, 0x3c00
	s_mov_b64 s[2:3], -1
	s_mov_b64 s[24:25], 0
	s_waitcnt vmcnt(0)
	v_cmp_ne_u16_e32 vcc, 0, v3
	v_cndmask_b32_e32 v3, 0, v4, vcc
	s_branch .LBB182_104
.LBB182_103:
	s_mov_b64 s[24:25], -1
                                        ; implicit-def: $vgpr3
.LBB182_104:
	s_branch .LBB182_10
.LBB182_105:
	s_and_b32 s4, 0xffff, s22
	s_cmp_lt_i32 s4, 5
	s_cbranch_scc1 .LBB182_110
; %bb.106:
	s_cmp_lt_i32 s4, 8
	s_cbranch_scc1 .LBB182_111
; %bb.107:
	;; [unrolled: 3-line block ×3, first 2 shown]
	s_cmp_gt_i32 s4, 9
	s_cbranch_scc0 .LBB182_113
; %bb.109:
	global_load_dwordx2 v[3:4], v[0:1], off
	s_movk_i32 s2, 0x1ff
	s_movk_i32 s3, 0xffe
	v_mov_b32_e32 v5, 0x7c00
	v_mov_b32_e32 v6, 0x7e00
	s_movk_i32 s5, 0x40f
	s_mov_b32 s20, 0x8000
	s_waitcnt vmcnt(0)
	v_and_or_b32 v3, v4, s2, v3
	v_cmp_ne_u32_e32 vcc, 0, v3
	v_lshrrev_b32_e32 v7, 8, v4
	v_bfe_u32 v8, v4, 20, 11
	v_cndmask_b32_e64 v3, 0, 1, vcc
	v_sub_u32_e32 v9, 0x3f1, v8
	v_and_or_b32 v3, v7, s3, v3
	v_add_u32_e32 v8, 0xfffffc10, v8
	v_med3_i32 v7, v9, 0, 13
	v_or_b32_e32 v9, 0x1000, v3
	v_cmp_ne_u32_e32 vcc, 0, v3
	v_lshl_or_b32 v10, v8, 12, v3
	v_cndmask_b32_e32 v3, v5, v6, vcc
	v_lshrrev_b32_e32 v6, v7, v9
	v_lshlrev_b32_e32 v7, v7, v6
	v_cmp_ne_u32_e32 vcc, v7, v9
	v_cndmask_b32_e64 v7, 0, 1, vcc
	v_or_b32_e32 v6, v6, v7
	v_cmp_gt_i32_e32 vcc, 1, v8
	v_cndmask_b32_e32 v6, v10, v6, vcc
	v_and_b32_e32 v7, 7, v6
	v_cmp_lt_i32_e32 vcc, 5, v7
	v_cndmask_b32_e64 v9, 0, 1, vcc
	v_cmp_eq_u32_e32 vcc, 3, v7
	v_cndmask_b32_e64 v7, 0, 1, vcc
	v_lshrrev_b32_e32 v6, 2, v6
	v_or_b32_e32 v7, v7, v9
	v_add_u32_e32 v6, v6, v7
	v_cmp_gt_i32_e32 vcc, 31, v8
	v_cndmask_b32_e32 v5, v5, v6, vcc
	v_cmp_eq_u32_e32 vcc, s5, v8
	v_lshrrev_b32_e32 v4, 16, v4
	v_cndmask_b32_e32 v3, v5, v3, vcc
	v_and_or_b32 v3, v4, s20, v3
	s_mov_b64 s[2:3], 0
	s_branch .LBB182_114
.LBB182_110:
                                        ; implicit-def: $vgpr3
	s_branch .LBB182_132
.LBB182_111:
	s_mov_b64 s[2:3], -1
                                        ; implicit-def: $vgpr3
	s_branch .LBB182_120
.LBB182_112:
	s_mov_b64 s[2:3], -1
                                        ; implicit-def: $vgpr3
	s_branch .LBB182_117
.LBB182_113:
	s_mov_b64 s[2:3], -1
                                        ; implicit-def: $vgpr3
.LBB182_114:
	s_andn2_b64 vcc, exec, s[2:3]
	s_cbranch_vccnz .LBB182_116
; %bb.115:
	global_load_dword v3, v[0:1], off
	s_waitcnt vmcnt(0)
	v_cvt_f16_f32_e32 v3, v3
.LBB182_116:
	s_mov_b64 s[2:3], 0
.LBB182_117:
	s_andn2_b64 vcc, exec, s[2:3]
	s_cbranch_vccnz .LBB182_119
; %bb.118:
	global_load_dword v3, v[0:1], off
.LBB182_119:
	s_mov_b64 s[2:3], 0
.LBB182_120:
	s_andn2_b64 vcc, exec, s[2:3]
	s_cbranch_vccnz .LBB182_131
; %bb.121:
	s_cmp_lt_i32 s4, 6
	s_cbranch_scc1 .LBB182_124
; %bb.122:
	s_cmp_gt_i32 s4, 6
	s_cbranch_scc0 .LBB182_125
; %bb.123:
	global_load_dwordx2 v[3:4], v[0:1], off
	s_movk_i32 s2, 0x1ff
	s_movk_i32 s3, 0xffe
	v_mov_b32_e32 v5, 0x7c00
	v_mov_b32_e32 v6, 0x7e00
	s_movk_i32 s5, 0x40f
	s_mov_b32 s20, 0x8000
	s_waitcnt vmcnt(0)
	v_and_or_b32 v3, v4, s2, v3
	v_cmp_ne_u32_e32 vcc, 0, v3
	v_lshrrev_b32_e32 v7, 8, v4
	v_bfe_u32 v8, v4, 20, 11
	v_cndmask_b32_e64 v3, 0, 1, vcc
	v_sub_u32_e32 v9, 0x3f1, v8
	v_and_or_b32 v3, v7, s3, v3
	v_add_u32_e32 v8, 0xfffffc10, v8
	v_med3_i32 v7, v9, 0, 13
	v_or_b32_e32 v9, 0x1000, v3
	v_cmp_ne_u32_e32 vcc, 0, v3
	v_lshl_or_b32 v10, v8, 12, v3
	v_cndmask_b32_e32 v3, v5, v6, vcc
	v_lshrrev_b32_e32 v6, v7, v9
	v_lshlrev_b32_e32 v7, v7, v6
	v_cmp_ne_u32_e32 vcc, v7, v9
	v_cndmask_b32_e64 v7, 0, 1, vcc
	v_or_b32_e32 v6, v6, v7
	v_cmp_gt_i32_e32 vcc, 1, v8
	v_cndmask_b32_e32 v6, v10, v6, vcc
	v_and_b32_e32 v7, 7, v6
	v_cmp_lt_i32_e32 vcc, 5, v7
	v_cndmask_b32_e64 v9, 0, 1, vcc
	v_cmp_eq_u32_e32 vcc, 3, v7
	v_cndmask_b32_e64 v7, 0, 1, vcc
	v_lshrrev_b32_e32 v6, 2, v6
	v_or_b32_e32 v7, v7, v9
	v_add_u32_e32 v6, v6, v7
	v_cmp_gt_i32_e32 vcc, 31, v8
	v_cndmask_b32_e32 v5, v5, v6, vcc
	v_cmp_eq_u32_e32 vcc, s5, v8
	v_lshrrev_b32_e32 v4, 16, v4
	v_cndmask_b32_e32 v3, v5, v3, vcc
	v_and_or_b32 v3, v4, s20, v3
	s_mov_b64 s[2:3], 0
	s_branch .LBB182_126
.LBB182_124:
	s_mov_b64 s[2:3], -1
                                        ; implicit-def: $vgpr3
	s_branch .LBB182_129
.LBB182_125:
	s_mov_b64 s[2:3], -1
                                        ; implicit-def: $vgpr3
.LBB182_126:
	s_andn2_b64 vcc, exec, s[2:3]
	s_cbranch_vccnz .LBB182_128
; %bb.127:
	global_load_dword v3, v[0:1], off
	s_waitcnt vmcnt(0)
	v_cvt_f16_f32_e32 v3, v3
.LBB182_128:
	s_mov_b64 s[2:3], 0
.LBB182_129:
	s_andn2_b64 vcc, exec, s[2:3]
	s_cbranch_vccnz .LBB182_131
; %bb.130:
	global_load_ushort v3, v[0:1], off
.LBB182_131:
	s_cbranch_execnz .LBB182_151
.LBB182_132:
	s_cmp_lt_i32 s4, 2
	s_cbranch_scc1 .LBB182_136
; %bb.133:
	s_cmp_lt_i32 s4, 3
	s_cbranch_scc1 .LBB182_137
; %bb.134:
	s_cmp_gt_i32 s4, 3
	s_cbranch_scc0 .LBB182_138
; %bb.135:
	global_load_dwordx2 v[3:4], v[0:1], off
	s_mov_b64 s[2:3], 0
	s_waitcnt vmcnt(0)
	v_xor_b32_e32 v6, v3, v4
	v_ffbh_i32_e32 v5, v4
	v_ashrrev_i32_e32 v6, 31, v6
	v_add_u32_e32 v5, -1, v5
	v_add_u32_e32 v6, 32, v6
	v_min_u32_e32 v5, v5, v6
	v_lshlrev_b64 v[3:4], v5, v[3:4]
	v_min_u32_e32 v3, 1, v3
	v_or_b32_e32 v3, v4, v3
	v_cvt_f32_i32_e32 v3, v3
	v_sub_u32_e32 v4, 32, v5
	v_ldexp_f32 v3, v3, v4
	v_cvt_f16_f32_e32 v3, v3
	s_branch .LBB182_139
.LBB182_136:
	s_mov_b64 s[2:3], -1
                                        ; implicit-def: $vgpr3
	s_branch .LBB182_145
.LBB182_137:
	s_mov_b64 s[2:3], -1
                                        ; implicit-def: $vgpr3
	s_branch .LBB182_142
.LBB182_138:
	s_mov_b64 s[2:3], -1
                                        ; implicit-def: $vgpr3
.LBB182_139:
	s_andn2_b64 vcc, exec, s[2:3]
	s_cbranch_vccnz .LBB182_141
; %bb.140:
	global_load_dword v3, v[0:1], off
	s_waitcnt vmcnt(0)
	v_cvt_f32_i32_e32 v3, v3
	v_cvt_f16_f32_e32 v3, v3
.LBB182_141:
	s_mov_b64 s[2:3], 0
.LBB182_142:
	s_andn2_b64 vcc, exec, s[2:3]
	s_cbranch_vccnz .LBB182_144
; %bb.143:
	global_load_ushort v3, v[0:1], off
	s_waitcnt vmcnt(0)
	v_cvt_f16_i16_e32 v3, v3
.LBB182_144:
	s_mov_b64 s[2:3], 0
.LBB182_145:
	s_andn2_b64 vcc, exec, s[2:3]
	s_cbranch_vccnz .LBB182_151
; %bb.146:
	s_cmp_gt_i32 s4, 0
	s_cbranch_scc0 .LBB182_148
; %bb.147:
	global_load_sbyte v3, v[0:1], off
	s_mov_b64 s[2:3], 0
	s_waitcnt vmcnt(0)
	v_cvt_f16_i16_e32 v3, v3
	s_branch .LBB182_149
.LBB182_148:
	s_mov_b64 s[2:3], -1
                                        ; implicit-def: $vgpr3
.LBB182_149:
	s_andn2_b64 vcc, exec, s[2:3]
	s_cbranch_vccnz .LBB182_151
; %bb.150:
	global_load_ubyte v0, v[0:1], off
	s_waitcnt vmcnt(0)
	v_cvt_f16_u16_e32 v3, v0
.LBB182_151:
	s_branch .LBB182_11
.LBB182_152:
	s_mov_b64 s[4:5], 0
	s_mov_b64 s[22:23], 0
	s_branch .LBB182_381
.LBB182_153:
	s_mov_b64 s[22:23], -1
.LBB182_154:
	s_mov_b64 s[2:3], 0
                                        ; implicit-def: $vgpr4
.LBB182_155:
	s_and_b64 vcc, exec, s[4:5]
	s_cbranch_vccz .LBB182_271
; %bb.156:
	s_cmp_eq_u32 s29, 44
	s_cbranch_scc0 .LBB182_270
; %bb.157:
	global_load_ubyte v4, v[0:1], off
	s_movk_i32 s4, 0xff
	v_mov_b32_e32 v6, 0x7e00
	s_mov_b64 s[2:3], -1
	s_mov_b64 s[22:23], 0
	s_waitcnt vmcnt(0)
	v_lshlrev_b32_e32 v5, 23, v4
	v_cvt_f16_f32_e32 v5, v5
	v_cmp_ne_u32_e32 vcc, s4, v4
	v_cndmask_b32_e32 v5, v6, v5, vcc
	v_cmp_ne_u32_e32 vcc, 0, v4
	v_cndmask_b32_e32 v4, 0, v5, vcc
	s_branch .LBB182_271
.LBB182_158:
	s_mov_b64 s[28:29], -1
	s_mov_b64 s[4:5], 0
	s_mov_b64 s[20:21], 0
.LBB182_159:
	s_and_b64 vcc, exec, s[28:29]
	s_cbranch_vccz .LBB182_164
; %bb.160:
	s_cmp_eq_u32 s37, 44
	s_mov_b64 s[4:5], -1
	s_cbranch_scc0 .LBB182_164
; %bb.161:
	v_cndmask_b32_e64 v4, 0, 1.0, s[2:3]
	v_lshrrev_b32_e32 v3, 23, v4
	s_movk_i32 s4, 0xff
	v_cmp_ne_u32_e32 vcc, s4, v3
	v_mov_b32_e32 v5, 0xff
	s_and_saveexec_b64 s[20:21], vcc
; %bb.162:
	s_mov_b32 s4, 0x3fffff
	v_and_b32_e32 v5, 0x400000, v4
	v_and_or_b32 v4, v4, s4, v3
	v_cmp_ne_u32_e32 vcc, 0, v5
	v_cmp_ne_u32_e64 s[4:5], 0, v4
	s_and_b64 s[4:5], vcc, s[4:5]
	v_cndmask_b32_e64 v4, 0, 1, s[4:5]
	v_add_u32_e32 v5, v3, v4
; %bb.163:
	s_or_b64 exec, exec, s[20:21]
	s_mov_b64 s[20:21], -1
	s_mov_b64 s[4:5], 0
	global_store_byte v[0:1], v5, off
.LBB182_164:
	s_mov_b64 s[28:29], 0
.LBB182_165:
	s_and_b64 vcc, exec, s[28:29]
	s_cbranch_vccz .LBB182_168
; %bb.166:
	s_cmp_eq_u32 s37, 29
	s_mov_b64 s[4:5], -1
	s_cbranch_scc0 .LBB182_168
; %bb.167:
	s_mov_b32 s4, 0
	v_cndmask_b32_e64 v3, 0, 1, s[2:3]
	v_mov_b32_e32 v4, s4
	global_store_dwordx2 v[0:1], v[3:4], off
	s_mov_b64 s[20:21], -1
	s_mov_b64 s[4:5], 0
.LBB182_168:
	s_mov_b64 s[28:29], 0
.LBB182_169:
	s_and_b64 vcc, exec, s[28:29]
	s_cbranch_vccz .LBB182_185
; %bb.170:
	s_cmp_lt_i32 s37, 27
	s_mov_b64 s[20:21], -1
	s_cbranch_scc1 .LBB182_176
; %bb.171:
	s_cmp_gt_i32 s37, 27
	s_cbranch_scc0 .LBB182_173
; %bb.172:
	v_cndmask_b32_e64 v3, 0, 1, s[2:3]
	s_mov_b64 s[20:21], 0
	global_store_dword v[0:1], v3, off
.LBB182_173:
	s_andn2_b64 vcc, exec, s[20:21]
	s_cbranch_vccnz .LBB182_175
; %bb.174:
	v_cndmask_b32_e64 v3, 0, 1, s[2:3]
	global_store_short v[0:1], v3, off
.LBB182_175:
	s_mov_b64 s[20:21], 0
.LBB182_176:
	s_andn2_b64 vcc, exec, s[20:21]
	s_cbranch_vccnz .LBB182_184
; %bb.177:
	v_cndmask_b32_e64 v4, 0, 1.0, s[2:3]
	s_mov_b32 s20, 0x43800000
	v_cmp_gt_u32_e32 vcc, s20, v4
	v_mov_b32_e32 v5, 0x80
	s_and_saveexec_b64 s[20:21], vcc
	s_cbranch_execz .LBB182_183
; %bb.178:
	s_mov_b32 s28, 0x3bffffff
	v_cmp_lt_u32_e32 vcc, s28, v4
	s_mov_b64 s[28:29], 0
                                        ; implicit-def: $vgpr3
	s_and_saveexec_b64 s[34:35], vcc
	s_xor_b64 s[34:35], exec, s[34:35]
	s_cbranch_execz .LBB182_412
; %bb.179:
	v_bfe_u32 v3, v4, 20, 1
	s_mov_b32 s38, 0x487ffff
	v_add3_u32 v3, v4, v3, s38
	s_mov_b64 s[28:29], exec
	v_lshrrev_b32_e32 v3, 20, v3
                                        ; implicit-def: $vgpr4
	s_andn2_saveexec_b64 s[34:35], s[34:35]
	s_cbranch_execnz .LBB182_413
.LBB182_180:
	s_or_b64 exec, exec, s[34:35]
	v_mov_b32_e32 v5, 0
	s_and_saveexec_b64 s[34:35], s[28:29]
.LBB182_181:
	v_mov_b32_e32 v5, v3
.LBB182_182:
	s_or_b64 exec, exec, s[34:35]
.LBB182_183:
	s_or_b64 exec, exec, s[20:21]
	global_store_byte v[0:1], v5, off
.LBB182_184:
	s_mov_b64 s[20:21], -1
.LBB182_185:
	s_mov_b64 s[28:29], 0
.LBB182_186:
	s_and_b64 vcc, exec, s[28:29]
	s_cbranch_vccz .LBB182_227
; %bb.187:
	s_cmp_gt_i32 s37, 22
	s_mov_b64 s[28:29], -1
	s_cbranch_scc0 .LBB182_219
; %bb.188:
	s_cmp_lt_i32 s37, 24
	s_mov_b64 s[20:21], -1
	s_cbranch_scc1 .LBB182_208
; %bb.189:
	s_cmp_gt_i32 s37, 24
	s_cbranch_scc0 .LBB182_197
; %bb.190:
	v_cndmask_b32_e64 v4, 0, 1.0, s[2:3]
	s_mov_b32 s20, 0x47800000
	v_cmp_gt_u32_e32 vcc, s20, v4
	v_mov_b32_e32 v5, 0x80
	s_and_saveexec_b64 s[20:21], vcc
	s_cbranch_execz .LBB182_196
; %bb.191:
	s_mov_b32 s28, 0x37ffffff
	v_cmp_lt_u32_e32 vcc, s28, v4
	s_mov_b64 s[28:29], 0
                                        ; implicit-def: $vgpr3
	s_and_saveexec_b64 s[34:35], vcc
	s_xor_b64 s[34:35], exec, s[34:35]
	s_cbranch_execz .LBB182_531
; %bb.192:
	v_bfe_u32 v3, v4, 21, 1
	s_mov_b32 s38, 0x88fffff
	v_add3_u32 v3, v4, v3, s38
	s_mov_b64 s[28:29], exec
	v_lshrrev_b32_e32 v3, 21, v3
                                        ; implicit-def: $vgpr4
	s_andn2_saveexec_b64 s[34:35], s[34:35]
	s_cbranch_execnz .LBB182_532
.LBB182_193:
	s_or_b64 exec, exec, s[34:35]
	v_mov_b32_e32 v5, 0
	s_and_saveexec_b64 s[34:35], s[28:29]
.LBB182_194:
	v_mov_b32_e32 v5, v3
.LBB182_195:
	s_or_b64 exec, exec, s[34:35]
.LBB182_196:
	s_or_b64 exec, exec, s[20:21]
	s_mov_b64 s[20:21], 0
	global_store_byte v[0:1], v5, off
.LBB182_197:
	s_and_b64 vcc, exec, s[20:21]
	s_cbranch_vccz .LBB182_207
; %bb.198:
	v_cndmask_b32_e64 v3, 0, 1.0, s[2:3]
	s_mov_b32 s20, 0x43f00000
	v_cmp_gt_u32_e32 vcc, s20, v3
                                        ; implicit-def: $vgpr4
	s_and_saveexec_b64 s[20:21], vcc
	s_xor_b64 s[20:21], exec, s[20:21]
	s_cbranch_execz .LBB182_204
; %bb.199:
	s_mov_b32 s28, 0x3c7fffff
	v_cmp_lt_u32_e32 vcc, s28, v3
                                        ; implicit-def: $vgpr4
	s_and_saveexec_b64 s[28:29], vcc
	s_xor_b64 s[28:29], exec, s[28:29]
; %bb.200:
	v_bfe_u32 v4, v3, 20, 1
	s_mov_b32 s34, 0x407ffff
	v_add3_u32 v3, v3, v4, s34
	v_lshrrev_b32_e32 v4, 20, v3
	v_and_b32_e32 v3, 0xff00000, v3
	s_mov_b32 s34, 0x7f00000
	v_mov_b32_e32 v5, 0x7e
	v_cmp_ne_u32_e32 vcc, s34, v3
	v_cndmask_b32_e32 v4, v5, v4, vcc
                                        ; implicit-def: $vgpr3
; %bb.201:
	s_andn2_saveexec_b64 s[28:29], s[28:29]
; %bb.202:
	v_add_f32_e32 v4, 0x46800000, v3
; %bb.203:
	s_or_b64 exec, exec, s[28:29]
                                        ; implicit-def: $vgpr3
.LBB182_204:
	s_andn2_saveexec_b64 s[20:21], s[20:21]
; %bb.205:
	s_mov_b32 s28, 0x7f800000
	v_mov_b32_e32 v4, 0x7e
	v_mov_b32_e32 v5, 0x7f
	v_cmp_lt_u32_e32 vcc, s28, v3
	v_cndmask_b32_e32 v4, v4, v5, vcc
; %bb.206:
	s_or_b64 exec, exec, s[20:21]
	global_store_byte v[0:1], v4, off
.LBB182_207:
	s_mov_b64 s[20:21], 0
.LBB182_208:
	s_andn2_b64 vcc, exec, s[20:21]
	s_cbranch_vccnz .LBB182_218
; %bb.209:
	v_cndmask_b32_e64 v3, 0, 1.0, s[2:3]
	s_mov_b32 s20, 0x47800000
	v_cmp_gt_u32_e32 vcc, s20, v3
                                        ; implicit-def: $vgpr4
	s_and_saveexec_b64 s[20:21], vcc
	s_xor_b64 s[20:21], exec, s[20:21]
	s_cbranch_execz .LBB182_215
; %bb.210:
	s_mov_b32 s28, 0x387fffff
	v_cmp_lt_u32_e32 vcc, s28, v3
                                        ; implicit-def: $vgpr4
	s_and_saveexec_b64 s[28:29], vcc
	s_xor_b64 s[28:29], exec, s[28:29]
; %bb.211:
	v_bfe_u32 v4, v3, 21, 1
	s_mov_b32 s34, 0x80fffff
	v_add3_u32 v3, v3, v4, s34
	v_lshrrev_b32_e32 v4, 21, v3
                                        ; implicit-def: $vgpr3
; %bb.212:
	s_andn2_saveexec_b64 s[28:29], s[28:29]
; %bb.213:
	v_add_f32_e32 v4, 0x43000000, v3
; %bb.214:
	s_or_b64 exec, exec, s[28:29]
                                        ; implicit-def: $vgpr3
.LBB182_215:
	s_andn2_saveexec_b64 s[20:21], s[20:21]
; %bb.216:
	s_mov_b32 s28, 0x7f800000
	v_mov_b32_e32 v4, 0x7c
	v_mov_b32_e32 v5, 0x7f
	v_cmp_lt_u32_e32 vcc, s28, v3
	v_cndmask_b32_e32 v4, v4, v5, vcc
; %bb.217:
	s_or_b64 exec, exec, s[20:21]
	global_store_byte v[0:1], v4, off
.LBB182_218:
	s_mov_b64 s[28:29], 0
	s_mov_b64 s[20:21], -1
.LBB182_219:
	s_andn2_b64 vcc, exec, s[28:29]
	s_cbranch_vccnz .LBB182_227
; %bb.220:
	s_cmp_gt_i32 s37, 14
	s_mov_b64 s[28:29], -1
	s_cbranch_scc0 .LBB182_224
; %bb.221:
	s_cmp_eq_u32 s37, 15
	s_mov_b64 s[4:5], -1
	s_cbranch_scc0 .LBB182_223
; %bb.222:
	v_cndmask_b32_e64 v3, 0, 1.0, s[2:3]
	v_bfe_u32 v4, v3, 16, 1
	s_movk_i32 s4, 0x7fff
	v_add3_u32 v3, v3, v4, s4
	global_store_short_d16_hi v[0:1], v3, off
	s_mov_b64 s[20:21], -1
	s_mov_b64 s[4:5], 0
.LBB182_223:
	s_mov_b64 s[28:29], 0
.LBB182_224:
	s_and_b64 vcc, exec, s[28:29]
	s_cbranch_vccz .LBB182_227
; %bb.225:
	s_cmp_eq_u32 s37, 11
	s_mov_b64 s[4:5], -1
	s_cbranch_scc0 .LBB182_227
; %bb.226:
	v_cndmask_b32_e64 v3, 0, 1, s[2:3]
	s_mov_b64 s[20:21], -1
	s_mov_b64 s[4:5], 0
	global_store_byte v[0:1], v3, off
.LBB182_227:
	s_mov_b64 s[28:29], 0
.LBB182_228:
	s_and_b64 vcc, exec, s[28:29]
	s_cbranch_vccz .LBB182_267
; %bb.229:
	s_and_b32 s28, 0xffff, s36
	s_cmp_lt_i32 s28, 5
	s_mov_b64 s[20:21], -1
	s_cbranch_scc1 .LBB182_250
; %bb.230:
	s_cmp_lt_i32 s28, 8
	s_cbranch_scc1 .LBB182_240
; %bb.231:
	s_cmp_lt_i32 s28, 9
	s_cbranch_scc1 .LBB182_237
; %bb.232:
	s_cmp_gt_i32 s28, 9
	s_cbranch_scc0 .LBB182_234
; %bb.233:
	v_cndmask_b32_e64 v3, 0, 1, s[2:3]
	v_cvt_f64_u32_e32 v[3:4], v3
	v_mov_b32_e32 v5, 0
	v_mov_b32_e32 v6, v5
	s_mov_b64 s[20:21], 0
	global_store_dwordx4 v[0:1], v[3:6], off
.LBB182_234:
	s_andn2_b64 vcc, exec, s[20:21]
	s_cbranch_vccnz .LBB182_236
; %bb.235:
	v_cndmask_b32_e64 v3, 0, 1.0, s[2:3]
	v_mov_b32_e32 v4, 0
	global_store_dwordx2 v[0:1], v[3:4], off
.LBB182_236:
	s_mov_b64 s[20:21], 0
.LBB182_237:
	s_andn2_b64 vcc, exec, s[20:21]
	s_cbranch_vccnz .LBB182_239
; %bb.238:
	v_cndmask_b32_e64 v3, 0, 1.0, s[2:3]
	v_cvt_f16_f32_e32 v3, v3
	global_store_dword v[0:1], v3, off
.LBB182_239:
	s_mov_b64 s[20:21], 0
.LBB182_240:
	s_andn2_b64 vcc, exec, s[20:21]
	s_cbranch_vccnz .LBB182_249
; %bb.241:
	s_cmp_lt_i32 s28, 6
	s_mov_b64 s[20:21], -1
	s_cbranch_scc1 .LBB182_247
; %bb.242:
	s_cmp_gt_i32 s28, 6
	s_cbranch_scc0 .LBB182_244
; %bb.243:
	v_cndmask_b32_e64 v3, 0, 1, s[2:3]
	v_cvt_f64_u32_e32 v[3:4], v3
	s_mov_b64 s[20:21], 0
	global_store_dwordx2 v[0:1], v[3:4], off
.LBB182_244:
	s_andn2_b64 vcc, exec, s[20:21]
	s_cbranch_vccnz .LBB182_246
; %bb.245:
	v_cndmask_b32_e64 v3, 0, 1.0, s[2:3]
	global_store_dword v[0:1], v3, off
.LBB182_246:
	s_mov_b64 s[20:21], 0
.LBB182_247:
	s_andn2_b64 vcc, exec, s[20:21]
	s_cbranch_vccnz .LBB182_249
; %bb.248:
	v_cndmask_b32_e64 v3, 0, 1.0, s[2:3]
	v_cvt_f16_f32_e32 v3, v3
	global_store_short v[0:1], v3, off
.LBB182_249:
	s_mov_b64 s[20:21], 0
.LBB182_250:
	s_andn2_b64 vcc, exec, s[20:21]
	s_cbranch_vccnz .LBB182_266
; %bb.251:
	s_cmp_lt_i32 s28, 2
	s_mov_b64 s[20:21], -1
	s_cbranch_scc1 .LBB182_261
; %bb.252:
	s_cmp_lt_i32 s28, 3
	s_cbranch_scc1 .LBB182_258
; %bb.253:
	s_cmp_gt_i32 s28, 3
	s_cbranch_scc0 .LBB182_255
; %bb.254:
	s_mov_b32 s20, 0
	v_cndmask_b32_e64 v3, 0, 1, s[2:3]
	v_mov_b32_e32 v4, s20
	global_store_dwordx2 v[0:1], v[3:4], off
	s_mov_b64 s[20:21], 0
.LBB182_255:
	s_andn2_b64 vcc, exec, s[20:21]
	s_cbranch_vccnz .LBB182_257
; %bb.256:
	v_cndmask_b32_e64 v3, 0, 1, s[2:3]
	global_store_dword v[0:1], v3, off
.LBB182_257:
	s_mov_b64 s[20:21], 0
.LBB182_258:
	s_andn2_b64 vcc, exec, s[20:21]
	s_cbranch_vccnz .LBB182_260
; %bb.259:
	v_cndmask_b32_e64 v3, 0, 1, s[2:3]
	global_store_short v[0:1], v3, off
.LBB182_260:
	s_mov_b64 s[20:21], 0
.LBB182_261:
	s_andn2_b64 vcc, exec, s[20:21]
	s_cbranch_vccnz .LBB182_266
; %bb.262:
	s_mov_b64 s[20:21], -1
	s_cmp_gt_i32 s28, 0
	v_cndmask_b32_e64 v3, 0, 1, s[2:3]
	s_cbranch_scc0 .LBB182_264
; %bb.263:
	global_store_byte v[0:1], v3, off
	s_mov_b64 s[20:21], 0
.LBB182_264:
	s_andn2_b64 vcc, exec, s[20:21]
	s_cbranch_vccnz .LBB182_266
; %bb.265:
	global_store_byte v[0:1], v3, off
.LBB182_266:
	s_mov_b64 s[20:21], -1
.LBB182_267:
	s_andn2_b64 vcc, exec, s[20:21]
	s_cbranch_vccnz .LBB182_269
; %bb.268:
	v_add_u32_e32 v2, 0x80, v2
	s_mov_b64 s[2:3], -1
	s_branch .LBB182_382
.LBB182_269:
	s_mov_b64 s[2:3], 0
                                        ; implicit-def: $vgpr2
	s_branch .LBB182_382
.LBB182_270:
	s_mov_b64 s[22:23], -1
                                        ; implicit-def: $vgpr4
.LBB182_271:
	s_mov_b64 s[4:5], 0
.LBB182_272:
	s_and_b64 vcc, exec, s[4:5]
	s_cbranch_vccz .LBB182_276
; %bb.273:
	s_cmp_eq_u32 s29, 29
	s_cbranch_scc0 .LBB182_275
; %bb.274:
	global_load_dwordx2 v[4:5], v[0:1], off
	s_mov_b64 s[2:3], -1
	s_mov_b64 s[22:23], 0
	s_mov_b64 s[4:5], 0
	s_waitcnt vmcnt(0)
	v_ffbh_u32_e32 v6, v5
	v_min_u32_e32 v6, 32, v6
	v_lshlrev_b64 v[4:5], v6, v[4:5]
	v_min_u32_e32 v4, 1, v4
	v_or_b32_e32 v4, v5, v4
	v_cvt_f32_u32_e32 v4, v4
	v_sub_u32_e32 v5, 32, v6
	v_ldexp_f32 v4, v4, v5
	v_cvt_f16_f32_e32 v4, v4
	s_branch .LBB182_277
.LBB182_275:
	s_mov_b64 s[22:23], -1
                                        ; implicit-def: $vgpr4
.LBB182_276:
	s_mov_b64 s[4:5], 0
.LBB182_277:
	s_and_b64 vcc, exec, s[4:5]
	s_cbranch_vccz .LBB182_295
; %bb.278:
	s_cmp_lt_i32 s29, 27
	s_cbranch_scc1 .LBB182_281
; %bb.279:
	s_cmp_gt_i32 s29, 27
	s_cbranch_scc0 .LBB182_282
; %bb.280:
	global_load_dword v4, v[0:1], off
	s_mov_b64 s[2:3], 0
	s_waitcnt vmcnt(0)
	v_cvt_f32_u32_e32 v4, v4
	v_cvt_f16_f32_e32 v4, v4
	s_branch .LBB182_283
.LBB182_281:
	s_mov_b64 s[2:3], -1
                                        ; implicit-def: $vgpr4
	s_branch .LBB182_286
.LBB182_282:
	s_mov_b64 s[2:3], -1
                                        ; implicit-def: $vgpr4
.LBB182_283:
	s_andn2_b64 vcc, exec, s[2:3]
	s_cbranch_vccnz .LBB182_285
; %bb.284:
	global_load_ushort v4, v[0:1], off
	s_waitcnt vmcnt(0)
	v_cvt_f16_u16_e32 v4, v4
.LBB182_285:
	s_mov_b64 s[2:3], 0
.LBB182_286:
	s_andn2_b64 vcc, exec, s[2:3]
	s_cbranch_vccnz .LBB182_294
; %bb.287:
	global_load_ubyte v5, v[0:1], off
	s_movk_i32 s2, 0x7f
	s_waitcnt vmcnt(0)
	v_cmp_lt_i16_e32 vcc, s2, v5
	s_mov_b64 s[2:3], 0
	s_and_saveexec_b64 s[4:5], vcc
	s_xor_b64 s[4:5], exec, s[4:5]
	s_cbranch_execz .LBB182_308
; %bb.288:
	s_movk_i32 s2, 0x80
	v_cmp_eq_u16_e32 vcc, s2, v5
	s_mov_b64 s[2:3], -1
	s_and_saveexec_b64 s[20:21], vcc
; %bb.289:
	s_xor_b64 s[2:3], exec, -1
; %bb.290:
	s_or_b64 exec, exec, s[20:21]
	s_and_b64 s[2:3], s[2:3], exec
	s_or_saveexec_b64 s[4:5], s[4:5]
	v_mov_b32_e32 v4, 0x7e00
	s_xor_b64 exec, exec, s[4:5]
	s_cbranch_execnz .LBB182_309
.LBB182_291:
	s_or_b64 exec, exec, s[4:5]
	s_and_saveexec_b64 s[4:5], s[2:3]
	s_cbranch_execz .LBB182_293
.LBB182_292:
	v_lshlrev_b32_e32 v4, 24, v5
	v_and_b32_e32 v5, 0xffff, v5
	v_and_b32_e32 v6, 7, v5
	v_ffbh_u32_e32 v8, v6
	v_min_u32_e32 v8, 32, v8
	v_subrev_u32_e32 v9, 28, v8
	v_bfe_u32 v7, v5, 3, 4
	v_lshlrev_b32_e32 v5, v9, v5
	v_sub_u32_e32 v8, 29, v8
	v_and_b32_e32 v5, 7, v5
	v_cmp_eq_u32_e32 vcc, 0, v7
	v_cndmask_b32_e32 v7, v7, v8, vcc
	v_cndmask_b32_e32 v5, v6, v5, vcc
	v_mov_b32_e32 v6, 0x3b800000
	v_lshlrev_b32_e32 v5, 20, v5
	v_and_b32_e32 v4, 0x80000000, v4
	v_lshl_add_u32 v6, v7, 23, v6
	v_or3_b32 v4, v4, v6, v5
	v_cvt_f16_f32_e32 v4, v4
.LBB182_293:
	s_or_b64 exec, exec, s[4:5]
.LBB182_294:
	s_mov_b64 s[2:3], -1
.LBB182_295:
	s_mov_b64 s[4:5], 0
.LBB182_296:
	s_and_b64 vcc, exec, s[4:5]
	s_cbranch_vccz .LBB182_331
; %bb.297:
	s_cmp_gt_i32 s29, 22
	s_cbranch_scc0 .LBB182_307
; %bb.298:
	s_cmp_lt_i32 s29, 24
	s_cbranch_scc1 .LBB182_310
; %bb.299:
	s_cmp_gt_i32 s29, 24
	s_cbranch_scc0 .LBB182_311
; %bb.300:
	global_load_ubyte v5, v[0:1], off
	s_movk_i32 s2, 0x7f
	s_waitcnt vmcnt(0)
	v_cmp_lt_i16_e32 vcc, s2, v5
	s_mov_b64 s[2:3], 0
	s_and_saveexec_b64 s[4:5], vcc
	s_xor_b64 s[4:5], exec, s[4:5]
	s_cbranch_execz .LBB182_323
; %bb.301:
	s_movk_i32 s2, 0x80
	v_cmp_eq_u16_e32 vcc, s2, v5
	s_mov_b64 s[2:3], -1
	s_and_saveexec_b64 s[20:21], vcc
; %bb.302:
	s_xor_b64 s[2:3], exec, -1
; %bb.303:
	s_or_b64 exec, exec, s[20:21]
	s_and_b64 s[2:3], s[2:3], exec
	s_or_saveexec_b64 s[4:5], s[4:5]
	v_mov_b32_e32 v4, 0x7e00
	s_xor_b64 exec, exec, s[4:5]
	s_cbranch_execnz .LBB182_324
.LBB182_304:
	s_or_b64 exec, exec, s[4:5]
	s_and_saveexec_b64 s[4:5], s[2:3]
	s_cbranch_execz .LBB182_306
.LBB182_305:
	v_lshlrev_b32_e32 v4, 24, v5
	v_and_b32_e32 v5, 0xffff, v5
	v_and_b32_e32 v6, 3, v5
	v_ffbh_u32_e32 v8, v6
	v_min_u32_e32 v8, 32, v8
	v_subrev_u32_e32 v9, 29, v8
	v_bfe_u32 v7, v5, 2, 5
	v_lshlrev_b32_e32 v5, v9, v5
	v_sub_u32_e32 v8, 30, v8
	v_and_b32_e32 v5, 3, v5
	v_cmp_eq_u32_e32 vcc, 0, v7
	v_cndmask_b32_e32 v7, v7, v8, vcc
	v_cndmask_b32_e32 v5, v6, v5, vcc
	v_mov_b32_e32 v6, 0x37800000
	v_lshlrev_b32_e32 v5, 21, v5
	v_and_b32_e32 v4, 0x80000000, v4
	v_lshl_add_u32 v6, v7, 23, v6
	v_or3_b32 v4, v4, v6, v5
	v_cvt_f16_f32_e32 v4, v4
.LBB182_306:
	s_or_b64 exec, exec, s[4:5]
	s_mov_b64 s[2:3], 0
	s_branch .LBB182_312
.LBB182_307:
	s_mov_b64 s[4:5], -1
                                        ; implicit-def: $vgpr4
	s_branch .LBB182_318
.LBB182_308:
	s_or_saveexec_b64 s[4:5], s[4:5]
	v_mov_b32_e32 v4, 0x7e00
	s_xor_b64 exec, exec, s[4:5]
	s_cbranch_execz .LBB182_291
.LBB182_309:
	v_cmp_ne_u16_e32 vcc, 0, v5
	s_andn2_b64 s[2:3], s[2:3], exec
	s_and_b64 s[20:21], vcc, exec
	s_or_b64 s[2:3], s[2:3], s[20:21]
	v_mov_b32_e32 v4, v5
	s_or_b64 exec, exec, s[4:5]
	s_and_saveexec_b64 s[4:5], s[2:3]
	s_cbranch_execnz .LBB182_292
	s_branch .LBB182_293
.LBB182_310:
	s_mov_b64 s[2:3], -1
                                        ; implicit-def: $vgpr4
	s_branch .LBB182_315
.LBB182_311:
	s_mov_b64 s[2:3], -1
                                        ; implicit-def: $vgpr4
.LBB182_312:
	s_and_b64 vcc, exec, s[2:3]
	s_cbranch_vccz .LBB182_314
; %bb.313:
	global_load_ubyte v4, v[0:1], off
	s_mov_b32 s2, 0x7f800000
	s_waitcnt vmcnt(0)
	v_lshlrev_b32_e32 v4, 24, v4
	v_and_b32_e32 v5, 0x7f000000, v4
	v_ffbh_u32_e32 v6, v5
	v_min_u32_e32 v6, 32, v6
	v_sub_u32_e64 v6, v6, 4 clamp
	v_lshlrev_b32_e32 v8, v6, v5
	v_lshlrev_b32_e32 v6, 23, v6
	v_lshrrev_b32_e32 v8, 4, v8
	v_add_u32_e32 v7, 0x1000000, v5
	v_sub_u32_e32 v6, v8, v6
	v_ashrrev_i32_e32 v7, 8, v7
	v_add_u32_e32 v6, 0x3c000000, v6
	v_and_or_b32 v6, v7, s2, v6
	v_cmp_ne_u32_e32 vcc, 0, v5
	v_cndmask_b32_e32 v5, 0, v6, vcc
	s_brev_b32 s2, 1
	v_and_or_b32 v4, v4, s2, v5
	v_cvt_f16_f32_e32 v4, v4
.LBB182_314:
	s_mov_b64 s[2:3], 0
.LBB182_315:
	s_andn2_b64 vcc, exec, s[2:3]
	s_cbranch_vccnz .LBB182_317
; %bb.316:
	global_load_ubyte v4, v[0:1], off
	s_movk_i32 s2, 0x7f00
	s_brev_b32 s3, 16
	s_waitcnt vmcnt(0)
	v_lshlrev_b16_e32 v5, 8, v4
	v_lshlrev_b32_e32 v4, 25, v4
	v_lshrrev_b32_e32 v6, 4, v4
	v_and_or_b32 v7, v5, s2, 0.5
	v_or_b32_e32 v6, 0x70000000, v6
	v_add_f32_e32 v7, -0.5, v7
	v_mul_f32_e32 v6, 0x7800000, v6
	v_cmp_gt_u32_e32 vcc, s3, v4
	v_bfe_i32 v5, v5, 0, 16
	v_cndmask_b32_e32 v4, v6, v7, vcc
	s_brev_b32 s2, 1
	v_and_or_b32 v4, v5, s2, v4
	v_cvt_f16_f32_e32 v4, v4
.LBB182_317:
	s_mov_b64 s[4:5], 0
	s_mov_b64 s[2:3], -1
.LBB182_318:
	s_andn2_b64 vcc, exec, s[4:5]
	s_cbranch_vccnz .LBB182_331
; %bb.319:
	s_cmp_gt_i32 s29, 14
	s_cbranch_scc0 .LBB182_322
; %bb.320:
	s_cmp_eq_u32 s29, 15
	s_cbranch_scc0 .LBB182_325
; %bb.321:
	global_load_ushort v4, v[0:1], off
	s_mov_b64 s[2:3], -1
	s_mov_b64 s[22:23], 0
	s_waitcnt vmcnt(0)
	v_lshlrev_b32_e32 v4, 16, v4
	v_cvt_f16_f32_e32 v4, v4
	s_branch .LBB182_326
.LBB182_322:
	s_mov_b64 s[4:5], -1
                                        ; implicit-def: $vgpr4
	s_branch .LBB182_327
.LBB182_323:
	s_or_saveexec_b64 s[4:5], s[4:5]
	v_mov_b32_e32 v4, 0x7e00
	s_xor_b64 exec, exec, s[4:5]
	s_cbranch_execz .LBB182_304
.LBB182_324:
	v_cmp_ne_u16_e32 vcc, 0, v5
	s_andn2_b64 s[2:3], s[2:3], exec
	s_and_b64 s[20:21], vcc, exec
	s_or_b64 s[2:3], s[2:3], s[20:21]
	v_mov_b32_e32 v4, v5
	s_or_b64 exec, exec, s[4:5]
	s_and_saveexec_b64 s[4:5], s[2:3]
	s_cbranch_execnz .LBB182_305
	s_branch .LBB182_306
.LBB182_325:
	s_mov_b64 s[22:23], -1
                                        ; implicit-def: $vgpr4
.LBB182_326:
	s_mov_b64 s[4:5], 0
.LBB182_327:
	s_and_b64 vcc, exec, s[4:5]
	s_cbranch_vccz .LBB182_331
; %bb.328:
	s_cmp_eq_u32 s29, 11
	s_cbranch_scc0 .LBB182_330
; %bb.329:
	global_load_ubyte v4, v[0:1], off
	v_mov_b32_e32 v5, 0x3c00
	s_mov_b64 s[2:3], -1
	s_mov_b64 s[22:23], 0
	s_waitcnt vmcnt(0)
	v_cmp_ne_u16_e32 vcc, 0, v4
	v_cndmask_b32_e32 v4, 0, v5, vcc
	s_branch .LBB182_331
.LBB182_330:
	s_mov_b64 s[22:23], -1
                                        ; implicit-def: $vgpr4
.LBB182_331:
	s_branch .LBB182_20
.LBB182_332:
	s_and_b32 s4, 0xffff, s28
	s_cmp_lt_i32 s4, 5
	s_cbranch_scc1 .LBB182_337
; %bb.333:
	s_cmp_lt_i32 s4, 8
	s_cbranch_scc1 .LBB182_338
; %bb.334:
	;; [unrolled: 3-line block ×3, first 2 shown]
	s_cmp_gt_i32 s4, 9
	s_cbranch_scc0 .LBB182_340
; %bb.336:
	global_load_dwordx2 v[4:5], v[0:1], off
	s_movk_i32 s2, 0x1ff
	s_movk_i32 s3, 0xffe
	v_mov_b32_e32 v6, 0x7c00
	v_mov_b32_e32 v7, 0x7e00
	s_movk_i32 s5, 0x40f
	s_mov_b32 s20, 0x8000
	s_waitcnt vmcnt(0)
	v_and_or_b32 v4, v5, s2, v4
	v_cmp_ne_u32_e32 vcc, 0, v4
	v_lshrrev_b32_e32 v8, 8, v5
	v_bfe_u32 v9, v5, 20, 11
	v_cndmask_b32_e64 v4, 0, 1, vcc
	v_sub_u32_e32 v10, 0x3f1, v9
	v_and_or_b32 v4, v8, s3, v4
	v_add_u32_e32 v9, 0xfffffc10, v9
	v_med3_i32 v8, v10, 0, 13
	v_or_b32_e32 v10, 0x1000, v4
	v_cmp_ne_u32_e32 vcc, 0, v4
	v_lshl_or_b32 v11, v9, 12, v4
	v_cndmask_b32_e32 v4, v6, v7, vcc
	v_lshrrev_b32_e32 v7, v8, v10
	v_lshlrev_b32_e32 v8, v8, v7
	v_cmp_ne_u32_e32 vcc, v8, v10
	v_cndmask_b32_e64 v8, 0, 1, vcc
	v_or_b32_e32 v7, v7, v8
	v_cmp_gt_i32_e32 vcc, 1, v9
	v_cndmask_b32_e32 v7, v11, v7, vcc
	v_and_b32_e32 v8, 7, v7
	v_cmp_lt_i32_e32 vcc, 5, v8
	v_cndmask_b32_e64 v10, 0, 1, vcc
	v_cmp_eq_u32_e32 vcc, 3, v8
	v_cndmask_b32_e64 v8, 0, 1, vcc
	v_lshrrev_b32_e32 v7, 2, v7
	v_or_b32_e32 v8, v8, v10
	v_add_u32_e32 v7, v7, v8
	v_cmp_gt_i32_e32 vcc, 31, v9
	v_cndmask_b32_e32 v6, v6, v7, vcc
	v_cmp_eq_u32_e32 vcc, s5, v9
	v_lshrrev_b32_e32 v5, 16, v5
	v_cndmask_b32_e32 v4, v6, v4, vcc
	v_and_or_b32 v4, v5, s20, v4
	s_mov_b64 s[2:3], 0
	s_branch .LBB182_341
.LBB182_337:
	s_mov_b64 s[2:3], -1
                                        ; implicit-def: $vgpr4
	s_branch .LBB182_359
.LBB182_338:
	s_mov_b64 s[2:3], -1
                                        ; implicit-def: $vgpr4
	s_branch .LBB182_347
.LBB182_339:
	s_mov_b64 s[2:3], -1
                                        ; implicit-def: $vgpr4
	s_branch .LBB182_344
.LBB182_340:
	s_mov_b64 s[2:3], -1
                                        ; implicit-def: $vgpr4
.LBB182_341:
	s_andn2_b64 vcc, exec, s[2:3]
	s_cbranch_vccnz .LBB182_343
; %bb.342:
	global_load_dword v4, v[0:1], off
	s_waitcnt vmcnt(0)
	v_cvt_f16_f32_e32 v4, v4
.LBB182_343:
	s_mov_b64 s[2:3], 0
.LBB182_344:
	s_andn2_b64 vcc, exec, s[2:3]
	s_cbranch_vccnz .LBB182_346
; %bb.345:
	global_load_dword v4, v[0:1], off
.LBB182_346:
	s_mov_b64 s[2:3], 0
.LBB182_347:
	s_andn2_b64 vcc, exec, s[2:3]
	s_cbranch_vccnz .LBB182_358
; %bb.348:
	s_cmp_lt_i32 s4, 6
	s_cbranch_scc1 .LBB182_351
; %bb.349:
	s_cmp_gt_i32 s4, 6
	s_cbranch_scc0 .LBB182_352
; %bb.350:
	global_load_dwordx2 v[4:5], v[0:1], off
	s_movk_i32 s2, 0x1ff
	s_movk_i32 s3, 0xffe
	v_mov_b32_e32 v6, 0x7c00
	v_mov_b32_e32 v7, 0x7e00
	s_movk_i32 s5, 0x40f
	s_mov_b32 s20, 0x8000
	s_waitcnt vmcnt(0)
	v_and_or_b32 v4, v5, s2, v4
	v_cmp_ne_u32_e32 vcc, 0, v4
	v_lshrrev_b32_e32 v8, 8, v5
	v_bfe_u32 v9, v5, 20, 11
	v_cndmask_b32_e64 v4, 0, 1, vcc
	v_sub_u32_e32 v10, 0x3f1, v9
	v_and_or_b32 v4, v8, s3, v4
	v_add_u32_e32 v9, 0xfffffc10, v9
	v_med3_i32 v8, v10, 0, 13
	v_or_b32_e32 v10, 0x1000, v4
	v_cmp_ne_u32_e32 vcc, 0, v4
	v_lshl_or_b32 v11, v9, 12, v4
	v_cndmask_b32_e32 v4, v6, v7, vcc
	v_lshrrev_b32_e32 v7, v8, v10
	v_lshlrev_b32_e32 v8, v8, v7
	v_cmp_ne_u32_e32 vcc, v8, v10
	v_cndmask_b32_e64 v8, 0, 1, vcc
	v_or_b32_e32 v7, v7, v8
	v_cmp_gt_i32_e32 vcc, 1, v9
	v_cndmask_b32_e32 v7, v11, v7, vcc
	v_and_b32_e32 v8, 7, v7
	v_cmp_lt_i32_e32 vcc, 5, v8
	v_cndmask_b32_e64 v10, 0, 1, vcc
	v_cmp_eq_u32_e32 vcc, 3, v8
	v_cndmask_b32_e64 v8, 0, 1, vcc
	v_lshrrev_b32_e32 v7, 2, v7
	v_or_b32_e32 v8, v8, v10
	v_add_u32_e32 v7, v7, v8
	v_cmp_gt_i32_e32 vcc, 31, v9
	v_cndmask_b32_e32 v6, v6, v7, vcc
	v_cmp_eq_u32_e32 vcc, s5, v9
	v_lshrrev_b32_e32 v5, 16, v5
	v_cndmask_b32_e32 v4, v6, v4, vcc
	v_and_or_b32 v4, v5, s20, v4
	s_mov_b64 s[2:3], 0
	s_branch .LBB182_353
.LBB182_351:
	s_mov_b64 s[2:3], -1
                                        ; implicit-def: $vgpr4
	s_branch .LBB182_356
.LBB182_352:
	s_mov_b64 s[2:3], -1
                                        ; implicit-def: $vgpr4
.LBB182_353:
	s_andn2_b64 vcc, exec, s[2:3]
	s_cbranch_vccnz .LBB182_355
; %bb.354:
	global_load_dword v4, v[0:1], off
	s_waitcnt vmcnt(0)
	v_cvt_f16_f32_e32 v4, v4
.LBB182_355:
	s_mov_b64 s[2:3], 0
.LBB182_356:
	s_andn2_b64 vcc, exec, s[2:3]
	s_cbranch_vccnz .LBB182_358
; %bb.357:
	global_load_ushort v4, v[0:1], off
.LBB182_358:
	s_mov_b64 s[2:3], 0
.LBB182_359:
	s_andn2_b64 vcc, exec, s[2:3]
	s_cbranch_vccnz .LBB182_379
; %bb.360:
	s_cmp_lt_i32 s4, 2
	s_cbranch_scc1 .LBB182_364
; %bb.361:
	s_cmp_lt_i32 s4, 3
	s_cbranch_scc1 .LBB182_365
; %bb.362:
	s_cmp_gt_i32 s4, 3
	s_cbranch_scc0 .LBB182_366
; %bb.363:
	global_load_dwordx2 v[4:5], v[0:1], off
	s_mov_b64 s[2:3], 0
	s_waitcnt vmcnt(0)
	v_xor_b32_e32 v7, v4, v5
	v_ffbh_i32_e32 v6, v5
	v_ashrrev_i32_e32 v7, 31, v7
	v_add_u32_e32 v6, -1, v6
	v_add_u32_e32 v7, 32, v7
	v_min_u32_e32 v6, v6, v7
	v_lshlrev_b64 v[4:5], v6, v[4:5]
	v_min_u32_e32 v4, 1, v4
	v_or_b32_e32 v4, v5, v4
	v_cvt_f32_i32_e32 v4, v4
	v_sub_u32_e32 v5, 32, v6
	v_ldexp_f32 v4, v4, v5
	v_cvt_f16_f32_e32 v4, v4
	s_branch .LBB182_367
.LBB182_364:
	s_mov_b64 s[2:3], -1
                                        ; implicit-def: $vgpr4
	s_branch .LBB182_373
.LBB182_365:
	s_mov_b64 s[2:3], -1
                                        ; implicit-def: $vgpr4
	s_branch .LBB182_370
.LBB182_366:
	s_mov_b64 s[2:3], -1
                                        ; implicit-def: $vgpr4
.LBB182_367:
	s_andn2_b64 vcc, exec, s[2:3]
	s_cbranch_vccnz .LBB182_369
; %bb.368:
	global_load_dword v4, v[0:1], off
	s_waitcnt vmcnt(0)
	v_cvt_f32_i32_e32 v4, v4
	v_cvt_f16_f32_e32 v4, v4
.LBB182_369:
	s_mov_b64 s[2:3], 0
.LBB182_370:
	s_andn2_b64 vcc, exec, s[2:3]
	s_cbranch_vccnz .LBB182_372
; %bb.371:
	global_load_ushort v4, v[0:1], off
	s_waitcnt vmcnt(0)
	v_cvt_f16_i16_e32 v4, v4
.LBB182_372:
	s_mov_b64 s[2:3], 0
.LBB182_373:
	s_andn2_b64 vcc, exec, s[2:3]
	s_cbranch_vccnz .LBB182_379
; %bb.374:
	s_cmp_gt_i32 s4, 0
	s_cbranch_scc0 .LBB182_376
; %bb.375:
	global_load_sbyte v4, v[0:1], off
	s_mov_b64 s[2:3], 0
	s_waitcnt vmcnt(0)
	v_cvt_f16_i16_e32 v4, v4
	s_branch .LBB182_377
.LBB182_376:
	s_mov_b64 s[2:3], -1
                                        ; implicit-def: $vgpr4
.LBB182_377:
	s_andn2_b64 vcc, exec, s[2:3]
	s_cbranch_vccnz .LBB182_379
; %bb.378:
	global_load_ubyte v0, v[0:1], off
	s_waitcnt vmcnt(0)
	v_cvt_f16_u16_e32 v4, v0
.LBB182_379:
	s_branch .LBB182_21
.LBB182_380:
	s_mov_b64 s[4:5], 0
.LBB182_381:
                                        ; implicit-def: $vgpr2
	s_mov_b64 s[2:3], 0
.LBB182_382:
	s_and_b64 s[20:21], s[4:5], exec
	s_and_b64 s[22:23], s[22:23], exec
	;; [unrolled: 1-line block ×3, first 2 shown]
	s_orn2_b64 s[2:3], s[2:3], exec
.LBB182_383:
	s_or_b64 exec, exec, s[26:27]
	s_mov_b64 s[36:37], 0
	s_mov_b64 s[34:35], 0
                                        ; implicit-def: $sgpr58
                                        ; implicit-def: $vgpr0_vgpr1
                                        ; implicit-def: $vgpr3
	s_and_saveexec_b64 s[26:27], s[2:3]
	s_cbranch_execz .LBB182_392
; %bb.384:
	v_cmp_gt_i32_e32 vcc, s50, v2
	s_mov_b64 s[2:3], -1
	s_mov_b64 s[28:29], s[24:25]
	s_mov_b64 s[30:31], s[22:23]
	;; [unrolled: 1-line block ×3, first 2 shown]
	s_and_saveexec_b64 s[36:37], vcc
	s_cbranch_execz .LBB182_773
; %bb.385:
	v_mul_lo_u32 v0, v2, s13
	v_mov_b32_e32 v1, s11
	s_and_b32 s34, s57, 0xff
	s_cmp_lt_i32 s34, 11
	s_waitcnt vmcnt(0)
	v_ashrrev_i32_e32 v3, 31, v0
	v_add_co_u32_e32 v0, vcc, s10, v0
	v_addc_co_u32_e32 v1, vcc, v1, v3, vcc
	s_cbranch_scc1 .LBB182_395
; %bb.386:
	s_and_b32 s35, 0xffff, s34
	s_cmp_gt_i32 s35, 25
	s_cbranch_scc0 .LBB182_404
; %bb.387:
	s_cmp_gt_i32 s35, 28
	s_cbranch_scc0 .LBB182_406
; %bb.388:
	;; [unrolled: 3-line block ×4, first 2 shown]
	s_cmp_eq_u32 s35, 46
	s_mov_b64 s[4:5], 0
	s_cbranch_scc0 .LBB182_414
; %bb.391:
	global_load_dword v3, v[0:1], off
	s_mov_b64 s[28:29], 0
	s_waitcnt vmcnt(0)
	v_lshlrev_b32_e32 v3, 16, v3
	v_cvt_f16_f32_e32 v3, v3
	s_branch .LBB182_415
.LBB182_392:
	s_or_b64 exec, exec, s[26:27]
	s_mov_b64 s[2:3], 0
	s_and_saveexec_b64 s[4:5], s[24:25]
	s_cbranch_execnz .LBB182_1248
.LBB182_393:
	s_or_b64 exec, exec, s[4:5]
	s_and_saveexec_b64 s[4:5], s[30:31]
	s_xor_b64 s[4:5], exec, s[4:5]
	s_cbranch_execz .LBB182_1249
.LBB182_394:
	global_load_ubyte v3, v[0:1], off
	s_waitcnt vmcnt(1)
	v_mov_b32_e32 v4, 0x3c00
	s_or_b64 s[34:35], s[34:35], exec
	s_waitcnt vmcnt(0)
	v_cmp_ne_u16_e32 vcc, 0, v3
	v_cndmask_b32_e32 v3, 0, v4, vcc
	s_or_b64 exec, exec, s[4:5]
	s_and_saveexec_b64 s[4:5], s[36:37]
	s_cbranch_execz .LBB182_1295
	s_branch .LBB182_1250
.LBB182_395:
	s_mov_b64 s[2:3], 0
                                        ; implicit-def: $vgpr3
	s_mov_b64 s[28:29], s[24:25]
	s_cbranch_execnz .LBB182_481
.LBB182_396:
	s_andn2_b64 vcc, exec, s[2:3]
	s_cbranch_vccnz .LBB182_529
.LBB182_397:
	v_mul_lo_u32 v0, v2, s14
	v_mov_b32_e32 v1, s17
	s_and_b32 s38, s56, 0xff
	s_cmp_lt_i32 s38, 11
	v_ashrrev_i32_e32 v4, 31, v0
	v_add_co_u32_e32 v0, vcc, s16, v0
	v_addc_co_u32_e32 v1, vcc, v1, v4, vcc
	s_cbranch_scc1 .LBB182_405
; %bb.398:
	s_and_b32 s39, 0xffff, s38
	s_cmp_gt_i32 s39, 25
	s_cbranch_scc0 .LBB182_407
; %bb.399:
	s_cmp_gt_i32 s39, 28
	s_cbranch_scc0 .LBB182_409
; %bb.400:
	;; [unrolled: 3-line block ×4, first 2 shown]
	s_cmp_eq_u32 s39, 46
	s_mov_b64 s[4:5], 0
	s_cbranch_scc0 .LBB182_533
; %bb.403:
	global_load_dword v4, v[0:1], off
	s_mov_b64 s[2:3], -1
	s_mov_b64 s[30:31], 0
	s_waitcnt vmcnt(0)
	v_lshlrev_b32_e32 v4, 16, v4
	v_cvt_f16_f32_e32 v4, v4
	s_branch .LBB182_534
.LBB182_404:
	s_mov_b64 s[4:5], -1
	s_mov_b64 s[2:3], 0
	s_mov_b64 s[28:29], s[24:25]
                                        ; implicit-def: $vgpr3
	s_branch .LBB182_445
.LBB182_405:
	s_mov_b64 s[4:5], -1
	s_mov_b64 s[2:3], 0
                                        ; implicit-def: $vgpr4
	s_mov_b64 s[30:31], s[22:23]
	s_branch .LBB182_599
.LBB182_406:
	s_mov_b64 s[4:5], -1
	s_mov_b64 s[2:3], 0
	s_mov_b64 s[28:29], s[24:25]
                                        ; implicit-def: $vgpr3
	s_branch .LBB182_426
.LBB182_407:
	s_mov_b64 s[4:5], -1
	s_mov_b64 s[2:3], 0
	s_mov_b64 s[30:31], s[22:23]
                                        ; implicit-def: $vgpr4
	s_branch .LBB182_563
.LBB182_408:
	s_mov_b64 s[4:5], -1
	s_mov_b64 s[2:3], 0
	s_mov_b64 s[28:29], s[24:25]
                                        ; implicit-def: $vgpr3
	s_branch .LBB182_421
.LBB182_409:
	s_mov_b64 s[4:5], -1
	s_mov_b64 s[2:3], 0
	s_mov_b64 s[30:31], s[22:23]
                                        ; implicit-def: $vgpr4
	s_branch .LBB182_544
.LBB182_410:
	s_mov_b64 s[4:5], -1
	s_mov_b64 s[2:3], 0
	s_mov_b64 s[28:29], s[24:25]
                                        ; implicit-def: $vgpr3
	s_branch .LBB182_415
.LBB182_411:
	s_mov_b64 s[4:5], -1
	s_mov_b64 s[2:3], 0
	s_mov_b64 s[30:31], s[22:23]
                                        ; implicit-def: $vgpr4
	s_branch .LBB182_539
.LBB182_412:
	s_andn2_saveexec_b64 s[34:35], s[34:35]
	s_cbranch_execz .LBB182_180
.LBB182_413:
	v_add_f32_e32 v3, 0x46000000, v4
	v_and_b32_e32 v3, 0xff, v3
	v_cmp_ne_u32_e32 vcc, 0, v3
	s_andn2_b64 s[28:29], s[28:29], exec
	s_and_b64 s[38:39], vcc, exec
	s_or_b64 s[28:29], s[28:29], s[38:39]
	s_or_b64 exec, exec, s[34:35]
	v_mov_b32_e32 v5, 0
	s_and_saveexec_b64 s[34:35], s[28:29]
	s_cbranch_execnz .LBB182_181
	s_branch .LBB182_182
.LBB182_414:
	s_mov_b64 s[28:29], -1
                                        ; implicit-def: $vgpr3
	s_mov_b64 s[2:3], 0
.LBB182_415:
	s_and_b64 vcc, exec, s[4:5]
	s_cbranch_vccz .LBB182_420
; %bb.416:
	s_cmp_eq_u32 s35, 44
	s_cbranch_scc0 .LBB182_419
; %bb.417:
	global_load_ubyte v3, v[0:1], off
	s_movk_i32 s4, 0xff
	v_mov_b32_e32 v5, 0x7e00
	s_mov_b64 s[2:3], -1
	s_mov_b64 s[28:29], 0
	s_waitcnt vmcnt(0)
	v_lshlrev_b32_e32 v4, 23, v3
	v_cvt_f16_f32_e32 v4, v4
	v_cmp_ne_u32_e32 vcc, s4, v3
	v_cndmask_b32_e32 v4, v5, v4, vcc
	v_cmp_ne_u32_e32 vcc, 0, v3
	v_cndmask_b32_e32 v3, 0, v4, vcc
	s_branch .LBB182_420
.LBB182_418:
	s_mov_b64 s[4:5], -1
	s_mov_b64 s[2:3], 0
	s_mov_b64 s[30:31], s[22:23]
                                        ; implicit-def: $vgpr4
	s_branch .LBB182_534
.LBB182_419:
	s_mov_b64 s[28:29], -1
                                        ; implicit-def: $vgpr3
.LBB182_420:
	s_mov_b64 s[4:5], 0
.LBB182_421:
	s_and_b64 vcc, exec, s[4:5]
	s_cbranch_vccz .LBB182_425
; %bb.422:
	s_cmp_eq_u32 s35, 29
	s_cbranch_scc0 .LBB182_424
; %bb.423:
	global_load_dwordx2 v[3:4], v[0:1], off
	s_mov_b64 s[2:3], -1
	s_mov_b64 s[28:29], 0
	s_mov_b64 s[4:5], 0
	s_waitcnt vmcnt(0)
	v_ffbh_u32_e32 v5, v4
	v_min_u32_e32 v5, 32, v5
	v_lshlrev_b64 v[3:4], v5, v[3:4]
	v_min_u32_e32 v3, 1, v3
	v_or_b32_e32 v3, v4, v3
	v_cvt_f32_u32_e32 v3, v3
	v_sub_u32_e32 v4, 32, v5
	v_ldexp_f32 v3, v3, v4
	v_cvt_f16_f32_e32 v3, v3
	s_branch .LBB182_426
.LBB182_424:
	s_mov_b64 s[28:29], -1
                                        ; implicit-def: $vgpr3
.LBB182_425:
	s_mov_b64 s[4:5], 0
.LBB182_426:
	s_and_b64 vcc, exec, s[4:5]
	s_cbranch_vccz .LBB182_444
; %bb.427:
	s_cmp_lt_i32 s35, 27
	s_cbranch_scc1 .LBB182_430
; %bb.428:
	s_cmp_gt_i32 s35, 27
	s_cbranch_scc0 .LBB182_431
; %bb.429:
	global_load_dword v3, v[0:1], off
	s_mov_b64 s[2:3], 0
	s_waitcnt vmcnt(0)
	v_cvt_f32_u32_e32 v3, v3
	v_cvt_f16_f32_e32 v3, v3
	s_branch .LBB182_432
.LBB182_430:
	s_mov_b64 s[2:3], -1
                                        ; implicit-def: $vgpr3
	s_branch .LBB182_435
.LBB182_431:
	s_mov_b64 s[2:3], -1
                                        ; implicit-def: $vgpr3
.LBB182_432:
	s_andn2_b64 vcc, exec, s[2:3]
	s_cbranch_vccnz .LBB182_434
; %bb.433:
	global_load_ushort v3, v[0:1], off
	s_waitcnt vmcnt(0)
	v_cvt_f16_u16_e32 v3, v3
.LBB182_434:
	s_mov_b64 s[2:3], 0
.LBB182_435:
	s_andn2_b64 vcc, exec, s[2:3]
	s_cbranch_vccnz .LBB182_443
; %bb.436:
	global_load_ubyte v4, v[0:1], off
	s_movk_i32 s2, 0x7f
	s_waitcnt vmcnt(0)
	v_cmp_lt_i16_e32 vcc, s2, v4
	s_mov_b64 s[2:3], 0
	s_and_saveexec_b64 s[4:5], vcc
	s_xor_b64 s[4:5], exec, s[4:5]
	s_cbranch_execz .LBB182_457
; %bb.437:
	s_movk_i32 s2, 0x80
	v_cmp_eq_u16_e32 vcc, s2, v4
	s_mov_b64 s[2:3], -1
	s_and_saveexec_b64 s[30:31], vcc
; %bb.438:
	s_xor_b64 s[2:3], exec, -1
; %bb.439:
	s_or_b64 exec, exec, s[30:31]
	s_and_b64 s[2:3], s[2:3], exec
	s_or_saveexec_b64 s[4:5], s[4:5]
	v_mov_b32_e32 v3, 0x7e00
	s_xor_b64 exec, exec, s[4:5]
	s_cbranch_execnz .LBB182_458
.LBB182_440:
	s_or_b64 exec, exec, s[4:5]
	s_and_saveexec_b64 s[4:5], s[2:3]
	s_cbranch_execz .LBB182_442
.LBB182_441:
	v_lshlrev_b32_e32 v3, 24, v4
	v_and_b32_e32 v4, 0xffff, v4
	v_and_b32_e32 v5, 7, v4
	v_ffbh_u32_e32 v7, v5
	v_min_u32_e32 v7, 32, v7
	v_subrev_u32_e32 v8, 28, v7
	v_bfe_u32 v6, v4, 3, 4
	v_lshlrev_b32_e32 v4, v8, v4
	v_sub_u32_e32 v7, 29, v7
	v_and_b32_e32 v4, 7, v4
	v_cmp_eq_u32_e32 vcc, 0, v6
	v_cndmask_b32_e32 v6, v6, v7, vcc
	v_cndmask_b32_e32 v4, v5, v4, vcc
	v_mov_b32_e32 v5, 0x3b800000
	v_lshlrev_b32_e32 v4, 20, v4
	v_and_b32_e32 v3, 0x80000000, v3
	v_lshl_add_u32 v5, v6, 23, v5
	v_or3_b32 v3, v3, v5, v4
	v_cvt_f16_f32_e32 v3, v3
.LBB182_442:
	s_or_b64 exec, exec, s[4:5]
.LBB182_443:
	s_mov_b64 s[2:3], -1
.LBB182_444:
	s_mov_b64 s[4:5], 0
.LBB182_445:
	s_and_b64 vcc, exec, s[4:5]
	s_cbranch_vccz .LBB182_480
; %bb.446:
	s_cmp_gt_i32 s35, 22
	s_cbranch_scc0 .LBB182_456
; %bb.447:
	s_cmp_lt_i32 s35, 24
	s_cbranch_scc1 .LBB182_459
; %bb.448:
	s_cmp_gt_i32 s35, 24
	s_cbranch_scc0 .LBB182_460
; %bb.449:
	global_load_ubyte v4, v[0:1], off
	s_movk_i32 s2, 0x7f
	s_waitcnt vmcnt(0)
	v_cmp_lt_i16_e32 vcc, s2, v4
	s_mov_b64 s[2:3], 0
	s_and_saveexec_b64 s[4:5], vcc
	s_xor_b64 s[4:5], exec, s[4:5]
	s_cbranch_execz .LBB182_472
; %bb.450:
	s_movk_i32 s2, 0x80
	v_cmp_eq_u16_e32 vcc, s2, v4
	s_mov_b64 s[2:3], -1
	s_and_saveexec_b64 s[30:31], vcc
; %bb.451:
	s_xor_b64 s[2:3], exec, -1
; %bb.452:
	s_or_b64 exec, exec, s[30:31]
	s_and_b64 s[2:3], s[2:3], exec
	s_or_saveexec_b64 s[4:5], s[4:5]
	v_mov_b32_e32 v3, 0x7e00
	s_xor_b64 exec, exec, s[4:5]
	s_cbranch_execnz .LBB182_473
.LBB182_453:
	s_or_b64 exec, exec, s[4:5]
	s_and_saveexec_b64 s[4:5], s[2:3]
	s_cbranch_execz .LBB182_455
.LBB182_454:
	v_lshlrev_b32_e32 v3, 24, v4
	v_and_b32_e32 v4, 0xffff, v4
	v_and_b32_e32 v5, 3, v4
	v_ffbh_u32_e32 v7, v5
	v_min_u32_e32 v7, 32, v7
	v_subrev_u32_e32 v8, 29, v7
	v_bfe_u32 v6, v4, 2, 5
	v_lshlrev_b32_e32 v4, v8, v4
	v_sub_u32_e32 v7, 30, v7
	v_and_b32_e32 v4, 3, v4
	v_cmp_eq_u32_e32 vcc, 0, v6
	v_cndmask_b32_e32 v6, v6, v7, vcc
	v_cndmask_b32_e32 v4, v5, v4, vcc
	v_mov_b32_e32 v5, 0x37800000
	v_lshlrev_b32_e32 v4, 21, v4
	v_and_b32_e32 v3, 0x80000000, v3
	v_lshl_add_u32 v5, v6, 23, v5
	v_or3_b32 v3, v3, v5, v4
	v_cvt_f16_f32_e32 v3, v3
.LBB182_455:
	s_or_b64 exec, exec, s[4:5]
	s_mov_b64 s[2:3], 0
	s_branch .LBB182_461
.LBB182_456:
	s_mov_b64 s[4:5], -1
                                        ; implicit-def: $vgpr3
	s_branch .LBB182_467
.LBB182_457:
	s_or_saveexec_b64 s[4:5], s[4:5]
	v_mov_b32_e32 v3, 0x7e00
	s_xor_b64 exec, exec, s[4:5]
	s_cbranch_execz .LBB182_440
.LBB182_458:
	v_cmp_ne_u16_e32 vcc, 0, v4
	s_andn2_b64 s[2:3], s[2:3], exec
	s_and_b64 s[30:31], vcc, exec
	s_or_b64 s[2:3], s[2:3], s[30:31]
	v_mov_b32_e32 v3, v4
	s_or_b64 exec, exec, s[4:5]
	s_and_saveexec_b64 s[4:5], s[2:3]
	s_cbranch_execnz .LBB182_441
	s_branch .LBB182_442
.LBB182_459:
	s_mov_b64 s[2:3], -1
                                        ; implicit-def: $vgpr3
	s_branch .LBB182_464
.LBB182_460:
	s_mov_b64 s[2:3], -1
                                        ; implicit-def: $vgpr3
.LBB182_461:
	s_and_b64 vcc, exec, s[2:3]
	s_cbranch_vccz .LBB182_463
; %bb.462:
	global_load_ubyte v3, v[0:1], off
	s_mov_b32 s2, 0x7f800000
	s_waitcnt vmcnt(0)
	v_lshlrev_b32_e32 v3, 24, v3
	v_and_b32_e32 v4, 0x7f000000, v3
	v_ffbh_u32_e32 v5, v4
	v_min_u32_e32 v5, 32, v5
	v_sub_u32_e64 v5, v5, 4 clamp
	v_lshlrev_b32_e32 v7, v5, v4
	v_lshlrev_b32_e32 v5, 23, v5
	v_lshrrev_b32_e32 v7, 4, v7
	v_add_u32_e32 v6, 0x1000000, v4
	v_sub_u32_e32 v5, v7, v5
	v_ashrrev_i32_e32 v6, 8, v6
	v_add_u32_e32 v5, 0x3c000000, v5
	v_and_or_b32 v5, v6, s2, v5
	v_cmp_ne_u32_e32 vcc, 0, v4
	v_cndmask_b32_e32 v4, 0, v5, vcc
	s_brev_b32 s2, 1
	v_and_or_b32 v3, v3, s2, v4
	v_cvt_f16_f32_e32 v3, v3
.LBB182_463:
	s_mov_b64 s[2:3], 0
.LBB182_464:
	s_andn2_b64 vcc, exec, s[2:3]
	s_cbranch_vccnz .LBB182_466
; %bb.465:
	global_load_ubyte v3, v[0:1], off
	s_movk_i32 s2, 0x7f00
	s_brev_b32 s3, 16
	s_waitcnt vmcnt(0)
	v_lshlrev_b16_e32 v4, 8, v3
	v_lshlrev_b32_e32 v3, 25, v3
	v_lshrrev_b32_e32 v5, 4, v3
	v_and_or_b32 v6, v4, s2, 0.5
	v_or_b32_e32 v5, 0x70000000, v5
	v_add_f32_e32 v6, -0.5, v6
	v_mul_f32_e32 v5, 0x7800000, v5
	v_cmp_gt_u32_e32 vcc, s3, v3
	v_bfe_i32 v4, v4, 0, 16
	v_cndmask_b32_e32 v3, v5, v6, vcc
	s_brev_b32 s2, 1
	v_and_or_b32 v3, v4, s2, v3
	v_cvt_f16_f32_e32 v3, v3
.LBB182_466:
	s_mov_b64 s[4:5], 0
	s_mov_b64 s[2:3], -1
.LBB182_467:
	s_andn2_b64 vcc, exec, s[4:5]
	s_cbranch_vccnz .LBB182_480
; %bb.468:
	s_cmp_gt_i32 s35, 14
	s_cbranch_scc0 .LBB182_471
; %bb.469:
	s_cmp_eq_u32 s35, 15
	s_cbranch_scc0 .LBB182_474
; %bb.470:
	global_load_ushort v3, v[0:1], off
	s_mov_b64 s[2:3], -1
	s_mov_b64 s[28:29], 0
	s_waitcnt vmcnt(0)
	v_lshlrev_b32_e32 v3, 16, v3
	v_cvt_f16_f32_e32 v3, v3
	s_branch .LBB182_475
.LBB182_471:
	s_mov_b64 s[4:5], -1
                                        ; implicit-def: $vgpr3
	s_branch .LBB182_476
.LBB182_472:
	s_or_saveexec_b64 s[4:5], s[4:5]
	v_mov_b32_e32 v3, 0x7e00
	s_xor_b64 exec, exec, s[4:5]
	s_cbranch_execz .LBB182_453
.LBB182_473:
	v_cmp_ne_u16_e32 vcc, 0, v4
	s_andn2_b64 s[2:3], s[2:3], exec
	s_and_b64 s[30:31], vcc, exec
	s_or_b64 s[2:3], s[2:3], s[30:31]
	v_mov_b32_e32 v3, v4
	s_or_b64 exec, exec, s[4:5]
	s_and_saveexec_b64 s[4:5], s[2:3]
	s_cbranch_execnz .LBB182_454
	s_branch .LBB182_455
.LBB182_474:
	s_mov_b64 s[28:29], -1
                                        ; implicit-def: $vgpr3
.LBB182_475:
	s_mov_b64 s[4:5], 0
.LBB182_476:
	s_and_b64 vcc, exec, s[4:5]
	s_cbranch_vccz .LBB182_480
; %bb.477:
	s_cmp_eq_u32 s35, 11
	s_cbranch_scc0 .LBB182_479
; %bb.478:
	global_load_ubyte v3, v[0:1], off
	v_mov_b32_e32 v4, 0x3c00
	s_mov_b64 s[2:3], -1
	s_mov_b64 s[28:29], 0
	s_waitcnt vmcnt(0)
	v_cmp_ne_u16_e32 vcc, 0, v3
	v_cndmask_b32_e32 v3, 0, v4, vcc
	s_branch .LBB182_480
.LBB182_479:
	s_mov_b64 s[28:29], -1
                                        ; implicit-def: $vgpr3
.LBB182_480:
	s_branch .LBB182_396
.LBB182_481:
	s_and_b32 s4, 0xffff, s34
	s_cmp_lt_i32 s4, 5
	s_cbranch_scc1 .LBB182_486
; %bb.482:
	s_cmp_lt_i32 s4, 8
	s_cbranch_scc1 .LBB182_487
; %bb.483:
	;; [unrolled: 3-line block ×3, first 2 shown]
	s_cmp_gt_i32 s4, 9
	s_cbranch_scc0 .LBB182_489
; %bb.485:
	global_load_dwordx2 v[3:4], v[0:1], off
	s_movk_i32 s2, 0x1ff
	s_movk_i32 s3, 0xffe
	v_mov_b32_e32 v5, 0x7c00
	v_mov_b32_e32 v6, 0x7e00
	s_movk_i32 s5, 0x40f
	s_mov_b32 s30, 0x8000
	s_waitcnt vmcnt(0)
	v_and_or_b32 v3, v4, s2, v3
	v_cmp_ne_u32_e32 vcc, 0, v3
	v_lshrrev_b32_e32 v7, 8, v4
	v_bfe_u32 v8, v4, 20, 11
	v_cndmask_b32_e64 v3, 0, 1, vcc
	v_sub_u32_e32 v9, 0x3f1, v8
	v_and_or_b32 v3, v7, s3, v3
	v_add_u32_e32 v8, 0xfffffc10, v8
	v_med3_i32 v7, v9, 0, 13
	v_or_b32_e32 v9, 0x1000, v3
	v_cmp_ne_u32_e32 vcc, 0, v3
	v_lshl_or_b32 v10, v8, 12, v3
	v_cndmask_b32_e32 v3, v5, v6, vcc
	v_lshrrev_b32_e32 v6, v7, v9
	v_lshlrev_b32_e32 v7, v7, v6
	v_cmp_ne_u32_e32 vcc, v7, v9
	v_cndmask_b32_e64 v7, 0, 1, vcc
	v_or_b32_e32 v6, v6, v7
	v_cmp_gt_i32_e32 vcc, 1, v8
	v_cndmask_b32_e32 v6, v10, v6, vcc
	v_and_b32_e32 v7, 7, v6
	v_cmp_lt_i32_e32 vcc, 5, v7
	v_cndmask_b32_e64 v9, 0, 1, vcc
	v_cmp_eq_u32_e32 vcc, 3, v7
	v_cndmask_b32_e64 v7, 0, 1, vcc
	v_lshrrev_b32_e32 v6, 2, v6
	v_or_b32_e32 v7, v7, v9
	v_add_u32_e32 v6, v6, v7
	v_cmp_gt_i32_e32 vcc, 31, v8
	v_cndmask_b32_e32 v5, v5, v6, vcc
	v_cmp_eq_u32_e32 vcc, s5, v8
	v_lshrrev_b32_e32 v4, 16, v4
	v_cndmask_b32_e32 v3, v5, v3, vcc
	v_and_or_b32 v3, v4, s30, v3
	s_mov_b64 s[2:3], 0
	s_branch .LBB182_490
.LBB182_486:
	s_mov_b64 s[2:3], -1
                                        ; implicit-def: $vgpr3
	s_branch .LBB182_508
.LBB182_487:
	s_mov_b64 s[2:3], -1
                                        ; implicit-def: $vgpr3
	s_branch .LBB182_496
.LBB182_488:
	s_mov_b64 s[2:3], -1
                                        ; implicit-def: $vgpr3
	s_branch .LBB182_493
.LBB182_489:
	s_mov_b64 s[2:3], -1
                                        ; implicit-def: $vgpr3
.LBB182_490:
	s_andn2_b64 vcc, exec, s[2:3]
	s_cbranch_vccnz .LBB182_492
; %bb.491:
	global_load_dword v3, v[0:1], off
	s_waitcnt vmcnt(0)
	v_cvt_f16_f32_e32 v3, v3
.LBB182_492:
	s_mov_b64 s[2:3], 0
.LBB182_493:
	s_andn2_b64 vcc, exec, s[2:3]
	s_cbranch_vccnz .LBB182_495
; %bb.494:
	global_load_dword v3, v[0:1], off
.LBB182_495:
	s_mov_b64 s[2:3], 0
.LBB182_496:
	s_andn2_b64 vcc, exec, s[2:3]
	s_cbranch_vccnz .LBB182_507
; %bb.497:
	s_cmp_lt_i32 s4, 6
	s_cbranch_scc1 .LBB182_500
; %bb.498:
	s_cmp_gt_i32 s4, 6
	s_cbranch_scc0 .LBB182_501
; %bb.499:
	global_load_dwordx2 v[3:4], v[0:1], off
	s_movk_i32 s2, 0x1ff
	s_movk_i32 s3, 0xffe
	v_mov_b32_e32 v5, 0x7c00
	v_mov_b32_e32 v6, 0x7e00
	s_movk_i32 s5, 0x40f
	s_mov_b32 s30, 0x8000
	s_waitcnt vmcnt(0)
	v_and_or_b32 v3, v4, s2, v3
	v_cmp_ne_u32_e32 vcc, 0, v3
	v_lshrrev_b32_e32 v7, 8, v4
	v_bfe_u32 v8, v4, 20, 11
	v_cndmask_b32_e64 v3, 0, 1, vcc
	v_sub_u32_e32 v9, 0x3f1, v8
	v_and_or_b32 v3, v7, s3, v3
	v_add_u32_e32 v8, 0xfffffc10, v8
	v_med3_i32 v7, v9, 0, 13
	v_or_b32_e32 v9, 0x1000, v3
	v_cmp_ne_u32_e32 vcc, 0, v3
	v_lshl_or_b32 v10, v8, 12, v3
	v_cndmask_b32_e32 v3, v5, v6, vcc
	v_lshrrev_b32_e32 v6, v7, v9
	v_lshlrev_b32_e32 v7, v7, v6
	v_cmp_ne_u32_e32 vcc, v7, v9
	v_cndmask_b32_e64 v7, 0, 1, vcc
	v_or_b32_e32 v6, v6, v7
	v_cmp_gt_i32_e32 vcc, 1, v8
	v_cndmask_b32_e32 v6, v10, v6, vcc
	v_and_b32_e32 v7, 7, v6
	v_cmp_lt_i32_e32 vcc, 5, v7
	v_cndmask_b32_e64 v9, 0, 1, vcc
	v_cmp_eq_u32_e32 vcc, 3, v7
	v_cndmask_b32_e64 v7, 0, 1, vcc
	v_lshrrev_b32_e32 v6, 2, v6
	v_or_b32_e32 v7, v7, v9
	v_add_u32_e32 v6, v6, v7
	v_cmp_gt_i32_e32 vcc, 31, v8
	v_cndmask_b32_e32 v5, v5, v6, vcc
	v_cmp_eq_u32_e32 vcc, s5, v8
	v_lshrrev_b32_e32 v4, 16, v4
	v_cndmask_b32_e32 v3, v5, v3, vcc
	v_and_or_b32 v3, v4, s30, v3
	s_mov_b64 s[2:3], 0
	s_branch .LBB182_502
.LBB182_500:
	s_mov_b64 s[2:3], -1
                                        ; implicit-def: $vgpr3
	s_branch .LBB182_505
.LBB182_501:
	s_mov_b64 s[2:3], -1
                                        ; implicit-def: $vgpr3
.LBB182_502:
	s_andn2_b64 vcc, exec, s[2:3]
	s_cbranch_vccnz .LBB182_504
; %bb.503:
	global_load_dword v3, v[0:1], off
	s_waitcnt vmcnt(0)
	v_cvt_f16_f32_e32 v3, v3
.LBB182_504:
	s_mov_b64 s[2:3], 0
.LBB182_505:
	s_andn2_b64 vcc, exec, s[2:3]
	s_cbranch_vccnz .LBB182_507
; %bb.506:
	global_load_ushort v3, v[0:1], off
.LBB182_507:
	s_mov_b64 s[2:3], 0
.LBB182_508:
	s_andn2_b64 vcc, exec, s[2:3]
	s_cbranch_vccnz .LBB182_528
; %bb.509:
	s_cmp_lt_i32 s4, 2
	s_cbranch_scc1 .LBB182_513
; %bb.510:
	s_cmp_lt_i32 s4, 3
	s_cbranch_scc1 .LBB182_514
; %bb.511:
	s_cmp_gt_i32 s4, 3
	s_cbranch_scc0 .LBB182_515
; %bb.512:
	global_load_dwordx2 v[3:4], v[0:1], off
	s_mov_b64 s[2:3], 0
	s_waitcnt vmcnt(0)
	v_xor_b32_e32 v6, v3, v4
	v_ffbh_i32_e32 v5, v4
	v_ashrrev_i32_e32 v6, 31, v6
	v_add_u32_e32 v5, -1, v5
	v_add_u32_e32 v6, 32, v6
	v_min_u32_e32 v5, v5, v6
	v_lshlrev_b64 v[3:4], v5, v[3:4]
	v_min_u32_e32 v3, 1, v3
	v_or_b32_e32 v3, v4, v3
	v_cvt_f32_i32_e32 v3, v3
	v_sub_u32_e32 v4, 32, v5
	v_ldexp_f32 v3, v3, v4
	v_cvt_f16_f32_e32 v3, v3
	s_branch .LBB182_516
.LBB182_513:
	s_mov_b64 s[2:3], -1
                                        ; implicit-def: $vgpr3
	s_branch .LBB182_522
.LBB182_514:
	s_mov_b64 s[2:3], -1
                                        ; implicit-def: $vgpr3
	s_branch .LBB182_519
.LBB182_515:
	s_mov_b64 s[2:3], -1
                                        ; implicit-def: $vgpr3
.LBB182_516:
	s_andn2_b64 vcc, exec, s[2:3]
	s_cbranch_vccnz .LBB182_518
; %bb.517:
	global_load_dword v3, v[0:1], off
	s_waitcnt vmcnt(0)
	v_cvt_f32_i32_e32 v3, v3
	v_cvt_f16_f32_e32 v3, v3
.LBB182_518:
	s_mov_b64 s[2:3], 0
.LBB182_519:
	s_andn2_b64 vcc, exec, s[2:3]
	s_cbranch_vccnz .LBB182_521
; %bb.520:
	global_load_ushort v3, v[0:1], off
	s_waitcnt vmcnt(0)
	v_cvt_f16_i16_e32 v3, v3
.LBB182_521:
	s_mov_b64 s[2:3], 0
.LBB182_522:
	s_andn2_b64 vcc, exec, s[2:3]
	s_cbranch_vccnz .LBB182_528
; %bb.523:
	s_cmp_gt_i32 s4, 0
	s_cbranch_scc0 .LBB182_525
; %bb.524:
	global_load_sbyte v3, v[0:1], off
	s_mov_b64 s[2:3], 0
	s_waitcnt vmcnt(0)
	v_cvt_f16_i16_e32 v3, v3
	s_branch .LBB182_526
.LBB182_525:
	s_mov_b64 s[2:3], -1
                                        ; implicit-def: $vgpr3
.LBB182_526:
	s_andn2_b64 vcc, exec, s[2:3]
	s_cbranch_vccnz .LBB182_528
; %bb.527:
	global_load_ubyte v0, v[0:1], off
	s_waitcnt vmcnt(0)
	v_cvt_f16_u16_e32 v3, v0
.LBB182_528:
	s_branch .LBB182_397
.LBB182_529:
	s_mov_b64 s[2:3], 0
	s_mov_b64 s[4:5], s[20:21]
	;; [unrolled: 1-line block ×3, first 2 shown]
.LBB182_530:
                                        ; implicit-def: $vgpr2
	s_branch .LBB182_772
.LBB182_531:
	s_andn2_saveexec_b64 s[34:35], s[34:35]
	s_cbranch_execz .LBB182_193
.LBB182_532:
	v_add_f32_e32 v3, 0x42800000, v4
	v_and_b32_e32 v3, 0xff, v3
	v_cmp_ne_u32_e32 vcc, 0, v3
	s_andn2_b64 s[28:29], s[28:29], exec
	s_and_b64 s[38:39], vcc, exec
	s_or_b64 s[28:29], s[28:29], s[38:39]
	s_or_b64 exec, exec, s[34:35]
	v_mov_b32_e32 v5, 0
	s_and_saveexec_b64 s[34:35], s[28:29]
	s_cbranch_execnz .LBB182_194
	s_branch .LBB182_195
.LBB182_533:
	s_mov_b64 s[30:31], -1
                                        ; implicit-def: $vgpr4
	s_mov_b64 s[2:3], 0
.LBB182_534:
	s_and_b64 vcc, exec, s[4:5]
	s_cbranch_vccz .LBB182_538
; %bb.535:
	s_cmp_eq_u32 s39, 44
	s_cbranch_scc0 .LBB182_537
; %bb.536:
	global_load_ubyte v4, v[0:1], off
	s_movk_i32 s4, 0xff
	v_mov_b32_e32 v6, 0x7e00
	s_mov_b64 s[2:3], -1
	s_mov_b64 s[30:31], 0
	s_waitcnt vmcnt(0)
	v_lshlrev_b32_e32 v5, 23, v4
	v_cvt_f16_f32_e32 v5, v5
	v_cmp_ne_u32_e32 vcc, s4, v4
	v_cndmask_b32_e32 v5, v6, v5, vcc
	v_cmp_ne_u32_e32 vcc, 0, v4
	v_cndmask_b32_e32 v4, 0, v5, vcc
	s_branch .LBB182_538
.LBB182_537:
	s_mov_b64 s[30:31], -1
                                        ; implicit-def: $vgpr4
.LBB182_538:
	s_mov_b64 s[4:5], 0
.LBB182_539:
	s_and_b64 vcc, exec, s[4:5]
	s_cbranch_vccz .LBB182_543
; %bb.540:
	s_cmp_eq_u32 s39, 29
	s_cbranch_scc0 .LBB182_542
; %bb.541:
	global_load_dwordx2 v[4:5], v[0:1], off
	s_mov_b64 s[2:3], -1
	s_mov_b64 s[30:31], 0
	s_mov_b64 s[4:5], 0
	s_waitcnt vmcnt(0)
	v_ffbh_u32_e32 v6, v5
	v_min_u32_e32 v6, 32, v6
	v_lshlrev_b64 v[4:5], v6, v[4:5]
	v_min_u32_e32 v4, 1, v4
	v_or_b32_e32 v4, v5, v4
	v_cvt_f32_u32_e32 v4, v4
	v_sub_u32_e32 v5, 32, v6
	v_ldexp_f32 v4, v4, v5
	v_cvt_f16_f32_e32 v4, v4
	s_branch .LBB182_544
.LBB182_542:
	s_mov_b64 s[30:31], -1
                                        ; implicit-def: $vgpr4
.LBB182_543:
	s_mov_b64 s[4:5], 0
.LBB182_544:
	s_and_b64 vcc, exec, s[4:5]
	s_cbranch_vccz .LBB182_562
; %bb.545:
	s_cmp_lt_i32 s39, 27
	s_cbranch_scc1 .LBB182_548
; %bb.546:
	s_cmp_gt_i32 s39, 27
	s_cbranch_scc0 .LBB182_549
; %bb.547:
	global_load_dword v4, v[0:1], off
	s_mov_b64 s[2:3], 0
	s_waitcnt vmcnt(0)
	v_cvt_f32_u32_e32 v4, v4
	v_cvt_f16_f32_e32 v4, v4
	s_branch .LBB182_550
.LBB182_548:
	s_mov_b64 s[2:3], -1
                                        ; implicit-def: $vgpr4
	s_branch .LBB182_553
.LBB182_549:
	s_mov_b64 s[2:3], -1
                                        ; implicit-def: $vgpr4
.LBB182_550:
	s_andn2_b64 vcc, exec, s[2:3]
	s_cbranch_vccnz .LBB182_552
; %bb.551:
	global_load_ushort v4, v[0:1], off
	s_waitcnt vmcnt(0)
	v_cvt_f16_u16_e32 v4, v4
.LBB182_552:
	s_mov_b64 s[2:3], 0
.LBB182_553:
	s_andn2_b64 vcc, exec, s[2:3]
	s_cbranch_vccnz .LBB182_561
; %bb.554:
	global_load_ubyte v5, v[0:1], off
	s_movk_i32 s2, 0x7f
	s_waitcnt vmcnt(0)
	v_cmp_lt_i16_e32 vcc, s2, v5
	s_mov_b64 s[2:3], 0
	s_and_saveexec_b64 s[4:5], vcc
	s_xor_b64 s[4:5], exec, s[4:5]
	s_cbranch_execz .LBB182_575
; %bb.555:
	s_movk_i32 s2, 0x80
	v_cmp_eq_u16_e32 vcc, s2, v5
	s_mov_b64 s[2:3], -1
	s_and_saveexec_b64 s[34:35], vcc
; %bb.556:
	s_xor_b64 s[2:3], exec, -1
; %bb.557:
	s_or_b64 exec, exec, s[34:35]
	s_and_b64 s[2:3], s[2:3], exec
	s_or_saveexec_b64 s[4:5], s[4:5]
	v_mov_b32_e32 v4, 0x7e00
	s_xor_b64 exec, exec, s[4:5]
	s_cbranch_execnz .LBB182_576
.LBB182_558:
	s_or_b64 exec, exec, s[4:5]
	s_and_saveexec_b64 s[4:5], s[2:3]
	s_cbranch_execz .LBB182_560
.LBB182_559:
	v_lshlrev_b32_e32 v4, 24, v5
	v_and_b32_e32 v5, 0xffff, v5
	v_and_b32_e32 v6, 7, v5
	v_ffbh_u32_e32 v8, v6
	v_min_u32_e32 v8, 32, v8
	v_subrev_u32_e32 v9, 28, v8
	v_bfe_u32 v7, v5, 3, 4
	v_lshlrev_b32_e32 v5, v9, v5
	v_sub_u32_e32 v8, 29, v8
	v_and_b32_e32 v5, 7, v5
	v_cmp_eq_u32_e32 vcc, 0, v7
	v_cndmask_b32_e32 v7, v7, v8, vcc
	v_cndmask_b32_e32 v5, v6, v5, vcc
	v_mov_b32_e32 v6, 0x3b800000
	v_lshlrev_b32_e32 v5, 20, v5
	v_and_b32_e32 v4, 0x80000000, v4
	v_lshl_add_u32 v6, v7, 23, v6
	v_or3_b32 v4, v4, v6, v5
	v_cvt_f16_f32_e32 v4, v4
.LBB182_560:
	s_or_b64 exec, exec, s[4:5]
.LBB182_561:
	s_mov_b64 s[2:3], -1
.LBB182_562:
	s_mov_b64 s[4:5], 0
.LBB182_563:
	s_and_b64 vcc, exec, s[4:5]
	s_cbranch_vccz .LBB182_598
; %bb.564:
	s_cmp_gt_i32 s39, 22
	s_cbranch_scc0 .LBB182_574
; %bb.565:
	s_cmp_lt_i32 s39, 24
	s_cbranch_scc1 .LBB182_577
; %bb.566:
	s_cmp_gt_i32 s39, 24
	s_cbranch_scc0 .LBB182_578
; %bb.567:
	global_load_ubyte v5, v[0:1], off
	s_movk_i32 s2, 0x7f
	s_waitcnt vmcnt(0)
	v_cmp_lt_i16_e32 vcc, s2, v5
	s_mov_b64 s[2:3], 0
	s_and_saveexec_b64 s[4:5], vcc
	s_xor_b64 s[4:5], exec, s[4:5]
	s_cbranch_execz .LBB182_590
; %bb.568:
	s_movk_i32 s2, 0x80
	v_cmp_eq_u16_e32 vcc, s2, v5
	s_mov_b64 s[2:3], -1
	s_and_saveexec_b64 s[34:35], vcc
; %bb.569:
	s_xor_b64 s[2:3], exec, -1
; %bb.570:
	s_or_b64 exec, exec, s[34:35]
	s_and_b64 s[2:3], s[2:3], exec
	s_or_saveexec_b64 s[4:5], s[4:5]
	v_mov_b32_e32 v4, 0x7e00
	s_xor_b64 exec, exec, s[4:5]
	s_cbranch_execnz .LBB182_591
.LBB182_571:
	s_or_b64 exec, exec, s[4:5]
	s_and_saveexec_b64 s[4:5], s[2:3]
	s_cbranch_execz .LBB182_573
.LBB182_572:
	v_lshlrev_b32_e32 v4, 24, v5
	v_and_b32_e32 v5, 0xffff, v5
	v_and_b32_e32 v6, 3, v5
	v_ffbh_u32_e32 v8, v6
	v_min_u32_e32 v8, 32, v8
	v_subrev_u32_e32 v9, 29, v8
	v_bfe_u32 v7, v5, 2, 5
	v_lshlrev_b32_e32 v5, v9, v5
	v_sub_u32_e32 v8, 30, v8
	v_and_b32_e32 v5, 3, v5
	v_cmp_eq_u32_e32 vcc, 0, v7
	v_cndmask_b32_e32 v7, v7, v8, vcc
	v_cndmask_b32_e32 v5, v6, v5, vcc
	v_mov_b32_e32 v6, 0x37800000
	v_lshlrev_b32_e32 v5, 21, v5
	v_and_b32_e32 v4, 0x80000000, v4
	v_lshl_add_u32 v6, v7, 23, v6
	v_or3_b32 v4, v4, v6, v5
	v_cvt_f16_f32_e32 v4, v4
.LBB182_573:
	s_or_b64 exec, exec, s[4:5]
	s_mov_b64 s[2:3], 0
	s_branch .LBB182_579
.LBB182_574:
	s_mov_b64 s[4:5], -1
                                        ; implicit-def: $vgpr4
	s_branch .LBB182_585
.LBB182_575:
	s_or_saveexec_b64 s[4:5], s[4:5]
	v_mov_b32_e32 v4, 0x7e00
	s_xor_b64 exec, exec, s[4:5]
	s_cbranch_execz .LBB182_558
.LBB182_576:
	v_cmp_ne_u16_e32 vcc, 0, v5
	s_andn2_b64 s[2:3], s[2:3], exec
	s_and_b64 s[34:35], vcc, exec
	s_or_b64 s[2:3], s[2:3], s[34:35]
	v_mov_b32_e32 v4, v5
	s_or_b64 exec, exec, s[4:5]
	s_and_saveexec_b64 s[4:5], s[2:3]
	s_cbranch_execnz .LBB182_559
	s_branch .LBB182_560
.LBB182_577:
	s_mov_b64 s[2:3], -1
                                        ; implicit-def: $vgpr4
	s_branch .LBB182_582
.LBB182_578:
	s_mov_b64 s[2:3], -1
                                        ; implicit-def: $vgpr4
.LBB182_579:
	s_and_b64 vcc, exec, s[2:3]
	s_cbranch_vccz .LBB182_581
; %bb.580:
	global_load_ubyte v4, v[0:1], off
	s_mov_b32 s2, 0x7f800000
	s_waitcnt vmcnt(0)
	v_lshlrev_b32_e32 v4, 24, v4
	v_and_b32_e32 v5, 0x7f000000, v4
	v_ffbh_u32_e32 v6, v5
	v_min_u32_e32 v6, 32, v6
	v_sub_u32_e64 v6, v6, 4 clamp
	v_lshlrev_b32_e32 v8, v6, v5
	v_lshlrev_b32_e32 v6, 23, v6
	v_lshrrev_b32_e32 v8, 4, v8
	v_add_u32_e32 v7, 0x1000000, v5
	v_sub_u32_e32 v6, v8, v6
	v_ashrrev_i32_e32 v7, 8, v7
	v_add_u32_e32 v6, 0x3c000000, v6
	v_and_or_b32 v6, v7, s2, v6
	v_cmp_ne_u32_e32 vcc, 0, v5
	v_cndmask_b32_e32 v5, 0, v6, vcc
	s_brev_b32 s2, 1
	v_and_or_b32 v4, v4, s2, v5
	v_cvt_f16_f32_e32 v4, v4
.LBB182_581:
	s_mov_b64 s[2:3], 0
.LBB182_582:
	s_andn2_b64 vcc, exec, s[2:3]
	s_cbranch_vccnz .LBB182_584
; %bb.583:
	global_load_ubyte v4, v[0:1], off
	s_movk_i32 s2, 0x7f00
	s_brev_b32 s3, 16
	s_waitcnt vmcnt(0)
	v_lshlrev_b16_e32 v5, 8, v4
	v_lshlrev_b32_e32 v4, 25, v4
	v_lshrrev_b32_e32 v6, 4, v4
	v_and_or_b32 v7, v5, s2, 0.5
	v_or_b32_e32 v6, 0x70000000, v6
	v_add_f32_e32 v7, -0.5, v7
	v_mul_f32_e32 v6, 0x7800000, v6
	v_cmp_gt_u32_e32 vcc, s3, v4
	v_bfe_i32 v5, v5, 0, 16
	v_cndmask_b32_e32 v4, v6, v7, vcc
	s_brev_b32 s2, 1
	v_and_or_b32 v4, v5, s2, v4
	v_cvt_f16_f32_e32 v4, v4
.LBB182_584:
	s_mov_b64 s[4:5], 0
	s_mov_b64 s[2:3], -1
.LBB182_585:
	s_andn2_b64 vcc, exec, s[4:5]
	s_cbranch_vccnz .LBB182_598
; %bb.586:
	s_cmp_gt_i32 s39, 14
	s_cbranch_scc0 .LBB182_589
; %bb.587:
	s_cmp_eq_u32 s39, 15
	s_cbranch_scc0 .LBB182_592
; %bb.588:
	global_load_ushort v4, v[0:1], off
	s_mov_b64 s[2:3], -1
	s_mov_b64 s[30:31], 0
	s_waitcnt vmcnt(0)
	v_lshlrev_b32_e32 v4, 16, v4
	v_cvt_f16_f32_e32 v4, v4
	s_branch .LBB182_593
.LBB182_589:
	s_mov_b64 s[4:5], -1
                                        ; implicit-def: $vgpr4
	s_branch .LBB182_594
.LBB182_590:
	s_or_saveexec_b64 s[4:5], s[4:5]
	v_mov_b32_e32 v4, 0x7e00
	s_xor_b64 exec, exec, s[4:5]
	s_cbranch_execz .LBB182_571
.LBB182_591:
	v_cmp_ne_u16_e32 vcc, 0, v5
	s_andn2_b64 s[2:3], s[2:3], exec
	s_and_b64 s[34:35], vcc, exec
	s_or_b64 s[2:3], s[2:3], s[34:35]
	v_mov_b32_e32 v4, v5
	s_or_b64 exec, exec, s[4:5]
	s_and_saveexec_b64 s[4:5], s[2:3]
	s_cbranch_execnz .LBB182_572
	s_branch .LBB182_573
.LBB182_592:
	s_mov_b64 s[30:31], -1
                                        ; implicit-def: $vgpr4
.LBB182_593:
	s_mov_b64 s[4:5], 0
.LBB182_594:
	s_and_b64 vcc, exec, s[4:5]
	s_cbranch_vccz .LBB182_598
; %bb.595:
	s_cmp_eq_u32 s39, 11
	s_cbranch_scc0 .LBB182_597
; %bb.596:
	global_load_ubyte v4, v[0:1], off
	v_mov_b32_e32 v5, 0x3c00
	s_mov_b64 s[2:3], -1
	s_mov_b64 s[30:31], 0
	s_waitcnt vmcnt(0)
	v_cmp_ne_u16_e32 vcc, 0, v4
	v_cndmask_b32_e32 v4, 0, v5, vcc
	s_branch .LBB182_598
.LBB182_597:
	s_mov_b64 s[30:31], -1
                                        ; implicit-def: $vgpr4
.LBB182_598:
	s_mov_b64 s[4:5], 0
.LBB182_599:
	s_and_b64 vcc, exec, s[4:5]
	s_cbranch_vccz .LBB182_648
; %bb.600:
	s_and_b32 s4, 0xffff, s38
	s_cmp_lt_i32 s4, 5
	s_cbranch_scc1 .LBB182_605
; %bb.601:
	s_cmp_lt_i32 s4, 8
	s_cbranch_scc1 .LBB182_606
; %bb.602:
	;; [unrolled: 3-line block ×3, first 2 shown]
	s_cmp_gt_i32 s4, 9
	s_cbranch_scc0 .LBB182_608
; %bb.604:
	global_load_dwordx2 v[4:5], v[0:1], off
	s_movk_i32 s2, 0x1ff
	s_movk_i32 s3, 0xffe
	v_mov_b32_e32 v6, 0x7c00
	v_mov_b32_e32 v7, 0x7e00
	s_movk_i32 s5, 0x40f
	s_mov_b32 s34, 0x8000
	s_waitcnt vmcnt(0)
	v_and_or_b32 v4, v5, s2, v4
	v_cmp_ne_u32_e32 vcc, 0, v4
	v_lshrrev_b32_e32 v8, 8, v5
	v_bfe_u32 v9, v5, 20, 11
	v_cndmask_b32_e64 v4, 0, 1, vcc
	v_sub_u32_e32 v10, 0x3f1, v9
	v_and_or_b32 v4, v8, s3, v4
	v_add_u32_e32 v9, 0xfffffc10, v9
	v_med3_i32 v8, v10, 0, 13
	v_or_b32_e32 v10, 0x1000, v4
	v_cmp_ne_u32_e32 vcc, 0, v4
	v_lshl_or_b32 v11, v9, 12, v4
	v_cndmask_b32_e32 v4, v6, v7, vcc
	v_lshrrev_b32_e32 v7, v8, v10
	v_lshlrev_b32_e32 v8, v8, v7
	v_cmp_ne_u32_e32 vcc, v8, v10
	v_cndmask_b32_e64 v8, 0, 1, vcc
	v_or_b32_e32 v7, v7, v8
	v_cmp_gt_i32_e32 vcc, 1, v9
	v_cndmask_b32_e32 v7, v11, v7, vcc
	v_and_b32_e32 v8, 7, v7
	v_cmp_lt_i32_e32 vcc, 5, v8
	v_cndmask_b32_e64 v10, 0, 1, vcc
	v_cmp_eq_u32_e32 vcc, 3, v8
	v_cndmask_b32_e64 v8, 0, 1, vcc
	v_lshrrev_b32_e32 v7, 2, v7
	v_or_b32_e32 v8, v8, v10
	v_add_u32_e32 v7, v7, v8
	v_cmp_gt_i32_e32 vcc, 31, v9
	v_cndmask_b32_e32 v6, v6, v7, vcc
	v_cmp_eq_u32_e32 vcc, s5, v9
	v_lshrrev_b32_e32 v5, 16, v5
	v_cndmask_b32_e32 v4, v6, v4, vcc
	v_and_or_b32 v4, v5, s34, v4
	s_mov_b64 s[2:3], 0
	s_branch .LBB182_609
.LBB182_605:
	s_mov_b64 s[2:3], -1
                                        ; implicit-def: $vgpr4
	s_branch .LBB182_627
.LBB182_606:
	s_mov_b64 s[2:3], -1
                                        ; implicit-def: $vgpr4
	s_branch .LBB182_615
.LBB182_607:
	s_mov_b64 s[2:3], -1
                                        ; implicit-def: $vgpr4
	s_branch .LBB182_612
.LBB182_608:
	s_mov_b64 s[2:3], -1
                                        ; implicit-def: $vgpr4
.LBB182_609:
	s_andn2_b64 vcc, exec, s[2:3]
	s_cbranch_vccnz .LBB182_611
; %bb.610:
	global_load_dword v4, v[0:1], off
	s_waitcnt vmcnt(0)
	v_cvt_f16_f32_e32 v4, v4
.LBB182_611:
	s_mov_b64 s[2:3], 0
.LBB182_612:
	s_andn2_b64 vcc, exec, s[2:3]
	s_cbranch_vccnz .LBB182_614
; %bb.613:
	global_load_dword v4, v[0:1], off
.LBB182_614:
	s_mov_b64 s[2:3], 0
.LBB182_615:
	s_andn2_b64 vcc, exec, s[2:3]
	s_cbranch_vccnz .LBB182_626
; %bb.616:
	s_cmp_lt_i32 s4, 6
	s_cbranch_scc1 .LBB182_619
; %bb.617:
	s_cmp_gt_i32 s4, 6
	s_cbranch_scc0 .LBB182_620
; %bb.618:
	global_load_dwordx2 v[4:5], v[0:1], off
	s_movk_i32 s2, 0x1ff
	s_movk_i32 s3, 0xffe
	v_mov_b32_e32 v6, 0x7c00
	v_mov_b32_e32 v7, 0x7e00
	s_movk_i32 s5, 0x40f
	s_mov_b32 s34, 0x8000
	s_waitcnt vmcnt(0)
	v_and_or_b32 v4, v5, s2, v4
	v_cmp_ne_u32_e32 vcc, 0, v4
	v_lshrrev_b32_e32 v8, 8, v5
	v_bfe_u32 v9, v5, 20, 11
	v_cndmask_b32_e64 v4, 0, 1, vcc
	v_sub_u32_e32 v10, 0x3f1, v9
	v_and_or_b32 v4, v8, s3, v4
	v_add_u32_e32 v9, 0xfffffc10, v9
	v_med3_i32 v8, v10, 0, 13
	v_or_b32_e32 v10, 0x1000, v4
	v_cmp_ne_u32_e32 vcc, 0, v4
	v_lshl_or_b32 v11, v9, 12, v4
	v_cndmask_b32_e32 v4, v6, v7, vcc
	v_lshrrev_b32_e32 v7, v8, v10
	v_lshlrev_b32_e32 v8, v8, v7
	v_cmp_ne_u32_e32 vcc, v8, v10
	v_cndmask_b32_e64 v8, 0, 1, vcc
	v_or_b32_e32 v7, v7, v8
	v_cmp_gt_i32_e32 vcc, 1, v9
	v_cndmask_b32_e32 v7, v11, v7, vcc
	v_and_b32_e32 v8, 7, v7
	v_cmp_lt_i32_e32 vcc, 5, v8
	v_cndmask_b32_e64 v10, 0, 1, vcc
	v_cmp_eq_u32_e32 vcc, 3, v8
	v_cndmask_b32_e64 v8, 0, 1, vcc
	v_lshrrev_b32_e32 v7, 2, v7
	v_or_b32_e32 v8, v8, v10
	v_add_u32_e32 v7, v7, v8
	v_cmp_gt_i32_e32 vcc, 31, v9
	v_cndmask_b32_e32 v6, v6, v7, vcc
	v_cmp_eq_u32_e32 vcc, s5, v9
	v_lshrrev_b32_e32 v5, 16, v5
	v_cndmask_b32_e32 v4, v6, v4, vcc
	v_and_or_b32 v4, v5, s34, v4
	s_mov_b64 s[2:3], 0
	s_branch .LBB182_621
.LBB182_619:
	s_mov_b64 s[2:3], -1
                                        ; implicit-def: $vgpr4
	s_branch .LBB182_624
.LBB182_620:
	s_mov_b64 s[2:3], -1
                                        ; implicit-def: $vgpr4
.LBB182_621:
	s_andn2_b64 vcc, exec, s[2:3]
	s_cbranch_vccnz .LBB182_623
; %bb.622:
	global_load_dword v4, v[0:1], off
	s_waitcnt vmcnt(0)
	v_cvt_f16_f32_e32 v4, v4
.LBB182_623:
	s_mov_b64 s[2:3], 0
.LBB182_624:
	s_andn2_b64 vcc, exec, s[2:3]
	s_cbranch_vccnz .LBB182_626
; %bb.625:
	global_load_ushort v4, v[0:1], off
.LBB182_626:
	s_mov_b64 s[2:3], 0
.LBB182_627:
	s_andn2_b64 vcc, exec, s[2:3]
	s_cbranch_vccnz .LBB182_647
; %bb.628:
	s_cmp_lt_i32 s4, 2
	s_cbranch_scc1 .LBB182_632
; %bb.629:
	s_cmp_lt_i32 s4, 3
	s_cbranch_scc1 .LBB182_633
; %bb.630:
	s_cmp_gt_i32 s4, 3
	s_cbranch_scc0 .LBB182_634
; %bb.631:
	global_load_dwordx2 v[4:5], v[0:1], off
	s_mov_b64 s[2:3], 0
	s_waitcnt vmcnt(0)
	v_xor_b32_e32 v7, v4, v5
	v_ffbh_i32_e32 v6, v5
	v_ashrrev_i32_e32 v7, 31, v7
	v_add_u32_e32 v6, -1, v6
	v_add_u32_e32 v7, 32, v7
	v_min_u32_e32 v6, v6, v7
	v_lshlrev_b64 v[4:5], v6, v[4:5]
	v_min_u32_e32 v4, 1, v4
	v_or_b32_e32 v4, v5, v4
	v_cvt_f32_i32_e32 v4, v4
	v_sub_u32_e32 v5, 32, v6
	v_ldexp_f32 v4, v4, v5
	v_cvt_f16_f32_e32 v4, v4
	s_branch .LBB182_635
.LBB182_632:
	s_mov_b64 s[2:3], -1
                                        ; implicit-def: $vgpr4
	s_branch .LBB182_641
.LBB182_633:
	s_mov_b64 s[2:3], -1
                                        ; implicit-def: $vgpr4
	s_branch .LBB182_638
.LBB182_634:
	s_mov_b64 s[2:3], -1
                                        ; implicit-def: $vgpr4
.LBB182_635:
	s_andn2_b64 vcc, exec, s[2:3]
	s_cbranch_vccnz .LBB182_637
; %bb.636:
	global_load_dword v4, v[0:1], off
	s_waitcnt vmcnt(0)
	v_cvt_f32_i32_e32 v4, v4
	v_cvt_f16_f32_e32 v4, v4
.LBB182_637:
	s_mov_b64 s[2:3], 0
.LBB182_638:
	s_andn2_b64 vcc, exec, s[2:3]
	s_cbranch_vccnz .LBB182_640
; %bb.639:
	global_load_ushort v4, v[0:1], off
	s_waitcnt vmcnt(0)
	v_cvt_f16_i16_e32 v4, v4
.LBB182_640:
	s_mov_b64 s[2:3], 0
.LBB182_641:
	s_andn2_b64 vcc, exec, s[2:3]
	s_cbranch_vccnz .LBB182_647
; %bb.642:
	s_cmp_gt_i32 s4, 0
	s_cbranch_scc0 .LBB182_644
; %bb.643:
	global_load_sbyte v4, v[0:1], off
	s_mov_b64 s[2:3], 0
	s_waitcnt vmcnt(0)
	v_cvt_f16_i16_e32 v4, v4
	s_branch .LBB182_645
.LBB182_644:
	s_mov_b64 s[2:3], -1
                                        ; implicit-def: $vgpr4
.LBB182_645:
	s_andn2_b64 vcc, exec, s[2:3]
	s_cbranch_vccnz .LBB182_647
; %bb.646:
	global_load_ubyte v0, v[0:1], off
	s_waitcnt vmcnt(0)
	v_cvt_f16_u16_e32 v4, v0
.LBB182_647:
	s_mov_b64 s[2:3], -1
.LBB182_648:
	s_andn2_b64 vcc, exec, s[2:3]
	s_cbranch_vccnz .LBB182_656
; %bb.649:
	s_waitcnt vmcnt(0)
	v_cmp_eq_f16_e32 vcc, v3, v4
	v_cndmask_b32_e64 v0, 0, 1, vcc
	v_cmp_neq_f16_e32 vcc, v3, v4
	v_mul_lo_u32 v3, v2, s12
	v_cndmask_b32_e64 v1, 0, 1, vcc
	v_cndmask_b32_e64 v0, v1, v0, s[0:1]
	v_and_b32_e32 v0, 1, v0
	v_cmp_eq_u32_e64 s[2:3], 1, v0
	v_ashrrev_i32_e32 v1, 31, v3
	v_mov_b32_e32 v4, s9
	s_and_b32 s42, s33, 0xff
	v_add_co_u32_e32 v0, vcc, s8, v3
	s_cmp_lt_i32 s42, 11
	v_addc_co_u32_e32 v1, vcc, v4, v1, vcc
	s_cbranch_scc1 .LBB182_657
; %bb.650:
	s_and_b32 s43, 0xffff, s42
	s_cmp_gt_i32 s43, 25
	s_cbranch_scc0 .LBB182_658
; %bb.651:
	s_cmp_gt_i32 s43, 28
	s_cbranch_scc0 .LBB182_659
; %bb.652:
	;; [unrolled: 3-line block ×4, first 2 shown]
	s_mov_b64 s[38:39], 0
	s_mov_b64 s[4:5], -1
	s_cmp_eq_u32 s43, 46
	s_mov_b64 s[34:35], 0
	s_cbranch_scc0 .LBB182_662
; %bb.655:
	v_cndmask_b32_e64 v3, 0, 1.0, s[2:3]
	v_bfe_u32 v4, v3, 16, 1
	s_movk_i32 s4, 0x7fff
	v_add3_u32 v3, v3, v4, s4
	v_lshrrev_b32_e32 v3, 16, v3
	global_store_dword v[0:1], v3, off
	s_mov_b64 s[34:35], -1
	s_mov_b64 s[4:5], 0
	s_branch .LBB182_662
.LBB182_656:
	s_mov_b64 s[2:3], 0
                                        ; implicit-def: $vgpr2
	s_mov_b64 s[4:5], s[20:21]
	s_branch .LBB182_772
.LBB182_657:
	s_mov_b64 s[38:39], -1
	s_mov_b64 s[34:35], 0
	s_mov_b64 s[4:5], s[20:21]
	s_branch .LBB182_731
.LBB182_658:
	s_mov_b64 s[38:39], -1
	s_mov_b64 s[34:35], 0
	s_mov_b64 s[4:5], s[20:21]
	s_branch .LBB182_689
.LBB182_659:
	s_mov_b64 s[38:39], -1
	s_mov_b64 s[34:35], 0
	s_mov_b64 s[4:5], s[20:21]
	s_branch .LBB182_672
.LBB182_660:
	s_mov_b64 s[38:39], -1
	s_mov_b64 s[34:35], 0
	s_mov_b64 s[4:5], s[20:21]
	s_branch .LBB182_668
.LBB182_661:
	s_mov_b64 s[38:39], -1
	s_mov_b64 s[34:35], 0
	s_mov_b64 s[4:5], s[20:21]
.LBB182_662:
	s_and_b64 vcc, exec, s[38:39]
	s_cbranch_vccz .LBB182_667
; %bb.663:
	s_cmp_eq_u32 s43, 44
	s_mov_b64 s[4:5], -1
	s_cbranch_scc0 .LBB182_667
; %bb.664:
	v_cndmask_b32_e64 v4, 0, 1.0, s[2:3]
	v_lshrrev_b32_e32 v3, 23, v4
	s_movk_i32 s4, 0xff
	v_cmp_ne_u32_e32 vcc, s4, v3
	v_mov_b32_e32 v5, 0xff
	s_and_saveexec_b64 s[34:35], vcc
; %bb.665:
	s_mov_b32 s4, 0x3fffff
	v_and_b32_e32 v5, 0x400000, v4
	v_and_or_b32 v4, v4, s4, v3
	v_cmp_ne_u32_e32 vcc, 0, v5
	v_cmp_ne_u32_e64 s[4:5], 0, v4
	s_and_b64 s[4:5], vcc, s[4:5]
	v_cndmask_b32_e64 v4, 0, 1, s[4:5]
	v_add_u32_e32 v5, v3, v4
; %bb.666:
	s_or_b64 exec, exec, s[34:35]
	s_mov_b64 s[34:35], -1
	s_mov_b64 s[4:5], 0
	global_store_byte v[0:1], v5, off
.LBB182_667:
	s_mov_b64 s[38:39], 0
.LBB182_668:
	s_and_b64 vcc, exec, s[38:39]
	s_cbranch_vccz .LBB182_671
; %bb.669:
	s_cmp_eq_u32 s43, 29
	s_mov_b64 s[4:5], -1
	s_cbranch_scc0 .LBB182_671
; %bb.670:
	s_mov_b32 s4, 0
	v_cndmask_b32_e64 v3, 0, 1, s[2:3]
	v_mov_b32_e32 v4, s4
	global_store_dwordx2 v[0:1], v[3:4], off
	s_mov_b64 s[34:35], -1
	s_mov_b64 s[4:5], 0
.LBB182_671:
	s_mov_b64 s[38:39], 0
.LBB182_672:
	s_and_b64 vcc, exec, s[38:39]
	s_cbranch_vccz .LBB182_688
; %bb.673:
	s_cmp_lt_i32 s43, 27
	s_mov_b64 s[34:35], -1
	s_cbranch_scc1 .LBB182_679
; %bb.674:
	s_cmp_gt_i32 s43, 27
	s_cbranch_scc0 .LBB182_676
; %bb.675:
	v_cndmask_b32_e64 v3, 0, 1, s[2:3]
	s_mov_b64 s[34:35], 0
	global_store_dword v[0:1], v3, off
.LBB182_676:
	s_andn2_b64 vcc, exec, s[34:35]
	s_cbranch_vccnz .LBB182_678
; %bb.677:
	v_cndmask_b32_e64 v3, 0, 1, s[2:3]
	global_store_short v[0:1], v3, off
.LBB182_678:
	s_mov_b64 s[34:35], 0
.LBB182_679:
	s_andn2_b64 vcc, exec, s[34:35]
	s_cbranch_vccnz .LBB182_687
; %bb.680:
	v_cndmask_b32_e64 v4, 0, 1.0, s[2:3]
	s_mov_b32 s34, 0x43800000
	v_cmp_gt_u32_e32 vcc, s34, v4
	v_mov_b32_e32 v5, 0x80
	s_and_saveexec_b64 s[34:35], vcc
	s_cbranch_execz .LBB182_686
; %bb.681:
	s_mov_b32 s38, 0x3bffffff
	v_cmp_lt_u32_e32 vcc, s38, v4
	s_mov_b64 s[38:39], 0
                                        ; implicit-def: $vgpr3
	s_and_saveexec_b64 s[40:41], vcc
	s_xor_b64 s[40:41], exec, s[40:41]
	s_cbranch_execz .LBB182_788
; %bb.682:
	v_bfe_u32 v3, v4, 20, 1
	s_mov_b32 s44, 0x487ffff
	v_add3_u32 v3, v4, v3, s44
	s_mov_b64 s[38:39], exec
	v_lshrrev_b32_e32 v3, 20, v3
                                        ; implicit-def: $vgpr4
	s_andn2_saveexec_b64 s[40:41], s[40:41]
	s_cbranch_execnz .LBB182_789
.LBB182_683:
	s_or_b64 exec, exec, s[40:41]
	v_mov_b32_e32 v5, 0
	s_and_saveexec_b64 s[40:41], s[38:39]
.LBB182_684:
	v_mov_b32_e32 v5, v3
.LBB182_685:
	s_or_b64 exec, exec, s[40:41]
.LBB182_686:
	s_or_b64 exec, exec, s[34:35]
	global_store_byte v[0:1], v5, off
.LBB182_687:
	s_mov_b64 s[34:35], -1
.LBB182_688:
	s_mov_b64 s[38:39], 0
.LBB182_689:
	s_and_b64 vcc, exec, s[38:39]
	s_cbranch_vccz .LBB182_730
; %bb.690:
	s_cmp_gt_i32 s43, 22
	s_mov_b64 s[38:39], -1
	s_cbranch_scc0 .LBB182_722
; %bb.691:
	s_cmp_lt_i32 s43, 24
	s_mov_b64 s[34:35], -1
	s_cbranch_scc1 .LBB182_711
; %bb.692:
	s_cmp_gt_i32 s43, 24
	s_cbranch_scc0 .LBB182_700
; %bb.693:
	v_cndmask_b32_e64 v4, 0, 1.0, s[2:3]
	s_mov_b32 s34, 0x47800000
	v_cmp_gt_u32_e32 vcc, s34, v4
	v_mov_b32_e32 v5, 0x80
	s_and_saveexec_b64 s[34:35], vcc
	s_cbranch_execz .LBB182_699
; %bb.694:
	s_mov_b32 s38, 0x37ffffff
	v_cmp_lt_u32_e32 vcc, s38, v4
	s_mov_b64 s[38:39], 0
                                        ; implicit-def: $vgpr3
	s_and_saveexec_b64 s[40:41], vcc
	s_xor_b64 s[40:41], exec, s[40:41]
	s_cbranch_execz .LBB182_920
; %bb.695:
	v_bfe_u32 v3, v4, 21, 1
	s_mov_b32 s44, 0x88fffff
	v_add3_u32 v3, v4, v3, s44
	s_mov_b64 s[38:39], exec
	v_lshrrev_b32_e32 v3, 21, v3
                                        ; implicit-def: $vgpr4
	s_andn2_saveexec_b64 s[40:41], s[40:41]
	s_cbranch_execnz .LBB182_921
.LBB182_696:
	s_or_b64 exec, exec, s[40:41]
	v_mov_b32_e32 v5, 0
	s_and_saveexec_b64 s[40:41], s[38:39]
.LBB182_697:
	v_mov_b32_e32 v5, v3
.LBB182_698:
	s_or_b64 exec, exec, s[40:41]
.LBB182_699:
	s_or_b64 exec, exec, s[34:35]
	s_mov_b64 s[34:35], 0
	global_store_byte v[0:1], v5, off
.LBB182_700:
	s_and_b64 vcc, exec, s[34:35]
	s_cbranch_vccz .LBB182_710
; %bb.701:
	v_cndmask_b32_e64 v3, 0, 1.0, s[2:3]
	s_mov_b32 s34, 0x43f00000
	v_cmp_gt_u32_e32 vcc, s34, v3
                                        ; implicit-def: $vgpr4
	s_and_saveexec_b64 s[34:35], vcc
	s_xor_b64 s[34:35], exec, s[34:35]
	s_cbranch_execz .LBB182_707
; %bb.702:
	s_mov_b32 s38, 0x3c7fffff
	v_cmp_lt_u32_e32 vcc, s38, v3
                                        ; implicit-def: $vgpr4
	s_and_saveexec_b64 s[38:39], vcc
	s_xor_b64 s[38:39], exec, s[38:39]
; %bb.703:
	v_bfe_u32 v4, v3, 20, 1
	s_mov_b32 s40, 0x407ffff
	v_add3_u32 v3, v3, v4, s40
	v_lshrrev_b32_e32 v4, 20, v3
	v_and_b32_e32 v3, 0xff00000, v3
	s_mov_b32 s40, 0x7f00000
	v_mov_b32_e32 v5, 0x7e
	v_cmp_ne_u32_e32 vcc, s40, v3
	v_cndmask_b32_e32 v4, v5, v4, vcc
                                        ; implicit-def: $vgpr3
; %bb.704:
	s_andn2_saveexec_b64 s[38:39], s[38:39]
; %bb.705:
	v_add_f32_e32 v4, 0x46800000, v3
; %bb.706:
	s_or_b64 exec, exec, s[38:39]
                                        ; implicit-def: $vgpr3
.LBB182_707:
	s_andn2_saveexec_b64 s[34:35], s[34:35]
; %bb.708:
	s_mov_b32 s38, 0x7f800000
	v_mov_b32_e32 v4, 0x7e
	v_mov_b32_e32 v5, 0x7f
	v_cmp_lt_u32_e32 vcc, s38, v3
	v_cndmask_b32_e32 v4, v4, v5, vcc
; %bb.709:
	s_or_b64 exec, exec, s[34:35]
	global_store_byte v[0:1], v4, off
.LBB182_710:
	s_mov_b64 s[34:35], 0
.LBB182_711:
	s_andn2_b64 vcc, exec, s[34:35]
	s_cbranch_vccnz .LBB182_721
; %bb.712:
	v_cndmask_b32_e64 v3, 0, 1.0, s[2:3]
	s_mov_b32 s34, 0x47800000
	v_cmp_gt_u32_e32 vcc, s34, v3
                                        ; implicit-def: $vgpr4
	s_and_saveexec_b64 s[34:35], vcc
	s_xor_b64 s[34:35], exec, s[34:35]
	s_cbranch_execz .LBB182_718
; %bb.713:
	s_mov_b32 s38, 0x387fffff
	v_cmp_lt_u32_e32 vcc, s38, v3
                                        ; implicit-def: $vgpr4
	s_and_saveexec_b64 s[38:39], vcc
	s_xor_b64 s[38:39], exec, s[38:39]
; %bb.714:
	v_bfe_u32 v4, v3, 21, 1
	s_mov_b32 s40, 0x80fffff
	v_add3_u32 v3, v3, v4, s40
	v_lshrrev_b32_e32 v4, 21, v3
                                        ; implicit-def: $vgpr3
; %bb.715:
	s_andn2_saveexec_b64 s[38:39], s[38:39]
; %bb.716:
	v_add_f32_e32 v4, 0x43000000, v3
; %bb.717:
	s_or_b64 exec, exec, s[38:39]
                                        ; implicit-def: $vgpr3
.LBB182_718:
	s_andn2_saveexec_b64 s[34:35], s[34:35]
; %bb.719:
	s_mov_b32 s38, 0x7f800000
	v_mov_b32_e32 v4, 0x7c
	v_mov_b32_e32 v5, 0x7f
	v_cmp_lt_u32_e32 vcc, s38, v3
	v_cndmask_b32_e32 v4, v4, v5, vcc
; %bb.720:
	s_or_b64 exec, exec, s[34:35]
	global_store_byte v[0:1], v4, off
.LBB182_721:
	s_mov_b64 s[38:39], 0
	s_mov_b64 s[34:35], -1
.LBB182_722:
	s_andn2_b64 vcc, exec, s[38:39]
	s_cbranch_vccnz .LBB182_730
; %bb.723:
	s_cmp_gt_i32 s43, 14
	s_mov_b64 s[38:39], -1
	s_cbranch_scc0 .LBB182_727
; %bb.724:
	s_cmp_eq_u32 s43, 15
	s_mov_b64 s[4:5], -1
	s_cbranch_scc0 .LBB182_726
; %bb.725:
	v_cndmask_b32_e64 v3, 0, 1.0, s[2:3]
	v_bfe_u32 v4, v3, 16, 1
	s_movk_i32 s4, 0x7fff
	v_add3_u32 v3, v3, v4, s4
	global_store_short_d16_hi v[0:1], v3, off
	s_mov_b64 s[34:35], -1
	s_mov_b64 s[4:5], 0
.LBB182_726:
	s_mov_b64 s[38:39], 0
.LBB182_727:
	s_and_b64 vcc, exec, s[38:39]
	s_cbranch_vccz .LBB182_730
; %bb.728:
	s_cmp_eq_u32 s43, 11
	s_mov_b64 s[4:5], -1
	s_cbranch_scc0 .LBB182_730
; %bb.729:
	v_cndmask_b32_e64 v3, 0, 1, s[2:3]
	s_mov_b64 s[34:35], -1
	s_mov_b64 s[4:5], 0
	global_store_byte v[0:1], v3, off
.LBB182_730:
	s_mov_b64 s[38:39], 0
.LBB182_731:
	s_and_b64 vcc, exec, s[38:39]
	s_cbranch_vccz .LBB182_770
; %bb.732:
	s_and_b32 s38, 0xffff, s42
	s_cmp_lt_i32 s38, 5
	s_mov_b64 s[34:35], -1
	s_cbranch_scc1 .LBB182_753
; %bb.733:
	s_cmp_lt_i32 s38, 8
	s_cbranch_scc1 .LBB182_743
; %bb.734:
	s_cmp_lt_i32 s38, 9
	s_cbranch_scc1 .LBB182_740
; %bb.735:
	s_cmp_gt_i32 s38, 9
	s_cbranch_scc0 .LBB182_737
; %bb.736:
	v_cndmask_b32_e64 v3, 0, 1, s[2:3]
	v_cvt_f64_u32_e32 v[3:4], v3
	v_mov_b32_e32 v5, 0
	v_mov_b32_e32 v6, v5
	s_mov_b64 s[34:35], 0
	global_store_dwordx4 v[0:1], v[3:6], off
.LBB182_737:
	s_andn2_b64 vcc, exec, s[34:35]
	s_cbranch_vccnz .LBB182_739
; %bb.738:
	v_cndmask_b32_e64 v3, 0, 1.0, s[2:3]
	v_mov_b32_e32 v4, 0
	global_store_dwordx2 v[0:1], v[3:4], off
.LBB182_739:
	s_mov_b64 s[34:35], 0
.LBB182_740:
	s_andn2_b64 vcc, exec, s[34:35]
	s_cbranch_vccnz .LBB182_742
; %bb.741:
	v_cndmask_b32_e64 v3, 0, 1.0, s[2:3]
	v_cvt_f16_f32_e32 v3, v3
	global_store_dword v[0:1], v3, off
.LBB182_742:
	s_mov_b64 s[34:35], 0
.LBB182_743:
	s_andn2_b64 vcc, exec, s[34:35]
	s_cbranch_vccnz .LBB182_752
; %bb.744:
	s_cmp_lt_i32 s38, 6
	s_mov_b64 s[34:35], -1
	s_cbranch_scc1 .LBB182_750
; %bb.745:
	s_cmp_gt_i32 s38, 6
	s_cbranch_scc0 .LBB182_747
; %bb.746:
	v_cndmask_b32_e64 v3, 0, 1, s[2:3]
	v_cvt_f64_u32_e32 v[3:4], v3
	s_mov_b64 s[34:35], 0
	global_store_dwordx2 v[0:1], v[3:4], off
.LBB182_747:
	s_andn2_b64 vcc, exec, s[34:35]
	s_cbranch_vccnz .LBB182_749
; %bb.748:
	v_cndmask_b32_e64 v3, 0, 1.0, s[2:3]
	global_store_dword v[0:1], v3, off
.LBB182_749:
	s_mov_b64 s[34:35], 0
.LBB182_750:
	s_andn2_b64 vcc, exec, s[34:35]
	s_cbranch_vccnz .LBB182_752
; %bb.751:
	v_cndmask_b32_e64 v3, 0, 1.0, s[2:3]
	v_cvt_f16_f32_e32 v3, v3
	global_store_short v[0:1], v3, off
.LBB182_752:
	s_mov_b64 s[34:35], 0
.LBB182_753:
	s_andn2_b64 vcc, exec, s[34:35]
	s_cbranch_vccnz .LBB182_769
; %bb.754:
	s_cmp_lt_i32 s38, 2
	s_mov_b64 s[34:35], -1
	s_cbranch_scc1 .LBB182_764
; %bb.755:
	s_cmp_lt_i32 s38, 3
	s_cbranch_scc1 .LBB182_761
; %bb.756:
	s_cmp_gt_i32 s38, 3
	s_cbranch_scc0 .LBB182_758
; %bb.757:
	s_mov_b32 s34, 0
	v_cndmask_b32_e64 v3, 0, 1, s[2:3]
	v_mov_b32_e32 v4, s34
	s_mov_b64 s[34:35], 0
	global_store_dwordx2 v[0:1], v[3:4], off
.LBB182_758:
	s_andn2_b64 vcc, exec, s[34:35]
	s_cbranch_vccnz .LBB182_760
; %bb.759:
	v_cndmask_b32_e64 v3, 0, 1, s[2:3]
	global_store_dword v[0:1], v3, off
.LBB182_760:
	s_mov_b64 s[34:35], 0
.LBB182_761:
	s_andn2_b64 vcc, exec, s[34:35]
	s_cbranch_vccnz .LBB182_763
; %bb.762:
	v_cndmask_b32_e64 v3, 0, 1, s[2:3]
	global_store_short v[0:1], v3, off
.LBB182_763:
	s_mov_b64 s[34:35], 0
.LBB182_764:
	s_andn2_b64 vcc, exec, s[34:35]
	s_cbranch_vccnz .LBB182_769
; %bb.765:
	s_mov_b64 s[34:35], -1
	s_cmp_gt_i32 s38, 0
	v_cndmask_b32_e64 v3, 0, 1, s[2:3]
	s_cbranch_scc0 .LBB182_767
; %bb.766:
	s_mov_b64 s[34:35], 0
	global_store_byte v[0:1], v3, off
.LBB182_767:
	s_andn2_b64 vcc, exec, s[34:35]
	s_cbranch_vccnz .LBB182_769
; %bb.768:
	global_store_byte v[0:1], v3, off
.LBB182_769:
	s_mov_b64 s[34:35], -1
.LBB182_770:
	s_andn2_b64 vcc, exec, s[34:35]
	s_cbranch_vccnz .LBB182_783
; %bb.771:
	v_add_u32_e32 v2, 0x80, v2
	s_mov_b64 s[2:3], -1
.LBB182_772:
	s_andn2_b64 s[34:35], s[20:21], exec
	s_and_b64 s[4:5], s[4:5], exec
	s_or_b64 s[34:35], s[34:35], s[4:5]
	s_andn2_b64 s[4:5], s[22:23], exec
	s_and_b64 s[30:31], s[30:31], exec
	s_or_b64 s[30:31], s[4:5], s[30:31]
	;; [unrolled: 3-line block ×3, first 2 shown]
	s_orn2_b64 s[2:3], s[2:3], exec
.LBB182_773:
	s_or_b64 exec, exec, s[36:37]
	s_mov_b64 s[4:5], 0
	s_mov_b64 s[38:39], 0
	;; [unrolled: 1-line block ×3, first 2 shown]
                                        ; implicit-def: $sgpr58
                                        ; implicit-def: $vgpr0_vgpr1
                                        ; implicit-def: $vgpr3
	s_and_saveexec_b64 s[36:37], s[2:3]
	s_cbranch_execz .LBB182_1247
; %bb.774:
	v_cmp_gt_i32_e32 vcc, s50, v2
	s_mov_b64 s[48:49], -1
	s_mov_b64 s[2:3], s[28:29]
	s_mov_b64 s[4:5], s[30:31]
	;; [unrolled: 1-line block ×3, first 2 shown]
	s_and_saveexec_b64 s[38:39], vcc
	s_cbranch_execz .LBB182_1162
; %bb.775:
	v_mul_lo_u32 v0, v2, s13
	v_mov_b32_e32 v1, s11
	s_and_b32 s44, s57, 0xff
	s_cmp_lt_i32 s44, 11
	s_waitcnt vmcnt(0)
	v_ashrrev_i32_e32 v3, 31, v0
	v_add_co_u32_e32 v0, vcc, s10, v0
	v_addc_co_u32_e32 v1, vcc, v1, v3, vcc
	s_cbranch_scc1 .LBB182_782
; %bb.776:
	s_and_b32 s45, 0xffff, s44
	s_cmp_gt_i32 s45, 25
	s_cbranch_scc0 .LBB182_784
; %bb.777:
	s_cmp_gt_i32 s45, 28
	s_cbranch_scc0 .LBB182_785
; %bb.778:
	;; [unrolled: 3-line block ×4, first 2 shown]
	s_cmp_eq_u32 s45, 46
	s_mov_b64 s[4:5], 0
	s_cbranch_scc0 .LBB182_790
; %bb.781:
	global_load_dword v3, v[0:1], off
	s_mov_b64 s[2:3], -1
	s_waitcnt vmcnt(0)
	v_lshlrev_b32_e32 v3, 16, v3
	v_cvt_f16_f32_e32 v3, v3
	s_branch .LBB182_791
.LBB182_782:
	s_mov_b64 s[4:5], -1
	s_mov_b64 s[2:3], 0
                                        ; implicit-def: $vgpr3
	s_mov_b64 s[40:41], s[28:29]
	s_branch .LBB182_856
.LBB182_783:
	s_mov_b64 s[2:3], 0
	s_branch .LBB182_530
.LBB182_784:
	s_mov_b64 s[4:5], -1
	s_mov_b64 s[2:3], 0
	s_mov_b64 s[40:41], s[28:29]
                                        ; implicit-def: $vgpr3
	s_branch .LBB182_820
.LBB182_785:
	s_mov_b64 s[4:5], -1
	s_mov_b64 s[2:3], 0
	s_mov_b64 s[40:41], s[28:29]
                                        ; implicit-def: $vgpr3
	s_branch .LBB182_801
.LBB182_786:
	s_mov_b64 s[4:5], -1
	s_mov_b64 s[2:3], 0
	s_mov_b64 s[40:41], s[28:29]
                                        ; implicit-def: $vgpr3
	s_branch .LBB182_796
.LBB182_787:
	s_mov_b64 s[4:5], -1
	s_mov_b64 s[2:3], 0
	s_mov_b64 s[40:41], s[28:29]
                                        ; implicit-def: $vgpr3
	s_branch .LBB182_791
.LBB182_788:
	s_andn2_saveexec_b64 s[40:41], s[40:41]
	s_cbranch_execz .LBB182_683
.LBB182_789:
	v_add_f32_e32 v3, 0x46000000, v4
	v_and_b32_e32 v3, 0xff, v3
	v_cmp_ne_u32_e32 vcc, 0, v3
	s_andn2_b64 s[38:39], s[38:39], exec
	s_and_b64 s[44:45], vcc, exec
	s_or_b64 s[38:39], s[38:39], s[44:45]
	s_or_b64 exec, exec, s[40:41]
	v_mov_b32_e32 v5, 0
	s_and_saveexec_b64 s[40:41], s[38:39]
	s_cbranch_execnz .LBB182_684
	s_branch .LBB182_685
.LBB182_790:
	s_mov_b64 s[40:41], -1
                                        ; implicit-def: $vgpr3
	s_mov_b64 s[2:3], 0
.LBB182_791:
	s_and_b64 vcc, exec, s[4:5]
	s_cbranch_vccz .LBB182_795
; %bb.792:
	s_cmp_eq_u32 s45, 44
	s_cbranch_scc0 .LBB182_794
; %bb.793:
	global_load_ubyte v3, v[0:1], off
	s_movk_i32 s4, 0xff
	v_mov_b32_e32 v5, 0x7e00
	s_mov_b64 s[2:3], -1
	s_mov_b64 s[40:41], 0
	s_waitcnt vmcnt(0)
	v_lshlrev_b32_e32 v4, 23, v3
	v_cvt_f16_f32_e32 v4, v4
	v_cmp_ne_u32_e32 vcc, s4, v3
	v_cndmask_b32_e32 v4, v5, v4, vcc
	v_cmp_ne_u32_e32 vcc, 0, v3
	v_cndmask_b32_e32 v3, 0, v4, vcc
	s_branch .LBB182_795
.LBB182_794:
	s_mov_b64 s[40:41], -1
                                        ; implicit-def: $vgpr3
.LBB182_795:
	s_mov_b64 s[4:5], 0
.LBB182_796:
	s_and_b64 vcc, exec, s[4:5]
	s_cbranch_vccz .LBB182_800
; %bb.797:
	s_cmp_eq_u32 s45, 29
	s_cbranch_scc0 .LBB182_799
; %bb.798:
	global_load_dwordx2 v[3:4], v[0:1], off
	s_mov_b64 s[2:3], -1
	s_mov_b64 s[40:41], 0
	s_mov_b64 s[4:5], 0
	s_waitcnt vmcnt(0)
	v_ffbh_u32_e32 v5, v4
	v_min_u32_e32 v5, 32, v5
	v_lshlrev_b64 v[3:4], v5, v[3:4]
	v_min_u32_e32 v3, 1, v3
	v_or_b32_e32 v3, v4, v3
	v_cvt_f32_u32_e32 v3, v3
	v_sub_u32_e32 v4, 32, v5
	v_ldexp_f32 v3, v3, v4
	v_cvt_f16_f32_e32 v3, v3
	s_branch .LBB182_801
.LBB182_799:
	s_mov_b64 s[40:41], -1
                                        ; implicit-def: $vgpr3
.LBB182_800:
	s_mov_b64 s[4:5], 0
.LBB182_801:
	s_and_b64 vcc, exec, s[4:5]
	s_cbranch_vccz .LBB182_819
; %bb.802:
	s_cmp_lt_i32 s45, 27
	s_cbranch_scc1 .LBB182_805
; %bb.803:
	s_cmp_gt_i32 s45, 27
	s_cbranch_scc0 .LBB182_806
; %bb.804:
	global_load_dword v3, v[0:1], off
	s_mov_b64 s[2:3], 0
	s_waitcnt vmcnt(0)
	v_cvt_f32_u32_e32 v3, v3
	v_cvt_f16_f32_e32 v3, v3
	s_branch .LBB182_807
.LBB182_805:
	s_mov_b64 s[2:3], -1
                                        ; implicit-def: $vgpr3
	s_branch .LBB182_810
.LBB182_806:
	s_mov_b64 s[2:3], -1
                                        ; implicit-def: $vgpr3
.LBB182_807:
	s_andn2_b64 vcc, exec, s[2:3]
	s_cbranch_vccnz .LBB182_809
; %bb.808:
	global_load_ushort v3, v[0:1], off
	s_waitcnt vmcnt(0)
	v_cvt_f16_u16_e32 v3, v3
.LBB182_809:
	s_mov_b64 s[2:3], 0
.LBB182_810:
	s_andn2_b64 vcc, exec, s[2:3]
	s_cbranch_vccnz .LBB182_818
; %bb.811:
	global_load_ubyte v4, v[0:1], off
	s_movk_i32 s2, 0x7f
	s_waitcnt vmcnt(0)
	v_cmp_lt_i16_e32 vcc, s2, v4
	s_mov_b64 s[2:3], 0
	s_and_saveexec_b64 s[4:5], vcc
	s_xor_b64 s[4:5], exec, s[4:5]
	s_cbranch_execz .LBB182_832
; %bb.812:
	s_movk_i32 s2, 0x80
	v_cmp_eq_u16_e32 vcc, s2, v4
	s_mov_b64 s[2:3], -1
	s_and_saveexec_b64 s[42:43], vcc
; %bb.813:
	s_xor_b64 s[2:3], exec, -1
; %bb.814:
	s_or_b64 exec, exec, s[42:43]
	s_and_b64 s[2:3], s[2:3], exec
	s_or_saveexec_b64 s[4:5], s[4:5]
	v_mov_b32_e32 v3, 0x7e00
	s_xor_b64 exec, exec, s[4:5]
	s_cbranch_execnz .LBB182_833
.LBB182_815:
	s_or_b64 exec, exec, s[4:5]
	s_and_saveexec_b64 s[4:5], s[2:3]
	s_cbranch_execz .LBB182_817
.LBB182_816:
	v_lshlrev_b32_e32 v3, 24, v4
	v_and_b32_e32 v4, 0xffff, v4
	v_and_b32_e32 v5, 7, v4
	v_ffbh_u32_e32 v7, v5
	v_min_u32_e32 v7, 32, v7
	v_subrev_u32_e32 v8, 28, v7
	v_bfe_u32 v6, v4, 3, 4
	v_lshlrev_b32_e32 v4, v8, v4
	v_sub_u32_e32 v7, 29, v7
	v_and_b32_e32 v4, 7, v4
	v_cmp_eq_u32_e32 vcc, 0, v6
	v_cndmask_b32_e32 v6, v6, v7, vcc
	v_cndmask_b32_e32 v4, v5, v4, vcc
	v_mov_b32_e32 v5, 0x3b800000
	v_lshlrev_b32_e32 v4, 20, v4
	v_and_b32_e32 v3, 0x80000000, v3
	v_lshl_add_u32 v5, v6, 23, v5
	v_or3_b32 v3, v3, v5, v4
	v_cvt_f16_f32_e32 v3, v3
.LBB182_817:
	s_or_b64 exec, exec, s[4:5]
.LBB182_818:
	s_mov_b64 s[2:3], -1
.LBB182_819:
	s_mov_b64 s[4:5], 0
.LBB182_820:
	s_and_b64 vcc, exec, s[4:5]
	s_cbranch_vccz .LBB182_855
; %bb.821:
	s_cmp_gt_i32 s45, 22
	s_cbranch_scc0 .LBB182_831
; %bb.822:
	s_cmp_lt_i32 s45, 24
	s_cbranch_scc1 .LBB182_834
; %bb.823:
	s_cmp_gt_i32 s45, 24
	s_cbranch_scc0 .LBB182_835
; %bb.824:
	global_load_ubyte v4, v[0:1], off
	s_movk_i32 s2, 0x7f
	s_waitcnt vmcnt(0)
	v_cmp_lt_i16_e32 vcc, s2, v4
	s_mov_b64 s[2:3], 0
	s_and_saveexec_b64 s[4:5], vcc
	s_xor_b64 s[4:5], exec, s[4:5]
	s_cbranch_execz .LBB182_847
; %bb.825:
	s_movk_i32 s2, 0x80
	v_cmp_eq_u16_e32 vcc, s2, v4
	s_mov_b64 s[2:3], -1
	s_and_saveexec_b64 s[42:43], vcc
; %bb.826:
	s_xor_b64 s[2:3], exec, -1
; %bb.827:
	s_or_b64 exec, exec, s[42:43]
	s_and_b64 s[2:3], s[2:3], exec
	s_or_saveexec_b64 s[4:5], s[4:5]
	v_mov_b32_e32 v3, 0x7e00
	s_xor_b64 exec, exec, s[4:5]
	s_cbranch_execnz .LBB182_848
.LBB182_828:
	s_or_b64 exec, exec, s[4:5]
	s_and_saveexec_b64 s[4:5], s[2:3]
	s_cbranch_execz .LBB182_830
.LBB182_829:
	v_lshlrev_b32_e32 v3, 24, v4
	v_and_b32_e32 v4, 0xffff, v4
	v_and_b32_e32 v5, 3, v4
	v_ffbh_u32_e32 v7, v5
	v_min_u32_e32 v7, 32, v7
	v_subrev_u32_e32 v8, 29, v7
	v_bfe_u32 v6, v4, 2, 5
	v_lshlrev_b32_e32 v4, v8, v4
	v_sub_u32_e32 v7, 30, v7
	v_and_b32_e32 v4, 3, v4
	v_cmp_eq_u32_e32 vcc, 0, v6
	v_cndmask_b32_e32 v6, v6, v7, vcc
	v_cndmask_b32_e32 v4, v5, v4, vcc
	v_mov_b32_e32 v5, 0x37800000
	v_lshlrev_b32_e32 v4, 21, v4
	v_and_b32_e32 v3, 0x80000000, v3
	v_lshl_add_u32 v5, v6, 23, v5
	v_or3_b32 v3, v3, v5, v4
	v_cvt_f16_f32_e32 v3, v3
.LBB182_830:
	s_or_b64 exec, exec, s[4:5]
	s_mov_b64 s[2:3], 0
	s_branch .LBB182_836
.LBB182_831:
	s_mov_b64 s[4:5], -1
                                        ; implicit-def: $vgpr3
	s_branch .LBB182_842
.LBB182_832:
	s_or_saveexec_b64 s[4:5], s[4:5]
	v_mov_b32_e32 v3, 0x7e00
	s_xor_b64 exec, exec, s[4:5]
	s_cbranch_execz .LBB182_815
.LBB182_833:
	v_cmp_ne_u16_e32 vcc, 0, v4
	s_andn2_b64 s[2:3], s[2:3], exec
	s_and_b64 s[42:43], vcc, exec
	s_or_b64 s[2:3], s[2:3], s[42:43]
	v_mov_b32_e32 v3, v4
	s_or_b64 exec, exec, s[4:5]
	s_and_saveexec_b64 s[4:5], s[2:3]
	s_cbranch_execnz .LBB182_816
	s_branch .LBB182_817
.LBB182_834:
	s_mov_b64 s[2:3], -1
                                        ; implicit-def: $vgpr3
	s_branch .LBB182_839
.LBB182_835:
	s_mov_b64 s[2:3], -1
                                        ; implicit-def: $vgpr3
.LBB182_836:
	s_and_b64 vcc, exec, s[2:3]
	s_cbranch_vccz .LBB182_838
; %bb.837:
	global_load_ubyte v3, v[0:1], off
	s_mov_b32 s2, 0x7f800000
	s_waitcnt vmcnt(0)
	v_lshlrev_b32_e32 v3, 24, v3
	v_and_b32_e32 v4, 0x7f000000, v3
	v_ffbh_u32_e32 v5, v4
	v_min_u32_e32 v5, 32, v5
	v_sub_u32_e64 v5, v5, 4 clamp
	v_lshlrev_b32_e32 v7, v5, v4
	v_lshlrev_b32_e32 v5, 23, v5
	v_lshrrev_b32_e32 v7, 4, v7
	v_add_u32_e32 v6, 0x1000000, v4
	v_sub_u32_e32 v5, v7, v5
	v_ashrrev_i32_e32 v6, 8, v6
	v_add_u32_e32 v5, 0x3c000000, v5
	v_and_or_b32 v5, v6, s2, v5
	v_cmp_ne_u32_e32 vcc, 0, v4
	v_cndmask_b32_e32 v4, 0, v5, vcc
	s_brev_b32 s2, 1
	v_and_or_b32 v3, v3, s2, v4
	v_cvt_f16_f32_e32 v3, v3
.LBB182_838:
	s_mov_b64 s[2:3], 0
.LBB182_839:
	s_andn2_b64 vcc, exec, s[2:3]
	s_cbranch_vccnz .LBB182_841
; %bb.840:
	global_load_ubyte v3, v[0:1], off
	s_movk_i32 s2, 0x7f00
	s_brev_b32 s3, 16
	s_waitcnt vmcnt(0)
	v_lshlrev_b16_e32 v4, 8, v3
	v_lshlrev_b32_e32 v3, 25, v3
	v_lshrrev_b32_e32 v5, 4, v3
	v_and_or_b32 v6, v4, s2, 0.5
	v_or_b32_e32 v5, 0x70000000, v5
	v_add_f32_e32 v6, -0.5, v6
	v_mul_f32_e32 v5, 0x7800000, v5
	v_cmp_gt_u32_e32 vcc, s3, v3
	v_bfe_i32 v4, v4, 0, 16
	v_cndmask_b32_e32 v3, v5, v6, vcc
	s_brev_b32 s2, 1
	v_and_or_b32 v3, v4, s2, v3
	v_cvt_f16_f32_e32 v3, v3
.LBB182_841:
	s_mov_b64 s[4:5], 0
	s_mov_b64 s[2:3], -1
.LBB182_842:
	s_andn2_b64 vcc, exec, s[4:5]
	s_cbranch_vccnz .LBB182_855
; %bb.843:
	s_cmp_gt_i32 s45, 14
	s_cbranch_scc0 .LBB182_846
; %bb.844:
	s_cmp_eq_u32 s45, 15
	s_cbranch_scc0 .LBB182_849
; %bb.845:
	global_load_ushort v3, v[0:1], off
	s_mov_b64 s[2:3], -1
	s_mov_b64 s[40:41], 0
	s_waitcnt vmcnt(0)
	v_lshlrev_b32_e32 v3, 16, v3
	v_cvt_f16_f32_e32 v3, v3
	s_branch .LBB182_850
.LBB182_846:
	s_mov_b64 s[4:5], -1
                                        ; implicit-def: $vgpr3
	s_branch .LBB182_851
.LBB182_847:
	s_or_saveexec_b64 s[4:5], s[4:5]
	v_mov_b32_e32 v3, 0x7e00
	s_xor_b64 exec, exec, s[4:5]
	s_cbranch_execz .LBB182_828
.LBB182_848:
	v_cmp_ne_u16_e32 vcc, 0, v4
	s_andn2_b64 s[2:3], s[2:3], exec
	s_and_b64 s[42:43], vcc, exec
	s_or_b64 s[2:3], s[2:3], s[42:43]
	v_mov_b32_e32 v3, v4
	s_or_b64 exec, exec, s[4:5]
	s_and_saveexec_b64 s[4:5], s[2:3]
	s_cbranch_execnz .LBB182_829
	s_branch .LBB182_830
.LBB182_849:
	s_mov_b64 s[40:41], -1
                                        ; implicit-def: $vgpr3
.LBB182_850:
	s_mov_b64 s[4:5], 0
.LBB182_851:
	s_and_b64 vcc, exec, s[4:5]
	s_cbranch_vccz .LBB182_855
; %bb.852:
	s_cmp_eq_u32 s45, 11
	s_cbranch_scc0 .LBB182_854
; %bb.853:
	global_load_ubyte v3, v[0:1], off
	v_mov_b32_e32 v4, 0x3c00
	s_mov_b64 s[2:3], -1
	s_mov_b64 s[40:41], 0
	s_waitcnt vmcnt(0)
	v_cmp_ne_u16_e32 vcc, 0, v3
	v_cndmask_b32_e32 v3, 0, v4, vcc
	s_branch .LBB182_855
.LBB182_854:
	s_mov_b64 s[40:41], -1
                                        ; implicit-def: $vgpr3
.LBB182_855:
	s_mov_b64 s[4:5], 0
.LBB182_856:
	s_and_b64 vcc, exec, s[4:5]
	s_cbranch_vccz .LBB182_905
; %bb.857:
	s_and_b32 s4, 0xffff, s44
	s_cmp_lt_i32 s4, 5
	s_cbranch_scc1 .LBB182_862
; %bb.858:
	s_cmp_lt_i32 s4, 8
	s_cbranch_scc1 .LBB182_863
; %bb.859:
	;; [unrolled: 3-line block ×3, first 2 shown]
	s_cmp_gt_i32 s4, 9
	s_cbranch_scc0 .LBB182_865
; %bb.861:
	global_load_dwordx2 v[3:4], v[0:1], off
	s_movk_i32 s2, 0x1ff
	s_movk_i32 s3, 0xffe
	v_mov_b32_e32 v5, 0x7c00
	v_mov_b32_e32 v6, 0x7e00
	s_movk_i32 s5, 0x40f
	s_mov_b32 s42, 0x8000
	s_waitcnt vmcnt(0)
	v_and_or_b32 v3, v4, s2, v3
	v_cmp_ne_u32_e32 vcc, 0, v3
	v_lshrrev_b32_e32 v7, 8, v4
	v_bfe_u32 v8, v4, 20, 11
	v_cndmask_b32_e64 v3, 0, 1, vcc
	v_sub_u32_e32 v9, 0x3f1, v8
	v_and_or_b32 v3, v7, s3, v3
	v_add_u32_e32 v8, 0xfffffc10, v8
	v_med3_i32 v7, v9, 0, 13
	v_or_b32_e32 v9, 0x1000, v3
	v_cmp_ne_u32_e32 vcc, 0, v3
	v_lshl_or_b32 v10, v8, 12, v3
	v_cndmask_b32_e32 v3, v5, v6, vcc
	v_lshrrev_b32_e32 v6, v7, v9
	v_lshlrev_b32_e32 v7, v7, v6
	v_cmp_ne_u32_e32 vcc, v7, v9
	v_cndmask_b32_e64 v7, 0, 1, vcc
	v_or_b32_e32 v6, v6, v7
	v_cmp_gt_i32_e32 vcc, 1, v8
	v_cndmask_b32_e32 v6, v10, v6, vcc
	v_and_b32_e32 v7, 7, v6
	v_cmp_lt_i32_e32 vcc, 5, v7
	v_cndmask_b32_e64 v9, 0, 1, vcc
	v_cmp_eq_u32_e32 vcc, 3, v7
	v_cndmask_b32_e64 v7, 0, 1, vcc
	v_lshrrev_b32_e32 v6, 2, v6
	v_or_b32_e32 v7, v7, v9
	v_add_u32_e32 v6, v6, v7
	v_cmp_gt_i32_e32 vcc, 31, v8
	v_cndmask_b32_e32 v5, v5, v6, vcc
	v_cmp_eq_u32_e32 vcc, s5, v8
	v_lshrrev_b32_e32 v4, 16, v4
	v_cndmask_b32_e32 v3, v5, v3, vcc
	v_and_or_b32 v3, v4, s42, v3
	s_mov_b64 s[2:3], 0
	s_branch .LBB182_866
.LBB182_862:
	s_mov_b64 s[2:3], -1
                                        ; implicit-def: $vgpr3
	s_branch .LBB182_884
.LBB182_863:
	s_mov_b64 s[2:3], -1
                                        ; implicit-def: $vgpr3
	s_branch .LBB182_872
.LBB182_864:
	s_mov_b64 s[2:3], -1
                                        ; implicit-def: $vgpr3
	s_branch .LBB182_869
.LBB182_865:
	s_mov_b64 s[2:3], -1
                                        ; implicit-def: $vgpr3
.LBB182_866:
	s_andn2_b64 vcc, exec, s[2:3]
	s_cbranch_vccnz .LBB182_868
; %bb.867:
	global_load_dword v3, v[0:1], off
	s_waitcnt vmcnt(0)
	v_cvt_f16_f32_e32 v3, v3
.LBB182_868:
	s_mov_b64 s[2:3], 0
.LBB182_869:
	s_andn2_b64 vcc, exec, s[2:3]
	s_cbranch_vccnz .LBB182_871
; %bb.870:
	global_load_dword v3, v[0:1], off
.LBB182_871:
	s_mov_b64 s[2:3], 0
.LBB182_872:
	s_andn2_b64 vcc, exec, s[2:3]
	s_cbranch_vccnz .LBB182_883
; %bb.873:
	s_cmp_lt_i32 s4, 6
	s_cbranch_scc1 .LBB182_876
; %bb.874:
	s_cmp_gt_i32 s4, 6
	s_cbranch_scc0 .LBB182_877
; %bb.875:
	global_load_dwordx2 v[3:4], v[0:1], off
	s_movk_i32 s2, 0x1ff
	s_movk_i32 s3, 0xffe
	v_mov_b32_e32 v5, 0x7c00
	v_mov_b32_e32 v6, 0x7e00
	s_movk_i32 s5, 0x40f
	s_mov_b32 s42, 0x8000
	s_waitcnt vmcnt(0)
	v_and_or_b32 v3, v4, s2, v3
	v_cmp_ne_u32_e32 vcc, 0, v3
	v_lshrrev_b32_e32 v7, 8, v4
	v_bfe_u32 v8, v4, 20, 11
	v_cndmask_b32_e64 v3, 0, 1, vcc
	v_sub_u32_e32 v9, 0x3f1, v8
	v_and_or_b32 v3, v7, s3, v3
	v_add_u32_e32 v8, 0xfffffc10, v8
	v_med3_i32 v7, v9, 0, 13
	v_or_b32_e32 v9, 0x1000, v3
	v_cmp_ne_u32_e32 vcc, 0, v3
	v_lshl_or_b32 v10, v8, 12, v3
	v_cndmask_b32_e32 v3, v5, v6, vcc
	v_lshrrev_b32_e32 v6, v7, v9
	v_lshlrev_b32_e32 v7, v7, v6
	v_cmp_ne_u32_e32 vcc, v7, v9
	v_cndmask_b32_e64 v7, 0, 1, vcc
	v_or_b32_e32 v6, v6, v7
	v_cmp_gt_i32_e32 vcc, 1, v8
	v_cndmask_b32_e32 v6, v10, v6, vcc
	v_and_b32_e32 v7, 7, v6
	v_cmp_lt_i32_e32 vcc, 5, v7
	v_cndmask_b32_e64 v9, 0, 1, vcc
	v_cmp_eq_u32_e32 vcc, 3, v7
	v_cndmask_b32_e64 v7, 0, 1, vcc
	v_lshrrev_b32_e32 v6, 2, v6
	v_or_b32_e32 v7, v7, v9
	v_add_u32_e32 v6, v6, v7
	v_cmp_gt_i32_e32 vcc, 31, v8
	v_cndmask_b32_e32 v5, v5, v6, vcc
	v_cmp_eq_u32_e32 vcc, s5, v8
	v_lshrrev_b32_e32 v4, 16, v4
	v_cndmask_b32_e32 v3, v5, v3, vcc
	v_and_or_b32 v3, v4, s42, v3
	s_mov_b64 s[2:3], 0
	s_branch .LBB182_878
.LBB182_876:
	s_mov_b64 s[2:3], -1
                                        ; implicit-def: $vgpr3
	s_branch .LBB182_881
.LBB182_877:
	s_mov_b64 s[2:3], -1
                                        ; implicit-def: $vgpr3
.LBB182_878:
	s_andn2_b64 vcc, exec, s[2:3]
	s_cbranch_vccnz .LBB182_880
; %bb.879:
	global_load_dword v3, v[0:1], off
	s_waitcnt vmcnt(0)
	v_cvt_f16_f32_e32 v3, v3
.LBB182_880:
	s_mov_b64 s[2:3], 0
.LBB182_881:
	s_andn2_b64 vcc, exec, s[2:3]
	s_cbranch_vccnz .LBB182_883
; %bb.882:
	global_load_ushort v3, v[0:1], off
.LBB182_883:
	s_mov_b64 s[2:3], 0
.LBB182_884:
	s_andn2_b64 vcc, exec, s[2:3]
	s_cbranch_vccnz .LBB182_904
; %bb.885:
	s_cmp_lt_i32 s4, 2
	s_cbranch_scc1 .LBB182_889
; %bb.886:
	s_cmp_lt_i32 s4, 3
	s_cbranch_scc1 .LBB182_890
; %bb.887:
	s_cmp_gt_i32 s4, 3
	s_cbranch_scc0 .LBB182_891
; %bb.888:
	global_load_dwordx2 v[3:4], v[0:1], off
	s_mov_b64 s[2:3], 0
	s_waitcnt vmcnt(0)
	v_xor_b32_e32 v6, v3, v4
	v_ffbh_i32_e32 v5, v4
	v_ashrrev_i32_e32 v6, 31, v6
	v_add_u32_e32 v5, -1, v5
	v_add_u32_e32 v6, 32, v6
	v_min_u32_e32 v5, v5, v6
	v_lshlrev_b64 v[3:4], v5, v[3:4]
	v_min_u32_e32 v3, 1, v3
	v_or_b32_e32 v3, v4, v3
	v_cvt_f32_i32_e32 v3, v3
	v_sub_u32_e32 v4, 32, v5
	v_ldexp_f32 v3, v3, v4
	v_cvt_f16_f32_e32 v3, v3
	s_branch .LBB182_892
.LBB182_889:
	s_mov_b64 s[2:3], -1
                                        ; implicit-def: $vgpr3
	s_branch .LBB182_898
.LBB182_890:
	s_mov_b64 s[2:3], -1
                                        ; implicit-def: $vgpr3
	s_branch .LBB182_895
.LBB182_891:
	s_mov_b64 s[2:3], -1
                                        ; implicit-def: $vgpr3
.LBB182_892:
	s_andn2_b64 vcc, exec, s[2:3]
	s_cbranch_vccnz .LBB182_894
; %bb.893:
	global_load_dword v3, v[0:1], off
	s_waitcnt vmcnt(0)
	v_cvt_f32_i32_e32 v3, v3
	v_cvt_f16_f32_e32 v3, v3
.LBB182_894:
	s_mov_b64 s[2:3], 0
.LBB182_895:
	s_andn2_b64 vcc, exec, s[2:3]
	s_cbranch_vccnz .LBB182_897
; %bb.896:
	global_load_ushort v3, v[0:1], off
	s_waitcnt vmcnt(0)
	v_cvt_f16_i16_e32 v3, v3
.LBB182_897:
	s_mov_b64 s[2:3], 0
.LBB182_898:
	s_andn2_b64 vcc, exec, s[2:3]
	s_cbranch_vccnz .LBB182_904
; %bb.899:
	s_cmp_gt_i32 s4, 0
	s_cbranch_scc0 .LBB182_901
; %bb.900:
	global_load_sbyte v3, v[0:1], off
	s_mov_b64 s[2:3], 0
	s_waitcnt vmcnt(0)
	v_cvt_f16_i16_e32 v3, v3
	s_branch .LBB182_902
.LBB182_901:
	s_mov_b64 s[2:3], -1
                                        ; implicit-def: $vgpr3
.LBB182_902:
	s_andn2_b64 vcc, exec, s[2:3]
	s_cbranch_vccnz .LBB182_904
; %bb.903:
	global_load_ubyte v0, v[0:1], off
	s_waitcnt vmcnt(0)
	v_cvt_f16_u16_e32 v3, v0
.LBB182_904:
	s_mov_b64 s[2:3], -1
.LBB182_905:
	s_andn2_b64 vcc, exec, s[2:3]
	s_cbranch_vccnz .LBB182_913
; %bb.906:
	v_mul_lo_u32 v0, v2, s14
	v_mov_b32_e32 v1, s17
	s_and_b32 s46, s56, 0xff
	s_cmp_lt_i32 s46, 11
	v_ashrrev_i32_e32 v4, 31, v0
	v_add_co_u32_e32 v0, vcc, s16, v0
	v_addc_co_u32_e32 v1, vcc, v1, v4, vcc
	s_cbranch_scc1 .LBB182_915
; %bb.907:
	s_and_b32 s47, 0xffff, s46
	s_cmp_gt_i32 s47, 25
	s_cbranch_scc0 .LBB182_916
; %bb.908:
	s_cmp_gt_i32 s47, 28
	s_cbranch_scc0 .LBB182_917
; %bb.909:
	;; [unrolled: 3-line block ×4, first 2 shown]
	s_cmp_eq_u32 s47, 46
	s_mov_b64 s[4:5], 0
	s_cbranch_scc0 .LBB182_922
; %bb.912:
	global_load_dword v4, v[0:1], off
	s_mov_b64 s[2:3], -1
	s_mov_b64 s[42:43], 0
	s_waitcnt vmcnt(0)
	v_lshlrev_b32_e32 v4, 16, v4
	v_cvt_f16_f32_e32 v4, v4
	s_branch .LBB182_923
.LBB182_913:
	s_mov_b64 s[46:47], 0
	s_mov_b64 s[4:5], s[34:35]
	;; [unrolled: 1-line block ×3, first 2 shown]
.LBB182_914:
                                        ; implicit-def: $vgpr2
	s_branch .LBB182_1161
.LBB182_915:
	s_mov_b64 s[4:5], -1
	s_mov_b64 s[2:3], 0
                                        ; implicit-def: $vgpr4
	s_mov_b64 s[42:43], s[30:31]
	s_branch .LBB182_988
.LBB182_916:
	s_mov_b64 s[4:5], -1
	s_mov_b64 s[2:3], 0
	s_mov_b64 s[42:43], s[30:31]
                                        ; implicit-def: $vgpr4
	s_branch .LBB182_952
.LBB182_917:
	s_mov_b64 s[4:5], -1
	s_mov_b64 s[2:3], 0
	s_mov_b64 s[42:43], s[30:31]
                                        ; implicit-def: $vgpr4
	s_branch .LBB182_933
.LBB182_918:
	s_mov_b64 s[4:5], -1
	s_mov_b64 s[2:3], 0
	s_mov_b64 s[42:43], s[30:31]
                                        ; implicit-def: $vgpr4
	s_branch .LBB182_928
.LBB182_919:
	s_mov_b64 s[4:5], -1
	s_mov_b64 s[2:3], 0
	s_mov_b64 s[42:43], s[30:31]
                                        ; implicit-def: $vgpr4
	s_branch .LBB182_923
.LBB182_920:
	s_andn2_saveexec_b64 s[40:41], s[40:41]
	s_cbranch_execz .LBB182_696
.LBB182_921:
	v_add_f32_e32 v3, 0x42800000, v4
	v_and_b32_e32 v3, 0xff, v3
	v_cmp_ne_u32_e32 vcc, 0, v3
	s_andn2_b64 s[38:39], s[38:39], exec
	s_and_b64 s[44:45], vcc, exec
	s_or_b64 s[38:39], s[38:39], s[44:45]
	s_or_b64 exec, exec, s[40:41]
	v_mov_b32_e32 v5, 0
	s_and_saveexec_b64 s[40:41], s[38:39]
	s_cbranch_execnz .LBB182_697
	s_branch .LBB182_698
.LBB182_922:
	s_mov_b64 s[42:43], -1
                                        ; implicit-def: $vgpr4
	s_mov_b64 s[2:3], 0
.LBB182_923:
	s_and_b64 vcc, exec, s[4:5]
	s_cbranch_vccz .LBB182_927
; %bb.924:
	s_cmp_eq_u32 s47, 44
	s_cbranch_scc0 .LBB182_926
; %bb.925:
	global_load_ubyte v4, v[0:1], off
	s_movk_i32 s4, 0xff
	v_mov_b32_e32 v6, 0x7e00
	s_mov_b64 s[2:3], -1
	s_mov_b64 s[42:43], 0
	s_waitcnt vmcnt(0)
	v_lshlrev_b32_e32 v5, 23, v4
	v_cvt_f16_f32_e32 v5, v5
	v_cmp_ne_u32_e32 vcc, s4, v4
	v_cndmask_b32_e32 v5, v6, v5, vcc
	v_cmp_ne_u32_e32 vcc, 0, v4
	v_cndmask_b32_e32 v4, 0, v5, vcc
	s_branch .LBB182_927
.LBB182_926:
	s_mov_b64 s[42:43], -1
                                        ; implicit-def: $vgpr4
.LBB182_927:
	s_mov_b64 s[4:5], 0
.LBB182_928:
	s_and_b64 vcc, exec, s[4:5]
	s_cbranch_vccz .LBB182_932
; %bb.929:
	s_cmp_eq_u32 s47, 29
	s_cbranch_scc0 .LBB182_931
; %bb.930:
	global_load_dwordx2 v[4:5], v[0:1], off
	s_mov_b64 s[2:3], -1
	s_mov_b64 s[42:43], 0
	s_mov_b64 s[4:5], 0
	s_waitcnt vmcnt(0)
	v_ffbh_u32_e32 v6, v5
	v_min_u32_e32 v6, 32, v6
	v_lshlrev_b64 v[4:5], v6, v[4:5]
	v_min_u32_e32 v4, 1, v4
	v_or_b32_e32 v4, v5, v4
	v_cvt_f32_u32_e32 v4, v4
	v_sub_u32_e32 v5, 32, v6
	v_ldexp_f32 v4, v4, v5
	v_cvt_f16_f32_e32 v4, v4
	s_branch .LBB182_933
.LBB182_931:
	s_mov_b64 s[42:43], -1
                                        ; implicit-def: $vgpr4
.LBB182_932:
	s_mov_b64 s[4:5], 0
.LBB182_933:
	s_and_b64 vcc, exec, s[4:5]
	s_cbranch_vccz .LBB182_951
; %bb.934:
	s_cmp_lt_i32 s47, 27
	s_cbranch_scc1 .LBB182_937
; %bb.935:
	s_cmp_gt_i32 s47, 27
	s_cbranch_scc0 .LBB182_938
; %bb.936:
	global_load_dword v4, v[0:1], off
	s_mov_b64 s[2:3], 0
	s_waitcnt vmcnt(0)
	v_cvt_f32_u32_e32 v4, v4
	v_cvt_f16_f32_e32 v4, v4
	s_branch .LBB182_939
.LBB182_937:
	s_mov_b64 s[2:3], -1
                                        ; implicit-def: $vgpr4
	s_branch .LBB182_942
.LBB182_938:
	s_mov_b64 s[2:3], -1
                                        ; implicit-def: $vgpr4
.LBB182_939:
	s_andn2_b64 vcc, exec, s[2:3]
	s_cbranch_vccnz .LBB182_941
; %bb.940:
	global_load_ushort v4, v[0:1], off
	s_waitcnt vmcnt(0)
	v_cvt_f16_u16_e32 v4, v4
.LBB182_941:
	s_mov_b64 s[2:3], 0
.LBB182_942:
	s_andn2_b64 vcc, exec, s[2:3]
	s_cbranch_vccnz .LBB182_950
; %bb.943:
	global_load_ubyte v5, v[0:1], off
	s_movk_i32 s2, 0x7f
	s_waitcnt vmcnt(0)
	v_cmp_lt_i16_e32 vcc, s2, v5
	s_mov_b64 s[2:3], 0
	s_and_saveexec_b64 s[4:5], vcc
	s_xor_b64 s[4:5], exec, s[4:5]
	s_cbranch_execz .LBB182_964
; %bb.944:
	s_movk_i32 s2, 0x80
	v_cmp_eq_u16_e32 vcc, s2, v5
	s_mov_b64 s[2:3], -1
	s_and_saveexec_b64 s[44:45], vcc
; %bb.945:
	s_xor_b64 s[2:3], exec, -1
; %bb.946:
	s_or_b64 exec, exec, s[44:45]
	s_and_b64 s[2:3], s[2:3], exec
	s_or_saveexec_b64 s[4:5], s[4:5]
	v_mov_b32_e32 v4, 0x7e00
	s_xor_b64 exec, exec, s[4:5]
	s_cbranch_execnz .LBB182_965
.LBB182_947:
	s_or_b64 exec, exec, s[4:5]
	s_and_saveexec_b64 s[4:5], s[2:3]
	s_cbranch_execz .LBB182_949
.LBB182_948:
	v_lshlrev_b32_e32 v4, 24, v5
	v_and_b32_e32 v5, 0xffff, v5
	v_and_b32_e32 v6, 7, v5
	v_ffbh_u32_e32 v8, v6
	v_min_u32_e32 v8, 32, v8
	v_subrev_u32_e32 v9, 28, v8
	v_bfe_u32 v7, v5, 3, 4
	v_lshlrev_b32_e32 v5, v9, v5
	v_sub_u32_e32 v8, 29, v8
	v_and_b32_e32 v5, 7, v5
	v_cmp_eq_u32_e32 vcc, 0, v7
	v_cndmask_b32_e32 v7, v7, v8, vcc
	v_cndmask_b32_e32 v5, v6, v5, vcc
	v_mov_b32_e32 v6, 0x3b800000
	v_lshlrev_b32_e32 v5, 20, v5
	v_and_b32_e32 v4, 0x80000000, v4
	v_lshl_add_u32 v6, v7, 23, v6
	v_or3_b32 v4, v4, v6, v5
	v_cvt_f16_f32_e32 v4, v4
.LBB182_949:
	s_or_b64 exec, exec, s[4:5]
.LBB182_950:
	s_mov_b64 s[2:3], -1
.LBB182_951:
	s_mov_b64 s[4:5], 0
.LBB182_952:
	s_and_b64 vcc, exec, s[4:5]
	s_cbranch_vccz .LBB182_987
; %bb.953:
	s_cmp_gt_i32 s47, 22
	s_cbranch_scc0 .LBB182_963
; %bb.954:
	s_cmp_lt_i32 s47, 24
	s_cbranch_scc1 .LBB182_966
; %bb.955:
	s_cmp_gt_i32 s47, 24
	s_cbranch_scc0 .LBB182_967
; %bb.956:
	global_load_ubyte v5, v[0:1], off
	s_movk_i32 s2, 0x7f
	s_waitcnt vmcnt(0)
	v_cmp_lt_i16_e32 vcc, s2, v5
	s_mov_b64 s[2:3], 0
	s_and_saveexec_b64 s[4:5], vcc
	s_xor_b64 s[4:5], exec, s[4:5]
	s_cbranch_execz .LBB182_979
; %bb.957:
	s_movk_i32 s2, 0x80
	v_cmp_eq_u16_e32 vcc, s2, v5
	s_mov_b64 s[2:3], -1
	s_and_saveexec_b64 s[44:45], vcc
; %bb.958:
	s_xor_b64 s[2:3], exec, -1
; %bb.959:
	s_or_b64 exec, exec, s[44:45]
	s_and_b64 s[2:3], s[2:3], exec
	s_or_saveexec_b64 s[4:5], s[4:5]
	v_mov_b32_e32 v4, 0x7e00
	s_xor_b64 exec, exec, s[4:5]
	s_cbranch_execnz .LBB182_980
.LBB182_960:
	s_or_b64 exec, exec, s[4:5]
	s_and_saveexec_b64 s[4:5], s[2:3]
	s_cbranch_execz .LBB182_962
.LBB182_961:
	v_lshlrev_b32_e32 v4, 24, v5
	v_and_b32_e32 v5, 0xffff, v5
	v_and_b32_e32 v6, 3, v5
	v_ffbh_u32_e32 v8, v6
	v_min_u32_e32 v8, 32, v8
	v_subrev_u32_e32 v9, 29, v8
	v_bfe_u32 v7, v5, 2, 5
	v_lshlrev_b32_e32 v5, v9, v5
	v_sub_u32_e32 v8, 30, v8
	v_and_b32_e32 v5, 3, v5
	v_cmp_eq_u32_e32 vcc, 0, v7
	v_cndmask_b32_e32 v7, v7, v8, vcc
	v_cndmask_b32_e32 v5, v6, v5, vcc
	v_mov_b32_e32 v6, 0x37800000
	v_lshlrev_b32_e32 v5, 21, v5
	v_and_b32_e32 v4, 0x80000000, v4
	v_lshl_add_u32 v6, v7, 23, v6
	v_or3_b32 v4, v4, v6, v5
	v_cvt_f16_f32_e32 v4, v4
.LBB182_962:
	s_or_b64 exec, exec, s[4:5]
	s_mov_b64 s[2:3], 0
	s_branch .LBB182_968
.LBB182_963:
	s_mov_b64 s[4:5], -1
                                        ; implicit-def: $vgpr4
	s_branch .LBB182_974
.LBB182_964:
	s_or_saveexec_b64 s[4:5], s[4:5]
	v_mov_b32_e32 v4, 0x7e00
	s_xor_b64 exec, exec, s[4:5]
	s_cbranch_execz .LBB182_947
.LBB182_965:
	v_cmp_ne_u16_e32 vcc, 0, v5
	s_andn2_b64 s[2:3], s[2:3], exec
	s_and_b64 s[44:45], vcc, exec
	s_or_b64 s[2:3], s[2:3], s[44:45]
	v_mov_b32_e32 v4, v5
	s_or_b64 exec, exec, s[4:5]
	s_and_saveexec_b64 s[4:5], s[2:3]
	s_cbranch_execnz .LBB182_948
	s_branch .LBB182_949
.LBB182_966:
	s_mov_b64 s[2:3], -1
                                        ; implicit-def: $vgpr4
	s_branch .LBB182_971
.LBB182_967:
	s_mov_b64 s[2:3], -1
                                        ; implicit-def: $vgpr4
.LBB182_968:
	s_and_b64 vcc, exec, s[2:3]
	s_cbranch_vccz .LBB182_970
; %bb.969:
	global_load_ubyte v4, v[0:1], off
	s_mov_b32 s2, 0x7f800000
	s_waitcnt vmcnt(0)
	v_lshlrev_b32_e32 v4, 24, v4
	v_and_b32_e32 v5, 0x7f000000, v4
	v_ffbh_u32_e32 v6, v5
	v_min_u32_e32 v6, 32, v6
	v_sub_u32_e64 v6, v6, 4 clamp
	v_lshlrev_b32_e32 v8, v6, v5
	v_lshlrev_b32_e32 v6, 23, v6
	v_lshrrev_b32_e32 v8, 4, v8
	v_add_u32_e32 v7, 0x1000000, v5
	v_sub_u32_e32 v6, v8, v6
	v_ashrrev_i32_e32 v7, 8, v7
	v_add_u32_e32 v6, 0x3c000000, v6
	v_and_or_b32 v6, v7, s2, v6
	v_cmp_ne_u32_e32 vcc, 0, v5
	v_cndmask_b32_e32 v5, 0, v6, vcc
	s_brev_b32 s2, 1
	v_and_or_b32 v4, v4, s2, v5
	v_cvt_f16_f32_e32 v4, v4
.LBB182_970:
	s_mov_b64 s[2:3], 0
.LBB182_971:
	s_andn2_b64 vcc, exec, s[2:3]
	s_cbranch_vccnz .LBB182_973
; %bb.972:
	global_load_ubyte v4, v[0:1], off
	s_movk_i32 s2, 0x7f00
	s_brev_b32 s3, 16
	s_waitcnt vmcnt(0)
	v_lshlrev_b16_e32 v5, 8, v4
	v_lshlrev_b32_e32 v4, 25, v4
	v_lshrrev_b32_e32 v6, 4, v4
	v_and_or_b32 v7, v5, s2, 0.5
	v_or_b32_e32 v6, 0x70000000, v6
	v_add_f32_e32 v7, -0.5, v7
	v_mul_f32_e32 v6, 0x7800000, v6
	v_cmp_gt_u32_e32 vcc, s3, v4
	v_bfe_i32 v5, v5, 0, 16
	v_cndmask_b32_e32 v4, v6, v7, vcc
	s_brev_b32 s2, 1
	v_and_or_b32 v4, v5, s2, v4
	v_cvt_f16_f32_e32 v4, v4
.LBB182_973:
	s_mov_b64 s[4:5], 0
	s_mov_b64 s[2:3], -1
.LBB182_974:
	s_andn2_b64 vcc, exec, s[4:5]
	s_cbranch_vccnz .LBB182_987
; %bb.975:
	s_cmp_gt_i32 s47, 14
	s_cbranch_scc0 .LBB182_978
; %bb.976:
	s_cmp_eq_u32 s47, 15
	s_cbranch_scc0 .LBB182_981
; %bb.977:
	global_load_ushort v4, v[0:1], off
	s_mov_b64 s[2:3], -1
	s_mov_b64 s[42:43], 0
	s_waitcnt vmcnt(0)
	v_lshlrev_b32_e32 v4, 16, v4
	v_cvt_f16_f32_e32 v4, v4
	s_branch .LBB182_982
.LBB182_978:
	s_mov_b64 s[4:5], -1
                                        ; implicit-def: $vgpr4
	s_branch .LBB182_983
.LBB182_979:
	s_or_saveexec_b64 s[4:5], s[4:5]
	v_mov_b32_e32 v4, 0x7e00
	s_xor_b64 exec, exec, s[4:5]
	s_cbranch_execz .LBB182_960
.LBB182_980:
	v_cmp_ne_u16_e32 vcc, 0, v5
	s_andn2_b64 s[2:3], s[2:3], exec
	s_and_b64 s[44:45], vcc, exec
	s_or_b64 s[2:3], s[2:3], s[44:45]
	v_mov_b32_e32 v4, v5
	s_or_b64 exec, exec, s[4:5]
	s_and_saveexec_b64 s[4:5], s[2:3]
	s_cbranch_execnz .LBB182_961
	s_branch .LBB182_962
.LBB182_981:
	s_mov_b64 s[42:43], -1
                                        ; implicit-def: $vgpr4
.LBB182_982:
	s_mov_b64 s[4:5], 0
.LBB182_983:
	s_and_b64 vcc, exec, s[4:5]
	s_cbranch_vccz .LBB182_987
; %bb.984:
	s_cmp_eq_u32 s47, 11
	s_cbranch_scc0 .LBB182_986
; %bb.985:
	global_load_ubyte v4, v[0:1], off
	v_mov_b32_e32 v5, 0x3c00
	s_mov_b64 s[2:3], -1
	s_mov_b64 s[42:43], 0
	s_waitcnt vmcnt(0)
	v_cmp_ne_u16_e32 vcc, 0, v4
	v_cndmask_b32_e32 v4, 0, v5, vcc
	s_branch .LBB182_987
.LBB182_986:
	s_mov_b64 s[42:43], -1
                                        ; implicit-def: $vgpr4
.LBB182_987:
	s_mov_b64 s[4:5], 0
.LBB182_988:
	s_and_b64 vcc, exec, s[4:5]
	s_cbranch_vccz .LBB182_1037
; %bb.989:
	s_and_b32 s4, 0xffff, s46
	s_cmp_lt_i32 s4, 5
	s_cbranch_scc1 .LBB182_994
; %bb.990:
	s_cmp_lt_i32 s4, 8
	s_cbranch_scc1 .LBB182_995
; %bb.991:
	;; [unrolled: 3-line block ×3, first 2 shown]
	s_cmp_gt_i32 s4, 9
	s_cbranch_scc0 .LBB182_997
; %bb.993:
	global_load_dwordx2 v[4:5], v[0:1], off
	s_movk_i32 s2, 0x1ff
	s_movk_i32 s3, 0xffe
	v_mov_b32_e32 v6, 0x7c00
	v_mov_b32_e32 v7, 0x7e00
	s_movk_i32 s5, 0x40f
	s_mov_b32 s44, 0x8000
	s_waitcnt vmcnt(0)
	v_and_or_b32 v4, v5, s2, v4
	v_cmp_ne_u32_e32 vcc, 0, v4
	v_lshrrev_b32_e32 v8, 8, v5
	v_bfe_u32 v9, v5, 20, 11
	v_cndmask_b32_e64 v4, 0, 1, vcc
	v_sub_u32_e32 v10, 0x3f1, v9
	v_and_or_b32 v4, v8, s3, v4
	v_add_u32_e32 v9, 0xfffffc10, v9
	v_med3_i32 v8, v10, 0, 13
	v_or_b32_e32 v10, 0x1000, v4
	v_cmp_ne_u32_e32 vcc, 0, v4
	v_lshl_or_b32 v11, v9, 12, v4
	v_cndmask_b32_e32 v4, v6, v7, vcc
	v_lshrrev_b32_e32 v7, v8, v10
	v_lshlrev_b32_e32 v8, v8, v7
	v_cmp_ne_u32_e32 vcc, v8, v10
	v_cndmask_b32_e64 v8, 0, 1, vcc
	v_or_b32_e32 v7, v7, v8
	v_cmp_gt_i32_e32 vcc, 1, v9
	v_cndmask_b32_e32 v7, v11, v7, vcc
	v_and_b32_e32 v8, 7, v7
	v_cmp_lt_i32_e32 vcc, 5, v8
	v_cndmask_b32_e64 v10, 0, 1, vcc
	v_cmp_eq_u32_e32 vcc, 3, v8
	v_cndmask_b32_e64 v8, 0, 1, vcc
	v_lshrrev_b32_e32 v7, 2, v7
	v_or_b32_e32 v8, v8, v10
	v_add_u32_e32 v7, v7, v8
	v_cmp_gt_i32_e32 vcc, 31, v9
	v_cndmask_b32_e32 v6, v6, v7, vcc
	v_cmp_eq_u32_e32 vcc, s5, v9
	v_lshrrev_b32_e32 v5, 16, v5
	v_cndmask_b32_e32 v4, v6, v4, vcc
	v_and_or_b32 v4, v5, s44, v4
	s_mov_b64 s[2:3], 0
	s_branch .LBB182_998
.LBB182_994:
	s_mov_b64 s[2:3], -1
                                        ; implicit-def: $vgpr4
	s_branch .LBB182_1016
.LBB182_995:
	s_mov_b64 s[2:3], -1
                                        ; implicit-def: $vgpr4
	s_branch .LBB182_1004
.LBB182_996:
	s_mov_b64 s[2:3], -1
                                        ; implicit-def: $vgpr4
	s_branch .LBB182_1001
.LBB182_997:
	s_mov_b64 s[2:3], -1
                                        ; implicit-def: $vgpr4
.LBB182_998:
	s_andn2_b64 vcc, exec, s[2:3]
	s_cbranch_vccnz .LBB182_1000
; %bb.999:
	global_load_dword v4, v[0:1], off
	s_waitcnt vmcnt(0)
	v_cvt_f16_f32_e32 v4, v4
.LBB182_1000:
	s_mov_b64 s[2:3], 0
.LBB182_1001:
	s_andn2_b64 vcc, exec, s[2:3]
	s_cbranch_vccnz .LBB182_1003
; %bb.1002:
	global_load_dword v4, v[0:1], off
.LBB182_1003:
	s_mov_b64 s[2:3], 0
.LBB182_1004:
	s_andn2_b64 vcc, exec, s[2:3]
	s_cbranch_vccnz .LBB182_1015
; %bb.1005:
	s_cmp_lt_i32 s4, 6
	s_cbranch_scc1 .LBB182_1008
; %bb.1006:
	s_cmp_gt_i32 s4, 6
	s_cbranch_scc0 .LBB182_1009
; %bb.1007:
	global_load_dwordx2 v[4:5], v[0:1], off
	s_movk_i32 s2, 0x1ff
	s_movk_i32 s3, 0xffe
	v_mov_b32_e32 v6, 0x7c00
	v_mov_b32_e32 v7, 0x7e00
	s_movk_i32 s5, 0x40f
	s_mov_b32 s44, 0x8000
	s_waitcnt vmcnt(0)
	v_and_or_b32 v4, v5, s2, v4
	v_cmp_ne_u32_e32 vcc, 0, v4
	v_lshrrev_b32_e32 v8, 8, v5
	v_bfe_u32 v9, v5, 20, 11
	v_cndmask_b32_e64 v4, 0, 1, vcc
	v_sub_u32_e32 v10, 0x3f1, v9
	v_and_or_b32 v4, v8, s3, v4
	v_add_u32_e32 v9, 0xfffffc10, v9
	v_med3_i32 v8, v10, 0, 13
	v_or_b32_e32 v10, 0x1000, v4
	v_cmp_ne_u32_e32 vcc, 0, v4
	v_lshl_or_b32 v11, v9, 12, v4
	v_cndmask_b32_e32 v4, v6, v7, vcc
	v_lshrrev_b32_e32 v7, v8, v10
	v_lshlrev_b32_e32 v8, v8, v7
	v_cmp_ne_u32_e32 vcc, v8, v10
	v_cndmask_b32_e64 v8, 0, 1, vcc
	v_or_b32_e32 v7, v7, v8
	v_cmp_gt_i32_e32 vcc, 1, v9
	v_cndmask_b32_e32 v7, v11, v7, vcc
	v_and_b32_e32 v8, 7, v7
	v_cmp_lt_i32_e32 vcc, 5, v8
	v_cndmask_b32_e64 v10, 0, 1, vcc
	v_cmp_eq_u32_e32 vcc, 3, v8
	v_cndmask_b32_e64 v8, 0, 1, vcc
	v_lshrrev_b32_e32 v7, 2, v7
	v_or_b32_e32 v8, v8, v10
	v_add_u32_e32 v7, v7, v8
	v_cmp_gt_i32_e32 vcc, 31, v9
	v_cndmask_b32_e32 v6, v6, v7, vcc
	v_cmp_eq_u32_e32 vcc, s5, v9
	v_lshrrev_b32_e32 v5, 16, v5
	v_cndmask_b32_e32 v4, v6, v4, vcc
	v_and_or_b32 v4, v5, s44, v4
	s_mov_b64 s[2:3], 0
	s_branch .LBB182_1010
.LBB182_1008:
	s_mov_b64 s[2:3], -1
                                        ; implicit-def: $vgpr4
	s_branch .LBB182_1013
.LBB182_1009:
	s_mov_b64 s[2:3], -1
                                        ; implicit-def: $vgpr4
.LBB182_1010:
	s_andn2_b64 vcc, exec, s[2:3]
	s_cbranch_vccnz .LBB182_1012
; %bb.1011:
	global_load_dword v4, v[0:1], off
	s_waitcnt vmcnt(0)
	v_cvt_f16_f32_e32 v4, v4
.LBB182_1012:
	s_mov_b64 s[2:3], 0
.LBB182_1013:
	s_andn2_b64 vcc, exec, s[2:3]
	s_cbranch_vccnz .LBB182_1015
; %bb.1014:
	global_load_ushort v4, v[0:1], off
.LBB182_1015:
	s_mov_b64 s[2:3], 0
.LBB182_1016:
	s_andn2_b64 vcc, exec, s[2:3]
	s_cbranch_vccnz .LBB182_1036
; %bb.1017:
	s_cmp_lt_i32 s4, 2
	s_cbranch_scc1 .LBB182_1021
; %bb.1018:
	s_cmp_lt_i32 s4, 3
	s_cbranch_scc1 .LBB182_1022
; %bb.1019:
	s_cmp_gt_i32 s4, 3
	s_cbranch_scc0 .LBB182_1023
; %bb.1020:
	global_load_dwordx2 v[4:5], v[0:1], off
	s_mov_b64 s[2:3], 0
	s_waitcnt vmcnt(0)
	v_xor_b32_e32 v7, v4, v5
	v_ffbh_i32_e32 v6, v5
	v_ashrrev_i32_e32 v7, 31, v7
	v_add_u32_e32 v6, -1, v6
	v_add_u32_e32 v7, 32, v7
	v_min_u32_e32 v6, v6, v7
	v_lshlrev_b64 v[4:5], v6, v[4:5]
	v_min_u32_e32 v4, 1, v4
	v_or_b32_e32 v4, v5, v4
	v_cvt_f32_i32_e32 v4, v4
	v_sub_u32_e32 v5, 32, v6
	v_ldexp_f32 v4, v4, v5
	v_cvt_f16_f32_e32 v4, v4
	s_branch .LBB182_1024
.LBB182_1021:
	s_mov_b64 s[2:3], -1
                                        ; implicit-def: $vgpr4
	s_branch .LBB182_1030
.LBB182_1022:
	s_mov_b64 s[2:3], -1
                                        ; implicit-def: $vgpr4
	s_branch .LBB182_1027
.LBB182_1023:
	s_mov_b64 s[2:3], -1
                                        ; implicit-def: $vgpr4
.LBB182_1024:
	s_andn2_b64 vcc, exec, s[2:3]
	s_cbranch_vccnz .LBB182_1026
; %bb.1025:
	global_load_dword v4, v[0:1], off
	s_waitcnt vmcnt(0)
	v_cvt_f32_i32_e32 v4, v4
	v_cvt_f16_f32_e32 v4, v4
.LBB182_1026:
	s_mov_b64 s[2:3], 0
.LBB182_1027:
	s_andn2_b64 vcc, exec, s[2:3]
	s_cbranch_vccnz .LBB182_1029
; %bb.1028:
	global_load_ushort v4, v[0:1], off
	s_waitcnt vmcnt(0)
	v_cvt_f16_i16_e32 v4, v4
.LBB182_1029:
	s_mov_b64 s[2:3], 0
.LBB182_1030:
	s_andn2_b64 vcc, exec, s[2:3]
	s_cbranch_vccnz .LBB182_1036
; %bb.1031:
	s_cmp_gt_i32 s4, 0
	s_cbranch_scc0 .LBB182_1033
; %bb.1032:
	global_load_sbyte v4, v[0:1], off
	s_mov_b64 s[2:3], 0
	s_waitcnt vmcnt(0)
	v_cvt_f16_i16_e32 v4, v4
	s_branch .LBB182_1034
.LBB182_1033:
	s_mov_b64 s[2:3], -1
                                        ; implicit-def: $vgpr4
.LBB182_1034:
	s_andn2_b64 vcc, exec, s[2:3]
	s_cbranch_vccnz .LBB182_1036
; %bb.1035:
	global_load_ubyte v0, v[0:1], off
	s_waitcnt vmcnt(0)
	v_cvt_f16_u16_e32 v4, v0
.LBB182_1036:
	s_mov_b64 s[2:3], -1
.LBB182_1037:
	s_andn2_b64 vcc, exec, s[2:3]
	s_cbranch_vccnz .LBB182_1045
; %bb.1038:
	s_waitcnt vmcnt(0)
	v_cmp_eq_f16_e32 vcc, v3, v4
	v_cndmask_b32_e64 v0, 0, 1, vcc
	v_cmp_neq_f16_e32 vcc, v3, v4
	v_mul_lo_u32 v3, v2, s12
	v_cndmask_b32_e64 v1, 0, 1, vcc
	v_cndmask_b32_e64 v0, v1, v0, s[0:1]
	v_and_b32_e32 v0, 1, v0
	v_cmp_eq_u32_e64 s[2:3], 1, v0
	v_ashrrev_i32_e32 v1, 31, v3
	v_mov_b32_e32 v4, s9
	s_and_b32 s51, s33, 0xff
	v_add_co_u32_e32 v0, vcc, s8, v3
	s_cmp_lt_i32 s51, 11
	v_addc_co_u32_e32 v1, vcc, v4, v1, vcc
	s_cbranch_scc1 .LBB182_1046
; %bb.1039:
	s_and_b32 s52, 0xffff, s51
	s_cmp_gt_i32 s52, 25
	s_cbranch_scc0 .LBB182_1047
; %bb.1040:
	s_cmp_gt_i32 s52, 28
	s_cbranch_scc0 .LBB182_1048
; %bb.1041:
	s_cmp_gt_i32 s52, 43
	s_cbranch_scc0 .LBB182_1049
; %bb.1042:
	s_cmp_gt_i32 s52, 45
	s_cbranch_scc0 .LBB182_1050
; %bb.1043:
	s_mov_b64 s[46:47], 0
	s_mov_b64 s[4:5], -1
	s_cmp_eq_u32 s52, 46
	s_mov_b64 s[44:45], 0
	s_cbranch_scc0 .LBB182_1051
; %bb.1044:
	v_cndmask_b32_e64 v3, 0, 1.0, s[2:3]
	v_bfe_u32 v4, v3, 16, 1
	s_movk_i32 s4, 0x7fff
	v_add3_u32 v3, v3, v4, s4
	v_lshrrev_b32_e32 v3, 16, v3
	global_store_dword v[0:1], v3, off
	s_mov_b64 s[44:45], -1
	s_mov_b64 s[4:5], 0
	s_branch .LBB182_1051
.LBB182_1045:
	s_mov_b64 s[46:47], 0
                                        ; implicit-def: $vgpr2
	s_mov_b64 s[4:5], s[34:35]
	s_branch .LBB182_1161
.LBB182_1046:
	s_mov_b64 s[46:47], -1
	s_mov_b64 s[44:45], 0
	s_mov_b64 s[4:5], s[34:35]
	s_branch .LBB182_1120
.LBB182_1047:
	s_mov_b64 s[46:47], -1
	s_mov_b64 s[44:45], 0
	s_mov_b64 s[4:5], s[34:35]
	s_branch .LBB182_1078
.LBB182_1048:
	s_mov_b64 s[46:47], -1
	s_mov_b64 s[44:45], 0
	s_mov_b64 s[4:5], s[34:35]
	s_branch .LBB182_1061
.LBB182_1049:
	s_mov_b64 s[46:47], -1
	s_mov_b64 s[44:45], 0
	s_mov_b64 s[4:5], s[34:35]
	s_branch .LBB182_1057
.LBB182_1050:
	s_mov_b64 s[46:47], -1
	s_mov_b64 s[44:45], 0
	s_mov_b64 s[4:5], s[34:35]
.LBB182_1051:
	s_and_b64 vcc, exec, s[46:47]
	s_cbranch_vccz .LBB182_1056
; %bb.1052:
	s_cmp_eq_u32 s52, 44
	s_mov_b64 s[4:5], -1
	s_cbranch_scc0 .LBB182_1056
; %bb.1053:
	v_cndmask_b32_e64 v4, 0, 1.0, s[2:3]
	v_lshrrev_b32_e32 v3, 23, v4
	s_movk_i32 s4, 0xff
	v_cmp_ne_u32_e32 vcc, s4, v3
	v_mov_b32_e32 v5, 0xff
	s_and_saveexec_b64 s[44:45], vcc
; %bb.1054:
	s_mov_b32 s4, 0x3fffff
	v_and_b32_e32 v5, 0x400000, v4
	v_and_or_b32 v4, v4, s4, v3
	v_cmp_ne_u32_e32 vcc, 0, v5
	v_cmp_ne_u32_e64 s[4:5], 0, v4
	s_and_b64 s[4:5], vcc, s[4:5]
	v_cndmask_b32_e64 v4, 0, 1, s[4:5]
	v_add_u32_e32 v5, v3, v4
; %bb.1055:
	s_or_b64 exec, exec, s[44:45]
	s_mov_b64 s[44:45], -1
	s_mov_b64 s[4:5], 0
	global_store_byte v[0:1], v5, off
.LBB182_1056:
	s_mov_b64 s[46:47], 0
.LBB182_1057:
	s_and_b64 vcc, exec, s[46:47]
	s_cbranch_vccz .LBB182_1060
; %bb.1058:
	s_cmp_eq_u32 s52, 29
	s_mov_b64 s[4:5], -1
	s_cbranch_scc0 .LBB182_1060
; %bb.1059:
	s_mov_b32 s4, 0
	v_cndmask_b32_e64 v3, 0, 1, s[2:3]
	v_mov_b32_e32 v4, s4
	global_store_dwordx2 v[0:1], v[3:4], off
	s_mov_b64 s[44:45], -1
	s_mov_b64 s[4:5], 0
.LBB182_1060:
	s_mov_b64 s[46:47], 0
.LBB182_1061:
	s_and_b64 vcc, exec, s[46:47]
	s_cbranch_vccz .LBB182_1077
; %bb.1062:
	s_cmp_lt_i32 s52, 27
	s_mov_b64 s[44:45], -1
	s_cbranch_scc1 .LBB182_1068
; %bb.1063:
	s_cmp_gt_i32 s52, 27
	s_cbranch_scc0 .LBB182_1065
; %bb.1064:
	v_cndmask_b32_e64 v3, 0, 1, s[2:3]
	s_mov_b64 s[44:45], 0
	global_store_dword v[0:1], v3, off
.LBB182_1065:
	s_andn2_b64 vcc, exec, s[44:45]
	s_cbranch_vccnz .LBB182_1067
; %bb.1066:
	v_cndmask_b32_e64 v3, 0, 1, s[2:3]
	global_store_short v[0:1], v3, off
.LBB182_1067:
	s_mov_b64 s[44:45], 0
.LBB182_1068:
	s_andn2_b64 vcc, exec, s[44:45]
	s_cbranch_vccnz .LBB182_1076
; %bb.1069:
	v_cndmask_b32_e64 v4, 0, 1.0, s[2:3]
	s_mov_b32 s44, 0x43800000
	v_cmp_gt_u32_e32 vcc, s44, v4
	v_mov_b32_e32 v5, 0x80
	s_and_saveexec_b64 s[44:45], vcc
	s_cbranch_execz .LBB182_1075
; %bb.1070:
	s_mov_b32 s46, 0x3bffffff
	v_cmp_lt_u32_e32 vcc, s46, v4
	s_mov_b64 s[46:47], 0
                                        ; implicit-def: $vgpr3
	s_and_saveexec_b64 s[48:49], vcc
	s_xor_b64 s[48:49], exec, s[48:49]
	s_cbranch_execz .LBB182_1177
; %bb.1071:
	v_bfe_u32 v3, v4, 20, 1
	s_mov_b32 s53, 0x487ffff
	v_add3_u32 v3, v4, v3, s53
	s_mov_b64 s[46:47], exec
	v_lshrrev_b32_e32 v3, 20, v3
                                        ; implicit-def: $vgpr4
	s_andn2_saveexec_b64 s[48:49], s[48:49]
	s_cbranch_execnz .LBB182_1178
.LBB182_1072:
	s_or_b64 exec, exec, s[48:49]
	v_mov_b32_e32 v5, 0
	s_and_saveexec_b64 s[48:49], s[46:47]
.LBB182_1073:
	v_mov_b32_e32 v5, v3
.LBB182_1074:
	s_or_b64 exec, exec, s[48:49]
.LBB182_1075:
	s_or_b64 exec, exec, s[44:45]
	global_store_byte v[0:1], v5, off
.LBB182_1076:
	s_mov_b64 s[44:45], -1
.LBB182_1077:
	s_mov_b64 s[46:47], 0
.LBB182_1078:
	s_and_b64 vcc, exec, s[46:47]
	s_cbranch_vccz .LBB182_1119
; %bb.1079:
	s_cmp_gt_i32 s52, 22
	s_mov_b64 s[46:47], -1
	s_cbranch_scc0 .LBB182_1111
; %bb.1080:
	s_cmp_lt_i32 s52, 24
	s_mov_b64 s[44:45], -1
	s_cbranch_scc1 .LBB182_1100
; %bb.1081:
	s_cmp_gt_i32 s52, 24
	s_cbranch_scc0 .LBB182_1089
; %bb.1082:
	v_cndmask_b32_e64 v4, 0, 1.0, s[2:3]
	s_mov_b32 s44, 0x47800000
	v_cmp_gt_u32_e32 vcc, s44, v4
	v_mov_b32_e32 v5, 0x80
	s_and_saveexec_b64 s[44:45], vcc
	s_cbranch_execz .LBB182_1088
; %bb.1083:
	s_mov_b32 s46, 0x37ffffff
	v_cmp_lt_u32_e32 vcc, s46, v4
	s_mov_b64 s[46:47], 0
                                        ; implicit-def: $vgpr3
	s_and_saveexec_b64 s[48:49], vcc
	s_xor_b64 s[48:49], exec, s[48:49]
	s_cbranch_execz .LBB182_2200
; %bb.1084:
	v_bfe_u32 v3, v4, 21, 1
	s_mov_b32 s53, 0x88fffff
	v_add3_u32 v3, v4, v3, s53
	s_mov_b64 s[46:47], exec
	v_lshrrev_b32_e32 v3, 21, v3
                                        ; implicit-def: $vgpr4
	s_andn2_saveexec_b64 s[48:49], s[48:49]
	s_cbranch_execnz .LBB182_2201
.LBB182_1085:
	s_or_b64 exec, exec, s[48:49]
	v_mov_b32_e32 v5, 0
	s_and_saveexec_b64 s[48:49], s[46:47]
.LBB182_1086:
	v_mov_b32_e32 v5, v3
.LBB182_1087:
	s_or_b64 exec, exec, s[48:49]
.LBB182_1088:
	s_or_b64 exec, exec, s[44:45]
	s_mov_b64 s[44:45], 0
	global_store_byte v[0:1], v5, off
.LBB182_1089:
	s_and_b64 vcc, exec, s[44:45]
	s_cbranch_vccz .LBB182_1099
; %bb.1090:
	v_cndmask_b32_e64 v3, 0, 1.0, s[2:3]
	s_mov_b32 s44, 0x43f00000
	v_cmp_gt_u32_e32 vcc, s44, v3
                                        ; implicit-def: $vgpr4
	s_and_saveexec_b64 s[44:45], vcc
	s_xor_b64 s[44:45], exec, s[44:45]
	s_cbranch_execz .LBB182_1096
; %bb.1091:
	s_mov_b32 s46, 0x3c7fffff
	v_cmp_lt_u32_e32 vcc, s46, v3
                                        ; implicit-def: $vgpr4
	s_and_saveexec_b64 s[46:47], vcc
	s_xor_b64 s[46:47], exec, s[46:47]
; %bb.1092:
	v_bfe_u32 v4, v3, 20, 1
	s_mov_b32 s48, 0x407ffff
	v_add3_u32 v3, v3, v4, s48
	v_lshrrev_b32_e32 v4, 20, v3
	v_and_b32_e32 v3, 0xff00000, v3
	s_mov_b32 s48, 0x7f00000
	v_mov_b32_e32 v5, 0x7e
	v_cmp_ne_u32_e32 vcc, s48, v3
	v_cndmask_b32_e32 v4, v5, v4, vcc
                                        ; implicit-def: $vgpr3
; %bb.1093:
	s_andn2_saveexec_b64 s[46:47], s[46:47]
; %bb.1094:
	v_add_f32_e32 v4, 0x46800000, v3
; %bb.1095:
	s_or_b64 exec, exec, s[46:47]
                                        ; implicit-def: $vgpr3
.LBB182_1096:
	s_andn2_saveexec_b64 s[44:45], s[44:45]
; %bb.1097:
	s_mov_b32 s46, 0x7f800000
	v_mov_b32_e32 v4, 0x7e
	v_mov_b32_e32 v5, 0x7f
	v_cmp_lt_u32_e32 vcc, s46, v3
	v_cndmask_b32_e32 v4, v4, v5, vcc
; %bb.1098:
	s_or_b64 exec, exec, s[44:45]
	global_store_byte v[0:1], v4, off
.LBB182_1099:
	s_mov_b64 s[44:45], 0
.LBB182_1100:
	s_andn2_b64 vcc, exec, s[44:45]
	s_cbranch_vccnz .LBB182_1110
; %bb.1101:
	v_cndmask_b32_e64 v3, 0, 1.0, s[2:3]
	s_mov_b32 s44, 0x47800000
	v_cmp_gt_u32_e32 vcc, s44, v3
                                        ; implicit-def: $vgpr4
	s_and_saveexec_b64 s[44:45], vcc
	s_xor_b64 s[44:45], exec, s[44:45]
	s_cbranch_execz .LBB182_1107
; %bb.1102:
	s_mov_b32 s46, 0x387fffff
	v_cmp_lt_u32_e32 vcc, s46, v3
                                        ; implicit-def: $vgpr4
	s_and_saveexec_b64 s[46:47], vcc
	s_xor_b64 s[46:47], exec, s[46:47]
; %bb.1103:
	v_bfe_u32 v4, v3, 21, 1
	s_mov_b32 s48, 0x80fffff
	v_add3_u32 v3, v3, v4, s48
	v_lshrrev_b32_e32 v4, 21, v3
                                        ; implicit-def: $vgpr3
; %bb.1104:
	s_andn2_saveexec_b64 s[46:47], s[46:47]
; %bb.1105:
	v_add_f32_e32 v4, 0x43000000, v3
; %bb.1106:
	s_or_b64 exec, exec, s[46:47]
                                        ; implicit-def: $vgpr3
.LBB182_1107:
	s_andn2_saveexec_b64 s[44:45], s[44:45]
; %bb.1108:
	s_mov_b32 s46, 0x7f800000
	v_mov_b32_e32 v4, 0x7c
	v_mov_b32_e32 v5, 0x7f
	v_cmp_lt_u32_e32 vcc, s46, v3
	v_cndmask_b32_e32 v4, v4, v5, vcc
; %bb.1109:
	s_or_b64 exec, exec, s[44:45]
	global_store_byte v[0:1], v4, off
.LBB182_1110:
	s_mov_b64 s[46:47], 0
	s_mov_b64 s[44:45], -1
.LBB182_1111:
	s_andn2_b64 vcc, exec, s[46:47]
	s_cbranch_vccnz .LBB182_1119
; %bb.1112:
	s_cmp_gt_i32 s52, 14
	s_mov_b64 s[46:47], -1
	s_cbranch_scc0 .LBB182_1116
; %bb.1113:
	s_cmp_eq_u32 s52, 15
	s_mov_b64 s[4:5], -1
	s_cbranch_scc0 .LBB182_1115
; %bb.1114:
	v_cndmask_b32_e64 v3, 0, 1.0, s[2:3]
	v_bfe_u32 v4, v3, 16, 1
	s_movk_i32 s4, 0x7fff
	v_add3_u32 v3, v3, v4, s4
	global_store_short_d16_hi v[0:1], v3, off
	s_mov_b64 s[44:45], -1
	s_mov_b64 s[4:5], 0
.LBB182_1115:
	s_mov_b64 s[46:47], 0
.LBB182_1116:
	s_and_b64 vcc, exec, s[46:47]
	s_cbranch_vccz .LBB182_1119
; %bb.1117:
	s_cmp_eq_u32 s52, 11
	s_mov_b64 s[4:5], -1
	s_cbranch_scc0 .LBB182_1119
; %bb.1118:
	v_cndmask_b32_e64 v3, 0, 1, s[2:3]
	s_mov_b64 s[44:45], -1
	s_mov_b64 s[4:5], 0
	global_store_byte v[0:1], v3, off
.LBB182_1119:
	s_mov_b64 s[46:47], 0
.LBB182_1120:
	s_and_b64 vcc, exec, s[46:47]
	s_cbranch_vccz .LBB182_1159
; %bb.1121:
	s_and_b32 s46, 0xffff, s51
	s_cmp_lt_i32 s46, 5
	s_mov_b64 s[44:45], -1
	s_cbranch_scc1 .LBB182_1142
; %bb.1122:
	s_cmp_lt_i32 s46, 8
	s_cbranch_scc1 .LBB182_1132
; %bb.1123:
	s_cmp_lt_i32 s46, 9
	s_cbranch_scc1 .LBB182_1129
; %bb.1124:
	s_cmp_gt_i32 s46, 9
	s_cbranch_scc0 .LBB182_1126
; %bb.1125:
	v_cndmask_b32_e64 v3, 0, 1, s[2:3]
	v_cvt_f64_u32_e32 v[3:4], v3
	v_mov_b32_e32 v5, 0
	v_mov_b32_e32 v6, v5
	s_mov_b64 s[44:45], 0
	global_store_dwordx4 v[0:1], v[3:6], off
.LBB182_1126:
	s_andn2_b64 vcc, exec, s[44:45]
	s_cbranch_vccnz .LBB182_1128
; %bb.1127:
	v_cndmask_b32_e64 v3, 0, 1.0, s[2:3]
	v_mov_b32_e32 v4, 0
	global_store_dwordx2 v[0:1], v[3:4], off
.LBB182_1128:
	s_mov_b64 s[44:45], 0
.LBB182_1129:
	s_andn2_b64 vcc, exec, s[44:45]
	s_cbranch_vccnz .LBB182_1131
; %bb.1130:
	v_cndmask_b32_e64 v3, 0, 1.0, s[2:3]
	v_cvt_f16_f32_e32 v3, v3
	global_store_dword v[0:1], v3, off
.LBB182_1131:
	s_mov_b64 s[44:45], 0
.LBB182_1132:
	s_andn2_b64 vcc, exec, s[44:45]
	s_cbranch_vccnz .LBB182_1141
; %bb.1133:
	s_cmp_lt_i32 s46, 6
	s_mov_b64 s[44:45], -1
	s_cbranch_scc1 .LBB182_1139
; %bb.1134:
	s_cmp_gt_i32 s46, 6
	s_cbranch_scc0 .LBB182_1136
; %bb.1135:
	v_cndmask_b32_e64 v3, 0, 1, s[2:3]
	v_cvt_f64_u32_e32 v[3:4], v3
	s_mov_b64 s[44:45], 0
	global_store_dwordx2 v[0:1], v[3:4], off
.LBB182_1136:
	s_andn2_b64 vcc, exec, s[44:45]
	s_cbranch_vccnz .LBB182_1138
; %bb.1137:
	v_cndmask_b32_e64 v3, 0, 1.0, s[2:3]
	global_store_dword v[0:1], v3, off
.LBB182_1138:
	s_mov_b64 s[44:45], 0
.LBB182_1139:
	s_andn2_b64 vcc, exec, s[44:45]
	s_cbranch_vccnz .LBB182_1141
; %bb.1140:
	v_cndmask_b32_e64 v3, 0, 1.0, s[2:3]
	v_cvt_f16_f32_e32 v3, v3
	global_store_short v[0:1], v3, off
.LBB182_1141:
	s_mov_b64 s[44:45], 0
.LBB182_1142:
	s_andn2_b64 vcc, exec, s[44:45]
	s_cbranch_vccnz .LBB182_1158
; %bb.1143:
	s_cmp_lt_i32 s46, 2
	s_mov_b64 s[44:45], -1
	s_cbranch_scc1 .LBB182_1153
; %bb.1144:
	s_cmp_lt_i32 s46, 3
	s_cbranch_scc1 .LBB182_1150
; %bb.1145:
	s_cmp_gt_i32 s46, 3
	s_cbranch_scc0 .LBB182_1147
; %bb.1146:
	s_mov_b32 s44, 0
	v_cndmask_b32_e64 v3, 0, 1, s[2:3]
	v_mov_b32_e32 v4, s44
	s_mov_b64 s[44:45], 0
	global_store_dwordx2 v[0:1], v[3:4], off
.LBB182_1147:
	s_andn2_b64 vcc, exec, s[44:45]
	s_cbranch_vccnz .LBB182_1149
; %bb.1148:
	v_cndmask_b32_e64 v3, 0, 1, s[2:3]
	global_store_dword v[0:1], v3, off
.LBB182_1149:
	s_mov_b64 s[44:45], 0
.LBB182_1150:
	s_andn2_b64 vcc, exec, s[44:45]
	s_cbranch_vccnz .LBB182_1152
; %bb.1151:
	v_cndmask_b32_e64 v3, 0, 1, s[2:3]
	global_store_short v[0:1], v3, off
.LBB182_1152:
	s_mov_b64 s[44:45], 0
.LBB182_1153:
	s_andn2_b64 vcc, exec, s[44:45]
	s_cbranch_vccnz .LBB182_1158
; %bb.1154:
	s_mov_b64 s[44:45], -1
	s_cmp_gt_i32 s46, 0
	v_cndmask_b32_e64 v3, 0, 1, s[2:3]
	s_cbranch_scc0 .LBB182_1156
; %bb.1155:
	s_mov_b64 s[44:45], 0
	global_store_byte v[0:1], v3, off
.LBB182_1156:
	s_andn2_b64 vcc, exec, s[44:45]
	s_cbranch_vccnz .LBB182_1158
; %bb.1157:
	global_store_byte v[0:1], v3, off
.LBB182_1158:
	s_mov_b64 s[44:45], -1
.LBB182_1159:
	s_andn2_b64 vcc, exec, s[44:45]
	s_cbranch_vccnz .LBB182_1172
; %bb.1160:
	v_add_u32_e32 v2, 0x80, v2
	s_mov_b64 s[46:47], -1
.LBB182_1161:
	s_andn2_b64 s[2:3], s[34:35], exec
	s_and_b64 s[4:5], s[4:5], exec
	s_or_b64 s[44:45], s[2:3], s[4:5]
	s_andn2_b64 s[2:3], s[30:31], exec
	s_and_b64 s[4:5], s[42:43], exec
	s_or_b64 s[4:5], s[2:3], s[4:5]
	;; [unrolled: 3-line block ×3, first 2 shown]
	s_orn2_b64 s[48:49], s[46:47], exec
.LBB182_1162:
	s_or_b64 exec, exec, s[38:39]
	s_mov_b64 s[42:43], 0
	s_mov_b64 s[46:47], 0
	;; [unrolled: 1-line block ×3, first 2 shown]
                                        ; implicit-def: $sgpr58
                                        ; implicit-def: $vgpr0_vgpr1
                                        ; implicit-def: $vgpr3
	s_and_saveexec_b64 s[38:39], s[48:49]
	s_cbranch_execz .LBB182_1246
; %bb.1163:
	v_cmp_gt_i32_e32 vcc, s50, v2
	s_mov_b64 s[48:49], 0
	s_mov_b64 s[50:51], s[2:3]
	;; [unrolled: 1-line block ×4, first 2 shown]
                                        ; implicit-def: $sgpr58
                                        ; implicit-def: $vgpr0_vgpr1
                                        ; implicit-def: $vgpr3
	s_and_saveexec_b64 s[40:41], vcc
	s_cbranch_execz .LBB182_1245
; %bb.1164:
	v_mul_lo_u32 v0, v2, s13
	v_mov_b32_e32 v1, s11
	s_and_b32 s58, s57, 0xff
	s_cmp_lt_i32 s58, 11
	s_waitcnt vmcnt(0)
	v_ashrrev_i32_e32 v3, 31, v0
	v_add_co_u32_e32 v0, vcc, s10, v0
	v_addc_co_u32_e32 v1, vcc, v1, v3, vcc
	s_cbranch_scc1 .LBB182_1171
; %bb.1165:
	s_and_b32 s54, 0xffff, s58
	s_cmp_gt_i32 s54, 25
	s_cbranch_scc0 .LBB182_1173
; %bb.1166:
	s_cmp_gt_i32 s54, 28
	s_cbranch_scc0 .LBB182_1174
; %bb.1167:
	;; [unrolled: 3-line block ×4, first 2 shown]
	s_cmp_eq_u32 s54, 46
	s_mov_b64 s[50:51], 0
	s_cbranch_scc0 .LBB182_1179
; %bb.1170:
	global_load_dword v3, v[0:1], off
	s_mov_b64 s[48:49], -1
	s_waitcnt vmcnt(0)
	v_lshlrev_b32_e32 v3, 16, v3
	v_cvt_f16_f32_e32 v3, v3
	s_branch .LBB182_1181
.LBB182_1171:
	s_mov_b64 s[50:51], -1
                                        ; implicit-def: $vgpr3
	s_mov_b64 s[42:43], s[2:3]
	s_branch .LBB182_1244
.LBB182_1172:
	s_mov_b64 s[46:47], 0
	s_branch .LBB182_914
.LBB182_1173:
	s_mov_b64 s[50:51], -1
	s_mov_b64 s[42:43], s[2:3]
                                        ; implicit-def: $vgpr3
	s_branch .LBB182_1210
.LBB182_1174:
	s_mov_b64 s[50:51], -1
	s_mov_b64 s[42:43], s[2:3]
                                        ; implicit-def: $vgpr3
	s_branch .LBB182_1191
.LBB182_1175:
	s_mov_b64 s[50:51], -1
	s_mov_b64 s[42:43], s[2:3]
                                        ; implicit-def: $vgpr3
	s_branch .LBB182_1186
.LBB182_1176:
	s_mov_b64 s[50:51], -1
	s_mov_b64 s[42:43], s[2:3]
	s_branch .LBB182_1180
.LBB182_1177:
	s_andn2_saveexec_b64 s[48:49], s[48:49]
	s_cbranch_execz .LBB182_1072
.LBB182_1178:
	v_add_f32_e32 v3, 0x46000000, v4
	v_and_b32_e32 v3, 0xff, v3
	v_cmp_ne_u32_e32 vcc, 0, v3
	s_andn2_b64 s[46:47], s[46:47], exec
	s_and_b64 s[54:55], vcc, exec
	s_or_b64 s[46:47], s[46:47], s[54:55]
	s_or_b64 exec, exec, s[48:49]
	v_mov_b32_e32 v5, 0
	s_and_saveexec_b64 s[48:49], s[46:47]
	s_cbranch_execnz .LBB182_1073
	s_branch .LBB182_1074
.LBB182_1179:
	s_mov_b64 s[42:43], -1
.LBB182_1180:
                                        ; implicit-def: $vgpr3
.LBB182_1181:
	s_and_b64 vcc, exec, s[50:51]
	s_cbranch_vccz .LBB182_1185
; %bb.1182:
	s_cmp_eq_u32 s54, 44
	s_cbranch_scc0 .LBB182_1184
; %bb.1183:
	global_load_ubyte v3, v[0:1], off
	s_movk_i32 s48, 0xff
	v_mov_b32_e32 v5, 0x7e00
	s_mov_b64 s[42:43], 0
	s_waitcnt vmcnt(0)
	v_lshlrev_b32_e32 v4, 23, v3
	v_cvt_f16_f32_e32 v4, v4
	v_cmp_ne_u32_e32 vcc, s48, v3
	s_mov_b64 s[48:49], -1
	v_cndmask_b32_e32 v4, v5, v4, vcc
	v_cmp_ne_u32_e32 vcc, 0, v3
	v_cndmask_b32_e32 v3, 0, v4, vcc
	s_branch .LBB182_1185
.LBB182_1184:
	s_mov_b64 s[42:43], -1
                                        ; implicit-def: $vgpr3
.LBB182_1185:
	s_mov_b64 s[50:51], 0
.LBB182_1186:
	s_and_b64 vcc, exec, s[50:51]
	s_cbranch_vccz .LBB182_1190
; %bb.1187:
	s_cmp_eq_u32 s54, 29
	s_cbranch_scc0 .LBB182_1189
; %bb.1188:
	global_load_dwordx2 v[3:4], v[0:1], off
	s_mov_b64 s[42:43], 0
	s_mov_b64 s[48:49], -1
	s_mov_b64 s[50:51], 0
	s_waitcnt vmcnt(0)
	v_ffbh_u32_e32 v5, v4
	v_min_u32_e32 v5, 32, v5
	v_lshlrev_b64 v[3:4], v5, v[3:4]
	v_min_u32_e32 v3, 1, v3
	v_or_b32_e32 v3, v4, v3
	v_cvt_f32_u32_e32 v3, v3
	v_sub_u32_e32 v4, 32, v5
	v_ldexp_f32 v3, v3, v4
	v_cvt_f16_f32_e32 v3, v3
	s_branch .LBB182_1191
.LBB182_1189:
	s_mov_b64 s[42:43], -1
                                        ; implicit-def: $vgpr3
.LBB182_1190:
	s_mov_b64 s[50:51], 0
.LBB182_1191:
	s_and_b64 vcc, exec, s[50:51]
	s_cbranch_vccz .LBB182_1209
; %bb.1192:
	s_cmp_lt_i32 s54, 27
	s_cbranch_scc1 .LBB182_1195
; %bb.1193:
	s_cmp_gt_i32 s54, 27
	s_cbranch_scc0 .LBB182_1196
; %bb.1194:
	global_load_dword v3, v[0:1], off
	s_mov_b64 s[48:49], 0
	s_waitcnt vmcnt(0)
	v_cvt_f32_u32_e32 v3, v3
	v_cvt_f16_f32_e32 v3, v3
	s_branch .LBB182_1197
.LBB182_1195:
	s_mov_b64 s[48:49], -1
                                        ; implicit-def: $vgpr3
	s_branch .LBB182_1200
.LBB182_1196:
	s_mov_b64 s[48:49], -1
                                        ; implicit-def: $vgpr3
.LBB182_1197:
	s_andn2_b64 vcc, exec, s[48:49]
	s_cbranch_vccnz .LBB182_1199
; %bb.1198:
	global_load_ushort v3, v[0:1], off
	s_waitcnt vmcnt(0)
	v_cvt_f16_u16_e32 v3, v3
.LBB182_1199:
	s_mov_b64 s[48:49], 0
.LBB182_1200:
	s_andn2_b64 vcc, exec, s[48:49]
	s_cbranch_vccnz .LBB182_1208
; %bb.1201:
	global_load_ubyte v4, v[0:1], off
	s_movk_i32 s48, 0x7f
	s_waitcnt vmcnt(0)
	v_cmp_lt_i16_e32 vcc, s48, v4
	s_mov_b64 s[48:49], 0
	s_and_saveexec_b64 s[50:51], vcc
	s_xor_b64 s[50:51], exec, s[50:51]
	s_cbranch_execz .LBB182_1222
; %bb.1202:
	s_movk_i32 s48, 0x80
	v_cmp_eq_u16_e32 vcc, s48, v4
	s_mov_b64 s[48:49], -1
	s_and_saveexec_b64 s[52:53], vcc
; %bb.1203:
	s_xor_b64 s[48:49], exec, -1
; %bb.1204:
	s_or_b64 exec, exec, s[52:53]
	s_and_b64 s[48:49], s[48:49], exec
	s_or_saveexec_b64 s[50:51], s[50:51]
	v_mov_b32_e32 v3, 0x7e00
	s_xor_b64 exec, exec, s[50:51]
	s_cbranch_execnz .LBB182_1223
.LBB182_1205:
	s_or_b64 exec, exec, s[50:51]
	s_and_saveexec_b64 s[50:51], s[48:49]
	s_cbranch_execz .LBB182_1207
.LBB182_1206:
	v_lshlrev_b32_e32 v3, 24, v4
	v_and_b32_e32 v4, 0xffff, v4
	v_and_b32_e32 v5, 7, v4
	v_ffbh_u32_e32 v7, v5
	v_min_u32_e32 v7, 32, v7
	v_subrev_u32_e32 v8, 28, v7
	v_bfe_u32 v6, v4, 3, 4
	v_lshlrev_b32_e32 v4, v8, v4
	v_sub_u32_e32 v7, 29, v7
	v_and_b32_e32 v4, 7, v4
	v_cmp_eq_u32_e32 vcc, 0, v6
	v_cndmask_b32_e32 v6, v6, v7, vcc
	v_cndmask_b32_e32 v4, v5, v4, vcc
	v_mov_b32_e32 v5, 0x3b800000
	v_lshlrev_b32_e32 v4, 20, v4
	v_and_b32_e32 v3, 0x80000000, v3
	v_lshl_add_u32 v5, v6, 23, v5
	v_or3_b32 v3, v3, v5, v4
	v_cvt_f16_f32_e32 v3, v3
.LBB182_1207:
	s_or_b64 exec, exec, s[50:51]
.LBB182_1208:
	s_mov_b64 s[48:49], -1
.LBB182_1209:
	s_mov_b64 s[50:51], 0
.LBB182_1210:
	s_and_b64 vcc, exec, s[50:51]
	s_cbranch_vccz .LBB182_1243
; %bb.1211:
	s_cmp_gt_i32 s54, 22
	s_cbranch_scc0 .LBB182_1221
; %bb.1212:
	s_cmp_lt_i32 s54, 24
	s_cbranch_scc1 .LBB182_1224
; %bb.1213:
	s_cmp_gt_i32 s54, 24
	s_cbranch_scc0 .LBB182_1225
; %bb.1214:
	global_load_ubyte v4, v[0:1], off
	s_movk_i32 s46, 0x7f
	s_waitcnt vmcnt(0)
	v_cmp_lt_i16_e32 vcc, s46, v4
	s_mov_b64 s[46:47], 0
	s_and_saveexec_b64 s[48:49], vcc
	s_xor_b64 s[48:49], exec, s[48:49]
	s_cbranch_execz .LBB182_1237
; %bb.1215:
	s_movk_i32 s46, 0x80
	v_cmp_eq_u16_e32 vcc, s46, v4
	s_mov_b64 s[46:47], -1
	s_and_saveexec_b64 s[50:51], vcc
; %bb.1216:
	s_xor_b64 s[46:47], exec, -1
; %bb.1217:
	s_or_b64 exec, exec, s[50:51]
	s_and_b64 s[46:47], s[46:47], exec
	s_or_saveexec_b64 s[48:49], s[48:49]
	v_mov_b32_e32 v3, 0x7e00
	s_xor_b64 exec, exec, s[48:49]
	s_cbranch_execnz .LBB182_1238
.LBB182_1218:
	s_or_b64 exec, exec, s[48:49]
	s_and_saveexec_b64 s[48:49], s[46:47]
	s_cbranch_execz .LBB182_1220
.LBB182_1219:
	v_lshlrev_b32_e32 v3, 24, v4
	v_and_b32_e32 v4, 0xffff, v4
	v_and_b32_e32 v5, 3, v4
	v_ffbh_u32_e32 v7, v5
	v_min_u32_e32 v7, 32, v7
	v_subrev_u32_e32 v8, 29, v7
	v_bfe_u32 v6, v4, 2, 5
	v_lshlrev_b32_e32 v4, v8, v4
	v_sub_u32_e32 v7, 30, v7
	v_and_b32_e32 v4, 3, v4
	v_cmp_eq_u32_e32 vcc, 0, v6
	v_cndmask_b32_e32 v6, v6, v7, vcc
	v_cndmask_b32_e32 v4, v5, v4, vcc
	v_mov_b32_e32 v5, 0x37800000
	v_lshlrev_b32_e32 v4, 21, v4
	v_and_b32_e32 v3, 0x80000000, v3
	v_lshl_add_u32 v5, v6, 23, v5
	v_or3_b32 v3, v3, v5, v4
	v_cvt_f16_f32_e32 v3, v3
.LBB182_1220:
	s_or_b64 exec, exec, s[48:49]
	s_mov_b64 s[46:47], 0
	s_branch .LBB182_1226
.LBB182_1221:
	s_mov_b64 s[46:47], -1
                                        ; implicit-def: $vgpr3
	s_branch .LBB182_1232
.LBB182_1222:
	s_or_saveexec_b64 s[50:51], s[50:51]
	v_mov_b32_e32 v3, 0x7e00
	s_xor_b64 exec, exec, s[50:51]
	s_cbranch_execz .LBB182_1205
.LBB182_1223:
	v_cmp_ne_u16_e32 vcc, 0, v4
	s_andn2_b64 s[48:49], s[48:49], exec
	s_and_b64 s[52:53], vcc, exec
	s_or_b64 s[48:49], s[48:49], s[52:53]
	v_mov_b32_e32 v3, v4
	s_or_b64 exec, exec, s[50:51]
	s_and_saveexec_b64 s[50:51], s[48:49]
	s_cbranch_execnz .LBB182_1206
	s_branch .LBB182_1207
.LBB182_1224:
	s_mov_b64 s[46:47], -1
                                        ; implicit-def: $vgpr3
	s_branch .LBB182_1229
.LBB182_1225:
	s_mov_b64 s[46:47], -1
                                        ; implicit-def: $vgpr3
.LBB182_1226:
	s_and_b64 vcc, exec, s[46:47]
	s_cbranch_vccz .LBB182_1228
; %bb.1227:
	global_load_ubyte v3, v[0:1], off
	s_mov_b32 s46, 0x7f800000
	s_waitcnt vmcnt(0)
	v_lshlrev_b32_e32 v3, 24, v3
	v_and_b32_e32 v4, 0x7f000000, v3
	v_ffbh_u32_e32 v5, v4
	v_min_u32_e32 v5, 32, v5
	v_sub_u32_e64 v5, v5, 4 clamp
	v_lshlrev_b32_e32 v7, v5, v4
	v_lshlrev_b32_e32 v5, 23, v5
	v_lshrrev_b32_e32 v7, 4, v7
	v_add_u32_e32 v6, 0x1000000, v4
	v_sub_u32_e32 v5, v7, v5
	v_ashrrev_i32_e32 v6, 8, v6
	v_add_u32_e32 v5, 0x3c000000, v5
	v_and_or_b32 v5, v6, s46, v5
	v_cmp_ne_u32_e32 vcc, 0, v4
	v_cndmask_b32_e32 v4, 0, v5, vcc
	s_brev_b32 s46, 1
	v_and_or_b32 v3, v3, s46, v4
	v_cvt_f16_f32_e32 v3, v3
.LBB182_1228:
	s_mov_b64 s[46:47], 0
.LBB182_1229:
	s_andn2_b64 vcc, exec, s[46:47]
	s_cbranch_vccnz .LBB182_1231
; %bb.1230:
	global_load_ubyte v3, v[0:1], off
	s_movk_i32 s46, 0x7f00
	s_brev_b32 s47, 16
	s_waitcnt vmcnt(0)
	v_lshlrev_b16_e32 v4, 8, v3
	v_lshlrev_b32_e32 v3, 25, v3
	v_lshrrev_b32_e32 v5, 4, v3
	v_and_or_b32 v6, v4, s46, 0.5
	v_or_b32_e32 v5, 0x70000000, v5
	v_add_f32_e32 v6, -0.5, v6
	v_mul_f32_e32 v5, 0x7800000, v5
	v_cmp_gt_u32_e32 vcc, s47, v3
	v_bfe_i32 v4, v4, 0, 16
	v_cndmask_b32_e32 v3, v5, v6, vcc
	s_brev_b32 s46, 1
	v_and_or_b32 v3, v4, s46, v3
	v_cvt_f16_f32_e32 v3, v3
.LBB182_1231:
	s_mov_b64 s[46:47], 0
	s_mov_b64 s[48:49], -1
.LBB182_1232:
	s_andn2_b64 vcc, exec, s[46:47]
	s_mov_b64 s[46:47], 0
	s_cbranch_vccnz .LBB182_1243
; %bb.1233:
	s_cmp_gt_i32 s54, 14
	s_cbranch_scc0 .LBB182_1236
; %bb.1234:
	s_cmp_eq_u32 s54, 15
	s_cbranch_scc0 .LBB182_1239
; %bb.1235:
	global_load_ushort v3, v[0:1], off
	s_mov_b64 s[42:43], 0
	s_mov_b64 s[48:49], -1
	s_waitcnt vmcnt(0)
	v_lshlrev_b32_e32 v3, 16, v3
	v_cvt_f16_f32_e32 v3, v3
	s_branch .LBB182_1240
.LBB182_1236:
	s_mov_b64 s[50:51], -1
                                        ; implicit-def: $vgpr3
	s_branch .LBB182_1241
.LBB182_1237:
	s_or_saveexec_b64 s[48:49], s[48:49]
	v_mov_b32_e32 v3, 0x7e00
	s_xor_b64 exec, exec, s[48:49]
	s_cbranch_execz .LBB182_1218
.LBB182_1238:
	v_cmp_ne_u16_e32 vcc, 0, v4
	s_andn2_b64 s[46:47], s[46:47], exec
	s_and_b64 s[50:51], vcc, exec
	s_or_b64 s[46:47], s[46:47], s[50:51]
	v_mov_b32_e32 v3, v4
	s_or_b64 exec, exec, s[48:49]
	s_and_saveexec_b64 s[48:49], s[46:47]
	s_cbranch_execnz .LBB182_1219
	s_branch .LBB182_1220
.LBB182_1239:
	s_mov_b64 s[42:43], -1
                                        ; implicit-def: $vgpr3
.LBB182_1240:
	s_mov_b64 s[50:51], 0
.LBB182_1241:
	s_and_b64 vcc, exec, s[50:51]
	s_cbranch_vccz .LBB182_1243
; %bb.1242:
	s_cmp_lg_u32 s54, 11
	s_cselect_b64 s[50:51], -1, 0
	s_andn2_b64 s[42:43], s[42:43], exec
	s_and_b64 s[50:51], s[50:51], exec
	s_mov_b64 s[46:47], -1
	s_or_b64 s[42:43], s[42:43], s[50:51]
.LBB182_1243:
	s_mov_b64 s[50:51], 0
.LBB182_1244:
	s_and_b64 s[54:55], s[48:49], exec
	s_and_b64 s[48:49], s[46:47], exec
	s_andn2_b64 s[46:47], s[2:3], exec
	s_and_b64 s[42:43], s[42:43], exec
	s_and_b64 s[52:53], s[50:51], exec
	s_or_b64 s[50:51], s[46:47], s[42:43]
.LBB182_1245:
	s_or_b64 exec, exec, s[40:41]
	s_and_b64 s[42:43], s[48:49], exec
	s_andn2_b64 s[2:3], s[2:3], exec
	s_and_b64 s[48:49], s[50:51], exec
	s_and_b64 s[40:41], s[54:55], exec
	s_and_b64 s[46:47], s[52:53], exec
	s_or_b64 s[2:3], s[2:3], s[48:49]
.LBB182_1246:
	s_or_b64 exec, exec, s[38:39]
	s_andn2_b64 s[34:35], s[34:35], exec
	s_and_b64 s[38:39], s[44:45], exec
	s_andn2_b64 s[30:31], s[30:31], exec
	s_and_b64 s[4:5], s[4:5], exec
	;; [unrolled: 2-line block ×3, first 2 shown]
	s_or_b64 s[34:35], s[34:35], s[38:39]
	s_or_b64 s[30:31], s[30:31], s[4:5]
	s_and_b64 s[40:41], s[40:41], exec
	s_and_b64 s[38:39], s[46:47], exec
	;; [unrolled: 1-line block ×3, first 2 shown]
	s_or_b64 s[28:29], s[28:29], s[2:3]
.LBB182_1247:
	s_or_b64 exec, exec, s[36:37]
	s_andn2_b64 s[2:3], s[20:21], exec
	s_and_b64 s[20:21], s[34:35], exec
	s_or_b64 s[20:21], s[2:3], s[20:21]
	s_andn2_b64 s[2:3], s[22:23], exec
	s_and_b64 s[22:23], s[30:31], exec
	s_or_b64 s[22:23], s[2:3], s[22:23]
	s_and_b64 s[30:31], s[4:5], exec
	s_andn2_b64 s[2:3], s[24:25], exec
	s_and_b64 s[4:5], s[28:29], exec
	s_and_b64 s[34:35], s[40:41], exec
	;; [unrolled: 1-line block ×3, first 2 shown]
	s_or_b64 s[24:25], s[2:3], s[4:5]
	s_or_b64 exec, exec, s[26:27]
	s_mov_b64 s[2:3], 0
	s_and_saveexec_b64 s[4:5], s[24:25]
	s_cbranch_execz .LBB182_393
.LBB182_1248:
	s_mov_b64 s[2:3], exec
	s_andn2_b64 s[30:31], s[30:31], exec
	s_trap 2
	s_or_b64 exec, exec, s[4:5]
	s_and_saveexec_b64 s[4:5], s[30:31]
	s_xor_b64 s[4:5], exec, s[4:5]
	s_cbranch_execnz .LBB182_394
.LBB182_1249:
	s_or_b64 exec, exec, s[4:5]
	s_and_saveexec_b64 s[4:5], s[36:37]
	s_cbranch_execz .LBB182_1295
.LBB182_1250:
	s_sext_i32_i16 s24, s58
	s_cmp_lt_i32 s24, 5
	s_cbranch_scc1 .LBB182_1255
; %bb.1251:
	s_cmp_lt_i32 s24, 8
	s_cbranch_scc1 .LBB182_1256
; %bb.1252:
	;; [unrolled: 3-line block ×3, first 2 shown]
	s_cmp_gt_i32 s24, 9
	s_cbranch_scc0 .LBB182_1258
; %bb.1254:
	global_load_dwordx2 v[3:4], v[0:1], off
	s_movk_i32 s24, 0x1ff
	s_movk_i32 s25, 0xffe
	v_mov_b32_e32 v5, 0x7c00
	v_mov_b32_e32 v6, 0x7e00
	s_movk_i32 s26, 0x40f
	s_mov_b32 s27, 0x8000
	s_waitcnt vmcnt(0)
	v_and_or_b32 v3, v4, s24, v3
	v_cmp_ne_u32_e32 vcc, 0, v3
	v_lshrrev_b32_e32 v7, 8, v4
	v_bfe_u32 v8, v4, 20, 11
	v_cndmask_b32_e64 v3, 0, 1, vcc
	v_sub_u32_e32 v9, 0x3f1, v8
	v_and_or_b32 v3, v7, s25, v3
	v_add_u32_e32 v8, 0xfffffc10, v8
	v_med3_i32 v7, v9, 0, 13
	v_or_b32_e32 v9, 0x1000, v3
	v_cmp_ne_u32_e32 vcc, 0, v3
	v_lshl_or_b32 v10, v8, 12, v3
	v_cndmask_b32_e32 v3, v5, v6, vcc
	v_lshrrev_b32_e32 v6, v7, v9
	v_lshlrev_b32_e32 v7, v7, v6
	v_cmp_ne_u32_e32 vcc, v7, v9
	v_cndmask_b32_e64 v7, 0, 1, vcc
	v_or_b32_e32 v6, v6, v7
	v_cmp_gt_i32_e32 vcc, 1, v8
	v_cndmask_b32_e32 v6, v10, v6, vcc
	v_and_b32_e32 v7, 7, v6
	v_cmp_lt_i32_e32 vcc, 5, v7
	v_cndmask_b32_e64 v9, 0, 1, vcc
	v_cmp_eq_u32_e32 vcc, 3, v7
	v_cndmask_b32_e64 v7, 0, 1, vcc
	v_lshrrev_b32_e32 v6, 2, v6
	v_or_b32_e32 v7, v7, v9
	v_add_u32_e32 v6, v6, v7
	v_cmp_gt_i32_e32 vcc, 31, v8
	v_cndmask_b32_e32 v5, v5, v6, vcc
	v_cmp_eq_u32_e32 vcc, s26, v8
	v_lshrrev_b32_e32 v4, 16, v4
	v_cndmask_b32_e32 v3, v5, v3, vcc
	v_and_or_b32 v3, v4, s27, v3
	s_mov_b64 s[24:25], 0
	s_branch .LBB182_1259
.LBB182_1255:
                                        ; implicit-def: $vgpr3
	s_branch .LBB182_1276
.LBB182_1256:
                                        ; implicit-def: $vgpr3
	s_branch .LBB182_1265
.LBB182_1257:
	s_mov_b64 s[24:25], -1
                                        ; implicit-def: $vgpr3
	s_branch .LBB182_1262
.LBB182_1258:
	s_mov_b64 s[24:25], -1
                                        ; implicit-def: $vgpr3
.LBB182_1259:
	s_andn2_b64 vcc, exec, s[24:25]
	s_cbranch_vccnz .LBB182_1261
; %bb.1260:
	global_load_dword v3, v[0:1], off
	s_waitcnt vmcnt(0)
	v_cvt_f16_f32_e32 v3, v3
.LBB182_1261:
	s_mov_b64 s[24:25], 0
.LBB182_1262:
	s_andn2_b64 vcc, exec, s[24:25]
	s_cbranch_vccnz .LBB182_1264
; %bb.1263:
	global_load_dword v3, v[0:1], off
.LBB182_1264:
	s_cbranch_execnz .LBB182_1275
.LBB182_1265:
	s_sext_i32_i16 s24, s58
	s_cmp_lt_i32 s24, 6
	s_cbranch_scc1 .LBB182_1268
; %bb.1266:
	s_cmp_gt_i32 s24, 6
	s_cbranch_scc0 .LBB182_1269
; %bb.1267:
	global_load_dwordx2 v[3:4], v[0:1], off
	s_movk_i32 s24, 0x1ff
	s_movk_i32 s25, 0xffe
	v_mov_b32_e32 v5, 0x7c00
	v_mov_b32_e32 v6, 0x7e00
	s_movk_i32 s26, 0x40f
	s_mov_b32 s27, 0x8000
	s_waitcnt vmcnt(0)
	v_and_or_b32 v3, v4, s24, v3
	v_cmp_ne_u32_e32 vcc, 0, v3
	v_lshrrev_b32_e32 v7, 8, v4
	v_bfe_u32 v8, v4, 20, 11
	v_cndmask_b32_e64 v3, 0, 1, vcc
	v_sub_u32_e32 v9, 0x3f1, v8
	v_and_or_b32 v3, v7, s25, v3
	v_add_u32_e32 v8, 0xfffffc10, v8
	v_med3_i32 v7, v9, 0, 13
	v_or_b32_e32 v9, 0x1000, v3
	v_cmp_ne_u32_e32 vcc, 0, v3
	v_lshl_or_b32 v10, v8, 12, v3
	v_cndmask_b32_e32 v3, v5, v6, vcc
	v_lshrrev_b32_e32 v6, v7, v9
	v_lshlrev_b32_e32 v7, v7, v6
	v_cmp_ne_u32_e32 vcc, v7, v9
	v_cndmask_b32_e64 v7, 0, 1, vcc
	v_or_b32_e32 v6, v6, v7
	v_cmp_gt_i32_e32 vcc, 1, v8
	v_cndmask_b32_e32 v6, v10, v6, vcc
	v_and_b32_e32 v7, 7, v6
	v_cmp_lt_i32_e32 vcc, 5, v7
	v_cndmask_b32_e64 v9, 0, 1, vcc
	v_cmp_eq_u32_e32 vcc, 3, v7
	v_cndmask_b32_e64 v7, 0, 1, vcc
	v_lshrrev_b32_e32 v6, 2, v6
	v_or_b32_e32 v7, v7, v9
	v_add_u32_e32 v6, v6, v7
	v_cmp_gt_i32_e32 vcc, 31, v8
	v_cndmask_b32_e32 v5, v5, v6, vcc
	v_cmp_eq_u32_e32 vcc, s26, v8
	v_lshrrev_b32_e32 v4, 16, v4
	v_cndmask_b32_e32 v3, v5, v3, vcc
	v_and_or_b32 v3, v4, s27, v3
	s_mov_b64 s[24:25], 0
	s_branch .LBB182_1270
.LBB182_1268:
	s_mov_b64 s[24:25], -1
                                        ; implicit-def: $vgpr3
	s_branch .LBB182_1273
.LBB182_1269:
	s_mov_b64 s[24:25], -1
                                        ; implicit-def: $vgpr3
.LBB182_1270:
	s_andn2_b64 vcc, exec, s[24:25]
	s_cbranch_vccnz .LBB182_1272
; %bb.1271:
	global_load_dword v3, v[0:1], off
	s_waitcnt vmcnt(0)
	v_cvt_f16_f32_e32 v3, v3
.LBB182_1272:
	s_mov_b64 s[24:25], 0
.LBB182_1273:
	s_andn2_b64 vcc, exec, s[24:25]
	s_cbranch_vccnz .LBB182_1275
; %bb.1274:
	global_load_ushort v3, v[0:1], off
.LBB182_1275:
	s_cbranch_execnz .LBB182_1294
.LBB182_1276:
	s_sext_i32_i16 s24, s58
	s_cmp_lt_i32 s24, 2
	s_cbranch_scc1 .LBB182_1280
; %bb.1277:
	s_cmp_lt_i32 s24, 3
	s_cbranch_scc1 .LBB182_1281
; %bb.1278:
	s_cmp_gt_i32 s24, 3
	s_cbranch_scc0 .LBB182_1282
; %bb.1279:
	global_load_dwordx2 v[3:4], v[0:1], off
	s_mov_b64 s[24:25], 0
	s_waitcnt vmcnt(0)
	v_xor_b32_e32 v6, v3, v4
	v_ffbh_i32_e32 v5, v4
	v_ashrrev_i32_e32 v6, 31, v6
	v_add_u32_e32 v5, -1, v5
	v_add_u32_e32 v6, 32, v6
	v_min_u32_e32 v5, v5, v6
	v_lshlrev_b64 v[3:4], v5, v[3:4]
	v_min_u32_e32 v3, 1, v3
	v_or_b32_e32 v3, v4, v3
	v_cvt_f32_i32_e32 v3, v3
	v_sub_u32_e32 v4, 32, v5
	v_ldexp_f32 v3, v3, v4
	v_cvt_f16_f32_e32 v3, v3
	s_branch .LBB182_1283
.LBB182_1280:
                                        ; implicit-def: $vgpr3
	s_branch .LBB182_1289
.LBB182_1281:
	s_mov_b64 s[24:25], -1
                                        ; implicit-def: $vgpr3
	s_branch .LBB182_1286
.LBB182_1282:
	s_mov_b64 s[24:25], -1
                                        ; implicit-def: $vgpr3
.LBB182_1283:
	s_andn2_b64 vcc, exec, s[24:25]
	s_cbranch_vccnz .LBB182_1285
; %bb.1284:
	global_load_dword v3, v[0:1], off
	s_waitcnt vmcnt(0)
	v_cvt_f32_i32_e32 v3, v3
	v_cvt_f16_f32_e32 v3, v3
.LBB182_1285:
	s_mov_b64 s[24:25], 0
.LBB182_1286:
	s_andn2_b64 vcc, exec, s[24:25]
	s_cbranch_vccnz .LBB182_1288
; %bb.1287:
	global_load_ushort v3, v[0:1], off
	s_waitcnt vmcnt(0)
	v_cvt_f16_i16_e32 v3, v3
.LBB182_1288:
	s_cbranch_execnz .LBB182_1294
.LBB182_1289:
	s_sext_i32_i16 s24, s58
	s_cmp_gt_i32 s24, 0
	s_cbranch_scc0 .LBB182_1291
; %bb.1290:
	global_load_sbyte v3, v[0:1], off
	s_mov_b64 s[24:25], 0
	s_waitcnt vmcnt(0)
	v_cvt_f16_i16_e32 v3, v3
	s_branch .LBB182_1292
.LBB182_1291:
	s_mov_b64 s[24:25], -1
                                        ; implicit-def: $vgpr3
.LBB182_1292:
	s_andn2_b64 vcc, exec, s[24:25]
	s_cbranch_vccnz .LBB182_1294
; %bb.1293:
	global_load_ubyte v0, v[0:1], off
	s_waitcnt vmcnt(0)
	v_cvt_f16_u16_e32 v3, v0
.LBB182_1294:
	s_or_b64 s[34:35], s[34:35], exec
.LBB182_1295:
	s_or_b64 exec, exec, s[4:5]
	s_mov_b64 s[28:29], 0
	s_mov_b64 s[30:31], 0
	;; [unrolled: 1-line block ×3, first 2 shown]
                                        ; implicit-def: $sgpr36
                                        ; implicit-def: $vgpr0_vgpr1
                                        ; implicit-def: $vgpr4
	s_and_saveexec_b64 s[4:5], s[34:35]
	s_cbranch_execz .LBB182_1303
; %bb.1296:
	v_mul_lo_u32 v0, v2, s14
	v_mov_b32_e32 v1, s17
	s_and_b32 s36, s56, 0xff
	s_cmp_lt_i32 s36, 11
	s_waitcnt vmcnt(0)
	v_ashrrev_i32_e32 v4, 31, v0
	v_add_co_u32_e32 v0, vcc, s16, v0
	v_addc_co_u32_e32 v1, vcc, v1, v4, vcc
	s_cbranch_scc1 .LBB182_1306
; %bb.1297:
	s_and_b32 s37, 0xffff, s36
	s_cmp_gt_i32 s37, 25
	s_cbranch_scc0 .LBB182_1307
; %bb.1298:
	s_cmp_gt_i32 s37, 28
	s_cbranch_scc0 .LBB182_1308
; %bb.1299:
	;; [unrolled: 3-line block ×4, first 2 shown]
	s_cmp_eq_u32 s37, 46
	s_cbranch_scc0 .LBB182_1311
; %bb.1302:
	global_load_dword v4, v[0:1], off
	s_mov_b64 s[24:25], 0
	s_mov_b64 s[26:27], -1
	s_waitcnt vmcnt(0)
	v_lshlrev_b32_e32 v4, 16, v4
	v_cvt_f16_f32_e32 v4, v4
	s_branch .LBB182_1313
.LBB182_1303:
	s_or_b64 exec, exec, s[4:5]
	s_and_saveexec_b64 s[4:5], s[22:23]
	s_cbranch_execnz .LBB182_1376
.LBB182_1304:
	s_or_b64 exec, exec, s[4:5]
	s_and_saveexec_b64 s[4:5], s[28:29]
	s_xor_b64 s[4:5], exec, s[4:5]
	s_cbranch_execz .LBB182_1377
.LBB182_1305:
	global_load_ubyte v4, v[0:1], off
	v_mov_b32_e32 v5, 0x3c00
	s_or_b64 s[26:27], s[26:27], exec
	s_waitcnt vmcnt(0)
	v_cmp_ne_u16_e32 vcc, 0, v4
	v_cndmask_b32_e32 v4, 0, v5, vcc
	s_or_b64 exec, exec, s[4:5]
	s_and_saveexec_b64 s[4:5], s[30:31]
	s_cbranch_execz .LBB182_1423
	s_branch .LBB182_1378
.LBB182_1306:
	s_mov_b64 s[30:31], -1
                                        ; implicit-def: $vgpr4
	s_mov_b64 s[24:25], s[22:23]
	s_branch .LBB182_1375
.LBB182_1307:
	s_mov_b64 s[24:25], s[22:23]
                                        ; implicit-def: $vgpr4
	s_cbranch_execnz .LBB182_1342
	s_branch .LBB182_1374
.LBB182_1308:
	s_mov_b64 s[30:31], -1
	s_mov_b64 s[24:25], s[22:23]
                                        ; implicit-def: $vgpr4
	s_branch .LBB182_1323
.LBB182_1309:
	s_mov_b64 s[30:31], -1
	s_mov_b64 s[24:25], s[22:23]
                                        ; implicit-def: $vgpr4
	s_branch .LBB182_1318
.LBB182_1310:
	s_mov_b64 s[30:31], -1
	s_mov_b64 s[24:25], s[22:23]
	s_branch .LBB182_1312
.LBB182_1311:
	s_mov_b64 s[24:25], -1
.LBB182_1312:
                                        ; implicit-def: $vgpr4
.LBB182_1313:
	s_and_b64 vcc, exec, s[30:31]
	s_cbranch_vccz .LBB182_1317
; %bb.1314:
	s_cmp_eq_u32 s37, 44
	s_cbranch_scc0 .LBB182_1316
; %bb.1315:
	global_load_ubyte v4, v[0:1], off
	s_movk_i32 s26, 0xff
	v_mov_b32_e32 v6, 0x7e00
	s_mov_b64 s[24:25], 0
	s_waitcnt vmcnt(0)
	v_lshlrev_b32_e32 v5, 23, v4
	v_cvt_f16_f32_e32 v5, v5
	v_cmp_ne_u32_e32 vcc, s26, v4
	s_mov_b64 s[26:27], -1
	v_cndmask_b32_e32 v5, v6, v5, vcc
	v_cmp_ne_u32_e32 vcc, 0, v4
	v_cndmask_b32_e32 v4, 0, v5, vcc
	s_branch .LBB182_1317
.LBB182_1316:
	s_mov_b64 s[24:25], -1
                                        ; implicit-def: $vgpr4
.LBB182_1317:
	s_mov_b64 s[30:31], 0
.LBB182_1318:
	s_and_b64 vcc, exec, s[30:31]
	s_cbranch_vccz .LBB182_1322
; %bb.1319:
	s_cmp_eq_u32 s37, 29
	s_cbranch_scc0 .LBB182_1321
; %bb.1320:
	global_load_dwordx2 v[4:5], v[0:1], off
	s_mov_b64 s[24:25], 0
	s_mov_b64 s[26:27], -1
	s_mov_b64 s[30:31], 0
	s_waitcnt vmcnt(0)
	v_ffbh_u32_e32 v6, v5
	v_min_u32_e32 v6, 32, v6
	v_lshlrev_b64 v[4:5], v6, v[4:5]
	v_min_u32_e32 v4, 1, v4
	v_or_b32_e32 v4, v5, v4
	v_cvt_f32_u32_e32 v4, v4
	v_sub_u32_e32 v5, 32, v6
	v_ldexp_f32 v4, v4, v5
	v_cvt_f16_f32_e32 v4, v4
	s_branch .LBB182_1323
.LBB182_1321:
	s_mov_b64 s[24:25], -1
                                        ; implicit-def: $vgpr4
.LBB182_1322:
	s_mov_b64 s[30:31], 0
.LBB182_1323:
	s_and_b64 vcc, exec, s[30:31]
	s_cbranch_vccz .LBB182_1341
; %bb.1324:
	s_cmp_lt_i32 s37, 27
	s_cbranch_scc1 .LBB182_1327
; %bb.1325:
	s_cmp_gt_i32 s37, 27
	s_cbranch_scc0 .LBB182_1328
; %bb.1326:
	global_load_dword v4, v[0:1], off
	s_mov_b64 s[26:27], 0
	s_waitcnt vmcnt(0)
	v_cvt_f32_u32_e32 v4, v4
	v_cvt_f16_f32_e32 v4, v4
	s_branch .LBB182_1329
.LBB182_1327:
	s_mov_b64 s[26:27], -1
                                        ; implicit-def: $vgpr4
	s_branch .LBB182_1332
.LBB182_1328:
	s_mov_b64 s[26:27], -1
                                        ; implicit-def: $vgpr4
.LBB182_1329:
	s_andn2_b64 vcc, exec, s[26:27]
	s_cbranch_vccnz .LBB182_1331
; %bb.1330:
	global_load_ushort v4, v[0:1], off
	s_waitcnt vmcnt(0)
	v_cvt_f16_u16_e32 v4, v4
.LBB182_1331:
	s_mov_b64 s[26:27], 0
.LBB182_1332:
	s_andn2_b64 vcc, exec, s[26:27]
	s_cbranch_vccnz .LBB182_1340
; %bb.1333:
	global_load_ubyte v5, v[0:1], off
	s_movk_i32 s26, 0x7f
	s_waitcnt vmcnt(0)
	v_cmp_lt_i16_e32 vcc, s26, v5
	s_mov_b64 s[26:27], 0
	s_and_saveexec_b64 s[30:31], vcc
	s_xor_b64 s[30:31], exec, s[30:31]
	s_cbranch_execz .LBB182_1353
; %bb.1334:
	s_movk_i32 s26, 0x80
	v_cmp_eq_u16_e32 vcc, s26, v5
	s_mov_b64 s[26:27], -1
	s_and_saveexec_b64 s[34:35], vcc
; %bb.1335:
	s_xor_b64 s[26:27], exec, -1
; %bb.1336:
	s_or_b64 exec, exec, s[34:35]
	s_and_b64 s[26:27], s[26:27], exec
	s_or_saveexec_b64 s[30:31], s[30:31]
	v_mov_b32_e32 v4, 0x7e00
	s_xor_b64 exec, exec, s[30:31]
	s_cbranch_execnz .LBB182_1354
.LBB182_1337:
	s_or_b64 exec, exec, s[30:31]
	s_and_saveexec_b64 s[30:31], s[26:27]
	s_cbranch_execz .LBB182_1339
.LBB182_1338:
	v_lshlrev_b32_e32 v4, 24, v5
	v_and_b32_e32 v5, 0xffff, v5
	v_and_b32_e32 v6, 7, v5
	v_ffbh_u32_e32 v8, v6
	v_min_u32_e32 v8, 32, v8
	v_subrev_u32_e32 v9, 28, v8
	v_bfe_u32 v7, v5, 3, 4
	v_lshlrev_b32_e32 v5, v9, v5
	v_sub_u32_e32 v8, 29, v8
	v_and_b32_e32 v5, 7, v5
	v_cmp_eq_u32_e32 vcc, 0, v7
	v_cndmask_b32_e32 v7, v7, v8, vcc
	v_cndmask_b32_e32 v5, v6, v5, vcc
	v_mov_b32_e32 v6, 0x3b800000
	v_lshlrev_b32_e32 v5, 20, v5
	v_and_b32_e32 v4, 0x80000000, v4
	v_lshl_add_u32 v6, v7, 23, v6
	v_or3_b32 v4, v4, v6, v5
	v_cvt_f16_f32_e32 v4, v4
.LBB182_1339:
	s_or_b64 exec, exec, s[30:31]
.LBB182_1340:
	s_mov_b64 s[26:27], -1
.LBB182_1341:
	s_branch .LBB182_1374
.LBB182_1342:
	s_cmp_gt_i32 s37, 22
	s_cbranch_scc0 .LBB182_1352
; %bb.1343:
	s_cmp_lt_i32 s37, 24
	s_cbranch_scc1 .LBB182_1355
; %bb.1344:
	s_cmp_gt_i32 s37, 24
	s_cbranch_scc0 .LBB182_1356
; %bb.1345:
	global_load_ubyte v5, v[0:1], off
	s_movk_i32 s26, 0x7f
	s_waitcnt vmcnt(0)
	v_cmp_lt_i16_e32 vcc, s26, v5
	s_mov_b64 s[26:27], 0
	s_and_saveexec_b64 s[28:29], vcc
	s_xor_b64 s[28:29], exec, s[28:29]
	s_cbranch_execz .LBB182_1368
; %bb.1346:
	s_movk_i32 s26, 0x80
	v_cmp_eq_u16_e32 vcc, s26, v5
	s_mov_b64 s[26:27], -1
	s_and_saveexec_b64 s[30:31], vcc
; %bb.1347:
	s_xor_b64 s[26:27], exec, -1
; %bb.1348:
	s_or_b64 exec, exec, s[30:31]
	s_and_b64 s[26:27], s[26:27], exec
	s_or_saveexec_b64 s[28:29], s[28:29]
	v_mov_b32_e32 v4, 0x7e00
	s_xor_b64 exec, exec, s[28:29]
	s_cbranch_execnz .LBB182_1369
.LBB182_1349:
	s_or_b64 exec, exec, s[28:29]
	s_and_saveexec_b64 s[28:29], s[26:27]
	s_cbranch_execz .LBB182_1351
.LBB182_1350:
	v_lshlrev_b32_e32 v4, 24, v5
	v_and_b32_e32 v5, 0xffff, v5
	v_and_b32_e32 v6, 3, v5
	v_ffbh_u32_e32 v8, v6
	v_min_u32_e32 v8, 32, v8
	v_subrev_u32_e32 v9, 29, v8
	v_bfe_u32 v7, v5, 2, 5
	v_lshlrev_b32_e32 v5, v9, v5
	v_sub_u32_e32 v8, 30, v8
	v_and_b32_e32 v5, 3, v5
	v_cmp_eq_u32_e32 vcc, 0, v7
	v_cndmask_b32_e32 v7, v7, v8, vcc
	v_cndmask_b32_e32 v5, v6, v5, vcc
	v_mov_b32_e32 v6, 0x37800000
	v_lshlrev_b32_e32 v5, 21, v5
	v_and_b32_e32 v4, 0x80000000, v4
	v_lshl_add_u32 v6, v7, 23, v6
	v_or3_b32 v4, v4, v6, v5
	v_cvt_f16_f32_e32 v4, v4
.LBB182_1351:
	s_or_b64 exec, exec, s[28:29]
	s_mov_b64 s[26:27], 0
	s_branch .LBB182_1357
.LBB182_1352:
	s_mov_b64 s[28:29], -1
                                        ; implicit-def: $vgpr4
	s_branch .LBB182_1363
.LBB182_1353:
	s_or_saveexec_b64 s[30:31], s[30:31]
	v_mov_b32_e32 v4, 0x7e00
	s_xor_b64 exec, exec, s[30:31]
	s_cbranch_execz .LBB182_1337
.LBB182_1354:
	v_cmp_ne_u16_e32 vcc, 0, v5
	s_andn2_b64 s[26:27], s[26:27], exec
	s_and_b64 s[34:35], vcc, exec
	s_or_b64 s[26:27], s[26:27], s[34:35]
	v_mov_b32_e32 v4, v5
	s_or_b64 exec, exec, s[30:31]
	s_and_saveexec_b64 s[30:31], s[26:27]
	s_cbranch_execnz .LBB182_1338
	s_branch .LBB182_1339
.LBB182_1355:
	s_mov_b64 s[26:27], -1
                                        ; implicit-def: $vgpr4
	s_branch .LBB182_1360
.LBB182_1356:
	s_mov_b64 s[26:27], -1
                                        ; implicit-def: $vgpr4
.LBB182_1357:
	s_and_b64 vcc, exec, s[26:27]
	s_cbranch_vccz .LBB182_1359
; %bb.1358:
	global_load_ubyte v4, v[0:1], off
	s_mov_b32 s26, 0x7f800000
	s_waitcnt vmcnt(0)
	v_lshlrev_b32_e32 v4, 24, v4
	v_and_b32_e32 v5, 0x7f000000, v4
	v_ffbh_u32_e32 v6, v5
	v_min_u32_e32 v6, 32, v6
	v_sub_u32_e64 v6, v6, 4 clamp
	v_lshlrev_b32_e32 v8, v6, v5
	v_lshlrev_b32_e32 v6, 23, v6
	v_lshrrev_b32_e32 v8, 4, v8
	v_add_u32_e32 v7, 0x1000000, v5
	v_sub_u32_e32 v6, v8, v6
	v_ashrrev_i32_e32 v7, 8, v7
	v_add_u32_e32 v6, 0x3c000000, v6
	v_and_or_b32 v6, v7, s26, v6
	v_cmp_ne_u32_e32 vcc, 0, v5
	v_cndmask_b32_e32 v5, 0, v6, vcc
	s_brev_b32 s26, 1
	v_and_or_b32 v4, v4, s26, v5
	v_cvt_f16_f32_e32 v4, v4
.LBB182_1359:
	s_mov_b64 s[26:27], 0
.LBB182_1360:
	s_andn2_b64 vcc, exec, s[26:27]
	s_cbranch_vccnz .LBB182_1362
; %bb.1361:
	global_load_ubyte v4, v[0:1], off
	s_movk_i32 s26, 0x7f00
	s_brev_b32 s27, 16
	s_waitcnt vmcnt(0)
	v_lshlrev_b16_e32 v5, 8, v4
	v_lshlrev_b32_e32 v4, 25, v4
	v_lshrrev_b32_e32 v6, 4, v4
	v_and_or_b32 v7, v5, s26, 0.5
	v_or_b32_e32 v6, 0x70000000, v6
	v_add_f32_e32 v7, -0.5, v7
	v_mul_f32_e32 v6, 0x7800000, v6
	v_cmp_gt_u32_e32 vcc, s27, v4
	v_bfe_i32 v5, v5, 0, 16
	v_cndmask_b32_e32 v4, v6, v7, vcc
	s_brev_b32 s26, 1
	v_and_or_b32 v4, v5, s26, v4
	v_cvt_f16_f32_e32 v4, v4
.LBB182_1362:
	s_mov_b64 s[28:29], 0
	s_mov_b64 s[26:27], -1
.LBB182_1363:
	s_andn2_b64 vcc, exec, s[28:29]
	s_mov_b64 s[28:29], 0
	s_cbranch_vccnz .LBB182_1374
; %bb.1364:
	s_cmp_gt_i32 s37, 14
	s_cbranch_scc0 .LBB182_1367
; %bb.1365:
	s_cmp_eq_u32 s37, 15
	s_cbranch_scc0 .LBB182_1370
; %bb.1366:
	global_load_ushort v4, v[0:1], off
	s_mov_b64 s[24:25], 0
	s_mov_b64 s[26:27], -1
	s_waitcnt vmcnt(0)
	v_lshlrev_b32_e32 v4, 16, v4
	v_cvt_f16_f32_e32 v4, v4
	s_branch .LBB182_1371
.LBB182_1367:
	s_mov_b64 s[30:31], -1
                                        ; implicit-def: $vgpr4
	s_branch .LBB182_1372
.LBB182_1368:
	s_or_saveexec_b64 s[28:29], s[28:29]
	v_mov_b32_e32 v4, 0x7e00
	s_xor_b64 exec, exec, s[28:29]
	s_cbranch_execz .LBB182_1349
.LBB182_1369:
	v_cmp_ne_u16_e32 vcc, 0, v5
	s_andn2_b64 s[26:27], s[26:27], exec
	s_and_b64 s[30:31], vcc, exec
	s_or_b64 s[26:27], s[26:27], s[30:31]
	v_mov_b32_e32 v4, v5
	s_or_b64 exec, exec, s[28:29]
	s_and_saveexec_b64 s[28:29], s[26:27]
	s_cbranch_execnz .LBB182_1350
	s_branch .LBB182_1351
.LBB182_1370:
	s_mov_b64 s[24:25], -1
                                        ; implicit-def: $vgpr4
.LBB182_1371:
	s_mov_b64 s[30:31], 0
.LBB182_1372:
	s_and_b64 vcc, exec, s[30:31]
	s_cbranch_vccz .LBB182_1374
; %bb.1373:
	s_cmp_lg_u32 s37, 11
	s_cselect_b64 s[30:31], -1, 0
	s_andn2_b64 s[24:25], s[24:25], exec
	s_and_b64 s[30:31], s[30:31], exec
	s_mov_b64 s[28:29], -1
	s_or_b64 s[24:25], s[24:25], s[30:31]
.LBB182_1374:
	s_mov_b64 s[30:31], 0
.LBB182_1375:
	s_andn2_b64 s[22:23], s[22:23], exec
	s_and_b64 s[24:25], s[24:25], exec
	s_and_b64 s[26:27], s[26:27], exec
	;; [unrolled: 1-line block ×4, first 2 shown]
	s_or_b64 s[22:23], s[22:23], s[24:25]
	s_or_b64 exec, exec, s[4:5]
	s_and_saveexec_b64 s[4:5], s[22:23]
	s_cbranch_execz .LBB182_1304
.LBB182_1376:
	s_or_b64 s[2:3], s[2:3], exec
	s_andn2_b64 s[28:29], s[28:29], exec
	s_trap 2
	s_or_b64 exec, exec, s[4:5]
	s_and_saveexec_b64 s[4:5], s[28:29]
	s_xor_b64 s[4:5], exec, s[4:5]
	s_cbranch_execnz .LBB182_1305
.LBB182_1377:
	s_or_b64 exec, exec, s[4:5]
	s_and_saveexec_b64 s[4:5], s[30:31]
	s_cbranch_execz .LBB182_1423
.LBB182_1378:
	s_sext_i32_i16 s22, s36
	s_cmp_lt_i32 s22, 5
	s_cbranch_scc1 .LBB182_1383
; %bb.1379:
	s_cmp_lt_i32 s22, 8
	s_cbranch_scc1 .LBB182_1384
; %bb.1380:
	;; [unrolled: 3-line block ×3, first 2 shown]
	s_cmp_gt_i32 s22, 9
	s_cbranch_scc0 .LBB182_1386
; %bb.1382:
	global_load_dwordx2 v[4:5], v[0:1], off
	s_movk_i32 s22, 0x1ff
	s_movk_i32 s23, 0xffe
	v_mov_b32_e32 v6, 0x7c00
	v_mov_b32_e32 v7, 0x7e00
	s_movk_i32 s24, 0x40f
	s_mov_b32 s25, 0x8000
	s_waitcnt vmcnt(0)
	v_and_or_b32 v4, v5, s22, v4
	v_cmp_ne_u32_e32 vcc, 0, v4
	v_lshrrev_b32_e32 v8, 8, v5
	v_bfe_u32 v9, v5, 20, 11
	v_cndmask_b32_e64 v4, 0, 1, vcc
	v_sub_u32_e32 v10, 0x3f1, v9
	v_and_or_b32 v4, v8, s23, v4
	v_add_u32_e32 v9, 0xfffffc10, v9
	v_med3_i32 v8, v10, 0, 13
	v_or_b32_e32 v10, 0x1000, v4
	v_cmp_ne_u32_e32 vcc, 0, v4
	v_lshl_or_b32 v11, v9, 12, v4
	v_cndmask_b32_e32 v4, v6, v7, vcc
	v_lshrrev_b32_e32 v7, v8, v10
	v_lshlrev_b32_e32 v8, v8, v7
	v_cmp_ne_u32_e32 vcc, v8, v10
	v_cndmask_b32_e64 v8, 0, 1, vcc
	v_or_b32_e32 v7, v7, v8
	v_cmp_gt_i32_e32 vcc, 1, v9
	v_cndmask_b32_e32 v7, v11, v7, vcc
	v_and_b32_e32 v8, 7, v7
	v_cmp_lt_i32_e32 vcc, 5, v8
	v_cndmask_b32_e64 v10, 0, 1, vcc
	v_cmp_eq_u32_e32 vcc, 3, v8
	v_cndmask_b32_e64 v8, 0, 1, vcc
	v_lshrrev_b32_e32 v7, 2, v7
	v_or_b32_e32 v8, v8, v10
	v_add_u32_e32 v7, v7, v8
	v_cmp_gt_i32_e32 vcc, 31, v9
	v_cndmask_b32_e32 v6, v6, v7, vcc
	v_cmp_eq_u32_e32 vcc, s24, v9
	v_lshrrev_b32_e32 v5, 16, v5
	v_cndmask_b32_e32 v4, v6, v4, vcc
	v_and_or_b32 v4, v5, s25, v4
	s_mov_b64 s[22:23], 0
	s_branch .LBB182_1387
.LBB182_1383:
                                        ; implicit-def: $vgpr4
	s_branch .LBB182_1404
.LBB182_1384:
                                        ; implicit-def: $vgpr4
	s_branch .LBB182_1393
.LBB182_1385:
	s_mov_b64 s[22:23], -1
                                        ; implicit-def: $vgpr4
	s_branch .LBB182_1390
.LBB182_1386:
	s_mov_b64 s[22:23], -1
                                        ; implicit-def: $vgpr4
.LBB182_1387:
	s_andn2_b64 vcc, exec, s[22:23]
	s_cbranch_vccnz .LBB182_1389
; %bb.1388:
	global_load_dword v4, v[0:1], off
	s_waitcnt vmcnt(0)
	v_cvt_f16_f32_e32 v4, v4
.LBB182_1389:
	s_mov_b64 s[22:23], 0
.LBB182_1390:
	s_andn2_b64 vcc, exec, s[22:23]
	s_cbranch_vccnz .LBB182_1392
; %bb.1391:
	global_load_dword v4, v[0:1], off
.LBB182_1392:
	s_cbranch_execnz .LBB182_1403
.LBB182_1393:
	s_sext_i32_i16 s22, s36
	s_cmp_lt_i32 s22, 6
	s_cbranch_scc1 .LBB182_1396
; %bb.1394:
	s_cmp_gt_i32 s22, 6
	s_cbranch_scc0 .LBB182_1397
; %bb.1395:
	global_load_dwordx2 v[4:5], v[0:1], off
	s_movk_i32 s22, 0x1ff
	s_movk_i32 s23, 0xffe
	v_mov_b32_e32 v6, 0x7c00
	v_mov_b32_e32 v7, 0x7e00
	s_movk_i32 s24, 0x40f
	s_mov_b32 s25, 0x8000
	s_waitcnt vmcnt(0)
	v_and_or_b32 v4, v5, s22, v4
	v_cmp_ne_u32_e32 vcc, 0, v4
	v_lshrrev_b32_e32 v8, 8, v5
	v_bfe_u32 v9, v5, 20, 11
	v_cndmask_b32_e64 v4, 0, 1, vcc
	v_sub_u32_e32 v10, 0x3f1, v9
	v_and_or_b32 v4, v8, s23, v4
	v_add_u32_e32 v9, 0xfffffc10, v9
	v_med3_i32 v8, v10, 0, 13
	v_or_b32_e32 v10, 0x1000, v4
	v_cmp_ne_u32_e32 vcc, 0, v4
	v_lshl_or_b32 v11, v9, 12, v4
	v_cndmask_b32_e32 v4, v6, v7, vcc
	v_lshrrev_b32_e32 v7, v8, v10
	v_lshlrev_b32_e32 v8, v8, v7
	v_cmp_ne_u32_e32 vcc, v8, v10
	v_cndmask_b32_e64 v8, 0, 1, vcc
	v_or_b32_e32 v7, v7, v8
	v_cmp_gt_i32_e32 vcc, 1, v9
	v_cndmask_b32_e32 v7, v11, v7, vcc
	v_and_b32_e32 v8, 7, v7
	v_cmp_lt_i32_e32 vcc, 5, v8
	v_cndmask_b32_e64 v10, 0, 1, vcc
	v_cmp_eq_u32_e32 vcc, 3, v8
	v_cndmask_b32_e64 v8, 0, 1, vcc
	v_lshrrev_b32_e32 v7, 2, v7
	v_or_b32_e32 v8, v8, v10
	v_add_u32_e32 v7, v7, v8
	v_cmp_gt_i32_e32 vcc, 31, v9
	v_cndmask_b32_e32 v6, v6, v7, vcc
	v_cmp_eq_u32_e32 vcc, s24, v9
	v_lshrrev_b32_e32 v5, 16, v5
	v_cndmask_b32_e32 v4, v6, v4, vcc
	v_and_or_b32 v4, v5, s25, v4
	s_mov_b64 s[22:23], 0
	s_branch .LBB182_1398
.LBB182_1396:
	s_mov_b64 s[22:23], -1
                                        ; implicit-def: $vgpr4
	s_branch .LBB182_1401
.LBB182_1397:
	s_mov_b64 s[22:23], -1
                                        ; implicit-def: $vgpr4
.LBB182_1398:
	s_andn2_b64 vcc, exec, s[22:23]
	s_cbranch_vccnz .LBB182_1400
; %bb.1399:
	global_load_dword v4, v[0:1], off
	s_waitcnt vmcnt(0)
	v_cvt_f16_f32_e32 v4, v4
.LBB182_1400:
	s_mov_b64 s[22:23], 0
.LBB182_1401:
	s_andn2_b64 vcc, exec, s[22:23]
	s_cbranch_vccnz .LBB182_1403
; %bb.1402:
	global_load_ushort v4, v[0:1], off
.LBB182_1403:
	s_cbranch_execnz .LBB182_1422
.LBB182_1404:
	s_sext_i32_i16 s22, s36
	s_cmp_lt_i32 s22, 2
	s_cbranch_scc1 .LBB182_1408
; %bb.1405:
	s_cmp_lt_i32 s22, 3
	s_cbranch_scc1 .LBB182_1409
; %bb.1406:
	s_cmp_gt_i32 s22, 3
	s_cbranch_scc0 .LBB182_1410
; %bb.1407:
	global_load_dwordx2 v[4:5], v[0:1], off
	s_mov_b64 s[22:23], 0
	s_waitcnt vmcnt(0)
	v_xor_b32_e32 v7, v4, v5
	v_ffbh_i32_e32 v6, v5
	v_ashrrev_i32_e32 v7, 31, v7
	v_add_u32_e32 v6, -1, v6
	v_add_u32_e32 v7, 32, v7
	v_min_u32_e32 v6, v6, v7
	v_lshlrev_b64 v[4:5], v6, v[4:5]
	v_min_u32_e32 v4, 1, v4
	v_or_b32_e32 v4, v5, v4
	v_cvt_f32_i32_e32 v4, v4
	v_sub_u32_e32 v5, 32, v6
	v_ldexp_f32 v4, v4, v5
	v_cvt_f16_f32_e32 v4, v4
	s_branch .LBB182_1411
.LBB182_1408:
                                        ; implicit-def: $vgpr4
	s_branch .LBB182_1417
.LBB182_1409:
	s_mov_b64 s[22:23], -1
                                        ; implicit-def: $vgpr4
	s_branch .LBB182_1414
.LBB182_1410:
	s_mov_b64 s[22:23], -1
                                        ; implicit-def: $vgpr4
.LBB182_1411:
	s_andn2_b64 vcc, exec, s[22:23]
	s_cbranch_vccnz .LBB182_1413
; %bb.1412:
	global_load_dword v4, v[0:1], off
	s_waitcnt vmcnt(0)
	v_cvt_f32_i32_e32 v4, v4
	v_cvt_f16_f32_e32 v4, v4
.LBB182_1413:
	s_mov_b64 s[22:23], 0
.LBB182_1414:
	s_andn2_b64 vcc, exec, s[22:23]
	s_cbranch_vccnz .LBB182_1416
; %bb.1415:
	global_load_ushort v4, v[0:1], off
	s_waitcnt vmcnt(0)
	v_cvt_f16_i16_e32 v4, v4
.LBB182_1416:
	s_cbranch_execnz .LBB182_1422
.LBB182_1417:
	s_sext_i32_i16 s22, s36
	s_cmp_gt_i32 s22, 0
	s_cbranch_scc0 .LBB182_1419
; %bb.1418:
	global_load_sbyte v4, v[0:1], off
	s_mov_b64 s[22:23], 0
	s_waitcnt vmcnt(0)
	v_cvt_f16_i16_e32 v4, v4
	s_branch .LBB182_1420
.LBB182_1419:
	s_mov_b64 s[22:23], -1
                                        ; implicit-def: $vgpr4
.LBB182_1420:
	s_andn2_b64 vcc, exec, s[22:23]
	s_cbranch_vccnz .LBB182_1422
; %bb.1421:
	global_load_ubyte v0, v[0:1], off
	s_waitcnt vmcnt(0)
	v_cvt_f16_u16_e32 v4, v0
.LBB182_1422:
	s_or_b64 s[26:27], s[26:27], exec
.LBB182_1423:
	s_or_b64 exec, exec, s[4:5]
	s_mov_b64 s[28:29], 0
	s_mov_b64 s[24:25], 0
                                        ; implicit-def: $sgpr4_sgpr5
                                        ; implicit-def: $sgpr34
                                        ; implicit-def: $vgpr0_vgpr1
	s_and_saveexec_b64 s[22:23], s[26:27]
	s_cbranch_execz .LBB182_1498
; %bb.1424:
	s_waitcnt vmcnt(0)
	v_cmp_eq_f16_e32 vcc, v3, v4
	v_cndmask_b32_e64 v0, 0, 1, vcc
	v_cmp_neq_f16_e32 vcc, v3, v4
	v_mul_lo_u32 v2, v2, s12
	v_cndmask_b32_e64 v1, 0, 1, vcc
	v_cndmask_b32_e64 v0, v1, v0, s[0:1]
	v_and_b32_e32 v0, 1, v0
	v_cmp_eq_u32_e64 s[4:5], 1, v0
	v_ashrrev_i32_e32 v1, 31, v2
	v_mov_b32_e32 v3, s9
	s_and_b32 s34, s33, 0xff
	v_add_co_u32_e32 v0, vcc, s8, v2
	s_cmp_lt_i32 s34, 11
	v_addc_co_u32_e32 v1, vcc, v3, v1, vcc
	s_cbranch_scc1 .LBB182_1501
; %bb.1425:
	s_and_b32 s35, 0xffff, s34
	s_mov_b64 s[26:27], -1
	s_cmp_gt_i32 s35, 25
	s_mov_b64 s[0:1], s[20:21]
	s_cbranch_scc0 .LBB182_1458
; %bb.1426:
	s_mov_b64 s[24:25], -1
	s_cmp_gt_i32 s35, 28
	s_mov_b64 s[0:1], s[20:21]
	s_cbranch_scc0 .LBB182_1442
; %bb.1427:
	s_cmp_gt_i32 s35, 43
	s_mov_b64 s[0:1], s[20:21]
	s_cbranch_scc0 .LBB182_1438
; %bb.1428:
	;; [unrolled: 4-line block ×3, first 2 shown]
	s_cmp_eq_u32 s35, 46
	s_mov_b64 s[0:1], -1
	s_cbranch_scc0 .LBB182_1431
; %bb.1430:
	v_cndmask_b32_e64 v2, 0, 1.0, s[4:5]
	v_bfe_u32 v3, v2, 16, 1
	s_movk_i32 s0, 0x7fff
	v_add3_u32 v2, v2, v3, s0
	v_lshrrev_b32_e32 v2, 16, v2
	global_store_dword v[0:1], v2, off
	s_mov_b64 s[0:1], 0
.LBB182_1431:
	s_mov_b64 s[24:25], 0
.LBB182_1432:
	s_and_b64 vcc, exec, s[24:25]
	s_cbranch_vccz .LBB182_1437
; %bb.1433:
	s_cmp_eq_u32 s35, 44
	s_mov_b64 s[0:1], -1
	s_cbranch_scc0 .LBB182_1437
; %bb.1434:
	v_cndmask_b32_e64 v3, 0, 1.0, s[4:5]
	v_lshrrev_b32_e32 v2, 23, v3
	s_movk_i32 s0, 0xff
	v_cmp_ne_u32_e32 vcc, s0, v2
	v_mov_b32_e32 v4, 0xff
	s_and_saveexec_b64 s[24:25], vcc
; %bb.1435:
	s_mov_b32 s0, 0x3fffff
	v_and_b32_e32 v4, 0x400000, v3
	v_and_or_b32 v3, v3, s0, v2
	v_cmp_ne_u32_e32 vcc, 0, v4
	v_cmp_ne_u32_e64 s[0:1], 0, v3
	s_and_b64 s[0:1], vcc, s[0:1]
	v_cndmask_b32_e64 v3, 0, 1, s[0:1]
	v_add_u32_e32 v4, v2, v3
; %bb.1436:
	s_or_b64 exec, exec, s[24:25]
	s_mov_b64 s[0:1], 0
	global_store_byte v[0:1], v4, off
.LBB182_1437:
	s_mov_b64 s[24:25], 0
.LBB182_1438:
	s_and_b64 vcc, exec, s[24:25]
	s_cbranch_vccz .LBB182_1441
; %bb.1439:
	s_cmp_eq_u32 s35, 29
	s_mov_b64 s[0:1], -1
	s_cbranch_scc0 .LBB182_1441
; %bb.1440:
	s_mov_b32 s0, 0
	v_cndmask_b32_e64 v2, 0, 1, s[4:5]
	v_mov_b32_e32 v3, s0
	global_store_dwordx2 v[0:1], v[2:3], off
	s_mov_b64 s[0:1], 0
.LBB182_1441:
	s_mov_b64 s[24:25], 0
.LBB182_1442:
	s_and_b64 vcc, exec, s[24:25]
	s_cbranch_vccz .LBB182_1457
; %bb.1443:
	s_cmp_lt_i32 s35, 27
	s_mov_b64 s[24:25], -1
	s_cbranch_scc1 .LBB182_1449
; %bb.1444:
	s_cmp_gt_i32 s35, 27
	v_cndmask_b32_e64 v2, 0, 1, s[4:5]
	s_cbranch_scc0 .LBB182_1446
; %bb.1445:
	s_mov_b64 s[24:25], 0
	global_store_dword v[0:1], v2, off
.LBB182_1446:
	s_andn2_b64 vcc, exec, s[24:25]
	s_cbranch_vccnz .LBB182_1448
; %bb.1447:
	global_store_short v[0:1], v2, off
.LBB182_1448:
	s_mov_b64 s[24:25], 0
.LBB182_1449:
	s_andn2_b64 vcc, exec, s[24:25]
	s_cbranch_vccnz .LBB182_1457
; %bb.1450:
	v_cndmask_b32_e64 v3, 0, 1.0, s[4:5]
	s_mov_b32 s24, 0x43800000
	v_cmp_gt_u32_e32 vcc, s24, v3
	v_mov_b32_e32 v4, 0x80
	s_and_saveexec_b64 s[24:25], vcc
	s_cbranch_execz .LBB182_1456
; %bb.1451:
	s_mov_b32 s26, 0x3bffffff
	v_cmp_lt_u32_e32 vcc, s26, v3
	s_mov_b64 s[26:27], 0
                                        ; implicit-def: $vgpr2
	s_and_saveexec_b64 s[28:29], vcc
	s_xor_b64 s[28:29], exec, s[28:29]
	s_cbranch_execz .LBB182_1558
; %bb.1452:
	v_bfe_u32 v2, v3, 20, 1
	s_mov_b32 s30, 0x487ffff
	v_add3_u32 v2, v3, v2, s30
	s_mov_b64 s[26:27], exec
	v_lshrrev_b32_e32 v2, 20, v2
                                        ; implicit-def: $vgpr3
	s_andn2_saveexec_b64 s[28:29], s[28:29]
	s_cbranch_execnz .LBB182_1559
.LBB182_1453:
	s_or_b64 exec, exec, s[28:29]
	v_mov_b32_e32 v4, 0
	s_and_saveexec_b64 s[28:29], s[26:27]
.LBB182_1454:
	v_mov_b32_e32 v4, v2
.LBB182_1455:
	s_or_b64 exec, exec, s[28:29]
.LBB182_1456:
	s_or_b64 exec, exec, s[24:25]
	global_store_byte v[0:1], v4, off
.LBB182_1457:
	s_mov_b64 s[26:27], 0
.LBB182_1458:
	s_mov_b64 s[24:25], 0
	s_and_b64 vcc, exec, s[26:27]
	s_cbranch_vccz .LBB182_1502
; %bb.1459:
	s_cmp_gt_i32 s35, 22
	s_mov_b64 s[26:27], -1
	s_cbranch_scc0 .LBB182_1491
; %bb.1460:
	s_cmp_lt_i32 s35, 24
	s_cbranch_scc1 .LBB182_1480
; %bb.1461:
	s_cmp_gt_i32 s35, 24
	s_cbranch_scc0 .LBB182_1469
; %bb.1462:
	v_cndmask_b32_e64 v3, 0, 1.0, s[4:5]
	s_mov_b32 s26, 0x47800000
	v_cmp_gt_u32_e32 vcc, s26, v3
	v_mov_b32_e32 v4, 0x80
	s_and_saveexec_b64 s[26:27], vcc
	s_cbranch_execz .LBB182_1468
; %bb.1463:
	s_mov_b32 s28, 0x37ffffff
	v_cmp_lt_u32_e32 vcc, s28, v3
	s_mov_b64 s[28:29], 0
                                        ; implicit-def: $vgpr2
	s_and_saveexec_b64 s[30:31], vcc
	s_xor_b64 s[30:31], exec, s[30:31]
	s_cbranch_execz .LBB182_1683
; %bb.1464:
	v_bfe_u32 v2, v3, 21, 1
	s_mov_b32 s36, 0x88fffff
	v_add3_u32 v2, v3, v2, s36
	s_mov_b64 s[28:29], exec
	v_lshrrev_b32_e32 v2, 21, v2
                                        ; implicit-def: $vgpr3
	s_andn2_saveexec_b64 s[30:31], s[30:31]
	s_cbranch_execnz .LBB182_1684
.LBB182_1465:
	s_or_b64 exec, exec, s[30:31]
	v_mov_b32_e32 v4, 0
	s_and_saveexec_b64 s[30:31], s[28:29]
.LBB182_1466:
	v_mov_b32_e32 v4, v2
.LBB182_1467:
	s_or_b64 exec, exec, s[30:31]
.LBB182_1468:
	s_or_b64 exec, exec, s[26:27]
	s_mov_b64 s[26:27], 0
	global_store_byte v[0:1], v4, off
.LBB182_1469:
	s_and_b64 vcc, exec, s[26:27]
	s_cbranch_vccz .LBB182_1479
; %bb.1470:
	v_cndmask_b32_e64 v2, 0, 1.0, s[4:5]
	s_mov_b32 s26, 0x43f00000
	v_cmp_gt_u32_e32 vcc, s26, v2
                                        ; implicit-def: $vgpr3
	s_and_saveexec_b64 s[26:27], vcc
	s_xor_b64 s[26:27], exec, s[26:27]
	s_cbranch_execz .LBB182_1476
; %bb.1471:
	s_mov_b32 s28, 0x3c7fffff
	v_cmp_lt_u32_e32 vcc, s28, v2
                                        ; implicit-def: $vgpr3
	s_and_saveexec_b64 s[28:29], vcc
	s_xor_b64 s[28:29], exec, s[28:29]
; %bb.1472:
	v_bfe_u32 v3, v2, 20, 1
	s_mov_b32 s30, 0x407ffff
	v_add3_u32 v2, v2, v3, s30
	v_lshrrev_b32_e32 v3, 20, v2
	v_and_b32_e32 v2, 0xff00000, v2
	s_mov_b32 s30, 0x7f00000
	v_mov_b32_e32 v4, 0x7e
	v_cmp_ne_u32_e32 vcc, s30, v2
	v_cndmask_b32_e32 v3, v4, v3, vcc
                                        ; implicit-def: $vgpr2
; %bb.1473:
	s_andn2_saveexec_b64 s[28:29], s[28:29]
; %bb.1474:
	v_add_f32_e32 v3, 0x46800000, v2
; %bb.1475:
	s_or_b64 exec, exec, s[28:29]
                                        ; implicit-def: $vgpr2
.LBB182_1476:
	s_andn2_saveexec_b64 s[26:27], s[26:27]
; %bb.1477:
	s_mov_b32 s28, 0x7f800000
	v_mov_b32_e32 v3, 0x7e
	v_mov_b32_e32 v4, 0x7f
	v_cmp_lt_u32_e32 vcc, s28, v2
	v_cndmask_b32_e32 v3, v3, v4, vcc
; %bb.1478:
	s_or_b64 exec, exec, s[26:27]
	global_store_byte v[0:1], v3, off
.LBB182_1479:
	s_mov_b64 s[26:27], 0
.LBB182_1480:
	s_andn2_b64 vcc, exec, s[26:27]
	s_cbranch_vccnz .LBB182_1490
; %bb.1481:
	v_cndmask_b32_e64 v2, 0, 1.0, s[4:5]
	s_mov_b32 s26, 0x47800000
	v_cmp_gt_u32_e32 vcc, s26, v2
                                        ; implicit-def: $vgpr3
	s_and_saveexec_b64 s[26:27], vcc
	s_xor_b64 s[26:27], exec, s[26:27]
	s_cbranch_execz .LBB182_1487
; %bb.1482:
	s_mov_b32 s28, 0x387fffff
	v_cmp_lt_u32_e32 vcc, s28, v2
                                        ; implicit-def: $vgpr3
	s_and_saveexec_b64 s[28:29], vcc
	s_xor_b64 s[28:29], exec, s[28:29]
; %bb.1483:
	v_bfe_u32 v3, v2, 21, 1
	s_mov_b32 s30, 0x80fffff
	v_add3_u32 v2, v2, v3, s30
	v_lshrrev_b32_e32 v3, 21, v2
                                        ; implicit-def: $vgpr2
; %bb.1484:
	s_andn2_saveexec_b64 s[28:29], s[28:29]
; %bb.1485:
	v_add_f32_e32 v3, 0x43000000, v2
; %bb.1486:
	s_or_b64 exec, exec, s[28:29]
                                        ; implicit-def: $vgpr2
.LBB182_1487:
	s_andn2_saveexec_b64 s[26:27], s[26:27]
; %bb.1488:
	s_mov_b32 s28, 0x7f800000
	v_mov_b32_e32 v3, 0x7c
	v_mov_b32_e32 v4, 0x7f
	v_cmp_lt_u32_e32 vcc, s28, v2
	v_cndmask_b32_e32 v3, v3, v4, vcc
; %bb.1489:
	s_or_b64 exec, exec, s[26:27]
	global_store_byte v[0:1], v3, off
.LBB182_1490:
	s_mov_b64 s[26:27], 0
.LBB182_1491:
	s_andn2_b64 vcc, exec, s[26:27]
	s_mov_b64 s[26:27], 0
	s_cbranch_vccnz .LBB182_1503
; %bb.1492:
	s_cmp_gt_i32 s35, 14
	s_mov_b64 s[28:29], -1
	s_cbranch_scc0 .LBB182_1496
; %bb.1493:
	s_cmp_eq_u32 s35, 15
	s_mov_b64 s[0:1], -1
	s_cbranch_scc0 .LBB182_1495
; %bb.1494:
	v_cndmask_b32_e64 v2, 0, 1.0, s[4:5]
	v_bfe_u32 v3, v2, 16, 1
	s_movk_i32 s0, 0x7fff
	v_add3_u32 v2, v2, v3, s0
	global_store_short_d16_hi v[0:1], v2, off
	s_mov_b64 s[0:1], 0
.LBB182_1495:
	s_mov_b64 s[28:29], 0
.LBB182_1496:
	s_and_b64 vcc, exec, s[28:29]
	s_cbranch_vccz .LBB182_1503
; %bb.1497:
	s_cmp_lg_u32 s35, 11
	s_cselect_b64 s[28:29], -1, 0
	s_andn2_b64 s[0:1], s[0:1], exec
	s_and_b64 s[28:29], s[28:29], exec
	s_mov_b64 s[26:27], -1
	s_or_b64 s[0:1], s[0:1], s[28:29]
	s_branch .LBB182_1503
.LBB182_1498:
	s_or_b64 exec, exec, s[22:23]
	s_and_saveexec_b64 s[0:1], s[20:21]
	s_cbranch_execnz .LBB182_1504
.LBB182_1499:
	s_or_b64 exec, exec, s[0:1]
	s_and_saveexec_b64 s[0:1], s[28:29]
	s_xor_b64 s[0:1], exec, s[0:1]
	s_cbranch_execz .LBB182_1505
.LBB182_1500:
	v_cndmask_b32_e64 v2, 0, 1, s[4:5]
	global_store_byte v[0:1], v2, off
	s_or_b64 exec, exec, s[0:1]
	s_and_saveexec_b64 s[0:1], s[24:25]
	s_xor_b64 s[0:1], exec, s[0:1]
	s_cbranch_execz .LBB182_1543
	s_branch .LBB182_1506
.LBB182_1501:
	s_mov_b64 s[26:27], 0
	s_mov_b64 s[24:25], -1
	s_mov_b64 s[0:1], s[20:21]
	s_branch .LBB182_1503
.LBB182_1502:
	s_mov_b64 s[26:27], 0
.LBB182_1503:
	s_andn2_b64 s[20:21], s[20:21], exec
	s_and_b64 s[0:1], s[0:1], exec
	s_and_b64 s[24:25], s[24:25], exec
	s_and_b64 s[28:29], s[26:27], exec
	s_or_b64 s[20:21], s[20:21], s[0:1]
	s_or_b64 exec, exec, s[22:23]
	s_and_saveexec_b64 s[0:1], s[20:21]
	s_cbranch_execz .LBB182_1499
.LBB182_1504:
	s_or_b64 s[2:3], s[2:3], exec
	s_andn2_b64 s[28:29], s[28:29], exec
	s_trap 2
	s_or_b64 exec, exec, s[0:1]
	s_and_saveexec_b64 s[0:1], s[28:29]
	s_xor_b64 s[0:1], exec, s[0:1]
	s_cbranch_execnz .LBB182_1500
.LBB182_1505:
	s_or_b64 exec, exec, s[0:1]
	s_and_saveexec_b64 s[0:1], s[24:25]
	s_xor_b64 s[0:1], exec, s[0:1]
	s_cbranch_execz .LBB182_1543
.LBB182_1506:
	s_sext_i32_i16 s22, s34
	s_cmp_lt_i32 s22, 5
	s_mov_b64 s[20:21], -1
	s_cbranch_scc1 .LBB182_1527
; %bb.1507:
	s_cmp_lt_i32 s22, 8
	s_cbranch_scc1 .LBB182_1517
; %bb.1508:
	s_cmp_lt_i32 s22, 9
	s_cbranch_scc1 .LBB182_1514
; %bb.1509:
	s_cmp_gt_i32 s22, 9
	s_cbranch_scc0 .LBB182_1511
; %bb.1510:
	v_cndmask_b32_e64 v2, 0, 1, s[4:5]
	s_waitcnt vmcnt(0)
	v_cvt_f64_u32_e32 v[2:3], v2
	v_mov_b32_e32 v4, 0
	v_mov_b32_e32 v5, v4
	s_mov_b64 s[20:21], 0
	global_store_dwordx4 v[0:1], v[2:5], off
.LBB182_1511:
	s_andn2_b64 vcc, exec, s[20:21]
	s_cbranch_vccnz .LBB182_1513
; %bb.1512:
	v_cndmask_b32_e64 v2, 0, 1.0, s[4:5]
	s_waitcnt vmcnt(0)
	v_mov_b32_e32 v3, 0
	global_store_dwordx2 v[0:1], v[2:3], off
.LBB182_1513:
	s_mov_b64 s[20:21], 0
.LBB182_1514:
	s_andn2_b64 vcc, exec, s[20:21]
	s_cbranch_vccnz .LBB182_1516
; %bb.1515:
	v_cndmask_b32_e64 v2, 0, 1.0, s[4:5]
	v_cvt_f16_f32_e32 v2, v2
	global_store_dword v[0:1], v2, off
.LBB182_1516:
	s_mov_b64 s[20:21], 0
.LBB182_1517:
	s_andn2_b64 vcc, exec, s[20:21]
	s_cbranch_vccnz .LBB182_1526
; %bb.1518:
	s_sext_i32_i16 s22, s34
	s_cmp_lt_i32 s22, 6
	s_mov_b64 s[20:21], -1
	s_cbranch_scc1 .LBB182_1524
; %bb.1519:
	s_cmp_gt_i32 s22, 6
	s_cbranch_scc0 .LBB182_1521
; %bb.1520:
	v_cndmask_b32_e64 v2, 0, 1, s[4:5]
	s_waitcnt vmcnt(0)
	v_cvt_f64_u32_e32 v[2:3], v2
	s_mov_b64 s[20:21], 0
	global_store_dwordx2 v[0:1], v[2:3], off
.LBB182_1521:
	s_andn2_b64 vcc, exec, s[20:21]
	s_cbranch_vccnz .LBB182_1523
; %bb.1522:
	v_cndmask_b32_e64 v2, 0, 1.0, s[4:5]
	global_store_dword v[0:1], v2, off
.LBB182_1523:
	s_mov_b64 s[20:21], 0
.LBB182_1524:
	s_andn2_b64 vcc, exec, s[20:21]
	s_cbranch_vccnz .LBB182_1526
; %bb.1525:
	v_cndmask_b32_e64 v2, 0, 1.0, s[4:5]
	v_cvt_f16_f32_e32 v2, v2
	global_store_short v[0:1], v2, off
.LBB182_1526:
	s_mov_b64 s[20:21], 0
.LBB182_1527:
	s_andn2_b64 vcc, exec, s[20:21]
	s_cbranch_vccnz .LBB182_1543
; %bb.1528:
	s_sext_i32_i16 s22, s34
	s_cmp_lt_i32 s22, 2
	s_mov_b64 s[20:21], -1
	s_cbranch_scc1 .LBB182_1538
; %bb.1529:
	s_cmp_lt_i32 s22, 3
	s_cbranch_scc1 .LBB182_1535
; %bb.1530:
	s_cmp_gt_i32 s22, 3
	s_cbranch_scc0 .LBB182_1532
; %bb.1531:
	s_mov_b32 s20, 0
	v_cndmask_b32_e64 v2, 0, 1, s[4:5]
	s_waitcnt vmcnt(0)
	v_mov_b32_e32 v3, s20
	s_mov_b64 s[20:21], 0
	global_store_dwordx2 v[0:1], v[2:3], off
.LBB182_1532:
	s_andn2_b64 vcc, exec, s[20:21]
	s_cbranch_vccnz .LBB182_1534
; %bb.1533:
	v_cndmask_b32_e64 v2, 0, 1, s[4:5]
	global_store_dword v[0:1], v2, off
.LBB182_1534:
	s_mov_b64 s[20:21], 0
.LBB182_1535:
	s_andn2_b64 vcc, exec, s[20:21]
	s_cbranch_vccnz .LBB182_1537
; %bb.1536:
	v_cndmask_b32_e64 v2, 0, 1, s[4:5]
	global_store_short v[0:1], v2, off
.LBB182_1537:
	s_mov_b64 s[20:21], 0
.LBB182_1538:
	s_andn2_b64 vcc, exec, s[20:21]
	s_cbranch_vccnz .LBB182_1543
; %bb.1539:
	s_sext_i32_i16 s22, s34
	s_mov_b64 s[20:21], -1
	s_cmp_gt_i32 s22, 0
	v_cndmask_b32_e64 v2, 0, 1, s[4:5]
	s_cbranch_scc0 .LBB182_1541
; %bb.1540:
	s_mov_b64 s[20:21], 0
	global_store_byte v[0:1], v2, off
.LBB182_1541:
	s_andn2_b64 vcc, exec, s[20:21]
	s_cbranch_vccnz .LBB182_1543
; %bb.1542:
	global_store_byte v[0:1], v2, off
.LBB182_1543:
	s_or_b64 exec, exec, s[0:1]
	s_and_b64 s[20:21], s[2:3], exec
                                        ; implicit-def: $vgpr2
.LBB182_1544:
	s_or_saveexec_b64 s[18:19], s[18:19]
	s_mov_b64 s[0:1], 0
                                        ; implicit-def: $sgpr2_sgpr3
                                        ; implicit-def: $sgpr24
                                        ; implicit-def: $vgpr0_vgpr1
	s_xor_b64 exec, exec, s[18:19]
	s_cbranch_execz .LBB182_3014
; %bb.1545:
	v_mul_lo_u32 v5, s13, v2
	v_mov_b32_e32 v1, s11
	s_and_b32 s26, s57, 0xff
	s_cmp_lt_i32 s26, 11
	s_waitcnt vmcnt(0)
	v_ashrrev_i32_e32 v3, 31, v5
	v_add_co_u32_e32 v0, vcc, s10, v5
	v_addc_co_u32_e32 v1, vcc, v1, v3, vcc
	s_cbranch_scc1 .LBB182_1552
; %bb.1546:
	s_and_b32 s24, 0xffff, s26
	s_cmp_gt_i32 s24, 25
	s_mov_b64 s[2:3], 0
	s_cbranch_scc0 .LBB182_1554
; %bb.1547:
	s_cmp_gt_i32 s24, 28
	s_cbranch_scc0 .LBB182_1555
; %bb.1548:
	s_cmp_gt_i32 s24, 43
	;; [unrolled: 3-line block ×3, first 2 shown]
	s_cbranch_scc0 .LBB182_1557
; %bb.1550:
	s_cmp_eq_u32 s24, 46
	s_cbranch_scc0 .LBB182_1560
; %bb.1551:
	global_load_dword v3, v[0:1], off
	s_mov_b64 s[4:5], -1
	s_waitcnt vmcnt(0)
	v_lshlrev_b32_e32 v3, 16, v3
	v_cvt_f16_f32_e32 v3, v3
	s_branch .LBB182_1561
.LBB182_1552:
	s_mov_b64 s[4:5], 0
                                        ; implicit-def: $vgpr3
	s_mov_b64 s[22:23], s[20:21]
	s_cbranch_execnz .LBB182_1624
.LBB182_1553:
	s_andn2_b64 vcc, exec, s[4:5]
	s_cbranch_vccz .LBB182_1669
	s_branch .LBB182_3012
.LBB182_1554:
	s_mov_b64 s[4:5], 0
                                        ; implicit-def: $vgpr3
	s_cbranch_execnz .LBB182_1589
	s_branch .LBB182_1620
.LBB182_1555:
	s_mov_b64 s[6:7], -1
	s_mov_b64 s[4:5], 0
                                        ; implicit-def: $vgpr3
	s_branch .LBB182_1570
.LBB182_1556:
	s_mov_b64 s[4:5], 0
                                        ; implicit-def: $vgpr3
	s_cbranch_execnz .LBB182_1566
	s_branch .LBB182_1569
.LBB182_1557:
	s_mov_b64 s[6:7], -1
	s_mov_b64 s[4:5], 0
                                        ; implicit-def: $vgpr3
	s_branch .LBB182_1561
.LBB182_1558:
	s_andn2_saveexec_b64 s[28:29], s[28:29]
	s_cbranch_execz .LBB182_1453
.LBB182_1559:
	v_add_f32_e32 v2, 0x46000000, v3
	v_and_b32_e32 v2, 0xff, v2
	v_cmp_ne_u32_e32 vcc, 0, v2
	s_andn2_b64 s[26:27], s[26:27], exec
	s_and_b64 s[30:31], vcc, exec
	s_or_b64 s[26:27], s[26:27], s[30:31]
	s_or_b64 exec, exec, s[28:29]
	v_mov_b32_e32 v4, 0
	s_and_saveexec_b64 s[28:29], s[26:27]
	s_cbranch_execnz .LBB182_1454
	s_branch .LBB182_1455
.LBB182_1560:
	s_mov_b64 s[0:1], -1
                                        ; implicit-def: $vgpr3
	s_mov_b64 s[4:5], 0
.LBB182_1561:
	s_and_b64 vcc, exec, s[6:7]
	s_cbranch_vccz .LBB182_1564
; %bb.1562:
	s_cmp_eq_u32 s24, 44
	s_cbranch_scc0 .LBB182_1565
; %bb.1563:
	global_load_ubyte v3, v[0:1], off
	s_movk_i32 s4, 0xff
	v_mov_b32_e32 v6, 0x7e00
	s_mov_b64 s[0:1], 0
	s_waitcnt vmcnt(0)
	v_lshlrev_b32_e32 v4, 23, v3
	v_cvt_f16_f32_e32 v4, v4
	v_cmp_ne_u32_e32 vcc, s4, v3
	s_mov_b64 s[4:5], -1
	v_cndmask_b32_e32 v4, v6, v4, vcc
	v_cmp_ne_u32_e32 vcc, 0, v3
	v_cndmask_b32_e32 v3, 0, v4, vcc
.LBB182_1564:
	s_branch .LBB182_1569
.LBB182_1565:
	s_mov_b64 s[0:1], -1
                                        ; implicit-def: $vgpr3
	s_branch .LBB182_1569
.LBB182_1566:
	s_cmp_eq_u32 s24, 29
	s_cbranch_scc0 .LBB182_1568
; %bb.1567:
	global_load_dwordx2 v[3:4], v[0:1], off
	s_mov_b64 s[0:1], 0
	s_mov_b64 s[4:5], -1
	s_mov_b64 s[6:7], 0
	s_waitcnt vmcnt(0)
	v_ffbh_u32_e32 v6, v4
	v_min_u32_e32 v6, 32, v6
	v_lshlrev_b64 v[3:4], v6, v[3:4]
	v_min_u32_e32 v3, 1, v3
	v_or_b32_e32 v3, v4, v3
	v_cvt_f32_u32_e32 v3, v3
	v_sub_u32_e32 v4, 32, v6
	v_ldexp_f32 v3, v3, v4
	v_cvt_f16_f32_e32 v3, v3
	s_branch .LBB182_1570
.LBB182_1568:
	s_mov_b64 s[0:1], -1
                                        ; implicit-def: $vgpr3
.LBB182_1569:
	s_mov_b64 s[6:7], 0
.LBB182_1570:
	s_and_b64 vcc, exec, s[6:7]
	s_cbranch_vccz .LBB182_1588
; %bb.1571:
	s_cmp_lt_i32 s24, 27
	s_cbranch_scc1 .LBB182_1574
; %bb.1572:
	s_cmp_gt_i32 s24, 27
	s_cbranch_scc0 .LBB182_1575
; %bb.1573:
	global_load_dword v3, v[0:1], off
	s_mov_b64 s[4:5], 0
	s_waitcnt vmcnt(0)
	v_cvt_f32_u32_e32 v3, v3
	v_cvt_f16_f32_e32 v3, v3
	s_branch .LBB182_1576
.LBB182_1574:
	s_mov_b64 s[4:5], -1
                                        ; implicit-def: $vgpr3
	s_branch .LBB182_1579
.LBB182_1575:
	s_mov_b64 s[4:5], -1
                                        ; implicit-def: $vgpr3
.LBB182_1576:
	s_andn2_b64 vcc, exec, s[4:5]
	s_cbranch_vccnz .LBB182_1578
; %bb.1577:
	global_load_ushort v3, v[0:1], off
	s_waitcnt vmcnt(0)
	v_cvt_f16_u16_e32 v3, v3
.LBB182_1578:
	s_mov_b64 s[4:5], 0
.LBB182_1579:
	s_andn2_b64 vcc, exec, s[4:5]
	s_cbranch_vccnz .LBB182_1587
; %bb.1580:
	global_load_ubyte v4, v[0:1], off
	s_movk_i32 s4, 0x7f
	s_waitcnt vmcnt(0)
	v_cmp_lt_i16_e32 vcc, s4, v4
	s_mov_b64 s[4:5], 0
	s_and_saveexec_b64 s[6:7], vcc
	s_xor_b64 s[6:7], exec, s[6:7]
	s_cbranch_execz .LBB182_1600
; %bb.1581:
	s_movk_i32 s4, 0x80
	v_cmp_eq_u16_e32 vcc, s4, v4
	s_mov_b64 s[4:5], -1
	s_and_saveexec_b64 s[22:23], vcc
; %bb.1582:
	s_xor_b64 s[4:5], exec, -1
; %bb.1583:
	s_or_b64 exec, exec, s[22:23]
	s_and_b64 s[4:5], s[4:5], exec
	s_or_saveexec_b64 s[6:7], s[6:7]
	v_mov_b32_e32 v3, 0x7e00
	s_xor_b64 exec, exec, s[6:7]
	s_cbranch_execnz .LBB182_1601
.LBB182_1584:
	s_or_b64 exec, exec, s[6:7]
	s_and_saveexec_b64 s[6:7], s[4:5]
	s_cbranch_execz .LBB182_1586
.LBB182_1585:
	v_lshlrev_b32_e32 v3, 24, v4
	v_and_b32_e32 v4, 0xffff, v4
	v_and_b32_e32 v6, 7, v4
	v_ffbh_u32_e32 v8, v6
	v_min_u32_e32 v8, 32, v8
	v_subrev_u32_e32 v9, 28, v8
	v_bfe_u32 v7, v4, 3, 4
	v_lshlrev_b32_e32 v4, v9, v4
	v_sub_u32_e32 v8, 29, v8
	v_and_b32_e32 v4, 7, v4
	v_cmp_eq_u32_e32 vcc, 0, v7
	v_cndmask_b32_e32 v7, v7, v8, vcc
	v_cndmask_b32_e32 v4, v6, v4, vcc
	v_mov_b32_e32 v6, 0x3b800000
	v_lshlrev_b32_e32 v4, 20, v4
	v_and_b32_e32 v3, 0x80000000, v3
	v_lshl_add_u32 v6, v7, 23, v6
	v_or3_b32 v3, v3, v6, v4
	v_cvt_f16_f32_e32 v3, v3
.LBB182_1586:
	s_or_b64 exec, exec, s[6:7]
.LBB182_1587:
	s_mov_b64 s[4:5], -1
.LBB182_1588:
	s_branch .LBB182_1620
.LBB182_1589:
	s_cmp_gt_i32 s24, 22
	s_cbranch_scc0 .LBB182_1599
; %bb.1590:
	s_cmp_lt_i32 s24, 24
	s_cbranch_scc1 .LBB182_1602
; %bb.1591:
	s_cmp_gt_i32 s24, 24
	s_cbranch_scc0 .LBB182_1603
; %bb.1592:
	global_load_ubyte v4, v[0:1], off
	s_movk_i32 s2, 0x7f
	s_waitcnt vmcnt(0)
	v_cmp_lt_i16_e32 vcc, s2, v4
	s_mov_b64 s[2:3], 0
	s_and_saveexec_b64 s[4:5], vcc
	s_xor_b64 s[4:5], exec, s[4:5]
	s_cbranch_execz .LBB182_1614
; %bb.1593:
	s_movk_i32 s2, 0x80
	v_cmp_eq_u16_e32 vcc, s2, v4
	s_mov_b64 s[2:3], -1
	s_and_saveexec_b64 s[6:7], vcc
; %bb.1594:
	s_xor_b64 s[2:3], exec, -1
; %bb.1595:
	s_or_b64 exec, exec, s[6:7]
	s_and_b64 s[2:3], s[2:3], exec
	s_or_saveexec_b64 s[4:5], s[4:5]
	v_mov_b32_e32 v3, 0x7e00
	s_xor_b64 exec, exec, s[4:5]
	s_cbranch_execnz .LBB182_1615
.LBB182_1596:
	s_or_b64 exec, exec, s[4:5]
	s_and_saveexec_b64 s[4:5], s[2:3]
	s_cbranch_execz .LBB182_1598
.LBB182_1597:
	v_lshlrev_b32_e32 v3, 24, v4
	v_and_b32_e32 v4, 0xffff, v4
	v_and_b32_e32 v6, 3, v4
	v_ffbh_u32_e32 v8, v6
	v_min_u32_e32 v8, 32, v8
	v_subrev_u32_e32 v9, 29, v8
	v_bfe_u32 v7, v4, 2, 5
	v_lshlrev_b32_e32 v4, v9, v4
	v_sub_u32_e32 v8, 30, v8
	v_and_b32_e32 v4, 3, v4
	v_cmp_eq_u32_e32 vcc, 0, v7
	v_cndmask_b32_e32 v7, v7, v8, vcc
	v_cndmask_b32_e32 v4, v6, v4, vcc
	v_mov_b32_e32 v6, 0x37800000
	v_lshlrev_b32_e32 v4, 21, v4
	v_and_b32_e32 v3, 0x80000000, v3
	v_lshl_add_u32 v6, v7, 23, v6
	v_or3_b32 v3, v3, v6, v4
	v_cvt_f16_f32_e32 v3, v3
.LBB182_1598:
	s_or_b64 exec, exec, s[4:5]
	s_mov_b64 s[2:3], 0
	s_branch .LBB182_1604
.LBB182_1599:
                                        ; implicit-def: $vgpr3
	s_mov_b64 s[2:3], 0
	s_branch .LBB182_1610
.LBB182_1600:
	s_or_saveexec_b64 s[6:7], s[6:7]
	v_mov_b32_e32 v3, 0x7e00
	s_xor_b64 exec, exec, s[6:7]
	s_cbranch_execz .LBB182_1584
.LBB182_1601:
	v_cmp_ne_u16_e32 vcc, 0, v4
	s_andn2_b64 s[4:5], s[4:5], exec
	s_and_b64 s[22:23], vcc, exec
	s_or_b64 s[4:5], s[4:5], s[22:23]
	v_mov_b32_e32 v3, v4
	s_or_b64 exec, exec, s[6:7]
	s_and_saveexec_b64 s[6:7], s[4:5]
	s_cbranch_execnz .LBB182_1585
	s_branch .LBB182_1586
.LBB182_1602:
	s_mov_b64 s[2:3], -1
                                        ; implicit-def: $vgpr3
	s_branch .LBB182_1607
.LBB182_1603:
	s_mov_b64 s[2:3], -1
                                        ; implicit-def: $vgpr3
.LBB182_1604:
	s_and_b64 vcc, exec, s[2:3]
	s_cbranch_vccz .LBB182_1606
; %bb.1605:
	global_load_ubyte v3, v[0:1], off
	s_mov_b32 s2, 0x7f800000
	s_waitcnt vmcnt(0)
	v_lshlrev_b32_e32 v3, 24, v3
	v_and_b32_e32 v4, 0x7f000000, v3
	v_ffbh_u32_e32 v6, v4
	v_min_u32_e32 v6, 32, v6
	v_sub_u32_e64 v6, v6, 4 clamp
	v_lshlrev_b32_e32 v8, v6, v4
	v_lshlrev_b32_e32 v6, 23, v6
	v_lshrrev_b32_e32 v8, 4, v8
	v_add_u32_e32 v7, 0x1000000, v4
	v_sub_u32_e32 v6, v8, v6
	v_ashrrev_i32_e32 v7, 8, v7
	v_add_u32_e32 v6, 0x3c000000, v6
	v_and_or_b32 v6, v7, s2, v6
	v_cmp_ne_u32_e32 vcc, 0, v4
	v_cndmask_b32_e32 v4, 0, v6, vcc
	s_brev_b32 s2, 1
	v_and_or_b32 v3, v3, s2, v4
	v_cvt_f16_f32_e32 v3, v3
.LBB182_1606:
	s_mov_b64 s[2:3], 0
.LBB182_1607:
	s_andn2_b64 vcc, exec, s[2:3]
	s_cbranch_vccnz .LBB182_1609
; %bb.1608:
	global_load_ubyte v3, v[0:1], off
	s_movk_i32 s2, 0x7f00
	s_brev_b32 s3, 16
	s_waitcnt vmcnt(0)
	v_lshlrev_b16_e32 v4, 8, v3
	v_lshlrev_b32_e32 v3, 25, v3
	v_lshrrev_b32_e32 v6, 4, v3
	v_and_or_b32 v7, v4, s2, 0.5
	v_or_b32_e32 v6, 0x70000000, v6
	v_add_f32_e32 v7, -0.5, v7
	v_mul_f32_e32 v6, 0x7800000, v6
	v_cmp_gt_u32_e32 vcc, s3, v3
	v_bfe_i32 v4, v4, 0, 16
	v_cndmask_b32_e32 v3, v6, v7, vcc
	s_brev_b32 s2, 1
	v_and_or_b32 v3, v4, s2, v3
	v_cvt_f16_f32_e32 v3, v3
.LBB182_1609:
	s_mov_b64 s[4:5], -1
	s_mov_b64 s[2:3], 0
	s_cbranch_execnz .LBB182_1620
.LBB182_1610:
	s_cmp_gt_i32 s24, 14
	s_cbranch_scc0 .LBB182_1613
; %bb.1611:
	s_cmp_eq_u32 s24, 15
	s_cbranch_scc0 .LBB182_1616
; %bb.1612:
	global_load_ushort v3, v[0:1], off
	s_mov_b64 s[0:1], 0
	s_mov_b64 s[4:5], -1
	s_waitcnt vmcnt(0)
	v_lshlrev_b32_e32 v3, 16, v3
	v_cvt_f16_f32_e32 v3, v3
	s_branch .LBB182_1617
.LBB182_1613:
	s_mov_b64 s[6:7], -1
                                        ; implicit-def: $vgpr3
	s_branch .LBB182_1618
.LBB182_1614:
	s_or_saveexec_b64 s[4:5], s[4:5]
	v_mov_b32_e32 v3, 0x7e00
	s_xor_b64 exec, exec, s[4:5]
	s_cbranch_execz .LBB182_1596
.LBB182_1615:
	v_cmp_ne_u16_e32 vcc, 0, v4
	s_andn2_b64 s[2:3], s[2:3], exec
	s_and_b64 s[6:7], vcc, exec
	s_or_b64 s[2:3], s[2:3], s[6:7]
	v_mov_b32_e32 v3, v4
	s_or_b64 exec, exec, s[4:5]
	s_and_saveexec_b64 s[4:5], s[2:3]
	s_cbranch_execnz .LBB182_1597
	s_branch .LBB182_1598
.LBB182_1616:
	s_mov_b64 s[0:1], -1
                                        ; implicit-def: $vgpr3
.LBB182_1617:
	s_mov_b64 s[6:7], 0
.LBB182_1618:
	s_and_b64 vcc, exec, s[6:7]
	s_cbranch_vccz .LBB182_1620
; %bb.1619:
	s_cmp_lg_u32 s24, 11
	s_mov_b64 s[2:3], -1
	s_cselect_b64 s[0:1], -1, 0
.LBB182_1620:
	s_and_b64 vcc, exec, s[0:1]
	s_mov_b64 s[22:23], s[20:21]
	s_cbranch_vccnz .LBB182_1681
; %bb.1621:
	s_andn2_b64 vcc, exec, s[2:3]
	s_cbranch_vccnz .LBB182_1623
.LBB182_1622:
	global_load_ubyte v3, v[0:1], off
	v_mov_b32_e32 v4, 0x3c00
	s_mov_b64 s[4:5], -1
	s_waitcnt vmcnt(0)
	v_cmp_ne_u16_e32 vcc, 0, v3
	v_cndmask_b32_e32 v3, 0, v4, vcc
.LBB182_1623:
	s_branch .LBB182_1553
.LBB182_1624:
	s_and_b32 s2, 0xffff, s26
	s_cmp_lt_i32 s2, 5
	s_cbranch_scc1 .LBB182_1629
; %bb.1625:
	s_cmp_lt_i32 s2, 8
	s_cbranch_scc1 .LBB182_1630
; %bb.1626:
	;; [unrolled: 3-line block ×3, first 2 shown]
	s_cmp_gt_i32 s2, 9
	s_cbranch_scc0 .LBB182_1632
; %bb.1628:
	global_load_dwordx2 v[3:4], v[0:1], off
	s_movk_i32 s0, 0x1ff
	s_movk_i32 s1, 0xffe
	v_mov_b32_e32 v6, 0x7c00
	v_mov_b32_e32 v7, 0x7e00
	s_movk_i32 s3, 0x40f
	s_mov_b32 s4, 0x8000
	s_waitcnt vmcnt(0)
	v_and_or_b32 v3, v4, s0, v3
	v_cmp_ne_u32_e32 vcc, 0, v3
	v_lshrrev_b32_e32 v8, 8, v4
	v_bfe_u32 v9, v4, 20, 11
	v_cndmask_b32_e64 v3, 0, 1, vcc
	v_sub_u32_e32 v10, 0x3f1, v9
	v_and_or_b32 v3, v8, s1, v3
	v_add_u32_e32 v9, 0xfffffc10, v9
	v_med3_i32 v8, v10, 0, 13
	v_or_b32_e32 v10, 0x1000, v3
	v_cmp_ne_u32_e32 vcc, 0, v3
	v_lshl_or_b32 v11, v9, 12, v3
	v_cndmask_b32_e32 v3, v6, v7, vcc
	v_lshrrev_b32_e32 v7, v8, v10
	v_lshlrev_b32_e32 v8, v8, v7
	v_cmp_ne_u32_e32 vcc, v8, v10
	v_cndmask_b32_e64 v8, 0, 1, vcc
	v_or_b32_e32 v7, v7, v8
	v_cmp_gt_i32_e32 vcc, 1, v9
	v_cndmask_b32_e32 v7, v11, v7, vcc
	v_and_b32_e32 v8, 7, v7
	v_cmp_lt_i32_e32 vcc, 5, v8
	v_cndmask_b32_e64 v10, 0, 1, vcc
	v_cmp_eq_u32_e32 vcc, 3, v8
	v_cndmask_b32_e64 v8, 0, 1, vcc
	v_lshrrev_b32_e32 v7, 2, v7
	v_or_b32_e32 v8, v8, v10
	v_add_u32_e32 v7, v7, v8
	v_cmp_gt_i32_e32 vcc, 31, v9
	v_cndmask_b32_e32 v6, v6, v7, vcc
	v_cmp_eq_u32_e32 vcc, s3, v9
	v_lshrrev_b32_e32 v4, 16, v4
	v_cndmask_b32_e32 v3, v6, v3, vcc
	v_and_or_b32 v3, v4, s4, v3
	s_mov_b64 s[0:1], 0
	s_branch .LBB182_1633
.LBB182_1629:
                                        ; implicit-def: $vgpr3
	s_branch .LBB182_1650
.LBB182_1630:
                                        ; implicit-def: $vgpr3
	s_branch .LBB182_1639
.LBB182_1631:
	s_mov_b64 s[0:1], -1
                                        ; implicit-def: $vgpr3
	s_branch .LBB182_1636
.LBB182_1632:
	s_mov_b64 s[0:1], -1
                                        ; implicit-def: $vgpr3
.LBB182_1633:
	s_andn2_b64 vcc, exec, s[0:1]
	s_cbranch_vccnz .LBB182_1635
; %bb.1634:
	global_load_dword v3, v[0:1], off
	s_waitcnt vmcnt(0)
	v_cvt_f16_f32_e32 v3, v3
.LBB182_1635:
	s_mov_b64 s[0:1], 0
.LBB182_1636:
	s_andn2_b64 vcc, exec, s[0:1]
	s_cbranch_vccnz .LBB182_1638
; %bb.1637:
	global_load_dword v3, v[0:1], off
.LBB182_1638:
	s_cbranch_execnz .LBB182_1649
.LBB182_1639:
	s_cmp_lt_i32 s2, 6
	s_cbranch_scc1 .LBB182_1642
; %bb.1640:
	s_cmp_gt_i32 s2, 6
	s_cbranch_scc0 .LBB182_1643
; %bb.1641:
	global_load_dwordx2 v[3:4], v[0:1], off
	s_movk_i32 s0, 0x1ff
	s_movk_i32 s1, 0xffe
	v_mov_b32_e32 v6, 0x7c00
	v_mov_b32_e32 v7, 0x7e00
	s_movk_i32 s3, 0x40f
	s_mov_b32 s4, 0x8000
	s_waitcnt vmcnt(0)
	v_and_or_b32 v3, v4, s0, v3
	v_cmp_ne_u32_e32 vcc, 0, v3
	v_lshrrev_b32_e32 v8, 8, v4
	v_bfe_u32 v9, v4, 20, 11
	v_cndmask_b32_e64 v3, 0, 1, vcc
	v_sub_u32_e32 v10, 0x3f1, v9
	v_and_or_b32 v3, v8, s1, v3
	v_add_u32_e32 v9, 0xfffffc10, v9
	v_med3_i32 v8, v10, 0, 13
	v_or_b32_e32 v10, 0x1000, v3
	v_cmp_ne_u32_e32 vcc, 0, v3
	v_lshl_or_b32 v11, v9, 12, v3
	v_cndmask_b32_e32 v3, v6, v7, vcc
	v_lshrrev_b32_e32 v7, v8, v10
	v_lshlrev_b32_e32 v8, v8, v7
	v_cmp_ne_u32_e32 vcc, v8, v10
	v_cndmask_b32_e64 v8, 0, 1, vcc
	v_or_b32_e32 v7, v7, v8
	v_cmp_gt_i32_e32 vcc, 1, v9
	v_cndmask_b32_e32 v7, v11, v7, vcc
	v_and_b32_e32 v8, 7, v7
	v_cmp_lt_i32_e32 vcc, 5, v8
	v_cndmask_b32_e64 v10, 0, 1, vcc
	v_cmp_eq_u32_e32 vcc, 3, v8
	v_cndmask_b32_e64 v8, 0, 1, vcc
	v_lshrrev_b32_e32 v7, 2, v7
	v_or_b32_e32 v8, v8, v10
	v_add_u32_e32 v7, v7, v8
	v_cmp_gt_i32_e32 vcc, 31, v9
	v_cndmask_b32_e32 v6, v6, v7, vcc
	v_cmp_eq_u32_e32 vcc, s3, v9
	v_lshrrev_b32_e32 v4, 16, v4
	v_cndmask_b32_e32 v3, v6, v3, vcc
	v_and_or_b32 v3, v4, s4, v3
	s_mov_b64 s[0:1], 0
	s_branch .LBB182_1644
.LBB182_1642:
	s_mov_b64 s[0:1], -1
                                        ; implicit-def: $vgpr3
	s_branch .LBB182_1647
.LBB182_1643:
	s_mov_b64 s[0:1], -1
                                        ; implicit-def: $vgpr3
.LBB182_1644:
	s_andn2_b64 vcc, exec, s[0:1]
	s_cbranch_vccnz .LBB182_1646
; %bb.1645:
	global_load_dword v3, v[0:1], off
	s_waitcnt vmcnt(0)
	v_cvt_f16_f32_e32 v3, v3
.LBB182_1646:
	s_mov_b64 s[0:1], 0
.LBB182_1647:
	s_andn2_b64 vcc, exec, s[0:1]
	s_cbranch_vccnz .LBB182_1649
; %bb.1648:
	global_load_ushort v3, v[0:1], off
.LBB182_1649:
	s_cbranch_execnz .LBB182_1668
.LBB182_1650:
	s_cmp_lt_i32 s2, 2
	s_cbranch_scc1 .LBB182_1654
; %bb.1651:
	s_cmp_lt_i32 s2, 3
	s_cbranch_scc1 .LBB182_1655
; %bb.1652:
	s_cmp_gt_i32 s2, 3
	s_cbranch_scc0 .LBB182_1656
; %bb.1653:
	global_load_dwordx2 v[3:4], v[0:1], off
	s_mov_b64 s[0:1], 0
	s_waitcnt vmcnt(0)
	v_xor_b32_e32 v7, v3, v4
	v_ffbh_i32_e32 v6, v4
	v_ashrrev_i32_e32 v7, 31, v7
	v_add_u32_e32 v6, -1, v6
	v_add_u32_e32 v7, 32, v7
	v_min_u32_e32 v6, v6, v7
	v_lshlrev_b64 v[3:4], v6, v[3:4]
	v_min_u32_e32 v3, 1, v3
	v_or_b32_e32 v3, v4, v3
	v_cvt_f32_i32_e32 v3, v3
	v_sub_u32_e32 v4, 32, v6
	v_ldexp_f32 v3, v3, v4
	v_cvt_f16_f32_e32 v3, v3
	s_branch .LBB182_1657
.LBB182_1654:
                                        ; implicit-def: $vgpr3
	s_branch .LBB182_1663
.LBB182_1655:
	s_mov_b64 s[0:1], -1
                                        ; implicit-def: $vgpr3
	s_branch .LBB182_1660
.LBB182_1656:
	s_mov_b64 s[0:1], -1
                                        ; implicit-def: $vgpr3
.LBB182_1657:
	s_andn2_b64 vcc, exec, s[0:1]
	s_cbranch_vccnz .LBB182_1659
; %bb.1658:
	global_load_dword v3, v[0:1], off
	s_waitcnt vmcnt(0)
	v_cvt_f32_i32_e32 v3, v3
	v_cvt_f16_f32_e32 v3, v3
.LBB182_1659:
	s_mov_b64 s[0:1], 0
.LBB182_1660:
	s_andn2_b64 vcc, exec, s[0:1]
	s_cbranch_vccnz .LBB182_1662
; %bb.1661:
	global_load_ushort v3, v[0:1], off
	s_waitcnt vmcnt(0)
	v_cvt_f16_i16_e32 v3, v3
.LBB182_1662:
	s_cbranch_execnz .LBB182_1668
.LBB182_1663:
	s_cmp_gt_i32 s2, 0
	s_cbranch_scc0 .LBB182_1665
; %bb.1664:
	global_load_sbyte v3, v[0:1], off
	s_mov_b64 s[0:1], 0
	s_waitcnt vmcnt(0)
	v_cvt_f16_i16_e32 v3, v3
	s_branch .LBB182_1666
.LBB182_1665:
	s_mov_b64 s[0:1], -1
                                        ; implicit-def: $vgpr3
.LBB182_1666:
	s_andn2_b64 vcc, exec, s[0:1]
	s_cbranch_vccnz .LBB182_1668
; %bb.1667:
	global_load_ubyte v0, v[0:1], off
	s_waitcnt vmcnt(0)
	v_cvt_f16_u16_e32 v3, v0
.LBB182_1668:
.LBB182_1669:
	v_mul_lo_u32 v6, s14, v2
	v_mov_b32_e32 v1, s17
	s_and_b32 s27, s56, 0xff
	s_cmp_lt_i32 s27, 11
	v_ashrrev_i32_e32 v4, 31, v6
	v_add_co_u32_e32 v0, vcc, s16, v6
	v_addc_co_u32_e32 v1, vcc, v1, v4, vcc
	s_cbranch_scc1 .LBB182_1676
; %bb.1670:
	s_and_b32 s28, 0xffff, s27
	s_cmp_gt_i32 s28, 25
	s_mov_b64 s[2:3], 0
	s_cbranch_scc0 .LBB182_1678
; %bb.1671:
	s_cmp_gt_i32 s28, 28
	s_cbranch_scc0 .LBB182_1679
; %bb.1672:
	s_cmp_gt_i32 s28, 43
	;; [unrolled: 3-line block ×3, first 2 shown]
	s_cbranch_scc0 .LBB182_1682
; %bb.1674:
	s_cmp_eq_u32 s28, 46
	s_mov_b64 s[6:7], 0
	s_cbranch_scc0 .LBB182_1685
; %bb.1675:
	global_load_dword v4, v[0:1], off
	s_mov_b64 s[0:1], 0
	s_mov_b64 s[4:5], -1
	s_waitcnt vmcnt(0)
	v_lshlrev_b32_e32 v4, 16, v4
	v_cvt_f16_f32_e32 v4, v4
	s_branch .LBB182_1686
.LBB182_1676:
	s_mov_b64 s[4:5], 0
                                        ; implicit-def: $vgpr4
	s_cbranch_execnz .LBB182_1751
.LBB182_1677:
	s_andn2_b64 vcc, exec, s[4:5]
	s_cbranch_vccnz .LBB182_3012
	s_branch .LBB182_1798
.LBB182_1678:
	s_mov_b64 s[4:5], 0
	s_mov_b64 s[0:1], 0
                                        ; implicit-def: $vgpr4
	s_cbranch_execnz .LBB182_1715
	s_branch .LBB182_1747
.LBB182_1679:
	s_mov_b64 s[6:7], -1
	s_mov_b64 s[4:5], 0
	s_mov_b64 s[0:1], 0
                                        ; implicit-def: $vgpr4
	s_branch .LBB182_1696
.LBB182_1680:
	s_mov_b64 s[6:7], -1
	s_mov_b64 s[4:5], 0
	s_mov_b64 s[0:1], 0
                                        ; implicit-def: $vgpr4
	s_branch .LBB182_1691
.LBB182_1681:
	s_or_b64 s[22:23], s[20:21], exec
	s_trap 2
	s_cbranch_execz .LBB182_1622
	s_branch .LBB182_1623
.LBB182_1682:
	s_mov_b64 s[6:7], -1
	s_mov_b64 s[4:5], 0
	s_mov_b64 s[0:1], 0
                                        ; implicit-def: $vgpr4
	s_branch .LBB182_1686
.LBB182_1683:
	s_andn2_saveexec_b64 s[30:31], s[30:31]
	s_cbranch_execz .LBB182_1465
.LBB182_1684:
	v_add_f32_e32 v2, 0x42800000, v3
	v_and_b32_e32 v2, 0xff, v2
	v_cmp_ne_u32_e32 vcc, 0, v2
	s_andn2_b64 s[28:29], s[28:29], exec
	s_and_b64 s[36:37], vcc, exec
	s_or_b64 s[28:29], s[28:29], s[36:37]
	s_or_b64 exec, exec, s[30:31]
	v_mov_b32_e32 v4, 0
	s_and_saveexec_b64 s[30:31], s[28:29]
	s_cbranch_execnz .LBB182_1466
	s_branch .LBB182_1467
.LBB182_1685:
	s_mov_b64 s[0:1], -1
                                        ; implicit-def: $vgpr4
	s_mov_b64 s[4:5], 0
.LBB182_1686:
	s_and_b64 vcc, exec, s[6:7]
	s_cbranch_vccz .LBB182_1690
; %bb.1687:
	s_cmp_eq_u32 s28, 44
	s_cbranch_scc0 .LBB182_1689
; %bb.1688:
	global_load_ubyte v4, v[0:1], off
	s_movk_i32 s4, 0xff
	v_mov_b32_e32 v8, 0x7e00
	s_mov_b64 s[0:1], 0
	s_waitcnt vmcnt(0)
	v_lshlrev_b32_e32 v7, 23, v4
	v_cvt_f16_f32_e32 v7, v7
	v_cmp_ne_u32_e32 vcc, s4, v4
	s_mov_b64 s[4:5], -1
	v_cndmask_b32_e32 v7, v8, v7, vcc
	v_cmp_ne_u32_e32 vcc, 0, v4
	v_cndmask_b32_e32 v4, 0, v7, vcc
	s_branch .LBB182_1690
.LBB182_1689:
	s_mov_b64 s[0:1], -1
                                        ; implicit-def: $vgpr4
.LBB182_1690:
	s_mov_b64 s[6:7], 0
.LBB182_1691:
	s_and_b64 vcc, exec, s[6:7]
	s_cbranch_vccz .LBB182_1695
; %bb.1692:
	s_cmp_eq_u32 s28, 29
	s_cbranch_scc0 .LBB182_1694
; %bb.1693:
	global_load_dwordx2 v[7:8], v[0:1], off
	s_mov_b64 s[0:1], 0
	s_mov_b64 s[4:5], -1
	s_mov_b64 s[6:7], 0
	s_waitcnt vmcnt(0)
	v_ffbh_u32_e32 v4, v8
	v_min_u32_e32 v4, 32, v4
	v_lshlrev_b64 v[7:8], v4, v[7:8]
	v_sub_u32_e32 v4, 32, v4
	v_min_u32_e32 v7, 1, v7
	v_or_b32_e32 v7, v8, v7
	v_cvt_f32_u32_e32 v7, v7
	v_ldexp_f32 v4, v7, v4
	v_cvt_f16_f32_e32 v4, v4
	s_branch .LBB182_1696
.LBB182_1694:
	s_mov_b64 s[0:1], -1
                                        ; implicit-def: $vgpr4
.LBB182_1695:
	s_mov_b64 s[6:7], 0
.LBB182_1696:
	s_and_b64 vcc, exec, s[6:7]
	s_cbranch_vccz .LBB182_1714
; %bb.1697:
	s_cmp_lt_i32 s28, 27
	s_cbranch_scc1 .LBB182_1700
; %bb.1698:
	s_cmp_gt_i32 s28, 27
	s_cbranch_scc0 .LBB182_1701
; %bb.1699:
	global_load_dword v4, v[0:1], off
	s_mov_b64 s[4:5], 0
	s_waitcnt vmcnt(0)
	v_cvt_f32_u32_e32 v4, v4
	v_cvt_f16_f32_e32 v4, v4
	s_branch .LBB182_1702
.LBB182_1700:
	s_mov_b64 s[4:5], -1
                                        ; implicit-def: $vgpr4
	s_branch .LBB182_1705
.LBB182_1701:
	s_mov_b64 s[4:5], -1
                                        ; implicit-def: $vgpr4
.LBB182_1702:
	s_andn2_b64 vcc, exec, s[4:5]
	s_cbranch_vccnz .LBB182_1704
; %bb.1703:
	global_load_ushort v4, v[0:1], off
	s_waitcnt vmcnt(0)
	v_cvt_f16_u16_e32 v4, v4
.LBB182_1704:
	s_mov_b64 s[4:5], 0
.LBB182_1705:
	s_andn2_b64 vcc, exec, s[4:5]
	s_cbranch_vccnz .LBB182_1713
; %bb.1706:
	global_load_ubyte v7, v[0:1], off
	s_movk_i32 s4, 0x7f
	s_waitcnt vmcnt(0)
	v_cmp_lt_i16_e32 vcc, s4, v7
	s_mov_b64 s[4:5], 0
	s_and_saveexec_b64 s[6:7], vcc
	s_xor_b64 s[6:7], exec, s[6:7]
	s_cbranch_execz .LBB182_1726
; %bb.1707:
	s_movk_i32 s4, 0x80
	v_cmp_eq_u16_e32 vcc, s4, v7
	s_mov_b64 s[4:5], -1
	s_and_saveexec_b64 s[24:25], vcc
; %bb.1708:
	s_xor_b64 s[4:5], exec, -1
; %bb.1709:
	s_or_b64 exec, exec, s[24:25]
	s_and_b64 s[4:5], s[4:5], exec
	s_or_saveexec_b64 s[6:7], s[6:7]
	v_mov_b32_e32 v4, 0x7e00
	s_xor_b64 exec, exec, s[6:7]
	s_cbranch_execnz .LBB182_1727
.LBB182_1710:
	s_or_b64 exec, exec, s[6:7]
	s_and_saveexec_b64 s[6:7], s[4:5]
	s_cbranch_execz .LBB182_1712
.LBB182_1711:
	v_lshlrev_b32_e32 v4, 24, v7
	v_and_b32_e32 v7, 0xffff, v7
	v_and_b32_e32 v8, 7, v7
	v_ffbh_u32_e32 v10, v8
	v_min_u32_e32 v10, 32, v10
	v_subrev_u32_e32 v11, 28, v10
	v_bfe_u32 v9, v7, 3, 4
	v_lshlrev_b32_e32 v7, v11, v7
	v_sub_u32_e32 v10, 29, v10
	v_and_b32_e32 v7, 7, v7
	v_cmp_eq_u32_e32 vcc, 0, v9
	v_cndmask_b32_e32 v9, v9, v10, vcc
	v_cndmask_b32_e32 v7, v8, v7, vcc
	v_mov_b32_e32 v8, 0x3b800000
	v_lshlrev_b32_e32 v7, 20, v7
	v_and_b32_e32 v4, 0x80000000, v4
	v_lshl_add_u32 v8, v9, 23, v8
	v_or3_b32 v4, v4, v8, v7
	v_cvt_f16_f32_e32 v4, v4
.LBB182_1712:
	s_or_b64 exec, exec, s[6:7]
.LBB182_1713:
	s_mov_b64 s[4:5], -1
.LBB182_1714:
	s_branch .LBB182_1747
.LBB182_1715:
	s_cmp_gt_i32 s28, 22
	s_cbranch_scc0 .LBB182_1725
; %bb.1716:
	s_cmp_lt_i32 s28, 24
	s_cbranch_scc1 .LBB182_1728
; %bb.1717:
	s_cmp_gt_i32 s28, 24
	s_cbranch_scc0 .LBB182_1729
; %bb.1718:
	global_load_ubyte v7, v[0:1], off
	s_movk_i32 s2, 0x7f
	s_waitcnt vmcnt(0)
	v_cmp_lt_i16_e32 vcc, s2, v7
	s_mov_b64 s[2:3], 0
	s_and_saveexec_b64 s[4:5], vcc
	s_xor_b64 s[4:5], exec, s[4:5]
	s_cbranch_execz .LBB182_1741
; %bb.1719:
	s_movk_i32 s2, 0x80
	v_cmp_eq_u16_e32 vcc, s2, v7
	s_mov_b64 s[2:3], -1
	s_and_saveexec_b64 s[6:7], vcc
; %bb.1720:
	s_xor_b64 s[2:3], exec, -1
; %bb.1721:
	s_or_b64 exec, exec, s[6:7]
	s_and_b64 s[2:3], s[2:3], exec
	s_or_saveexec_b64 s[4:5], s[4:5]
	v_mov_b32_e32 v4, 0x7e00
	s_xor_b64 exec, exec, s[4:5]
	s_cbranch_execnz .LBB182_1742
.LBB182_1722:
	s_or_b64 exec, exec, s[4:5]
	s_and_saveexec_b64 s[4:5], s[2:3]
	s_cbranch_execz .LBB182_1724
.LBB182_1723:
	v_lshlrev_b32_e32 v4, 24, v7
	v_and_b32_e32 v7, 0xffff, v7
	v_and_b32_e32 v8, 3, v7
	v_ffbh_u32_e32 v10, v8
	v_min_u32_e32 v10, 32, v10
	v_subrev_u32_e32 v11, 29, v10
	v_bfe_u32 v9, v7, 2, 5
	v_lshlrev_b32_e32 v7, v11, v7
	v_sub_u32_e32 v10, 30, v10
	v_and_b32_e32 v7, 3, v7
	v_cmp_eq_u32_e32 vcc, 0, v9
	v_cndmask_b32_e32 v9, v9, v10, vcc
	v_cndmask_b32_e32 v7, v8, v7, vcc
	v_mov_b32_e32 v8, 0x37800000
	v_lshlrev_b32_e32 v7, 21, v7
	v_and_b32_e32 v4, 0x80000000, v4
	v_lshl_add_u32 v8, v9, 23, v8
	v_or3_b32 v4, v4, v8, v7
	v_cvt_f16_f32_e32 v4, v4
.LBB182_1724:
	s_or_b64 exec, exec, s[4:5]
	s_mov_b64 s[2:3], 0
	s_branch .LBB182_1730
.LBB182_1725:
	s_mov_b64 s[2:3], -1
                                        ; implicit-def: $vgpr4
	s_branch .LBB182_1736
.LBB182_1726:
	s_or_saveexec_b64 s[6:7], s[6:7]
	v_mov_b32_e32 v4, 0x7e00
	s_xor_b64 exec, exec, s[6:7]
	s_cbranch_execz .LBB182_1710
.LBB182_1727:
	v_cmp_ne_u16_e32 vcc, 0, v7
	s_andn2_b64 s[4:5], s[4:5], exec
	s_and_b64 s[24:25], vcc, exec
	s_or_b64 s[4:5], s[4:5], s[24:25]
	v_mov_b32_e32 v4, v7
	s_or_b64 exec, exec, s[6:7]
	s_and_saveexec_b64 s[6:7], s[4:5]
	s_cbranch_execnz .LBB182_1711
	s_branch .LBB182_1712
.LBB182_1728:
	s_mov_b64 s[2:3], -1
                                        ; implicit-def: $vgpr4
	s_branch .LBB182_1733
.LBB182_1729:
	s_mov_b64 s[2:3], -1
                                        ; implicit-def: $vgpr4
.LBB182_1730:
	s_and_b64 vcc, exec, s[2:3]
	s_cbranch_vccz .LBB182_1732
; %bb.1731:
	global_load_ubyte v4, v[0:1], off
	s_mov_b32 s2, 0x7f800000
	s_waitcnt vmcnt(0)
	v_lshlrev_b32_e32 v4, 24, v4
	v_and_b32_e32 v7, 0x7f000000, v4
	v_ffbh_u32_e32 v8, v7
	v_min_u32_e32 v8, 32, v8
	v_sub_u32_e64 v8, v8, 4 clamp
	v_lshlrev_b32_e32 v10, v8, v7
	v_lshlrev_b32_e32 v8, 23, v8
	v_lshrrev_b32_e32 v10, 4, v10
	v_add_u32_e32 v9, 0x1000000, v7
	v_sub_u32_e32 v8, v10, v8
	v_ashrrev_i32_e32 v9, 8, v9
	v_add_u32_e32 v8, 0x3c000000, v8
	v_and_or_b32 v8, v9, s2, v8
	v_cmp_ne_u32_e32 vcc, 0, v7
	v_cndmask_b32_e32 v7, 0, v8, vcc
	s_brev_b32 s2, 1
	v_and_or_b32 v4, v4, s2, v7
	v_cvt_f16_f32_e32 v4, v4
.LBB182_1732:
	s_mov_b64 s[2:3], 0
.LBB182_1733:
	s_andn2_b64 vcc, exec, s[2:3]
	s_cbranch_vccnz .LBB182_1735
; %bb.1734:
	global_load_ubyte v4, v[0:1], off
	s_movk_i32 s2, 0x7f00
	s_brev_b32 s3, 16
	s_waitcnt vmcnt(0)
	v_lshlrev_b16_e32 v7, 8, v4
	v_lshlrev_b32_e32 v4, 25, v4
	v_lshrrev_b32_e32 v8, 4, v4
	v_and_or_b32 v9, v7, s2, 0.5
	v_or_b32_e32 v8, 0x70000000, v8
	v_add_f32_e32 v9, -0.5, v9
	v_mul_f32_e32 v8, 0x7800000, v8
	v_cmp_gt_u32_e32 vcc, s3, v4
	v_bfe_i32 v7, v7, 0, 16
	v_cndmask_b32_e32 v4, v8, v9, vcc
	s_brev_b32 s2, 1
	v_and_or_b32 v4, v7, s2, v4
	v_cvt_f16_f32_e32 v4, v4
.LBB182_1735:
	s_mov_b64 s[2:3], 0
	s_mov_b64 s[4:5], -1
.LBB182_1736:
	s_andn2_b64 vcc, exec, s[2:3]
	s_mov_b64 s[2:3], 0
	s_cbranch_vccnz .LBB182_1747
; %bb.1737:
	s_cmp_gt_i32 s28, 14
	s_cbranch_scc0 .LBB182_1740
; %bb.1738:
	s_cmp_eq_u32 s28, 15
	s_cbranch_scc0 .LBB182_1743
; %bb.1739:
	global_load_ushort v4, v[0:1], off
	s_mov_b64 s[0:1], 0
	s_mov_b64 s[4:5], -1
	s_waitcnt vmcnt(0)
	v_lshlrev_b32_e32 v4, 16, v4
	v_cvt_f16_f32_e32 v4, v4
	s_branch .LBB182_1744
.LBB182_1740:
	s_mov_b64 s[6:7], -1
                                        ; implicit-def: $vgpr4
	s_branch .LBB182_1745
.LBB182_1741:
	s_or_saveexec_b64 s[4:5], s[4:5]
	v_mov_b32_e32 v4, 0x7e00
	s_xor_b64 exec, exec, s[4:5]
	s_cbranch_execz .LBB182_1722
.LBB182_1742:
	v_cmp_ne_u16_e32 vcc, 0, v7
	s_andn2_b64 s[2:3], s[2:3], exec
	s_and_b64 s[6:7], vcc, exec
	s_or_b64 s[2:3], s[2:3], s[6:7]
	v_mov_b32_e32 v4, v7
	s_or_b64 exec, exec, s[4:5]
	s_and_saveexec_b64 s[4:5], s[2:3]
	s_cbranch_execnz .LBB182_1723
	s_branch .LBB182_1724
.LBB182_1743:
	s_mov_b64 s[0:1], -1
                                        ; implicit-def: $vgpr4
.LBB182_1744:
	s_mov_b64 s[6:7], 0
.LBB182_1745:
	s_and_b64 vcc, exec, s[6:7]
	s_cbranch_vccz .LBB182_1747
; %bb.1746:
	s_cmp_lg_u32 s28, 11
	s_mov_b64 s[2:3], -1
	s_cselect_b64 s[0:1], -1, 0
.LBB182_1747:
	s_and_b64 vcc, exec, s[0:1]
	s_cbranch_vccnz .LBB182_1810
; %bb.1748:
	s_andn2_b64 vcc, exec, s[2:3]
	s_cbranch_vccnz .LBB182_1750
.LBB182_1749:
	global_load_ubyte v4, v[0:1], off
	v_mov_b32_e32 v7, 0x3c00
	s_mov_b64 s[4:5], -1
	s_waitcnt vmcnt(0)
	v_cmp_ne_u16_e32 vcc, 0, v4
	v_cndmask_b32_e32 v4, 0, v7, vcc
.LBB182_1750:
	s_branch .LBB182_1677
.LBB182_1751:
	s_and_b32 s2, 0xffff, s27
	s_cmp_lt_i32 s2, 5
	s_cbranch_scc1 .LBB182_1756
; %bb.1752:
	s_cmp_lt_i32 s2, 8
	s_cbranch_scc1 .LBB182_1757
; %bb.1753:
	;; [unrolled: 3-line block ×3, first 2 shown]
	s_cmp_gt_i32 s2, 9
	s_cbranch_scc0 .LBB182_1759
; %bb.1755:
	global_load_dwordx2 v[7:8], v[0:1], off
	s_movk_i32 s0, 0x1ff
	s_movk_i32 s1, 0xffe
	v_mov_b32_e32 v4, 0x7c00
	v_mov_b32_e32 v9, 0x7e00
	s_movk_i32 s3, 0x40f
	s_mov_b32 s4, 0x8000
	s_waitcnt vmcnt(0)
	v_and_or_b32 v7, v8, s0, v7
	v_cmp_ne_u32_e32 vcc, 0, v7
	v_lshrrev_b32_e32 v10, 8, v8
	v_bfe_u32 v11, v8, 20, 11
	v_cndmask_b32_e64 v7, 0, 1, vcc
	v_sub_u32_e32 v12, 0x3f1, v11
	v_and_or_b32 v7, v10, s1, v7
	v_add_u32_e32 v11, 0xfffffc10, v11
	v_med3_i32 v10, v12, 0, 13
	v_or_b32_e32 v12, 0x1000, v7
	v_cmp_ne_u32_e32 vcc, 0, v7
	v_lshl_or_b32 v13, v11, 12, v7
	v_cndmask_b32_e32 v7, v4, v9, vcc
	v_lshrrev_b32_e32 v9, v10, v12
	v_lshlrev_b32_e32 v10, v10, v9
	v_cmp_ne_u32_e32 vcc, v10, v12
	v_cndmask_b32_e64 v10, 0, 1, vcc
	v_or_b32_e32 v9, v9, v10
	v_cmp_gt_i32_e32 vcc, 1, v11
	v_cndmask_b32_e32 v9, v13, v9, vcc
	v_and_b32_e32 v10, 7, v9
	v_cmp_lt_i32_e32 vcc, 5, v10
	v_cndmask_b32_e64 v12, 0, 1, vcc
	v_cmp_eq_u32_e32 vcc, 3, v10
	v_cndmask_b32_e64 v10, 0, 1, vcc
	v_lshrrev_b32_e32 v9, 2, v9
	v_or_b32_e32 v10, v10, v12
	v_add_u32_e32 v9, v9, v10
	v_cmp_gt_i32_e32 vcc, 31, v11
	v_cndmask_b32_e32 v4, v4, v9, vcc
	v_cmp_eq_u32_e32 vcc, s3, v11
	v_lshrrev_b32_e32 v8, 16, v8
	v_cndmask_b32_e32 v4, v4, v7, vcc
	v_and_or_b32 v4, v8, s4, v4
	s_mov_b64 s[0:1], 0
	s_branch .LBB182_1760
.LBB182_1756:
                                        ; implicit-def: $vgpr4
	s_branch .LBB182_1778
.LBB182_1757:
	s_mov_b64 s[0:1], -1
                                        ; implicit-def: $vgpr4
	s_branch .LBB182_1766
.LBB182_1758:
	s_mov_b64 s[0:1], -1
                                        ; implicit-def: $vgpr4
	s_branch .LBB182_1763
.LBB182_1759:
	s_mov_b64 s[0:1], -1
                                        ; implicit-def: $vgpr4
.LBB182_1760:
	s_andn2_b64 vcc, exec, s[0:1]
	s_cbranch_vccnz .LBB182_1762
; %bb.1761:
	global_load_dword v4, v[0:1], off
	s_waitcnt vmcnt(0)
	v_cvt_f16_f32_e32 v4, v4
.LBB182_1762:
	s_mov_b64 s[0:1], 0
.LBB182_1763:
	s_andn2_b64 vcc, exec, s[0:1]
	s_cbranch_vccnz .LBB182_1765
; %bb.1764:
	global_load_dword v4, v[0:1], off
.LBB182_1765:
	s_mov_b64 s[0:1], 0
.LBB182_1766:
	s_andn2_b64 vcc, exec, s[0:1]
	s_cbranch_vccnz .LBB182_1777
; %bb.1767:
	s_cmp_lt_i32 s2, 6
	s_cbranch_scc1 .LBB182_1770
; %bb.1768:
	s_cmp_gt_i32 s2, 6
	s_cbranch_scc0 .LBB182_1771
; %bb.1769:
	global_load_dwordx2 v[7:8], v[0:1], off
	s_movk_i32 s0, 0x1ff
	s_movk_i32 s1, 0xffe
	s_waitcnt vmcnt(1)
	v_mov_b32_e32 v4, 0x7c00
	v_mov_b32_e32 v9, 0x7e00
	s_movk_i32 s3, 0x40f
	s_mov_b32 s4, 0x8000
	s_waitcnt vmcnt(0)
	v_and_or_b32 v7, v8, s0, v7
	v_cmp_ne_u32_e32 vcc, 0, v7
	v_lshrrev_b32_e32 v10, 8, v8
	v_bfe_u32 v11, v8, 20, 11
	v_cndmask_b32_e64 v7, 0, 1, vcc
	v_sub_u32_e32 v12, 0x3f1, v11
	v_and_or_b32 v7, v10, s1, v7
	v_add_u32_e32 v11, 0xfffffc10, v11
	v_med3_i32 v10, v12, 0, 13
	v_or_b32_e32 v12, 0x1000, v7
	v_cmp_ne_u32_e32 vcc, 0, v7
	v_lshl_or_b32 v13, v11, 12, v7
	v_cndmask_b32_e32 v7, v4, v9, vcc
	v_lshrrev_b32_e32 v9, v10, v12
	v_lshlrev_b32_e32 v10, v10, v9
	v_cmp_ne_u32_e32 vcc, v10, v12
	v_cndmask_b32_e64 v10, 0, 1, vcc
	v_or_b32_e32 v9, v9, v10
	v_cmp_gt_i32_e32 vcc, 1, v11
	v_cndmask_b32_e32 v9, v13, v9, vcc
	v_and_b32_e32 v10, 7, v9
	v_cmp_lt_i32_e32 vcc, 5, v10
	v_cndmask_b32_e64 v12, 0, 1, vcc
	v_cmp_eq_u32_e32 vcc, 3, v10
	v_cndmask_b32_e64 v10, 0, 1, vcc
	v_lshrrev_b32_e32 v9, 2, v9
	v_or_b32_e32 v10, v10, v12
	v_add_u32_e32 v9, v9, v10
	v_cmp_gt_i32_e32 vcc, 31, v11
	v_cndmask_b32_e32 v4, v4, v9, vcc
	v_cmp_eq_u32_e32 vcc, s3, v11
	v_lshrrev_b32_e32 v8, 16, v8
	v_cndmask_b32_e32 v4, v4, v7, vcc
	v_and_or_b32 v4, v8, s4, v4
	s_mov_b64 s[0:1], 0
	s_branch .LBB182_1772
.LBB182_1770:
	s_mov_b64 s[0:1], -1
                                        ; implicit-def: $vgpr4
	s_branch .LBB182_1775
.LBB182_1771:
	s_mov_b64 s[0:1], -1
                                        ; implicit-def: $vgpr4
.LBB182_1772:
	s_andn2_b64 vcc, exec, s[0:1]
	s_cbranch_vccnz .LBB182_1774
; %bb.1773:
	global_load_dword v4, v[0:1], off
	s_waitcnt vmcnt(0)
	v_cvt_f16_f32_e32 v4, v4
.LBB182_1774:
	s_mov_b64 s[0:1], 0
.LBB182_1775:
	s_andn2_b64 vcc, exec, s[0:1]
	s_cbranch_vccnz .LBB182_1777
; %bb.1776:
	global_load_ushort v4, v[0:1], off
.LBB182_1777:
	s_cbranch_execnz .LBB182_1797
.LBB182_1778:
	s_cmp_lt_i32 s2, 2
	s_cbranch_scc1 .LBB182_1782
; %bb.1779:
	s_cmp_lt_i32 s2, 3
	s_cbranch_scc1 .LBB182_1783
; %bb.1780:
	s_cmp_gt_i32 s2, 3
	s_cbranch_scc0 .LBB182_1784
; %bb.1781:
	global_load_dwordx2 v[7:8], v[0:1], off
	s_mov_b64 s[0:1], 0
	s_waitcnt vmcnt(0)
	v_xor_b32_e32 v9, v7, v8
	v_ffbh_i32_e32 v4, v8
	v_ashrrev_i32_e32 v9, 31, v9
	v_add_u32_e32 v4, -1, v4
	v_add_u32_e32 v9, 32, v9
	v_min_u32_e32 v4, v4, v9
	v_lshlrev_b64 v[7:8], v4, v[7:8]
	v_sub_u32_e32 v4, 32, v4
	v_min_u32_e32 v7, 1, v7
	v_or_b32_e32 v7, v8, v7
	v_cvt_f32_i32_e32 v7, v7
	v_ldexp_f32 v4, v7, v4
	v_cvt_f16_f32_e32 v4, v4
	s_branch .LBB182_1785
.LBB182_1782:
	s_mov_b64 s[0:1], -1
                                        ; implicit-def: $vgpr4
	s_branch .LBB182_1791
.LBB182_1783:
	s_mov_b64 s[0:1], -1
                                        ; implicit-def: $vgpr4
	s_branch .LBB182_1788
.LBB182_1784:
	s_mov_b64 s[0:1], -1
                                        ; implicit-def: $vgpr4
.LBB182_1785:
	s_andn2_b64 vcc, exec, s[0:1]
	s_cbranch_vccnz .LBB182_1787
; %bb.1786:
	global_load_dword v4, v[0:1], off
	s_waitcnt vmcnt(0)
	v_cvt_f32_i32_e32 v4, v4
	v_cvt_f16_f32_e32 v4, v4
.LBB182_1787:
	s_mov_b64 s[0:1], 0
.LBB182_1788:
	s_andn2_b64 vcc, exec, s[0:1]
	s_cbranch_vccnz .LBB182_1790
; %bb.1789:
	global_load_ushort v4, v[0:1], off
	s_waitcnt vmcnt(0)
	v_cvt_f16_i16_e32 v4, v4
.LBB182_1790:
	s_mov_b64 s[0:1], 0
.LBB182_1791:
	s_andn2_b64 vcc, exec, s[0:1]
	s_cbranch_vccnz .LBB182_1797
; %bb.1792:
	s_cmp_gt_i32 s2, 0
	s_cbranch_scc0 .LBB182_1794
; %bb.1793:
	global_load_sbyte v4, v[0:1], off
	s_mov_b64 s[0:1], 0
	s_waitcnt vmcnt(0)
	v_cvt_f16_i16_e32 v4, v4
	s_branch .LBB182_1795
.LBB182_1794:
	s_mov_b64 s[0:1], -1
                                        ; implicit-def: $vgpr4
.LBB182_1795:
	s_andn2_b64 vcc, exec, s[0:1]
	s_cbranch_vccnz .LBB182_1797
; %bb.1796:
	global_load_ubyte v0, v[0:1], off
	s_waitcnt vmcnt(0)
	v_cvt_f16_u16_e32 v4, v0
.LBB182_1797:
.LBB182_1798:
	s_lshl_b32 s13, s13, 7
	v_add_u32_e32 v7, s13, v5
	v_ashrrev_i32_e32 v1, 31, v7
	v_mov_b32_e32 v5, s11
	v_add_co_u32_e32 v0, vcc, s10, v7
	s_cmp_lt_i32 s26, 11
	v_addc_co_u32_e32 v1, vcc, v5, v1, vcc
	s_cbranch_scc1 .LBB182_1805
; %bb.1799:
	s_and_b32 s28, 0xffff, s26
	s_cmp_gt_i32 s28, 25
	s_mov_b64 s[2:3], 0
	s_cbranch_scc0 .LBB182_1807
; %bb.1800:
	s_cmp_gt_i32 s28, 28
	s_cbranch_scc0 .LBB182_1808
; %bb.1801:
	s_cmp_gt_i32 s28, 43
	;; [unrolled: 3-line block ×3, first 2 shown]
	s_cbranch_scc0 .LBB182_1811
; %bb.1803:
	s_cmp_eq_u32 s28, 46
	s_mov_b64 s[6:7], 0
	s_cbranch_scc0 .LBB182_1812
; %bb.1804:
	global_load_dword v5, v[0:1], off
	s_mov_b64 s[0:1], 0
	s_mov_b64 s[4:5], -1
	s_waitcnt vmcnt(0)
	v_lshlrev_b32_e32 v5, 16, v5
	v_cvt_f16_f32_e32 v5, v5
	s_branch .LBB182_1813
.LBB182_1805:
	s_mov_b64 s[4:5], 0
                                        ; implicit-def: $vgpr5
	s_cbranch_execnz .LBB182_1879
.LBB182_1806:
	s_andn2_b64 vcc, exec, s[4:5]
	s_cbranch_vccnz .LBB182_3012
	s_branch .LBB182_1927
.LBB182_1807:
	s_mov_b64 s[6:7], -1
	s_mov_b64 s[4:5], 0
	s_mov_b64 s[0:1], 0
                                        ; implicit-def: $vgpr5
	s_branch .LBB182_1842
.LBB182_1808:
	s_mov_b64 s[6:7], -1
	s_mov_b64 s[4:5], 0
	s_mov_b64 s[0:1], 0
                                        ; implicit-def: $vgpr5
	s_branch .LBB182_1823
.LBB182_1809:
	s_mov_b64 s[6:7], -1
	s_mov_b64 s[4:5], 0
	s_mov_b64 s[0:1], 0
                                        ; implicit-def: $vgpr5
	s_branch .LBB182_1818
.LBB182_1810:
	s_trap 2
	s_or_b64 s[22:23], s[22:23], exec
	s_cbranch_execz .LBB182_1749
	s_branch .LBB182_1750
.LBB182_1811:
	s_mov_b64 s[6:7], -1
	s_mov_b64 s[4:5], 0
	s_mov_b64 s[0:1], 0
                                        ; implicit-def: $vgpr5
	s_branch .LBB182_1813
.LBB182_1812:
	s_mov_b64 s[0:1], -1
                                        ; implicit-def: $vgpr5
	s_mov_b64 s[4:5], 0
.LBB182_1813:
	s_and_b64 vcc, exec, s[6:7]
	s_cbranch_vccz .LBB182_1817
; %bb.1814:
	s_cmp_eq_u32 s28, 44
	s_cbranch_scc0 .LBB182_1816
; %bb.1815:
	global_load_ubyte v5, v[0:1], off
	s_movk_i32 s4, 0xff
	v_mov_b32_e32 v9, 0x7e00
	s_mov_b64 s[0:1], 0
	s_waitcnt vmcnt(0)
	v_lshlrev_b32_e32 v8, 23, v5
	v_cvt_f16_f32_e32 v8, v8
	v_cmp_ne_u32_e32 vcc, s4, v5
	s_mov_b64 s[4:5], -1
	v_cndmask_b32_e32 v8, v9, v8, vcc
	v_cmp_ne_u32_e32 vcc, 0, v5
	v_cndmask_b32_e32 v5, 0, v8, vcc
	s_branch .LBB182_1817
.LBB182_1816:
	s_mov_b64 s[0:1], -1
                                        ; implicit-def: $vgpr5
.LBB182_1817:
	s_mov_b64 s[6:7], 0
.LBB182_1818:
	s_and_b64 vcc, exec, s[6:7]
	s_cbranch_vccz .LBB182_1822
; %bb.1819:
	s_cmp_eq_u32 s28, 29
	s_cbranch_scc0 .LBB182_1821
; %bb.1820:
	global_load_dwordx2 v[8:9], v[0:1], off
	s_mov_b64 s[0:1], 0
	s_mov_b64 s[4:5], -1
	s_mov_b64 s[6:7], 0
	s_waitcnt vmcnt(0)
	v_ffbh_u32_e32 v5, v9
	v_min_u32_e32 v5, 32, v5
	v_lshlrev_b64 v[8:9], v5, v[8:9]
	v_sub_u32_e32 v5, 32, v5
	v_min_u32_e32 v8, 1, v8
	v_or_b32_e32 v8, v9, v8
	v_cvt_f32_u32_e32 v8, v8
	v_ldexp_f32 v5, v8, v5
	v_cvt_f16_f32_e32 v5, v5
	s_branch .LBB182_1823
.LBB182_1821:
	s_mov_b64 s[0:1], -1
                                        ; implicit-def: $vgpr5
.LBB182_1822:
	s_mov_b64 s[6:7], 0
.LBB182_1823:
	s_and_b64 vcc, exec, s[6:7]
	s_cbranch_vccz .LBB182_1841
; %bb.1824:
	s_cmp_lt_i32 s28, 27
	s_cbranch_scc1 .LBB182_1827
; %bb.1825:
	s_cmp_gt_i32 s28, 27
	s_cbranch_scc0 .LBB182_1828
; %bb.1826:
	global_load_dword v5, v[0:1], off
	s_mov_b64 s[4:5], 0
	s_waitcnt vmcnt(0)
	v_cvt_f32_u32_e32 v5, v5
	v_cvt_f16_f32_e32 v5, v5
	s_branch .LBB182_1829
.LBB182_1827:
	s_mov_b64 s[4:5], -1
                                        ; implicit-def: $vgpr5
	s_branch .LBB182_1832
.LBB182_1828:
	s_mov_b64 s[4:5], -1
                                        ; implicit-def: $vgpr5
.LBB182_1829:
	s_andn2_b64 vcc, exec, s[4:5]
	s_cbranch_vccnz .LBB182_1831
; %bb.1830:
	global_load_ushort v5, v[0:1], off
	s_waitcnt vmcnt(0)
	v_cvt_f16_u16_e32 v5, v5
.LBB182_1831:
	s_mov_b64 s[4:5], 0
.LBB182_1832:
	s_andn2_b64 vcc, exec, s[4:5]
	s_cbranch_vccnz .LBB182_1840
; %bb.1833:
	global_load_ubyte v8, v[0:1], off
	s_movk_i32 s4, 0x7f
	s_waitcnt vmcnt(0)
	v_cmp_lt_i16_e32 vcc, s4, v8
	s_mov_b64 s[4:5], 0
	s_and_saveexec_b64 s[6:7], vcc
	s_xor_b64 s[6:7], exec, s[6:7]
	s_cbranch_execz .LBB182_1854
; %bb.1834:
	s_movk_i32 s4, 0x80
	v_cmp_eq_u16_e32 vcc, s4, v8
	s_mov_b64 s[4:5], -1
	s_and_saveexec_b64 s[24:25], vcc
; %bb.1835:
	s_xor_b64 s[4:5], exec, -1
; %bb.1836:
	s_or_b64 exec, exec, s[24:25]
	s_and_b64 s[4:5], s[4:5], exec
	s_or_saveexec_b64 s[6:7], s[6:7]
	v_mov_b32_e32 v5, 0x7e00
	s_xor_b64 exec, exec, s[6:7]
	s_cbranch_execnz .LBB182_1855
.LBB182_1837:
	s_or_b64 exec, exec, s[6:7]
	s_and_saveexec_b64 s[6:7], s[4:5]
	s_cbranch_execz .LBB182_1839
.LBB182_1838:
	v_lshlrev_b32_e32 v5, 24, v8
	v_and_b32_e32 v8, 0xffff, v8
	v_and_b32_e32 v9, 7, v8
	v_ffbh_u32_e32 v11, v9
	v_min_u32_e32 v11, 32, v11
	v_subrev_u32_e32 v12, 28, v11
	v_bfe_u32 v10, v8, 3, 4
	v_lshlrev_b32_e32 v8, v12, v8
	v_sub_u32_e32 v11, 29, v11
	v_and_b32_e32 v8, 7, v8
	v_cmp_eq_u32_e32 vcc, 0, v10
	v_cndmask_b32_e32 v10, v10, v11, vcc
	v_cndmask_b32_e32 v8, v9, v8, vcc
	v_mov_b32_e32 v9, 0x3b800000
	v_lshlrev_b32_e32 v8, 20, v8
	v_and_b32_e32 v5, 0x80000000, v5
	v_lshl_add_u32 v9, v10, 23, v9
	v_or3_b32 v5, v5, v9, v8
	v_cvt_f16_f32_e32 v5, v5
.LBB182_1839:
	s_or_b64 exec, exec, s[6:7]
.LBB182_1840:
	s_mov_b64 s[4:5], -1
.LBB182_1841:
	s_mov_b64 s[6:7], 0
.LBB182_1842:
	s_and_b64 vcc, exec, s[6:7]
	s_cbranch_vccz .LBB182_1875
; %bb.1843:
	s_cmp_gt_i32 s28, 22
	s_cbranch_scc0 .LBB182_1853
; %bb.1844:
	s_cmp_lt_i32 s28, 24
	s_cbranch_scc1 .LBB182_1856
; %bb.1845:
	s_cmp_gt_i32 s28, 24
	s_cbranch_scc0 .LBB182_1857
; %bb.1846:
	global_load_ubyte v8, v[0:1], off
	s_movk_i32 s2, 0x7f
	s_waitcnt vmcnt(0)
	v_cmp_lt_i16_e32 vcc, s2, v8
	s_mov_b64 s[2:3], 0
	s_and_saveexec_b64 s[4:5], vcc
	s_xor_b64 s[4:5], exec, s[4:5]
	s_cbranch_execz .LBB182_1869
; %bb.1847:
	s_movk_i32 s2, 0x80
	v_cmp_eq_u16_e32 vcc, s2, v8
	s_mov_b64 s[2:3], -1
	s_and_saveexec_b64 s[6:7], vcc
; %bb.1848:
	s_xor_b64 s[2:3], exec, -1
; %bb.1849:
	s_or_b64 exec, exec, s[6:7]
	s_and_b64 s[2:3], s[2:3], exec
	s_or_saveexec_b64 s[4:5], s[4:5]
	v_mov_b32_e32 v5, 0x7e00
	s_xor_b64 exec, exec, s[4:5]
	s_cbranch_execnz .LBB182_1870
.LBB182_1850:
	s_or_b64 exec, exec, s[4:5]
	s_and_saveexec_b64 s[4:5], s[2:3]
	s_cbranch_execz .LBB182_1852
.LBB182_1851:
	v_lshlrev_b32_e32 v5, 24, v8
	v_and_b32_e32 v8, 0xffff, v8
	v_and_b32_e32 v9, 3, v8
	v_ffbh_u32_e32 v11, v9
	v_min_u32_e32 v11, 32, v11
	v_subrev_u32_e32 v12, 29, v11
	v_bfe_u32 v10, v8, 2, 5
	v_lshlrev_b32_e32 v8, v12, v8
	v_sub_u32_e32 v11, 30, v11
	v_and_b32_e32 v8, 3, v8
	v_cmp_eq_u32_e32 vcc, 0, v10
	v_cndmask_b32_e32 v10, v10, v11, vcc
	v_cndmask_b32_e32 v8, v9, v8, vcc
	v_mov_b32_e32 v9, 0x37800000
	v_lshlrev_b32_e32 v8, 21, v8
	v_and_b32_e32 v5, 0x80000000, v5
	v_lshl_add_u32 v9, v10, 23, v9
	v_or3_b32 v5, v5, v9, v8
	v_cvt_f16_f32_e32 v5, v5
.LBB182_1852:
	s_or_b64 exec, exec, s[4:5]
	s_mov_b64 s[2:3], 0
	s_branch .LBB182_1858
.LBB182_1853:
	s_mov_b64 s[2:3], -1
                                        ; implicit-def: $vgpr5
	s_branch .LBB182_1864
.LBB182_1854:
	s_or_saveexec_b64 s[6:7], s[6:7]
	v_mov_b32_e32 v5, 0x7e00
	s_xor_b64 exec, exec, s[6:7]
	s_cbranch_execz .LBB182_1837
.LBB182_1855:
	v_cmp_ne_u16_e32 vcc, 0, v8
	s_andn2_b64 s[4:5], s[4:5], exec
	s_and_b64 s[24:25], vcc, exec
	s_or_b64 s[4:5], s[4:5], s[24:25]
	v_mov_b32_e32 v5, v8
	s_or_b64 exec, exec, s[6:7]
	s_and_saveexec_b64 s[6:7], s[4:5]
	s_cbranch_execnz .LBB182_1838
	s_branch .LBB182_1839
.LBB182_1856:
	s_mov_b64 s[2:3], -1
                                        ; implicit-def: $vgpr5
	s_branch .LBB182_1861
.LBB182_1857:
	s_mov_b64 s[2:3], -1
                                        ; implicit-def: $vgpr5
.LBB182_1858:
	s_and_b64 vcc, exec, s[2:3]
	s_cbranch_vccz .LBB182_1860
; %bb.1859:
	global_load_ubyte v5, v[0:1], off
	s_mov_b32 s2, 0x7f800000
	s_waitcnt vmcnt(0)
	v_lshlrev_b32_e32 v5, 24, v5
	v_and_b32_e32 v8, 0x7f000000, v5
	v_ffbh_u32_e32 v9, v8
	v_min_u32_e32 v9, 32, v9
	v_sub_u32_e64 v9, v9, 4 clamp
	v_lshlrev_b32_e32 v11, v9, v8
	v_lshlrev_b32_e32 v9, 23, v9
	v_lshrrev_b32_e32 v11, 4, v11
	v_add_u32_e32 v10, 0x1000000, v8
	v_sub_u32_e32 v9, v11, v9
	v_ashrrev_i32_e32 v10, 8, v10
	v_add_u32_e32 v9, 0x3c000000, v9
	v_and_or_b32 v9, v10, s2, v9
	v_cmp_ne_u32_e32 vcc, 0, v8
	v_cndmask_b32_e32 v8, 0, v9, vcc
	s_brev_b32 s2, 1
	v_and_or_b32 v5, v5, s2, v8
	v_cvt_f16_f32_e32 v5, v5
.LBB182_1860:
	s_mov_b64 s[2:3], 0
.LBB182_1861:
	s_andn2_b64 vcc, exec, s[2:3]
	s_cbranch_vccnz .LBB182_1863
; %bb.1862:
	global_load_ubyte v5, v[0:1], off
	s_movk_i32 s2, 0x7f00
	s_brev_b32 s3, 16
	s_waitcnt vmcnt(0)
	v_lshlrev_b16_e32 v8, 8, v5
	v_lshlrev_b32_e32 v5, 25, v5
	v_lshrrev_b32_e32 v9, 4, v5
	v_and_or_b32 v10, v8, s2, 0.5
	v_or_b32_e32 v9, 0x70000000, v9
	v_add_f32_e32 v10, -0.5, v10
	v_mul_f32_e32 v9, 0x7800000, v9
	v_cmp_gt_u32_e32 vcc, s3, v5
	v_bfe_i32 v8, v8, 0, 16
	v_cndmask_b32_e32 v5, v9, v10, vcc
	s_brev_b32 s2, 1
	v_and_or_b32 v5, v8, s2, v5
	v_cvt_f16_f32_e32 v5, v5
.LBB182_1863:
	s_mov_b64 s[2:3], 0
	s_mov_b64 s[4:5], -1
.LBB182_1864:
	s_andn2_b64 vcc, exec, s[2:3]
	s_mov_b64 s[2:3], 0
	s_cbranch_vccnz .LBB182_1875
; %bb.1865:
	s_cmp_gt_i32 s28, 14
	s_cbranch_scc0 .LBB182_1868
; %bb.1866:
	s_cmp_eq_u32 s28, 15
	s_cbranch_scc0 .LBB182_1871
; %bb.1867:
	global_load_ushort v5, v[0:1], off
	s_mov_b64 s[0:1], 0
	s_mov_b64 s[4:5], -1
	s_waitcnt vmcnt(0)
	v_lshlrev_b32_e32 v5, 16, v5
	v_cvt_f16_f32_e32 v5, v5
	s_branch .LBB182_1872
.LBB182_1868:
	s_mov_b64 s[6:7], -1
                                        ; implicit-def: $vgpr5
	s_branch .LBB182_1873
.LBB182_1869:
	s_or_saveexec_b64 s[4:5], s[4:5]
	v_mov_b32_e32 v5, 0x7e00
	s_xor_b64 exec, exec, s[4:5]
	s_cbranch_execz .LBB182_1850
.LBB182_1870:
	v_cmp_ne_u16_e32 vcc, 0, v8
	s_andn2_b64 s[2:3], s[2:3], exec
	s_and_b64 s[6:7], vcc, exec
	s_or_b64 s[2:3], s[2:3], s[6:7]
	v_mov_b32_e32 v5, v8
	s_or_b64 exec, exec, s[4:5]
	s_and_saveexec_b64 s[4:5], s[2:3]
	s_cbranch_execnz .LBB182_1851
	s_branch .LBB182_1852
.LBB182_1871:
	s_mov_b64 s[0:1], -1
                                        ; implicit-def: $vgpr5
.LBB182_1872:
	s_mov_b64 s[6:7], 0
.LBB182_1873:
	s_and_b64 vcc, exec, s[6:7]
	s_cbranch_vccz .LBB182_1875
; %bb.1874:
	s_cmp_lg_u32 s28, 11
	s_mov_b64 s[2:3], -1
	s_cselect_b64 s[0:1], -1, 0
.LBB182_1875:
	s_and_b64 vcc, exec, s[0:1]
	s_cbranch_vccnz .LBB182_1938
; %bb.1876:
	s_andn2_b64 vcc, exec, s[2:3]
	s_cbranch_vccnz .LBB182_1878
.LBB182_1877:
	global_load_ubyte v5, v[0:1], off
	v_mov_b32_e32 v8, 0x3c00
	s_mov_b64 s[4:5], -1
	s_waitcnt vmcnt(0)
	v_cmp_ne_u16_e32 vcc, 0, v5
	v_cndmask_b32_e32 v5, 0, v8, vcc
.LBB182_1878:
	s_branch .LBB182_1806
.LBB182_1879:
	s_and_b32 s2, 0xffff, s26
	s_cmp_lt_i32 s2, 5
	s_cbranch_scc1 .LBB182_1884
; %bb.1880:
	s_cmp_lt_i32 s2, 8
	s_cbranch_scc1 .LBB182_1885
; %bb.1881:
	;; [unrolled: 3-line block ×3, first 2 shown]
	s_cmp_gt_i32 s2, 9
	s_cbranch_scc0 .LBB182_1887
; %bb.1883:
	global_load_dwordx2 v[8:9], v[0:1], off
	s_movk_i32 s0, 0x1ff
	s_movk_i32 s1, 0xffe
	v_mov_b32_e32 v5, 0x7c00
	v_mov_b32_e32 v10, 0x7e00
	s_movk_i32 s3, 0x40f
	s_mov_b32 s4, 0x8000
	s_waitcnt vmcnt(0)
	v_and_or_b32 v8, v9, s0, v8
	v_cmp_ne_u32_e32 vcc, 0, v8
	v_lshrrev_b32_e32 v11, 8, v9
	v_bfe_u32 v12, v9, 20, 11
	v_cndmask_b32_e64 v8, 0, 1, vcc
	v_sub_u32_e32 v13, 0x3f1, v12
	v_and_or_b32 v8, v11, s1, v8
	v_add_u32_e32 v12, 0xfffffc10, v12
	v_med3_i32 v11, v13, 0, 13
	v_or_b32_e32 v13, 0x1000, v8
	v_cmp_ne_u32_e32 vcc, 0, v8
	v_lshl_or_b32 v14, v12, 12, v8
	v_cndmask_b32_e32 v8, v5, v10, vcc
	v_lshrrev_b32_e32 v10, v11, v13
	v_lshlrev_b32_e32 v11, v11, v10
	v_cmp_ne_u32_e32 vcc, v11, v13
	v_cndmask_b32_e64 v11, 0, 1, vcc
	v_or_b32_e32 v10, v10, v11
	v_cmp_gt_i32_e32 vcc, 1, v12
	v_cndmask_b32_e32 v10, v14, v10, vcc
	v_and_b32_e32 v11, 7, v10
	v_cmp_lt_i32_e32 vcc, 5, v11
	v_cndmask_b32_e64 v13, 0, 1, vcc
	v_cmp_eq_u32_e32 vcc, 3, v11
	v_cndmask_b32_e64 v11, 0, 1, vcc
	v_lshrrev_b32_e32 v10, 2, v10
	v_or_b32_e32 v11, v11, v13
	v_add_u32_e32 v10, v10, v11
	v_cmp_gt_i32_e32 vcc, 31, v12
	v_cndmask_b32_e32 v5, v5, v10, vcc
	v_cmp_eq_u32_e32 vcc, s3, v12
	v_lshrrev_b32_e32 v9, 16, v9
	v_cndmask_b32_e32 v5, v5, v8, vcc
	v_and_or_b32 v5, v9, s4, v5
	s_mov_b64 s[0:1], 0
	s_branch .LBB182_1888
.LBB182_1884:
	s_mov_b64 s[0:1], -1
                                        ; implicit-def: $vgpr5
	s_branch .LBB182_1906
.LBB182_1885:
	s_mov_b64 s[0:1], -1
                                        ; implicit-def: $vgpr5
	s_branch .LBB182_1894
.LBB182_1886:
	s_mov_b64 s[0:1], -1
                                        ; implicit-def: $vgpr5
	s_branch .LBB182_1891
.LBB182_1887:
	s_mov_b64 s[0:1], -1
                                        ; implicit-def: $vgpr5
.LBB182_1888:
	s_andn2_b64 vcc, exec, s[0:1]
	s_cbranch_vccnz .LBB182_1890
; %bb.1889:
	global_load_dword v5, v[0:1], off
	s_waitcnt vmcnt(0)
	v_cvt_f16_f32_e32 v5, v5
.LBB182_1890:
	s_mov_b64 s[0:1], 0
.LBB182_1891:
	s_andn2_b64 vcc, exec, s[0:1]
	s_cbranch_vccnz .LBB182_1893
; %bb.1892:
	global_load_dword v5, v[0:1], off
.LBB182_1893:
	s_mov_b64 s[0:1], 0
.LBB182_1894:
	s_andn2_b64 vcc, exec, s[0:1]
	s_cbranch_vccnz .LBB182_1905
; %bb.1895:
	s_cmp_lt_i32 s2, 6
	s_cbranch_scc1 .LBB182_1898
; %bb.1896:
	s_cmp_gt_i32 s2, 6
	s_cbranch_scc0 .LBB182_1899
; %bb.1897:
	global_load_dwordx2 v[8:9], v[0:1], off
	s_movk_i32 s0, 0x1ff
	s_movk_i32 s1, 0xffe
	s_waitcnt vmcnt(1)
	v_mov_b32_e32 v5, 0x7c00
	v_mov_b32_e32 v10, 0x7e00
	s_movk_i32 s3, 0x40f
	s_mov_b32 s4, 0x8000
	s_waitcnt vmcnt(0)
	v_and_or_b32 v8, v9, s0, v8
	v_cmp_ne_u32_e32 vcc, 0, v8
	v_lshrrev_b32_e32 v11, 8, v9
	v_bfe_u32 v12, v9, 20, 11
	v_cndmask_b32_e64 v8, 0, 1, vcc
	v_sub_u32_e32 v13, 0x3f1, v12
	v_and_or_b32 v8, v11, s1, v8
	v_add_u32_e32 v12, 0xfffffc10, v12
	v_med3_i32 v11, v13, 0, 13
	v_or_b32_e32 v13, 0x1000, v8
	v_cmp_ne_u32_e32 vcc, 0, v8
	v_lshl_or_b32 v14, v12, 12, v8
	v_cndmask_b32_e32 v8, v5, v10, vcc
	v_lshrrev_b32_e32 v10, v11, v13
	v_lshlrev_b32_e32 v11, v11, v10
	v_cmp_ne_u32_e32 vcc, v11, v13
	v_cndmask_b32_e64 v11, 0, 1, vcc
	v_or_b32_e32 v10, v10, v11
	v_cmp_gt_i32_e32 vcc, 1, v12
	v_cndmask_b32_e32 v10, v14, v10, vcc
	v_and_b32_e32 v11, 7, v10
	v_cmp_lt_i32_e32 vcc, 5, v11
	v_cndmask_b32_e64 v13, 0, 1, vcc
	v_cmp_eq_u32_e32 vcc, 3, v11
	v_cndmask_b32_e64 v11, 0, 1, vcc
	v_lshrrev_b32_e32 v10, 2, v10
	v_or_b32_e32 v11, v11, v13
	v_add_u32_e32 v10, v10, v11
	v_cmp_gt_i32_e32 vcc, 31, v12
	v_cndmask_b32_e32 v5, v5, v10, vcc
	v_cmp_eq_u32_e32 vcc, s3, v12
	v_lshrrev_b32_e32 v9, 16, v9
	v_cndmask_b32_e32 v5, v5, v8, vcc
	v_and_or_b32 v5, v9, s4, v5
	s_mov_b64 s[0:1], 0
	s_branch .LBB182_1900
.LBB182_1898:
	s_mov_b64 s[0:1], -1
                                        ; implicit-def: $vgpr5
	s_branch .LBB182_1903
.LBB182_1899:
	s_mov_b64 s[0:1], -1
                                        ; implicit-def: $vgpr5
.LBB182_1900:
	s_andn2_b64 vcc, exec, s[0:1]
	s_cbranch_vccnz .LBB182_1902
; %bb.1901:
	global_load_dword v5, v[0:1], off
	s_waitcnt vmcnt(0)
	v_cvt_f16_f32_e32 v5, v5
.LBB182_1902:
	s_mov_b64 s[0:1], 0
.LBB182_1903:
	s_andn2_b64 vcc, exec, s[0:1]
	s_cbranch_vccnz .LBB182_1905
; %bb.1904:
	global_load_ushort v5, v[0:1], off
.LBB182_1905:
	s_mov_b64 s[0:1], 0
.LBB182_1906:
	s_andn2_b64 vcc, exec, s[0:1]
	s_cbranch_vccnz .LBB182_1926
; %bb.1907:
	s_cmp_lt_i32 s2, 2
	s_cbranch_scc1 .LBB182_1911
; %bb.1908:
	s_cmp_lt_i32 s2, 3
	s_cbranch_scc1 .LBB182_1912
; %bb.1909:
	s_cmp_gt_i32 s2, 3
	s_cbranch_scc0 .LBB182_1913
; %bb.1910:
	global_load_dwordx2 v[8:9], v[0:1], off
	s_mov_b64 s[0:1], 0
	s_waitcnt vmcnt(0)
	v_xor_b32_e32 v10, v8, v9
	v_ffbh_i32_e32 v5, v9
	v_ashrrev_i32_e32 v10, 31, v10
	v_add_u32_e32 v5, -1, v5
	v_add_u32_e32 v10, 32, v10
	v_min_u32_e32 v5, v5, v10
	v_lshlrev_b64 v[8:9], v5, v[8:9]
	v_sub_u32_e32 v5, 32, v5
	v_min_u32_e32 v8, 1, v8
	v_or_b32_e32 v8, v9, v8
	v_cvt_f32_i32_e32 v8, v8
	v_ldexp_f32 v5, v8, v5
	v_cvt_f16_f32_e32 v5, v5
	s_branch .LBB182_1914
.LBB182_1911:
	s_mov_b64 s[0:1], -1
                                        ; implicit-def: $vgpr5
	s_branch .LBB182_1920
.LBB182_1912:
	s_mov_b64 s[0:1], -1
                                        ; implicit-def: $vgpr5
	s_branch .LBB182_1917
.LBB182_1913:
	s_mov_b64 s[0:1], -1
                                        ; implicit-def: $vgpr5
.LBB182_1914:
	s_andn2_b64 vcc, exec, s[0:1]
	s_cbranch_vccnz .LBB182_1916
; %bb.1915:
	global_load_dword v5, v[0:1], off
	s_waitcnt vmcnt(0)
	v_cvt_f32_i32_e32 v5, v5
	v_cvt_f16_f32_e32 v5, v5
.LBB182_1916:
	s_mov_b64 s[0:1], 0
.LBB182_1917:
	s_andn2_b64 vcc, exec, s[0:1]
	s_cbranch_vccnz .LBB182_1919
; %bb.1918:
	global_load_ushort v5, v[0:1], off
	s_waitcnt vmcnt(0)
	v_cvt_f16_i16_e32 v5, v5
.LBB182_1919:
	s_mov_b64 s[0:1], 0
.LBB182_1920:
	s_andn2_b64 vcc, exec, s[0:1]
	s_cbranch_vccnz .LBB182_1926
; %bb.1921:
	s_cmp_gt_i32 s2, 0
	s_cbranch_scc0 .LBB182_1923
; %bb.1922:
	global_load_sbyte v5, v[0:1], off
	s_mov_b64 s[0:1], 0
	s_waitcnt vmcnt(0)
	v_cvt_f16_i16_e32 v5, v5
	s_branch .LBB182_1924
.LBB182_1923:
	s_mov_b64 s[0:1], -1
                                        ; implicit-def: $vgpr5
.LBB182_1924:
	s_andn2_b64 vcc, exec, s[0:1]
	s_cbranch_vccnz .LBB182_1926
; %bb.1925:
	global_load_ubyte v0, v[0:1], off
	s_waitcnt vmcnt(0)
	v_cvt_f16_u16_e32 v5, v0
.LBB182_1926:
.LBB182_1927:
	s_lshl_b32 s14, s14, 7
	v_add_u32_e32 v8, s14, v6
	v_ashrrev_i32_e32 v1, 31, v8
	v_mov_b32_e32 v6, s17
	v_add_co_u32_e32 v0, vcc, s16, v8
	s_cmp_lt_i32 s27, 11
	v_addc_co_u32_e32 v1, vcc, v6, v1, vcc
	s_cbranch_scc1 .LBB182_1934
; %bb.1928:
	s_and_b32 s28, 0xffff, s27
	s_cmp_gt_i32 s28, 25
	s_mov_b64 s[2:3], 0
	s_cbranch_scc0 .LBB182_1935
; %bb.1929:
	s_cmp_gt_i32 s28, 28
	s_cbranch_scc0 .LBB182_1936
; %bb.1930:
	s_cmp_gt_i32 s28, 43
	;; [unrolled: 3-line block ×3, first 2 shown]
	s_cbranch_scc0 .LBB182_1939
; %bb.1932:
	s_cmp_eq_u32 s28, 46
	s_mov_b64 s[6:7], 0
	s_cbranch_scc0 .LBB182_1940
; %bb.1933:
	global_load_dword v6, v[0:1], off
	s_mov_b64 s[0:1], 0
	s_mov_b64 s[4:5], -1
	s_waitcnt vmcnt(0)
	v_lshlrev_b32_e32 v6, 16, v6
	v_cvt_f16_f32_e32 v6, v6
	s_branch .LBB182_1941
.LBB182_1934:
	s_mov_b64 s[0:1], -1
	s_mov_b64 s[4:5], 0
                                        ; implicit-def: $vgpr6
	s_branch .LBB182_2007
.LBB182_1935:
	s_mov_b64 s[6:7], -1
	s_mov_b64 s[4:5], 0
	s_mov_b64 s[0:1], 0
                                        ; implicit-def: $vgpr6
	s_branch .LBB182_1970
.LBB182_1936:
	s_mov_b64 s[6:7], -1
	s_mov_b64 s[4:5], 0
	s_mov_b64 s[0:1], 0
                                        ; implicit-def: $vgpr6
	s_branch .LBB182_1951
.LBB182_1937:
	s_mov_b64 s[6:7], -1
	s_mov_b64 s[4:5], 0
	s_mov_b64 s[0:1], 0
                                        ; implicit-def: $vgpr6
	s_branch .LBB182_1946
.LBB182_1938:
	s_trap 2
	s_or_b64 s[22:23], s[22:23], exec
	s_cbranch_execz .LBB182_1877
	s_branch .LBB182_1878
.LBB182_1939:
	s_mov_b64 s[6:7], -1
	s_mov_b64 s[4:5], 0
	s_mov_b64 s[0:1], 0
                                        ; implicit-def: $vgpr6
	s_branch .LBB182_1941
.LBB182_1940:
	s_mov_b64 s[0:1], -1
                                        ; implicit-def: $vgpr6
	s_mov_b64 s[4:5], 0
.LBB182_1941:
	s_and_b64 vcc, exec, s[6:7]
	s_cbranch_vccz .LBB182_1945
; %bb.1942:
	s_cmp_eq_u32 s28, 44
	s_cbranch_scc0 .LBB182_1944
; %bb.1943:
	global_load_ubyte v6, v[0:1], off
	s_movk_i32 s4, 0xff
	v_mov_b32_e32 v10, 0x7e00
	s_mov_b64 s[0:1], 0
	s_waitcnt vmcnt(0)
	v_lshlrev_b32_e32 v9, 23, v6
	v_cvt_f16_f32_e32 v9, v9
	v_cmp_ne_u32_e32 vcc, s4, v6
	s_mov_b64 s[4:5], -1
	v_cndmask_b32_e32 v9, v10, v9, vcc
	v_cmp_ne_u32_e32 vcc, 0, v6
	v_cndmask_b32_e32 v6, 0, v9, vcc
	s_branch .LBB182_1945
.LBB182_1944:
	s_mov_b64 s[0:1], -1
                                        ; implicit-def: $vgpr6
.LBB182_1945:
	s_mov_b64 s[6:7], 0
.LBB182_1946:
	s_and_b64 vcc, exec, s[6:7]
	s_cbranch_vccz .LBB182_1950
; %bb.1947:
	s_cmp_eq_u32 s28, 29
	s_cbranch_scc0 .LBB182_1949
; %bb.1948:
	global_load_dwordx2 v[9:10], v[0:1], off
	s_mov_b64 s[0:1], 0
	s_mov_b64 s[4:5], -1
	s_mov_b64 s[6:7], 0
	s_waitcnt vmcnt(0)
	v_ffbh_u32_e32 v6, v10
	v_min_u32_e32 v6, 32, v6
	v_lshlrev_b64 v[9:10], v6, v[9:10]
	v_sub_u32_e32 v6, 32, v6
	v_min_u32_e32 v9, 1, v9
	v_or_b32_e32 v9, v10, v9
	v_cvt_f32_u32_e32 v9, v9
	v_ldexp_f32 v6, v9, v6
	v_cvt_f16_f32_e32 v6, v6
	s_branch .LBB182_1951
.LBB182_1949:
	s_mov_b64 s[0:1], -1
                                        ; implicit-def: $vgpr6
.LBB182_1950:
	s_mov_b64 s[6:7], 0
.LBB182_1951:
	s_and_b64 vcc, exec, s[6:7]
	s_cbranch_vccz .LBB182_1969
; %bb.1952:
	s_cmp_lt_i32 s28, 27
	s_cbranch_scc1 .LBB182_1955
; %bb.1953:
	s_cmp_gt_i32 s28, 27
	s_cbranch_scc0 .LBB182_1956
; %bb.1954:
	global_load_dword v6, v[0:1], off
	s_mov_b64 s[4:5], 0
	s_waitcnt vmcnt(0)
	v_cvt_f32_u32_e32 v6, v6
	v_cvt_f16_f32_e32 v6, v6
	s_branch .LBB182_1957
.LBB182_1955:
	s_mov_b64 s[4:5], -1
                                        ; implicit-def: $vgpr6
	s_branch .LBB182_1960
.LBB182_1956:
	s_mov_b64 s[4:5], -1
                                        ; implicit-def: $vgpr6
.LBB182_1957:
	s_andn2_b64 vcc, exec, s[4:5]
	s_cbranch_vccnz .LBB182_1959
; %bb.1958:
	global_load_ushort v6, v[0:1], off
	s_waitcnt vmcnt(0)
	v_cvt_f16_u16_e32 v6, v6
.LBB182_1959:
	s_mov_b64 s[4:5], 0
.LBB182_1960:
	s_andn2_b64 vcc, exec, s[4:5]
	s_cbranch_vccnz .LBB182_1968
; %bb.1961:
	global_load_ubyte v9, v[0:1], off
	s_movk_i32 s4, 0x7f
	s_waitcnt vmcnt(0)
	v_cmp_lt_i16_e32 vcc, s4, v9
	s_mov_b64 s[4:5], 0
	s_and_saveexec_b64 s[6:7], vcc
	s_xor_b64 s[6:7], exec, s[6:7]
	s_cbranch_execz .LBB182_1982
; %bb.1962:
	s_movk_i32 s4, 0x80
	v_cmp_eq_u16_e32 vcc, s4, v9
	s_mov_b64 s[4:5], -1
	s_and_saveexec_b64 s[24:25], vcc
; %bb.1963:
	s_xor_b64 s[4:5], exec, -1
; %bb.1964:
	s_or_b64 exec, exec, s[24:25]
	s_and_b64 s[4:5], s[4:5], exec
	s_or_saveexec_b64 s[6:7], s[6:7]
	v_mov_b32_e32 v6, 0x7e00
	s_xor_b64 exec, exec, s[6:7]
	s_cbranch_execnz .LBB182_1983
.LBB182_1965:
	s_or_b64 exec, exec, s[6:7]
	s_and_saveexec_b64 s[6:7], s[4:5]
	s_cbranch_execz .LBB182_1967
.LBB182_1966:
	v_lshlrev_b32_e32 v6, 24, v9
	v_and_b32_e32 v9, 0xffff, v9
	v_and_b32_e32 v10, 7, v9
	v_ffbh_u32_e32 v12, v10
	v_min_u32_e32 v12, 32, v12
	v_subrev_u32_e32 v13, 28, v12
	v_bfe_u32 v11, v9, 3, 4
	v_lshlrev_b32_e32 v9, v13, v9
	v_sub_u32_e32 v12, 29, v12
	v_and_b32_e32 v9, 7, v9
	v_cmp_eq_u32_e32 vcc, 0, v11
	v_cndmask_b32_e32 v11, v11, v12, vcc
	v_cndmask_b32_e32 v9, v10, v9, vcc
	v_mov_b32_e32 v10, 0x3b800000
	v_lshlrev_b32_e32 v9, 20, v9
	v_and_b32_e32 v6, 0x80000000, v6
	v_lshl_add_u32 v10, v11, 23, v10
	v_or3_b32 v6, v6, v10, v9
	v_cvt_f16_f32_e32 v6, v6
.LBB182_1967:
	s_or_b64 exec, exec, s[6:7]
.LBB182_1968:
	s_mov_b64 s[4:5], -1
.LBB182_1969:
	s_mov_b64 s[6:7], 0
.LBB182_1970:
	s_and_b64 vcc, exec, s[6:7]
	s_cbranch_vccz .LBB182_2003
; %bb.1971:
	s_cmp_gt_i32 s28, 22
	s_cbranch_scc0 .LBB182_1981
; %bb.1972:
	s_cmp_lt_i32 s28, 24
	s_cbranch_scc1 .LBB182_1984
; %bb.1973:
	s_cmp_gt_i32 s28, 24
	s_cbranch_scc0 .LBB182_1985
; %bb.1974:
	global_load_ubyte v9, v[0:1], off
	s_movk_i32 s2, 0x7f
	s_waitcnt vmcnt(0)
	v_cmp_lt_i16_e32 vcc, s2, v9
	s_mov_b64 s[2:3], 0
	s_and_saveexec_b64 s[4:5], vcc
	s_xor_b64 s[4:5], exec, s[4:5]
	s_cbranch_execz .LBB182_1997
; %bb.1975:
	s_movk_i32 s2, 0x80
	v_cmp_eq_u16_e32 vcc, s2, v9
	s_mov_b64 s[2:3], -1
	s_and_saveexec_b64 s[6:7], vcc
; %bb.1976:
	s_xor_b64 s[2:3], exec, -1
; %bb.1977:
	s_or_b64 exec, exec, s[6:7]
	s_and_b64 s[2:3], s[2:3], exec
	s_or_saveexec_b64 s[4:5], s[4:5]
	v_mov_b32_e32 v6, 0x7e00
	s_xor_b64 exec, exec, s[4:5]
	s_cbranch_execnz .LBB182_1998
.LBB182_1978:
	s_or_b64 exec, exec, s[4:5]
	s_and_saveexec_b64 s[4:5], s[2:3]
	s_cbranch_execz .LBB182_1980
.LBB182_1979:
	v_lshlrev_b32_e32 v6, 24, v9
	v_and_b32_e32 v9, 0xffff, v9
	v_and_b32_e32 v10, 3, v9
	v_ffbh_u32_e32 v12, v10
	v_min_u32_e32 v12, 32, v12
	v_subrev_u32_e32 v13, 29, v12
	v_bfe_u32 v11, v9, 2, 5
	v_lshlrev_b32_e32 v9, v13, v9
	v_sub_u32_e32 v12, 30, v12
	v_and_b32_e32 v9, 3, v9
	v_cmp_eq_u32_e32 vcc, 0, v11
	v_cndmask_b32_e32 v11, v11, v12, vcc
	v_cndmask_b32_e32 v9, v10, v9, vcc
	v_mov_b32_e32 v10, 0x37800000
	v_lshlrev_b32_e32 v9, 21, v9
	v_and_b32_e32 v6, 0x80000000, v6
	v_lshl_add_u32 v10, v11, 23, v10
	v_or3_b32 v6, v6, v10, v9
	v_cvt_f16_f32_e32 v6, v6
.LBB182_1980:
	s_or_b64 exec, exec, s[4:5]
	s_mov_b64 s[2:3], 0
	s_branch .LBB182_1986
.LBB182_1981:
	s_mov_b64 s[2:3], -1
                                        ; implicit-def: $vgpr6
	s_branch .LBB182_1992
.LBB182_1982:
	s_or_saveexec_b64 s[6:7], s[6:7]
	v_mov_b32_e32 v6, 0x7e00
	s_xor_b64 exec, exec, s[6:7]
	s_cbranch_execz .LBB182_1965
.LBB182_1983:
	v_cmp_ne_u16_e32 vcc, 0, v9
	s_andn2_b64 s[4:5], s[4:5], exec
	s_and_b64 s[24:25], vcc, exec
	s_or_b64 s[4:5], s[4:5], s[24:25]
	v_mov_b32_e32 v6, v9
	s_or_b64 exec, exec, s[6:7]
	s_and_saveexec_b64 s[6:7], s[4:5]
	s_cbranch_execnz .LBB182_1966
	s_branch .LBB182_1967
.LBB182_1984:
	s_mov_b64 s[2:3], -1
                                        ; implicit-def: $vgpr6
	s_branch .LBB182_1989
.LBB182_1985:
	s_mov_b64 s[2:3], -1
                                        ; implicit-def: $vgpr6
.LBB182_1986:
	s_and_b64 vcc, exec, s[2:3]
	s_cbranch_vccz .LBB182_1988
; %bb.1987:
	global_load_ubyte v6, v[0:1], off
	s_mov_b32 s2, 0x7f800000
	s_waitcnt vmcnt(0)
	v_lshlrev_b32_e32 v6, 24, v6
	v_and_b32_e32 v9, 0x7f000000, v6
	v_ffbh_u32_e32 v10, v9
	v_min_u32_e32 v10, 32, v10
	v_sub_u32_e64 v10, v10, 4 clamp
	v_lshlrev_b32_e32 v12, v10, v9
	v_lshlrev_b32_e32 v10, 23, v10
	v_lshrrev_b32_e32 v12, 4, v12
	v_add_u32_e32 v11, 0x1000000, v9
	v_sub_u32_e32 v10, v12, v10
	v_ashrrev_i32_e32 v11, 8, v11
	v_add_u32_e32 v10, 0x3c000000, v10
	v_and_or_b32 v10, v11, s2, v10
	v_cmp_ne_u32_e32 vcc, 0, v9
	v_cndmask_b32_e32 v9, 0, v10, vcc
	s_brev_b32 s2, 1
	v_and_or_b32 v6, v6, s2, v9
	v_cvt_f16_f32_e32 v6, v6
.LBB182_1988:
	s_mov_b64 s[2:3], 0
.LBB182_1989:
	s_andn2_b64 vcc, exec, s[2:3]
	s_cbranch_vccnz .LBB182_1991
; %bb.1990:
	global_load_ubyte v6, v[0:1], off
	s_movk_i32 s2, 0x7f00
	s_brev_b32 s3, 16
	s_waitcnt vmcnt(0)
	v_lshlrev_b16_e32 v9, 8, v6
	v_lshlrev_b32_e32 v6, 25, v6
	v_lshrrev_b32_e32 v10, 4, v6
	v_and_or_b32 v11, v9, s2, 0.5
	v_or_b32_e32 v10, 0x70000000, v10
	v_add_f32_e32 v11, -0.5, v11
	v_mul_f32_e32 v10, 0x7800000, v10
	v_cmp_gt_u32_e32 vcc, s3, v6
	v_bfe_i32 v9, v9, 0, 16
	v_cndmask_b32_e32 v6, v10, v11, vcc
	s_brev_b32 s2, 1
	v_and_or_b32 v6, v9, s2, v6
	v_cvt_f16_f32_e32 v6, v6
.LBB182_1991:
	s_mov_b64 s[2:3], 0
	s_mov_b64 s[4:5], -1
.LBB182_1992:
	s_andn2_b64 vcc, exec, s[2:3]
	s_mov_b64 s[2:3], 0
	s_cbranch_vccnz .LBB182_2003
; %bb.1993:
	s_cmp_gt_i32 s28, 14
	s_cbranch_scc0 .LBB182_1996
; %bb.1994:
	s_cmp_eq_u32 s28, 15
	s_cbranch_scc0 .LBB182_1999
; %bb.1995:
	global_load_ushort v6, v[0:1], off
	s_mov_b64 s[0:1], 0
	s_mov_b64 s[4:5], -1
	s_waitcnt vmcnt(0)
	v_lshlrev_b32_e32 v6, 16, v6
	v_cvt_f16_f32_e32 v6, v6
	s_branch .LBB182_2000
.LBB182_1996:
	s_mov_b64 s[6:7], -1
                                        ; implicit-def: $vgpr6
	s_branch .LBB182_2001
.LBB182_1997:
	s_or_saveexec_b64 s[4:5], s[4:5]
	v_mov_b32_e32 v6, 0x7e00
	s_xor_b64 exec, exec, s[4:5]
	s_cbranch_execz .LBB182_1978
.LBB182_1998:
	v_cmp_ne_u16_e32 vcc, 0, v9
	s_andn2_b64 s[2:3], s[2:3], exec
	s_and_b64 s[6:7], vcc, exec
	s_or_b64 s[2:3], s[2:3], s[6:7]
	v_mov_b32_e32 v6, v9
	s_or_b64 exec, exec, s[4:5]
	s_and_saveexec_b64 s[4:5], s[2:3]
	s_cbranch_execnz .LBB182_1979
	s_branch .LBB182_1980
.LBB182_1999:
	s_mov_b64 s[0:1], -1
                                        ; implicit-def: $vgpr6
.LBB182_2000:
	s_mov_b64 s[6:7], 0
.LBB182_2001:
	s_and_b64 vcc, exec, s[6:7]
	s_cbranch_vccz .LBB182_2003
; %bb.2002:
	s_cmp_lg_u32 s28, 11
	s_mov_b64 s[2:3], -1
	s_cselect_b64 s[0:1], -1, 0
.LBB182_2003:
	s_and_b64 vcc, exec, s[0:1]
	s_cbranch_vccnz .LBB182_2068
; %bb.2004:
	s_andn2_b64 vcc, exec, s[2:3]
	s_cbranch_vccnz .LBB182_2006
.LBB182_2005:
	global_load_ubyte v6, v[0:1], off
	v_mov_b32_e32 v9, 0x3c00
	s_mov_b64 s[4:5], -1
	s_waitcnt vmcnt(0)
	v_cmp_ne_u16_e32 vcc, 0, v6
	v_cndmask_b32_e32 v6, 0, v9, vcc
.LBB182_2006:
	s_mov_b64 s[0:1], 0
.LBB182_2007:
	s_and_b64 vcc, exec, s[0:1]
	s_cbranch_vccz .LBB182_2056
; %bb.2008:
	s_and_b32 s2, 0xffff, s27
	s_cmp_lt_i32 s2, 5
	s_cbranch_scc1 .LBB182_2013
; %bb.2009:
	s_cmp_lt_i32 s2, 8
	s_cbranch_scc1 .LBB182_2014
; %bb.2010:
	;; [unrolled: 3-line block ×3, first 2 shown]
	s_cmp_gt_i32 s2, 9
	s_cbranch_scc0 .LBB182_2016
; %bb.2012:
	global_load_dwordx2 v[9:10], v[0:1], off
	s_movk_i32 s0, 0x1ff
	s_movk_i32 s1, 0xffe
	v_mov_b32_e32 v6, 0x7c00
	v_mov_b32_e32 v11, 0x7e00
	s_movk_i32 s3, 0x40f
	s_mov_b32 s4, 0x8000
	s_waitcnt vmcnt(0)
	v_and_or_b32 v9, v10, s0, v9
	v_cmp_ne_u32_e32 vcc, 0, v9
	v_lshrrev_b32_e32 v12, 8, v10
	v_bfe_u32 v13, v10, 20, 11
	v_cndmask_b32_e64 v9, 0, 1, vcc
	v_sub_u32_e32 v14, 0x3f1, v13
	v_and_or_b32 v9, v12, s1, v9
	v_add_u32_e32 v13, 0xfffffc10, v13
	v_med3_i32 v12, v14, 0, 13
	v_or_b32_e32 v14, 0x1000, v9
	v_cmp_ne_u32_e32 vcc, 0, v9
	v_lshl_or_b32 v15, v13, 12, v9
	v_cndmask_b32_e32 v9, v6, v11, vcc
	v_lshrrev_b32_e32 v11, v12, v14
	v_lshlrev_b32_e32 v12, v12, v11
	v_cmp_ne_u32_e32 vcc, v12, v14
	v_cndmask_b32_e64 v12, 0, 1, vcc
	v_or_b32_e32 v11, v11, v12
	v_cmp_gt_i32_e32 vcc, 1, v13
	v_cndmask_b32_e32 v11, v15, v11, vcc
	v_and_b32_e32 v12, 7, v11
	v_cmp_lt_i32_e32 vcc, 5, v12
	v_cndmask_b32_e64 v14, 0, 1, vcc
	v_cmp_eq_u32_e32 vcc, 3, v12
	v_cndmask_b32_e64 v12, 0, 1, vcc
	v_lshrrev_b32_e32 v11, 2, v11
	v_or_b32_e32 v12, v12, v14
	v_add_u32_e32 v11, v11, v12
	v_cmp_gt_i32_e32 vcc, 31, v13
	v_cndmask_b32_e32 v6, v6, v11, vcc
	v_cmp_eq_u32_e32 vcc, s3, v13
	v_lshrrev_b32_e32 v10, 16, v10
	v_cndmask_b32_e32 v6, v6, v9, vcc
	v_and_or_b32 v6, v10, s4, v6
	s_mov_b64 s[0:1], 0
	s_branch .LBB182_2017
.LBB182_2013:
	s_mov_b64 s[0:1], -1
                                        ; implicit-def: $vgpr6
	s_branch .LBB182_2035
.LBB182_2014:
	s_mov_b64 s[0:1], -1
                                        ; implicit-def: $vgpr6
	s_branch .LBB182_2023
.LBB182_2015:
	s_mov_b64 s[0:1], -1
                                        ; implicit-def: $vgpr6
	s_branch .LBB182_2020
.LBB182_2016:
	s_mov_b64 s[0:1], -1
                                        ; implicit-def: $vgpr6
.LBB182_2017:
	s_andn2_b64 vcc, exec, s[0:1]
	s_cbranch_vccnz .LBB182_2019
; %bb.2018:
	global_load_dword v6, v[0:1], off
	s_waitcnt vmcnt(0)
	v_cvt_f16_f32_e32 v6, v6
.LBB182_2019:
	s_mov_b64 s[0:1], 0
.LBB182_2020:
	s_andn2_b64 vcc, exec, s[0:1]
	s_cbranch_vccnz .LBB182_2022
; %bb.2021:
	global_load_dword v6, v[0:1], off
.LBB182_2022:
	s_mov_b64 s[0:1], 0
.LBB182_2023:
	s_andn2_b64 vcc, exec, s[0:1]
	s_cbranch_vccnz .LBB182_2034
; %bb.2024:
	s_cmp_lt_i32 s2, 6
	s_cbranch_scc1 .LBB182_2027
; %bb.2025:
	s_cmp_gt_i32 s2, 6
	s_cbranch_scc0 .LBB182_2028
; %bb.2026:
	global_load_dwordx2 v[9:10], v[0:1], off
	s_movk_i32 s0, 0x1ff
	s_movk_i32 s1, 0xffe
	s_waitcnt vmcnt(1)
	v_mov_b32_e32 v6, 0x7c00
	v_mov_b32_e32 v11, 0x7e00
	s_movk_i32 s3, 0x40f
	s_mov_b32 s4, 0x8000
	s_waitcnt vmcnt(0)
	v_and_or_b32 v9, v10, s0, v9
	v_cmp_ne_u32_e32 vcc, 0, v9
	v_lshrrev_b32_e32 v12, 8, v10
	v_bfe_u32 v13, v10, 20, 11
	v_cndmask_b32_e64 v9, 0, 1, vcc
	v_sub_u32_e32 v14, 0x3f1, v13
	v_and_or_b32 v9, v12, s1, v9
	v_add_u32_e32 v13, 0xfffffc10, v13
	v_med3_i32 v12, v14, 0, 13
	v_or_b32_e32 v14, 0x1000, v9
	v_cmp_ne_u32_e32 vcc, 0, v9
	v_lshl_or_b32 v15, v13, 12, v9
	v_cndmask_b32_e32 v9, v6, v11, vcc
	v_lshrrev_b32_e32 v11, v12, v14
	v_lshlrev_b32_e32 v12, v12, v11
	v_cmp_ne_u32_e32 vcc, v12, v14
	v_cndmask_b32_e64 v12, 0, 1, vcc
	v_or_b32_e32 v11, v11, v12
	v_cmp_gt_i32_e32 vcc, 1, v13
	v_cndmask_b32_e32 v11, v15, v11, vcc
	v_and_b32_e32 v12, 7, v11
	v_cmp_lt_i32_e32 vcc, 5, v12
	v_cndmask_b32_e64 v14, 0, 1, vcc
	v_cmp_eq_u32_e32 vcc, 3, v12
	v_cndmask_b32_e64 v12, 0, 1, vcc
	v_lshrrev_b32_e32 v11, 2, v11
	v_or_b32_e32 v12, v12, v14
	v_add_u32_e32 v11, v11, v12
	v_cmp_gt_i32_e32 vcc, 31, v13
	v_cndmask_b32_e32 v6, v6, v11, vcc
	v_cmp_eq_u32_e32 vcc, s3, v13
	v_lshrrev_b32_e32 v10, 16, v10
	v_cndmask_b32_e32 v6, v6, v9, vcc
	v_and_or_b32 v6, v10, s4, v6
	s_mov_b64 s[0:1], 0
	s_branch .LBB182_2029
.LBB182_2027:
	s_mov_b64 s[0:1], -1
                                        ; implicit-def: $vgpr6
	s_branch .LBB182_2032
.LBB182_2028:
	s_mov_b64 s[0:1], -1
                                        ; implicit-def: $vgpr6
.LBB182_2029:
	s_andn2_b64 vcc, exec, s[0:1]
	s_cbranch_vccnz .LBB182_2031
; %bb.2030:
	global_load_dword v6, v[0:1], off
	s_waitcnt vmcnt(0)
	v_cvt_f16_f32_e32 v6, v6
.LBB182_2031:
	s_mov_b64 s[0:1], 0
.LBB182_2032:
	s_andn2_b64 vcc, exec, s[0:1]
	s_cbranch_vccnz .LBB182_2034
; %bb.2033:
	global_load_ushort v6, v[0:1], off
.LBB182_2034:
	s_mov_b64 s[0:1], 0
.LBB182_2035:
	s_andn2_b64 vcc, exec, s[0:1]
	s_cbranch_vccnz .LBB182_2055
; %bb.2036:
	s_cmp_lt_i32 s2, 2
	s_cbranch_scc1 .LBB182_2040
; %bb.2037:
	s_cmp_lt_i32 s2, 3
	s_cbranch_scc1 .LBB182_2041
; %bb.2038:
	s_cmp_gt_i32 s2, 3
	s_cbranch_scc0 .LBB182_2042
; %bb.2039:
	global_load_dwordx2 v[9:10], v[0:1], off
	s_mov_b64 s[0:1], 0
	s_waitcnt vmcnt(0)
	v_xor_b32_e32 v11, v9, v10
	v_ffbh_i32_e32 v6, v10
	v_ashrrev_i32_e32 v11, 31, v11
	v_add_u32_e32 v6, -1, v6
	v_add_u32_e32 v11, 32, v11
	v_min_u32_e32 v6, v6, v11
	v_lshlrev_b64 v[9:10], v6, v[9:10]
	v_sub_u32_e32 v6, 32, v6
	v_min_u32_e32 v9, 1, v9
	v_or_b32_e32 v9, v10, v9
	v_cvt_f32_i32_e32 v9, v9
	v_ldexp_f32 v6, v9, v6
	v_cvt_f16_f32_e32 v6, v6
	s_branch .LBB182_2043
.LBB182_2040:
	s_mov_b64 s[0:1], -1
                                        ; implicit-def: $vgpr6
	s_branch .LBB182_2049
.LBB182_2041:
	s_mov_b64 s[0:1], -1
                                        ; implicit-def: $vgpr6
	s_branch .LBB182_2046
.LBB182_2042:
	s_mov_b64 s[0:1], -1
                                        ; implicit-def: $vgpr6
.LBB182_2043:
	s_andn2_b64 vcc, exec, s[0:1]
	s_cbranch_vccnz .LBB182_2045
; %bb.2044:
	global_load_dword v6, v[0:1], off
	s_waitcnt vmcnt(0)
	v_cvt_f32_i32_e32 v6, v6
	v_cvt_f16_f32_e32 v6, v6
.LBB182_2045:
	s_mov_b64 s[0:1], 0
.LBB182_2046:
	s_andn2_b64 vcc, exec, s[0:1]
	s_cbranch_vccnz .LBB182_2048
; %bb.2047:
	global_load_ushort v6, v[0:1], off
	s_waitcnt vmcnt(0)
	v_cvt_f16_i16_e32 v6, v6
.LBB182_2048:
	s_mov_b64 s[0:1], 0
.LBB182_2049:
	s_andn2_b64 vcc, exec, s[0:1]
	s_cbranch_vccnz .LBB182_2055
; %bb.2050:
	s_cmp_gt_i32 s2, 0
	s_cbranch_scc0 .LBB182_2052
; %bb.2051:
	global_load_sbyte v6, v[0:1], off
	s_mov_b64 s[0:1], 0
	s_waitcnt vmcnt(0)
	v_cvt_f16_i16_e32 v6, v6
	s_branch .LBB182_2053
.LBB182_2052:
	s_mov_b64 s[0:1], -1
                                        ; implicit-def: $vgpr6
.LBB182_2053:
	s_andn2_b64 vcc, exec, s[0:1]
	s_cbranch_vccnz .LBB182_2055
; %bb.2054:
	global_load_ubyte v0, v[0:1], off
	s_waitcnt vmcnt(0)
	v_cvt_f16_u16_e32 v6, v0
.LBB182_2055:
	s_mov_b64 s[4:5], -1
.LBB182_2056:
	s_andn2_b64 vcc, exec, s[4:5]
	s_cbranch_vccnz .LBB182_3012
; %bb.2057:
	v_add_u32_e32 v9, s13, v7
	v_ashrrev_i32_e32 v1, 31, v9
	v_mov_b32_e32 v7, s11
	v_add_co_u32_e32 v0, vcc, s10, v9
	s_cmp_lt_i32 s26, 11
	v_addc_co_u32_e32 v1, vcc, v7, v1, vcc
	s_cbranch_scc1 .LBB182_2064
; %bb.2058:
	s_and_b32 s28, 0xffff, s26
	s_cmp_gt_i32 s28, 25
	s_mov_b64 s[2:3], 0
	s_cbranch_scc0 .LBB182_2065
; %bb.2059:
	s_cmp_gt_i32 s28, 28
	s_cbranch_scc0 .LBB182_2066
; %bb.2060:
	s_cmp_gt_i32 s28, 43
	;; [unrolled: 3-line block ×3, first 2 shown]
	s_cbranch_scc0 .LBB182_2069
; %bb.2062:
	s_cmp_eq_u32 s28, 46
	s_mov_b64 s[6:7], 0
	s_cbranch_scc0 .LBB182_2070
; %bb.2063:
	global_load_dword v7, v[0:1], off
	s_mov_b64 s[0:1], 0
	s_mov_b64 s[4:5], -1
	s_waitcnt vmcnt(0)
	v_lshlrev_b32_e32 v7, 16, v7
	v_cvt_f16_f32_e32 v7, v7
	s_branch .LBB182_2071
.LBB182_2064:
	s_mov_b64 s[0:1], -1
	s_mov_b64 s[4:5], 0
                                        ; implicit-def: $vgpr7
	s_branch .LBB182_2137
.LBB182_2065:
	s_mov_b64 s[6:7], -1
	s_mov_b64 s[4:5], 0
	s_mov_b64 s[0:1], 0
                                        ; implicit-def: $vgpr7
	s_branch .LBB182_2100
.LBB182_2066:
	s_mov_b64 s[6:7], -1
	s_mov_b64 s[4:5], 0
	s_mov_b64 s[0:1], 0
                                        ; implicit-def: $vgpr7
	s_branch .LBB182_2081
.LBB182_2067:
	s_mov_b64 s[6:7], -1
	s_mov_b64 s[4:5], 0
	s_mov_b64 s[0:1], 0
                                        ; implicit-def: $vgpr7
	s_branch .LBB182_2076
.LBB182_2068:
	s_trap 2
	s_or_b64 s[22:23], s[22:23], exec
	s_cbranch_execz .LBB182_2005
	s_branch .LBB182_2006
.LBB182_2069:
	s_mov_b64 s[6:7], -1
	s_mov_b64 s[4:5], 0
	s_mov_b64 s[0:1], 0
                                        ; implicit-def: $vgpr7
	s_branch .LBB182_2071
.LBB182_2070:
	s_mov_b64 s[0:1], -1
                                        ; implicit-def: $vgpr7
	s_mov_b64 s[4:5], 0
.LBB182_2071:
	s_and_b64 vcc, exec, s[6:7]
	s_cbranch_vccz .LBB182_2075
; %bb.2072:
	s_cmp_eq_u32 s28, 44
	s_cbranch_scc0 .LBB182_2074
; %bb.2073:
	global_load_ubyte v7, v[0:1], off
	s_movk_i32 s4, 0xff
	v_mov_b32_e32 v11, 0x7e00
	s_mov_b64 s[0:1], 0
	s_waitcnt vmcnt(0)
	v_lshlrev_b32_e32 v10, 23, v7
	v_cvt_f16_f32_e32 v10, v10
	v_cmp_ne_u32_e32 vcc, s4, v7
	s_mov_b64 s[4:5], -1
	v_cndmask_b32_e32 v10, v11, v10, vcc
	v_cmp_ne_u32_e32 vcc, 0, v7
	v_cndmask_b32_e32 v7, 0, v10, vcc
	s_branch .LBB182_2075
.LBB182_2074:
	s_mov_b64 s[0:1], -1
                                        ; implicit-def: $vgpr7
.LBB182_2075:
	s_mov_b64 s[6:7], 0
.LBB182_2076:
	s_and_b64 vcc, exec, s[6:7]
	s_cbranch_vccz .LBB182_2080
; %bb.2077:
	s_cmp_eq_u32 s28, 29
	s_cbranch_scc0 .LBB182_2079
; %bb.2078:
	global_load_dwordx2 v[10:11], v[0:1], off
	s_mov_b64 s[0:1], 0
	s_mov_b64 s[4:5], -1
	s_mov_b64 s[6:7], 0
	s_waitcnt vmcnt(0)
	v_ffbh_u32_e32 v7, v11
	v_min_u32_e32 v7, 32, v7
	v_lshlrev_b64 v[10:11], v7, v[10:11]
	v_sub_u32_e32 v7, 32, v7
	v_min_u32_e32 v10, 1, v10
	v_or_b32_e32 v10, v11, v10
	v_cvt_f32_u32_e32 v10, v10
	v_ldexp_f32 v7, v10, v7
	v_cvt_f16_f32_e32 v7, v7
	s_branch .LBB182_2081
.LBB182_2079:
	s_mov_b64 s[0:1], -1
                                        ; implicit-def: $vgpr7
.LBB182_2080:
	s_mov_b64 s[6:7], 0
.LBB182_2081:
	s_and_b64 vcc, exec, s[6:7]
	s_cbranch_vccz .LBB182_2099
; %bb.2082:
	s_cmp_lt_i32 s28, 27
	s_cbranch_scc1 .LBB182_2085
; %bb.2083:
	s_cmp_gt_i32 s28, 27
	s_cbranch_scc0 .LBB182_2086
; %bb.2084:
	global_load_dword v7, v[0:1], off
	s_mov_b64 s[4:5], 0
	s_waitcnt vmcnt(0)
	v_cvt_f32_u32_e32 v7, v7
	v_cvt_f16_f32_e32 v7, v7
	s_branch .LBB182_2087
.LBB182_2085:
	s_mov_b64 s[4:5], -1
                                        ; implicit-def: $vgpr7
	s_branch .LBB182_2090
.LBB182_2086:
	s_mov_b64 s[4:5], -1
                                        ; implicit-def: $vgpr7
.LBB182_2087:
	s_andn2_b64 vcc, exec, s[4:5]
	s_cbranch_vccnz .LBB182_2089
; %bb.2088:
	global_load_ushort v7, v[0:1], off
	s_waitcnt vmcnt(0)
	v_cvt_f16_u16_e32 v7, v7
.LBB182_2089:
	s_mov_b64 s[4:5], 0
.LBB182_2090:
	s_andn2_b64 vcc, exec, s[4:5]
	s_cbranch_vccnz .LBB182_2098
; %bb.2091:
	global_load_ubyte v10, v[0:1], off
	s_movk_i32 s4, 0x7f
	s_waitcnt vmcnt(0)
	v_cmp_lt_i16_e32 vcc, s4, v10
	s_mov_b64 s[4:5], 0
	s_and_saveexec_b64 s[6:7], vcc
	s_xor_b64 s[6:7], exec, s[6:7]
	s_cbranch_execz .LBB182_2112
; %bb.2092:
	s_movk_i32 s4, 0x80
	v_cmp_eq_u16_e32 vcc, s4, v10
	s_mov_b64 s[4:5], -1
	s_and_saveexec_b64 s[24:25], vcc
; %bb.2093:
	s_xor_b64 s[4:5], exec, -1
; %bb.2094:
	s_or_b64 exec, exec, s[24:25]
	s_and_b64 s[4:5], s[4:5], exec
	s_or_saveexec_b64 s[6:7], s[6:7]
	v_mov_b32_e32 v7, 0x7e00
	s_xor_b64 exec, exec, s[6:7]
	s_cbranch_execnz .LBB182_2113
.LBB182_2095:
	s_or_b64 exec, exec, s[6:7]
	s_and_saveexec_b64 s[6:7], s[4:5]
	s_cbranch_execz .LBB182_2097
.LBB182_2096:
	v_lshlrev_b32_e32 v7, 24, v10
	v_and_b32_e32 v10, 0xffff, v10
	v_and_b32_e32 v11, 7, v10
	v_ffbh_u32_e32 v13, v11
	v_min_u32_e32 v13, 32, v13
	v_subrev_u32_e32 v14, 28, v13
	v_bfe_u32 v12, v10, 3, 4
	v_lshlrev_b32_e32 v10, v14, v10
	v_sub_u32_e32 v13, 29, v13
	v_and_b32_e32 v10, 7, v10
	v_cmp_eq_u32_e32 vcc, 0, v12
	v_cndmask_b32_e32 v12, v12, v13, vcc
	v_cndmask_b32_e32 v10, v11, v10, vcc
	v_mov_b32_e32 v11, 0x3b800000
	v_lshlrev_b32_e32 v10, 20, v10
	v_and_b32_e32 v7, 0x80000000, v7
	v_lshl_add_u32 v11, v12, 23, v11
	v_or3_b32 v7, v7, v11, v10
	v_cvt_f16_f32_e32 v7, v7
.LBB182_2097:
	s_or_b64 exec, exec, s[6:7]
.LBB182_2098:
	s_mov_b64 s[4:5], -1
.LBB182_2099:
	s_mov_b64 s[6:7], 0
.LBB182_2100:
	s_and_b64 vcc, exec, s[6:7]
	s_cbranch_vccz .LBB182_2133
; %bb.2101:
	s_cmp_gt_i32 s28, 22
	s_cbranch_scc0 .LBB182_2111
; %bb.2102:
	s_cmp_lt_i32 s28, 24
	s_cbranch_scc1 .LBB182_2114
; %bb.2103:
	s_cmp_gt_i32 s28, 24
	s_cbranch_scc0 .LBB182_2115
; %bb.2104:
	global_load_ubyte v10, v[0:1], off
	s_movk_i32 s2, 0x7f
	s_waitcnt vmcnt(0)
	v_cmp_lt_i16_e32 vcc, s2, v10
	s_mov_b64 s[2:3], 0
	s_and_saveexec_b64 s[4:5], vcc
	s_xor_b64 s[4:5], exec, s[4:5]
	s_cbranch_execz .LBB182_2127
; %bb.2105:
	s_movk_i32 s2, 0x80
	v_cmp_eq_u16_e32 vcc, s2, v10
	s_mov_b64 s[2:3], -1
	s_and_saveexec_b64 s[6:7], vcc
; %bb.2106:
	s_xor_b64 s[2:3], exec, -1
; %bb.2107:
	s_or_b64 exec, exec, s[6:7]
	s_and_b64 s[2:3], s[2:3], exec
	s_or_saveexec_b64 s[4:5], s[4:5]
	v_mov_b32_e32 v7, 0x7e00
	s_xor_b64 exec, exec, s[4:5]
	s_cbranch_execnz .LBB182_2128
.LBB182_2108:
	s_or_b64 exec, exec, s[4:5]
	s_and_saveexec_b64 s[4:5], s[2:3]
	s_cbranch_execz .LBB182_2110
.LBB182_2109:
	v_lshlrev_b32_e32 v7, 24, v10
	v_and_b32_e32 v10, 0xffff, v10
	v_and_b32_e32 v11, 3, v10
	v_ffbh_u32_e32 v13, v11
	v_min_u32_e32 v13, 32, v13
	v_subrev_u32_e32 v14, 29, v13
	v_bfe_u32 v12, v10, 2, 5
	v_lshlrev_b32_e32 v10, v14, v10
	v_sub_u32_e32 v13, 30, v13
	v_and_b32_e32 v10, 3, v10
	v_cmp_eq_u32_e32 vcc, 0, v12
	v_cndmask_b32_e32 v12, v12, v13, vcc
	v_cndmask_b32_e32 v10, v11, v10, vcc
	v_mov_b32_e32 v11, 0x37800000
	v_lshlrev_b32_e32 v10, 21, v10
	v_and_b32_e32 v7, 0x80000000, v7
	v_lshl_add_u32 v11, v12, 23, v11
	v_or3_b32 v7, v7, v11, v10
	v_cvt_f16_f32_e32 v7, v7
.LBB182_2110:
	s_or_b64 exec, exec, s[4:5]
	s_mov_b64 s[2:3], 0
	s_branch .LBB182_2116
.LBB182_2111:
	s_mov_b64 s[2:3], -1
                                        ; implicit-def: $vgpr7
	s_branch .LBB182_2122
.LBB182_2112:
	s_or_saveexec_b64 s[6:7], s[6:7]
	v_mov_b32_e32 v7, 0x7e00
	s_xor_b64 exec, exec, s[6:7]
	s_cbranch_execz .LBB182_2095
.LBB182_2113:
	v_cmp_ne_u16_e32 vcc, 0, v10
	s_andn2_b64 s[4:5], s[4:5], exec
	s_and_b64 s[24:25], vcc, exec
	s_or_b64 s[4:5], s[4:5], s[24:25]
	v_mov_b32_e32 v7, v10
	s_or_b64 exec, exec, s[6:7]
	s_and_saveexec_b64 s[6:7], s[4:5]
	s_cbranch_execnz .LBB182_2096
	s_branch .LBB182_2097
.LBB182_2114:
	s_mov_b64 s[2:3], -1
                                        ; implicit-def: $vgpr7
	s_branch .LBB182_2119
.LBB182_2115:
	s_mov_b64 s[2:3], -1
                                        ; implicit-def: $vgpr7
.LBB182_2116:
	s_and_b64 vcc, exec, s[2:3]
	s_cbranch_vccz .LBB182_2118
; %bb.2117:
	global_load_ubyte v7, v[0:1], off
	s_mov_b32 s2, 0x7f800000
	s_waitcnt vmcnt(0)
	v_lshlrev_b32_e32 v7, 24, v7
	v_and_b32_e32 v10, 0x7f000000, v7
	v_ffbh_u32_e32 v11, v10
	v_min_u32_e32 v11, 32, v11
	v_sub_u32_e64 v11, v11, 4 clamp
	v_lshlrev_b32_e32 v13, v11, v10
	v_lshlrev_b32_e32 v11, 23, v11
	v_lshrrev_b32_e32 v13, 4, v13
	v_add_u32_e32 v12, 0x1000000, v10
	v_sub_u32_e32 v11, v13, v11
	v_ashrrev_i32_e32 v12, 8, v12
	v_add_u32_e32 v11, 0x3c000000, v11
	v_and_or_b32 v11, v12, s2, v11
	v_cmp_ne_u32_e32 vcc, 0, v10
	v_cndmask_b32_e32 v10, 0, v11, vcc
	s_brev_b32 s2, 1
	v_and_or_b32 v7, v7, s2, v10
	v_cvt_f16_f32_e32 v7, v7
.LBB182_2118:
	s_mov_b64 s[2:3], 0
.LBB182_2119:
	s_andn2_b64 vcc, exec, s[2:3]
	s_cbranch_vccnz .LBB182_2121
; %bb.2120:
	global_load_ubyte v7, v[0:1], off
	s_movk_i32 s2, 0x7f00
	s_brev_b32 s3, 16
	s_waitcnt vmcnt(0)
	v_lshlrev_b16_e32 v10, 8, v7
	v_lshlrev_b32_e32 v7, 25, v7
	v_lshrrev_b32_e32 v11, 4, v7
	v_and_or_b32 v12, v10, s2, 0.5
	v_or_b32_e32 v11, 0x70000000, v11
	v_add_f32_e32 v12, -0.5, v12
	v_mul_f32_e32 v11, 0x7800000, v11
	v_cmp_gt_u32_e32 vcc, s3, v7
	v_bfe_i32 v10, v10, 0, 16
	v_cndmask_b32_e32 v7, v11, v12, vcc
	s_brev_b32 s2, 1
	v_and_or_b32 v7, v10, s2, v7
	v_cvt_f16_f32_e32 v7, v7
.LBB182_2121:
	s_mov_b64 s[2:3], 0
	s_mov_b64 s[4:5], -1
.LBB182_2122:
	s_andn2_b64 vcc, exec, s[2:3]
	s_mov_b64 s[2:3], 0
	s_cbranch_vccnz .LBB182_2133
; %bb.2123:
	s_cmp_gt_i32 s28, 14
	s_cbranch_scc0 .LBB182_2126
; %bb.2124:
	s_cmp_eq_u32 s28, 15
	s_cbranch_scc0 .LBB182_2129
; %bb.2125:
	global_load_ushort v7, v[0:1], off
	s_mov_b64 s[0:1], 0
	s_mov_b64 s[4:5], -1
	s_waitcnt vmcnt(0)
	v_lshlrev_b32_e32 v7, 16, v7
	v_cvt_f16_f32_e32 v7, v7
	s_branch .LBB182_2130
.LBB182_2126:
	s_mov_b64 s[6:7], -1
                                        ; implicit-def: $vgpr7
	s_branch .LBB182_2131
.LBB182_2127:
	s_or_saveexec_b64 s[4:5], s[4:5]
	v_mov_b32_e32 v7, 0x7e00
	s_xor_b64 exec, exec, s[4:5]
	s_cbranch_execz .LBB182_2108
.LBB182_2128:
	v_cmp_ne_u16_e32 vcc, 0, v10
	s_andn2_b64 s[2:3], s[2:3], exec
	s_and_b64 s[6:7], vcc, exec
	s_or_b64 s[2:3], s[2:3], s[6:7]
	v_mov_b32_e32 v7, v10
	s_or_b64 exec, exec, s[4:5]
	s_and_saveexec_b64 s[4:5], s[2:3]
	s_cbranch_execnz .LBB182_2109
	s_branch .LBB182_2110
.LBB182_2129:
	s_mov_b64 s[0:1], -1
                                        ; implicit-def: $vgpr7
.LBB182_2130:
	s_mov_b64 s[6:7], 0
.LBB182_2131:
	s_and_b64 vcc, exec, s[6:7]
	s_cbranch_vccz .LBB182_2133
; %bb.2132:
	s_cmp_lg_u32 s28, 11
	s_mov_b64 s[2:3], -1
	s_cselect_b64 s[0:1], -1, 0
.LBB182_2133:
	s_and_b64 vcc, exec, s[0:1]
	s_cbranch_vccnz .LBB182_2198
; %bb.2134:
	s_andn2_b64 vcc, exec, s[2:3]
	s_cbranch_vccnz .LBB182_2136
.LBB182_2135:
	global_load_ubyte v7, v[0:1], off
	v_mov_b32_e32 v10, 0x3c00
	s_mov_b64 s[4:5], -1
	s_waitcnt vmcnt(0)
	v_cmp_ne_u16_e32 vcc, 0, v7
	v_cndmask_b32_e32 v7, 0, v10, vcc
.LBB182_2136:
	s_mov_b64 s[0:1], 0
.LBB182_2137:
	s_and_b64 vcc, exec, s[0:1]
	s_cbranch_vccz .LBB182_2186
; %bb.2138:
	s_and_b32 s2, 0xffff, s26
	s_cmp_lt_i32 s2, 5
	s_cbranch_scc1 .LBB182_2143
; %bb.2139:
	s_cmp_lt_i32 s2, 8
	s_cbranch_scc1 .LBB182_2144
; %bb.2140:
	;; [unrolled: 3-line block ×3, first 2 shown]
	s_cmp_gt_i32 s2, 9
	s_cbranch_scc0 .LBB182_2146
; %bb.2142:
	global_load_dwordx2 v[10:11], v[0:1], off
	s_movk_i32 s0, 0x1ff
	s_movk_i32 s1, 0xffe
	v_mov_b32_e32 v7, 0x7c00
	v_mov_b32_e32 v12, 0x7e00
	s_movk_i32 s3, 0x40f
	s_mov_b32 s4, 0x8000
	s_waitcnt vmcnt(0)
	v_and_or_b32 v10, v11, s0, v10
	v_cmp_ne_u32_e32 vcc, 0, v10
	v_lshrrev_b32_e32 v13, 8, v11
	v_bfe_u32 v14, v11, 20, 11
	v_cndmask_b32_e64 v10, 0, 1, vcc
	v_sub_u32_e32 v15, 0x3f1, v14
	v_and_or_b32 v10, v13, s1, v10
	v_add_u32_e32 v14, 0xfffffc10, v14
	v_med3_i32 v13, v15, 0, 13
	v_or_b32_e32 v15, 0x1000, v10
	v_cmp_ne_u32_e32 vcc, 0, v10
	v_lshl_or_b32 v16, v14, 12, v10
	v_cndmask_b32_e32 v10, v7, v12, vcc
	v_lshrrev_b32_e32 v12, v13, v15
	v_lshlrev_b32_e32 v13, v13, v12
	v_cmp_ne_u32_e32 vcc, v13, v15
	v_cndmask_b32_e64 v13, 0, 1, vcc
	v_or_b32_e32 v12, v12, v13
	v_cmp_gt_i32_e32 vcc, 1, v14
	v_cndmask_b32_e32 v12, v16, v12, vcc
	v_and_b32_e32 v13, 7, v12
	v_cmp_lt_i32_e32 vcc, 5, v13
	v_cndmask_b32_e64 v15, 0, 1, vcc
	v_cmp_eq_u32_e32 vcc, 3, v13
	v_cndmask_b32_e64 v13, 0, 1, vcc
	v_lshrrev_b32_e32 v12, 2, v12
	v_or_b32_e32 v13, v13, v15
	v_add_u32_e32 v12, v12, v13
	v_cmp_gt_i32_e32 vcc, 31, v14
	v_cndmask_b32_e32 v7, v7, v12, vcc
	v_cmp_eq_u32_e32 vcc, s3, v14
	v_lshrrev_b32_e32 v11, 16, v11
	v_cndmask_b32_e32 v7, v7, v10, vcc
	v_and_or_b32 v7, v11, s4, v7
	s_mov_b64 s[0:1], 0
	s_branch .LBB182_2147
.LBB182_2143:
	s_mov_b64 s[0:1], -1
                                        ; implicit-def: $vgpr7
	s_branch .LBB182_2165
.LBB182_2144:
	s_mov_b64 s[0:1], -1
                                        ; implicit-def: $vgpr7
	s_branch .LBB182_2153
.LBB182_2145:
	s_mov_b64 s[0:1], -1
                                        ; implicit-def: $vgpr7
	s_branch .LBB182_2150
.LBB182_2146:
	s_mov_b64 s[0:1], -1
                                        ; implicit-def: $vgpr7
.LBB182_2147:
	s_andn2_b64 vcc, exec, s[0:1]
	s_cbranch_vccnz .LBB182_2149
; %bb.2148:
	global_load_dword v7, v[0:1], off
	s_waitcnt vmcnt(0)
	v_cvt_f16_f32_e32 v7, v7
.LBB182_2149:
	s_mov_b64 s[0:1], 0
.LBB182_2150:
	s_andn2_b64 vcc, exec, s[0:1]
	s_cbranch_vccnz .LBB182_2152
; %bb.2151:
	global_load_dword v7, v[0:1], off
.LBB182_2152:
	s_mov_b64 s[0:1], 0
.LBB182_2153:
	s_andn2_b64 vcc, exec, s[0:1]
	s_cbranch_vccnz .LBB182_2164
; %bb.2154:
	s_cmp_lt_i32 s2, 6
	s_cbranch_scc1 .LBB182_2157
; %bb.2155:
	s_cmp_gt_i32 s2, 6
	s_cbranch_scc0 .LBB182_2158
; %bb.2156:
	global_load_dwordx2 v[10:11], v[0:1], off
	s_movk_i32 s0, 0x1ff
	s_movk_i32 s1, 0xffe
	s_waitcnt vmcnt(1)
	v_mov_b32_e32 v7, 0x7c00
	v_mov_b32_e32 v12, 0x7e00
	s_movk_i32 s3, 0x40f
	s_mov_b32 s4, 0x8000
	s_waitcnt vmcnt(0)
	v_and_or_b32 v10, v11, s0, v10
	v_cmp_ne_u32_e32 vcc, 0, v10
	v_lshrrev_b32_e32 v13, 8, v11
	v_bfe_u32 v14, v11, 20, 11
	v_cndmask_b32_e64 v10, 0, 1, vcc
	v_sub_u32_e32 v15, 0x3f1, v14
	v_and_or_b32 v10, v13, s1, v10
	v_add_u32_e32 v14, 0xfffffc10, v14
	v_med3_i32 v13, v15, 0, 13
	v_or_b32_e32 v15, 0x1000, v10
	v_cmp_ne_u32_e32 vcc, 0, v10
	v_lshl_or_b32 v16, v14, 12, v10
	v_cndmask_b32_e32 v10, v7, v12, vcc
	v_lshrrev_b32_e32 v12, v13, v15
	v_lshlrev_b32_e32 v13, v13, v12
	v_cmp_ne_u32_e32 vcc, v13, v15
	v_cndmask_b32_e64 v13, 0, 1, vcc
	v_or_b32_e32 v12, v12, v13
	v_cmp_gt_i32_e32 vcc, 1, v14
	v_cndmask_b32_e32 v12, v16, v12, vcc
	v_and_b32_e32 v13, 7, v12
	v_cmp_lt_i32_e32 vcc, 5, v13
	v_cndmask_b32_e64 v15, 0, 1, vcc
	v_cmp_eq_u32_e32 vcc, 3, v13
	v_cndmask_b32_e64 v13, 0, 1, vcc
	v_lshrrev_b32_e32 v12, 2, v12
	v_or_b32_e32 v13, v13, v15
	v_add_u32_e32 v12, v12, v13
	v_cmp_gt_i32_e32 vcc, 31, v14
	v_cndmask_b32_e32 v7, v7, v12, vcc
	v_cmp_eq_u32_e32 vcc, s3, v14
	v_lshrrev_b32_e32 v11, 16, v11
	v_cndmask_b32_e32 v7, v7, v10, vcc
	v_and_or_b32 v7, v11, s4, v7
	s_mov_b64 s[0:1], 0
	s_branch .LBB182_2159
.LBB182_2157:
	s_mov_b64 s[0:1], -1
                                        ; implicit-def: $vgpr7
	s_branch .LBB182_2162
.LBB182_2158:
	s_mov_b64 s[0:1], -1
                                        ; implicit-def: $vgpr7
.LBB182_2159:
	s_andn2_b64 vcc, exec, s[0:1]
	s_cbranch_vccnz .LBB182_2161
; %bb.2160:
	global_load_dword v7, v[0:1], off
	s_waitcnt vmcnt(0)
	v_cvt_f16_f32_e32 v7, v7
.LBB182_2161:
	s_mov_b64 s[0:1], 0
.LBB182_2162:
	s_andn2_b64 vcc, exec, s[0:1]
	s_cbranch_vccnz .LBB182_2164
; %bb.2163:
	global_load_ushort v7, v[0:1], off
.LBB182_2164:
	s_mov_b64 s[0:1], 0
.LBB182_2165:
	s_andn2_b64 vcc, exec, s[0:1]
	s_cbranch_vccnz .LBB182_2185
; %bb.2166:
	s_cmp_lt_i32 s2, 2
	s_cbranch_scc1 .LBB182_2170
; %bb.2167:
	s_cmp_lt_i32 s2, 3
	s_cbranch_scc1 .LBB182_2171
; %bb.2168:
	s_cmp_gt_i32 s2, 3
	s_cbranch_scc0 .LBB182_2172
; %bb.2169:
	global_load_dwordx2 v[10:11], v[0:1], off
	s_mov_b64 s[0:1], 0
	s_waitcnt vmcnt(0)
	v_xor_b32_e32 v12, v10, v11
	v_ffbh_i32_e32 v7, v11
	v_ashrrev_i32_e32 v12, 31, v12
	v_add_u32_e32 v7, -1, v7
	v_add_u32_e32 v12, 32, v12
	v_min_u32_e32 v7, v7, v12
	v_lshlrev_b64 v[10:11], v7, v[10:11]
	v_sub_u32_e32 v7, 32, v7
	v_min_u32_e32 v10, 1, v10
	v_or_b32_e32 v10, v11, v10
	v_cvt_f32_i32_e32 v10, v10
	v_ldexp_f32 v7, v10, v7
	v_cvt_f16_f32_e32 v7, v7
	s_branch .LBB182_2173
.LBB182_2170:
	s_mov_b64 s[0:1], -1
                                        ; implicit-def: $vgpr7
	s_branch .LBB182_2179
.LBB182_2171:
	s_mov_b64 s[0:1], -1
                                        ; implicit-def: $vgpr7
	s_branch .LBB182_2176
.LBB182_2172:
	s_mov_b64 s[0:1], -1
                                        ; implicit-def: $vgpr7
.LBB182_2173:
	s_andn2_b64 vcc, exec, s[0:1]
	s_cbranch_vccnz .LBB182_2175
; %bb.2174:
	global_load_dword v7, v[0:1], off
	s_waitcnt vmcnt(0)
	v_cvt_f32_i32_e32 v7, v7
	v_cvt_f16_f32_e32 v7, v7
.LBB182_2175:
	s_mov_b64 s[0:1], 0
.LBB182_2176:
	s_andn2_b64 vcc, exec, s[0:1]
	s_cbranch_vccnz .LBB182_2178
; %bb.2177:
	global_load_ushort v7, v[0:1], off
	s_waitcnt vmcnt(0)
	v_cvt_f16_i16_e32 v7, v7
.LBB182_2178:
	s_mov_b64 s[0:1], 0
.LBB182_2179:
	s_andn2_b64 vcc, exec, s[0:1]
	s_cbranch_vccnz .LBB182_2185
; %bb.2180:
	s_cmp_gt_i32 s2, 0
	s_cbranch_scc0 .LBB182_2182
; %bb.2181:
	global_load_sbyte v7, v[0:1], off
	s_mov_b64 s[0:1], 0
	s_waitcnt vmcnt(0)
	v_cvt_f16_i16_e32 v7, v7
	s_branch .LBB182_2183
.LBB182_2182:
	s_mov_b64 s[0:1], -1
                                        ; implicit-def: $vgpr7
.LBB182_2183:
	s_andn2_b64 vcc, exec, s[0:1]
	s_cbranch_vccnz .LBB182_2185
; %bb.2184:
	global_load_ubyte v0, v[0:1], off
	s_waitcnt vmcnt(0)
	v_cvt_f16_u16_e32 v7, v0
.LBB182_2185:
	s_mov_b64 s[4:5], -1
.LBB182_2186:
	s_andn2_b64 vcc, exec, s[4:5]
	s_cbranch_vccnz .LBB182_3012
; %bb.2187:
	v_add_u32_e32 v10, s14, v8
	v_ashrrev_i32_e32 v1, 31, v10
	v_mov_b32_e32 v8, s17
	v_add_co_u32_e32 v0, vcc, s16, v10
	s_cmp_lt_i32 s27, 11
	v_addc_co_u32_e32 v1, vcc, v8, v1, vcc
	s_cbranch_scc1 .LBB182_2194
; %bb.2188:
	s_and_b32 s28, 0xffff, s27
	s_cmp_gt_i32 s28, 25
	s_mov_b64 s[2:3], 0
	s_cbranch_scc0 .LBB182_2195
; %bb.2189:
	s_cmp_gt_i32 s28, 28
	s_cbranch_scc0 .LBB182_2196
; %bb.2190:
	s_cmp_gt_i32 s28, 43
	;; [unrolled: 3-line block ×3, first 2 shown]
	s_cbranch_scc0 .LBB182_2199
; %bb.2192:
	s_cmp_eq_u32 s28, 46
	s_mov_b64 s[6:7], 0
	s_cbranch_scc0 .LBB182_2202
; %bb.2193:
	global_load_dword v8, v[0:1], off
	s_mov_b64 s[0:1], 0
	s_mov_b64 s[4:5], -1
	s_waitcnt vmcnt(0)
	v_lshlrev_b32_e32 v8, 16, v8
	v_cvt_f16_f32_e32 v8, v8
	s_branch .LBB182_2203
.LBB182_2194:
	s_mov_b64 s[0:1], -1
	s_mov_b64 s[4:5], 0
                                        ; implicit-def: $vgpr8
	s_branch .LBB182_2269
.LBB182_2195:
	s_mov_b64 s[6:7], -1
	s_mov_b64 s[4:5], 0
	s_mov_b64 s[0:1], 0
                                        ; implicit-def: $vgpr8
	s_branch .LBB182_2232
.LBB182_2196:
	s_mov_b64 s[6:7], -1
	s_mov_b64 s[4:5], 0
	s_mov_b64 s[0:1], 0
                                        ; implicit-def: $vgpr8
	s_branch .LBB182_2213
.LBB182_2197:
	s_mov_b64 s[6:7], -1
	s_mov_b64 s[4:5], 0
	s_mov_b64 s[0:1], 0
                                        ; implicit-def: $vgpr8
	s_branch .LBB182_2208
.LBB182_2198:
	s_trap 2
	s_or_b64 s[22:23], s[22:23], exec
	s_cbranch_execz .LBB182_2135
	s_branch .LBB182_2136
.LBB182_2199:
	s_mov_b64 s[6:7], -1
	s_mov_b64 s[4:5], 0
	s_mov_b64 s[0:1], 0
                                        ; implicit-def: $vgpr8
	s_branch .LBB182_2203
.LBB182_2200:
	s_andn2_saveexec_b64 s[48:49], s[48:49]
	s_cbranch_execz .LBB182_1085
.LBB182_2201:
	v_add_f32_e32 v3, 0x42800000, v4
	v_and_b32_e32 v3, 0xff, v3
	v_cmp_ne_u32_e32 vcc, 0, v3
	s_andn2_b64 s[46:47], s[46:47], exec
	s_and_b64 s[54:55], vcc, exec
	s_or_b64 s[46:47], s[46:47], s[54:55]
	s_or_b64 exec, exec, s[48:49]
	v_mov_b32_e32 v5, 0
	s_and_saveexec_b64 s[48:49], s[46:47]
	s_cbranch_execnz .LBB182_1086
	s_branch .LBB182_1087
.LBB182_2202:
	s_mov_b64 s[0:1], -1
                                        ; implicit-def: $vgpr8
	s_mov_b64 s[4:5], 0
.LBB182_2203:
	s_and_b64 vcc, exec, s[6:7]
	s_cbranch_vccz .LBB182_2207
; %bb.2204:
	s_cmp_eq_u32 s28, 44
	s_cbranch_scc0 .LBB182_2206
; %bb.2205:
	global_load_ubyte v8, v[0:1], off
	s_movk_i32 s4, 0xff
	v_mov_b32_e32 v12, 0x7e00
	s_mov_b64 s[0:1], 0
	s_waitcnt vmcnt(0)
	v_lshlrev_b32_e32 v11, 23, v8
	v_cvt_f16_f32_e32 v11, v11
	v_cmp_ne_u32_e32 vcc, s4, v8
	s_mov_b64 s[4:5], -1
	v_cndmask_b32_e32 v11, v12, v11, vcc
	v_cmp_ne_u32_e32 vcc, 0, v8
	v_cndmask_b32_e32 v8, 0, v11, vcc
	s_branch .LBB182_2207
.LBB182_2206:
	s_mov_b64 s[0:1], -1
                                        ; implicit-def: $vgpr8
.LBB182_2207:
	s_mov_b64 s[6:7], 0
.LBB182_2208:
	s_and_b64 vcc, exec, s[6:7]
	s_cbranch_vccz .LBB182_2212
; %bb.2209:
	s_cmp_eq_u32 s28, 29
	s_cbranch_scc0 .LBB182_2211
; %bb.2210:
	global_load_dwordx2 v[11:12], v[0:1], off
	s_mov_b64 s[0:1], 0
	s_mov_b64 s[4:5], -1
	s_mov_b64 s[6:7], 0
	s_waitcnt vmcnt(0)
	v_ffbh_u32_e32 v8, v12
	v_min_u32_e32 v8, 32, v8
	v_lshlrev_b64 v[11:12], v8, v[11:12]
	v_sub_u32_e32 v8, 32, v8
	v_min_u32_e32 v11, 1, v11
	v_or_b32_e32 v11, v12, v11
	v_cvt_f32_u32_e32 v11, v11
	v_ldexp_f32 v8, v11, v8
	v_cvt_f16_f32_e32 v8, v8
	s_branch .LBB182_2213
.LBB182_2211:
	s_mov_b64 s[0:1], -1
                                        ; implicit-def: $vgpr8
.LBB182_2212:
	s_mov_b64 s[6:7], 0
.LBB182_2213:
	s_and_b64 vcc, exec, s[6:7]
	s_cbranch_vccz .LBB182_2231
; %bb.2214:
	s_cmp_lt_i32 s28, 27
	s_cbranch_scc1 .LBB182_2217
; %bb.2215:
	s_cmp_gt_i32 s28, 27
	s_cbranch_scc0 .LBB182_2218
; %bb.2216:
	global_load_dword v8, v[0:1], off
	s_mov_b64 s[4:5], 0
	s_waitcnt vmcnt(0)
	v_cvt_f32_u32_e32 v8, v8
	v_cvt_f16_f32_e32 v8, v8
	s_branch .LBB182_2219
.LBB182_2217:
	s_mov_b64 s[4:5], -1
                                        ; implicit-def: $vgpr8
	s_branch .LBB182_2222
.LBB182_2218:
	s_mov_b64 s[4:5], -1
                                        ; implicit-def: $vgpr8
.LBB182_2219:
	s_andn2_b64 vcc, exec, s[4:5]
	s_cbranch_vccnz .LBB182_2221
; %bb.2220:
	global_load_ushort v8, v[0:1], off
	s_waitcnt vmcnt(0)
	v_cvt_f16_u16_e32 v8, v8
.LBB182_2221:
	s_mov_b64 s[4:5], 0
.LBB182_2222:
	s_andn2_b64 vcc, exec, s[4:5]
	s_cbranch_vccnz .LBB182_2230
; %bb.2223:
	global_load_ubyte v11, v[0:1], off
	s_movk_i32 s4, 0x7f
	s_waitcnt vmcnt(0)
	v_cmp_lt_i16_e32 vcc, s4, v11
	s_mov_b64 s[4:5], 0
	s_and_saveexec_b64 s[6:7], vcc
	s_xor_b64 s[6:7], exec, s[6:7]
	s_cbranch_execz .LBB182_2244
; %bb.2224:
	s_movk_i32 s4, 0x80
	v_cmp_eq_u16_e32 vcc, s4, v11
	s_mov_b64 s[4:5], -1
	s_and_saveexec_b64 s[24:25], vcc
; %bb.2225:
	s_xor_b64 s[4:5], exec, -1
; %bb.2226:
	s_or_b64 exec, exec, s[24:25]
	s_and_b64 s[4:5], s[4:5], exec
	s_or_saveexec_b64 s[6:7], s[6:7]
	v_mov_b32_e32 v8, 0x7e00
	s_xor_b64 exec, exec, s[6:7]
	s_cbranch_execnz .LBB182_2245
.LBB182_2227:
	s_or_b64 exec, exec, s[6:7]
	s_and_saveexec_b64 s[6:7], s[4:5]
	s_cbranch_execz .LBB182_2229
.LBB182_2228:
	v_lshlrev_b32_e32 v8, 24, v11
	v_and_b32_e32 v11, 0xffff, v11
	v_and_b32_e32 v12, 7, v11
	v_ffbh_u32_e32 v14, v12
	v_min_u32_e32 v14, 32, v14
	v_subrev_u32_e32 v15, 28, v14
	v_bfe_u32 v13, v11, 3, 4
	v_lshlrev_b32_e32 v11, v15, v11
	v_sub_u32_e32 v14, 29, v14
	v_and_b32_e32 v11, 7, v11
	v_cmp_eq_u32_e32 vcc, 0, v13
	v_cndmask_b32_e32 v13, v13, v14, vcc
	v_cndmask_b32_e32 v11, v12, v11, vcc
	v_mov_b32_e32 v12, 0x3b800000
	v_lshlrev_b32_e32 v11, 20, v11
	v_and_b32_e32 v8, 0x80000000, v8
	v_lshl_add_u32 v12, v13, 23, v12
	v_or3_b32 v8, v8, v12, v11
	v_cvt_f16_f32_e32 v8, v8
.LBB182_2229:
	s_or_b64 exec, exec, s[6:7]
.LBB182_2230:
	s_mov_b64 s[4:5], -1
.LBB182_2231:
	s_mov_b64 s[6:7], 0
.LBB182_2232:
	s_and_b64 vcc, exec, s[6:7]
	s_cbranch_vccz .LBB182_2265
; %bb.2233:
	s_cmp_gt_i32 s28, 22
	s_cbranch_scc0 .LBB182_2243
; %bb.2234:
	s_cmp_lt_i32 s28, 24
	s_cbranch_scc1 .LBB182_2246
; %bb.2235:
	s_cmp_gt_i32 s28, 24
	s_cbranch_scc0 .LBB182_2247
; %bb.2236:
	global_load_ubyte v11, v[0:1], off
	s_movk_i32 s2, 0x7f
	s_waitcnt vmcnt(0)
	v_cmp_lt_i16_e32 vcc, s2, v11
	s_mov_b64 s[2:3], 0
	s_and_saveexec_b64 s[4:5], vcc
	s_xor_b64 s[4:5], exec, s[4:5]
	s_cbranch_execz .LBB182_2259
; %bb.2237:
	s_movk_i32 s2, 0x80
	v_cmp_eq_u16_e32 vcc, s2, v11
	s_mov_b64 s[2:3], -1
	s_and_saveexec_b64 s[6:7], vcc
; %bb.2238:
	s_xor_b64 s[2:3], exec, -1
; %bb.2239:
	s_or_b64 exec, exec, s[6:7]
	s_and_b64 s[2:3], s[2:3], exec
	s_or_saveexec_b64 s[4:5], s[4:5]
	v_mov_b32_e32 v8, 0x7e00
	s_xor_b64 exec, exec, s[4:5]
	s_cbranch_execnz .LBB182_2260
.LBB182_2240:
	s_or_b64 exec, exec, s[4:5]
	s_and_saveexec_b64 s[4:5], s[2:3]
	s_cbranch_execz .LBB182_2242
.LBB182_2241:
	v_lshlrev_b32_e32 v8, 24, v11
	v_and_b32_e32 v11, 0xffff, v11
	v_and_b32_e32 v12, 3, v11
	v_ffbh_u32_e32 v14, v12
	v_min_u32_e32 v14, 32, v14
	v_subrev_u32_e32 v15, 29, v14
	v_bfe_u32 v13, v11, 2, 5
	v_lshlrev_b32_e32 v11, v15, v11
	v_sub_u32_e32 v14, 30, v14
	v_and_b32_e32 v11, 3, v11
	v_cmp_eq_u32_e32 vcc, 0, v13
	v_cndmask_b32_e32 v13, v13, v14, vcc
	v_cndmask_b32_e32 v11, v12, v11, vcc
	v_mov_b32_e32 v12, 0x37800000
	v_lshlrev_b32_e32 v11, 21, v11
	v_and_b32_e32 v8, 0x80000000, v8
	v_lshl_add_u32 v12, v13, 23, v12
	v_or3_b32 v8, v8, v12, v11
	v_cvt_f16_f32_e32 v8, v8
.LBB182_2242:
	s_or_b64 exec, exec, s[4:5]
	s_mov_b64 s[2:3], 0
	s_branch .LBB182_2248
.LBB182_2243:
	s_mov_b64 s[2:3], -1
                                        ; implicit-def: $vgpr8
	s_branch .LBB182_2254
.LBB182_2244:
	s_or_saveexec_b64 s[6:7], s[6:7]
	v_mov_b32_e32 v8, 0x7e00
	s_xor_b64 exec, exec, s[6:7]
	s_cbranch_execz .LBB182_2227
.LBB182_2245:
	v_cmp_ne_u16_e32 vcc, 0, v11
	s_andn2_b64 s[4:5], s[4:5], exec
	s_and_b64 s[24:25], vcc, exec
	s_or_b64 s[4:5], s[4:5], s[24:25]
	v_mov_b32_e32 v8, v11
	s_or_b64 exec, exec, s[6:7]
	s_and_saveexec_b64 s[6:7], s[4:5]
	s_cbranch_execnz .LBB182_2228
	s_branch .LBB182_2229
.LBB182_2246:
	s_mov_b64 s[2:3], -1
                                        ; implicit-def: $vgpr8
	s_branch .LBB182_2251
.LBB182_2247:
	s_mov_b64 s[2:3], -1
                                        ; implicit-def: $vgpr8
.LBB182_2248:
	s_and_b64 vcc, exec, s[2:3]
	s_cbranch_vccz .LBB182_2250
; %bb.2249:
	global_load_ubyte v8, v[0:1], off
	s_mov_b32 s2, 0x7f800000
	s_waitcnt vmcnt(0)
	v_lshlrev_b32_e32 v8, 24, v8
	v_and_b32_e32 v11, 0x7f000000, v8
	v_ffbh_u32_e32 v12, v11
	v_min_u32_e32 v12, 32, v12
	v_sub_u32_e64 v12, v12, 4 clamp
	v_lshlrev_b32_e32 v14, v12, v11
	v_lshlrev_b32_e32 v12, 23, v12
	v_lshrrev_b32_e32 v14, 4, v14
	v_add_u32_e32 v13, 0x1000000, v11
	v_sub_u32_e32 v12, v14, v12
	v_ashrrev_i32_e32 v13, 8, v13
	v_add_u32_e32 v12, 0x3c000000, v12
	v_and_or_b32 v12, v13, s2, v12
	v_cmp_ne_u32_e32 vcc, 0, v11
	v_cndmask_b32_e32 v11, 0, v12, vcc
	s_brev_b32 s2, 1
	v_and_or_b32 v8, v8, s2, v11
	v_cvt_f16_f32_e32 v8, v8
.LBB182_2250:
	s_mov_b64 s[2:3], 0
.LBB182_2251:
	s_andn2_b64 vcc, exec, s[2:3]
	s_cbranch_vccnz .LBB182_2253
; %bb.2252:
	global_load_ubyte v8, v[0:1], off
	s_movk_i32 s2, 0x7f00
	s_brev_b32 s3, 16
	s_waitcnt vmcnt(0)
	v_lshlrev_b16_e32 v11, 8, v8
	v_lshlrev_b32_e32 v8, 25, v8
	v_lshrrev_b32_e32 v12, 4, v8
	v_and_or_b32 v13, v11, s2, 0.5
	v_or_b32_e32 v12, 0x70000000, v12
	v_add_f32_e32 v13, -0.5, v13
	v_mul_f32_e32 v12, 0x7800000, v12
	v_cmp_gt_u32_e32 vcc, s3, v8
	v_bfe_i32 v11, v11, 0, 16
	v_cndmask_b32_e32 v8, v12, v13, vcc
	s_brev_b32 s2, 1
	v_and_or_b32 v8, v11, s2, v8
	v_cvt_f16_f32_e32 v8, v8
.LBB182_2253:
	s_mov_b64 s[2:3], 0
	s_mov_b64 s[4:5], -1
.LBB182_2254:
	s_andn2_b64 vcc, exec, s[2:3]
	s_mov_b64 s[2:3], 0
	s_cbranch_vccnz .LBB182_2265
; %bb.2255:
	s_cmp_gt_i32 s28, 14
	s_cbranch_scc0 .LBB182_2258
; %bb.2256:
	s_cmp_eq_u32 s28, 15
	s_cbranch_scc0 .LBB182_2261
; %bb.2257:
	global_load_ushort v8, v[0:1], off
	s_mov_b64 s[0:1], 0
	s_mov_b64 s[4:5], -1
	s_waitcnt vmcnt(0)
	v_lshlrev_b32_e32 v8, 16, v8
	v_cvt_f16_f32_e32 v8, v8
	s_branch .LBB182_2262
.LBB182_2258:
	s_mov_b64 s[6:7], -1
                                        ; implicit-def: $vgpr8
	s_branch .LBB182_2263
.LBB182_2259:
	s_or_saveexec_b64 s[4:5], s[4:5]
	v_mov_b32_e32 v8, 0x7e00
	s_xor_b64 exec, exec, s[4:5]
	s_cbranch_execz .LBB182_2240
.LBB182_2260:
	v_cmp_ne_u16_e32 vcc, 0, v11
	s_andn2_b64 s[2:3], s[2:3], exec
	s_and_b64 s[6:7], vcc, exec
	s_or_b64 s[2:3], s[2:3], s[6:7]
	v_mov_b32_e32 v8, v11
	s_or_b64 exec, exec, s[4:5]
	s_and_saveexec_b64 s[4:5], s[2:3]
	s_cbranch_execnz .LBB182_2241
	s_branch .LBB182_2242
.LBB182_2261:
	s_mov_b64 s[0:1], -1
                                        ; implicit-def: $vgpr8
.LBB182_2262:
	s_mov_b64 s[6:7], 0
.LBB182_2263:
	s_and_b64 vcc, exec, s[6:7]
	s_cbranch_vccz .LBB182_2265
; %bb.2264:
	s_cmp_lg_u32 s28, 11
	s_mov_b64 s[2:3], -1
	s_cselect_b64 s[0:1], -1, 0
.LBB182_2265:
	s_and_b64 vcc, exec, s[0:1]
	s_cbranch_vccnz .LBB182_2330
; %bb.2266:
	s_andn2_b64 vcc, exec, s[2:3]
	s_cbranch_vccnz .LBB182_2268
.LBB182_2267:
	global_load_ubyte v8, v[0:1], off
	v_mov_b32_e32 v11, 0x3c00
	s_mov_b64 s[4:5], -1
	s_waitcnt vmcnt(0)
	v_cmp_ne_u16_e32 vcc, 0, v8
	v_cndmask_b32_e32 v8, 0, v11, vcc
.LBB182_2268:
	s_mov_b64 s[0:1], 0
.LBB182_2269:
	s_and_b64 vcc, exec, s[0:1]
	s_cbranch_vccz .LBB182_2318
; %bb.2270:
	s_and_b32 s2, 0xffff, s27
	s_cmp_lt_i32 s2, 5
	s_cbranch_scc1 .LBB182_2275
; %bb.2271:
	s_cmp_lt_i32 s2, 8
	s_cbranch_scc1 .LBB182_2276
; %bb.2272:
	;; [unrolled: 3-line block ×3, first 2 shown]
	s_cmp_gt_i32 s2, 9
	s_cbranch_scc0 .LBB182_2278
; %bb.2274:
	global_load_dwordx2 v[11:12], v[0:1], off
	s_movk_i32 s0, 0x1ff
	s_movk_i32 s1, 0xffe
	v_mov_b32_e32 v8, 0x7c00
	v_mov_b32_e32 v13, 0x7e00
	s_movk_i32 s3, 0x40f
	s_mov_b32 s4, 0x8000
	s_waitcnt vmcnt(0)
	v_and_or_b32 v11, v12, s0, v11
	v_cmp_ne_u32_e32 vcc, 0, v11
	v_lshrrev_b32_e32 v14, 8, v12
	v_bfe_u32 v15, v12, 20, 11
	v_cndmask_b32_e64 v11, 0, 1, vcc
	v_sub_u32_e32 v16, 0x3f1, v15
	v_and_or_b32 v11, v14, s1, v11
	v_add_u32_e32 v15, 0xfffffc10, v15
	v_med3_i32 v14, v16, 0, 13
	v_or_b32_e32 v16, 0x1000, v11
	v_cmp_ne_u32_e32 vcc, 0, v11
	v_lshl_or_b32 v17, v15, 12, v11
	v_cndmask_b32_e32 v11, v8, v13, vcc
	v_lshrrev_b32_e32 v13, v14, v16
	v_lshlrev_b32_e32 v14, v14, v13
	v_cmp_ne_u32_e32 vcc, v14, v16
	v_cndmask_b32_e64 v14, 0, 1, vcc
	v_or_b32_e32 v13, v13, v14
	v_cmp_gt_i32_e32 vcc, 1, v15
	v_cndmask_b32_e32 v13, v17, v13, vcc
	v_and_b32_e32 v14, 7, v13
	v_cmp_lt_i32_e32 vcc, 5, v14
	v_cndmask_b32_e64 v16, 0, 1, vcc
	v_cmp_eq_u32_e32 vcc, 3, v14
	v_cndmask_b32_e64 v14, 0, 1, vcc
	v_lshrrev_b32_e32 v13, 2, v13
	v_or_b32_e32 v14, v14, v16
	v_add_u32_e32 v13, v13, v14
	v_cmp_gt_i32_e32 vcc, 31, v15
	v_cndmask_b32_e32 v8, v8, v13, vcc
	v_cmp_eq_u32_e32 vcc, s3, v15
	v_lshrrev_b32_e32 v12, 16, v12
	v_cndmask_b32_e32 v8, v8, v11, vcc
	v_and_or_b32 v8, v12, s4, v8
	s_mov_b64 s[0:1], 0
	s_branch .LBB182_2279
.LBB182_2275:
	s_mov_b64 s[0:1], -1
                                        ; implicit-def: $vgpr8
	s_branch .LBB182_2297
.LBB182_2276:
	s_mov_b64 s[0:1], -1
                                        ; implicit-def: $vgpr8
	s_branch .LBB182_2285
.LBB182_2277:
	s_mov_b64 s[0:1], -1
                                        ; implicit-def: $vgpr8
	s_branch .LBB182_2282
.LBB182_2278:
	s_mov_b64 s[0:1], -1
                                        ; implicit-def: $vgpr8
.LBB182_2279:
	s_andn2_b64 vcc, exec, s[0:1]
	s_cbranch_vccnz .LBB182_2281
; %bb.2280:
	global_load_dword v8, v[0:1], off
	s_waitcnt vmcnt(0)
	v_cvt_f16_f32_e32 v8, v8
.LBB182_2281:
	s_mov_b64 s[0:1], 0
.LBB182_2282:
	s_andn2_b64 vcc, exec, s[0:1]
	s_cbranch_vccnz .LBB182_2284
; %bb.2283:
	global_load_dword v8, v[0:1], off
.LBB182_2284:
	s_mov_b64 s[0:1], 0
.LBB182_2285:
	s_andn2_b64 vcc, exec, s[0:1]
	s_cbranch_vccnz .LBB182_2296
; %bb.2286:
	s_cmp_lt_i32 s2, 6
	s_cbranch_scc1 .LBB182_2289
; %bb.2287:
	s_cmp_gt_i32 s2, 6
	s_cbranch_scc0 .LBB182_2290
; %bb.2288:
	global_load_dwordx2 v[11:12], v[0:1], off
	s_movk_i32 s0, 0x1ff
	s_movk_i32 s1, 0xffe
	s_waitcnt vmcnt(1)
	v_mov_b32_e32 v8, 0x7c00
	v_mov_b32_e32 v13, 0x7e00
	s_movk_i32 s3, 0x40f
	s_mov_b32 s4, 0x8000
	s_waitcnt vmcnt(0)
	v_and_or_b32 v11, v12, s0, v11
	v_cmp_ne_u32_e32 vcc, 0, v11
	v_lshrrev_b32_e32 v14, 8, v12
	v_bfe_u32 v15, v12, 20, 11
	v_cndmask_b32_e64 v11, 0, 1, vcc
	v_sub_u32_e32 v16, 0x3f1, v15
	v_and_or_b32 v11, v14, s1, v11
	v_add_u32_e32 v15, 0xfffffc10, v15
	v_med3_i32 v14, v16, 0, 13
	v_or_b32_e32 v16, 0x1000, v11
	v_cmp_ne_u32_e32 vcc, 0, v11
	v_lshl_or_b32 v17, v15, 12, v11
	v_cndmask_b32_e32 v11, v8, v13, vcc
	v_lshrrev_b32_e32 v13, v14, v16
	v_lshlrev_b32_e32 v14, v14, v13
	v_cmp_ne_u32_e32 vcc, v14, v16
	v_cndmask_b32_e64 v14, 0, 1, vcc
	v_or_b32_e32 v13, v13, v14
	v_cmp_gt_i32_e32 vcc, 1, v15
	v_cndmask_b32_e32 v13, v17, v13, vcc
	v_and_b32_e32 v14, 7, v13
	v_cmp_lt_i32_e32 vcc, 5, v14
	v_cndmask_b32_e64 v16, 0, 1, vcc
	v_cmp_eq_u32_e32 vcc, 3, v14
	v_cndmask_b32_e64 v14, 0, 1, vcc
	v_lshrrev_b32_e32 v13, 2, v13
	v_or_b32_e32 v14, v14, v16
	v_add_u32_e32 v13, v13, v14
	v_cmp_gt_i32_e32 vcc, 31, v15
	v_cndmask_b32_e32 v8, v8, v13, vcc
	v_cmp_eq_u32_e32 vcc, s3, v15
	v_lshrrev_b32_e32 v12, 16, v12
	v_cndmask_b32_e32 v8, v8, v11, vcc
	v_and_or_b32 v8, v12, s4, v8
	s_mov_b64 s[0:1], 0
	s_branch .LBB182_2291
.LBB182_2289:
	s_mov_b64 s[0:1], -1
                                        ; implicit-def: $vgpr8
	s_branch .LBB182_2294
.LBB182_2290:
	s_mov_b64 s[0:1], -1
                                        ; implicit-def: $vgpr8
.LBB182_2291:
	s_andn2_b64 vcc, exec, s[0:1]
	s_cbranch_vccnz .LBB182_2293
; %bb.2292:
	global_load_dword v8, v[0:1], off
	s_waitcnt vmcnt(0)
	v_cvt_f16_f32_e32 v8, v8
.LBB182_2293:
	s_mov_b64 s[0:1], 0
.LBB182_2294:
	s_andn2_b64 vcc, exec, s[0:1]
	s_cbranch_vccnz .LBB182_2296
; %bb.2295:
	global_load_ushort v8, v[0:1], off
.LBB182_2296:
	s_mov_b64 s[0:1], 0
.LBB182_2297:
	s_andn2_b64 vcc, exec, s[0:1]
	s_cbranch_vccnz .LBB182_2317
; %bb.2298:
	s_cmp_lt_i32 s2, 2
	s_cbranch_scc1 .LBB182_2302
; %bb.2299:
	s_cmp_lt_i32 s2, 3
	s_cbranch_scc1 .LBB182_2303
; %bb.2300:
	s_cmp_gt_i32 s2, 3
	s_cbranch_scc0 .LBB182_2304
; %bb.2301:
	global_load_dwordx2 v[11:12], v[0:1], off
	s_mov_b64 s[0:1], 0
	s_waitcnt vmcnt(0)
	v_xor_b32_e32 v13, v11, v12
	v_ffbh_i32_e32 v8, v12
	v_ashrrev_i32_e32 v13, 31, v13
	v_add_u32_e32 v8, -1, v8
	v_add_u32_e32 v13, 32, v13
	v_min_u32_e32 v8, v8, v13
	v_lshlrev_b64 v[11:12], v8, v[11:12]
	v_sub_u32_e32 v8, 32, v8
	v_min_u32_e32 v11, 1, v11
	v_or_b32_e32 v11, v12, v11
	v_cvt_f32_i32_e32 v11, v11
	v_ldexp_f32 v8, v11, v8
	v_cvt_f16_f32_e32 v8, v8
	s_branch .LBB182_2305
.LBB182_2302:
	s_mov_b64 s[0:1], -1
                                        ; implicit-def: $vgpr8
	s_branch .LBB182_2311
.LBB182_2303:
	s_mov_b64 s[0:1], -1
                                        ; implicit-def: $vgpr8
	s_branch .LBB182_2308
.LBB182_2304:
	s_mov_b64 s[0:1], -1
                                        ; implicit-def: $vgpr8
.LBB182_2305:
	s_andn2_b64 vcc, exec, s[0:1]
	s_cbranch_vccnz .LBB182_2307
; %bb.2306:
	global_load_dword v8, v[0:1], off
	s_waitcnt vmcnt(0)
	v_cvt_f32_i32_e32 v8, v8
	v_cvt_f16_f32_e32 v8, v8
.LBB182_2307:
	s_mov_b64 s[0:1], 0
.LBB182_2308:
	s_andn2_b64 vcc, exec, s[0:1]
	s_cbranch_vccnz .LBB182_2310
; %bb.2309:
	global_load_ushort v8, v[0:1], off
	s_waitcnt vmcnt(0)
	v_cvt_f16_i16_e32 v8, v8
.LBB182_2310:
	s_mov_b64 s[0:1], 0
.LBB182_2311:
	s_andn2_b64 vcc, exec, s[0:1]
	s_cbranch_vccnz .LBB182_2317
; %bb.2312:
	s_cmp_gt_i32 s2, 0
	s_cbranch_scc0 .LBB182_2314
; %bb.2313:
	global_load_sbyte v8, v[0:1], off
	s_mov_b64 s[0:1], 0
	s_waitcnt vmcnt(0)
	v_cvt_f16_i16_e32 v8, v8
	s_branch .LBB182_2315
.LBB182_2314:
	s_mov_b64 s[0:1], -1
                                        ; implicit-def: $vgpr8
.LBB182_2315:
	s_andn2_b64 vcc, exec, s[0:1]
	s_cbranch_vccnz .LBB182_2317
; %bb.2316:
	global_load_ubyte v0, v[0:1], off
	s_waitcnt vmcnt(0)
	v_cvt_f16_u16_e32 v8, v0
.LBB182_2317:
	s_mov_b64 s[4:5], -1
.LBB182_2318:
	s_andn2_b64 vcc, exec, s[4:5]
	s_cbranch_vccnz .LBB182_3012
; %bb.2319:
	v_add_u32_e32 v0, s13, v9
	v_ashrrev_i32_e32 v1, 31, v0
	v_mov_b32_e32 v9, s11
	v_add_co_u32_e32 v0, vcc, s10, v0
	s_cmp_lt_i32 s26, 11
	v_addc_co_u32_e32 v1, vcc, v9, v1, vcc
	s_cbranch_scc1 .LBB182_2326
; %bb.2320:
	s_and_b32 s13, 0xffff, s26
	s_cmp_gt_i32 s13, 25
	s_mov_b64 s[2:3], 0
	s_cbranch_scc0 .LBB182_2327
; %bb.2321:
	s_cmp_gt_i32 s13, 28
	s_cbranch_scc0 .LBB182_2328
; %bb.2322:
	s_cmp_gt_i32 s13, 43
	;; [unrolled: 3-line block ×3, first 2 shown]
	s_cbranch_scc0 .LBB182_2331
; %bb.2324:
	s_cmp_eq_u32 s13, 46
	s_mov_b64 s[6:7], 0
	s_cbranch_scc0 .LBB182_2332
; %bb.2325:
	global_load_dword v9, v[0:1], off
	s_mov_b64 s[0:1], 0
	s_mov_b64 s[4:5], -1
	s_waitcnt vmcnt(0)
	v_lshlrev_b32_e32 v9, 16, v9
	v_cvt_f16_f32_e32 v9, v9
	s_branch .LBB182_2333
.LBB182_2326:
	s_mov_b64 s[0:1], -1
	s_mov_b64 s[4:5], 0
                                        ; implicit-def: $vgpr9
	s_branch .LBB182_2399
.LBB182_2327:
	s_mov_b64 s[6:7], -1
	s_mov_b64 s[4:5], 0
	s_mov_b64 s[0:1], 0
                                        ; implicit-def: $vgpr9
	s_branch .LBB182_2362
.LBB182_2328:
	s_mov_b64 s[6:7], -1
	s_mov_b64 s[4:5], 0
	s_mov_b64 s[0:1], 0
                                        ; implicit-def: $vgpr9
	s_branch .LBB182_2343
.LBB182_2329:
	s_mov_b64 s[6:7], -1
	s_mov_b64 s[4:5], 0
	s_mov_b64 s[0:1], 0
                                        ; implicit-def: $vgpr9
	s_branch .LBB182_2338
.LBB182_2330:
	s_trap 2
	s_or_b64 s[22:23], s[22:23], exec
	s_cbranch_execz .LBB182_2267
	s_branch .LBB182_2268
.LBB182_2331:
	s_mov_b64 s[6:7], -1
	s_mov_b64 s[4:5], 0
	s_mov_b64 s[0:1], 0
                                        ; implicit-def: $vgpr9
	s_branch .LBB182_2333
.LBB182_2332:
	s_mov_b64 s[0:1], -1
                                        ; implicit-def: $vgpr9
	s_mov_b64 s[4:5], 0
.LBB182_2333:
	s_and_b64 vcc, exec, s[6:7]
	s_cbranch_vccz .LBB182_2337
; %bb.2334:
	s_cmp_eq_u32 s13, 44
	s_cbranch_scc0 .LBB182_2336
; %bb.2335:
	global_load_ubyte v9, v[0:1], off
	s_movk_i32 s4, 0xff
	v_mov_b32_e32 v12, 0x7e00
	s_mov_b64 s[0:1], 0
	s_waitcnt vmcnt(0)
	v_lshlrev_b32_e32 v11, 23, v9
	v_cvt_f16_f32_e32 v11, v11
	v_cmp_ne_u32_e32 vcc, s4, v9
	s_mov_b64 s[4:5], -1
	v_cndmask_b32_e32 v11, v12, v11, vcc
	v_cmp_ne_u32_e32 vcc, 0, v9
	v_cndmask_b32_e32 v9, 0, v11, vcc
	s_branch .LBB182_2337
.LBB182_2336:
	s_mov_b64 s[0:1], -1
                                        ; implicit-def: $vgpr9
.LBB182_2337:
	s_mov_b64 s[6:7], 0
.LBB182_2338:
	s_and_b64 vcc, exec, s[6:7]
	s_cbranch_vccz .LBB182_2342
; %bb.2339:
	s_cmp_eq_u32 s13, 29
	s_cbranch_scc0 .LBB182_2341
; %bb.2340:
	global_load_dwordx2 v[11:12], v[0:1], off
	s_mov_b64 s[0:1], 0
	s_mov_b64 s[4:5], -1
	s_mov_b64 s[6:7], 0
	s_waitcnt vmcnt(0)
	v_ffbh_u32_e32 v9, v12
	v_min_u32_e32 v9, 32, v9
	v_lshlrev_b64 v[11:12], v9, v[11:12]
	v_sub_u32_e32 v9, 32, v9
	v_min_u32_e32 v11, 1, v11
	v_or_b32_e32 v11, v12, v11
	v_cvt_f32_u32_e32 v11, v11
	v_ldexp_f32 v9, v11, v9
	v_cvt_f16_f32_e32 v9, v9
	s_branch .LBB182_2343
.LBB182_2341:
	s_mov_b64 s[0:1], -1
                                        ; implicit-def: $vgpr9
.LBB182_2342:
	s_mov_b64 s[6:7], 0
.LBB182_2343:
	s_and_b64 vcc, exec, s[6:7]
	s_cbranch_vccz .LBB182_2361
; %bb.2344:
	s_cmp_lt_i32 s13, 27
	s_cbranch_scc1 .LBB182_2347
; %bb.2345:
	s_cmp_gt_i32 s13, 27
	s_cbranch_scc0 .LBB182_2348
; %bb.2346:
	global_load_dword v9, v[0:1], off
	s_mov_b64 s[4:5], 0
	s_waitcnt vmcnt(0)
	v_cvt_f32_u32_e32 v9, v9
	v_cvt_f16_f32_e32 v9, v9
	s_branch .LBB182_2349
.LBB182_2347:
	s_mov_b64 s[4:5], -1
                                        ; implicit-def: $vgpr9
	s_branch .LBB182_2352
.LBB182_2348:
	s_mov_b64 s[4:5], -1
                                        ; implicit-def: $vgpr9
.LBB182_2349:
	s_andn2_b64 vcc, exec, s[4:5]
	s_cbranch_vccnz .LBB182_2351
; %bb.2350:
	global_load_ushort v9, v[0:1], off
	s_waitcnt vmcnt(0)
	v_cvt_f16_u16_e32 v9, v9
.LBB182_2351:
	s_mov_b64 s[4:5], 0
.LBB182_2352:
	s_andn2_b64 vcc, exec, s[4:5]
	s_cbranch_vccnz .LBB182_2360
; %bb.2353:
	global_load_ubyte v11, v[0:1], off
	s_movk_i32 s4, 0x7f
	s_waitcnt vmcnt(0)
	v_cmp_lt_i16_e32 vcc, s4, v11
	s_mov_b64 s[4:5], 0
	s_and_saveexec_b64 s[6:7], vcc
	s_xor_b64 s[6:7], exec, s[6:7]
	s_cbranch_execz .LBB182_2374
; %bb.2354:
	s_movk_i32 s4, 0x80
	v_cmp_eq_u16_e32 vcc, s4, v11
	s_mov_b64 s[4:5], -1
	s_and_saveexec_b64 s[10:11], vcc
; %bb.2355:
	s_xor_b64 s[4:5], exec, -1
; %bb.2356:
	s_or_b64 exec, exec, s[10:11]
	s_and_b64 s[4:5], s[4:5], exec
	s_or_saveexec_b64 s[6:7], s[6:7]
	v_mov_b32_e32 v9, 0x7e00
	s_xor_b64 exec, exec, s[6:7]
	s_cbranch_execnz .LBB182_2375
.LBB182_2357:
	s_or_b64 exec, exec, s[6:7]
	s_and_saveexec_b64 s[6:7], s[4:5]
	s_cbranch_execz .LBB182_2359
.LBB182_2358:
	v_lshlrev_b32_e32 v9, 24, v11
	v_and_b32_e32 v11, 0xffff, v11
	v_and_b32_e32 v12, 7, v11
	v_ffbh_u32_e32 v14, v12
	v_min_u32_e32 v14, 32, v14
	v_subrev_u32_e32 v15, 28, v14
	v_bfe_u32 v13, v11, 3, 4
	v_lshlrev_b32_e32 v11, v15, v11
	v_sub_u32_e32 v14, 29, v14
	v_and_b32_e32 v11, 7, v11
	v_cmp_eq_u32_e32 vcc, 0, v13
	v_cndmask_b32_e32 v13, v13, v14, vcc
	v_cndmask_b32_e32 v11, v12, v11, vcc
	v_mov_b32_e32 v12, 0x3b800000
	v_lshlrev_b32_e32 v11, 20, v11
	v_and_b32_e32 v9, 0x80000000, v9
	v_lshl_add_u32 v12, v13, 23, v12
	v_or3_b32 v9, v9, v12, v11
	v_cvt_f16_f32_e32 v9, v9
.LBB182_2359:
	s_or_b64 exec, exec, s[6:7]
.LBB182_2360:
	s_mov_b64 s[4:5], -1
.LBB182_2361:
	s_mov_b64 s[6:7], 0
.LBB182_2362:
	s_and_b64 vcc, exec, s[6:7]
	s_cbranch_vccz .LBB182_2395
; %bb.2363:
	s_cmp_gt_i32 s13, 22
	s_cbranch_scc0 .LBB182_2373
; %bb.2364:
	s_cmp_lt_i32 s13, 24
	s_cbranch_scc1 .LBB182_2376
; %bb.2365:
	s_cmp_gt_i32 s13, 24
	s_cbranch_scc0 .LBB182_2377
; %bb.2366:
	global_load_ubyte v11, v[0:1], off
	s_movk_i32 s2, 0x7f
	s_waitcnt vmcnt(0)
	v_cmp_lt_i16_e32 vcc, s2, v11
	s_mov_b64 s[2:3], 0
	s_and_saveexec_b64 s[4:5], vcc
	s_xor_b64 s[4:5], exec, s[4:5]
	s_cbranch_execz .LBB182_2389
; %bb.2367:
	s_movk_i32 s2, 0x80
	v_cmp_eq_u16_e32 vcc, s2, v11
	s_mov_b64 s[2:3], -1
	s_and_saveexec_b64 s[6:7], vcc
; %bb.2368:
	s_xor_b64 s[2:3], exec, -1
; %bb.2369:
	s_or_b64 exec, exec, s[6:7]
	s_and_b64 s[2:3], s[2:3], exec
	s_or_saveexec_b64 s[4:5], s[4:5]
	v_mov_b32_e32 v9, 0x7e00
	s_xor_b64 exec, exec, s[4:5]
	s_cbranch_execnz .LBB182_2390
.LBB182_2370:
	s_or_b64 exec, exec, s[4:5]
	s_and_saveexec_b64 s[4:5], s[2:3]
	s_cbranch_execz .LBB182_2372
.LBB182_2371:
	v_lshlrev_b32_e32 v9, 24, v11
	v_and_b32_e32 v11, 0xffff, v11
	v_and_b32_e32 v12, 3, v11
	v_ffbh_u32_e32 v14, v12
	v_min_u32_e32 v14, 32, v14
	v_subrev_u32_e32 v15, 29, v14
	v_bfe_u32 v13, v11, 2, 5
	v_lshlrev_b32_e32 v11, v15, v11
	v_sub_u32_e32 v14, 30, v14
	v_and_b32_e32 v11, 3, v11
	v_cmp_eq_u32_e32 vcc, 0, v13
	v_cndmask_b32_e32 v13, v13, v14, vcc
	v_cndmask_b32_e32 v11, v12, v11, vcc
	v_mov_b32_e32 v12, 0x37800000
	v_lshlrev_b32_e32 v11, 21, v11
	v_and_b32_e32 v9, 0x80000000, v9
	v_lshl_add_u32 v12, v13, 23, v12
	v_or3_b32 v9, v9, v12, v11
	v_cvt_f16_f32_e32 v9, v9
.LBB182_2372:
	s_or_b64 exec, exec, s[4:5]
	s_mov_b64 s[2:3], 0
	s_branch .LBB182_2378
.LBB182_2373:
	s_mov_b64 s[2:3], -1
                                        ; implicit-def: $vgpr9
	s_branch .LBB182_2384
.LBB182_2374:
	s_or_saveexec_b64 s[6:7], s[6:7]
	v_mov_b32_e32 v9, 0x7e00
	s_xor_b64 exec, exec, s[6:7]
	s_cbranch_execz .LBB182_2357
.LBB182_2375:
	v_cmp_ne_u16_e32 vcc, 0, v11
	s_andn2_b64 s[4:5], s[4:5], exec
	s_and_b64 s[10:11], vcc, exec
	s_or_b64 s[4:5], s[4:5], s[10:11]
	v_mov_b32_e32 v9, v11
	s_or_b64 exec, exec, s[6:7]
	s_and_saveexec_b64 s[6:7], s[4:5]
	s_cbranch_execnz .LBB182_2358
	s_branch .LBB182_2359
.LBB182_2376:
	s_mov_b64 s[2:3], -1
                                        ; implicit-def: $vgpr9
	s_branch .LBB182_2381
.LBB182_2377:
	s_mov_b64 s[2:3], -1
                                        ; implicit-def: $vgpr9
.LBB182_2378:
	s_and_b64 vcc, exec, s[2:3]
	s_cbranch_vccz .LBB182_2380
; %bb.2379:
	global_load_ubyte v9, v[0:1], off
	s_mov_b32 s2, 0x7f800000
	s_waitcnt vmcnt(0)
	v_lshlrev_b32_e32 v9, 24, v9
	v_and_b32_e32 v11, 0x7f000000, v9
	v_ffbh_u32_e32 v12, v11
	v_min_u32_e32 v12, 32, v12
	v_sub_u32_e64 v12, v12, 4 clamp
	v_lshlrev_b32_e32 v14, v12, v11
	v_lshlrev_b32_e32 v12, 23, v12
	v_lshrrev_b32_e32 v14, 4, v14
	v_add_u32_e32 v13, 0x1000000, v11
	v_sub_u32_e32 v12, v14, v12
	v_ashrrev_i32_e32 v13, 8, v13
	v_add_u32_e32 v12, 0x3c000000, v12
	v_and_or_b32 v12, v13, s2, v12
	v_cmp_ne_u32_e32 vcc, 0, v11
	v_cndmask_b32_e32 v11, 0, v12, vcc
	s_brev_b32 s2, 1
	v_and_or_b32 v9, v9, s2, v11
	v_cvt_f16_f32_e32 v9, v9
.LBB182_2380:
	s_mov_b64 s[2:3], 0
.LBB182_2381:
	s_andn2_b64 vcc, exec, s[2:3]
	s_cbranch_vccnz .LBB182_2383
; %bb.2382:
	global_load_ubyte v9, v[0:1], off
	s_movk_i32 s2, 0x7f00
	s_brev_b32 s3, 16
	s_waitcnt vmcnt(0)
	v_lshlrev_b16_e32 v11, 8, v9
	v_lshlrev_b32_e32 v9, 25, v9
	v_lshrrev_b32_e32 v12, 4, v9
	v_and_or_b32 v13, v11, s2, 0.5
	v_or_b32_e32 v12, 0x70000000, v12
	v_add_f32_e32 v13, -0.5, v13
	v_mul_f32_e32 v12, 0x7800000, v12
	v_cmp_gt_u32_e32 vcc, s3, v9
	v_bfe_i32 v11, v11, 0, 16
	v_cndmask_b32_e32 v9, v12, v13, vcc
	s_brev_b32 s2, 1
	v_and_or_b32 v9, v11, s2, v9
	v_cvt_f16_f32_e32 v9, v9
.LBB182_2383:
	s_mov_b64 s[2:3], 0
	s_mov_b64 s[4:5], -1
.LBB182_2384:
	s_andn2_b64 vcc, exec, s[2:3]
	s_mov_b64 s[2:3], 0
	s_cbranch_vccnz .LBB182_2395
; %bb.2385:
	s_cmp_gt_i32 s13, 14
	s_cbranch_scc0 .LBB182_2388
; %bb.2386:
	s_cmp_eq_u32 s13, 15
	s_cbranch_scc0 .LBB182_2391
; %bb.2387:
	global_load_ushort v9, v[0:1], off
	s_mov_b64 s[0:1], 0
	s_mov_b64 s[4:5], -1
	s_waitcnt vmcnt(0)
	v_lshlrev_b32_e32 v9, 16, v9
	v_cvt_f16_f32_e32 v9, v9
	s_branch .LBB182_2392
.LBB182_2388:
	s_mov_b64 s[6:7], -1
                                        ; implicit-def: $vgpr9
	s_branch .LBB182_2393
.LBB182_2389:
	s_or_saveexec_b64 s[4:5], s[4:5]
	v_mov_b32_e32 v9, 0x7e00
	s_xor_b64 exec, exec, s[4:5]
	s_cbranch_execz .LBB182_2370
.LBB182_2390:
	v_cmp_ne_u16_e32 vcc, 0, v11
	s_andn2_b64 s[2:3], s[2:3], exec
	s_and_b64 s[6:7], vcc, exec
	s_or_b64 s[2:3], s[2:3], s[6:7]
	v_mov_b32_e32 v9, v11
	s_or_b64 exec, exec, s[4:5]
	s_and_saveexec_b64 s[4:5], s[2:3]
	s_cbranch_execnz .LBB182_2371
	s_branch .LBB182_2372
.LBB182_2391:
	s_mov_b64 s[0:1], -1
                                        ; implicit-def: $vgpr9
.LBB182_2392:
	s_mov_b64 s[6:7], 0
.LBB182_2393:
	s_and_b64 vcc, exec, s[6:7]
	s_cbranch_vccz .LBB182_2395
; %bb.2394:
	s_cmp_lg_u32 s13, 11
	s_mov_b64 s[2:3], -1
	s_cselect_b64 s[0:1], -1, 0
.LBB182_2395:
	s_and_b64 vcc, exec, s[0:1]
	s_cbranch_vccnz .LBB182_2460
; %bb.2396:
	s_andn2_b64 vcc, exec, s[2:3]
	s_cbranch_vccnz .LBB182_2398
.LBB182_2397:
	global_load_ubyte v9, v[0:1], off
	v_mov_b32_e32 v11, 0x3c00
	s_mov_b64 s[4:5], -1
	s_waitcnt vmcnt(0)
	v_cmp_ne_u16_e32 vcc, 0, v9
	v_cndmask_b32_e32 v9, 0, v11, vcc
.LBB182_2398:
	s_mov_b64 s[0:1], 0
.LBB182_2399:
	s_and_b64 vcc, exec, s[0:1]
	s_cbranch_vccz .LBB182_2448
; %bb.2400:
	s_and_b32 s2, 0xffff, s26
	s_cmp_lt_i32 s2, 5
	s_cbranch_scc1 .LBB182_2405
; %bb.2401:
	s_cmp_lt_i32 s2, 8
	s_cbranch_scc1 .LBB182_2406
; %bb.2402:
	;; [unrolled: 3-line block ×3, first 2 shown]
	s_cmp_gt_i32 s2, 9
	s_cbranch_scc0 .LBB182_2408
; %bb.2404:
	global_load_dwordx2 v[11:12], v[0:1], off
	s_movk_i32 s0, 0x1ff
	s_movk_i32 s1, 0xffe
	v_mov_b32_e32 v9, 0x7c00
	v_mov_b32_e32 v13, 0x7e00
	s_movk_i32 s3, 0x40f
	s_mov_b32 s4, 0x8000
	s_waitcnt vmcnt(0)
	v_and_or_b32 v11, v12, s0, v11
	v_cmp_ne_u32_e32 vcc, 0, v11
	v_lshrrev_b32_e32 v14, 8, v12
	v_bfe_u32 v15, v12, 20, 11
	v_cndmask_b32_e64 v11, 0, 1, vcc
	v_sub_u32_e32 v16, 0x3f1, v15
	v_and_or_b32 v11, v14, s1, v11
	v_add_u32_e32 v15, 0xfffffc10, v15
	v_med3_i32 v14, v16, 0, 13
	v_or_b32_e32 v16, 0x1000, v11
	v_cmp_ne_u32_e32 vcc, 0, v11
	v_lshl_or_b32 v17, v15, 12, v11
	v_cndmask_b32_e32 v11, v9, v13, vcc
	v_lshrrev_b32_e32 v13, v14, v16
	v_lshlrev_b32_e32 v14, v14, v13
	v_cmp_ne_u32_e32 vcc, v14, v16
	v_cndmask_b32_e64 v14, 0, 1, vcc
	v_or_b32_e32 v13, v13, v14
	v_cmp_gt_i32_e32 vcc, 1, v15
	v_cndmask_b32_e32 v13, v17, v13, vcc
	v_and_b32_e32 v14, 7, v13
	v_cmp_lt_i32_e32 vcc, 5, v14
	v_cndmask_b32_e64 v16, 0, 1, vcc
	v_cmp_eq_u32_e32 vcc, 3, v14
	v_cndmask_b32_e64 v14, 0, 1, vcc
	v_lshrrev_b32_e32 v13, 2, v13
	v_or_b32_e32 v14, v14, v16
	v_add_u32_e32 v13, v13, v14
	v_cmp_gt_i32_e32 vcc, 31, v15
	v_cndmask_b32_e32 v9, v9, v13, vcc
	v_cmp_eq_u32_e32 vcc, s3, v15
	v_lshrrev_b32_e32 v12, 16, v12
	v_cndmask_b32_e32 v9, v9, v11, vcc
	v_and_or_b32 v9, v12, s4, v9
	s_mov_b64 s[0:1], 0
	s_branch .LBB182_2409
.LBB182_2405:
	s_mov_b64 s[0:1], -1
                                        ; implicit-def: $vgpr9
	s_branch .LBB182_2427
.LBB182_2406:
	s_mov_b64 s[0:1], -1
                                        ; implicit-def: $vgpr9
	s_branch .LBB182_2415
.LBB182_2407:
	s_mov_b64 s[0:1], -1
                                        ; implicit-def: $vgpr9
	s_branch .LBB182_2412
.LBB182_2408:
	s_mov_b64 s[0:1], -1
                                        ; implicit-def: $vgpr9
.LBB182_2409:
	s_andn2_b64 vcc, exec, s[0:1]
	s_cbranch_vccnz .LBB182_2411
; %bb.2410:
	global_load_dword v9, v[0:1], off
	s_waitcnt vmcnt(0)
	v_cvt_f16_f32_e32 v9, v9
.LBB182_2411:
	s_mov_b64 s[0:1], 0
.LBB182_2412:
	s_andn2_b64 vcc, exec, s[0:1]
	s_cbranch_vccnz .LBB182_2414
; %bb.2413:
	global_load_dword v9, v[0:1], off
.LBB182_2414:
	s_mov_b64 s[0:1], 0
.LBB182_2415:
	s_andn2_b64 vcc, exec, s[0:1]
	s_cbranch_vccnz .LBB182_2426
; %bb.2416:
	s_cmp_lt_i32 s2, 6
	s_cbranch_scc1 .LBB182_2419
; %bb.2417:
	s_cmp_gt_i32 s2, 6
	s_cbranch_scc0 .LBB182_2420
; %bb.2418:
	global_load_dwordx2 v[11:12], v[0:1], off
	s_movk_i32 s0, 0x1ff
	s_movk_i32 s1, 0xffe
	s_waitcnt vmcnt(1)
	v_mov_b32_e32 v9, 0x7c00
	v_mov_b32_e32 v13, 0x7e00
	s_movk_i32 s3, 0x40f
	s_mov_b32 s4, 0x8000
	s_waitcnt vmcnt(0)
	v_and_or_b32 v11, v12, s0, v11
	v_cmp_ne_u32_e32 vcc, 0, v11
	v_lshrrev_b32_e32 v14, 8, v12
	v_bfe_u32 v15, v12, 20, 11
	v_cndmask_b32_e64 v11, 0, 1, vcc
	v_sub_u32_e32 v16, 0x3f1, v15
	v_and_or_b32 v11, v14, s1, v11
	v_add_u32_e32 v15, 0xfffffc10, v15
	v_med3_i32 v14, v16, 0, 13
	v_or_b32_e32 v16, 0x1000, v11
	v_cmp_ne_u32_e32 vcc, 0, v11
	v_lshl_or_b32 v17, v15, 12, v11
	v_cndmask_b32_e32 v11, v9, v13, vcc
	v_lshrrev_b32_e32 v13, v14, v16
	v_lshlrev_b32_e32 v14, v14, v13
	v_cmp_ne_u32_e32 vcc, v14, v16
	v_cndmask_b32_e64 v14, 0, 1, vcc
	v_or_b32_e32 v13, v13, v14
	v_cmp_gt_i32_e32 vcc, 1, v15
	v_cndmask_b32_e32 v13, v17, v13, vcc
	v_and_b32_e32 v14, 7, v13
	v_cmp_lt_i32_e32 vcc, 5, v14
	v_cndmask_b32_e64 v16, 0, 1, vcc
	v_cmp_eq_u32_e32 vcc, 3, v14
	v_cndmask_b32_e64 v14, 0, 1, vcc
	v_lshrrev_b32_e32 v13, 2, v13
	v_or_b32_e32 v14, v14, v16
	v_add_u32_e32 v13, v13, v14
	v_cmp_gt_i32_e32 vcc, 31, v15
	v_cndmask_b32_e32 v9, v9, v13, vcc
	v_cmp_eq_u32_e32 vcc, s3, v15
	v_lshrrev_b32_e32 v12, 16, v12
	v_cndmask_b32_e32 v9, v9, v11, vcc
	v_and_or_b32 v9, v12, s4, v9
	s_mov_b64 s[0:1], 0
	s_branch .LBB182_2421
.LBB182_2419:
	s_mov_b64 s[0:1], -1
                                        ; implicit-def: $vgpr9
	s_branch .LBB182_2424
.LBB182_2420:
	s_mov_b64 s[0:1], -1
                                        ; implicit-def: $vgpr9
.LBB182_2421:
	s_andn2_b64 vcc, exec, s[0:1]
	s_cbranch_vccnz .LBB182_2423
; %bb.2422:
	global_load_dword v9, v[0:1], off
	s_waitcnt vmcnt(0)
	v_cvt_f16_f32_e32 v9, v9
.LBB182_2423:
	s_mov_b64 s[0:1], 0
.LBB182_2424:
	s_andn2_b64 vcc, exec, s[0:1]
	s_cbranch_vccnz .LBB182_2426
; %bb.2425:
	global_load_ushort v9, v[0:1], off
.LBB182_2426:
	s_mov_b64 s[0:1], 0
.LBB182_2427:
	s_andn2_b64 vcc, exec, s[0:1]
	s_cbranch_vccnz .LBB182_2447
; %bb.2428:
	s_cmp_lt_i32 s2, 2
	s_cbranch_scc1 .LBB182_2432
; %bb.2429:
	s_cmp_lt_i32 s2, 3
	s_cbranch_scc1 .LBB182_2433
; %bb.2430:
	s_cmp_gt_i32 s2, 3
	s_cbranch_scc0 .LBB182_2434
; %bb.2431:
	global_load_dwordx2 v[11:12], v[0:1], off
	s_mov_b64 s[0:1], 0
	s_waitcnt vmcnt(0)
	v_xor_b32_e32 v13, v11, v12
	v_ffbh_i32_e32 v9, v12
	v_ashrrev_i32_e32 v13, 31, v13
	v_add_u32_e32 v9, -1, v9
	v_add_u32_e32 v13, 32, v13
	v_min_u32_e32 v9, v9, v13
	v_lshlrev_b64 v[11:12], v9, v[11:12]
	v_sub_u32_e32 v9, 32, v9
	v_min_u32_e32 v11, 1, v11
	v_or_b32_e32 v11, v12, v11
	v_cvt_f32_i32_e32 v11, v11
	v_ldexp_f32 v9, v11, v9
	v_cvt_f16_f32_e32 v9, v9
	s_branch .LBB182_2435
.LBB182_2432:
	s_mov_b64 s[0:1], -1
                                        ; implicit-def: $vgpr9
	s_branch .LBB182_2441
.LBB182_2433:
	s_mov_b64 s[0:1], -1
                                        ; implicit-def: $vgpr9
	s_branch .LBB182_2438
.LBB182_2434:
	s_mov_b64 s[0:1], -1
                                        ; implicit-def: $vgpr9
.LBB182_2435:
	s_andn2_b64 vcc, exec, s[0:1]
	s_cbranch_vccnz .LBB182_2437
; %bb.2436:
	global_load_dword v9, v[0:1], off
	s_waitcnt vmcnt(0)
	v_cvt_f32_i32_e32 v9, v9
	v_cvt_f16_f32_e32 v9, v9
.LBB182_2437:
	s_mov_b64 s[0:1], 0
.LBB182_2438:
	s_andn2_b64 vcc, exec, s[0:1]
	s_cbranch_vccnz .LBB182_2440
; %bb.2439:
	global_load_ushort v9, v[0:1], off
	s_waitcnt vmcnt(0)
	v_cvt_f16_i16_e32 v9, v9
.LBB182_2440:
	s_mov_b64 s[0:1], 0
.LBB182_2441:
	s_andn2_b64 vcc, exec, s[0:1]
	s_cbranch_vccnz .LBB182_2447
; %bb.2442:
	s_cmp_gt_i32 s2, 0
	s_cbranch_scc0 .LBB182_2444
; %bb.2443:
	global_load_sbyte v9, v[0:1], off
	s_mov_b64 s[0:1], 0
	s_waitcnt vmcnt(0)
	v_cvt_f16_i16_e32 v9, v9
	s_branch .LBB182_2445
.LBB182_2444:
	s_mov_b64 s[0:1], -1
                                        ; implicit-def: $vgpr9
.LBB182_2445:
	s_andn2_b64 vcc, exec, s[0:1]
	s_cbranch_vccnz .LBB182_2447
; %bb.2446:
	global_load_ubyte v0, v[0:1], off
	s_waitcnt vmcnt(0)
	v_cvt_f16_u16_e32 v9, v0
.LBB182_2447:
	s_mov_b64 s[4:5], -1
.LBB182_2448:
	s_andn2_b64 vcc, exec, s[4:5]
	s_cbranch_vccnz .LBB182_3012
; %bb.2449:
	v_add_u32_e32 v0, s14, v10
	v_ashrrev_i32_e32 v1, 31, v0
	v_mov_b32_e32 v10, s17
	v_add_co_u32_e32 v0, vcc, s16, v0
	s_cmp_lt_i32 s27, 11
	v_addc_co_u32_e32 v1, vcc, v10, v1, vcc
	s_cbranch_scc1 .LBB182_2456
; %bb.2450:
	s_and_b32 s13, 0xffff, s27
	s_cmp_gt_i32 s13, 25
	s_mov_b64 s[2:3], 0
	s_cbranch_scc0 .LBB182_2457
; %bb.2451:
	s_cmp_gt_i32 s13, 28
	s_cbranch_scc0 .LBB182_2458
; %bb.2452:
	s_cmp_gt_i32 s13, 43
	;; [unrolled: 3-line block ×3, first 2 shown]
	s_cbranch_scc0 .LBB182_2461
; %bb.2454:
	s_cmp_eq_u32 s13, 46
	s_mov_b64 s[6:7], 0
	s_cbranch_scc0 .LBB182_2462
; %bb.2455:
	global_load_dword v10, v[0:1], off
	s_mov_b64 s[0:1], 0
	s_mov_b64 s[4:5], -1
	s_waitcnt vmcnt(0)
	v_lshlrev_b32_e32 v10, 16, v10
	v_cvt_f16_f32_e32 v10, v10
	s_branch .LBB182_2463
.LBB182_2456:
	s_mov_b64 s[0:1], -1
	s_mov_b64 s[4:5], 0
                                        ; implicit-def: $vgpr10
	s_branch .LBB182_2529
.LBB182_2457:
	s_mov_b64 s[6:7], -1
	s_mov_b64 s[4:5], 0
	s_mov_b64 s[0:1], 0
                                        ; implicit-def: $vgpr10
	s_branch .LBB182_2492
.LBB182_2458:
	s_mov_b64 s[6:7], -1
	s_mov_b64 s[4:5], 0
	s_mov_b64 s[0:1], 0
                                        ; implicit-def: $vgpr10
	s_branch .LBB182_2473
.LBB182_2459:
	s_mov_b64 s[6:7], -1
	s_mov_b64 s[4:5], 0
	s_mov_b64 s[0:1], 0
                                        ; implicit-def: $vgpr10
	s_branch .LBB182_2468
.LBB182_2460:
	s_trap 2
	s_or_b64 s[22:23], s[22:23], exec
	s_cbranch_execz .LBB182_2397
	s_branch .LBB182_2398
.LBB182_2461:
	s_mov_b64 s[6:7], -1
	s_mov_b64 s[4:5], 0
	s_mov_b64 s[0:1], 0
                                        ; implicit-def: $vgpr10
	s_branch .LBB182_2463
.LBB182_2462:
	s_mov_b64 s[0:1], -1
                                        ; implicit-def: $vgpr10
	s_mov_b64 s[4:5], 0
.LBB182_2463:
	s_and_b64 vcc, exec, s[6:7]
	s_cbranch_vccz .LBB182_2467
; %bb.2464:
	s_cmp_eq_u32 s13, 44
	s_cbranch_scc0 .LBB182_2466
; %bb.2465:
	global_load_ubyte v10, v[0:1], off
	s_movk_i32 s4, 0xff
	v_mov_b32_e32 v12, 0x7e00
	s_mov_b64 s[0:1], 0
	s_waitcnt vmcnt(0)
	v_lshlrev_b32_e32 v11, 23, v10
	v_cvt_f16_f32_e32 v11, v11
	v_cmp_ne_u32_e32 vcc, s4, v10
	s_mov_b64 s[4:5], -1
	v_cndmask_b32_e32 v11, v12, v11, vcc
	v_cmp_ne_u32_e32 vcc, 0, v10
	v_cndmask_b32_e32 v10, 0, v11, vcc
	s_branch .LBB182_2467
.LBB182_2466:
	s_mov_b64 s[0:1], -1
                                        ; implicit-def: $vgpr10
.LBB182_2467:
	s_mov_b64 s[6:7], 0
.LBB182_2468:
	s_and_b64 vcc, exec, s[6:7]
	s_cbranch_vccz .LBB182_2472
; %bb.2469:
	s_cmp_eq_u32 s13, 29
	s_cbranch_scc0 .LBB182_2471
; %bb.2470:
	global_load_dwordx2 v[10:11], v[0:1], off
	s_mov_b64 s[0:1], 0
	s_mov_b64 s[4:5], -1
	s_mov_b64 s[6:7], 0
	s_waitcnt vmcnt(0)
	v_ffbh_u32_e32 v12, v11
	v_min_u32_e32 v12, 32, v12
	v_lshlrev_b64 v[10:11], v12, v[10:11]
	v_min_u32_e32 v10, 1, v10
	v_or_b32_e32 v10, v11, v10
	v_cvt_f32_u32_e32 v10, v10
	v_sub_u32_e32 v11, 32, v12
	v_ldexp_f32 v10, v10, v11
	v_cvt_f16_f32_e32 v10, v10
	s_branch .LBB182_2473
.LBB182_2471:
	s_mov_b64 s[0:1], -1
                                        ; implicit-def: $vgpr10
.LBB182_2472:
	s_mov_b64 s[6:7], 0
.LBB182_2473:
	s_and_b64 vcc, exec, s[6:7]
	s_cbranch_vccz .LBB182_2491
; %bb.2474:
	s_cmp_lt_i32 s13, 27
	s_cbranch_scc1 .LBB182_2477
; %bb.2475:
	s_cmp_gt_i32 s13, 27
	s_cbranch_scc0 .LBB182_2478
; %bb.2476:
	global_load_dword v10, v[0:1], off
	s_mov_b64 s[4:5], 0
	s_waitcnt vmcnt(0)
	v_cvt_f32_u32_e32 v10, v10
	v_cvt_f16_f32_e32 v10, v10
	s_branch .LBB182_2479
.LBB182_2477:
	s_mov_b64 s[4:5], -1
                                        ; implicit-def: $vgpr10
	s_branch .LBB182_2482
.LBB182_2478:
	s_mov_b64 s[4:5], -1
                                        ; implicit-def: $vgpr10
.LBB182_2479:
	s_andn2_b64 vcc, exec, s[4:5]
	s_cbranch_vccnz .LBB182_2481
; %bb.2480:
	global_load_ushort v10, v[0:1], off
	s_waitcnt vmcnt(0)
	v_cvt_f16_u16_e32 v10, v10
.LBB182_2481:
	s_mov_b64 s[4:5], 0
.LBB182_2482:
	s_andn2_b64 vcc, exec, s[4:5]
	s_cbranch_vccnz .LBB182_2490
; %bb.2483:
	global_load_ubyte v11, v[0:1], off
	s_movk_i32 s4, 0x7f
	s_waitcnt vmcnt(0)
	v_cmp_lt_i16_e32 vcc, s4, v11
	s_mov_b64 s[4:5], 0
	s_and_saveexec_b64 s[6:7], vcc
	s_xor_b64 s[6:7], exec, s[6:7]
	s_cbranch_execz .LBB182_2504
; %bb.2484:
	s_movk_i32 s4, 0x80
	v_cmp_eq_u16_e32 vcc, s4, v11
	s_mov_b64 s[4:5], -1
	s_and_saveexec_b64 s[10:11], vcc
; %bb.2485:
	s_xor_b64 s[4:5], exec, -1
; %bb.2486:
	s_or_b64 exec, exec, s[10:11]
	s_and_b64 s[4:5], s[4:5], exec
	s_or_saveexec_b64 s[6:7], s[6:7]
	v_mov_b32_e32 v10, 0x7e00
	s_xor_b64 exec, exec, s[6:7]
	s_cbranch_execnz .LBB182_2505
.LBB182_2487:
	s_or_b64 exec, exec, s[6:7]
	s_and_saveexec_b64 s[6:7], s[4:5]
	s_cbranch_execz .LBB182_2489
.LBB182_2488:
	v_lshlrev_b32_e32 v10, 24, v11
	v_and_b32_e32 v11, 0xffff, v11
	v_and_b32_e32 v12, 7, v11
	v_ffbh_u32_e32 v14, v12
	v_min_u32_e32 v14, 32, v14
	v_subrev_u32_e32 v15, 28, v14
	v_bfe_u32 v13, v11, 3, 4
	v_lshlrev_b32_e32 v11, v15, v11
	v_sub_u32_e32 v14, 29, v14
	v_and_b32_e32 v11, 7, v11
	v_cmp_eq_u32_e32 vcc, 0, v13
	v_cndmask_b32_e32 v13, v13, v14, vcc
	v_cndmask_b32_e32 v11, v12, v11, vcc
	v_mov_b32_e32 v12, 0x3b800000
	v_lshlrev_b32_e32 v11, 20, v11
	v_and_b32_e32 v10, 0x80000000, v10
	v_lshl_add_u32 v12, v13, 23, v12
	v_or3_b32 v10, v10, v12, v11
	v_cvt_f16_f32_e32 v10, v10
.LBB182_2489:
	s_or_b64 exec, exec, s[6:7]
.LBB182_2490:
	s_mov_b64 s[4:5], -1
.LBB182_2491:
	s_mov_b64 s[6:7], 0
.LBB182_2492:
	s_and_b64 vcc, exec, s[6:7]
	s_cbranch_vccz .LBB182_2525
; %bb.2493:
	s_cmp_gt_i32 s13, 22
	s_cbranch_scc0 .LBB182_2503
; %bb.2494:
	s_cmp_lt_i32 s13, 24
	s_cbranch_scc1 .LBB182_2506
; %bb.2495:
	s_cmp_gt_i32 s13, 24
	s_cbranch_scc0 .LBB182_2507
; %bb.2496:
	global_load_ubyte v11, v[0:1], off
	s_movk_i32 s2, 0x7f
	s_waitcnt vmcnt(0)
	v_cmp_lt_i16_e32 vcc, s2, v11
	s_mov_b64 s[2:3], 0
	s_and_saveexec_b64 s[4:5], vcc
	s_xor_b64 s[4:5], exec, s[4:5]
	s_cbranch_execz .LBB182_2519
; %bb.2497:
	s_movk_i32 s2, 0x80
	v_cmp_eq_u16_e32 vcc, s2, v11
	s_mov_b64 s[2:3], -1
	s_and_saveexec_b64 s[6:7], vcc
; %bb.2498:
	s_xor_b64 s[2:3], exec, -1
; %bb.2499:
	s_or_b64 exec, exec, s[6:7]
	s_and_b64 s[2:3], s[2:3], exec
	s_or_saveexec_b64 s[4:5], s[4:5]
	v_mov_b32_e32 v10, 0x7e00
	s_xor_b64 exec, exec, s[4:5]
	s_cbranch_execnz .LBB182_2520
.LBB182_2500:
	s_or_b64 exec, exec, s[4:5]
	s_and_saveexec_b64 s[4:5], s[2:3]
	s_cbranch_execz .LBB182_2502
.LBB182_2501:
	v_lshlrev_b32_e32 v10, 24, v11
	v_and_b32_e32 v11, 0xffff, v11
	v_and_b32_e32 v12, 3, v11
	v_ffbh_u32_e32 v14, v12
	v_min_u32_e32 v14, 32, v14
	v_subrev_u32_e32 v15, 29, v14
	v_bfe_u32 v13, v11, 2, 5
	v_lshlrev_b32_e32 v11, v15, v11
	v_sub_u32_e32 v14, 30, v14
	v_and_b32_e32 v11, 3, v11
	v_cmp_eq_u32_e32 vcc, 0, v13
	v_cndmask_b32_e32 v13, v13, v14, vcc
	v_cndmask_b32_e32 v11, v12, v11, vcc
	v_mov_b32_e32 v12, 0x37800000
	v_lshlrev_b32_e32 v11, 21, v11
	v_and_b32_e32 v10, 0x80000000, v10
	v_lshl_add_u32 v12, v13, 23, v12
	v_or3_b32 v10, v10, v12, v11
	v_cvt_f16_f32_e32 v10, v10
.LBB182_2502:
	s_or_b64 exec, exec, s[4:5]
	s_mov_b64 s[2:3], 0
	s_branch .LBB182_2508
.LBB182_2503:
	s_mov_b64 s[2:3], -1
                                        ; implicit-def: $vgpr10
	s_branch .LBB182_2514
.LBB182_2504:
	s_or_saveexec_b64 s[6:7], s[6:7]
	v_mov_b32_e32 v10, 0x7e00
	s_xor_b64 exec, exec, s[6:7]
	s_cbranch_execz .LBB182_2487
.LBB182_2505:
	v_cmp_ne_u16_e32 vcc, 0, v11
	s_andn2_b64 s[4:5], s[4:5], exec
	s_and_b64 s[10:11], vcc, exec
	s_or_b64 s[4:5], s[4:5], s[10:11]
	v_mov_b32_e32 v10, v11
	s_or_b64 exec, exec, s[6:7]
	s_and_saveexec_b64 s[6:7], s[4:5]
	s_cbranch_execnz .LBB182_2488
	s_branch .LBB182_2489
.LBB182_2506:
	s_mov_b64 s[2:3], -1
                                        ; implicit-def: $vgpr10
	s_branch .LBB182_2511
.LBB182_2507:
	s_mov_b64 s[2:3], -1
                                        ; implicit-def: $vgpr10
.LBB182_2508:
	s_and_b64 vcc, exec, s[2:3]
	s_cbranch_vccz .LBB182_2510
; %bb.2509:
	global_load_ubyte v10, v[0:1], off
	s_mov_b32 s2, 0x7f800000
	s_waitcnt vmcnt(0)
	v_lshlrev_b32_e32 v10, 24, v10
	v_and_b32_e32 v11, 0x7f000000, v10
	v_ffbh_u32_e32 v12, v11
	v_min_u32_e32 v12, 32, v12
	v_sub_u32_e64 v12, v12, 4 clamp
	v_lshlrev_b32_e32 v14, v12, v11
	v_lshlrev_b32_e32 v12, 23, v12
	v_lshrrev_b32_e32 v14, 4, v14
	v_add_u32_e32 v13, 0x1000000, v11
	v_sub_u32_e32 v12, v14, v12
	v_ashrrev_i32_e32 v13, 8, v13
	v_add_u32_e32 v12, 0x3c000000, v12
	v_and_or_b32 v12, v13, s2, v12
	v_cmp_ne_u32_e32 vcc, 0, v11
	v_cndmask_b32_e32 v11, 0, v12, vcc
	s_brev_b32 s2, 1
	v_and_or_b32 v10, v10, s2, v11
	v_cvt_f16_f32_e32 v10, v10
.LBB182_2510:
	s_mov_b64 s[2:3], 0
.LBB182_2511:
	s_andn2_b64 vcc, exec, s[2:3]
	s_cbranch_vccnz .LBB182_2513
; %bb.2512:
	global_load_ubyte v10, v[0:1], off
	s_movk_i32 s2, 0x7f00
	s_brev_b32 s3, 16
	s_waitcnt vmcnt(0)
	v_lshlrev_b16_e32 v11, 8, v10
	v_lshlrev_b32_e32 v10, 25, v10
	v_lshrrev_b32_e32 v12, 4, v10
	v_and_or_b32 v13, v11, s2, 0.5
	v_or_b32_e32 v12, 0x70000000, v12
	v_add_f32_e32 v13, -0.5, v13
	v_mul_f32_e32 v12, 0x7800000, v12
	v_cmp_gt_u32_e32 vcc, s3, v10
	v_bfe_i32 v11, v11, 0, 16
	v_cndmask_b32_e32 v10, v12, v13, vcc
	s_brev_b32 s2, 1
	v_and_or_b32 v10, v11, s2, v10
	v_cvt_f16_f32_e32 v10, v10
.LBB182_2513:
	s_mov_b64 s[2:3], 0
	s_mov_b64 s[4:5], -1
.LBB182_2514:
	s_andn2_b64 vcc, exec, s[2:3]
	s_mov_b64 s[2:3], 0
	s_cbranch_vccnz .LBB182_2525
; %bb.2515:
	s_cmp_gt_i32 s13, 14
	s_cbranch_scc0 .LBB182_2518
; %bb.2516:
	s_cmp_eq_u32 s13, 15
	s_cbranch_scc0 .LBB182_2521
; %bb.2517:
	global_load_ushort v10, v[0:1], off
	s_mov_b64 s[0:1], 0
	s_mov_b64 s[4:5], -1
	s_waitcnt vmcnt(0)
	v_lshlrev_b32_e32 v10, 16, v10
	v_cvt_f16_f32_e32 v10, v10
	s_branch .LBB182_2522
.LBB182_2518:
	s_mov_b64 s[6:7], -1
                                        ; implicit-def: $vgpr10
	s_branch .LBB182_2523
.LBB182_2519:
	s_or_saveexec_b64 s[4:5], s[4:5]
	v_mov_b32_e32 v10, 0x7e00
	s_xor_b64 exec, exec, s[4:5]
	s_cbranch_execz .LBB182_2500
.LBB182_2520:
	v_cmp_ne_u16_e32 vcc, 0, v11
	s_andn2_b64 s[2:3], s[2:3], exec
	s_and_b64 s[6:7], vcc, exec
	s_or_b64 s[2:3], s[2:3], s[6:7]
	v_mov_b32_e32 v10, v11
	s_or_b64 exec, exec, s[4:5]
	s_and_saveexec_b64 s[4:5], s[2:3]
	s_cbranch_execnz .LBB182_2501
	s_branch .LBB182_2502
.LBB182_2521:
	s_mov_b64 s[0:1], -1
                                        ; implicit-def: $vgpr10
.LBB182_2522:
	s_mov_b64 s[6:7], 0
.LBB182_2523:
	s_and_b64 vcc, exec, s[6:7]
	s_cbranch_vccz .LBB182_2525
; %bb.2524:
	s_cmp_lg_u32 s13, 11
	s_mov_b64 s[2:3], -1
	s_cselect_b64 s[0:1], -1, 0
.LBB182_2525:
	s_and_b64 vcc, exec, s[0:1]
	s_cbranch_vccnz .LBB182_3058
; %bb.2526:
	s_andn2_b64 vcc, exec, s[2:3]
	s_cbranch_vccnz .LBB182_2528
.LBB182_2527:
	global_load_ubyte v10, v[0:1], off
	v_mov_b32_e32 v11, 0x3c00
	s_mov_b64 s[4:5], -1
	s_waitcnt vmcnt(0)
	v_cmp_ne_u16_e32 vcc, 0, v10
	v_cndmask_b32_e32 v10, 0, v11, vcc
.LBB182_2528:
	s_mov_b64 s[0:1], 0
.LBB182_2529:
	s_and_b64 vcc, exec, s[0:1]
	s_cbranch_vccz .LBB182_2578
; %bb.2530:
	s_and_b32 s2, 0xffff, s27
	s_cmp_lt_i32 s2, 5
	s_cbranch_scc1 .LBB182_2535
; %bb.2531:
	s_cmp_lt_i32 s2, 8
	s_cbranch_scc1 .LBB182_2536
; %bb.2532:
	;; [unrolled: 3-line block ×3, first 2 shown]
	s_cmp_gt_i32 s2, 9
	s_cbranch_scc0 .LBB182_2538
; %bb.2534:
	global_load_dwordx2 v[10:11], v[0:1], off
	s_movk_i32 s0, 0x1ff
	s_movk_i32 s1, 0xffe
	v_mov_b32_e32 v12, 0x7c00
	v_mov_b32_e32 v13, 0x7e00
	s_movk_i32 s3, 0x40f
	s_mov_b32 s4, 0x8000
	s_waitcnt vmcnt(0)
	v_and_or_b32 v10, v11, s0, v10
	v_cmp_ne_u32_e32 vcc, 0, v10
	v_lshrrev_b32_e32 v14, 8, v11
	v_bfe_u32 v15, v11, 20, 11
	v_cndmask_b32_e64 v10, 0, 1, vcc
	v_sub_u32_e32 v16, 0x3f1, v15
	v_and_or_b32 v10, v14, s1, v10
	v_add_u32_e32 v15, 0xfffffc10, v15
	v_med3_i32 v14, v16, 0, 13
	v_or_b32_e32 v16, 0x1000, v10
	v_cmp_ne_u32_e32 vcc, 0, v10
	v_lshl_or_b32 v17, v15, 12, v10
	v_cndmask_b32_e32 v10, v12, v13, vcc
	v_lshrrev_b32_e32 v13, v14, v16
	v_lshlrev_b32_e32 v14, v14, v13
	v_cmp_ne_u32_e32 vcc, v14, v16
	v_cndmask_b32_e64 v14, 0, 1, vcc
	v_or_b32_e32 v13, v13, v14
	v_cmp_gt_i32_e32 vcc, 1, v15
	v_cndmask_b32_e32 v13, v17, v13, vcc
	v_and_b32_e32 v14, 7, v13
	v_cmp_lt_i32_e32 vcc, 5, v14
	v_cndmask_b32_e64 v16, 0, 1, vcc
	v_cmp_eq_u32_e32 vcc, 3, v14
	v_cndmask_b32_e64 v14, 0, 1, vcc
	v_lshrrev_b32_e32 v13, 2, v13
	v_or_b32_e32 v14, v14, v16
	v_add_u32_e32 v13, v13, v14
	v_cmp_gt_i32_e32 vcc, 31, v15
	v_cndmask_b32_e32 v12, v12, v13, vcc
	v_cmp_eq_u32_e32 vcc, s3, v15
	v_lshrrev_b32_e32 v11, 16, v11
	v_cndmask_b32_e32 v10, v12, v10, vcc
	v_and_or_b32 v10, v11, s4, v10
	s_mov_b64 s[0:1], 0
	s_branch .LBB182_2539
.LBB182_2535:
	s_mov_b64 s[0:1], -1
                                        ; implicit-def: $vgpr10
	s_branch .LBB182_2557
.LBB182_2536:
	s_mov_b64 s[0:1], -1
                                        ; implicit-def: $vgpr10
	s_branch .LBB182_2545
.LBB182_2537:
	s_mov_b64 s[0:1], -1
                                        ; implicit-def: $vgpr10
	s_branch .LBB182_2542
.LBB182_2538:
	s_mov_b64 s[0:1], -1
                                        ; implicit-def: $vgpr10
.LBB182_2539:
	s_andn2_b64 vcc, exec, s[0:1]
	s_cbranch_vccnz .LBB182_2541
; %bb.2540:
	global_load_dword v10, v[0:1], off
	s_waitcnt vmcnt(0)
	v_cvt_f16_f32_e32 v10, v10
.LBB182_2541:
	s_mov_b64 s[0:1], 0
.LBB182_2542:
	s_andn2_b64 vcc, exec, s[0:1]
	s_cbranch_vccnz .LBB182_2544
; %bb.2543:
	global_load_dword v10, v[0:1], off
.LBB182_2544:
	s_mov_b64 s[0:1], 0
.LBB182_2545:
	s_andn2_b64 vcc, exec, s[0:1]
	s_cbranch_vccnz .LBB182_2556
; %bb.2546:
	s_cmp_lt_i32 s2, 6
	s_cbranch_scc1 .LBB182_2549
; %bb.2547:
	s_cmp_gt_i32 s2, 6
	s_cbranch_scc0 .LBB182_2550
; %bb.2548:
	global_load_dwordx2 v[10:11], v[0:1], off
	s_movk_i32 s0, 0x1ff
	s_movk_i32 s1, 0xffe
	v_mov_b32_e32 v12, 0x7c00
	v_mov_b32_e32 v13, 0x7e00
	s_movk_i32 s3, 0x40f
	s_mov_b32 s4, 0x8000
	s_waitcnt vmcnt(0)
	v_and_or_b32 v10, v11, s0, v10
	v_cmp_ne_u32_e32 vcc, 0, v10
	v_lshrrev_b32_e32 v14, 8, v11
	v_bfe_u32 v15, v11, 20, 11
	v_cndmask_b32_e64 v10, 0, 1, vcc
	v_sub_u32_e32 v16, 0x3f1, v15
	v_and_or_b32 v10, v14, s1, v10
	v_add_u32_e32 v15, 0xfffffc10, v15
	v_med3_i32 v14, v16, 0, 13
	v_or_b32_e32 v16, 0x1000, v10
	v_cmp_ne_u32_e32 vcc, 0, v10
	v_lshl_or_b32 v17, v15, 12, v10
	v_cndmask_b32_e32 v10, v12, v13, vcc
	v_lshrrev_b32_e32 v13, v14, v16
	v_lshlrev_b32_e32 v14, v14, v13
	v_cmp_ne_u32_e32 vcc, v14, v16
	v_cndmask_b32_e64 v14, 0, 1, vcc
	v_or_b32_e32 v13, v13, v14
	v_cmp_gt_i32_e32 vcc, 1, v15
	v_cndmask_b32_e32 v13, v17, v13, vcc
	v_and_b32_e32 v14, 7, v13
	v_cmp_lt_i32_e32 vcc, 5, v14
	v_cndmask_b32_e64 v16, 0, 1, vcc
	v_cmp_eq_u32_e32 vcc, 3, v14
	v_cndmask_b32_e64 v14, 0, 1, vcc
	v_lshrrev_b32_e32 v13, 2, v13
	v_or_b32_e32 v14, v14, v16
	v_add_u32_e32 v13, v13, v14
	v_cmp_gt_i32_e32 vcc, 31, v15
	v_cndmask_b32_e32 v12, v12, v13, vcc
	v_cmp_eq_u32_e32 vcc, s3, v15
	v_lshrrev_b32_e32 v11, 16, v11
	v_cndmask_b32_e32 v10, v12, v10, vcc
	v_and_or_b32 v10, v11, s4, v10
	s_mov_b64 s[0:1], 0
	s_branch .LBB182_2551
.LBB182_2549:
	s_mov_b64 s[0:1], -1
                                        ; implicit-def: $vgpr10
	s_branch .LBB182_2554
.LBB182_2550:
	s_mov_b64 s[0:1], -1
                                        ; implicit-def: $vgpr10
.LBB182_2551:
	s_andn2_b64 vcc, exec, s[0:1]
	s_cbranch_vccnz .LBB182_2553
; %bb.2552:
	global_load_dword v10, v[0:1], off
	s_waitcnt vmcnt(0)
	v_cvt_f16_f32_e32 v10, v10
.LBB182_2553:
	s_mov_b64 s[0:1], 0
.LBB182_2554:
	s_andn2_b64 vcc, exec, s[0:1]
	s_cbranch_vccnz .LBB182_2556
; %bb.2555:
	global_load_ushort v10, v[0:1], off
.LBB182_2556:
	s_mov_b64 s[0:1], 0
.LBB182_2557:
	s_andn2_b64 vcc, exec, s[0:1]
	s_cbranch_vccnz .LBB182_2577
; %bb.2558:
	s_cmp_lt_i32 s2, 2
	s_cbranch_scc1 .LBB182_2562
; %bb.2559:
	s_cmp_lt_i32 s2, 3
	s_cbranch_scc1 .LBB182_2563
; %bb.2560:
	s_cmp_gt_i32 s2, 3
	s_cbranch_scc0 .LBB182_2564
; %bb.2561:
	global_load_dwordx2 v[10:11], v[0:1], off
	s_mov_b64 s[0:1], 0
	s_waitcnt vmcnt(0)
	v_xor_b32_e32 v13, v10, v11
	v_ffbh_i32_e32 v12, v11
	v_ashrrev_i32_e32 v13, 31, v13
	v_add_u32_e32 v12, -1, v12
	v_add_u32_e32 v13, 32, v13
	v_min_u32_e32 v12, v12, v13
	v_lshlrev_b64 v[10:11], v12, v[10:11]
	v_min_u32_e32 v10, 1, v10
	v_or_b32_e32 v10, v11, v10
	v_cvt_f32_i32_e32 v10, v10
	v_sub_u32_e32 v11, 32, v12
	v_ldexp_f32 v10, v10, v11
	v_cvt_f16_f32_e32 v10, v10
	s_branch .LBB182_2565
.LBB182_2562:
	s_mov_b64 s[0:1], -1
                                        ; implicit-def: $vgpr10
	s_branch .LBB182_2571
.LBB182_2563:
	s_mov_b64 s[0:1], -1
                                        ; implicit-def: $vgpr10
	s_branch .LBB182_2568
.LBB182_2564:
	s_mov_b64 s[0:1], -1
                                        ; implicit-def: $vgpr10
.LBB182_2565:
	s_andn2_b64 vcc, exec, s[0:1]
	s_cbranch_vccnz .LBB182_2567
; %bb.2566:
	global_load_dword v10, v[0:1], off
	s_waitcnt vmcnt(0)
	v_cvt_f32_i32_e32 v10, v10
	v_cvt_f16_f32_e32 v10, v10
.LBB182_2567:
	s_mov_b64 s[0:1], 0
.LBB182_2568:
	s_andn2_b64 vcc, exec, s[0:1]
	s_cbranch_vccnz .LBB182_2570
; %bb.2569:
	global_load_ushort v10, v[0:1], off
	s_waitcnt vmcnt(0)
	v_cvt_f16_i16_e32 v10, v10
.LBB182_2570:
	s_mov_b64 s[0:1], 0
.LBB182_2571:
	s_andn2_b64 vcc, exec, s[0:1]
	s_cbranch_vccnz .LBB182_2577
; %bb.2572:
	s_cmp_gt_i32 s2, 0
	s_cbranch_scc0 .LBB182_2574
; %bb.2573:
	global_load_sbyte v10, v[0:1], off
	s_mov_b64 s[0:1], 0
	s_waitcnt vmcnt(0)
	v_cvt_f16_i16_e32 v10, v10
	s_branch .LBB182_2575
.LBB182_2574:
	s_mov_b64 s[0:1], -1
                                        ; implicit-def: $vgpr10
.LBB182_2575:
	s_andn2_b64 vcc, exec, s[0:1]
	s_cbranch_vccnz .LBB182_2577
; %bb.2576:
	global_load_ubyte v0, v[0:1], off
	s_waitcnt vmcnt(0)
	v_cvt_f16_u16_e32 v10, v0
.LBB182_2577:
	s_mov_b64 s[4:5], -1
.LBB182_2578:
	s_andn2_b64 vcc, exec, s[4:5]
	s_cbranch_vccnz .LBB182_3012
; %bb.2579:
	s_waitcnt vmcnt(0)
	v_cmp_eq_f16_e32 vcc, v3, v4
	s_cmp_eq_u32 s15, 0
	v_cndmask_b32_e64 v0, 0, 1, vcc
	v_cmp_neq_f16_e32 vcc, v3, v4
	v_mul_lo_u32 v2, s12, v2
	v_cndmask_b32_e64 v1, 0, 1, vcc
	s_cselect_b64 s[0:1], -1, 0
	v_cndmask_b32_e64 v0, v1, v0, s[0:1]
	v_and_b32_e32 v0, 1, v0
	v_cmp_eq_u32_e64 s[2:3], 1, v0
	v_ashrrev_i32_e32 v1, 31, v2
	v_mov_b32_e32 v3, s9
	s_and_b32 s24, s33, 0xff
	v_add_co_u32_e32 v0, vcc, s8, v2
	s_cmp_lt_i32 s24, 11
	v_addc_co_u32_e32 v1, vcc, v3, v1, vcc
	s_cbranch_scc1 .LBB182_2657
; %bb.2580:
	s_and_b32 s13, 0xffff, s24
	s_mov_b64 s[14:15], -1
	s_mov_b64 s[6:7], 0
	s_cmp_gt_i32 s13, 25
	s_mov_b64 s[10:11], 0
	s_mov_b64 s[4:5], 0
	s_cbranch_scc0 .LBB182_2613
; %bb.2581:
	s_cmp_gt_i32 s13, 28
	s_cbranch_scc0 .LBB182_2596
; %bb.2582:
	s_cmp_gt_i32 s13, 43
	;; [unrolled: 3-line block ×3, first 2 shown]
	s_cbranch_scc0 .LBB182_2586
; %bb.2584:
	s_mov_b64 s[4:5], -1
	s_mov_b64 s[14:15], 0
	s_cmp_eq_u32 s13, 46
	s_cbranch_scc0 .LBB182_2586
; %bb.2585:
	v_cndmask_b32_e64 v3, 0, 1.0, s[2:3]
	v_bfe_u32 v4, v3, 16, 1
	s_movk_i32 s4, 0x7fff
	v_add3_u32 v3, v3, v4, s4
	v_lshrrev_b32_e32 v3, 16, v3
	global_store_dword v[0:1], v3, off
	s_mov_b64 s[4:5], 0
	s_mov_b64 s[10:11], -1
.LBB182_2586:
	s_and_b64 vcc, exec, s[14:15]
	s_cbranch_vccz .LBB182_2591
; %bb.2587:
	s_cmp_eq_u32 s13, 44
	s_mov_b64 s[4:5], -1
	s_cbranch_scc0 .LBB182_2591
; %bb.2588:
	v_cndmask_b32_e64 v4, 0, 1.0, s[2:3]
	v_lshrrev_b32_e32 v3, 23, v4
	s_movk_i32 s4, 0xff
	v_cmp_ne_u32_e32 vcc, s4, v3
	v_mov_b32_e32 v11, 0xff
	s_and_saveexec_b64 s[10:11], vcc
; %bb.2589:
	s_mov_b32 s4, 0x3fffff
	v_and_b32_e32 v11, 0x400000, v4
	v_and_or_b32 v4, v4, s4, v3
	v_cmp_ne_u32_e32 vcc, 0, v11
	v_cmp_ne_u32_e64 s[4:5], 0, v4
	s_and_b64 s[4:5], vcc, s[4:5]
	v_cndmask_b32_e64 v4, 0, 1, s[4:5]
	v_add_u32_e32 v11, v3, v4
; %bb.2590:
	s_or_b64 exec, exec, s[10:11]
	s_mov_b64 s[4:5], 0
	s_mov_b64 s[10:11], -1
	global_store_byte v[0:1], v11, off
.LBB182_2591:
	s_mov_b64 s[14:15], 0
.LBB182_2592:
	s_and_b64 vcc, exec, s[14:15]
	s_cbranch_vccz .LBB182_2595
; %bb.2593:
	s_cmp_eq_u32 s13, 29
	s_mov_b64 s[4:5], -1
	s_cbranch_scc0 .LBB182_2595
; %bb.2594:
	s_mov_b32 s4, 0
	v_cndmask_b32_e64 v3, 0, 1, s[2:3]
	v_mov_b32_e32 v4, s4
	global_store_dwordx2 v[0:1], v[3:4], off
	s_mov_b64 s[4:5], 0
	s_mov_b64 s[10:11], -1
.LBB182_2595:
	s_mov_b64 s[14:15], 0
.LBB182_2596:
	s_and_b64 vcc, exec, s[14:15]
	s_cbranch_vccz .LBB182_2612
; %bb.2597:
	s_cmp_lt_i32 s13, 27
	s_mov_b64 s[10:11], -1
	s_cbranch_scc1 .LBB182_2603
; %bb.2598:
	s_cmp_gt_i32 s13, 27
	s_cbranch_scc0 .LBB182_2600
; %bb.2599:
	v_cndmask_b32_e64 v3, 0, 1, s[2:3]
	s_mov_b64 s[10:11], 0
	global_store_dword v[0:1], v3, off
.LBB182_2600:
	s_andn2_b64 vcc, exec, s[10:11]
	s_cbranch_vccnz .LBB182_2602
; %bb.2601:
	v_cndmask_b32_e64 v3, 0, 1, s[2:3]
	global_store_short v[0:1], v3, off
.LBB182_2602:
	s_mov_b64 s[10:11], 0
.LBB182_2603:
	s_andn2_b64 vcc, exec, s[10:11]
	s_cbranch_vccnz .LBB182_2611
; %bb.2604:
	v_cndmask_b32_e64 v4, 0, 1.0, s[2:3]
	s_mov_b32 s10, 0x43800000
	v_cmp_gt_u32_e32 vcc, s10, v4
	v_mov_b32_e32 v11, 0x80
	s_and_saveexec_b64 s[10:11], vcc
	s_cbranch_execz .LBB182_2610
; %bb.2605:
	s_mov_b32 s14, 0x3bffffff
	v_cmp_lt_u32_e32 vcc, s14, v4
	s_mov_b64 s[14:15], 0
                                        ; implicit-def: $vgpr3
	s_and_saveexec_b64 s[16:17], vcc
	s_xor_b64 s[16:17], exec, s[16:17]
	s_cbranch_execz .LBB182_3059
; %bb.2606:
	v_bfe_u32 v3, v4, 20, 1
	s_mov_b32 s25, 0x487ffff
	v_add3_u32 v3, v4, v3, s25
	s_mov_b64 s[14:15], exec
	v_lshrrev_b32_e32 v3, 20, v3
                                        ; implicit-def: $vgpr4
	s_andn2_saveexec_b64 s[16:17], s[16:17]
	s_cbranch_execnz .LBB182_3060
.LBB182_2607:
	s_or_b64 exec, exec, s[16:17]
	v_mov_b32_e32 v11, 0
	s_and_saveexec_b64 s[16:17], s[14:15]
.LBB182_2608:
	v_mov_b32_e32 v11, v3
.LBB182_2609:
	s_or_b64 exec, exec, s[16:17]
.LBB182_2610:
	s_or_b64 exec, exec, s[10:11]
	global_store_byte v[0:1], v11, off
.LBB182_2611:
	s_mov_b64 s[10:11], -1
.LBB182_2612:
	s_mov_b64 s[14:15], 0
.LBB182_2613:
	s_and_b64 vcc, exec, s[14:15]
	s_cbranch_vccz .LBB182_2653
; %bb.2614:
	s_cmp_gt_i32 s13, 22
	s_mov_b64 s[6:7], -1
	s_cbranch_scc0 .LBB182_2646
; %bb.2615:
	s_cmp_lt_i32 s13, 24
	s_cbranch_scc1 .LBB182_2635
; %bb.2616:
	s_cmp_gt_i32 s13, 24
	s_cbranch_scc0 .LBB182_2624
; %bb.2617:
	v_cndmask_b32_e64 v4, 0, 1.0, s[2:3]
	s_mov_b32 s6, 0x47800000
	v_cmp_gt_u32_e32 vcc, s6, v4
	v_mov_b32_e32 v11, 0x80
	s_and_saveexec_b64 s[6:7], vcc
	s_cbranch_execz .LBB182_2623
; %bb.2618:
	s_mov_b32 s10, 0x37ffffff
	v_cmp_lt_u32_e32 vcc, s10, v4
	s_mov_b64 s[10:11], 0
                                        ; implicit-def: $vgpr3
	s_and_saveexec_b64 s[14:15], vcc
	s_xor_b64 s[14:15], exec, s[14:15]
	s_cbranch_execz .LBB182_3062
; %bb.2619:
	v_bfe_u32 v3, v4, 21, 1
	s_mov_b32 s16, 0x88fffff
	v_add3_u32 v3, v4, v3, s16
	s_mov_b64 s[10:11], exec
	v_lshrrev_b32_e32 v3, 21, v3
                                        ; implicit-def: $vgpr4
	s_andn2_saveexec_b64 s[14:15], s[14:15]
	s_cbranch_execnz .LBB182_3063
.LBB182_2620:
	s_or_b64 exec, exec, s[14:15]
	v_mov_b32_e32 v11, 0
	s_and_saveexec_b64 s[14:15], s[10:11]
.LBB182_2621:
	v_mov_b32_e32 v11, v3
.LBB182_2622:
	s_or_b64 exec, exec, s[14:15]
.LBB182_2623:
	s_or_b64 exec, exec, s[6:7]
	s_mov_b64 s[6:7], 0
	global_store_byte v[0:1], v11, off
.LBB182_2624:
	s_and_b64 vcc, exec, s[6:7]
	s_cbranch_vccz .LBB182_2634
; %bb.2625:
	v_cndmask_b32_e64 v3, 0, 1.0, s[2:3]
	s_mov_b32 s6, 0x43f00000
	v_cmp_gt_u32_e32 vcc, s6, v3
                                        ; implicit-def: $vgpr4
	s_and_saveexec_b64 s[6:7], vcc
	s_xor_b64 s[6:7], exec, s[6:7]
	s_cbranch_execz .LBB182_2631
; %bb.2626:
	s_mov_b32 s10, 0x3c7fffff
	v_cmp_lt_u32_e32 vcc, s10, v3
                                        ; implicit-def: $vgpr4
	s_and_saveexec_b64 s[10:11], vcc
	s_xor_b64 s[10:11], exec, s[10:11]
; %bb.2627:
	v_bfe_u32 v4, v3, 20, 1
	s_mov_b32 s14, 0x407ffff
	v_add3_u32 v3, v3, v4, s14
	v_lshrrev_b32_e32 v4, 20, v3
	v_and_b32_e32 v3, 0xff00000, v3
	s_mov_b32 s14, 0x7f00000
	v_mov_b32_e32 v11, 0x7e
	v_cmp_ne_u32_e32 vcc, s14, v3
	v_cndmask_b32_e32 v4, v11, v4, vcc
                                        ; implicit-def: $vgpr3
; %bb.2628:
	s_andn2_saveexec_b64 s[10:11], s[10:11]
; %bb.2629:
	v_add_f32_e32 v4, 0x46800000, v3
; %bb.2630:
	s_or_b64 exec, exec, s[10:11]
                                        ; implicit-def: $vgpr3
.LBB182_2631:
	s_andn2_saveexec_b64 s[6:7], s[6:7]
; %bb.2632:
	s_mov_b32 s10, 0x7f800000
	v_mov_b32_e32 v4, 0x7e
	v_mov_b32_e32 v11, 0x7f
	v_cmp_lt_u32_e32 vcc, s10, v3
	v_cndmask_b32_e32 v4, v4, v11, vcc
; %bb.2633:
	s_or_b64 exec, exec, s[6:7]
	global_store_byte v[0:1], v4, off
.LBB182_2634:
	s_mov_b64 s[6:7], 0
.LBB182_2635:
	s_andn2_b64 vcc, exec, s[6:7]
	s_cbranch_vccnz .LBB182_2645
; %bb.2636:
	v_cndmask_b32_e64 v3, 0, 1.0, s[2:3]
	s_mov_b32 s6, 0x47800000
	v_cmp_gt_u32_e32 vcc, s6, v3
                                        ; implicit-def: $vgpr4
	s_and_saveexec_b64 s[6:7], vcc
	s_xor_b64 s[6:7], exec, s[6:7]
	s_cbranch_execz .LBB182_2642
; %bb.2637:
	s_mov_b32 s10, 0x387fffff
	v_cmp_lt_u32_e32 vcc, s10, v3
                                        ; implicit-def: $vgpr4
	s_and_saveexec_b64 s[10:11], vcc
	s_xor_b64 s[10:11], exec, s[10:11]
; %bb.2638:
	v_bfe_u32 v4, v3, 21, 1
	s_mov_b32 s14, 0x80fffff
	v_add3_u32 v3, v3, v4, s14
	v_lshrrev_b32_e32 v4, 21, v3
                                        ; implicit-def: $vgpr3
; %bb.2639:
	s_andn2_saveexec_b64 s[10:11], s[10:11]
; %bb.2640:
	v_add_f32_e32 v4, 0x43000000, v3
; %bb.2641:
	s_or_b64 exec, exec, s[10:11]
                                        ; implicit-def: $vgpr3
.LBB182_2642:
	s_andn2_saveexec_b64 s[6:7], s[6:7]
; %bb.2643:
	s_mov_b32 s10, 0x7f800000
	v_mov_b32_e32 v4, 0x7c
	v_mov_b32_e32 v11, 0x7f
	v_cmp_lt_u32_e32 vcc, s10, v3
	v_cndmask_b32_e32 v4, v4, v11, vcc
; %bb.2644:
	s_or_b64 exec, exec, s[6:7]
	global_store_byte v[0:1], v4, off
.LBB182_2645:
	s_mov_b64 s[6:7], 0
	s_mov_b64 s[10:11], -1
.LBB182_2646:
	s_andn2_b64 vcc, exec, s[6:7]
	s_mov_b64 s[6:7], 0
	s_cbranch_vccnz .LBB182_2653
; %bb.2647:
	s_cmp_gt_i32 s13, 14
	s_mov_b64 s[14:15], -1
	s_cbranch_scc0 .LBB182_2651
; %bb.2648:
	s_cmp_eq_u32 s13, 15
	s_mov_b64 s[4:5], -1
	s_cbranch_scc0 .LBB182_2650
; %bb.2649:
	v_cndmask_b32_e64 v3, 0, 1.0, s[2:3]
	v_bfe_u32 v4, v3, 16, 1
	s_movk_i32 s4, 0x7fff
	v_add3_u32 v3, v3, v4, s4
	global_store_short_d16_hi v[0:1], v3, off
	s_mov_b64 s[4:5], 0
	s_mov_b64 s[10:11], -1
.LBB182_2650:
	s_mov_b64 s[14:15], 0
.LBB182_2651:
	s_and_b64 vcc, exec, s[14:15]
	s_cbranch_vccz .LBB182_2653
; %bb.2652:
	s_cmp_lg_u32 s13, 11
	s_mov_b64 s[6:7], -1
	s_cselect_b64 s[4:5], -1, 0
.LBB182_2653:
	s_and_b64 vcc, exec, s[4:5]
	s_cbranch_vccnz .LBB182_3061
; %bb.2654:
	s_andn2_b64 vcc, exec, s[6:7]
	s_cbranch_vccnz .LBB182_2656
.LBB182_2655:
	v_cndmask_b32_e64 v3, 0, 1, s[2:3]
	s_mov_b64 s[10:11], -1
	global_store_byte v[0:1], v3, off
.LBB182_2656:
	s_mov_b64 s[4:5], 0
	s_branch .LBB182_2658
.LBB182_2657:
	s_mov_b64 s[4:5], -1
	s_mov_b64 s[10:11], 0
.LBB182_2658:
	s_and_b64 vcc, exec, s[4:5]
	s_cbranch_vccz .LBB182_2697
; %bb.2659:
	s_and_b32 s6, 0xffff, s24
	s_cmp_lt_i32 s6, 5
	s_mov_b64 s[4:5], -1
	s_cbranch_scc1 .LBB182_2680
; %bb.2660:
	s_cmp_lt_i32 s6, 8
	s_cbranch_scc1 .LBB182_2670
; %bb.2661:
	s_cmp_lt_i32 s6, 9
	s_cbranch_scc1 .LBB182_2667
; %bb.2662:
	s_cmp_gt_i32 s6, 9
	s_cbranch_scc0 .LBB182_2664
; %bb.2663:
	v_cndmask_b32_e64 v3, 0, 1, s[2:3]
	v_cvt_f64_u32_e32 v[11:12], v3
	v_mov_b32_e32 v13, 0
	v_mov_b32_e32 v14, v13
	s_mov_b64 s[4:5], 0
	global_store_dwordx4 v[0:1], v[11:14], off
.LBB182_2664:
	s_andn2_b64 vcc, exec, s[4:5]
	s_cbranch_vccnz .LBB182_2666
; %bb.2665:
	v_cndmask_b32_e64 v3, 0, 1.0, s[2:3]
	v_mov_b32_e32 v4, 0
	global_store_dwordx2 v[0:1], v[3:4], off
.LBB182_2666:
	s_mov_b64 s[4:5], 0
.LBB182_2667:
	s_andn2_b64 vcc, exec, s[4:5]
	s_cbranch_vccnz .LBB182_2669
; %bb.2668:
	v_cndmask_b32_e64 v3, 0, 1.0, s[2:3]
	v_cvt_f16_f32_e32 v3, v3
	global_store_dword v[0:1], v3, off
.LBB182_2669:
	s_mov_b64 s[4:5], 0
.LBB182_2670:
	s_andn2_b64 vcc, exec, s[4:5]
	s_cbranch_vccnz .LBB182_2679
; %bb.2671:
	s_cmp_lt_i32 s6, 6
	s_mov_b64 s[4:5], -1
	s_cbranch_scc1 .LBB182_2677
; %bb.2672:
	s_cmp_gt_i32 s6, 6
	s_cbranch_scc0 .LBB182_2674
; %bb.2673:
	v_cndmask_b32_e64 v3, 0, 1, s[2:3]
	v_cvt_f64_u32_e32 v[3:4], v3
	s_mov_b64 s[4:5], 0
	global_store_dwordx2 v[0:1], v[3:4], off
.LBB182_2674:
	s_andn2_b64 vcc, exec, s[4:5]
	s_cbranch_vccnz .LBB182_2676
; %bb.2675:
	v_cndmask_b32_e64 v3, 0, 1.0, s[2:3]
	global_store_dword v[0:1], v3, off
.LBB182_2676:
	s_mov_b64 s[4:5], 0
.LBB182_2677:
	s_andn2_b64 vcc, exec, s[4:5]
	s_cbranch_vccnz .LBB182_2679
; %bb.2678:
	v_cndmask_b32_e64 v3, 0, 1.0, s[2:3]
	v_cvt_f16_f32_e32 v3, v3
	global_store_short v[0:1], v3, off
.LBB182_2679:
	s_mov_b64 s[4:5], 0
.LBB182_2680:
	s_andn2_b64 vcc, exec, s[4:5]
	s_cbranch_vccnz .LBB182_2696
; %bb.2681:
	s_cmp_lt_i32 s6, 2
	s_mov_b64 s[4:5], -1
	s_cbranch_scc1 .LBB182_2691
; %bb.2682:
	s_cmp_lt_i32 s6, 3
	s_cbranch_scc1 .LBB182_2688
; %bb.2683:
	s_cmp_gt_i32 s6, 3
	s_cbranch_scc0 .LBB182_2685
; %bb.2684:
	s_mov_b32 s4, 0
	v_cndmask_b32_e64 v3, 0, 1, s[2:3]
	v_mov_b32_e32 v4, s4
	global_store_dwordx2 v[0:1], v[3:4], off
	s_mov_b64 s[4:5], 0
.LBB182_2685:
	s_andn2_b64 vcc, exec, s[4:5]
	s_cbranch_vccnz .LBB182_2687
; %bb.2686:
	v_cndmask_b32_e64 v3, 0, 1, s[2:3]
	global_store_dword v[0:1], v3, off
.LBB182_2687:
	s_mov_b64 s[4:5], 0
.LBB182_2688:
	s_andn2_b64 vcc, exec, s[4:5]
	s_cbranch_vccnz .LBB182_2690
; %bb.2689:
	v_cndmask_b32_e64 v3, 0, 1, s[2:3]
	global_store_short v[0:1], v3, off
.LBB182_2690:
	s_mov_b64 s[4:5], 0
.LBB182_2691:
	s_andn2_b64 vcc, exec, s[4:5]
	s_cbranch_vccnz .LBB182_2696
; %bb.2692:
	s_mov_b64 s[4:5], -1
	s_cmp_gt_i32 s6, 0
	v_cndmask_b32_e64 v3, 0, 1, s[2:3]
	s_cbranch_scc0 .LBB182_2694
; %bb.2693:
	global_store_byte v[0:1], v3, off
	s_mov_b64 s[4:5], 0
.LBB182_2694:
	s_andn2_b64 vcc, exec, s[4:5]
	s_cbranch_vccnz .LBB182_2696
; %bb.2695:
	global_store_byte v[0:1], v3, off
.LBB182_2696:
	s_mov_b64 s[10:11], -1
.LBB182_2697:
	s_andn2_b64 vcc, exec, s[10:11]
	s_cbranch_vccnz .LBB182_3012
; %bb.2698:
	v_cmp_eq_f16_e32 vcc, v5, v6
	v_cndmask_b32_e64 v0, 0, 1, vcc
	v_cmp_neq_f16_e32 vcc, v5, v6
	v_cndmask_b32_e64 v1, 0, 1, vcc
	v_cndmask_b32_e64 v0, v1, v0, s[0:1]
	s_lshl_b32 s16, s12, 7
	v_and_b32_e32 v0, 1, v0
	v_add_u32_e32 v2, s16, v2
	v_cmp_eq_u32_e64 s[2:3], 1, v0
	v_ashrrev_i32_e32 v1, 31, v2
	v_mov_b32_e32 v3, s9
	v_add_co_u32_e32 v0, vcc, s8, v2
	s_cmp_lt_i32 s24, 11
	v_addc_co_u32_e32 v1, vcc, v3, v1, vcc
	s_cbranch_scc1 .LBB182_2776
; %bb.2699:
	s_and_b32 s17, 0xffff, s24
	s_mov_b64 s[12:13], -1
	s_mov_b64 s[6:7], 0
	s_cmp_gt_i32 s17, 25
	s_mov_b64 s[10:11], 0
	s_mov_b64 s[4:5], 0
	s_cbranch_scc0 .LBB182_2732
; %bb.2700:
	s_cmp_gt_i32 s17, 28
	s_cbranch_scc0 .LBB182_2715
; %bb.2701:
	s_cmp_gt_i32 s17, 43
	s_cbranch_scc0 .LBB182_2711
; %bb.2702:
	s_cmp_gt_i32 s17, 45
	s_cbranch_scc0 .LBB182_2705
; %bb.2703:
	s_mov_b64 s[4:5], -1
	s_mov_b64 s[12:13], 0
	s_cmp_eq_u32 s17, 46
	s_cbranch_scc0 .LBB182_2705
; %bb.2704:
	v_cndmask_b32_e64 v3, 0, 1.0, s[2:3]
	v_bfe_u32 v4, v3, 16, 1
	s_movk_i32 s4, 0x7fff
	v_add3_u32 v3, v3, v4, s4
	v_lshrrev_b32_e32 v3, 16, v3
	global_store_dword v[0:1], v3, off
	s_mov_b64 s[4:5], 0
	s_mov_b64 s[10:11], -1
.LBB182_2705:
	s_and_b64 vcc, exec, s[12:13]
	s_cbranch_vccz .LBB182_2710
; %bb.2706:
	s_cmp_eq_u32 s17, 44
	s_mov_b64 s[4:5], -1
	s_cbranch_scc0 .LBB182_2710
; %bb.2707:
	v_cndmask_b32_e64 v4, 0, 1.0, s[2:3]
	v_lshrrev_b32_e32 v3, 23, v4
	s_movk_i32 s4, 0xff
	v_cmp_ne_u32_e32 vcc, s4, v3
	v_mov_b32_e32 v5, 0xff
	s_and_saveexec_b64 s[10:11], vcc
; %bb.2708:
	s_mov_b32 s4, 0x3fffff
	v_and_b32_e32 v5, 0x400000, v4
	v_and_or_b32 v4, v4, s4, v3
	v_cmp_ne_u32_e32 vcc, 0, v5
	v_cmp_ne_u32_e64 s[4:5], 0, v4
	s_and_b64 s[4:5], vcc, s[4:5]
	v_cndmask_b32_e64 v4, 0, 1, s[4:5]
	v_add_u32_e32 v5, v3, v4
; %bb.2709:
	s_or_b64 exec, exec, s[10:11]
	s_mov_b64 s[4:5], 0
	s_mov_b64 s[10:11], -1
	global_store_byte v[0:1], v5, off
.LBB182_2710:
	s_mov_b64 s[12:13], 0
.LBB182_2711:
	s_and_b64 vcc, exec, s[12:13]
	s_cbranch_vccz .LBB182_2714
; %bb.2712:
	s_cmp_eq_u32 s17, 29
	s_mov_b64 s[4:5], -1
	s_cbranch_scc0 .LBB182_2714
; %bb.2713:
	s_mov_b32 s4, 0
	v_cndmask_b32_e64 v3, 0, 1, s[2:3]
	v_mov_b32_e32 v4, s4
	global_store_dwordx2 v[0:1], v[3:4], off
	s_mov_b64 s[4:5], 0
	s_mov_b64 s[10:11], -1
.LBB182_2714:
	s_mov_b64 s[12:13], 0
.LBB182_2715:
	s_and_b64 vcc, exec, s[12:13]
	s_cbranch_vccz .LBB182_2731
; %bb.2716:
	s_cmp_lt_i32 s17, 27
	s_mov_b64 s[10:11], -1
	s_cbranch_scc1 .LBB182_2722
; %bb.2717:
	s_cmp_gt_i32 s17, 27
	s_cbranch_scc0 .LBB182_2719
; %bb.2718:
	v_cndmask_b32_e64 v3, 0, 1, s[2:3]
	s_mov_b64 s[10:11], 0
	global_store_dword v[0:1], v3, off
.LBB182_2719:
	s_andn2_b64 vcc, exec, s[10:11]
	s_cbranch_vccnz .LBB182_2721
; %bb.2720:
	v_cndmask_b32_e64 v3, 0, 1, s[2:3]
	global_store_short v[0:1], v3, off
.LBB182_2721:
	s_mov_b64 s[10:11], 0
.LBB182_2722:
	s_andn2_b64 vcc, exec, s[10:11]
	s_cbranch_vccnz .LBB182_2730
; %bb.2723:
	v_cndmask_b32_e64 v4, 0, 1.0, s[2:3]
	s_mov_b32 s10, 0x43800000
	v_cmp_gt_u32_e32 vcc, s10, v4
	v_mov_b32_e32 v5, 0x80
	s_and_saveexec_b64 s[10:11], vcc
	s_cbranch_execz .LBB182_2729
; %bb.2724:
	s_mov_b32 s12, 0x3bffffff
	v_cmp_lt_u32_e32 vcc, s12, v4
	s_mov_b64 s[12:13], 0
                                        ; implicit-def: $vgpr3
	s_and_saveexec_b64 s[14:15], vcc
	s_xor_b64 s[14:15], exec, s[14:15]
	s_cbranch_execz .LBB182_3064
; %bb.2725:
	v_bfe_u32 v3, v4, 20, 1
	s_mov_b32 s25, 0x487ffff
	v_add3_u32 v3, v4, v3, s25
	s_mov_b64 s[12:13], exec
	v_lshrrev_b32_e32 v3, 20, v3
                                        ; implicit-def: $vgpr4
	s_andn2_saveexec_b64 s[14:15], s[14:15]
	s_cbranch_execnz .LBB182_3065
.LBB182_2726:
	s_or_b64 exec, exec, s[14:15]
	v_mov_b32_e32 v5, 0
	s_and_saveexec_b64 s[14:15], s[12:13]
.LBB182_2727:
	v_mov_b32_e32 v5, v3
.LBB182_2728:
	s_or_b64 exec, exec, s[14:15]
.LBB182_2729:
	s_or_b64 exec, exec, s[10:11]
	global_store_byte v[0:1], v5, off
.LBB182_2730:
	s_mov_b64 s[10:11], -1
.LBB182_2731:
	s_mov_b64 s[12:13], 0
.LBB182_2732:
	s_and_b64 vcc, exec, s[12:13]
	s_cbranch_vccz .LBB182_2772
; %bb.2733:
	s_cmp_gt_i32 s17, 22
	s_mov_b64 s[6:7], -1
	s_cbranch_scc0 .LBB182_2765
; %bb.2734:
	s_cmp_lt_i32 s17, 24
	s_cbranch_scc1 .LBB182_2754
; %bb.2735:
	s_cmp_gt_i32 s17, 24
	s_cbranch_scc0 .LBB182_2743
; %bb.2736:
	v_cndmask_b32_e64 v4, 0, 1.0, s[2:3]
	s_mov_b32 s6, 0x47800000
	v_cmp_gt_u32_e32 vcc, s6, v4
	v_mov_b32_e32 v5, 0x80
	s_and_saveexec_b64 s[6:7], vcc
	s_cbranch_execz .LBB182_2742
; %bb.2737:
	s_mov_b32 s10, 0x37ffffff
	v_cmp_lt_u32_e32 vcc, s10, v4
	s_mov_b64 s[10:11], 0
                                        ; implicit-def: $vgpr3
	s_and_saveexec_b64 s[12:13], vcc
	s_xor_b64 s[12:13], exec, s[12:13]
	s_cbranch_execz .LBB182_3067
; %bb.2738:
	v_bfe_u32 v3, v4, 21, 1
	s_mov_b32 s14, 0x88fffff
	v_add3_u32 v3, v4, v3, s14
	s_mov_b64 s[10:11], exec
	v_lshrrev_b32_e32 v3, 21, v3
                                        ; implicit-def: $vgpr4
	s_andn2_saveexec_b64 s[12:13], s[12:13]
	s_cbranch_execnz .LBB182_3068
.LBB182_2739:
	s_or_b64 exec, exec, s[12:13]
	v_mov_b32_e32 v5, 0
	s_and_saveexec_b64 s[12:13], s[10:11]
.LBB182_2740:
	v_mov_b32_e32 v5, v3
.LBB182_2741:
	s_or_b64 exec, exec, s[12:13]
.LBB182_2742:
	s_or_b64 exec, exec, s[6:7]
	s_mov_b64 s[6:7], 0
	global_store_byte v[0:1], v5, off
.LBB182_2743:
	s_and_b64 vcc, exec, s[6:7]
	s_cbranch_vccz .LBB182_2753
; %bb.2744:
	v_cndmask_b32_e64 v3, 0, 1.0, s[2:3]
	s_mov_b32 s6, 0x43f00000
	v_cmp_gt_u32_e32 vcc, s6, v3
                                        ; implicit-def: $vgpr4
	s_and_saveexec_b64 s[6:7], vcc
	s_xor_b64 s[6:7], exec, s[6:7]
	s_cbranch_execz .LBB182_2750
; %bb.2745:
	s_mov_b32 s10, 0x3c7fffff
	v_cmp_lt_u32_e32 vcc, s10, v3
                                        ; implicit-def: $vgpr4
	s_and_saveexec_b64 s[10:11], vcc
	s_xor_b64 s[10:11], exec, s[10:11]
; %bb.2746:
	v_bfe_u32 v4, v3, 20, 1
	s_mov_b32 s12, 0x407ffff
	v_add3_u32 v3, v3, v4, s12
	v_lshrrev_b32_e32 v4, 20, v3
	v_and_b32_e32 v3, 0xff00000, v3
	s_mov_b32 s12, 0x7f00000
	v_mov_b32_e32 v5, 0x7e
	v_cmp_ne_u32_e32 vcc, s12, v3
	v_cndmask_b32_e32 v4, v5, v4, vcc
                                        ; implicit-def: $vgpr3
; %bb.2747:
	s_andn2_saveexec_b64 s[10:11], s[10:11]
; %bb.2748:
	v_add_f32_e32 v4, 0x46800000, v3
; %bb.2749:
	s_or_b64 exec, exec, s[10:11]
                                        ; implicit-def: $vgpr3
.LBB182_2750:
	s_andn2_saveexec_b64 s[6:7], s[6:7]
; %bb.2751:
	s_mov_b32 s10, 0x7f800000
	v_mov_b32_e32 v4, 0x7e
	v_mov_b32_e32 v5, 0x7f
	v_cmp_lt_u32_e32 vcc, s10, v3
	v_cndmask_b32_e32 v4, v4, v5, vcc
; %bb.2752:
	s_or_b64 exec, exec, s[6:7]
	global_store_byte v[0:1], v4, off
.LBB182_2753:
	s_mov_b64 s[6:7], 0
.LBB182_2754:
	s_andn2_b64 vcc, exec, s[6:7]
	s_cbranch_vccnz .LBB182_2764
; %bb.2755:
	v_cndmask_b32_e64 v3, 0, 1.0, s[2:3]
	s_mov_b32 s6, 0x47800000
	v_cmp_gt_u32_e32 vcc, s6, v3
                                        ; implicit-def: $vgpr4
	s_and_saveexec_b64 s[6:7], vcc
	s_xor_b64 s[6:7], exec, s[6:7]
	s_cbranch_execz .LBB182_2761
; %bb.2756:
	s_mov_b32 s10, 0x387fffff
	v_cmp_lt_u32_e32 vcc, s10, v3
                                        ; implicit-def: $vgpr4
	s_and_saveexec_b64 s[10:11], vcc
	s_xor_b64 s[10:11], exec, s[10:11]
; %bb.2757:
	v_bfe_u32 v4, v3, 21, 1
	s_mov_b32 s12, 0x80fffff
	v_add3_u32 v3, v3, v4, s12
	v_lshrrev_b32_e32 v4, 21, v3
                                        ; implicit-def: $vgpr3
; %bb.2758:
	s_andn2_saveexec_b64 s[10:11], s[10:11]
; %bb.2759:
	v_add_f32_e32 v4, 0x43000000, v3
; %bb.2760:
	s_or_b64 exec, exec, s[10:11]
                                        ; implicit-def: $vgpr3
.LBB182_2761:
	s_andn2_saveexec_b64 s[6:7], s[6:7]
; %bb.2762:
	s_mov_b32 s10, 0x7f800000
	v_mov_b32_e32 v4, 0x7c
	v_mov_b32_e32 v5, 0x7f
	v_cmp_lt_u32_e32 vcc, s10, v3
	v_cndmask_b32_e32 v4, v4, v5, vcc
; %bb.2763:
	s_or_b64 exec, exec, s[6:7]
	global_store_byte v[0:1], v4, off
.LBB182_2764:
	s_mov_b64 s[6:7], 0
	s_mov_b64 s[10:11], -1
.LBB182_2765:
	s_andn2_b64 vcc, exec, s[6:7]
	s_mov_b64 s[6:7], 0
	s_cbranch_vccnz .LBB182_2772
; %bb.2766:
	s_cmp_gt_i32 s17, 14
	s_mov_b64 s[12:13], -1
	s_cbranch_scc0 .LBB182_2770
; %bb.2767:
	s_cmp_eq_u32 s17, 15
	s_mov_b64 s[4:5], -1
	s_cbranch_scc0 .LBB182_2769
; %bb.2768:
	v_cndmask_b32_e64 v3, 0, 1.0, s[2:3]
	v_bfe_u32 v4, v3, 16, 1
	s_movk_i32 s4, 0x7fff
	v_add3_u32 v3, v3, v4, s4
	global_store_short_d16_hi v[0:1], v3, off
	s_mov_b64 s[4:5], 0
	s_mov_b64 s[10:11], -1
.LBB182_2769:
	s_mov_b64 s[12:13], 0
.LBB182_2770:
	s_and_b64 vcc, exec, s[12:13]
	s_cbranch_vccz .LBB182_2772
; %bb.2771:
	s_cmp_lg_u32 s17, 11
	s_mov_b64 s[6:7], -1
	s_cselect_b64 s[4:5], -1, 0
.LBB182_2772:
	s_and_b64 vcc, exec, s[4:5]
	s_cbranch_vccnz .LBB182_3066
; %bb.2773:
	s_andn2_b64 vcc, exec, s[6:7]
	s_cbranch_vccnz .LBB182_2775
.LBB182_2774:
	v_cndmask_b32_e64 v3, 0, 1, s[2:3]
	s_mov_b64 s[10:11], -1
	global_store_byte v[0:1], v3, off
.LBB182_2775:
	s_mov_b64 s[4:5], 0
	s_branch .LBB182_2777
.LBB182_2776:
	s_mov_b64 s[4:5], -1
	s_mov_b64 s[10:11], 0
.LBB182_2777:
	s_and_b64 vcc, exec, s[4:5]
	s_cbranch_vccz .LBB182_2816
; %bb.2778:
	s_and_b32 s6, 0xffff, s24
	s_cmp_lt_i32 s6, 5
	s_mov_b64 s[4:5], -1
	s_cbranch_scc1 .LBB182_2799
; %bb.2779:
	s_cmp_lt_i32 s6, 8
	s_cbranch_scc1 .LBB182_2789
; %bb.2780:
	s_cmp_lt_i32 s6, 9
	s_cbranch_scc1 .LBB182_2786
; %bb.2781:
	s_cmp_gt_i32 s6, 9
	s_cbranch_scc0 .LBB182_2783
; %bb.2782:
	v_cndmask_b32_e64 v3, 0, 1, s[2:3]
	v_cvt_f64_u32_e32 v[3:4], v3
	v_mov_b32_e32 v5, 0
	v_mov_b32_e32 v6, v5
	s_mov_b64 s[4:5], 0
	global_store_dwordx4 v[0:1], v[3:6], off
.LBB182_2783:
	s_andn2_b64 vcc, exec, s[4:5]
	s_cbranch_vccnz .LBB182_2785
; %bb.2784:
	v_cndmask_b32_e64 v3, 0, 1.0, s[2:3]
	v_mov_b32_e32 v4, 0
	global_store_dwordx2 v[0:1], v[3:4], off
.LBB182_2785:
	s_mov_b64 s[4:5], 0
.LBB182_2786:
	s_andn2_b64 vcc, exec, s[4:5]
	s_cbranch_vccnz .LBB182_2788
; %bb.2787:
	v_cndmask_b32_e64 v3, 0, 1.0, s[2:3]
	v_cvt_f16_f32_e32 v3, v3
	global_store_dword v[0:1], v3, off
.LBB182_2788:
	s_mov_b64 s[4:5], 0
.LBB182_2789:
	s_andn2_b64 vcc, exec, s[4:5]
	s_cbranch_vccnz .LBB182_2798
; %bb.2790:
	s_cmp_lt_i32 s6, 6
	s_mov_b64 s[4:5], -1
	s_cbranch_scc1 .LBB182_2796
; %bb.2791:
	s_cmp_gt_i32 s6, 6
	s_cbranch_scc0 .LBB182_2793
; %bb.2792:
	v_cndmask_b32_e64 v3, 0, 1, s[2:3]
	v_cvt_f64_u32_e32 v[3:4], v3
	s_mov_b64 s[4:5], 0
	global_store_dwordx2 v[0:1], v[3:4], off
.LBB182_2793:
	s_andn2_b64 vcc, exec, s[4:5]
	s_cbranch_vccnz .LBB182_2795
; %bb.2794:
	v_cndmask_b32_e64 v3, 0, 1.0, s[2:3]
	global_store_dword v[0:1], v3, off
.LBB182_2795:
	s_mov_b64 s[4:5], 0
.LBB182_2796:
	s_andn2_b64 vcc, exec, s[4:5]
	s_cbranch_vccnz .LBB182_2798
; %bb.2797:
	v_cndmask_b32_e64 v3, 0, 1.0, s[2:3]
	v_cvt_f16_f32_e32 v3, v3
	global_store_short v[0:1], v3, off
.LBB182_2798:
	s_mov_b64 s[4:5], 0
.LBB182_2799:
	s_andn2_b64 vcc, exec, s[4:5]
	s_cbranch_vccnz .LBB182_2815
; %bb.2800:
	s_cmp_lt_i32 s6, 2
	s_mov_b64 s[4:5], -1
	s_cbranch_scc1 .LBB182_2810
; %bb.2801:
	s_cmp_lt_i32 s6, 3
	s_cbranch_scc1 .LBB182_2807
; %bb.2802:
	s_cmp_gt_i32 s6, 3
	s_cbranch_scc0 .LBB182_2804
; %bb.2803:
	s_mov_b32 s4, 0
	v_cndmask_b32_e64 v3, 0, 1, s[2:3]
	v_mov_b32_e32 v4, s4
	global_store_dwordx2 v[0:1], v[3:4], off
	s_mov_b64 s[4:5], 0
.LBB182_2804:
	s_andn2_b64 vcc, exec, s[4:5]
	s_cbranch_vccnz .LBB182_2806
; %bb.2805:
	v_cndmask_b32_e64 v3, 0, 1, s[2:3]
	global_store_dword v[0:1], v3, off
.LBB182_2806:
	s_mov_b64 s[4:5], 0
.LBB182_2807:
	s_andn2_b64 vcc, exec, s[4:5]
	s_cbranch_vccnz .LBB182_2809
; %bb.2808:
	v_cndmask_b32_e64 v3, 0, 1, s[2:3]
	global_store_short v[0:1], v3, off
.LBB182_2809:
	s_mov_b64 s[4:5], 0
.LBB182_2810:
	s_andn2_b64 vcc, exec, s[4:5]
	s_cbranch_vccnz .LBB182_2815
; %bb.2811:
	s_mov_b64 s[4:5], -1
	s_cmp_gt_i32 s6, 0
	v_cndmask_b32_e64 v3, 0, 1, s[2:3]
	s_cbranch_scc0 .LBB182_2813
; %bb.2812:
	global_store_byte v[0:1], v3, off
	s_mov_b64 s[4:5], 0
.LBB182_2813:
	s_andn2_b64 vcc, exec, s[4:5]
	s_cbranch_vccnz .LBB182_2815
; %bb.2814:
	global_store_byte v[0:1], v3, off
.LBB182_2815:
	s_mov_b64 s[10:11], -1
.LBB182_2816:
	s_andn2_b64 vcc, exec, s[10:11]
	s_cbranch_vccnz .LBB182_3012
; %bb.2817:
	v_cmp_eq_f16_e32 vcc, v7, v8
	v_cndmask_b32_e64 v0, 0, 1, vcc
	v_cmp_neq_f16_e32 vcc, v7, v8
	v_cndmask_b32_e64 v1, 0, 1, vcc
	v_cndmask_b32_e64 v0, v1, v0, s[0:1]
	v_and_b32_e32 v0, 1, v0
	v_add_u32_e32 v2, s16, v2
	v_cmp_eq_u32_e64 s[2:3], 1, v0
	v_ashrrev_i32_e32 v1, 31, v2
	v_mov_b32_e32 v3, s9
	v_add_co_u32_e32 v0, vcc, s8, v2
	s_cmp_lt_i32 s24, 11
	v_addc_co_u32_e32 v1, vcc, v3, v1, vcc
	s_cbranch_scc1 .LBB182_2895
; %bb.2818:
	s_and_b32 s17, 0xffff, s24
	s_mov_b64 s[12:13], -1
	s_mov_b64 s[6:7], 0
	s_cmp_gt_i32 s17, 25
	s_mov_b64 s[10:11], 0
	s_mov_b64 s[4:5], 0
	s_cbranch_scc0 .LBB182_2851
; %bb.2819:
	s_cmp_gt_i32 s17, 28
	s_cbranch_scc0 .LBB182_2834
; %bb.2820:
	s_cmp_gt_i32 s17, 43
	;; [unrolled: 3-line block ×3, first 2 shown]
	s_cbranch_scc0 .LBB182_2824
; %bb.2822:
	s_mov_b64 s[4:5], -1
	s_mov_b64 s[12:13], 0
	s_cmp_eq_u32 s17, 46
	s_cbranch_scc0 .LBB182_2824
; %bb.2823:
	v_cndmask_b32_e64 v3, 0, 1.0, s[2:3]
	v_bfe_u32 v4, v3, 16, 1
	s_movk_i32 s4, 0x7fff
	v_add3_u32 v3, v3, v4, s4
	v_lshrrev_b32_e32 v3, 16, v3
	global_store_dword v[0:1], v3, off
	s_mov_b64 s[4:5], 0
	s_mov_b64 s[10:11], -1
.LBB182_2824:
	s_and_b64 vcc, exec, s[12:13]
	s_cbranch_vccz .LBB182_2829
; %bb.2825:
	s_cmp_eq_u32 s17, 44
	s_mov_b64 s[4:5], -1
	s_cbranch_scc0 .LBB182_2829
; %bb.2826:
	v_cndmask_b32_e64 v4, 0, 1.0, s[2:3]
	v_lshrrev_b32_e32 v3, 23, v4
	s_movk_i32 s4, 0xff
	v_cmp_ne_u32_e32 vcc, s4, v3
	v_mov_b32_e32 v5, 0xff
	s_and_saveexec_b64 s[10:11], vcc
; %bb.2827:
	s_mov_b32 s4, 0x3fffff
	v_and_b32_e32 v5, 0x400000, v4
	v_and_or_b32 v4, v4, s4, v3
	v_cmp_ne_u32_e32 vcc, 0, v5
	v_cmp_ne_u32_e64 s[4:5], 0, v4
	s_and_b64 s[4:5], vcc, s[4:5]
	v_cndmask_b32_e64 v4, 0, 1, s[4:5]
	v_add_u32_e32 v5, v3, v4
; %bb.2828:
	s_or_b64 exec, exec, s[10:11]
	s_mov_b64 s[4:5], 0
	s_mov_b64 s[10:11], -1
	global_store_byte v[0:1], v5, off
.LBB182_2829:
	s_mov_b64 s[12:13], 0
.LBB182_2830:
	s_and_b64 vcc, exec, s[12:13]
	s_cbranch_vccz .LBB182_2833
; %bb.2831:
	s_cmp_eq_u32 s17, 29
	s_mov_b64 s[4:5], -1
	s_cbranch_scc0 .LBB182_2833
; %bb.2832:
	s_mov_b32 s4, 0
	v_cndmask_b32_e64 v3, 0, 1, s[2:3]
	v_mov_b32_e32 v4, s4
	global_store_dwordx2 v[0:1], v[3:4], off
	s_mov_b64 s[4:5], 0
	s_mov_b64 s[10:11], -1
.LBB182_2833:
	s_mov_b64 s[12:13], 0
.LBB182_2834:
	s_and_b64 vcc, exec, s[12:13]
	s_cbranch_vccz .LBB182_2850
; %bb.2835:
	s_cmp_lt_i32 s17, 27
	s_mov_b64 s[10:11], -1
	s_cbranch_scc1 .LBB182_2841
; %bb.2836:
	s_cmp_gt_i32 s17, 27
	s_cbranch_scc0 .LBB182_2838
; %bb.2837:
	v_cndmask_b32_e64 v3, 0, 1, s[2:3]
	s_mov_b64 s[10:11], 0
	global_store_dword v[0:1], v3, off
.LBB182_2838:
	s_andn2_b64 vcc, exec, s[10:11]
	s_cbranch_vccnz .LBB182_2840
; %bb.2839:
	v_cndmask_b32_e64 v3, 0, 1, s[2:3]
	global_store_short v[0:1], v3, off
.LBB182_2840:
	s_mov_b64 s[10:11], 0
.LBB182_2841:
	s_andn2_b64 vcc, exec, s[10:11]
	s_cbranch_vccnz .LBB182_2849
; %bb.2842:
	v_cndmask_b32_e64 v4, 0, 1.0, s[2:3]
	s_mov_b32 s10, 0x43800000
	v_cmp_gt_u32_e32 vcc, s10, v4
	v_mov_b32_e32 v5, 0x80
	s_and_saveexec_b64 s[10:11], vcc
	s_cbranch_execz .LBB182_2848
; %bb.2843:
	s_mov_b32 s12, 0x3bffffff
	v_cmp_lt_u32_e32 vcc, s12, v4
	s_mov_b64 s[12:13], 0
                                        ; implicit-def: $vgpr3
	s_and_saveexec_b64 s[14:15], vcc
	s_xor_b64 s[14:15], exec, s[14:15]
	s_cbranch_execz .LBB182_3069
; %bb.2844:
	v_bfe_u32 v3, v4, 20, 1
	s_mov_b32 s25, 0x487ffff
	v_add3_u32 v3, v4, v3, s25
	s_mov_b64 s[12:13], exec
	v_lshrrev_b32_e32 v3, 20, v3
                                        ; implicit-def: $vgpr4
	s_andn2_saveexec_b64 s[14:15], s[14:15]
	s_cbranch_execnz .LBB182_3070
.LBB182_2845:
	s_or_b64 exec, exec, s[14:15]
	v_mov_b32_e32 v5, 0
	s_and_saveexec_b64 s[14:15], s[12:13]
.LBB182_2846:
	v_mov_b32_e32 v5, v3
.LBB182_2847:
	s_or_b64 exec, exec, s[14:15]
.LBB182_2848:
	s_or_b64 exec, exec, s[10:11]
	global_store_byte v[0:1], v5, off
.LBB182_2849:
	s_mov_b64 s[10:11], -1
.LBB182_2850:
	s_mov_b64 s[12:13], 0
.LBB182_2851:
	s_and_b64 vcc, exec, s[12:13]
	s_cbranch_vccz .LBB182_2891
; %bb.2852:
	s_cmp_gt_i32 s17, 22
	s_mov_b64 s[6:7], -1
	s_cbranch_scc0 .LBB182_2884
; %bb.2853:
	s_cmp_lt_i32 s17, 24
	s_cbranch_scc1 .LBB182_2873
; %bb.2854:
	s_cmp_gt_i32 s17, 24
	s_cbranch_scc0 .LBB182_2862
; %bb.2855:
	v_cndmask_b32_e64 v4, 0, 1.0, s[2:3]
	s_mov_b32 s6, 0x47800000
	v_cmp_gt_u32_e32 vcc, s6, v4
	v_mov_b32_e32 v5, 0x80
	s_and_saveexec_b64 s[6:7], vcc
	s_cbranch_execz .LBB182_2861
; %bb.2856:
	s_mov_b32 s10, 0x37ffffff
	v_cmp_lt_u32_e32 vcc, s10, v4
	s_mov_b64 s[10:11], 0
                                        ; implicit-def: $vgpr3
	s_and_saveexec_b64 s[12:13], vcc
	s_xor_b64 s[12:13], exec, s[12:13]
	s_cbranch_execz .LBB182_3072
; %bb.2857:
	v_bfe_u32 v3, v4, 21, 1
	s_mov_b32 s14, 0x88fffff
	v_add3_u32 v3, v4, v3, s14
	s_mov_b64 s[10:11], exec
	v_lshrrev_b32_e32 v3, 21, v3
                                        ; implicit-def: $vgpr4
	s_andn2_saveexec_b64 s[12:13], s[12:13]
	s_cbranch_execnz .LBB182_3073
.LBB182_2858:
	s_or_b64 exec, exec, s[12:13]
	v_mov_b32_e32 v5, 0
	s_and_saveexec_b64 s[12:13], s[10:11]
.LBB182_2859:
	v_mov_b32_e32 v5, v3
.LBB182_2860:
	s_or_b64 exec, exec, s[12:13]
.LBB182_2861:
	s_or_b64 exec, exec, s[6:7]
	s_mov_b64 s[6:7], 0
	global_store_byte v[0:1], v5, off
.LBB182_2862:
	s_and_b64 vcc, exec, s[6:7]
	s_cbranch_vccz .LBB182_2872
; %bb.2863:
	v_cndmask_b32_e64 v3, 0, 1.0, s[2:3]
	s_mov_b32 s6, 0x43f00000
	v_cmp_gt_u32_e32 vcc, s6, v3
                                        ; implicit-def: $vgpr4
	s_and_saveexec_b64 s[6:7], vcc
	s_xor_b64 s[6:7], exec, s[6:7]
	s_cbranch_execz .LBB182_2869
; %bb.2864:
	s_mov_b32 s10, 0x3c7fffff
	v_cmp_lt_u32_e32 vcc, s10, v3
                                        ; implicit-def: $vgpr4
	s_and_saveexec_b64 s[10:11], vcc
	s_xor_b64 s[10:11], exec, s[10:11]
; %bb.2865:
	v_bfe_u32 v4, v3, 20, 1
	s_mov_b32 s12, 0x407ffff
	v_add3_u32 v3, v3, v4, s12
	v_lshrrev_b32_e32 v4, 20, v3
	v_and_b32_e32 v3, 0xff00000, v3
	s_mov_b32 s12, 0x7f00000
	v_mov_b32_e32 v5, 0x7e
	v_cmp_ne_u32_e32 vcc, s12, v3
	v_cndmask_b32_e32 v4, v5, v4, vcc
                                        ; implicit-def: $vgpr3
; %bb.2866:
	s_andn2_saveexec_b64 s[10:11], s[10:11]
; %bb.2867:
	v_add_f32_e32 v4, 0x46800000, v3
; %bb.2868:
	s_or_b64 exec, exec, s[10:11]
                                        ; implicit-def: $vgpr3
.LBB182_2869:
	s_andn2_saveexec_b64 s[6:7], s[6:7]
; %bb.2870:
	s_mov_b32 s10, 0x7f800000
	v_mov_b32_e32 v4, 0x7e
	v_mov_b32_e32 v5, 0x7f
	v_cmp_lt_u32_e32 vcc, s10, v3
	v_cndmask_b32_e32 v4, v4, v5, vcc
; %bb.2871:
	s_or_b64 exec, exec, s[6:7]
	global_store_byte v[0:1], v4, off
.LBB182_2872:
	s_mov_b64 s[6:7], 0
.LBB182_2873:
	s_andn2_b64 vcc, exec, s[6:7]
	s_cbranch_vccnz .LBB182_2883
; %bb.2874:
	v_cndmask_b32_e64 v3, 0, 1.0, s[2:3]
	s_mov_b32 s6, 0x47800000
	v_cmp_gt_u32_e32 vcc, s6, v3
                                        ; implicit-def: $vgpr4
	s_and_saveexec_b64 s[6:7], vcc
	s_xor_b64 s[6:7], exec, s[6:7]
	s_cbranch_execz .LBB182_2880
; %bb.2875:
	s_mov_b32 s10, 0x387fffff
	v_cmp_lt_u32_e32 vcc, s10, v3
                                        ; implicit-def: $vgpr4
	s_and_saveexec_b64 s[10:11], vcc
	s_xor_b64 s[10:11], exec, s[10:11]
; %bb.2876:
	v_bfe_u32 v4, v3, 21, 1
	s_mov_b32 s12, 0x80fffff
	v_add3_u32 v3, v3, v4, s12
	v_lshrrev_b32_e32 v4, 21, v3
                                        ; implicit-def: $vgpr3
; %bb.2877:
	s_andn2_saveexec_b64 s[10:11], s[10:11]
; %bb.2878:
	v_add_f32_e32 v4, 0x43000000, v3
; %bb.2879:
	s_or_b64 exec, exec, s[10:11]
                                        ; implicit-def: $vgpr3
.LBB182_2880:
	s_andn2_saveexec_b64 s[6:7], s[6:7]
; %bb.2881:
	s_mov_b32 s10, 0x7f800000
	v_mov_b32_e32 v4, 0x7c
	v_mov_b32_e32 v5, 0x7f
	v_cmp_lt_u32_e32 vcc, s10, v3
	v_cndmask_b32_e32 v4, v4, v5, vcc
; %bb.2882:
	s_or_b64 exec, exec, s[6:7]
	global_store_byte v[0:1], v4, off
.LBB182_2883:
	s_mov_b64 s[6:7], 0
	s_mov_b64 s[10:11], -1
.LBB182_2884:
	s_andn2_b64 vcc, exec, s[6:7]
	s_mov_b64 s[6:7], 0
	s_cbranch_vccnz .LBB182_2891
; %bb.2885:
	s_cmp_gt_i32 s17, 14
	s_mov_b64 s[12:13], -1
	s_cbranch_scc0 .LBB182_2889
; %bb.2886:
	s_cmp_eq_u32 s17, 15
	s_mov_b64 s[4:5], -1
	s_cbranch_scc0 .LBB182_2888
; %bb.2887:
	v_cndmask_b32_e64 v3, 0, 1.0, s[2:3]
	v_bfe_u32 v4, v3, 16, 1
	s_movk_i32 s4, 0x7fff
	v_add3_u32 v3, v3, v4, s4
	global_store_short_d16_hi v[0:1], v3, off
	s_mov_b64 s[4:5], 0
	s_mov_b64 s[10:11], -1
.LBB182_2888:
	s_mov_b64 s[12:13], 0
.LBB182_2889:
	s_and_b64 vcc, exec, s[12:13]
	s_cbranch_vccz .LBB182_2891
; %bb.2890:
	s_cmp_lg_u32 s17, 11
	s_mov_b64 s[6:7], -1
	s_cselect_b64 s[4:5], -1, 0
.LBB182_2891:
	s_and_b64 vcc, exec, s[4:5]
	s_cbranch_vccnz .LBB182_3071
; %bb.2892:
	s_andn2_b64 vcc, exec, s[6:7]
	s_cbranch_vccnz .LBB182_2894
.LBB182_2893:
	v_cndmask_b32_e64 v3, 0, 1, s[2:3]
	s_mov_b64 s[10:11], -1
	global_store_byte v[0:1], v3, off
.LBB182_2894:
	s_mov_b64 s[4:5], 0
	s_branch .LBB182_2896
.LBB182_2895:
	s_mov_b64 s[4:5], -1
	s_mov_b64 s[10:11], 0
.LBB182_2896:
	s_and_b64 vcc, exec, s[4:5]
	s_cbranch_vccz .LBB182_2935
; %bb.2897:
	s_and_b32 s6, 0xffff, s24
	s_cmp_lt_i32 s6, 5
	s_mov_b64 s[4:5], -1
	s_cbranch_scc1 .LBB182_2918
; %bb.2898:
	s_cmp_lt_i32 s6, 8
	s_cbranch_scc1 .LBB182_2908
; %bb.2899:
	s_cmp_lt_i32 s6, 9
	s_cbranch_scc1 .LBB182_2905
; %bb.2900:
	s_cmp_gt_i32 s6, 9
	s_cbranch_scc0 .LBB182_2902
; %bb.2901:
	v_cndmask_b32_e64 v3, 0, 1, s[2:3]
	v_cvt_f64_u32_e32 v[3:4], v3
	v_mov_b32_e32 v5, 0
	v_mov_b32_e32 v6, v5
	s_mov_b64 s[4:5], 0
	global_store_dwordx4 v[0:1], v[3:6], off
.LBB182_2902:
	s_andn2_b64 vcc, exec, s[4:5]
	s_cbranch_vccnz .LBB182_2904
; %bb.2903:
	v_cndmask_b32_e64 v3, 0, 1.0, s[2:3]
	v_mov_b32_e32 v4, 0
	global_store_dwordx2 v[0:1], v[3:4], off
.LBB182_2904:
	s_mov_b64 s[4:5], 0
.LBB182_2905:
	s_andn2_b64 vcc, exec, s[4:5]
	s_cbranch_vccnz .LBB182_2907
; %bb.2906:
	v_cndmask_b32_e64 v3, 0, 1.0, s[2:3]
	v_cvt_f16_f32_e32 v3, v3
	global_store_dword v[0:1], v3, off
.LBB182_2907:
	s_mov_b64 s[4:5], 0
.LBB182_2908:
	s_andn2_b64 vcc, exec, s[4:5]
	s_cbranch_vccnz .LBB182_2917
; %bb.2909:
	s_cmp_lt_i32 s6, 6
	s_mov_b64 s[4:5], -1
	s_cbranch_scc1 .LBB182_2915
; %bb.2910:
	s_cmp_gt_i32 s6, 6
	s_cbranch_scc0 .LBB182_2912
; %bb.2911:
	v_cndmask_b32_e64 v3, 0, 1, s[2:3]
	v_cvt_f64_u32_e32 v[3:4], v3
	s_mov_b64 s[4:5], 0
	global_store_dwordx2 v[0:1], v[3:4], off
.LBB182_2912:
	s_andn2_b64 vcc, exec, s[4:5]
	s_cbranch_vccnz .LBB182_2914
; %bb.2913:
	v_cndmask_b32_e64 v3, 0, 1.0, s[2:3]
	global_store_dword v[0:1], v3, off
.LBB182_2914:
	s_mov_b64 s[4:5], 0
.LBB182_2915:
	s_andn2_b64 vcc, exec, s[4:5]
	s_cbranch_vccnz .LBB182_2917
; %bb.2916:
	v_cndmask_b32_e64 v3, 0, 1.0, s[2:3]
	v_cvt_f16_f32_e32 v3, v3
	global_store_short v[0:1], v3, off
.LBB182_2917:
	s_mov_b64 s[4:5], 0
.LBB182_2918:
	s_andn2_b64 vcc, exec, s[4:5]
	s_cbranch_vccnz .LBB182_2934
; %bb.2919:
	s_cmp_lt_i32 s6, 2
	s_mov_b64 s[4:5], -1
	s_cbranch_scc1 .LBB182_2929
; %bb.2920:
	s_cmp_lt_i32 s6, 3
	s_cbranch_scc1 .LBB182_2926
; %bb.2921:
	s_cmp_gt_i32 s6, 3
	s_cbranch_scc0 .LBB182_2923
; %bb.2922:
	s_mov_b32 s4, 0
	v_cndmask_b32_e64 v3, 0, 1, s[2:3]
	v_mov_b32_e32 v4, s4
	global_store_dwordx2 v[0:1], v[3:4], off
	s_mov_b64 s[4:5], 0
.LBB182_2923:
	s_andn2_b64 vcc, exec, s[4:5]
	s_cbranch_vccnz .LBB182_2925
; %bb.2924:
	v_cndmask_b32_e64 v3, 0, 1, s[2:3]
	global_store_dword v[0:1], v3, off
.LBB182_2925:
	s_mov_b64 s[4:5], 0
.LBB182_2926:
	s_andn2_b64 vcc, exec, s[4:5]
	s_cbranch_vccnz .LBB182_2928
; %bb.2927:
	v_cndmask_b32_e64 v3, 0, 1, s[2:3]
	global_store_short v[0:1], v3, off
.LBB182_2928:
	s_mov_b64 s[4:5], 0
.LBB182_2929:
	s_andn2_b64 vcc, exec, s[4:5]
	s_cbranch_vccnz .LBB182_2934
; %bb.2930:
	s_mov_b64 s[4:5], -1
	s_cmp_gt_i32 s6, 0
	v_cndmask_b32_e64 v3, 0, 1, s[2:3]
	s_cbranch_scc0 .LBB182_2932
; %bb.2931:
	global_store_byte v[0:1], v3, off
	s_mov_b64 s[4:5], 0
.LBB182_2932:
	s_andn2_b64 vcc, exec, s[4:5]
	s_cbranch_vccnz .LBB182_2934
; %bb.2933:
	global_store_byte v[0:1], v3, off
.LBB182_2934:
	s_mov_b64 s[10:11], -1
.LBB182_2935:
	s_andn2_b64 vcc, exec, s[10:11]
	s_cbranch_vccnz .LBB182_3012
; %bb.2936:
	v_cmp_eq_f16_e32 vcc, v9, v10
	v_cndmask_b32_e64 v0, 0, 1, vcc
	v_cmp_neq_f16_e32 vcc, v9, v10
	v_cndmask_b32_e64 v1, 0, 1, vcc
	v_cndmask_b32_e64 v0, v1, v0, s[0:1]
	v_and_b32_e32 v0, 1, v0
	v_cmp_eq_u32_e64 s[2:3], 1, v0
	v_add_u32_e32 v0, s16, v2
	v_ashrrev_i32_e32 v1, 31, v0
	v_mov_b32_e32 v2, s9
	v_add_co_u32_e32 v0, vcc, s8, v0
	s_cmp_lt_i32 s24, 11
	v_addc_co_u32_e32 v1, vcc, v2, v1, vcc
	s_cbranch_scc1 .LBB182_3057
; %bb.2937:
	s_and_b32 s12, 0xffff, s24
	s_mov_b64 s[6:7], -1
	s_mov_b64 s[4:5], 0
	s_cmp_gt_i32 s12, 25
	s_mov_b64 s[0:1], 0
	s_cbranch_scc0 .LBB182_2970
; %bb.2938:
	s_cmp_gt_i32 s12, 28
	s_cbranch_scc0 .LBB182_2954
; %bb.2939:
	s_cmp_gt_i32 s12, 43
	;; [unrolled: 3-line block ×3, first 2 shown]
	s_cbranch_scc0 .LBB182_2944
; %bb.2941:
	s_cmp_eq_u32 s12, 46
	s_mov_b64 s[0:1], -1
	s_cbranch_scc0 .LBB182_2943
; %bb.2942:
	v_cndmask_b32_e64 v2, 0, 1.0, s[2:3]
	v_bfe_u32 v3, v2, 16, 1
	s_movk_i32 s0, 0x7fff
	v_add3_u32 v2, v2, v3, s0
	v_lshrrev_b32_e32 v2, 16, v2
	global_store_dword v[0:1], v2, off
	s_mov_b64 s[0:1], 0
.LBB182_2943:
	s_mov_b64 s[6:7], 0
.LBB182_2944:
	s_and_b64 vcc, exec, s[6:7]
	s_cbranch_vccz .LBB182_2949
; %bb.2945:
	s_cmp_eq_u32 s12, 44
	s_mov_b64 s[0:1], -1
	s_cbranch_scc0 .LBB182_2949
; %bb.2946:
	v_cndmask_b32_e64 v3, 0, 1.0, s[2:3]
	v_lshrrev_b32_e32 v2, 23, v3
	s_movk_i32 s0, 0xff
	v_cmp_ne_u32_e32 vcc, s0, v2
	v_mov_b32_e32 v4, 0xff
	s_and_saveexec_b64 s[6:7], vcc
; %bb.2947:
	s_mov_b32 s0, 0x3fffff
	v_and_b32_e32 v4, 0x400000, v3
	v_and_or_b32 v3, v3, s0, v2
	v_cmp_ne_u32_e32 vcc, 0, v4
	v_cmp_ne_u32_e64 s[0:1], 0, v3
	s_and_b64 s[0:1], vcc, s[0:1]
	v_cndmask_b32_e64 v3, 0, 1, s[0:1]
	v_add_u32_e32 v4, v2, v3
; %bb.2948:
	s_or_b64 exec, exec, s[6:7]
	s_mov_b64 s[0:1], 0
	global_store_byte v[0:1], v4, off
.LBB182_2949:
	s_mov_b64 s[6:7], 0
.LBB182_2950:
	s_and_b64 vcc, exec, s[6:7]
	s_cbranch_vccz .LBB182_2953
; %bb.2951:
	s_cmp_eq_u32 s12, 29
	s_mov_b64 s[0:1], -1
	s_cbranch_scc0 .LBB182_2953
; %bb.2952:
	s_mov_b32 s0, 0
	v_cndmask_b32_e64 v2, 0, 1, s[2:3]
	v_mov_b32_e32 v3, s0
	global_store_dwordx2 v[0:1], v[2:3], off
	s_mov_b64 s[0:1], 0
.LBB182_2953:
	s_mov_b64 s[6:7], 0
.LBB182_2954:
	s_and_b64 vcc, exec, s[6:7]
	s_cbranch_vccz .LBB182_2969
; %bb.2955:
	s_cmp_lt_i32 s12, 27
	s_mov_b64 s[6:7], -1
	s_cbranch_scc1 .LBB182_2961
; %bb.2956:
	s_cmp_gt_i32 s12, 27
	v_cndmask_b32_e64 v2, 0, 1, s[2:3]
	s_cbranch_scc0 .LBB182_2958
; %bb.2957:
	global_store_dword v[0:1], v2, off
	s_mov_b64 s[6:7], 0
.LBB182_2958:
	s_andn2_b64 vcc, exec, s[6:7]
	s_cbranch_vccnz .LBB182_2960
; %bb.2959:
	global_store_short v[0:1], v2, off
.LBB182_2960:
	s_mov_b64 s[6:7], 0
.LBB182_2961:
	s_andn2_b64 vcc, exec, s[6:7]
	s_cbranch_vccnz .LBB182_2969
; %bb.2962:
	v_cndmask_b32_e64 v3, 0, 1.0, s[2:3]
	s_mov_b32 s6, 0x43800000
	v_cmp_gt_u32_e32 vcc, s6, v3
	v_mov_b32_e32 v4, 0x80
	s_and_saveexec_b64 s[6:7], vcc
	s_cbranch_execz .LBB182_2968
; %bb.2963:
	s_mov_b32 s8, 0x3bffffff
	v_cmp_lt_u32_e32 vcc, s8, v3
	s_mov_b64 s[8:9], 0
                                        ; implicit-def: $vgpr2
	s_and_saveexec_b64 s[10:11], vcc
	s_xor_b64 s[10:11], exec, s[10:11]
	s_cbranch_execz .LBB182_3074
; %bb.2964:
	v_bfe_u32 v2, v3, 20, 1
	s_mov_b32 s13, 0x487ffff
	v_add3_u32 v2, v3, v2, s13
	s_mov_b64 s[8:9], exec
	v_lshrrev_b32_e32 v2, 20, v2
                                        ; implicit-def: $vgpr3
	s_andn2_saveexec_b64 s[10:11], s[10:11]
	s_cbranch_execnz .LBB182_3075
.LBB182_2965:
	s_or_b64 exec, exec, s[10:11]
	v_mov_b32_e32 v4, 0
	s_and_saveexec_b64 s[10:11], s[8:9]
.LBB182_2966:
	v_mov_b32_e32 v4, v2
.LBB182_2967:
	s_or_b64 exec, exec, s[10:11]
.LBB182_2968:
	s_or_b64 exec, exec, s[6:7]
	global_store_byte v[0:1], v4, off
.LBB182_2969:
	s_mov_b64 s[6:7], 0
.LBB182_2970:
	s_and_b64 vcc, exec, s[6:7]
	s_cbranch_vccz .LBB182_3010
; %bb.2971:
	s_cmp_gt_i32 s12, 22
	s_mov_b64 s[4:5], -1
	s_cbranch_scc0 .LBB182_3003
; %bb.2972:
	s_cmp_lt_i32 s12, 24
	s_cbranch_scc1 .LBB182_2992
; %bb.2973:
	s_cmp_gt_i32 s12, 24
	s_cbranch_scc0 .LBB182_2981
; %bb.2974:
	v_cndmask_b32_e64 v3, 0, 1.0, s[2:3]
	s_mov_b32 s4, 0x47800000
	v_cmp_gt_u32_e32 vcc, s4, v3
	v_mov_b32_e32 v4, 0x80
	s_and_saveexec_b64 s[4:5], vcc
	s_cbranch_execz .LBB182_2980
; %bb.2975:
	s_mov_b32 s6, 0x37ffffff
	v_cmp_lt_u32_e32 vcc, s6, v3
	s_mov_b64 s[6:7], 0
                                        ; implicit-def: $vgpr2
	s_and_saveexec_b64 s[8:9], vcc
	s_xor_b64 s[8:9], exec, s[8:9]
	s_cbranch_execz .LBB182_3077
; %bb.2976:
	v_bfe_u32 v2, v3, 21, 1
	s_mov_b32 s10, 0x88fffff
	v_add3_u32 v2, v3, v2, s10
	s_mov_b64 s[6:7], exec
	v_lshrrev_b32_e32 v2, 21, v2
                                        ; implicit-def: $vgpr3
	s_andn2_saveexec_b64 s[8:9], s[8:9]
	s_cbranch_execnz .LBB182_3078
.LBB182_2977:
	s_or_b64 exec, exec, s[8:9]
	v_mov_b32_e32 v4, 0
	s_and_saveexec_b64 s[8:9], s[6:7]
.LBB182_2978:
	v_mov_b32_e32 v4, v2
.LBB182_2979:
	s_or_b64 exec, exec, s[8:9]
.LBB182_2980:
	s_or_b64 exec, exec, s[4:5]
	s_mov_b64 s[4:5], 0
	global_store_byte v[0:1], v4, off
.LBB182_2981:
	s_and_b64 vcc, exec, s[4:5]
	s_cbranch_vccz .LBB182_2991
; %bb.2982:
	v_cndmask_b32_e64 v2, 0, 1.0, s[2:3]
	s_mov_b32 s4, 0x43f00000
	v_cmp_gt_u32_e32 vcc, s4, v2
                                        ; implicit-def: $vgpr3
	s_and_saveexec_b64 s[4:5], vcc
	s_xor_b64 s[4:5], exec, s[4:5]
	s_cbranch_execz .LBB182_2988
; %bb.2983:
	s_mov_b32 s6, 0x3c7fffff
	v_cmp_lt_u32_e32 vcc, s6, v2
                                        ; implicit-def: $vgpr3
	s_and_saveexec_b64 s[6:7], vcc
	s_xor_b64 s[6:7], exec, s[6:7]
; %bb.2984:
	v_bfe_u32 v3, v2, 20, 1
	s_mov_b32 s8, 0x407ffff
	v_add3_u32 v2, v2, v3, s8
	v_lshrrev_b32_e32 v3, 20, v2
	v_and_b32_e32 v2, 0xff00000, v2
	s_mov_b32 s8, 0x7f00000
	v_mov_b32_e32 v4, 0x7e
	v_cmp_ne_u32_e32 vcc, s8, v2
	v_cndmask_b32_e32 v3, v4, v3, vcc
                                        ; implicit-def: $vgpr2
; %bb.2985:
	s_andn2_saveexec_b64 s[6:7], s[6:7]
; %bb.2986:
	v_add_f32_e32 v3, 0x46800000, v2
; %bb.2987:
	s_or_b64 exec, exec, s[6:7]
                                        ; implicit-def: $vgpr2
.LBB182_2988:
	s_andn2_saveexec_b64 s[4:5], s[4:5]
; %bb.2989:
	s_mov_b32 s6, 0x7f800000
	v_mov_b32_e32 v3, 0x7e
	v_mov_b32_e32 v4, 0x7f
	v_cmp_lt_u32_e32 vcc, s6, v2
	v_cndmask_b32_e32 v3, v3, v4, vcc
; %bb.2990:
	s_or_b64 exec, exec, s[4:5]
	global_store_byte v[0:1], v3, off
.LBB182_2991:
	s_mov_b64 s[4:5], 0
.LBB182_2992:
	s_andn2_b64 vcc, exec, s[4:5]
	s_cbranch_vccnz .LBB182_3002
; %bb.2993:
	v_cndmask_b32_e64 v2, 0, 1.0, s[2:3]
	s_mov_b32 s4, 0x47800000
	v_cmp_gt_u32_e32 vcc, s4, v2
                                        ; implicit-def: $vgpr3
	s_and_saveexec_b64 s[4:5], vcc
	s_xor_b64 s[4:5], exec, s[4:5]
	s_cbranch_execz .LBB182_2999
; %bb.2994:
	s_mov_b32 s6, 0x387fffff
	v_cmp_lt_u32_e32 vcc, s6, v2
                                        ; implicit-def: $vgpr3
	s_and_saveexec_b64 s[6:7], vcc
	s_xor_b64 s[6:7], exec, s[6:7]
; %bb.2995:
	v_bfe_u32 v3, v2, 21, 1
	s_mov_b32 s8, 0x80fffff
	v_add3_u32 v2, v2, v3, s8
	v_lshrrev_b32_e32 v3, 21, v2
                                        ; implicit-def: $vgpr2
; %bb.2996:
	s_andn2_saveexec_b64 s[6:7], s[6:7]
; %bb.2997:
	v_add_f32_e32 v3, 0x43000000, v2
; %bb.2998:
	s_or_b64 exec, exec, s[6:7]
                                        ; implicit-def: $vgpr2
.LBB182_2999:
	s_andn2_saveexec_b64 s[4:5], s[4:5]
; %bb.3000:
	s_mov_b32 s6, 0x7f800000
	v_mov_b32_e32 v3, 0x7c
	v_mov_b32_e32 v4, 0x7f
	v_cmp_lt_u32_e32 vcc, s6, v2
	v_cndmask_b32_e32 v3, v3, v4, vcc
; %bb.3001:
	s_or_b64 exec, exec, s[4:5]
	global_store_byte v[0:1], v3, off
.LBB182_3002:
	s_mov_b64 s[4:5], 0
.LBB182_3003:
	s_andn2_b64 vcc, exec, s[4:5]
	s_mov_b64 s[4:5], 0
	s_cbranch_vccnz .LBB182_3010
; %bb.3004:
	s_cmp_gt_i32 s12, 14
	s_mov_b64 s[6:7], -1
	s_cbranch_scc0 .LBB182_3008
; %bb.3005:
	s_cmp_eq_u32 s12, 15
	s_mov_b64 s[0:1], -1
	s_cbranch_scc0 .LBB182_3007
; %bb.3006:
	v_cndmask_b32_e64 v2, 0, 1.0, s[2:3]
	v_bfe_u32 v3, v2, 16, 1
	s_movk_i32 s0, 0x7fff
	v_add3_u32 v2, v2, v3, s0
	global_store_short_d16_hi v[0:1], v2, off
	s_mov_b64 s[0:1], 0
.LBB182_3007:
	s_mov_b64 s[6:7], 0
.LBB182_3008:
	s_and_b64 vcc, exec, s[6:7]
	s_cbranch_vccz .LBB182_3010
; %bb.3009:
	s_cmp_lg_u32 s12, 11
	s_mov_b64 s[4:5], -1
	s_cselect_b64 s[0:1], -1, 0
.LBB182_3010:
	s_and_b64 vcc, exec, s[0:1]
	s_cbranch_vccnz .LBB182_3076
.LBB182_3011:
	s_mov_b64 s[0:1], 0
	s_branch .LBB182_3013
.LBB182_3012:
	s_mov_b64 s[0:1], 0
	s_mov_b64 s[4:5], 0
                                        ; implicit-def: $sgpr2_sgpr3
                                        ; implicit-def: $sgpr24
                                        ; implicit-def: $vgpr0_vgpr1
.LBB182_3013:
	s_and_b64 s[6:7], s[4:5], exec
	s_andn2_b64 s[4:5], s[20:21], exec
	s_and_b64 s[8:9], s[22:23], exec
	s_and_b64 s[0:1], s[0:1], exec
	s_or_b64 s[20:21], s[4:5], s[8:9]
.LBB182_3014:
	s_or_b64 exec, exec, s[18:19]
	s_and_saveexec_b64 s[4:5], s[20:21]
	s_cbranch_execz .LBB182_3017
; %bb.3015:
	; divergent unreachable
	s_or_b64 exec, exec, s[4:5]
	s_and_saveexec_b64 s[4:5], s[6:7]
	s_xor_b64 s[4:5], exec, s[4:5]
	s_cbranch_execnz .LBB182_3018
.LBB182_3016:
	s_or_b64 exec, exec, s[4:5]
	s_and_saveexec_b64 s[4:5], s[0:1]
	s_cbranch_execnz .LBB182_3019
	s_branch .LBB182_3056
.LBB182_3017:
	s_or_b64 exec, exec, s[4:5]
	s_and_saveexec_b64 s[4:5], s[6:7]
	s_xor_b64 s[4:5], exec, s[4:5]
	s_cbranch_execz .LBB182_3016
.LBB182_3018:
	v_cndmask_b32_e64 v2, 0, 1, s[2:3]
	global_store_byte v[0:1], v2, off
	s_or_b64 exec, exec, s[4:5]
	s_and_saveexec_b64 s[4:5], s[0:1]
	s_cbranch_execz .LBB182_3056
.LBB182_3019:
	s_sext_i32_i16 s4, s24
	s_cmp_lt_i32 s4, 5
	s_mov_b64 s[0:1], -1
	s_cbranch_scc1 .LBB182_3040
; %bb.3020:
	s_cmp_lt_i32 s4, 8
	s_cbranch_scc1 .LBB182_3030
; %bb.3021:
	s_cmp_lt_i32 s4, 9
	s_cbranch_scc1 .LBB182_3027
; %bb.3022:
	s_cmp_gt_i32 s4, 9
	s_cbranch_scc0 .LBB182_3024
; %bb.3023:
	v_cndmask_b32_e64 v2, 0, 1, s[2:3]
	s_waitcnt vmcnt(0)
	v_cvt_f64_u32_e32 v[2:3], v2
	v_mov_b32_e32 v4, 0
	v_mov_b32_e32 v5, v4
	s_mov_b64 s[0:1], 0
	global_store_dwordx4 v[0:1], v[2:5], off
.LBB182_3024:
	s_andn2_b64 vcc, exec, s[0:1]
	s_cbranch_vccnz .LBB182_3026
; %bb.3025:
	v_cndmask_b32_e64 v2, 0, 1.0, s[2:3]
	s_waitcnt vmcnt(0)
	v_mov_b32_e32 v3, 0
	global_store_dwordx2 v[0:1], v[2:3], off
.LBB182_3026:
	s_mov_b64 s[0:1], 0
.LBB182_3027:
	s_andn2_b64 vcc, exec, s[0:1]
	s_cbranch_vccnz .LBB182_3029
; %bb.3028:
	v_cndmask_b32_e64 v2, 0, 1.0, s[2:3]
	v_cvt_f16_f32_e32 v2, v2
	global_store_dword v[0:1], v2, off
.LBB182_3029:
	s_mov_b64 s[0:1], 0
.LBB182_3030:
	s_andn2_b64 vcc, exec, s[0:1]
	s_cbranch_vccnz .LBB182_3039
; %bb.3031:
	s_sext_i32_i16 s4, s24
	s_cmp_lt_i32 s4, 6
	s_mov_b64 s[0:1], -1
	s_cbranch_scc1 .LBB182_3037
; %bb.3032:
	s_cmp_gt_i32 s4, 6
	s_cbranch_scc0 .LBB182_3034
; %bb.3033:
	v_cndmask_b32_e64 v2, 0, 1, s[2:3]
	s_waitcnt vmcnt(0)
	v_cvt_f64_u32_e32 v[2:3], v2
	s_mov_b64 s[0:1], 0
	global_store_dwordx2 v[0:1], v[2:3], off
.LBB182_3034:
	s_andn2_b64 vcc, exec, s[0:1]
	s_cbranch_vccnz .LBB182_3036
; %bb.3035:
	v_cndmask_b32_e64 v2, 0, 1.0, s[2:3]
	global_store_dword v[0:1], v2, off
.LBB182_3036:
	s_mov_b64 s[0:1], 0
.LBB182_3037:
	s_andn2_b64 vcc, exec, s[0:1]
	s_cbranch_vccnz .LBB182_3039
; %bb.3038:
	v_cndmask_b32_e64 v2, 0, 1.0, s[2:3]
	v_cvt_f16_f32_e32 v2, v2
	global_store_short v[0:1], v2, off
.LBB182_3039:
	s_mov_b64 s[0:1], 0
.LBB182_3040:
	s_andn2_b64 vcc, exec, s[0:1]
	s_cbranch_vccnz .LBB182_3056
; %bb.3041:
	s_sext_i32_i16 s4, s24
	s_cmp_lt_i32 s4, 2
	s_mov_b64 s[0:1], -1
	s_cbranch_scc1 .LBB182_3051
; %bb.3042:
	s_cmp_lt_i32 s4, 3
	s_cbranch_scc1 .LBB182_3048
; %bb.3043:
	s_cmp_gt_i32 s4, 3
	s_cbranch_scc0 .LBB182_3045
; %bb.3044:
	s_mov_b32 s0, 0
	v_cndmask_b32_e64 v2, 0, 1, s[2:3]
	s_waitcnt vmcnt(0)
	v_mov_b32_e32 v3, s0
	global_store_dwordx2 v[0:1], v[2:3], off
	s_mov_b64 s[0:1], 0
.LBB182_3045:
	s_andn2_b64 vcc, exec, s[0:1]
	s_cbranch_vccnz .LBB182_3047
; %bb.3046:
	v_cndmask_b32_e64 v2, 0, 1, s[2:3]
	global_store_dword v[0:1], v2, off
.LBB182_3047:
	s_mov_b64 s[0:1], 0
.LBB182_3048:
	s_andn2_b64 vcc, exec, s[0:1]
	s_cbranch_vccnz .LBB182_3050
; %bb.3049:
	v_cndmask_b32_e64 v2, 0, 1, s[2:3]
	global_store_short v[0:1], v2, off
.LBB182_3050:
	s_mov_b64 s[0:1], 0
.LBB182_3051:
	s_andn2_b64 vcc, exec, s[0:1]
	s_cbranch_vccnz .LBB182_3056
; %bb.3052:
	s_sext_i32_i16 s4, s24
	s_mov_b64 s[0:1], -1
	s_cmp_gt_i32 s4, 0
	v_cndmask_b32_e64 v2, 0, 1, s[2:3]
	s_cbranch_scc0 .LBB182_3054
; %bb.3053:
	global_store_byte v[0:1], v2, off
	s_mov_b64 s[0:1], 0
.LBB182_3054:
	s_andn2_b64 vcc, exec, s[0:1]
	s_cbranch_vccnz .LBB182_3056
; %bb.3055:
	global_store_byte v[0:1], v2, off
	s_endpgm
.LBB182_3056:
	s_endpgm
.LBB182_3057:
	s_mov_b64 s[4:5], 0
	s_mov_b64 s[0:1], -1
	s_branch .LBB182_3013
.LBB182_3058:
	s_trap 2
	s_or_b64 s[22:23], s[22:23], exec
	s_cbranch_execz .LBB182_2527
	s_branch .LBB182_2528
.LBB182_3059:
	s_andn2_saveexec_b64 s[16:17], s[16:17]
	s_cbranch_execz .LBB182_2607
.LBB182_3060:
	v_add_f32_e32 v3, 0x46000000, v4
	v_and_b32_e32 v3, 0xff, v3
	v_cmp_ne_u32_e32 vcc, 0, v3
	s_andn2_b64 s[14:15], s[14:15], exec
	s_and_b64 s[26:27], vcc, exec
	s_or_b64 s[14:15], s[14:15], s[26:27]
	s_or_b64 exec, exec, s[16:17]
	v_mov_b32_e32 v11, 0
	s_and_saveexec_b64 s[16:17], s[14:15]
	s_cbranch_execnz .LBB182_2608
	s_branch .LBB182_2609
.LBB182_3061:
	s_trap 2
	s_or_b64 s[22:23], s[22:23], exec
	s_cbranch_execz .LBB182_2655
	s_branch .LBB182_2656
.LBB182_3062:
	s_andn2_saveexec_b64 s[14:15], s[14:15]
	s_cbranch_execz .LBB182_2620
.LBB182_3063:
	v_add_f32_e32 v3, 0x42800000, v4
	v_and_b32_e32 v3, 0xff, v3
	v_cmp_ne_u32_e32 vcc, 0, v3
	s_andn2_b64 s[10:11], s[10:11], exec
	s_and_b64 s[16:17], vcc, exec
	s_or_b64 s[10:11], s[10:11], s[16:17]
	s_or_b64 exec, exec, s[14:15]
	v_mov_b32_e32 v11, 0
	s_and_saveexec_b64 s[14:15], s[10:11]
	s_cbranch_execnz .LBB182_2621
	s_branch .LBB182_2622
.LBB182_3064:
	s_andn2_saveexec_b64 s[14:15], s[14:15]
	s_cbranch_execz .LBB182_2726
.LBB182_3065:
	v_add_f32_e32 v3, 0x46000000, v4
	v_and_b32_e32 v3, 0xff, v3
	v_cmp_ne_u32_e32 vcc, 0, v3
	s_andn2_b64 s[12:13], s[12:13], exec
	s_and_b64 s[26:27], vcc, exec
	s_or_b64 s[12:13], s[12:13], s[26:27]
	s_or_b64 exec, exec, s[14:15]
	v_mov_b32_e32 v5, 0
	s_and_saveexec_b64 s[14:15], s[12:13]
	s_cbranch_execnz .LBB182_2727
	s_branch .LBB182_2728
.LBB182_3066:
	s_trap 2
	s_or_b64 s[22:23], s[22:23], exec
	s_cbranch_execz .LBB182_2774
	s_branch .LBB182_2775
.LBB182_3067:
	s_andn2_saveexec_b64 s[12:13], s[12:13]
	s_cbranch_execz .LBB182_2739
.LBB182_3068:
	v_add_f32_e32 v3, 0x42800000, v4
	v_and_b32_e32 v3, 0xff, v3
	v_cmp_ne_u32_e32 vcc, 0, v3
	s_andn2_b64 s[10:11], s[10:11], exec
	s_and_b64 s[14:15], vcc, exec
	s_or_b64 s[10:11], s[10:11], s[14:15]
	s_or_b64 exec, exec, s[12:13]
	v_mov_b32_e32 v5, 0
	s_and_saveexec_b64 s[12:13], s[10:11]
	s_cbranch_execnz .LBB182_2740
	s_branch .LBB182_2741
.LBB182_3069:
	s_andn2_saveexec_b64 s[14:15], s[14:15]
	s_cbranch_execz .LBB182_2845
.LBB182_3070:
	v_add_f32_e32 v3, 0x46000000, v4
	v_and_b32_e32 v3, 0xff, v3
	v_cmp_ne_u32_e32 vcc, 0, v3
	s_andn2_b64 s[12:13], s[12:13], exec
	s_and_b64 s[26:27], vcc, exec
	s_or_b64 s[12:13], s[12:13], s[26:27]
	s_or_b64 exec, exec, s[14:15]
	v_mov_b32_e32 v5, 0
	s_and_saveexec_b64 s[14:15], s[12:13]
	s_cbranch_execnz .LBB182_2846
	s_branch .LBB182_2847
.LBB182_3071:
	s_trap 2
	s_or_b64 s[22:23], s[22:23], exec
	s_cbranch_execz .LBB182_2893
	s_branch .LBB182_2894
.LBB182_3072:
	s_andn2_saveexec_b64 s[12:13], s[12:13]
	s_cbranch_execz .LBB182_2858
.LBB182_3073:
	v_add_f32_e32 v3, 0x42800000, v4
	v_and_b32_e32 v3, 0xff, v3
	v_cmp_ne_u32_e32 vcc, 0, v3
	s_andn2_b64 s[10:11], s[10:11], exec
	s_and_b64 s[14:15], vcc, exec
	s_or_b64 s[10:11], s[10:11], s[14:15]
	s_or_b64 exec, exec, s[12:13]
	v_mov_b32_e32 v5, 0
	s_and_saveexec_b64 s[12:13], s[10:11]
	s_cbranch_execnz .LBB182_2859
	s_branch .LBB182_2860
.LBB182_3074:
	s_andn2_saveexec_b64 s[10:11], s[10:11]
	s_cbranch_execz .LBB182_2965
.LBB182_3075:
	v_add_f32_e32 v2, 0x46000000, v3
	v_and_b32_e32 v2, 0xff, v2
	v_cmp_ne_u32_e32 vcc, 0, v2
	s_andn2_b64 s[8:9], s[8:9], exec
	s_and_b64 s[14:15], vcc, exec
	s_or_b64 s[8:9], s[8:9], s[14:15]
	s_or_b64 exec, exec, s[10:11]
	v_mov_b32_e32 v4, 0
	s_and_saveexec_b64 s[10:11], s[8:9]
	s_cbranch_execnz .LBB182_2966
	s_branch .LBB182_2967
.LBB182_3076:
	s_mov_b64 s[4:5], 0
	s_or_b64 s[22:23], s[22:23], exec
	s_trap 2
	s_branch .LBB182_3011
.LBB182_3077:
	s_andn2_saveexec_b64 s[8:9], s[8:9]
	s_cbranch_execz .LBB182_2977
.LBB182_3078:
	v_add_f32_e32 v2, 0x42800000, v3
	v_and_b32_e32 v2, 0xff, v2
	v_cmp_ne_u32_e32 vcc, 0, v2
	s_andn2_b64 s[6:7], s[6:7], exec
	s_and_b64 s[10:11], vcc, exec
	s_or_b64 s[6:7], s[6:7], s[10:11]
	s_or_b64 exec, exec, s[8:9]
	v_mov_b32_e32 v4, 0
	s_and_saveexec_b64 s[8:9], s[6:7]
	s_cbranch_execnz .LBB182_2978
	s_branch .LBB182_2979
	.section	.rodata,"a",@progbits
	.p2align	6, 0x0
	.amdhsa_kernel _ZN2at6native32elementwise_kernel_manual_unrollILi128ELi4EZNS0_15gpu_kernel_implINS0_13BinaryFunctorIN3c104HalfES5_bNS0_12_GLOBAL__N_116CompareEqFunctorIS5_EEEEEEvRNS_18TensorIteratorBaseERKT_EUlibE_EEviT1_
		.amdhsa_group_segment_fixed_size 0
		.amdhsa_private_segment_fixed_size 0
		.amdhsa_kernarg_size 56
		.amdhsa_user_sgpr_count 6
		.amdhsa_user_sgpr_private_segment_buffer 1
		.amdhsa_user_sgpr_dispatch_ptr 0
		.amdhsa_user_sgpr_queue_ptr 0
		.amdhsa_user_sgpr_kernarg_segment_ptr 1
		.amdhsa_user_sgpr_dispatch_id 0
		.amdhsa_user_sgpr_flat_scratch_init 0
		.amdhsa_user_sgpr_private_segment_size 0
		.amdhsa_uses_dynamic_stack 0
		.amdhsa_system_sgpr_private_segment_wavefront_offset 0
		.amdhsa_system_sgpr_workgroup_id_x 1
		.amdhsa_system_sgpr_workgroup_id_y 0
		.amdhsa_system_sgpr_workgroup_id_z 0
		.amdhsa_system_sgpr_workgroup_info 0
		.amdhsa_system_vgpr_workitem_id 0
		.amdhsa_next_free_vgpr 18
		.amdhsa_next_free_sgpr 59
		.amdhsa_reserve_vcc 1
		.amdhsa_reserve_flat_scratch 0
		.amdhsa_float_round_mode_32 0
		.amdhsa_float_round_mode_16_64 0
		.amdhsa_float_denorm_mode_32 3
		.amdhsa_float_denorm_mode_16_64 3
		.amdhsa_dx10_clamp 1
		.amdhsa_ieee_mode 1
		.amdhsa_fp16_overflow 0
		.amdhsa_exception_fp_ieee_invalid_op 0
		.amdhsa_exception_fp_denorm_src 0
		.amdhsa_exception_fp_ieee_div_zero 0
		.amdhsa_exception_fp_ieee_overflow 0
		.amdhsa_exception_fp_ieee_underflow 0
		.amdhsa_exception_fp_ieee_inexact 0
		.amdhsa_exception_int_div_zero 0
	.end_amdhsa_kernel
	.section	.text._ZN2at6native32elementwise_kernel_manual_unrollILi128ELi4EZNS0_15gpu_kernel_implINS0_13BinaryFunctorIN3c104HalfES5_bNS0_12_GLOBAL__N_116CompareEqFunctorIS5_EEEEEEvRNS_18TensorIteratorBaseERKT_EUlibE_EEviT1_,"axG",@progbits,_ZN2at6native32elementwise_kernel_manual_unrollILi128ELi4EZNS0_15gpu_kernel_implINS0_13BinaryFunctorIN3c104HalfES5_bNS0_12_GLOBAL__N_116CompareEqFunctorIS5_EEEEEEvRNS_18TensorIteratorBaseERKT_EUlibE_EEviT1_,comdat
.Lfunc_end182:
	.size	_ZN2at6native32elementwise_kernel_manual_unrollILi128ELi4EZNS0_15gpu_kernel_implINS0_13BinaryFunctorIN3c104HalfES5_bNS0_12_GLOBAL__N_116CompareEqFunctorIS5_EEEEEEvRNS_18TensorIteratorBaseERKT_EUlibE_EEviT1_, .Lfunc_end182-_ZN2at6native32elementwise_kernel_manual_unrollILi128ELi4EZNS0_15gpu_kernel_implINS0_13BinaryFunctorIN3c104HalfES5_bNS0_12_GLOBAL__N_116CompareEqFunctorIS5_EEEEEEvRNS_18TensorIteratorBaseERKT_EUlibE_EEviT1_
                                        ; -- End function
	.set _ZN2at6native32elementwise_kernel_manual_unrollILi128ELi4EZNS0_15gpu_kernel_implINS0_13BinaryFunctorIN3c104HalfES5_bNS0_12_GLOBAL__N_116CompareEqFunctorIS5_EEEEEEvRNS_18TensorIteratorBaseERKT_EUlibE_EEviT1_.num_vgpr, 18
	.set _ZN2at6native32elementwise_kernel_manual_unrollILi128ELi4EZNS0_15gpu_kernel_implINS0_13BinaryFunctorIN3c104HalfES5_bNS0_12_GLOBAL__N_116CompareEqFunctorIS5_EEEEEEvRNS_18TensorIteratorBaseERKT_EUlibE_EEviT1_.num_agpr, 0
	.set _ZN2at6native32elementwise_kernel_manual_unrollILi128ELi4EZNS0_15gpu_kernel_implINS0_13BinaryFunctorIN3c104HalfES5_bNS0_12_GLOBAL__N_116CompareEqFunctorIS5_EEEEEEvRNS_18TensorIteratorBaseERKT_EUlibE_EEviT1_.numbered_sgpr, 59
	.set _ZN2at6native32elementwise_kernel_manual_unrollILi128ELi4EZNS0_15gpu_kernel_implINS0_13BinaryFunctorIN3c104HalfES5_bNS0_12_GLOBAL__N_116CompareEqFunctorIS5_EEEEEEvRNS_18TensorIteratorBaseERKT_EUlibE_EEviT1_.num_named_barrier, 0
	.set _ZN2at6native32elementwise_kernel_manual_unrollILi128ELi4EZNS0_15gpu_kernel_implINS0_13BinaryFunctorIN3c104HalfES5_bNS0_12_GLOBAL__N_116CompareEqFunctorIS5_EEEEEEvRNS_18TensorIteratorBaseERKT_EUlibE_EEviT1_.private_seg_size, 0
	.set _ZN2at6native32elementwise_kernel_manual_unrollILi128ELi4EZNS0_15gpu_kernel_implINS0_13BinaryFunctorIN3c104HalfES5_bNS0_12_GLOBAL__N_116CompareEqFunctorIS5_EEEEEEvRNS_18TensorIteratorBaseERKT_EUlibE_EEviT1_.uses_vcc, 1
	.set _ZN2at6native32elementwise_kernel_manual_unrollILi128ELi4EZNS0_15gpu_kernel_implINS0_13BinaryFunctorIN3c104HalfES5_bNS0_12_GLOBAL__N_116CompareEqFunctorIS5_EEEEEEvRNS_18TensorIteratorBaseERKT_EUlibE_EEviT1_.uses_flat_scratch, 0
	.set _ZN2at6native32elementwise_kernel_manual_unrollILi128ELi4EZNS0_15gpu_kernel_implINS0_13BinaryFunctorIN3c104HalfES5_bNS0_12_GLOBAL__N_116CompareEqFunctorIS5_EEEEEEvRNS_18TensorIteratorBaseERKT_EUlibE_EEviT1_.has_dyn_sized_stack, 0
	.set _ZN2at6native32elementwise_kernel_manual_unrollILi128ELi4EZNS0_15gpu_kernel_implINS0_13BinaryFunctorIN3c104HalfES5_bNS0_12_GLOBAL__N_116CompareEqFunctorIS5_EEEEEEvRNS_18TensorIteratorBaseERKT_EUlibE_EEviT1_.has_recursion, 0
	.set _ZN2at6native32elementwise_kernel_manual_unrollILi128ELi4EZNS0_15gpu_kernel_implINS0_13BinaryFunctorIN3c104HalfES5_bNS0_12_GLOBAL__N_116CompareEqFunctorIS5_EEEEEEvRNS_18TensorIteratorBaseERKT_EUlibE_EEviT1_.has_indirect_call, 0
	.section	.AMDGPU.csdata,"",@progbits
; Kernel info:
; codeLenInByte = 54676
; TotalNumSgprs: 63
; NumVgprs: 18
; ScratchSize: 0
; MemoryBound: 0
; FloatMode: 240
; IeeeMode: 1
; LDSByteSize: 0 bytes/workgroup (compile time only)
; SGPRBlocks: 7
; VGPRBlocks: 4
; NumSGPRsForWavesPerEU: 63
; NumVGPRsForWavesPerEU: 18
; Occupancy: 10
; WaveLimiterHint : 0
; COMPUTE_PGM_RSRC2:SCRATCH_EN: 0
; COMPUTE_PGM_RSRC2:USER_SGPR: 6
; COMPUTE_PGM_RSRC2:TRAP_HANDLER: 0
; COMPUTE_PGM_RSRC2:TGID_X_EN: 1
; COMPUTE_PGM_RSRC2:TGID_Y_EN: 0
; COMPUTE_PGM_RSRC2:TGID_Z_EN: 0
; COMPUTE_PGM_RSRC2:TIDIG_COMP_CNT: 0
	.section	.text._ZN2at6native32elementwise_kernel_manual_unrollILi128ELi4EZNS0_15gpu_kernel_implINS0_13BinaryFunctorIN3c104HalfES5_bNS0_12_GLOBAL__N_116CompareEqFunctorIS5_EEEEEEvRNS_18TensorIteratorBaseERKT_EUlibE0_EEviT1_,"axG",@progbits,_ZN2at6native32elementwise_kernel_manual_unrollILi128ELi4EZNS0_15gpu_kernel_implINS0_13BinaryFunctorIN3c104HalfES5_bNS0_12_GLOBAL__N_116CompareEqFunctorIS5_EEEEEEvRNS_18TensorIteratorBaseERKT_EUlibE0_EEviT1_,comdat
	.globl	_ZN2at6native32elementwise_kernel_manual_unrollILi128ELi4EZNS0_15gpu_kernel_implINS0_13BinaryFunctorIN3c104HalfES5_bNS0_12_GLOBAL__N_116CompareEqFunctorIS5_EEEEEEvRNS_18TensorIteratorBaseERKT_EUlibE0_EEviT1_ ; -- Begin function _ZN2at6native32elementwise_kernel_manual_unrollILi128ELi4EZNS0_15gpu_kernel_implINS0_13BinaryFunctorIN3c104HalfES5_bNS0_12_GLOBAL__N_116CompareEqFunctorIS5_EEEEEEvRNS_18TensorIteratorBaseERKT_EUlibE0_EEviT1_
	.p2align	8
	.type	_ZN2at6native32elementwise_kernel_manual_unrollILi128ELi4EZNS0_15gpu_kernel_implINS0_13BinaryFunctorIN3c104HalfES5_bNS0_12_GLOBAL__N_116CompareEqFunctorIS5_EEEEEEvRNS_18TensorIteratorBaseERKT_EUlibE0_EEviT1_,@function
_ZN2at6native32elementwise_kernel_manual_unrollILi128ELi4EZNS0_15gpu_kernel_implINS0_13BinaryFunctorIN3c104HalfES5_bNS0_12_GLOBAL__N_116CompareEqFunctorIS5_EEEEEEvRNS_18TensorIteratorBaseERKT_EUlibE0_EEviT1_: ; @_ZN2at6native32elementwise_kernel_manual_unrollILi128ELi4EZNS0_15gpu_kernel_implINS0_13BinaryFunctorIN3c104HalfES5_bNS0_12_GLOBAL__N_116CompareEqFunctorIS5_EEEEEEvRNS_18TensorIteratorBaseERKT_EUlibE0_EEviT1_
; %bb.0:
	s_load_dword s70, s[4:5], 0x0
	s_load_dword s33, s[4:5], 0x8
	s_add_u32 s24, s4, 8
	s_addc_u32 s25, s5, 0
	v_lshl_or_b32 v8, s6, 9, v0
	v_or_b32_e32 v23, 0x180, v8
	s_waitcnt lgkmcnt(0)
	s_add_i32 s72, s33, -1
	s_cmp_gt_u32 s72, 1
	v_cmp_le_i32_e32 vcc, s70, v23
	s_cselect_b64 s[28:29], -1, 0
	s_mov_b64 s[26:27], 0
	s_mov_b64 s[6:7], 0
	s_and_saveexec_b64 s[0:1], vcc
	s_xor_b64 s[30:31], exec, s[0:1]
	s_cbranch_execz .LBB183_1589
; %bb.1:
	s_cmp_lg_u32 s33, 0
	s_load_dwordx4 s[16:19], s[24:25], 0x4
	s_load_dwordx2 s[36:37], s[24:25], 0x14
	s_load_dwordx8 s[8:15], s[24:25], 0x188
	s_load_dwordx4 s[20:23], s[24:25], 0xc4
	s_load_dwordx2 s[34:35], s[24:25], 0xd4
	s_cselect_b64 s[40:41], -1, 0
	s_min_u32 s75, s72, 15
	s_cmp_gt_u32 s33, 1
	s_cselect_b64 s[38:39], -1, 0
	s_waitcnt lgkmcnt(0)
	s_lshr_b32 s74, s15, 8
	s_lshr_b32 s73, s15, 16
	s_cmp_eq_u32 s14, 0
	s_cselect_b64 s[0:1], -1, 0
	v_cmp_gt_i32_e32 vcc, s70, v8
	s_mov_b64 s[2:3], -1
	s_mov_b64 s[52:53], 0
	s_mov_b64 s[46:47], 0
	;; [unrolled: 1-line block ×4, first 2 shown]
	s_and_saveexec_b64 s[48:49], vcc
	s_cbranch_execz .LBB183_394
; %bb.2:
	s_andn2_b64 vcc, exec, s[28:29]
	s_cbranch_vccnz .LBB183_8
; %bb.3:
	s_andn2_b64 vcc, exec, s[40:41]
	s_cbranch_vccnz .LBB183_9
; %bb.4:
	s_add_i32 s2, s75, 1
	s_and_b32 s6, s2, 30
	s_add_u32 s2, s24, 0xffffffe8
	s_addc_u32 s3, s25, -1
	v_mov_b32_e32 v2, 0
	v_mov_b32_e32 v4, 0
	;; [unrolled: 1-line block ×4, first 2 shown]
.LBB183_5:                              ; =>This Inner Loop Header: Depth=1
	s_load_dwordx4 s[44:47], s[2:3], 0x1c
	s_load_dwordx2 s[42:43], s[2:3], 0x2c
	s_load_dwordx2 s[50:51], s[2:3], 0xec
	s_load_dwordx4 s[56:59], s[2:3], 0xdc
	s_add_u32 s2, s2, 24
	s_waitcnt lgkmcnt(0)
	v_mul_hi_u32 v3, s45, v1
	s_addc_u32 s3, s3, 0
	s_add_i32 s6, s6, -2
	s_cmp_lg_u32 s6, 0
	v_add_u32_e32 v3, v1, v3
	v_lshrrev_b32_e32 v3, s46, v3
	v_mul_lo_u32 v5, v3, s44
	v_mul_hi_u32 v6, s42, v3
	v_sub_u32_e32 v5, v1, v5
	v_add_u32_e32 v1, v3, v6
	v_lshrrev_b32_e32 v1, s43, v1
	v_mul_lo_u32 v9, v1, s47
	v_mul_lo_u32 v6, v5, s56
	;; [unrolled: 1-line block ×4, first 2 shown]
	v_sub_u32_e32 v3, v3, v9
	v_mul_lo_u32 v9, v3, s59
	v_mul_lo_u32 v10, v3, s50
	;; [unrolled: 1-line block ×3, first 2 shown]
	v_add3_u32 v0, v6, v0, v9
	v_add3_u32 v4, v7, v4, v10
	;; [unrolled: 1-line block ×3, first 2 shown]
	s_cbranch_scc1 .LBB183_5
; %bb.6:
	s_bitcmp1_b32 s75, 0
	s_cselect_b64 s[6:7], -1, 0
	s_and_b64 vcc, exec, s[6:7]
	s_cbranch_vccnz .LBB183_10
; %bb.7:
	s_load_dwordx2 s[6:7], s[2:3], 0x1c
	s_load_dword s14, s[2:3], 0x24
	s_load_dwordx2 s[42:43], s[2:3], 0xdc
	s_waitcnt lgkmcnt(0)
	v_mul_hi_u32 v3, s7, v1
	v_add_u32_e32 v3, v1, v3
	v_lshrrev_b32_e32 v3, s14, v3
	v_mul_lo_u32 v3, v3, s6
	s_load_dword s6, s[2:3], 0xe4
	v_sub_u32_e32 v3, v1, v3
	v_mad_u64_u32 v[0:1], s[2:3], v3, s42, v[0:1]
	v_mad_u64_u32 v[4:5], s[2:3], v3, s43, v[4:5]
	s_waitcnt lgkmcnt(0)
	v_mad_u64_u32 v[2:3], s[2:3], v3, s6, v[2:3]
	s_cbranch_execz .LBB183_11
	s_branch .LBB183_13
.LBB183_8:
                                        ; implicit-def: $vgpr0
                                        ; implicit-def: $vgpr4
                                        ; implicit-def: $vgpr2
	s_andn2_b64 vcc, exec, s[2:3]
	s_cbranch_vccz .LBB183_11
	s_branch .LBB183_13
.LBB183_9:
	v_mov_b32_e32 v0, 0
	v_mov_b32_e32 v4, 0
	;; [unrolled: 1-line block ×3, first 2 shown]
.LBB183_10:
	s_cbranch_execnz .LBB183_13
.LBB183_11:
	v_mul_hi_u32 v0, s17, v8
	s_andn2_b64 vcc, exec, s[38:39]
	v_add_u32_e32 v0, v8, v0
	v_lshrrev_b32_e32 v1, s18, v0
	v_mul_lo_u32 v0, v1, s16
	v_sub_u32_e32 v2, v8, v0
	v_mul_lo_u32 v0, v2, s20
	v_mul_lo_u32 v4, v2, s21
	;; [unrolled: 1-line block ×3, first 2 shown]
	s_cbranch_vccnz .LBB183_13
; %bb.12:
	v_mul_hi_u32 v3, s36, v1
	v_add_u32_e32 v3, v1, v3
	v_lshrrev_b32_e32 v3, s37, v3
	v_mul_lo_u32 v3, v3, s19
	v_sub_u32_e32 v3, v1, v3
	v_mad_u64_u32 v[0:1], s[2:3], v3, s23, v[0:1]
	v_mad_u64_u32 v[4:5], s[2:3], v3, s34, v[4:5]
	;; [unrolled: 1-line block ×3, first 2 shown]
.LBB183_13:
	v_mov_b32_e32 v1, s11
	s_and_b32 s14, s74, 0xff
	v_add_co_u32_e32 v3, vcc, s10, v4
	s_cmp_lt_i32 s14, 11
	v_addc_co_u32_e32 v4, vcc, 0, v1, vcc
	s_cbranch_scc1 .LBB183_20
; %bb.14:
	s_and_b32 s44, 0xffff, s14
	s_cmp_gt_i32 s44, 25
	s_cbranch_scc0 .LBB183_29
; %bb.15:
	s_cmp_gt_i32 s44, 28
	s_cbranch_scc0 .LBB183_39
; %bb.16:
	;; [unrolled: 3-line block ×4, first 2 shown]
	s_cmp_eq_u32 s44, 46
	s_mov_b64 s[6:7], 0
	s_cbranch_scc0 .LBB183_48
; %bb.19:
	global_load_dword v1, v[3:4], off
	s_mov_b64 s[2:3], -1
	s_mov_b64 s[46:47], 0
	s_waitcnt vmcnt(0)
	v_lshlrev_b32_e32 v1, 16, v1
	v_cvt_f16_f32_e32 v5, v1
	s_branch .LBB183_50
.LBB183_20:
	s_mov_b64 s[46:47], 0
                                        ; implicit-def: $vgpr5
	s_mov_b64 s[2:3], 0
	s_cbranch_execnz .LBB183_116
.LBB183_21:
	s_andn2_b64 vcc, exec, s[2:3]
	s_cbranch_vccnz .LBB183_163
.LBB183_22:
	v_mov_b32_e32 v3, s13
	s_and_b32 s14, s73, 0xff
	v_add_co_u32_e32 v1, vcc, s12, v2
	s_cmp_lt_i32 s14, 11
	v_addc_co_u32_e32 v2, vcc, 0, v3, vcc
	s_cbranch_scc1 .LBB183_30
; %bb.23:
	s_and_b32 s50, 0xffff, s14
	s_cmp_gt_i32 s50, 25
	s_cbranch_scc0 .LBB183_40
; %bb.24:
	s_cmp_gt_i32 s50, 28
	s_cbranch_scc0 .LBB183_43
; %bb.25:
	;; [unrolled: 3-line block ×4, first 2 shown]
	s_cmp_eq_u32 s50, 46
	s_mov_b64 s[6:7], 0
	s_cbranch_scc0 .LBB183_164
; %bb.28:
	global_load_dword v3, v[1:2], off
	s_mov_b64 s[2:3], -1
	s_mov_b64 s[44:45], 0
	s_waitcnt vmcnt(0)
	v_lshlrev_b32_e32 v3, 16, v3
	v_cvt_f16_f32_e32 v3, v3
	s_branch .LBB183_166
.LBB183_29:
	s_mov_b64 s[46:47], 0
	s_mov_b64 s[2:3], 0
                                        ; implicit-def: $vgpr5
	s_cbranch_execnz .LBB183_81
	s_branch .LBB183_115
.LBB183_30:
	s_mov_b64 s[44:45], 0
                                        ; implicit-def: $vgpr3
	s_mov_b64 s[2:3], 0
	s_cbranch_execnz .LBB183_343
.LBB183_31:
	s_andn2_b64 vcc, exec, s[2:3]
	s_cbranch_vccnz .LBB183_391
.LBB183_32:
	s_waitcnt vmcnt(0)
	v_cmp_eq_f16_e32 vcc, v5, v3
	v_cndmask_b32_e64 v1, 0, 1, vcc
	v_cmp_neq_f16_e32 vcc, v5, v3
	v_cndmask_b32_e64 v2, 0, 1, vcc
	v_cndmask_b32_e64 v1, v2, v1, s[0:1]
	v_and_b32_e32 v1, 1, v1
	v_cmp_eq_u32_e64 s[2:3], 1, v1
	v_mov_b32_e32 v1, s9
	s_and_b32 s14, s15, 0xff
	v_add_co_u32_e32 v0, vcc, s8, v0
	s_cmp_lt_i32 s14, 11
	v_addc_co_u32_e32 v1, vcc, 0, v1, vcc
	s_cbranch_scc1 .LBB183_41
; %bb.33:
	s_and_b32 s56, 0xffff, s14
	s_cmp_gt_i32 s56, 25
	s_cbranch_scc0 .LBB183_44
; %bb.34:
	s_cmp_gt_i32 s56, 28
	s_cbranch_scc0 .LBB183_47
; %bb.35:
	;; [unrolled: 3-line block ×4, first 2 shown]
	s_mov_b64 s[50:51], 0
	s_mov_b64 s[6:7], -1
	s_cmp_eq_u32 s56, 46
	s_mov_b64 s[42:43], 0
	s_cbranch_scc0 .LBB183_170
; %bb.38:
	v_cndmask_b32_e64 v2, 0, 1.0, s[2:3]
	v_bfe_u32 v3, v2, 16, 1
	s_movk_i32 s6, 0x7fff
	v_add3_u32 v2, v2, v3, s6
	v_lshrrev_b32_e32 v2, 16, v2
	global_store_dword v[0:1], v2, off
	s_mov_b64 s[42:43], -1
	s_mov_b64 s[6:7], 0
	s_branch .LBB183_170
.LBB183_39:
	s_mov_b64 s[6:7], -1
	s_mov_b64 s[46:47], 0
	s_mov_b64 s[2:3], 0
                                        ; implicit-def: $vgpr5
	s_branch .LBB183_62
.LBB183_40:
	s_mov_b64 s[6:7], -1
	s_mov_b64 s[44:45], 0
	s_mov_b64 s[2:3], 0
                                        ; implicit-def: $vgpr3
	s_branch .LBB183_307
.LBB183_41:
	s_mov_b64 s[50:51], -1
	s_mov_b64 s[6:7], 0
	s_mov_b64 s[42:43], 0
	s_branch .LBB183_239
.LBB183_42:
	s_mov_b64 s[6:7], -1
	s_mov_b64 s[46:47], 0
	s_mov_b64 s[2:3], 0
                                        ; implicit-def: $vgpr5
	s_branch .LBB183_57
.LBB183_43:
	s_mov_b64 s[6:7], -1
	s_mov_b64 s[44:45], 0
	s_mov_b64 s[2:3], 0
                                        ; implicit-def: $vgpr3
	s_branch .LBB183_288
.LBB183_44:
	s_mov_b64 s[50:51], -1
	s_mov_b64 s[6:7], 0
	s_mov_b64 s[42:43], 0
	s_branch .LBB183_197
.LBB183_45:
	s_mov_b64 s[6:7], -1
	s_mov_b64 s[46:47], 0
	s_branch .LBB183_49
.LBB183_46:
	s_mov_b64 s[6:7], -1
	s_mov_b64 s[44:45], 0
	s_mov_b64 s[2:3], 0
                                        ; implicit-def: $vgpr3
	s_branch .LBB183_283
.LBB183_47:
	s_mov_b64 s[50:51], -1
	s_mov_b64 s[6:7], 0
	s_mov_b64 s[42:43], 0
	s_branch .LBB183_180
.LBB183_48:
	s_mov_b64 s[46:47], -1
.LBB183_49:
	s_mov_b64 s[2:3], 0
                                        ; implicit-def: $vgpr5
.LBB183_50:
	s_and_b64 vcc, exec, s[6:7]
	s_cbranch_vccz .LBB183_56
; %bb.51:
	s_cmp_eq_u32 s44, 44
	s_cbranch_scc0 .LBB183_55
; %bb.52:
	global_load_ubyte v1, v[3:4], off
	s_movk_i32 s6, 0xff
	v_mov_b32_e32 v6, 0x7e00
	s_mov_b64 s[2:3], -1
	s_mov_b64 s[46:47], 0
	s_waitcnt vmcnt(0)
	v_lshlrev_b32_e32 v5, 23, v1
	v_cvt_f16_f32_e32 v5, v5
	v_cmp_ne_u32_e32 vcc, s6, v1
	v_cndmask_b32_e32 v5, v6, v5, vcc
	v_cmp_ne_u32_e32 vcc, 0, v1
	v_cndmask_b32_e32 v5, 0, v5, vcc
	s_branch .LBB183_56
.LBB183_53:
	s_mov_b64 s[6:7], -1
	s_mov_b64 s[44:45], 0
	s_branch .LBB183_165
.LBB183_54:
	s_mov_b64 s[50:51], -1
	s_mov_b64 s[6:7], 0
	s_mov_b64 s[42:43], 0
	s_branch .LBB183_176
.LBB183_55:
	s_mov_b64 s[46:47], -1
                                        ; implicit-def: $vgpr5
.LBB183_56:
	s_mov_b64 s[6:7], 0
.LBB183_57:
	s_and_b64 vcc, exec, s[6:7]
	s_cbranch_vccz .LBB183_61
; %bb.58:
	s_cmp_eq_u32 s44, 29
	s_cbranch_scc0 .LBB183_60
; %bb.59:
	global_load_dwordx2 v[5:6], v[3:4], off
	s_mov_b64 s[2:3], -1
	s_mov_b64 s[46:47], 0
	s_mov_b64 s[6:7], 0
	s_waitcnt vmcnt(0)
	v_ffbh_u32_e32 v1, v6
	v_min_u32_e32 v1, 32, v1
	v_lshlrev_b64 v[5:6], v1, v[5:6]
	v_sub_u32_e32 v1, 32, v1
	v_min_u32_e32 v5, 1, v5
	v_or_b32_e32 v5, v6, v5
	v_cvt_f32_u32_e32 v5, v5
	v_ldexp_f32 v1, v5, v1
	v_cvt_f16_f32_e32 v5, v1
	s_branch .LBB183_62
.LBB183_60:
	s_mov_b64 s[46:47], -1
                                        ; implicit-def: $vgpr5
.LBB183_61:
	s_mov_b64 s[6:7], 0
.LBB183_62:
	s_and_b64 vcc, exec, s[6:7]
	s_cbranch_vccz .LBB183_80
; %bb.63:
	s_cmp_lt_i32 s44, 27
	s_cbranch_scc1 .LBB183_66
; %bb.64:
	s_cmp_gt_i32 s44, 27
	s_cbranch_scc0 .LBB183_67
; %bb.65:
	global_load_dword v1, v[3:4], off
	s_mov_b64 s[2:3], 0
	s_waitcnt vmcnt(0)
	v_cvt_f32_u32_e32 v1, v1
	v_cvt_f16_f32_e32 v5, v1
	s_branch .LBB183_68
.LBB183_66:
	s_mov_b64 s[2:3], -1
                                        ; implicit-def: $vgpr5
	s_branch .LBB183_71
.LBB183_67:
	s_mov_b64 s[2:3], -1
                                        ; implicit-def: $vgpr5
.LBB183_68:
	s_andn2_b64 vcc, exec, s[2:3]
	s_cbranch_vccnz .LBB183_70
; %bb.69:
	global_load_ushort v1, v[3:4], off
	s_waitcnt vmcnt(0)
	v_cvt_f16_u16_e32 v5, v1
.LBB183_70:
	s_mov_b64 s[2:3], 0
.LBB183_71:
	s_andn2_b64 vcc, exec, s[2:3]
	s_cbranch_vccnz .LBB183_79
; %bb.72:
	global_load_ubyte v1, v[3:4], off
	s_movk_i32 s2, 0x7f
	s_waitcnt vmcnt(0)
	v_cmp_lt_i16_e32 vcc, s2, v1
	s_mov_b64 s[2:3], 0
	s_and_saveexec_b64 s[6:7], vcc
	s_xor_b64 s[6:7], exec, s[6:7]
	s_cbranch_execz .LBB183_92
; %bb.73:
	s_movk_i32 s2, 0x80
	v_cmp_eq_u16_e32 vcc, s2, v1
	s_mov_b64 s[2:3], -1
	s_and_saveexec_b64 s[42:43], vcc
; %bb.74:
	s_xor_b64 s[2:3], exec, -1
; %bb.75:
	s_or_b64 exec, exec, s[42:43]
	s_and_b64 s[2:3], s[2:3], exec
	s_or_saveexec_b64 s[6:7], s[6:7]
	v_mov_b32_e32 v5, 0x7e00
	s_xor_b64 exec, exec, s[6:7]
	s_cbranch_execnz .LBB183_93
.LBB183_76:
	s_or_b64 exec, exec, s[6:7]
	s_and_saveexec_b64 s[6:7], s[2:3]
	s_cbranch_execz .LBB183_78
.LBB183_77:
	v_lshlrev_b32_e32 v5, 24, v1
	v_and_b32_e32 v1, 0xffff, v1
	v_and_b32_e32 v6, 7, v1
	v_ffbh_u32_e32 v9, v6
	v_min_u32_e32 v9, 32, v9
	v_subrev_u32_e32 v10, 28, v9
	v_bfe_u32 v7, v1, 3, 4
	v_lshlrev_b32_e32 v1, v10, v1
	v_sub_u32_e32 v9, 29, v9
	v_and_b32_e32 v1, 7, v1
	v_cmp_eq_u32_e32 vcc, 0, v7
	v_cndmask_b32_e32 v7, v7, v9, vcc
	v_cndmask_b32_e32 v1, v6, v1, vcc
	v_mov_b32_e32 v6, 0x3b800000
	v_lshlrev_b32_e32 v1, 20, v1
	v_and_b32_e32 v5, 0x80000000, v5
	v_lshl_add_u32 v6, v7, 23, v6
	v_or3_b32 v1, v5, v6, v1
	v_cvt_f16_f32_e32 v5, v1
.LBB183_78:
	s_or_b64 exec, exec, s[6:7]
.LBB183_79:
	s_mov_b64 s[2:3], -1
.LBB183_80:
	s_branch .LBB183_115
.LBB183_81:
	s_cmp_gt_i32 s44, 22
	s_cbranch_scc0 .LBB183_91
; %bb.82:
	s_cmp_lt_i32 s44, 24
	s_cbranch_scc1 .LBB183_94
; %bb.83:
	s_cmp_gt_i32 s44, 24
	s_cbranch_scc0 .LBB183_95
; %bb.84:
	global_load_ubyte v1, v[3:4], off
	s_movk_i32 s2, 0x7f
	s_waitcnt vmcnt(0)
	v_cmp_lt_i16_e32 vcc, s2, v1
	s_mov_b64 s[2:3], 0
	s_and_saveexec_b64 s[6:7], vcc
	s_xor_b64 s[6:7], exec, s[6:7]
	s_cbranch_execz .LBB183_107
; %bb.85:
	s_movk_i32 s2, 0x80
	v_cmp_eq_u16_e32 vcc, s2, v1
	s_mov_b64 s[2:3], -1
	s_and_saveexec_b64 s[42:43], vcc
; %bb.86:
	s_xor_b64 s[2:3], exec, -1
; %bb.87:
	s_or_b64 exec, exec, s[42:43]
	s_and_b64 s[2:3], s[2:3], exec
	s_or_saveexec_b64 s[6:7], s[6:7]
	v_mov_b32_e32 v5, 0x7e00
	s_xor_b64 exec, exec, s[6:7]
	s_cbranch_execnz .LBB183_108
.LBB183_88:
	s_or_b64 exec, exec, s[6:7]
	s_and_saveexec_b64 s[6:7], s[2:3]
	s_cbranch_execz .LBB183_90
.LBB183_89:
	v_lshlrev_b32_e32 v5, 24, v1
	v_and_b32_e32 v1, 0xffff, v1
	v_and_b32_e32 v6, 3, v1
	v_ffbh_u32_e32 v9, v6
	v_min_u32_e32 v9, 32, v9
	v_subrev_u32_e32 v10, 29, v9
	v_bfe_u32 v7, v1, 2, 5
	v_lshlrev_b32_e32 v1, v10, v1
	v_sub_u32_e32 v9, 30, v9
	v_and_b32_e32 v1, 3, v1
	v_cmp_eq_u32_e32 vcc, 0, v7
	v_cndmask_b32_e32 v7, v7, v9, vcc
	v_cndmask_b32_e32 v1, v6, v1, vcc
	v_mov_b32_e32 v6, 0x37800000
	v_lshlrev_b32_e32 v1, 21, v1
	v_and_b32_e32 v5, 0x80000000, v5
	v_lshl_add_u32 v6, v7, 23, v6
	v_or3_b32 v1, v5, v6, v1
	v_cvt_f16_f32_e32 v5, v1
.LBB183_90:
	s_or_b64 exec, exec, s[6:7]
	s_mov_b64 s[2:3], 0
	s_branch .LBB183_96
.LBB183_91:
	s_mov_b64 s[6:7], -1
                                        ; implicit-def: $vgpr5
	s_branch .LBB183_102
.LBB183_92:
	s_or_saveexec_b64 s[6:7], s[6:7]
	v_mov_b32_e32 v5, 0x7e00
	s_xor_b64 exec, exec, s[6:7]
	s_cbranch_execz .LBB183_76
.LBB183_93:
	v_cmp_ne_u16_e32 vcc, 0, v1
	s_andn2_b64 s[2:3], s[2:3], exec
	s_and_b64 s[42:43], vcc, exec
	s_or_b64 s[2:3], s[2:3], s[42:43]
	v_mov_b32_e32 v5, v1
	s_or_b64 exec, exec, s[6:7]
	s_and_saveexec_b64 s[6:7], s[2:3]
	s_cbranch_execnz .LBB183_77
	s_branch .LBB183_78
.LBB183_94:
	s_mov_b64 s[2:3], -1
                                        ; implicit-def: $vgpr5
	s_branch .LBB183_99
.LBB183_95:
	s_mov_b64 s[2:3], -1
                                        ; implicit-def: $vgpr5
.LBB183_96:
	s_and_b64 vcc, exec, s[2:3]
	s_cbranch_vccz .LBB183_98
; %bb.97:
	global_load_ubyte v1, v[3:4], off
	s_mov_b32 s2, 0x7f800000
	s_waitcnt vmcnt(0)
	v_lshlrev_b32_e32 v1, 24, v1
	v_and_b32_e32 v5, 0x7f000000, v1
	v_ffbh_u32_e32 v6, v5
	v_min_u32_e32 v6, 32, v6
	v_sub_u32_e64 v6, v6, 4 clamp
	v_lshlrev_b32_e32 v9, v6, v5
	v_lshlrev_b32_e32 v6, 23, v6
	v_lshrrev_b32_e32 v9, 4, v9
	v_add_u32_e32 v7, 0x1000000, v5
	v_sub_u32_e32 v6, v9, v6
	v_ashrrev_i32_e32 v7, 8, v7
	v_add_u32_e32 v6, 0x3c000000, v6
	v_and_or_b32 v6, v7, s2, v6
	v_cmp_ne_u32_e32 vcc, 0, v5
	v_cndmask_b32_e32 v5, 0, v6, vcc
	s_brev_b32 s2, 1
	v_and_or_b32 v1, v1, s2, v5
	v_cvt_f16_f32_e32 v5, v1
.LBB183_98:
	s_mov_b64 s[2:3], 0
.LBB183_99:
	s_andn2_b64 vcc, exec, s[2:3]
	s_cbranch_vccnz .LBB183_101
; %bb.100:
	global_load_ubyte v1, v[3:4], off
	s_movk_i32 s2, 0x7f00
	s_brev_b32 s3, 16
	s_waitcnt vmcnt(0)
	v_lshlrev_b16_e32 v5, 8, v1
	v_lshlrev_b32_e32 v1, 25, v1
	v_lshrrev_b32_e32 v6, 4, v1
	v_and_or_b32 v7, v5, s2, 0.5
	v_or_b32_e32 v6, 0x70000000, v6
	v_add_f32_e32 v7, -0.5, v7
	v_mul_f32_e32 v6, 0x7800000, v6
	v_cmp_gt_u32_e32 vcc, s3, v1
	v_bfe_i32 v5, v5, 0, 16
	v_cndmask_b32_e32 v1, v6, v7, vcc
	s_brev_b32 s2, 1
	v_and_or_b32 v1, v5, s2, v1
	v_cvt_f16_f32_e32 v5, v1
.LBB183_101:
	s_mov_b64 s[6:7], 0
	s_mov_b64 s[2:3], -1
.LBB183_102:
	s_andn2_b64 vcc, exec, s[6:7]
	s_cbranch_vccnz .LBB183_115
; %bb.103:
	s_cmp_gt_i32 s44, 14
	s_cbranch_scc0 .LBB183_106
; %bb.104:
	s_cmp_eq_u32 s44, 15
	s_cbranch_scc0 .LBB183_109
; %bb.105:
	global_load_ushort v1, v[3:4], off
	s_mov_b64 s[2:3], -1
	s_mov_b64 s[46:47], 0
	s_waitcnt vmcnt(0)
	v_lshlrev_b32_e32 v1, 16, v1
	v_cvt_f16_f32_e32 v5, v1
	s_branch .LBB183_110
.LBB183_106:
	s_mov_b64 s[6:7], -1
                                        ; implicit-def: $vgpr5
	s_branch .LBB183_111
.LBB183_107:
	s_or_saveexec_b64 s[6:7], s[6:7]
	v_mov_b32_e32 v5, 0x7e00
	s_xor_b64 exec, exec, s[6:7]
	s_cbranch_execz .LBB183_88
.LBB183_108:
	v_cmp_ne_u16_e32 vcc, 0, v1
	s_andn2_b64 s[2:3], s[2:3], exec
	s_and_b64 s[42:43], vcc, exec
	s_or_b64 s[2:3], s[2:3], s[42:43]
	v_mov_b32_e32 v5, v1
	s_or_b64 exec, exec, s[6:7]
	s_and_saveexec_b64 s[6:7], s[2:3]
	s_cbranch_execnz .LBB183_89
	s_branch .LBB183_90
.LBB183_109:
	s_mov_b64 s[46:47], -1
                                        ; implicit-def: $vgpr5
.LBB183_110:
	s_mov_b64 s[6:7], 0
.LBB183_111:
	s_and_b64 vcc, exec, s[6:7]
	s_cbranch_vccz .LBB183_115
; %bb.112:
	s_cmp_eq_u32 s44, 11
	s_cbranch_scc0 .LBB183_114
; %bb.113:
	global_load_ubyte v1, v[3:4], off
	v_mov_b32_e32 v5, 0x3c00
	s_mov_b64 s[2:3], -1
	s_mov_b64 s[46:47], 0
	s_waitcnt vmcnt(0)
	v_cmp_ne_u16_e32 vcc, 0, v1
	v_cndmask_b32_e32 v5, 0, v5, vcc
	s_branch .LBB183_115
.LBB183_114:
	s_mov_b64 s[46:47], -1
                                        ; implicit-def: $vgpr5
.LBB183_115:
	s_branch .LBB183_21
.LBB183_116:
	s_and_b32 s6, 0xffff, s14
	s_cmp_lt_i32 s6, 5
	s_cbranch_scc1 .LBB183_121
; %bb.117:
	s_cmp_lt_i32 s6, 8
	s_cbranch_scc1 .LBB183_122
; %bb.118:
	;; [unrolled: 3-line block ×3, first 2 shown]
	s_cmp_gt_i32 s6, 9
	s_cbranch_scc0 .LBB183_124
; %bb.120:
	global_load_dwordx2 v[5:6], v[3:4], off
	s_movk_i32 s2, 0x1ff
	s_movk_i32 s3, 0xffe
	v_mov_b32_e32 v1, 0x7c00
	v_mov_b32_e32 v7, 0x7e00
	s_movk_i32 s7, 0x40f
	s_mov_b32 s14, 0x8000
	s_waitcnt vmcnt(0)
	v_and_or_b32 v5, v6, s2, v5
	v_cmp_ne_u32_e32 vcc, 0, v5
	v_lshrrev_b32_e32 v9, 8, v6
	v_bfe_u32 v10, v6, 20, 11
	v_cndmask_b32_e64 v5, 0, 1, vcc
	v_sub_u32_e32 v11, 0x3f1, v10
	v_and_or_b32 v5, v9, s3, v5
	v_add_u32_e32 v10, 0xfffffc10, v10
	v_med3_i32 v9, v11, 0, 13
	v_or_b32_e32 v11, 0x1000, v5
	v_cmp_ne_u32_e32 vcc, 0, v5
	v_lshl_or_b32 v12, v10, 12, v5
	v_cndmask_b32_e32 v5, v1, v7, vcc
	v_lshrrev_b32_e32 v7, v9, v11
	v_lshlrev_b32_e32 v9, v9, v7
	v_cmp_ne_u32_e32 vcc, v9, v11
	v_cndmask_b32_e64 v9, 0, 1, vcc
	v_or_b32_e32 v7, v7, v9
	v_cmp_gt_i32_e32 vcc, 1, v10
	v_cndmask_b32_e32 v7, v12, v7, vcc
	v_and_b32_e32 v9, 7, v7
	v_cmp_lt_i32_e32 vcc, 5, v9
	v_cndmask_b32_e64 v11, 0, 1, vcc
	v_cmp_eq_u32_e32 vcc, 3, v9
	v_cndmask_b32_e64 v9, 0, 1, vcc
	v_lshrrev_b32_e32 v7, 2, v7
	v_or_b32_e32 v9, v9, v11
	v_add_u32_e32 v7, v7, v9
	v_cmp_gt_i32_e32 vcc, 31, v10
	v_cndmask_b32_e32 v1, v1, v7, vcc
	v_cmp_eq_u32_e32 vcc, s7, v10
	v_lshrrev_b32_e32 v6, 16, v6
	v_cndmask_b32_e32 v1, v1, v5, vcc
	v_and_or_b32 v5, v6, s14, v1
	s_mov_b64 s[2:3], 0
	s_branch .LBB183_125
.LBB183_121:
                                        ; implicit-def: $vgpr5
	s_branch .LBB183_143
.LBB183_122:
	s_mov_b64 s[2:3], -1
                                        ; implicit-def: $vgpr5
	s_branch .LBB183_131
.LBB183_123:
	s_mov_b64 s[2:3], -1
                                        ; implicit-def: $vgpr5
	s_branch .LBB183_128
.LBB183_124:
	s_mov_b64 s[2:3], -1
                                        ; implicit-def: $vgpr5
.LBB183_125:
	s_andn2_b64 vcc, exec, s[2:3]
	s_cbranch_vccnz .LBB183_127
; %bb.126:
	global_load_dword v1, v[3:4], off
	s_waitcnt vmcnt(0)
	v_cvt_f16_f32_e32 v5, v1
.LBB183_127:
	s_mov_b64 s[2:3], 0
.LBB183_128:
	s_andn2_b64 vcc, exec, s[2:3]
	s_cbranch_vccnz .LBB183_130
; %bb.129:
	global_load_dword v5, v[3:4], off
.LBB183_130:
	s_mov_b64 s[2:3], 0
.LBB183_131:
	s_andn2_b64 vcc, exec, s[2:3]
	s_cbranch_vccnz .LBB183_142
; %bb.132:
	s_cmp_lt_i32 s6, 6
	s_cbranch_scc1 .LBB183_135
; %bb.133:
	s_cmp_gt_i32 s6, 6
	s_cbranch_scc0 .LBB183_136
; %bb.134:
	global_load_dwordx2 v[5:6], v[3:4], off
	s_movk_i32 s2, 0x1ff
	s_movk_i32 s3, 0xffe
	v_mov_b32_e32 v1, 0x7c00
	v_mov_b32_e32 v7, 0x7e00
	s_movk_i32 s7, 0x40f
	s_mov_b32 s14, 0x8000
	s_waitcnt vmcnt(0)
	v_and_or_b32 v5, v6, s2, v5
	v_cmp_ne_u32_e32 vcc, 0, v5
	v_lshrrev_b32_e32 v9, 8, v6
	v_bfe_u32 v10, v6, 20, 11
	v_cndmask_b32_e64 v5, 0, 1, vcc
	v_sub_u32_e32 v11, 0x3f1, v10
	v_and_or_b32 v5, v9, s3, v5
	v_add_u32_e32 v10, 0xfffffc10, v10
	v_med3_i32 v9, v11, 0, 13
	v_or_b32_e32 v11, 0x1000, v5
	v_cmp_ne_u32_e32 vcc, 0, v5
	v_lshl_or_b32 v12, v10, 12, v5
	v_cndmask_b32_e32 v5, v1, v7, vcc
	v_lshrrev_b32_e32 v7, v9, v11
	v_lshlrev_b32_e32 v9, v9, v7
	v_cmp_ne_u32_e32 vcc, v9, v11
	v_cndmask_b32_e64 v9, 0, 1, vcc
	v_or_b32_e32 v7, v7, v9
	v_cmp_gt_i32_e32 vcc, 1, v10
	v_cndmask_b32_e32 v7, v12, v7, vcc
	v_and_b32_e32 v9, 7, v7
	v_cmp_lt_i32_e32 vcc, 5, v9
	v_cndmask_b32_e64 v11, 0, 1, vcc
	v_cmp_eq_u32_e32 vcc, 3, v9
	v_cndmask_b32_e64 v9, 0, 1, vcc
	v_lshrrev_b32_e32 v7, 2, v7
	v_or_b32_e32 v9, v9, v11
	v_add_u32_e32 v7, v7, v9
	v_cmp_gt_i32_e32 vcc, 31, v10
	v_cndmask_b32_e32 v1, v1, v7, vcc
	v_cmp_eq_u32_e32 vcc, s7, v10
	v_lshrrev_b32_e32 v6, 16, v6
	v_cndmask_b32_e32 v1, v1, v5, vcc
	v_and_or_b32 v5, v6, s14, v1
	s_mov_b64 s[2:3], 0
	s_branch .LBB183_137
.LBB183_135:
	s_mov_b64 s[2:3], -1
                                        ; implicit-def: $vgpr5
	s_branch .LBB183_140
.LBB183_136:
	s_mov_b64 s[2:3], -1
                                        ; implicit-def: $vgpr5
.LBB183_137:
	s_andn2_b64 vcc, exec, s[2:3]
	s_cbranch_vccnz .LBB183_139
; %bb.138:
	global_load_dword v1, v[3:4], off
	s_waitcnt vmcnt(0)
	v_cvt_f16_f32_e32 v5, v1
.LBB183_139:
	s_mov_b64 s[2:3], 0
.LBB183_140:
	s_andn2_b64 vcc, exec, s[2:3]
	s_cbranch_vccnz .LBB183_142
; %bb.141:
	global_load_ushort v5, v[3:4], off
.LBB183_142:
	s_cbranch_execnz .LBB183_162
.LBB183_143:
	s_cmp_lt_i32 s6, 2
	s_cbranch_scc1 .LBB183_147
; %bb.144:
	s_cmp_lt_i32 s6, 3
	s_cbranch_scc1 .LBB183_148
; %bb.145:
	s_cmp_gt_i32 s6, 3
	s_cbranch_scc0 .LBB183_149
; %bb.146:
	global_load_dwordx2 v[5:6], v[3:4], off
	s_mov_b64 s[2:3], 0
	s_waitcnt vmcnt(0)
	v_xor_b32_e32 v7, v5, v6
	v_ffbh_i32_e32 v1, v6
	v_ashrrev_i32_e32 v7, 31, v7
	v_add_u32_e32 v1, -1, v1
	v_add_u32_e32 v7, 32, v7
	v_min_u32_e32 v1, v1, v7
	v_lshlrev_b64 v[5:6], v1, v[5:6]
	v_sub_u32_e32 v1, 32, v1
	v_min_u32_e32 v5, 1, v5
	v_or_b32_e32 v5, v6, v5
	v_cvt_f32_i32_e32 v5, v5
	v_ldexp_f32 v1, v5, v1
	v_cvt_f16_f32_e32 v5, v1
	s_branch .LBB183_150
.LBB183_147:
	s_mov_b64 s[2:3], -1
                                        ; implicit-def: $vgpr5
	s_branch .LBB183_156
.LBB183_148:
	s_mov_b64 s[2:3], -1
                                        ; implicit-def: $vgpr5
	s_branch .LBB183_153
.LBB183_149:
	s_mov_b64 s[2:3], -1
                                        ; implicit-def: $vgpr5
.LBB183_150:
	s_andn2_b64 vcc, exec, s[2:3]
	s_cbranch_vccnz .LBB183_152
; %bb.151:
	global_load_dword v1, v[3:4], off
	s_waitcnt vmcnt(0)
	v_cvt_f32_i32_e32 v1, v1
	v_cvt_f16_f32_e32 v5, v1
.LBB183_152:
	s_mov_b64 s[2:3], 0
.LBB183_153:
	s_andn2_b64 vcc, exec, s[2:3]
	s_cbranch_vccnz .LBB183_155
; %bb.154:
	global_load_ushort v1, v[3:4], off
	s_waitcnt vmcnt(0)
	v_cvt_f16_i16_e32 v5, v1
.LBB183_155:
	s_mov_b64 s[2:3], 0
.LBB183_156:
	s_andn2_b64 vcc, exec, s[2:3]
	s_cbranch_vccnz .LBB183_162
; %bb.157:
	s_cmp_gt_i32 s6, 0
	s_cbranch_scc0 .LBB183_159
; %bb.158:
	global_load_sbyte v1, v[3:4], off
	s_mov_b64 s[2:3], 0
	s_waitcnt vmcnt(0)
	v_cvt_f16_i16_e32 v5, v1
	s_branch .LBB183_160
.LBB183_159:
	s_mov_b64 s[2:3], -1
                                        ; implicit-def: $vgpr5
.LBB183_160:
	s_andn2_b64 vcc, exec, s[2:3]
	s_cbranch_vccnz .LBB183_162
; %bb.161:
	global_load_ubyte v1, v[3:4], off
	s_waitcnt vmcnt(0)
	v_cvt_f16_u16_e32 v5, v1
.LBB183_162:
	s_branch .LBB183_22
.LBB183_163:
	s_mov_b64 s[6:7], 0
	s_mov_b64 s[44:45], 0
	s_branch .LBB183_392
.LBB183_164:
	s_mov_b64 s[44:45], -1
.LBB183_165:
	s_mov_b64 s[2:3], 0
                                        ; implicit-def: $vgpr3
.LBB183_166:
	s_and_b64 vcc, exec, s[6:7]
	s_cbranch_vccz .LBB183_282
; %bb.167:
	s_cmp_eq_u32 s50, 44
	s_cbranch_scc0 .LBB183_281
; %bb.168:
	global_load_ubyte v3, v[1:2], off
	s_movk_i32 s6, 0xff
	v_mov_b32_e32 v6, 0x7e00
	s_mov_b64 s[2:3], -1
	s_mov_b64 s[44:45], 0
	s_waitcnt vmcnt(0)
	v_lshlrev_b32_e32 v4, 23, v3
	v_cvt_f16_f32_e32 v4, v4
	v_cmp_ne_u32_e32 vcc, s6, v3
	v_cndmask_b32_e32 v4, v6, v4, vcc
	v_cmp_ne_u32_e32 vcc, 0, v3
	v_cndmask_b32_e32 v3, 0, v4, vcc
	s_branch .LBB183_282
.LBB183_169:
	s_mov_b64 s[50:51], -1
	s_mov_b64 s[6:7], 0
	s_mov_b64 s[42:43], 0
.LBB183_170:
	s_and_b64 vcc, exec, s[50:51]
	s_cbranch_vccz .LBB183_175
; %bb.171:
	s_cmp_eq_u32 s56, 44
	s_mov_b64 s[6:7], -1
	s_cbranch_scc0 .LBB183_175
; %bb.172:
	v_cndmask_b32_e64 v3, 0, 1.0, s[2:3]
	v_lshrrev_b32_e32 v2, 23, v3
	s_movk_i32 s6, 0xff
	v_cmp_ne_u32_e32 vcc, s6, v2
	v_mov_b32_e32 v4, 0xff
	s_and_saveexec_b64 s[42:43], vcc
; %bb.173:
	s_mov_b32 s6, 0x3fffff
	v_and_b32_e32 v4, 0x400000, v3
	v_and_or_b32 v3, v3, s6, v2
	v_cmp_ne_u32_e32 vcc, 0, v4
	v_cmp_ne_u32_e64 s[6:7], 0, v3
	s_and_b64 s[6:7], vcc, s[6:7]
	v_cndmask_b32_e64 v3, 0, 1, s[6:7]
	v_add_u32_e32 v4, v2, v3
; %bb.174:
	s_or_b64 exec, exec, s[42:43]
	s_mov_b64 s[42:43], -1
	s_mov_b64 s[6:7], 0
	global_store_byte v[0:1], v4, off
.LBB183_175:
	s_mov_b64 s[50:51], 0
.LBB183_176:
	s_and_b64 vcc, exec, s[50:51]
	s_cbranch_vccz .LBB183_179
; %bb.177:
	s_cmp_eq_u32 s56, 29
	s_mov_b64 s[6:7], -1
	s_cbranch_scc0 .LBB183_179
; %bb.178:
	s_mov_b32 s6, 0
	v_cndmask_b32_e64 v2, 0, 1, s[2:3]
	v_mov_b32_e32 v3, s6
	global_store_dwordx2 v[0:1], v[2:3], off
	s_mov_b64 s[42:43], -1
	s_mov_b64 s[6:7], 0
.LBB183_179:
	s_mov_b64 s[50:51], 0
.LBB183_180:
	s_and_b64 vcc, exec, s[50:51]
	s_cbranch_vccz .LBB183_196
; %bb.181:
	s_cmp_lt_i32 s56, 27
	s_mov_b64 s[42:43], -1
	s_cbranch_scc1 .LBB183_187
; %bb.182:
	s_cmp_gt_i32 s56, 27
	s_cbranch_scc0 .LBB183_184
; %bb.183:
	v_cndmask_b32_e64 v2, 0, 1, s[2:3]
	s_mov_b64 s[42:43], 0
	global_store_dword v[0:1], v2, off
.LBB183_184:
	s_andn2_b64 vcc, exec, s[42:43]
	s_cbranch_vccnz .LBB183_186
; %bb.185:
	v_cndmask_b32_e64 v2, 0, 1, s[2:3]
	global_store_short v[0:1], v2, off
.LBB183_186:
	s_mov_b64 s[42:43], 0
.LBB183_187:
	s_andn2_b64 vcc, exec, s[42:43]
	s_cbranch_vccnz .LBB183_195
; %bb.188:
	v_cndmask_b32_e64 v3, 0, 1.0, s[2:3]
	s_mov_b32 s42, 0x43800000
	v_cmp_gt_u32_e32 vcc, s42, v3
	v_mov_b32_e32 v4, 0x80
	s_and_saveexec_b64 s[42:43], vcc
	s_cbranch_execz .LBB183_194
; %bb.189:
	s_mov_b32 s50, 0x3bffffff
	v_cmp_lt_u32_e32 vcc, s50, v3
	s_mov_b64 s[50:51], 0
                                        ; implicit-def: $vgpr2
	s_and_saveexec_b64 s[54:55], vcc
	s_xor_b64 s[54:55], exec, s[54:55]
	s_cbranch_execz .LBB183_434
; %bb.190:
	v_bfe_u32 v2, v3, 20, 1
	s_mov_b32 s57, 0x487ffff
	v_add3_u32 v2, v3, v2, s57
	s_mov_b64 s[50:51], exec
	v_lshrrev_b32_e32 v2, 20, v2
                                        ; implicit-def: $vgpr3
	s_andn2_saveexec_b64 s[54:55], s[54:55]
	s_cbranch_execnz .LBB183_435
.LBB183_191:
	s_or_b64 exec, exec, s[54:55]
	v_mov_b32_e32 v4, 0
	s_and_saveexec_b64 s[54:55], s[50:51]
.LBB183_192:
	v_mov_b32_e32 v4, v2
.LBB183_193:
	s_or_b64 exec, exec, s[54:55]
.LBB183_194:
	s_or_b64 exec, exec, s[42:43]
	global_store_byte v[0:1], v4, off
.LBB183_195:
	s_mov_b64 s[42:43], -1
.LBB183_196:
	s_mov_b64 s[50:51], 0
.LBB183_197:
	s_and_b64 vcc, exec, s[50:51]
	s_cbranch_vccz .LBB183_238
; %bb.198:
	s_cmp_gt_i32 s56, 22
	s_mov_b64 s[50:51], -1
	s_cbranch_scc0 .LBB183_230
; %bb.199:
	s_cmp_lt_i32 s56, 24
	s_mov_b64 s[42:43], -1
	s_cbranch_scc1 .LBB183_219
; %bb.200:
	s_cmp_gt_i32 s56, 24
	s_cbranch_scc0 .LBB183_208
; %bb.201:
	v_cndmask_b32_e64 v3, 0, 1.0, s[2:3]
	s_mov_b32 s42, 0x47800000
	v_cmp_gt_u32_e32 vcc, s42, v3
	v_mov_b32_e32 v4, 0x80
	s_and_saveexec_b64 s[42:43], vcc
	s_cbranch_execz .LBB183_207
; %bb.202:
	s_mov_b32 s50, 0x37ffffff
	v_cmp_lt_u32_e32 vcc, s50, v3
	s_mov_b64 s[50:51], 0
                                        ; implicit-def: $vgpr2
	s_and_saveexec_b64 s[54:55], vcc
	s_xor_b64 s[54:55], exec, s[54:55]
	s_cbranch_execz .LBB183_553
; %bb.203:
	v_bfe_u32 v2, v3, 21, 1
	s_mov_b32 s57, 0x88fffff
	v_add3_u32 v2, v3, v2, s57
	s_mov_b64 s[50:51], exec
	v_lshrrev_b32_e32 v2, 21, v2
                                        ; implicit-def: $vgpr3
	s_andn2_saveexec_b64 s[54:55], s[54:55]
	s_cbranch_execnz .LBB183_554
.LBB183_204:
	s_or_b64 exec, exec, s[54:55]
	v_mov_b32_e32 v4, 0
	s_and_saveexec_b64 s[54:55], s[50:51]
.LBB183_205:
	v_mov_b32_e32 v4, v2
.LBB183_206:
	s_or_b64 exec, exec, s[54:55]
.LBB183_207:
	s_or_b64 exec, exec, s[42:43]
	s_mov_b64 s[42:43], 0
	global_store_byte v[0:1], v4, off
.LBB183_208:
	s_and_b64 vcc, exec, s[42:43]
	s_cbranch_vccz .LBB183_218
; %bb.209:
	v_cndmask_b32_e64 v2, 0, 1.0, s[2:3]
	s_mov_b32 s42, 0x43f00000
	v_cmp_gt_u32_e32 vcc, s42, v2
                                        ; implicit-def: $vgpr3
	s_and_saveexec_b64 s[42:43], vcc
	s_xor_b64 s[42:43], exec, s[42:43]
	s_cbranch_execz .LBB183_215
; %bb.210:
	s_mov_b32 s50, 0x3c7fffff
	v_cmp_lt_u32_e32 vcc, s50, v2
                                        ; implicit-def: $vgpr3
	s_and_saveexec_b64 s[50:51], vcc
	s_xor_b64 s[50:51], exec, s[50:51]
; %bb.211:
	v_bfe_u32 v3, v2, 20, 1
	s_mov_b32 s54, 0x407ffff
	v_add3_u32 v2, v2, v3, s54
	v_lshrrev_b32_e32 v3, 20, v2
	v_and_b32_e32 v2, 0xff00000, v2
	s_mov_b32 s54, 0x7f00000
	v_mov_b32_e32 v4, 0x7e
	v_cmp_ne_u32_e32 vcc, s54, v2
	v_cndmask_b32_e32 v3, v4, v3, vcc
                                        ; implicit-def: $vgpr2
; %bb.212:
	s_andn2_saveexec_b64 s[50:51], s[50:51]
; %bb.213:
	v_add_f32_e32 v3, 0x46800000, v2
; %bb.214:
	s_or_b64 exec, exec, s[50:51]
                                        ; implicit-def: $vgpr2
.LBB183_215:
	s_andn2_saveexec_b64 s[42:43], s[42:43]
; %bb.216:
	s_mov_b32 s50, 0x7f800000
	v_mov_b32_e32 v3, 0x7e
	v_mov_b32_e32 v4, 0x7f
	v_cmp_lt_u32_e32 vcc, s50, v2
	v_cndmask_b32_e32 v3, v3, v4, vcc
; %bb.217:
	s_or_b64 exec, exec, s[42:43]
	global_store_byte v[0:1], v3, off
.LBB183_218:
	s_mov_b64 s[42:43], 0
.LBB183_219:
	s_andn2_b64 vcc, exec, s[42:43]
	s_cbranch_vccnz .LBB183_229
; %bb.220:
	v_cndmask_b32_e64 v2, 0, 1.0, s[2:3]
	s_mov_b32 s42, 0x47800000
	v_cmp_gt_u32_e32 vcc, s42, v2
                                        ; implicit-def: $vgpr3
	s_and_saveexec_b64 s[42:43], vcc
	s_xor_b64 s[42:43], exec, s[42:43]
	s_cbranch_execz .LBB183_226
; %bb.221:
	s_mov_b32 s50, 0x387fffff
	v_cmp_lt_u32_e32 vcc, s50, v2
                                        ; implicit-def: $vgpr3
	s_and_saveexec_b64 s[50:51], vcc
	s_xor_b64 s[50:51], exec, s[50:51]
; %bb.222:
	v_bfe_u32 v3, v2, 21, 1
	s_mov_b32 s54, 0x80fffff
	v_add3_u32 v2, v2, v3, s54
	v_lshrrev_b32_e32 v3, 21, v2
                                        ; implicit-def: $vgpr2
; %bb.223:
	s_andn2_saveexec_b64 s[50:51], s[50:51]
; %bb.224:
	v_add_f32_e32 v3, 0x43000000, v2
; %bb.225:
	s_or_b64 exec, exec, s[50:51]
                                        ; implicit-def: $vgpr2
.LBB183_226:
	s_andn2_saveexec_b64 s[42:43], s[42:43]
; %bb.227:
	s_mov_b32 s50, 0x7f800000
	v_mov_b32_e32 v3, 0x7c
	v_mov_b32_e32 v4, 0x7f
	v_cmp_lt_u32_e32 vcc, s50, v2
	v_cndmask_b32_e32 v3, v3, v4, vcc
; %bb.228:
	s_or_b64 exec, exec, s[42:43]
	global_store_byte v[0:1], v3, off
.LBB183_229:
	s_mov_b64 s[50:51], 0
	s_mov_b64 s[42:43], -1
.LBB183_230:
	s_andn2_b64 vcc, exec, s[50:51]
	s_cbranch_vccnz .LBB183_238
; %bb.231:
	s_cmp_gt_i32 s56, 14
	s_mov_b64 s[50:51], -1
	s_cbranch_scc0 .LBB183_235
; %bb.232:
	s_cmp_eq_u32 s56, 15
	s_mov_b64 s[6:7], -1
	s_cbranch_scc0 .LBB183_234
; %bb.233:
	v_cndmask_b32_e64 v2, 0, 1.0, s[2:3]
	v_bfe_u32 v3, v2, 16, 1
	s_movk_i32 s6, 0x7fff
	v_add3_u32 v2, v2, v3, s6
	global_store_short_d16_hi v[0:1], v2, off
	s_mov_b64 s[42:43], -1
	s_mov_b64 s[6:7], 0
.LBB183_234:
	s_mov_b64 s[50:51], 0
.LBB183_235:
	s_and_b64 vcc, exec, s[50:51]
	s_cbranch_vccz .LBB183_238
; %bb.236:
	s_cmp_eq_u32 s56, 11
	s_mov_b64 s[6:7], -1
	s_cbranch_scc0 .LBB183_238
; %bb.237:
	v_cndmask_b32_e64 v2, 0, 1, s[2:3]
	s_mov_b64 s[42:43], -1
	s_mov_b64 s[6:7], 0
	global_store_byte v[0:1], v2, off
.LBB183_238:
	s_mov_b64 s[50:51], 0
.LBB183_239:
	s_and_b64 vcc, exec, s[50:51]
	s_cbranch_vccz .LBB183_278
; %bb.240:
	s_and_b32 s14, 0xffff, s14
	s_cmp_lt_i32 s14, 5
	s_mov_b64 s[42:43], -1
	s_cbranch_scc1 .LBB183_261
; %bb.241:
	s_cmp_lt_i32 s14, 8
	s_cbranch_scc1 .LBB183_251
; %bb.242:
	s_cmp_lt_i32 s14, 9
	s_cbranch_scc1 .LBB183_248
; %bb.243:
	s_cmp_gt_i32 s14, 9
	s_cbranch_scc0 .LBB183_245
; %bb.244:
	v_cndmask_b32_e64 v2, 0, 1, s[2:3]
	v_cvt_f64_u32_e32 v[2:3], v2
	v_mov_b32_e32 v4, 0
	v_mov_b32_e32 v5, v4
	s_mov_b64 s[42:43], 0
	global_store_dwordx4 v[0:1], v[2:5], off
.LBB183_245:
	s_andn2_b64 vcc, exec, s[42:43]
	s_cbranch_vccnz .LBB183_247
; %bb.246:
	v_cndmask_b32_e64 v2, 0, 1.0, s[2:3]
	v_mov_b32_e32 v3, 0
	global_store_dwordx2 v[0:1], v[2:3], off
.LBB183_247:
	s_mov_b64 s[42:43], 0
.LBB183_248:
	s_andn2_b64 vcc, exec, s[42:43]
	s_cbranch_vccnz .LBB183_250
; %bb.249:
	v_cndmask_b32_e64 v2, 0, 1.0, s[2:3]
	v_cvt_f16_f32_e32 v2, v2
	global_store_dword v[0:1], v2, off
.LBB183_250:
	s_mov_b64 s[42:43], 0
.LBB183_251:
	s_andn2_b64 vcc, exec, s[42:43]
	s_cbranch_vccnz .LBB183_260
; %bb.252:
	s_cmp_lt_i32 s14, 6
	s_mov_b64 s[42:43], -1
	s_cbranch_scc1 .LBB183_258
; %bb.253:
	s_cmp_gt_i32 s14, 6
	s_cbranch_scc0 .LBB183_255
; %bb.254:
	v_cndmask_b32_e64 v2, 0, 1, s[2:3]
	v_cvt_f64_u32_e32 v[2:3], v2
	s_mov_b64 s[42:43], 0
	global_store_dwordx2 v[0:1], v[2:3], off
.LBB183_255:
	s_andn2_b64 vcc, exec, s[42:43]
	s_cbranch_vccnz .LBB183_257
; %bb.256:
	v_cndmask_b32_e64 v2, 0, 1.0, s[2:3]
	global_store_dword v[0:1], v2, off
.LBB183_257:
	s_mov_b64 s[42:43], 0
.LBB183_258:
	s_andn2_b64 vcc, exec, s[42:43]
	s_cbranch_vccnz .LBB183_260
; %bb.259:
	v_cndmask_b32_e64 v2, 0, 1.0, s[2:3]
	v_cvt_f16_f32_e32 v2, v2
	global_store_short v[0:1], v2, off
.LBB183_260:
	s_mov_b64 s[42:43], 0
.LBB183_261:
	s_andn2_b64 vcc, exec, s[42:43]
	s_cbranch_vccnz .LBB183_277
; %bb.262:
	s_cmp_lt_i32 s14, 2
	s_mov_b64 s[42:43], -1
	s_cbranch_scc1 .LBB183_272
; %bb.263:
	s_cmp_lt_i32 s14, 3
	s_cbranch_scc1 .LBB183_269
; %bb.264:
	s_cmp_gt_i32 s14, 3
	s_cbranch_scc0 .LBB183_266
; %bb.265:
	s_mov_b32 s42, 0
	v_cndmask_b32_e64 v2, 0, 1, s[2:3]
	v_mov_b32_e32 v3, s42
	global_store_dwordx2 v[0:1], v[2:3], off
	s_mov_b64 s[42:43], 0
.LBB183_266:
	s_andn2_b64 vcc, exec, s[42:43]
	s_cbranch_vccnz .LBB183_268
; %bb.267:
	v_cndmask_b32_e64 v2, 0, 1, s[2:3]
	global_store_dword v[0:1], v2, off
.LBB183_268:
	s_mov_b64 s[42:43], 0
.LBB183_269:
	s_andn2_b64 vcc, exec, s[42:43]
	s_cbranch_vccnz .LBB183_271
; %bb.270:
	v_cndmask_b32_e64 v2, 0, 1, s[2:3]
	global_store_short v[0:1], v2, off
.LBB183_271:
	s_mov_b64 s[42:43], 0
.LBB183_272:
	s_andn2_b64 vcc, exec, s[42:43]
	s_cbranch_vccnz .LBB183_277
; %bb.273:
	s_cmp_gt_i32 s14, 0
	s_mov_b64 s[42:43], -1
	s_cbranch_scc0 .LBB183_275
; %bb.274:
	v_cndmask_b32_e64 v2, 0, 1, s[2:3]
	global_store_byte v[0:1], v2, off
	s_mov_b64 s[42:43], 0
.LBB183_275:
	s_andn2_b64 vcc, exec, s[42:43]
	s_cbranch_vccnz .LBB183_277
; %bb.276:
	v_cndmask_b32_e64 v2, 0, 1, s[2:3]
	global_store_byte v[0:1], v2, off
.LBB183_277:
	s_mov_b64 s[42:43], -1
.LBB183_278:
	s_andn2_b64 vcc, exec, s[42:43]
	s_cbranch_vccnz .LBB183_280
; %bb.279:
	v_add_u32_e32 v8, 0x80, v8
	s_mov_b64 s[2:3], -1
	s_branch .LBB183_393
.LBB183_280:
	s_mov_b64 s[2:3], 0
                                        ; implicit-def: $vgpr8
	s_branch .LBB183_393
.LBB183_281:
	s_mov_b64 s[44:45], -1
                                        ; implicit-def: $vgpr3
.LBB183_282:
	s_mov_b64 s[6:7], 0
.LBB183_283:
	s_and_b64 vcc, exec, s[6:7]
	s_cbranch_vccz .LBB183_287
; %bb.284:
	s_cmp_eq_u32 s50, 29
	s_cbranch_scc0 .LBB183_286
; %bb.285:
	global_load_dwordx2 v[3:4], v[1:2], off
	s_mov_b64 s[2:3], -1
	s_mov_b64 s[44:45], 0
	s_mov_b64 s[6:7], 0
	s_waitcnt vmcnt(0)
	v_ffbh_u32_e32 v6, v4
	v_min_u32_e32 v6, 32, v6
	v_lshlrev_b64 v[3:4], v6, v[3:4]
	v_min_u32_e32 v3, 1, v3
	v_or_b32_e32 v3, v4, v3
	v_cvt_f32_u32_e32 v3, v3
	v_sub_u32_e32 v4, 32, v6
	v_ldexp_f32 v3, v3, v4
	v_cvt_f16_f32_e32 v3, v3
	s_branch .LBB183_288
.LBB183_286:
	s_mov_b64 s[44:45], -1
                                        ; implicit-def: $vgpr3
.LBB183_287:
	s_mov_b64 s[6:7], 0
.LBB183_288:
	s_and_b64 vcc, exec, s[6:7]
	s_cbranch_vccz .LBB183_306
; %bb.289:
	s_cmp_lt_i32 s50, 27
	s_cbranch_scc1 .LBB183_292
; %bb.290:
	s_cmp_gt_i32 s50, 27
	s_cbranch_scc0 .LBB183_293
; %bb.291:
	global_load_dword v3, v[1:2], off
	s_mov_b64 s[2:3], 0
	s_waitcnt vmcnt(0)
	v_cvt_f32_u32_e32 v3, v3
	v_cvt_f16_f32_e32 v3, v3
	s_branch .LBB183_294
.LBB183_292:
	s_mov_b64 s[2:3], -1
                                        ; implicit-def: $vgpr3
	s_branch .LBB183_297
.LBB183_293:
	s_mov_b64 s[2:3], -1
                                        ; implicit-def: $vgpr3
.LBB183_294:
	s_andn2_b64 vcc, exec, s[2:3]
	s_cbranch_vccnz .LBB183_296
; %bb.295:
	global_load_ushort v3, v[1:2], off
	s_waitcnt vmcnt(0)
	v_cvt_f16_u16_e32 v3, v3
.LBB183_296:
	s_mov_b64 s[2:3], 0
.LBB183_297:
	s_andn2_b64 vcc, exec, s[2:3]
	s_cbranch_vccnz .LBB183_305
; %bb.298:
	global_load_ubyte v4, v[1:2], off
	s_movk_i32 s2, 0x7f
	s_waitcnt vmcnt(0)
	v_cmp_lt_i16_e32 vcc, s2, v4
	s_mov_b64 s[2:3], 0
	s_and_saveexec_b64 s[6:7], vcc
	s_xor_b64 s[6:7], exec, s[6:7]
	s_cbranch_execz .LBB183_319
; %bb.299:
	s_movk_i32 s2, 0x80
	v_cmp_eq_u16_e32 vcc, s2, v4
	s_mov_b64 s[2:3], -1
	s_and_saveexec_b64 s[42:43], vcc
; %bb.300:
	s_xor_b64 s[2:3], exec, -1
; %bb.301:
	s_or_b64 exec, exec, s[42:43]
	s_and_b64 s[2:3], s[2:3], exec
	s_or_saveexec_b64 s[6:7], s[6:7]
	v_mov_b32_e32 v3, 0x7e00
	s_xor_b64 exec, exec, s[6:7]
	s_cbranch_execnz .LBB183_320
.LBB183_302:
	s_or_b64 exec, exec, s[6:7]
	s_and_saveexec_b64 s[6:7], s[2:3]
	s_cbranch_execz .LBB183_304
.LBB183_303:
	v_lshlrev_b32_e32 v3, 24, v4
	v_and_b32_e32 v4, 0xffff, v4
	v_and_b32_e32 v6, 7, v4
	v_ffbh_u32_e32 v9, v6
	v_min_u32_e32 v9, 32, v9
	v_subrev_u32_e32 v10, 28, v9
	v_bfe_u32 v7, v4, 3, 4
	v_lshlrev_b32_e32 v4, v10, v4
	v_sub_u32_e32 v9, 29, v9
	v_and_b32_e32 v4, 7, v4
	v_cmp_eq_u32_e32 vcc, 0, v7
	v_cndmask_b32_e32 v7, v7, v9, vcc
	v_cndmask_b32_e32 v4, v6, v4, vcc
	v_mov_b32_e32 v6, 0x3b800000
	v_lshlrev_b32_e32 v4, 20, v4
	v_and_b32_e32 v3, 0x80000000, v3
	v_lshl_add_u32 v6, v7, 23, v6
	v_or3_b32 v3, v3, v6, v4
	v_cvt_f16_f32_e32 v3, v3
.LBB183_304:
	s_or_b64 exec, exec, s[6:7]
.LBB183_305:
	s_mov_b64 s[2:3], -1
.LBB183_306:
	s_mov_b64 s[6:7], 0
.LBB183_307:
	s_and_b64 vcc, exec, s[6:7]
	s_cbranch_vccz .LBB183_342
; %bb.308:
	s_cmp_gt_i32 s50, 22
	s_cbranch_scc0 .LBB183_318
; %bb.309:
	s_cmp_lt_i32 s50, 24
	s_cbranch_scc1 .LBB183_321
; %bb.310:
	s_cmp_gt_i32 s50, 24
	s_cbranch_scc0 .LBB183_322
; %bb.311:
	global_load_ubyte v4, v[1:2], off
	s_movk_i32 s2, 0x7f
	s_waitcnt vmcnt(0)
	v_cmp_lt_i16_e32 vcc, s2, v4
	s_mov_b64 s[2:3], 0
	s_and_saveexec_b64 s[6:7], vcc
	s_xor_b64 s[6:7], exec, s[6:7]
	s_cbranch_execz .LBB183_334
; %bb.312:
	s_movk_i32 s2, 0x80
	v_cmp_eq_u16_e32 vcc, s2, v4
	s_mov_b64 s[2:3], -1
	s_and_saveexec_b64 s[42:43], vcc
; %bb.313:
	s_xor_b64 s[2:3], exec, -1
; %bb.314:
	s_or_b64 exec, exec, s[42:43]
	s_and_b64 s[2:3], s[2:3], exec
	s_or_saveexec_b64 s[6:7], s[6:7]
	v_mov_b32_e32 v3, 0x7e00
	s_xor_b64 exec, exec, s[6:7]
	s_cbranch_execnz .LBB183_335
.LBB183_315:
	s_or_b64 exec, exec, s[6:7]
	s_and_saveexec_b64 s[6:7], s[2:3]
	s_cbranch_execz .LBB183_317
.LBB183_316:
	v_lshlrev_b32_e32 v3, 24, v4
	v_and_b32_e32 v4, 0xffff, v4
	v_and_b32_e32 v6, 3, v4
	v_ffbh_u32_e32 v9, v6
	v_min_u32_e32 v9, 32, v9
	v_subrev_u32_e32 v10, 29, v9
	v_bfe_u32 v7, v4, 2, 5
	v_lshlrev_b32_e32 v4, v10, v4
	v_sub_u32_e32 v9, 30, v9
	v_and_b32_e32 v4, 3, v4
	v_cmp_eq_u32_e32 vcc, 0, v7
	v_cndmask_b32_e32 v7, v7, v9, vcc
	v_cndmask_b32_e32 v4, v6, v4, vcc
	v_mov_b32_e32 v6, 0x37800000
	v_lshlrev_b32_e32 v4, 21, v4
	v_and_b32_e32 v3, 0x80000000, v3
	v_lshl_add_u32 v6, v7, 23, v6
	v_or3_b32 v3, v3, v6, v4
	v_cvt_f16_f32_e32 v3, v3
.LBB183_317:
	s_or_b64 exec, exec, s[6:7]
	s_mov_b64 s[2:3], 0
	s_branch .LBB183_323
.LBB183_318:
	s_mov_b64 s[6:7], -1
                                        ; implicit-def: $vgpr3
	s_branch .LBB183_329
.LBB183_319:
	s_or_saveexec_b64 s[6:7], s[6:7]
	v_mov_b32_e32 v3, 0x7e00
	s_xor_b64 exec, exec, s[6:7]
	s_cbranch_execz .LBB183_302
.LBB183_320:
	v_cmp_ne_u16_e32 vcc, 0, v4
	s_andn2_b64 s[2:3], s[2:3], exec
	s_and_b64 s[42:43], vcc, exec
	s_or_b64 s[2:3], s[2:3], s[42:43]
	v_mov_b32_e32 v3, v4
	s_or_b64 exec, exec, s[6:7]
	s_and_saveexec_b64 s[6:7], s[2:3]
	s_cbranch_execnz .LBB183_303
	s_branch .LBB183_304
.LBB183_321:
	s_mov_b64 s[2:3], -1
                                        ; implicit-def: $vgpr3
	s_branch .LBB183_326
.LBB183_322:
	s_mov_b64 s[2:3], -1
                                        ; implicit-def: $vgpr3
.LBB183_323:
	s_and_b64 vcc, exec, s[2:3]
	s_cbranch_vccz .LBB183_325
; %bb.324:
	global_load_ubyte v3, v[1:2], off
	s_mov_b32 s2, 0x7f800000
	s_waitcnt vmcnt(0)
	v_lshlrev_b32_e32 v3, 24, v3
	v_and_b32_e32 v4, 0x7f000000, v3
	v_ffbh_u32_e32 v6, v4
	v_min_u32_e32 v6, 32, v6
	v_sub_u32_e64 v6, v6, 4 clamp
	v_lshlrev_b32_e32 v9, v6, v4
	v_lshlrev_b32_e32 v6, 23, v6
	v_lshrrev_b32_e32 v9, 4, v9
	v_add_u32_e32 v7, 0x1000000, v4
	v_sub_u32_e32 v6, v9, v6
	v_ashrrev_i32_e32 v7, 8, v7
	v_add_u32_e32 v6, 0x3c000000, v6
	v_and_or_b32 v6, v7, s2, v6
	v_cmp_ne_u32_e32 vcc, 0, v4
	v_cndmask_b32_e32 v4, 0, v6, vcc
	s_brev_b32 s2, 1
	v_and_or_b32 v3, v3, s2, v4
	v_cvt_f16_f32_e32 v3, v3
.LBB183_325:
	s_mov_b64 s[2:3], 0
.LBB183_326:
	s_andn2_b64 vcc, exec, s[2:3]
	s_cbranch_vccnz .LBB183_328
; %bb.327:
	global_load_ubyte v3, v[1:2], off
	s_movk_i32 s2, 0x7f00
	s_brev_b32 s3, 16
	s_waitcnt vmcnt(0)
	v_lshlrev_b16_e32 v4, 8, v3
	v_lshlrev_b32_e32 v3, 25, v3
	v_lshrrev_b32_e32 v6, 4, v3
	v_and_or_b32 v7, v4, s2, 0.5
	v_or_b32_e32 v6, 0x70000000, v6
	v_add_f32_e32 v7, -0.5, v7
	v_mul_f32_e32 v6, 0x7800000, v6
	v_cmp_gt_u32_e32 vcc, s3, v3
	v_bfe_i32 v4, v4, 0, 16
	v_cndmask_b32_e32 v3, v6, v7, vcc
	s_brev_b32 s2, 1
	v_and_or_b32 v3, v4, s2, v3
	v_cvt_f16_f32_e32 v3, v3
.LBB183_328:
	s_mov_b64 s[6:7], 0
	s_mov_b64 s[2:3], -1
.LBB183_329:
	s_andn2_b64 vcc, exec, s[6:7]
	s_cbranch_vccnz .LBB183_342
; %bb.330:
	s_cmp_gt_i32 s50, 14
	s_cbranch_scc0 .LBB183_333
; %bb.331:
	s_cmp_eq_u32 s50, 15
	s_cbranch_scc0 .LBB183_336
; %bb.332:
	global_load_ushort v3, v[1:2], off
	s_mov_b64 s[2:3], -1
	s_mov_b64 s[44:45], 0
	s_waitcnt vmcnt(0)
	v_lshlrev_b32_e32 v3, 16, v3
	v_cvt_f16_f32_e32 v3, v3
	s_branch .LBB183_337
.LBB183_333:
	s_mov_b64 s[6:7], -1
                                        ; implicit-def: $vgpr3
	s_branch .LBB183_338
.LBB183_334:
	s_or_saveexec_b64 s[6:7], s[6:7]
	v_mov_b32_e32 v3, 0x7e00
	s_xor_b64 exec, exec, s[6:7]
	s_cbranch_execz .LBB183_315
.LBB183_335:
	v_cmp_ne_u16_e32 vcc, 0, v4
	s_andn2_b64 s[2:3], s[2:3], exec
	s_and_b64 s[42:43], vcc, exec
	s_or_b64 s[2:3], s[2:3], s[42:43]
	v_mov_b32_e32 v3, v4
	s_or_b64 exec, exec, s[6:7]
	s_and_saveexec_b64 s[6:7], s[2:3]
	s_cbranch_execnz .LBB183_316
	s_branch .LBB183_317
.LBB183_336:
	s_mov_b64 s[44:45], -1
                                        ; implicit-def: $vgpr3
.LBB183_337:
	s_mov_b64 s[6:7], 0
.LBB183_338:
	s_and_b64 vcc, exec, s[6:7]
	s_cbranch_vccz .LBB183_342
; %bb.339:
	s_cmp_eq_u32 s50, 11
	s_cbranch_scc0 .LBB183_341
; %bb.340:
	global_load_ubyte v3, v[1:2], off
	v_mov_b32_e32 v4, 0x3c00
	s_mov_b64 s[2:3], -1
	s_mov_b64 s[44:45], 0
	s_waitcnt vmcnt(0)
	v_cmp_ne_u16_e32 vcc, 0, v3
	v_cndmask_b32_e32 v3, 0, v4, vcc
	s_branch .LBB183_342
.LBB183_341:
	s_mov_b64 s[44:45], -1
                                        ; implicit-def: $vgpr3
.LBB183_342:
	s_branch .LBB183_31
.LBB183_343:
	s_and_b32 s6, 0xffff, s14
	s_cmp_lt_i32 s6, 5
	s_cbranch_scc1 .LBB183_348
; %bb.344:
	s_cmp_lt_i32 s6, 8
	s_cbranch_scc1 .LBB183_349
; %bb.345:
	;; [unrolled: 3-line block ×3, first 2 shown]
	s_cmp_gt_i32 s6, 9
	s_cbranch_scc0 .LBB183_351
; %bb.347:
	global_load_dwordx2 v[3:4], v[1:2], off
	s_movk_i32 s2, 0x1ff
	s_movk_i32 s3, 0xffe
	v_mov_b32_e32 v6, 0x7c00
	v_mov_b32_e32 v7, 0x7e00
	s_movk_i32 s7, 0x40f
	s_mov_b32 s14, 0x8000
	s_waitcnt vmcnt(0)
	v_and_or_b32 v3, v4, s2, v3
	v_cmp_ne_u32_e32 vcc, 0, v3
	v_lshrrev_b32_e32 v9, 8, v4
	v_bfe_u32 v10, v4, 20, 11
	v_cndmask_b32_e64 v3, 0, 1, vcc
	v_sub_u32_e32 v11, 0x3f1, v10
	v_and_or_b32 v3, v9, s3, v3
	v_add_u32_e32 v10, 0xfffffc10, v10
	v_med3_i32 v9, v11, 0, 13
	v_or_b32_e32 v11, 0x1000, v3
	v_cmp_ne_u32_e32 vcc, 0, v3
	v_lshl_or_b32 v12, v10, 12, v3
	v_cndmask_b32_e32 v3, v6, v7, vcc
	v_lshrrev_b32_e32 v7, v9, v11
	v_lshlrev_b32_e32 v9, v9, v7
	v_cmp_ne_u32_e32 vcc, v9, v11
	v_cndmask_b32_e64 v9, 0, 1, vcc
	v_or_b32_e32 v7, v7, v9
	v_cmp_gt_i32_e32 vcc, 1, v10
	v_cndmask_b32_e32 v7, v12, v7, vcc
	v_and_b32_e32 v9, 7, v7
	v_cmp_lt_i32_e32 vcc, 5, v9
	v_cndmask_b32_e64 v11, 0, 1, vcc
	v_cmp_eq_u32_e32 vcc, 3, v9
	v_cndmask_b32_e64 v9, 0, 1, vcc
	v_lshrrev_b32_e32 v7, 2, v7
	v_or_b32_e32 v9, v9, v11
	v_add_u32_e32 v7, v7, v9
	v_cmp_gt_i32_e32 vcc, 31, v10
	v_cndmask_b32_e32 v6, v6, v7, vcc
	v_cmp_eq_u32_e32 vcc, s7, v10
	v_lshrrev_b32_e32 v4, 16, v4
	v_cndmask_b32_e32 v3, v6, v3, vcc
	v_and_or_b32 v3, v4, s14, v3
	s_mov_b64 s[2:3], 0
	s_branch .LBB183_352
.LBB183_348:
	s_mov_b64 s[2:3], -1
                                        ; implicit-def: $vgpr3
	s_branch .LBB183_370
.LBB183_349:
	s_mov_b64 s[2:3], -1
                                        ; implicit-def: $vgpr3
	s_branch .LBB183_358
.LBB183_350:
	s_mov_b64 s[2:3], -1
                                        ; implicit-def: $vgpr3
	s_branch .LBB183_355
.LBB183_351:
	s_mov_b64 s[2:3], -1
                                        ; implicit-def: $vgpr3
.LBB183_352:
	s_andn2_b64 vcc, exec, s[2:3]
	s_cbranch_vccnz .LBB183_354
; %bb.353:
	global_load_dword v3, v[1:2], off
	s_waitcnt vmcnt(0)
	v_cvt_f16_f32_e32 v3, v3
.LBB183_354:
	s_mov_b64 s[2:3], 0
.LBB183_355:
	s_andn2_b64 vcc, exec, s[2:3]
	s_cbranch_vccnz .LBB183_357
; %bb.356:
	global_load_dword v3, v[1:2], off
.LBB183_357:
	s_mov_b64 s[2:3], 0
.LBB183_358:
	s_andn2_b64 vcc, exec, s[2:3]
	s_cbranch_vccnz .LBB183_369
; %bb.359:
	s_cmp_lt_i32 s6, 6
	s_cbranch_scc1 .LBB183_362
; %bb.360:
	s_cmp_gt_i32 s6, 6
	s_cbranch_scc0 .LBB183_363
; %bb.361:
	global_load_dwordx2 v[3:4], v[1:2], off
	s_movk_i32 s2, 0x1ff
	s_movk_i32 s3, 0xffe
	v_mov_b32_e32 v6, 0x7c00
	v_mov_b32_e32 v7, 0x7e00
	s_movk_i32 s7, 0x40f
	s_mov_b32 s14, 0x8000
	s_waitcnt vmcnt(0)
	v_and_or_b32 v3, v4, s2, v3
	v_cmp_ne_u32_e32 vcc, 0, v3
	v_lshrrev_b32_e32 v9, 8, v4
	v_bfe_u32 v10, v4, 20, 11
	v_cndmask_b32_e64 v3, 0, 1, vcc
	v_sub_u32_e32 v11, 0x3f1, v10
	v_and_or_b32 v3, v9, s3, v3
	v_add_u32_e32 v10, 0xfffffc10, v10
	v_med3_i32 v9, v11, 0, 13
	v_or_b32_e32 v11, 0x1000, v3
	v_cmp_ne_u32_e32 vcc, 0, v3
	v_lshl_or_b32 v12, v10, 12, v3
	v_cndmask_b32_e32 v3, v6, v7, vcc
	v_lshrrev_b32_e32 v7, v9, v11
	v_lshlrev_b32_e32 v9, v9, v7
	v_cmp_ne_u32_e32 vcc, v9, v11
	v_cndmask_b32_e64 v9, 0, 1, vcc
	v_or_b32_e32 v7, v7, v9
	v_cmp_gt_i32_e32 vcc, 1, v10
	v_cndmask_b32_e32 v7, v12, v7, vcc
	v_and_b32_e32 v9, 7, v7
	v_cmp_lt_i32_e32 vcc, 5, v9
	v_cndmask_b32_e64 v11, 0, 1, vcc
	v_cmp_eq_u32_e32 vcc, 3, v9
	v_cndmask_b32_e64 v9, 0, 1, vcc
	v_lshrrev_b32_e32 v7, 2, v7
	v_or_b32_e32 v9, v9, v11
	v_add_u32_e32 v7, v7, v9
	v_cmp_gt_i32_e32 vcc, 31, v10
	v_cndmask_b32_e32 v6, v6, v7, vcc
	v_cmp_eq_u32_e32 vcc, s7, v10
	v_lshrrev_b32_e32 v4, 16, v4
	v_cndmask_b32_e32 v3, v6, v3, vcc
	v_and_or_b32 v3, v4, s14, v3
	s_mov_b64 s[2:3], 0
	s_branch .LBB183_364
.LBB183_362:
	s_mov_b64 s[2:3], -1
                                        ; implicit-def: $vgpr3
	s_branch .LBB183_367
.LBB183_363:
	s_mov_b64 s[2:3], -1
                                        ; implicit-def: $vgpr3
.LBB183_364:
	s_andn2_b64 vcc, exec, s[2:3]
	s_cbranch_vccnz .LBB183_366
; %bb.365:
	global_load_dword v3, v[1:2], off
	s_waitcnt vmcnt(0)
	v_cvt_f16_f32_e32 v3, v3
.LBB183_366:
	s_mov_b64 s[2:3], 0
.LBB183_367:
	s_andn2_b64 vcc, exec, s[2:3]
	s_cbranch_vccnz .LBB183_369
; %bb.368:
	global_load_ushort v3, v[1:2], off
.LBB183_369:
	s_mov_b64 s[2:3], 0
.LBB183_370:
	s_andn2_b64 vcc, exec, s[2:3]
	s_cbranch_vccnz .LBB183_390
; %bb.371:
	s_cmp_lt_i32 s6, 2
	s_cbranch_scc1 .LBB183_375
; %bb.372:
	s_cmp_lt_i32 s6, 3
	s_cbranch_scc1 .LBB183_376
; %bb.373:
	s_cmp_gt_i32 s6, 3
	s_cbranch_scc0 .LBB183_377
; %bb.374:
	global_load_dwordx2 v[3:4], v[1:2], off
	s_mov_b64 s[2:3], 0
	s_waitcnt vmcnt(0)
	v_xor_b32_e32 v7, v3, v4
	v_ffbh_i32_e32 v6, v4
	v_ashrrev_i32_e32 v7, 31, v7
	v_add_u32_e32 v6, -1, v6
	v_add_u32_e32 v7, 32, v7
	v_min_u32_e32 v6, v6, v7
	v_lshlrev_b64 v[3:4], v6, v[3:4]
	v_min_u32_e32 v3, 1, v3
	v_or_b32_e32 v3, v4, v3
	v_cvt_f32_i32_e32 v3, v3
	v_sub_u32_e32 v4, 32, v6
	v_ldexp_f32 v3, v3, v4
	v_cvt_f16_f32_e32 v3, v3
	s_branch .LBB183_378
.LBB183_375:
	s_mov_b64 s[2:3], -1
                                        ; implicit-def: $vgpr3
	s_branch .LBB183_384
.LBB183_376:
	s_mov_b64 s[2:3], -1
                                        ; implicit-def: $vgpr3
	s_branch .LBB183_381
.LBB183_377:
	s_mov_b64 s[2:3], -1
                                        ; implicit-def: $vgpr3
.LBB183_378:
	s_andn2_b64 vcc, exec, s[2:3]
	s_cbranch_vccnz .LBB183_380
; %bb.379:
	global_load_dword v3, v[1:2], off
	s_waitcnt vmcnt(0)
	v_cvt_f32_i32_e32 v3, v3
	v_cvt_f16_f32_e32 v3, v3
.LBB183_380:
	s_mov_b64 s[2:3], 0
.LBB183_381:
	s_andn2_b64 vcc, exec, s[2:3]
	s_cbranch_vccnz .LBB183_383
; %bb.382:
	global_load_ushort v3, v[1:2], off
	s_waitcnt vmcnt(0)
	v_cvt_f16_i16_e32 v3, v3
.LBB183_383:
	s_mov_b64 s[2:3], 0
.LBB183_384:
	s_andn2_b64 vcc, exec, s[2:3]
	s_cbranch_vccnz .LBB183_390
; %bb.385:
	s_cmp_gt_i32 s6, 0
	s_cbranch_scc0 .LBB183_387
; %bb.386:
	global_load_sbyte v3, v[1:2], off
	s_mov_b64 s[2:3], 0
	s_waitcnt vmcnt(0)
	v_cvt_f16_i16_e32 v3, v3
	s_branch .LBB183_388
.LBB183_387:
	s_mov_b64 s[2:3], -1
                                        ; implicit-def: $vgpr3
.LBB183_388:
	s_andn2_b64 vcc, exec, s[2:3]
	s_cbranch_vccnz .LBB183_390
; %bb.389:
	global_load_ubyte v1, v[1:2], off
	s_waitcnt vmcnt(0)
	v_cvt_f16_u16_e32 v3, v1
.LBB183_390:
	s_branch .LBB183_32
.LBB183_391:
	s_mov_b64 s[6:7], 0
.LBB183_392:
                                        ; implicit-def: $vgpr8
	s_mov_b64 s[2:3], 0
.LBB183_393:
	s_and_b64 s[42:43], s[6:7], exec
	s_and_b64 s[44:45], s[44:45], exec
	;; [unrolled: 1-line block ×3, first 2 shown]
	s_orn2_b64 s[2:3], s[2:3], exec
.LBB183_394:
	s_or_b64 exec, exec, s[48:49]
	s_mov_b64 s[56:57], 0
	s_mov_b64 s[54:55], 0
                                        ; implicit-def: $sgpr14
                                        ; implicit-def: $vgpr3_vgpr4
                                        ; implicit-def: $vgpr0
                                        ; implicit-def: $vgpr2
                                        ; implicit-def: $vgpr5
	s_and_saveexec_b64 s[48:49], s[2:3]
	s_cbranch_execz .LBB183_402
; %bb.395:
	v_cmp_gt_i32_e32 vcc, s70, v8
	s_mov_b64 s[2:3], -1
	s_mov_b64 s[50:51], s[46:47]
	s_mov_b64 s[52:53], s[44:45]
	s_mov_b64 s[54:55], s[42:43]
	s_and_saveexec_b64 s[56:57], vcc
	s_cbranch_execz .LBB183_795
; %bb.396:
	s_andn2_b64 vcc, exec, s[28:29]
	s_cbranch_vccnz .LBB183_405
; %bb.397:
	s_andn2_b64 vcc, exec, s[40:41]
	s_cbranch_vccnz .LBB183_406
; %bb.398:
	s_add_i32 s2, s75, 1
	s_and_b32 s6, s2, 30
	s_add_u32 s2, s24, 0xffffffe8
	s_addc_u32 s3, s25, -1
	v_mov_b32_e32 v2, 0
	v_mov_b32_e32 v4, 0
	;; [unrolled: 1-line block ×4, first 2 shown]
.LBB183_399:                            ; =>This Inner Loop Header: Depth=1
	s_load_dwordx4 s[52:55], s[2:3], 0x1c
	s_load_dwordx2 s[50:51], s[2:3], 0x2c
	s_load_dwordx2 s[58:59], s[2:3], 0xec
	s_load_dwordx4 s[60:63], s[2:3], 0xdc
	s_add_u32 s2, s2, 24
	s_waitcnt vmcnt(0) lgkmcnt(0)
	v_mul_hi_u32 v3, s53, v1
	s_addc_u32 s3, s3, 0
	s_add_i32 s6, s6, -2
	s_cmp_eq_u32 s6, 0
	v_add_u32_e32 v3, v1, v3
	v_lshrrev_b32_e32 v3, s54, v3
	v_mul_lo_u32 v5, v3, s52
	v_mul_hi_u32 v6, s50, v3
	v_sub_u32_e32 v5, v1, v5
	v_add_u32_e32 v1, v3, v6
	v_lshrrev_b32_e32 v1, s51, v1
	v_mul_lo_u32 v9, v1, s55
	v_mul_lo_u32 v6, v5, s60
	;; [unrolled: 1-line block ×4, first 2 shown]
	v_sub_u32_e32 v3, v3, v9
	v_mul_lo_u32 v9, v3, s63
	v_mul_lo_u32 v10, v3, s58
	v_mul_lo_u32 v3, v3, s59
	v_add3_u32 v0, v6, v0, v9
	v_add3_u32 v4, v7, v4, v10
	v_add3_u32 v2, v5, v2, v3
	s_cbranch_scc0 .LBB183_399
; %bb.400:
	s_bitcmp1_b32 s75, 0
	s_cselect_b64 s[6:7], -1, 0
	s_and_b64 vcc, exec, s[6:7]
	s_cbranch_vccnz .LBB183_407
; %bb.401:
	s_load_dwordx2 s[6:7], s[2:3], 0x1c
	s_load_dword s14, s[2:3], 0x24
	s_load_dwordx2 s[50:51], s[2:3], 0xdc
	s_waitcnt lgkmcnt(0)
	v_mul_hi_u32 v3, s7, v1
	v_add_u32_e32 v3, v1, v3
	v_lshrrev_b32_e32 v3, s14, v3
	v_mul_lo_u32 v3, v3, s6
	s_load_dword s6, s[2:3], 0xe4
	v_sub_u32_e32 v3, v1, v3
	v_mad_u64_u32 v[0:1], s[2:3], v3, s50, v[0:1]
	v_mad_u64_u32 v[4:5], s[2:3], v3, s51, v[4:5]
	s_waitcnt lgkmcnt(0)
	v_mad_u64_u32 v[2:3], s[2:3], v3, s6, v[2:3]
	s_branch .LBB183_407
.LBB183_402:
	s_or_b64 exec, exec, s[48:49]
	s_mov_b64 s[2:3], 0
	s_and_saveexec_b64 s[6:7], s[46:47]
	s_cbranch_execnz .LBB183_1293
.LBB183_403:
	s_or_b64 exec, exec, s[6:7]
	s_and_saveexec_b64 s[6:7], s[52:53]
	s_xor_b64 s[6:7], exec, s[6:7]
	s_cbranch_execz .LBB183_1294
.LBB183_404:
	s_waitcnt vmcnt(0)
	global_load_ubyte v1, v[3:4], off
	v_mov_b32_e32 v5, 0x3c00
	s_or_b64 s[54:55], s[54:55], exec
	s_waitcnt vmcnt(0)
	v_cmp_ne_u16_e32 vcc, 0, v1
	v_cndmask_b32_e32 v5, 0, v5, vcc
	s_or_b64 exec, exec, s[6:7]
	s_and_saveexec_b64 s[6:7], s[56:57]
	s_cbranch_execz .LBB183_1340
	s_branch .LBB183_1295
.LBB183_405:
                                        ; implicit-def: $vgpr0
                                        ; implicit-def: $vgpr4
                                        ; implicit-def: $vgpr2
	s_andn2_b64 vcc, exec, s[2:3]
	s_cbranch_vccz .LBB183_408
	s_branch .LBB183_410
.LBB183_406:
	v_mov_b32_e32 v0, 0
	v_mov_b32_e32 v4, 0
	;; [unrolled: 1-line block ×3, first 2 shown]
.LBB183_407:
	s_cbranch_execnz .LBB183_410
.LBB183_408:
	v_mul_hi_u32 v0, s17, v8
	s_andn2_b64 vcc, exec, s[38:39]
	v_add_u32_e32 v0, v8, v0
	v_lshrrev_b32_e32 v1, s18, v0
	v_mul_lo_u32 v0, v1, s16
	v_sub_u32_e32 v2, v8, v0
	v_mul_lo_u32 v0, v2, s20
	v_mul_lo_u32 v4, v2, s21
	;; [unrolled: 1-line block ×3, first 2 shown]
	s_cbranch_vccnz .LBB183_410
; %bb.409:
	s_waitcnt vmcnt(0)
	v_mul_hi_u32 v3, s36, v1
	v_add_u32_e32 v3, v1, v3
	v_lshrrev_b32_e32 v3, s37, v3
	v_mul_lo_u32 v3, v3, s19
	v_sub_u32_e32 v3, v1, v3
	v_mad_u64_u32 v[0:1], s[2:3], v3, s23, v[0:1]
	v_mad_u64_u32 v[4:5], s[2:3], v3, s34, v[4:5]
	;; [unrolled: 1-line block ×3, first 2 shown]
.LBB183_410:
	v_mov_b32_e32 v1, s11
	s_and_b32 s14, s74, 0xff
	s_waitcnt vmcnt(0)
	v_add_co_u32_e32 v3, vcc, s10, v4
	s_cmp_lt_i32 s14, 11
	v_addc_co_u32_e32 v4, vcc, 0, v1, vcc
	s_cbranch_scc1 .LBB183_417
; %bb.411:
	s_and_b32 s54, 0xffff, s14
	s_cmp_gt_i32 s54, 25
	s_cbranch_scc0 .LBB183_426
; %bb.412:
	s_cmp_gt_i32 s54, 28
	s_cbranch_scc0 .LBB183_428
; %bb.413:
	;; [unrolled: 3-line block ×4, first 2 shown]
	s_cmp_eq_u32 s54, 46
	s_mov_b64 s[6:7], 0
	s_cbranch_scc0 .LBB183_436
; %bb.416:
	global_load_dword v1, v[3:4], off
	s_mov_b64 s[2:3], -1
	s_mov_b64 s[50:51], 0
	s_waitcnt vmcnt(0)
	v_lshlrev_b32_e32 v1, 16, v1
	v_cvt_f16_f32_e32 v5, v1
	s_branch .LBB183_437
.LBB183_417:
	s_mov_b64 s[2:3], 0
                                        ; implicit-def: $vgpr5
	s_mov_b64 s[50:51], s[46:47]
	s_cbranch_execnz .LBB183_503
.LBB183_418:
	s_andn2_b64 vcc, exec, s[2:3]
	s_cbranch_vccnz .LBB183_551
.LBB183_419:
	v_mov_b32_e32 v3, s13
	s_and_b32 s14, s73, 0xff
	v_add_co_u32_e32 v1, vcc, s12, v2
	s_cmp_lt_i32 s14, 11
	v_addc_co_u32_e32 v2, vcc, 0, v3, vcc
	s_cbranch_scc1 .LBB183_427
; %bb.420:
	s_and_b32 s58, 0xffff, s14
	s_cmp_gt_i32 s58, 25
	s_cbranch_scc0 .LBB183_429
; %bb.421:
	s_cmp_gt_i32 s58, 28
	s_cbranch_scc0 .LBB183_431
; %bb.422:
	s_cmp_gt_i32 s58, 43
	s_cbranch_scc0 .LBB183_433
; %bb.423:
	s_cmp_gt_i32 s58, 45
	s_cbranch_scc0 .LBB183_440
; %bb.424:
	s_cmp_eq_u32 s58, 46
	s_mov_b64 s[6:7], 0
	s_cbranch_scc0 .LBB183_555
; %bb.425:
	global_load_dword v3, v[1:2], off
	s_mov_b64 s[2:3], -1
	s_mov_b64 s[52:53], 0
	s_waitcnt vmcnt(0)
	v_lshlrev_b32_e32 v3, 16, v3
	v_cvt_f16_f32_e32 v3, v3
	s_branch .LBB183_556
.LBB183_426:
	s_mov_b64 s[6:7], -1
	s_mov_b64 s[2:3], 0
	s_mov_b64 s[50:51], s[46:47]
                                        ; implicit-def: $vgpr5
	s_branch .LBB183_467
.LBB183_427:
	s_mov_b64 s[6:7], -1
	s_mov_b64 s[2:3], 0
                                        ; implicit-def: $vgpr3
	s_mov_b64 s[52:53], s[44:45]
	s_branch .LBB183_621
.LBB183_428:
	s_mov_b64 s[6:7], -1
	s_mov_b64 s[2:3], 0
	s_mov_b64 s[50:51], s[46:47]
                                        ; implicit-def: $vgpr5
	s_branch .LBB183_448
.LBB183_429:
	s_mov_b64 s[6:7], -1
	s_mov_b64 s[2:3], 0
	s_mov_b64 s[52:53], s[44:45]
                                        ; implicit-def: $vgpr3
	s_branch .LBB183_585
.LBB183_430:
	s_mov_b64 s[6:7], -1
	s_mov_b64 s[2:3], 0
	s_mov_b64 s[50:51], s[46:47]
                                        ; implicit-def: $vgpr5
	s_branch .LBB183_443
.LBB183_431:
	s_mov_b64 s[6:7], -1
	s_mov_b64 s[2:3], 0
	s_mov_b64 s[52:53], s[44:45]
                                        ; implicit-def: $vgpr3
	s_branch .LBB183_566
.LBB183_432:
	s_mov_b64 s[6:7], -1
	s_mov_b64 s[2:3], 0
	s_mov_b64 s[50:51], s[46:47]
                                        ; implicit-def: $vgpr5
	s_branch .LBB183_437
.LBB183_433:
	s_mov_b64 s[6:7], -1
	s_mov_b64 s[2:3], 0
	s_mov_b64 s[52:53], s[44:45]
                                        ; implicit-def: $vgpr3
	s_branch .LBB183_561
.LBB183_434:
	s_andn2_saveexec_b64 s[54:55], s[54:55]
	s_cbranch_execz .LBB183_191
.LBB183_435:
	v_add_f32_e32 v2, 0x46000000, v3
	v_and_b32_e32 v2, 0xff, v2
	v_cmp_ne_u32_e32 vcc, 0, v2
	s_andn2_b64 s[50:51], s[50:51], exec
	s_and_b64 s[58:59], vcc, exec
	s_or_b64 s[50:51], s[50:51], s[58:59]
	s_or_b64 exec, exec, s[54:55]
	v_mov_b32_e32 v4, 0
	s_and_saveexec_b64 s[54:55], s[50:51]
	s_cbranch_execnz .LBB183_192
	s_branch .LBB183_193
.LBB183_436:
	s_mov_b64 s[50:51], -1
                                        ; implicit-def: $vgpr5
	s_mov_b64 s[2:3], 0
.LBB183_437:
	s_and_b64 vcc, exec, s[6:7]
	s_cbranch_vccz .LBB183_442
; %bb.438:
	s_cmp_eq_u32 s54, 44
	s_cbranch_scc0 .LBB183_441
; %bb.439:
	global_load_ubyte v1, v[3:4], off
	s_movk_i32 s6, 0xff
	v_mov_b32_e32 v6, 0x7e00
	s_mov_b64 s[2:3], -1
	s_mov_b64 s[50:51], 0
	s_waitcnt vmcnt(0)
	v_lshlrev_b32_e32 v5, 23, v1
	v_cvt_f16_f32_e32 v5, v5
	v_cmp_ne_u32_e32 vcc, s6, v1
	v_cndmask_b32_e32 v5, v6, v5, vcc
	v_cmp_ne_u32_e32 vcc, 0, v1
	v_cndmask_b32_e32 v5, 0, v5, vcc
	s_branch .LBB183_442
.LBB183_440:
	s_mov_b64 s[6:7], -1
	s_mov_b64 s[2:3], 0
	s_mov_b64 s[52:53], s[44:45]
                                        ; implicit-def: $vgpr3
	s_branch .LBB183_556
.LBB183_441:
	s_mov_b64 s[50:51], -1
                                        ; implicit-def: $vgpr5
.LBB183_442:
	s_mov_b64 s[6:7], 0
.LBB183_443:
	s_and_b64 vcc, exec, s[6:7]
	s_cbranch_vccz .LBB183_447
; %bb.444:
	s_cmp_eq_u32 s54, 29
	s_cbranch_scc0 .LBB183_446
; %bb.445:
	global_load_dwordx2 v[5:6], v[3:4], off
	s_mov_b64 s[2:3], -1
	s_mov_b64 s[50:51], 0
	s_mov_b64 s[6:7], 0
	s_waitcnt vmcnt(0)
	v_ffbh_u32_e32 v1, v6
	v_min_u32_e32 v1, 32, v1
	v_lshlrev_b64 v[5:6], v1, v[5:6]
	v_sub_u32_e32 v1, 32, v1
	v_min_u32_e32 v5, 1, v5
	v_or_b32_e32 v5, v6, v5
	v_cvt_f32_u32_e32 v5, v5
	v_ldexp_f32 v1, v5, v1
	v_cvt_f16_f32_e32 v5, v1
	s_branch .LBB183_448
.LBB183_446:
	s_mov_b64 s[50:51], -1
                                        ; implicit-def: $vgpr5
.LBB183_447:
	s_mov_b64 s[6:7], 0
.LBB183_448:
	s_and_b64 vcc, exec, s[6:7]
	s_cbranch_vccz .LBB183_466
; %bb.449:
	s_cmp_lt_i32 s54, 27
	s_cbranch_scc1 .LBB183_452
; %bb.450:
	s_cmp_gt_i32 s54, 27
	s_cbranch_scc0 .LBB183_453
; %bb.451:
	global_load_dword v1, v[3:4], off
	s_mov_b64 s[2:3], 0
	s_waitcnt vmcnt(0)
	v_cvt_f32_u32_e32 v1, v1
	v_cvt_f16_f32_e32 v5, v1
	s_branch .LBB183_454
.LBB183_452:
	s_mov_b64 s[2:3], -1
                                        ; implicit-def: $vgpr5
	s_branch .LBB183_457
.LBB183_453:
	s_mov_b64 s[2:3], -1
                                        ; implicit-def: $vgpr5
.LBB183_454:
	s_andn2_b64 vcc, exec, s[2:3]
	s_cbranch_vccnz .LBB183_456
; %bb.455:
	global_load_ushort v1, v[3:4], off
	s_waitcnt vmcnt(0)
	v_cvt_f16_u16_e32 v5, v1
.LBB183_456:
	s_mov_b64 s[2:3], 0
.LBB183_457:
	s_andn2_b64 vcc, exec, s[2:3]
	s_cbranch_vccnz .LBB183_465
; %bb.458:
	global_load_ubyte v1, v[3:4], off
	s_movk_i32 s2, 0x7f
	s_waitcnt vmcnt(0)
	v_cmp_lt_i16_e32 vcc, s2, v1
	s_mov_b64 s[2:3], 0
	s_and_saveexec_b64 s[6:7], vcc
	s_xor_b64 s[6:7], exec, s[6:7]
	s_cbranch_execz .LBB183_479
; %bb.459:
	s_movk_i32 s2, 0x80
	v_cmp_eq_u16_e32 vcc, s2, v1
	s_mov_b64 s[2:3], -1
	s_and_saveexec_b64 s[52:53], vcc
; %bb.460:
	s_xor_b64 s[2:3], exec, -1
; %bb.461:
	s_or_b64 exec, exec, s[52:53]
	s_and_b64 s[2:3], s[2:3], exec
	s_or_saveexec_b64 s[6:7], s[6:7]
	v_mov_b32_e32 v5, 0x7e00
	s_xor_b64 exec, exec, s[6:7]
	s_cbranch_execnz .LBB183_480
.LBB183_462:
	s_or_b64 exec, exec, s[6:7]
	s_and_saveexec_b64 s[6:7], s[2:3]
	s_cbranch_execz .LBB183_464
.LBB183_463:
	v_lshlrev_b32_e32 v5, 24, v1
	v_and_b32_e32 v1, 0xffff, v1
	v_and_b32_e32 v6, 7, v1
	v_ffbh_u32_e32 v9, v6
	v_min_u32_e32 v9, 32, v9
	v_subrev_u32_e32 v10, 28, v9
	v_bfe_u32 v7, v1, 3, 4
	v_lshlrev_b32_e32 v1, v10, v1
	v_sub_u32_e32 v9, 29, v9
	v_and_b32_e32 v1, 7, v1
	v_cmp_eq_u32_e32 vcc, 0, v7
	v_cndmask_b32_e32 v7, v7, v9, vcc
	v_cndmask_b32_e32 v1, v6, v1, vcc
	v_mov_b32_e32 v6, 0x3b800000
	v_lshlrev_b32_e32 v1, 20, v1
	v_and_b32_e32 v5, 0x80000000, v5
	v_lshl_add_u32 v6, v7, 23, v6
	v_or3_b32 v1, v5, v6, v1
	v_cvt_f16_f32_e32 v5, v1
.LBB183_464:
	s_or_b64 exec, exec, s[6:7]
.LBB183_465:
	s_mov_b64 s[2:3], -1
.LBB183_466:
	s_mov_b64 s[6:7], 0
.LBB183_467:
	s_and_b64 vcc, exec, s[6:7]
	s_cbranch_vccz .LBB183_502
; %bb.468:
	s_cmp_gt_i32 s54, 22
	s_cbranch_scc0 .LBB183_478
; %bb.469:
	s_cmp_lt_i32 s54, 24
	s_cbranch_scc1 .LBB183_481
; %bb.470:
	s_cmp_gt_i32 s54, 24
	s_cbranch_scc0 .LBB183_482
; %bb.471:
	global_load_ubyte v1, v[3:4], off
	s_movk_i32 s2, 0x7f
	s_waitcnt vmcnt(0)
	v_cmp_lt_i16_e32 vcc, s2, v1
	s_mov_b64 s[2:3], 0
	s_and_saveexec_b64 s[6:7], vcc
	s_xor_b64 s[6:7], exec, s[6:7]
	s_cbranch_execz .LBB183_494
; %bb.472:
	s_movk_i32 s2, 0x80
	v_cmp_eq_u16_e32 vcc, s2, v1
	s_mov_b64 s[2:3], -1
	s_and_saveexec_b64 s[52:53], vcc
; %bb.473:
	s_xor_b64 s[2:3], exec, -1
; %bb.474:
	s_or_b64 exec, exec, s[52:53]
	s_and_b64 s[2:3], s[2:3], exec
	s_or_saveexec_b64 s[6:7], s[6:7]
	v_mov_b32_e32 v5, 0x7e00
	s_xor_b64 exec, exec, s[6:7]
	s_cbranch_execnz .LBB183_495
.LBB183_475:
	s_or_b64 exec, exec, s[6:7]
	s_and_saveexec_b64 s[6:7], s[2:3]
	s_cbranch_execz .LBB183_477
.LBB183_476:
	v_lshlrev_b32_e32 v5, 24, v1
	v_and_b32_e32 v1, 0xffff, v1
	v_and_b32_e32 v6, 3, v1
	v_ffbh_u32_e32 v9, v6
	v_min_u32_e32 v9, 32, v9
	v_subrev_u32_e32 v10, 29, v9
	v_bfe_u32 v7, v1, 2, 5
	v_lshlrev_b32_e32 v1, v10, v1
	v_sub_u32_e32 v9, 30, v9
	v_and_b32_e32 v1, 3, v1
	v_cmp_eq_u32_e32 vcc, 0, v7
	v_cndmask_b32_e32 v7, v7, v9, vcc
	v_cndmask_b32_e32 v1, v6, v1, vcc
	v_mov_b32_e32 v6, 0x37800000
	v_lshlrev_b32_e32 v1, 21, v1
	v_and_b32_e32 v5, 0x80000000, v5
	v_lshl_add_u32 v6, v7, 23, v6
	v_or3_b32 v1, v5, v6, v1
	v_cvt_f16_f32_e32 v5, v1
.LBB183_477:
	s_or_b64 exec, exec, s[6:7]
	s_mov_b64 s[2:3], 0
	s_branch .LBB183_483
.LBB183_478:
	s_mov_b64 s[6:7], -1
                                        ; implicit-def: $vgpr5
	s_branch .LBB183_489
.LBB183_479:
	s_or_saveexec_b64 s[6:7], s[6:7]
	v_mov_b32_e32 v5, 0x7e00
	s_xor_b64 exec, exec, s[6:7]
	s_cbranch_execz .LBB183_462
.LBB183_480:
	v_cmp_ne_u16_e32 vcc, 0, v1
	s_andn2_b64 s[2:3], s[2:3], exec
	s_and_b64 s[52:53], vcc, exec
	s_or_b64 s[2:3], s[2:3], s[52:53]
	v_mov_b32_e32 v5, v1
	s_or_b64 exec, exec, s[6:7]
	s_and_saveexec_b64 s[6:7], s[2:3]
	s_cbranch_execnz .LBB183_463
	s_branch .LBB183_464
.LBB183_481:
	s_mov_b64 s[2:3], -1
                                        ; implicit-def: $vgpr5
	s_branch .LBB183_486
.LBB183_482:
	s_mov_b64 s[2:3], -1
                                        ; implicit-def: $vgpr5
.LBB183_483:
	s_and_b64 vcc, exec, s[2:3]
	s_cbranch_vccz .LBB183_485
; %bb.484:
	global_load_ubyte v1, v[3:4], off
	s_mov_b32 s2, 0x7f800000
	s_waitcnt vmcnt(0)
	v_lshlrev_b32_e32 v1, 24, v1
	v_and_b32_e32 v5, 0x7f000000, v1
	v_ffbh_u32_e32 v6, v5
	v_min_u32_e32 v6, 32, v6
	v_sub_u32_e64 v6, v6, 4 clamp
	v_lshlrev_b32_e32 v9, v6, v5
	v_lshlrev_b32_e32 v6, 23, v6
	v_lshrrev_b32_e32 v9, 4, v9
	v_add_u32_e32 v7, 0x1000000, v5
	v_sub_u32_e32 v6, v9, v6
	v_ashrrev_i32_e32 v7, 8, v7
	v_add_u32_e32 v6, 0x3c000000, v6
	v_and_or_b32 v6, v7, s2, v6
	v_cmp_ne_u32_e32 vcc, 0, v5
	v_cndmask_b32_e32 v5, 0, v6, vcc
	s_brev_b32 s2, 1
	v_and_or_b32 v1, v1, s2, v5
	v_cvt_f16_f32_e32 v5, v1
.LBB183_485:
	s_mov_b64 s[2:3], 0
.LBB183_486:
	s_andn2_b64 vcc, exec, s[2:3]
	s_cbranch_vccnz .LBB183_488
; %bb.487:
	global_load_ubyte v1, v[3:4], off
	s_movk_i32 s2, 0x7f00
	s_brev_b32 s3, 16
	s_waitcnt vmcnt(0)
	v_lshlrev_b16_e32 v5, 8, v1
	v_lshlrev_b32_e32 v1, 25, v1
	v_lshrrev_b32_e32 v6, 4, v1
	v_and_or_b32 v7, v5, s2, 0.5
	v_or_b32_e32 v6, 0x70000000, v6
	v_add_f32_e32 v7, -0.5, v7
	v_mul_f32_e32 v6, 0x7800000, v6
	v_cmp_gt_u32_e32 vcc, s3, v1
	v_bfe_i32 v5, v5, 0, 16
	v_cndmask_b32_e32 v1, v6, v7, vcc
	s_brev_b32 s2, 1
	v_and_or_b32 v1, v5, s2, v1
	v_cvt_f16_f32_e32 v5, v1
.LBB183_488:
	s_mov_b64 s[6:7], 0
	s_mov_b64 s[2:3], -1
.LBB183_489:
	s_andn2_b64 vcc, exec, s[6:7]
	s_cbranch_vccnz .LBB183_502
; %bb.490:
	s_cmp_gt_i32 s54, 14
	s_cbranch_scc0 .LBB183_493
; %bb.491:
	s_cmp_eq_u32 s54, 15
	s_cbranch_scc0 .LBB183_496
; %bb.492:
	global_load_ushort v1, v[3:4], off
	s_mov_b64 s[2:3], -1
	s_mov_b64 s[50:51], 0
	s_waitcnt vmcnt(0)
	v_lshlrev_b32_e32 v1, 16, v1
	v_cvt_f16_f32_e32 v5, v1
	s_branch .LBB183_497
.LBB183_493:
	s_mov_b64 s[6:7], -1
                                        ; implicit-def: $vgpr5
	s_branch .LBB183_498
.LBB183_494:
	s_or_saveexec_b64 s[6:7], s[6:7]
	v_mov_b32_e32 v5, 0x7e00
	s_xor_b64 exec, exec, s[6:7]
	s_cbranch_execz .LBB183_475
.LBB183_495:
	v_cmp_ne_u16_e32 vcc, 0, v1
	s_andn2_b64 s[2:3], s[2:3], exec
	s_and_b64 s[52:53], vcc, exec
	s_or_b64 s[2:3], s[2:3], s[52:53]
	v_mov_b32_e32 v5, v1
	s_or_b64 exec, exec, s[6:7]
	s_and_saveexec_b64 s[6:7], s[2:3]
	s_cbranch_execnz .LBB183_476
	s_branch .LBB183_477
.LBB183_496:
	s_mov_b64 s[50:51], -1
                                        ; implicit-def: $vgpr5
.LBB183_497:
	s_mov_b64 s[6:7], 0
.LBB183_498:
	s_and_b64 vcc, exec, s[6:7]
	s_cbranch_vccz .LBB183_502
; %bb.499:
	s_cmp_eq_u32 s54, 11
	s_cbranch_scc0 .LBB183_501
; %bb.500:
	global_load_ubyte v1, v[3:4], off
	v_mov_b32_e32 v5, 0x3c00
	s_mov_b64 s[2:3], -1
	s_mov_b64 s[50:51], 0
	s_waitcnt vmcnt(0)
	v_cmp_ne_u16_e32 vcc, 0, v1
	v_cndmask_b32_e32 v5, 0, v5, vcc
	s_branch .LBB183_502
.LBB183_501:
	s_mov_b64 s[50:51], -1
                                        ; implicit-def: $vgpr5
.LBB183_502:
	s_branch .LBB183_418
.LBB183_503:
	s_and_b32 s6, 0xffff, s14
	s_cmp_lt_i32 s6, 5
	s_cbranch_scc1 .LBB183_508
; %bb.504:
	s_cmp_lt_i32 s6, 8
	s_cbranch_scc1 .LBB183_509
; %bb.505:
	;; [unrolled: 3-line block ×3, first 2 shown]
	s_cmp_gt_i32 s6, 9
	s_cbranch_scc0 .LBB183_511
; %bb.507:
	global_load_dwordx2 v[5:6], v[3:4], off
	s_movk_i32 s2, 0x1ff
	s_movk_i32 s3, 0xffe
	v_mov_b32_e32 v1, 0x7c00
	v_mov_b32_e32 v7, 0x7e00
	s_movk_i32 s7, 0x40f
	s_mov_b32 s14, 0x8000
	s_waitcnt vmcnt(0)
	v_and_or_b32 v5, v6, s2, v5
	v_cmp_ne_u32_e32 vcc, 0, v5
	v_lshrrev_b32_e32 v9, 8, v6
	v_bfe_u32 v10, v6, 20, 11
	v_cndmask_b32_e64 v5, 0, 1, vcc
	v_sub_u32_e32 v11, 0x3f1, v10
	v_and_or_b32 v5, v9, s3, v5
	v_add_u32_e32 v10, 0xfffffc10, v10
	v_med3_i32 v9, v11, 0, 13
	v_or_b32_e32 v11, 0x1000, v5
	v_cmp_ne_u32_e32 vcc, 0, v5
	v_lshl_or_b32 v12, v10, 12, v5
	v_cndmask_b32_e32 v5, v1, v7, vcc
	v_lshrrev_b32_e32 v7, v9, v11
	v_lshlrev_b32_e32 v9, v9, v7
	v_cmp_ne_u32_e32 vcc, v9, v11
	v_cndmask_b32_e64 v9, 0, 1, vcc
	v_or_b32_e32 v7, v7, v9
	v_cmp_gt_i32_e32 vcc, 1, v10
	v_cndmask_b32_e32 v7, v12, v7, vcc
	v_and_b32_e32 v9, 7, v7
	v_cmp_lt_i32_e32 vcc, 5, v9
	v_cndmask_b32_e64 v11, 0, 1, vcc
	v_cmp_eq_u32_e32 vcc, 3, v9
	v_cndmask_b32_e64 v9, 0, 1, vcc
	v_lshrrev_b32_e32 v7, 2, v7
	v_or_b32_e32 v9, v9, v11
	v_add_u32_e32 v7, v7, v9
	v_cmp_gt_i32_e32 vcc, 31, v10
	v_cndmask_b32_e32 v1, v1, v7, vcc
	v_cmp_eq_u32_e32 vcc, s7, v10
	v_lshrrev_b32_e32 v6, 16, v6
	v_cndmask_b32_e32 v1, v1, v5, vcc
	v_and_or_b32 v5, v6, s14, v1
	s_mov_b64 s[2:3], 0
	s_branch .LBB183_512
.LBB183_508:
	s_mov_b64 s[2:3], -1
                                        ; implicit-def: $vgpr5
	s_branch .LBB183_530
.LBB183_509:
	s_mov_b64 s[2:3], -1
                                        ; implicit-def: $vgpr5
	s_branch .LBB183_518
.LBB183_510:
	s_mov_b64 s[2:3], -1
                                        ; implicit-def: $vgpr5
	s_branch .LBB183_515
.LBB183_511:
	s_mov_b64 s[2:3], -1
                                        ; implicit-def: $vgpr5
.LBB183_512:
	s_andn2_b64 vcc, exec, s[2:3]
	s_cbranch_vccnz .LBB183_514
; %bb.513:
	global_load_dword v1, v[3:4], off
	s_waitcnt vmcnt(0)
	v_cvt_f16_f32_e32 v5, v1
.LBB183_514:
	s_mov_b64 s[2:3], 0
.LBB183_515:
	s_andn2_b64 vcc, exec, s[2:3]
	s_cbranch_vccnz .LBB183_517
; %bb.516:
	global_load_dword v5, v[3:4], off
.LBB183_517:
	s_mov_b64 s[2:3], 0
.LBB183_518:
	s_andn2_b64 vcc, exec, s[2:3]
	s_cbranch_vccnz .LBB183_529
; %bb.519:
	s_cmp_lt_i32 s6, 6
	s_cbranch_scc1 .LBB183_522
; %bb.520:
	s_cmp_gt_i32 s6, 6
	s_cbranch_scc0 .LBB183_523
; %bb.521:
	global_load_dwordx2 v[5:6], v[3:4], off
	s_movk_i32 s2, 0x1ff
	s_movk_i32 s3, 0xffe
	v_mov_b32_e32 v1, 0x7c00
	v_mov_b32_e32 v7, 0x7e00
	s_movk_i32 s7, 0x40f
	s_mov_b32 s14, 0x8000
	s_waitcnt vmcnt(0)
	v_and_or_b32 v5, v6, s2, v5
	v_cmp_ne_u32_e32 vcc, 0, v5
	v_lshrrev_b32_e32 v9, 8, v6
	v_bfe_u32 v10, v6, 20, 11
	v_cndmask_b32_e64 v5, 0, 1, vcc
	v_sub_u32_e32 v11, 0x3f1, v10
	v_and_or_b32 v5, v9, s3, v5
	v_add_u32_e32 v10, 0xfffffc10, v10
	v_med3_i32 v9, v11, 0, 13
	v_or_b32_e32 v11, 0x1000, v5
	v_cmp_ne_u32_e32 vcc, 0, v5
	v_lshl_or_b32 v12, v10, 12, v5
	v_cndmask_b32_e32 v5, v1, v7, vcc
	v_lshrrev_b32_e32 v7, v9, v11
	v_lshlrev_b32_e32 v9, v9, v7
	v_cmp_ne_u32_e32 vcc, v9, v11
	v_cndmask_b32_e64 v9, 0, 1, vcc
	v_or_b32_e32 v7, v7, v9
	v_cmp_gt_i32_e32 vcc, 1, v10
	v_cndmask_b32_e32 v7, v12, v7, vcc
	v_and_b32_e32 v9, 7, v7
	v_cmp_lt_i32_e32 vcc, 5, v9
	v_cndmask_b32_e64 v11, 0, 1, vcc
	v_cmp_eq_u32_e32 vcc, 3, v9
	v_cndmask_b32_e64 v9, 0, 1, vcc
	v_lshrrev_b32_e32 v7, 2, v7
	v_or_b32_e32 v9, v9, v11
	v_add_u32_e32 v7, v7, v9
	v_cmp_gt_i32_e32 vcc, 31, v10
	v_cndmask_b32_e32 v1, v1, v7, vcc
	v_cmp_eq_u32_e32 vcc, s7, v10
	v_lshrrev_b32_e32 v6, 16, v6
	v_cndmask_b32_e32 v1, v1, v5, vcc
	v_and_or_b32 v5, v6, s14, v1
	s_mov_b64 s[2:3], 0
	s_branch .LBB183_524
.LBB183_522:
	s_mov_b64 s[2:3], -1
                                        ; implicit-def: $vgpr5
	s_branch .LBB183_527
.LBB183_523:
	s_mov_b64 s[2:3], -1
                                        ; implicit-def: $vgpr5
.LBB183_524:
	s_andn2_b64 vcc, exec, s[2:3]
	s_cbranch_vccnz .LBB183_526
; %bb.525:
	global_load_dword v1, v[3:4], off
	s_waitcnt vmcnt(0)
	v_cvt_f16_f32_e32 v5, v1
.LBB183_526:
	s_mov_b64 s[2:3], 0
.LBB183_527:
	s_andn2_b64 vcc, exec, s[2:3]
	s_cbranch_vccnz .LBB183_529
; %bb.528:
	global_load_ushort v5, v[3:4], off
.LBB183_529:
	s_mov_b64 s[2:3], 0
.LBB183_530:
	s_andn2_b64 vcc, exec, s[2:3]
	s_cbranch_vccnz .LBB183_550
; %bb.531:
	s_cmp_lt_i32 s6, 2
	s_cbranch_scc1 .LBB183_535
; %bb.532:
	s_cmp_lt_i32 s6, 3
	s_cbranch_scc1 .LBB183_536
; %bb.533:
	s_cmp_gt_i32 s6, 3
	s_cbranch_scc0 .LBB183_537
; %bb.534:
	global_load_dwordx2 v[5:6], v[3:4], off
	s_mov_b64 s[2:3], 0
	s_waitcnt vmcnt(0)
	v_xor_b32_e32 v7, v5, v6
	v_ffbh_i32_e32 v1, v6
	v_ashrrev_i32_e32 v7, 31, v7
	v_add_u32_e32 v1, -1, v1
	v_add_u32_e32 v7, 32, v7
	v_min_u32_e32 v1, v1, v7
	v_lshlrev_b64 v[5:6], v1, v[5:6]
	v_sub_u32_e32 v1, 32, v1
	v_min_u32_e32 v5, 1, v5
	v_or_b32_e32 v5, v6, v5
	v_cvt_f32_i32_e32 v5, v5
	v_ldexp_f32 v1, v5, v1
	v_cvt_f16_f32_e32 v5, v1
	s_branch .LBB183_538
.LBB183_535:
	s_mov_b64 s[2:3], -1
                                        ; implicit-def: $vgpr5
	s_branch .LBB183_544
.LBB183_536:
	s_mov_b64 s[2:3], -1
                                        ; implicit-def: $vgpr5
	s_branch .LBB183_541
.LBB183_537:
	s_mov_b64 s[2:3], -1
                                        ; implicit-def: $vgpr5
.LBB183_538:
	s_andn2_b64 vcc, exec, s[2:3]
	s_cbranch_vccnz .LBB183_540
; %bb.539:
	global_load_dword v1, v[3:4], off
	s_waitcnt vmcnt(0)
	v_cvt_f32_i32_e32 v1, v1
	v_cvt_f16_f32_e32 v5, v1
.LBB183_540:
	s_mov_b64 s[2:3], 0
.LBB183_541:
	s_andn2_b64 vcc, exec, s[2:3]
	s_cbranch_vccnz .LBB183_543
; %bb.542:
	global_load_ushort v1, v[3:4], off
	s_waitcnt vmcnt(0)
	v_cvt_f16_i16_e32 v5, v1
.LBB183_543:
	s_mov_b64 s[2:3], 0
.LBB183_544:
	s_andn2_b64 vcc, exec, s[2:3]
	s_cbranch_vccnz .LBB183_550
; %bb.545:
	s_cmp_gt_i32 s6, 0
	s_cbranch_scc0 .LBB183_547
; %bb.546:
	global_load_sbyte v1, v[3:4], off
	s_mov_b64 s[2:3], 0
	s_waitcnt vmcnt(0)
	v_cvt_f16_i16_e32 v5, v1
	s_branch .LBB183_548
.LBB183_547:
	s_mov_b64 s[2:3], -1
                                        ; implicit-def: $vgpr5
.LBB183_548:
	s_andn2_b64 vcc, exec, s[2:3]
	s_cbranch_vccnz .LBB183_550
; %bb.549:
	global_load_ubyte v1, v[3:4], off
	s_waitcnt vmcnt(0)
	v_cvt_f16_u16_e32 v5, v1
.LBB183_550:
	s_branch .LBB183_419
.LBB183_551:
	s_mov_b64 s[2:3], 0
	s_mov_b64 s[6:7], s[42:43]
	;; [unrolled: 1-line block ×3, first 2 shown]
.LBB183_552:
                                        ; implicit-def: $vgpr8
	s_branch .LBB183_794
.LBB183_553:
	s_andn2_saveexec_b64 s[54:55], s[54:55]
	s_cbranch_execz .LBB183_204
.LBB183_554:
	v_add_f32_e32 v2, 0x42800000, v3
	v_and_b32_e32 v2, 0xff, v2
	v_cmp_ne_u32_e32 vcc, 0, v2
	s_andn2_b64 s[50:51], s[50:51], exec
	s_and_b64 s[58:59], vcc, exec
	s_or_b64 s[50:51], s[50:51], s[58:59]
	s_or_b64 exec, exec, s[54:55]
	v_mov_b32_e32 v4, 0
	s_and_saveexec_b64 s[54:55], s[50:51]
	s_cbranch_execnz .LBB183_205
	s_branch .LBB183_206
.LBB183_555:
	s_mov_b64 s[52:53], -1
                                        ; implicit-def: $vgpr3
	s_mov_b64 s[2:3], 0
.LBB183_556:
	s_and_b64 vcc, exec, s[6:7]
	s_cbranch_vccz .LBB183_560
; %bb.557:
	s_cmp_eq_u32 s58, 44
	s_cbranch_scc0 .LBB183_559
; %bb.558:
	global_load_ubyte v3, v[1:2], off
	s_movk_i32 s6, 0xff
	v_mov_b32_e32 v6, 0x7e00
	s_mov_b64 s[2:3], -1
	s_mov_b64 s[52:53], 0
	s_waitcnt vmcnt(0)
	v_lshlrev_b32_e32 v4, 23, v3
	v_cvt_f16_f32_e32 v4, v4
	v_cmp_ne_u32_e32 vcc, s6, v3
	v_cndmask_b32_e32 v4, v6, v4, vcc
	v_cmp_ne_u32_e32 vcc, 0, v3
	v_cndmask_b32_e32 v3, 0, v4, vcc
	s_branch .LBB183_560
.LBB183_559:
	s_mov_b64 s[52:53], -1
                                        ; implicit-def: $vgpr3
.LBB183_560:
	s_mov_b64 s[6:7], 0
.LBB183_561:
	s_and_b64 vcc, exec, s[6:7]
	s_cbranch_vccz .LBB183_565
; %bb.562:
	s_cmp_eq_u32 s58, 29
	s_cbranch_scc0 .LBB183_564
; %bb.563:
	global_load_dwordx2 v[3:4], v[1:2], off
	s_mov_b64 s[2:3], -1
	s_mov_b64 s[52:53], 0
	s_mov_b64 s[6:7], 0
	s_waitcnt vmcnt(0)
	v_ffbh_u32_e32 v6, v4
	v_min_u32_e32 v6, 32, v6
	v_lshlrev_b64 v[3:4], v6, v[3:4]
	v_min_u32_e32 v3, 1, v3
	v_or_b32_e32 v3, v4, v3
	v_cvt_f32_u32_e32 v3, v3
	v_sub_u32_e32 v4, 32, v6
	v_ldexp_f32 v3, v3, v4
	v_cvt_f16_f32_e32 v3, v3
	s_branch .LBB183_566
.LBB183_564:
	s_mov_b64 s[52:53], -1
                                        ; implicit-def: $vgpr3
.LBB183_565:
	s_mov_b64 s[6:7], 0
.LBB183_566:
	s_and_b64 vcc, exec, s[6:7]
	s_cbranch_vccz .LBB183_584
; %bb.567:
	s_cmp_lt_i32 s58, 27
	s_cbranch_scc1 .LBB183_570
; %bb.568:
	s_cmp_gt_i32 s58, 27
	s_cbranch_scc0 .LBB183_571
; %bb.569:
	global_load_dword v3, v[1:2], off
	s_mov_b64 s[2:3], 0
	s_waitcnt vmcnt(0)
	v_cvt_f32_u32_e32 v3, v3
	v_cvt_f16_f32_e32 v3, v3
	s_branch .LBB183_572
.LBB183_570:
	s_mov_b64 s[2:3], -1
                                        ; implicit-def: $vgpr3
	s_branch .LBB183_575
.LBB183_571:
	s_mov_b64 s[2:3], -1
                                        ; implicit-def: $vgpr3
.LBB183_572:
	s_andn2_b64 vcc, exec, s[2:3]
	s_cbranch_vccnz .LBB183_574
; %bb.573:
	global_load_ushort v3, v[1:2], off
	s_waitcnt vmcnt(0)
	v_cvt_f16_u16_e32 v3, v3
.LBB183_574:
	s_mov_b64 s[2:3], 0
.LBB183_575:
	s_andn2_b64 vcc, exec, s[2:3]
	s_cbranch_vccnz .LBB183_583
; %bb.576:
	global_load_ubyte v4, v[1:2], off
	s_movk_i32 s2, 0x7f
	s_waitcnt vmcnt(0)
	v_cmp_lt_i16_e32 vcc, s2, v4
	s_mov_b64 s[2:3], 0
	s_and_saveexec_b64 s[6:7], vcc
	s_xor_b64 s[6:7], exec, s[6:7]
	s_cbranch_execz .LBB183_597
; %bb.577:
	s_movk_i32 s2, 0x80
	v_cmp_eq_u16_e32 vcc, s2, v4
	s_mov_b64 s[2:3], -1
	s_and_saveexec_b64 s[54:55], vcc
; %bb.578:
	s_xor_b64 s[2:3], exec, -1
; %bb.579:
	s_or_b64 exec, exec, s[54:55]
	s_and_b64 s[2:3], s[2:3], exec
	s_or_saveexec_b64 s[6:7], s[6:7]
	v_mov_b32_e32 v3, 0x7e00
	s_xor_b64 exec, exec, s[6:7]
	s_cbranch_execnz .LBB183_598
.LBB183_580:
	s_or_b64 exec, exec, s[6:7]
	s_and_saveexec_b64 s[6:7], s[2:3]
	s_cbranch_execz .LBB183_582
.LBB183_581:
	v_lshlrev_b32_e32 v3, 24, v4
	v_and_b32_e32 v4, 0xffff, v4
	v_and_b32_e32 v6, 7, v4
	v_ffbh_u32_e32 v9, v6
	v_min_u32_e32 v9, 32, v9
	v_subrev_u32_e32 v10, 28, v9
	v_bfe_u32 v7, v4, 3, 4
	v_lshlrev_b32_e32 v4, v10, v4
	v_sub_u32_e32 v9, 29, v9
	v_and_b32_e32 v4, 7, v4
	v_cmp_eq_u32_e32 vcc, 0, v7
	v_cndmask_b32_e32 v7, v7, v9, vcc
	v_cndmask_b32_e32 v4, v6, v4, vcc
	v_mov_b32_e32 v6, 0x3b800000
	v_lshlrev_b32_e32 v4, 20, v4
	v_and_b32_e32 v3, 0x80000000, v3
	v_lshl_add_u32 v6, v7, 23, v6
	v_or3_b32 v3, v3, v6, v4
	v_cvt_f16_f32_e32 v3, v3
.LBB183_582:
	s_or_b64 exec, exec, s[6:7]
.LBB183_583:
	s_mov_b64 s[2:3], -1
.LBB183_584:
	s_mov_b64 s[6:7], 0
.LBB183_585:
	s_and_b64 vcc, exec, s[6:7]
	s_cbranch_vccz .LBB183_620
; %bb.586:
	s_cmp_gt_i32 s58, 22
	s_cbranch_scc0 .LBB183_596
; %bb.587:
	s_cmp_lt_i32 s58, 24
	s_cbranch_scc1 .LBB183_599
; %bb.588:
	s_cmp_gt_i32 s58, 24
	s_cbranch_scc0 .LBB183_600
; %bb.589:
	global_load_ubyte v4, v[1:2], off
	s_movk_i32 s2, 0x7f
	s_waitcnt vmcnt(0)
	v_cmp_lt_i16_e32 vcc, s2, v4
	s_mov_b64 s[2:3], 0
	s_and_saveexec_b64 s[6:7], vcc
	s_xor_b64 s[6:7], exec, s[6:7]
	s_cbranch_execz .LBB183_612
; %bb.590:
	s_movk_i32 s2, 0x80
	v_cmp_eq_u16_e32 vcc, s2, v4
	s_mov_b64 s[2:3], -1
	s_and_saveexec_b64 s[54:55], vcc
; %bb.591:
	s_xor_b64 s[2:3], exec, -1
; %bb.592:
	s_or_b64 exec, exec, s[54:55]
	s_and_b64 s[2:3], s[2:3], exec
	s_or_saveexec_b64 s[6:7], s[6:7]
	v_mov_b32_e32 v3, 0x7e00
	s_xor_b64 exec, exec, s[6:7]
	s_cbranch_execnz .LBB183_613
.LBB183_593:
	s_or_b64 exec, exec, s[6:7]
	s_and_saveexec_b64 s[6:7], s[2:3]
	s_cbranch_execz .LBB183_595
.LBB183_594:
	v_lshlrev_b32_e32 v3, 24, v4
	v_and_b32_e32 v4, 0xffff, v4
	v_and_b32_e32 v6, 3, v4
	v_ffbh_u32_e32 v9, v6
	v_min_u32_e32 v9, 32, v9
	v_subrev_u32_e32 v10, 29, v9
	v_bfe_u32 v7, v4, 2, 5
	v_lshlrev_b32_e32 v4, v10, v4
	v_sub_u32_e32 v9, 30, v9
	v_and_b32_e32 v4, 3, v4
	v_cmp_eq_u32_e32 vcc, 0, v7
	v_cndmask_b32_e32 v7, v7, v9, vcc
	v_cndmask_b32_e32 v4, v6, v4, vcc
	v_mov_b32_e32 v6, 0x37800000
	v_lshlrev_b32_e32 v4, 21, v4
	v_and_b32_e32 v3, 0x80000000, v3
	v_lshl_add_u32 v6, v7, 23, v6
	v_or3_b32 v3, v3, v6, v4
	v_cvt_f16_f32_e32 v3, v3
.LBB183_595:
	s_or_b64 exec, exec, s[6:7]
	s_mov_b64 s[2:3], 0
	s_branch .LBB183_601
.LBB183_596:
	s_mov_b64 s[6:7], -1
                                        ; implicit-def: $vgpr3
	s_branch .LBB183_607
.LBB183_597:
	s_or_saveexec_b64 s[6:7], s[6:7]
	v_mov_b32_e32 v3, 0x7e00
	s_xor_b64 exec, exec, s[6:7]
	s_cbranch_execz .LBB183_580
.LBB183_598:
	v_cmp_ne_u16_e32 vcc, 0, v4
	s_andn2_b64 s[2:3], s[2:3], exec
	s_and_b64 s[54:55], vcc, exec
	s_or_b64 s[2:3], s[2:3], s[54:55]
	v_mov_b32_e32 v3, v4
	s_or_b64 exec, exec, s[6:7]
	s_and_saveexec_b64 s[6:7], s[2:3]
	s_cbranch_execnz .LBB183_581
	s_branch .LBB183_582
.LBB183_599:
	s_mov_b64 s[2:3], -1
                                        ; implicit-def: $vgpr3
	s_branch .LBB183_604
.LBB183_600:
	s_mov_b64 s[2:3], -1
                                        ; implicit-def: $vgpr3
.LBB183_601:
	s_and_b64 vcc, exec, s[2:3]
	s_cbranch_vccz .LBB183_603
; %bb.602:
	global_load_ubyte v3, v[1:2], off
	s_mov_b32 s2, 0x7f800000
	s_waitcnt vmcnt(0)
	v_lshlrev_b32_e32 v3, 24, v3
	v_and_b32_e32 v4, 0x7f000000, v3
	v_ffbh_u32_e32 v6, v4
	v_min_u32_e32 v6, 32, v6
	v_sub_u32_e64 v6, v6, 4 clamp
	v_lshlrev_b32_e32 v9, v6, v4
	v_lshlrev_b32_e32 v6, 23, v6
	v_lshrrev_b32_e32 v9, 4, v9
	v_add_u32_e32 v7, 0x1000000, v4
	v_sub_u32_e32 v6, v9, v6
	v_ashrrev_i32_e32 v7, 8, v7
	v_add_u32_e32 v6, 0x3c000000, v6
	v_and_or_b32 v6, v7, s2, v6
	v_cmp_ne_u32_e32 vcc, 0, v4
	v_cndmask_b32_e32 v4, 0, v6, vcc
	s_brev_b32 s2, 1
	v_and_or_b32 v3, v3, s2, v4
	v_cvt_f16_f32_e32 v3, v3
.LBB183_603:
	s_mov_b64 s[2:3], 0
.LBB183_604:
	s_andn2_b64 vcc, exec, s[2:3]
	s_cbranch_vccnz .LBB183_606
; %bb.605:
	global_load_ubyte v3, v[1:2], off
	s_movk_i32 s2, 0x7f00
	s_brev_b32 s3, 16
	s_waitcnt vmcnt(0)
	v_lshlrev_b16_e32 v4, 8, v3
	v_lshlrev_b32_e32 v3, 25, v3
	v_lshrrev_b32_e32 v6, 4, v3
	v_and_or_b32 v7, v4, s2, 0.5
	v_or_b32_e32 v6, 0x70000000, v6
	v_add_f32_e32 v7, -0.5, v7
	v_mul_f32_e32 v6, 0x7800000, v6
	v_cmp_gt_u32_e32 vcc, s3, v3
	v_bfe_i32 v4, v4, 0, 16
	v_cndmask_b32_e32 v3, v6, v7, vcc
	s_brev_b32 s2, 1
	v_and_or_b32 v3, v4, s2, v3
	v_cvt_f16_f32_e32 v3, v3
.LBB183_606:
	s_mov_b64 s[6:7], 0
	s_mov_b64 s[2:3], -1
.LBB183_607:
	s_andn2_b64 vcc, exec, s[6:7]
	s_cbranch_vccnz .LBB183_620
; %bb.608:
	s_cmp_gt_i32 s58, 14
	s_cbranch_scc0 .LBB183_611
; %bb.609:
	s_cmp_eq_u32 s58, 15
	s_cbranch_scc0 .LBB183_614
; %bb.610:
	global_load_ushort v3, v[1:2], off
	s_mov_b64 s[2:3], -1
	s_mov_b64 s[52:53], 0
	s_waitcnt vmcnt(0)
	v_lshlrev_b32_e32 v3, 16, v3
	v_cvt_f16_f32_e32 v3, v3
	s_branch .LBB183_615
.LBB183_611:
	s_mov_b64 s[6:7], -1
                                        ; implicit-def: $vgpr3
	s_branch .LBB183_616
.LBB183_612:
	s_or_saveexec_b64 s[6:7], s[6:7]
	v_mov_b32_e32 v3, 0x7e00
	s_xor_b64 exec, exec, s[6:7]
	s_cbranch_execz .LBB183_593
.LBB183_613:
	v_cmp_ne_u16_e32 vcc, 0, v4
	s_andn2_b64 s[2:3], s[2:3], exec
	s_and_b64 s[54:55], vcc, exec
	s_or_b64 s[2:3], s[2:3], s[54:55]
	v_mov_b32_e32 v3, v4
	s_or_b64 exec, exec, s[6:7]
	s_and_saveexec_b64 s[6:7], s[2:3]
	s_cbranch_execnz .LBB183_594
	s_branch .LBB183_595
.LBB183_614:
	s_mov_b64 s[52:53], -1
                                        ; implicit-def: $vgpr3
.LBB183_615:
	s_mov_b64 s[6:7], 0
.LBB183_616:
	s_and_b64 vcc, exec, s[6:7]
	s_cbranch_vccz .LBB183_620
; %bb.617:
	s_cmp_eq_u32 s58, 11
	s_cbranch_scc0 .LBB183_619
; %bb.618:
	global_load_ubyte v3, v[1:2], off
	v_mov_b32_e32 v4, 0x3c00
	s_mov_b64 s[2:3], -1
	s_mov_b64 s[52:53], 0
	s_waitcnt vmcnt(0)
	v_cmp_ne_u16_e32 vcc, 0, v3
	v_cndmask_b32_e32 v3, 0, v4, vcc
	s_branch .LBB183_620
.LBB183_619:
	s_mov_b64 s[52:53], -1
                                        ; implicit-def: $vgpr3
.LBB183_620:
	s_mov_b64 s[6:7], 0
.LBB183_621:
	s_and_b64 vcc, exec, s[6:7]
	s_cbranch_vccz .LBB183_670
; %bb.622:
	s_and_b32 s6, 0xffff, s14
	s_cmp_lt_i32 s6, 5
	s_cbranch_scc1 .LBB183_627
; %bb.623:
	s_cmp_lt_i32 s6, 8
	s_cbranch_scc1 .LBB183_628
; %bb.624:
	;; [unrolled: 3-line block ×3, first 2 shown]
	s_cmp_gt_i32 s6, 9
	s_cbranch_scc0 .LBB183_630
; %bb.626:
	global_load_dwordx2 v[3:4], v[1:2], off
	s_movk_i32 s2, 0x1ff
	s_movk_i32 s3, 0xffe
	v_mov_b32_e32 v6, 0x7c00
	v_mov_b32_e32 v7, 0x7e00
	s_movk_i32 s7, 0x40f
	s_mov_b32 s14, 0x8000
	s_waitcnt vmcnt(0)
	v_and_or_b32 v3, v4, s2, v3
	v_cmp_ne_u32_e32 vcc, 0, v3
	v_lshrrev_b32_e32 v9, 8, v4
	v_bfe_u32 v10, v4, 20, 11
	v_cndmask_b32_e64 v3, 0, 1, vcc
	v_sub_u32_e32 v11, 0x3f1, v10
	v_and_or_b32 v3, v9, s3, v3
	v_add_u32_e32 v10, 0xfffffc10, v10
	v_med3_i32 v9, v11, 0, 13
	v_or_b32_e32 v11, 0x1000, v3
	v_cmp_ne_u32_e32 vcc, 0, v3
	v_lshl_or_b32 v12, v10, 12, v3
	v_cndmask_b32_e32 v3, v6, v7, vcc
	v_lshrrev_b32_e32 v7, v9, v11
	v_lshlrev_b32_e32 v9, v9, v7
	v_cmp_ne_u32_e32 vcc, v9, v11
	v_cndmask_b32_e64 v9, 0, 1, vcc
	v_or_b32_e32 v7, v7, v9
	v_cmp_gt_i32_e32 vcc, 1, v10
	v_cndmask_b32_e32 v7, v12, v7, vcc
	v_and_b32_e32 v9, 7, v7
	v_cmp_lt_i32_e32 vcc, 5, v9
	v_cndmask_b32_e64 v11, 0, 1, vcc
	v_cmp_eq_u32_e32 vcc, 3, v9
	v_cndmask_b32_e64 v9, 0, 1, vcc
	v_lshrrev_b32_e32 v7, 2, v7
	v_or_b32_e32 v9, v9, v11
	v_add_u32_e32 v7, v7, v9
	v_cmp_gt_i32_e32 vcc, 31, v10
	v_cndmask_b32_e32 v6, v6, v7, vcc
	v_cmp_eq_u32_e32 vcc, s7, v10
	v_lshrrev_b32_e32 v4, 16, v4
	v_cndmask_b32_e32 v3, v6, v3, vcc
	v_and_or_b32 v3, v4, s14, v3
	s_mov_b64 s[2:3], 0
	s_branch .LBB183_631
.LBB183_627:
	s_mov_b64 s[2:3], -1
                                        ; implicit-def: $vgpr3
	s_branch .LBB183_649
.LBB183_628:
	s_mov_b64 s[2:3], -1
                                        ; implicit-def: $vgpr3
	s_branch .LBB183_637
.LBB183_629:
	s_mov_b64 s[2:3], -1
                                        ; implicit-def: $vgpr3
	s_branch .LBB183_634
.LBB183_630:
	s_mov_b64 s[2:3], -1
                                        ; implicit-def: $vgpr3
.LBB183_631:
	s_andn2_b64 vcc, exec, s[2:3]
	s_cbranch_vccnz .LBB183_633
; %bb.632:
	global_load_dword v3, v[1:2], off
	s_waitcnt vmcnt(0)
	v_cvt_f16_f32_e32 v3, v3
.LBB183_633:
	s_mov_b64 s[2:3], 0
.LBB183_634:
	s_andn2_b64 vcc, exec, s[2:3]
	s_cbranch_vccnz .LBB183_636
; %bb.635:
	global_load_dword v3, v[1:2], off
.LBB183_636:
	s_mov_b64 s[2:3], 0
.LBB183_637:
	s_andn2_b64 vcc, exec, s[2:3]
	s_cbranch_vccnz .LBB183_648
; %bb.638:
	s_cmp_lt_i32 s6, 6
	s_cbranch_scc1 .LBB183_641
; %bb.639:
	s_cmp_gt_i32 s6, 6
	s_cbranch_scc0 .LBB183_642
; %bb.640:
	global_load_dwordx2 v[3:4], v[1:2], off
	s_movk_i32 s2, 0x1ff
	s_movk_i32 s3, 0xffe
	v_mov_b32_e32 v6, 0x7c00
	v_mov_b32_e32 v7, 0x7e00
	s_movk_i32 s7, 0x40f
	s_mov_b32 s14, 0x8000
	s_waitcnt vmcnt(0)
	v_and_or_b32 v3, v4, s2, v3
	v_cmp_ne_u32_e32 vcc, 0, v3
	v_lshrrev_b32_e32 v9, 8, v4
	v_bfe_u32 v10, v4, 20, 11
	v_cndmask_b32_e64 v3, 0, 1, vcc
	v_sub_u32_e32 v11, 0x3f1, v10
	v_and_or_b32 v3, v9, s3, v3
	v_add_u32_e32 v10, 0xfffffc10, v10
	v_med3_i32 v9, v11, 0, 13
	v_or_b32_e32 v11, 0x1000, v3
	v_cmp_ne_u32_e32 vcc, 0, v3
	v_lshl_or_b32 v12, v10, 12, v3
	v_cndmask_b32_e32 v3, v6, v7, vcc
	v_lshrrev_b32_e32 v7, v9, v11
	v_lshlrev_b32_e32 v9, v9, v7
	v_cmp_ne_u32_e32 vcc, v9, v11
	v_cndmask_b32_e64 v9, 0, 1, vcc
	v_or_b32_e32 v7, v7, v9
	v_cmp_gt_i32_e32 vcc, 1, v10
	v_cndmask_b32_e32 v7, v12, v7, vcc
	v_and_b32_e32 v9, 7, v7
	v_cmp_lt_i32_e32 vcc, 5, v9
	v_cndmask_b32_e64 v11, 0, 1, vcc
	v_cmp_eq_u32_e32 vcc, 3, v9
	v_cndmask_b32_e64 v9, 0, 1, vcc
	v_lshrrev_b32_e32 v7, 2, v7
	v_or_b32_e32 v9, v9, v11
	v_add_u32_e32 v7, v7, v9
	v_cmp_gt_i32_e32 vcc, 31, v10
	v_cndmask_b32_e32 v6, v6, v7, vcc
	v_cmp_eq_u32_e32 vcc, s7, v10
	v_lshrrev_b32_e32 v4, 16, v4
	v_cndmask_b32_e32 v3, v6, v3, vcc
	v_and_or_b32 v3, v4, s14, v3
	s_mov_b64 s[2:3], 0
	s_branch .LBB183_643
.LBB183_641:
	s_mov_b64 s[2:3], -1
                                        ; implicit-def: $vgpr3
	s_branch .LBB183_646
.LBB183_642:
	s_mov_b64 s[2:3], -1
                                        ; implicit-def: $vgpr3
.LBB183_643:
	s_andn2_b64 vcc, exec, s[2:3]
	s_cbranch_vccnz .LBB183_645
; %bb.644:
	global_load_dword v3, v[1:2], off
	s_waitcnt vmcnt(0)
	v_cvt_f16_f32_e32 v3, v3
.LBB183_645:
	s_mov_b64 s[2:3], 0
.LBB183_646:
	s_andn2_b64 vcc, exec, s[2:3]
	s_cbranch_vccnz .LBB183_648
; %bb.647:
	global_load_ushort v3, v[1:2], off
.LBB183_648:
	s_mov_b64 s[2:3], 0
.LBB183_649:
	s_andn2_b64 vcc, exec, s[2:3]
	s_cbranch_vccnz .LBB183_669
; %bb.650:
	s_cmp_lt_i32 s6, 2
	s_cbranch_scc1 .LBB183_654
; %bb.651:
	s_cmp_lt_i32 s6, 3
	s_cbranch_scc1 .LBB183_655
; %bb.652:
	s_cmp_gt_i32 s6, 3
	s_cbranch_scc0 .LBB183_656
; %bb.653:
	global_load_dwordx2 v[3:4], v[1:2], off
	s_mov_b64 s[2:3], 0
	s_waitcnt vmcnt(0)
	v_xor_b32_e32 v7, v3, v4
	v_ffbh_i32_e32 v6, v4
	v_ashrrev_i32_e32 v7, 31, v7
	v_add_u32_e32 v6, -1, v6
	v_add_u32_e32 v7, 32, v7
	v_min_u32_e32 v6, v6, v7
	v_lshlrev_b64 v[3:4], v6, v[3:4]
	v_min_u32_e32 v3, 1, v3
	v_or_b32_e32 v3, v4, v3
	v_cvt_f32_i32_e32 v3, v3
	v_sub_u32_e32 v4, 32, v6
	v_ldexp_f32 v3, v3, v4
	v_cvt_f16_f32_e32 v3, v3
	s_branch .LBB183_657
.LBB183_654:
	s_mov_b64 s[2:3], -1
                                        ; implicit-def: $vgpr3
	s_branch .LBB183_663
.LBB183_655:
	s_mov_b64 s[2:3], -1
                                        ; implicit-def: $vgpr3
	s_branch .LBB183_660
.LBB183_656:
	s_mov_b64 s[2:3], -1
                                        ; implicit-def: $vgpr3
.LBB183_657:
	s_andn2_b64 vcc, exec, s[2:3]
	s_cbranch_vccnz .LBB183_659
; %bb.658:
	global_load_dword v3, v[1:2], off
	s_waitcnt vmcnt(0)
	v_cvt_f32_i32_e32 v3, v3
	v_cvt_f16_f32_e32 v3, v3
.LBB183_659:
	s_mov_b64 s[2:3], 0
.LBB183_660:
	s_andn2_b64 vcc, exec, s[2:3]
	s_cbranch_vccnz .LBB183_662
; %bb.661:
	global_load_ushort v3, v[1:2], off
	s_waitcnt vmcnt(0)
	v_cvt_f16_i16_e32 v3, v3
.LBB183_662:
	s_mov_b64 s[2:3], 0
.LBB183_663:
	s_andn2_b64 vcc, exec, s[2:3]
	s_cbranch_vccnz .LBB183_669
; %bb.664:
	s_cmp_gt_i32 s6, 0
	s_cbranch_scc0 .LBB183_666
; %bb.665:
	global_load_sbyte v3, v[1:2], off
	s_mov_b64 s[2:3], 0
	s_waitcnt vmcnt(0)
	v_cvt_f16_i16_e32 v3, v3
	s_branch .LBB183_667
.LBB183_666:
	s_mov_b64 s[2:3], -1
                                        ; implicit-def: $vgpr3
.LBB183_667:
	s_andn2_b64 vcc, exec, s[2:3]
	s_cbranch_vccnz .LBB183_669
; %bb.668:
	global_load_ubyte v1, v[1:2], off
	s_waitcnt vmcnt(0)
	v_cvt_f16_u16_e32 v3, v1
.LBB183_669:
	s_mov_b64 s[2:3], -1
.LBB183_670:
	s_andn2_b64 vcc, exec, s[2:3]
	s_cbranch_vccnz .LBB183_678
; %bb.671:
	s_waitcnt vmcnt(0)
	v_cmp_eq_f16_e32 vcc, v5, v3
	v_cndmask_b32_e64 v1, 0, 1, vcc
	v_cmp_neq_f16_e32 vcc, v5, v3
	v_cndmask_b32_e64 v2, 0, 1, vcc
	v_cndmask_b32_e64 v1, v2, v1, s[0:1]
	v_and_b32_e32 v1, 1, v1
	v_cmp_eq_u32_e64 s[2:3], 1, v1
	v_mov_b32_e32 v1, s9
	s_and_b32 s14, s15, 0xff
	v_add_co_u32_e32 v0, vcc, s8, v0
	s_cmp_lt_i32 s14, 11
	v_addc_co_u32_e32 v1, vcc, 0, v1, vcc
	s_cbranch_scc1 .LBB183_679
; %bb.672:
	s_and_b32 s62, 0xffff, s14
	s_cmp_gt_i32 s62, 25
	s_cbranch_scc0 .LBB183_680
; %bb.673:
	s_cmp_gt_i32 s62, 28
	s_cbranch_scc0 .LBB183_681
; %bb.674:
	;; [unrolled: 3-line block ×4, first 2 shown]
	s_mov_b64 s[58:59], 0
	s_mov_b64 s[6:7], -1
	s_cmp_eq_u32 s62, 46
	s_mov_b64 s[54:55], 0
	s_cbranch_scc0 .LBB183_684
; %bb.677:
	v_cndmask_b32_e64 v2, 0, 1.0, s[2:3]
	v_bfe_u32 v3, v2, 16, 1
	s_movk_i32 s6, 0x7fff
	v_add3_u32 v2, v2, v3, s6
	v_lshrrev_b32_e32 v2, 16, v2
	global_store_dword v[0:1], v2, off
	s_mov_b64 s[54:55], -1
	s_mov_b64 s[6:7], 0
	s_branch .LBB183_684
.LBB183_678:
	s_mov_b64 s[2:3], 0
                                        ; implicit-def: $vgpr8
	s_mov_b64 s[6:7], s[42:43]
	s_branch .LBB183_794
.LBB183_679:
	s_mov_b64 s[58:59], -1
	s_mov_b64 s[54:55], 0
	s_mov_b64 s[6:7], s[42:43]
	s_branch .LBB183_753
.LBB183_680:
	s_mov_b64 s[58:59], -1
	s_mov_b64 s[54:55], 0
	s_mov_b64 s[6:7], s[42:43]
	s_branch .LBB183_711
.LBB183_681:
	s_mov_b64 s[58:59], -1
	s_mov_b64 s[54:55], 0
	s_mov_b64 s[6:7], s[42:43]
	s_branch .LBB183_694
.LBB183_682:
	s_mov_b64 s[58:59], -1
	s_mov_b64 s[54:55], 0
	s_mov_b64 s[6:7], s[42:43]
	s_branch .LBB183_690
.LBB183_683:
	s_mov_b64 s[58:59], -1
	s_mov_b64 s[54:55], 0
	s_mov_b64 s[6:7], s[42:43]
.LBB183_684:
	s_and_b64 vcc, exec, s[58:59]
	s_cbranch_vccz .LBB183_689
; %bb.685:
	s_cmp_eq_u32 s62, 44
	s_mov_b64 s[6:7], -1
	s_cbranch_scc0 .LBB183_689
; %bb.686:
	v_cndmask_b32_e64 v3, 0, 1.0, s[2:3]
	v_lshrrev_b32_e32 v2, 23, v3
	s_movk_i32 s6, 0xff
	v_cmp_ne_u32_e32 vcc, s6, v2
	v_mov_b32_e32 v4, 0xff
	s_and_saveexec_b64 s[54:55], vcc
; %bb.687:
	s_mov_b32 s6, 0x3fffff
	v_and_b32_e32 v4, 0x400000, v3
	v_and_or_b32 v3, v3, s6, v2
	v_cmp_ne_u32_e32 vcc, 0, v4
	v_cmp_ne_u32_e64 s[6:7], 0, v3
	s_and_b64 s[6:7], vcc, s[6:7]
	v_cndmask_b32_e64 v3, 0, 1, s[6:7]
	v_add_u32_e32 v4, v2, v3
; %bb.688:
	s_or_b64 exec, exec, s[54:55]
	s_mov_b64 s[54:55], -1
	s_mov_b64 s[6:7], 0
	global_store_byte v[0:1], v4, off
.LBB183_689:
	s_mov_b64 s[58:59], 0
.LBB183_690:
	s_and_b64 vcc, exec, s[58:59]
	s_cbranch_vccz .LBB183_693
; %bb.691:
	s_cmp_eq_u32 s62, 29
	s_mov_b64 s[6:7], -1
	s_cbranch_scc0 .LBB183_693
; %bb.692:
	s_mov_b32 s6, 0
	v_cndmask_b32_e64 v2, 0, 1, s[2:3]
	v_mov_b32_e32 v3, s6
	global_store_dwordx2 v[0:1], v[2:3], off
	s_mov_b64 s[54:55], -1
	s_mov_b64 s[6:7], 0
.LBB183_693:
	s_mov_b64 s[58:59], 0
.LBB183_694:
	s_and_b64 vcc, exec, s[58:59]
	s_cbranch_vccz .LBB183_710
; %bb.695:
	s_cmp_lt_i32 s62, 27
	s_mov_b64 s[54:55], -1
	s_cbranch_scc1 .LBB183_701
; %bb.696:
	s_cmp_gt_i32 s62, 27
	s_cbranch_scc0 .LBB183_698
; %bb.697:
	v_cndmask_b32_e64 v2, 0, 1, s[2:3]
	s_mov_b64 s[54:55], 0
	global_store_dword v[0:1], v2, off
.LBB183_698:
	s_andn2_b64 vcc, exec, s[54:55]
	s_cbranch_vccnz .LBB183_700
; %bb.699:
	v_cndmask_b32_e64 v2, 0, 1, s[2:3]
	global_store_short v[0:1], v2, off
.LBB183_700:
	s_mov_b64 s[54:55], 0
.LBB183_701:
	s_andn2_b64 vcc, exec, s[54:55]
	s_cbranch_vccnz .LBB183_709
; %bb.702:
	v_cndmask_b32_e64 v3, 0, 1.0, s[2:3]
	s_mov_b32 s54, 0x43800000
	v_cmp_gt_u32_e32 vcc, s54, v3
	v_mov_b32_e32 v4, 0x80
	s_and_saveexec_b64 s[54:55], vcc
	s_cbranch_execz .LBB183_708
; %bb.703:
	s_mov_b32 s58, 0x3bffffff
	v_cmp_lt_u32_e32 vcc, s58, v3
	s_mov_b64 s[58:59], 0
                                        ; implicit-def: $vgpr2
	s_and_saveexec_b64 s[60:61], vcc
	s_xor_b64 s[60:61], exec, s[60:61]
	s_cbranch_execz .LBB183_822
; %bb.704:
	v_bfe_u32 v2, v3, 20, 1
	s_mov_b32 s63, 0x487ffff
	v_add3_u32 v2, v3, v2, s63
	s_mov_b64 s[58:59], exec
	v_lshrrev_b32_e32 v2, 20, v2
                                        ; implicit-def: $vgpr3
	s_andn2_saveexec_b64 s[60:61], s[60:61]
	s_cbranch_execnz .LBB183_823
.LBB183_705:
	s_or_b64 exec, exec, s[60:61]
	v_mov_b32_e32 v4, 0
	s_and_saveexec_b64 s[60:61], s[58:59]
.LBB183_706:
	v_mov_b32_e32 v4, v2
.LBB183_707:
	s_or_b64 exec, exec, s[60:61]
.LBB183_708:
	s_or_b64 exec, exec, s[54:55]
	global_store_byte v[0:1], v4, off
.LBB183_709:
	s_mov_b64 s[54:55], -1
.LBB183_710:
	s_mov_b64 s[58:59], 0
.LBB183_711:
	s_and_b64 vcc, exec, s[58:59]
	s_cbranch_vccz .LBB183_752
; %bb.712:
	s_cmp_gt_i32 s62, 22
	s_mov_b64 s[58:59], -1
	s_cbranch_scc0 .LBB183_744
; %bb.713:
	s_cmp_lt_i32 s62, 24
	s_mov_b64 s[54:55], -1
	s_cbranch_scc1 .LBB183_733
; %bb.714:
	s_cmp_gt_i32 s62, 24
	s_cbranch_scc0 .LBB183_722
; %bb.715:
	v_cndmask_b32_e64 v3, 0, 1.0, s[2:3]
	s_mov_b32 s54, 0x47800000
	v_cmp_gt_u32_e32 vcc, s54, v3
	v_mov_b32_e32 v4, 0x80
	s_and_saveexec_b64 s[54:55], vcc
	s_cbranch_execz .LBB183_721
; %bb.716:
	s_mov_b32 s58, 0x37ffffff
	v_cmp_lt_u32_e32 vcc, s58, v3
	s_mov_b64 s[58:59], 0
                                        ; implicit-def: $vgpr2
	s_and_saveexec_b64 s[60:61], vcc
	s_xor_b64 s[60:61], exec, s[60:61]
	s_cbranch_execz .LBB183_954
; %bb.717:
	v_bfe_u32 v2, v3, 21, 1
	s_mov_b32 s63, 0x88fffff
	v_add3_u32 v2, v3, v2, s63
	s_mov_b64 s[58:59], exec
	v_lshrrev_b32_e32 v2, 21, v2
                                        ; implicit-def: $vgpr3
	s_andn2_saveexec_b64 s[60:61], s[60:61]
	s_cbranch_execnz .LBB183_955
.LBB183_718:
	s_or_b64 exec, exec, s[60:61]
	v_mov_b32_e32 v4, 0
	s_and_saveexec_b64 s[60:61], s[58:59]
.LBB183_719:
	v_mov_b32_e32 v4, v2
.LBB183_720:
	s_or_b64 exec, exec, s[60:61]
.LBB183_721:
	s_or_b64 exec, exec, s[54:55]
	s_mov_b64 s[54:55], 0
	global_store_byte v[0:1], v4, off
.LBB183_722:
	s_and_b64 vcc, exec, s[54:55]
	s_cbranch_vccz .LBB183_732
; %bb.723:
	v_cndmask_b32_e64 v2, 0, 1.0, s[2:3]
	s_mov_b32 s54, 0x43f00000
	v_cmp_gt_u32_e32 vcc, s54, v2
                                        ; implicit-def: $vgpr3
	s_and_saveexec_b64 s[54:55], vcc
	s_xor_b64 s[54:55], exec, s[54:55]
	s_cbranch_execz .LBB183_729
; %bb.724:
	s_mov_b32 s58, 0x3c7fffff
	v_cmp_lt_u32_e32 vcc, s58, v2
                                        ; implicit-def: $vgpr3
	s_and_saveexec_b64 s[58:59], vcc
	s_xor_b64 s[58:59], exec, s[58:59]
; %bb.725:
	v_bfe_u32 v3, v2, 20, 1
	s_mov_b32 s60, 0x407ffff
	v_add3_u32 v2, v2, v3, s60
	v_lshrrev_b32_e32 v3, 20, v2
	v_and_b32_e32 v2, 0xff00000, v2
	s_mov_b32 s60, 0x7f00000
	v_mov_b32_e32 v4, 0x7e
	v_cmp_ne_u32_e32 vcc, s60, v2
	v_cndmask_b32_e32 v3, v4, v3, vcc
                                        ; implicit-def: $vgpr2
; %bb.726:
	s_andn2_saveexec_b64 s[58:59], s[58:59]
; %bb.727:
	v_add_f32_e32 v3, 0x46800000, v2
; %bb.728:
	s_or_b64 exec, exec, s[58:59]
                                        ; implicit-def: $vgpr2
.LBB183_729:
	s_andn2_saveexec_b64 s[54:55], s[54:55]
; %bb.730:
	s_mov_b32 s58, 0x7f800000
	v_mov_b32_e32 v3, 0x7e
	v_mov_b32_e32 v4, 0x7f
	v_cmp_lt_u32_e32 vcc, s58, v2
	v_cndmask_b32_e32 v3, v3, v4, vcc
; %bb.731:
	s_or_b64 exec, exec, s[54:55]
	global_store_byte v[0:1], v3, off
.LBB183_732:
	s_mov_b64 s[54:55], 0
.LBB183_733:
	s_andn2_b64 vcc, exec, s[54:55]
	s_cbranch_vccnz .LBB183_743
; %bb.734:
	v_cndmask_b32_e64 v2, 0, 1.0, s[2:3]
	s_mov_b32 s54, 0x47800000
	v_cmp_gt_u32_e32 vcc, s54, v2
                                        ; implicit-def: $vgpr3
	s_and_saveexec_b64 s[54:55], vcc
	s_xor_b64 s[54:55], exec, s[54:55]
	s_cbranch_execz .LBB183_740
; %bb.735:
	s_mov_b32 s58, 0x387fffff
	v_cmp_lt_u32_e32 vcc, s58, v2
                                        ; implicit-def: $vgpr3
	s_and_saveexec_b64 s[58:59], vcc
	s_xor_b64 s[58:59], exec, s[58:59]
; %bb.736:
	v_bfe_u32 v3, v2, 21, 1
	s_mov_b32 s60, 0x80fffff
	v_add3_u32 v2, v2, v3, s60
	v_lshrrev_b32_e32 v3, 21, v2
                                        ; implicit-def: $vgpr2
; %bb.737:
	s_andn2_saveexec_b64 s[58:59], s[58:59]
; %bb.738:
	v_add_f32_e32 v3, 0x43000000, v2
; %bb.739:
	s_or_b64 exec, exec, s[58:59]
                                        ; implicit-def: $vgpr2
.LBB183_740:
	s_andn2_saveexec_b64 s[54:55], s[54:55]
; %bb.741:
	s_mov_b32 s58, 0x7f800000
	v_mov_b32_e32 v3, 0x7c
	v_mov_b32_e32 v4, 0x7f
	v_cmp_lt_u32_e32 vcc, s58, v2
	v_cndmask_b32_e32 v3, v3, v4, vcc
; %bb.742:
	s_or_b64 exec, exec, s[54:55]
	global_store_byte v[0:1], v3, off
.LBB183_743:
	s_mov_b64 s[58:59], 0
	s_mov_b64 s[54:55], -1
.LBB183_744:
	s_andn2_b64 vcc, exec, s[58:59]
	s_cbranch_vccnz .LBB183_752
; %bb.745:
	s_cmp_gt_i32 s62, 14
	s_mov_b64 s[58:59], -1
	s_cbranch_scc0 .LBB183_749
; %bb.746:
	s_cmp_eq_u32 s62, 15
	s_mov_b64 s[6:7], -1
	s_cbranch_scc0 .LBB183_748
; %bb.747:
	v_cndmask_b32_e64 v2, 0, 1.0, s[2:3]
	v_bfe_u32 v3, v2, 16, 1
	s_movk_i32 s6, 0x7fff
	v_add3_u32 v2, v2, v3, s6
	global_store_short_d16_hi v[0:1], v2, off
	s_mov_b64 s[54:55], -1
	s_mov_b64 s[6:7], 0
.LBB183_748:
	s_mov_b64 s[58:59], 0
.LBB183_749:
	s_and_b64 vcc, exec, s[58:59]
	s_cbranch_vccz .LBB183_752
; %bb.750:
	s_cmp_eq_u32 s62, 11
	s_mov_b64 s[6:7], -1
	s_cbranch_scc0 .LBB183_752
; %bb.751:
	v_cndmask_b32_e64 v2, 0, 1, s[2:3]
	s_mov_b64 s[54:55], -1
	s_mov_b64 s[6:7], 0
	global_store_byte v[0:1], v2, off
.LBB183_752:
	s_mov_b64 s[58:59], 0
.LBB183_753:
	s_and_b64 vcc, exec, s[58:59]
	s_cbranch_vccz .LBB183_792
; %bb.754:
	s_and_b32 s14, 0xffff, s14
	s_cmp_lt_i32 s14, 5
	s_mov_b64 s[54:55], -1
	s_cbranch_scc1 .LBB183_775
; %bb.755:
	s_cmp_lt_i32 s14, 8
	s_cbranch_scc1 .LBB183_765
; %bb.756:
	s_cmp_lt_i32 s14, 9
	s_cbranch_scc1 .LBB183_762
; %bb.757:
	s_cmp_gt_i32 s14, 9
	s_cbranch_scc0 .LBB183_759
; %bb.758:
	v_cndmask_b32_e64 v2, 0, 1, s[2:3]
	v_cvt_f64_u32_e32 v[2:3], v2
	v_mov_b32_e32 v4, 0
	v_mov_b32_e32 v5, v4
	s_mov_b64 s[54:55], 0
	global_store_dwordx4 v[0:1], v[2:5], off
.LBB183_759:
	s_andn2_b64 vcc, exec, s[54:55]
	s_cbranch_vccnz .LBB183_761
; %bb.760:
	v_cndmask_b32_e64 v2, 0, 1.0, s[2:3]
	v_mov_b32_e32 v3, 0
	global_store_dwordx2 v[0:1], v[2:3], off
.LBB183_761:
	s_mov_b64 s[54:55], 0
.LBB183_762:
	s_andn2_b64 vcc, exec, s[54:55]
	s_cbranch_vccnz .LBB183_764
; %bb.763:
	v_cndmask_b32_e64 v2, 0, 1.0, s[2:3]
	v_cvt_f16_f32_e32 v2, v2
	global_store_dword v[0:1], v2, off
.LBB183_764:
	s_mov_b64 s[54:55], 0
.LBB183_765:
	s_andn2_b64 vcc, exec, s[54:55]
	s_cbranch_vccnz .LBB183_774
; %bb.766:
	s_cmp_lt_i32 s14, 6
	s_mov_b64 s[54:55], -1
	s_cbranch_scc1 .LBB183_772
; %bb.767:
	s_cmp_gt_i32 s14, 6
	s_cbranch_scc0 .LBB183_769
; %bb.768:
	v_cndmask_b32_e64 v2, 0, 1, s[2:3]
	v_cvt_f64_u32_e32 v[2:3], v2
	s_mov_b64 s[54:55], 0
	global_store_dwordx2 v[0:1], v[2:3], off
.LBB183_769:
	s_andn2_b64 vcc, exec, s[54:55]
	s_cbranch_vccnz .LBB183_771
; %bb.770:
	v_cndmask_b32_e64 v2, 0, 1.0, s[2:3]
	global_store_dword v[0:1], v2, off
.LBB183_771:
	s_mov_b64 s[54:55], 0
.LBB183_772:
	s_andn2_b64 vcc, exec, s[54:55]
	s_cbranch_vccnz .LBB183_774
; %bb.773:
	v_cndmask_b32_e64 v2, 0, 1.0, s[2:3]
	v_cvt_f16_f32_e32 v2, v2
	global_store_short v[0:1], v2, off
.LBB183_774:
	s_mov_b64 s[54:55], 0
.LBB183_775:
	s_andn2_b64 vcc, exec, s[54:55]
	s_cbranch_vccnz .LBB183_791
; %bb.776:
	s_cmp_lt_i32 s14, 2
	s_mov_b64 s[54:55], -1
	s_cbranch_scc1 .LBB183_786
; %bb.777:
	s_cmp_lt_i32 s14, 3
	s_cbranch_scc1 .LBB183_783
; %bb.778:
	s_cmp_gt_i32 s14, 3
	s_cbranch_scc0 .LBB183_780
; %bb.779:
	s_mov_b32 s54, 0
	v_cndmask_b32_e64 v2, 0, 1, s[2:3]
	v_mov_b32_e32 v3, s54
	s_mov_b64 s[54:55], 0
	global_store_dwordx2 v[0:1], v[2:3], off
.LBB183_780:
	s_andn2_b64 vcc, exec, s[54:55]
	s_cbranch_vccnz .LBB183_782
; %bb.781:
	v_cndmask_b32_e64 v2, 0, 1, s[2:3]
	global_store_dword v[0:1], v2, off
.LBB183_782:
	s_mov_b64 s[54:55], 0
.LBB183_783:
	s_andn2_b64 vcc, exec, s[54:55]
	s_cbranch_vccnz .LBB183_785
; %bb.784:
	v_cndmask_b32_e64 v2, 0, 1, s[2:3]
	global_store_short v[0:1], v2, off
.LBB183_785:
	s_mov_b64 s[54:55], 0
.LBB183_786:
	s_andn2_b64 vcc, exec, s[54:55]
	s_cbranch_vccnz .LBB183_791
; %bb.787:
	s_mov_b64 s[54:55], -1
	s_cmp_gt_i32 s14, 0
	v_cndmask_b32_e64 v2, 0, 1, s[2:3]
	s_cbranch_scc0 .LBB183_789
; %bb.788:
	s_mov_b64 s[54:55], 0
	global_store_byte v[0:1], v2, off
.LBB183_789:
	s_andn2_b64 vcc, exec, s[54:55]
	s_cbranch_vccnz .LBB183_791
; %bb.790:
	global_store_byte v[0:1], v2, off
.LBB183_791:
	s_mov_b64 s[54:55], -1
.LBB183_792:
	s_andn2_b64 vcc, exec, s[54:55]
	s_cbranch_vccnz .LBB183_804
; %bb.793:
	v_add_u32_e32 v8, 0x80, v8
	s_mov_b64 s[2:3], -1
.LBB183_794:
	s_andn2_b64 s[54:55], s[42:43], exec
	s_and_b64 s[6:7], s[6:7], exec
	s_or_b64 s[54:55], s[54:55], s[6:7]
	s_andn2_b64 s[6:7], s[44:45], exec
	s_and_b64 s[52:53], s[52:53], exec
	s_or_b64 s[52:53], s[6:7], s[52:53]
	;; [unrolled: 3-line block ×3, first 2 shown]
	s_orn2_b64 s[2:3], s[2:3], exec
.LBB183_795:
	s_or_b64 exec, exec, s[56:57]
	s_mov_b64 s[6:7], 0
	s_mov_b64 s[58:59], 0
	;; [unrolled: 1-line block ×3, first 2 shown]
                                        ; implicit-def: $sgpr14
                                        ; implicit-def: $vgpr3_vgpr4
                                        ; implicit-def: $vgpr0
                                        ; implicit-def: $vgpr2
                                        ; implicit-def: $vgpr5
	s_and_saveexec_b64 s[56:57], s[2:3]
	s_cbranch_execz .LBB183_1292
; %bb.796:
	v_cmp_gt_i32_e32 vcc, s70, v8
	s_mov_b64 s[68:69], -1
	s_mov_b64 s[2:3], s[50:51]
	s_mov_b64 s[6:7], s[52:53]
	;; [unrolled: 1-line block ×3, first 2 shown]
	s_and_saveexec_b64 s[58:59], vcc
	s_cbranch_execz .LBB183_1196
; %bb.797:
	s_andn2_b64 vcc, exec, s[28:29]
	s_cbranch_vccnz .LBB183_803
; %bb.798:
	s_andn2_b64 vcc, exec, s[40:41]
	s_cbranch_vccnz .LBB183_805
; %bb.799:
	s_add_i32 s2, s75, 1
	s_and_b32 s6, s2, 30
	s_add_u32 s2, s24, 0xffffffe8
	s_addc_u32 s3, s25, -1
	v_mov_b32_e32 v2, 0
	v_mov_b32_e32 v4, 0
	;; [unrolled: 1-line block ×4, first 2 shown]
.LBB183_800:                            ; =>This Inner Loop Header: Depth=1
	s_load_dwordx4 s[60:63], s[2:3], 0x1c
	s_load_dwordx2 s[68:69], s[2:3], 0x2c
	s_load_dwordx2 s[76:77], s[2:3], 0xec
	s_load_dwordx4 s[64:67], s[2:3], 0xdc
	s_add_u32 s2, s2, 24
	s_waitcnt vmcnt(0) lgkmcnt(0)
	v_mul_hi_u32 v3, s61, v1
	s_addc_u32 s3, s3, 0
	s_add_i32 s6, s6, -2
	s_cmp_eq_u32 s6, 0
	v_add_u32_e32 v3, v1, v3
	v_lshrrev_b32_e32 v3, s62, v3
	v_mul_lo_u32 v5, v3, s60
	v_mul_hi_u32 v6, s68, v3
	v_sub_u32_e32 v5, v1, v5
	v_add_u32_e32 v1, v3, v6
	v_lshrrev_b32_e32 v1, s69, v1
	v_mul_lo_u32 v9, v1, s63
	v_mul_lo_u32 v6, v5, s64
	;; [unrolled: 1-line block ×4, first 2 shown]
	v_sub_u32_e32 v3, v3, v9
	v_mul_lo_u32 v9, v3, s67
	v_mul_lo_u32 v10, v3, s76
	v_mul_lo_u32 v3, v3, s77
	v_add3_u32 v0, v6, v0, v9
	v_add3_u32 v4, v7, v4, v10
	;; [unrolled: 1-line block ×3, first 2 shown]
	s_cbranch_scc0 .LBB183_800
; %bb.801:
	s_bitcmp1_b32 s75, 0
	s_cselect_b64 s[6:7], -1, 0
	s_and_b64 vcc, exec, s[6:7]
	s_cbranch_vccnz .LBB183_806
; %bb.802:
	s_load_dwordx2 s[6:7], s[2:3], 0x1c
	s_load_dword s14, s[2:3], 0x24
	s_load_dwordx2 s[60:61], s[2:3], 0xdc
	s_waitcnt lgkmcnt(0)
	v_mul_hi_u32 v3, s7, v1
	v_add_u32_e32 v3, v1, v3
	v_lshrrev_b32_e32 v3, s14, v3
	v_mul_lo_u32 v3, v3, s6
	s_load_dword s6, s[2:3], 0xe4
	v_sub_u32_e32 v3, v1, v3
	v_mad_u64_u32 v[0:1], s[2:3], v3, s60, v[0:1]
	v_mad_u64_u32 v[4:5], s[2:3], v3, s61, v[4:5]
	s_waitcnt lgkmcnt(0)
	v_mad_u64_u32 v[2:3], s[2:3], v3, s6, v[2:3]
	s_branch .LBB183_806
.LBB183_803:
	s_mov_b64 s[2:3], -1
                                        ; implicit-def: $vgpr0
                                        ; implicit-def: $vgpr4
                                        ; implicit-def: $vgpr2
	s_branch .LBB183_807
.LBB183_804:
	s_mov_b64 s[2:3], 0
	s_branch .LBB183_552
.LBB183_805:
	v_mov_b32_e32 v0, 0
	v_mov_b32_e32 v4, 0
	;; [unrolled: 1-line block ×3, first 2 shown]
.LBB183_806:
	s_mov_b64 s[2:3], 0
.LBB183_807:
	s_andn2_b64 vcc, exec, s[2:3]
	s_cbranch_vccnz .LBB183_810
; %bb.808:
	v_mul_hi_u32 v0, s17, v8
	s_andn2_b64 vcc, exec, s[38:39]
	v_add_u32_e32 v0, v8, v0
	v_lshrrev_b32_e32 v1, s18, v0
	v_mul_lo_u32 v0, v1, s16
	v_sub_u32_e32 v2, v8, v0
	v_mul_lo_u32 v0, v2, s20
	v_mul_lo_u32 v4, v2, s21
	;; [unrolled: 1-line block ×3, first 2 shown]
	s_cbranch_vccnz .LBB183_810
; %bb.809:
	s_waitcnt vmcnt(0)
	v_mul_hi_u32 v3, s36, v1
	v_add_u32_e32 v3, v1, v3
	v_lshrrev_b32_e32 v3, s37, v3
	v_mul_lo_u32 v3, v3, s19
	v_sub_u32_e32 v3, v1, v3
	v_mad_u64_u32 v[0:1], s[2:3], v3, s23, v[0:1]
	v_mad_u64_u32 v[4:5], s[2:3], v3, s34, v[4:5]
	;; [unrolled: 1-line block ×3, first 2 shown]
.LBB183_810:
	v_mov_b32_e32 v1, s11
	s_and_b32 s14, s74, 0xff
	s_waitcnt vmcnt(0)
	v_add_co_u32_e32 v3, vcc, s10, v4
	s_cmp_lt_i32 s14, 11
	v_addc_co_u32_e32 v4, vcc, 0, v1, vcc
	s_cbranch_scc1 .LBB183_817
; %bb.811:
	s_and_b32 s64, 0xffff, s14
	s_cmp_gt_i32 s64, 25
	s_cbranch_scc0 .LBB183_818
; %bb.812:
	s_cmp_gt_i32 s64, 28
	s_cbranch_scc0 .LBB183_819
; %bb.813:
	;; [unrolled: 3-line block ×4, first 2 shown]
	s_cmp_eq_u32 s64, 46
	s_mov_b64 s[6:7], 0
	s_cbranch_scc0 .LBB183_824
; %bb.816:
	global_load_dword v1, v[3:4], off
	s_mov_b64 s[2:3], -1
	s_mov_b64 s[60:61], 0
	s_waitcnt vmcnt(0)
	v_lshlrev_b32_e32 v1, 16, v1
	v_cvt_f16_f32_e32 v5, v1
	s_branch .LBB183_825
.LBB183_817:
	s_mov_b64 s[6:7], -1
	s_mov_b64 s[2:3], 0
                                        ; implicit-def: $vgpr5
	s_mov_b64 s[60:61], s[50:51]
	s_branch .LBB183_890
.LBB183_818:
	s_mov_b64 s[6:7], -1
	s_mov_b64 s[2:3], 0
	s_mov_b64 s[60:61], s[50:51]
                                        ; implicit-def: $vgpr5
	s_branch .LBB183_854
.LBB183_819:
	s_mov_b64 s[6:7], -1
	s_mov_b64 s[2:3], 0
	s_mov_b64 s[60:61], s[50:51]
                                        ; implicit-def: $vgpr5
	s_branch .LBB183_835
.LBB183_820:
	s_mov_b64 s[6:7], -1
	s_mov_b64 s[2:3], 0
	s_mov_b64 s[60:61], s[50:51]
                                        ; implicit-def: $vgpr5
	s_branch .LBB183_830
.LBB183_821:
	s_mov_b64 s[6:7], -1
	s_mov_b64 s[2:3], 0
	s_mov_b64 s[60:61], s[50:51]
                                        ; implicit-def: $vgpr5
	s_branch .LBB183_825
.LBB183_822:
	s_andn2_saveexec_b64 s[60:61], s[60:61]
	s_cbranch_execz .LBB183_705
.LBB183_823:
	v_add_f32_e32 v2, 0x46000000, v3
	v_and_b32_e32 v2, 0xff, v2
	v_cmp_ne_u32_e32 vcc, 0, v2
	s_andn2_b64 s[58:59], s[58:59], exec
	s_and_b64 s[64:65], vcc, exec
	s_or_b64 s[58:59], s[58:59], s[64:65]
	s_or_b64 exec, exec, s[60:61]
	v_mov_b32_e32 v4, 0
	s_and_saveexec_b64 s[60:61], s[58:59]
	s_cbranch_execnz .LBB183_706
	s_branch .LBB183_707
.LBB183_824:
	s_mov_b64 s[60:61], -1
                                        ; implicit-def: $vgpr5
	s_mov_b64 s[2:3], 0
.LBB183_825:
	s_and_b64 vcc, exec, s[6:7]
	s_cbranch_vccz .LBB183_829
; %bb.826:
	s_cmp_eq_u32 s64, 44
	s_cbranch_scc0 .LBB183_828
; %bb.827:
	global_load_ubyte v1, v[3:4], off
	s_movk_i32 s6, 0xff
	v_mov_b32_e32 v6, 0x7e00
	s_mov_b64 s[2:3], -1
	s_mov_b64 s[60:61], 0
	s_waitcnt vmcnt(0)
	v_lshlrev_b32_e32 v5, 23, v1
	v_cvt_f16_f32_e32 v5, v5
	v_cmp_ne_u32_e32 vcc, s6, v1
	v_cndmask_b32_e32 v5, v6, v5, vcc
	v_cmp_ne_u32_e32 vcc, 0, v1
	v_cndmask_b32_e32 v5, 0, v5, vcc
	s_branch .LBB183_829
.LBB183_828:
	s_mov_b64 s[60:61], -1
                                        ; implicit-def: $vgpr5
.LBB183_829:
	s_mov_b64 s[6:7], 0
.LBB183_830:
	s_and_b64 vcc, exec, s[6:7]
	s_cbranch_vccz .LBB183_834
; %bb.831:
	s_cmp_eq_u32 s64, 29
	s_cbranch_scc0 .LBB183_833
; %bb.832:
	global_load_dwordx2 v[5:6], v[3:4], off
	s_mov_b64 s[2:3], -1
	s_mov_b64 s[60:61], 0
	s_mov_b64 s[6:7], 0
	s_waitcnt vmcnt(0)
	v_ffbh_u32_e32 v1, v6
	v_min_u32_e32 v1, 32, v1
	v_lshlrev_b64 v[5:6], v1, v[5:6]
	v_sub_u32_e32 v1, 32, v1
	v_min_u32_e32 v5, 1, v5
	v_or_b32_e32 v5, v6, v5
	v_cvt_f32_u32_e32 v5, v5
	v_ldexp_f32 v1, v5, v1
	v_cvt_f16_f32_e32 v5, v1
	s_branch .LBB183_835
.LBB183_833:
	s_mov_b64 s[60:61], -1
                                        ; implicit-def: $vgpr5
.LBB183_834:
	s_mov_b64 s[6:7], 0
.LBB183_835:
	s_and_b64 vcc, exec, s[6:7]
	s_cbranch_vccz .LBB183_853
; %bb.836:
	s_cmp_lt_i32 s64, 27
	s_cbranch_scc1 .LBB183_839
; %bb.837:
	s_cmp_gt_i32 s64, 27
	s_cbranch_scc0 .LBB183_840
; %bb.838:
	global_load_dword v1, v[3:4], off
	s_mov_b64 s[2:3], 0
	s_waitcnt vmcnt(0)
	v_cvt_f32_u32_e32 v1, v1
	v_cvt_f16_f32_e32 v5, v1
	s_branch .LBB183_841
.LBB183_839:
	s_mov_b64 s[2:3], -1
                                        ; implicit-def: $vgpr5
	s_branch .LBB183_844
.LBB183_840:
	s_mov_b64 s[2:3], -1
                                        ; implicit-def: $vgpr5
.LBB183_841:
	s_andn2_b64 vcc, exec, s[2:3]
	s_cbranch_vccnz .LBB183_843
; %bb.842:
	global_load_ushort v1, v[3:4], off
	s_waitcnt vmcnt(0)
	v_cvt_f16_u16_e32 v5, v1
.LBB183_843:
	s_mov_b64 s[2:3], 0
.LBB183_844:
	s_andn2_b64 vcc, exec, s[2:3]
	s_cbranch_vccnz .LBB183_852
; %bb.845:
	global_load_ubyte v1, v[3:4], off
	s_movk_i32 s2, 0x7f
	s_waitcnt vmcnt(0)
	v_cmp_lt_i16_e32 vcc, s2, v1
	s_mov_b64 s[2:3], 0
	s_and_saveexec_b64 s[6:7], vcc
	s_xor_b64 s[6:7], exec, s[6:7]
	s_cbranch_execz .LBB183_866
; %bb.846:
	s_movk_i32 s2, 0x80
	v_cmp_eq_u16_e32 vcc, s2, v1
	s_mov_b64 s[2:3], -1
	s_and_saveexec_b64 s[62:63], vcc
; %bb.847:
	s_xor_b64 s[2:3], exec, -1
; %bb.848:
	s_or_b64 exec, exec, s[62:63]
	s_and_b64 s[2:3], s[2:3], exec
	s_or_saveexec_b64 s[6:7], s[6:7]
	v_mov_b32_e32 v5, 0x7e00
	s_xor_b64 exec, exec, s[6:7]
	s_cbranch_execnz .LBB183_867
.LBB183_849:
	s_or_b64 exec, exec, s[6:7]
	s_and_saveexec_b64 s[6:7], s[2:3]
	s_cbranch_execz .LBB183_851
.LBB183_850:
	v_lshlrev_b32_e32 v5, 24, v1
	v_and_b32_e32 v1, 0xffff, v1
	v_and_b32_e32 v6, 7, v1
	v_ffbh_u32_e32 v9, v6
	v_min_u32_e32 v9, 32, v9
	v_subrev_u32_e32 v10, 28, v9
	v_bfe_u32 v7, v1, 3, 4
	v_lshlrev_b32_e32 v1, v10, v1
	v_sub_u32_e32 v9, 29, v9
	v_and_b32_e32 v1, 7, v1
	v_cmp_eq_u32_e32 vcc, 0, v7
	v_cndmask_b32_e32 v7, v7, v9, vcc
	v_cndmask_b32_e32 v1, v6, v1, vcc
	v_mov_b32_e32 v6, 0x3b800000
	v_lshlrev_b32_e32 v1, 20, v1
	v_and_b32_e32 v5, 0x80000000, v5
	v_lshl_add_u32 v6, v7, 23, v6
	v_or3_b32 v1, v5, v6, v1
	v_cvt_f16_f32_e32 v5, v1
.LBB183_851:
	s_or_b64 exec, exec, s[6:7]
.LBB183_852:
	s_mov_b64 s[2:3], -1
.LBB183_853:
	s_mov_b64 s[6:7], 0
.LBB183_854:
	s_and_b64 vcc, exec, s[6:7]
	s_cbranch_vccz .LBB183_889
; %bb.855:
	s_cmp_gt_i32 s64, 22
	s_cbranch_scc0 .LBB183_865
; %bb.856:
	s_cmp_lt_i32 s64, 24
	s_cbranch_scc1 .LBB183_868
; %bb.857:
	s_cmp_gt_i32 s64, 24
	s_cbranch_scc0 .LBB183_869
; %bb.858:
	global_load_ubyte v1, v[3:4], off
	s_movk_i32 s2, 0x7f
	s_waitcnt vmcnt(0)
	v_cmp_lt_i16_e32 vcc, s2, v1
	s_mov_b64 s[2:3], 0
	s_and_saveexec_b64 s[6:7], vcc
	s_xor_b64 s[6:7], exec, s[6:7]
	s_cbranch_execz .LBB183_881
; %bb.859:
	s_movk_i32 s2, 0x80
	v_cmp_eq_u16_e32 vcc, s2, v1
	s_mov_b64 s[2:3], -1
	s_and_saveexec_b64 s[62:63], vcc
; %bb.860:
	s_xor_b64 s[2:3], exec, -1
; %bb.861:
	s_or_b64 exec, exec, s[62:63]
	s_and_b64 s[2:3], s[2:3], exec
	s_or_saveexec_b64 s[6:7], s[6:7]
	v_mov_b32_e32 v5, 0x7e00
	s_xor_b64 exec, exec, s[6:7]
	s_cbranch_execnz .LBB183_882
.LBB183_862:
	s_or_b64 exec, exec, s[6:7]
	s_and_saveexec_b64 s[6:7], s[2:3]
	s_cbranch_execz .LBB183_864
.LBB183_863:
	v_lshlrev_b32_e32 v5, 24, v1
	v_and_b32_e32 v1, 0xffff, v1
	v_and_b32_e32 v6, 3, v1
	v_ffbh_u32_e32 v9, v6
	v_min_u32_e32 v9, 32, v9
	v_subrev_u32_e32 v10, 29, v9
	v_bfe_u32 v7, v1, 2, 5
	v_lshlrev_b32_e32 v1, v10, v1
	v_sub_u32_e32 v9, 30, v9
	v_and_b32_e32 v1, 3, v1
	v_cmp_eq_u32_e32 vcc, 0, v7
	v_cndmask_b32_e32 v7, v7, v9, vcc
	v_cndmask_b32_e32 v1, v6, v1, vcc
	v_mov_b32_e32 v6, 0x37800000
	v_lshlrev_b32_e32 v1, 21, v1
	v_and_b32_e32 v5, 0x80000000, v5
	v_lshl_add_u32 v6, v7, 23, v6
	v_or3_b32 v1, v5, v6, v1
	v_cvt_f16_f32_e32 v5, v1
.LBB183_864:
	s_or_b64 exec, exec, s[6:7]
	s_mov_b64 s[2:3], 0
	s_branch .LBB183_870
.LBB183_865:
	s_mov_b64 s[6:7], -1
                                        ; implicit-def: $vgpr5
	s_branch .LBB183_876
.LBB183_866:
	s_or_saveexec_b64 s[6:7], s[6:7]
	v_mov_b32_e32 v5, 0x7e00
	s_xor_b64 exec, exec, s[6:7]
	s_cbranch_execz .LBB183_849
.LBB183_867:
	v_cmp_ne_u16_e32 vcc, 0, v1
	s_andn2_b64 s[2:3], s[2:3], exec
	s_and_b64 s[62:63], vcc, exec
	s_or_b64 s[2:3], s[2:3], s[62:63]
	v_mov_b32_e32 v5, v1
	s_or_b64 exec, exec, s[6:7]
	s_and_saveexec_b64 s[6:7], s[2:3]
	s_cbranch_execnz .LBB183_850
	s_branch .LBB183_851
.LBB183_868:
	s_mov_b64 s[2:3], -1
                                        ; implicit-def: $vgpr5
	s_branch .LBB183_873
.LBB183_869:
	s_mov_b64 s[2:3], -1
                                        ; implicit-def: $vgpr5
.LBB183_870:
	s_and_b64 vcc, exec, s[2:3]
	s_cbranch_vccz .LBB183_872
; %bb.871:
	global_load_ubyte v1, v[3:4], off
	s_mov_b32 s2, 0x7f800000
	s_waitcnt vmcnt(0)
	v_lshlrev_b32_e32 v1, 24, v1
	v_and_b32_e32 v5, 0x7f000000, v1
	v_ffbh_u32_e32 v6, v5
	v_min_u32_e32 v6, 32, v6
	v_sub_u32_e64 v6, v6, 4 clamp
	v_lshlrev_b32_e32 v9, v6, v5
	v_lshlrev_b32_e32 v6, 23, v6
	v_lshrrev_b32_e32 v9, 4, v9
	v_add_u32_e32 v7, 0x1000000, v5
	v_sub_u32_e32 v6, v9, v6
	v_ashrrev_i32_e32 v7, 8, v7
	v_add_u32_e32 v6, 0x3c000000, v6
	v_and_or_b32 v6, v7, s2, v6
	v_cmp_ne_u32_e32 vcc, 0, v5
	v_cndmask_b32_e32 v5, 0, v6, vcc
	s_brev_b32 s2, 1
	v_and_or_b32 v1, v1, s2, v5
	v_cvt_f16_f32_e32 v5, v1
.LBB183_872:
	s_mov_b64 s[2:3], 0
.LBB183_873:
	s_andn2_b64 vcc, exec, s[2:3]
	s_cbranch_vccnz .LBB183_875
; %bb.874:
	global_load_ubyte v1, v[3:4], off
	s_movk_i32 s2, 0x7f00
	s_brev_b32 s3, 16
	s_waitcnt vmcnt(0)
	v_lshlrev_b16_e32 v5, 8, v1
	v_lshlrev_b32_e32 v1, 25, v1
	v_lshrrev_b32_e32 v6, 4, v1
	v_and_or_b32 v7, v5, s2, 0.5
	v_or_b32_e32 v6, 0x70000000, v6
	v_add_f32_e32 v7, -0.5, v7
	v_mul_f32_e32 v6, 0x7800000, v6
	v_cmp_gt_u32_e32 vcc, s3, v1
	v_bfe_i32 v5, v5, 0, 16
	v_cndmask_b32_e32 v1, v6, v7, vcc
	s_brev_b32 s2, 1
	v_and_or_b32 v1, v5, s2, v1
	v_cvt_f16_f32_e32 v5, v1
.LBB183_875:
	s_mov_b64 s[6:7], 0
	s_mov_b64 s[2:3], -1
.LBB183_876:
	s_andn2_b64 vcc, exec, s[6:7]
	s_cbranch_vccnz .LBB183_889
; %bb.877:
	s_cmp_gt_i32 s64, 14
	s_cbranch_scc0 .LBB183_880
; %bb.878:
	s_cmp_eq_u32 s64, 15
	s_cbranch_scc0 .LBB183_883
; %bb.879:
	global_load_ushort v1, v[3:4], off
	s_mov_b64 s[2:3], -1
	s_mov_b64 s[60:61], 0
	s_waitcnt vmcnt(0)
	v_lshlrev_b32_e32 v1, 16, v1
	v_cvt_f16_f32_e32 v5, v1
	s_branch .LBB183_884
.LBB183_880:
	s_mov_b64 s[6:7], -1
                                        ; implicit-def: $vgpr5
	s_branch .LBB183_885
.LBB183_881:
	s_or_saveexec_b64 s[6:7], s[6:7]
	v_mov_b32_e32 v5, 0x7e00
	s_xor_b64 exec, exec, s[6:7]
	s_cbranch_execz .LBB183_862
.LBB183_882:
	v_cmp_ne_u16_e32 vcc, 0, v1
	s_andn2_b64 s[2:3], s[2:3], exec
	s_and_b64 s[62:63], vcc, exec
	s_or_b64 s[2:3], s[2:3], s[62:63]
	v_mov_b32_e32 v5, v1
	s_or_b64 exec, exec, s[6:7]
	s_and_saveexec_b64 s[6:7], s[2:3]
	s_cbranch_execnz .LBB183_863
	s_branch .LBB183_864
.LBB183_883:
	s_mov_b64 s[60:61], -1
                                        ; implicit-def: $vgpr5
.LBB183_884:
	s_mov_b64 s[6:7], 0
.LBB183_885:
	s_and_b64 vcc, exec, s[6:7]
	s_cbranch_vccz .LBB183_889
; %bb.886:
	s_cmp_eq_u32 s64, 11
	s_cbranch_scc0 .LBB183_888
; %bb.887:
	global_load_ubyte v1, v[3:4], off
	v_mov_b32_e32 v5, 0x3c00
	s_mov_b64 s[2:3], -1
	s_mov_b64 s[60:61], 0
	s_waitcnt vmcnt(0)
	v_cmp_ne_u16_e32 vcc, 0, v1
	v_cndmask_b32_e32 v5, 0, v5, vcc
	s_branch .LBB183_889
.LBB183_888:
	s_mov_b64 s[60:61], -1
                                        ; implicit-def: $vgpr5
.LBB183_889:
	s_mov_b64 s[6:7], 0
.LBB183_890:
	s_and_b64 vcc, exec, s[6:7]
	s_cbranch_vccz .LBB183_939
; %bb.891:
	s_and_b32 s6, 0xffff, s14
	s_cmp_lt_i32 s6, 5
	s_cbranch_scc1 .LBB183_896
; %bb.892:
	s_cmp_lt_i32 s6, 8
	s_cbranch_scc1 .LBB183_897
; %bb.893:
	;; [unrolled: 3-line block ×3, first 2 shown]
	s_cmp_gt_i32 s6, 9
	s_cbranch_scc0 .LBB183_899
; %bb.895:
	global_load_dwordx2 v[5:6], v[3:4], off
	s_movk_i32 s2, 0x1ff
	s_movk_i32 s3, 0xffe
	v_mov_b32_e32 v1, 0x7c00
	v_mov_b32_e32 v7, 0x7e00
	s_movk_i32 s7, 0x40f
	s_mov_b32 s14, 0x8000
	s_waitcnt vmcnt(0)
	v_and_or_b32 v5, v6, s2, v5
	v_cmp_ne_u32_e32 vcc, 0, v5
	v_lshrrev_b32_e32 v9, 8, v6
	v_bfe_u32 v10, v6, 20, 11
	v_cndmask_b32_e64 v5, 0, 1, vcc
	v_sub_u32_e32 v11, 0x3f1, v10
	v_and_or_b32 v5, v9, s3, v5
	v_add_u32_e32 v10, 0xfffffc10, v10
	v_med3_i32 v9, v11, 0, 13
	v_or_b32_e32 v11, 0x1000, v5
	v_cmp_ne_u32_e32 vcc, 0, v5
	v_lshl_or_b32 v12, v10, 12, v5
	v_cndmask_b32_e32 v5, v1, v7, vcc
	v_lshrrev_b32_e32 v7, v9, v11
	v_lshlrev_b32_e32 v9, v9, v7
	v_cmp_ne_u32_e32 vcc, v9, v11
	v_cndmask_b32_e64 v9, 0, 1, vcc
	v_or_b32_e32 v7, v7, v9
	v_cmp_gt_i32_e32 vcc, 1, v10
	v_cndmask_b32_e32 v7, v12, v7, vcc
	v_and_b32_e32 v9, 7, v7
	v_cmp_lt_i32_e32 vcc, 5, v9
	v_cndmask_b32_e64 v11, 0, 1, vcc
	v_cmp_eq_u32_e32 vcc, 3, v9
	v_cndmask_b32_e64 v9, 0, 1, vcc
	v_lshrrev_b32_e32 v7, 2, v7
	v_or_b32_e32 v9, v9, v11
	v_add_u32_e32 v7, v7, v9
	v_cmp_gt_i32_e32 vcc, 31, v10
	v_cndmask_b32_e32 v1, v1, v7, vcc
	v_cmp_eq_u32_e32 vcc, s7, v10
	v_lshrrev_b32_e32 v6, 16, v6
	v_cndmask_b32_e32 v1, v1, v5, vcc
	v_and_or_b32 v5, v6, s14, v1
	s_mov_b64 s[2:3], 0
	s_branch .LBB183_900
.LBB183_896:
	s_mov_b64 s[2:3], -1
                                        ; implicit-def: $vgpr5
	s_branch .LBB183_918
.LBB183_897:
	s_mov_b64 s[2:3], -1
                                        ; implicit-def: $vgpr5
	s_branch .LBB183_906
.LBB183_898:
	s_mov_b64 s[2:3], -1
                                        ; implicit-def: $vgpr5
	s_branch .LBB183_903
.LBB183_899:
	s_mov_b64 s[2:3], -1
                                        ; implicit-def: $vgpr5
.LBB183_900:
	s_andn2_b64 vcc, exec, s[2:3]
	s_cbranch_vccnz .LBB183_902
; %bb.901:
	global_load_dword v1, v[3:4], off
	s_waitcnt vmcnt(0)
	v_cvt_f16_f32_e32 v5, v1
.LBB183_902:
	s_mov_b64 s[2:3], 0
.LBB183_903:
	s_andn2_b64 vcc, exec, s[2:3]
	s_cbranch_vccnz .LBB183_905
; %bb.904:
	global_load_dword v5, v[3:4], off
.LBB183_905:
	s_mov_b64 s[2:3], 0
.LBB183_906:
	s_andn2_b64 vcc, exec, s[2:3]
	s_cbranch_vccnz .LBB183_917
; %bb.907:
	s_cmp_lt_i32 s6, 6
	s_cbranch_scc1 .LBB183_910
; %bb.908:
	s_cmp_gt_i32 s6, 6
	s_cbranch_scc0 .LBB183_911
; %bb.909:
	global_load_dwordx2 v[5:6], v[3:4], off
	s_movk_i32 s2, 0x1ff
	s_movk_i32 s3, 0xffe
	v_mov_b32_e32 v1, 0x7c00
	v_mov_b32_e32 v7, 0x7e00
	s_movk_i32 s7, 0x40f
	s_mov_b32 s14, 0x8000
	s_waitcnt vmcnt(0)
	v_and_or_b32 v5, v6, s2, v5
	v_cmp_ne_u32_e32 vcc, 0, v5
	v_lshrrev_b32_e32 v9, 8, v6
	v_bfe_u32 v10, v6, 20, 11
	v_cndmask_b32_e64 v5, 0, 1, vcc
	v_sub_u32_e32 v11, 0x3f1, v10
	v_and_or_b32 v5, v9, s3, v5
	v_add_u32_e32 v10, 0xfffffc10, v10
	v_med3_i32 v9, v11, 0, 13
	v_or_b32_e32 v11, 0x1000, v5
	v_cmp_ne_u32_e32 vcc, 0, v5
	v_lshl_or_b32 v12, v10, 12, v5
	v_cndmask_b32_e32 v5, v1, v7, vcc
	v_lshrrev_b32_e32 v7, v9, v11
	v_lshlrev_b32_e32 v9, v9, v7
	v_cmp_ne_u32_e32 vcc, v9, v11
	v_cndmask_b32_e64 v9, 0, 1, vcc
	v_or_b32_e32 v7, v7, v9
	v_cmp_gt_i32_e32 vcc, 1, v10
	v_cndmask_b32_e32 v7, v12, v7, vcc
	v_and_b32_e32 v9, 7, v7
	v_cmp_lt_i32_e32 vcc, 5, v9
	v_cndmask_b32_e64 v11, 0, 1, vcc
	v_cmp_eq_u32_e32 vcc, 3, v9
	v_cndmask_b32_e64 v9, 0, 1, vcc
	v_lshrrev_b32_e32 v7, 2, v7
	v_or_b32_e32 v9, v9, v11
	v_add_u32_e32 v7, v7, v9
	v_cmp_gt_i32_e32 vcc, 31, v10
	v_cndmask_b32_e32 v1, v1, v7, vcc
	v_cmp_eq_u32_e32 vcc, s7, v10
	v_lshrrev_b32_e32 v6, 16, v6
	v_cndmask_b32_e32 v1, v1, v5, vcc
	v_and_or_b32 v5, v6, s14, v1
	s_mov_b64 s[2:3], 0
	s_branch .LBB183_912
.LBB183_910:
	s_mov_b64 s[2:3], -1
                                        ; implicit-def: $vgpr5
	s_branch .LBB183_915
.LBB183_911:
	s_mov_b64 s[2:3], -1
                                        ; implicit-def: $vgpr5
.LBB183_912:
	s_andn2_b64 vcc, exec, s[2:3]
	s_cbranch_vccnz .LBB183_914
; %bb.913:
	global_load_dword v1, v[3:4], off
	s_waitcnt vmcnt(0)
	v_cvt_f16_f32_e32 v5, v1
.LBB183_914:
	s_mov_b64 s[2:3], 0
.LBB183_915:
	s_andn2_b64 vcc, exec, s[2:3]
	s_cbranch_vccnz .LBB183_917
; %bb.916:
	global_load_ushort v5, v[3:4], off
.LBB183_917:
	s_mov_b64 s[2:3], 0
.LBB183_918:
	s_andn2_b64 vcc, exec, s[2:3]
	s_cbranch_vccnz .LBB183_938
; %bb.919:
	s_cmp_lt_i32 s6, 2
	s_cbranch_scc1 .LBB183_923
; %bb.920:
	s_cmp_lt_i32 s6, 3
	s_cbranch_scc1 .LBB183_924
; %bb.921:
	s_cmp_gt_i32 s6, 3
	s_cbranch_scc0 .LBB183_925
; %bb.922:
	global_load_dwordx2 v[5:6], v[3:4], off
	s_mov_b64 s[2:3], 0
	s_waitcnt vmcnt(0)
	v_xor_b32_e32 v7, v5, v6
	v_ffbh_i32_e32 v1, v6
	v_ashrrev_i32_e32 v7, 31, v7
	v_add_u32_e32 v1, -1, v1
	v_add_u32_e32 v7, 32, v7
	v_min_u32_e32 v1, v1, v7
	v_lshlrev_b64 v[5:6], v1, v[5:6]
	v_sub_u32_e32 v1, 32, v1
	v_min_u32_e32 v5, 1, v5
	v_or_b32_e32 v5, v6, v5
	v_cvt_f32_i32_e32 v5, v5
	v_ldexp_f32 v1, v5, v1
	v_cvt_f16_f32_e32 v5, v1
	s_branch .LBB183_926
.LBB183_923:
	s_mov_b64 s[2:3], -1
                                        ; implicit-def: $vgpr5
	s_branch .LBB183_932
.LBB183_924:
	s_mov_b64 s[2:3], -1
                                        ; implicit-def: $vgpr5
	s_branch .LBB183_929
.LBB183_925:
	s_mov_b64 s[2:3], -1
                                        ; implicit-def: $vgpr5
.LBB183_926:
	s_andn2_b64 vcc, exec, s[2:3]
	s_cbranch_vccnz .LBB183_928
; %bb.927:
	global_load_dword v1, v[3:4], off
	s_waitcnt vmcnt(0)
	v_cvt_f32_i32_e32 v1, v1
	v_cvt_f16_f32_e32 v5, v1
.LBB183_928:
	s_mov_b64 s[2:3], 0
.LBB183_929:
	s_andn2_b64 vcc, exec, s[2:3]
	s_cbranch_vccnz .LBB183_931
; %bb.930:
	global_load_ushort v1, v[3:4], off
	s_waitcnt vmcnt(0)
	v_cvt_f16_i16_e32 v5, v1
.LBB183_931:
	s_mov_b64 s[2:3], 0
.LBB183_932:
	s_andn2_b64 vcc, exec, s[2:3]
	s_cbranch_vccnz .LBB183_938
; %bb.933:
	s_cmp_gt_i32 s6, 0
	s_cbranch_scc0 .LBB183_935
; %bb.934:
	global_load_sbyte v1, v[3:4], off
	s_mov_b64 s[2:3], 0
	s_waitcnt vmcnt(0)
	v_cvt_f16_i16_e32 v5, v1
	s_branch .LBB183_936
.LBB183_935:
	s_mov_b64 s[2:3], -1
                                        ; implicit-def: $vgpr5
.LBB183_936:
	s_andn2_b64 vcc, exec, s[2:3]
	s_cbranch_vccnz .LBB183_938
; %bb.937:
	global_load_ubyte v1, v[3:4], off
	s_waitcnt vmcnt(0)
	v_cvt_f16_u16_e32 v5, v1
.LBB183_938:
	s_mov_b64 s[2:3], -1
.LBB183_939:
	s_andn2_b64 vcc, exec, s[2:3]
	s_cbranch_vccnz .LBB183_947
; %bb.940:
	v_mov_b32_e32 v3, s13
	s_and_b32 s14, s73, 0xff
	v_add_co_u32_e32 v1, vcc, s12, v2
	s_cmp_lt_i32 s14, 11
	v_addc_co_u32_e32 v2, vcc, 0, v3, vcc
	s_cbranch_scc1 .LBB183_949
; %bb.941:
	s_and_b32 s66, 0xffff, s14
	s_cmp_gt_i32 s66, 25
	s_cbranch_scc0 .LBB183_950
; %bb.942:
	s_cmp_gt_i32 s66, 28
	s_cbranch_scc0 .LBB183_951
; %bb.943:
	;; [unrolled: 3-line block ×4, first 2 shown]
	s_cmp_eq_u32 s66, 46
	s_mov_b64 s[6:7], 0
	s_cbranch_scc0 .LBB183_956
; %bb.946:
	global_load_dword v3, v[1:2], off
	s_mov_b64 s[2:3], -1
	s_mov_b64 s[62:63], 0
	s_waitcnt vmcnt(0)
	v_lshlrev_b32_e32 v3, 16, v3
	v_cvt_f16_f32_e32 v3, v3
	s_branch .LBB183_957
.LBB183_947:
	s_mov_b64 s[66:67], 0
	s_mov_b64 s[6:7], s[54:55]
	s_mov_b64 s[62:63], s[52:53]
.LBB183_948:
                                        ; implicit-def: $vgpr8
	s_branch .LBB183_1195
.LBB183_949:
	s_mov_b64 s[6:7], -1
	s_mov_b64 s[2:3], 0
                                        ; implicit-def: $vgpr3
	s_mov_b64 s[62:63], s[52:53]
	s_branch .LBB183_1022
.LBB183_950:
	s_mov_b64 s[6:7], -1
	s_mov_b64 s[2:3], 0
	s_mov_b64 s[62:63], s[52:53]
                                        ; implicit-def: $vgpr3
	s_branch .LBB183_986
.LBB183_951:
	s_mov_b64 s[6:7], -1
	s_mov_b64 s[2:3], 0
	s_mov_b64 s[62:63], s[52:53]
                                        ; implicit-def: $vgpr3
	s_branch .LBB183_967
.LBB183_952:
	s_mov_b64 s[6:7], -1
	s_mov_b64 s[2:3], 0
	s_mov_b64 s[62:63], s[52:53]
                                        ; implicit-def: $vgpr3
	s_branch .LBB183_962
.LBB183_953:
	s_mov_b64 s[6:7], -1
	s_mov_b64 s[2:3], 0
	s_mov_b64 s[62:63], s[52:53]
                                        ; implicit-def: $vgpr3
	s_branch .LBB183_957
.LBB183_954:
	s_andn2_saveexec_b64 s[60:61], s[60:61]
	s_cbranch_execz .LBB183_718
.LBB183_955:
	v_add_f32_e32 v2, 0x42800000, v3
	v_and_b32_e32 v2, 0xff, v2
	v_cmp_ne_u32_e32 vcc, 0, v2
	s_andn2_b64 s[58:59], s[58:59], exec
	s_and_b64 s[64:65], vcc, exec
	s_or_b64 s[58:59], s[58:59], s[64:65]
	s_or_b64 exec, exec, s[60:61]
	v_mov_b32_e32 v4, 0
	s_and_saveexec_b64 s[60:61], s[58:59]
	s_cbranch_execnz .LBB183_719
	s_branch .LBB183_720
.LBB183_956:
	s_mov_b64 s[62:63], -1
                                        ; implicit-def: $vgpr3
	s_mov_b64 s[2:3], 0
.LBB183_957:
	s_and_b64 vcc, exec, s[6:7]
	s_cbranch_vccz .LBB183_961
; %bb.958:
	s_cmp_eq_u32 s66, 44
	s_cbranch_scc0 .LBB183_960
; %bb.959:
	global_load_ubyte v3, v[1:2], off
	s_movk_i32 s6, 0xff
	v_mov_b32_e32 v6, 0x7e00
	s_mov_b64 s[2:3], -1
	s_mov_b64 s[62:63], 0
	s_waitcnt vmcnt(0)
	v_lshlrev_b32_e32 v4, 23, v3
	v_cvt_f16_f32_e32 v4, v4
	v_cmp_ne_u32_e32 vcc, s6, v3
	v_cndmask_b32_e32 v4, v6, v4, vcc
	v_cmp_ne_u32_e32 vcc, 0, v3
	v_cndmask_b32_e32 v3, 0, v4, vcc
	s_branch .LBB183_961
.LBB183_960:
	s_mov_b64 s[62:63], -1
                                        ; implicit-def: $vgpr3
.LBB183_961:
	s_mov_b64 s[6:7], 0
.LBB183_962:
	s_and_b64 vcc, exec, s[6:7]
	s_cbranch_vccz .LBB183_966
; %bb.963:
	s_cmp_eq_u32 s66, 29
	s_cbranch_scc0 .LBB183_965
; %bb.964:
	global_load_dwordx2 v[3:4], v[1:2], off
	s_mov_b64 s[2:3], -1
	s_mov_b64 s[62:63], 0
	s_mov_b64 s[6:7], 0
	s_waitcnt vmcnt(0)
	v_ffbh_u32_e32 v6, v4
	v_min_u32_e32 v6, 32, v6
	v_lshlrev_b64 v[3:4], v6, v[3:4]
	v_min_u32_e32 v3, 1, v3
	v_or_b32_e32 v3, v4, v3
	v_cvt_f32_u32_e32 v3, v3
	v_sub_u32_e32 v4, 32, v6
	v_ldexp_f32 v3, v3, v4
	v_cvt_f16_f32_e32 v3, v3
	s_branch .LBB183_967
.LBB183_965:
	s_mov_b64 s[62:63], -1
                                        ; implicit-def: $vgpr3
.LBB183_966:
	s_mov_b64 s[6:7], 0
.LBB183_967:
	s_and_b64 vcc, exec, s[6:7]
	s_cbranch_vccz .LBB183_985
; %bb.968:
	s_cmp_lt_i32 s66, 27
	s_cbranch_scc1 .LBB183_971
; %bb.969:
	s_cmp_gt_i32 s66, 27
	s_cbranch_scc0 .LBB183_972
; %bb.970:
	global_load_dword v3, v[1:2], off
	s_mov_b64 s[2:3], 0
	s_waitcnt vmcnt(0)
	v_cvt_f32_u32_e32 v3, v3
	v_cvt_f16_f32_e32 v3, v3
	s_branch .LBB183_973
.LBB183_971:
	s_mov_b64 s[2:3], -1
                                        ; implicit-def: $vgpr3
	s_branch .LBB183_976
.LBB183_972:
	s_mov_b64 s[2:3], -1
                                        ; implicit-def: $vgpr3
.LBB183_973:
	s_andn2_b64 vcc, exec, s[2:3]
	s_cbranch_vccnz .LBB183_975
; %bb.974:
	global_load_ushort v3, v[1:2], off
	s_waitcnt vmcnt(0)
	v_cvt_f16_u16_e32 v3, v3
.LBB183_975:
	s_mov_b64 s[2:3], 0
.LBB183_976:
	s_andn2_b64 vcc, exec, s[2:3]
	s_cbranch_vccnz .LBB183_984
; %bb.977:
	global_load_ubyte v4, v[1:2], off
	s_movk_i32 s2, 0x7f
	s_waitcnt vmcnt(0)
	v_cmp_lt_i16_e32 vcc, s2, v4
	s_mov_b64 s[2:3], 0
	s_and_saveexec_b64 s[6:7], vcc
	s_xor_b64 s[6:7], exec, s[6:7]
	s_cbranch_execz .LBB183_998
; %bb.978:
	s_movk_i32 s2, 0x80
	v_cmp_eq_u16_e32 vcc, s2, v4
	s_mov_b64 s[2:3], -1
	s_and_saveexec_b64 s[64:65], vcc
; %bb.979:
	s_xor_b64 s[2:3], exec, -1
; %bb.980:
	s_or_b64 exec, exec, s[64:65]
	s_and_b64 s[2:3], s[2:3], exec
	s_or_saveexec_b64 s[6:7], s[6:7]
	v_mov_b32_e32 v3, 0x7e00
	s_xor_b64 exec, exec, s[6:7]
	s_cbranch_execnz .LBB183_999
.LBB183_981:
	s_or_b64 exec, exec, s[6:7]
	s_and_saveexec_b64 s[6:7], s[2:3]
	s_cbranch_execz .LBB183_983
.LBB183_982:
	v_lshlrev_b32_e32 v3, 24, v4
	v_and_b32_e32 v4, 0xffff, v4
	v_and_b32_e32 v6, 7, v4
	v_ffbh_u32_e32 v9, v6
	v_min_u32_e32 v9, 32, v9
	v_subrev_u32_e32 v10, 28, v9
	v_bfe_u32 v7, v4, 3, 4
	v_lshlrev_b32_e32 v4, v10, v4
	v_sub_u32_e32 v9, 29, v9
	v_and_b32_e32 v4, 7, v4
	v_cmp_eq_u32_e32 vcc, 0, v7
	v_cndmask_b32_e32 v7, v7, v9, vcc
	v_cndmask_b32_e32 v4, v6, v4, vcc
	v_mov_b32_e32 v6, 0x3b800000
	v_lshlrev_b32_e32 v4, 20, v4
	v_and_b32_e32 v3, 0x80000000, v3
	v_lshl_add_u32 v6, v7, 23, v6
	v_or3_b32 v3, v3, v6, v4
	v_cvt_f16_f32_e32 v3, v3
.LBB183_983:
	s_or_b64 exec, exec, s[6:7]
.LBB183_984:
	s_mov_b64 s[2:3], -1
.LBB183_985:
	s_mov_b64 s[6:7], 0
.LBB183_986:
	s_and_b64 vcc, exec, s[6:7]
	s_cbranch_vccz .LBB183_1021
; %bb.987:
	s_cmp_gt_i32 s66, 22
	s_cbranch_scc0 .LBB183_997
; %bb.988:
	s_cmp_lt_i32 s66, 24
	s_cbranch_scc1 .LBB183_1000
; %bb.989:
	s_cmp_gt_i32 s66, 24
	s_cbranch_scc0 .LBB183_1001
; %bb.990:
	global_load_ubyte v4, v[1:2], off
	s_movk_i32 s2, 0x7f
	s_waitcnt vmcnt(0)
	v_cmp_lt_i16_e32 vcc, s2, v4
	s_mov_b64 s[2:3], 0
	s_and_saveexec_b64 s[6:7], vcc
	s_xor_b64 s[6:7], exec, s[6:7]
	s_cbranch_execz .LBB183_1013
; %bb.991:
	s_movk_i32 s2, 0x80
	v_cmp_eq_u16_e32 vcc, s2, v4
	s_mov_b64 s[2:3], -1
	s_and_saveexec_b64 s[64:65], vcc
; %bb.992:
	s_xor_b64 s[2:3], exec, -1
; %bb.993:
	s_or_b64 exec, exec, s[64:65]
	s_and_b64 s[2:3], s[2:3], exec
	s_or_saveexec_b64 s[6:7], s[6:7]
	v_mov_b32_e32 v3, 0x7e00
	s_xor_b64 exec, exec, s[6:7]
	s_cbranch_execnz .LBB183_1014
.LBB183_994:
	s_or_b64 exec, exec, s[6:7]
	s_and_saveexec_b64 s[6:7], s[2:3]
	s_cbranch_execz .LBB183_996
.LBB183_995:
	v_lshlrev_b32_e32 v3, 24, v4
	v_and_b32_e32 v4, 0xffff, v4
	v_and_b32_e32 v6, 3, v4
	v_ffbh_u32_e32 v9, v6
	v_min_u32_e32 v9, 32, v9
	v_subrev_u32_e32 v10, 29, v9
	v_bfe_u32 v7, v4, 2, 5
	v_lshlrev_b32_e32 v4, v10, v4
	v_sub_u32_e32 v9, 30, v9
	v_and_b32_e32 v4, 3, v4
	v_cmp_eq_u32_e32 vcc, 0, v7
	v_cndmask_b32_e32 v7, v7, v9, vcc
	v_cndmask_b32_e32 v4, v6, v4, vcc
	v_mov_b32_e32 v6, 0x37800000
	v_lshlrev_b32_e32 v4, 21, v4
	v_and_b32_e32 v3, 0x80000000, v3
	v_lshl_add_u32 v6, v7, 23, v6
	v_or3_b32 v3, v3, v6, v4
	v_cvt_f16_f32_e32 v3, v3
.LBB183_996:
	s_or_b64 exec, exec, s[6:7]
	s_mov_b64 s[2:3], 0
	s_branch .LBB183_1002
.LBB183_997:
	s_mov_b64 s[6:7], -1
                                        ; implicit-def: $vgpr3
	s_branch .LBB183_1008
.LBB183_998:
	s_or_saveexec_b64 s[6:7], s[6:7]
	v_mov_b32_e32 v3, 0x7e00
	s_xor_b64 exec, exec, s[6:7]
	s_cbranch_execz .LBB183_981
.LBB183_999:
	v_cmp_ne_u16_e32 vcc, 0, v4
	s_andn2_b64 s[2:3], s[2:3], exec
	s_and_b64 s[64:65], vcc, exec
	s_or_b64 s[2:3], s[2:3], s[64:65]
	v_mov_b32_e32 v3, v4
	s_or_b64 exec, exec, s[6:7]
	s_and_saveexec_b64 s[6:7], s[2:3]
	s_cbranch_execnz .LBB183_982
	s_branch .LBB183_983
.LBB183_1000:
	s_mov_b64 s[2:3], -1
                                        ; implicit-def: $vgpr3
	s_branch .LBB183_1005
.LBB183_1001:
	s_mov_b64 s[2:3], -1
                                        ; implicit-def: $vgpr3
.LBB183_1002:
	s_and_b64 vcc, exec, s[2:3]
	s_cbranch_vccz .LBB183_1004
; %bb.1003:
	global_load_ubyte v3, v[1:2], off
	s_mov_b32 s2, 0x7f800000
	s_waitcnt vmcnt(0)
	v_lshlrev_b32_e32 v3, 24, v3
	v_and_b32_e32 v4, 0x7f000000, v3
	v_ffbh_u32_e32 v6, v4
	v_min_u32_e32 v6, 32, v6
	v_sub_u32_e64 v6, v6, 4 clamp
	v_lshlrev_b32_e32 v9, v6, v4
	v_lshlrev_b32_e32 v6, 23, v6
	v_lshrrev_b32_e32 v9, 4, v9
	v_add_u32_e32 v7, 0x1000000, v4
	v_sub_u32_e32 v6, v9, v6
	v_ashrrev_i32_e32 v7, 8, v7
	v_add_u32_e32 v6, 0x3c000000, v6
	v_and_or_b32 v6, v7, s2, v6
	v_cmp_ne_u32_e32 vcc, 0, v4
	v_cndmask_b32_e32 v4, 0, v6, vcc
	s_brev_b32 s2, 1
	v_and_or_b32 v3, v3, s2, v4
	v_cvt_f16_f32_e32 v3, v3
.LBB183_1004:
	s_mov_b64 s[2:3], 0
.LBB183_1005:
	s_andn2_b64 vcc, exec, s[2:3]
	s_cbranch_vccnz .LBB183_1007
; %bb.1006:
	global_load_ubyte v3, v[1:2], off
	s_movk_i32 s2, 0x7f00
	s_brev_b32 s3, 16
	s_waitcnt vmcnt(0)
	v_lshlrev_b16_e32 v4, 8, v3
	v_lshlrev_b32_e32 v3, 25, v3
	v_lshrrev_b32_e32 v6, 4, v3
	v_and_or_b32 v7, v4, s2, 0.5
	v_or_b32_e32 v6, 0x70000000, v6
	v_add_f32_e32 v7, -0.5, v7
	v_mul_f32_e32 v6, 0x7800000, v6
	v_cmp_gt_u32_e32 vcc, s3, v3
	v_bfe_i32 v4, v4, 0, 16
	v_cndmask_b32_e32 v3, v6, v7, vcc
	s_brev_b32 s2, 1
	v_and_or_b32 v3, v4, s2, v3
	v_cvt_f16_f32_e32 v3, v3
.LBB183_1007:
	s_mov_b64 s[6:7], 0
	s_mov_b64 s[2:3], -1
.LBB183_1008:
	s_andn2_b64 vcc, exec, s[6:7]
	s_cbranch_vccnz .LBB183_1021
; %bb.1009:
	s_cmp_gt_i32 s66, 14
	s_cbranch_scc0 .LBB183_1012
; %bb.1010:
	s_cmp_eq_u32 s66, 15
	s_cbranch_scc0 .LBB183_1015
; %bb.1011:
	global_load_ushort v3, v[1:2], off
	s_mov_b64 s[2:3], -1
	s_mov_b64 s[62:63], 0
	s_waitcnt vmcnt(0)
	v_lshlrev_b32_e32 v3, 16, v3
	v_cvt_f16_f32_e32 v3, v3
	s_branch .LBB183_1016
.LBB183_1012:
	s_mov_b64 s[6:7], -1
                                        ; implicit-def: $vgpr3
	s_branch .LBB183_1017
.LBB183_1013:
	s_or_saveexec_b64 s[6:7], s[6:7]
	v_mov_b32_e32 v3, 0x7e00
	s_xor_b64 exec, exec, s[6:7]
	s_cbranch_execz .LBB183_994
.LBB183_1014:
	v_cmp_ne_u16_e32 vcc, 0, v4
	s_andn2_b64 s[2:3], s[2:3], exec
	s_and_b64 s[64:65], vcc, exec
	s_or_b64 s[2:3], s[2:3], s[64:65]
	v_mov_b32_e32 v3, v4
	s_or_b64 exec, exec, s[6:7]
	s_and_saveexec_b64 s[6:7], s[2:3]
	s_cbranch_execnz .LBB183_995
	s_branch .LBB183_996
.LBB183_1015:
	s_mov_b64 s[62:63], -1
                                        ; implicit-def: $vgpr3
.LBB183_1016:
	s_mov_b64 s[6:7], 0
.LBB183_1017:
	s_and_b64 vcc, exec, s[6:7]
	s_cbranch_vccz .LBB183_1021
; %bb.1018:
	s_cmp_eq_u32 s66, 11
	s_cbranch_scc0 .LBB183_1020
; %bb.1019:
	global_load_ubyte v3, v[1:2], off
	v_mov_b32_e32 v4, 0x3c00
	s_mov_b64 s[2:3], -1
	s_mov_b64 s[62:63], 0
	s_waitcnt vmcnt(0)
	v_cmp_ne_u16_e32 vcc, 0, v3
	v_cndmask_b32_e32 v3, 0, v4, vcc
	s_branch .LBB183_1021
.LBB183_1020:
	s_mov_b64 s[62:63], -1
                                        ; implicit-def: $vgpr3
.LBB183_1021:
	s_mov_b64 s[6:7], 0
.LBB183_1022:
	s_and_b64 vcc, exec, s[6:7]
	s_cbranch_vccz .LBB183_1071
; %bb.1023:
	s_and_b32 s6, 0xffff, s14
	s_cmp_lt_i32 s6, 5
	s_cbranch_scc1 .LBB183_1028
; %bb.1024:
	s_cmp_lt_i32 s6, 8
	s_cbranch_scc1 .LBB183_1029
; %bb.1025:
	;; [unrolled: 3-line block ×3, first 2 shown]
	s_cmp_gt_i32 s6, 9
	s_cbranch_scc0 .LBB183_1031
; %bb.1027:
	global_load_dwordx2 v[3:4], v[1:2], off
	s_movk_i32 s2, 0x1ff
	s_movk_i32 s3, 0xffe
	v_mov_b32_e32 v6, 0x7c00
	v_mov_b32_e32 v7, 0x7e00
	s_movk_i32 s7, 0x40f
	s_mov_b32 s14, 0x8000
	s_waitcnt vmcnt(0)
	v_and_or_b32 v3, v4, s2, v3
	v_cmp_ne_u32_e32 vcc, 0, v3
	v_lshrrev_b32_e32 v9, 8, v4
	v_bfe_u32 v10, v4, 20, 11
	v_cndmask_b32_e64 v3, 0, 1, vcc
	v_sub_u32_e32 v11, 0x3f1, v10
	v_and_or_b32 v3, v9, s3, v3
	v_add_u32_e32 v10, 0xfffffc10, v10
	v_med3_i32 v9, v11, 0, 13
	v_or_b32_e32 v11, 0x1000, v3
	v_cmp_ne_u32_e32 vcc, 0, v3
	v_lshl_or_b32 v12, v10, 12, v3
	v_cndmask_b32_e32 v3, v6, v7, vcc
	v_lshrrev_b32_e32 v7, v9, v11
	v_lshlrev_b32_e32 v9, v9, v7
	v_cmp_ne_u32_e32 vcc, v9, v11
	v_cndmask_b32_e64 v9, 0, 1, vcc
	v_or_b32_e32 v7, v7, v9
	v_cmp_gt_i32_e32 vcc, 1, v10
	v_cndmask_b32_e32 v7, v12, v7, vcc
	v_and_b32_e32 v9, 7, v7
	v_cmp_lt_i32_e32 vcc, 5, v9
	v_cndmask_b32_e64 v11, 0, 1, vcc
	v_cmp_eq_u32_e32 vcc, 3, v9
	v_cndmask_b32_e64 v9, 0, 1, vcc
	v_lshrrev_b32_e32 v7, 2, v7
	v_or_b32_e32 v9, v9, v11
	v_add_u32_e32 v7, v7, v9
	v_cmp_gt_i32_e32 vcc, 31, v10
	v_cndmask_b32_e32 v6, v6, v7, vcc
	v_cmp_eq_u32_e32 vcc, s7, v10
	v_lshrrev_b32_e32 v4, 16, v4
	v_cndmask_b32_e32 v3, v6, v3, vcc
	v_and_or_b32 v3, v4, s14, v3
	s_mov_b64 s[2:3], 0
	s_branch .LBB183_1032
.LBB183_1028:
	s_mov_b64 s[2:3], -1
                                        ; implicit-def: $vgpr3
	s_branch .LBB183_1050
.LBB183_1029:
	s_mov_b64 s[2:3], -1
                                        ; implicit-def: $vgpr3
	s_branch .LBB183_1038
.LBB183_1030:
	s_mov_b64 s[2:3], -1
                                        ; implicit-def: $vgpr3
	s_branch .LBB183_1035
.LBB183_1031:
	s_mov_b64 s[2:3], -1
                                        ; implicit-def: $vgpr3
.LBB183_1032:
	s_andn2_b64 vcc, exec, s[2:3]
	s_cbranch_vccnz .LBB183_1034
; %bb.1033:
	global_load_dword v3, v[1:2], off
	s_waitcnt vmcnt(0)
	v_cvt_f16_f32_e32 v3, v3
.LBB183_1034:
	s_mov_b64 s[2:3], 0
.LBB183_1035:
	s_andn2_b64 vcc, exec, s[2:3]
	s_cbranch_vccnz .LBB183_1037
; %bb.1036:
	global_load_dword v3, v[1:2], off
.LBB183_1037:
	s_mov_b64 s[2:3], 0
.LBB183_1038:
	s_andn2_b64 vcc, exec, s[2:3]
	s_cbranch_vccnz .LBB183_1049
; %bb.1039:
	s_cmp_lt_i32 s6, 6
	s_cbranch_scc1 .LBB183_1042
; %bb.1040:
	s_cmp_gt_i32 s6, 6
	s_cbranch_scc0 .LBB183_1043
; %bb.1041:
	global_load_dwordx2 v[3:4], v[1:2], off
	s_movk_i32 s2, 0x1ff
	s_movk_i32 s3, 0xffe
	v_mov_b32_e32 v6, 0x7c00
	v_mov_b32_e32 v7, 0x7e00
	s_movk_i32 s7, 0x40f
	s_mov_b32 s14, 0x8000
	s_waitcnt vmcnt(0)
	v_and_or_b32 v3, v4, s2, v3
	v_cmp_ne_u32_e32 vcc, 0, v3
	v_lshrrev_b32_e32 v9, 8, v4
	v_bfe_u32 v10, v4, 20, 11
	v_cndmask_b32_e64 v3, 0, 1, vcc
	v_sub_u32_e32 v11, 0x3f1, v10
	v_and_or_b32 v3, v9, s3, v3
	v_add_u32_e32 v10, 0xfffffc10, v10
	v_med3_i32 v9, v11, 0, 13
	v_or_b32_e32 v11, 0x1000, v3
	v_cmp_ne_u32_e32 vcc, 0, v3
	v_lshl_or_b32 v12, v10, 12, v3
	v_cndmask_b32_e32 v3, v6, v7, vcc
	v_lshrrev_b32_e32 v7, v9, v11
	v_lshlrev_b32_e32 v9, v9, v7
	v_cmp_ne_u32_e32 vcc, v9, v11
	v_cndmask_b32_e64 v9, 0, 1, vcc
	v_or_b32_e32 v7, v7, v9
	v_cmp_gt_i32_e32 vcc, 1, v10
	v_cndmask_b32_e32 v7, v12, v7, vcc
	v_and_b32_e32 v9, 7, v7
	v_cmp_lt_i32_e32 vcc, 5, v9
	v_cndmask_b32_e64 v11, 0, 1, vcc
	v_cmp_eq_u32_e32 vcc, 3, v9
	v_cndmask_b32_e64 v9, 0, 1, vcc
	v_lshrrev_b32_e32 v7, 2, v7
	v_or_b32_e32 v9, v9, v11
	v_add_u32_e32 v7, v7, v9
	v_cmp_gt_i32_e32 vcc, 31, v10
	v_cndmask_b32_e32 v6, v6, v7, vcc
	v_cmp_eq_u32_e32 vcc, s7, v10
	v_lshrrev_b32_e32 v4, 16, v4
	v_cndmask_b32_e32 v3, v6, v3, vcc
	v_and_or_b32 v3, v4, s14, v3
	s_mov_b64 s[2:3], 0
	s_branch .LBB183_1044
.LBB183_1042:
	s_mov_b64 s[2:3], -1
                                        ; implicit-def: $vgpr3
	s_branch .LBB183_1047
.LBB183_1043:
	s_mov_b64 s[2:3], -1
                                        ; implicit-def: $vgpr3
.LBB183_1044:
	s_andn2_b64 vcc, exec, s[2:3]
	s_cbranch_vccnz .LBB183_1046
; %bb.1045:
	global_load_dword v3, v[1:2], off
	s_waitcnt vmcnt(0)
	v_cvt_f16_f32_e32 v3, v3
.LBB183_1046:
	s_mov_b64 s[2:3], 0
.LBB183_1047:
	s_andn2_b64 vcc, exec, s[2:3]
	s_cbranch_vccnz .LBB183_1049
; %bb.1048:
	global_load_ushort v3, v[1:2], off
.LBB183_1049:
	s_mov_b64 s[2:3], 0
.LBB183_1050:
	s_andn2_b64 vcc, exec, s[2:3]
	s_cbranch_vccnz .LBB183_1070
; %bb.1051:
	s_cmp_lt_i32 s6, 2
	s_cbranch_scc1 .LBB183_1055
; %bb.1052:
	s_cmp_lt_i32 s6, 3
	s_cbranch_scc1 .LBB183_1056
; %bb.1053:
	s_cmp_gt_i32 s6, 3
	s_cbranch_scc0 .LBB183_1057
; %bb.1054:
	global_load_dwordx2 v[3:4], v[1:2], off
	s_mov_b64 s[2:3], 0
	s_waitcnt vmcnt(0)
	v_xor_b32_e32 v7, v3, v4
	v_ffbh_i32_e32 v6, v4
	v_ashrrev_i32_e32 v7, 31, v7
	v_add_u32_e32 v6, -1, v6
	v_add_u32_e32 v7, 32, v7
	v_min_u32_e32 v6, v6, v7
	v_lshlrev_b64 v[3:4], v6, v[3:4]
	v_min_u32_e32 v3, 1, v3
	v_or_b32_e32 v3, v4, v3
	v_cvt_f32_i32_e32 v3, v3
	v_sub_u32_e32 v4, 32, v6
	v_ldexp_f32 v3, v3, v4
	v_cvt_f16_f32_e32 v3, v3
	s_branch .LBB183_1058
.LBB183_1055:
	s_mov_b64 s[2:3], -1
                                        ; implicit-def: $vgpr3
	s_branch .LBB183_1064
.LBB183_1056:
	s_mov_b64 s[2:3], -1
                                        ; implicit-def: $vgpr3
	s_branch .LBB183_1061
.LBB183_1057:
	s_mov_b64 s[2:3], -1
                                        ; implicit-def: $vgpr3
.LBB183_1058:
	s_andn2_b64 vcc, exec, s[2:3]
	s_cbranch_vccnz .LBB183_1060
; %bb.1059:
	global_load_dword v3, v[1:2], off
	s_waitcnt vmcnt(0)
	v_cvt_f32_i32_e32 v3, v3
	v_cvt_f16_f32_e32 v3, v3
.LBB183_1060:
	s_mov_b64 s[2:3], 0
.LBB183_1061:
	s_andn2_b64 vcc, exec, s[2:3]
	s_cbranch_vccnz .LBB183_1063
; %bb.1062:
	global_load_ushort v3, v[1:2], off
	s_waitcnt vmcnt(0)
	v_cvt_f16_i16_e32 v3, v3
.LBB183_1063:
	s_mov_b64 s[2:3], 0
.LBB183_1064:
	s_andn2_b64 vcc, exec, s[2:3]
	s_cbranch_vccnz .LBB183_1070
; %bb.1065:
	s_cmp_gt_i32 s6, 0
	s_cbranch_scc0 .LBB183_1067
; %bb.1066:
	global_load_sbyte v3, v[1:2], off
	s_mov_b64 s[2:3], 0
	s_waitcnt vmcnt(0)
	v_cvt_f16_i16_e32 v3, v3
	s_branch .LBB183_1068
.LBB183_1067:
	s_mov_b64 s[2:3], -1
                                        ; implicit-def: $vgpr3
.LBB183_1068:
	s_andn2_b64 vcc, exec, s[2:3]
	s_cbranch_vccnz .LBB183_1070
; %bb.1069:
	global_load_ubyte v1, v[1:2], off
	s_waitcnt vmcnt(0)
	v_cvt_f16_u16_e32 v3, v1
.LBB183_1070:
	s_mov_b64 s[2:3], -1
.LBB183_1071:
	s_andn2_b64 vcc, exec, s[2:3]
	s_cbranch_vccnz .LBB183_1079
; %bb.1072:
	s_waitcnt vmcnt(0)
	v_cmp_eq_f16_e32 vcc, v5, v3
	v_cndmask_b32_e64 v1, 0, 1, vcc
	v_cmp_neq_f16_e32 vcc, v5, v3
	v_cndmask_b32_e64 v2, 0, 1, vcc
	v_cndmask_b32_e64 v1, v2, v1, s[0:1]
	v_and_b32_e32 v1, 1, v1
	v_cmp_eq_u32_e64 s[2:3], 1, v1
	v_mov_b32_e32 v1, s9
	s_and_b32 s14, s15, 0xff
	v_add_co_u32_e32 v0, vcc, s8, v0
	s_cmp_lt_i32 s14, 11
	v_addc_co_u32_e32 v1, vcc, 0, v1, vcc
	s_cbranch_scc1 .LBB183_1080
; %bb.1073:
	s_and_b32 s71, 0xffff, s14
	s_cmp_gt_i32 s71, 25
	s_cbranch_scc0 .LBB183_1081
; %bb.1074:
	s_cmp_gt_i32 s71, 28
	s_cbranch_scc0 .LBB183_1082
; %bb.1075:
	;; [unrolled: 3-line block ×4, first 2 shown]
	s_mov_b64 s[66:67], 0
	s_mov_b64 s[6:7], -1
	s_cmp_eq_u32 s71, 46
	s_mov_b64 s[64:65], 0
	s_cbranch_scc0 .LBB183_1085
; %bb.1078:
	v_cndmask_b32_e64 v2, 0, 1.0, s[2:3]
	v_bfe_u32 v3, v2, 16, 1
	s_movk_i32 s6, 0x7fff
	v_add3_u32 v2, v2, v3, s6
	v_lshrrev_b32_e32 v2, 16, v2
	global_store_dword v[0:1], v2, off
	s_mov_b64 s[64:65], -1
	s_mov_b64 s[6:7], 0
	s_branch .LBB183_1085
.LBB183_1079:
	s_mov_b64 s[66:67], 0
                                        ; implicit-def: $vgpr8
	s_mov_b64 s[6:7], s[54:55]
	s_branch .LBB183_1195
.LBB183_1080:
	s_mov_b64 s[66:67], -1
	s_mov_b64 s[64:65], 0
	s_mov_b64 s[6:7], s[54:55]
	s_branch .LBB183_1154
.LBB183_1081:
	s_mov_b64 s[66:67], -1
	s_mov_b64 s[64:65], 0
	s_mov_b64 s[6:7], s[54:55]
	s_branch .LBB183_1112
.LBB183_1082:
	s_mov_b64 s[66:67], -1
	s_mov_b64 s[64:65], 0
	s_mov_b64 s[6:7], s[54:55]
	s_branch .LBB183_1095
.LBB183_1083:
	s_mov_b64 s[66:67], -1
	s_mov_b64 s[64:65], 0
	s_mov_b64 s[6:7], s[54:55]
	s_branch .LBB183_1091
.LBB183_1084:
	s_mov_b64 s[66:67], -1
	s_mov_b64 s[64:65], 0
	s_mov_b64 s[6:7], s[54:55]
.LBB183_1085:
	s_and_b64 vcc, exec, s[66:67]
	s_cbranch_vccz .LBB183_1090
; %bb.1086:
	s_cmp_eq_u32 s71, 44
	s_mov_b64 s[6:7], -1
	s_cbranch_scc0 .LBB183_1090
; %bb.1087:
	v_cndmask_b32_e64 v3, 0, 1.0, s[2:3]
	v_lshrrev_b32_e32 v2, 23, v3
	s_movk_i32 s6, 0xff
	v_cmp_ne_u32_e32 vcc, s6, v2
	v_mov_b32_e32 v4, 0xff
	s_and_saveexec_b64 s[64:65], vcc
; %bb.1088:
	s_mov_b32 s6, 0x3fffff
	v_and_b32_e32 v4, 0x400000, v3
	v_and_or_b32 v3, v3, s6, v2
	v_cmp_ne_u32_e32 vcc, 0, v4
	v_cmp_ne_u32_e64 s[6:7], 0, v3
	s_and_b64 s[6:7], vcc, s[6:7]
	v_cndmask_b32_e64 v3, 0, 1, s[6:7]
	v_add_u32_e32 v4, v2, v3
; %bb.1089:
	s_or_b64 exec, exec, s[64:65]
	s_mov_b64 s[64:65], -1
	s_mov_b64 s[6:7], 0
	global_store_byte v[0:1], v4, off
.LBB183_1090:
	s_mov_b64 s[66:67], 0
.LBB183_1091:
	s_and_b64 vcc, exec, s[66:67]
	s_cbranch_vccz .LBB183_1094
; %bb.1092:
	s_cmp_eq_u32 s71, 29
	s_mov_b64 s[6:7], -1
	s_cbranch_scc0 .LBB183_1094
; %bb.1093:
	s_mov_b32 s6, 0
	v_cndmask_b32_e64 v2, 0, 1, s[2:3]
	v_mov_b32_e32 v3, s6
	global_store_dwordx2 v[0:1], v[2:3], off
	s_mov_b64 s[64:65], -1
	s_mov_b64 s[6:7], 0
.LBB183_1094:
	s_mov_b64 s[66:67], 0
.LBB183_1095:
	s_and_b64 vcc, exec, s[66:67]
	s_cbranch_vccz .LBB183_1111
; %bb.1096:
	s_cmp_lt_i32 s71, 27
	s_mov_b64 s[64:65], -1
	s_cbranch_scc1 .LBB183_1102
; %bb.1097:
	s_cmp_gt_i32 s71, 27
	s_cbranch_scc0 .LBB183_1099
; %bb.1098:
	v_cndmask_b32_e64 v2, 0, 1, s[2:3]
	s_mov_b64 s[64:65], 0
	global_store_dword v[0:1], v2, off
.LBB183_1099:
	s_andn2_b64 vcc, exec, s[64:65]
	s_cbranch_vccnz .LBB183_1101
; %bb.1100:
	v_cndmask_b32_e64 v2, 0, 1, s[2:3]
	global_store_short v[0:1], v2, off
.LBB183_1101:
	s_mov_b64 s[64:65], 0
.LBB183_1102:
	s_andn2_b64 vcc, exec, s[64:65]
	s_cbranch_vccnz .LBB183_1110
; %bb.1103:
	v_cndmask_b32_e64 v3, 0, 1.0, s[2:3]
	s_mov_b32 s64, 0x43800000
	v_cmp_gt_u32_e32 vcc, s64, v3
	v_mov_b32_e32 v4, 0x80
	s_and_saveexec_b64 s[64:65], vcc
	s_cbranch_execz .LBB183_1109
; %bb.1104:
	s_mov_b32 s66, 0x3bffffff
	v_cmp_lt_u32_e32 vcc, s66, v3
	s_mov_b64 s[66:67], 0
                                        ; implicit-def: $vgpr2
	s_and_saveexec_b64 s[68:69], vcc
	s_xor_b64 s[68:69], exec, s[68:69]
	s_cbranch_execz .LBB183_1223
; %bb.1105:
	v_bfe_u32 v2, v3, 20, 1
	s_mov_b32 s76, 0x487ffff
	v_add3_u32 v2, v3, v2, s76
	s_mov_b64 s[66:67], exec
	v_lshrrev_b32_e32 v2, 20, v2
                                        ; implicit-def: $vgpr3
	s_andn2_saveexec_b64 s[68:69], s[68:69]
	s_cbranch_execnz .LBB183_1224
.LBB183_1106:
	s_or_b64 exec, exec, s[68:69]
	v_mov_b32_e32 v4, 0
	s_and_saveexec_b64 s[68:69], s[66:67]
.LBB183_1107:
	v_mov_b32_e32 v4, v2
.LBB183_1108:
	s_or_b64 exec, exec, s[68:69]
.LBB183_1109:
	s_or_b64 exec, exec, s[64:65]
	global_store_byte v[0:1], v4, off
.LBB183_1110:
	s_mov_b64 s[64:65], -1
.LBB183_1111:
	s_mov_b64 s[66:67], 0
.LBB183_1112:
	s_and_b64 vcc, exec, s[66:67]
	s_cbranch_vccz .LBB183_1153
; %bb.1113:
	s_cmp_gt_i32 s71, 22
	s_mov_b64 s[66:67], -1
	s_cbranch_scc0 .LBB183_1145
; %bb.1114:
	s_cmp_lt_i32 s71, 24
	s_mov_b64 s[64:65], -1
	s_cbranch_scc1 .LBB183_1134
; %bb.1115:
	s_cmp_gt_i32 s71, 24
	s_cbranch_scc0 .LBB183_1123
; %bb.1116:
	v_cndmask_b32_e64 v3, 0, 1.0, s[2:3]
	s_mov_b32 s64, 0x47800000
	v_cmp_gt_u32_e32 vcc, s64, v3
	v_mov_b32_e32 v4, 0x80
	s_and_saveexec_b64 s[64:65], vcc
	s_cbranch_execz .LBB183_1122
; %bb.1117:
	s_mov_b32 s66, 0x37ffffff
	v_cmp_lt_u32_e32 vcc, s66, v3
	s_mov_b64 s[66:67], 0
                                        ; implicit-def: $vgpr2
	s_and_saveexec_b64 s[68:69], vcc
	s_xor_b64 s[68:69], exec, s[68:69]
	s_cbranch_execz .LBB183_2289
; %bb.1118:
	v_bfe_u32 v2, v3, 21, 1
	s_mov_b32 s76, 0x88fffff
	v_add3_u32 v2, v3, v2, s76
	s_mov_b64 s[66:67], exec
	v_lshrrev_b32_e32 v2, 21, v2
                                        ; implicit-def: $vgpr3
	s_andn2_saveexec_b64 s[68:69], s[68:69]
	s_cbranch_execnz .LBB183_2290
.LBB183_1119:
	s_or_b64 exec, exec, s[68:69]
	v_mov_b32_e32 v4, 0
	s_and_saveexec_b64 s[68:69], s[66:67]
.LBB183_1120:
	v_mov_b32_e32 v4, v2
.LBB183_1121:
	s_or_b64 exec, exec, s[68:69]
.LBB183_1122:
	s_or_b64 exec, exec, s[64:65]
	s_mov_b64 s[64:65], 0
	global_store_byte v[0:1], v4, off
.LBB183_1123:
	s_and_b64 vcc, exec, s[64:65]
	s_cbranch_vccz .LBB183_1133
; %bb.1124:
	v_cndmask_b32_e64 v2, 0, 1.0, s[2:3]
	s_mov_b32 s64, 0x43f00000
	v_cmp_gt_u32_e32 vcc, s64, v2
                                        ; implicit-def: $vgpr3
	s_and_saveexec_b64 s[64:65], vcc
	s_xor_b64 s[64:65], exec, s[64:65]
	s_cbranch_execz .LBB183_1130
; %bb.1125:
	s_mov_b32 s66, 0x3c7fffff
	v_cmp_lt_u32_e32 vcc, s66, v2
                                        ; implicit-def: $vgpr3
	s_and_saveexec_b64 s[66:67], vcc
	s_xor_b64 s[66:67], exec, s[66:67]
; %bb.1126:
	v_bfe_u32 v3, v2, 20, 1
	s_mov_b32 s68, 0x407ffff
	v_add3_u32 v2, v2, v3, s68
	v_lshrrev_b32_e32 v3, 20, v2
	v_and_b32_e32 v2, 0xff00000, v2
	s_mov_b32 s68, 0x7f00000
	v_mov_b32_e32 v4, 0x7e
	v_cmp_ne_u32_e32 vcc, s68, v2
	v_cndmask_b32_e32 v3, v4, v3, vcc
                                        ; implicit-def: $vgpr2
; %bb.1127:
	s_andn2_saveexec_b64 s[66:67], s[66:67]
; %bb.1128:
	v_add_f32_e32 v3, 0x46800000, v2
; %bb.1129:
	s_or_b64 exec, exec, s[66:67]
                                        ; implicit-def: $vgpr2
.LBB183_1130:
	s_andn2_saveexec_b64 s[64:65], s[64:65]
; %bb.1131:
	s_mov_b32 s66, 0x7f800000
	v_mov_b32_e32 v3, 0x7e
	v_mov_b32_e32 v4, 0x7f
	v_cmp_lt_u32_e32 vcc, s66, v2
	v_cndmask_b32_e32 v3, v3, v4, vcc
; %bb.1132:
	s_or_b64 exec, exec, s[64:65]
	global_store_byte v[0:1], v3, off
.LBB183_1133:
	s_mov_b64 s[64:65], 0
.LBB183_1134:
	s_andn2_b64 vcc, exec, s[64:65]
	s_cbranch_vccnz .LBB183_1144
; %bb.1135:
	v_cndmask_b32_e64 v2, 0, 1.0, s[2:3]
	s_mov_b32 s64, 0x47800000
	v_cmp_gt_u32_e32 vcc, s64, v2
                                        ; implicit-def: $vgpr3
	s_and_saveexec_b64 s[64:65], vcc
	s_xor_b64 s[64:65], exec, s[64:65]
	s_cbranch_execz .LBB183_1141
; %bb.1136:
	s_mov_b32 s66, 0x387fffff
	v_cmp_lt_u32_e32 vcc, s66, v2
                                        ; implicit-def: $vgpr3
	s_and_saveexec_b64 s[66:67], vcc
	s_xor_b64 s[66:67], exec, s[66:67]
; %bb.1137:
	v_bfe_u32 v3, v2, 21, 1
	s_mov_b32 s68, 0x80fffff
	v_add3_u32 v2, v2, v3, s68
	v_lshrrev_b32_e32 v3, 21, v2
                                        ; implicit-def: $vgpr2
; %bb.1138:
	s_andn2_saveexec_b64 s[66:67], s[66:67]
; %bb.1139:
	v_add_f32_e32 v3, 0x43000000, v2
; %bb.1140:
	s_or_b64 exec, exec, s[66:67]
                                        ; implicit-def: $vgpr2
.LBB183_1141:
	s_andn2_saveexec_b64 s[64:65], s[64:65]
; %bb.1142:
	s_mov_b32 s66, 0x7f800000
	v_mov_b32_e32 v3, 0x7c
	v_mov_b32_e32 v4, 0x7f
	v_cmp_lt_u32_e32 vcc, s66, v2
	v_cndmask_b32_e32 v3, v3, v4, vcc
; %bb.1143:
	s_or_b64 exec, exec, s[64:65]
	global_store_byte v[0:1], v3, off
.LBB183_1144:
	s_mov_b64 s[66:67], 0
	s_mov_b64 s[64:65], -1
.LBB183_1145:
	s_andn2_b64 vcc, exec, s[66:67]
	s_cbranch_vccnz .LBB183_1153
; %bb.1146:
	s_cmp_gt_i32 s71, 14
	s_mov_b64 s[66:67], -1
	s_cbranch_scc0 .LBB183_1150
; %bb.1147:
	s_cmp_eq_u32 s71, 15
	s_mov_b64 s[6:7], -1
	s_cbranch_scc0 .LBB183_1149
; %bb.1148:
	v_cndmask_b32_e64 v2, 0, 1.0, s[2:3]
	v_bfe_u32 v3, v2, 16, 1
	s_movk_i32 s6, 0x7fff
	v_add3_u32 v2, v2, v3, s6
	global_store_short_d16_hi v[0:1], v2, off
	s_mov_b64 s[64:65], -1
	s_mov_b64 s[6:7], 0
.LBB183_1149:
	s_mov_b64 s[66:67], 0
.LBB183_1150:
	s_and_b64 vcc, exec, s[66:67]
	s_cbranch_vccz .LBB183_1153
; %bb.1151:
	s_cmp_eq_u32 s71, 11
	s_mov_b64 s[6:7], -1
	s_cbranch_scc0 .LBB183_1153
; %bb.1152:
	v_cndmask_b32_e64 v2, 0, 1, s[2:3]
	s_mov_b64 s[64:65], -1
	s_mov_b64 s[6:7], 0
	global_store_byte v[0:1], v2, off
.LBB183_1153:
	s_mov_b64 s[66:67], 0
.LBB183_1154:
	s_and_b64 vcc, exec, s[66:67]
	s_cbranch_vccz .LBB183_1193
; %bb.1155:
	s_and_b32 s14, 0xffff, s14
	s_cmp_lt_i32 s14, 5
	s_mov_b64 s[64:65], -1
	s_cbranch_scc1 .LBB183_1176
; %bb.1156:
	s_cmp_lt_i32 s14, 8
	s_cbranch_scc1 .LBB183_1166
; %bb.1157:
	s_cmp_lt_i32 s14, 9
	s_cbranch_scc1 .LBB183_1163
; %bb.1158:
	s_cmp_gt_i32 s14, 9
	s_cbranch_scc0 .LBB183_1160
; %bb.1159:
	v_cndmask_b32_e64 v2, 0, 1, s[2:3]
	v_cvt_f64_u32_e32 v[2:3], v2
	v_mov_b32_e32 v4, 0
	v_mov_b32_e32 v5, v4
	s_mov_b64 s[64:65], 0
	global_store_dwordx4 v[0:1], v[2:5], off
.LBB183_1160:
	s_andn2_b64 vcc, exec, s[64:65]
	s_cbranch_vccnz .LBB183_1162
; %bb.1161:
	v_cndmask_b32_e64 v2, 0, 1.0, s[2:3]
	v_mov_b32_e32 v3, 0
	global_store_dwordx2 v[0:1], v[2:3], off
.LBB183_1162:
	s_mov_b64 s[64:65], 0
.LBB183_1163:
	s_andn2_b64 vcc, exec, s[64:65]
	s_cbranch_vccnz .LBB183_1165
; %bb.1164:
	v_cndmask_b32_e64 v2, 0, 1.0, s[2:3]
	v_cvt_f16_f32_e32 v2, v2
	global_store_dword v[0:1], v2, off
.LBB183_1165:
	s_mov_b64 s[64:65], 0
.LBB183_1166:
	s_andn2_b64 vcc, exec, s[64:65]
	s_cbranch_vccnz .LBB183_1175
; %bb.1167:
	s_cmp_lt_i32 s14, 6
	s_mov_b64 s[64:65], -1
	s_cbranch_scc1 .LBB183_1173
; %bb.1168:
	s_cmp_gt_i32 s14, 6
	s_cbranch_scc0 .LBB183_1170
; %bb.1169:
	v_cndmask_b32_e64 v2, 0, 1, s[2:3]
	v_cvt_f64_u32_e32 v[2:3], v2
	s_mov_b64 s[64:65], 0
	global_store_dwordx2 v[0:1], v[2:3], off
.LBB183_1170:
	s_andn2_b64 vcc, exec, s[64:65]
	s_cbranch_vccnz .LBB183_1172
; %bb.1171:
	v_cndmask_b32_e64 v2, 0, 1.0, s[2:3]
	global_store_dword v[0:1], v2, off
.LBB183_1172:
	s_mov_b64 s[64:65], 0
.LBB183_1173:
	s_andn2_b64 vcc, exec, s[64:65]
	s_cbranch_vccnz .LBB183_1175
; %bb.1174:
	v_cndmask_b32_e64 v2, 0, 1.0, s[2:3]
	v_cvt_f16_f32_e32 v2, v2
	global_store_short v[0:1], v2, off
.LBB183_1175:
	s_mov_b64 s[64:65], 0
.LBB183_1176:
	s_andn2_b64 vcc, exec, s[64:65]
	s_cbranch_vccnz .LBB183_1192
; %bb.1177:
	s_cmp_lt_i32 s14, 2
	s_mov_b64 s[64:65], -1
	s_cbranch_scc1 .LBB183_1187
; %bb.1178:
	s_cmp_lt_i32 s14, 3
	s_cbranch_scc1 .LBB183_1184
; %bb.1179:
	s_cmp_gt_i32 s14, 3
	s_cbranch_scc0 .LBB183_1181
; %bb.1180:
	s_mov_b32 s64, 0
	v_cndmask_b32_e64 v2, 0, 1, s[2:3]
	v_mov_b32_e32 v3, s64
	s_mov_b64 s[64:65], 0
	global_store_dwordx2 v[0:1], v[2:3], off
.LBB183_1181:
	s_andn2_b64 vcc, exec, s[64:65]
	s_cbranch_vccnz .LBB183_1183
; %bb.1182:
	v_cndmask_b32_e64 v2, 0, 1, s[2:3]
	global_store_dword v[0:1], v2, off
.LBB183_1183:
	s_mov_b64 s[64:65], 0
.LBB183_1184:
	s_andn2_b64 vcc, exec, s[64:65]
	s_cbranch_vccnz .LBB183_1186
; %bb.1185:
	v_cndmask_b32_e64 v2, 0, 1, s[2:3]
	global_store_short v[0:1], v2, off
.LBB183_1186:
	s_mov_b64 s[64:65], 0
.LBB183_1187:
	s_andn2_b64 vcc, exec, s[64:65]
	s_cbranch_vccnz .LBB183_1192
; %bb.1188:
	s_mov_b64 s[64:65], -1
	s_cmp_gt_i32 s14, 0
	v_cndmask_b32_e64 v2, 0, 1, s[2:3]
	s_cbranch_scc0 .LBB183_1190
; %bb.1189:
	s_mov_b64 s[64:65], 0
	global_store_byte v[0:1], v2, off
.LBB183_1190:
	s_andn2_b64 vcc, exec, s[64:65]
	s_cbranch_vccnz .LBB183_1192
; %bb.1191:
	global_store_byte v[0:1], v2, off
.LBB183_1192:
	s_mov_b64 s[64:65], -1
.LBB183_1193:
	s_andn2_b64 vcc, exec, s[64:65]
	s_cbranch_vccnz .LBB183_1205
; %bb.1194:
	v_add_u32_e32 v8, 0x80, v8
	s_mov_b64 s[66:67], -1
.LBB183_1195:
	s_andn2_b64 s[2:3], s[54:55], exec
	s_and_b64 s[6:7], s[6:7], exec
	s_or_b64 s[64:65], s[2:3], s[6:7]
	s_andn2_b64 s[2:3], s[52:53], exec
	s_and_b64 s[6:7], s[62:63], exec
	s_or_b64 s[6:7], s[2:3], s[6:7]
	;; [unrolled: 3-line block ×3, first 2 shown]
	s_orn2_b64 s[68:69], s[66:67], exec
.LBB183_1196:
	s_or_b64 exec, exec, s[58:59]
	s_mov_b64 s[62:63], 0
	s_mov_b64 s[66:67], 0
	;; [unrolled: 1-line block ×3, first 2 shown]
                                        ; implicit-def: $sgpr14
                                        ; implicit-def: $vgpr3_vgpr4
                                        ; implicit-def: $vgpr0
                                        ; implicit-def: $vgpr2
                                        ; implicit-def: $vgpr5
	s_and_saveexec_b64 s[58:59], s[68:69]
	s_cbranch_execz .LBB183_1291
; %bb.1197:
	v_cmp_gt_i32_e32 vcc, s70, v8
	s_mov_b64 s[68:69], s[2:3]
	s_mov_b64 s[70:71], 0
                                        ; implicit-def: $sgpr14
                                        ; implicit-def: $vgpr3_vgpr4
                                        ; implicit-def: $vgpr0
                                        ; implicit-def: $vgpr2
                                        ; implicit-def: $vgpr5
	s_and_saveexec_b64 s[60:61], vcc
	s_cbranch_execz .LBB183_1290
; %bb.1198:
	s_andn2_b64 vcc, exec, s[28:29]
	s_cbranch_vccnz .LBB183_1204
; %bb.1199:
	s_andn2_b64 vcc, exec, s[40:41]
	s_cbranch_vccnz .LBB183_1206
; %bb.1200:
	s_add_i32 s14, s75, 1
	s_and_b32 s14, s14, 30
	s_add_u32 s40, s24, 0xffffffe8
	s_addc_u32 s41, s25, -1
	v_mov_b32_e32 v2, 0
	v_mov_b32_e32 v4, 0
	;; [unrolled: 1-line block ×4, first 2 shown]
.LBB183_1201:                           ; =>This Inner Loop Header: Depth=1
	s_load_dwordx4 s[68:71], s[40:41], 0x1c
	s_load_dwordx2 s[62:63], s[40:41], 0x2c
	s_load_dwordx2 s[66:67], s[40:41], 0xec
	s_load_dwordx4 s[76:79], s[40:41], 0xdc
	s_add_u32 s40, s40, 24
	s_waitcnt vmcnt(0) lgkmcnt(0)
	v_mul_hi_u32 v3, s69, v1
	s_addc_u32 s41, s41, 0
	s_add_i32 s14, s14, -2
	s_cmp_eq_u32 s14, 0
	v_add_u32_e32 v3, v1, v3
	v_lshrrev_b32_e32 v3, s70, v3
	v_mul_lo_u32 v5, v3, s68
	v_mul_hi_u32 v6, s62, v3
	v_sub_u32_e32 v5, v1, v5
	v_add_u32_e32 v1, v3, v6
	v_lshrrev_b32_e32 v1, s63, v1
	v_mul_lo_u32 v9, v1, s71
	v_mul_lo_u32 v6, v5, s76
	;; [unrolled: 1-line block ×4, first 2 shown]
	v_sub_u32_e32 v3, v3, v9
	v_mul_lo_u32 v9, v3, s79
	v_mul_lo_u32 v10, v3, s66
	;; [unrolled: 1-line block ×3, first 2 shown]
	v_add3_u32 v0, v6, v0, v9
	v_add3_u32 v4, v7, v4, v10
	;; [unrolled: 1-line block ×3, first 2 shown]
	s_cbranch_scc0 .LBB183_1201
; %bb.1202:
	s_bitcmp1_b32 s75, 0
	s_cselect_b64 s[62:63], -1, 0
	s_and_b64 vcc, exec, s[62:63]
	s_cbranch_vccnz .LBB183_1207
; %bb.1203:
	s_load_dwordx2 s[62:63], s[40:41], 0x1c
	s_load_dword s14, s[40:41], 0x24
	s_load_dwordx2 s[66:67], s[40:41], 0xdc
	s_waitcnt lgkmcnt(0)
	v_mul_hi_u32 v3, s63, v1
	v_add_u32_e32 v3, v1, v3
	v_lshrrev_b32_e32 v3, s14, v3
	v_mul_lo_u32 v3, v3, s62
	s_load_dword s14, s[40:41], 0xe4
	v_sub_u32_e32 v3, v1, v3
	v_mad_u64_u32 v[0:1], s[40:41], v3, s66, v[0:1]
	v_mad_u64_u32 v[4:5], s[40:41], v3, s67, v[4:5]
	s_waitcnt lgkmcnt(0)
	v_mad_u64_u32 v[2:3], s[40:41], v3, s14, v[2:3]
	s_branch .LBB183_1207
.LBB183_1204:
	s_mov_b64 s[40:41], -1
                                        ; implicit-def: $vgpr0
                                        ; implicit-def: $vgpr4
                                        ; implicit-def: $vgpr2
	s_branch .LBB183_1208
.LBB183_1205:
	s_mov_b64 s[66:67], 0
	s_branch .LBB183_948
.LBB183_1206:
	v_mov_b32_e32 v0, 0
	v_mov_b32_e32 v4, 0
	;; [unrolled: 1-line block ×3, first 2 shown]
.LBB183_1207:
	s_mov_b64 s[40:41], 0
.LBB183_1208:
	s_andn2_b64 vcc, exec, s[40:41]
	s_cbranch_vccnz .LBB183_1211
; %bb.1209:
	v_mul_hi_u32 v0, s17, v8
	s_andn2_b64 vcc, exec, s[38:39]
	v_add_u32_e32 v0, v8, v0
	v_lshrrev_b32_e32 v1, s18, v0
	v_mul_lo_u32 v0, v1, s16
	v_sub_u32_e32 v2, v8, v0
	v_mul_lo_u32 v0, v2, s20
	v_mul_lo_u32 v4, v2, s21
	;; [unrolled: 1-line block ×3, first 2 shown]
	s_cbranch_vccnz .LBB183_1211
; %bb.1210:
	s_waitcnt vmcnt(0)
	v_mul_hi_u32 v3, s36, v1
	v_add_u32_e32 v3, v1, v3
	v_lshrrev_b32_e32 v3, s37, v3
	v_mul_lo_u32 v3, v3, s19
	v_sub_u32_e32 v3, v1, v3
	v_mad_u64_u32 v[0:1], s[16:17], v3, s23, v[0:1]
	v_mad_u64_u32 v[4:5], s[16:17], v3, s34, v[4:5]
	v_mad_u64_u32 v[2:3], s[16:17], v3, s35, v[2:3]
.LBB183_1211:
	v_mov_b32_e32 v1, s11
	s_and_b32 s14, s74, 0xff
	s_waitcnt vmcnt(0)
	v_add_co_u32_e32 v3, vcc, s10, v4
	s_cmp_lt_i32 s14, 11
	v_addc_co_u32_e32 v4, vcc, 0, v1, vcc
	s_cbranch_scc1 .LBB183_1218
; %bb.1212:
	s_and_b32 s34, 0xffff, s14
	s_cmp_gt_i32 s34, 25
	s_mov_b64 s[16:17], 0
	s_cbranch_scc0 .LBB183_1219
; %bb.1213:
	s_cmp_gt_i32 s34, 28
	s_cbranch_scc0 .LBB183_1220
; %bb.1214:
	s_cmp_gt_i32 s34, 43
	;; [unrolled: 3-line block ×3, first 2 shown]
	s_cbranch_scc0 .LBB183_1222
; %bb.1216:
	s_cmp_eq_u32 s34, 46
	s_mov_b64 s[20:21], 0
	s_cbranch_scc0 .LBB183_1225
; %bb.1217:
	global_load_dword v1, v[3:4], off
	s_mov_b64 s[10:11], 0
	s_mov_b64 s[18:19], -1
	s_waitcnt vmcnt(0)
	v_lshlrev_b32_e32 v1, 16, v1
	v_cvt_f16_f32_e32 v5, v1
	s_branch .LBB183_1226
.LBB183_1218:
	s_mov_b64 s[20:21], -1
	s_mov_b64 s[18:19], 0
	s_mov_b64 s[16:17], 0
	;; [unrolled: 1-line block ×3, first 2 shown]
                                        ; implicit-def: $vgpr5
	s_branch .LBB183_1289
.LBB183_1219:
	s_mov_b64 s[20:21], -1
	s_mov_b64 s[18:19], 0
	s_mov_b64 s[10:11], s[2:3]
                                        ; implicit-def: $vgpr5
	s_branch .LBB183_1255
.LBB183_1220:
	s_mov_b64 s[20:21], -1
	s_mov_b64 s[18:19], 0
	s_mov_b64 s[10:11], s[2:3]
                                        ; implicit-def: $vgpr5
	s_branch .LBB183_1236
.LBB183_1221:
	s_mov_b64 s[20:21], -1
	s_mov_b64 s[18:19], 0
	s_mov_b64 s[10:11], s[2:3]
                                        ; implicit-def: $vgpr5
	s_branch .LBB183_1231
.LBB183_1222:
	s_mov_b64 s[20:21], -1
	s_mov_b64 s[18:19], 0
	s_mov_b64 s[10:11], s[2:3]
                                        ; implicit-def: $vgpr5
	s_branch .LBB183_1226
.LBB183_1223:
	s_andn2_saveexec_b64 s[68:69], s[68:69]
	s_cbranch_execz .LBB183_1106
.LBB183_1224:
	v_add_f32_e32 v2, 0x46000000, v3
	v_and_b32_e32 v2, 0xff, v2
	v_cmp_ne_u32_e32 vcc, 0, v2
	s_andn2_b64 s[66:67], s[66:67], exec
	s_and_b64 s[76:77], vcc, exec
	s_or_b64 s[66:67], s[66:67], s[76:77]
	s_or_b64 exec, exec, s[68:69]
	v_mov_b32_e32 v4, 0
	s_and_saveexec_b64 s[68:69], s[66:67]
	s_cbranch_execnz .LBB183_1107
	s_branch .LBB183_1108
.LBB183_1225:
	s_mov_b64 s[10:11], -1
                                        ; implicit-def: $vgpr5
	s_mov_b64 s[18:19], 0
.LBB183_1226:
	s_and_b64 vcc, exec, s[20:21]
	s_cbranch_vccz .LBB183_1230
; %bb.1227:
	s_cmp_eq_u32 s34, 44
	s_cbranch_scc0 .LBB183_1229
; %bb.1228:
	global_load_ubyte v1, v[3:4], off
	s_movk_i32 s18, 0xff
	v_mov_b32_e32 v6, 0x7e00
	s_mov_b64 s[10:11], 0
	s_waitcnt vmcnt(0)
	v_lshlrev_b32_e32 v5, 23, v1
	v_cvt_f16_f32_e32 v5, v5
	v_cmp_ne_u32_e32 vcc, s18, v1
	s_mov_b64 s[18:19], -1
	v_cndmask_b32_e32 v5, v6, v5, vcc
	v_cmp_ne_u32_e32 vcc, 0, v1
	v_cndmask_b32_e32 v5, 0, v5, vcc
	s_branch .LBB183_1230
.LBB183_1229:
	s_mov_b64 s[10:11], -1
                                        ; implicit-def: $vgpr5
.LBB183_1230:
	s_mov_b64 s[20:21], 0
.LBB183_1231:
	s_and_b64 vcc, exec, s[20:21]
	s_cbranch_vccz .LBB183_1235
; %bb.1232:
	s_cmp_eq_u32 s34, 29
	s_cbranch_scc0 .LBB183_1234
; %bb.1233:
	global_load_dwordx2 v[5:6], v[3:4], off
	s_mov_b64 s[10:11], 0
	s_mov_b64 s[18:19], -1
	s_mov_b64 s[20:21], 0
	s_waitcnt vmcnt(0)
	v_ffbh_u32_e32 v1, v6
	v_min_u32_e32 v1, 32, v1
	v_lshlrev_b64 v[5:6], v1, v[5:6]
	v_sub_u32_e32 v1, 32, v1
	v_min_u32_e32 v5, 1, v5
	v_or_b32_e32 v5, v6, v5
	v_cvt_f32_u32_e32 v5, v5
	v_ldexp_f32 v1, v5, v1
	v_cvt_f16_f32_e32 v5, v1
	s_branch .LBB183_1236
.LBB183_1234:
	s_mov_b64 s[10:11], -1
                                        ; implicit-def: $vgpr5
.LBB183_1235:
	s_mov_b64 s[20:21], 0
.LBB183_1236:
	s_and_b64 vcc, exec, s[20:21]
	s_cbranch_vccz .LBB183_1254
; %bb.1237:
	s_cmp_lt_i32 s34, 27
	s_cbranch_scc1 .LBB183_1240
; %bb.1238:
	s_cmp_gt_i32 s34, 27
	s_cbranch_scc0 .LBB183_1241
; %bb.1239:
	global_load_dword v1, v[3:4], off
	s_mov_b64 s[18:19], 0
	s_waitcnt vmcnt(0)
	v_cvt_f32_u32_e32 v1, v1
	v_cvt_f16_f32_e32 v5, v1
	s_branch .LBB183_1242
.LBB183_1240:
	s_mov_b64 s[18:19], -1
                                        ; implicit-def: $vgpr5
	s_branch .LBB183_1245
.LBB183_1241:
	s_mov_b64 s[18:19], -1
                                        ; implicit-def: $vgpr5
.LBB183_1242:
	s_andn2_b64 vcc, exec, s[18:19]
	s_cbranch_vccnz .LBB183_1244
; %bb.1243:
	global_load_ushort v1, v[3:4], off
	s_waitcnt vmcnt(0)
	v_cvt_f16_u16_e32 v5, v1
.LBB183_1244:
	s_mov_b64 s[18:19], 0
.LBB183_1245:
	s_andn2_b64 vcc, exec, s[18:19]
	s_cbranch_vccnz .LBB183_1253
; %bb.1246:
	global_load_ubyte v1, v[3:4], off
	s_movk_i32 s18, 0x7f
	s_waitcnt vmcnt(0)
	v_cmp_lt_i16_e32 vcc, s18, v1
	s_mov_b64 s[18:19], 0
	s_and_saveexec_b64 s[20:21], vcc
	s_xor_b64 s[20:21], exec, s[20:21]
	s_cbranch_execz .LBB183_1267
; %bb.1247:
	s_movk_i32 s18, 0x80
	v_cmp_eq_u16_e32 vcc, s18, v1
	s_mov_b64 s[18:19], -1
	s_and_saveexec_b64 s[22:23], vcc
; %bb.1248:
	s_xor_b64 s[18:19], exec, -1
; %bb.1249:
	s_or_b64 exec, exec, s[22:23]
	s_and_b64 s[18:19], s[18:19], exec
	s_or_saveexec_b64 s[20:21], s[20:21]
	v_mov_b32_e32 v5, 0x7e00
	s_xor_b64 exec, exec, s[20:21]
	s_cbranch_execnz .LBB183_1268
.LBB183_1250:
	s_or_b64 exec, exec, s[20:21]
	s_and_saveexec_b64 s[20:21], s[18:19]
	s_cbranch_execz .LBB183_1252
.LBB183_1251:
	v_lshlrev_b32_e32 v5, 24, v1
	v_and_b32_e32 v1, 0xffff, v1
	v_and_b32_e32 v6, 7, v1
	v_ffbh_u32_e32 v8, v6
	v_min_u32_e32 v8, 32, v8
	v_subrev_u32_e32 v9, 28, v8
	v_bfe_u32 v7, v1, 3, 4
	v_lshlrev_b32_e32 v1, v9, v1
	v_sub_u32_e32 v8, 29, v8
	v_and_b32_e32 v1, 7, v1
	v_cmp_eq_u32_e32 vcc, 0, v7
	v_cndmask_b32_e32 v7, v7, v8, vcc
	v_cndmask_b32_e32 v1, v6, v1, vcc
	v_mov_b32_e32 v6, 0x3b800000
	v_lshlrev_b32_e32 v1, 20, v1
	v_and_b32_e32 v5, 0x80000000, v5
	v_lshl_add_u32 v6, v7, 23, v6
	v_or3_b32 v1, v5, v6, v1
	v_cvt_f16_f32_e32 v5, v1
.LBB183_1252:
	s_or_b64 exec, exec, s[20:21]
.LBB183_1253:
	s_mov_b64 s[18:19], -1
.LBB183_1254:
	s_mov_b64 s[20:21], 0
.LBB183_1255:
	s_and_b64 vcc, exec, s[20:21]
	s_cbranch_vccz .LBB183_1288
; %bb.1256:
	s_cmp_gt_i32 s34, 22
	s_cbranch_scc0 .LBB183_1266
; %bb.1257:
	s_cmp_lt_i32 s34, 24
	s_cbranch_scc1 .LBB183_1269
; %bb.1258:
	s_cmp_gt_i32 s34, 24
	s_cbranch_scc0 .LBB183_1270
; %bb.1259:
	global_load_ubyte v1, v[3:4], off
	s_movk_i32 s16, 0x7f
	s_waitcnt vmcnt(0)
	v_cmp_lt_i16_e32 vcc, s16, v1
	s_mov_b64 s[16:17], 0
	s_and_saveexec_b64 s[18:19], vcc
	s_xor_b64 s[18:19], exec, s[18:19]
	s_cbranch_execz .LBB183_1282
; %bb.1260:
	s_movk_i32 s16, 0x80
	v_cmp_eq_u16_e32 vcc, s16, v1
	s_mov_b64 s[16:17], -1
	s_and_saveexec_b64 s[20:21], vcc
; %bb.1261:
	s_xor_b64 s[16:17], exec, -1
; %bb.1262:
	s_or_b64 exec, exec, s[20:21]
	s_and_b64 s[16:17], s[16:17], exec
	s_or_saveexec_b64 s[18:19], s[18:19]
	v_mov_b32_e32 v5, 0x7e00
	s_xor_b64 exec, exec, s[18:19]
	s_cbranch_execnz .LBB183_1283
.LBB183_1263:
	s_or_b64 exec, exec, s[18:19]
	s_and_saveexec_b64 s[18:19], s[16:17]
	s_cbranch_execz .LBB183_1265
.LBB183_1264:
	v_lshlrev_b32_e32 v5, 24, v1
	v_and_b32_e32 v1, 0xffff, v1
	v_and_b32_e32 v6, 3, v1
	v_ffbh_u32_e32 v8, v6
	v_min_u32_e32 v8, 32, v8
	v_subrev_u32_e32 v9, 29, v8
	v_bfe_u32 v7, v1, 2, 5
	v_lshlrev_b32_e32 v1, v9, v1
	v_sub_u32_e32 v8, 30, v8
	v_and_b32_e32 v1, 3, v1
	v_cmp_eq_u32_e32 vcc, 0, v7
	v_cndmask_b32_e32 v7, v7, v8, vcc
	v_cndmask_b32_e32 v1, v6, v1, vcc
	v_mov_b32_e32 v6, 0x37800000
	v_lshlrev_b32_e32 v1, 21, v1
	v_and_b32_e32 v5, 0x80000000, v5
	v_lshl_add_u32 v6, v7, 23, v6
	v_or3_b32 v1, v5, v6, v1
	v_cvt_f16_f32_e32 v5, v1
.LBB183_1265:
	s_or_b64 exec, exec, s[18:19]
	s_mov_b64 s[16:17], 0
	s_branch .LBB183_1271
.LBB183_1266:
	s_mov_b64 s[16:17], -1
                                        ; implicit-def: $vgpr5
	s_branch .LBB183_1277
.LBB183_1267:
	s_or_saveexec_b64 s[20:21], s[20:21]
	v_mov_b32_e32 v5, 0x7e00
	s_xor_b64 exec, exec, s[20:21]
	s_cbranch_execz .LBB183_1250
.LBB183_1268:
	v_cmp_ne_u16_e32 vcc, 0, v1
	s_andn2_b64 s[18:19], s[18:19], exec
	s_and_b64 s[22:23], vcc, exec
	s_or_b64 s[18:19], s[18:19], s[22:23]
	v_mov_b32_e32 v5, v1
	s_or_b64 exec, exec, s[20:21]
	s_and_saveexec_b64 s[20:21], s[18:19]
	s_cbranch_execnz .LBB183_1251
	s_branch .LBB183_1252
.LBB183_1269:
	s_mov_b64 s[16:17], -1
                                        ; implicit-def: $vgpr5
	s_branch .LBB183_1274
.LBB183_1270:
	s_mov_b64 s[16:17], -1
                                        ; implicit-def: $vgpr5
.LBB183_1271:
	s_and_b64 vcc, exec, s[16:17]
	s_cbranch_vccz .LBB183_1273
; %bb.1272:
	global_load_ubyte v1, v[3:4], off
	s_mov_b32 s16, 0x7f800000
	s_waitcnt vmcnt(0)
	v_lshlrev_b32_e32 v1, 24, v1
	v_and_b32_e32 v5, 0x7f000000, v1
	v_ffbh_u32_e32 v6, v5
	v_min_u32_e32 v6, 32, v6
	v_sub_u32_e64 v6, v6, 4 clamp
	v_lshlrev_b32_e32 v8, v6, v5
	v_lshlrev_b32_e32 v6, 23, v6
	v_lshrrev_b32_e32 v8, 4, v8
	v_add_u32_e32 v7, 0x1000000, v5
	v_sub_u32_e32 v6, v8, v6
	v_ashrrev_i32_e32 v7, 8, v7
	v_add_u32_e32 v6, 0x3c000000, v6
	v_and_or_b32 v6, v7, s16, v6
	v_cmp_ne_u32_e32 vcc, 0, v5
	v_cndmask_b32_e32 v5, 0, v6, vcc
	s_brev_b32 s16, 1
	v_and_or_b32 v1, v1, s16, v5
	v_cvt_f16_f32_e32 v5, v1
.LBB183_1273:
	s_mov_b64 s[16:17], 0
.LBB183_1274:
	s_andn2_b64 vcc, exec, s[16:17]
	s_cbranch_vccnz .LBB183_1276
; %bb.1275:
	global_load_ubyte v1, v[3:4], off
	s_movk_i32 s16, 0x7f00
	s_brev_b32 s17, 16
	s_waitcnt vmcnt(0)
	v_lshlrev_b16_e32 v5, 8, v1
	v_lshlrev_b32_e32 v1, 25, v1
	v_lshrrev_b32_e32 v6, 4, v1
	v_and_or_b32 v7, v5, s16, 0.5
	v_or_b32_e32 v6, 0x70000000, v6
	v_add_f32_e32 v7, -0.5, v7
	v_mul_f32_e32 v6, 0x7800000, v6
	v_cmp_gt_u32_e32 vcc, s17, v1
	v_bfe_i32 v5, v5, 0, 16
	v_cndmask_b32_e32 v1, v6, v7, vcc
	s_brev_b32 s16, 1
	v_and_or_b32 v1, v5, s16, v1
	v_cvt_f16_f32_e32 v5, v1
.LBB183_1276:
	s_mov_b64 s[16:17], 0
	s_mov_b64 s[18:19], -1
.LBB183_1277:
	s_andn2_b64 vcc, exec, s[16:17]
	s_mov_b64 s[16:17], 0
	s_cbranch_vccnz .LBB183_1288
; %bb.1278:
	s_cmp_gt_i32 s34, 14
	s_cbranch_scc0 .LBB183_1281
; %bb.1279:
	s_cmp_eq_u32 s34, 15
	s_cbranch_scc0 .LBB183_1284
; %bb.1280:
	global_load_ushort v1, v[3:4], off
	s_mov_b64 s[10:11], 0
	s_mov_b64 s[18:19], -1
	s_waitcnt vmcnt(0)
	v_lshlrev_b32_e32 v1, 16, v1
	v_cvt_f16_f32_e32 v5, v1
	s_branch .LBB183_1285
.LBB183_1281:
	s_mov_b64 s[20:21], -1
                                        ; implicit-def: $vgpr5
	s_branch .LBB183_1286
.LBB183_1282:
	s_or_saveexec_b64 s[18:19], s[18:19]
	v_mov_b32_e32 v5, 0x7e00
	s_xor_b64 exec, exec, s[18:19]
	s_cbranch_execz .LBB183_1263
.LBB183_1283:
	v_cmp_ne_u16_e32 vcc, 0, v1
	s_andn2_b64 s[16:17], s[16:17], exec
	s_and_b64 s[20:21], vcc, exec
	s_or_b64 s[16:17], s[16:17], s[20:21]
	v_mov_b32_e32 v5, v1
	s_or_b64 exec, exec, s[18:19]
	s_and_saveexec_b64 s[18:19], s[16:17]
	s_cbranch_execnz .LBB183_1264
	s_branch .LBB183_1265
.LBB183_1284:
	s_mov_b64 s[10:11], -1
                                        ; implicit-def: $vgpr5
.LBB183_1285:
	s_mov_b64 s[20:21], 0
.LBB183_1286:
	s_and_b64 vcc, exec, s[20:21]
	s_cbranch_vccz .LBB183_1288
; %bb.1287:
	s_cmp_lg_u32 s34, 11
	s_cselect_b64 s[20:21], -1, 0
	s_andn2_b64 s[10:11], s[10:11], exec
	s_and_b64 s[20:21], s[20:21], exec
	s_mov_b64 s[16:17], -1
	s_or_b64 s[10:11], s[10:11], s[20:21]
.LBB183_1288:
	s_mov_b64 s[20:21], 0
.LBB183_1289:
	s_and_b64 s[62:63], s[16:17], exec
	s_andn2_b64 s[16:17], s[2:3], exec
	s_and_b64 s[10:11], s[10:11], exec
	s_and_b64 s[70:71], s[18:19], exec
	;; [unrolled: 1-line block ×3, first 2 shown]
	s_or_b64 s[68:69], s[16:17], s[10:11]
.LBB183_1290:
	s_or_b64 exec, exec, s[60:61]
	s_andn2_b64 s[2:3], s[2:3], exec
	s_and_b64 s[10:11], s[68:69], exec
	s_and_b64 s[60:61], s[70:71], exec
	;; [unrolled: 1-line block ×4, first 2 shown]
	s_or_b64 s[2:3], s[2:3], s[10:11]
.LBB183_1291:
	s_or_b64 exec, exec, s[58:59]
	s_andn2_b64 s[10:11], s[54:55], exec
	s_and_b64 s[16:17], s[64:65], exec
	s_or_b64 s[54:55], s[10:11], s[16:17]
	s_andn2_b64 s[10:11], s[52:53], exec
	s_and_b64 s[6:7], s[6:7], exec
	s_or_b64 s[52:53], s[10:11], s[6:7]
	s_andn2_b64 s[10:11], s[50:51], exec
	s_and_b64 s[2:3], s[2:3], exec
	s_and_b64 s[60:61], s[60:61], exec
	;; [unrolled: 1-line block ×4, first 2 shown]
	s_or_b64 s[50:51], s[10:11], s[2:3]
.LBB183_1292:
	s_or_b64 exec, exec, s[56:57]
	s_andn2_b64 s[2:3], s[42:43], exec
	s_and_b64 s[10:11], s[54:55], exec
	s_or_b64 s[42:43], s[2:3], s[10:11]
	s_andn2_b64 s[2:3], s[44:45], exec
	s_and_b64 s[10:11], s[52:53], exec
	s_or_b64 s[44:45], s[2:3], s[10:11]
	s_and_b64 s[52:53], s[6:7], exec
	s_andn2_b64 s[2:3], s[46:47], exec
	s_and_b64 s[6:7], s[50:51], exec
	s_and_b64 s[54:55], s[60:61], exec
	;; [unrolled: 1-line block ×3, first 2 shown]
	s_or_b64 s[46:47], s[2:3], s[6:7]
	s_or_b64 exec, exec, s[48:49]
	s_mov_b64 s[2:3], 0
	s_and_saveexec_b64 s[6:7], s[46:47]
	s_cbranch_execz .LBB183_403
.LBB183_1293:
	s_mov_b64 s[2:3], exec
	s_andn2_b64 s[52:53], s[52:53], exec
	s_trap 2
	s_or_b64 exec, exec, s[6:7]
	s_and_saveexec_b64 s[6:7], s[52:53]
	s_xor_b64 s[6:7], exec, s[6:7]
	s_cbranch_execnz .LBB183_404
.LBB183_1294:
	s_or_b64 exec, exec, s[6:7]
	s_and_saveexec_b64 s[6:7], s[56:57]
	s_cbranch_execz .LBB183_1340
.LBB183_1295:
	s_sext_i32_i16 s10, s14
	s_cmp_lt_i32 s10, 5
	s_cbranch_scc1 .LBB183_1300
; %bb.1296:
	s_cmp_lt_i32 s10, 8
	s_cbranch_scc1 .LBB183_1301
; %bb.1297:
	;; [unrolled: 3-line block ×3, first 2 shown]
	s_cmp_gt_i32 s10, 9
	s_cbranch_scc0 .LBB183_1303
; %bb.1299:
	s_waitcnt vmcnt(0)
	global_load_dwordx2 v[5:6], v[3:4], off
	s_movk_i32 s10, 0x1ff
	s_movk_i32 s11, 0xffe
	v_mov_b32_e32 v1, 0x7c00
	v_mov_b32_e32 v7, 0x7e00
	s_movk_i32 s16, 0x40f
	s_mov_b32 s17, 0x8000
	s_waitcnt vmcnt(0)
	v_and_or_b32 v5, v6, s10, v5
	v_cmp_ne_u32_e32 vcc, 0, v5
	v_lshrrev_b32_e32 v8, 8, v6
	v_bfe_u32 v9, v6, 20, 11
	v_cndmask_b32_e64 v5, 0, 1, vcc
	v_sub_u32_e32 v10, 0x3f1, v9
	v_and_or_b32 v5, v8, s11, v5
	v_add_u32_e32 v9, 0xfffffc10, v9
	v_med3_i32 v8, v10, 0, 13
	v_or_b32_e32 v10, 0x1000, v5
	v_cmp_ne_u32_e32 vcc, 0, v5
	v_lshl_or_b32 v11, v9, 12, v5
	v_cndmask_b32_e32 v5, v1, v7, vcc
	v_lshrrev_b32_e32 v7, v8, v10
	v_lshlrev_b32_e32 v8, v8, v7
	v_cmp_ne_u32_e32 vcc, v8, v10
	v_cndmask_b32_e64 v8, 0, 1, vcc
	v_or_b32_e32 v7, v7, v8
	v_cmp_gt_i32_e32 vcc, 1, v9
	v_cndmask_b32_e32 v7, v11, v7, vcc
	v_and_b32_e32 v8, 7, v7
	v_cmp_lt_i32_e32 vcc, 5, v8
	v_cndmask_b32_e64 v10, 0, 1, vcc
	v_cmp_eq_u32_e32 vcc, 3, v8
	v_cndmask_b32_e64 v8, 0, 1, vcc
	v_lshrrev_b32_e32 v7, 2, v7
	v_or_b32_e32 v8, v8, v10
	v_add_u32_e32 v7, v7, v8
	v_cmp_gt_i32_e32 vcc, 31, v9
	v_cndmask_b32_e32 v1, v1, v7, vcc
	v_cmp_eq_u32_e32 vcc, s16, v9
	v_lshrrev_b32_e32 v6, 16, v6
	v_cndmask_b32_e32 v1, v1, v5, vcc
	v_and_or_b32 v5, v6, s17, v1
	s_mov_b64 s[10:11], 0
	s_branch .LBB183_1304
.LBB183_1300:
                                        ; implicit-def: $vgpr5
	s_branch .LBB183_1321
.LBB183_1301:
                                        ; implicit-def: $vgpr5
	s_branch .LBB183_1310
.LBB183_1302:
	s_mov_b64 s[10:11], -1
                                        ; implicit-def: $vgpr5
	s_branch .LBB183_1307
.LBB183_1303:
	s_mov_b64 s[10:11], -1
                                        ; implicit-def: $vgpr5
.LBB183_1304:
	s_andn2_b64 vcc, exec, s[10:11]
	s_cbranch_vccnz .LBB183_1306
; %bb.1305:
	s_waitcnt vmcnt(0)
	global_load_dword v1, v[3:4], off
	s_waitcnt vmcnt(0)
	v_cvt_f16_f32_e32 v5, v1
.LBB183_1306:
	s_mov_b64 s[10:11], 0
.LBB183_1307:
	s_andn2_b64 vcc, exec, s[10:11]
	s_cbranch_vccnz .LBB183_1309
; %bb.1308:
	s_waitcnt vmcnt(0)
	global_load_dword v5, v[3:4], off
.LBB183_1309:
	s_cbranch_execnz .LBB183_1320
.LBB183_1310:
	s_sext_i32_i16 s10, s14
	s_cmp_lt_i32 s10, 6
	s_cbranch_scc1 .LBB183_1313
; %bb.1311:
	s_cmp_gt_i32 s10, 6
	s_cbranch_scc0 .LBB183_1314
; %bb.1312:
	s_waitcnt vmcnt(0)
	global_load_dwordx2 v[5:6], v[3:4], off
	s_movk_i32 s10, 0x1ff
	s_movk_i32 s11, 0xffe
	v_mov_b32_e32 v1, 0x7c00
	v_mov_b32_e32 v7, 0x7e00
	s_movk_i32 s16, 0x40f
	s_mov_b32 s17, 0x8000
	s_waitcnt vmcnt(0)
	v_and_or_b32 v5, v6, s10, v5
	v_cmp_ne_u32_e32 vcc, 0, v5
	v_lshrrev_b32_e32 v8, 8, v6
	v_bfe_u32 v9, v6, 20, 11
	v_cndmask_b32_e64 v5, 0, 1, vcc
	v_sub_u32_e32 v10, 0x3f1, v9
	v_and_or_b32 v5, v8, s11, v5
	v_add_u32_e32 v9, 0xfffffc10, v9
	v_med3_i32 v8, v10, 0, 13
	v_or_b32_e32 v10, 0x1000, v5
	v_cmp_ne_u32_e32 vcc, 0, v5
	v_lshl_or_b32 v11, v9, 12, v5
	v_cndmask_b32_e32 v5, v1, v7, vcc
	v_lshrrev_b32_e32 v7, v8, v10
	v_lshlrev_b32_e32 v8, v8, v7
	v_cmp_ne_u32_e32 vcc, v8, v10
	v_cndmask_b32_e64 v8, 0, 1, vcc
	v_or_b32_e32 v7, v7, v8
	v_cmp_gt_i32_e32 vcc, 1, v9
	v_cndmask_b32_e32 v7, v11, v7, vcc
	v_and_b32_e32 v8, 7, v7
	v_cmp_lt_i32_e32 vcc, 5, v8
	v_cndmask_b32_e64 v10, 0, 1, vcc
	v_cmp_eq_u32_e32 vcc, 3, v8
	v_cndmask_b32_e64 v8, 0, 1, vcc
	v_lshrrev_b32_e32 v7, 2, v7
	v_or_b32_e32 v8, v8, v10
	v_add_u32_e32 v7, v7, v8
	v_cmp_gt_i32_e32 vcc, 31, v9
	v_cndmask_b32_e32 v1, v1, v7, vcc
	v_cmp_eq_u32_e32 vcc, s16, v9
	v_lshrrev_b32_e32 v6, 16, v6
	v_cndmask_b32_e32 v1, v1, v5, vcc
	v_and_or_b32 v5, v6, s17, v1
	s_mov_b64 s[10:11], 0
	s_branch .LBB183_1315
.LBB183_1313:
	s_mov_b64 s[10:11], -1
                                        ; implicit-def: $vgpr5
	s_branch .LBB183_1318
.LBB183_1314:
	s_mov_b64 s[10:11], -1
                                        ; implicit-def: $vgpr5
.LBB183_1315:
	s_andn2_b64 vcc, exec, s[10:11]
	s_cbranch_vccnz .LBB183_1317
; %bb.1316:
	s_waitcnt vmcnt(0)
	global_load_dword v1, v[3:4], off
	s_waitcnt vmcnt(0)
	v_cvt_f16_f32_e32 v5, v1
.LBB183_1317:
	s_mov_b64 s[10:11], 0
.LBB183_1318:
	s_andn2_b64 vcc, exec, s[10:11]
	s_cbranch_vccnz .LBB183_1320
; %bb.1319:
	s_waitcnt vmcnt(0)
	global_load_ushort v5, v[3:4], off
.LBB183_1320:
	s_cbranch_execnz .LBB183_1339
.LBB183_1321:
	s_sext_i32_i16 s10, s14
	s_cmp_lt_i32 s10, 2
	s_cbranch_scc1 .LBB183_1325
; %bb.1322:
	s_cmp_lt_i32 s10, 3
	s_cbranch_scc1 .LBB183_1326
; %bb.1323:
	s_cmp_gt_i32 s10, 3
	s_cbranch_scc0 .LBB183_1327
; %bb.1324:
	s_waitcnt vmcnt(0)
	global_load_dwordx2 v[5:6], v[3:4], off
	s_mov_b64 s[10:11], 0
	s_waitcnt vmcnt(0)
	v_xor_b32_e32 v7, v5, v6
	v_ffbh_i32_e32 v1, v6
	v_ashrrev_i32_e32 v7, 31, v7
	v_add_u32_e32 v1, -1, v1
	v_add_u32_e32 v7, 32, v7
	v_min_u32_e32 v1, v1, v7
	v_lshlrev_b64 v[5:6], v1, v[5:6]
	v_sub_u32_e32 v1, 32, v1
	v_min_u32_e32 v5, 1, v5
	v_or_b32_e32 v5, v6, v5
	v_cvt_f32_i32_e32 v5, v5
	v_ldexp_f32 v1, v5, v1
	v_cvt_f16_f32_e32 v5, v1
	s_branch .LBB183_1328
.LBB183_1325:
                                        ; implicit-def: $vgpr5
	s_branch .LBB183_1334
.LBB183_1326:
	s_mov_b64 s[10:11], -1
                                        ; implicit-def: $vgpr5
	s_branch .LBB183_1331
.LBB183_1327:
	s_mov_b64 s[10:11], -1
                                        ; implicit-def: $vgpr5
.LBB183_1328:
	s_andn2_b64 vcc, exec, s[10:11]
	s_cbranch_vccnz .LBB183_1330
; %bb.1329:
	s_waitcnt vmcnt(0)
	global_load_dword v1, v[3:4], off
	s_waitcnt vmcnt(0)
	v_cvt_f32_i32_e32 v1, v1
	v_cvt_f16_f32_e32 v5, v1
.LBB183_1330:
	s_mov_b64 s[10:11], 0
.LBB183_1331:
	s_andn2_b64 vcc, exec, s[10:11]
	s_cbranch_vccnz .LBB183_1333
; %bb.1332:
	s_waitcnt vmcnt(0)
	global_load_ushort v1, v[3:4], off
	s_waitcnt vmcnt(0)
	v_cvt_f16_i16_e32 v5, v1
.LBB183_1333:
	s_cbranch_execnz .LBB183_1339
.LBB183_1334:
	s_sext_i32_i16 s10, s14
	s_cmp_gt_i32 s10, 0
	s_cbranch_scc0 .LBB183_1336
; %bb.1335:
	s_waitcnt vmcnt(0)
	global_load_sbyte v1, v[3:4], off
	s_mov_b64 s[10:11], 0
	s_waitcnt vmcnt(0)
	v_cvt_f16_i16_e32 v5, v1
	s_branch .LBB183_1337
.LBB183_1336:
	s_mov_b64 s[10:11], -1
                                        ; implicit-def: $vgpr5
.LBB183_1337:
	s_andn2_b64 vcc, exec, s[10:11]
	s_cbranch_vccnz .LBB183_1339
; %bb.1338:
	s_waitcnt vmcnt(0)
	global_load_ubyte v1, v[3:4], off
	s_waitcnt vmcnt(0)
	v_cvt_f16_u16_e32 v5, v1
.LBB183_1339:
	s_or_b64 s[54:55], s[54:55], exec
.LBB183_1340:
	s_or_b64 exec, exec, s[6:7]
	s_mov_b64 s[20:21], 0
	s_mov_b64 s[18:19], 0
	;; [unrolled: 1-line block ×3, first 2 shown]
                                        ; implicit-def: $sgpr14
                                        ; implicit-def: $vgpr3_vgpr4
                                        ; implicit-def: $vgpr6
	s_and_saveexec_b64 s[6:7], s[54:55]
	s_cbranch_execz .LBB183_1348
; %bb.1341:
	v_mov_b32_e32 v1, s13
	s_and_b32 s14, s73, 0xff
	s_waitcnt vmcnt(0)
	v_add_co_u32_e32 v3, vcc, s12, v2
	s_cmp_lt_i32 s14, 11
	v_addc_co_u32_e32 v4, vcc, 0, v1, vcc
	s_cbranch_scc1 .LBB183_1351
; %bb.1342:
	s_and_b32 s22, 0xffff, s14
	s_cmp_gt_i32 s22, 25
	s_mov_b64 s[12:13], 0
	s_cbranch_scc0 .LBB183_1352
; %bb.1343:
	s_cmp_gt_i32 s22, 28
	s_cbranch_scc0 .LBB183_1353
; %bb.1344:
	s_cmp_gt_i32 s22, 43
	;; [unrolled: 3-line block ×3, first 2 shown]
	s_cbranch_scc0 .LBB183_1355
; %bb.1346:
	s_cmp_eq_u32 s22, 46
	s_cbranch_scc0 .LBB183_1356
; %bb.1347:
	global_load_dword v1, v[3:4], off
	s_mov_b64 s[10:11], 0
	s_mov_b64 s[16:17], -1
	s_waitcnt vmcnt(0)
	v_lshlrev_b32_e32 v1, 16, v1
	v_cvt_f16_f32_e32 v6, v1
	s_branch .LBB183_1358
.LBB183_1348:
	s_or_b64 exec, exec, s[6:7]
	s_and_saveexec_b64 s[6:7], s[44:45]
	s_cbranch_execnz .LBB183_1421
.LBB183_1349:
	s_or_b64 exec, exec, s[6:7]
	s_and_saveexec_b64 s[6:7], s[20:21]
	s_xor_b64 s[6:7], exec, s[6:7]
	s_cbranch_execz .LBB183_1422
.LBB183_1350:
	s_waitcnt vmcnt(0)
	global_load_ubyte v1, v[3:4], off
	v_mov_b32_e32 v2, 0x3c00
	s_or_b64 s[16:17], s[16:17], exec
	s_waitcnt vmcnt(0)
	v_cmp_ne_u16_e32 vcc, 0, v1
	v_cndmask_b32_e32 v6, 0, v2, vcc
	s_or_b64 exec, exec, s[6:7]
	s_and_saveexec_b64 s[6:7], s[18:19]
	s_cbranch_execz .LBB183_1468
	s_branch .LBB183_1423
.LBB183_1351:
	s_mov_b64 s[18:19], -1
                                        ; implicit-def: $vgpr6
	s_mov_b64 s[12:13], 0
	s_mov_b64 s[10:11], s[44:45]
	s_branch .LBB183_1420
.LBB183_1352:
	s_mov_b64 s[10:11], s[44:45]
                                        ; implicit-def: $vgpr6
	s_cbranch_execnz .LBB183_1387
	s_branch .LBB183_1419
.LBB183_1353:
	s_mov_b64 s[18:19], -1
	s_mov_b64 s[10:11], s[44:45]
                                        ; implicit-def: $vgpr6
	s_branch .LBB183_1368
.LBB183_1354:
	s_mov_b64 s[18:19], -1
	s_mov_b64 s[10:11], s[44:45]
                                        ; implicit-def: $vgpr6
	s_branch .LBB183_1363
.LBB183_1355:
	s_mov_b64 s[18:19], -1
	s_mov_b64 s[10:11], s[44:45]
	s_branch .LBB183_1357
.LBB183_1356:
	s_mov_b64 s[10:11], -1
.LBB183_1357:
                                        ; implicit-def: $vgpr6
.LBB183_1358:
	s_and_b64 vcc, exec, s[18:19]
	s_cbranch_vccz .LBB183_1362
; %bb.1359:
	s_cmp_eq_u32 s22, 44
	s_cbranch_scc0 .LBB183_1361
; %bb.1360:
	global_load_ubyte v1, v[3:4], off
	s_movk_i32 s16, 0xff
	v_mov_b32_e32 v6, 0x7e00
	s_mov_b64 s[10:11], 0
	s_waitcnt vmcnt(0)
	v_lshlrev_b32_e32 v2, 23, v1
	v_cvt_f16_f32_e32 v2, v2
	v_cmp_ne_u32_e32 vcc, s16, v1
	s_mov_b64 s[16:17], -1
	v_cndmask_b32_e32 v2, v6, v2, vcc
	v_cmp_ne_u32_e32 vcc, 0, v1
	v_cndmask_b32_e32 v6, 0, v2, vcc
	s_branch .LBB183_1362
.LBB183_1361:
	s_mov_b64 s[10:11], -1
                                        ; implicit-def: $vgpr6
.LBB183_1362:
	s_mov_b64 s[18:19], 0
.LBB183_1363:
	s_and_b64 vcc, exec, s[18:19]
	s_cbranch_vccz .LBB183_1367
; %bb.1364:
	s_cmp_eq_u32 s22, 29
	s_cbranch_scc0 .LBB183_1366
; %bb.1365:
	global_load_dwordx2 v[1:2], v[3:4], off
	s_mov_b64 s[10:11], 0
	s_mov_b64 s[16:17], -1
	s_mov_b64 s[18:19], 0
	s_waitcnt vmcnt(0)
	v_ffbh_u32_e32 v6, v2
	v_min_u32_e32 v6, 32, v6
	v_lshlrev_b64 v[1:2], v6, v[1:2]
	v_min_u32_e32 v1, 1, v1
	v_or_b32_e32 v1, v2, v1
	v_cvt_f32_u32_e32 v1, v1
	v_sub_u32_e32 v2, 32, v6
	v_ldexp_f32 v1, v1, v2
	v_cvt_f16_f32_e32 v6, v1
	s_branch .LBB183_1368
.LBB183_1366:
	s_mov_b64 s[10:11], -1
                                        ; implicit-def: $vgpr6
.LBB183_1367:
	s_mov_b64 s[18:19], 0
.LBB183_1368:
	s_and_b64 vcc, exec, s[18:19]
	s_cbranch_vccz .LBB183_1386
; %bb.1369:
	s_cmp_lt_i32 s22, 27
	s_cbranch_scc1 .LBB183_1372
; %bb.1370:
	s_cmp_gt_i32 s22, 27
	s_cbranch_scc0 .LBB183_1373
; %bb.1371:
	global_load_dword v1, v[3:4], off
	s_mov_b64 s[16:17], 0
	s_waitcnt vmcnt(0)
	v_cvt_f32_u32_e32 v1, v1
	v_cvt_f16_f32_e32 v6, v1
	s_branch .LBB183_1374
.LBB183_1372:
	s_mov_b64 s[16:17], -1
                                        ; implicit-def: $vgpr6
	s_branch .LBB183_1377
.LBB183_1373:
	s_mov_b64 s[16:17], -1
                                        ; implicit-def: $vgpr6
.LBB183_1374:
	s_andn2_b64 vcc, exec, s[16:17]
	s_cbranch_vccnz .LBB183_1376
; %bb.1375:
	global_load_ushort v1, v[3:4], off
	s_waitcnt vmcnt(0)
	v_cvt_f16_u16_e32 v6, v1
.LBB183_1376:
	s_mov_b64 s[16:17], 0
.LBB183_1377:
	s_andn2_b64 vcc, exec, s[16:17]
	s_cbranch_vccnz .LBB183_1385
; %bb.1378:
	global_load_ubyte v1, v[3:4], off
	s_movk_i32 s16, 0x7f
	s_waitcnt vmcnt(0)
	v_cmp_lt_i16_e32 vcc, s16, v1
	s_mov_b64 s[16:17], 0
	s_and_saveexec_b64 s[18:19], vcc
	s_xor_b64 s[18:19], exec, s[18:19]
	s_cbranch_execz .LBB183_1398
; %bb.1379:
	s_movk_i32 s16, 0x80
	v_cmp_eq_u16_e32 vcc, s16, v1
	s_mov_b64 s[16:17], -1
	s_and_saveexec_b64 s[20:21], vcc
; %bb.1380:
	s_xor_b64 s[16:17], exec, -1
; %bb.1381:
	s_or_b64 exec, exec, s[20:21]
	s_and_b64 s[16:17], s[16:17], exec
	s_or_saveexec_b64 s[18:19], s[18:19]
	v_mov_b32_e32 v6, 0x7e00
	s_xor_b64 exec, exec, s[18:19]
	s_cbranch_execnz .LBB183_1399
.LBB183_1382:
	s_or_b64 exec, exec, s[18:19]
	s_and_saveexec_b64 s[18:19], s[16:17]
	s_cbranch_execz .LBB183_1384
.LBB183_1383:
	v_lshlrev_b32_e32 v2, 24, v1
	v_and_b32_e32 v1, 0xffff, v1
	v_and_b32_e32 v6, 7, v1
	v_ffbh_u32_e32 v8, v6
	v_min_u32_e32 v8, 32, v8
	v_subrev_u32_e32 v9, 28, v8
	v_bfe_u32 v7, v1, 3, 4
	v_lshlrev_b32_e32 v1, v9, v1
	v_sub_u32_e32 v8, 29, v8
	v_and_b32_e32 v1, 7, v1
	v_cmp_eq_u32_e32 vcc, 0, v7
	v_cndmask_b32_e32 v7, v7, v8, vcc
	v_cndmask_b32_e32 v1, v6, v1, vcc
	v_mov_b32_e32 v6, 0x3b800000
	v_lshlrev_b32_e32 v1, 20, v1
	v_and_b32_e32 v2, 0x80000000, v2
	v_lshl_add_u32 v6, v7, 23, v6
	v_or3_b32 v1, v2, v6, v1
	v_cvt_f16_f32_e32 v6, v1
.LBB183_1384:
	s_or_b64 exec, exec, s[18:19]
.LBB183_1385:
	s_mov_b64 s[16:17], -1
.LBB183_1386:
	s_branch .LBB183_1419
.LBB183_1387:
	s_cmp_gt_i32 s22, 22
	s_cbranch_scc0 .LBB183_1397
; %bb.1388:
	s_cmp_lt_i32 s22, 24
	s_cbranch_scc1 .LBB183_1400
; %bb.1389:
	s_cmp_gt_i32 s22, 24
	s_cbranch_scc0 .LBB183_1401
; %bb.1390:
	global_load_ubyte v1, v[3:4], off
	s_movk_i32 s12, 0x7f
	s_waitcnt vmcnt(0)
	v_cmp_lt_i16_e32 vcc, s12, v1
	s_mov_b64 s[12:13], 0
	s_and_saveexec_b64 s[16:17], vcc
	s_xor_b64 s[16:17], exec, s[16:17]
	s_cbranch_execz .LBB183_1413
; %bb.1391:
	s_movk_i32 s12, 0x80
	v_cmp_eq_u16_e32 vcc, s12, v1
	s_mov_b64 s[12:13], -1
	s_and_saveexec_b64 s[18:19], vcc
; %bb.1392:
	s_xor_b64 s[12:13], exec, -1
; %bb.1393:
	s_or_b64 exec, exec, s[18:19]
	s_and_b64 s[12:13], s[12:13], exec
	s_or_saveexec_b64 s[16:17], s[16:17]
	v_mov_b32_e32 v6, 0x7e00
	s_xor_b64 exec, exec, s[16:17]
	s_cbranch_execnz .LBB183_1414
.LBB183_1394:
	s_or_b64 exec, exec, s[16:17]
	s_and_saveexec_b64 s[16:17], s[12:13]
	s_cbranch_execz .LBB183_1396
.LBB183_1395:
	v_lshlrev_b32_e32 v2, 24, v1
	v_and_b32_e32 v1, 0xffff, v1
	v_and_b32_e32 v6, 3, v1
	v_ffbh_u32_e32 v8, v6
	v_min_u32_e32 v8, 32, v8
	v_subrev_u32_e32 v9, 29, v8
	v_bfe_u32 v7, v1, 2, 5
	v_lshlrev_b32_e32 v1, v9, v1
	v_sub_u32_e32 v8, 30, v8
	v_and_b32_e32 v1, 3, v1
	v_cmp_eq_u32_e32 vcc, 0, v7
	v_cndmask_b32_e32 v7, v7, v8, vcc
	v_cndmask_b32_e32 v1, v6, v1, vcc
	v_mov_b32_e32 v6, 0x37800000
	v_lshlrev_b32_e32 v1, 21, v1
	v_and_b32_e32 v2, 0x80000000, v2
	v_lshl_add_u32 v6, v7, 23, v6
	v_or3_b32 v1, v2, v6, v1
	v_cvt_f16_f32_e32 v6, v1
.LBB183_1396:
	s_or_b64 exec, exec, s[16:17]
	s_mov_b64 s[12:13], 0
	s_branch .LBB183_1402
.LBB183_1397:
	s_mov_b64 s[12:13], -1
                                        ; implicit-def: $vgpr6
	s_branch .LBB183_1408
.LBB183_1398:
	s_or_saveexec_b64 s[18:19], s[18:19]
	v_mov_b32_e32 v6, 0x7e00
	s_xor_b64 exec, exec, s[18:19]
	s_cbranch_execz .LBB183_1382
.LBB183_1399:
	v_cmp_ne_u16_e32 vcc, 0, v1
	s_andn2_b64 s[16:17], s[16:17], exec
	s_and_b64 s[20:21], vcc, exec
	s_or_b64 s[16:17], s[16:17], s[20:21]
	v_mov_b32_e32 v6, v1
	s_or_b64 exec, exec, s[18:19]
	s_and_saveexec_b64 s[18:19], s[16:17]
	s_cbranch_execnz .LBB183_1383
	s_branch .LBB183_1384
.LBB183_1400:
	s_mov_b64 s[12:13], -1
                                        ; implicit-def: $vgpr6
	s_branch .LBB183_1405
.LBB183_1401:
	s_mov_b64 s[12:13], -1
                                        ; implicit-def: $vgpr6
.LBB183_1402:
	s_and_b64 vcc, exec, s[12:13]
	s_cbranch_vccz .LBB183_1404
; %bb.1403:
	global_load_ubyte v1, v[3:4], off
	s_mov_b32 s12, 0x7f800000
	s_waitcnt vmcnt(0)
	v_lshlrev_b32_e32 v1, 24, v1
	v_and_b32_e32 v2, 0x7f000000, v1
	v_ffbh_u32_e32 v6, v2
	v_min_u32_e32 v6, 32, v6
	v_sub_u32_e64 v6, v6, 4 clamp
	v_lshlrev_b32_e32 v8, v6, v2
	v_lshlrev_b32_e32 v6, 23, v6
	v_lshrrev_b32_e32 v8, 4, v8
	v_add_u32_e32 v7, 0x1000000, v2
	v_sub_u32_e32 v6, v8, v6
	v_ashrrev_i32_e32 v7, 8, v7
	v_add_u32_e32 v6, 0x3c000000, v6
	v_and_or_b32 v6, v7, s12, v6
	v_cmp_ne_u32_e32 vcc, 0, v2
	v_cndmask_b32_e32 v2, 0, v6, vcc
	s_brev_b32 s12, 1
	v_and_or_b32 v1, v1, s12, v2
	v_cvt_f16_f32_e32 v6, v1
.LBB183_1404:
	s_mov_b64 s[12:13], 0
.LBB183_1405:
	s_andn2_b64 vcc, exec, s[12:13]
	s_cbranch_vccnz .LBB183_1407
; %bb.1406:
	global_load_ubyte v1, v[3:4], off
	s_movk_i32 s12, 0x7f00
	s_brev_b32 s13, 16
	s_waitcnt vmcnt(0)
	v_lshlrev_b16_e32 v2, 8, v1
	v_lshlrev_b32_e32 v1, 25, v1
	v_lshrrev_b32_e32 v6, 4, v1
	v_and_or_b32 v7, v2, s12, 0.5
	v_or_b32_e32 v6, 0x70000000, v6
	v_add_f32_e32 v7, -0.5, v7
	v_mul_f32_e32 v6, 0x7800000, v6
	v_cmp_gt_u32_e32 vcc, s13, v1
	v_bfe_i32 v2, v2, 0, 16
	v_cndmask_b32_e32 v1, v6, v7, vcc
	s_brev_b32 s12, 1
	v_and_or_b32 v1, v2, s12, v1
	v_cvt_f16_f32_e32 v6, v1
.LBB183_1407:
	s_mov_b64 s[12:13], 0
	s_mov_b64 s[16:17], -1
.LBB183_1408:
	s_andn2_b64 vcc, exec, s[12:13]
	s_mov_b64 s[12:13], 0
	s_cbranch_vccnz .LBB183_1419
; %bb.1409:
	s_cmp_gt_i32 s22, 14
	s_cbranch_scc0 .LBB183_1412
; %bb.1410:
	s_cmp_eq_u32 s22, 15
	s_cbranch_scc0 .LBB183_1415
; %bb.1411:
	global_load_ushort v1, v[3:4], off
	s_mov_b64 s[10:11], 0
	s_mov_b64 s[16:17], -1
	s_waitcnt vmcnt(0)
	v_lshlrev_b32_e32 v1, 16, v1
	v_cvt_f16_f32_e32 v6, v1
	s_branch .LBB183_1416
.LBB183_1412:
	s_mov_b64 s[18:19], -1
                                        ; implicit-def: $vgpr6
	s_branch .LBB183_1417
.LBB183_1413:
	s_or_saveexec_b64 s[16:17], s[16:17]
	v_mov_b32_e32 v6, 0x7e00
	s_xor_b64 exec, exec, s[16:17]
	s_cbranch_execz .LBB183_1394
.LBB183_1414:
	v_cmp_ne_u16_e32 vcc, 0, v1
	s_andn2_b64 s[12:13], s[12:13], exec
	s_and_b64 s[18:19], vcc, exec
	s_or_b64 s[12:13], s[12:13], s[18:19]
	v_mov_b32_e32 v6, v1
	s_or_b64 exec, exec, s[16:17]
	s_and_saveexec_b64 s[16:17], s[12:13]
	s_cbranch_execnz .LBB183_1395
	s_branch .LBB183_1396
.LBB183_1415:
	s_mov_b64 s[10:11], -1
                                        ; implicit-def: $vgpr6
.LBB183_1416:
	s_mov_b64 s[18:19], 0
.LBB183_1417:
	s_and_b64 vcc, exec, s[18:19]
	s_cbranch_vccz .LBB183_1419
; %bb.1418:
	s_cmp_lg_u32 s22, 11
	s_cselect_b64 s[18:19], -1, 0
	s_andn2_b64 s[10:11], s[10:11], exec
	s_and_b64 s[18:19], s[18:19], exec
	s_mov_b64 s[12:13], -1
	s_or_b64 s[10:11], s[10:11], s[18:19]
.LBB183_1419:
	s_mov_b64 s[18:19], 0
.LBB183_1420:
	s_and_b64 s[20:21], s[12:13], exec
	s_andn2_b64 s[12:13], s[44:45], exec
	s_and_b64 s[10:11], s[10:11], exec
	s_and_b64 s[16:17], s[16:17], exec
	;; [unrolled: 1-line block ×3, first 2 shown]
	s_or_b64 s[44:45], s[12:13], s[10:11]
	s_or_b64 exec, exec, s[6:7]
	s_and_saveexec_b64 s[6:7], s[44:45]
	s_cbranch_execz .LBB183_1349
.LBB183_1421:
	s_or_b64 s[2:3], s[2:3], exec
	s_andn2_b64 s[20:21], s[20:21], exec
	s_trap 2
	s_or_b64 exec, exec, s[6:7]
	s_and_saveexec_b64 s[6:7], s[20:21]
	s_xor_b64 s[6:7], exec, s[6:7]
	s_cbranch_execnz .LBB183_1350
.LBB183_1422:
	s_or_b64 exec, exec, s[6:7]
	s_and_saveexec_b64 s[6:7], s[18:19]
	s_cbranch_execz .LBB183_1468
.LBB183_1423:
	s_sext_i32_i16 s10, s14
	s_cmp_lt_i32 s10, 5
	s_cbranch_scc1 .LBB183_1428
; %bb.1424:
	s_cmp_lt_i32 s10, 8
	s_cbranch_scc1 .LBB183_1429
; %bb.1425:
	;; [unrolled: 3-line block ×3, first 2 shown]
	s_cmp_gt_i32 s10, 9
	s_cbranch_scc0 .LBB183_1431
; %bb.1427:
	s_waitcnt vmcnt(0)
	global_load_dwordx2 v[1:2], v[3:4], off
	s_movk_i32 s10, 0x1ff
	s_movk_i32 s11, 0xffe
	v_mov_b32_e32 v6, 0x7c00
	v_mov_b32_e32 v7, 0x7e00
	s_movk_i32 s12, 0x40f
	s_mov_b32 s13, 0x8000
	s_waitcnt vmcnt(0)
	v_and_or_b32 v1, v2, s10, v1
	v_cmp_ne_u32_e32 vcc, 0, v1
	v_lshrrev_b32_e32 v8, 8, v2
	v_bfe_u32 v9, v2, 20, 11
	v_cndmask_b32_e64 v1, 0, 1, vcc
	v_sub_u32_e32 v10, 0x3f1, v9
	v_and_or_b32 v1, v8, s11, v1
	v_add_u32_e32 v9, 0xfffffc10, v9
	v_med3_i32 v8, v10, 0, 13
	v_or_b32_e32 v10, 0x1000, v1
	v_cmp_ne_u32_e32 vcc, 0, v1
	v_lshl_or_b32 v11, v9, 12, v1
	v_cndmask_b32_e32 v1, v6, v7, vcc
	v_lshrrev_b32_e32 v7, v8, v10
	v_lshlrev_b32_e32 v8, v8, v7
	v_cmp_ne_u32_e32 vcc, v8, v10
	v_cndmask_b32_e64 v8, 0, 1, vcc
	v_or_b32_e32 v7, v7, v8
	v_cmp_gt_i32_e32 vcc, 1, v9
	v_cndmask_b32_e32 v7, v11, v7, vcc
	v_and_b32_e32 v8, 7, v7
	v_cmp_lt_i32_e32 vcc, 5, v8
	v_cndmask_b32_e64 v10, 0, 1, vcc
	v_cmp_eq_u32_e32 vcc, 3, v8
	v_cndmask_b32_e64 v8, 0, 1, vcc
	v_lshrrev_b32_e32 v7, 2, v7
	v_or_b32_e32 v8, v8, v10
	v_add_u32_e32 v7, v7, v8
	v_cmp_gt_i32_e32 vcc, 31, v9
	v_cndmask_b32_e32 v6, v6, v7, vcc
	v_cmp_eq_u32_e32 vcc, s12, v9
	v_lshrrev_b32_e32 v2, 16, v2
	v_cndmask_b32_e32 v1, v6, v1, vcc
	v_and_or_b32 v6, v2, s13, v1
	s_mov_b64 s[10:11], 0
	s_branch .LBB183_1432
.LBB183_1428:
                                        ; implicit-def: $vgpr6
	s_branch .LBB183_1449
.LBB183_1429:
                                        ; implicit-def: $vgpr6
	s_branch .LBB183_1438
.LBB183_1430:
	s_mov_b64 s[10:11], -1
                                        ; implicit-def: $vgpr6
	s_branch .LBB183_1435
.LBB183_1431:
	s_mov_b64 s[10:11], -1
                                        ; implicit-def: $vgpr6
.LBB183_1432:
	s_andn2_b64 vcc, exec, s[10:11]
	s_cbranch_vccnz .LBB183_1434
; %bb.1433:
	s_waitcnt vmcnt(0)
	global_load_dword v1, v[3:4], off
	s_waitcnt vmcnt(0)
	v_cvt_f16_f32_e32 v6, v1
.LBB183_1434:
	s_mov_b64 s[10:11], 0
.LBB183_1435:
	s_andn2_b64 vcc, exec, s[10:11]
	s_cbranch_vccnz .LBB183_1437
; %bb.1436:
	s_waitcnt vmcnt(0)
	global_load_dword v6, v[3:4], off
.LBB183_1437:
	s_cbranch_execnz .LBB183_1448
.LBB183_1438:
	s_sext_i32_i16 s10, s14
	s_cmp_lt_i32 s10, 6
	s_cbranch_scc1 .LBB183_1441
; %bb.1439:
	s_cmp_gt_i32 s10, 6
	s_cbranch_scc0 .LBB183_1442
; %bb.1440:
	s_waitcnt vmcnt(0)
	global_load_dwordx2 v[1:2], v[3:4], off
	s_movk_i32 s10, 0x1ff
	s_movk_i32 s11, 0xffe
	v_mov_b32_e32 v6, 0x7c00
	v_mov_b32_e32 v7, 0x7e00
	s_movk_i32 s12, 0x40f
	s_mov_b32 s13, 0x8000
	s_waitcnt vmcnt(0)
	v_and_or_b32 v1, v2, s10, v1
	v_cmp_ne_u32_e32 vcc, 0, v1
	v_lshrrev_b32_e32 v8, 8, v2
	v_bfe_u32 v9, v2, 20, 11
	v_cndmask_b32_e64 v1, 0, 1, vcc
	v_sub_u32_e32 v10, 0x3f1, v9
	v_and_or_b32 v1, v8, s11, v1
	v_add_u32_e32 v9, 0xfffffc10, v9
	v_med3_i32 v8, v10, 0, 13
	v_or_b32_e32 v10, 0x1000, v1
	v_cmp_ne_u32_e32 vcc, 0, v1
	v_lshl_or_b32 v11, v9, 12, v1
	v_cndmask_b32_e32 v1, v6, v7, vcc
	v_lshrrev_b32_e32 v7, v8, v10
	v_lshlrev_b32_e32 v8, v8, v7
	v_cmp_ne_u32_e32 vcc, v8, v10
	v_cndmask_b32_e64 v8, 0, 1, vcc
	v_or_b32_e32 v7, v7, v8
	v_cmp_gt_i32_e32 vcc, 1, v9
	v_cndmask_b32_e32 v7, v11, v7, vcc
	v_and_b32_e32 v8, 7, v7
	v_cmp_lt_i32_e32 vcc, 5, v8
	v_cndmask_b32_e64 v10, 0, 1, vcc
	v_cmp_eq_u32_e32 vcc, 3, v8
	v_cndmask_b32_e64 v8, 0, 1, vcc
	v_lshrrev_b32_e32 v7, 2, v7
	v_or_b32_e32 v8, v8, v10
	v_add_u32_e32 v7, v7, v8
	v_cmp_gt_i32_e32 vcc, 31, v9
	v_cndmask_b32_e32 v6, v6, v7, vcc
	v_cmp_eq_u32_e32 vcc, s12, v9
	v_lshrrev_b32_e32 v2, 16, v2
	v_cndmask_b32_e32 v1, v6, v1, vcc
	v_and_or_b32 v6, v2, s13, v1
	s_mov_b64 s[10:11], 0
	s_branch .LBB183_1443
.LBB183_1441:
	s_mov_b64 s[10:11], -1
                                        ; implicit-def: $vgpr6
	s_branch .LBB183_1446
.LBB183_1442:
	s_mov_b64 s[10:11], -1
                                        ; implicit-def: $vgpr6
.LBB183_1443:
	s_andn2_b64 vcc, exec, s[10:11]
	s_cbranch_vccnz .LBB183_1445
; %bb.1444:
	s_waitcnt vmcnt(0)
	global_load_dword v1, v[3:4], off
	s_waitcnt vmcnt(0)
	v_cvt_f16_f32_e32 v6, v1
.LBB183_1445:
	s_mov_b64 s[10:11], 0
.LBB183_1446:
	s_andn2_b64 vcc, exec, s[10:11]
	s_cbranch_vccnz .LBB183_1448
; %bb.1447:
	s_waitcnt vmcnt(0)
	global_load_ushort v6, v[3:4], off
.LBB183_1448:
	s_cbranch_execnz .LBB183_1467
.LBB183_1449:
	s_sext_i32_i16 s10, s14
	s_cmp_lt_i32 s10, 2
	s_cbranch_scc1 .LBB183_1453
; %bb.1450:
	s_cmp_lt_i32 s10, 3
	s_cbranch_scc1 .LBB183_1454
; %bb.1451:
	s_cmp_gt_i32 s10, 3
	s_cbranch_scc0 .LBB183_1455
; %bb.1452:
	s_waitcnt vmcnt(0)
	global_load_dwordx2 v[1:2], v[3:4], off
	s_mov_b64 s[10:11], 0
	s_waitcnt vmcnt(0)
	v_xor_b32_e32 v7, v1, v2
	v_ffbh_i32_e32 v6, v2
	v_ashrrev_i32_e32 v7, 31, v7
	v_add_u32_e32 v6, -1, v6
	v_add_u32_e32 v7, 32, v7
	v_min_u32_e32 v6, v6, v7
	v_lshlrev_b64 v[1:2], v6, v[1:2]
	v_min_u32_e32 v1, 1, v1
	v_or_b32_e32 v1, v2, v1
	v_cvt_f32_i32_e32 v1, v1
	v_sub_u32_e32 v2, 32, v6
	v_ldexp_f32 v1, v1, v2
	v_cvt_f16_f32_e32 v6, v1
	s_branch .LBB183_1456
.LBB183_1453:
                                        ; implicit-def: $vgpr6
	s_branch .LBB183_1462
.LBB183_1454:
	s_mov_b64 s[10:11], -1
                                        ; implicit-def: $vgpr6
	s_branch .LBB183_1459
.LBB183_1455:
	s_mov_b64 s[10:11], -1
                                        ; implicit-def: $vgpr6
.LBB183_1456:
	s_andn2_b64 vcc, exec, s[10:11]
	s_cbranch_vccnz .LBB183_1458
; %bb.1457:
	s_waitcnt vmcnt(0)
	global_load_dword v1, v[3:4], off
	s_waitcnt vmcnt(0)
	v_cvt_f32_i32_e32 v1, v1
	v_cvt_f16_f32_e32 v6, v1
.LBB183_1458:
	s_mov_b64 s[10:11], 0
.LBB183_1459:
	s_andn2_b64 vcc, exec, s[10:11]
	s_cbranch_vccnz .LBB183_1461
; %bb.1460:
	s_waitcnt vmcnt(0)
	global_load_ushort v1, v[3:4], off
	s_waitcnt vmcnt(0)
	v_cvt_f16_i16_e32 v6, v1
.LBB183_1461:
	s_cbranch_execnz .LBB183_1467
.LBB183_1462:
	s_sext_i32_i16 s10, s14
	s_cmp_gt_i32 s10, 0
	s_cbranch_scc0 .LBB183_1464
; %bb.1463:
	s_waitcnt vmcnt(0)
	global_load_sbyte v1, v[3:4], off
	s_mov_b64 s[10:11], 0
	s_waitcnt vmcnt(0)
	v_cvt_f16_i16_e32 v6, v1
	s_branch .LBB183_1465
.LBB183_1464:
	s_mov_b64 s[10:11], -1
                                        ; implicit-def: $vgpr6
.LBB183_1465:
	s_andn2_b64 vcc, exec, s[10:11]
	s_cbranch_vccnz .LBB183_1467
; %bb.1466:
	s_waitcnt vmcnt(0)
	global_load_ubyte v1, v[3:4], off
	s_waitcnt vmcnt(0)
	v_cvt_f16_u16_e32 v6, v1
.LBB183_1467:
	s_or_b64 s[16:17], s[16:17], exec
.LBB183_1468:
	s_or_b64 exec, exec, s[6:7]
	s_mov_b64 s[18:19], 0
	s_mov_b64 s[12:13], 0
                                        ; implicit-def: $sgpr6_sgpr7
                                        ; implicit-def: $sgpr20
                                        ; implicit-def: $vgpr1_vgpr2
	s_and_saveexec_b64 s[10:11], s[16:17]
	s_cbranch_execz .LBB183_1543
; %bb.1469:
	s_waitcnt vmcnt(0)
	v_cmp_eq_f16_e32 vcc, v5, v6
	v_cndmask_b32_e64 v1, 0, 1, vcc
	v_cmp_neq_f16_e32 vcc, v5, v6
	v_cndmask_b32_e64 v2, 0, 1, vcc
	v_cndmask_b32_e64 v1, v2, v1, s[0:1]
	v_and_b32_e32 v1, 1, v1
	v_cmp_eq_u32_e64 s[6:7], 1, v1
	v_mov_b32_e32 v2, s9
	s_and_b32 s20, s15, 0xff
	v_add_co_u32_e32 v1, vcc, s8, v0
	s_cmp_lt_i32 s20, 11
	v_addc_co_u32_e32 v2, vcc, 0, v2, vcc
	s_cbranch_scc1 .LBB183_1546
; %bb.1470:
	s_and_b32 s18, 0xffff, s20
	s_mov_b64 s[12:13], -1
	s_cmp_gt_i32 s18, 25
	s_mov_b64 s[0:1], s[42:43]
	s_cbranch_scc0 .LBB183_1503
; %bb.1471:
	s_mov_b64 s[8:9], -1
	s_cmp_gt_i32 s18, 28
	s_mov_b64 s[0:1], s[42:43]
	s_cbranch_scc0 .LBB183_1487
; %bb.1472:
	s_cmp_gt_i32 s18, 43
	s_mov_b64 s[0:1], s[42:43]
	s_cbranch_scc0 .LBB183_1483
; %bb.1473:
	;; [unrolled: 4-line block ×3, first 2 shown]
	s_cmp_eq_u32 s18, 46
	s_mov_b64 s[0:1], -1
	s_cbranch_scc0 .LBB183_1476
; %bb.1475:
	v_cndmask_b32_e64 v0, 0, 1.0, s[6:7]
	v_bfe_u32 v3, v0, 16, 1
	s_movk_i32 s0, 0x7fff
	v_add3_u32 v0, v0, v3, s0
	v_lshrrev_b32_e32 v0, 16, v0
	global_store_dword v[1:2], v0, off
	s_mov_b64 s[0:1], 0
.LBB183_1476:
	s_mov_b64 s[8:9], 0
.LBB183_1477:
	s_and_b64 vcc, exec, s[8:9]
	s_cbranch_vccz .LBB183_1482
; %bb.1478:
	s_cmp_eq_u32 s18, 44
	s_mov_b64 s[0:1], -1
	s_cbranch_scc0 .LBB183_1482
; %bb.1479:
	v_cndmask_b32_e64 v3, 0, 1.0, s[6:7]
	v_lshrrev_b32_e32 v0, 23, v3
	s_movk_i32 s0, 0xff
	v_cmp_ne_u32_e32 vcc, s0, v0
	v_mov_b32_e32 v4, 0xff
	s_and_saveexec_b64 s[8:9], vcc
; %bb.1480:
	s_mov_b32 s0, 0x3fffff
	v_and_b32_e32 v4, 0x400000, v3
	v_and_or_b32 v3, v3, s0, v0
	v_cmp_ne_u32_e32 vcc, 0, v4
	v_cmp_ne_u32_e64 s[0:1], 0, v3
	s_and_b64 s[0:1], vcc, s[0:1]
	v_cndmask_b32_e64 v3, 0, 1, s[0:1]
	v_add_u32_e32 v4, v0, v3
; %bb.1481:
	s_or_b64 exec, exec, s[8:9]
	s_mov_b64 s[0:1], 0
	global_store_byte v[1:2], v4, off
.LBB183_1482:
	s_mov_b64 s[8:9], 0
.LBB183_1483:
	s_and_b64 vcc, exec, s[8:9]
	s_cbranch_vccz .LBB183_1486
; %bb.1484:
	s_cmp_eq_u32 s18, 29
	s_mov_b64 s[0:1], -1
	s_cbranch_scc0 .LBB183_1486
; %bb.1485:
	s_mov_b32 s0, 0
	v_cndmask_b32_e64 v3, 0, 1, s[6:7]
	v_mov_b32_e32 v4, s0
	global_store_dwordx2 v[1:2], v[3:4], off
	s_mov_b64 s[0:1], 0
.LBB183_1486:
	s_mov_b64 s[8:9], 0
.LBB183_1487:
	s_and_b64 vcc, exec, s[8:9]
	s_cbranch_vccz .LBB183_1502
; %bb.1488:
	s_cmp_lt_i32 s18, 27
	s_mov_b64 s[8:9], -1
	s_cbranch_scc1 .LBB183_1494
; %bb.1489:
	s_cmp_gt_i32 s18, 27
	s_cbranch_scc0 .LBB183_1491
; %bb.1490:
	v_cndmask_b32_e64 v0, 0, 1, s[6:7]
	s_mov_b64 s[8:9], 0
	global_store_dword v[1:2], v0, off
.LBB183_1491:
	s_andn2_b64 vcc, exec, s[8:9]
	s_cbranch_vccnz .LBB183_1493
; %bb.1492:
	v_cndmask_b32_e64 v0, 0, 1, s[6:7]
	global_store_short v[1:2], v0, off
.LBB183_1493:
	s_mov_b64 s[8:9], 0
.LBB183_1494:
	s_andn2_b64 vcc, exec, s[8:9]
	s_cbranch_vccnz .LBB183_1502
; %bb.1495:
	v_cndmask_b32_e64 v3, 0, 1.0, s[6:7]
	s_mov_b32 s8, 0x43800000
	v_cmp_gt_u32_e32 vcc, s8, v3
	v_mov_b32_e32 v4, 0x80
	s_and_saveexec_b64 s[8:9], vcc
	s_cbranch_execz .LBB183_1501
; %bb.1496:
	s_mov_b32 s12, 0x3bffffff
	v_cmp_lt_u32_e32 vcc, s12, v3
	s_mov_b64 s[12:13], 0
                                        ; implicit-def: $vgpr0
	s_and_saveexec_b64 s[14:15], vcc
	s_xor_b64 s[14:15], exec, s[14:15]
	s_cbranch_execz .LBB183_1647
; %bb.1497:
	v_bfe_u32 v0, v3, 20, 1
	s_mov_b32 s16, 0x487ffff
	v_add3_u32 v0, v3, v0, s16
	s_mov_b64 s[12:13], exec
	v_lshrrev_b32_e32 v0, 20, v0
                                        ; implicit-def: $vgpr3
	s_andn2_saveexec_b64 s[14:15], s[14:15]
	s_cbranch_execnz .LBB183_1648
.LBB183_1498:
	s_or_b64 exec, exec, s[14:15]
	v_mov_b32_e32 v4, 0
	s_and_saveexec_b64 s[14:15], s[12:13]
.LBB183_1499:
	v_mov_b32_e32 v4, v0
.LBB183_1500:
	s_or_b64 exec, exec, s[14:15]
.LBB183_1501:
	s_or_b64 exec, exec, s[8:9]
	global_store_byte v[1:2], v4, off
.LBB183_1502:
	s_mov_b64 s[12:13], 0
.LBB183_1503:
	s_mov_b64 s[8:9], 0
	s_and_b64 vcc, exec, s[12:13]
	s_cbranch_vccz .LBB183_1547
; %bb.1504:
	s_cmp_gt_i32 s18, 22
	s_mov_b64 s[12:13], -1
	s_cbranch_scc0 .LBB183_1536
; %bb.1505:
	s_cmp_lt_i32 s18, 24
	s_cbranch_scc1 .LBB183_1525
; %bb.1506:
	s_cmp_gt_i32 s18, 24
	s_cbranch_scc0 .LBB183_1514
; %bb.1507:
	v_cndmask_b32_e64 v3, 0, 1.0, s[6:7]
	s_mov_b32 s12, 0x47800000
	v_cmp_gt_u32_e32 vcc, s12, v3
	v_mov_b32_e32 v4, 0x80
	s_and_saveexec_b64 s[12:13], vcc
	s_cbranch_execz .LBB183_1513
; %bb.1508:
	s_mov_b32 s14, 0x37ffffff
	v_cmp_lt_u32_e32 vcc, s14, v3
	s_mov_b64 s[14:15], 0
                                        ; implicit-def: $vgpr0
	s_and_saveexec_b64 s[16:17], vcc
	s_xor_b64 s[16:17], exec, s[16:17]
	s_cbranch_execz .LBB183_1772
; %bb.1509:
	v_bfe_u32 v0, v3, 21, 1
	s_mov_b32 s19, 0x88fffff
	v_add3_u32 v0, v3, v0, s19
	s_mov_b64 s[14:15], exec
	v_lshrrev_b32_e32 v0, 21, v0
                                        ; implicit-def: $vgpr3
	s_andn2_saveexec_b64 s[16:17], s[16:17]
	s_cbranch_execnz .LBB183_1773
.LBB183_1510:
	s_or_b64 exec, exec, s[16:17]
	v_mov_b32_e32 v4, 0
	s_and_saveexec_b64 s[16:17], s[14:15]
.LBB183_1511:
	v_mov_b32_e32 v4, v0
.LBB183_1512:
	s_or_b64 exec, exec, s[16:17]
.LBB183_1513:
	s_or_b64 exec, exec, s[12:13]
	s_mov_b64 s[12:13], 0
	global_store_byte v[1:2], v4, off
.LBB183_1514:
	s_and_b64 vcc, exec, s[12:13]
	s_cbranch_vccz .LBB183_1524
; %bb.1515:
	v_cndmask_b32_e64 v0, 0, 1.0, s[6:7]
	s_mov_b32 s12, 0x43f00000
	v_cmp_gt_u32_e32 vcc, s12, v0
                                        ; implicit-def: $vgpr3
	s_and_saveexec_b64 s[12:13], vcc
	s_xor_b64 s[12:13], exec, s[12:13]
	s_cbranch_execz .LBB183_1521
; %bb.1516:
	s_mov_b32 s14, 0x3c7fffff
	v_cmp_lt_u32_e32 vcc, s14, v0
                                        ; implicit-def: $vgpr3
	s_and_saveexec_b64 s[14:15], vcc
	s_xor_b64 s[14:15], exec, s[14:15]
; %bb.1517:
	v_bfe_u32 v3, v0, 20, 1
	s_mov_b32 s16, 0x407ffff
	v_add3_u32 v0, v0, v3, s16
	v_lshrrev_b32_e32 v3, 20, v0
	v_and_b32_e32 v0, 0xff00000, v0
	s_mov_b32 s16, 0x7f00000
	v_mov_b32_e32 v4, 0x7e
	v_cmp_ne_u32_e32 vcc, s16, v0
	v_cndmask_b32_e32 v3, v4, v3, vcc
                                        ; implicit-def: $vgpr0
; %bb.1518:
	s_andn2_saveexec_b64 s[14:15], s[14:15]
; %bb.1519:
	v_add_f32_e32 v3, 0x46800000, v0
; %bb.1520:
	s_or_b64 exec, exec, s[14:15]
                                        ; implicit-def: $vgpr0
.LBB183_1521:
	s_andn2_saveexec_b64 s[12:13], s[12:13]
; %bb.1522:
	s_mov_b32 s14, 0x7f800000
	v_mov_b32_e32 v3, 0x7e
	v_mov_b32_e32 v4, 0x7f
	v_cmp_lt_u32_e32 vcc, s14, v0
	v_cndmask_b32_e32 v3, v3, v4, vcc
; %bb.1523:
	s_or_b64 exec, exec, s[12:13]
	global_store_byte v[1:2], v3, off
.LBB183_1524:
	s_mov_b64 s[12:13], 0
.LBB183_1525:
	s_andn2_b64 vcc, exec, s[12:13]
	s_cbranch_vccnz .LBB183_1535
; %bb.1526:
	v_cndmask_b32_e64 v0, 0, 1.0, s[6:7]
	s_mov_b32 s12, 0x47800000
	v_cmp_gt_u32_e32 vcc, s12, v0
                                        ; implicit-def: $vgpr3
	s_and_saveexec_b64 s[12:13], vcc
	s_xor_b64 s[12:13], exec, s[12:13]
	s_cbranch_execz .LBB183_1532
; %bb.1527:
	s_mov_b32 s14, 0x387fffff
	v_cmp_lt_u32_e32 vcc, s14, v0
                                        ; implicit-def: $vgpr3
	s_and_saveexec_b64 s[14:15], vcc
	s_xor_b64 s[14:15], exec, s[14:15]
; %bb.1528:
	v_bfe_u32 v3, v0, 21, 1
	s_mov_b32 s16, 0x80fffff
	v_add3_u32 v0, v0, v3, s16
	v_lshrrev_b32_e32 v3, 21, v0
                                        ; implicit-def: $vgpr0
; %bb.1529:
	s_andn2_saveexec_b64 s[14:15], s[14:15]
; %bb.1530:
	v_add_f32_e32 v3, 0x43000000, v0
; %bb.1531:
	s_or_b64 exec, exec, s[14:15]
                                        ; implicit-def: $vgpr0
.LBB183_1532:
	s_andn2_saveexec_b64 s[12:13], s[12:13]
; %bb.1533:
	s_mov_b32 s14, 0x7f800000
	v_mov_b32_e32 v3, 0x7c
	v_mov_b32_e32 v4, 0x7f
	v_cmp_lt_u32_e32 vcc, s14, v0
	v_cndmask_b32_e32 v3, v3, v4, vcc
; %bb.1534:
	s_or_b64 exec, exec, s[12:13]
	global_store_byte v[1:2], v3, off
.LBB183_1535:
	s_mov_b64 s[12:13], 0
.LBB183_1536:
	s_andn2_b64 vcc, exec, s[12:13]
	s_mov_b64 s[14:15], 0
	s_cbranch_vccnz .LBB183_1548
; %bb.1537:
	s_cmp_gt_i32 s18, 14
	s_mov_b64 s[12:13], -1
	s_cbranch_scc0 .LBB183_1541
; %bb.1538:
	s_cmp_eq_u32 s18, 15
	s_mov_b64 s[0:1], -1
	s_cbranch_scc0 .LBB183_1540
; %bb.1539:
	v_cndmask_b32_e64 v0, 0, 1.0, s[6:7]
	v_bfe_u32 v3, v0, 16, 1
	s_movk_i32 s0, 0x7fff
	v_add3_u32 v0, v0, v3, s0
	global_store_short_d16_hi v[1:2], v0, off
	s_mov_b64 s[0:1], 0
.LBB183_1540:
	s_mov_b64 s[12:13], 0
.LBB183_1541:
	s_and_b64 vcc, exec, s[12:13]
	s_cbranch_vccz .LBB183_1548
; %bb.1542:
	s_cmp_lg_u32 s18, 11
	s_cselect_b64 s[12:13], -1, 0
	s_andn2_b64 s[0:1], s[0:1], exec
	s_and_b64 s[12:13], s[12:13], exec
	s_mov_b64 s[14:15], -1
	s_or_b64 s[0:1], s[0:1], s[12:13]
	s_branch .LBB183_1548
.LBB183_1543:
	s_or_b64 exec, exec, s[10:11]
	s_and_saveexec_b64 s[0:1], s[42:43]
	s_cbranch_execnz .LBB183_1549
.LBB183_1544:
	s_or_b64 exec, exec, s[0:1]
	s_and_saveexec_b64 s[0:1], s[18:19]
	s_xor_b64 s[0:1], exec, s[0:1]
	s_cbranch_execz .LBB183_1550
.LBB183_1545:
	v_cndmask_b32_e64 v0, 0, 1, s[6:7]
	global_store_byte v[1:2], v0, off
	s_or_b64 exec, exec, s[0:1]
	s_and_saveexec_b64 s[0:1], s[12:13]
	s_xor_b64 s[0:1], exec, s[0:1]
	s_cbranch_execz .LBB183_1588
	s_branch .LBB183_1551
.LBB183_1546:
	s_mov_b64 s[14:15], 0
	s_mov_b64 s[8:9], -1
	s_mov_b64 s[0:1], s[42:43]
	s_branch .LBB183_1548
.LBB183_1547:
	s_mov_b64 s[14:15], 0
.LBB183_1548:
	s_and_b64 s[12:13], s[8:9], exec
	s_andn2_b64 s[8:9], s[42:43], exec
	s_and_b64 s[0:1], s[0:1], exec
	s_and_b64 s[18:19], s[14:15], exec
	s_or_b64 s[42:43], s[8:9], s[0:1]
	s_or_b64 exec, exec, s[10:11]
	s_and_saveexec_b64 s[0:1], s[42:43]
	s_cbranch_execz .LBB183_1544
.LBB183_1549:
	s_or_b64 s[2:3], s[2:3], exec
	s_andn2_b64 s[18:19], s[18:19], exec
	s_trap 2
	s_or_b64 exec, exec, s[0:1]
	s_and_saveexec_b64 s[0:1], s[18:19]
	s_xor_b64 s[0:1], exec, s[0:1]
	s_cbranch_execnz .LBB183_1545
.LBB183_1550:
	s_or_b64 exec, exec, s[0:1]
	s_and_saveexec_b64 s[0:1], s[12:13]
	s_xor_b64 s[0:1], exec, s[0:1]
	s_cbranch_execz .LBB183_1588
.LBB183_1551:
	s_sext_i32_i16 s10, s20
	s_cmp_lt_i32 s10, 5
	s_mov_b64 s[8:9], -1
	s_cbranch_scc1 .LBB183_1572
; %bb.1552:
	s_cmp_lt_i32 s10, 8
	s_cbranch_scc1 .LBB183_1562
; %bb.1553:
	s_cmp_lt_i32 s10, 9
	s_cbranch_scc1 .LBB183_1559
; %bb.1554:
	s_cmp_gt_i32 s10, 9
	s_cbranch_scc0 .LBB183_1556
; %bb.1555:
	v_cndmask_b32_e64 v0, 0, 1, s[6:7]
	s_waitcnt vmcnt(0)
	v_cvt_f64_u32_e32 v[3:4], v0
	v_mov_b32_e32 v5, 0
	v_mov_b32_e32 v6, v5
	s_mov_b64 s[8:9], 0
	global_store_dwordx4 v[1:2], v[3:6], off
.LBB183_1556:
	s_andn2_b64 vcc, exec, s[8:9]
	s_cbranch_vccnz .LBB183_1558
; %bb.1557:
	s_waitcnt vmcnt(0)
	v_cndmask_b32_e64 v3, 0, 1.0, s[6:7]
	v_mov_b32_e32 v4, 0
	global_store_dwordx2 v[1:2], v[3:4], off
.LBB183_1558:
	s_mov_b64 s[8:9], 0
.LBB183_1559:
	s_andn2_b64 vcc, exec, s[8:9]
	s_cbranch_vccnz .LBB183_1561
; %bb.1560:
	v_cndmask_b32_e64 v0, 0, 1.0, s[6:7]
	v_cvt_f16_f32_e32 v0, v0
	global_store_dword v[1:2], v0, off
.LBB183_1561:
	s_mov_b64 s[8:9], 0
.LBB183_1562:
	s_andn2_b64 vcc, exec, s[8:9]
	s_cbranch_vccnz .LBB183_1571
; %bb.1563:
	s_sext_i32_i16 s10, s20
	s_cmp_lt_i32 s10, 6
	s_mov_b64 s[8:9], -1
	s_cbranch_scc1 .LBB183_1569
; %bb.1564:
	s_cmp_gt_i32 s10, 6
	s_cbranch_scc0 .LBB183_1566
; %bb.1565:
	v_cndmask_b32_e64 v0, 0, 1, s[6:7]
	s_waitcnt vmcnt(0)
	v_cvt_f64_u32_e32 v[3:4], v0
	s_mov_b64 s[8:9], 0
	global_store_dwordx2 v[1:2], v[3:4], off
.LBB183_1566:
	s_andn2_b64 vcc, exec, s[8:9]
	s_cbranch_vccnz .LBB183_1568
; %bb.1567:
	v_cndmask_b32_e64 v0, 0, 1.0, s[6:7]
	global_store_dword v[1:2], v0, off
.LBB183_1568:
	s_mov_b64 s[8:9], 0
.LBB183_1569:
	s_andn2_b64 vcc, exec, s[8:9]
	s_cbranch_vccnz .LBB183_1571
; %bb.1570:
	v_cndmask_b32_e64 v0, 0, 1.0, s[6:7]
	v_cvt_f16_f32_e32 v0, v0
	global_store_short v[1:2], v0, off
.LBB183_1571:
	s_mov_b64 s[8:9], 0
.LBB183_1572:
	s_andn2_b64 vcc, exec, s[8:9]
	s_cbranch_vccnz .LBB183_1588
; %bb.1573:
	s_sext_i32_i16 s10, s20
	s_cmp_lt_i32 s10, 2
	s_mov_b64 s[8:9], -1
	s_cbranch_scc1 .LBB183_1583
; %bb.1574:
	s_cmp_lt_i32 s10, 3
	s_cbranch_scc1 .LBB183_1580
; %bb.1575:
	s_cmp_gt_i32 s10, 3
	s_cbranch_scc0 .LBB183_1577
; %bb.1576:
	s_mov_b32 s8, 0
	s_waitcnt vmcnt(0)
	v_cndmask_b32_e64 v3, 0, 1, s[6:7]
	v_mov_b32_e32 v4, s8
	s_mov_b64 s[8:9], 0
	global_store_dwordx2 v[1:2], v[3:4], off
.LBB183_1577:
	s_andn2_b64 vcc, exec, s[8:9]
	s_cbranch_vccnz .LBB183_1579
; %bb.1578:
	v_cndmask_b32_e64 v0, 0, 1, s[6:7]
	global_store_dword v[1:2], v0, off
.LBB183_1579:
	s_mov_b64 s[8:9], 0
.LBB183_1580:
	s_andn2_b64 vcc, exec, s[8:9]
	s_cbranch_vccnz .LBB183_1582
; %bb.1581:
	v_cndmask_b32_e64 v0, 0, 1, s[6:7]
	global_store_short v[1:2], v0, off
.LBB183_1582:
	s_mov_b64 s[8:9], 0
.LBB183_1583:
	s_andn2_b64 vcc, exec, s[8:9]
	s_cbranch_vccnz .LBB183_1588
; %bb.1584:
	s_sext_i32_i16 s10, s20
	s_mov_b64 s[8:9], -1
	s_cmp_gt_i32 s10, 0
	v_cndmask_b32_e64 v0, 0, 1, s[6:7]
	s_cbranch_scc0 .LBB183_1586
; %bb.1585:
	s_mov_b64 s[8:9], 0
	global_store_byte v[1:2], v0, off
.LBB183_1586:
	s_andn2_b64 vcc, exec, s[8:9]
	s_cbranch_vccnz .LBB183_1588
; %bb.1587:
	global_store_byte v[1:2], v0, off
.LBB183_1588:
	s_or_b64 exec, exec, s[0:1]
	s_and_b64 s[6:7], s[2:3], exec
                                        ; implicit-def: $vgpr23
                                        ; implicit-def: $vgpr8
.LBB183_1589:
	s_or_saveexec_b64 s[12:13], s[30:31]
	s_mov_b64 s[0:1], 0
                                        ; implicit-def: $sgpr2_sgpr3
                                        ; implicit-def: $vgpr0_vgpr1
                                        ; implicit-def: $sgpr22
	s_xor_b64 exec, exec, s[12:13]
	s_cbranch_execz .LBB183_3103
; %bb.1590:
	v_cndmask_b32_e64 v0, 0, 1, s[28:29]
	v_cmp_ne_u32_e64 s[0:1], 1, v0
	s_andn2_b64 vcc, exec, s[28:29]
	s_cbranch_vccnz .LBB183_1596
; %bb.1591:
	s_cmp_lg_u32 s33, 0
	s_cbranch_scc0 .LBB183_1597
; %bb.1592:
	s_min_u32 s8, s72, 15
	s_add_i32 s2, s8, 1
	s_and_b32 s9, s2, 30
	s_add_u32 s2, s24, 0xffffffe8
	s_addc_u32 s3, s25, -1
	v_mov_b32_e32 v19, 0
	v_mov_b32_e32 v21, 0
	s_waitcnt vmcnt(0)
	v_mov_b32_e32 v6, 0
	v_mov_b32_e32 v0, v8
.LBB183_1593:                           ; =>This Inner Loop Header: Depth=1
	s_load_dwordx4 s[16:19], s[2:3], 0x1c
	s_load_dwordx2 s[10:11], s[2:3], 0x2c
	s_load_dwordx2 s[14:15], s[2:3], 0xec
	s_load_dwordx4 s[20:23], s[2:3], 0xdc
	s_add_u32 s2, s2, 24
	s_waitcnt lgkmcnt(0)
	v_mul_hi_u32 v1, s17, v0
	s_addc_u32 s3, s3, 0
	s_add_i32 s9, s9, -2
	s_cmp_lg_u32 s9, 0
	v_add_u32_e32 v1, v0, v1
	v_lshrrev_b32_e32 v1, s18, v1
	v_mul_lo_u32 v2, v1, s16
	v_mul_hi_u32 v3, s10, v1
	v_sub_u32_e32 v2, v0, v2
	v_add_u32_e32 v0, v1, v3
	v_lshrrev_b32_e32 v0, s11, v0
	v_mul_lo_u32 v5, v0, s19
	v_mul_lo_u32 v3, v2, s20
	;; [unrolled: 1-line block ×4, first 2 shown]
	v_sub_u32_e32 v1, v1, v5
	v_mul_lo_u32 v5, v1, s23
	v_mul_lo_u32 v7, v1, s14
	;; [unrolled: 1-line block ×3, first 2 shown]
	v_add3_u32 v6, v3, v6, v5
	v_add3_u32 v21, v4, v21, v7
	;; [unrolled: 1-line block ×3, first 2 shown]
	s_cbranch_scc1 .LBB183_1593
; %bb.1594:
	s_bitcmp1_b32 s8, 0
	s_cselect_b64 s[8:9], -1, 0
	s_and_b64 vcc, exec, s[8:9]
	s_cbranch_vccnz .LBB183_1598
; %bb.1595:
	s_load_dwordx2 s[8:9], s[2:3], 0x1c
	s_load_dword s14, s[2:3], 0x24
	s_load_dwordx2 s[10:11], s[2:3], 0xdc
	s_waitcnt lgkmcnt(0)
	v_mul_hi_u32 v1, s9, v0
	v_add_u32_e32 v1, v0, v1
	v_lshrrev_b32_e32 v1, s14, v1
	v_mul_lo_u32 v1, v1, s8
	s_load_dword s8, s[2:3], 0xe4
	v_sub_u32_e32 v0, v0, v1
	v_mad_u64_u32 v[6:7], s[2:3], v0, s10, v[6:7]
	v_mad_u64_u32 v[21:22], s[2:3], v0, s11, v[21:22]
	s_waitcnt lgkmcnt(0)
	v_mad_u64_u32 v[19:20], s[2:3], v0, s8, v[19:20]
	s_cbranch_execz .LBB183_1599
	s_branch .LBB183_1601
.LBB183_1596:
                                        ; implicit-def: $vgpr6
                                        ; implicit-def: $vgpr21
                                        ; implicit-def: $vgpr19
	s_branch .LBB183_1599
.LBB183_1597:
	s_waitcnt vmcnt(0)
	v_mov_b32_e32 v6, 0
	v_mov_b32_e32 v21, 0
	;; [unrolled: 1-line block ×3, first 2 shown]
.LBB183_1598:
	s_cbranch_execnz .LBB183_1601
.LBB183_1599:
	s_load_dwordx4 s[8:11], s[24:25], 0x4
	s_load_dwordx4 s[16:19], s[24:25], 0xc4
	s_cmp_lt_u32 s33, 2
	s_waitcnt lgkmcnt(0)
	v_mul_hi_u32 v0, s9, v8
	v_add_u32_e32 v0, v8, v0
	v_lshrrev_b32_e32 v0, s10, v0
	v_mul_lo_u32 v1, v0, s8
	v_sub_u32_e32 v1, v8, v1
	s_waitcnt vmcnt(0)
	v_mul_lo_u32 v6, v1, s16
	v_mul_lo_u32 v21, v1, s17
	;; [unrolled: 1-line block ×3, first 2 shown]
	s_cbranch_scc1 .LBB183_1601
; %bb.1600:
	s_load_dwordx4 s[8:11], s[24:25], 0x10
	s_load_dwordx4 s[16:19], s[24:25], 0xd0
	s_waitcnt lgkmcnt(0)
	v_mul_hi_u32 v1, s9, v0
	v_add_u32_e32 v1, v0, v1
	v_lshrrev_b32_e32 v1, s10, v1
	v_mul_lo_u32 v1, v1, s8
	v_sub_u32_e32 v0, v0, v1
	v_mad_u64_u32 v[6:7], s[2:3], v0, s16, v[6:7]
	v_mad_u64_u32 v[21:22], s[2:3], v0, s17, v[21:22]
	;; [unrolled: 1-line block ×3, first 2 shown]
.LBB183_1601:
	s_and_b64 vcc, exec, s[0:1]
	v_add_u32_e32 v0, 0x80, v8
	s_cbranch_vccnz .LBB183_1607
; %bb.1602:
	s_cmp_lg_u32 s33, 0
	s_cbranch_scc0 .LBB183_1608
; %bb.1603:
	s_min_u32 s8, s72, 15
	s_add_i32 s2, s8, 1
	s_and_b32 s9, s2, 30
	s_add_u32 s2, s24, 0xffffffe8
	s_addc_u32 s3, s25, -1
	v_mov_b32_e32 v15, 0
	v_mov_b32_e32 v17, 0
	;; [unrolled: 1-line block ×4, first 2 shown]
.LBB183_1604:                           ; =>This Inner Loop Header: Depth=1
	s_load_dwordx4 s[16:19], s[2:3], 0x1c
	s_load_dwordx2 s[10:11], s[2:3], 0x2c
	s_load_dwordx2 s[14:15], s[2:3], 0xec
	s_load_dwordx4 s[20:23], s[2:3], 0xdc
	s_add_u32 s2, s2, 24
	s_waitcnt lgkmcnt(0)
	v_mul_hi_u32 v2, s17, v1
	s_addc_u32 s3, s3, 0
	s_add_i32 s9, s9, -2
	s_cmp_lg_u32 s9, 0
	v_add_u32_e32 v2, v1, v2
	v_lshrrev_b32_e32 v2, s18, v2
	s_waitcnt vmcnt(0)
	v_mul_lo_u32 v3, v2, s16
	v_mul_hi_u32 v5, s10, v2
	v_sub_u32_e32 v3, v1, v3
	v_add_u32_e32 v1, v2, v5
	v_lshrrev_b32_e32 v1, s11, v1
	v_mul_lo_u32 v9, v1, s19
	v_mul_lo_u32 v5, v3, s20
	;; [unrolled: 1-line block ×4, first 2 shown]
	v_sub_u32_e32 v2, v2, v9
	v_mul_lo_u32 v9, v2, s23
	v_mul_lo_u32 v10, v2, s14
	;; [unrolled: 1-line block ×3, first 2 shown]
	v_add3_u32 v4, v5, v4, v9
	v_add3_u32 v17, v7, v17, v10
	;; [unrolled: 1-line block ×3, first 2 shown]
	s_cbranch_scc1 .LBB183_1604
; %bb.1605:
	s_bitcmp1_b32 s8, 0
	s_cselect_b64 s[8:9], -1, 0
	s_and_b64 vcc, exec, s[8:9]
	s_cbranch_vccnz .LBB183_1609
; %bb.1606:
	s_load_dwordx2 s[8:9], s[2:3], 0x1c
	s_load_dword s14, s[2:3], 0x24
	s_load_dwordx2 s[10:11], s[2:3], 0xdc
	s_waitcnt lgkmcnt(0)
	v_mul_hi_u32 v2, s9, v1
	v_add_u32_e32 v2, v1, v2
	v_lshrrev_b32_e32 v2, s14, v2
	v_mul_lo_u32 v2, v2, s8
	s_load_dword s8, s[2:3], 0xe4
	v_sub_u32_e32 v1, v1, v2
	v_mad_u64_u32 v[4:5], s[2:3], v1, s10, v[4:5]
	v_mad_u64_u32 v[17:18], s[2:3], v1, s11, v[17:18]
	s_waitcnt lgkmcnt(0)
	v_mad_u64_u32 v[15:16], s[2:3], v1, s8, v[15:16]
	s_cbranch_execz .LBB183_1610
	s_branch .LBB183_1612
.LBB183_1607:
                                        ; implicit-def: $vgpr4
                                        ; implicit-def: $vgpr17
                                        ; implicit-def: $vgpr15
	s_branch .LBB183_1610
.LBB183_1608:
	v_mov_b32_e32 v4, 0
	v_mov_b32_e32 v17, 0
	;; [unrolled: 1-line block ×3, first 2 shown]
.LBB183_1609:
	s_cbranch_execnz .LBB183_1612
.LBB183_1610:
	s_load_dwordx4 s[8:11], s[24:25], 0x4
	s_load_dwordx4 s[16:19], s[24:25], 0xc4
	s_cmp_lt_u32 s33, 2
	s_waitcnt lgkmcnt(0)
	v_mul_hi_u32 v1, s9, v0
	v_add_u32_e32 v1, v0, v1
	v_lshrrev_b32_e32 v1, s10, v1
	v_mul_lo_u32 v2, v1, s8
	v_sub_u32_e32 v0, v0, v2
	v_mul_lo_u32 v4, v0, s16
	v_mul_lo_u32 v17, v0, s17
	;; [unrolled: 1-line block ×3, first 2 shown]
	s_cbranch_scc1 .LBB183_1612
; %bb.1611:
	s_load_dwordx4 s[8:11], s[24:25], 0x10
	s_load_dwordx4 s[16:19], s[24:25], 0xd0
	s_waitcnt lgkmcnt(0)
	v_mul_hi_u32 v0, s9, v1
	v_add_u32_e32 v0, v1, v0
	v_lshrrev_b32_e32 v0, s10, v0
	v_mul_lo_u32 v0, v0, s8
	v_sub_u32_e32 v0, v1, v0
	s_waitcnt vmcnt(0)
	v_mad_u64_u32 v[4:5], s[2:3], v0, s16, v[4:5]
	v_mad_u64_u32 v[17:18], s[2:3], v0, s17, v[17:18]
	;; [unrolled: 1-line block ×3, first 2 shown]
.LBB183_1612:
	s_and_b64 vcc, exec, s[0:1]
	v_add_u32_e32 v0, 0x100, v8
	s_cbranch_vccnz .LBB183_1618
; %bb.1613:
	s_cmp_lg_u32 s33, 0
	s_cbranch_scc0 .LBB183_1619
; %bb.1614:
	s_min_u32 s8, s72, 15
	s_add_i32 s2, s8, 1
	s_and_b32 s9, s2, 30
	s_add_u32 s2, s24, 0xffffffe8
	s_addc_u32 s3, s25, -1
	v_mov_b32_e32 v11, 0
	v_mov_b32_e32 v13, 0
	;; [unrolled: 1-line block ×4, first 2 shown]
.LBB183_1615:                           ; =>This Inner Loop Header: Depth=1
	s_load_dwordx4 s[16:19], s[2:3], 0x1c
	s_load_dwordx2 s[10:11], s[2:3], 0x2c
	s_load_dwordx2 s[14:15], s[2:3], 0xec
	s_load_dwordx4 s[20:23], s[2:3], 0xdc
	s_add_u32 s2, s2, 24
	s_waitcnt vmcnt(0) lgkmcnt(0)
	v_mul_hi_u32 v3, s17, v1
	s_addc_u32 s3, s3, 0
	s_add_i32 s9, s9, -2
	s_cmp_lg_u32 s9, 0
	v_add_u32_e32 v3, v1, v3
	v_lshrrev_b32_e32 v3, s18, v3
	v_mul_lo_u32 v5, v3, s16
	v_mul_hi_u32 v7, s10, v3
	v_sub_u32_e32 v5, v1, v5
	v_add_u32_e32 v1, v3, v7
	v_lshrrev_b32_e32 v1, s11, v1
	v_mul_lo_u32 v9, v1, s19
	v_mul_lo_u32 v7, v5, s20
	;; [unrolled: 1-line block ×4, first 2 shown]
	v_sub_u32_e32 v3, v3, v9
	v_mul_lo_u32 v9, v3, s23
	v_mul_lo_u32 v10, v3, s14
	;; [unrolled: 1-line block ×3, first 2 shown]
	v_add3_u32 v2, v7, v2, v9
	v_add3_u32 v13, v8, v13, v10
	;; [unrolled: 1-line block ×3, first 2 shown]
	s_cbranch_scc1 .LBB183_1615
; %bb.1616:
	s_bitcmp1_b32 s8, 0
	s_cselect_b64 s[8:9], -1, 0
	s_and_b64 vcc, exec, s[8:9]
	s_cbranch_vccnz .LBB183_1620
; %bb.1617:
	s_load_dwordx2 s[8:9], s[2:3], 0x1c
	s_load_dword s14, s[2:3], 0x24
	s_load_dwordx2 s[10:11], s[2:3], 0xdc
	s_waitcnt lgkmcnt(0)
	v_mul_hi_u32 v3, s9, v1
	v_add_u32_e32 v3, v1, v3
	v_lshrrev_b32_e32 v3, s14, v3
	v_mul_lo_u32 v3, v3, s8
	s_load_dword s8, s[2:3], 0xe4
	v_sub_u32_e32 v1, v1, v3
	v_mad_u64_u32 v[2:3], s[2:3], v1, s10, v[2:3]
	v_mad_u64_u32 v[13:14], s[2:3], v1, s11, v[13:14]
	s_waitcnt lgkmcnt(0)
	v_mad_u64_u32 v[11:12], s[2:3], v1, s8, v[11:12]
	s_cbranch_execz .LBB183_1621
	s_branch .LBB183_1623
.LBB183_1618:
                                        ; implicit-def: $vgpr2
                                        ; implicit-def: $vgpr13
                                        ; implicit-def: $vgpr11
	s_branch .LBB183_1621
.LBB183_1619:
	v_mov_b32_e32 v2, 0
	v_mov_b32_e32 v13, 0
	;; [unrolled: 1-line block ×3, first 2 shown]
.LBB183_1620:
	s_cbranch_execnz .LBB183_1623
.LBB183_1621:
	s_load_dwordx4 s[8:11], s[24:25], 0x4
	s_load_dwordx4 s[16:19], s[24:25], 0xc4
	s_cmp_lt_u32 s33, 2
	s_waitcnt lgkmcnt(0)
	v_mul_hi_u32 v1, s9, v0
	v_add_u32_e32 v1, v0, v1
	v_lshrrev_b32_e32 v1, s10, v1
	v_mul_lo_u32 v2, v1, s8
	v_sub_u32_e32 v0, v0, v2
	v_mul_lo_u32 v2, v0, s16
	v_mul_lo_u32 v13, v0, s17
	;; [unrolled: 1-line block ×3, first 2 shown]
	s_cbranch_scc1 .LBB183_1623
; %bb.1622:
	s_load_dwordx4 s[8:11], s[24:25], 0x10
	s_load_dwordx4 s[16:19], s[24:25], 0xd0
	s_waitcnt lgkmcnt(0)
	v_mul_hi_u32 v0, s9, v1
	v_add_u32_e32 v0, v1, v0
	v_lshrrev_b32_e32 v0, s10, v0
	v_mul_lo_u32 v0, v0, s8
	v_sub_u32_e32 v0, v1, v0
	s_waitcnt vmcnt(0)
	v_mad_u64_u32 v[2:3], s[2:3], v0, s16, v[2:3]
	v_mad_u64_u32 v[13:14], s[2:3], v0, s17, v[13:14]
	;; [unrolled: 1-line block ×3, first 2 shown]
.LBB183_1623:
	s_and_b64 vcc, exec, s[0:1]
	s_cbranch_vccnz .LBB183_1629
; %bb.1624:
	s_cmp_lg_u32 s33, 0
	s_cbranch_scc0 .LBB183_1630
; %bb.1625:
	s_min_u32 s2, s72, 15
	s_add_i32 s0, s2, 1
	s_and_b32 s3, s0, 30
	s_add_u32 s0, s24, 0xffffffe8
	s_addc_u32 s1, s25, -1
	v_mov_b32_e32 v7, 0
	v_mov_b32_e32 v9, 0
	;; [unrolled: 1-line block ×4, first 2 shown]
.LBB183_1626:                           ; =>This Inner Loop Header: Depth=1
	s_load_dwordx4 s[8:11], s[0:1], 0x1c
	s_load_dwordx2 s[14:15], s[0:1], 0x2c
	s_load_dwordx2 s[20:21], s[0:1], 0xec
	s_load_dwordx4 s[16:19], s[0:1], 0xdc
	s_add_u32 s0, s0, 24
	s_waitcnt vmcnt(0) lgkmcnt(0)
	v_mul_hi_u32 v3, s9, v1
	s_addc_u32 s1, s1, 0
	s_add_i32 s3, s3, -2
	s_cmp_lg_u32 s3, 0
	v_add_u32_e32 v3, v1, v3
	v_lshrrev_b32_e32 v3, s10, v3
	v_mul_lo_u32 v5, v3, s8
	v_mul_hi_u32 v8, s14, v3
	v_sub_u32_e32 v5, v1, v5
	v_add_u32_e32 v1, v3, v8
	v_lshrrev_b32_e32 v1, s15, v1
	v_mul_lo_u32 v12, v1, s11
	v_mul_lo_u32 v8, v5, s16
	;; [unrolled: 1-line block ×4, first 2 shown]
	v_sub_u32_e32 v3, v3, v12
	v_mul_lo_u32 v12, v3, s19
	v_mul_lo_u32 v14, v3, s20
	;; [unrolled: 1-line block ×3, first 2 shown]
	v_add3_u32 v0, v8, v0, v12
	v_add3_u32 v9, v10, v9, v14
	;; [unrolled: 1-line block ×3, first 2 shown]
	s_cbranch_scc1 .LBB183_1626
; %bb.1627:
	s_bitcmp1_b32 s2, 0
	s_cselect_b64 s[2:3], -1, 0
	s_and_b64 vcc, exec, s[2:3]
	s_cbranch_vccnz .LBB183_1631
; %bb.1628:
	s_load_dwordx2 s[2:3], s[0:1], 0x1c
	s_load_dword s10, s[0:1], 0x24
	s_load_dwordx2 s[8:9], s[0:1], 0xdc
	s_waitcnt lgkmcnt(0)
	v_mul_hi_u32 v3, s3, v1
	v_add_u32_e32 v3, v1, v3
	v_lshrrev_b32_e32 v3, s10, v3
	v_mul_lo_u32 v3, v3, s2
	s_load_dword s2, s[0:1], 0xe4
	v_sub_u32_e32 v3, v1, v3
	v_mad_u64_u32 v[0:1], s[0:1], v3, s8, v[0:1]
	v_mad_u64_u32 v[9:10], s[0:1], v3, s9, v[9:10]
	s_waitcnt lgkmcnt(0)
	v_mad_u64_u32 v[7:8], s[0:1], v3, s2, v[7:8]
	s_cbranch_execz .LBB183_1632
	s_branch .LBB183_1634
.LBB183_1629:
                                        ; implicit-def: $vgpr0
                                        ; implicit-def: $vgpr9
                                        ; implicit-def: $vgpr7
	s_branch .LBB183_1632
.LBB183_1630:
	v_mov_b32_e32 v0, 0
	v_mov_b32_e32 v9, 0
	;; [unrolled: 1-line block ×3, first 2 shown]
.LBB183_1631:
	s_cbranch_execnz .LBB183_1634
.LBB183_1632:
	s_load_dwordx4 s[0:3], s[24:25], 0x4
	s_load_dwordx4 s[8:11], s[24:25], 0xc4
	s_cmp_lt_u32 s33, 2
	s_waitcnt lgkmcnt(0)
	v_mul_hi_u32 v0, s1, v23
	v_add_u32_e32 v0, v23, v0
	v_lshrrev_b32_e32 v1, s2, v0
	v_mul_lo_u32 v0, v1, s0
	s_waitcnt vmcnt(0)
	v_sub_u32_e32 v3, v23, v0
	v_mul_lo_u32 v0, v3, s8
	v_mul_lo_u32 v9, v3, s9
	;; [unrolled: 1-line block ×3, first 2 shown]
	s_cbranch_scc1 .LBB183_1634
; %bb.1633:
	s_load_dwordx4 s[0:3], s[24:25], 0x10
	s_load_dwordx4 s[8:11], s[24:25], 0xd0
	s_waitcnt lgkmcnt(0)
	v_mul_hi_u32 v3, s1, v1
	v_add_u32_e32 v3, v1, v3
	v_lshrrev_b32_e32 v3, s2, v3
	v_mul_lo_u32 v3, v3, s0
	v_sub_u32_e32 v3, v1, v3
	v_mad_u64_u32 v[0:1], s[0:1], v3, s8, v[0:1]
	v_mad_u64_u32 v[9:10], s[0:1], v3, s9, v[9:10]
	;; [unrolled: 1-line block ×3, first 2 shown]
.LBB183_1634:
	s_load_dwordx4 s[8:11], s[24:25], 0x188
	s_load_dword s23, s[4:5], 0x1ac
	s_waitcnt lgkmcnt(0)
	v_mov_b32_e32 v1, s11
	s_bfe_u32 s18, s23, 0x80008
	v_add_co_u32_e32 v20, vcc, s10, v21
	s_cmp_lt_i32 s18, 11
	v_addc_co_u32_e32 v21, vcc, 0, v1, vcc
	s_cbranch_scc1 .LBB183_1641
; %bb.1635:
	s_and_b32 s19, 0xffff, s18
	s_cmp_gt_i32 s19, 25
	s_mov_b64 s[2:3], 0
	s_cbranch_scc0 .LBB183_1643
; %bb.1636:
	s_cmp_gt_i32 s19, 28
	s_cbranch_scc0 .LBB183_1644
; %bb.1637:
	s_cmp_gt_i32 s19, 43
	s_cbranch_scc0 .LBB183_1645
; %bb.1638:
	s_cmp_gt_i32 s19, 45
	s_cbranch_scc0 .LBB183_1646
; %bb.1639:
	s_cmp_eq_u32 s19, 46
	s_mov_b64 s[14:15], 0
	s_cbranch_scc0 .LBB183_1649
; %bb.1640:
	global_load_dword v1, v[20:21], off
	s_mov_b64 s[0:1], 0
	s_mov_b64 s[4:5], -1
	s_waitcnt vmcnt(0)
	v_lshlrev_b32_e32 v1, 16, v1
	v_cvt_f16_f32_e32 v1, v1
	s_branch .LBB183_1650
.LBB183_1641:
	s_mov_b64 s[4:5], 0
                                        ; implicit-def: $vgpr1
	s_mov_b64 s[14:15], s[6:7]
	s_cbranch_execnz .LBB183_1713
.LBB183_1642:
	s_andn2_b64 vcc, exec, s[4:5]
	s_cbranch_vccz .LBB183_1758
	s_branch .LBB183_3101
.LBB183_1643:
	s_mov_b64 s[4:5], 0
	s_mov_b64 s[0:1], 0
                                        ; implicit-def: $vgpr1
	s_cbranch_execnz .LBB183_1678
	s_branch .LBB183_1709
.LBB183_1644:
	s_mov_b64 s[14:15], -1
	s_mov_b64 s[4:5], 0
	s_mov_b64 s[0:1], 0
                                        ; implicit-def: $vgpr1
	s_branch .LBB183_1659
.LBB183_1645:
	s_mov_b64 s[4:5], 0
	s_mov_b64 s[0:1], 0
                                        ; implicit-def: $vgpr1
	s_cbranch_execnz .LBB183_1655
	s_branch .LBB183_1658
.LBB183_1646:
	s_mov_b64 s[14:15], -1
	s_mov_b64 s[4:5], 0
	s_mov_b64 s[0:1], 0
                                        ; implicit-def: $vgpr1
	s_branch .LBB183_1650
.LBB183_1647:
	s_andn2_saveexec_b64 s[14:15], s[14:15]
	s_cbranch_execz .LBB183_1498
.LBB183_1648:
	v_add_f32_e32 v0, 0x46000000, v3
	v_and_b32_e32 v0, 0xff, v0
	v_cmp_ne_u32_e32 vcc, 0, v0
	s_andn2_b64 s[12:13], s[12:13], exec
	s_and_b64 s[16:17], vcc, exec
	s_or_b64 s[12:13], s[12:13], s[16:17]
	s_or_b64 exec, exec, s[14:15]
	v_mov_b32_e32 v4, 0
	s_and_saveexec_b64 s[14:15], s[12:13]
	s_cbranch_execnz .LBB183_1499
	s_branch .LBB183_1500
.LBB183_1649:
	s_mov_b64 s[0:1], -1
                                        ; implicit-def: $vgpr1
	s_mov_b64 s[4:5], 0
.LBB183_1650:
	s_and_b64 vcc, exec, s[14:15]
	s_cbranch_vccz .LBB183_1653
; %bb.1651:
	s_cmp_eq_u32 s19, 44
	s_cbranch_scc0 .LBB183_1654
; %bb.1652:
	global_load_ubyte v1, v[20:21], off
	s_movk_i32 s4, 0xff
	s_waitcnt vmcnt(1)
	v_mov_b32_e32 v5, 0x7e00
	s_mov_b64 s[0:1], 0
	s_waitcnt vmcnt(0)
	v_lshlrev_b32_e32 v3, 23, v1
	v_cvt_f16_f32_e32 v3, v3
	v_cmp_ne_u32_e32 vcc, s4, v1
	s_mov_b64 s[4:5], -1
	v_cndmask_b32_e32 v3, v5, v3, vcc
	v_cmp_ne_u32_e32 vcc, 0, v1
	v_cndmask_b32_e32 v1, 0, v3, vcc
.LBB183_1653:
	s_branch .LBB183_1658
.LBB183_1654:
	s_mov_b64 s[0:1], -1
                                        ; implicit-def: $vgpr1
	s_branch .LBB183_1658
.LBB183_1655:
	s_cmp_eq_u32 s19, 29
	s_cbranch_scc0 .LBB183_1657
; %bb.1656:
	global_load_dwordx2 v[22:23], v[20:21], off
	s_mov_b64 s[0:1], 0
	s_mov_b64 s[4:5], -1
	s_mov_b64 s[14:15], 0
	s_waitcnt vmcnt(0)
	v_ffbh_u32_e32 v1, v23
	v_min_u32_e32 v1, 32, v1
	v_lshlrev_b64 v[22:23], v1, v[22:23]
	v_sub_u32_e32 v1, 32, v1
	v_min_u32_e32 v3, 1, v22
	v_or_b32_e32 v3, v23, v3
	v_cvt_f32_u32_e32 v3, v3
	v_ldexp_f32 v1, v3, v1
	v_cvt_f16_f32_e32 v1, v1
	s_branch .LBB183_1659
.LBB183_1657:
	s_mov_b64 s[0:1], -1
                                        ; implicit-def: $vgpr1
.LBB183_1658:
	s_mov_b64 s[14:15], 0
.LBB183_1659:
	s_and_b64 vcc, exec, s[14:15]
	s_cbranch_vccz .LBB183_1677
; %bb.1660:
	s_cmp_lt_i32 s19, 27
	s_cbranch_scc1 .LBB183_1663
; %bb.1661:
	s_cmp_gt_i32 s19, 27
	s_cbranch_scc0 .LBB183_1664
; %bb.1662:
	global_load_dword v1, v[20:21], off
	s_mov_b64 s[4:5], 0
	s_waitcnt vmcnt(0)
	v_cvt_f32_u32_e32 v1, v1
	v_cvt_f16_f32_e32 v1, v1
	s_branch .LBB183_1665
.LBB183_1663:
	s_mov_b64 s[4:5], -1
                                        ; implicit-def: $vgpr1
	s_branch .LBB183_1668
.LBB183_1664:
	s_mov_b64 s[4:5], -1
                                        ; implicit-def: $vgpr1
.LBB183_1665:
	s_andn2_b64 vcc, exec, s[4:5]
	s_cbranch_vccnz .LBB183_1667
; %bb.1666:
	global_load_ushort v1, v[20:21], off
	s_waitcnt vmcnt(0)
	v_cvt_f16_u16_e32 v1, v1
.LBB183_1667:
	s_mov_b64 s[4:5], 0
.LBB183_1668:
	s_andn2_b64 vcc, exec, s[4:5]
	s_cbranch_vccnz .LBB183_1676
; %bb.1669:
	global_load_ubyte v3, v[20:21], off
	s_movk_i32 s4, 0x7f
	s_waitcnt vmcnt(0)
	v_cmp_lt_i16_e32 vcc, s4, v3
	s_mov_b64 s[4:5], 0
	s_and_saveexec_b64 s[14:15], vcc
	s_xor_b64 s[14:15], exec, s[14:15]
	s_cbranch_execz .LBB183_1689
; %bb.1670:
	s_movk_i32 s4, 0x80
	v_cmp_eq_u16_e32 vcc, s4, v3
	s_mov_b64 s[4:5], -1
	s_and_saveexec_b64 s[16:17], vcc
; %bb.1671:
	s_xor_b64 s[4:5], exec, -1
; %bb.1672:
	s_or_b64 exec, exec, s[16:17]
	s_and_b64 s[4:5], s[4:5], exec
	s_or_saveexec_b64 s[14:15], s[14:15]
	v_mov_b32_e32 v1, 0x7e00
	s_xor_b64 exec, exec, s[14:15]
	s_cbranch_execnz .LBB183_1690
.LBB183_1673:
	s_or_b64 exec, exec, s[14:15]
	s_and_saveexec_b64 s[14:15], s[4:5]
	s_cbranch_execz .LBB183_1675
.LBB183_1674:
	v_lshlrev_b32_e32 v1, 24, v3
	v_and_b32_e32 v3, 0xffff, v3
	v_and_b32_e32 v5, 7, v3
	v_ffbh_u32_e32 v10, v5
	v_min_u32_e32 v10, 32, v10
	v_subrev_u32_e32 v12, 28, v10
	v_bfe_u32 v8, v3, 3, 4
	v_lshlrev_b32_e32 v3, v12, v3
	v_sub_u32_e32 v10, 29, v10
	v_and_b32_e32 v3, 7, v3
	v_cmp_eq_u32_e32 vcc, 0, v8
	v_cndmask_b32_e32 v8, v8, v10, vcc
	v_cndmask_b32_e32 v3, v5, v3, vcc
	v_mov_b32_e32 v5, 0x3b800000
	v_lshlrev_b32_e32 v3, 20, v3
	v_and_b32_e32 v1, 0x80000000, v1
	v_lshl_add_u32 v5, v8, 23, v5
	v_or3_b32 v1, v1, v5, v3
	v_cvt_f16_f32_e32 v1, v1
.LBB183_1675:
	s_or_b64 exec, exec, s[14:15]
.LBB183_1676:
	s_mov_b64 s[4:5], -1
.LBB183_1677:
	s_branch .LBB183_1709
.LBB183_1678:
	s_cmp_gt_i32 s19, 22
	s_cbranch_scc0 .LBB183_1688
; %bb.1679:
	s_cmp_lt_i32 s19, 24
	s_cbranch_scc1 .LBB183_1691
; %bb.1680:
	s_cmp_gt_i32 s19, 24
	s_cbranch_scc0 .LBB183_1692
; %bb.1681:
	global_load_ubyte v3, v[20:21], off
	s_movk_i32 s2, 0x7f
	s_waitcnt vmcnt(0)
	v_cmp_lt_i16_e32 vcc, s2, v3
	s_mov_b64 s[2:3], 0
	s_and_saveexec_b64 s[4:5], vcc
	s_xor_b64 s[4:5], exec, s[4:5]
	s_cbranch_execz .LBB183_1703
; %bb.1682:
	s_movk_i32 s2, 0x80
	v_cmp_eq_u16_e32 vcc, s2, v3
	s_mov_b64 s[2:3], -1
	s_and_saveexec_b64 s[14:15], vcc
; %bb.1683:
	s_xor_b64 s[2:3], exec, -1
; %bb.1684:
	s_or_b64 exec, exec, s[14:15]
	s_and_b64 s[2:3], s[2:3], exec
	s_or_saveexec_b64 s[4:5], s[4:5]
	v_mov_b32_e32 v1, 0x7e00
	s_xor_b64 exec, exec, s[4:5]
	s_cbranch_execnz .LBB183_1704
.LBB183_1685:
	s_or_b64 exec, exec, s[4:5]
	s_and_saveexec_b64 s[4:5], s[2:3]
	s_cbranch_execz .LBB183_1687
.LBB183_1686:
	v_lshlrev_b32_e32 v1, 24, v3
	v_and_b32_e32 v3, 0xffff, v3
	v_and_b32_e32 v5, 3, v3
	v_ffbh_u32_e32 v10, v5
	v_min_u32_e32 v10, 32, v10
	v_subrev_u32_e32 v12, 29, v10
	v_bfe_u32 v8, v3, 2, 5
	v_lshlrev_b32_e32 v3, v12, v3
	v_sub_u32_e32 v10, 30, v10
	v_and_b32_e32 v3, 3, v3
	v_cmp_eq_u32_e32 vcc, 0, v8
	v_cndmask_b32_e32 v8, v8, v10, vcc
	v_cndmask_b32_e32 v3, v5, v3, vcc
	v_mov_b32_e32 v5, 0x37800000
	v_lshlrev_b32_e32 v3, 21, v3
	v_and_b32_e32 v1, 0x80000000, v1
	v_lshl_add_u32 v5, v8, 23, v5
	v_or3_b32 v1, v1, v5, v3
	v_cvt_f16_f32_e32 v1, v1
.LBB183_1687:
	s_or_b64 exec, exec, s[4:5]
	s_mov_b64 s[2:3], 0
	s_branch .LBB183_1693
.LBB183_1688:
                                        ; implicit-def: $vgpr1
	s_mov_b64 s[2:3], 0
	s_branch .LBB183_1699
.LBB183_1689:
	s_or_saveexec_b64 s[14:15], s[14:15]
	v_mov_b32_e32 v1, 0x7e00
	s_xor_b64 exec, exec, s[14:15]
	s_cbranch_execz .LBB183_1673
.LBB183_1690:
	v_cmp_ne_u16_e32 vcc, 0, v3
	s_andn2_b64 s[4:5], s[4:5], exec
	s_and_b64 s[16:17], vcc, exec
	s_or_b64 s[4:5], s[4:5], s[16:17]
	v_mov_b32_e32 v1, v3
	s_or_b64 exec, exec, s[14:15]
	s_and_saveexec_b64 s[14:15], s[4:5]
	s_cbranch_execnz .LBB183_1674
	s_branch .LBB183_1675
.LBB183_1691:
	s_mov_b64 s[2:3], -1
                                        ; implicit-def: $vgpr1
	s_branch .LBB183_1696
.LBB183_1692:
	s_mov_b64 s[2:3], -1
                                        ; implicit-def: $vgpr1
.LBB183_1693:
	s_and_b64 vcc, exec, s[2:3]
	s_cbranch_vccz .LBB183_1695
; %bb.1694:
	global_load_ubyte v1, v[20:21], off
	s_mov_b32 s2, 0x7f800000
	s_waitcnt vmcnt(0)
	v_lshlrev_b32_e32 v1, 24, v1
	v_and_b32_e32 v3, 0x7f000000, v1
	v_ffbh_u32_e32 v5, v3
	v_min_u32_e32 v5, 32, v5
	v_sub_u32_e64 v5, v5, 4 clamp
	v_lshlrev_b32_e32 v10, v5, v3
	v_lshlrev_b32_e32 v5, 23, v5
	v_lshrrev_b32_e32 v10, 4, v10
	v_add_u32_e32 v8, 0x1000000, v3
	v_sub_u32_e32 v5, v10, v5
	v_ashrrev_i32_e32 v8, 8, v8
	v_add_u32_e32 v5, 0x3c000000, v5
	v_and_or_b32 v5, v8, s2, v5
	v_cmp_ne_u32_e32 vcc, 0, v3
	v_cndmask_b32_e32 v3, 0, v5, vcc
	s_brev_b32 s2, 1
	v_and_or_b32 v1, v1, s2, v3
	v_cvt_f16_f32_e32 v1, v1
.LBB183_1695:
	s_mov_b64 s[2:3], 0
.LBB183_1696:
	s_andn2_b64 vcc, exec, s[2:3]
	s_cbranch_vccnz .LBB183_1698
; %bb.1697:
	global_load_ubyte v1, v[20:21], off
	s_movk_i32 s2, 0x7f00
	s_brev_b32 s3, 16
	s_waitcnt vmcnt(0)
	v_lshlrev_b16_e32 v3, 8, v1
	v_lshlrev_b32_e32 v1, 25, v1
	v_lshrrev_b32_e32 v5, 4, v1
	v_and_or_b32 v8, v3, s2, 0.5
	v_or_b32_e32 v5, 0x70000000, v5
	v_add_f32_e32 v8, -0.5, v8
	v_mul_f32_e32 v5, 0x7800000, v5
	v_cmp_gt_u32_e32 vcc, s3, v1
	v_bfe_i32 v3, v3, 0, 16
	v_cndmask_b32_e32 v1, v5, v8, vcc
	s_brev_b32 s2, 1
	v_and_or_b32 v1, v3, s2, v1
	v_cvt_f16_f32_e32 v1, v1
.LBB183_1698:
	s_mov_b64 s[4:5], -1
	s_mov_b64 s[2:3], 0
	s_cbranch_execnz .LBB183_1709
.LBB183_1699:
	s_cmp_gt_i32 s19, 14
	s_cbranch_scc0 .LBB183_1702
; %bb.1700:
	s_cmp_eq_u32 s19, 15
	s_cbranch_scc0 .LBB183_1705
; %bb.1701:
	global_load_ushort v1, v[20:21], off
	s_mov_b64 s[0:1], 0
	s_mov_b64 s[4:5], -1
	s_waitcnt vmcnt(0)
	v_lshlrev_b32_e32 v1, 16, v1
	v_cvt_f16_f32_e32 v1, v1
	s_branch .LBB183_1706
.LBB183_1702:
	s_mov_b64 s[14:15], -1
                                        ; implicit-def: $vgpr1
	s_branch .LBB183_1707
.LBB183_1703:
	s_or_saveexec_b64 s[4:5], s[4:5]
	v_mov_b32_e32 v1, 0x7e00
	s_xor_b64 exec, exec, s[4:5]
	s_cbranch_execz .LBB183_1685
.LBB183_1704:
	v_cmp_ne_u16_e32 vcc, 0, v3
	s_andn2_b64 s[2:3], s[2:3], exec
	s_and_b64 s[14:15], vcc, exec
	s_or_b64 s[2:3], s[2:3], s[14:15]
	v_mov_b32_e32 v1, v3
	s_or_b64 exec, exec, s[4:5]
	s_and_saveexec_b64 s[4:5], s[2:3]
	s_cbranch_execnz .LBB183_1686
	s_branch .LBB183_1687
.LBB183_1705:
	s_mov_b64 s[0:1], -1
                                        ; implicit-def: $vgpr1
.LBB183_1706:
	s_mov_b64 s[14:15], 0
.LBB183_1707:
	s_and_b64 vcc, exec, s[14:15]
	s_cbranch_vccz .LBB183_1709
; %bb.1708:
	s_cmp_lg_u32 s19, 11
	s_mov_b64 s[2:3], -1
	s_cselect_b64 s[0:1], -1, 0
.LBB183_1709:
	s_and_b64 vcc, exec, s[0:1]
	s_mov_b64 s[14:15], s[6:7]
	s_cbranch_vccnz .LBB183_1770
; %bb.1710:
	s_andn2_b64 vcc, exec, s[2:3]
	s_cbranch_vccnz .LBB183_1712
.LBB183_1711:
	global_load_ubyte v1, v[20:21], off
	s_waitcnt vmcnt(1)
	v_mov_b32_e32 v3, 0x3c00
	s_mov_b64 s[4:5], -1
	s_waitcnt vmcnt(0)
	v_cmp_ne_u16_e32 vcc, 0, v1
	v_cndmask_b32_e32 v1, 0, v3, vcc
.LBB183_1712:
	s_branch .LBB183_1642
.LBB183_1713:
	s_and_b32 s2, 0xffff, s18
	s_cmp_lt_i32 s2, 5
	s_cbranch_scc1 .LBB183_1718
; %bb.1714:
	s_cmp_lt_i32 s2, 8
	s_cbranch_scc1 .LBB183_1719
; %bb.1715:
	;; [unrolled: 3-line block ×3, first 2 shown]
	s_cmp_gt_i32 s2, 9
	s_cbranch_scc0 .LBB183_1721
; %bb.1717:
	global_load_dwordx2 v[22:23], v[20:21], off
	s_movk_i32 s0, 0x1ff
	s_movk_i32 s1, 0xffe
	v_mov_b32_e32 v1, 0x7c00
	s_waitcnt vmcnt(1)
	v_mov_b32_e32 v3, 0x7e00
	s_movk_i32 s3, 0x40f
	s_mov_b32 s4, 0x8000
	s_waitcnt vmcnt(0)
	v_and_or_b32 v5, v23, s0, v22
	v_cmp_ne_u32_e32 vcc, 0, v5
	v_lshrrev_b32_e32 v8, 8, v23
	v_bfe_u32 v10, v23, 20, 11
	v_cndmask_b32_e64 v5, 0, 1, vcc
	v_sub_u32_e32 v14, 0x3f1, v10
	v_and_or_b32 v5, v8, s1, v5
	v_add_u32_e32 v10, 0xfffffc10, v10
	v_med3_i32 v8, v14, 0, 13
	v_or_b32_e32 v14, 0x1000, v5
	v_lshl_or_b32 v16, v10, 12, v5
	v_cmp_ne_u32_e32 vcc, 0, v5
	v_lshrrev_b32_e32 v5, v8, v14
	v_lshlrev_b32_e32 v8, v8, v5
	v_cndmask_b32_e32 v3, v1, v3, vcc
	v_cmp_ne_u32_e32 vcc, v8, v14
	v_cndmask_b32_e64 v8, 0, 1, vcc
	v_or_b32_e32 v5, v5, v8
	v_cmp_gt_i32_e32 vcc, 1, v10
	v_cndmask_b32_e32 v5, v16, v5, vcc
	v_and_b32_e32 v8, 7, v5
	v_cmp_lt_i32_e32 vcc, 5, v8
	v_cndmask_b32_e64 v14, 0, 1, vcc
	v_cmp_eq_u32_e32 vcc, 3, v8
	v_cndmask_b32_e64 v8, 0, 1, vcc
	v_lshrrev_b32_e32 v5, 2, v5
	v_or_b32_e32 v8, v8, v14
	v_add_u32_e32 v5, v5, v8
	v_cmp_gt_i32_e32 vcc, 31, v10
	v_cndmask_b32_e32 v1, v1, v5, vcc
	v_cmp_eq_u32_e32 vcc, s3, v10
	v_lshrrev_b32_e32 v12, 16, v23
	v_cndmask_b32_e32 v1, v1, v3, vcc
	v_and_or_b32 v1, v12, s4, v1
	s_mov_b64 s[0:1], 0
	s_branch .LBB183_1722
.LBB183_1718:
                                        ; implicit-def: $vgpr1
	s_branch .LBB183_1739
.LBB183_1719:
                                        ; implicit-def: $vgpr1
	s_branch .LBB183_1728
.LBB183_1720:
	s_mov_b64 s[0:1], -1
                                        ; implicit-def: $vgpr1
	s_branch .LBB183_1725
.LBB183_1721:
	s_mov_b64 s[0:1], -1
                                        ; implicit-def: $vgpr1
.LBB183_1722:
	s_andn2_b64 vcc, exec, s[0:1]
	s_cbranch_vccnz .LBB183_1724
; %bb.1723:
	global_load_dword v1, v[20:21], off
	s_waitcnt vmcnt(0)
	v_cvt_f16_f32_e32 v1, v1
.LBB183_1724:
	s_mov_b64 s[0:1], 0
.LBB183_1725:
	s_andn2_b64 vcc, exec, s[0:1]
	s_cbranch_vccnz .LBB183_1727
; %bb.1726:
	global_load_dword v1, v[20:21], off
.LBB183_1727:
	s_cbranch_execnz .LBB183_1738
.LBB183_1728:
	s_cmp_lt_i32 s2, 6
	s_cbranch_scc1 .LBB183_1731
; %bb.1729:
	s_cmp_gt_i32 s2, 6
	s_cbranch_scc0 .LBB183_1732
; %bb.1730:
	global_load_dwordx2 v[22:23], v[20:21], off
	s_movk_i32 s0, 0x1ff
	s_movk_i32 s1, 0xffe
	s_waitcnt vmcnt(1)
	v_mov_b32_e32 v1, 0x7c00
	v_mov_b32_e32 v3, 0x7e00
	s_movk_i32 s3, 0x40f
	s_mov_b32 s4, 0x8000
	s_waitcnt vmcnt(0)
	v_and_or_b32 v5, v23, s0, v22
	v_cmp_ne_u32_e32 vcc, 0, v5
	v_lshrrev_b32_e32 v8, 8, v23
	v_bfe_u32 v10, v23, 20, 11
	v_cndmask_b32_e64 v5, 0, 1, vcc
	v_sub_u32_e32 v14, 0x3f1, v10
	v_and_or_b32 v5, v8, s1, v5
	v_add_u32_e32 v10, 0xfffffc10, v10
	v_med3_i32 v8, v14, 0, 13
	v_or_b32_e32 v14, 0x1000, v5
	v_lshl_or_b32 v16, v10, 12, v5
	v_cmp_ne_u32_e32 vcc, 0, v5
	v_lshrrev_b32_e32 v5, v8, v14
	v_lshlrev_b32_e32 v8, v8, v5
	v_cndmask_b32_e32 v3, v1, v3, vcc
	v_cmp_ne_u32_e32 vcc, v8, v14
	v_cndmask_b32_e64 v8, 0, 1, vcc
	v_or_b32_e32 v5, v5, v8
	v_cmp_gt_i32_e32 vcc, 1, v10
	v_cndmask_b32_e32 v5, v16, v5, vcc
	v_and_b32_e32 v8, 7, v5
	v_cmp_lt_i32_e32 vcc, 5, v8
	v_cndmask_b32_e64 v14, 0, 1, vcc
	v_cmp_eq_u32_e32 vcc, 3, v8
	v_cndmask_b32_e64 v8, 0, 1, vcc
	v_lshrrev_b32_e32 v5, 2, v5
	v_or_b32_e32 v8, v8, v14
	v_add_u32_e32 v5, v5, v8
	v_cmp_gt_i32_e32 vcc, 31, v10
	v_cndmask_b32_e32 v1, v1, v5, vcc
	v_cmp_eq_u32_e32 vcc, s3, v10
	v_lshrrev_b32_e32 v12, 16, v23
	v_cndmask_b32_e32 v1, v1, v3, vcc
	v_and_or_b32 v1, v12, s4, v1
	s_mov_b64 s[0:1], 0
	s_branch .LBB183_1733
.LBB183_1731:
	s_mov_b64 s[0:1], -1
                                        ; implicit-def: $vgpr1
	s_branch .LBB183_1736
.LBB183_1732:
	s_mov_b64 s[0:1], -1
                                        ; implicit-def: $vgpr1
.LBB183_1733:
	s_andn2_b64 vcc, exec, s[0:1]
	s_cbranch_vccnz .LBB183_1735
; %bb.1734:
	global_load_dword v1, v[20:21], off
	s_waitcnt vmcnt(0)
	v_cvt_f16_f32_e32 v1, v1
.LBB183_1735:
	s_mov_b64 s[0:1], 0
.LBB183_1736:
	s_andn2_b64 vcc, exec, s[0:1]
	s_cbranch_vccnz .LBB183_1738
; %bb.1737:
	global_load_ushort v1, v[20:21], off
.LBB183_1738:
	s_cbranch_execnz .LBB183_1757
.LBB183_1739:
	s_cmp_lt_i32 s2, 2
	s_cbranch_scc1 .LBB183_1743
; %bb.1740:
	s_cmp_lt_i32 s2, 3
	s_cbranch_scc1 .LBB183_1744
; %bb.1741:
	s_cmp_gt_i32 s2, 3
	s_cbranch_scc0 .LBB183_1745
; %bb.1742:
	global_load_dwordx2 v[22:23], v[20:21], off
	s_mov_b64 s[0:1], 0
	s_waitcnt vmcnt(0)
	v_xor_b32_e32 v3, v22, v23
	v_ffbh_i32_e32 v1, v23
	v_ashrrev_i32_e32 v3, 31, v3
	v_add_u32_e32 v1, -1, v1
	v_add_u32_e32 v3, 32, v3
	v_min_u32_e32 v1, v1, v3
	v_lshlrev_b64 v[22:23], v1, v[22:23]
	v_sub_u32_e32 v1, 32, v1
	v_min_u32_e32 v3, 1, v22
	v_or_b32_e32 v3, v23, v3
	v_cvt_f32_i32_e32 v3, v3
	v_ldexp_f32 v1, v3, v1
	v_cvt_f16_f32_e32 v1, v1
	s_branch .LBB183_1746
.LBB183_1743:
                                        ; implicit-def: $vgpr1
	s_branch .LBB183_1752
.LBB183_1744:
	s_mov_b64 s[0:1], -1
                                        ; implicit-def: $vgpr1
	s_branch .LBB183_1749
.LBB183_1745:
	s_mov_b64 s[0:1], -1
                                        ; implicit-def: $vgpr1
.LBB183_1746:
	s_andn2_b64 vcc, exec, s[0:1]
	s_cbranch_vccnz .LBB183_1748
; %bb.1747:
	global_load_dword v1, v[20:21], off
	s_waitcnt vmcnt(0)
	v_cvt_f32_i32_e32 v1, v1
	v_cvt_f16_f32_e32 v1, v1
.LBB183_1748:
	s_mov_b64 s[0:1], 0
.LBB183_1749:
	s_andn2_b64 vcc, exec, s[0:1]
	s_cbranch_vccnz .LBB183_1751
; %bb.1750:
	global_load_ushort v1, v[20:21], off
	s_waitcnt vmcnt(0)
	v_cvt_f16_i16_e32 v1, v1
.LBB183_1751:
	s_cbranch_execnz .LBB183_1757
.LBB183_1752:
	s_cmp_gt_i32 s2, 0
	s_cbranch_scc0 .LBB183_1754
; %bb.1753:
	global_load_sbyte v1, v[20:21], off
	s_mov_b64 s[0:1], 0
	s_waitcnt vmcnt(0)
	v_cvt_f16_i16_e32 v1, v1
	s_branch .LBB183_1755
.LBB183_1754:
	s_mov_b64 s[0:1], -1
                                        ; implicit-def: $vgpr1
.LBB183_1755:
	s_andn2_b64 vcc, exec, s[0:1]
	s_cbranch_vccnz .LBB183_1757
; %bb.1756:
	global_load_ubyte v1, v[20:21], off
	s_waitcnt vmcnt(0)
	v_cvt_f16_u16_e32 v1, v1
.LBB183_1757:
.LBB183_1758:
	s_load_dwordx2 s[0:1], s[24:25], 0x198
	s_bfe_u32 s22, s23, 0x80010
	s_cmp_lt_i32 s22, 11
	s_waitcnt vmcnt(0) lgkmcnt(0)
	v_mov_b32_e32 v3, s1
	v_add_co_u32_e32 v18, vcc, s0, v19
	v_addc_co_u32_e32 v19, vcc, 0, v3, vcc
	s_cbranch_scc1 .LBB183_1765
; %bb.1759:
	s_and_b32 s26, 0xffff, s22
	s_cmp_gt_i32 s26, 25
	s_mov_b64 s[4:5], 0
	s_cbranch_scc0 .LBB183_1767
; %bb.1760:
	s_cmp_gt_i32 s26, 28
	s_cbranch_scc0 .LBB183_1768
; %bb.1761:
	s_cmp_gt_i32 s26, 43
	;; [unrolled: 3-line block ×3, first 2 shown]
	s_cbranch_scc0 .LBB183_1771
; %bb.1763:
	s_cmp_eq_u32 s26, 46
	s_mov_b64 s[18:19], 0
	s_cbranch_scc0 .LBB183_1774
; %bb.1764:
	global_load_dword v3, v[18:19], off
	s_mov_b64 s[2:3], 0
	s_mov_b64 s[16:17], -1
	s_waitcnt vmcnt(0)
	v_lshlrev_b32_e32 v3, 16, v3
	v_cvt_f16_f32_e32 v3, v3
	s_branch .LBB183_1775
.LBB183_1765:
	s_mov_b64 s[16:17], 0
                                        ; implicit-def: $vgpr3
	s_cbranch_execnz .LBB183_1840
.LBB183_1766:
	s_andn2_b64 vcc, exec, s[16:17]
	s_cbranch_vccnz .LBB183_3101
	s_branch .LBB183_1887
.LBB183_1767:
	s_mov_b64 s[16:17], 0
	s_mov_b64 s[2:3], 0
                                        ; implicit-def: $vgpr3
	s_cbranch_execnz .LBB183_1804
	s_branch .LBB183_1836
.LBB183_1768:
	s_mov_b64 s[18:19], -1
	s_mov_b64 s[16:17], 0
	s_mov_b64 s[2:3], 0
                                        ; implicit-def: $vgpr3
	s_branch .LBB183_1785
.LBB183_1769:
	s_mov_b64 s[18:19], -1
	s_mov_b64 s[16:17], 0
	s_mov_b64 s[2:3], 0
                                        ; implicit-def: $vgpr3
	s_branch .LBB183_1780
.LBB183_1770:
	s_or_b64 s[14:15], s[6:7], exec
	s_trap 2
	s_cbranch_execz .LBB183_1711
	s_branch .LBB183_1712
.LBB183_1771:
	s_mov_b64 s[18:19], -1
	s_mov_b64 s[16:17], 0
	s_mov_b64 s[2:3], 0
                                        ; implicit-def: $vgpr3
	s_branch .LBB183_1775
.LBB183_1772:
	s_andn2_saveexec_b64 s[16:17], s[16:17]
	s_cbranch_execz .LBB183_1510
.LBB183_1773:
	v_add_f32_e32 v0, 0x42800000, v3
	v_and_b32_e32 v0, 0xff, v0
	v_cmp_ne_u32_e32 vcc, 0, v0
	s_andn2_b64 s[14:15], s[14:15], exec
	s_and_b64 s[22:23], vcc, exec
	s_or_b64 s[14:15], s[14:15], s[22:23]
	s_or_b64 exec, exec, s[16:17]
	v_mov_b32_e32 v4, 0
	s_and_saveexec_b64 s[16:17], s[14:15]
	s_cbranch_execnz .LBB183_1511
	s_branch .LBB183_1512
.LBB183_1774:
	s_mov_b64 s[2:3], -1
                                        ; implicit-def: $vgpr3
	s_mov_b64 s[16:17], 0
.LBB183_1775:
	s_and_b64 vcc, exec, s[18:19]
	s_cbranch_vccz .LBB183_1779
; %bb.1776:
	s_cmp_eq_u32 s26, 44
	s_cbranch_scc0 .LBB183_1778
; %bb.1777:
	global_load_ubyte v3, v[18:19], off
	s_movk_i32 s16, 0xff
	v_mov_b32_e32 v8, 0x7e00
	s_mov_b64 s[2:3], 0
	s_waitcnt vmcnt(0)
	v_lshlrev_b32_e32 v5, 23, v3
	v_cvt_f16_f32_e32 v5, v5
	v_cmp_ne_u32_e32 vcc, s16, v3
	s_mov_b64 s[16:17], -1
	v_cndmask_b32_e32 v5, v8, v5, vcc
	v_cmp_ne_u32_e32 vcc, 0, v3
	v_cndmask_b32_e32 v3, 0, v5, vcc
	s_branch .LBB183_1779
.LBB183_1778:
	s_mov_b64 s[2:3], -1
                                        ; implicit-def: $vgpr3
.LBB183_1779:
	s_mov_b64 s[18:19], 0
.LBB183_1780:
	s_and_b64 vcc, exec, s[18:19]
	s_cbranch_vccz .LBB183_1784
; %bb.1781:
	s_cmp_eq_u32 s26, 29
	s_cbranch_scc0 .LBB183_1783
; %bb.1782:
	global_load_dwordx2 v[20:21], v[18:19], off
	s_mov_b64 s[2:3], 0
	s_mov_b64 s[16:17], -1
	s_mov_b64 s[18:19], 0
	s_waitcnt vmcnt(0)
	v_ffbh_u32_e32 v3, v21
	v_min_u32_e32 v3, 32, v3
	v_lshlrev_b64 v[20:21], v3, v[20:21]
	v_sub_u32_e32 v3, 32, v3
	v_min_u32_e32 v5, 1, v20
	v_or_b32_e32 v5, v21, v5
	v_cvt_f32_u32_e32 v5, v5
	v_ldexp_f32 v3, v5, v3
	v_cvt_f16_f32_e32 v3, v3
	s_branch .LBB183_1785
.LBB183_1783:
	s_mov_b64 s[2:3], -1
                                        ; implicit-def: $vgpr3
.LBB183_1784:
	s_mov_b64 s[18:19], 0
.LBB183_1785:
	s_and_b64 vcc, exec, s[18:19]
	s_cbranch_vccz .LBB183_1803
; %bb.1786:
	s_cmp_lt_i32 s26, 27
	s_cbranch_scc1 .LBB183_1789
; %bb.1787:
	s_cmp_gt_i32 s26, 27
	s_cbranch_scc0 .LBB183_1790
; %bb.1788:
	global_load_dword v3, v[18:19], off
	s_mov_b64 s[16:17], 0
	s_waitcnt vmcnt(0)
	v_cvt_f32_u32_e32 v3, v3
	v_cvt_f16_f32_e32 v3, v3
	s_branch .LBB183_1791
.LBB183_1789:
	s_mov_b64 s[16:17], -1
                                        ; implicit-def: $vgpr3
	s_branch .LBB183_1794
.LBB183_1790:
	s_mov_b64 s[16:17], -1
                                        ; implicit-def: $vgpr3
.LBB183_1791:
	s_andn2_b64 vcc, exec, s[16:17]
	s_cbranch_vccnz .LBB183_1793
; %bb.1792:
	global_load_ushort v3, v[18:19], off
	s_waitcnt vmcnt(0)
	v_cvt_f16_u16_e32 v3, v3
.LBB183_1793:
	s_mov_b64 s[16:17], 0
.LBB183_1794:
	s_andn2_b64 vcc, exec, s[16:17]
	s_cbranch_vccnz .LBB183_1802
; %bb.1795:
	global_load_ubyte v5, v[18:19], off
	s_movk_i32 s16, 0x7f
	s_waitcnt vmcnt(0)
	v_cmp_lt_i16_e32 vcc, s16, v5
	s_mov_b64 s[16:17], 0
	s_and_saveexec_b64 s[18:19], vcc
	s_xor_b64 s[18:19], exec, s[18:19]
	s_cbranch_execz .LBB183_1815
; %bb.1796:
	s_movk_i32 s16, 0x80
	v_cmp_eq_u16_e32 vcc, s16, v5
	s_mov_b64 s[16:17], -1
	s_and_saveexec_b64 s[20:21], vcc
; %bb.1797:
	s_xor_b64 s[16:17], exec, -1
; %bb.1798:
	s_or_b64 exec, exec, s[20:21]
	s_and_b64 s[16:17], s[16:17], exec
	s_or_saveexec_b64 s[18:19], s[18:19]
	v_mov_b32_e32 v3, 0x7e00
	s_xor_b64 exec, exec, s[18:19]
	s_cbranch_execnz .LBB183_1816
.LBB183_1799:
	s_or_b64 exec, exec, s[18:19]
	s_and_saveexec_b64 s[18:19], s[16:17]
	s_cbranch_execz .LBB183_1801
.LBB183_1800:
	v_lshlrev_b32_e32 v3, 24, v5
	v_and_b32_e32 v5, 0xffff, v5
	v_and_b32_e32 v8, 7, v5
	v_ffbh_u32_e32 v12, v8
	v_min_u32_e32 v12, 32, v12
	v_subrev_u32_e32 v14, 28, v12
	v_bfe_u32 v10, v5, 3, 4
	v_lshlrev_b32_e32 v5, v14, v5
	v_sub_u32_e32 v12, 29, v12
	v_and_b32_e32 v5, 7, v5
	v_cmp_eq_u32_e32 vcc, 0, v10
	v_cndmask_b32_e32 v10, v10, v12, vcc
	v_cndmask_b32_e32 v5, v8, v5, vcc
	v_mov_b32_e32 v8, 0x3b800000
	v_lshlrev_b32_e32 v5, 20, v5
	v_and_b32_e32 v3, 0x80000000, v3
	v_lshl_add_u32 v8, v10, 23, v8
	v_or3_b32 v3, v3, v8, v5
	v_cvt_f16_f32_e32 v3, v3
.LBB183_1801:
	s_or_b64 exec, exec, s[18:19]
.LBB183_1802:
	s_mov_b64 s[16:17], -1
.LBB183_1803:
	s_branch .LBB183_1836
.LBB183_1804:
	s_cmp_gt_i32 s26, 22
	s_cbranch_scc0 .LBB183_1814
; %bb.1805:
	s_cmp_lt_i32 s26, 24
	s_cbranch_scc1 .LBB183_1817
; %bb.1806:
	s_cmp_gt_i32 s26, 24
	s_cbranch_scc0 .LBB183_1818
; %bb.1807:
	global_load_ubyte v5, v[18:19], off
	s_movk_i32 s4, 0x7f
	s_waitcnt vmcnt(0)
	v_cmp_lt_i16_e32 vcc, s4, v5
	s_mov_b64 s[4:5], 0
	s_and_saveexec_b64 s[16:17], vcc
	s_xor_b64 s[16:17], exec, s[16:17]
	s_cbranch_execz .LBB183_1830
; %bb.1808:
	s_movk_i32 s4, 0x80
	v_cmp_eq_u16_e32 vcc, s4, v5
	s_mov_b64 s[4:5], -1
	s_and_saveexec_b64 s[18:19], vcc
; %bb.1809:
	s_xor_b64 s[4:5], exec, -1
; %bb.1810:
	s_or_b64 exec, exec, s[18:19]
	s_and_b64 s[4:5], s[4:5], exec
	s_or_saveexec_b64 s[16:17], s[16:17]
	v_mov_b32_e32 v3, 0x7e00
	s_xor_b64 exec, exec, s[16:17]
	s_cbranch_execnz .LBB183_1831
.LBB183_1811:
	s_or_b64 exec, exec, s[16:17]
	s_and_saveexec_b64 s[16:17], s[4:5]
	s_cbranch_execz .LBB183_1813
.LBB183_1812:
	v_lshlrev_b32_e32 v3, 24, v5
	v_and_b32_e32 v5, 0xffff, v5
	v_and_b32_e32 v8, 3, v5
	v_ffbh_u32_e32 v12, v8
	v_min_u32_e32 v12, 32, v12
	v_subrev_u32_e32 v14, 29, v12
	v_bfe_u32 v10, v5, 2, 5
	v_lshlrev_b32_e32 v5, v14, v5
	v_sub_u32_e32 v12, 30, v12
	v_and_b32_e32 v5, 3, v5
	v_cmp_eq_u32_e32 vcc, 0, v10
	v_cndmask_b32_e32 v10, v10, v12, vcc
	v_cndmask_b32_e32 v5, v8, v5, vcc
	v_mov_b32_e32 v8, 0x37800000
	v_lshlrev_b32_e32 v5, 21, v5
	v_and_b32_e32 v3, 0x80000000, v3
	v_lshl_add_u32 v8, v10, 23, v8
	v_or3_b32 v3, v3, v8, v5
	v_cvt_f16_f32_e32 v3, v3
.LBB183_1813:
	s_or_b64 exec, exec, s[16:17]
	s_mov_b64 s[4:5], 0
	s_branch .LBB183_1819
.LBB183_1814:
	s_mov_b64 s[4:5], -1
                                        ; implicit-def: $vgpr3
	s_branch .LBB183_1825
.LBB183_1815:
	s_or_saveexec_b64 s[18:19], s[18:19]
	v_mov_b32_e32 v3, 0x7e00
	s_xor_b64 exec, exec, s[18:19]
	s_cbranch_execz .LBB183_1799
.LBB183_1816:
	v_cmp_ne_u16_e32 vcc, 0, v5
	s_andn2_b64 s[16:17], s[16:17], exec
	s_and_b64 s[20:21], vcc, exec
	s_or_b64 s[16:17], s[16:17], s[20:21]
	v_mov_b32_e32 v3, v5
	s_or_b64 exec, exec, s[18:19]
	s_and_saveexec_b64 s[18:19], s[16:17]
	s_cbranch_execnz .LBB183_1800
	s_branch .LBB183_1801
.LBB183_1817:
	s_mov_b64 s[4:5], -1
                                        ; implicit-def: $vgpr3
	s_branch .LBB183_1822
.LBB183_1818:
	s_mov_b64 s[4:5], -1
                                        ; implicit-def: $vgpr3
.LBB183_1819:
	s_and_b64 vcc, exec, s[4:5]
	s_cbranch_vccz .LBB183_1821
; %bb.1820:
	global_load_ubyte v3, v[18:19], off
	s_mov_b32 s4, 0x7f800000
	s_waitcnt vmcnt(0)
	v_lshlrev_b32_e32 v3, 24, v3
	v_and_b32_e32 v5, 0x7f000000, v3
	v_ffbh_u32_e32 v8, v5
	v_min_u32_e32 v8, 32, v8
	v_sub_u32_e64 v8, v8, 4 clamp
	v_lshlrev_b32_e32 v12, v8, v5
	v_lshlrev_b32_e32 v8, 23, v8
	v_lshrrev_b32_e32 v12, 4, v12
	v_add_u32_e32 v10, 0x1000000, v5
	v_sub_u32_e32 v8, v12, v8
	v_ashrrev_i32_e32 v10, 8, v10
	v_add_u32_e32 v8, 0x3c000000, v8
	v_and_or_b32 v8, v10, s4, v8
	v_cmp_ne_u32_e32 vcc, 0, v5
	v_cndmask_b32_e32 v5, 0, v8, vcc
	s_brev_b32 s4, 1
	v_and_or_b32 v3, v3, s4, v5
	v_cvt_f16_f32_e32 v3, v3
.LBB183_1821:
	s_mov_b64 s[4:5], 0
.LBB183_1822:
	s_andn2_b64 vcc, exec, s[4:5]
	s_cbranch_vccnz .LBB183_1824
; %bb.1823:
	global_load_ubyte v3, v[18:19], off
	s_movk_i32 s4, 0x7f00
	s_brev_b32 s5, 16
	s_waitcnt vmcnt(0)
	v_lshlrev_b16_e32 v5, 8, v3
	v_lshlrev_b32_e32 v3, 25, v3
	v_lshrrev_b32_e32 v8, 4, v3
	v_and_or_b32 v10, v5, s4, 0.5
	v_or_b32_e32 v8, 0x70000000, v8
	v_add_f32_e32 v10, -0.5, v10
	v_mul_f32_e32 v8, 0x7800000, v8
	v_cmp_gt_u32_e32 vcc, s5, v3
	v_bfe_i32 v5, v5, 0, 16
	v_cndmask_b32_e32 v3, v8, v10, vcc
	s_brev_b32 s4, 1
	v_and_or_b32 v3, v5, s4, v3
	v_cvt_f16_f32_e32 v3, v3
.LBB183_1824:
	s_mov_b64 s[4:5], 0
	s_mov_b64 s[16:17], -1
.LBB183_1825:
	s_andn2_b64 vcc, exec, s[4:5]
	s_mov_b64 s[4:5], 0
	s_cbranch_vccnz .LBB183_1836
; %bb.1826:
	s_cmp_gt_i32 s26, 14
	s_cbranch_scc0 .LBB183_1829
; %bb.1827:
	s_cmp_eq_u32 s26, 15
	s_cbranch_scc0 .LBB183_1832
; %bb.1828:
	global_load_ushort v3, v[18:19], off
	s_mov_b64 s[2:3], 0
	s_mov_b64 s[16:17], -1
	s_waitcnt vmcnt(0)
	v_lshlrev_b32_e32 v3, 16, v3
	v_cvt_f16_f32_e32 v3, v3
	s_branch .LBB183_1833
.LBB183_1829:
	s_mov_b64 s[18:19], -1
                                        ; implicit-def: $vgpr3
	s_branch .LBB183_1834
.LBB183_1830:
	s_or_saveexec_b64 s[16:17], s[16:17]
	v_mov_b32_e32 v3, 0x7e00
	s_xor_b64 exec, exec, s[16:17]
	s_cbranch_execz .LBB183_1811
.LBB183_1831:
	v_cmp_ne_u16_e32 vcc, 0, v5
	s_andn2_b64 s[4:5], s[4:5], exec
	s_and_b64 s[18:19], vcc, exec
	s_or_b64 s[4:5], s[4:5], s[18:19]
	v_mov_b32_e32 v3, v5
	s_or_b64 exec, exec, s[16:17]
	s_and_saveexec_b64 s[16:17], s[4:5]
	s_cbranch_execnz .LBB183_1812
	s_branch .LBB183_1813
.LBB183_1832:
	s_mov_b64 s[2:3], -1
                                        ; implicit-def: $vgpr3
.LBB183_1833:
	s_mov_b64 s[18:19], 0
.LBB183_1834:
	s_and_b64 vcc, exec, s[18:19]
	s_cbranch_vccz .LBB183_1836
; %bb.1835:
	s_cmp_lg_u32 s26, 11
	s_mov_b64 s[4:5], -1
	s_cselect_b64 s[2:3], -1, 0
.LBB183_1836:
	s_and_b64 vcc, exec, s[2:3]
	s_cbranch_vccnz .LBB183_1899
; %bb.1837:
	s_andn2_b64 vcc, exec, s[4:5]
	s_cbranch_vccnz .LBB183_1839
.LBB183_1838:
	global_load_ubyte v3, v[18:19], off
	v_mov_b32_e32 v5, 0x3c00
	s_mov_b64 s[16:17], -1
	s_waitcnt vmcnt(0)
	v_cmp_ne_u16_e32 vcc, 0, v3
	v_cndmask_b32_e32 v3, 0, v5, vcc
.LBB183_1839:
	s_branch .LBB183_1766
.LBB183_1840:
	s_and_b32 s4, 0xffff, s22
	s_cmp_lt_i32 s4, 5
	s_cbranch_scc1 .LBB183_1845
; %bb.1841:
	s_cmp_lt_i32 s4, 8
	s_cbranch_scc1 .LBB183_1846
; %bb.1842:
	;; [unrolled: 3-line block ×3, first 2 shown]
	s_cmp_gt_i32 s4, 9
	s_cbranch_scc0 .LBB183_1848
; %bb.1844:
	global_load_dwordx2 v[20:21], v[18:19], off
	s_movk_i32 s2, 0x1ff
	s_movk_i32 s3, 0xffe
	v_mov_b32_e32 v3, 0x7c00
	v_mov_b32_e32 v5, 0x7e00
	s_movk_i32 s5, 0x40f
	s_mov_b32 s16, 0x8000
	s_waitcnt vmcnt(0)
	v_and_or_b32 v8, v21, s2, v20
	v_cmp_ne_u32_e32 vcc, 0, v8
	v_lshrrev_b32_e32 v10, 8, v21
	v_bfe_u32 v12, v21, 20, 11
	v_cndmask_b32_e64 v8, 0, 1, vcc
	v_sub_u32_e32 v16, 0x3f1, v12
	v_and_or_b32 v8, v10, s3, v8
	v_add_u32_e32 v12, 0xfffffc10, v12
	v_med3_i32 v10, v16, 0, 13
	v_or_b32_e32 v16, 0x1000, v8
	v_lshl_or_b32 v20, v12, 12, v8
	v_cmp_ne_u32_e32 vcc, 0, v8
	v_lshrrev_b32_e32 v8, v10, v16
	v_lshlrev_b32_e32 v10, v10, v8
	v_cndmask_b32_e32 v5, v3, v5, vcc
	v_cmp_ne_u32_e32 vcc, v10, v16
	v_cndmask_b32_e64 v10, 0, 1, vcc
	v_or_b32_e32 v8, v8, v10
	v_cmp_gt_i32_e32 vcc, 1, v12
	v_cndmask_b32_e32 v8, v20, v8, vcc
	v_and_b32_e32 v10, 7, v8
	v_cmp_lt_i32_e32 vcc, 5, v10
	v_cndmask_b32_e64 v16, 0, 1, vcc
	v_cmp_eq_u32_e32 vcc, 3, v10
	v_cndmask_b32_e64 v10, 0, 1, vcc
	v_lshrrev_b32_e32 v8, 2, v8
	v_or_b32_e32 v10, v10, v16
	v_add_u32_e32 v8, v8, v10
	v_cmp_gt_i32_e32 vcc, 31, v12
	v_cndmask_b32_e32 v3, v3, v8, vcc
	v_cmp_eq_u32_e32 vcc, s5, v12
	v_lshrrev_b32_e32 v14, 16, v21
	v_cndmask_b32_e32 v3, v3, v5, vcc
	v_and_or_b32 v3, v14, s16, v3
	s_mov_b64 s[2:3], 0
	s_branch .LBB183_1849
.LBB183_1845:
                                        ; implicit-def: $vgpr3
	s_branch .LBB183_1867
.LBB183_1846:
	s_mov_b64 s[2:3], -1
                                        ; implicit-def: $vgpr3
	s_branch .LBB183_1855
.LBB183_1847:
	s_mov_b64 s[2:3], -1
                                        ; implicit-def: $vgpr3
	s_branch .LBB183_1852
.LBB183_1848:
	s_mov_b64 s[2:3], -1
                                        ; implicit-def: $vgpr3
.LBB183_1849:
	s_andn2_b64 vcc, exec, s[2:3]
	s_cbranch_vccnz .LBB183_1851
; %bb.1850:
	global_load_dword v3, v[18:19], off
	s_waitcnt vmcnt(0)
	v_cvt_f16_f32_e32 v3, v3
.LBB183_1851:
	s_mov_b64 s[2:3], 0
.LBB183_1852:
	s_andn2_b64 vcc, exec, s[2:3]
	s_cbranch_vccnz .LBB183_1854
; %bb.1853:
	global_load_dword v3, v[18:19], off
.LBB183_1854:
	s_mov_b64 s[2:3], 0
.LBB183_1855:
	s_andn2_b64 vcc, exec, s[2:3]
	s_cbranch_vccnz .LBB183_1866
; %bb.1856:
	s_cmp_lt_i32 s4, 6
	s_cbranch_scc1 .LBB183_1859
; %bb.1857:
	s_cmp_gt_i32 s4, 6
	s_cbranch_scc0 .LBB183_1860
; %bb.1858:
	global_load_dwordx2 v[20:21], v[18:19], off
	s_movk_i32 s2, 0x1ff
	s_movk_i32 s3, 0xffe
	s_waitcnt vmcnt(1)
	v_mov_b32_e32 v3, 0x7c00
	v_mov_b32_e32 v5, 0x7e00
	s_movk_i32 s5, 0x40f
	s_mov_b32 s16, 0x8000
	s_waitcnt vmcnt(0)
	v_and_or_b32 v8, v21, s2, v20
	v_cmp_ne_u32_e32 vcc, 0, v8
	v_lshrrev_b32_e32 v10, 8, v21
	v_bfe_u32 v12, v21, 20, 11
	v_cndmask_b32_e64 v8, 0, 1, vcc
	v_sub_u32_e32 v16, 0x3f1, v12
	v_and_or_b32 v8, v10, s3, v8
	v_add_u32_e32 v12, 0xfffffc10, v12
	v_med3_i32 v10, v16, 0, 13
	v_or_b32_e32 v16, 0x1000, v8
	v_lshl_or_b32 v20, v12, 12, v8
	v_cmp_ne_u32_e32 vcc, 0, v8
	v_lshrrev_b32_e32 v8, v10, v16
	v_lshlrev_b32_e32 v10, v10, v8
	v_cndmask_b32_e32 v5, v3, v5, vcc
	v_cmp_ne_u32_e32 vcc, v10, v16
	v_cndmask_b32_e64 v10, 0, 1, vcc
	v_or_b32_e32 v8, v8, v10
	v_cmp_gt_i32_e32 vcc, 1, v12
	v_cndmask_b32_e32 v8, v20, v8, vcc
	v_and_b32_e32 v10, 7, v8
	v_cmp_lt_i32_e32 vcc, 5, v10
	v_cndmask_b32_e64 v16, 0, 1, vcc
	v_cmp_eq_u32_e32 vcc, 3, v10
	v_cndmask_b32_e64 v10, 0, 1, vcc
	v_lshrrev_b32_e32 v8, 2, v8
	v_or_b32_e32 v10, v10, v16
	v_add_u32_e32 v8, v8, v10
	v_cmp_gt_i32_e32 vcc, 31, v12
	v_cndmask_b32_e32 v3, v3, v8, vcc
	v_cmp_eq_u32_e32 vcc, s5, v12
	v_lshrrev_b32_e32 v14, 16, v21
	v_cndmask_b32_e32 v3, v3, v5, vcc
	v_and_or_b32 v3, v14, s16, v3
	s_mov_b64 s[2:3], 0
	s_branch .LBB183_1861
.LBB183_1859:
	s_mov_b64 s[2:3], -1
                                        ; implicit-def: $vgpr3
	s_branch .LBB183_1864
.LBB183_1860:
	s_mov_b64 s[2:3], -1
                                        ; implicit-def: $vgpr3
.LBB183_1861:
	s_andn2_b64 vcc, exec, s[2:3]
	s_cbranch_vccnz .LBB183_1863
; %bb.1862:
	global_load_dword v3, v[18:19], off
	s_waitcnt vmcnt(0)
	v_cvt_f16_f32_e32 v3, v3
.LBB183_1863:
	s_mov_b64 s[2:3], 0
.LBB183_1864:
	s_andn2_b64 vcc, exec, s[2:3]
	s_cbranch_vccnz .LBB183_1866
; %bb.1865:
	global_load_ushort v3, v[18:19], off
.LBB183_1866:
	s_cbranch_execnz .LBB183_1886
.LBB183_1867:
	s_cmp_lt_i32 s4, 2
	s_cbranch_scc1 .LBB183_1871
; %bb.1868:
	s_cmp_lt_i32 s4, 3
	s_cbranch_scc1 .LBB183_1872
; %bb.1869:
	s_cmp_gt_i32 s4, 3
	s_cbranch_scc0 .LBB183_1873
; %bb.1870:
	global_load_dwordx2 v[20:21], v[18:19], off
	s_mov_b64 s[2:3], 0
	s_waitcnt vmcnt(0)
	v_xor_b32_e32 v5, v20, v21
	v_ffbh_i32_e32 v3, v21
	v_ashrrev_i32_e32 v5, 31, v5
	v_add_u32_e32 v3, -1, v3
	v_add_u32_e32 v5, 32, v5
	v_min_u32_e32 v3, v3, v5
	v_lshlrev_b64 v[20:21], v3, v[20:21]
	v_sub_u32_e32 v3, 32, v3
	v_min_u32_e32 v5, 1, v20
	v_or_b32_e32 v5, v21, v5
	v_cvt_f32_i32_e32 v5, v5
	v_ldexp_f32 v3, v5, v3
	v_cvt_f16_f32_e32 v3, v3
	s_branch .LBB183_1874
.LBB183_1871:
	s_mov_b64 s[2:3], -1
                                        ; implicit-def: $vgpr3
	s_branch .LBB183_1880
.LBB183_1872:
	s_mov_b64 s[2:3], -1
                                        ; implicit-def: $vgpr3
	s_branch .LBB183_1877
.LBB183_1873:
	s_mov_b64 s[2:3], -1
                                        ; implicit-def: $vgpr3
.LBB183_1874:
	s_andn2_b64 vcc, exec, s[2:3]
	s_cbranch_vccnz .LBB183_1876
; %bb.1875:
	global_load_dword v3, v[18:19], off
	s_waitcnt vmcnt(0)
	v_cvt_f32_i32_e32 v3, v3
	v_cvt_f16_f32_e32 v3, v3
.LBB183_1876:
	s_mov_b64 s[2:3], 0
.LBB183_1877:
	s_andn2_b64 vcc, exec, s[2:3]
	s_cbranch_vccnz .LBB183_1879
; %bb.1878:
	global_load_ushort v3, v[18:19], off
	s_waitcnt vmcnt(0)
	v_cvt_f16_i16_e32 v3, v3
.LBB183_1879:
	s_mov_b64 s[2:3], 0
.LBB183_1880:
	s_andn2_b64 vcc, exec, s[2:3]
	s_cbranch_vccnz .LBB183_1886
; %bb.1881:
	s_cmp_gt_i32 s4, 0
	s_cbranch_scc0 .LBB183_1883
; %bb.1882:
	global_load_sbyte v3, v[18:19], off
	s_mov_b64 s[2:3], 0
	s_waitcnt vmcnt(0)
	v_cvt_f16_i16_e32 v3, v3
	s_branch .LBB183_1884
.LBB183_1883:
	s_mov_b64 s[2:3], -1
                                        ; implicit-def: $vgpr3
.LBB183_1884:
	s_andn2_b64 vcc, exec, s[2:3]
	s_cbranch_vccnz .LBB183_1886
; %bb.1885:
	global_load_ubyte v3, v[18:19], off
	s_waitcnt vmcnt(0)
	v_cvt_f16_u16_e32 v3, v3
.LBB183_1886:
.LBB183_1887:
	s_lshr_b32 s2, s23, 8
	v_mov_b32_e32 v5, s11
	s_and_b32 s22, s2, 0xff
	v_add_co_u32_e32 v16, vcc, s10, v17
	s_cmp_lt_i32 s22, 11
	v_addc_co_u32_e32 v17, vcc, 0, v5, vcc
	s_cbranch_scc1 .LBB183_1894
; %bb.1888:
	s_and_b32 s26, 0xffff, s22
	s_cmp_gt_i32 s26, 25
	s_mov_b64 s[4:5], 0
	s_cbranch_scc0 .LBB183_1896
; %bb.1889:
	s_cmp_gt_i32 s26, 28
	s_cbranch_scc0 .LBB183_1897
; %bb.1890:
	s_cmp_gt_i32 s26, 43
	;; [unrolled: 3-line block ×3, first 2 shown]
	s_cbranch_scc0 .LBB183_1900
; %bb.1892:
	s_cmp_eq_u32 s26, 46
	s_mov_b64 s[18:19], 0
	s_cbranch_scc0 .LBB183_1901
; %bb.1893:
	global_load_dword v5, v[16:17], off
	s_mov_b64 s[2:3], 0
	s_mov_b64 s[16:17], -1
	s_waitcnt vmcnt(0)
	v_lshlrev_b32_e32 v5, 16, v5
	v_cvt_f16_f32_e32 v18, v5
	s_branch .LBB183_1902
.LBB183_1894:
	s_mov_b64 s[16:17], 0
                                        ; implicit-def: $vgpr18
	s_cbranch_execnz .LBB183_1968
.LBB183_1895:
	s_andn2_b64 vcc, exec, s[16:17]
	s_cbranch_vccnz .LBB183_3101
	s_branch .LBB183_2016
.LBB183_1896:
	s_mov_b64 s[18:19], -1
	s_mov_b64 s[16:17], 0
	s_mov_b64 s[2:3], 0
                                        ; implicit-def: $vgpr18
	s_branch .LBB183_1931
.LBB183_1897:
	s_mov_b64 s[18:19], -1
	s_mov_b64 s[16:17], 0
	s_mov_b64 s[2:3], 0
                                        ; implicit-def: $vgpr18
	s_branch .LBB183_1912
.LBB183_1898:
	s_mov_b64 s[18:19], -1
	s_mov_b64 s[16:17], 0
	s_mov_b64 s[2:3], 0
                                        ; implicit-def: $vgpr18
	s_branch .LBB183_1907
.LBB183_1899:
	s_trap 2
	s_or_b64 s[14:15], s[14:15], exec
	s_cbranch_execz .LBB183_1838
	s_branch .LBB183_1839
.LBB183_1900:
	s_mov_b64 s[18:19], -1
	s_mov_b64 s[16:17], 0
	s_mov_b64 s[2:3], 0
                                        ; implicit-def: $vgpr18
	s_branch .LBB183_1902
.LBB183_1901:
	s_mov_b64 s[2:3], -1
                                        ; implicit-def: $vgpr18
	s_mov_b64 s[16:17], 0
.LBB183_1902:
	s_and_b64 vcc, exec, s[18:19]
	s_cbranch_vccz .LBB183_1906
; %bb.1903:
	s_cmp_eq_u32 s26, 44
	s_cbranch_scc0 .LBB183_1905
; %bb.1904:
	global_load_ubyte v5, v[16:17], off
	s_movk_i32 s16, 0xff
	v_mov_b32_e32 v10, 0x7e00
	s_mov_b64 s[2:3], 0
	s_waitcnt vmcnt(0)
	v_lshlrev_b32_e32 v8, 23, v5
	v_cvt_f16_f32_e32 v8, v8
	v_cmp_ne_u32_e32 vcc, s16, v5
	s_mov_b64 s[16:17], -1
	v_cndmask_b32_e32 v8, v10, v8, vcc
	v_cmp_ne_u32_e32 vcc, 0, v5
	v_cndmask_b32_e32 v18, 0, v8, vcc
	s_branch .LBB183_1906
.LBB183_1905:
	s_mov_b64 s[2:3], -1
                                        ; implicit-def: $vgpr18
.LBB183_1906:
	s_mov_b64 s[18:19], 0
.LBB183_1907:
	s_and_b64 vcc, exec, s[18:19]
	s_cbranch_vccz .LBB183_1911
; %bb.1908:
	s_cmp_eq_u32 s26, 29
	s_cbranch_scc0 .LBB183_1910
; %bb.1909:
	global_load_dwordx2 v[18:19], v[16:17], off
	s_mov_b64 s[2:3], 0
	s_mov_b64 s[16:17], -1
	s_mov_b64 s[18:19], 0
	s_waitcnt vmcnt(0)
	v_ffbh_u32_e32 v5, v19
	v_min_u32_e32 v5, 32, v5
	v_lshlrev_b64 v[18:19], v5, v[18:19]
	v_sub_u32_e32 v5, 32, v5
	v_min_u32_e32 v8, 1, v18
	v_or_b32_e32 v8, v19, v8
	v_cvt_f32_u32_e32 v8, v8
	v_ldexp_f32 v5, v8, v5
	v_cvt_f16_f32_e32 v18, v5
	s_branch .LBB183_1912
.LBB183_1910:
	s_mov_b64 s[2:3], -1
                                        ; implicit-def: $vgpr18
.LBB183_1911:
	s_mov_b64 s[18:19], 0
.LBB183_1912:
	s_and_b64 vcc, exec, s[18:19]
	s_cbranch_vccz .LBB183_1930
; %bb.1913:
	s_cmp_lt_i32 s26, 27
	s_cbranch_scc1 .LBB183_1916
; %bb.1914:
	s_cmp_gt_i32 s26, 27
	s_cbranch_scc0 .LBB183_1917
; %bb.1915:
	global_load_dword v5, v[16:17], off
	s_mov_b64 s[16:17], 0
	s_waitcnt vmcnt(0)
	v_cvt_f32_u32_e32 v5, v5
	v_cvt_f16_f32_e32 v18, v5
	s_branch .LBB183_1918
.LBB183_1916:
	s_mov_b64 s[16:17], -1
                                        ; implicit-def: $vgpr18
	s_branch .LBB183_1921
.LBB183_1917:
	s_mov_b64 s[16:17], -1
                                        ; implicit-def: $vgpr18
.LBB183_1918:
	s_andn2_b64 vcc, exec, s[16:17]
	s_cbranch_vccnz .LBB183_1920
; %bb.1919:
	global_load_ushort v5, v[16:17], off
	s_waitcnt vmcnt(0)
	v_cvt_f16_u16_e32 v18, v5
.LBB183_1920:
	s_mov_b64 s[16:17], 0
.LBB183_1921:
	s_andn2_b64 vcc, exec, s[16:17]
	s_cbranch_vccnz .LBB183_1929
; %bb.1922:
	global_load_ubyte v5, v[16:17], off
	s_movk_i32 s16, 0x7f
	s_waitcnt vmcnt(0)
	v_cmp_lt_i16_e32 vcc, s16, v5
	s_mov_b64 s[16:17], 0
	s_and_saveexec_b64 s[18:19], vcc
	s_xor_b64 s[18:19], exec, s[18:19]
	s_cbranch_execz .LBB183_1943
; %bb.1923:
	s_movk_i32 s16, 0x80
	v_cmp_eq_u16_e32 vcc, s16, v5
	s_mov_b64 s[16:17], -1
	s_and_saveexec_b64 s[20:21], vcc
; %bb.1924:
	s_xor_b64 s[16:17], exec, -1
; %bb.1925:
	s_or_b64 exec, exec, s[20:21]
	s_and_b64 s[16:17], s[16:17], exec
	s_or_saveexec_b64 s[18:19], s[18:19]
	v_mov_b32_e32 v18, 0x7e00
	s_xor_b64 exec, exec, s[18:19]
	s_cbranch_execnz .LBB183_1944
.LBB183_1926:
	s_or_b64 exec, exec, s[18:19]
	s_and_saveexec_b64 s[18:19], s[16:17]
	s_cbranch_execz .LBB183_1928
.LBB183_1927:
	v_lshlrev_b32_e32 v8, 24, v5
	v_and_b32_e32 v5, 0xffff, v5
	v_and_b32_e32 v10, 7, v5
	v_ffbh_u32_e32 v14, v10
	v_min_u32_e32 v14, 32, v14
	v_subrev_u32_e32 v18, 28, v14
	v_bfe_u32 v12, v5, 3, 4
	v_lshlrev_b32_e32 v5, v18, v5
	v_sub_u32_e32 v14, 29, v14
	v_and_b32_e32 v5, 7, v5
	v_cmp_eq_u32_e32 vcc, 0, v12
	v_cndmask_b32_e32 v12, v12, v14, vcc
	v_cndmask_b32_e32 v5, v10, v5, vcc
	v_mov_b32_e32 v10, 0x3b800000
	v_lshlrev_b32_e32 v5, 20, v5
	v_and_b32_e32 v8, 0x80000000, v8
	v_lshl_add_u32 v10, v12, 23, v10
	v_or3_b32 v5, v8, v10, v5
	v_cvt_f16_f32_e32 v18, v5
.LBB183_1928:
	s_or_b64 exec, exec, s[18:19]
.LBB183_1929:
	s_mov_b64 s[16:17], -1
.LBB183_1930:
	s_mov_b64 s[18:19], 0
.LBB183_1931:
	s_and_b64 vcc, exec, s[18:19]
	s_cbranch_vccz .LBB183_1964
; %bb.1932:
	s_cmp_gt_i32 s26, 22
	s_cbranch_scc0 .LBB183_1942
; %bb.1933:
	s_cmp_lt_i32 s26, 24
	s_cbranch_scc1 .LBB183_1945
; %bb.1934:
	s_cmp_gt_i32 s26, 24
	s_cbranch_scc0 .LBB183_1946
; %bb.1935:
	global_load_ubyte v5, v[16:17], off
	s_movk_i32 s4, 0x7f
	s_waitcnt vmcnt(0)
	v_cmp_lt_i16_e32 vcc, s4, v5
	s_mov_b64 s[4:5], 0
	s_and_saveexec_b64 s[16:17], vcc
	s_xor_b64 s[16:17], exec, s[16:17]
	s_cbranch_execz .LBB183_1958
; %bb.1936:
	s_movk_i32 s4, 0x80
	v_cmp_eq_u16_e32 vcc, s4, v5
	s_mov_b64 s[4:5], -1
	s_and_saveexec_b64 s[18:19], vcc
; %bb.1937:
	s_xor_b64 s[4:5], exec, -1
; %bb.1938:
	s_or_b64 exec, exec, s[18:19]
	s_and_b64 s[4:5], s[4:5], exec
	s_or_saveexec_b64 s[16:17], s[16:17]
	v_mov_b32_e32 v18, 0x7e00
	s_xor_b64 exec, exec, s[16:17]
	s_cbranch_execnz .LBB183_1959
.LBB183_1939:
	s_or_b64 exec, exec, s[16:17]
	s_and_saveexec_b64 s[16:17], s[4:5]
	s_cbranch_execz .LBB183_1941
.LBB183_1940:
	v_lshlrev_b32_e32 v8, 24, v5
	v_and_b32_e32 v5, 0xffff, v5
	v_and_b32_e32 v10, 3, v5
	v_ffbh_u32_e32 v14, v10
	v_min_u32_e32 v14, 32, v14
	v_subrev_u32_e32 v18, 29, v14
	v_bfe_u32 v12, v5, 2, 5
	v_lshlrev_b32_e32 v5, v18, v5
	v_sub_u32_e32 v14, 30, v14
	v_and_b32_e32 v5, 3, v5
	v_cmp_eq_u32_e32 vcc, 0, v12
	v_cndmask_b32_e32 v12, v12, v14, vcc
	v_cndmask_b32_e32 v5, v10, v5, vcc
	v_mov_b32_e32 v10, 0x37800000
	v_lshlrev_b32_e32 v5, 21, v5
	v_and_b32_e32 v8, 0x80000000, v8
	v_lshl_add_u32 v10, v12, 23, v10
	v_or3_b32 v5, v8, v10, v5
	v_cvt_f16_f32_e32 v18, v5
.LBB183_1941:
	s_or_b64 exec, exec, s[16:17]
	s_mov_b64 s[4:5], 0
	s_branch .LBB183_1947
.LBB183_1942:
	s_mov_b64 s[4:5], -1
                                        ; implicit-def: $vgpr18
	s_branch .LBB183_1953
.LBB183_1943:
	s_or_saveexec_b64 s[18:19], s[18:19]
	v_mov_b32_e32 v18, 0x7e00
	s_xor_b64 exec, exec, s[18:19]
	s_cbranch_execz .LBB183_1926
.LBB183_1944:
	v_cmp_ne_u16_e32 vcc, 0, v5
	s_andn2_b64 s[16:17], s[16:17], exec
	s_and_b64 s[20:21], vcc, exec
	s_or_b64 s[16:17], s[16:17], s[20:21]
	v_mov_b32_e32 v18, v5
	s_or_b64 exec, exec, s[18:19]
	s_and_saveexec_b64 s[18:19], s[16:17]
	s_cbranch_execnz .LBB183_1927
	s_branch .LBB183_1928
.LBB183_1945:
	s_mov_b64 s[4:5], -1
                                        ; implicit-def: $vgpr18
	s_branch .LBB183_1950
.LBB183_1946:
	s_mov_b64 s[4:5], -1
                                        ; implicit-def: $vgpr18
.LBB183_1947:
	s_and_b64 vcc, exec, s[4:5]
	s_cbranch_vccz .LBB183_1949
; %bb.1948:
	global_load_ubyte v5, v[16:17], off
	s_mov_b32 s4, 0x7f800000
	s_waitcnt vmcnt(0)
	v_lshlrev_b32_e32 v5, 24, v5
	v_and_b32_e32 v8, 0x7f000000, v5
	v_ffbh_u32_e32 v10, v8
	v_min_u32_e32 v10, 32, v10
	v_sub_u32_e64 v10, v10, 4 clamp
	v_lshlrev_b32_e32 v14, v10, v8
	v_lshlrev_b32_e32 v10, 23, v10
	v_lshrrev_b32_e32 v14, 4, v14
	v_add_u32_e32 v12, 0x1000000, v8
	v_sub_u32_e32 v10, v14, v10
	v_ashrrev_i32_e32 v12, 8, v12
	v_add_u32_e32 v10, 0x3c000000, v10
	v_and_or_b32 v10, v12, s4, v10
	v_cmp_ne_u32_e32 vcc, 0, v8
	v_cndmask_b32_e32 v8, 0, v10, vcc
	s_brev_b32 s4, 1
	v_and_or_b32 v5, v5, s4, v8
	v_cvt_f16_f32_e32 v18, v5
.LBB183_1949:
	s_mov_b64 s[4:5], 0
.LBB183_1950:
	s_andn2_b64 vcc, exec, s[4:5]
	s_cbranch_vccnz .LBB183_1952
; %bb.1951:
	global_load_ubyte v5, v[16:17], off
	s_movk_i32 s4, 0x7f00
	s_brev_b32 s5, 16
	s_waitcnt vmcnt(0)
	v_lshlrev_b16_e32 v8, 8, v5
	v_lshlrev_b32_e32 v5, 25, v5
	v_lshrrev_b32_e32 v10, 4, v5
	v_and_or_b32 v12, v8, s4, 0.5
	v_or_b32_e32 v10, 0x70000000, v10
	v_add_f32_e32 v12, -0.5, v12
	v_mul_f32_e32 v10, 0x7800000, v10
	v_cmp_gt_u32_e32 vcc, s5, v5
	v_bfe_i32 v8, v8, 0, 16
	v_cndmask_b32_e32 v5, v10, v12, vcc
	s_brev_b32 s4, 1
	v_and_or_b32 v5, v8, s4, v5
	v_cvt_f16_f32_e32 v18, v5
.LBB183_1952:
	s_mov_b64 s[4:5], 0
	s_mov_b64 s[16:17], -1
.LBB183_1953:
	s_andn2_b64 vcc, exec, s[4:5]
	s_mov_b64 s[4:5], 0
	s_cbranch_vccnz .LBB183_1964
; %bb.1954:
	s_cmp_gt_i32 s26, 14
	s_cbranch_scc0 .LBB183_1957
; %bb.1955:
	s_cmp_eq_u32 s26, 15
	s_cbranch_scc0 .LBB183_1960
; %bb.1956:
	global_load_ushort v5, v[16:17], off
	s_mov_b64 s[2:3], 0
	s_mov_b64 s[16:17], -1
	s_waitcnt vmcnt(0)
	v_lshlrev_b32_e32 v5, 16, v5
	v_cvt_f16_f32_e32 v18, v5
	s_branch .LBB183_1961
.LBB183_1957:
	s_mov_b64 s[18:19], -1
                                        ; implicit-def: $vgpr18
	s_branch .LBB183_1962
.LBB183_1958:
	s_or_saveexec_b64 s[16:17], s[16:17]
	v_mov_b32_e32 v18, 0x7e00
	s_xor_b64 exec, exec, s[16:17]
	s_cbranch_execz .LBB183_1939
.LBB183_1959:
	v_cmp_ne_u16_e32 vcc, 0, v5
	s_andn2_b64 s[4:5], s[4:5], exec
	s_and_b64 s[18:19], vcc, exec
	s_or_b64 s[4:5], s[4:5], s[18:19]
	v_mov_b32_e32 v18, v5
	s_or_b64 exec, exec, s[16:17]
	s_and_saveexec_b64 s[16:17], s[4:5]
	s_cbranch_execnz .LBB183_1940
	s_branch .LBB183_1941
.LBB183_1960:
	s_mov_b64 s[2:3], -1
                                        ; implicit-def: $vgpr18
.LBB183_1961:
	s_mov_b64 s[18:19], 0
.LBB183_1962:
	s_and_b64 vcc, exec, s[18:19]
	s_cbranch_vccz .LBB183_1964
; %bb.1963:
	s_cmp_lg_u32 s26, 11
	s_mov_b64 s[4:5], -1
	s_cselect_b64 s[2:3], -1, 0
.LBB183_1964:
	s_and_b64 vcc, exec, s[2:3]
	s_cbranch_vccnz .LBB183_2027
; %bb.1965:
	s_andn2_b64 vcc, exec, s[4:5]
	s_cbranch_vccnz .LBB183_1967
.LBB183_1966:
	global_load_ubyte v5, v[16:17], off
	v_mov_b32_e32 v8, 0x3c00
	s_mov_b64 s[16:17], -1
	s_waitcnt vmcnt(0)
	v_cmp_ne_u16_e32 vcc, 0, v5
	v_cndmask_b32_e32 v18, 0, v8, vcc
.LBB183_1967:
	s_branch .LBB183_1895
.LBB183_1968:
	s_and_b32 s4, 0xffff, s22
	s_cmp_lt_i32 s4, 5
	s_cbranch_scc1 .LBB183_1973
; %bb.1969:
	s_cmp_lt_i32 s4, 8
	s_cbranch_scc1 .LBB183_1974
; %bb.1970:
	;; [unrolled: 3-line block ×3, first 2 shown]
	s_cmp_gt_i32 s4, 9
	s_cbranch_scc0 .LBB183_1976
; %bb.1972:
	global_load_dwordx2 v[18:19], v[16:17], off
	s_movk_i32 s2, 0x1ff
	s_movk_i32 s3, 0xffe
	v_mov_b32_e32 v5, 0x7c00
	v_mov_b32_e32 v8, 0x7e00
	s_movk_i32 s5, 0x40f
	s_mov_b32 s16, 0x8000
	s_waitcnt vmcnt(0)
	v_and_or_b32 v10, v19, s2, v18
	v_cmp_ne_u32_e32 vcc, 0, v10
	v_lshrrev_b32_e32 v12, 8, v19
	v_bfe_u32 v14, v19, 20, 11
	v_cndmask_b32_e64 v10, 0, 1, vcc
	v_lshrrev_b32_e32 v18, 16, v19
	v_sub_u32_e32 v19, 0x3f1, v14
	v_and_or_b32 v10, v12, s3, v10
	v_add_u32_e32 v14, 0xfffffc10, v14
	v_med3_i32 v12, v19, 0, 13
	v_or_b32_e32 v19, 0x1000, v10
	v_lshl_or_b32 v20, v14, 12, v10
	v_cmp_ne_u32_e32 vcc, 0, v10
	v_lshrrev_b32_e32 v10, v12, v19
	v_lshlrev_b32_e32 v12, v12, v10
	v_cndmask_b32_e32 v8, v5, v8, vcc
	v_cmp_ne_u32_e32 vcc, v12, v19
	v_cndmask_b32_e64 v12, 0, 1, vcc
	v_or_b32_e32 v10, v10, v12
	v_cmp_gt_i32_e32 vcc, 1, v14
	v_cndmask_b32_e32 v10, v20, v10, vcc
	v_and_b32_e32 v12, 7, v10
	v_cmp_lt_i32_e32 vcc, 5, v12
	v_cndmask_b32_e64 v19, 0, 1, vcc
	v_cmp_eq_u32_e32 vcc, 3, v12
	v_cndmask_b32_e64 v12, 0, 1, vcc
	v_lshrrev_b32_e32 v10, 2, v10
	v_or_b32_e32 v12, v12, v19
	v_add_u32_e32 v10, v10, v12
	v_cmp_gt_i32_e32 vcc, 31, v14
	v_cndmask_b32_e32 v5, v5, v10, vcc
	v_cmp_eq_u32_e32 vcc, s5, v14
	v_cndmask_b32_e32 v5, v5, v8, vcc
	v_and_or_b32 v18, v18, s16, v5
	s_mov_b64 s[2:3], 0
	s_branch .LBB183_1977
.LBB183_1973:
	s_mov_b64 s[2:3], -1
                                        ; implicit-def: $vgpr18
	s_branch .LBB183_1995
.LBB183_1974:
	s_mov_b64 s[2:3], -1
                                        ; implicit-def: $vgpr18
	s_branch .LBB183_1983
.LBB183_1975:
	s_mov_b64 s[2:3], -1
                                        ; implicit-def: $vgpr18
	s_branch .LBB183_1980
.LBB183_1976:
	s_mov_b64 s[2:3], -1
                                        ; implicit-def: $vgpr18
.LBB183_1977:
	s_andn2_b64 vcc, exec, s[2:3]
	s_cbranch_vccnz .LBB183_1979
; %bb.1978:
	global_load_dword v5, v[16:17], off
	s_waitcnt vmcnt(0)
	v_cvt_f16_f32_e32 v18, v5
.LBB183_1979:
	s_mov_b64 s[2:3], 0
.LBB183_1980:
	s_andn2_b64 vcc, exec, s[2:3]
	s_cbranch_vccnz .LBB183_1982
; %bb.1981:
	global_load_dword v18, v[16:17], off
.LBB183_1982:
	s_mov_b64 s[2:3], 0
.LBB183_1983:
	s_andn2_b64 vcc, exec, s[2:3]
	s_cbranch_vccnz .LBB183_1994
; %bb.1984:
	s_cmp_lt_i32 s4, 6
	s_cbranch_scc1 .LBB183_1987
; %bb.1985:
	s_cmp_gt_i32 s4, 6
	s_cbranch_scc0 .LBB183_1988
; %bb.1986:
	global_load_dwordx2 v[18:19], v[16:17], off
	s_movk_i32 s2, 0x1ff
	s_movk_i32 s3, 0xffe
	v_mov_b32_e32 v5, 0x7c00
	v_mov_b32_e32 v8, 0x7e00
	s_movk_i32 s5, 0x40f
	s_mov_b32 s16, 0x8000
	s_waitcnt vmcnt(0)
	v_and_or_b32 v10, v19, s2, v18
	v_cmp_ne_u32_e32 vcc, 0, v10
	v_lshrrev_b32_e32 v12, 8, v19
	v_bfe_u32 v14, v19, 20, 11
	v_cndmask_b32_e64 v10, 0, 1, vcc
	v_lshrrev_b32_e32 v18, 16, v19
	v_sub_u32_e32 v19, 0x3f1, v14
	v_and_or_b32 v10, v12, s3, v10
	v_add_u32_e32 v14, 0xfffffc10, v14
	v_med3_i32 v12, v19, 0, 13
	v_or_b32_e32 v19, 0x1000, v10
	v_lshl_or_b32 v20, v14, 12, v10
	v_cmp_ne_u32_e32 vcc, 0, v10
	v_lshrrev_b32_e32 v10, v12, v19
	v_lshlrev_b32_e32 v12, v12, v10
	v_cndmask_b32_e32 v8, v5, v8, vcc
	v_cmp_ne_u32_e32 vcc, v12, v19
	v_cndmask_b32_e64 v12, 0, 1, vcc
	v_or_b32_e32 v10, v10, v12
	v_cmp_gt_i32_e32 vcc, 1, v14
	v_cndmask_b32_e32 v10, v20, v10, vcc
	v_and_b32_e32 v12, 7, v10
	v_cmp_lt_i32_e32 vcc, 5, v12
	v_cndmask_b32_e64 v19, 0, 1, vcc
	v_cmp_eq_u32_e32 vcc, 3, v12
	v_cndmask_b32_e64 v12, 0, 1, vcc
	v_lshrrev_b32_e32 v10, 2, v10
	v_or_b32_e32 v12, v12, v19
	v_add_u32_e32 v10, v10, v12
	v_cmp_gt_i32_e32 vcc, 31, v14
	v_cndmask_b32_e32 v5, v5, v10, vcc
	v_cmp_eq_u32_e32 vcc, s5, v14
	v_cndmask_b32_e32 v5, v5, v8, vcc
	v_and_or_b32 v18, v18, s16, v5
	s_mov_b64 s[2:3], 0
	s_branch .LBB183_1989
.LBB183_1987:
	s_mov_b64 s[2:3], -1
                                        ; implicit-def: $vgpr18
	s_branch .LBB183_1992
.LBB183_1988:
	s_mov_b64 s[2:3], -1
                                        ; implicit-def: $vgpr18
.LBB183_1989:
	s_andn2_b64 vcc, exec, s[2:3]
	s_cbranch_vccnz .LBB183_1991
; %bb.1990:
	global_load_dword v5, v[16:17], off
	s_waitcnt vmcnt(0)
	v_cvt_f16_f32_e32 v18, v5
.LBB183_1991:
	s_mov_b64 s[2:3], 0
.LBB183_1992:
	s_andn2_b64 vcc, exec, s[2:3]
	s_cbranch_vccnz .LBB183_1994
; %bb.1993:
	global_load_ushort v18, v[16:17], off
.LBB183_1994:
	s_mov_b64 s[2:3], 0
.LBB183_1995:
	s_andn2_b64 vcc, exec, s[2:3]
	s_cbranch_vccnz .LBB183_2015
; %bb.1996:
	s_cmp_lt_i32 s4, 2
	s_cbranch_scc1 .LBB183_2000
; %bb.1997:
	s_cmp_lt_i32 s4, 3
	s_cbranch_scc1 .LBB183_2001
; %bb.1998:
	s_cmp_gt_i32 s4, 3
	s_cbranch_scc0 .LBB183_2002
; %bb.1999:
	global_load_dwordx2 v[18:19], v[16:17], off
	s_mov_b64 s[2:3], 0
	s_waitcnt vmcnt(0)
	v_xor_b32_e32 v8, v18, v19
	v_ffbh_i32_e32 v5, v19
	v_ashrrev_i32_e32 v8, 31, v8
	v_add_u32_e32 v5, -1, v5
	v_add_u32_e32 v8, 32, v8
	v_min_u32_e32 v5, v5, v8
	v_lshlrev_b64 v[18:19], v5, v[18:19]
	v_sub_u32_e32 v5, 32, v5
	v_min_u32_e32 v8, 1, v18
	v_or_b32_e32 v8, v19, v8
	v_cvt_f32_i32_e32 v8, v8
	v_ldexp_f32 v5, v8, v5
	v_cvt_f16_f32_e32 v18, v5
	s_branch .LBB183_2003
.LBB183_2000:
	s_mov_b64 s[2:3], -1
                                        ; implicit-def: $vgpr18
	s_branch .LBB183_2009
.LBB183_2001:
	s_mov_b64 s[2:3], -1
                                        ; implicit-def: $vgpr18
	s_branch .LBB183_2006
.LBB183_2002:
	s_mov_b64 s[2:3], -1
                                        ; implicit-def: $vgpr18
.LBB183_2003:
	s_andn2_b64 vcc, exec, s[2:3]
	s_cbranch_vccnz .LBB183_2005
; %bb.2004:
	global_load_dword v5, v[16:17], off
	s_waitcnt vmcnt(0)
	v_cvt_f32_i32_e32 v5, v5
	v_cvt_f16_f32_e32 v18, v5
.LBB183_2005:
	s_mov_b64 s[2:3], 0
.LBB183_2006:
	s_andn2_b64 vcc, exec, s[2:3]
	s_cbranch_vccnz .LBB183_2008
; %bb.2007:
	global_load_ushort v5, v[16:17], off
	s_waitcnt vmcnt(0)
	v_cvt_f16_i16_e32 v18, v5
.LBB183_2008:
	s_mov_b64 s[2:3], 0
.LBB183_2009:
	s_andn2_b64 vcc, exec, s[2:3]
	s_cbranch_vccnz .LBB183_2015
; %bb.2010:
	s_cmp_gt_i32 s4, 0
	s_cbranch_scc0 .LBB183_2012
; %bb.2011:
	global_load_sbyte v5, v[16:17], off
	s_mov_b64 s[2:3], 0
	s_waitcnt vmcnt(0)
	v_cvt_f16_i16_e32 v18, v5
	s_branch .LBB183_2013
.LBB183_2012:
	s_mov_b64 s[2:3], -1
                                        ; implicit-def: $vgpr18
.LBB183_2013:
	s_andn2_b64 vcc, exec, s[2:3]
	s_cbranch_vccnz .LBB183_2015
; %bb.2014:
	global_load_ubyte v5, v[16:17], off
	s_waitcnt vmcnt(0)
	v_cvt_f16_u16_e32 v18, v5
.LBB183_2015:
.LBB183_2016:
	s_lshr_b32 s2, s23, 16
	v_mov_b32_e32 v5, s1
	s_and_b32 s23, s2, 0xff
	v_add_co_u32_e32 v14, vcc, s0, v15
	s_cmp_lt_i32 s23, 11
	v_addc_co_u32_e32 v15, vcc, 0, v5, vcc
	s_cbranch_scc1 .LBB183_2023
; %bb.2017:
	s_and_b32 s26, 0xffff, s23
	s_cmp_gt_i32 s26, 25
	s_mov_b64 s[4:5], 0
	s_cbranch_scc0 .LBB183_2024
; %bb.2018:
	s_cmp_gt_i32 s26, 28
	s_cbranch_scc0 .LBB183_2025
; %bb.2019:
	s_cmp_gt_i32 s26, 43
	;; [unrolled: 3-line block ×3, first 2 shown]
	s_cbranch_scc0 .LBB183_2028
; %bb.2021:
	s_cmp_eq_u32 s26, 46
	s_mov_b64 s[18:19], 0
	s_cbranch_scc0 .LBB183_2029
; %bb.2022:
	global_load_dword v5, v[14:15], off
	s_mov_b64 s[2:3], 0
	s_mov_b64 s[16:17], -1
	s_waitcnt vmcnt(0)
	v_lshlrev_b32_e32 v5, 16, v5
	v_cvt_f16_f32_e32 v16, v5
	s_branch .LBB183_2030
.LBB183_2023:
	s_mov_b64 s[2:3], -1
	s_mov_b64 s[16:17], 0
                                        ; implicit-def: $vgpr16
	s_branch .LBB183_2096
.LBB183_2024:
	s_mov_b64 s[18:19], -1
	s_mov_b64 s[16:17], 0
	s_mov_b64 s[2:3], 0
                                        ; implicit-def: $vgpr16
	s_branch .LBB183_2059
.LBB183_2025:
	s_mov_b64 s[18:19], -1
	s_mov_b64 s[16:17], 0
	s_mov_b64 s[2:3], 0
                                        ; implicit-def: $vgpr16
	s_branch .LBB183_2040
.LBB183_2026:
	s_mov_b64 s[18:19], -1
	s_mov_b64 s[16:17], 0
	s_mov_b64 s[2:3], 0
                                        ; implicit-def: $vgpr16
	s_branch .LBB183_2035
.LBB183_2027:
	s_trap 2
	s_or_b64 s[14:15], s[14:15], exec
	s_cbranch_execz .LBB183_1966
	s_branch .LBB183_1967
.LBB183_2028:
	s_mov_b64 s[18:19], -1
	s_mov_b64 s[16:17], 0
	s_mov_b64 s[2:3], 0
                                        ; implicit-def: $vgpr16
	s_branch .LBB183_2030
.LBB183_2029:
	s_mov_b64 s[2:3], -1
                                        ; implicit-def: $vgpr16
	s_mov_b64 s[16:17], 0
.LBB183_2030:
	s_and_b64 vcc, exec, s[18:19]
	s_cbranch_vccz .LBB183_2034
; %bb.2031:
	s_cmp_eq_u32 s26, 44
	s_cbranch_scc0 .LBB183_2033
; %bb.2032:
	global_load_ubyte v5, v[14:15], off
	s_movk_i32 s16, 0xff
	v_mov_b32_e32 v10, 0x7e00
	s_mov_b64 s[2:3], 0
	s_waitcnt vmcnt(0)
	v_lshlrev_b32_e32 v8, 23, v5
	v_cvt_f16_f32_e32 v8, v8
	v_cmp_ne_u32_e32 vcc, s16, v5
	s_mov_b64 s[16:17], -1
	v_cndmask_b32_e32 v8, v10, v8, vcc
	v_cmp_ne_u32_e32 vcc, 0, v5
	v_cndmask_b32_e32 v16, 0, v8, vcc
	s_branch .LBB183_2034
.LBB183_2033:
	s_mov_b64 s[2:3], -1
                                        ; implicit-def: $vgpr16
.LBB183_2034:
	s_mov_b64 s[18:19], 0
.LBB183_2035:
	s_and_b64 vcc, exec, s[18:19]
	s_cbranch_vccz .LBB183_2039
; %bb.2036:
	s_cmp_eq_u32 s26, 29
	s_cbranch_scc0 .LBB183_2038
; %bb.2037:
	global_load_dwordx2 v[16:17], v[14:15], off
	s_mov_b64 s[2:3], 0
	s_mov_b64 s[16:17], -1
	s_mov_b64 s[18:19], 0
	s_waitcnt vmcnt(0)
	v_ffbh_u32_e32 v5, v17
	v_min_u32_e32 v5, 32, v5
	v_lshlrev_b64 v[16:17], v5, v[16:17]
	v_sub_u32_e32 v5, 32, v5
	v_min_u32_e32 v8, 1, v16
	v_or_b32_e32 v8, v17, v8
	v_cvt_f32_u32_e32 v8, v8
	v_ldexp_f32 v5, v8, v5
	v_cvt_f16_f32_e32 v16, v5
	s_branch .LBB183_2040
.LBB183_2038:
	s_mov_b64 s[2:3], -1
                                        ; implicit-def: $vgpr16
.LBB183_2039:
	s_mov_b64 s[18:19], 0
.LBB183_2040:
	s_and_b64 vcc, exec, s[18:19]
	s_cbranch_vccz .LBB183_2058
; %bb.2041:
	s_cmp_lt_i32 s26, 27
	s_cbranch_scc1 .LBB183_2044
; %bb.2042:
	s_cmp_gt_i32 s26, 27
	s_cbranch_scc0 .LBB183_2045
; %bb.2043:
	global_load_dword v5, v[14:15], off
	s_mov_b64 s[16:17], 0
	s_waitcnt vmcnt(0)
	v_cvt_f32_u32_e32 v5, v5
	v_cvt_f16_f32_e32 v16, v5
	s_branch .LBB183_2046
.LBB183_2044:
	s_mov_b64 s[16:17], -1
                                        ; implicit-def: $vgpr16
	s_branch .LBB183_2049
.LBB183_2045:
	s_mov_b64 s[16:17], -1
                                        ; implicit-def: $vgpr16
.LBB183_2046:
	s_andn2_b64 vcc, exec, s[16:17]
	s_cbranch_vccnz .LBB183_2048
; %bb.2047:
	global_load_ushort v5, v[14:15], off
	s_waitcnt vmcnt(0)
	v_cvt_f16_u16_e32 v16, v5
.LBB183_2048:
	s_mov_b64 s[16:17], 0
.LBB183_2049:
	s_andn2_b64 vcc, exec, s[16:17]
	s_cbranch_vccnz .LBB183_2057
; %bb.2050:
	global_load_ubyte v5, v[14:15], off
	s_movk_i32 s16, 0x7f
	s_waitcnt vmcnt(0)
	v_cmp_lt_i16_e32 vcc, s16, v5
	s_mov_b64 s[16:17], 0
	s_and_saveexec_b64 s[18:19], vcc
	s_xor_b64 s[18:19], exec, s[18:19]
	s_cbranch_execz .LBB183_2071
; %bb.2051:
	s_movk_i32 s16, 0x80
	v_cmp_eq_u16_e32 vcc, s16, v5
	s_mov_b64 s[16:17], -1
	s_and_saveexec_b64 s[20:21], vcc
; %bb.2052:
	s_xor_b64 s[16:17], exec, -1
; %bb.2053:
	s_or_b64 exec, exec, s[20:21]
	s_and_b64 s[16:17], s[16:17], exec
	s_or_saveexec_b64 s[18:19], s[18:19]
	v_mov_b32_e32 v16, 0x7e00
	s_xor_b64 exec, exec, s[18:19]
	s_cbranch_execnz .LBB183_2072
.LBB183_2054:
	s_or_b64 exec, exec, s[18:19]
	s_and_saveexec_b64 s[18:19], s[16:17]
	s_cbranch_execz .LBB183_2056
.LBB183_2055:
	v_lshlrev_b32_e32 v8, 24, v5
	v_and_b32_e32 v5, 0xffff, v5
	v_and_b32_e32 v10, 7, v5
	v_ffbh_u32_e32 v16, v10
	v_min_u32_e32 v16, 32, v16
	v_subrev_u32_e32 v17, 28, v16
	v_bfe_u32 v12, v5, 3, 4
	v_lshlrev_b32_e32 v5, v17, v5
	v_sub_u32_e32 v16, 29, v16
	v_and_b32_e32 v5, 7, v5
	v_cmp_eq_u32_e32 vcc, 0, v12
	v_cndmask_b32_e32 v12, v12, v16, vcc
	v_cndmask_b32_e32 v5, v10, v5, vcc
	v_mov_b32_e32 v10, 0x3b800000
	v_lshlrev_b32_e32 v5, 20, v5
	v_and_b32_e32 v8, 0x80000000, v8
	v_lshl_add_u32 v10, v12, 23, v10
	v_or3_b32 v5, v8, v10, v5
	v_cvt_f16_f32_e32 v16, v5
.LBB183_2056:
	s_or_b64 exec, exec, s[18:19]
.LBB183_2057:
	s_mov_b64 s[16:17], -1
.LBB183_2058:
	s_mov_b64 s[18:19], 0
.LBB183_2059:
	s_and_b64 vcc, exec, s[18:19]
	s_cbranch_vccz .LBB183_2092
; %bb.2060:
	s_cmp_gt_i32 s26, 22
	s_cbranch_scc0 .LBB183_2070
; %bb.2061:
	s_cmp_lt_i32 s26, 24
	s_cbranch_scc1 .LBB183_2073
; %bb.2062:
	s_cmp_gt_i32 s26, 24
	s_cbranch_scc0 .LBB183_2074
; %bb.2063:
	global_load_ubyte v5, v[14:15], off
	s_movk_i32 s4, 0x7f
	s_waitcnt vmcnt(0)
	v_cmp_lt_i16_e32 vcc, s4, v5
	s_mov_b64 s[4:5], 0
	s_and_saveexec_b64 s[16:17], vcc
	s_xor_b64 s[16:17], exec, s[16:17]
	s_cbranch_execz .LBB183_2086
; %bb.2064:
	s_movk_i32 s4, 0x80
	v_cmp_eq_u16_e32 vcc, s4, v5
	s_mov_b64 s[4:5], -1
	s_and_saveexec_b64 s[18:19], vcc
; %bb.2065:
	s_xor_b64 s[4:5], exec, -1
; %bb.2066:
	s_or_b64 exec, exec, s[18:19]
	s_and_b64 s[4:5], s[4:5], exec
	s_or_saveexec_b64 s[16:17], s[16:17]
	v_mov_b32_e32 v16, 0x7e00
	s_xor_b64 exec, exec, s[16:17]
	s_cbranch_execnz .LBB183_2087
.LBB183_2067:
	s_or_b64 exec, exec, s[16:17]
	s_and_saveexec_b64 s[16:17], s[4:5]
	s_cbranch_execz .LBB183_2069
.LBB183_2068:
	v_lshlrev_b32_e32 v8, 24, v5
	v_and_b32_e32 v5, 0xffff, v5
	v_and_b32_e32 v10, 3, v5
	v_ffbh_u32_e32 v16, v10
	v_min_u32_e32 v16, 32, v16
	v_subrev_u32_e32 v17, 29, v16
	v_bfe_u32 v12, v5, 2, 5
	v_lshlrev_b32_e32 v5, v17, v5
	v_sub_u32_e32 v16, 30, v16
	v_and_b32_e32 v5, 3, v5
	v_cmp_eq_u32_e32 vcc, 0, v12
	v_cndmask_b32_e32 v12, v12, v16, vcc
	v_cndmask_b32_e32 v5, v10, v5, vcc
	v_mov_b32_e32 v10, 0x37800000
	v_lshlrev_b32_e32 v5, 21, v5
	v_and_b32_e32 v8, 0x80000000, v8
	v_lshl_add_u32 v10, v12, 23, v10
	v_or3_b32 v5, v8, v10, v5
	v_cvt_f16_f32_e32 v16, v5
.LBB183_2069:
	s_or_b64 exec, exec, s[16:17]
	s_mov_b64 s[4:5], 0
	s_branch .LBB183_2075
.LBB183_2070:
	s_mov_b64 s[4:5], -1
                                        ; implicit-def: $vgpr16
	s_branch .LBB183_2081
.LBB183_2071:
	s_or_saveexec_b64 s[18:19], s[18:19]
	v_mov_b32_e32 v16, 0x7e00
	s_xor_b64 exec, exec, s[18:19]
	s_cbranch_execz .LBB183_2054
.LBB183_2072:
	v_cmp_ne_u16_e32 vcc, 0, v5
	s_andn2_b64 s[16:17], s[16:17], exec
	s_and_b64 s[20:21], vcc, exec
	s_or_b64 s[16:17], s[16:17], s[20:21]
	v_mov_b32_e32 v16, v5
	s_or_b64 exec, exec, s[18:19]
	s_and_saveexec_b64 s[18:19], s[16:17]
	s_cbranch_execnz .LBB183_2055
	s_branch .LBB183_2056
.LBB183_2073:
	s_mov_b64 s[4:5], -1
                                        ; implicit-def: $vgpr16
	s_branch .LBB183_2078
.LBB183_2074:
	s_mov_b64 s[4:5], -1
                                        ; implicit-def: $vgpr16
.LBB183_2075:
	s_and_b64 vcc, exec, s[4:5]
	s_cbranch_vccz .LBB183_2077
; %bb.2076:
	global_load_ubyte v5, v[14:15], off
	s_mov_b32 s4, 0x7f800000
	s_waitcnt vmcnt(0)
	v_lshlrev_b32_e32 v5, 24, v5
	v_and_b32_e32 v8, 0x7f000000, v5
	v_ffbh_u32_e32 v10, v8
	v_min_u32_e32 v10, 32, v10
	v_sub_u32_e64 v10, v10, 4 clamp
	v_lshlrev_b32_e32 v16, v10, v8
	v_lshlrev_b32_e32 v10, 23, v10
	v_lshrrev_b32_e32 v16, 4, v16
	v_add_u32_e32 v12, 0x1000000, v8
	v_sub_u32_e32 v10, v16, v10
	v_ashrrev_i32_e32 v12, 8, v12
	v_add_u32_e32 v10, 0x3c000000, v10
	v_and_or_b32 v10, v12, s4, v10
	v_cmp_ne_u32_e32 vcc, 0, v8
	v_cndmask_b32_e32 v8, 0, v10, vcc
	s_brev_b32 s4, 1
	v_and_or_b32 v5, v5, s4, v8
	v_cvt_f16_f32_e32 v16, v5
.LBB183_2077:
	s_mov_b64 s[4:5], 0
.LBB183_2078:
	s_andn2_b64 vcc, exec, s[4:5]
	s_cbranch_vccnz .LBB183_2080
; %bb.2079:
	global_load_ubyte v5, v[14:15], off
	s_movk_i32 s4, 0x7f00
	s_brev_b32 s5, 16
	s_waitcnt vmcnt(0)
	v_lshlrev_b16_e32 v8, 8, v5
	v_lshlrev_b32_e32 v5, 25, v5
	v_lshrrev_b32_e32 v10, 4, v5
	v_and_or_b32 v12, v8, s4, 0.5
	v_or_b32_e32 v10, 0x70000000, v10
	v_add_f32_e32 v12, -0.5, v12
	v_mul_f32_e32 v10, 0x7800000, v10
	v_cmp_gt_u32_e32 vcc, s5, v5
	v_bfe_i32 v8, v8, 0, 16
	v_cndmask_b32_e32 v5, v10, v12, vcc
	s_brev_b32 s4, 1
	v_and_or_b32 v5, v8, s4, v5
	v_cvt_f16_f32_e32 v16, v5
.LBB183_2080:
	s_mov_b64 s[4:5], 0
	s_mov_b64 s[16:17], -1
.LBB183_2081:
	s_andn2_b64 vcc, exec, s[4:5]
	s_mov_b64 s[4:5], 0
	s_cbranch_vccnz .LBB183_2092
; %bb.2082:
	s_cmp_gt_i32 s26, 14
	s_cbranch_scc0 .LBB183_2085
; %bb.2083:
	s_cmp_eq_u32 s26, 15
	s_cbranch_scc0 .LBB183_2088
; %bb.2084:
	global_load_ushort v5, v[14:15], off
	s_mov_b64 s[2:3], 0
	s_mov_b64 s[16:17], -1
	s_waitcnt vmcnt(0)
	v_lshlrev_b32_e32 v5, 16, v5
	v_cvt_f16_f32_e32 v16, v5
	s_branch .LBB183_2089
.LBB183_2085:
	s_mov_b64 s[18:19], -1
                                        ; implicit-def: $vgpr16
	s_branch .LBB183_2090
.LBB183_2086:
	s_or_saveexec_b64 s[16:17], s[16:17]
	v_mov_b32_e32 v16, 0x7e00
	s_xor_b64 exec, exec, s[16:17]
	s_cbranch_execz .LBB183_2067
.LBB183_2087:
	v_cmp_ne_u16_e32 vcc, 0, v5
	s_andn2_b64 s[4:5], s[4:5], exec
	s_and_b64 s[18:19], vcc, exec
	s_or_b64 s[4:5], s[4:5], s[18:19]
	v_mov_b32_e32 v16, v5
	s_or_b64 exec, exec, s[16:17]
	s_and_saveexec_b64 s[16:17], s[4:5]
	s_cbranch_execnz .LBB183_2068
	s_branch .LBB183_2069
.LBB183_2088:
	s_mov_b64 s[2:3], -1
                                        ; implicit-def: $vgpr16
.LBB183_2089:
	s_mov_b64 s[18:19], 0
.LBB183_2090:
	s_and_b64 vcc, exec, s[18:19]
	s_cbranch_vccz .LBB183_2092
; %bb.2091:
	s_cmp_lg_u32 s26, 11
	s_mov_b64 s[4:5], -1
	s_cselect_b64 s[2:3], -1, 0
.LBB183_2092:
	s_and_b64 vcc, exec, s[2:3]
	s_cbranch_vccnz .LBB183_2157
; %bb.2093:
	s_andn2_b64 vcc, exec, s[4:5]
	s_cbranch_vccnz .LBB183_2095
.LBB183_2094:
	global_load_ubyte v5, v[14:15], off
	v_mov_b32_e32 v8, 0x3c00
	s_mov_b64 s[16:17], -1
	s_waitcnt vmcnt(0)
	v_cmp_ne_u16_e32 vcc, 0, v5
	v_cndmask_b32_e32 v16, 0, v8, vcc
.LBB183_2095:
	s_mov_b64 s[2:3], 0
.LBB183_2096:
	s_and_b64 vcc, exec, s[2:3]
	s_cbranch_vccz .LBB183_2145
; %bb.2097:
	s_and_b32 s4, 0xffff, s23
	s_cmp_lt_i32 s4, 5
	s_cbranch_scc1 .LBB183_2102
; %bb.2098:
	s_cmp_lt_i32 s4, 8
	s_cbranch_scc1 .LBB183_2103
; %bb.2099:
	;; [unrolled: 3-line block ×3, first 2 shown]
	s_cmp_gt_i32 s4, 9
	s_cbranch_scc0 .LBB183_2105
; %bb.2101:
	global_load_dwordx2 v[16:17], v[14:15], off
	s_movk_i32 s2, 0x1ff
	s_movk_i32 s3, 0xffe
	v_mov_b32_e32 v5, 0x7c00
	v_mov_b32_e32 v8, 0x7e00
	s_movk_i32 s5, 0x40f
	s_mov_b32 s16, 0x8000
	s_waitcnt vmcnt(0)
	v_and_or_b32 v10, v17, s2, v16
	v_cmp_ne_u32_e32 vcc, 0, v10
	v_lshrrev_b32_e32 v12, 8, v17
	v_bfe_u32 v16, v17, 20, 11
	v_cndmask_b32_e64 v10, 0, 1, vcc
	v_sub_u32_e32 v19, 0x3f1, v16
	v_and_or_b32 v10, v12, s3, v10
	v_add_u32_e32 v16, 0xfffffc10, v16
	v_med3_i32 v12, v19, 0, 13
	v_or_b32_e32 v19, 0x1000, v10
	v_lshl_or_b32 v20, v16, 12, v10
	v_cmp_ne_u32_e32 vcc, 0, v10
	v_lshrrev_b32_e32 v10, v12, v19
	v_lshlrev_b32_e32 v12, v12, v10
	v_cndmask_b32_e32 v8, v5, v8, vcc
	v_cmp_ne_u32_e32 vcc, v12, v19
	v_cndmask_b32_e64 v12, 0, 1, vcc
	v_or_b32_e32 v10, v10, v12
	v_cmp_gt_i32_e32 vcc, 1, v16
	v_cndmask_b32_e32 v10, v20, v10, vcc
	v_and_b32_e32 v12, 7, v10
	v_cmp_lt_i32_e32 vcc, 5, v12
	v_cndmask_b32_e64 v19, 0, 1, vcc
	v_cmp_eq_u32_e32 vcc, 3, v12
	v_cndmask_b32_e64 v12, 0, 1, vcc
	v_lshrrev_b32_e32 v10, 2, v10
	v_or_b32_e32 v12, v12, v19
	v_add_u32_e32 v10, v10, v12
	v_cmp_gt_i32_e32 vcc, 31, v16
	v_cndmask_b32_e32 v5, v5, v10, vcc
	v_cmp_eq_u32_e32 vcc, s5, v16
	v_lshrrev_b32_e32 v17, 16, v17
	v_cndmask_b32_e32 v5, v5, v8, vcc
	v_and_or_b32 v16, v17, s16, v5
	s_mov_b64 s[2:3], 0
	s_branch .LBB183_2106
.LBB183_2102:
	s_mov_b64 s[2:3], -1
                                        ; implicit-def: $vgpr16
	s_branch .LBB183_2124
.LBB183_2103:
	s_mov_b64 s[2:3], -1
                                        ; implicit-def: $vgpr16
	s_branch .LBB183_2112
.LBB183_2104:
	s_mov_b64 s[2:3], -1
                                        ; implicit-def: $vgpr16
	s_branch .LBB183_2109
.LBB183_2105:
	s_mov_b64 s[2:3], -1
                                        ; implicit-def: $vgpr16
.LBB183_2106:
	s_andn2_b64 vcc, exec, s[2:3]
	s_cbranch_vccnz .LBB183_2108
; %bb.2107:
	global_load_dword v5, v[14:15], off
	s_waitcnt vmcnt(0)
	v_cvt_f16_f32_e32 v16, v5
.LBB183_2108:
	s_mov_b64 s[2:3], 0
.LBB183_2109:
	s_andn2_b64 vcc, exec, s[2:3]
	s_cbranch_vccnz .LBB183_2111
; %bb.2110:
	global_load_dword v16, v[14:15], off
.LBB183_2111:
	s_mov_b64 s[2:3], 0
.LBB183_2112:
	s_andn2_b64 vcc, exec, s[2:3]
	s_cbranch_vccnz .LBB183_2123
; %bb.2113:
	s_cmp_lt_i32 s4, 6
	s_cbranch_scc1 .LBB183_2116
; %bb.2114:
	s_cmp_gt_i32 s4, 6
	s_cbranch_scc0 .LBB183_2117
; %bb.2115:
	global_load_dwordx2 v[16:17], v[14:15], off
	s_movk_i32 s2, 0x1ff
	s_movk_i32 s3, 0xffe
	v_mov_b32_e32 v5, 0x7c00
	v_mov_b32_e32 v8, 0x7e00
	s_movk_i32 s5, 0x40f
	s_mov_b32 s16, 0x8000
	s_waitcnt vmcnt(0)
	v_and_or_b32 v10, v17, s2, v16
	v_cmp_ne_u32_e32 vcc, 0, v10
	v_lshrrev_b32_e32 v12, 8, v17
	v_bfe_u32 v16, v17, 20, 11
	v_cndmask_b32_e64 v10, 0, 1, vcc
	v_sub_u32_e32 v19, 0x3f1, v16
	v_and_or_b32 v10, v12, s3, v10
	v_add_u32_e32 v16, 0xfffffc10, v16
	v_med3_i32 v12, v19, 0, 13
	v_or_b32_e32 v19, 0x1000, v10
	v_lshl_or_b32 v20, v16, 12, v10
	v_cmp_ne_u32_e32 vcc, 0, v10
	v_lshrrev_b32_e32 v10, v12, v19
	v_lshlrev_b32_e32 v12, v12, v10
	v_cndmask_b32_e32 v8, v5, v8, vcc
	v_cmp_ne_u32_e32 vcc, v12, v19
	v_cndmask_b32_e64 v12, 0, 1, vcc
	v_or_b32_e32 v10, v10, v12
	v_cmp_gt_i32_e32 vcc, 1, v16
	v_cndmask_b32_e32 v10, v20, v10, vcc
	v_and_b32_e32 v12, 7, v10
	v_cmp_lt_i32_e32 vcc, 5, v12
	v_cndmask_b32_e64 v19, 0, 1, vcc
	v_cmp_eq_u32_e32 vcc, 3, v12
	v_cndmask_b32_e64 v12, 0, 1, vcc
	v_lshrrev_b32_e32 v10, 2, v10
	v_or_b32_e32 v12, v12, v19
	v_add_u32_e32 v10, v10, v12
	v_cmp_gt_i32_e32 vcc, 31, v16
	v_cndmask_b32_e32 v5, v5, v10, vcc
	v_cmp_eq_u32_e32 vcc, s5, v16
	v_lshrrev_b32_e32 v17, 16, v17
	v_cndmask_b32_e32 v5, v5, v8, vcc
	v_and_or_b32 v16, v17, s16, v5
	s_mov_b64 s[2:3], 0
	s_branch .LBB183_2118
.LBB183_2116:
	s_mov_b64 s[2:3], -1
                                        ; implicit-def: $vgpr16
	s_branch .LBB183_2121
.LBB183_2117:
	s_mov_b64 s[2:3], -1
                                        ; implicit-def: $vgpr16
.LBB183_2118:
	s_andn2_b64 vcc, exec, s[2:3]
	s_cbranch_vccnz .LBB183_2120
; %bb.2119:
	global_load_dword v5, v[14:15], off
	s_waitcnt vmcnt(0)
	v_cvt_f16_f32_e32 v16, v5
.LBB183_2120:
	s_mov_b64 s[2:3], 0
.LBB183_2121:
	s_andn2_b64 vcc, exec, s[2:3]
	s_cbranch_vccnz .LBB183_2123
; %bb.2122:
	global_load_ushort v16, v[14:15], off
.LBB183_2123:
	s_mov_b64 s[2:3], 0
.LBB183_2124:
	s_andn2_b64 vcc, exec, s[2:3]
	s_cbranch_vccnz .LBB183_2144
; %bb.2125:
	s_cmp_lt_i32 s4, 2
	s_cbranch_scc1 .LBB183_2129
; %bb.2126:
	s_cmp_lt_i32 s4, 3
	s_cbranch_scc1 .LBB183_2130
; %bb.2127:
	s_cmp_gt_i32 s4, 3
	s_cbranch_scc0 .LBB183_2131
; %bb.2128:
	global_load_dwordx2 v[16:17], v[14:15], off
	s_mov_b64 s[2:3], 0
	s_waitcnt vmcnt(0)
	v_xor_b32_e32 v8, v16, v17
	v_ffbh_i32_e32 v5, v17
	v_ashrrev_i32_e32 v8, 31, v8
	v_add_u32_e32 v5, -1, v5
	v_add_u32_e32 v8, 32, v8
	v_min_u32_e32 v5, v5, v8
	v_lshlrev_b64 v[16:17], v5, v[16:17]
	v_sub_u32_e32 v5, 32, v5
	v_min_u32_e32 v8, 1, v16
	v_or_b32_e32 v8, v17, v8
	v_cvt_f32_i32_e32 v8, v8
	v_ldexp_f32 v5, v8, v5
	v_cvt_f16_f32_e32 v16, v5
	s_branch .LBB183_2132
.LBB183_2129:
	s_mov_b64 s[2:3], -1
                                        ; implicit-def: $vgpr16
	s_branch .LBB183_2138
.LBB183_2130:
	s_mov_b64 s[2:3], -1
                                        ; implicit-def: $vgpr16
	s_branch .LBB183_2135
.LBB183_2131:
	s_mov_b64 s[2:3], -1
                                        ; implicit-def: $vgpr16
.LBB183_2132:
	s_andn2_b64 vcc, exec, s[2:3]
	s_cbranch_vccnz .LBB183_2134
; %bb.2133:
	global_load_dword v5, v[14:15], off
	s_waitcnt vmcnt(0)
	v_cvt_f32_i32_e32 v5, v5
	v_cvt_f16_f32_e32 v16, v5
.LBB183_2134:
	s_mov_b64 s[2:3], 0
.LBB183_2135:
	s_andn2_b64 vcc, exec, s[2:3]
	s_cbranch_vccnz .LBB183_2137
; %bb.2136:
	global_load_ushort v5, v[14:15], off
	s_waitcnt vmcnt(0)
	v_cvt_f16_i16_e32 v16, v5
.LBB183_2137:
	s_mov_b64 s[2:3], 0
.LBB183_2138:
	s_andn2_b64 vcc, exec, s[2:3]
	s_cbranch_vccnz .LBB183_2144
; %bb.2139:
	s_cmp_gt_i32 s4, 0
	s_cbranch_scc0 .LBB183_2141
; %bb.2140:
	global_load_sbyte v5, v[14:15], off
	s_mov_b64 s[2:3], 0
	s_waitcnt vmcnt(0)
	v_cvt_f16_i16_e32 v16, v5
	s_branch .LBB183_2142
.LBB183_2141:
	s_mov_b64 s[2:3], -1
                                        ; implicit-def: $vgpr16
.LBB183_2142:
	s_andn2_b64 vcc, exec, s[2:3]
	s_cbranch_vccnz .LBB183_2144
; %bb.2143:
	global_load_ubyte v5, v[14:15], off
	s_waitcnt vmcnt(0)
	v_cvt_f16_u16_e32 v16, v5
.LBB183_2144:
	s_mov_b64 s[16:17], -1
.LBB183_2145:
	s_andn2_b64 vcc, exec, s[16:17]
	s_cbranch_vccnz .LBB183_3101
; %bb.2146:
	v_mov_b32_e32 v5, s11
	v_add_co_u32_e32 v12, vcc, s10, v13
	s_cmp_lt_i32 s22, 11
	v_addc_co_u32_e32 v13, vcc, 0, v5, vcc
	s_cbranch_scc1 .LBB183_2153
; %bb.2147:
	s_and_b32 s26, 0xffff, s22
	s_cmp_gt_i32 s26, 25
	s_mov_b64 s[4:5], 0
	s_cbranch_scc0 .LBB183_2154
; %bb.2148:
	s_cmp_gt_i32 s26, 28
	s_cbranch_scc0 .LBB183_2155
; %bb.2149:
	s_cmp_gt_i32 s26, 43
	;; [unrolled: 3-line block ×3, first 2 shown]
	s_cbranch_scc0 .LBB183_2158
; %bb.2151:
	s_cmp_eq_u32 s26, 46
	s_mov_b64 s[18:19], 0
	s_cbranch_scc0 .LBB183_2159
; %bb.2152:
	global_load_dword v5, v[12:13], off
	s_mov_b64 s[2:3], 0
	s_mov_b64 s[16:17], -1
	s_waitcnt vmcnt(0)
	v_lshlrev_b32_e32 v5, 16, v5
	v_cvt_f16_f32_e32 v14, v5
	s_branch .LBB183_2160
.LBB183_2153:
	s_mov_b64 s[2:3], -1
	s_mov_b64 s[16:17], 0
                                        ; implicit-def: $vgpr14
	s_branch .LBB183_2226
.LBB183_2154:
	s_mov_b64 s[18:19], -1
	s_mov_b64 s[16:17], 0
	s_mov_b64 s[2:3], 0
                                        ; implicit-def: $vgpr14
	s_branch .LBB183_2189
.LBB183_2155:
	s_mov_b64 s[18:19], -1
	s_mov_b64 s[16:17], 0
	s_mov_b64 s[2:3], 0
                                        ; implicit-def: $vgpr14
	s_branch .LBB183_2170
.LBB183_2156:
	s_mov_b64 s[18:19], -1
	s_mov_b64 s[16:17], 0
	s_mov_b64 s[2:3], 0
                                        ; implicit-def: $vgpr14
	s_branch .LBB183_2165
.LBB183_2157:
	s_trap 2
	s_or_b64 s[14:15], s[14:15], exec
	s_cbranch_execz .LBB183_2094
	s_branch .LBB183_2095
.LBB183_2158:
	s_mov_b64 s[18:19], -1
	s_mov_b64 s[16:17], 0
	s_mov_b64 s[2:3], 0
                                        ; implicit-def: $vgpr14
	s_branch .LBB183_2160
.LBB183_2159:
	s_mov_b64 s[2:3], -1
                                        ; implicit-def: $vgpr14
	s_mov_b64 s[16:17], 0
.LBB183_2160:
	s_and_b64 vcc, exec, s[18:19]
	s_cbranch_vccz .LBB183_2164
; %bb.2161:
	s_cmp_eq_u32 s26, 44
	s_cbranch_scc0 .LBB183_2163
; %bb.2162:
	global_load_ubyte v5, v[12:13], off
	s_movk_i32 s16, 0xff
	v_mov_b32_e32 v10, 0x7e00
	s_mov_b64 s[2:3], 0
	s_waitcnt vmcnt(0)
	v_lshlrev_b32_e32 v8, 23, v5
	v_cvt_f16_f32_e32 v8, v8
	v_cmp_ne_u32_e32 vcc, s16, v5
	s_mov_b64 s[16:17], -1
	v_cndmask_b32_e32 v8, v10, v8, vcc
	v_cmp_ne_u32_e32 vcc, 0, v5
	v_cndmask_b32_e32 v14, 0, v8, vcc
	s_branch .LBB183_2164
.LBB183_2163:
	s_mov_b64 s[2:3], -1
                                        ; implicit-def: $vgpr14
.LBB183_2164:
	s_mov_b64 s[18:19], 0
.LBB183_2165:
	s_and_b64 vcc, exec, s[18:19]
	s_cbranch_vccz .LBB183_2169
; %bb.2166:
	s_cmp_eq_u32 s26, 29
	s_cbranch_scc0 .LBB183_2168
; %bb.2167:
	global_load_dwordx2 v[14:15], v[12:13], off
	s_mov_b64 s[2:3], 0
	s_mov_b64 s[16:17], -1
	s_mov_b64 s[18:19], 0
	s_waitcnt vmcnt(0)
	v_ffbh_u32_e32 v5, v15
	v_min_u32_e32 v5, 32, v5
	v_lshlrev_b64 v[14:15], v5, v[14:15]
	v_sub_u32_e32 v5, 32, v5
	v_min_u32_e32 v8, 1, v14
	v_or_b32_e32 v8, v15, v8
	v_cvt_f32_u32_e32 v8, v8
	v_ldexp_f32 v5, v8, v5
	v_cvt_f16_f32_e32 v14, v5
	s_branch .LBB183_2170
.LBB183_2168:
	s_mov_b64 s[2:3], -1
                                        ; implicit-def: $vgpr14
.LBB183_2169:
	s_mov_b64 s[18:19], 0
.LBB183_2170:
	s_and_b64 vcc, exec, s[18:19]
	s_cbranch_vccz .LBB183_2188
; %bb.2171:
	s_cmp_lt_i32 s26, 27
	s_cbranch_scc1 .LBB183_2174
; %bb.2172:
	s_cmp_gt_i32 s26, 27
	s_cbranch_scc0 .LBB183_2175
; %bb.2173:
	global_load_dword v5, v[12:13], off
	s_mov_b64 s[16:17], 0
	s_waitcnt vmcnt(0)
	v_cvt_f32_u32_e32 v5, v5
	v_cvt_f16_f32_e32 v14, v5
	s_branch .LBB183_2176
.LBB183_2174:
	s_mov_b64 s[16:17], -1
                                        ; implicit-def: $vgpr14
	s_branch .LBB183_2179
.LBB183_2175:
	s_mov_b64 s[16:17], -1
                                        ; implicit-def: $vgpr14
.LBB183_2176:
	s_andn2_b64 vcc, exec, s[16:17]
	s_cbranch_vccnz .LBB183_2178
; %bb.2177:
	global_load_ushort v5, v[12:13], off
	s_waitcnt vmcnt(0)
	v_cvt_f16_u16_e32 v14, v5
.LBB183_2178:
	s_mov_b64 s[16:17], 0
.LBB183_2179:
	s_andn2_b64 vcc, exec, s[16:17]
	s_cbranch_vccnz .LBB183_2187
; %bb.2180:
	global_load_ubyte v5, v[12:13], off
	s_movk_i32 s16, 0x7f
	s_waitcnt vmcnt(0)
	v_cmp_lt_i16_e32 vcc, s16, v5
	s_mov_b64 s[16:17], 0
	s_and_saveexec_b64 s[18:19], vcc
	s_xor_b64 s[18:19], exec, s[18:19]
	s_cbranch_execz .LBB183_2201
; %bb.2181:
	s_movk_i32 s16, 0x80
	v_cmp_eq_u16_e32 vcc, s16, v5
	s_mov_b64 s[16:17], -1
	s_and_saveexec_b64 s[20:21], vcc
; %bb.2182:
	s_xor_b64 s[16:17], exec, -1
; %bb.2183:
	s_or_b64 exec, exec, s[20:21]
	s_and_b64 s[16:17], s[16:17], exec
	s_or_saveexec_b64 s[18:19], s[18:19]
	v_mov_b32_e32 v14, 0x7e00
	s_xor_b64 exec, exec, s[18:19]
	s_cbranch_execnz .LBB183_2202
.LBB183_2184:
	s_or_b64 exec, exec, s[18:19]
	s_and_saveexec_b64 s[18:19], s[16:17]
	s_cbranch_execz .LBB183_2186
.LBB183_2185:
	v_lshlrev_b32_e32 v8, 24, v5
	v_and_b32_e32 v5, 0xffff, v5
	v_and_b32_e32 v10, 7, v5
	v_ffbh_u32_e32 v15, v10
	v_min_u32_e32 v15, 32, v15
	v_subrev_u32_e32 v17, 28, v15
	v_bfe_u32 v14, v5, 3, 4
	v_lshlrev_b32_e32 v5, v17, v5
	v_sub_u32_e32 v15, 29, v15
	v_and_b32_e32 v5, 7, v5
	v_cmp_eq_u32_e32 vcc, 0, v14
	v_cndmask_b32_e32 v14, v14, v15, vcc
	v_cndmask_b32_e32 v5, v10, v5, vcc
	v_mov_b32_e32 v10, 0x3b800000
	v_lshlrev_b32_e32 v5, 20, v5
	v_and_b32_e32 v8, 0x80000000, v8
	v_lshl_add_u32 v10, v14, 23, v10
	v_or3_b32 v5, v8, v10, v5
	v_cvt_f16_f32_e32 v14, v5
.LBB183_2186:
	s_or_b64 exec, exec, s[18:19]
.LBB183_2187:
	s_mov_b64 s[16:17], -1
.LBB183_2188:
	s_mov_b64 s[18:19], 0
.LBB183_2189:
	s_and_b64 vcc, exec, s[18:19]
	s_cbranch_vccz .LBB183_2222
; %bb.2190:
	s_cmp_gt_i32 s26, 22
	s_cbranch_scc0 .LBB183_2200
; %bb.2191:
	s_cmp_lt_i32 s26, 24
	s_cbranch_scc1 .LBB183_2203
; %bb.2192:
	s_cmp_gt_i32 s26, 24
	s_cbranch_scc0 .LBB183_2204
; %bb.2193:
	global_load_ubyte v5, v[12:13], off
	s_movk_i32 s4, 0x7f
	s_waitcnt vmcnt(0)
	v_cmp_lt_i16_e32 vcc, s4, v5
	s_mov_b64 s[4:5], 0
	s_and_saveexec_b64 s[16:17], vcc
	s_xor_b64 s[16:17], exec, s[16:17]
	s_cbranch_execz .LBB183_2216
; %bb.2194:
	s_movk_i32 s4, 0x80
	v_cmp_eq_u16_e32 vcc, s4, v5
	s_mov_b64 s[4:5], -1
	s_and_saveexec_b64 s[18:19], vcc
; %bb.2195:
	s_xor_b64 s[4:5], exec, -1
; %bb.2196:
	s_or_b64 exec, exec, s[18:19]
	s_and_b64 s[4:5], s[4:5], exec
	s_or_saveexec_b64 s[16:17], s[16:17]
	v_mov_b32_e32 v14, 0x7e00
	s_xor_b64 exec, exec, s[16:17]
	s_cbranch_execnz .LBB183_2217
.LBB183_2197:
	s_or_b64 exec, exec, s[16:17]
	s_and_saveexec_b64 s[16:17], s[4:5]
	s_cbranch_execz .LBB183_2199
.LBB183_2198:
	v_lshlrev_b32_e32 v8, 24, v5
	v_and_b32_e32 v5, 0xffff, v5
	v_and_b32_e32 v10, 3, v5
	v_ffbh_u32_e32 v15, v10
	v_min_u32_e32 v15, 32, v15
	v_subrev_u32_e32 v17, 29, v15
	v_bfe_u32 v14, v5, 2, 5
	v_lshlrev_b32_e32 v5, v17, v5
	v_sub_u32_e32 v15, 30, v15
	v_and_b32_e32 v5, 3, v5
	v_cmp_eq_u32_e32 vcc, 0, v14
	v_cndmask_b32_e32 v14, v14, v15, vcc
	v_cndmask_b32_e32 v5, v10, v5, vcc
	v_mov_b32_e32 v10, 0x37800000
	v_lshlrev_b32_e32 v5, 21, v5
	v_and_b32_e32 v8, 0x80000000, v8
	v_lshl_add_u32 v10, v14, 23, v10
	v_or3_b32 v5, v8, v10, v5
	v_cvt_f16_f32_e32 v14, v5
.LBB183_2199:
	s_or_b64 exec, exec, s[16:17]
	s_mov_b64 s[4:5], 0
	s_branch .LBB183_2205
.LBB183_2200:
	s_mov_b64 s[4:5], -1
                                        ; implicit-def: $vgpr14
	s_branch .LBB183_2211
.LBB183_2201:
	s_or_saveexec_b64 s[18:19], s[18:19]
	v_mov_b32_e32 v14, 0x7e00
	s_xor_b64 exec, exec, s[18:19]
	s_cbranch_execz .LBB183_2184
.LBB183_2202:
	v_cmp_ne_u16_e32 vcc, 0, v5
	s_andn2_b64 s[16:17], s[16:17], exec
	s_and_b64 s[20:21], vcc, exec
	s_or_b64 s[16:17], s[16:17], s[20:21]
	v_mov_b32_e32 v14, v5
	s_or_b64 exec, exec, s[18:19]
	s_and_saveexec_b64 s[18:19], s[16:17]
	s_cbranch_execnz .LBB183_2185
	s_branch .LBB183_2186
.LBB183_2203:
	s_mov_b64 s[4:5], -1
                                        ; implicit-def: $vgpr14
	s_branch .LBB183_2208
.LBB183_2204:
	s_mov_b64 s[4:5], -1
                                        ; implicit-def: $vgpr14
.LBB183_2205:
	s_and_b64 vcc, exec, s[4:5]
	s_cbranch_vccz .LBB183_2207
; %bb.2206:
	global_load_ubyte v5, v[12:13], off
	s_mov_b32 s4, 0x7f800000
	s_waitcnt vmcnt(0)
	v_lshlrev_b32_e32 v5, 24, v5
	v_and_b32_e32 v8, 0x7f000000, v5
	v_ffbh_u32_e32 v10, v8
	v_min_u32_e32 v10, 32, v10
	v_sub_u32_e64 v10, v10, 4 clamp
	v_lshlrev_b32_e32 v15, v10, v8
	v_lshlrev_b32_e32 v10, 23, v10
	v_lshrrev_b32_e32 v15, 4, v15
	v_add_u32_e32 v14, 0x1000000, v8
	v_sub_u32_e32 v10, v15, v10
	v_ashrrev_i32_e32 v14, 8, v14
	v_add_u32_e32 v10, 0x3c000000, v10
	v_and_or_b32 v10, v14, s4, v10
	v_cmp_ne_u32_e32 vcc, 0, v8
	v_cndmask_b32_e32 v8, 0, v10, vcc
	s_brev_b32 s4, 1
	v_and_or_b32 v5, v5, s4, v8
	v_cvt_f16_f32_e32 v14, v5
.LBB183_2207:
	s_mov_b64 s[4:5], 0
.LBB183_2208:
	s_andn2_b64 vcc, exec, s[4:5]
	s_cbranch_vccnz .LBB183_2210
; %bb.2209:
	global_load_ubyte v5, v[12:13], off
	s_movk_i32 s4, 0x7f00
	s_brev_b32 s5, 16
	s_waitcnt vmcnt(0)
	v_lshlrev_b16_e32 v8, 8, v5
	v_lshlrev_b32_e32 v5, 25, v5
	v_lshrrev_b32_e32 v10, 4, v5
	v_and_or_b32 v14, v8, s4, 0.5
	v_or_b32_e32 v10, 0x70000000, v10
	v_add_f32_e32 v14, -0.5, v14
	v_mul_f32_e32 v10, 0x7800000, v10
	v_cmp_gt_u32_e32 vcc, s5, v5
	v_bfe_i32 v8, v8, 0, 16
	v_cndmask_b32_e32 v5, v10, v14, vcc
	s_brev_b32 s4, 1
	v_and_or_b32 v5, v8, s4, v5
	v_cvt_f16_f32_e32 v14, v5
.LBB183_2210:
	s_mov_b64 s[4:5], 0
	s_mov_b64 s[16:17], -1
.LBB183_2211:
	s_andn2_b64 vcc, exec, s[4:5]
	s_mov_b64 s[4:5], 0
	s_cbranch_vccnz .LBB183_2222
; %bb.2212:
	s_cmp_gt_i32 s26, 14
	s_cbranch_scc0 .LBB183_2215
; %bb.2213:
	s_cmp_eq_u32 s26, 15
	s_cbranch_scc0 .LBB183_2218
; %bb.2214:
	global_load_ushort v5, v[12:13], off
	s_mov_b64 s[2:3], 0
	s_mov_b64 s[16:17], -1
	s_waitcnt vmcnt(0)
	v_lshlrev_b32_e32 v5, 16, v5
	v_cvt_f16_f32_e32 v14, v5
	s_branch .LBB183_2219
.LBB183_2215:
	s_mov_b64 s[18:19], -1
                                        ; implicit-def: $vgpr14
	s_branch .LBB183_2220
.LBB183_2216:
	s_or_saveexec_b64 s[16:17], s[16:17]
	v_mov_b32_e32 v14, 0x7e00
	s_xor_b64 exec, exec, s[16:17]
	s_cbranch_execz .LBB183_2197
.LBB183_2217:
	v_cmp_ne_u16_e32 vcc, 0, v5
	s_andn2_b64 s[4:5], s[4:5], exec
	s_and_b64 s[18:19], vcc, exec
	s_or_b64 s[4:5], s[4:5], s[18:19]
	v_mov_b32_e32 v14, v5
	s_or_b64 exec, exec, s[16:17]
	s_and_saveexec_b64 s[16:17], s[4:5]
	s_cbranch_execnz .LBB183_2198
	s_branch .LBB183_2199
.LBB183_2218:
	s_mov_b64 s[2:3], -1
                                        ; implicit-def: $vgpr14
.LBB183_2219:
	s_mov_b64 s[18:19], 0
.LBB183_2220:
	s_and_b64 vcc, exec, s[18:19]
	s_cbranch_vccz .LBB183_2222
; %bb.2221:
	s_cmp_lg_u32 s26, 11
	s_mov_b64 s[4:5], -1
	s_cselect_b64 s[2:3], -1, 0
.LBB183_2222:
	s_and_b64 vcc, exec, s[2:3]
	s_cbranch_vccnz .LBB183_2287
; %bb.2223:
	s_andn2_b64 vcc, exec, s[4:5]
	s_cbranch_vccnz .LBB183_2225
.LBB183_2224:
	global_load_ubyte v5, v[12:13], off
	v_mov_b32_e32 v8, 0x3c00
	s_mov_b64 s[16:17], -1
	s_waitcnt vmcnt(0)
	v_cmp_ne_u16_e32 vcc, 0, v5
	v_cndmask_b32_e32 v14, 0, v8, vcc
.LBB183_2225:
	s_mov_b64 s[2:3], 0
.LBB183_2226:
	s_and_b64 vcc, exec, s[2:3]
	s_cbranch_vccz .LBB183_2275
; %bb.2227:
	s_and_b32 s4, 0xffff, s22
	s_cmp_lt_i32 s4, 5
	s_cbranch_scc1 .LBB183_2232
; %bb.2228:
	s_cmp_lt_i32 s4, 8
	s_cbranch_scc1 .LBB183_2233
; %bb.2229:
	;; [unrolled: 3-line block ×3, first 2 shown]
	s_cmp_gt_i32 s4, 9
	s_cbranch_scc0 .LBB183_2235
; %bb.2231:
	global_load_dwordx2 v[14:15], v[12:13], off
	s_movk_i32 s2, 0x1ff
	s_movk_i32 s3, 0xffe
	v_mov_b32_e32 v5, 0x7c00
	v_mov_b32_e32 v8, 0x7e00
	s_movk_i32 s5, 0x40f
	s_mov_b32 s16, 0x8000
	s_waitcnt vmcnt(0)
	v_and_or_b32 v10, v15, s2, v14
	v_cmp_ne_u32_e32 vcc, 0, v10
	v_lshrrev_b32_e32 v14, 8, v15
	v_bfe_u32 v17, v15, 20, 11
	v_cndmask_b32_e64 v10, 0, 1, vcc
	v_sub_u32_e32 v19, 0x3f1, v17
	v_and_or_b32 v10, v14, s3, v10
	v_add_u32_e32 v17, 0xfffffc10, v17
	v_med3_i32 v14, v19, 0, 13
	v_or_b32_e32 v19, 0x1000, v10
	v_lshl_or_b32 v20, v17, 12, v10
	v_cmp_ne_u32_e32 vcc, 0, v10
	v_lshrrev_b32_e32 v10, v14, v19
	v_lshlrev_b32_e32 v14, v14, v10
	v_cndmask_b32_e32 v8, v5, v8, vcc
	v_cmp_ne_u32_e32 vcc, v14, v19
	v_cndmask_b32_e64 v14, 0, 1, vcc
	v_or_b32_e32 v10, v10, v14
	v_cmp_gt_i32_e32 vcc, 1, v17
	v_cndmask_b32_e32 v10, v20, v10, vcc
	v_and_b32_e32 v14, 7, v10
	v_cmp_lt_i32_e32 vcc, 5, v14
	v_cndmask_b32_e64 v19, 0, 1, vcc
	v_cmp_eq_u32_e32 vcc, 3, v14
	v_cndmask_b32_e64 v14, 0, 1, vcc
	v_lshrrev_b32_e32 v10, 2, v10
	v_or_b32_e32 v14, v14, v19
	v_add_u32_e32 v10, v10, v14
	v_cmp_gt_i32_e32 vcc, 31, v17
	v_cndmask_b32_e32 v5, v5, v10, vcc
	v_cmp_eq_u32_e32 vcc, s5, v17
	v_lshrrev_b32_e32 v15, 16, v15
	v_cndmask_b32_e32 v5, v5, v8, vcc
	v_and_or_b32 v14, v15, s16, v5
	s_mov_b64 s[2:3], 0
	s_branch .LBB183_2236
.LBB183_2232:
	s_mov_b64 s[2:3], -1
                                        ; implicit-def: $vgpr14
	s_branch .LBB183_2254
.LBB183_2233:
	s_mov_b64 s[2:3], -1
                                        ; implicit-def: $vgpr14
	s_branch .LBB183_2242
.LBB183_2234:
	s_mov_b64 s[2:3], -1
                                        ; implicit-def: $vgpr14
	s_branch .LBB183_2239
.LBB183_2235:
	s_mov_b64 s[2:3], -1
                                        ; implicit-def: $vgpr14
.LBB183_2236:
	s_andn2_b64 vcc, exec, s[2:3]
	s_cbranch_vccnz .LBB183_2238
; %bb.2237:
	global_load_dword v5, v[12:13], off
	s_waitcnt vmcnt(0)
	v_cvt_f16_f32_e32 v14, v5
.LBB183_2238:
	s_mov_b64 s[2:3], 0
.LBB183_2239:
	s_andn2_b64 vcc, exec, s[2:3]
	s_cbranch_vccnz .LBB183_2241
; %bb.2240:
	global_load_dword v14, v[12:13], off
.LBB183_2241:
	s_mov_b64 s[2:3], 0
.LBB183_2242:
	s_andn2_b64 vcc, exec, s[2:3]
	s_cbranch_vccnz .LBB183_2253
; %bb.2243:
	s_cmp_lt_i32 s4, 6
	s_cbranch_scc1 .LBB183_2246
; %bb.2244:
	s_cmp_gt_i32 s4, 6
	s_cbranch_scc0 .LBB183_2247
; %bb.2245:
	global_load_dwordx2 v[14:15], v[12:13], off
	s_movk_i32 s2, 0x1ff
	s_movk_i32 s3, 0xffe
	v_mov_b32_e32 v5, 0x7c00
	v_mov_b32_e32 v8, 0x7e00
	s_movk_i32 s5, 0x40f
	s_mov_b32 s16, 0x8000
	s_waitcnt vmcnt(0)
	v_and_or_b32 v10, v15, s2, v14
	v_cmp_ne_u32_e32 vcc, 0, v10
	v_lshrrev_b32_e32 v14, 8, v15
	v_bfe_u32 v17, v15, 20, 11
	v_cndmask_b32_e64 v10, 0, 1, vcc
	v_sub_u32_e32 v19, 0x3f1, v17
	v_and_or_b32 v10, v14, s3, v10
	v_add_u32_e32 v17, 0xfffffc10, v17
	v_med3_i32 v14, v19, 0, 13
	v_or_b32_e32 v19, 0x1000, v10
	v_lshl_or_b32 v20, v17, 12, v10
	v_cmp_ne_u32_e32 vcc, 0, v10
	v_lshrrev_b32_e32 v10, v14, v19
	v_lshlrev_b32_e32 v14, v14, v10
	v_cndmask_b32_e32 v8, v5, v8, vcc
	v_cmp_ne_u32_e32 vcc, v14, v19
	v_cndmask_b32_e64 v14, 0, 1, vcc
	v_or_b32_e32 v10, v10, v14
	v_cmp_gt_i32_e32 vcc, 1, v17
	v_cndmask_b32_e32 v10, v20, v10, vcc
	v_and_b32_e32 v14, 7, v10
	v_cmp_lt_i32_e32 vcc, 5, v14
	v_cndmask_b32_e64 v19, 0, 1, vcc
	v_cmp_eq_u32_e32 vcc, 3, v14
	v_cndmask_b32_e64 v14, 0, 1, vcc
	v_lshrrev_b32_e32 v10, 2, v10
	v_or_b32_e32 v14, v14, v19
	v_add_u32_e32 v10, v10, v14
	v_cmp_gt_i32_e32 vcc, 31, v17
	v_cndmask_b32_e32 v5, v5, v10, vcc
	v_cmp_eq_u32_e32 vcc, s5, v17
	v_lshrrev_b32_e32 v15, 16, v15
	v_cndmask_b32_e32 v5, v5, v8, vcc
	v_and_or_b32 v14, v15, s16, v5
	s_mov_b64 s[2:3], 0
	s_branch .LBB183_2248
.LBB183_2246:
	s_mov_b64 s[2:3], -1
                                        ; implicit-def: $vgpr14
	s_branch .LBB183_2251
.LBB183_2247:
	s_mov_b64 s[2:3], -1
                                        ; implicit-def: $vgpr14
.LBB183_2248:
	s_andn2_b64 vcc, exec, s[2:3]
	s_cbranch_vccnz .LBB183_2250
; %bb.2249:
	global_load_dword v5, v[12:13], off
	s_waitcnt vmcnt(0)
	v_cvt_f16_f32_e32 v14, v5
.LBB183_2250:
	s_mov_b64 s[2:3], 0
.LBB183_2251:
	s_andn2_b64 vcc, exec, s[2:3]
	s_cbranch_vccnz .LBB183_2253
; %bb.2252:
	global_load_ushort v14, v[12:13], off
.LBB183_2253:
	s_mov_b64 s[2:3], 0
.LBB183_2254:
	s_andn2_b64 vcc, exec, s[2:3]
	s_cbranch_vccnz .LBB183_2274
; %bb.2255:
	s_cmp_lt_i32 s4, 2
	s_cbranch_scc1 .LBB183_2259
; %bb.2256:
	s_cmp_lt_i32 s4, 3
	s_cbranch_scc1 .LBB183_2260
; %bb.2257:
	s_cmp_gt_i32 s4, 3
	s_cbranch_scc0 .LBB183_2261
; %bb.2258:
	global_load_dwordx2 v[14:15], v[12:13], off
	s_mov_b64 s[2:3], 0
	s_waitcnt vmcnt(0)
	v_xor_b32_e32 v8, v14, v15
	v_ffbh_i32_e32 v5, v15
	v_ashrrev_i32_e32 v8, 31, v8
	v_add_u32_e32 v5, -1, v5
	v_add_u32_e32 v8, 32, v8
	v_min_u32_e32 v5, v5, v8
	v_lshlrev_b64 v[14:15], v5, v[14:15]
	v_sub_u32_e32 v5, 32, v5
	v_min_u32_e32 v8, 1, v14
	v_or_b32_e32 v8, v15, v8
	v_cvt_f32_i32_e32 v8, v8
	v_ldexp_f32 v5, v8, v5
	v_cvt_f16_f32_e32 v14, v5
	s_branch .LBB183_2262
.LBB183_2259:
	s_mov_b64 s[2:3], -1
                                        ; implicit-def: $vgpr14
	s_branch .LBB183_2268
.LBB183_2260:
	s_mov_b64 s[2:3], -1
                                        ; implicit-def: $vgpr14
	s_branch .LBB183_2265
.LBB183_2261:
	s_mov_b64 s[2:3], -1
                                        ; implicit-def: $vgpr14
.LBB183_2262:
	s_andn2_b64 vcc, exec, s[2:3]
	s_cbranch_vccnz .LBB183_2264
; %bb.2263:
	global_load_dword v5, v[12:13], off
	s_waitcnt vmcnt(0)
	v_cvt_f32_i32_e32 v5, v5
	v_cvt_f16_f32_e32 v14, v5
.LBB183_2264:
	s_mov_b64 s[2:3], 0
.LBB183_2265:
	s_andn2_b64 vcc, exec, s[2:3]
	s_cbranch_vccnz .LBB183_2267
; %bb.2266:
	global_load_ushort v5, v[12:13], off
	s_waitcnt vmcnt(0)
	v_cvt_f16_i16_e32 v14, v5
.LBB183_2267:
	s_mov_b64 s[2:3], 0
.LBB183_2268:
	s_andn2_b64 vcc, exec, s[2:3]
	s_cbranch_vccnz .LBB183_2274
; %bb.2269:
	s_cmp_gt_i32 s4, 0
	s_cbranch_scc0 .LBB183_2271
; %bb.2270:
	global_load_sbyte v5, v[12:13], off
	s_mov_b64 s[2:3], 0
	s_waitcnt vmcnt(0)
	v_cvt_f16_i16_e32 v14, v5
	s_branch .LBB183_2272
.LBB183_2271:
	s_mov_b64 s[2:3], -1
                                        ; implicit-def: $vgpr14
.LBB183_2272:
	s_andn2_b64 vcc, exec, s[2:3]
	s_cbranch_vccnz .LBB183_2274
; %bb.2273:
	global_load_ubyte v5, v[12:13], off
	s_waitcnt vmcnt(0)
	v_cvt_f16_u16_e32 v14, v5
.LBB183_2274:
	s_mov_b64 s[16:17], -1
.LBB183_2275:
	s_andn2_b64 vcc, exec, s[16:17]
	s_cbranch_vccnz .LBB183_3101
; %bb.2276:
	v_mov_b32_e32 v5, s1
	v_add_co_u32_e32 v10, vcc, s0, v11
	s_cmp_lt_i32 s23, 11
	v_addc_co_u32_e32 v11, vcc, 0, v5, vcc
	s_cbranch_scc1 .LBB183_2283
; %bb.2277:
	s_and_b32 s26, 0xffff, s23
	s_cmp_gt_i32 s26, 25
	s_mov_b64 s[4:5], 0
	s_cbranch_scc0 .LBB183_2284
; %bb.2278:
	s_cmp_gt_i32 s26, 28
	s_cbranch_scc0 .LBB183_2285
; %bb.2279:
	s_cmp_gt_i32 s26, 43
	s_cbranch_scc0 .LBB183_2286
; %bb.2280:
	s_cmp_gt_i32 s26, 45
	s_cbranch_scc0 .LBB183_2288
; %bb.2281:
	s_cmp_eq_u32 s26, 46
	s_mov_b64 s[18:19], 0
	s_cbranch_scc0 .LBB183_2291
; %bb.2282:
	global_load_dword v5, v[10:11], off
	s_mov_b64 s[2:3], 0
	s_mov_b64 s[16:17], -1
	s_waitcnt vmcnt(0)
	v_lshlrev_b32_e32 v5, 16, v5
	v_cvt_f16_f32_e32 v12, v5
	s_branch .LBB183_2292
.LBB183_2283:
	s_mov_b64 s[2:3], -1
	s_mov_b64 s[16:17], 0
                                        ; implicit-def: $vgpr12
	s_branch .LBB183_2358
.LBB183_2284:
	s_mov_b64 s[18:19], -1
	s_mov_b64 s[16:17], 0
	s_mov_b64 s[2:3], 0
                                        ; implicit-def: $vgpr12
	s_branch .LBB183_2321
.LBB183_2285:
	s_mov_b64 s[18:19], -1
	s_mov_b64 s[16:17], 0
	s_mov_b64 s[2:3], 0
                                        ; implicit-def: $vgpr12
	s_branch .LBB183_2302
.LBB183_2286:
	s_mov_b64 s[18:19], -1
	s_mov_b64 s[16:17], 0
	s_mov_b64 s[2:3], 0
                                        ; implicit-def: $vgpr12
	s_branch .LBB183_2297
.LBB183_2287:
	s_trap 2
	s_or_b64 s[14:15], s[14:15], exec
	s_cbranch_execz .LBB183_2224
	s_branch .LBB183_2225
.LBB183_2288:
	s_mov_b64 s[18:19], -1
	s_mov_b64 s[16:17], 0
	s_mov_b64 s[2:3], 0
                                        ; implicit-def: $vgpr12
	s_branch .LBB183_2292
.LBB183_2289:
	s_andn2_saveexec_b64 s[68:69], s[68:69]
	s_cbranch_execz .LBB183_1119
.LBB183_2290:
	v_add_f32_e32 v2, 0x42800000, v3
	v_and_b32_e32 v2, 0xff, v2
	v_cmp_ne_u32_e32 vcc, 0, v2
	s_andn2_b64 s[66:67], s[66:67], exec
	s_and_b64 s[76:77], vcc, exec
	s_or_b64 s[66:67], s[66:67], s[76:77]
	s_or_b64 exec, exec, s[68:69]
	v_mov_b32_e32 v4, 0
	s_and_saveexec_b64 s[68:69], s[66:67]
	s_cbranch_execnz .LBB183_1120
	s_branch .LBB183_1121
.LBB183_2291:
	s_mov_b64 s[2:3], -1
                                        ; implicit-def: $vgpr12
	s_mov_b64 s[16:17], 0
.LBB183_2292:
	s_and_b64 vcc, exec, s[18:19]
	s_cbranch_vccz .LBB183_2296
; %bb.2293:
	s_cmp_eq_u32 s26, 44
	s_cbranch_scc0 .LBB183_2295
; %bb.2294:
	global_load_ubyte v5, v[10:11], off
	s_movk_i32 s16, 0xff
	v_mov_b32_e32 v12, 0x7e00
	s_mov_b64 s[2:3], 0
	s_waitcnt vmcnt(0)
	v_lshlrev_b32_e32 v8, 23, v5
	v_cvt_f16_f32_e32 v8, v8
	v_cmp_ne_u32_e32 vcc, s16, v5
	s_mov_b64 s[16:17], -1
	v_cndmask_b32_e32 v8, v12, v8, vcc
	v_cmp_ne_u32_e32 vcc, 0, v5
	v_cndmask_b32_e32 v12, 0, v8, vcc
	s_branch .LBB183_2296
.LBB183_2295:
	s_mov_b64 s[2:3], -1
                                        ; implicit-def: $vgpr12
.LBB183_2296:
	s_mov_b64 s[18:19], 0
.LBB183_2297:
	s_and_b64 vcc, exec, s[18:19]
	s_cbranch_vccz .LBB183_2301
; %bb.2298:
	s_cmp_eq_u32 s26, 29
	s_cbranch_scc0 .LBB183_2300
; %bb.2299:
	global_load_dwordx2 v[12:13], v[10:11], off
	s_mov_b64 s[2:3], 0
	s_mov_b64 s[16:17], -1
	s_mov_b64 s[18:19], 0
	s_waitcnt vmcnt(0)
	v_ffbh_u32_e32 v5, v13
	v_min_u32_e32 v5, 32, v5
	v_lshlrev_b64 v[12:13], v5, v[12:13]
	v_sub_u32_e32 v5, 32, v5
	v_min_u32_e32 v8, 1, v12
	v_or_b32_e32 v8, v13, v8
	v_cvt_f32_u32_e32 v8, v8
	v_ldexp_f32 v5, v8, v5
	v_cvt_f16_f32_e32 v12, v5
	s_branch .LBB183_2302
.LBB183_2300:
	s_mov_b64 s[2:3], -1
                                        ; implicit-def: $vgpr12
.LBB183_2301:
	s_mov_b64 s[18:19], 0
.LBB183_2302:
	s_and_b64 vcc, exec, s[18:19]
	s_cbranch_vccz .LBB183_2320
; %bb.2303:
	s_cmp_lt_i32 s26, 27
	s_cbranch_scc1 .LBB183_2306
; %bb.2304:
	s_cmp_gt_i32 s26, 27
	s_cbranch_scc0 .LBB183_2307
; %bb.2305:
	global_load_dword v5, v[10:11], off
	s_mov_b64 s[16:17], 0
	s_waitcnt vmcnt(0)
	v_cvt_f32_u32_e32 v5, v5
	v_cvt_f16_f32_e32 v12, v5
	s_branch .LBB183_2308
.LBB183_2306:
	s_mov_b64 s[16:17], -1
                                        ; implicit-def: $vgpr12
	s_branch .LBB183_2311
.LBB183_2307:
	s_mov_b64 s[16:17], -1
                                        ; implicit-def: $vgpr12
.LBB183_2308:
	s_andn2_b64 vcc, exec, s[16:17]
	s_cbranch_vccnz .LBB183_2310
; %bb.2309:
	global_load_ushort v5, v[10:11], off
	s_waitcnt vmcnt(0)
	v_cvt_f16_u16_e32 v12, v5
.LBB183_2310:
	s_mov_b64 s[16:17], 0
.LBB183_2311:
	s_andn2_b64 vcc, exec, s[16:17]
	s_cbranch_vccnz .LBB183_2319
; %bb.2312:
	global_load_ubyte v5, v[10:11], off
	s_movk_i32 s16, 0x7f
	s_waitcnt vmcnt(0)
	v_cmp_lt_i16_e32 vcc, s16, v5
	s_mov_b64 s[16:17], 0
	s_and_saveexec_b64 s[18:19], vcc
	s_xor_b64 s[18:19], exec, s[18:19]
	s_cbranch_execz .LBB183_2333
; %bb.2313:
	s_movk_i32 s16, 0x80
	v_cmp_eq_u16_e32 vcc, s16, v5
	s_mov_b64 s[16:17], -1
	s_and_saveexec_b64 s[20:21], vcc
; %bb.2314:
	s_xor_b64 s[16:17], exec, -1
; %bb.2315:
	s_or_b64 exec, exec, s[20:21]
	s_and_b64 s[16:17], s[16:17], exec
	s_or_saveexec_b64 s[18:19], s[18:19]
	v_mov_b32_e32 v12, 0x7e00
	s_xor_b64 exec, exec, s[18:19]
	s_cbranch_execnz .LBB183_2334
.LBB183_2316:
	s_or_b64 exec, exec, s[18:19]
	s_and_saveexec_b64 s[18:19], s[16:17]
	s_cbranch_execz .LBB183_2318
.LBB183_2317:
	v_lshlrev_b32_e32 v8, 24, v5
	v_and_b32_e32 v5, 0xffff, v5
	v_and_b32_e32 v12, 7, v5
	v_ffbh_u32_e32 v15, v12
	v_min_u32_e32 v15, 32, v15
	v_subrev_u32_e32 v17, 28, v15
	v_bfe_u32 v13, v5, 3, 4
	v_lshlrev_b32_e32 v5, v17, v5
	v_sub_u32_e32 v15, 29, v15
	v_and_b32_e32 v5, 7, v5
	v_cmp_eq_u32_e32 vcc, 0, v13
	v_cndmask_b32_e32 v13, v13, v15, vcc
	v_cndmask_b32_e32 v5, v12, v5, vcc
	v_mov_b32_e32 v12, 0x3b800000
	v_lshlrev_b32_e32 v5, 20, v5
	v_and_b32_e32 v8, 0x80000000, v8
	v_lshl_add_u32 v12, v13, 23, v12
	v_or3_b32 v5, v8, v12, v5
	v_cvt_f16_f32_e32 v12, v5
.LBB183_2318:
	s_or_b64 exec, exec, s[18:19]
.LBB183_2319:
	s_mov_b64 s[16:17], -1
.LBB183_2320:
	s_mov_b64 s[18:19], 0
.LBB183_2321:
	s_and_b64 vcc, exec, s[18:19]
	s_cbranch_vccz .LBB183_2354
; %bb.2322:
	s_cmp_gt_i32 s26, 22
	s_cbranch_scc0 .LBB183_2332
; %bb.2323:
	s_cmp_lt_i32 s26, 24
	s_cbranch_scc1 .LBB183_2335
; %bb.2324:
	s_cmp_gt_i32 s26, 24
	s_cbranch_scc0 .LBB183_2336
; %bb.2325:
	global_load_ubyte v5, v[10:11], off
	s_movk_i32 s4, 0x7f
	s_waitcnt vmcnt(0)
	v_cmp_lt_i16_e32 vcc, s4, v5
	s_mov_b64 s[4:5], 0
	s_and_saveexec_b64 s[16:17], vcc
	s_xor_b64 s[16:17], exec, s[16:17]
	s_cbranch_execz .LBB183_2348
; %bb.2326:
	s_movk_i32 s4, 0x80
	v_cmp_eq_u16_e32 vcc, s4, v5
	s_mov_b64 s[4:5], -1
	s_and_saveexec_b64 s[18:19], vcc
; %bb.2327:
	s_xor_b64 s[4:5], exec, -1
; %bb.2328:
	s_or_b64 exec, exec, s[18:19]
	s_and_b64 s[4:5], s[4:5], exec
	s_or_saveexec_b64 s[16:17], s[16:17]
	v_mov_b32_e32 v12, 0x7e00
	s_xor_b64 exec, exec, s[16:17]
	s_cbranch_execnz .LBB183_2349
.LBB183_2329:
	s_or_b64 exec, exec, s[16:17]
	s_and_saveexec_b64 s[16:17], s[4:5]
	s_cbranch_execz .LBB183_2331
.LBB183_2330:
	v_lshlrev_b32_e32 v8, 24, v5
	v_and_b32_e32 v5, 0xffff, v5
	v_and_b32_e32 v12, 3, v5
	v_ffbh_u32_e32 v15, v12
	v_min_u32_e32 v15, 32, v15
	v_subrev_u32_e32 v17, 29, v15
	v_bfe_u32 v13, v5, 2, 5
	v_lshlrev_b32_e32 v5, v17, v5
	v_sub_u32_e32 v15, 30, v15
	v_and_b32_e32 v5, 3, v5
	v_cmp_eq_u32_e32 vcc, 0, v13
	v_cndmask_b32_e32 v13, v13, v15, vcc
	v_cndmask_b32_e32 v5, v12, v5, vcc
	v_mov_b32_e32 v12, 0x37800000
	v_lshlrev_b32_e32 v5, 21, v5
	v_and_b32_e32 v8, 0x80000000, v8
	v_lshl_add_u32 v12, v13, 23, v12
	v_or3_b32 v5, v8, v12, v5
	v_cvt_f16_f32_e32 v12, v5
.LBB183_2331:
	s_or_b64 exec, exec, s[16:17]
	s_mov_b64 s[4:5], 0
	s_branch .LBB183_2337
.LBB183_2332:
	s_mov_b64 s[4:5], -1
                                        ; implicit-def: $vgpr12
	s_branch .LBB183_2343
.LBB183_2333:
	s_or_saveexec_b64 s[18:19], s[18:19]
	v_mov_b32_e32 v12, 0x7e00
	s_xor_b64 exec, exec, s[18:19]
	s_cbranch_execz .LBB183_2316
.LBB183_2334:
	v_cmp_ne_u16_e32 vcc, 0, v5
	s_andn2_b64 s[16:17], s[16:17], exec
	s_and_b64 s[20:21], vcc, exec
	s_or_b64 s[16:17], s[16:17], s[20:21]
	v_mov_b32_e32 v12, v5
	s_or_b64 exec, exec, s[18:19]
	s_and_saveexec_b64 s[18:19], s[16:17]
	s_cbranch_execnz .LBB183_2317
	s_branch .LBB183_2318
.LBB183_2335:
	s_mov_b64 s[4:5], -1
                                        ; implicit-def: $vgpr12
	s_branch .LBB183_2340
.LBB183_2336:
	s_mov_b64 s[4:5], -1
                                        ; implicit-def: $vgpr12
.LBB183_2337:
	s_and_b64 vcc, exec, s[4:5]
	s_cbranch_vccz .LBB183_2339
; %bb.2338:
	global_load_ubyte v5, v[10:11], off
	s_mov_b32 s4, 0x7f800000
	s_waitcnt vmcnt(0)
	v_lshlrev_b32_e32 v5, 24, v5
	v_and_b32_e32 v8, 0x7f000000, v5
	v_ffbh_u32_e32 v12, v8
	v_min_u32_e32 v12, 32, v12
	v_sub_u32_e64 v12, v12, 4 clamp
	v_lshlrev_b32_e32 v15, v12, v8
	v_lshlrev_b32_e32 v12, 23, v12
	v_lshrrev_b32_e32 v15, 4, v15
	v_add_u32_e32 v13, 0x1000000, v8
	v_sub_u32_e32 v12, v15, v12
	v_ashrrev_i32_e32 v13, 8, v13
	v_add_u32_e32 v12, 0x3c000000, v12
	v_and_or_b32 v12, v13, s4, v12
	v_cmp_ne_u32_e32 vcc, 0, v8
	v_cndmask_b32_e32 v8, 0, v12, vcc
	s_brev_b32 s4, 1
	v_and_or_b32 v5, v5, s4, v8
	v_cvt_f16_f32_e32 v12, v5
.LBB183_2339:
	s_mov_b64 s[4:5], 0
.LBB183_2340:
	s_andn2_b64 vcc, exec, s[4:5]
	s_cbranch_vccnz .LBB183_2342
; %bb.2341:
	global_load_ubyte v5, v[10:11], off
	s_movk_i32 s4, 0x7f00
	s_brev_b32 s5, 16
	s_waitcnt vmcnt(0)
	v_lshlrev_b16_e32 v8, 8, v5
	v_lshlrev_b32_e32 v5, 25, v5
	v_lshrrev_b32_e32 v12, 4, v5
	v_and_or_b32 v13, v8, s4, 0.5
	v_or_b32_e32 v12, 0x70000000, v12
	v_add_f32_e32 v13, -0.5, v13
	v_mul_f32_e32 v12, 0x7800000, v12
	v_cmp_gt_u32_e32 vcc, s5, v5
	v_bfe_i32 v8, v8, 0, 16
	v_cndmask_b32_e32 v5, v12, v13, vcc
	s_brev_b32 s4, 1
	v_and_or_b32 v5, v8, s4, v5
	v_cvt_f16_f32_e32 v12, v5
.LBB183_2342:
	s_mov_b64 s[4:5], 0
	s_mov_b64 s[16:17], -1
.LBB183_2343:
	s_andn2_b64 vcc, exec, s[4:5]
	s_mov_b64 s[4:5], 0
	s_cbranch_vccnz .LBB183_2354
; %bb.2344:
	s_cmp_gt_i32 s26, 14
	s_cbranch_scc0 .LBB183_2347
; %bb.2345:
	s_cmp_eq_u32 s26, 15
	s_cbranch_scc0 .LBB183_2350
; %bb.2346:
	global_load_ushort v5, v[10:11], off
	s_mov_b64 s[2:3], 0
	s_mov_b64 s[16:17], -1
	s_waitcnt vmcnt(0)
	v_lshlrev_b32_e32 v5, 16, v5
	v_cvt_f16_f32_e32 v12, v5
	s_branch .LBB183_2351
.LBB183_2347:
	s_mov_b64 s[18:19], -1
                                        ; implicit-def: $vgpr12
	s_branch .LBB183_2352
.LBB183_2348:
	s_or_saveexec_b64 s[16:17], s[16:17]
	v_mov_b32_e32 v12, 0x7e00
	s_xor_b64 exec, exec, s[16:17]
	s_cbranch_execz .LBB183_2329
.LBB183_2349:
	v_cmp_ne_u16_e32 vcc, 0, v5
	s_andn2_b64 s[4:5], s[4:5], exec
	s_and_b64 s[18:19], vcc, exec
	s_or_b64 s[4:5], s[4:5], s[18:19]
	v_mov_b32_e32 v12, v5
	s_or_b64 exec, exec, s[16:17]
	s_and_saveexec_b64 s[16:17], s[4:5]
	s_cbranch_execnz .LBB183_2330
	s_branch .LBB183_2331
.LBB183_2350:
	s_mov_b64 s[2:3], -1
                                        ; implicit-def: $vgpr12
.LBB183_2351:
	s_mov_b64 s[18:19], 0
.LBB183_2352:
	s_and_b64 vcc, exec, s[18:19]
	s_cbranch_vccz .LBB183_2354
; %bb.2353:
	s_cmp_lg_u32 s26, 11
	s_mov_b64 s[4:5], -1
	s_cselect_b64 s[2:3], -1, 0
.LBB183_2354:
	s_and_b64 vcc, exec, s[2:3]
	s_cbranch_vccnz .LBB183_2419
; %bb.2355:
	s_andn2_b64 vcc, exec, s[4:5]
	s_cbranch_vccnz .LBB183_2357
.LBB183_2356:
	global_load_ubyte v5, v[10:11], off
	v_mov_b32_e32 v8, 0x3c00
	s_mov_b64 s[16:17], -1
	s_waitcnt vmcnt(0)
	v_cmp_ne_u16_e32 vcc, 0, v5
	v_cndmask_b32_e32 v12, 0, v8, vcc
.LBB183_2357:
	s_mov_b64 s[2:3], 0
.LBB183_2358:
	s_and_b64 vcc, exec, s[2:3]
	s_cbranch_vccz .LBB183_2407
; %bb.2359:
	s_and_b32 s4, 0xffff, s23
	s_cmp_lt_i32 s4, 5
	s_cbranch_scc1 .LBB183_2364
; %bb.2360:
	s_cmp_lt_i32 s4, 8
	s_cbranch_scc1 .LBB183_2365
; %bb.2361:
	;; [unrolled: 3-line block ×3, first 2 shown]
	s_cmp_gt_i32 s4, 9
	s_cbranch_scc0 .LBB183_2367
; %bb.2363:
	global_load_dwordx2 v[12:13], v[10:11], off
	s_movk_i32 s2, 0x1ff
	s_movk_i32 s3, 0xffe
	v_mov_b32_e32 v5, 0x7c00
	v_mov_b32_e32 v8, 0x7e00
	s_movk_i32 s5, 0x40f
	s_mov_b32 s16, 0x8000
	s_waitcnt vmcnt(0)
	v_and_or_b32 v12, v13, s2, v12
	v_cmp_ne_u32_e32 vcc, 0, v12
	v_lshrrev_b32_e32 v15, 8, v13
	v_bfe_u32 v17, v13, 20, 11
	v_cndmask_b32_e64 v12, 0, 1, vcc
	v_sub_u32_e32 v19, 0x3f1, v17
	v_and_or_b32 v12, v15, s3, v12
	v_add_u32_e32 v17, 0xfffffc10, v17
	v_med3_i32 v15, v19, 0, 13
	v_or_b32_e32 v19, 0x1000, v12
	v_lshl_or_b32 v20, v17, 12, v12
	v_cmp_ne_u32_e32 vcc, 0, v12
	v_lshrrev_b32_e32 v12, v15, v19
	v_lshlrev_b32_e32 v15, v15, v12
	v_cndmask_b32_e32 v8, v5, v8, vcc
	v_cmp_ne_u32_e32 vcc, v15, v19
	v_cndmask_b32_e64 v15, 0, 1, vcc
	v_or_b32_e32 v12, v12, v15
	v_cmp_gt_i32_e32 vcc, 1, v17
	v_cndmask_b32_e32 v12, v20, v12, vcc
	v_and_b32_e32 v15, 7, v12
	v_cmp_lt_i32_e32 vcc, 5, v15
	v_cndmask_b32_e64 v19, 0, 1, vcc
	v_cmp_eq_u32_e32 vcc, 3, v15
	v_cndmask_b32_e64 v15, 0, 1, vcc
	v_lshrrev_b32_e32 v12, 2, v12
	v_or_b32_e32 v15, v15, v19
	v_add_u32_e32 v12, v12, v15
	v_cmp_gt_i32_e32 vcc, 31, v17
	v_cndmask_b32_e32 v5, v5, v12, vcc
	v_cmp_eq_u32_e32 vcc, s5, v17
	v_lshrrev_b32_e32 v13, 16, v13
	v_cndmask_b32_e32 v5, v5, v8, vcc
	v_and_or_b32 v12, v13, s16, v5
	s_mov_b64 s[2:3], 0
	s_branch .LBB183_2368
.LBB183_2364:
	s_mov_b64 s[2:3], -1
                                        ; implicit-def: $vgpr12
	s_branch .LBB183_2386
.LBB183_2365:
	s_mov_b64 s[2:3], -1
                                        ; implicit-def: $vgpr12
	s_branch .LBB183_2374
.LBB183_2366:
	s_mov_b64 s[2:3], -1
                                        ; implicit-def: $vgpr12
	s_branch .LBB183_2371
.LBB183_2367:
	s_mov_b64 s[2:3], -1
                                        ; implicit-def: $vgpr12
.LBB183_2368:
	s_andn2_b64 vcc, exec, s[2:3]
	s_cbranch_vccnz .LBB183_2370
; %bb.2369:
	global_load_dword v5, v[10:11], off
	s_waitcnt vmcnt(0)
	v_cvt_f16_f32_e32 v12, v5
.LBB183_2370:
	s_mov_b64 s[2:3], 0
.LBB183_2371:
	s_andn2_b64 vcc, exec, s[2:3]
	s_cbranch_vccnz .LBB183_2373
; %bb.2372:
	global_load_dword v12, v[10:11], off
.LBB183_2373:
	s_mov_b64 s[2:3], 0
.LBB183_2374:
	s_andn2_b64 vcc, exec, s[2:3]
	s_cbranch_vccnz .LBB183_2385
; %bb.2375:
	s_cmp_lt_i32 s4, 6
	s_cbranch_scc1 .LBB183_2378
; %bb.2376:
	s_cmp_gt_i32 s4, 6
	s_cbranch_scc0 .LBB183_2379
; %bb.2377:
	global_load_dwordx2 v[12:13], v[10:11], off
	s_movk_i32 s2, 0x1ff
	s_movk_i32 s3, 0xffe
	v_mov_b32_e32 v5, 0x7c00
	v_mov_b32_e32 v8, 0x7e00
	s_movk_i32 s5, 0x40f
	s_mov_b32 s16, 0x8000
	s_waitcnt vmcnt(0)
	v_and_or_b32 v12, v13, s2, v12
	v_cmp_ne_u32_e32 vcc, 0, v12
	v_lshrrev_b32_e32 v15, 8, v13
	v_bfe_u32 v17, v13, 20, 11
	v_cndmask_b32_e64 v12, 0, 1, vcc
	v_sub_u32_e32 v19, 0x3f1, v17
	v_and_or_b32 v12, v15, s3, v12
	v_add_u32_e32 v17, 0xfffffc10, v17
	v_med3_i32 v15, v19, 0, 13
	v_or_b32_e32 v19, 0x1000, v12
	v_lshl_or_b32 v20, v17, 12, v12
	v_cmp_ne_u32_e32 vcc, 0, v12
	v_lshrrev_b32_e32 v12, v15, v19
	v_lshlrev_b32_e32 v15, v15, v12
	v_cndmask_b32_e32 v8, v5, v8, vcc
	v_cmp_ne_u32_e32 vcc, v15, v19
	v_cndmask_b32_e64 v15, 0, 1, vcc
	v_or_b32_e32 v12, v12, v15
	v_cmp_gt_i32_e32 vcc, 1, v17
	v_cndmask_b32_e32 v12, v20, v12, vcc
	v_and_b32_e32 v15, 7, v12
	v_cmp_lt_i32_e32 vcc, 5, v15
	v_cndmask_b32_e64 v19, 0, 1, vcc
	v_cmp_eq_u32_e32 vcc, 3, v15
	v_cndmask_b32_e64 v15, 0, 1, vcc
	v_lshrrev_b32_e32 v12, 2, v12
	v_or_b32_e32 v15, v15, v19
	v_add_u32_e32 v12, v12, v15
	v_cmp_gt_i32_e32 vcc, 31, v17
	v_cndmask_b32_e32 v5, v5, v12, vcc
	v_cmp_eq_u32_e32 vcc, s5, v17
	v_lshrrev_b32_e32 v13, 16, v13
	v_cndmask_b32_e32 v5, v5, v8, vcc
	v_and_or_b32 v12, v13, s16, v5
	s_mov_b64 s[2:3], 0
	s_branch .LBB183_2380
.LBB183_2378:
	s_mov_b64 s[2:3], -1
                                        ; implicit-def: $vgpr12
	s_branch .LBB183_2383
.LBB183_2379:
	s_mov_b64 s[2:3], -1
                                        ; implicit-def: $vgpr12
.LBB183_2380:
	s_andn2_b64 vcc, exec, s[2:3]
	s_cbranch_vccnz .LBB183_2382
; %bb.2381:
	global_load_dword v5, v[10:11], off
	s_waitcnt vmcnt(0)
	v_cvt_f16_f32_e32 v12, v5
.LBB183_2382:
	s_mov_b64 s[2:3], 0
.LBB183_2383:
	s_andn2_b64 vcc, exec, s[2:3]
	s_cbranch_vccnz .LBB183_2385
; %bb.2384:
	global_load_ushort v12, v[10:11], off
.LBB183_2385:
	s_mov_b64 s[2:3], 0
.LBB183_2386:
	s_andn2_b64 vcc, exec, s[2:3]
	s_cbranch_vccnz .LBB183_2406
; %bb.2387:
	s_cmp_lt_i32 s4, 2
	s_cbranch_scc1 .LBB183_2391
; %bb.2388:
	s_cmp_lt_i32 s4, 3
	s_cbranch_scc1 .LBB183_2392
; %bb.2389:
	s_cmp_gt_i32 s4, 3
	s_cbranch_scc0 .LBB183_2393
; %bb.2390:
	global_load_dwordx2 v[12:13], v[10:11], off
	s_mov_b64 s[2:3], 0
	s_waitcnt vmcnt(0)
	v_xor_b32_e32 v8, v12, v13
	v_ffbh_i32_e32 v5, v13
	v_ashrrev_i32_e32 v8, 31, v8
	v_add_u32_e32 v5, -1, v5
	v_add_u32_e32 v8, 32, v8
	v_min_u32_e32 v5, v5, v8
	v_lshlrev_b64 v[12:13], v5, v[12:13]
	v_sub_u32_e32 v5, 32, v5
	v_min_u32_e32 v8, 1, v12
	v_or_b32_e32 v8, v13, v8
	v_cvt_f32_i32_e32 v8, v8
	v_ldexp_f32 v5, v8, v5
	v_cvt_f16_f32_e32 v12, v5
	s_branch .LBB183_2394
.LBB183_2391:
	s_mov_b64 s[2:3], -1
                                        ; implicit-def: $vgpr12
	s_branch .LBB183_2400
.LBB183_2392:
	s_mov_b64 s[2:3], -1
                                        ; implicit-def: $vgpr12
	s_branch .LBB183_2397
.LBB183_2393:
	s_mov_b64 s[2:3], -1
                                        ; implicit-def: $vgpr12
.LBB183_2394:
	s_andn2_b64 vcc, exec, s[2:3]
	s_cbranch_vccnz .LBB183_2396
; %bb.2395:
	global_load_dword v5, v[10:11], off
	s_waitcnt vmcnt(0)
	v_cvt_f32_i32_e32 v5, v5
	v_cvt_f16_f32_e32 v12, v5
.LBB183_2396:
	s_mov_b64 s[2:3], 0
.LBB183_2397:
	s_andn2_b64 vcc, exec, s[2:3]
	s_cbranch_vccnz .LBB183_2399
; %bb.2398:
	global_load_ushort v5, v[10:11], off
	s_waitcnt vmcnt(0)
	v_cvt_f16_i16_e32 v12, v5
.LBB183_2399:
	s_mov_b64 s[2:3], 0
.LBB183_2400:
	s_andn2_b64 vcc, exec, s[2:3]
	s_cbranch_vccnz .LBB183_2406
; %bb.2401:
	s_cmp_gt_i32 s4, 0
	s_cbranch_scc0 .LBB183_2403
; %bb.2402:
	global_load_sbyte v5, v[10:11], off
	s_mov_b64 s[2:3], 0
	s_waitcnt vmcnt(0)
	v_cvt_f16_i16_e32 v12, v5
	s_branch .LBB183_2404
.LBB183_2403:
	s_mov_b64 s[2:3], -1
                                        ; implicit-def: $vgpr12
.LBB183_2404:
	s_andn2_b64 vcc, exec, s[2:3]
	s_cbranch_vccnz .LBB183_2406
; %bb.2405:
	global_load_ubyte v5, v[10:11], off
	s_waitcnt vmcnt(0)
	v_cvt_f16_u16_e32 v12, v5
.LBB183_2406:
	s_mov_b64 s[16:17], -1
.LBB183_2407:
	s_andn2_b64 vcc, exec, s[16:17]
	s_cbranch_vccnz .LBB183_3101
; %bb.2408:
	v_mov_b32_e32 v5, s11
	v_add_co_u32_e32 v8, vcc, s10, v9
	s_cmp_lt_i32 s22, 11
	v_addc_co_u32_e32 v9, vcc, 0, v5, vcc
	s_cbranch_scc1 .LBB183_2415
; %bb.2409:
	s_and_b32 s20, 0xffff, s22
	s_cmp_gt_i32 s20, 25
	s_mov_b64 s[4:5], 0
	s_cbranch_scc0 .LBB183_2416
; %bb.2410:
	s_cmp_gt_i32 s20, 28
	s_cbranch_scc0 .LBB183_2417
; %bb.2411:
	s_cmp_gt_i32 s20, 43
	;; [unrolled: 3-line block ×3, first 2 shown]
	s_cbranch_scc0 .LBB183_2420
; %bb.2413:
	s_cmp_eq_u32 s20, 46
	s_mov_b64 s[16:17], 0
	s_cbranch_scc0 .LBB183_2421
; %bb.2414:
	global_load_dword v5, v[8:9], off
	s_mov_b64 s[2:3], 0
	s_mov_b64 s[10:11], -1
	s_waitcnt vmcnt(0)
	v_lshlrev_b32_e32 v5, 16, v5
	v_cvt_f16_f32_e32 v10, v5
	s_branch .LBB183_2422
.LBB183_2415:
	s_mov_b64 s[2:3], -1
	s_mov_b64 s[10:11], 0
                                        ; implicit-def: $vgpr10
	s_branch .LBB183_2488
.LBB183_2416:
	s_mov_b64 s[16:17], -1
	s_mov_b64 s[10:11], 0
	s_mov_b64 s[2:3], 0
                                        ; implicit-def: $vgpr10
	s_branch .LBB183_2451
.LBB183_2417:
	s_mov_b64 s[16:17], -1
	s_mov_b64 s[10:11], 0
	s_mov_b64 s[2:3], 0
                                        ; implicit-def: $vgpr10
	s_branch .LBB183_2432
.LBB183_2418:
	s_mov_b64 s[16:17], -1
	s_mov_b64 s[10:11], 0
	s_mov_b64 s[2:3], 0
                                        ; implicit-def: $vgpr10
	s_branch .LBB183_2427
.LBB183_2419:
	s_trap 2
	s_or_b64 s[14:15], s[14:15], exec
	s_cbranch_execz .LBB183_2356
	s_branch .LBB183_2357
.LBB183_2420:
	s_mov_b64 s[16:17], -1
	s_mov_b64 s[10:11], 0
	s_mov_b64 s[2:3], 0
                                        ; implicit-def: $vgpr10
	s_branch .LBB183_2422
.LBB183_2421:
	s_mov_b64 s[2:3], -1
                                        ; implicit-def: $vgpr10
	s_mov_b64 s[10:11], 0
.LBB183_2422:
	s_and_b64 vcc, exec, s[16:17]
	s_cbranch_vccz .LBB183_2426
; %bb.2423:
	s_cmp_eq_u32 s20, 44
	s_cbranch_scc0 .LBB183_2425
; %bb.2424:
	global_load_ubyte v5, v[8:9], off
	s_movk_i32 s10, 0xff
	v_mov_b32_e32 v11, 0x7e00
	s_mov_b64 s[2:3], 0
	s_waitcnt vmcnt(0)
	v_lshlrev_b32_e32 v10, 23, v5
	v_cvt_f16_f32_e32 v10, v10
	v_cmp_ne_u32_e32 vcc, s10, v5
	s_mov_b64 s[10:11], -1
	v_cndmask_b32_e32 v10, v11, v10, vcc
	v_cmp_ne_u32_e32 vcc, 0, v5
	v_cndmask_b32_e32 v10, 0, v10, vcc
	s_branch .LBB183_2426
.LBB183_2425:
	s_mov_b64 s[2:3], -1
                                        ; implicit-def: $vgpr10
.LBB183_2426:
	s_mov_b64 s[16:17], 0
.LBB183_2427:
	s_and_b64 vcc, exec, s[16:17]
	s_cbranch_vccz .LBB183_2431
; %bb.2428:
	s_cmp_eq_u32 s20, 29
	s_cbranch_scc0 .LBB183_2430
; %bb.2429:
	global_load_dwordx2 v[10:11], v[8:9], off
	s_mov_b64 s[2:3], 0
	s_mov_b64 s[10:11], -1
	s_mov_b64 s[16:17], 0
	s_waitcnt vmcnt(0)
	v_ffbh_u32_e32 v5, v11
	v_min_u32_e32 v5, 32, v5
	v_lshlrev_b64 v[10:11], v5, v[10:11]
	v_sub_u32_e32 v5, 32, v5
	v_min_u32_e32 v10, 1, v10
	v_or_b32_e32 v10, v11, v10
	v_cvt_f32_u32_e32 v10, v10
	v_ldexp_f32 v5, v10, v5
	v_cvt_f16_f32_e32 v10, v5
	s_branch .LBB183_2432
.LBB183_2430:
	s_mov_b64 s[2:3], -1
                                        ; implicit-def: $vgpr10
.LBB183_2431:
	s_mov_b64 s[16:17], 0
.LBB183_2432:
	s_and_b64 vcc, exec, s[16:17]
	s_cbranch_vccz .LBB183_2450
; %bb.2433:
	s_cmp_lt_i32 s20, 27
	s_cbranch_scc1 .LBB183_2436
; %bb.2434:
	s_cmp_gt_i32 s20, 27
	s_cbranch_scc0 .LBB183_2437
; %bb.2435:
	global_load_dword v5, v[8:9], off
	s_mov_b64 s[10:11], 0
	s_waitcnt vmcnt(0)
	v_cvt_f32_u32_e32 v5, v5
	v_cvt_f16_f32_e32 v10, v5
	s_branch .LBB183_2438
.LBB183_2436:
	s_mov_b64 s[10:11], -1
                                        ; implicit-def: $vgpr10
	s_branch .LBB183_2441
.LBB183_2437:
	s_mov_b64 s[10:11], -1
                                        ; implicit-def: $vgpr10
.LBB183_2438:
	s_andn2_b64 vcc, exec, s[10:11]
	s_cbranch_vccnz .LBB183_2440
; %bb.2439:
	global_load_ushort v5, v[8:9], off
	s_waitcnt vmcnt(0)
	v_cvt_f16_u16_e32 v10, v5
.LBB183_2440:
	s_mov_b64 s[10:11], 0
.LBB183_2441:
	s_andn2_b64 vcc, exec, s[10:11]
	s_cbranch_vccnz .LBB183_2449
; %bb.2442:
	global_load_ubyte v5, v[8:9], off
	s_movk_i32 s10, 0x7f
	s_waitcnt vmcnt(0)
	v_cmp_lt_i16_e32 vcc, s10, v5
	s_mov_b64 s[10:11], 0
	s_and_saveexec_b64 s[16:17], vcc
	s_xor_b64 s[16:17], exec, s[16:17]
	s_cbranch_execz .LBB183_2463
; %bb.2443:
	s_movk_i32 s10, 0x80
	v_cmp_eq_u16_e32 vcc, s10, v5
	s_mov_b64 s[10:11], -1
	s_and_saveexec_b64 s[18:19], vcc
; %bb.2444:
	s_xor_b64 s[10:11], exec, -1
; %bb.2445:
	s_or_b64 exec, exec, s[18:19]
	s_and_b64 s[10:11], s[10:11], exec
	s_or_saveexec_b64 s[16:17], s[16:17]
	v_mov_b32_e32 v10, 0x7e00
	s_xor_b64 exec, exec, s[16:17]
	s_cbranch_execnz .LBB183_2464
.LBB183_2446:
	s_or_b64 exec, exec, s[16:17]
	s_and_saveexec_b64 s[16:17], s[10:11]
	s_cbranch_execz .LBB183_2448
.LBB183_2447:
	v_lshlrev_b32_e32 v10, 24, v5
	v_and_b32_e32 v5, 0xffff, v5
	v_and_b32_e32 v11, 7, v5
	v_ffbh_u32_e32 v15, v11
	v_min_u32_e32 v15, 32, v15
	v_subrev_u32_e32 v17, 28, v15
	v_bfe_u32 v13, v5, 3, 4
	v_lshlrev_b32_e32 v5, v17, v5
	v_sub_u32_e32 v15, 29, v15
	v_and_b32_e32 v5, 7, v5
	v_cmp_eq_u32_e32 vcc, 0, v13
	v_cndmask_b32_e32 v13, v13, v15, vcc
	v_cndmask_b32_e32 v5, v11, v5, vcc
	v_mov_b32_e32 v11, 0x3b800000
	v_lshlrev_b32_e32 v5, 20, v5
	v_and_b32_e32 v10, 0x80000000, v10
	v_lshl_add_u32 v11, v13, 23, v11
	v_or3_b32 v5, v10, v11, v5
	v_cvt_f16_f32_e32 v10, v5
.LBB183_2448:
	s_or_b64 exec, exec, s[16:17]
.LBB183_2449:
	s_mov_b64 s[10:11], -1
.LBB183_2450:
	s_mov_b64 s[16:17], 0
.LBB183_2451:
	s_and_b64 vcc, exec, s[16:17]
	s_cbranch_vccz .LBB183_2484
; %bb.2452:
	s_cmp_gt_i32 s20, 22
	s_cbranch_scc0 .LBB183_2462
; %bb.2453:
	s_cmp_lt_i32 s20, 24
	s_cbranch_scc1 .LBB183_2465
; %bb.2454:
	s_cmp_gt_i32 s20, 24
	s_cbranch_scc0 .LBB183_2466
; %bb.2455:
	global_load_ubyte v5, v[8:9], off
	s_movk_i32 s4, 0x7f
	s_waitcnt vmcnt(0)
	v_cmp_lt_i16_e32 vcc, s4, v5
	s_mov_b64 s[4:5], 0
	s_and_saveexec_b64 s[10:11], vcc
	s_xor_b64 s[10:11], exec, s[10:11]
	s_cbranch_execz .LBB183_2478
; %bb.2456:
	s_movk_i32 s4, 0x80
	v_cmp_eq_u16_e32 vcc, s4, v5
	s_mov_b64 s[4:5], -1
	s_and_saveexec_b64 s[16:17], vcc
; %bb.2457:
	s_xor_b64 s[4:5], exec, -1
; %bb.2458:
	s_or_b64 exec, exec, s[16:17]
	s_and_b64 s[4:5], s[4:5], exec
	s_or_saveexec_b64 s[10:11], s[10:11]
	v_mov_b32_e32 v10, 0x7e00
	s_xor_b64 exec, exec, s[10:11]
	s_cbranch_execnz .LBB183_2479
.LBB183_2459:
	s_or_b64 exec, exec, s[10:11]
	s_and_saveexec_b64 s[10:11], s[4:5]
	s_cbranch_execz .LBB183_2461
.LBB183_2460:
	v_lshlrev_b32_e32 v10, 24, v5
	v_and_b32_e32 v5, 0xffff, v5
	v_and_b32_e32 v11, 3, v5
	v_ffbh_u32_e32 v15, v11
	v_min_u32_e32 v15, 32, v15
	v_subrev_u32_e32 v17, 29, v15
	v_bfe_u32 v13, v5, 2, 5
	v_lshlrev_b32_e32 v5, v17, v5
	v_sub_u32_e32 v15, 30, v15
	v_and_b32_e32 v5, 3, v5
	v_cmp_eq_u32_e32 vcc, 0, v13
	v_cndmask_b32_e32 v13, v13, v15, vcc
	v_cndmask_b32_e32 v5, v11, v5, vcc
	v_mov_b32_e32 v11, 0x37800000
	v_lshlrev_b32_e32 v5, 21, v5
	v_and_b32_e32 v10, 0x80000000, v10
	v_lshl_add_u32 v11, v13, 23, v11
	v_or3_b32 v5, v10, v11, v5
	v_cvt_f16_f32_e32 v10, v5
.LBB183_2461:
	s_or_b64 exec, exec, s[10:11]
	s_mov_b64 s[4:5], 0
	s_branch .LBB183_2467
.LBB183_2462:
	s_mov_b64 s[4:5], -1
                                        ; implicit-def: $vgpr10
	s_branch .LBB183_2473
.LBB183_2463:
	s_or_saveexec_b64 s[16:17], s[16:17]
	v_mov_b32_e32 v10, 0x7e00
	s_xor_b64 exec, exec, s[16:17]
	s_cbranch_execz .LBB183_2446
.LBB183_2464:
	v_cmp_ne_u16_e32 vcc, 0, v5
	s_andn2_b64 s[10:11], s[10:11], exec
	s_and_b64 s[18:19], vcc, exec
	s_or_b64 s[10:11], s[10:11], s[18:19]
	v_mov_b32_e32 v10, v5
	s_or_b64 exec, exec, s[16:17]
	s_and_saveexec_b64 s[16:17], s[10:11]
	s_cbranch_execnz .LBB183_2447
	s_branch .LBB183_2448
.LBB183_2465:
	s_mov_b64 s[4:5], -1
                                        ; implicit-def: $vgpr10
	s_branch .LBB183_2470
.LBB183_2466:
	s_mov_b64 s[4:5], -1
                                        ; implicit-def: $vgpr10
.LBB183_2467:
	s_and_b64 vcc, exec, s[4:5]
	s_cbranch_vccz .LBB183_2469
; %bb.2468:
	global_load_ubyte v5, v[8:9], off
	s_mov_b32 s4, 0x7f800000
	s_waitcnt vmcnt(0)
	v_lshlrev_b32_e32 v5, 24, v5
	v_and_b32_e32 v10, 0x7f000000, v5
	v_ffbh_u32_e32 v11, v10
	v_min_u32_e32 v11, 32, v11
	v_sub_u32_e64 v11, v11, 4 clamp
	v_lshlrev_b32_e32 v15, v11, v10
	v_lshlrev_b32_e32 v11, 23, v11
	v_lshrrev_b32_e32 v15, 4, v15
	v_add_u32_e32 v13, 0x1000000, v10
	v_sub_u32_e32 v11, v15, v11
	v_ashrrev_i32_e32 v13, 8, v13
	v_add_u32_e32 v11, 0x3c000000, v11
	v_and_or_b32 v11, v13, s4, v11
	v_cmp_ne_u32_e32 vcc, 0, v10
	v_cndmask_b32_e32 v10, 0, v11, vcc
	s_brev_b32 s4, 1
	v_and_or_b32 v5, v5, s4, v10
	v_cvt_f16_f32_e32 v10, v5
.LBB183_2469:
	s_mov_b64 s[4:5], 0
.LBB183_2470:
	s_andn2_b64 vcc, exec, s[4:5]
	s_cbranch_vccnz .LBB183_2472
; %bb.2471:
	global_load_ubyte v5, v[8:9], off
	s_movk_i32 s4, 0x7f00
	s_brev_b32 s5, 16
	s_waitcnt vmcnt(0)
	v_lshlrev_b16_e32 v10, 8, v5
	v_lshlrev_b32_e32 v5, 25, v5
	v_lshrrev_b32_e32 v11, 4, v5
	v_and_or_b32 v13, v10, s4, 0.5
	v_or_b32_e32 v11, 0x70000000, v11
	v_add_f32_e32 v13, -0.5, v13
	v_mul_f32_e32 v11, 0x7800000, v11
	v_cmp_gt_u32_e32 vcc, s5, v5
	v_bfe_i32 v10, v10, 0, 16
	v_cndmask_b32_e32 v5, v11, v13, vcc
	s_brev_b32 s4, 1
	v_and_or_b32 v5, v10, s4, v5
	v_cvt_f16_f32_e32 v10, v5
.LBB183_2472:
	s_mov_b64 s[4:5], 0
	s_mov_b64 s[10:11], -1
.LBB183_2473:
	s_andn2_b64 vcc, exec, s[4:5]
	s_mov_b64 s[4:5], 0
	s_cbranch_vccnz .LBB183_2484
; %bb.2474:
	s_cmp_gt_i32 s20, 14
	s_cbranch_scc0 .LBB183_2477
; %bb.2475:
	s_cmp_eq_u32 s20, 15
	s_cbranch_scc0 .LBB183_2480
; %bb.2476:
	global_load_ushort v5, v[8:9], off
	s_mov_b64 s[2:3], 0
	s_mov_b64 s[10:11], -1
	s_waitcnt vmcnt(0)
	v_lshlrev_b32_e32 v5, 16, v5
	v_cvt_f16_f32_e32 v10, v5
	s_branch .LBB183_2481
.LBB183_2477:
	s_mov_b64 s[16:17], -1
                                        ; implicit-def: $vgpr10
	s_branch .LBB183_2482
.LBB183_2478:
	s_or_saveexec_b64 s[10:11], s[10:11]
	v_mov_b32_e32 v10, 0x7e00
	s_xor_b64 exec, exec, s[10:11]
	s_cbranch_execz .LBB183_2459
.LBB183_2479:
	v_cmp_ne_u16_e32 vcc, 0, v5
	s_andn2_b64 s[4:5], s[4:5], exec
	s_and_b64 s[16:17], vcc, exec
	s_or_b64 s[4:5], s[4:5], s[16:17]
	v_mov_b32_e32 v10, v5
	s_or_b64 exec, exec, s[10:11]
	s_and_saveexec_b64 s[10:11], s[4:5]
	s_cbranch_execnz .LBB183_2460
	s_branch .LBB183_2461
.LBB183_2480:
	s_mov_b64 s[2:3], -1
                                        ; implicit-def: $vgpr10
.LBB183_2481:
	s_mov_b64 s[16:17], 0
.LBB183_2482:
	s_and_b64 vcc, exec, s[16:17]
	s_cbranch_vccz .LBB183_2484
; %bb.2483:
	s_cmp_lg_u32 s20, 11
	s_mov_b64 s[4:5], -1
	s_cselect_b64 s[2:3], -1, 0
.LBB183_2484:
	s_and_b64 vcc, exec, s[2:3]
	s_cbranch_vccnz .LBB183_2549
; %bb.2485:
	s_andn2_b64 vcc, exec, s[4:5]
	s_cbranch_vccnz .LBB183_2487
.LBB183_2486:
	global_load_ubyte v5, v[8:9], off
	v_mov_b32_e32 v10, 0x3c00
	s_mov_b64 s[10:11], -1
	s_waitcnt vmcnt(0)
	v_cmp_ne_u16_e32 vcc, 0, v5
	v_cndmask_b32_e32 v10, 0, v10, vcc
.LBB183_2487:
	s_mov_b64 s[2:3], 0
.LBB183_2488:
	s_and_b64 vcc, exec, s[2:3]
	s_cbranch_vccz .LBB183_2537
; %bb.2489:
	s_and_b32 s4, 0xffff, s22
	s_cmp_lt_i32 s4, 5
	s_cbranch_scc1 .LBB183_2494
; %bb.2490:
	s_cmp_lt_i32 s4, 8
	s_cbranch_scc1 .LBB183_2495
; %bb.2491:
	;; [unrolled: 3-line block ×3, first 2 shown]
	s_cmp_gt_i32 s4, 9
	s_cbranch_scc0 .LBB183_2497
; %bb.2493:
	global_load_dwordx2 v[10:11], v[8:9], off
	s_movk_i32 s2, 0x1ff
	s_movk_i32 s3, 0xffe
	v_mov_b32_e32 v5, 0x7c00
	v_mov_b32_e32 v13, 0x7e00
	s_movk_i32 s5, 0x40f
	s_mov_b32 s10, 0x8000
	s_waitcnt vmcnt(0)
	v_and_or_b32 v10, v11, s2, v10
	v_cmp_ne_u32_e32 vcc, 0, v10
	v_lshrrev_b32_e32 v15, 8, v11
	v_bfe_u32 v17, v11, 20, 11
	v_cndmask_b32_e64 v10, 0, 1, vcc
	v_sub_u32_e32 v19, 0x3f1, v17
	v_and_or_b32 v10, v15, s3, v10
	v_add_u32_e32 v17, 0xfffffc10, v17
	v_med3_i32 v15, v19, 0, 13
	v_or_b32_e32 v19, 0x1000, v10
	v_cmp_ne_u32_e32 vcc, 0, v10
	v_lshl_or_b32 v20, v17, 12, v10
	v_cndmask_b32_e32 v10, v5, v13, vcc
	v_lshrrev_b32_e32 v13, v15, v19
	v_lshlrev_b32_e32 v15, v15, v13
	v_cmp_ne_u32_e32 vcc, v15, v19
	v_cndmask_b32_e64 v15, 0, 1, vcc
	v_or_b32_e32 v13, v13, v15
	v_cmp_gt_i32_e32 vcc, 1, v17
	v_cndmask_b32_e32 v13, v20, v13, vcc
	v_and_b32_e32 v15, 7, v13
	v_cmp_lt_i32_e32 vcc, 5, v15
	v_cndmask_b32_e64 v19, 0, 1, vcc
	v_cmp_eq_u32_e32 vcc, 3, v15
	v_cndmask_b32_e64 v15, 0, 1, vcc
	v_lshrrev_b32_e32 v13, 2, v13
	v_or_b32_e32 v15, v15, v19
	v_add_u32_e32 v13, v13, v15
	v_cmp_gt_i32_e32 vcc, 31, v17
	v_cndmask_b32_e32 v5, v5, v13, vcc
	v_cmp_eq_u32_e32 vcc, s5, v17
	v_lshrrev_b32_e32 v11, 16, v11
	v_cndmask_b32_e32 v5, v5, v10, vcc
	v_and_or_b32 v10, v11, s10, v5
	s_mov_b64 s[2:3], 0
	s_branch .LBB183_2498
.LBB183_2494:
	s_mov_b64 s[2:3], -1
                                        ; implicit-def: $vgpr10
	s_branch .LBB183_2516
.LBB183_2495:
	s_mov_b64 s[2:3], -1
                                        ; implicit-def: $vgpr10
	s_branch .LBB183_2504
.LBB183_2496:
	s_mov_b64 s[2:3], -1
                                        ; implicit-def: $vgpr10
	s_branch .LBB183_2501
.LBB183_2497:
	s_mov_b64 s[2:3], -1
                                        ; implicit-def: $vgpr10
.LBB183_2498:
	s_andn2_b64 vcc, exec, s[2:3]
	s_cbranch_vccnz .LBB183_2500
; %bb.2499:
	global_load_dword v5, v[8:9], off
	s_waitcnt vmcnt(0)
	v_cvt_f16_f32_e32 v10, v5
.LBB183_2500:
	s_mov_b64 s[2:3], 0
.LBB183_2501:
	s_andn2_b64 vcc, exec, s[2:3]
	s_cbranch_vccnz .LBB183_2503
; %bb.2502:
	global_load_dword v10, v[8:9], off
.LBB183_2503:
	s_mov_b64 s[2:3], 0
.LBB183_2504:
	s_andn2_b64 vcc, exec, s[2:3]
	s_cbranch_vccnz .LBB183_2515
; %bb.2505:
	s_cmp_lt_i32 s4, 6
	s_cbranch_scc1 .LBB183_2508
; %bb.2506:
	s_cmp_gt_i32 s4, 6
	s_cbranch_scc0 .LBB183_2509
; %bb.2507:
	global_load_dwordx2 v[10:11], v[8:9], off
	s_movk_i32 s2, 0x1ff
	s_movk_i32 s3, 0xffe
	v_mov_b32_e32 v5, 0x7c00
	v_mov_b32_e32 v13, 0x7e00
	s_movk_i32 s5, 0x40f
	s_mov_b32 s10, 0x8000
	s_waitcnt vmcnt(0)
	v_and_or_b32 v10, v11, s2, v10
	v_cmp_ne_u32_e32 vcc, 0, v10
	v_lshrrev_b32_e32 v15, 8, v11
	v_bfe_u32 v17, v11, 20, 11
	v_cndmask_b32_e64 v10, 0, 1, vcc
	v_sub_u32_e32 v19, 0x3f1, v17
	v_and_or_b32 v10, v15, s3, v10
	v_add_u32_e32 v17, 0xfffffc10, v17
	v_med3_i32 v15, v19, 0, 13
	v_or_b32_e32 v19, 0x1000, v10
	v_cmp_ne_u32_e32 vcc, 0, v10
	v_lshl_or_b32 v20, v17, 12, v10
	v_cndmask_b32_e32 v10, v5, v13, vcc
	v_lshrrev_b32_e32 v13, v15, v19
	v_lshlrev_b32_e32 v15, v15, v13
	v_cmp_ne_u32_e32 vcc, v15, v19
	v_cndmask_b32_e64 v15, 0, 1, vcc
	v_or_b32_e32 v13, v13, v15
	v_cmp_gt_i32_e32 vcc, 1, v17
	v_cndmask_b32_e32 v13, v20, v13, vcc
	v_and_b32_e32 v15, 7, v13
	v_cmp_lt_i32_e32 vcc, 5, v15
	v_cndmask_b32_e64 v19, 0, 1, vcc
	v_cmp_eq_u32_e32 vcc, 3, v15
	v_cndmask_b32_e64 v15, 0, 1, vcc
	v_lshrrev_b32_e32 v13, 2, v13
	v_or_b32_e32 v15, v15, v19
	v_add_u32_e32 v13, v13, v15
	v_cmp_gt_i32_e32 vcc, 31, v17
	v_cndmask_b32_e32 v5, v5, v13, vcc
	v_cmp_eq_u32_e32 vcc, s5, v17
	v_lshrrev_b32_e32 v11, 16, v11
	v_cndmask_b32_e32 v5, v5, v10, vcc
	v_and_or_b32 v10, v11, s10, v5
	s_mov_b64 s[2:3], 0
	s_branch .LBB183_2510
.LBB183_2508:
	s_mov_b64 s[2:3], -1
                                        ; implicit-def: $vgpr10
	s_branch .LBB183_2513
.LBB183_2509:
	s_mov_b64 s[2:3], -1
                                        ; implicit-def: $vgpr10
.LBB183_2510:
	s_andn2_b64 vcc, exec, s[2:3]
	s_cbranch_vccnz .LBB183_2512
; %bb.2511:
	global_load_dword v5, v[8:9], off
	s_waitcnt vmcnt(0)
	v_cvt_f16_f32_e32 v10, v5
.LBB183_2512:
	s_mov_b64 s[2:3], 0
.LBB183_2513:
	s_andn2_b64 vcc, exec, s[2:3]
	s_cbranch_vccnz .LBB183_2515
; %bb.2514:
	global_load_ushort v10, v[8:9], off
.LBB183_2515:
	s_mov_b64 s[2:3], 0
.LBB183_2516:
	s_andn2_b64 vcc, exec, s[2:3]
	s_cbranch_vccnz .LBB183_2536
; %bb.2517:
	s_cmp_lt_i32 s4, 2
	s_cbranch_scc1 .LBB183_2521
; %bb.2518:
	s_cmp_lt_i32 s4, 3
	s_cbranch_scc1 .LBB183_2522
; %bb.2519:
	s_cmp_gt_i32 s4, 3
	s_cbranch_scc0 .LBB183_2523
; %bb.2520:
	global_load_dwordx2 v[10:11], v[8:9], off
	s_mov_b64 s[2:3], 0
	s_waitcnt vmcnt(0)
	v_xor_b32_e32 v13, v10, v11
	v_ffbh_i32_e32 v5, v11
	v_ashrrev_i32_e32 v13, 31, v13
	v_add_u32_e32 v5, -1, v5
	v_add_u32_e32 v13, 32, v13
	v_min_u32_e32 v5, v5, v13
	v_lshlrev_b64 v[10:11], v5, v[10:11]
	v_sub_u32_e32 v5, 32, v5
	v_min_u32_e32 v10, 1, v10
	v_or_b32_e32 v10, v11, v10
	v_cvt_f32_i32_e32 v10, v10
	v_ldexp_f32 v5, v10, v5
	v_cvt_f16_f32_e32 v10, v5
	s_branch .LBB183_2524
.LBB183_2521:
	s_mov_b64 s[2:3], -1
                                        ; implicit-def: $vgpr10
	s_branch .LBB183_2530
.LBB183_2522:
	s_mov_b64 s[2:3], -1
                                        ; implicit-def: $vgpr10
	s_branch .LBB183_2527
.LBB183_2523:
	s_mov_b64 s[2:3], -1
                                        ; implicit-def: $vgpr10
.LBB183_2524:
	s_andn2_b64 vcc, exec, s[2:3]
	s_cbranch_vccnz .LBB183_2526
; %bb.2525:
	global_load_dword v5, v[8:9], off
	s_waitcnt vmcnt(0)
	v_cvt_f32_i32_e32 v5, v5
	v_cvt_f16_f32_e32 v10, v5
.LBB183_2526:
	s_mov_b64 s[2:3], 0
.LBB183_2527:
	s_andn2_b64 vcc, exec, s[2:3]
	s_cbranch_vccnz .LBB183_2529
; %bb.2528:
	global_load_ushort v5, v[8:9], off
	s_waitcnt vmcnt(0)
	v_cvt_f16_i16_e32 v10, v5
.LBB183_2529:
	s_mov_b64 s[2:3], 0
.LBB183_2530:
	s_andn2_b64 vcc, exec, s[2:3]
	s_cbranch_vccnz .LBB183_2536
; %bb.2531:
	s_cmp_gt_i32 s4, 0
	s_cbranch_scc0 .LBB183_2533
; %bb.2532:
	global_load_sbyte v5, v[8:9], off
	s_mov_b64 s[2:3], 0
	s_waitcnt vmcnt(0)
	v_cvt_f16_i16_e32 v10, v5
	s_branch .LBB183_2534
.LBB183_2533:
	s_mov_b64 s[2:3], -1
                                        ; implicit-def: $vgpr10
.LBB183_2534:
	s_andn2_b64 vcc, exec, s[2:3]
	s_cbranch_vccnz .LBB183_2536
; %bb.2535:
	global_load_ubyte v5, v[8:9], off
	s_waitcnt vmcnt(0)
	v_cvt_f16_u16_e32 v10, v5
.LBB183_2536:
	s_mov_b64 s[10:11], -1
.LBB183_2537:
	s_andn2_b64 vcc, exec, s[10:11]
	s_cbranch_vccnz .LBB183_3101
; %bb.2538:
	v_mov_b32_e32 v5, s1
	v_add_co_u32_e32 v7, vcc, s0, v7
	s_cmp_lt_i32 s23, 11
	v_addc_co_u32_e32 v8, vcc, 0, v5, vcc
	s_cbranch_scc1 .LBB183_2545
; %bb.2539:
	s_and_b32 s18, 0xffff, s23
	s_cmp_gt_i32 s18, 25
	s_mov_b64 s[2:3], 0
	s_cbranch_scc0 .LBB183_2546
; %bb.2540:
	s_cmp_gt_i32 s18, 28
	s_cbranch_scc0 .LBB183_2547
; %bb.2541:
	s_cmp_gt_i32 s18, 43
	;; [unrolled: 3-line block ×3, first 2 shown]
	s_cbranch_scc0 .LBB183_2550
; %bb.2543:
	s_cmp_eq_u32 s18, 46
	s_mov_b64 s[10:11], 0
	s_cbranch_scc0 .LBB183_2551
; %bb.2544:
	global_load_dword v5, v[7:8], off
	s_mov_b64 s[0:1], 0
	s_mov_b64 s[4:5], -1
	s_waitcnt vmcnt(0)
	v_lshlrev_b32_e32 v5, 16, v5
	v_cvt_f16_f32_e32 v9, v5
	s_branch .LBB183_2552
.LBB183_2545:
	s_mov_b64 s[0:1], -1
	s_mov_b64 s[4:5], 0
                                        ; implicit-def: $vgpr9
	s_branch .LBB183_2618
.LBB183_2546:
	s_mov_b64 s[10:11], -1
	s_mov_b64 s[4:5], 0
	s_mov_b64 s[0:1], 0
                                        ; implicit-def: $vgpr9
	s_branch .LBB183_2581
.LBB183_2547:
	s_mov_b64 s[10:11], -1
	s_mov_b64 s[4:5], 0
	s_mov_b64 s[0:1], 0
                                        ; implicit-def: $vgpr9
	s_branch .LBB183_2562
.LBB183_2548:
	s_mov_b64 s[10:11], -1
	s_mov_b64 s[4:5], 0
	s_mov_b64 s[0:1], 0
                                        ; implicit-def: $vgpr9
	s_branch .LBB183_2557
.LBB183_2549:
	s_trap 2
	s_or_b64 s[14:15], s[14:15], exec
	s_cbranch_execz .LBB183_2486
	s_branch .LBB183_2487
.LBB183_2550:
	s_mov_b64 s[10:11], -1
	s_mov_b64 s[4:5], 0
	s_mov_b64 s[0:1], 0
                                        ; implicit-def: $vgpr9
	s_branch .LBB183_2552
.LBB183_2551:
	s_mov_b64 s[0:1], -1
                                        ; implicit-def: $vgpr9
	s_mov_b64 s[4:5], 0
.LBB183_2552:
	s_and_b64 vcc, exec, s[10:11]
	s_cbranch_vccz .LBB183_2556
; %bb.2553:
	s_cmp_eq_u32 s18, 44
	s_cbranch_scc0 .LBB183_2555
; %bb.2554:
	global_load_ubyte v5, v[7:8], off
	s_movk_i32 s4, 0xff
	v_mov_b32_e32 v11, 0x7e00
	s_mov_b64 s[0:1], 0
	s_waitcnt vmcnt(0)
	v_lshlrev_b32_e32 v9, 23, v5
	v_cvt_f16_f32_e32 v9, v9
	v_cmp_ne_u32_e32 vcc, s4, v5
	s_mov_b64 s[4:5], -1
	v_cndmask_b32_e32 v9, v11, v9, vcc
	v_cmp_ne_u32_e32 vcc, 0, v5
	v_cndmask_b32_e32 v9, 0, v9, vcc
	s_branch .LBB183_2556
.LBB183_2555:
	s_mov_b64 s[0:1], -1
                                        ; implicit-def: $vgpr9
.LBB183_2556:
	s_mov_b64 s[10:11], 0
.LBB183_2557:
	s_and_b64 vcc, exec, s[10:11]
	s_cbranch_vccz .LBB183_2561
; %bb.2558:
	s_cmp_eq_u32 s18, 29
	s_cbranch_scc0 .LBB183_2560
; %bb.2559:
	global_load_dwordx2 v[19:20], v[7:8], off
	s_mov_b64 s[0:1], 0
	s_mov_b64 s[4:5], -1
	s_mov_b64 s[10:11], 0
	s_waitcnt vmcnt(0)
	v_ffbh_u32_e32 v5, v20
	v_min_u32_e32 v5, 32, v5
	v_lshlrev_b64 v[19:20], v5, v[19:20]
	v_sub_u32_e32 v5, 32, v5
	v_min_u32_e32 v9, 1, v19
	v_or_b32_e32 v9, v20, v9
	v_cvt_f32_u32_e32 v9, v9
	v_ldexp_f32 v5, v9, v5
	v_cvt_f16_f32_e32 v9, v5
	s_branch .LBB183_2562
.LBB183_2560:
	s_mov_b64 s[0:1], -1
                                        ; implicit-def: $vgpr9
.LBB183_2561:
	s_mov_b64 s[10:11], 0
.LBB183_2562:
	s_and_b64 vcc, exec, s[10:11]
	s_cbranch_vccz .LBB183_2580
; %bb.2563:
	s_cmp_lt_i32 s18, 27
	s_cbranch_scc1 .LBB183_2566
; %bb.2564:
	s_cmp_gt_i32 s18, 27
	s_cbranch_scc0 .LBB183_2567
; %bb.2565:
	global_load_dword v5, v[7:8], off
	s_mov_b64 s[4:5], 0
	s_waitcnt vmcnt(0)
	v_cvt_f32_u32_e32 v5, v5
	v_cvt_f16_f32_e32 v9, v5
	s_branch .LBB183_2568
.LBB183_2566:
	s_mov_b64 s[4:5], -1
                                        ; implicit-def: $vgpr9
	s_branch .LBB183_2571
.LBB183_2567:
	s_mov_b64 s[4:5], -1
                                        ; implicit-def: $vgpr9
.LBB183_2568:
	s_andn2_b64 vcc, exec, s[4:5]
	s_cbranch_vccnz .LBB183_2570
; %bb.2569:
	global_load_ushort v5, v[7:8], off
	s_waitcnt vmcnt(0)
	v_cvt_f16_u16_e32 v9, v5
.LBB183_2570:
	s_mov_b64 s[4:5], 0
.LBB183_2571:
	s_andn2_b64 vcc, exec, s[4:5]
	s_cbranch_vccnz .LBB183_2579
; %bb.2572:
	global_load_ubyte v5, v[7:8], off
	s_movk_i32 s4, 0x7f
	s_waitcnt vmcnt(0)
	v_cmp_lt_i16_e32 vcc, s4, v5
	s_mov_b64 s[4:5], 0
	s_and_saveexec_b64 s[10:11], vcc
	s_xor_b64 s[10:11], exec, s[10:11]
	s_cbranch_execz .LBB183_2593
; %bb.2573:
	s_movk_i32 s4, 0x80
	v_cmp_eq_u16_e32 vcc, s4, v5
	s_mov_b64 s[4:5], -1
	s_and_saveexec_b64 s[16:17], vcc
; %bb.2574:
	s_xor_b64 s[4:5], exec, -1
; %bb.2575:
	s_or_b64 exec, exec, s[16:17]
	s_and_b64 s[4:5], s[4:5], exec
	s_or_saveexec_b64 s[10:11], s[10:11]
	v_mov_b32_e32 v9, 0x7e00
	s_xor_b64 exec, exec, s[10:11]
	s_cbranch_execnz .LBB183_2594
.LBB183_2576:
	s_or_b64 exec, exec, s[10:11]
	s_and_saveexec_b64 s[10:11], s[4:5]
	s_cbranch_execz .LBB183_2578
.LBB183_2577:
	v_lshlrev_b32_e32 v9, 24, v5
	v_and_b32_e32 v5, 0xffff, v5
	v_and_b32_e32 v11, 7, v5
	v_ffbh_u32_e32 v15, v11
	v_min_u32_e32 v15, 32, v15
	v_subrev_u32_e32 v17, 28, v15
	v_bfe_u32 v13, v5, 3, 4
	v_lshlrev_b32_e32 v5, v17, v5
	v_sub_u32_e32 v15, 29, v15
	v_and_b32_e32 v5, 7, v5
	v_cmp_eq_u32_e32 vcc, 0, v13
	v_cndmask_b32_e32 v13, v13, v15, vcc
	v_cndmask_b32_e32 v5, v11, v5, vcc
	v_mov_b32_e32 v11, 0x3b800000
	v_lshlrev_b32_e32 v5, 20, v5
	v_and_b32_e32 v9, 0x80000000, v9
	v_lshl_add_u32 v11, v13, 23, v11
	v_or3_b32 v5, v9, v11, v5
	v_cvt_f16_f32_e32 v9, v5
.LBB183_2578:
	s_or_b64 exec, exec, s[10:11]
.LBB183_2579:
	s_mov_b64 s[4:5], -1
.LBB183_2580:
	s_mov_b64 s[10:11], 0
.LBB183_2581:
	s_and_b64 vcc, exec, s[10:11]
	s_cbranch_vccz .LBB183_2614
; %bb.2582:
	s_cmp_gt_i32 s18, 22
	s_cbranch_scc0 .LBB183_2592
; %bb.2583:
	s_cmp_lt_i32 s18, 24
	s_cbranch_scc1 .LBB183_2595
; %bb.2584:
	s_cmp_gt_i32 s18, 24
	s_cbranch_scc0 .LBB183_2596
; %bb.2585:
	global_load_ubyte v5, v[7:8], off
	s_movk_i32 s2, 0x7f
	s_waitcnt vmcnt(0)
	v_cmp_lt_i16_e32 vcc, s2, v5
	s_mov_b64 s[2:3], 0
	s_and_saveexec_b64 s[4:5], vcc
	s_xor_b64 s[4:5], exec, s[4:5]
	s_cbranch_execz .LBB183_2608
; %bb.2586:
	s_movk_i32 s2, 0x80
	v_cmp_eq_u16_e32 vcc, s2, v5
	s_mov_b64 s[2:3], -1
	s_and_saveexec_b64 s[10:11], vcc
; %bb.2587:
	s_xor_b64 s[2:3], exec, -1
; %bb.2588:
	s_or_b64 exec, exec, s[10:11]
	s_and_b64 s[2:3], s[2:3], exec
	s_or_saveexec_b64 s[4:5], s[4:5]
	v_mov_b32_e32 v9, 0x7e00
	s_xor_b64 exec, exec, s[4:5]
	s_cbranch_execnz .LBB183_2609
.LBB183_2589:
	s_or_b64 exec, exec, s[4:5]
	s_and_saveexec_b64 s[4:5], s[2:3]
	s_cbranch_execz .LBB183_2591
.LBB183_2590:
	v_lshlrev_b32_e32 v9, 24, v5
	v_and_b32_e32 v5, 0xffff, v5
	v_and_b32_e32 v11, 3, v5
	v_ffbh_u32_e32 v15, v11
	v_min_u32_e32 v15, 32, v15
	v_subrev_u32_e32 v17, 29, v15
	v_bfe_u32 v13, v5, 2, 5
	v_lshlrev_b32_e32 v5, v17, v5
	v_sub_u32_e32 v15, 30, v15
	v_and_b32_e32 v5, 3, v5
	v_cmp_eq_u32_e32 vcc, 0, v13
	v_cndmask_b32_e32 v13, v13, v15, vcc
	v_cndmask_b32_e32 v5, v11, v5, vcc
	v_mov_b32_e32 v11, 0x37800000
	v_lshlrev_b32_e32 v5, 21, v5
	v_and_b32_e32 v9, 0x80000000, v9
	v_lshl_add_u32 v11, v13, 23, v11
	v_or3_b32 v5, v9, v11, v5
	v_cvt_f16_f32_e32 v9, v5
.LBB183_2591:
	s_or_b64 exec, exec, s[4:5]
	s_mov_b64 s[2:3], 0
	s_branch .LBB183_2597
.LBB183_2592:
	s_mov_b64 s[2:3], -1
                                        ; implicit-def: $vgpr9
	s_branch .LBB183_2603
.LBB183_2593:
	s_or_saveexec_b64 s[10:11], s[10:11]
	v_mov_b32_e32 v9, 0x7e00
	s_xor_b64 exec, exec, s[10:11]
	s_cbranch_execz .LBB183_2576
.LBB183_2594:
	v_cmp_ne_u16_e32 vcc, 0, v5
	s_andn2_b64 s[4:5], s[4:5], exec
	s_and_b64 s[16:17], vcc, exec
	s_or_b64 s[4:5], s[4:5], s[16:17]
	v_mov_b32_e32 v9, v5
	s_or_b64 exec, exec, s[10:11]
	s_and_saveexec_b64 s[10:11], s[4:5]
	s_cbranch_execnz .LBB183_2577
	s_branch .LBB183_2578
.LBB183_2595:
	s_mov_b64 s[2:3], -1
                                        ; implicit-def: $vgpr9
	s_branch .LBB183_2600
.LBB183_2596:
	s_mov_b64 s[2:3], -1
                                        ; implicit-def: $vgpr9
.LBB183_2597:
	s_and_b64 vcc, exec, s[2:3]
	s_cbranch_vccz .LBB183_2599
; %bb.2598:
	global_load_ubyte v5, v[7:8], off
	s_mov_b32 s2, 0x7f800000
	s_waitcnt vmcnt(0)
	v_lshlrev_b32_e32 v5, 24, v5
	v_and_b32_e32 v9, 0x7f000000, v5
	v_ffbh_u32_e32 v11, v9
	v_min_u32_e32 v11, 32, v11
	v_sub_u32_e64 v11, v11, 4 clamp
	v_lshlrev_b32_e32 v15, v11, v9
	v_lshlrev_b32_e32 v11, 23, v11
	v_lshrrev_b32_e32 v15, 4, v15
	v_add_u32_e32 v13, 0x1000000, v9
	v_sub_u32_e32 v11, v15, v11
	v_ashrrev_i32_e32 v13, 8, v13
	v_add_u32_e32 v11, 0x3c000000, v11
	v_and_or_b32 v11, v13, s2, v11
	v_cmp_ne_u32_e32 vcc, 0, v9
	v_cndmask_b32_e32 v9, 0, v11, vcc
	s_brev_b32 s2, 1
	v_and_or_b32 v5, v5, s2, v9
	v_cvt_f16_f32_e32 v9, v5
.LBB183_2599:
	s_mov_b64 s[2:3], 0
.LBB183_2600:
	s_andn2_b64 vcc, exec, s[2:3]
	s_cbranch_vccnz .LBB183_2602
; %bb.2601:
	global_load_ubyte v5, v[7:8], off
	s_movk_i32 s2, 0x7f00
	s_brev_b32 s3, 16
	s_waitcnt vmcnt(0)
	v_lshlrev_b16_e32 v9, 8, v5
	v_lshlrev_b32_e32 v5, 25, v5
	v_lshrrev_b32_e32 v11, 4, v5
	v_and_or_b32 v13, v9, s2, 0.5
	v_or_b32_e32 v11, 0x70000000, v11
	v_add_f32_e32 v13, -0.5, v13
	v_mul_f32_e32 v11, 0x7800000, v11
	v_cmp_gt_u32_e32 vcc, s3, v5
	v_bfe_i32 v9, v9, 0, 16
	v_cndmask_b32_e32 v5, v11, v13, vcc
	s_brev_b32 s2, 1
	v_and_or_b32 v5, v9, s2, v5
	v_cvt_f16_f32_e32 v9, v5
.LBB183_2602:
	s_mov_b64 s[2:3], 0
	s_mov_b64 s[4:5], -1
.LBB183_2603:
	s_andn2_b64 vcc, exec, s[2:3]
	s_mov_b64 s[2:3], 0
	s_cbranch_vccnz .LBB183_2614
; %bb.2604:
	s_cmp_gt_i32 s18, 14
	s_cbranch_scc0 .LBB183_2607
; %bb.2605:
	s_cmp_eq_u32 s18, 15
	s_cbranch_scc0 .LBB183_2610
; %bb.2606:
	global_load_ushort v5, v[7:8], off
	s_mov_b64 s[0:1], 0
	s_mov_b64 s[4:5], -1
	s_waitcnt vmcnt(0)
	v_lshlrev_b32_e32 v5, 16, v5
	v_cvt_f16_f32_e32 v9, v5
	s_branch .LBB183_2611
.LBB183_2607:
	s_mov_b64 s[10:11], -1
                                        ; implicit-def: $vgpr9
	s_branch .LBB183_2612
.LBB183_2608:
	s_or_saveexec_b64 s[4:5], s[4:5]
	v_mov_b32_e32 v9, 0x7e00
	s_xor_b64 exec, exec, s[4:5]
	s_cbranch_execz .LBB183_2589
.LBB183_2609:
	v_cmp_ne_u16_e32 vcc, 0, v5
	s_andn2_b64 s[2:3], s[2:3], exec
	s_and_b64 s[10:11], vcc, exec
	s_or_b64 s[2:3], s[2:3], s[10:11]
	v_mov_b32_e32 v9, v5
	s_or_b64 exec, exec, s[4:5]
	s_and_saveexec_b64 s[4:5], s[2:3]
	s_cbranch_execnz .LBB183_2590
	s_branch .LBB183_2591
.LBB183_2610:
	s_mov_b64 s[0:1], -1
                                        ; implicit-def: $vgpr9
.LBB183_2611:
	s_mov_b64 s[10:11], 0
.LBB183_2612:
	s_and_b64 vcc, exec, s[10:11]
	s_cbranch_vccz .LBB183_2614
; %bb.2613:
	s_cmp_lg_u32 s18, 11
	s_mov_b64 s[2:3], -1
	s_cselect_b64 s[0:1], -1, 0
.LBB183_2614:
	s_and_b64 vcc, exec, s[0:1]
	s_cbranch_vccnz .LBB183_3147
; %bb.2615:
	s_andn2_b64 vcc, exec, s[2:3]
	s_cbranch_vccnz .LBB183_2617
.LBB183_2616:
	global_load_ubyte v5, v[7:8], off
	v_mov_b32_e32 v9, 0x3c00
	s_mov_b64 s[4:5], -1
	s_waitcnt vmcnt(0)
	v_cmp_ne_u16_e32 vcc, 0, v5
	v_cndmask_b32_e32 v9, 0, v9, vcc
.LBB183_2617:
	s_mov_b64 s[0:1], 0
.LBB183_2618:
	s_and_b64 vcc, exec, s[0:1]
	s_cbranch_vccz .LBB183_2667
; %bb.2619:
	s_and_b32 s2, 0xffff, s23
	s_cmp_lt_i32 s2, 5
	s_cbranch_scc1 .LBB183_2624
; %bb.2620:
	s_cmp_lt_i32 s2, 8
	s_cbranch_scc1 .LBB183_2625
; %bb.2621:
	;; [unrolled: 3-line block ×3, first 2 shown]
	s_cmp_gt_i32 s2, 9
	s_cbranch_scc0 .LBB183_2627
; %bb.2623:
	global_load_dwordx2 v[19:20], v[7:8], off
	s_movk_i32 s0, 0x1ff
	s_movk_i32 s1, 0xffe
	v_mov_b32_e32 v5, 0x7c00
	v_mov_b32_e32 v9, 0x7e00
	s_movk_i32 s3, 0x40f
	s_mov_b32 s4, 0x8000
	s_waitcnt vmcnt(0)
	v_and_or_b32 v11, v20, s0, v19
	v_cmp_ne_u32_e32 vcc, 0, v11
	v_lshrrev_b32_e32 v13, 8, v20
	v_bfe_u32 v15, v20, 20, 11
	v_cndmask_b32_e64 v11, 0, 1, vcc
	v_sub_u32_e32 v19, 0x3f1, v15
	v_and_or_b32 v11, v13, s1, v11
	v_add_u32_e32 v15, 0xfffffc10, v15
	v_med3_i32 v13, v19, 0, 13
	v_or_b32_e32 v19, 0x1000, v11
	v_lshrrev_b32_e32 v17, 16, v20
	v_lshl_or_b32 v20, v15, 12, v11
	v_cmp_ne_u32_e32 vcc, 0, v11
	v_lshrrev_b32_e32 v11, v13, v19
	v_lshlrev_b32_e32 v13, v13, v11
	v_cndmask_b32_e32 v9, v5, v9, vcc
	v_cmp_ne_u32_e32 vcc, v13, v19
	v_cndmask_b32_e64 v13, 0, 1, vcc
	v_or_b32_e32 v11, v11, v13
	v_cmp_gt_i32_e32 vcc, 1, v15
	v_cndmask_b32_e32 v11, v20, v11, vcc
	v_and_b32_e32 v13, 7, v11
	v_cmp_lt_i32_e32 vcc, 5, v13
	v_cndmask_b32_e64 v19, 0, 1, vcc
	v_cmp_eq_u32_e32 vcc, 3, v13
	v_cndmask_b32_e64 v13, 0, 1, vcc
	v_lshrrev_b32_e32 v11, 2, v11
	v_or_b32_e32 v13, v13, v19
	v_add_u32_e32 v11, v11, v13
	v_cmp_gt_i32_e32 vcc, 31, v15
	v_cndmask_b32_e32 v5, v5, v11, vcc
	v_cmp_eq_u32_e32 vcc, s3, v15
	v_cndmask_b32_e32 v5, v5, v9, vcc
	v_and_or_b32 v9, v17, s4, v5
	s_mov_b64 s[0:1], 0
	s_branch .LBB183_2628
.LBB183_2624:
	s_mov_b64 s[0:1], -1
                                        ; implicit-def: $vgpr9
	s_branch .LBB183_2646
.LBB183_2625:
	s_mov_b64 s[0:1], -1
                                        ; implicit-def: $vgpr9
	s_branch .LBB183_2634
.LBB183_2626:
	s_mov_b64 s[0:1], -1
                                        ; implicit-def: $vgpr9
	s_branch .LBB183_2631
.LBB183_2627:
	s_mov_b64 s[0:1], -1
                                        ; implicit-def: $vgpr9
.LBB183_2628:
	s_andn2_b64 vcc, exec, s[0:1]
	s_cbranch_vccnz .LBB183_2630
; %bb.2629:
	global_load_dword v5, v[7:8], off
	s_waitcnt vmcnt(0)
	v_cvt_f16_f32_e32 v9, v5
.LBB183_2630:
	s_mov_b64 s[0:1], 0
.LBB183_2631:
	s_andn2_b64 vcc, exec, s[0:1]
	s_cbranch_vccnz .LBB183_2633
; %bb.2632:
	global_load_dword v9, v[7:8], off
.LBB183_2633:
	s_mov_b64 s[0:1], 0
.LBB183_2634:
	s_andn2_b64 vcc, exec, s[0:1]
	s_cbranch_vccnz .LBB183_2645
; %bb.2635:
	s_cmp_lt_i32 s2, 6
	s_cbranch_scc1 .LBB183_2638
; %bb.2636:
	s_cmp_gt_i32 s2, 6
	s_cbranch_scc0 .LBB183_2639
; %bb.2637:
	global_load_dwordx2 v[19:20], v[7:8], off
	s_movk_i32 s0, 0x1ff
	s_movk_i32 s1, 0xffe
	v_mov_b32_e32 v5, 0x7c00
	s_waitcnt vmcnt(1)
	v_mov_b32_e32 v9, 0x7e00
	s_movk_i32 s3, 0x40f
	s_mov_b32 s4, 0x8000
	s_waitcnt vmcnt(0)
	v_and_or_b32 v11, v20, s0, v19
	v_cmp_ne_u32_e32 vcc, 0, v11
	v_lshrrev_b32_e32 v13, 8, v20
	v_bfe_u32 v15, v20, 20, 11
	v_cndmask_b32_e64 v11, 0, 1, vcc
	v_sub_u32_e32 v19, 0x3f1, v15
	v_and_or_b32 v11, v13, s1, v11
	v_add_u32_e32 v15, 0xfffffc10, v15
	v_med3_i32 v13, v19, 0, 13
	v_or_b32_e32 v19, 0x1000, v11
	v_lshrrev_b32_e32 v17, 16, v20
	v_lshl_or_b32 v20, v15, 12, v11
	v_cmp_ne_u32_e32 vcc, 0, v11
	v_lshrrev_b32_e32 v11, v13, v19
	v_lshlrev_b32_e32 v13, v13, v11
	v_cndmask_b32_e32 v9, v5, v9, vcc
	v_cmp_ne_u32_e32 vcc, v13, v19
	v_cndmask_b32_e64 v13, 0, 1, vcc
	v_or_b32_e32 v11, v11, v13
	v_cmp_gt_i32_e32 vcc, 1, v15
	v_cndmask_b32_e32 v11, v20, v11, vcc
	v_and_b32_e32 v13, 7, v11
	v_cmp_lt_i32_e32 vcc, 5, v13
	v_cndmask_b32_e64 v19, 0, 1, vcc
	v_cmp_eq_u32_e32 vcc, 3, v13
	v_cndmask_b32_e64 v13, 0, 1, vcc
	v_lshrrev_b32_e32 v11, 2, v11
	v_or_b32_e32 v13, v13, v19
	v_add_u32_e32 v11, v11, v13
	v_cmp_gt_i32_e32 vcc, 31, v15
	v_cndmask_b32_e32 v5, v5, v11, vcc
	v_cmp_eq_u32_e32 vcc, s3, v15
	v_cndmask_b32_e32 v5, v5, v9, vcc
	v_and_or_b32 v9, v17, s4, v5
	s_mov_b64 s[0:1], 0
	s_branch .LBB183_2640
.LBB183_2638:
	s_mov_b64 s[0:1], -1
                                        ; implicit-def: $vgpr9
	s_branch .LBB183_2643
.LBB183_2639:
	s_mov_b64 s[0:1], -1
                                        ; implicit-def: $vgpr9
.LBB183_2640:
	s_andn2_b64 vcc, exec, s[0:1]
	s_cbranch_vccnz .LBB183_2642
; %bb.2641:
	global_load_dword v5, v[7:8], off
	s_waitcnt vmcnt(0)
	v_cvt_f16_f32_e32 v9, v5
.LBB183_2642:
	s_mov_b64 s[0:1], 0
.LBB183_2643:
	s_andn2_b64 vcc, exec, s[0:1]
	s_cbranch_vccnz .LBB183_2645
; %bb.2644:
	global_load_ushort v9, v[7:8], off
.LBB183_2645:
	s_mov_b64 s[0:1], 0
.LBB183_2646:
	s_andn2_b64 vcc, exec, s[0:1]
	s_cbranch_vccnz .LBB183_2666
; %bb.2647:
	s_cmp_lt_i32 s2, 2
	s_cbranch_scc1 .LBB183_2651
; %bb.2648:
	s_cmp_lt_i32 s2, 3
	s_cbranch_scc1 .LBB183_2652
; %bb.2649:
	s_cmp_gt_i32 s2, 3
	s_cbranch_scc0 .LBB183_2653
; %bb.2650:
	global_load_dwordx2 v[19:20], v[7:8], off
	s_mov_b64 s[0:1], 0
	s_waitcnt vmcnt(0)
	v_xor_b32_e32 v9, v19, v20
	v_ffbh_i32_e32 v5, v20
	v_ashrrev_i32_e32 v9, 31, v9
	v_add_u32_e32 v5, -1, v5
	v_add_u32_e32 v9, 32, v9
	v_min_u32_e32 v5, v5, v9
	v_lshlrev_b64 v[19:20], v5, v[19:20]
	v_sub_u32_e32 v5, 32, v5
	v_min_u32_e32 v9, 1, v19
	v_or_b32_e32 v9, v20, v9
	v_cvt_f32_i32_e32 v9, v9
	v_ldexp_f32 v5, v9, v5
	v_cvt_f16_f32_e32 v9, v5
	s_branch .LBB183_2654
.LBB183_2651:
	s_mov_b64 s[0:1], -1
                                        ; implicit-def: $vgpr9
	s_branch .LBB183_2660
.LBB183_2652:
	s_mov_b64 s[0:1], -1
                                        ; implicit-def: $vgpr9
	s_branch .LBB183_2657
.LBB183_2653:
	s_mov_b64 s[0:1], -1
                                        ; implicit-def: $vgpr9
.LBB183_2654:
	s_andn2_b64 vcc, exec, s[0:1]
	s_cbranch_vccnz .LBB183_2656
; %bb.2655:
	global_load_dword v5, v[7:8], off
	s_waitcnt vmcnt(0)
	v_cvt_f32_i32_e32 v5, v5
	v_cvt_f16_f32_e32 v9, v5
.LBB183_2656:
	s_mov_b64 s[0:1], 0
.LBB183_2657:
	s_andn2_b64 vcc, exec, s[0:1]
	s_cbranch_vccnz .LBB183_2659
; %bb.2658:
	global_load_ushort v5, v[7:8], off
	s_waitcnt vmcnt(0)
	v_cvt_f16_i16_e32 v9, v5
.LBB183_2659:
	s_mov_b64 s[0:1], 0
.LBB183_2660:
	s_andn2_b64 vcc, exec, s[0:1]
	s_cbranch_vccnz .LBB183_2666
; %bb.2661:
	s_cmp_gt_i32 s2, 0
	s_cbranch_scc0 .LBB183_2663
; %bb.2662:
	global_load_sbyte v5, v[7:8], off
	s_mov_b64 s[0:1], 0
	s_waitcnt vmcnt(0)
	v_cvt_f16_i16_e32 v9, v5
	s_branch .LBB183_2664
.LBB183_2663:
	s_mov_b64 s[0:1], -1
                                        ; implicit-def: $vgpr9
.LBB183_2664:
	s_andn2_b64 vcc, exec, s[0:1]
	s_cbranch_vccnz .LBB183_2666
; %bb.2665:
	global_load_ubyte v5, v[7:8], off
	s_waitcnt vmcnt(0)
	v_cvt_f16_u16_e32 v9, v5
.LBB183_2666:
	s_mov_b64 s[4:5], -1
.LBB183_2667:
	s_andn2_b64 vcc, exec, s[4:5]
	s_cbranch_vccnz .LBB183_3101
; %bb.2668:
	s_load_dwordx2 s[2:3], s[24:25], 0x1a0
	s_waitcnt vmcnt(0)
	v_cmp_eq_f16_e32 vcc, v1, v3
	v_cndmask_b32_e64 v5, 0, 1, vcc
	v_cmp_neq_f16_e32 vcc, v1, v3
	v_cndmask_b32_e64 v1, 0, 1, vcc
	s_waitcnt lgkmcnt(0)
	s_cmp_eq_u32 s2, 0
	s_cselect_b64 s[0:1], -1, 0
	v_cndmask_b32_e64 v1, v1, v5, s[0:1]
	v_and_b32_e32 v1, 1, v1
	s_and_b32 s22, s3, 0xff
	v_cmp_eq_u32_e64 s[2:3], 1, v1
	v_mov_b32_e32 v1, s9
	v_add_co_u32_e32 v5, vcc, s8, v6
	s_cmp_lt_i32 s22, 11
	v_addc_co_u32_e32 v6, vcc, 0, v1, vcc
	s_cbranch_scc1 .LBB183_2746
; %bb.2669:
	s_and_b32 s23, 0xffff, s22
	s_mov_b64 s[18:19], -1
	s_mov_b64 s[10:11], 0
	s_cmp_gt_i32 s23, 25
	s_mov_b64 s[16:17], 0
	s_mov_b64 s[4:5], 0
	s_cbranch_scc0 .LBB183_2702
; %bb.2670:
	s_cmp_gt_i32 s23, 28
	s_cbranch_scc0 .LBB183_2685
; %bb.2671:
	s_cmp_gt_i32 s23, 43
	;; [unrolled: 3-line block ×3, first 2 shown]
	s_cbranch_scc0 .LBB183_2675
; %bb.2673:
	s_mov_b64 s[4:5], -1
	s_mov_b64 s[18:19], 0
	s_cmp_eq_u32 s23, 46
	s_cbranch_scc0 .LBB183_2675
; %bb.2674:
	v_cndmask_b32_e64 v1, 0, 1.0, s[2:3]
	v_bfe_u32 v3, v1, 16, 1
	s_movk_i32 s4, 0x7fff
	v_add3_u32 v1, v1, v3, s4
	v_lshrrev_b32_e32 v1, 16, v1
	global_store_dword v[5:6], v1, off
	s_mov_b64 s[4:5], 0
	s_mov_b64 s[16:17], -1
.LBB183_2675:
	s_and_b64 vcc, exec, s[18:19]
	s_cbranch_vccz .LBB183_2680
; %bb.2676:
	s_cmp_eq_u32 s23, 44
	s_mov_b64 s[4:5], -1
	s_cbranch_scc0 .LBB183_2680
; %bb.2677:
	v_cndmask_b32_e64 v3, 0, 1.0, s[2:3]
	v_lshrrev_b32_e32 v1, 23, v3
	s_movk_i32 s4, 0xff
	v_cmp_ne_u32_e32 vcc, s4, v1
	v_mov_b32_e32 v7, 0xff
	s_and_saveexec_b64 s[16:17], vcc
; %bb.2678:
	s_mov_b32 s4, 0x3fffff
	v_and_b32_e32 v7, 0x400000, v3
	v_and_or_b32 v3, v3, s4, v1
	v_cmp_ne_u32_e32 vcc, 0, v7
	v_cmp_ne_u32_e64 s[4:5], 0, v3
	s_and_b64 s[4:5], vcc, s[4:5]
	v_cndmask_b32_e64 v3, 0, 1, s[4:5]
	v_add_u32_e32 v7, v1, v3
; %bb.2679:
	s_or_b64 exec, exec, s[16:17]
	s_mov_b64 s[4:5], 0
	s_mov_b64 s[16:17], -1
	global_store_byte v[5:6], v7, off
.LBB183_2680:
	s_mov_b64 s[18:19], 0
.LBB183_2681:
	s_and_b64 vcc, exec, s[18:19]
	s_cbranch_vccz .LBB183_2684
; %bb.2682:
	s_cmp_eq_u32 s23, 29
	s_mov_b64 s[4:5], -1
	s_cbranch_scc0 .LBB183_2684
; %bb.2683:
	s_mov_b32 s4, 0
	v_cndmask_b32_e64 v7, 0, 1, s[2:3]
	v_mov_b32_e32 v8, s4
	global_store_dwordx2 v[5:6], v[7:8], off
	s_mov_b64 s[4:5], 0
	s_mov_b64 s[16:17], -1
.LBB183_2684:
	s_mov_b64 s[18:19], 0
.LBB183_2685:
	s_and_b64 vcc, exec, s[18:19]
	s_cbranch_vccz .LBB183_2701
; %bb.2686:
	s_cmp_lt_i32 s23, 27
	s_mov_b64 s[16:17], -1
	s_cbranch_scc1 .LBB183_2692
; %bb.2687:
	s_cmp_gt_i32 s23, 27
	s_cbranch_scc0 .LBB183_2689
; %bb.2688:
	v_cndmask_b32_e64 v1, 0, 1, s[2:3]
	s_mov_b64 s[16:17], 0
	global_store_dword v[5:6], v1, off
.LBB183_2689:
	s_andn2_b64 vcc, exec, s[16:17]
	s_cbranch_vccnz .LBB183_2691
; %bb.2690:
	v_cndmask_b32_e64 v1, 0, 1, s[2:3]
	global_store_short v[5:6], v1, off
.LBB183_2691:
	s_mov_b64 s[16:17], 0
.LBB183_2692:
	s_andn2_b64 vcc, exec, s[16:17]
	s_cbranch_vccnz .LBB183_2700
; %bb.2693:
	v_cndmask_b32_e64 v3, 0, 1.0, s[2:3]
	s_mov_b32 s16, 0x43800000
	v_cmp_gt_u32_e32 vcc, s16, v3
	v_mov_b32_e32 v7, 0x80
	s_and_saveexec_b64 s[16:17], vcc
	s_cbranch_execz .LBB183_2699
; %bb.2694:
	s_mov_b32 s18, 0x3bffffff
	v_cmp_lt_u32_e32 vcc, s18, v3
	s_mov_b64 s[18:19], 0
                                        ; implicit-def: $vgpr1
	s_and_saveexec_b64 s[20:21], vcc
	s_xor_b64 s[20:21], exec, s[20:21]
	s_cbranch_execz .LBB183_3148
; %bb.2695:
	v_bfe_u32 v1, v3, 20, 1
	s_mov_b32 s24, 0x487ffff
	v_add3_u32 v1, v3, v1, s24
	s_mov_b64 s[18:19], exec
	v_lshrrev_b32_e32 v1, 20, v1
                                        ; implicit-def: $vgpr3
	s_andn2_saveexec_b64 s[20:21], s[20:21]
	s_cbranch_execnz .LBB183_3149
.LBB183_2696:
	s_or_b64 exec, exec, s[20:21]
	v_mov_b32_e32 v7, 0
	s_and_saveexec_b64 s[20:21], s[18:19]
.LBB183_2697:
	v_mov_b32_e32 v7, v1
.LBB183_2698:
	s_or_b64 exec, exec, s[20:21]
.LBB183_2699:
	s_or_b64 exec, exec, s[16:17]
	global_store_byte v[5:6], v7, off
.LBB183_2700:
	s_mov_b64 s[16:17], -1
.LBB183_2701:
	s_mov_b64 s[18:19], 0
.LBB183_2702:
	s_and_b64 vcc, exec, s[18:19]
	s_cbranch_vccz .LBB183_2742
; %bb.2703:
	s_cmp_gt_i32 s23, 22
	s_mov_b64 s[10:11], -1
	s_cbranch_scc0 .LBB183_2735
; %bb.2704:
	s_cmp_lt_i32 s23, 24
	s_cbranch_scc1 .LBB183_2724
; %bb.2705:
	s_cmp_gt_i32 s23, 24
	s_cbranch_scc0 .LBB183_2713
; %bb.2706:
	v_cndmask_b32_e64 v3, 0, 1.0, s[2:3]
	s_mov_b32 s10, 0x47800000
	v_cmp_gt_u32_e32 vcc, s10, v3
	v_mov_b32_e32 v7, 0x80
	s_and_saveexec_b64 s[10:11], vcc
	s_cbranch_execz .LBB183_2712
; %bb.2707:
	s_mov_b32 s16, 0x37ffffff
	v_cmp_lt_u32_e32 vcc, s16, v3
	s_mov_b64 s[16:17], 0
                                        ; implicit-def: $vgpr1
	s_and_saveexec_b64 s[18:19], vcc
	s_xor_b64 s[18:19], exec, s[18:19]
	s_cbranch_execz .LBB183_3151
; %bb.2708:
	v_bfe_u32 v1, v3, 21, 1
	s_mov_b32 s20, 0x88fffff
	v_add3_u32 v1, v3, v1, s20
	s_mov_b64 s[16:17], exec
	v_lshrrev_b32_e32 v1, 21, v1
                                        ; implicit-def: $vgpr3
	s_andn2_saveexec_b64 s[18:19], s[18:19]
	s_cbranch_execnz .LBB183_3152
.LBB183_2709:
	s_or_b64 exec, exec, s[18:19]
	v_mov_b32_e32 v7, 0
	s_and_saveexec_b64 s[18:19], s[16:17]
.LBB183_2710:
	v_mov_b32_e32 v7, v1
.LBB183_2711:
	s_or_b64 exec, exec, s[18:19]
.LBB183_2712:
	s_or_b64 exec, exec, s[10:11]
	s_mov_b64 s[10:11], 0
	global_store_byte v[5:6], v7, off
.LBB183_2713:
	s_and_b64 vcc, exec, s[10:11]
	s_cbranch_vccz .LBB183_2723
; %bb.2714:
	v_cndmask_b32_e64 v1, 0, 1.0, s[2:3]
	s_mov_b32 s10, 0x43f00000
	v_cmp_gt_u32_e32 vcc, s10, v1
                                        ; implicit-def: $vgpr3
	s_and_saveexec_b64 s[10:11], vcc
	s_xor_b64 s[10:11], exec, s[10:11]
	s_cbranch_execz .LBB183_2720
; %bb.2715:
	s_mov_b32 s16, 0x3c7fffff
	v_cmp_lt_u32_e32 vcc, s16, v1
                                        ; implicit-def: $vgpr3
	s_and_saveexec_b64 s[16:17], vcc
	s_xor_b64 s[16:17], exec, s[16:17]
; %bb.2716:
	v_bfe_u32 v3, v1, 20, 1
	s_mov_b32 s18, 0x407ffff
	v_add3_u32 v1, v1, v3, s18
	v_lshrrev_b32_e32 v3, 20, v1
	v_and_b32_e32 v1, 0xff00000, v1
	s_mov_b32 s18, 0x7f00000
	v_mov_b32_e32 v7, 0x7e
	v_cmp_ne_u32_e32 vcc, s18, v1
	v_cndmask_b32_e32 v3, v7, v3, vcc
                                        ; implicit-def: $vgpr1
; %bb.2717:
	s_andn2_saveexec_b64 s[16:17], s[16:17]
; %bb.2718:
	v_add_f32_e32 v3, 0x46800000, v1
; %bb.2719:
	s_or_b64 exec, exec, s[16:17]
                                        ; implicit-def: $vgpr1
.LBB183_2720:
	s_andn2_saveexec_b64 s[10:11], s[10:11]
; %bb.2721:
	s_mov_b32 s16, 0x7f800000
	v_mov_b32_e32 v3, 0x7e
	v_mov_b32_e32 v7, 0x7f
	v_cmp_lt_u32_e32 vcc, s16, v1
	v_cndmask_b32_e32 v3, v3, v7, vcc
; %bb.2722:
	s_or_b64 exec, exec, s[10:11]
	global_store_byte v[5:6], v3, off
.LBB183_2723:
	s_mov_b64 s[10:11], 0
.LBB183_2724:
	s_andn2_b64 vcc, exec, s[10:11]
	s_cbranch_vccnz .LBB183_2734
; %bb.2725:
	v_cndmask_b32_e64 v1, 0, 1.0, s[2:3]
	s_mov_b32 s10, 0x47800000
	v_cmp_gt_u32_e32 vcc, s10, v1
                                        ; implicit-def: $vgpr3
	s_and_saveexec_b64 s[10:11], vcc
	s_xor_b64 s[10:11], exec, s[10:11]
	s_cbranch_execz .LBB183_2731
; %bb.2726:
	s_mov_b32 s16, 0x387fffff
	v_cmp_lt_u32_e32 vcc, s16, v1
                                        ; implicit-def: $vgpr3
	s_and_saveexec_b64 s[16:17], vcc
	s_xor_b64 s[16:17], exec, s[16:17]
; %bb.2727:
	v_bfe_u32 v3, v1, 21, 1
	s_mov_b32 s18, 0x80fffff
	v_add3_u32 v1, v1, v3, s18
	v_lshrrev_b32_e32 v3, 21, v1
                                        ; implicit-def: $vgpr1
; %bb.2728:
	s_andn2_saveexec_b64 s[16:17], s[16:17]
; %bb.2729:
	v_add_f32_e32 v3, 0x43000000, v1
; %bb.2730:
	s_or_b64 exec, exec, s[16:17]
                                        ; implicit-def: $vgpr1
.LBB183_2731:
	s_andn2_saveexec_b64 s[10:11], s[10:11]
; %bb.2732:
	s_mov_b32 s16, 0x7f800000
	v_mov_b32_e32 v3, 0x7c
	v_mov_b32_e32 v7, 0x7f
	v_cmp_lt_u32_e32 vcc, s16, v1
	v_cndmask_b32_e32 v3, v3, v7, vcc
; %bb.2733:
	s_or_b64 exec, exec, s[10:11]
	global_store_byte v[5:6], v3, off
.LBB183_2734:
	s_mov_b64 s[10:11], 0
	s_mov_b64 s[16:17], -1
.LBB183_2735:
	s_andn2_b64 vcc, exec, s[10:11]
	s_mov_b64 s[10:11], 0
	s_cbranch_vccnz .LBB183_2742
; %bb.2736:
	s_cmp_gt_i32 s23, 14
	s_mov_b64 s[18:19], -1
	s_cbranch_scc0 .LBB183_2740
; %bb.2737:
	s_cmp_eq_u32 s23, 15
	s_mov_b64 s[4:5], -1
	s_cbranch_scc0 .LBB183_2739
; %bb.2738:
	v_cndmask_b32_e64 v1, 0, 1.0, s[2:3]
	v_bfe_u32 v3, v1, 16, 1
	s_movk_i32 s4, 0x7fff
	v_add3_u32 v1, v1, v3, s4
	global_store_short_d16_hi v[5:6], v1, off
	s_mov_b64 s[4:5], 0
	s_mov_b64 s[16:17], -1
.LBB183_2739:
	s_mov_b64 s[18:19], 0
.LBB183_2740:
	s_and_b64 vcc, exec, s[18:19]
	s_cbranch_vccz .LBB183_2742
; %bb.2741:
	s_cmp_lg_u32 s23, 11
	s_mov_b64 s[10:11], -1
	s_cselect_b64 s[4:5], -1, 0
.LBB183_2742:
	s_and_b64 vcc, exec, s[4:5]
	s_cbranch_vccnz .LBB183_3150
; %bb.2743:
	s_andn2_b64 vcc, exec, s[10:11]
	s_cbranch_vccnz .LBB183_2745
.LBB183_2744:
	v_cndmask_b32_e64 v1, 0, 1, s[2:3]
	s_mov_b64 s[16:17], -1
	global_store_byte v[5:6], v1, off
.LBB183_2745:
	s_mov_b64 s[4:5], 0
	s_branch .LBB183_2747
.LBB183_2746:
	s_mov_b64 s[4:5], -1
	s_mov_b64 s[16:17], 0
.LBB183_2747:
	s_and_b64 vcc, exec, s[4:5]
	s_cbranch_vccz .LBB183_2786
; %bb.2748:
	s_and_b32 s10, 0xffff, s22
	s_cmp_lt_i32 s10, 5
	s_mov_b64 s[4:5], -1
	s_cbranch_scc1 .LBB183_2769
; %bb.2749:
	s_cmp_lt_i32 s10, 8
	s_cbranch_scc1 .LBB183_2759
; %bb.2750:
	s_cmp_lt_i32 s10, 9
	s_cbranch_scc1 .LBB183_2756
; %bb.2751:
	s_cmp_gt_i32 s10, 9
	s_cbranch_scc0 .LBB183_2753
; %bb.2752:
	v_cndmask_b32_e64 v1, 0, 1, s[2:3]
	v_cvt_f64_u32_e32 v[19:20], v1
	v_mov_b32_e32 v21, 0
	v_mov_b32_e32 v22, v21
	s_mov_b64 s[4:5], 0
	global_store_dwordx4 v[5:6], v[19:22], off
.LBB183_2753:
	s_andn2_b64 vcc, exec, s[4:5]
	s_cbranch_vccnz .LBB183_2755
; %bb.2754:
	v_cndmask_b32_e64 v7, 0, 1.0, s[2:3]
	v_mov_b32_e32 v8, 0
	global_store_dwordx2 v[5:6], v[7:8], off
.LBB183_2755:
	s_mov_b64 s[4:5], 0
.LBB183_2756:
	s_andn2_b64 vcc, exec, s[4:5]
	s_cbranch_vccnz .LBB183_2758
; %bb.2757:
	v_cndmask_b32_e64 v1, 0, 1.0, s[2:3]
	v_cvt_f16_f32_e32 v1, v1
	global_store_dword v[5:6], v1, off
.LBB183_2758:
	s_mov_b64 s[4:5], 0
.LBB183_2759:
	s_andn2_b64 vcc, exec, s[4:5]
	s_cbranch_vccnz .LBB183_2768
; %bb.2760:
	s_cmp_lt_i32 s10, 6
	s_mov_b64 s[4:5], -1
	s_cbranch_scc1 .LBB183_2766
; %bb.2761:
	s_cmp_gt_i32 s10, 6
	s_cbranch_scc0 .LBB183_2763
; %bb.2762:
	v_cndmask_b32_e64 v1, 0, 1, s[2:3]
	v_cvt_f64_u32_e32 v[7:8], v1
	s_mov_b64 s[4:5], 0
	global_store_dwordx2 v[5:6], v[7:8], off
.LBB183_2763:
	s_andn2_b64 vcc, exec, s[4:5]
	s_cbranch_vccnz .LBB183_2765
; %bb.2764:
	v_cndmask_b32_e64 v1, 0, 1.0, s[2:3]
	global_store_dword v[5:6], v1, off
.LBB183_2765:
	s_mov_b64 s[4:5], 0
.LBB183_2766:
	s_andn2_b64 vcc, exec, s[4:5]
	s_cbranch_vccnz .LBB183_2768
; %bb.2767:
	v_cndmask_b32_e64 v1, 0, 1.0, s[2:3]
	v_cvt_f16_f32_e32 v1, v1
	global_store_short v[5:6], v1, off
.LBB183_2768:
	s_mov_b64 s[4:5], 0
.LBB183_2769:
	s_andn2_b64 vcc, exec, s[4:5]
	s_cbranch_vccnz .LBB183_2785
; %bb.2770:
	s_cmp_lt_i32 s10, 2
	s_mov_b64 s[4:5], -1
	s_cbranch_scc1 .LBB183_2780
; %bb.2771:
	s_cmp_lt_i32 s10, 3
	s_cbranch_scc1 .LBB183_2777
; %bb.2772:
	s_cmp_gt_i32 s10, 3
	s_cbranch_scc0 .LBB183_2774
; %bb.2773:
	s_mov_b32 s4, 0
	v_cndmask_b32_e64 v7, 0, 1, s[2:3]
	v_mov_b32_e32 v8, s4
	global_store_dwordx2 v[5:6], v[7:8], off
	s_mov_b64 s[4:5], 0
.LBB183_2774:
	s_andn2_b64 vcc, exec, s[4:5]
	s_cbranch_vccnz .LBB183_2776
; %bb.2775:
	v_cndmask_b32_e64 v1, 0, 1, s[2:3]
	global_store_dword v[5:6], v1, off
.LBB183_2776:
	s_mov_b64 s[4:5], 0
.LBB183_2777:
	s_andn2_b64 vcc, exec, s[4:5]
	s_cbranch_vccnz .LBB183_2779
; %bb.2778:
	v_cndmask_b32_e64 v1, 0, 1, s[2:3]
	global_store_short v[5:6], v1, off
.LBB183_2779:
	s_mov_b64 s[4:5], 0
.LBB183_2780:
	s_andn2_b64 vcc, exec, s[4:5]
	s_cbranch_vccnz .LBB183_2785
; %bb.2781:
	s_mov_b64 s[4:5], -1
	s_cmp_gt_i32 s10, 0
	v_cndmask_b32_e64 v1, 0, 1, s[2:3]
	s_cbranch_scc0 .LBB183_2783
; %bb.2782:
	global_store_byte v[5:6], v1, off
	s_mov_b64 s[4:5], 0
.LBB183_2783:
	s_andn2_b64 vcc, exec, s[4:5]
	s_cbranch_vccnz .LBB183_2785
; %bb.2784:
	global_store_byte v[5:6], v1, off
.LBB183_2785:
	s_mov_b64 s[16:17], -1
.LBB183_2786:
	s_andn2_b64 vcc, exec, s[16:17]
	s_cbranch_vccnz .LBB183_3101
; %bb.2787:
	v_cmp_eq_f16_e32 vcc, v18, v16
	v_cndmask_b32_e64 v1, 0, 1, vcc
	v_cmp_neq_f16_e32 vcc, v18, v16
	v_cndmask_b32_e64 v3, 0, 1, vcc
	v_cndmask_b32_e64 v1, v3, v1, s[0:1]
	v_and_b32_e32 v1, 1, v1
	v_cmp_eq_u32_e64 s[2:3], 1, v1
	v_mov_b32_e32 v1, s9
	s_and_b32 s23, 0xffff, s22
	v_add_co_u32_e32 v3, vcc, s8, v4
	s_cmp_lt_i32 s23, 11
	v_addc_co_u32_e32 v4, vcc, 0, v1, vcc
	s_cbranch_scc1 .LBB183_2865
; %bb.2788:
	s_mov_b64 s[18:19], -1
	s_mov_b64 s[10:11], 0
	s_cmp_gt_i32 s23, 25
	s_mov_b64 s[16:17], 0
	s_mov_b64 s[4:5], 0
	s_cbranch_scc0 .LBB183_2821
; %bb.2789:
	s_cmp_gt_i32 s23, 28
	s_cbranch_scc0 .LBB183_2804
; %bb.2790:
	s_cmp_gt_i32 s23, 43
	s_cbranch_scc0 .LBB183_2800
; %bb.2791:
	s_cmp_gt_i32 s23, 45
	s_cbranch_scc0 .LBB183_2794
; %bb.2792:
	s_mov_b64 s[4:5], -1
	s_mov_b64 s[18:19], 0
	s_cmp_eq_u32 s23, 46
	s_cbranch_scc0 .LBB183_2794
; %bb.2793:
	v_cndmask_b32_e64 v1, 0, 1.0, s[2:3]
	v_bfe_u32 v5, v1, 16, 1
	s_movk_i32 s4, 0x7fff
	v_add3_u32 v1, v1, v5, s4
	v_lshrrev_b32_e32 v1, 16, v1
	global_store_dword v[3:4], v1, off
	s_mov_b64 s[4:5], 0
	s_mov_b64 s[16:17], -1
.LBB183_2794:
	s_and_b64 vcc, exec, s[18:19]
	s_cbranch_vccz .LBB183_2799
; %bb.2795:
	s_cmp_eq_u32 s23, 44
	s_mov_b64 s[4:5], -1
	s_cbranch_scc0 .LBB183_2799
; %bb.2796:
	v_cndmask_b32_e64 v5, 0, 1.0, s[2:3]
	v_lshrrev_b32_e32 v1, 23, v5
	s_movk_i32 s4, 0xff
	v_cmp_ne_u32_e32 vcc, s4, v1
	v_mov_b32_e32 v6, 0xff
	s_and_saveexec_b64 s[16:17], vcc
; %bb.2797:
	s_mov_b32 s4, 0x3fffff
	v_and_b32_e32 v6, 0x400000, v5
	v_and_or_b32 v5, v5, s4, v1
	v_cmp_ne_u32_e32 vcc, 0, v6
	v_cmp_ne_u32_e64 s[4:5], 0, v5
	s_and_b64 s[4:5], vcc, s[4:5]
	v_cndmask_b32_e64 v5, 0, 1, s[4:5]
	v_add_u32_e32 v6, v1, v5
; %bb.2798:
	s_or_b64 exec, exec, s[16:17]
	s_mov_b64 s[4:5], 0
	s_mov_b64 s[16:17], -1
	global_store_byte v[3:4], v6, off
.LBB183_2799:
	s_mov_b64 s[18:19], 0
.LBB183_2800:
	s_and_b64 vcc, exec, s[18:19]
	s_cbranch_vccz .LBB183_2803
; %bb.2801:
	s_cmp_eq_u32 s23, 29
	s_mov_b64 s[4:5], -1
	s_cbranch_scc0 .LBB183_2803
; %bb.2802:
	s_mov_b32 s4, 0
	v_cndmask_b32_e64 v5, 0, 1, s[2:3]
	v_mov_b32_e32 v6, s4
	global_store_dwordx2 v[3:4], v[5:6], off
	s_mov_b64 s[4:5], 0
	s_mov_b64 s[16:17], -1
.LBB183_2803:
	s_mov_b64 s[18:19], 0
.LBB183_2804:
	s_and_b64 vcc, exec, s[18:19]
	s_cbranch_vccz .LBB183_2820
; %bb.2805:
	s_cmp_lt_i32 s23, 27
	s_mov_b64 s[16:17], -1
	s_cbranch_scc1 .LBB183_2811
; %bb.2806:
	s_cmp_gt_i32 s23, 27
	s_cbranch_scc0 .LBB183_2808
; %bb.2807:
	v_cndmask_b32_e64 v1, 0, 1, s[2:3]
	s_mov_b64 s[16:17], 0
	global_store_dword v[3:4], v1, off
.LBB183_2808:
	s_andn2_b64 vcc, exec, s[16:17]
	s_cbranch_vccnz .LBB183_2810
; %bb.2809:
	v_cndmask_b32_e64 v1, 0, 1, s[2:3]
	global_store_short v[3:4], v1, off
.LBB183_2810:
	s_mov_b64 s[16:17], 0
.LBB183_2811:
	s_andn2_b64 vcc, exec, s[16:17]
	s_cbranch_vccnz .LBB183_2819
; %bb.2812:
	v_cndmask_b32_e64 v5, 0, 1.0, s[2:3]
	s_mov_b32 s16, 0x43800000
	v_cmp_gt_u32_e32 vcc, s16, v5
	v_mov_b32_e32 v6, 0x80
	s_and_saveexec_b64 s[16:17], vcc
	s_cbranch_execz .LBB183_2818
; %bb.2813:
	s_mov_b32 s18, 0x3bffffff
	v_cmp_lt_u32_e32 vcc, s18, v5
	s_mov_b64 s[18:19], 0
                                        ; implicit-def: $vgpr1
	s_and_saveexec_b64 s[20:21], vcc
	s_xor_b64 s[20:21], exec, s[20:21]
	s_cbranch_execz .LBB183_3153
; %bb.2814:
	v_bfe_u32 v1, v5, 20, 1
	s_mov_b32 s24, 0x487ffff
	v_add3_u32 v1, v5, v1, s24
	s_mov_b64 s[18:19], exec
	v_lshrrev_b32_e32 v1, 20, v1
                                        ; implicit-def: $vgpr5
	s_andn2_saveexec_b64 s[20:21], s[20:21]
	s_cbranch_execnz .LBB183_3154
.LBB183_2815:
	s_or_b64 exec, exec, s[20:21]
	v_mov_b32_e32 v6, 0
	s_and_saveexec_b64 s[20:21], s[18:19]
.LBB183_2816:
	v_mov_b32_e32 v6, v1
.LBB183_2817:
	s_or_b64 exec, exec, s[20:21]
.LBB183_2818:
	s_or_b64 exec, exec, s[16:17]
	global_store_byte v[3:4], v6, off
.LBB183_2819:
	s_mov_b64 s[16:17], -1
.LBB183_2820:
	s_mov_b64 s[18:19], 0
.LBB183_2821:
	s_and_b64 vcc, exec, s[18:19]
	s_cbranch_vccz .LBB183_2861
; %bb.2822:
	s_cmp_gt_i32 s23, 22
	s_mov_b64 s[10:11], -1
	s_cbranch_scc0 .LBB183_2854
; %bb.2823:
	s_cmp_lt_i32 s23, 24
	s_cbranch_scc1 .LBB183_2843
; %bb.2824:
	s_cmp_gt_i32 s23, 24
	s_cbranch_scc0 .LBB183_2832
; %bb.2825:
	v_cndmask_b32_e64 v5, 0, 1.0, s[2:3]
	s_mov_b32 s10, 0x47800000
	v_cmp_gt_u32_e32 vcc, s10, v5
	v_mov_b32_e32 v6, 0x80
	s_and_saveexec_b64 s[10:11], vcc
	s_cbranch_execz .LBB183_2831
; %bb.2826:
	s_mov_b32 s16, 0x37ffffff
	v_cmp_lt_u32_e32 vcc, s16, v5
	s_mov_b64 s[16:17], 0
                                        ; implicit-def: $vgpr1
	s_and_saveexec_b64 s[18:19], vcc
	s_xor_b64 s[18:19], exec, s[18:19]
	s_cbranch_execz .LBB183_3156
; %bb.2827:
	v_bfe_u32 v1, v5, 21, 1
	s_mov_b32 s20, 0x88fffff
	v_add3_u32 v1, v5, v1, s20
	s_mov_b64 s[16:17], exec
	v_lshrrev_b32_e32 v1, 21, v1
                                        ; implicit-def: $vgpr5
	s_andn2_saveexec_b64 s[18:19], s[18:19]
	s_cbranch_execnz .LBB183_3157
.LBB183_2828:
	s_or_b64 exec, exec, s[18:19]
	v_mov_b32_e32 v6, 0
	s_and_saveexec_b64 s[18:19], s[16:17]
.LBB183_2829:
	v_mov_b32_e32 v6, v1
.LBB183_2830:
	s_or_b64 exec, exec, s[18:19]
.LBB183_2831:
	s_or_b64 exec, exec, s[10:11]
	s_mov_b64 s[10:11], 0
	global_store_byte v[3:4], v6, off
.LBB183_2832:
	s_and_b64 vcc, exec, s[10:11]
	s_cbranch_vccz .LBB183_2842
; %bb.2833:
	v_cndmask_b32_e64 v1, 0, 1.0, s[2:3]
	s_mov_b32 s10, 0x43f00000
	v_cmp_gt_u32_e32 vcc, s10, v1
                                        ; implicit-def: $vgpr5
	s_and_saveexec_b64 s[10:11], vcc
	s_xor_b64 s[10:11], exec, s[10:11]
	s_cbranch_execz .LBB183_2839
; %bb.2834:
	s_mov_b32 s16, 0x3c7fffff
	v_cmp_lt_u32_e32 vcc, s16, v1
                                        ; implicit-def: $vgpr5
	s_and_saveexec_b64 s[16:17], vcc
	s_xor_b64 s[16:17], exec, s[16:17]
; %bb.2835:
	v_bfe_u32 v5, v1, 20, 1
	s_mov_b32 s18, 0x407ffff
	v_add3_u32 v1, v1, v5, s18
	v_lshrrev_b32_e32 v5, 20, v1
	v_and_b32_e32 v1, 0xff00000, v1
	s_mov_b32 s18, 0x7f00000
	v_mov_b32_e32 v6, 0x7e
	v_cmp_ne_u32_e32 vcc, s18, v1
	v_cndmask_b32_e32 v5, v6, v5, vcc
                                        ; implicit-def: $vgpr1
; %bb.2836:
	s_andn2_saveexec_b64 s[16:17], s[16:17]
; %bb.2837:
	v_add_f32_e32 v5, 0x46800000, v1
; %bb.2838:
	s_or_b64 exec, exec, s[16:17]
                                        ; implicit-def: $vgpr1
.LBB183_2839:
	s_andn2_saveexec_b64 s[10:11], s[10:11]
; %bb.2840:
	s_mov_b32 s16, 0x7f800000
	v_mov_b32_e32 v5, 0x7e
	v_mov_b32_e32 v6, 0x7f
	v_cmp_lt_u32_e32 vcc, s16, v1
	v_cndmask_b32_e32 v5, v5, v6, vcc
; %bb.2841:
	s_or_b64 exec, exec, s[10:11]
	global_store_byte v[3:4], v5, off
.LBB183_2842:
	s_mov_b64 s[10:11], 0
.LBB183_2843:
	s_andn2_b64 vcc, exec, s[10:11]
	s_cbranch_vccnz .LBB183_2853
; %bb.2844:
	v_cndmask_b32_e64 v1, 0, 1.0, s[2:3]
	s_mov_b32 s10, 0x47800000
	v_cmp_gt_u32_e32 vcc, s10, v1
                                        ; implicit-def: $vgpr5
	s_and_saveexec_b64 s[10:11], vcc
	s_xor_b64 s[10:11], exec, s[10:11]
	s_cbranch_execz .LBB183_2850
; %bb.2845:
	s_mov_b32 s16, 0x387fffff
	v_cmp_lt_u32_e32 vcc, s16, v1
                                        ; implicit-def: $vgpr5
	s_and_saveexec_b64 s[16:17], vcc
	s_xor_b64 s[16:17], exec, s[16:17]
; %bb.2846:
	v_bfe_u32 v5, v1, 21, 1
	s_mov_b32 s18, 0x80fffff
	v_add3_u32 v1, v1, v5, s18
	v_lshrrev_b32_e32 v5, 21, v1
                                        ; implicit-def: $vgpr1
; %bb.2847:
	s_andn2_saveexec_b64 s[16:17], s[16:17]
; %bb.2848:
	v_add_f32_e32 v5, 0x43000000, v1
; %bb.2849:
	s_or_b64 exec, exec, s[16:17]
                                        ; implicit-def: $vgpr1
.LBB183_2850:
	s_andn2_saveexec_b64 s[10:11], s[10:11]
; %bb.2851:
	s_mov_b32 s16, 0x7f800000
	v_mov_b32_e32 v5, 0x7c
	v_mov_b32_e32 v6, 0x7f
	v_cmp_lt_u32_e32 vcc, s16, v1
	v_cndmask_b32_e32 v5, v5, v6, vcc
; %bb.2852:
	s_or_b64 exec, exec, s[10:11]
	global_store_byte v[3:4], v5, off
.LBB183_2853:
	s_mov_b64 s[10:11], 0
	s_mov_b64 s[16:17], -1
.LBB183_2854:
	s_andn2_b64 vcc, exec, s[10:11]
	s_mov_b64 s[10:11], 0
	s_cbranch_vccnz .LBB183_2861
; %bb.2855:
	s_cmp_gt_i32 s23, 14
	s_mov_b64 s[18:19], -1
	s_cbranch_scc0 .LBB183_2859
; %bb.2856:
	s_cmp_eq_u32 s23, 15
	s_mov_b64 s[4:5], -1
	s_cbranch_scc0 .LBB183_2858
; %bb.2857:
	v_cndmask_b32_e64 v1, 0, 1.0, s[2:3]
	v_bfe_u32 v5, v1, 16, 1
	s_movk_i32 s4, 0x7fff
	v_add3_u32 v1, v1, v5, s4
	global_store_short_d16_hi v[3:4], v1, off
	s_mov_b64 s[4:5], 0
	s_mov_b64 s[16:17], -1
.LBB183_2858:
	s_mov_b64 s[18:19], 0
.LBB183_2859:
	s_and_b64 vcc, exec, s[18:19]
	s_cbranch_vccz .LBB183_2861
; %bb.2860:
	s_cmp_lg_u32 s23, 11
	s_mov_b64 s[10:11], -1
	s_cselect_b64 s[4:5], -1, 0
.LBB183_2861:
	s_and_b64 vcc, exec, s[4:5]
	s_cbranch_vccnz .LBB183_3155
; %bb.2862:
	s_andn2_b64 vcc, exec, s[10:11]
	s_cbranch_vccnz .LBB183_2864
.LBB183_2863:
	v_cndmask_b32_e64 v1, 0, 1, s[2:3]
	s_mov_b64 s[16:17], -1
	global_store_byte v[3:4], v1, off
.LBB183_2864:
	s_mov_b64 s[4:5], 0
	s_branch .LBB183_2866
.LBB183_2865:
	s_mov_b64 s[4:5], -1
	s_mov_b64 s[16:17], 0
.LBB183_2866:
	s_and_b64 vcc, exec, s[4:5]
	s_cbranch_vccz .LBB183_2905
; %bb.2867:
	s_cmp_lt_i32 s23, 5
	s_mov_b64 s[4:5], -1
	s_cbranch_scc1 .LBB183_2888
; %bb.2868:
	s_cmp_lt_i32 s23, 8
	s_cbranch_scc1 .LBB183_2878
; %bb.2869:
	s_cmp_lt_i32 s23, 9
	s_cbranch_scc1 .LBB183_2875
; %bb.2870:
	s_cmp_gt_i32 s23, 9
	s_cbranch_scc0 .LBB183_2872
; %bb.2871:
	v_cndmask_b32_e64 v1, 0, 1, s[2:3]
	v_cvt_f64_u32_e32 v[5:6], v1
	v_mov_b32_e32 v7, 0
	v_mov_b32_e32 v8, v7
	s_mov_b64 s[4:5], 0
	global_store_dwordx4 v[3:4], v[5:8], off
.LBB183_2872:
	s_andn2_b64 vcc, exec, s[4:5]
	s_cbranch_vccnz .LBB183_2874
; %bb.2873:
	v_cndmask_b32_e64 v5, 0, 1.0, s[2:3]
	v_mov_b32_e32 v6, 0
	global_store_dwordx2 v[3:4], v[5:6], off
.LBB183_2874:
	s_mov_b64 s[4:5], 0
.LBB183_2875:
	s_andn2_b64 vcc, exec, s[4:5]
	s_cbranch_vccnz .LBB183_2877
; %bb.2876:
	v_cndmask_b32_e64 v1, 0, 1.0, s[2:3]
	v_cvt_f16_f32_e32 v1, v1
	global_store_dword v[3:4], v1, off
.LBB183_2877:
	s_mov_b64 s[4:5], 0
.LBB183_2878:
	s_andn2_b64 vcc, exec, s[4:5]
	s_cbranch_vccnz .LBB183_2887
; %bb.2879:
	s_cmp_lt_i32 s23, 6
	s_mov_b64 s[4:5], -1
	s_cbranch_scc1 .LBB183_2885
; %bb.2880:
	s_cmp_gt_i32 s23, 6
	s_cbranch_scc0 .LBB183_2882
; %bb.2881:
	v_cndmask_b32_e64 v1, 0, 1, s[2:3]
	v_cvt_f64_u32_e32 v[5:6], v1
	s_mov_b64 s[4:5], 0
	global_store_dwordx2 v[3:4], v[5:6], off
.LBB183_2882:
	s_andn2_b64 vcc, exec, s[4:5]
	s_cbranch_vccnz .LBB183_2884
; %bb.2883:
	v_cndmask_b32_e64 v1, 0, 1.0, s[2:3]
	global_store_dword v[3:4], v1, off
.LBB183_2884:
	s_mov_b64 s[4:5], 0
.LBB183_2885:
	s_andn2_b64 vcc, exec, s[4:5]
	s_cbranch_vccnz .LBB183_2887
; %bb.2886:
	v_cndmask_b32_e64 v1, 0, 1.0, s[2:3]
	v_cvt_f16_f32_e32 v1, v1
	global_store_short v[3:4], v1, off
.LBB183_2887:
	s_mov_b64 s[4:5], 0
.LBB183_2888:
	s_andn2_b64 vcc, exec, s[4:5]
	s_cbranch_vccnz .LBB183_2904
; %bb.2889:
	s_cmp_lt_i32 s23, 2
	s_mov_b64 s[4:5], -1
	s_cbranch_scc1 .LBB183_2899
; %bb.2890:
	s_cmp_lt_i32 s23, 3
	s_cbranch_scc1 .LBB183_2896
; %bb.2891:
	s_cmp_gt_i32 s23, 3
	s_cbranch_scc0 .LBB183_2893
; %bb.2892:
	s_mov_b32 s4, 0
	v_cndmask_b32_e64 v5, 0, 1, s[2:3]
	v_mov_b32_e32 v6, s4
	global_store_dwordx2 v[3:4], v[5:6], off
	s_mov_b64 s[4:5], 0
.LBB183_2893:
	s_andn2_b64 vcc, exec, s[4:5]
	s_cbranch_vccnz .LBB183_2895
; %bb.2894:
	v_cndmask_b32_e64 v1, 0, 1, s[2:3]
	global_store_dword v[3:4], v1, off
.LBB183_2895:
	s_mov_b64 s[4:5], 0
.LBB183_2896:
	s_andn2_b64 vcc, exec, s[4:5]
	s_cbranch_vccnz .LBB183_2898
; %bb.2897:
	v_cndmask_b32_e64 v1, 0, 1, s[2:3]
	global_store_short v[3:4], v1, off
.LBB183_2898:
	s_mov_b64 s[4:5], 0
.LBB183_2899:
	s_andn2_b64 vcc, exec, s[4:5]
	s_cbranch_vccnz .LBB183_2904
; %bb.2900:
	s_mov_b64 s[4:5], -1
	s_cmp_gt_i32 s23, 0
	v_cndmask_b32_e64 v1, 0, 1, s[2:3]
	s_cbranch_scc0 .LBB183_2902
; %bb.2901:
	global_store_byte v[3:4], v1, off
	s_mov_b64 s[4:5], 0
.LBB183_2902:
	s_andn2_b64 vcc, exec, s[4:5]
	s_cbranch_vccnz .LBB183_2904
; %bb.2903:
	global_store_byte v[3:4], v1, off
.LBB183_2904:
	s_mov_b64 s[16:17], -1
.LBB183_2905:
	s_andn2_b64 vcc, exec, s[16:17]
	s_cbranch_vccnz .LBB183_3101
; %bb.2906:
	v_cmp_eq_f16_e32 vcc, v14, v12
	v_cndmask_b32_e64 v1, 0, 1, vcc
	v_cmp_neq_f16_e32 vcc, v14, v12
	v_cndmask_b32_e64 v3, 0, 1, vcc
	v_cndmask_b32_e64 v1, v3, v1, s[0:1]
	v_and_b32_e32 v1, 1, v1
	v_cmp_eq_u32_e64 s[2:3], 1, v1
	v_mov_b32_e32 v3, s9
	v_add_co_u32_e32 v1, vcc, s8, v2
	s_cmp_lt_i32 s23, 11
	v_addc_co_u32_e32 v2, vcc, 0, v3, vcc
	s_cbranch_scc1 .LBB183_2984
; %bb.2907:
	s_mov_b64 s[18:19], -1
	s_mov_b64 s[10:11], 0
	s_cmp_gt_i32 s23, 25
	s_mov_b64 s[16:17], 0
	s_mov_b64 s[4:5], 0
	s_cbranch_scc0 .LBB183_2940
; %bb.2908:
	s_cmp_gt_i32 s23, 28
	s_cbranch_scc0 .LBB183_2923
; %bb.2909:
	s_cmp_gt_i32 s23, 43
	;; [unrolled: 3-line block ×3, first 2 shown]
	s_cbranch_scc0 .LBB183_2913
; %bb.2911:
	s_mov_b64 s[4:5], -1
	s_mov_b64 s[18:19], 0
	s_cmp_eq_u32 s23, 46
	s_cbranch_scc0 .LBB183_2913
; %bb.2912:
	v_cndmask_b32_e64 v3, 0, 1.0, s[2:3]
	v_bfe_u32 v4, v3, 16, 1
	s_movk_i32 s4, 0x7fff
	v_add3_u32 v3, v3, v4, s4
	v_lshrrev_b32_e32 v3, 16, v3
	global_store_dword v[1:2], v3, off
	s_mov_b64 s[4:5], 0
	s_mov_b64 s[16:17], -1
.LBB183_2913:
	s_and_b64 vcc, exec, s[18:19]
	s_cbranch_vccz .LBB183_2918
; %bb.2914:
	s_cmp_eq_u32 s23, 44
	s_mov_b64 s[4:5], -1
	s_cbranch_scc0 .LBB183_2918
; %bb.2915:
	v_cndmask_b32_e64 v4, 0, 1.0, s[2:3]
	v_lshrrev_b32_e32 v3, 23, v4
	s_movk_i32 s4, 0xff
	v_cmp_ne_u32_e32 vcc, s4, v3
	v_mov_b32_e32 v5, 0xff
	s_and_saveexec_b64 s[16:17], vcc
; %bb.2916:
	s_mov_b32 s4, 0x3fffff
	v_and_b32_e32 v5, 0x400000, v4
	v_and_or_b32 v4, v4, s4, v3
	v_cmp_ne_u32_e32 vcc, 0, v5
	v_cmp_ne_u32_e64 s[4:5], 0, v4
	s_and_b64 s[4:5], vcc, s[4:5]
	v_cndmask_b32_e64 v4, 0, 1, s[4:5]
	v_add_u32_e32 v5, v3, v4
; %bb.2917:
	s_or_b64 exec, exec, s[16:17]
	s_mov_b64 s[4:5], 0
	s_mov_b64 s[16:17], -1
	global_store_byte v[1:2], v5, off
.LBB183_2918:
	s_mov_b64 s[18:19], 0
.LBB183_2919:
	s_and_b64 vcc, exec, s[18:19]
	s_cbranch_vccz .LBB183_2922
; %bb.2920:
	s_cmp_eq_u32 s23, 29
	s_mov_b64 s[4:5], -1
	s_cbranch_scc0 .LBB183_2922
; %bb.2921:
	s_mov_b32 s4, 0
	v_cndmask_b32_e64 v3, 0, 1, s[2:3]
	v_mov_b32_e32 v4, s4
	global_store_dwordx2 v[1:2], v[3:4], off
	s_mov_b64 s[4:5], 0
	s_mov_b64 s[16:17], -1
.LBB183_2922:
	s_mov_b64 s[18:19], 0
.LBB183_2923:
	s_and_b64 vcc, exec, s[18:19]
	s_cbranch_vccz .LBB183_2939
; %bb.2924:
	s_cmp_lt_i32 s23, 27
	s_mov_b64 s[16:17], -1
	s_cbranch_scc1 .LBB183_2930
; %bb.2925:
	s_cmp_gt_i32 s23, 27
	s_cbranch_scc0 .LBB183_2927
; %bb.2926:
	v_cndmask_b32_e64 v3, 0, 1, s[2:3]
	s_mov_b64 s[16:17], 0
	global_store_dword v[1:2], v3, off
.LBB183_2927:
	s_andn2_b64 vcc, exec, s[16:17]
	s_cbranch_vccnz .LBB183_2929
; %bb.2928:
	v_cndmask_b32_e64 v3, 0, 1, s[2:3]
	global_store_short v[1:2], v3, off
.LBB183_2929:
	s_mov_b64 s[16:17], 0
.LBB183_2930:
	s_andn2_b64 vcc, exec, s[16:17]
	s_cbranch_vccnz .LBB183_2938
; %bb.2931:
	v_cndmask_b32_e64 v4, 0, 1.0, s[2:3]
	s_mov_b32 s16, 0x43800000
	v_cmp_gt_u32_e32 vcc, s16, v4
	v_mov_b32_e32 v5, 0x80
	s_and_saveexec_b64 s[16:17], vcc
	s_cbranch_execz .LBB183_2937
; %bb.2932:
	s_mov_b32 s18, 0x3bffffff
	v_cmp_lt_u32_e32 vcc, s18, v4
	s_mov_b64 s[18:19], 0
                                        ; implicit-def: $vgpr3
	s_and_saveexec_b64 s[20:21], vcc
	s_xor_b64 s[20:21], exec, s[20:21]
	s_cbranch_execz .LBB183_3158
; %bb.2933:
	v_bfe_u32 v3, v4, 20, 1
	s_mov_b32 s24, 0x487ffff
	v_add3_u32 v3, v4, v3, s24
	s_mov_b64 s[18:19], exec
	v_lshrrev_b32_e32 v3, 20, v3
                                        ; implicit-def: $vgpr4
	s_andn2_saveexec_b64 s[20:21], s[20:21]
	s_cbranch_execnz .LBB183_3159
.LBB183_2934:
	s_or_b64 exec, exec, s[20:21]
	v_mov_b32_e32 v5, 0
	s_and_saveexec_b64 s[20:21], s[18:19]
.LBB183_2935:
	v_mov_b32_e32 v5, v3
.LBB183_2936:
	s_or_b64 exec, exec, s[20:21]
.LBB183_2937:
	s_or_b64 exec, exec, s[16:17]
	global_store_byte v[1:2], v5, off
.LBB183_2938:
	s_mov_b64 s[16:17], -1
.LBB183_2939:
	s_mov_b64 s[18:19], 0
.LBB183_2940:
	s_and_b64 vcc, exec, s[18:19]
	s_cbranch_vccz .LBB183_2980
; %bb.2941:
	s_cmp_gt_i32 s23, 22
	s_mov_b64 s[10:11], -1
	s_cbranch_scc0 .LBB183_2973
; %bb.2942:
	s_cmp_lt_i32 s23, 24
	s_cbranch_scc1 .LBB183_2962
; %bb.2943:
	s_cmp_gt_i32 s23, 24
	s_cbranch_scc0 .LBB183_2951
; %bb.2944:
	v_cndmask_b32_e64 v4, 0, 1.0, s[2:3]
	s_mov_b32 s10, 0x47800000
	v_cmp_gt_u32_e32 vcc, s10, v4
	v_mov_b32_e32 v5, 0x80
	s_and_saveexec_b64 s[10:11], vcc
	s_cbranch_execz .LBB183_2950
; %bb.2945:
	s_mov_b32 s16, 0x37ffffff
	v_cmp_lt_u32_e32 vcc, s16, v4
	s_mov_b64 s[16:17], 0
                                        ; implicit-def: $vgpr3
	s_and_saveexec_b64 s[18:19], vcc
	s_xor_b64 s[18:19], exec, s[18:19]
	s_cbranch_execz .LBB183_3161
; %bb.2946:
	v_bfe_u32 v3, v4, 21, 1
	s_mov_b32 s20, 0x88fffff
	v_add3_u32 v3, v4, v3, s20
	s_mov_b64 s[16:17], exec
	v_lshrrev_b32_e32 v3, 21, v3
                                        ; implicit-def: $vgpr4
	s_andn2_saveexec_b64 s[18:19], s[18:19]
	s_cbranch_execnz .LBB183_3162
.LBB183_2947:
	s_or_b64 exec, exec, s[18:19]
	v_mov_b32_e32 v5, 0
	s_and_saveexec_b64 s[18:19], s[16:17]
.LBB183_2948:
	v_mov_b32_e32 v5, v3
.LBB183_2949:
	s_or_b64 exec, exec, s[18:19]
.LBB183_2950:
	s_or_b64 exec, exec, s[10:11]
	s_mov_b64 s[10:11], 0
	global_store_byte v[1:2], v5, off
.LBB183_2951:
	s_and_b64 vcc, exec, s[10:11]
	s_cbranch_vccz .LBB183_2961
; %bb.2952:
	v_cndmask_b32_e64 v3, 0, 1.0, s[2:3]
	s_mov_b32 s10, 0x43f00000
	v_cmp_gt_u32_e32 vcc, s10, v3
                                        ; implicit-def: $vgpr4
	s_and_saveexec_b64 s[10:11], vcc
	s_xor_b64 s[10:11], exec, s[10:11]
	s_cbranch_execz .LBB183_2958
; %bb.2953:
	s_mov_b32 s16, 0x3c7fffff
	v_cmp_lt_u32_e32 vcc, s16, v3
                                        ; implicit-def: $vgpr4
	s_and_saveexec_b64 s[16:17], vcc
	s_xor_b64 s[16:17], exec, s[16:17]
; %bb.2954:
	v_bfe_u32 v4, v3, 20, 1
	s_mov_b32 s18, 0x407ffff
	v_add3_u32 v3, v3, v4, s18
	v_lshrrev_b32_e32 v4, 20, v3
	v_and_b32_e32 v3, 0xff00000, v3
	s_mov_b32 s18, 0x7f00000
	v_mov_b32_e32 v5, 0x7e
	v_cmp_ne_u32_e32 vcc, s18, v3
	v_cndmask_b32_e32 v4, v5, v4, vcc
                                        ; implicit-def: $vgpr3
; %bb.2955:
	s_andn2_saveexec_b64 s[16:17], s[16:17]
; %bb.2956:
	v_add_f32_e32 v4, 0x46800000, v3
; %bb.2957:
	s_or_b64 exec, exec, s[16:17]
                                        ; implicit-def: $vgpr3
.LBB183_2958:
	s_andn2_saveexec_b64 s[10:11], s[10:11]
; %bb.2959:
	s_mov_b32 s16, 0x7f800000
	v_mov_b32_e32 v4, 0x7e
	v_mov_b32_e32 v5, 0x7f
	v_cmp_lt_u32_e32 vcc, s16, v3
	v_cndmask_b32_e32 v4, v4, v5, vcc
; %bb.2960:
	s_or_b64 exec, exec, s[10:11]
	global_store_byte v[1:2], v4, off
.LBB183_2961:
	s_mov_b64 s[10:11], 0
.LBB183_2962:
	s_andn2_b64 vcc, exec, s[10:11]
	s_cbranch_vccnz .LBB183_2972
; %bb.2963:
	v_cndmask_b32_e64 v3, 0, 1.0, s[2:3]
	s_mov_b32 s10, 0x47800000
	v_cmp_gt_u32_e32 vcc, s10, v3
                                        ; implicit-def: $vgpr4
	s_and_saveexec_b64 s[10:11], vcc
	s_xor_b64 s[10:11], exec, s[10:11]
	s_cbranch_execz .LBB183_2969
; %bb.2964:
	s_mov_b32 s16, 0x387fffff
	v_cmp_lt_u32_e32 vcc, s16, v3
                                        ; implicit-def: $vgpr4
	s_and_saveexec_b64 s[16:17], vcc
	s_xor_b64 s[16:17], exec, s[16:17]
; %bb.2965:
	v_bfe_u32 v4, v3, 21, 1
	s_mov_b32 s18, 0x80fffff
	v_add3_u32 v3, v3, v4, s18
	v_lshrrev_b32_e32 v4, 21, v3
                                        ; implicit-def: $vgpr3
; %bb.2966:
	s_andn2_saveexec_b64 s[16:17], s[16:17]
; %bb.2967:
	v_add_f32_e32 v4, 0x43000000, v3
; %bb.2968:
	s_or_b64 exec, exec, s[16:17]
                                        ; implicit-def: $vgpr3
.LBB183_2969:
	s_andn2_saveexec_b64 s[10:11], s[10:11]
; %bb.2970:
	s_mov_b32 s16, 0x7f800000
	v_mov_b32_e32 v4, 0x7c
	v_mov_b32_e32 v5, 0x7f
	v_cmp_lt_u32_e32 vcc, s16, v3
	v_cndmask_b32_e32 v4, v4, v5, vcc
; %bb.2971:
	s_or_b64 exec, exec, s[10:11]
	global_store_byte v[1:2], v4, off
.LBB183_2972:
	s_mov_b64 s[10:11], 0
	s_mov_b64 s[16:17], -1
.LBB183_2973:
	s_andn2_b64 vcc, exec, s[10:11]
	s_mov_b64 s[10:11], 0
	s_cbranch_vccnz .LBB183_2980
; %bb.2974:
	s_cmp_gt_i32 s23, 14
	s_mov_b64 s[18:19], -1
	s_cbranch_scc0 .LBB183_2978
; %bb.2975:
	s_cmp_eq_u32 s23, 15
	s_mov_b64 s[4:5], -1
	s_cbranch_scc0 .LBB183_2977
; %bb.2976:
	v_cndmask_b32_e64 v3, 0, 1.0, s[2:3]
	v_bfe_u32 v4, v3, 16, 1
	s_movk_i32 s4, 0x7fff
	v_add3_u32 v3, v3, v4, s4
	global_store_short_d16_hi v[1:2], v3, off
	s_mov_b64 s[4:5], 0
	s_mov_b64 s[16:17], -1
.LBB183_2977:
	s_mov_b64 s[18:19], 0
.LBB183_2978:
	s_and_b64 vcc, exec, s[18:19]
	s_cbranch_vccz .LBB183_2980
; %bb.2979:
	s_cmp_lg_u32 s23, 11
	s_mov_b64 s[10:11], -1
	s_cselect_b64 s[4:5], -1, 0
.LBB183_2980:
	s_and_b64 vcc, exec, s[4:5]
	s_cbranch_vccnz .LBB183_3160
; %bb.2981:
	s_andn2_b64 vcc, exec, s[10:11]
	s_cbranch_vccnz .LBB183_2983
.LBB183_2982:
	v_cndmask_b32_e64 v3, 0, 1, s[2:3]
	s_mov_b64 s[16:17], -1
	global_store_byte v[1:2], v3, off
.LBB183_2983:
	s_mov_b64 s[4:5], 0
	s_branch .LBB183_2985
.LBB183_2984:
	s_mov_b64 s[4:5], -1
	s_mov_b64 s[16:17], 0
.LBB183_2985:
	s_and_b64 vcc, exec, s[4:5]
	s_cbranch_vccz .LBB183_3024
; %bb.2986:
	s_cmp_lt_i32 s23, 5
	s_mov_b64 s[4:5], -1
	s_cbranch_scc1 .LBB183_3007
; %bb.2987:
	s_cmp_lt_i32 s23, 8
	s_cbranch_scc1 .LBB183_2997
; %bb.2988:
	s_cmp_lt_i32 s23, 9
	s_cbranch_scc1 .LBB183_2994
; %bb.2989:
	s_cmp_gt_i32 s23, 9
	s_cbranch_scc0 .LBB183_2991
; %bb.2990:
	v_cndmask_b32_e64 v3, 0, 1, s[2:3]
	v_cvt_f64_u32_e32 v[3:4], v3
	v_mov_b32_e32 v5, 0
	v_mov_b32_e32 v6, v5
	s_mov_b64 s[4:5], 0
	global_store_dwordx4 v[1:2], v[3:6], off
.LBB183_2991:
	s_andn2_b64 vcc, exec, s[4:5]
	s_cbranch_vccnz .LBB183_2993
; %bb.2992:
	v_cndmask_b32_e64 v3, 0, 1.0, s[2:3]
	v_mov_b32_e32 v4, 0
	global_store_dwordx2 v[1:2], v[3:4], off
.LBB183_2993:
	s_mov_b64 s[4:5], 0
.LBB183_2994:
	s_andn2_b64 vcc, exec, s[4:5]
	s_cbranch_vccnz .LBB183_2996
; %bb.2995:
	v_cndmask_b32_e64 v3, 0, 1.0, s[2:3]
	v_cvt_f16_f32_e32 v3, v3
	global_store_dword v[1:2], v3, off
.LBB183_2996:
	s_mov_b64 s[4:5], 0
.LBB183_2997:
	s_andn2_b64 vcc, exec, s[4:5]
	s_cbranch_vccnz .LBB183_3006
; %bb.2998:
	s_cmp_lt_i32 s23, 6
	s_mov_b64 s[4:5], -1
	s_cbranch_scc1 .LBB183_3004
; %bb.2999:
	s_cmp_gt_i32 s23, 6
	s_cbranch_scc0 .LBB183_3001
; %bb.3000:
	v_cndmask_b32_e64 v3, 0, 1, s[2:3]
	v_cvt_f64_u32_e32 v[3:4], v3
	s_mov_b64 s[4:5], 0
	global_store_dwordx2 v[1:2], v[3:4], off
.LBB183_3001:
	s_andn2_b64 vcc, exec, s[4:5]
	s_cbranch_vccnz .LBB183_3003
; %bb.3002:
	v_cndmask_b32_e64 v3, 0, 1.0, s[2:3]
	global_store_dword v[1:2], v3, off
.LBB183_3003:
	s_mov_b64 s[4:5], 0
.LBB183_3004:
	s_andn2_b64 vcc, exec, s[4:5]
	s_cbranch_vccnz .LBB183_3006
; %bb.3005:
	v_cndmask_b32_e64 v3, 0, 1.0, s[2:3]
	v_cvt_f16_f32_e32 v3, v3
	global_store_short v[1:2], v3, off
.LBB183_3006:
	s_mov_b64 s[4:5], 0
.LBB183_3007:
	s_andn2_b64 vcc, exec, s[4:5]
	s_cbranch_vccnz .LBB183_3023
; %bb.3008:
	s_cmp_lt_i32 s23, 2
	s_mov_b64 s[4:5], -1
	s_cbranch_scc1 .LBB183_3018
; %bb.3009:
	s_cmp_lt_i32 s23, 3
	s_cbranch_scc1 .LBB183_3015
; %bb.3010:
	s_cmp_gt_i32 s23, 3
	s_cbranch_scc0 .LBB183_3012
; %bb.3011:
	s_mov_b32 s4, 0
	v_cndmask_b32_e64 v3, 0, 1, s[2:3]
	v_mov_b32_e32 v4, s4
	global_store_dwordx2 v[1:2], v[3:4], off
	s_mov_b64 s[4:5], 0
.LBB183_3012:
	s_andn2_b64 vcc, exec, s[4:5]
	s_cbranch_vccnz .LBB183_3014
; %bb.3013:
	v_cndmask_b32_e64 v3, 0, 1, s[2:3]
	global_store_dword v[1:2], v3, off
.LBB183_3014:
	s_mov_b64 s[4:5], 0
.LBB183_3015:
	s_andn2_b64 vcc, exec, s[4:5]
	s_cbranch_vccnz .LBB183_3017
; %bb.3016:
	v_cndmask_b32_e64 v3, 0, 1, s[2:3]
	global_store_short v[1:2], v3, off
.LBB183_3017:
	s_mov_b64 s[4:5], 0
.LBB183_3018:
	s_andn2_b64 vcc, exec, s[4:5]
	s_cbranch_vccnz .LBB183_3023
; %bb.3019:
	s_cmp_gt_i32 s23, 0
	s_mov_b64 s[4:5], -1
	s_cbranch_scc0 .LBB183_3021
; %bb.3020:
	v_cndmask_b32_e64 v3, 0, 1, s[2:3]
	global_store_byte v[1:2], v3, off
	s_mov_b64 s[4:5], 0
.LBB183_3021:
	s_andn2_b64 vcc, exec, s[4:5]
	s_cbranch_vccnz .LBB183_3023
; %bb.3022:
	v_cndmask_b32_e64 v3, 0, 1, s[2:3]
	global_store_byte v[1:2], v3, off
.LBB183_3023:
	s_mov_b64 s[16:17], -1
.LBB183_3024:
	s_andn2_b64 vcc, exec, s[16:17]
	s_cbranch_vccnz .LBB183_3101
; %bb.3025:
	v_cmp_eq_f16_e32 vcc, v10, v9
	v_cndmask_b32_e64 v1, 0, 1, vcc
	v_cmp_neq_f16_e32 vcc, v10, v9
	v_cndmask_b32_e64 v2, 0, 1, vcc
	v_cndmask_b32_e64 v1, v2, v1, s[0:1]
	v_and_b32_e32 v1, 1, v1
	v_cmp_eq_u32_e64 s[2:3], 1, v1
	v_mov_b32_e32 v1, s9
	v_add_co_u32_e32 v0, vcc, s8, v0
	s_cmp_lt_i32 s23, 11
	v_addc_co_u32_e32 v1, vcc, 0, v1, vcc
	s_cbranch_scc1 .LBB183_3146
; %bb.3026:
	s_mov_b64 s[8:9], -1
	s_mov_b64 s[4:5], 0
	s_cmp_gt_i32 s23, 25
	s_mov_b64 s[0:1], 0
	s_cbranch_scc0 .LBB183_3059
; %bb.3027:
	s_cmp_gt_i32 s23, 28
	s_cbranch_scc0 .LBB183_3043
; %bb.3028:
	s_cmp_gt_i32 s23, 43
	;; [unrolled: 3-line block ×3, first 2 shown]
	s_cbranch_scc0 .LBB183_3033
; %bb.3030:
	s_cmp_eq_u32 s23, 46
	s_mov_b64 s[0:1], -1
	s_cbranch_scc0 .LBB183_3032
; %bb.3031:
	v_cndmask_b32_e64 v2, 0, 1.0, s[2:3]
	v_bfe_u32 v3, v2, 16, 1
	s_movk_i32 s0, 0x7fff
	v_add3_u32 v2, v2, v3, s0
	v_lshrrev_b32_e32 v2, 16, v2
	global_store_dword v[0:1], v2, off
	s_mov_b64 s[0:1], 0
.LBB183_3032:
	s_mov_b64 s[8:9], 0
.LBB183_3033:
	s_and_b64 vcc, exec, s[8:9]
	s_cbranch_vccz .LBB183_3038
; %bb.3034:
	s_cmp_eq_u32 s23, 44
	s_mov_b64 s[0:1], -1
	s_cbranch_scc0 .LBB183_3038
; %bb.3035:
	v_cndmask_b32_e64 v3, 0, 1.0, s[2:3]
	v_lshrrev_b32_e32 v2, 23, v3
	s_movk_i32 s0, 0xff
	v_cmp_ne_u32_e32 vcc, s0, v2
	v_mov_b32_e32 v4, 0xff
	s_and_saveexec_b64 s[8:9], vcc
; %bb.3036:
	s_mov_b32 s0, 0x3fffff
	v_and_b32_e32 v4, 0x400000, v3
	v_and_or_b32 v3, v3, s0, v2
	v_cmp_ne_u32_e32 vcc, 0, v4
	v_cmp_ne_u32_e64 s[0:1], 0, v3
	s_and_b64 s[0:1], vcc, s[0:1]
	v_cndmask_b32_e64 v3, 0, 1, s[0:1]
	v_add_u32_e32 v4, v2, v3
; %bb.3037:
	s_or_b64 exec, exec, s[8:9]
	s_mov_b64 s[0:1], 0
	global_store_byte v[0:1], v4, off
.LBB183_3038:
	s_mov_b64 s[8:9], 0
.LBB183_3039:
	s_and_b64 vcc, exec, s[8:9]
	s_cbranch_vccz .LBB183_3042
; %bb.3040:
	s_cmp_eq_u32 s23, 29
	s_mov_b64 s[0:1], -1
	s_cbranch_scc0 .LBB183_3042
; %bb.3041:
	s_mov_b32 s0, 0
	v_cndmask_b32_e64 v2, 0, 1, s[2:3]
	v_mov_b32_e32 v3, s0
	global_store_dwordx2 v[0:1], v[2:3], off
	s_mov_b64 s[0:1], 0
.LBB183_3042:
	s_mov_b64 s[8:9], 0
.LBB183_3043:
	s_and_b64 vcc, exec, s[8:9]
	s_cbranch_vccz .LBB183_3058
; %bb.3044:
	s_cmp_lt_i32 s23, 27
	s_mov_b64 s[8:9], -1
	s_cbranch_scc1 .LBB183_3050
; %bb.3045:
	s_cmp_gt_i32 s23, 27
	v_cndmask_b32_e64 v2, 0, 1, s[2:3]
	s_cbranch_scc0 .LBB183_3047
; %bb.3046:
	global_store_dword v[0:1], v2, off
	s_mov_b64 s[8:9], 0
.LBB183_3047:
	s_andn2_b64 vcc, exec, s[8:9]
	s_cbranch_vccnz .LBB183_3049
; %bb.3048:
	global_store_short v[0:1], v2, off
.LBB183_3049:
	s_mov_b64 s[8:9], 0
.LBB183_3050:
	s_andn2_b64 vcc, exec, s[8:9]
	s_cbranch_vccnz .LBB183_3058
; %bb.3051:
	v_cndmask_b32_e64 v3, 0, 1.0, s[2:3]
	s_mov_b32 s8, 0x43800000
	v_cmp_gt_u32_e32 vcc, s8, v3
	v_mov_b32_e32 v4, 0x80
	s_and_saveexec_b64 s[8:9], vcc
	s_cbranch_execz .LBB183_3057
; %bb.3052:
	s_mov_b32 s10, 0x3bffffff
	v_cmp_lt_u32_e32 vcc, s10, v3
	s_mov_b64 s[10:11], 0
                                        ; implicit-def: $vgpr2
	s_and_saveexec_b64 s[16:17], vcc
	s_xor_b64 s[16:17], exec, s[16:17]
	s_cbranch_execz .LBB183_3163
; %bb.3053:
	v_bfe_u32 v2, v3, 20, 1
	s_mov_b32 s18, 0x487ffff
	v_add3_u32 v2, v3, v2, s18
	s_mov_b64 s[10:11], exec
	v_lshrrev_b32_e32 v2, 20, v2
                                        ; implicit-def: $vgpr3
	s_andn2_saveexec_b64 s[16:17], s[16:17]
	s_cbranch_execnz .LBB183_3164
.LBB183_3054:
	s_or_b64 exec, exec, s[16:17]
	v_mov_b32_e32 v4, 0
	s_and_saveexec_b64 s[16:17], s[10:11]
.LBB183_3055:
	v_mov_b32_e32 v4, v2
.LBB183_3056:
	s_or_b64 exec, exec, s[16:17]
.LBB183_3057:
	s_or_b64 exec, exec, s[8:9]
	global_store_byte v[0:1], v4, off
.LBB183_3058:
	s_mov_b64 s[8:9], 0
.LBB183_3059:
	s_and_b64 vcc, exec, s[8:9]
	s_cbranch_vccz .LBB183_3099
; %bb.3060:
	s_cmp_gt_i32 s23, 22
	s_mov_b64 s[4:5], -1
	s_cbranch_scc0 .LBB183_3092
; %bb.3061:
	s_cmp_lt_i32 s23, 24
	s_cbranch_scc1 .LBB183_3081
; %bb.3062:
	s_cmp_gt_i32 s23, 24
	s_cbranch_scc0 .LBB183_3070
; %bb.3063:
	v_cndmask_b32_e64 v3, 0, 1.0, s[2:3]
	s_mov_b32 s4, 0x47800000
	v_cmp_gt_u32_e32 vcc, s4, v3
	v_mov_b32_e32 v4, 0x80
	s_and_saveexec_b64 s[4:5], vcc
	s_cbranch_execz .LBB183_3069
; %bb.3064:
	s_mov_b32 s8, 0x37ffffff
	v_cmp_lt_u32_e32 vcc, s8, v3
	s_mov_b64 s[8:9], 0
                                        ; implicit-def: $vgpr2
	s_and_saveexec_b64 s[10:11], vcc
	s_xor_b64 s[10:11], exec, s[10:11]
	s_cbranch_execz .LBB183_3166
; %bb.3065:
	v_bfe_u32 v2, v3, 21, 1
	s_mov_b32 s16, 0x88fffff
	v_add3_u32 v2, v3, v2, s16
	s_mov_b64 s[8:9], exec
	v_lshrrev_b32_e32 v2, 21, v2
                                        ; implicit-def: $vgpr3
	s_andn2_saveexec_b64 s[10:11], s[10:11]
	s_cbranch_execnz .LBB183_3167
.LBB183_3066:
	s_or_b64 exec, exec, s[10:11]
	v_mov_b32_e32 v4, 0
	s_and_saveexec_b64 s[10:11], s[8:9]
.LBB183_3067:
	v_mov_b32_e32 v4, v2
.LBB183_3068:
	s_or_b64 exec, exec, s[10:11]
.LBB183_3069:
	s_or_b64 exec, exec, s[4:5]
	s_mov_b64 s[4:5], 0
	global_store_byte v[0:1], v4, off
.LBB183_3070:
	s_and_b64 vcc, exec, s[4:5]
	s_cbranch_vccz .LBB183_3080
; %bb.3071:
	v_cndmask_b32_e64 v2, 0, 1.0, s[2:3]
	s_mov_b32 s4, 0x43f00000
	v_cmp_gt_u32_e32 vcc, s4, v2
                                        ; implicit-def: $vgpr3
	s_and_saveexec_b64 s[4:5], vcc
	s_xor_b64 s[4:5], exec, s[4:5]
	s_cbranch_execz .LBB183_3077
; %bb.3072:
	s_mov_b32 s8, 0x3c7fffff
	v_cmp_lt_u32_e32 vcc, s8, v2
                                        ; implicit-def: $vgpr3
	s_and_saveexec_b64 s[8:9], vcc
	s_xor_b64 s[8:9], exec, s[8:9]
; %bb.3073:
	v_bfe_u32 v3, v2, 20, 1
	s_mov_b32 s10, 0x407ffff
	v_add3_u32 v2, v2, v3, s10
	v_lshrrev_b32_e32 v3, 20, v2
	v_and_b32_e32 v2, 0xff00000, v2
	s_mov_b32 s10, 0x7f00000
	v_mov_b32_e32 v4, 0x7e
	v_cmp_ne_u32_e32 vcc, s10, v2
	v_cndmask_b32_e32 v3, v4, v3, vcc
                                        ; implicit-def: $vgpr2
; %bb.3074:
	s_andn2_saveexec_b64 s[8:9], s[8:9]
; %bb.3075:
	v_add_f32_e32 v3, 0x46800000, v2
; %bb.3076:
	s_or_b64 exec, exec, s[8:9]
                                        ; implicit-def: $vgpr2
.LBB183_3077:
	s_andn2_saveexec_b64 s[4:5], s[4:5]
; %bb.3078:
	s_mov_b32 s8, 0x7f800000
	v_mov_b32_e32 v3, 0x7e
	v_mov_b32_e32 v4, 0x7f
	v_cmp_lt_u32_e32 vcc, s8, v2
	v_cndmask_b32_e32 v3, v3, v4, vcc
; %bb.3079:
	s_or_b64 exec, exec, s[4:5]
	global_store_byte v[0:1], v3, off
.LBB183_3080:
	s_mov_b64 s[4:5], 0
.LBB183_3081:
	s_andn2_b64 vcc, exec, s[4:5]
	s_cbranch_vccnz .LBB183_3091
; %bb.3082:
	v_cndmask_b32_e64 v2, 0, 1.0, s[2:3]
	s_mov_b32 s4, 0x47800000
	v_cmp_gt_u32_e32 vcc, s4, v2
                                        ; implicit-def: $vgpr3
	s_and_saveexec_b64 s[4:5], vcc
	s_xor_b64 s[4:5], exec, s[4:5]
	s_cbranch_execz .LBB183_3088
; %bb.3083:
	s_mov_b32 s8, 0x387fffff
	v_cmp_lt_u32_e32 vcc, s8, v2
                                        ; implicit-def: $vgpr3
	s_and_saveexec_b64 s[8:9], vcc
	s_xor_b64 s[8:9], exec, s[8:9]
; %bb.3084:
	v_bfe_u32 v3, v2, 21, 1
	s_mov_b32 s10, 0x80fffff
	v_add3_u32 v2, v2, v3, s10
	v_lshrrev_b32_e32 v3, 21, v2
                                        ; implicit-def: $vgpr2
; %bb.3085:
	s_andn2_saveexec_b64 s[8:9], s[8:9]
; %bb.3086:
	v_add_f32_e32 v3, 0x43000000, v2
; %bb.3087:
	s_or_b64 exec, exec, s[8:9]
                                        ; implicit-def: $vgpr2
.LBB183_3088:
	s_andn2_saveexec_b64 s[4:5], s[4:5]
; %bb.3089:
	s_mov_b32 s8, 0x7f800000
	v_mov_b32_e32 v3, 0x7c
	v_mov_b32_e32 v4, 0x7f
	v_cmp_lt_u32_e32 vcc, s8, v2
	v_cndmask_b32_e32 v3, v3, v4, vcc
; %bb.3090:
	s_or_b64 exec, exec, s[4:5]
	global_store_byte v[0:1], v3, off
.LBB183_3091:
	s_mov_b64 s[4:5], 0
.LBB183_3092:
	s_andn2_b64 vcc, exec, s[4:5]
	s_mov_b64 s[4:5], 0
	s_cbranch_vccnz .LBB183_3099
; %bb.3093:
	s_cmp_gt_i32 s23, 14
	s_mov_b64 s[8:9], -1
	s_cbranch_scc0 .LBB183_3097
; %bb.3094:
	s_cmp_eq_u32 s23, 15
	s_mov_b64 s[0:1], -1
	s_cbranch_scc0 .LBB183_3096
; %bb.3095:
	v_cndmask_b32_e64 v2, 0, 1.0, s[2:3]
	v_bfe_u32 v3, v2, 16, 1
	s_movk_i32 s0, 0x7fff
	v_add3_u32 v2, v2, v3, s0
	global_store_short_d16_hi v[0:1], v2, off
	s_mov_b64 s[0:1], 0
.LBB183_3096:
	s_mov_b64 s[8:9], 0
.LBB183_3097:
	s_and_b64 vcc, exec, s[8:9]
	s_cbranch_vccz .LBB183_3099
; %bb.3098:
	s_cmp_lg_u32 s23, 11
	s_mov_b64 s[4:5], -1
	s_cselect_b64 s[0:1], -1, 0
.LBB183_3099:
	s_and_b64 vcc, exec, s[0:1]
	s_cbranch_vccnz .LBB183_3165
.LBB183_3100:
	s_mov_b64 s[0:1], 0
	s_branch .LBB183_3102
.LBB183_3101:
	s_mov_b64 s[0:1], 0
	s_mov_b64 s[4:5], 0
                                        ; implicit-def: $sgpr2_sgpr3
                                        ; implicit-def: $vgpr0_vgpr1
                                        ; implicit-def: $sgpr22
.LBB183_3102:
	s_and_b64 s[26:27], s[4:5], exec
	s_andn2_b64 s[4:5], s[6:7], exec
	s_and_b64 s[6:7], s[14:15], exec
	s_and_b64 s[0:1], s[0:1], exec
	s_or_b64 s[6:7], s[4:5], s[6:7]
.LBB183_3103:
	s_or_b64 exec, exec, s[12:13]
	s_and_saveexec_b64 s[4:5], s[6:7]
	s_cbranch_execz .LBB183_3106
; %bb.3104:
	; divergent unreachable
	s_or_b64 exec, exec, s[4:5]
	s_and_saveexec_b64 s[4:5], s[26:27]
	s_xor_b64 s[4:5], exec, s[4:5]
	s_cbranch_execnz .LBB183_3107
.LBB183_3105:
	s_or_b64 exec, exec, s[4:5]
	s_and_saveexec_b64 s[4:5], s[0:1]
	s_cbranch_execnz .LBB183_3108
	s_branch .LBB183_3145
.LBB183_3106:
	s_or_b64 exec, exec, s[4:5]
	s_and_saveexec_b64 s[4:5], s[26:27]
	s_xor_b64 s[4:5], exec, s[4:5]
	s_cbranch_execz .LBB183_3105
.LBB183_3107:
	v_cndmask_b32_e64 v2, 0, 1, s[2:3]
	s_waitcnt vmcnt(0)
	global_store_byte v[0:1], v2, off
	s_or_b64 exec, exec, s[4:5]
	s_and_saveexec_b64 s[4:5], s[0:1]
	s_cbranch_execz .LBB183_3145
.LBB183_3108:
	s_sext_i32_i16 s4, s22
	s_cmp_lt_i32 s4, 5
	s_mov_b64 s[0:1], -1
	s_cbranch_scc1 .LBB183_3129
; %bb.3109:
	s_cmp_lt_i32 s4, 8
	s_cbranch_scc1 .LBB183_3119
; %bb.3110:
	s_cmp_lt_i32 s4, 9
	s_cbranch_scc1 .LBB183_3116
; %bb.3111:
	s_cmp_gt_i32 s4, 9
	s_cbranch_scc0 .LBB183_3113
; %bb.3112:
	v_cndmask_b32_e64 v2, 0, 1, s[2:3]
	s_waitcnt vmcnt(0)
	v_cvt_f64_u32_e32 v[2:3], v2
	v_mov_b32_e32 v4, 0
	v_mov_b32_e32 v5, v4
	s_mov_b64 s[0:1], 0
	global_store_dwordx4 v[0:1], v[2:5], off
.LBB183_3113:
	s_andn2_b64 vcc, exec, s[0:1]
	s_cbranch_vccnz .LBB183_3115
; %bb.3114:
	v_cndmask_b32_e64 v2, 0, 1.0, s[2:3]
	s_waitcnt vmcnt(0)
	v_mov_b32_e32 v3, 0
	global_store_dwordx2 v[0:1], v[2:3], off
.LBB183_3115:
	s_mov_b64 s[0:1], 0
.LBB183_3116:
	s_andn2_b64 vcc, exec, s[0:1]
	s_cbranch_vccnz .LBB183_3118
; %bb.3117:
	v_cndmask_b32_e64 v2, 0, 1.0, s[2:3]
	v_cvt_f16_f32_e32 v2, v2
	s_waitcnt vmcnt(0)
	global_store_dword v[0:1], v2, off
.LBB183_3118:
	s_mov_b64 s[0:1], 0
.LBB183_3119:
	s_andn2_b64 vcc, exec, s[0:1]
	s_cbranch_vccnz .LBB183_3128
; %bb.3120:
	s_sext_i32_i16 s4, s22
	s_cmp_lt_i32 s4, 6
	s_mov_b64 s[0:1], -1
	s_cbranch_scc1 .LBB183_3126
; %bb.3121:
	s_cmp_gt_i32 s4, 6
	s_cbranch_scc0 .LBB183_3123
; %bb.3122:
	v_cndmask_b32_e64 v2, 0, 1, s[2:3]
	s_waitcnt vmcnt(0)
	v_cvt_f64_u32_e32 v[2:3], v2
	s_mov_b64 s[0:1], 0
	global_store_dwordx2 v[0:1], v[2:3], off
.LBB183_3123:
	s_andn2_b64 vcc, exec, s[0:1]
	s_cbranch_vccnz .LBB183_3125
; %bb.3124:
	v_cndmask_b32_e64 v2, 0, 1.0, s[2:3]
	s_waitcnt vmcnt(0)
	global_store_dword v[0:1], v2, off
.LBB183_3125:
	s_mov_b64 s[0:1], 0
.LBB183_3126:
	s_andn2_b64 vcc, exec, s[0:1]
	s_cbranch_vccnz .LBB183_3128
; %bb.3127:
	v_cndmask_b32_e64 v2, 0, 1.0, s[2:3]
	v_cvt_f16_f32_e32 v2, v2
	s_waitcnt vmcnt(0)
	global_store_short v[0:1], v2, off
.LBB183_3128:
	s_mov_b64 s[0:1], 0
.LBB183_3129:
	s_andn2_b64 vcc, exec, s[0:1]
	s_cbranch_vccnz .LBB183_3145
; %bb.3130:
	s_sext_i32_i16 s4, s22
	s_cmp_lt_i32 s4, 2
	s_mov_b64 s[0:1], -1
	s_cbranch_scc1 .LBB183_3140
; %bb.3131:
	s_cmp_lt_i32 s4, 3
	s_cbranch_scc1 .LBB183_3137
; %bb.3132:
	s_cmp_gt_i32 s4, 3
	s_cbranch_scc0 .LBB183_3134
; %bb.3133:
	s_mov_b32 s0, 0
	v_cndmask_b32_e64 v2, 0, 1, s[2:3]
	s_waitcnt vmcnt(0)
	v_mov_b32_e32 v3, s0
	global_store_dwordx2 v[0:1], v[2:3], off
	s_mov_b64 s[0:1], 0
.LBB183_3134:
	s_andn2_b64 vcc, exec, s[0:1]
	s_cbranch_vccnz .LBB183_3136
; %bb.3135:
	v_cndmask_b32_e64 v2, 0, 1, s[2:3]
	s_waitcnt vmcnt(0)
	global_store_dword v[0:1], v2, off
.LBB183_3136:
	s_mov_b64 s[0:1], 0
.LBB183_3137:
	s_andn2_b64 vcc, exec, s[0:1]
	s_cbranch_vccnz .LBB183_3139
; %bb.3138:
	v_cndmask_b32_e64 v2, 0, 1, s[2:3]
	s_waitcnt vmcnt(0)
	global_store_short v[0:1], v2, off
.LBB183_3139:
	s_mov_b64 s[0:1], 0
.LBB183_3140:
	s_andn2_b64 vcc, exec, s[0:1]
	s_cbranch_vccnz .LBB183_3145
; %bb.3141:
	s_sext_i32_i16 s0, s22
	s_cmp_gt_i32 s0, 0
	s_mov_b64 s[0:1], -1
	s_cbranch_scc0 .LBB183_3143
; %bb.3142:
	v_cndmask_b32_e64 v2, 0, 1, s[2:3]
	s_waitcnt vmcnt(0)
	global_store_byte v[0:1], v2, off
	s_mov_b64 s[0:1], 0
.LBB183_3143:
	s_andn2_b64 vcc, exec, s[0:1]
	s_cbranch_vccnz .LBB183_3145
; %bb.3144:
	v_cndmask_b32_e64 v2, 0, 1, s[2:3]
	s_waitcnt vmcnt(0)
	global_store_byte v[0:1], v2, off
	s_endpgm
.LBB183_3145:
	s_endpgm
.LBB183_3146:
	s_mov_b64 s[4:5], 0
	s_mov_b64 s[0:1], -1
	s_branch .LBB183_3102
.LBB183_3147:
	s_trap 2
	s_or_b64 s[14:15], s[14:15], exec
	s_cbranch_execz .LBB183_2616
	s_branch .LBB183_2617
.LBB183_3148:
	s_andn2_saveexec_b64 s[20:21], s[20:21]
	s_cbranch_execz .LBB183_2696
.LBB183_3149:
	v_add_f32_e32 v1, 0x46000000, v3
	v_and_b32_e32 v1, 0xff, v1
	v_cmp_ne_u32_e32 vcc, 0, v1
	s_andn2_b64 s[18:19], s[18:19], exec
	s_and_b64 s[24:25], vcc, exec
	s_or_b64 s[18:19], s[18:19], s[24:25]
	s_or_b64 exec, exec, s[20:21]
	v_mov_b32_e32 v7, 0
	s_and_saveexec_b64 s[20:21], s[18:19]
	s_cbranch_execnz .LBB183_2697
	s_branch .LBB183_2698
.LBB183_3150:
	s_trap 2
	s_or_b64 s[14:15], s[14:15], exec
	s_cbranch_execz .LBB183_2744
	s_branch .LBB183_2745
.LBB183_3151:
	s_andn2_saveexec_b64 s[18:19], s[18:19]
	s_cbranch_execz .LBB183_2709
.LBB183_3152:
	v_add_f32_e32 v1, 0x42800000, v3
	v_and_b32_e32 v1, 0xff, v1
	v_cmp_ne_u32_e32 vcc, 0, v1
	s_andn2_b64 s[16:17], s[16:17], exec
	s_and_b64 s[20:21], vcc, exec
	s_or_b64 s[16:17], s[16:17], s[20:21]
	s_or_b64 exec, exec, s[18:19]
	v_mov_b32_e32 v7, 0
	s_and_saveexec_b64 s[18:19], s[16:17]
	s_cbranch_execnz .LBB183_2710
	s_branch .LBB183_2711
.LBB183_3153:
	s_andn2_saveexec_b64 s[20:21], s[20:21]
	s_cbranch_execz .LBB183_2815
.LBB183_3154:
	v_add_f32_e32 v1, 0x46000000, v5
	v_and_b32_e32 v1, 0xff, v1
	v_cmp_ne_u32_e32 vcc, 0, v1
	s_andn2_b64 s[18:19], s[18:19], exec
	s_and_b64 s[24:25], vcc, exec
	s_or_b64 s[18:19], s[18:19], s[24:25]
	s_or_b64 exec, exec, s[20:21]
	v_mov_b32_e32 v6, 0
	s_and_saveexec_b64 s[20:21], s[18:19]
	s_cbranch_execnz .LBB183_2816
	s_branch .LBB183_2817
.LBB183_3155:
	s_trap 2
	s_or_b64 s[14:15], s[14:15], exec
	s_cbranch_execz .LBB183_2863
	s_branch .LBB183_2864
.LBB183_3156:
	s_andn2_saveexec_b64 s[18:19], s[18:19]
	s_cbranch_execz .LBB183_2828
.LBB183_3157:
	v_add_f32_e32 v1, 0x42800000, v5
	v_and_b32_e32 v1, 0xff, v1
	v_cmp_ne_u32_e32 vcc, 0, v1
	s_andn2_b64 s[16:17], s[16:17], exec
	s_and_b64 s[20:21], vcc, exec
	s_or_b64 s[16:17], s[16:17], s[20:21]
	s_or_b64 exec, exec, s[18:19]
	v_mov_b32_e32 v6, 0
	s_and_saveexec_b64 s[18:19], s[16:17]
	s_cbranch_execnz .LBB183_2829
	s_branch .LBB183_2830
.LBB183_3158:
	s_andn2_saveexec_b64 s[20:21], s[20:21]
	s_cbranch_execz .LBB183_2934
.LBB183_3159:
	v_add_f32_e32 v3, 0x46000000, v4
	v_and_b32_e32 v3, 0xff, v3
	v_cmp_ne_u32_e32 vcc, 0, v3
	s_andn2_b64 s[18:19], s[18:19], exec
	s_and_b64 s[24:25], vcc, exec
	s_or_b64 s[18:19], s[18:19], s[24:25]
	s_or_b64 exec, exec, s[20:21]
	v_mov_b32_e32 v5, 0
	s_and_saveexec_b64 s[20:21], s[18:19]
	s_cbranch_execnz .LBB183_2935
	s_branch .LBB183_2936
.LBB183_3160:
	s_trap 2
	s_or_b64 s[14:15], s[14:15], exec
	s_cbranch_execz .LBB183_2982
	s_branch .LBB183_2983
.LBB183_3161:
	s_andn2_saveexec_b64 s[18:19], s[18:19]
	s_cbranch_execz .LBB183_2947
.LBB183_3162:
	v_add_f32_e32 v3, 0x42800000, v4
	v_and_b32_e32 v3, 0xff, v3
	v_cmp_ne_u32_e32 vcc, 0, v3
	s_andn2_b64 s[16:17], s[16:17], exec
	s_and_b64 s[20:21], vcc, exec
	s_or_b64 s[16:17], s[16:17], s[20:21]
	s_or_b64 exec, exec, s[18:19]
	v_mov_b32_e32 v5, 0
	s_and_saveexec_b64 s[18:19], s[16:17]
	s_cbranch_execnz .LBB183_2948
	s_branch .LBB183_2949
.LBB183_3163:
	s_andn2_saveexec_b64 s[16:17], s[16:17]
	s_cbranch_execz .LBB183_3054
.LBB183_3164:
	v_add_f32_e32 v2, 0x46000000, v3
	v_and_b32_e32 v2, 0xff, v2
	v_cmp_ne_u32_e32 vcc, 0, v2
	s_andn2_b64 s[10:11], s[10:11], exec
	s_and_b64 s[18:19], vcc, exec
	s_or_b64 s[10:11], s[10:11], s[18:19]
	s_or_b64 exec, exec, s[16:17]
	v_mov_b32_e32 v4, 0
	s_and_saveexec_b64 s[16:17], s[10:11]
	s_cbranch_execnz .LBB183_3055
	s_branch .LBB183_3056
.LBB183_3165:
	s_mov_b64 s[4:5], 0
	s_or_b64 s[14:15], s[14:15], exec
	s_trap 2
	s_branch .LBB183_3100
.LBB183_3166:
	s_andn2_saveexec_b64 s[10:11], s[10:11]
	s_cbranch_execz .LBB183_3066
.LBB183_3167:
	v_add_f32_e32 v2, 0x42800000, v3
	v_and_b32_e32 v2, 0xff, v2
	v_cmp_ne_u32_e32 vcc, 0, v2
	s_andn2_b64 s[8:9], s[8:9], exec
	s_and_b64 s[16:17], vcc, exec
	s_or_b64 s[8:9], s[8:9], s[16:17]
	s_or_b64 exec, exec, s[10:11]
	v_mov_b32_e32 v4, 0
	s_and_saveexec_b64 s[10:11], s[8:9]
	s_cbranch_execnz .LBB183_3067
	s_branch .LBB183_3068
	.section	.rodata,"a",@progbits
	.p2align	6, 0x0
	.amdhsa_kernel _ZN2at6native32elementwise_kernel_manual_unrollILi128ELi4EZNS0_15gpu_kernel_implINS0_13BinaryFunctorIN3c104HalfES5_bNS0_12_GLOBAL__N_116CompareEqFunctorIS5_EEEEEEvRNS_18TensorIteratorBaseERKT_EUlibE0_EEviT1_
		.amdhsa_group_segment_fixed_size 0
		.amdhsa_private_segment_fixed_size 0
		.amdhsa_kernarg_size 432
		.amdhsa_user_sgpr_count 6
		.amdhsa_user_sgpr_private_segment_buffer 1
		.amdhsa_user_sgpr_dispatch_ptr 0
		.amdhsa_user_sgpr_queue_ptr 0
		.amdhsa_user_sgpr_kernarg_segment_ptr 1
		.amdhsa_user_sgpr_dispatch_id 0
		.amdhsa_user_sgpr_flat_scratch_init 0
		.amdhsa_user_sgpr_private_segment_size 0
		.amdhsa_uses_dynamic_stack 0
		.amdhsa_system_sgpr_private_segment_wavefront_offset 0
		.amdhsa_system_sgpr_workgroup_id_x 1
		.amdhsa_system_sgpr_workgroup_id_y 0
		.amdhsa_system_sgpr_workgroup_id_z 0
		.amdhsa_system_sgpr_workgroup_info 0
		.amdhsa_system_vgpr_workitem_id 0
		.amdhsa_next_free_vgpr 24
		.amdhsa_next_free_sgpr 80
		.amdhsa_reserve_vcc 1
		.amdhsa_reserve_flat_scratch 0
		.amdhsa_float_round_mode_32 0
		.amdhsa_float_round_mode_16_64 0
		.amdhsa_float_denorm_mode_32 3
		.amdhsa_float_denorm_mode_16_64 3
		.amdhsa_dx10_clamp 1
		.amdhsa_ieee_mode 1
		.amdhsa_fp16_overflow 0
		.amdhsa_exception_fp_ieee_invalid_op 0
		.amdhsa_exception_fp_denorm_src 0
		.amdhsa_exception_fp_ieee_div_zero 0
		.amdhsa_exception_fp_ieee_overflow 0
		.amdhsa_exception_fp_ieee_underflow 0
		.amdhsa_exception_fp_ieee_inexact 0
		.amdhsa_exception_int_div_zero 0
	.end_amdhsa_kernel
	.section	.text._ZN2at6native32elementwise_kernel_manual_unrollILi128ELi4EZNS0_15gpu_kernel_implINS0_13BinaryFunctorIN3c104HalfES5_bNS0_12_GLOBAL__N_116CompareEqFunctorIS5_EEEEEEvRNS_18TensorIteratorBaseERKT_EUlibE0_EEviT1_,"axG",@progbits,_ZN2at6native32elementwise_kernel_manual_unrollILi128ELi4EZNS0_15gpu_kernel_implINS0_13BinaryFunctorIN3c104HalfES5_bNS0_12_GLOBAL__N_116CompareEqFunctorIS5_EEEEEEvRNS_18TensorIteratorBaseERKT_EUlibE0_EEviT1_,comdat
.Lfunc_end183:
	.size	_ZN2at6native32elementwise_kernel_manual_unrollILi128ELi4EZNS0_15gpu_kernel_implINS0_13BinaryFunctorIN3c104HalfES5_bNS0_12_GLOBAL__N_116CompareEqFunctorIS5_EEEEEEvRNS_18TensorIteratorBaseERKT_EUlibE0_EEviT1_, .Lfunc_end183-_ZN2at6native32elementwise_kernel_manual_unrollILi128ELi4EZNS0_15gpu_kernel_implINS0_13BinaryFunctorIN3c104HalfES5_bNS0_12_GLOBAL__N_116CompareEqFunctorIS5_EEEEEEvRNS_18TensorIteratorBaseERKT_EUlibE0_EEviT1_
                                        ; -- End function
	.set _ZN2at6native32elementwise_kernel_manual_unrollILi128ELi4EZNS0_15gpu_kernel_implINS0_13BinaryFunctorIN3c104HalfES5_bNS0_12_GLOBAL__N_116CompareEqFunctorIS5_EEEEEEvRNS_18TensorIteratorBaseERKT_EUlibE0_EEviT1_.num_vgpr, 24
	.set _ZN2at6native32elementwise_kernel_manual_unrollILi128ELi4EZNS0_15gpu_kernel_implINS0_13BinaryFunctorIN3c104HalfES5_bNS0_12_GLOBAL__N_116CompareEqFunctorIS5_EEEEEEvRNS_18TensorIteratorBaseERKT_EUlibE0_EEviT1_.num_agpr, 0
	.set _ZN2at6native32elementwise_kernel_manual_unrollILi128ELi4EZNS0_15gpu_kernel_implINS0_13BinaryFunctorIN3c104HalfES5_bNS0_12_GLOBAL__N_116CompareEqFunctorIS5_EEEEEEvRNS_18TensorIteratorBaseERKT_EUlibE0_EEviT1_.numbered_sgpr, 80
	.set _ZN2at6native32elementwise_kernel_manual_unrollILi128ELi4EZNS0_15gpu_kernel_implINS0_13BinaryFunctorIN3c104HalfES5_bNS0_12_GLOBAL__N_116CompareEqFunctorIS5_EEEEEEvRNS_18TensorIteratorBaseERKT_EUlibE0_EEviT1_.num_named_barrier, 0
	.set _ZN2at6native32elementwise_kernel_manual_unrollILi128ELi4EZNS0_15gpu_kernel_implINS0_13BinaryFunctorIN3c104HalfES5_bNS0_12_GLOBAL__N_116CompareEqFunctorIS5_EEEEEEvRNS_18TensorIteratorBaseERKT_EUlibE0_EEviT1_.private_seg_size, 0
	.set _ZN2at6native32elementwise_kernel_manual_unrollILi128ELi4EZNS0_15gpu_kernel_implINS0_13BinaryFunctorIN3c104HalfES5_bNS0_12_GLOBAL__N_116CompareEqFunctorIS5_EEEEEEvRNS_18TensorIteratorBaseERKT_EUlibE0_EEviT1_.uses_vcc, 1
	.set _ZN2at6native32elementwise_kernel_manual_unrollILi128ELi4EZNS0_15gpu_kernel_implINS0_13BinaryFunctorIN3c104HalfES5_bNS0_12_GLOBAL__N_116CompareEqFunctorIS5_EEEEEEvRNS_18TensorIteratorBaseERKT_EUlibE0_EEviT1_.uses_flat_scratch, 0
	.set _ZN2at6native32elementwise_kernel_manual_unrollILi128ELi4EZNS0_15gpu_kernel_implINS0_13BinaryFunctorIN3c104HalfES5_bNS0_12_GLOBAL__N_116CompareEqFunctorIS5_EEEEEEvRNS_18TensorIteratorBaseERKT_EUlibE0_EEviT1_.has_dyn_sized_stack, 0
	.set _ZN2at6native32elementwise_kernel_manual_unrollILi128ELi4EZNS0_15gpu_kernel_implINS0_13BinaryFunctorIN3c104HalfES5_bNS0_12_GLOBAL__N_116CompareEqFunctorIS5_EEEEEEvRNS_18TensorIteratorBaseERKT_EUlibE0_EEviT1_.has_recursion, 0
	.set _ZN2at6native32elementwise_kernel_manual_unrollILi128ELi4EZNS0_15gpu_kernel_implINS0_13BinaryFunctorIN3c104HalfES5_bNS0_12_GLOBAL__N_116CompareEqFunctorIS5_EEEEEEvRNS_18TensorIteratorBaseERKT_EUlibE0_EEviT1_.has_indirect_call, 0
	.section	.AMDGPU.csdata,"",@progbits
; Kernel info:
; codeLenInByte = 58908
; TotalNumSgprs: 84
; NumVgprs: 24
; ScratchSize: 0
; MemoryBound: 0
; FloatMode: 240
; IeeeMode: 1
; LDSByteSize: 0 bytes/workgroup (compile time only)
; SGPRBlocks: 10
; VGPRBlocks: 5
; NumSGPRsForWavesPerEU: 84
; NumVGPRsForWavesPerEU: 24
; Occupancy: 9
; WaveLimiterHint : 1
; COMPUTE_PGM_RSRC2:SCRATCH_EN: 0
; COMPUTE_PGM_RSRC2:USER_SGPR: 6
; COMPUTE_PGM_RSRC2:TRAP_HANDLER: 0
; COMPUTE_PGM_RSRC2:TGID_X_EN: 1
; COMPUTE_PGM_RSRC2:TGID_Y_EN: 0
; COMPUTE_PGM_RSRC2:TGID_Z_EN: 0
; COMPUTE_PGM_RSRC2:TIDIG_COMP_CNT: 0
	.section	.text._ZN2at6native29vectorized_elementwise_kernelILi16ENS0_13AUnaryFunctorIN3c104HalfES4_bNS0_12_GLOBAL__N_116CompareEqFunctorIS4_EEEESt5arrayIPcLm2EEEEviT0_T1_,"axG",@progbits,_ZN2at6native29vectorized_elementwise_kernelILi16ENS0_13AUnaryFunctorIN3c104HalfES4_bNS0_12_GLOBAL__N_116CompareEqFunctorIS4_EEEESt5arrayIPcLm2EEEEviT0_T1_,comdat
	.globl	_ZN2at6native29vectorized_elementwise_kernelILi16ENS0_13AUnaryFunctorIN3c104HalfES4_bNS0_12_GLOBAL__N_116CompareEqFunctorIS4_EEEESt5arrayIPcLm2EEEEviT0_T1_ ; -- Begin function _ZN2at6native29vectorized_elementwise_kernelILi16ENS0_13AUnaryFunctorIN3c104HalfES4_bNS0_12_GLOBAL__N_116CompareEqFunctorIS4_EEEESt5arrayIPcLm2EEEEviT0_T1_
	.p2align	8
	.type	_ZN2at6native29vectorized_elementwise_kernelILi16ENS0_13AUnaryFunctorIN3c104HalfES4_bNS0_12_GLOBAL__N_116CompareEqFunctorIS4_EEEESt5arrayIPcLm2EEEEviT0_T1_,@function
_ZN2at6native29vectorized_elementwise_kernelILi16ENS0_13AUnaryFunctorIN3c104HalfES4_bNS0_12_GLOBAL__N_116CompareEqFunctorIS4_EEEESt5arrayIPcLm2EEEEviT0_T1_: ; @_ZN2at6native29vectorized_elementwise_kernelILi16ENS0_13AUnaryFunctorIN3c104HalfES4_bNS0_12_GLOBAL__N_116CompareEqFunctorIS4_EEEESt5arrayIPcLm2EEEEviT0_T1_
; %bb.0:
	s_load_dwordx8 s[8:15], s[4:5], 0x0
	s_lshl_b32 s4, s6, 12
	s_mov_b64 s[0:1], -1
	s_waitcnt lgkmcnt(0)
	s_sub_i32 s6, s8, s4
	s_cmpk_gt_i32 s6, 0xfff
	s_cbranch_scc0 .LBB184_2
; %bb.1:
	s_ashr_i32 s5, s4, 31
	s_lshl_b64 s[0:1], s[4:5], 1
	s_add_u32 s0, s14, s0
	s_addc_u32 s1, s15, s1
	v_lshlrev_b32_e32 v9, 5, v0
	global_load_dwordx4 v[1:4], v9, s[0:1]
	global_load_dwordx4 v[5:8], v9, s[0:1] offset:16
	s_cmp_eq_u32 s9, 0
	s_waitcnt vmcnt(1)
	v_cmp_eq_f16_e32 vcc, s10, v1
	v_cndmask_b32_e64 v9, 0, 1, vcc
	v_cmp_neq_f16_e32 vcc, s10, v1
	v_cmp_eq_f16_sdwa s[0:1], v1, s10 src0_sel:WORD_1 src1_sel:DWORD
	v_cndmask_b32_e64 v10, 0, 1, vcc
	v_cndmask_b32_e64 v11, 0, 1, s[0:1]
	v_cmp_neq_f16_sdwa s[0:1], v1, s10 src0_sel:WORD_1 src1_sel:DWORD
	v_cmp_eq_f16_e32 vcc, s10, v2
	v_cndmask_b32_e64 v1, 0, 1, s[0:1]
	v_cndmask_b32_e64 v12, 0, 1, vcc
	v_cmp_neq_f16_e32 vcc, s10, v2
	v_cmp_eq_f16_sdwa s[0:1], v2, s10 src0_sel:WORD_1 src1_sel:DWORD
	v_cndmask_b32_e64 v13, 0, 1, vcc
	v_cndmask_b32_e64 v14, 0, 1, s[0:1]
	v_cmp_neq_f16_sdwa s[0:1], v2, s10 src0_sel:WORD_1 src1_sel:DWORD
	v_cmp_eq_f16_e32 vcc, s10, v3
	v_cndmask_b32_e64 v2, 0, 1, s[0:1]
	v_cndmask_b32_e64 v15, 0, 1, vcc
	v_cmp_neq_f16_e32 vcc, s10, v3
	v_cmp_eq_f16_sdwa s[0:1], v3, s10 src0_sel:WORD_1 src1_sel:DWORD
	v_cndmask_b32_e64 v16, 0, 1, vcc
	v_cndmask_b32_e64 v17, 0, 1, s[0:1]
	v_cmp_eq_f16_e32 vcc, s10, v4
	v_cmp_neq_f16_e64 s[0:1], s10, v4
	v_cmp_eq_f16_sdwa s[2:3], v4, s10 src0_sel:WORD_1 src1_sel:DWORD
	v_cmp_neq_f16_sdwa s[16:17], v4, s10 src0_sel:WORD_1 src1_sel:DWORD
	v_cndmask_b32_e64 v4, 0, 1, vcc
	v_cndmask_b32_e64 v18, 0, 1, s[0:1]
	s_cselect_b64 vcc, -1, 0
	s_waitcnt vmcnt(0)
	v_cmp_eq_f16_e64 s[0:1], s10, v5
	v_cndmask_b32_e32 v1, v1, v11, vcc
	v_cndmask_b32_e64 v11, 0, 1, s[0:1]
	v_cmp_neq_f16_e64 s[0:1], s10, v5
	v_cndmask_b32_e32 v12, v13, v12, vcc
	v_cndmask_b32_e64 v13, 0, 1, s[0:1]
	v_cmp_eq_f16_sdwa s[0:1], v5, s10 src0_sel:WORD_1 src1_sel:DWORD
	v_cndmask_b32_e32 v2, v2, v14, vcc
	v_cndmask_b32_e64 v14, 0, 1, s[0:1]
	v_cmp_neq_f16_sdwa s[0:1], v5, s10 src0_sel:WORD_1 src1_sel:DWORD
	v_cmp_neq_f16_sdwa s[18:19], v3, s10 src0_sel:WORD_1 src1_sel:DWORD
	v_cndmask_b32_e64 v5, 0, 1, s[0:1]
	v_cmp_eq_f16_e64 s[0:1], s10, v6
	v_cndmask_b32_e64 v3, 0, 1, s[18:19]
	v_cndmask_b32_e32 v15, v16, v15, vcc
	v_cndmask_b32_e64 v16, 0, 1, s[0:1]
	v_cmp_neq_f16_e64 s[0:1], s10, v6
	v_cndmask_b32_e32 v3, v3, v17, vcc
	v_cndmask_b32_e64 v17, 0, 1, s[0:1]
	v_cmp_eq_f16_sdwa s[0:1], v6, s10 src0_sel:WORD_1 src1_sel:DWORD
	v_cndmask_b32_e32 v4, v18, v4, vcc
	v_cndmask_b32_e64 v18, 0, 1, s[0:1]
	v_cmp_neq_f16_sdwa s[0:1], v6, s10 src0_sel:WORD_1 src1_sel:DWORD
	v_cndmask_b32_e64 v6, 0, 1, s[0:1]
	v_cmp_eq_f16_e64 s[0:1], s10, v7
	v_cndmask_b32_e32 v11, v13, v11, vcc
	v_cndmask_b32_e64 v13, 0, 1, s[0:1]
	v_cmp_neq_f16_e64 s[0:1], s10, v7
	v_cndmask_b32_e32 v5, v5, v14, vcc
	v_cndmask_b32_e32 v14, v17, v16, vcc
	v_cndmask_b32_e64 v16, 0, 1, s[0:1]
	v_cmp_eq_f16_sdwa s[0:1], v7, s10 src0_sel:WORD_1 src1_sel:DWORD
	v_cndmask_b32_e64 v17, 0, 1, s[0:1]
	v_cmp_neq_f16_sdwa s[0:1], v7, s10 src0_sel:WORD_1 src1_sel:DWORD
	v_cndmask_b32_e64 v19, 0, 1, s[2:3]
	v_cndmask_b32_e32 v13, v16, v13, vcc
	v_cndmask_b32_e64 v7, 0, 1, s[0:1]
	v_cmp_neq_f16_e64 s[0:1], s10, v8
	v_cmp_eq_f16_e64 s[2:3], s10, v8
	v_cndmask_b32_e32 v9, v10, v9, vcc
	v_cndmask_b32_e64 v10, 0, 1, s[16:17]
	v_cndmask_b32_e32 v6, v6, v18, vcc
	v_mov_b32_e32 v16, 1
	v_and_b32_e32 v18, 1, v4
	v_and_b32_e32 v4, 1, v13
	v_cmp_eq_f16_sdwa s[16:17], v8, s10 src0_sel:WORD_1 src1_sel:DWORD
	v_cmp_neq_f16_sdwa s[18:19], v8, s10 src0_sel:WORD_1 src1_sel:DWORD
	v_cndmask_b32_e64 v8, 0, 1, s[2:3]
	v_cndmask_b32_e64 v13, 0, 1, s[0:1]
	v_cndmask_b32_e32 v10, v10, v19, vcc
	v_cndmask_b32_e32 v7, v7, v17, vcc
	v_and_b32_sdwa v17, v2, v16 dst_sel:BYTE_1 dst_unused:UNUSED_PAD src0_sel:DWORD src1_sel:DWORD
	v_and_b32_e32 v2, 1, v15
	v_and_b32_sdwa v15, v3, v16 dst_sel:BYTE_1 dst_unused:UNUSED_PAD src0_sel:DWORD src1_sel:DWORD
	v_and_b32_e32 v3, 1, v11
	;; [unrolled: 2-line block ×3, first 2 shown]
	v_and_b32_sdwa v6, v6, v16 dst_sel:BYTE_1 dst_unused:UNUSED_PAD src0_sel:DWORD src1_sel:DWORD
	v_cndmask_b32_e32 v8, v13, v8, vcc
	v_cndmask_b32_e64 v13, 0, 1, s[16:17]
	v_cndmask_b32_e64 v14, 0, 1, s[18:19]
	v_and_b32_sdwa v10, v10, v16 dst_sel:BYTE_1 dst_unused:UNUSED_PAD src0_sel:DWORD src1_sel:DWORD
	v_cndmask_b32_e32 v13, v14, v13, vcc
	v_or_b32_e32 v3, v3, v5
	v_or_b32_sdwa v5, v11, v6 dst_sel:WORD_1 dst_unused:UNUSED_PAD src0_sel:DWORD src1_sel:DWORD
	v_and_b32_e32 v9, 1, v9
	v_and_b32_sdwa v1, v1, v16 dst_sel:BYTE_1 dst_unused:UNUSED_PAD src0_sel:DWORD src1_sel:DWORD
	v_and_b32_e32 v12, 1, v12
	v_and_b32_sdwa v7, v7, v16 dst_sel:BYTE_1 dst_unused:UNUSED_PAD src0_sel:DWORD src1_sel:DWORD
	;; [unrolled: 2-line block ×3, first 2 shown]
	v_or_b32_sdwa v3, v3, v5 dst_sel:DWORD dst_unused:UNUSED_PAD src0_sel:WORD_0 src1_sel:DWORD
	v_or_b32_e32 v2, v2, v15
	v_or_b32_sdwa v5, v18, v10 dst_sel:WORD_1 dst_unused:UNUSED_PAD src0_sel:DWORD src1_sel:DWORD
	s_add_u32 s0, s12, s4
	v_or_b32_e32 v4, v4, v7
	v_or_b32_sdwa v7, v8, v13 dst_sel:WORD_1 dst_unused:UNUSED_PAD src0_sel:DWORD src1_sel:DWORD
	v_or_b32_sdwa v2, v2, v5 dst_sel:DWORD dst_unused:UNUSED_PAD src0_sel:WORD_0 src1_sel:DWORD
	v_or_b32_e32 v1, v9, v1
	v_or_b32_sdwa v5, v12, v17 dst_sel:WORD_1 dst_unused:UNUSED_PAD src0_sel:DWORD src1_sel:DWORD
	s_addc_u32 s1, s13, s5
	v_lshlrev_b32_e32 v14, 4, v0
	v_or_b32_sdwa v4, v4, v7 dst_sel:DWORD dst_unused:UNUSED_PAD src0_sel:WORD_0 src1_sel:DWORD
	v_or_b32_sdwa v1, v1, v5 dst_sel:DWORD dst_unused:UNUSED_PAD src0_sel:WORD_0 src1_sel:DWORD
	global_store_dwordx4 v14, v[1:4], s[0:1]
	s_mov_b64 s[0:1], 0
.LBB184_2:
	s_andn2_b64 vcc, exec, s[0:1]
	s_cbranch_vccnz .LBB184_52
; %bb.3:
	v_cmp_gt_i32_e32 vcc, s6, v0
	v_mov_b32_e32 v3, 0
	v_or_b32_e32 v1, s4, v0
	v_mov_b32_e32 v2, 0
	v_mov_b32_e32 v5, v0
	s_and_saveexec_b64 s[2:3], vcc
	s_cbranch_execz .LBB184_5
; %bb.4:
	v_mov_b32_e32 v2, 0
	v_lshlrev_b64 v[4:5], 1, v[1:2]
	v_mov_b32_e32 v2, s15
	v_add_co_u32_e64 v4, s[0:1], s14, v4
	v_addc_co_u32_e64 v5, s[0:1], v2, v5, s[0:1]
	global_load_ushort v2, v[4:5], off
	v_or_b32_e32 v5, 0x100, v0
.LBB184_5:
	s_or_b64 exec, exec, s[2:3]
	v_cmp_gt_i32_e64 s[0:1], s6, v5
	s_and_saveexec_b64 s[2:3], s[0:1]
	s_cbranch_execz .LBB184_7
; %bb.6:
	v_add_u32_e32 v3, s4, v5
	v_mov_b32_e32 v4, 0
	v_lshlrev_b64 v[3:4], 1, v[3:4]
	v_mov_b32_e32 v6, s15
	v_add_co_u32_e64 v3, s[0:1], s14, v3
	v_addc_co_u32_e64 v4, s[0:1], v6, v4, s[0:1]
	global_load_ushort v3, v[3:4], off
	v_add_u32_e32 v5, 0x100, v5
.LBB184_7:
	s_or_b64 exec, exec, s[2:3]
	v_cmp_gt_i32_e64 s[0:1], s6, v5
	v_mov_b32_e32 v4, 0
	v_mov_b32_e32 v6, 0
	s_and_saveexec_b64 s[2:3], s[0:1]
	s_cbranch_execz .LBB184_9
; %bb.8:
	v_add_u32_e32 v6, s4, v5
	v_mov_b32_e32 v7, 0
	v_lshlrev_b64 v[6:7], 1, v[6:7]
	v_mov_b32_e32 v8, s15
	v_add_co_u32_e64 v6, s[0:1], s14, v6
	v_addc_co_u32_e64 v7, s[0:1], v8, v7, s[0:1]
	global_load_ushort v6, v[6:7], off
	v_add_u32_e32 v5, 0x100, v5
.LBB184_9:
	s_or_b64 exec, exec, s[2:3]
	v_cmp_gt_i32_e64 s[0:1], s6, v5
	s_and_saveexec_b64 s[2:3], s[0:1]
	s_cbranch_execz .LBB184_11
; %bb.10:
	v_add_u32_e32 v7, s4, v5
	v_mov_b32_e32 v8, 0
	v_lshlrev_b64 v[7:8], 1, v[7:8]
	v_mov_b32_e32 v4, s15
	v_add_co_u32_e64 v7, s[0:1], s14, v7
	v_addc_co_u32_e64 v8, s[0:1], v4, v8, s[0:1]
	global_load_ushort v4, v[7:8], off
	v_add_u32_e32 v5, 0x100, v5
.LBB184_11:
	s_or_b64 exec, exec, s[2:3]
	v_cmp_gt_i32_e64 s[0:1], s6, v5
	v_mov_b32_e32 v7, 0
	v_mov_b32_e32 v8, 0
	s_and_saveexec_b64 s[2:3], s[0:1]
	s_cbranch_execz .LBB184_13
; %bb.12:
	v_add_u32_e32 v8, s4, v5
	v_mov_b32_e32 v9, 0
	v_lshlrev_b64 v[8:9], 1, v[8:9]
	v_mov_b32_e32 v10, s15
	v_add_co_u32_e64 v8, s[0:1], s14, v8
	v_addc_co_u32_e64 v9, s[0:1], v10, v9, s[0:1]
	global_load_ushort v8, v[8:9], off
	v_add_u32_e32 v5, 0x100, v5
.LBB184_13:
	;; [unrolled: 30-line block ×7, first 2 shown]
	s_or_b64 exec, exec, s[2:3]
	v_cmp_gt_i32_e64 s[0:1], s6, v5
	s_and_saveexec_b64 s[2:3], s[0:1]
	s_cbranch_execz .LBB184_35
; %bb.34:
	v_add_u32_e32 v19, s4, v5
	v_mov_b32_e32 v20, 0
	v_lshlrev_b64 v[19:20], 1, v[19:20]
	v_mov_b32_e32 v5, s15
	v_add_co_u32_e64 v19, s[0:1], s14, v19
	v_addc_co_u32_e64 v20, s[0:1], v5, v20, s[0:1]
	global_load_ushort v17, v[19:20], off
.LBB184_35:
	s_or_b64 exec, exec, s[2:3]
	s_waitcnt vmcnt(0)
	v_cmp_eq_f16_e64 s[0:1], s10, v2
	s_cmp_eq_u32 s9, 0
	v_cndmask_b32_e64 v5, 0, 1, s[0:1]
	v_cmp_neq_f16_e64 s[0:1], s10, v2
	v_cndmask_b32_e64 v2, 0, 1, s[0:1]
	s_cselect_b64 s[0:1], -1, 0
	v_cndmask_b32_e64 v2, v2, v5, s[0:1]
	v_cndmask_b32_e64 v5, 0, 1, vcc
	v_cmp_eq_f16_e64 s[2:3], s10, v3
	v_and_b32_e32 v2, v5, v2
	v_cndmask_b32_e64 v5, 0, 1, s[2:3]
	v_cmp_neq_f16_e64 s[2:3], s10, v3
	v_cndmask_b32_e64 v3, 0, 1, s[2:3]
	v_cndmask_b32_e64 v3, v3, v5, s[0:1]
	v_mov_b32_e32 v20, 1
	v_and_b32_sdwa v3, v3, v20 dst_sel:BYTE_1 dst_unused:UNUSED_PAD src0_sel:DWORD src1_sel:DWORD
	v_or_b32_e32 v19, 0x100, v0
	v_or_b32_e32 v3, v2, v3
	v_and_b32_e32 v3, 0xffff, v3
	v_cmp_gt_i32_e64 s[2:3], s6, v19
	v_cndmask_b32_e64 v2, v2, v3, s[2:3]
	v_cmp_eq_f16_e64 s[2:3], s10, v6
	v_cndmask_b32_e64 v5, 0, 1, s[2:3]
	v_cmp_neq_f16_e64 s[2:3], s10, v6
	v_cndmask_b32_e64 v6, 0, 1, s[2:3]
	v_cndmask_b32_e64 v5, v6, v5, s[0:1]
	v_or_b32_e32 v3, 0x200, v0
	v_and_b32_e32 v5, 1, v5
	v_lshl_or_b32 v5, v5, 16, v2
	v_cmp_gt_i32_e64 s[2:3], s6, v3
	v_cndmask_b32_e64 v2, v2, v5, s[2:3]
	v_cmp_eq_f16_e64 s[2:3], s10, v4
	v_cndmask_b32_e64 v6, 0, 1, s[2:3]
	v_cmp_neq_f16_e64 s[2:3], s10, v4
	v_cndmask_b32_e64 v4, 0, 1, s[2:3]
	s_movk_i32 s7, 0xff
	v_cndmask_b32_e64 v4, v4, v6, s[0:1]
	v_and_b32_sdwa v3, v2, s7 dst_sel:DWORD dst_unused:UNUSED_PAD src0_sel:WORD_1 src1_sel:DWORD
	v_and_b32_sdwa v4, v4, v20 dst_sel:BYTE_1 dst_unused:UNUSED_PAD src0_sel:DWORD src1_sel:DWORD
	s_mov_b32 s5, 0xffff
	v_or_b32_e32 v5, 0x300, v0
	v_or_b32_sdwa v3, v3, v4 dst_sel:WORD_1 dst_unused:UNUSED_PAD src0_sel:DWORD src1_sel:DWORD
	v_and_or_b32 v3, v2, s5, v3
	v_cmp_gt_i32_e64 s[2:3], s6, v5
	v_cndmask_b32_e64 v5, v2, v3, s[2:3]
	v_cmp_eq_f16_e64 s[2:3], s10, v8
	v_cndmask_b32_e64 v2, 0, 1, s[2:3]
	v_cmp_neq_f16_e64 s[2:3], s10, v8
	v_cndmask_b32_e64 v3, 0, 1, s[2:3]
	v_cndmask_b32_e64 v2, v3, v2, s[0:1]
	v_and_b32_e32 v2, 1, v2
	v_or_b32_e32 v3, 0x400, v0
	v_and_b32_e32 v2, 0xffff, v2
	v_cmp_gt_i32_e64 s[2:3], s6, v3
	v_cndmask_b32_e64 v2, 0, v2, s[2:3]
	v_cmp_eq_f16_e64 s[2:3], s10, v7
	v_cndmask_b32_e64 v4, 0, 1, s[2:3]
	v_cmp_neq_f16_e64 s[2:3], s10, v7
	v_cndmask_b32_e64 v6, 0, 1, s[2:3]
	v_cndmask_b32_e64 v4, v6, v4, s[0:1]
	v_and_b32_sdwa v4, v4, v20 dst_sel:BYTE_1 dst_unused:UNUSED_PAD src0_sel:DWORD src1_sel:DWORD
	v_or_b32_e32 v3, 0x500, v0
	v_or_b32_sdwa v4, v2, v4 dst_sel:DWORD dst_unused:UNUSED_PAD src0_sel:BYTE_0 src1_sel:DWORD
	v_and_b32_e32 v4, 0xffff, v4
	v_cmp_gt_i32_e64 s[2:3], s6, v3
	v_cndmask_b32_e64 v2, v2, v4, s[2:3]
	v_cmp_eq_f16_e64 s[2:3], s10, v10
	v_cndmask_b32_e64 v4, 0, 1, s[2:3]
	v_cmp_neq_f16_e64 s[2:3], s10, v10
	v_cndmask_b32_e64 v6, 0, 1, s[2:3]
	s_movk_i32 s8, 0xff00
	v_cndmask_b32_e64 v4, v6, v4, s[0:1]
	v_and_b32_sdwa v3, v2, s8 dst_sel:DWORD dst_unused:UNUSED_PAD src0_sel:WORD_1 src1_sel:DWORD
	v_and_b32_e32 v4, 1, v4
	v_or_b32_sdwa v3, v4, v3 dst_sel:WORD_1 dst_unused:UNUSED_PAD src0_sel:DWORD src1_sel:DWORD
	v_or_b32_e32 v4, 0x600, v0
	v_and_or_b32 v3, v2, s5, v3
	v_cmp_gt_i32_e64 s[2:3], s6, v4
	v_cndmask_b32_e64 v2, v2, v3, s[2:3]
	v_cmp_eq_f16_e64 s[2:3], s10, v9
	v_cndmask_b32_e64 v6, 0, 1, s[2:3]
	v_cmp_neq_f16_e64 s[2:3], s10, v9
	v_cndmask_b32_e64 v7, 0, 1, s[2:3]
	v_cndmask_b32_e64 v6, v7, v6, s[0:1]
	v_and_b32_sdwa v3, v2, s7 dst_sel:DWORD dst_unused:UNUSED_PAD src0_sel:WORD_1 src1_sel:DWORD
	v_and_b32_sdwa v6, v6, v20 dst_sel:BYTE_1 dst_unused:UNUSED_PAD src0_sel:DWORD src1_sel:DWORD
	v_or_b32_e32 v4, 0x700, v0
	v_or_b32_sdwa v3, v3, v6 dst_sel:WORD_1 dst_unused:UNUSED_PAD src0_sel:DWORD src1_sel:DWORD
	v_and_or_b32 v3, v2, s5, v3
	v_cmp_gt_i32_e64 s[2:3], s6, v4
	v_cndmask_b32_e64 v4, v2, v3, s[2:3]
	v_cmp_eq_f16_e64 s[2:3], s10, v12
	v_or_b32_e32 v2, 0x800, v0
	v_cndmask_b32_e64 v3, 0, 1, s[2:3]
	v_cmp_neq_f16_e64 s[2:3], s10, v12
	v_cndmask_b32_e64 v6, 0, 1, s[2:3]
	v_cmp_gt_i32_e64 s[2:3], s6, v2
	v_cndmask_b32_e64 v2, 0, 1, s[2:3]
	v_cmp_eq_f16_e64 s[2:3], s10, v11
	v_cndmask_b32_e64 v3, v6, v3, s[0:1]
	v_cndmask_b32_e64 v6, 0, 1, s[2:3]
	v_cmp_neq_f16_e64 s[2:3], s10, v11
	v_cndmask_b32_e64 v7, 0, 1, s[2:3]
	v_cndmask_b32_e64 v6, v7, v6, s[0:1]
	v_and_b32_e32 v2, v2, v3
	v_and_b32_sdwa v6, v6, v20 dst_sel:BYTE_1 dst_unused:UNUSED_PAD src0_sel:DWORD src1_sel:DWORD
	v_or_b32_e32 v3, 0x900, v0
	v_or_b32_e32 v6, v2, v6
	v_and_b32_e32 v6, 0xffff, v6
	v_cmp_gt_i32_e64 s[2:3], s6, v3
	v_cndmask_b32_e64 v2, v2, v6, s[2:3]
	v_cmp_eq_f16_e64 s[2:3], s10, v14
	v_cndmask_b32_e64 v6, 0, 1, s[2:3]
	v_cmp_neq_f16_e64 s[2:3], s10, v14
	v_cndmask_b32_e64 v7, 0, 1, s[2:3]
	v_cndmask_b32_e64 v6, v7, v6, s[0:1]
	v_or_b32_e32 v3, 0xa00, v0
	v_and_b32_sdwa v6, v6, v20 dst_sel:WORD_1 dst_unused:UNUSED_PAD src0_sel:DWORD src1_sel:DWORD
	s_movk_i32 s2, 0x1ff
	v_and_or_b32 v6, v2, s2, v6
	v_cmp_gt_i32_e64 s[2:3], s6, v3
	v_cndmask_b32_e64 v2, v2, v6, s[2:3]
	v_cmp_eq_f16_e64 s[2:3], s10, v13
	v_cndmask_b32_e64 v7, 0, 1, s[2:3]
	v_cmp_neq_f16_e64 s[2:3], s10, v13
	v_cndmask_b32_e64 v8, 0, 1, s[2:3]
	v_cndmask_b32_e64 v7, v8, v7, s[0:1]
	v_and_b32_sdwa v3, v2, s7 dst_sel:DWORD dst_unused:UNUSED_PAD src0_sel:WORD_1 src1_sel:DWORD
	v_and_b32_sdwa v7, v7, v20 dst_sel:BYTE_1 dst_unused:UNUSED_PAD src0_sel:DWORD src1_sel:DWORD
	v_or_b32_e32 v6, 0xb00, v0
	v_or_b32_sdwa v3, v3, v7 dst_sel:WORD_1 dst_unused:UNUSED_PAD src0_sel:DWORD src1_sel:DWORD
	v_and_or_b32 v3, v2, s5, v3
	v_cmp_gt_i32_e64 s[2:3], s6, v6
	v_cndmask_b32_e64 v3, v2, v3, s[2:3]
	v_cmp_eq_f16_e64 s[2:3], s10, v16
	v_cndmask_b32_e64 v6, 0, 1, s[2:3]
	v_cmp_neq_f16_e64 s[2:3], s10, v16
	v_cndmask_b32_e64 v7, 0, 1, s[2:3]
	v_or_b32_e32 v2, 0xc00, v0
	v_cndmask_b32_e64 v6, v7, v6, s[0:1]
	v_and_b32_e32 v6, 1, v6
	v_cmp_gt_i32_e64 s[2:3], s6, v2
	v_cndmask_b32_e64 v2, 0, v6, s[2:3]
	v_cmp_eq_f16_e64 s[2:3], s10, v15
	v_cndmask_b32_e64 v7, 0, 1, s[2:3]
	v_cmp_neq_f16_e64 s[2:3], s10, v15
	v_cndmask_b32_e64 v8, 0, 1, s[2:3]
	v_cndmask_b32_e64 v7, v8, v7, s[0:1]
	v_and_b32_sdwa v7, v7, v20 dst_sel:BYTE_1 dst_unused:UNUSED_PAD src0_sel:DWORD src1_sel:DWORD
	v_or_b32_e32 v6, 0xd00, v0
	v_or_b32_sdwa v7, v2, v7 dst_sel:DWORD dst_unused:UNUSED_PAD src0_sel:BYTE_0 src1_sel:DWORD
	v_and_b32_e32 v7, 0xffff, v7
	v_cmp_gt_i32_e64 s[2:3], s6, v6
	v_cndmask_b32_e64 v2, v2, v7, s[2:3]
	v_cmp_eq_f16_e64 s[2:3], s10, v18
	v_cndmask_b32_e64 v7, 0, 1, s[2:3]
	v_cmp_neq_f16_e64 s[2:3], s10, v18
	v_cndmask_b32_e64 v8, 0, 1, s[2:3]
	v_cndmask_b32_e64 v7, v8, v7, s[0:1]
	v_and_b32_sdwa v6, v2, s8 dst_sel:DWORD dst_unused:UNUSED_PAD src0_sel:WORD_1 src1_sel:DWORD
	v_and_b32_e32 v7, 1, v7
	v_or_b32_sdwa v6, v7, v6 dst_sel:WORD_1 dst_unused:UNUSED_PAD src0_sel:DWORD src1_sel:DWORD
	v_or_b32_e32 v7, 0xe00, v0
	v_and_or_b32 v6, v2, s5, v6
	v_cmp_gt_i32_e64 s[2:3], s6, v7
	v_cndmask_b32_e64 v2, v2, v6, s[2:3]
	v_cmp_eq_f16_e64 s[2:3], s10, v17
	v_cndmask_b32_e64 v8, 0, 1, s[2:3]
	v_cmp_neq_f16_e64 s[2:3], s10, v17
	v_cndmask_b32_e64 v9, 0, 1, s[2:3]
	v_cndmask_b32_e64 v8, v9, v8, s[0:1]
	v_and_b32_sdwa v6, v2, s7 dst_sel:DWORD dst_unused:UNUSED_PAD src0_sel:WORD_1 src1_sel:DWORD
	v_and_b32_sdwa v8, v8, v20 dst_sel:BYTE_1 dst_unused:UNUSED_PAD src0_sel:DWORD src1_sel:DWORD
	v_or_b32_e32 v7, 0xf00, v0
	v_or_b32_sdwa v6, v6, v8 dst_sel:WORD_1 dst_unused:UNUSED_PAD src0_sel:DWORD src1_sel:DWORD
	v_and_or_b32 v6, v2, s5, v6
	v_cmp_gt_i32_e64 s[0:1], s6, v7
	v_cndmask_b32_e64 v2, v2, v6, s[0:1]
	s_and_saveexec_b64 s[0:1], vcc
	s_cbranch_execnz .LBB184_53
; %bb.36:
	s_or_b64 exec, exec, s[0:1]
	v_cmp_gt_i32_e32 vcc, s6, v0
	s_and_saveexec_b64 s[0:1], vcc
	s_cbranch_execnz .LBB184_54
.LBB184_37:
	s_or_b64 exec, exec, s[0:1]
	v_cmp_gt_i32_e32 vcc, s6, v0
	s_and_saveexec_b64 s[0:1], vcc
	s_cbranch_execnz .LBB184_55
.LBB184_38:
	s_or_b64 exec, exec, s[0:1]
	v_cmp_gt_i32_e32 vcc, s6, v0
	s_and_saveexec_b64 s[0:1], vcc
	s_cbranch_execnz .LBB184_56
.LBB184_39:
	s_or_b64 exec, exec, s[0:1]
	v_cmp_gt_i32_e32 vcc, s6, v0
	s_and_saveexec_b64 s[0:1], vcc
	s_cbranch_execnz .LBB184_57
.LBB184_40:
	s_or_b64 exec, exec, s[0:1]
	v_cmp_gt_i32_e32 vcc, s6, v0
	s_and_saveexec_b64 s[0:1], vcc
	s_cbranch_execnz .LBB184_58
.LBB184_41:
	s_or_b64 exec, exec, s[0:1]
	v_cmp_gt_i32_e32 vcc, s6, v0
	s_and_saveexec_b64 s[0:1], vcc
	s_cbranch_execnz .LBB184_59
.LBB184_42:
	s_or_b64 exec, exec, s[0:1]
	v_cmp_gt_i32_e32 vcc, s6, v0
	s_and_saveexec_b64 s[0:1], vcc
	s_cbranch_execnz .LBB184_60
.LBB184_43:
	s_or_b64 exec, exec, s[0:1]
	v_cmp_gt_i32_e32 vcc, s6, v0
	s_and_saveexec_b64 s[0:1], vcc
	s_cbranch_execnz .LBB184_61
.LBB184_44:
	s_or_b64 exec, exec, s[0:1]
	v_cmp_gt_i32_e32 vcc, s6, v0
	s_and_saveexec_b64 s[0:1], vcc
	s_cbranch_execnz .LBB184_62
.LBB184_45:
	s_or_b64 exec, exec, s[0:1]
	v_cmp_gt_i32_e32 vcc, s6, v0
	s_and_saveexec_b64 s[0:1], vcc
	s_cbranch_execnz .LBB184_63
.LBB184_46:
	s_or_b64 exec, exec, s[0:1]
	v_cmp_gt_i32_e32 vcc, s6, v0
	s_and_saveexec_b64 s[0:1], vcc
	s_cbranch_execnz .LBB184_64
.LBB184_47:
	s_or_b64 exec, exec, s[0:1]
	v_cmp_gt_i32_e32 vcc, s6, v0
	s_and_saveexec_b64 s[0:1], vcc
	s_cbranch_execnz .LBB184_65
.LBB184_48:
	s_or_b64 exec, exec, s[0:1]
	v_cmp_gt_i32_e32 vcc, s6, v0
	s_and_saveexec_b64 s[0:1], vcc
	s_cbranch_execnz .LBB184_66
.LBB184_49:
	s_or_b64 exec, exec, s[0:1]
	v_cmp_gt_i32_e32 vcc, s6, v0
	s_and_saveexec_b64 s[0:1], vcc
	s_cbranch_execnz .LBB184_67
.LBB184_50:
	s_or_b64 exec, exec, s[0:1]
	v_cmp_gt_i32_e32 vcc, s6, v0
	s_and_saveexec_b64 s[0:1], vcc
	s_cbranch_execz .LBB184_52
.LBB184_51:
	v_lshrrev_b32_e32 v1, 24, v2
	v_add_u32_e32 v0, s4, v0
	global_store_byte v0, v1, s[12:13]
.LBB184_52:
	s_endpgm
.LBB184_53:
	v_mov_b32_e32 v0, v19
	global_store_byte v1, v5, s[12:13]
	s_or_b64 exec, exec, s[0:1]
	v_cmp_gt_i32_e32 vcc, s6, v0
	s_and_saveexec_b64 s[0:1], vcc
	s_cbranch_execz .LBB184_37
.LBB184_54:
	v_lshrrev_b32_e32 v1, 8, v5
	v_add_u32_e32 v6, s4, v0
	v_add_u32_e32 v0, 0x100, v0
	global_store_byte v6, v1, s[12:13]
	s_or_b64 exec, exec, s[0:1]
	v_cmp_gt_i32_e32 vcc, s6, v0
	s_and_saveexec_b64 s[0:1], vcc
	s_cbranch_execz .LBB184_38
.LBB184_55:
	v_add_u32_e32 v1, s4, v0
	v_add_u32_e32 v0, 0x100, v0
	global_store_byte_d16_hi v1, v5, s[12:13]
	s_or_b64 exec, exec, s[0:1]
	v_cmp_gt_i32_e32 vcc, s6, v0
	s_and_saveexec_b64 s[0:1], vcc
	s_cbranch_execz .LBB184_39
.LBB184_56:
	v_lshrrev_b32_e32 v1, 24, v5
	v_add_u32_e32 v5, s4, v0
	v_add_u32_e32 v0, 0x100, v0
	global_store_byte v5, v1, s[12:13]
	s_or_b64 exec, exec, s[0:1]
	v_cmp_gt_i32_e32 vcc, s6, v0
	s_and_saveexec_b64 s[0:1], vcc
	s_cbranch_execz .LBB184_40
.LBB184_57:
	v_add_u32_e32 v1, s4, v0
	v_add_u32_e32 v0, 0x100, v0
	global_store_byte v1, v4, s[12:13]
	s_or_b64 exec, exec, s[0:1]
	v_cmp_gt_i32_e32 vcc, s6, v0
	s_and_saveexec_b64 s[0:1], vcc
	s_cbranch_execz .LBB184_41
.LBB184_58:
	v_lshrrev_b32_e32 v1, 8, v4
	v_add_u32_e32 v5, s4, v0
	v_add_u32_e32 v0, 0x100, v0
	global_store_byte v5, v1, s[12:13]
	s_or_b64 exec, exec, s[0:1]
	v_cmp_gt_i32_e32 vcc, s6, v0
	s_and_saveexec_b64 s[0:1], vcc
	s_cbranch_execz .LBB184_42
.LBB184_59:
	v_add_u32_e32 v1, s4, v0
	v_add_u32_e32 v0, 0x100, v0
	global_store_byte_d16_hi v1, v4, s[12:13]
	s_or_b64 exec, exec, s[0:1]
	v_cmp_gt_i32_e32 vcc, s6, v0
	s_and_saveexec_b64 s[0:1], vcc
	s_cbranch_execz .LBB184_43
.LBB184_60:
	v_lshrrev_b32_e32 v1, 24, v4
	v_add_u32_e32 v4, s4, v0
	v_add_u32_e32 v0, 0x100, v0
	global_store_byte v4, v1, s[12:13]
	s_or_b64 exec, exec, s[0:1]
	v_cmp_gt_i32_e32 vcc, s6, v0
	s_and_saveexec_b64 s[0:1], vcc
	s_cbranch_execz .LBB184_44
.LBB184_61:
	v_add_u32_e32 v1, s4, v0
	v_add_u32_e32 v0, 0x100, v0
	global_store_byte v1, v3, s[12:13]
	s_or_b64 exec, exec, s[0:1]
	v_cmp_gt_i32_e32 vcc, s6, v0
	s_and_saveexec_b64 s[0:1], vcc
	s_cbranch_execz .LBB184_45
.LBB184_62:
	v_lshrrev_b32_e32 v1, 8, v3
	v_add_u32_e32 v4, s4, v0
	v_add_u32_e32 v0, 0x100, v0
	global_store_byte v4, v1, s[12:13]
	s_or_b64 exec, exec, s[0:1]
	v_cmp_gt_i32_e32 vcc, s6, v0
	s_and_saveexec_b64 s[0:1], vcc
	s_cbranch_execz .LBB184_46
.LBB184_63:
	v_add_u32_e32 v1, s4, v0
	v_add_u32_e32 v0, 0x100, v0
	global_store_byte_d16_hi v1, v3, s[12:13]
	s_or_b64 exec, exec, s[0:1]
	v_cmp_gt_i32_e32 vcc, s6, v0
	s_and_saveexec_b64 s[0:1], vcc
	s_cbranch_execz .LBB184_47
.LBB184_64:
	v_lshrrev_b32_e32 v1, 24, v3
	v_add_u32_e32 v3, s4, v0
	v_add_u32_e32 v0, 0x100, v0
	global_store_byte v3, v1, s[12:13]
	s_or_b64 exec, exec, s[0:1]
	v_cmp_gt_i32_e32 vcc, s6, v0
	s_and_saveexec_b64 s[0:1], vcc
	s_cbranch_execz .LBB184_48
.LBB184_65:
	v_add_u32_e32 v1, s4, v0
	v_add_u32_e32 v0, 0x100, v0
	global_store_byte v1, v2, s[12:13]
	s_or_b64 exec, exec, s[0:1]
	v_cmp_gt_i32_e32 vcc, s6, v0
	s_and_saveexec_b64 s[0:1], vcc
	s_cbranch_execz .LBB184_49
.LBB184_66:
	v_lshrrev_b32_e32 v1, 8, v2
	v_add_u32_e32 v3, s4, v0
	v_add_u32_e32 v0, 0x100, v0
	global_store_byte v3, v1, s[12:13]
	s_or_b64 exec, exec, s[0:1]
	v_cmp_gt_i32_e32 vcc, s6, v0
	s_and_saveexec_b64 s[0:1], vcc
	s_cbranch_execz .LBB184_50
.LBB184_67:
	v_add_u32_e32 v1, s4, v0
	v_add_u32_e32 v0, 0x100, v0
	global_store_byte_d16_hi v1, v2, s[12:13]
	s_or_b64 exec, exec, s[0:1]
	v_cmp_gt_i32_e32 vcc, s6, v0
	s_and_saveexec_b64 s[0:1], vcc
	s_cbranch_execnz .LBB184_51
	s_branch .LBB184_52
	.section	.rodata,"a",@progbits
	.p2align	6, 0x0
	.amdhsa_kernel _ZN2at6native29vectorized_elementwise_kernelILi16ENS0_13AUnaryFunctorIN3c104HalfES4_bNS0_12_GLOBAL__N_116CompareEqFunctorIS4_EEEESt5arrayIPcLm2EEEEviT0_T1_
		.amdhsa_group_segment_fixed_size 0
		.amdhsa_private_segment_fixed_size 0
		.amdhsa_kernarg_size 32
		.amdhsa_user_sgpr_count 6
		.amdhsa_user_sgpr_private_segment_buffer 1
		.amdhsa_user_sgpr_dispatch_ptr 0
		.amdhsa_user_sgpr_queue_ptr 0
		.amdhsa_user_sgpr_kernarg_segment_ptr 1
		.amdhsa_user_sgpr_dispatch_id 0
		.amdhsa_user_sgpr_flat_scratch_init 0
		.amdhsa_user_sgpr_private_segment_size 0
		.amdhsa_uses_dynamic_stack 0
		.amdhsa_system_sgpr_private_segment_wavefront_offset 0
		.amdhsa_system_sgpr_workgroup_id_x 1
		.amdhsa_system_sgpr_workgroup_id_y 0
		.amdhsa_system_sgpr_workgroup_id_z 0
		.amdhsa_system_sgpr_workgroup_info 0
		.amdhsa_system_vgpr_workitem_id 0
		.amdhsa_next_free_vgpr 21
		.amdhsa_next_free_sgpr 20
		.amdhsa_reserve_vcc 1
		.amdhsa_reserve_flat_scratch 0
		.amdhsa_float_round_mode_32 0
		.amdhsa_float_round_mode_16_64 0
		.amdhsa_float_denorm_mode_32 3
		.amdhsa_float_denorm_mode_16_64 3
		.amdhsa_dx10_clamp 1
		.amdhsa_ieee_mode 1
		.amdhsa_fp16_overflow 0
		.amdhsa_exception_fp_ieee_invalid_op 0
		.amdhsa_exception_fp_denorm_src 0
		.amdhsa_exception_fp_ieee_div_zero 0
		.amdhsa_exception_fp_ieee_overflow 0
		.amdhsa_exception_fp_ieee_underflow 0
		.amdhsa_exception_fp_ieee_inexact 0
		.amdhsa_exception_int_div_zero 0
	.end_amdhsa_kernel
	.section	.text._ZN2at6native29vectorized_elementwise_kernelILi16ENS0_13AUnaryFunctorIN3c104HalfES4_bNS0_12_GLOBAL__N_116CompareEqFunctorIS4_EEEESt5arrayIPcLm2EEEEviT0_T1_,"axG",@progbits,_ZN2at6native29vectorized_elementwise_kernelILi16ENS0_13AUnaryFunctorIN3c104HalfES4_bNS0_12_GLOBAL__N_116CompareEqFunctorIS4_EEEESt5arrayIPcLm2EEEEviT0_T1_,comdat
.Lfunc_end184:
	.size	_ZN2at6native29vectorized_elementwise_kernelILi16ENS0_13AUnaryFunctorIN3c104HalfES4_bNS0_12_GLOBAL__N_116CompareEqFunctorIS4_EEEESt5arrayIPcLm2EEEEviT0_T1_, .Lfunc_end184-_ZN2at6native29vectorized_elementwise_kernelILi16ENS0_13AUnaryFunctorIN3c104HalfES4_bNS0_12_GLOBAL__N_116CompareEqFunctorIS4_EEEESt5arrayIPcLm2EEEEviT0_T1_
                                        ; -- End function
	.set _ZN2at6native29vectorized_elementwise_kernelILi16ENS0_13AUnaryFunctorIN3c104HalfES4_bNS0_12_GLOBAL__N_116CompareEqFunctorIS4_EEEESt5arrayIPcLm2EEEEviT0_T1_.num_vgpr, 21
	.set _ZN2at6native29vectorized_elementwise_kernelILi16ENS0_13AUnaryFunctorIN3c104HalfES4_bNS0_12_GLOBAL__N_116CompareEqFunctorIS4_EEEESt5arrayIPcLm2EEEEviT0_T1_.num_agpr, 0
	.set _ZN2at6native29vectorized_elementwise_kernelILi16ENS0_13AUnaryFunctorIN3c104HalfES4_bNS0_12_GLOBAL__N_116CompareEqFunctorIS4_EEEESt5arrayIPcLm2EEEEviT0_T1_.numbered_sgpr, 20
	.set _ZN2at6native29vectorized_elementwise_kernelILi16ENS0_13AUnaryFunctorIN3c104HalfES4_bNS0_12_GLOBAL__N_116CompareEqFunctorIS4_EEEESt5arrayIPcLm2EEEEviT0_T1_.num_named_barrier, 0
	.set _ZN2at6native29vectorized_elementwise_kernelILi16ENS0_13AUnaryFunctorIN3c104HalfES4_bNS0_12_GLOBAL__N_116CompareEqFunctorIS4_EEEESt5arrayIPcLm2EEEEviT0_T1_.private_seg_size, 0
	.set _ZN2at6native29vectorized_elementwise_kernelILi16ENS0_13AUnaryFunctorIN3c104HalfES4_bNS0_12_GLOBAL__N_116CompareEqFunctorIS4_EEEESt5arrayIPcLm2EEEEviT0_T1_.uses_vcc, 1
	.set _ZN2at6native29vectorized_elementwise_kernelILi16ENS0_13AUnaryFunctorIN3c104HalfES4_bNS0_12_GLOBAL__N_116CompareEqFunctorIS4_EEEESt5arrayIPcLm2EEEEviT0_T1_.uses_flat_scratch, 0
	.set _ZN2at6native29vectorized_elementwise_kernelILi16ENS0_13AUnaryFunctorIN3c104HalfES4_bNS0_12_GLOBAL__N_116CompareEqFunctorIS4_EEEESt5arrayIPcLm2EEEEviT0_T1_.has_dyn_sized_stack, 0
	.set _ZN2at6native29vectorized_elementwise_kernelILi16ENS0_13AUnaryFunctorIN3c104HalfES4_bNS0_12_GLOBAL__N_116CompareEqFunctorIS4_EEEESt5arrayIPcLm2EEEEviT0_T1_.has_recursion, 0
	.set _ZN2at6native29vectorized_elementwise_kernelILi16ENS0_13AUnaryFunctorIN3c104HalfES4_bNS0_12_GLOBAL__N_116CompareEqFunctorIS4_EEEESt5arrayIPcLm2EEEEviT0_T1_.has_indirect_call, 0
	.section	.AMDGPU.csdata,"",@progbits
; Kernel info:
; codeLenInByte = 4252
; TotalNumSgprs: 24
; NumVgprs: 21
; ScratchSize: 0
; MemoryBound: 0
; FloatMode: 240
; IeeeMode: 1
; LDSByteSize: 0 bytes/workgroup (compile time only)
; SGPRBlocks: 2
; VGPRBlocks: 5
; NumSGPRsForWavesPerEU: 24
; NumVGPRsForWavesPerEU: 21
; Occupancy: 10
; WaveLimiterHint : 0
; COMPUTE_PGM_RSRC2:SCRATCH_EN: 0
; COMPUTE_PGM_RSRC2:USER_SGPR: 6
; COMPUTE_PGM_RSRC2:TRAP_HANDLER: 0
; COMPUTE_PGM_RSRC2:TGID_X_EN: 1
; COMPUTE_PGM_RSRC2:TGID_Y_EN: 0
; COMPUTE_PGM_RSRC2:TGID_Z_EN: 0
; COMPUTE_PGM_RSRC2:TIDIG_COMP_CNT: 0
	.section	.text._ZN2at6native29vectorized_elementwise_kernelILi8ENS0_13AUnaryFunctorIN3c104HalfES4_bNS0_12_GLOBAL__N_116CompareEqFunctorIS4_EEEESt5arrayIPcLm2EEEEviT0_T1_,"axG",@progbits,_ZN2at6native29vectorized_elementwise_kernelILi8ENS0_13AUnaryFunctorIN3c104HalfES4_bNS0_12_GLOBAL__N_116CompareEqFunctorIS4_EEEESt5arrayIPcLm2EEEEviT0_T1_,comdat
	.globl	_ZN2at6native29vectorized_elementwise_kernelILi8ENS0_13AUnaryFunctorIN3c104HalfES4_bNS0_12_GLOBAL__N_116CompareEqFunctorIS4_EEEESt5arrayIPcLm2EEEEviT0_T1_ ; -- Begin function _ZN2at6native29vectorized_elementwise_kernelILi8ENS0_13AUnaryFunctorIN3c104HalfES4_bNS0_12_GLOBAL__N_116CompareEqFunctorIS4_EEEESt5arrayIPcLm2EEEEviT0_T1_
	.p2align	8
	.type	_ZN2at6native29vectorized_elementwise_kernelILi8ENS0_13AUnaryFunctorIN3c104HalfES4_bNS0_12_GLOBAL__N_116CompareEqFunctorIS4_EEEESt5arrayIPcLm2EEEEviT0_T1_,@function
_ZN2at6native29vectorized_elementwise_kernelILi8ENS0_13AUnaryFunctorIN3c104HalfES4_bNS0_12_GLOBAL__N_116CompareEqFunctorIS4_EEEESt5arrayIPcLm2EEEEviT0_T1_: ; @_ZN2at6native29vectorized_elementwise_kernelILi8ENS0_13AUnaryFunctorIN3c104HalfES4_bNS0_12_GLOBAL__N_116CompareEqFunctorIS4_EEEESt5arrayIPcLm2EEEEviT0_T1_
; %bb.0:
	s_load_dwordx8 s[8:15], s[4:5], 0x0
	s_lshl_b32 s4, s6, 12
	s_mov_b64 s[0:1], -1
	s_waitcnt lgkmcnt(0)
	s_sub_i32 s6, s8, s4
	s_cmpk_gt_i32 s6, 0xfff
	s_cbranch_scc0 .LBB185_2
; %bb.1:
	s_ashr_i32 s5, s4, 31
	s_lshl_b64 s[0:1], s[4:5], 1
	s_add_u32 s0, s14, s0
	s_addc_u32 s1, s15, s1
	v_lshlrev_b32_e32 v5, 4, v0
	global_load_dwordx4 v[1:4], v5, s[0:1]
	v_mov_b32_e32 v6, s1
	v_add_co_u32_e32 v5, vcc, s0, v5
	v_addc_co_u32_e32 v6, vcc, 0, v6, vcc
	v_add_co_u32_e32 v5, vcc, 0x1000, v5
	v_addc_co_u32_e32 v6, vcc, 0, v6, vcc
	global_load_dwordx4 v[5:8], v[5:6], off
	s_cmp_eq_u32 s9, 0
	s_waitcnt vmcnt(1)
	v_cmp_eq_f16_e32 vcc, s10, v1
	v_cndmask_b32_e64 v9, 0, 1, vcc
	v_cmp_neq_f16_e32 vcc, s10, v1
	v_cmp_eq_f16_sdwa s[0:1], v1, s10 src0_sel:WORD_1 src1_sel:DWORD
	v_cndmask_b32_e64 v10, 0, 1, vcc
	v_cndmask_b32_e64 v11, 0, 1, s[0:1]
	v_cmp_neq_f16_sdwa s[0:1], v1, s10 src0_sel:WORD_1 src1_sel:DWORD
	v_cmp_eq_f16_e32 vcc, s10, v2
	v_cndmask_b32_e64 v1, 0, 1, s[0:1]
	v_cndmask_b32_e64 v12, 0, 1, vcc
	v_cmp_neq_f16_e32 vcc, s10, v2
	v_cmp_eq_f16_sdwa s[0:1], v2, s10 src0_sel:WORD_1 src1_sel:DWORD
	v_cndmask_b32_e64 v13, 0, 1, vcc
	v_cndmask_b32_e64 v14, 0, 1, s[0:1]
	v_cmp_neq_f16_sdwa s[0:1], v2, s10 src0_sel:WORD_1 src1_sel:DWORD
	v_cmp_eq_f16_e32 vcc, s10, v3
	v_cndmask_b32_e64 v2, 0, 1, s[0:1]
	v_cndmask_b32_e64 v15, 0, 1, vcc
	v_cmp_neq_f16_e32 vcc, s10, v3
	v_cmp_eq_f16_sdwa s[0:1], v3, s10 src0_sel:WORD_1 src1_sel:DWORD
	v_cndmask_b32_e64 v16, 0, 1, vcc
	v_cndmask_b32_e64 v17, 0, 1, s[0:1]
	v_cmp_eq_f16_e32 vcc, s10, v4
	v_cmp_neq_f16_e64 s[0:1], s10, v4
	v_cmp_eq_f16_sdwa s[2:3], v4, s10 src0_sel:WORD_1 src1_sel:DWORD
	v_cmp_neq_f16_sdwa s[16:17], v4, s10 src0_sel:WORD_1 src1_sel:DWORD
	v_cndmask_b32_e64 v4, 0, 1, vcc
	v_cndmask_b32_e64 v18, 0, 1, s[0:1]
	s_cselect_b64 vcc, -1, 0
	s_waitcnt vmcnt(0)
	v_cmp_eq_f16_e64 s[0:1], s10, v5
	v_cndmask_b32_e32 v1, v1, v11, vcc
	v_cndmask_b32_e32 v11, v13, v12, vcc
	v_cndmask_b32_e64 v13, 0, 1, s[0:1]
	v_cmp_neq_f16_e64 s[0:1], s10, v5
	v_cndmask_b32_e32 v2, v2, v14, vcc
	v_cndmask_b32_e64 v14, 0, 1, s[0:1]
	v_cmp_eq_f16_sdwa s[0:1], v5, s10 src0_sel:WORD_1 src1_sel:DWORD
	v_cndmask_b32_e32 v12, v16, v15, vcc
	v_cndmask_b32_e64 v15, 0, 1, s[0:1]
	v_cmp_neq_f16_sdwa s[0:1], v5, s10 src0_sel:WORD_1 src1_sel:DWORD
	v_cmp_neq_f16_sdwa s[18:19], v3, s10 src0_sel:WORD_1 src1_sel:DWORD
	v_cndmask_b32_e64 v5, 0, 1, s[0:1]
	v_cmp_eq_f16_e64 s[0:1], s10, v6
	v_cndmask_b32_e64 v3, 0, 1, s[18:19]
	v_cndmask_b32_e64 v16, 0, 1, s[0:1]
	v_cmp_neq_f16_e64 s[0:1], s10, v6
	v_cndmask_b32_e32 v3, v3, v17, vcc
	v_cndmask_b32_e64 v17, 0, 1, s[0:1]
	v_cmp_eq_f16_sdwa s[0:1], v6, s10 src0_sel:WORD_1 src1_sel:DWORD
	v_cndmask_b32_e32 v4, v18, v4, vcc
	v_cndmask_b32_e64 v18, 0, 1, s[0:1]
	v_cmp_neq_f16_sdwa s[0:1], v6, s10 src0_sel:WORD_1 src1_sel:DWORD
	v_cndmask_b32_e64 v6, 0, 1, s[0:1]
	v_cmp_eq_f16_e64 s[0:1], s10, v7
	v_cndmask_b32_e32 v13, v14, v13, vcc
	v_cndmask_b32_e64 v14, 0, 1, s[0:1]
	v_cmp_neq_f16_e64 s[0:1], s10, v7
	v_cndmask_b32_e32 v5, v5, v15, vcc
	v_cndmask_b32_e32 v15, v17, v16, vcc
	v_cndmask_b32_e64 v16, 0, 1, s[0:1]
	v_cmp_eq_f16_sdwa s[0:1], v7, s10 src0_sel:WORD_1 src1_sel:DWORD
	v_cndmask_b32_e64 v17, 0, 1, s[0:1]
	v_cmp_neq_f16_sdwa s[0:1], v7, s10 src0_sel:WORD_1 src1_sel:DWORD
	v_cndmask_b32_e64 v19, 0, 1, s[2:3]
	v_cndmask_b32_e32 v9, v10, v9, vcc
	v_cndmask_b32_e64 v10, 0, 1, s[16:17]
	v_cndmask_b32_e32 v14, v16, v14, vcc
	v_cndmask_b32_e64 v7, 0, 1, s[0:1]
	v_mov_b32_e32 v16, 1
	v_cmp_neq_f16_e64 s[0:1], s10, v8
	v_cmp_eq_f16_e64 s[2:3], s10, v8
	v_cndmask_b32_e32 v10, v10, v19, vcc
	v_cndmask_b32_e32 v6, v6, v18, vcc
	v_and_b32_sdwa v18, v2, v16 dst_sel:BYTE_1 dst_unused:UNUSED_PAD src0_sel:DWORD src1_sel:DWORD
	v_and_b32_e32 v2, 1, v14
	v_cmp_eq_f16_sdwa s[16:17], v8, s10 src0_sel:WORD_1 src1_sel:DWORD
	v_cmp_neq_f16_sdwa s[18:19], v8, s10 src0_sel:WORD_1 src1_sel:DWORD
	v_cndmask_b32_e64 v8, 0, 1, s[2:3]
	v_cndmask_b32_e64 v14, 0, 1, s[0:1]
	v_cndmask_b32_e32 v7, v7, v17, vcc
	v_and_b32_sdwa v17, v1, v16 dst_sel:BYTE_1 dst_unused:UNUSED_PAD src0_sel:DWORD src1_sel:DWORD
	v_and_b32_e32 v12, 1, v12
	v_and_b32_sdwa v3, v3, v16 dst_sel:BYTE_1 dst_unused:UNUSED_PAD src0_sel:DWORD src1_sel:DWORD
	v_and_b32_e32 v4, 1, v4
	;; [unrolled: 2-line block ×4, first 2 shown]
	v_and_b32_sdwa v6, v6, v16 dst_sel:BYTE_1 dst_unused:UNUSED_PAD src0_sel:DWORD src1_sel:DWORD
	v_cndmask_b32_e32 v8, v14, v8, vcc
	v_cndmask_b32_e64 v14, 0, 1, s[16:17]
	v_cndmask_b32_e64 v15, 0, 1, s[18:19]
	v_and_b32_e32 v9, 1, v9
	v_and_b32_e32 v11, 1, v11
	v_cndmask_b32_e32 v14, v15, v14, vcc
	v_or_b32_e32 v1, v1, v5
	v_or_b32_sdwa v5, v13, v6 dst_sel:WORD_1 dst_unused:UNUSED_PAD src0_sel:DWORD src1_sel:DWORD
	v_or_b32_e32 v3, v12, v3
	v_or_b32_sdwa v4, v4, v10 dst_sel:WORD_1 dst_unused:UNUSED_PAD src0_sel:DWORD src1_sel:DWORD
	v_and_b32_sdwa v7, v7, v16 dst_sel:BYTE_1 dst_unused:UNUSED_PAD src0_sel:DWORD src1_sel:DWORD
	v_and_b32_e32 v8, 1, v8
	v_and_b32_sdwa v14, v14, v16 dst_sel:BYTE_1 dst_unused:UNUSED_PAD src0_sel:DWORD src1_sel:DWORD
	v_or_b32_sdwa v1, v1, v5 dst_sel:DWORD dst_unused:UNUSED_PAD src0_sel:WORD_0 src1_sel:DWORD
	v_or_b32_sdwa v4, v3, v4 dst_sel:DWORD dst_unused:UNUSED_PAD src0_sel:WORD_0 src1_sel:DWORD
	v_or_b32_e32 v3, v9, v17
	v_or_b32_sdwa v5, v11, v18 dst_sel:WORD_1 dst_unused:UNUSED_PAD src0_sel:DWORD src1_sel:DWORD
	s_add_u32 s0, s12, s4
	v_or_b32_e32 v2, v2, v7
	v_or_b32_sdwa v7, v8, v14 dst_sel:WORD_1 dst_unused:UNUSED_PAD src0_sel:DWORD src1_sel:DWORD
	v_or_b32_sdwa v3, v3, v5 dst_sel:DWORD dst_unused:UNUSED_PAD src0_sel:WORD_0 src1_sel:DWORD
	s_addc_u32 s1, s13, s5
	v_lshlrev_b32_e32 v5, 3, v0
	v_or_b32_sdwa v2, v2, v7 dst_sel:DWORD dst_unused:UNUSED_PAD src0_sel:WORD_0 src1_sel:DWORD
	global_store_dwordx2 v5, v[3:4], s[0:1]
	global_store_dwordx2 v5, v[1:2], s[0:1] offset:2048
	s_mov_b64 s[0:1], 0
.LBB185_2:
	s_andn2_b64 vcc, exec, s[0:1]
	s_cbranch_vccnz .LBB185_52
; %bb.3:
	v_cmp_gt_i32_e32 vcc, s6, v0
	v_mov_b32_e32 v3, 0
	v_or_b32_e32 v1, s4, v0
	v_mov_b32_e32 v2, 0
	v_mov_b32_e32 v5, v0
	s_and_saveexec_b64 s[2:3], vcc
	s_cbranch_execz .LBB185_5
; %bb.4:
	v_mov_b32_e32 v2, 0
	v_lshlrev_b64 v[4:5], 1, v[1:2]
	v_mov_b32_e32 v2, s15
	v_add_co_u32_e64 v4, s[0:1], s14, v4
	v_addc_co_u32_e64 v5, s[0:1], v2, v5, s[0:1]
	global_load_ushort v2, v[4:5], off
	v_or_b32_e32 v5, 0x100, v0
.LBB185_5:
	s_or_b64 exec, exec, s[2:3]
	v_cmp_gt_i32_e64 s[0:1], s6, v5
	s_and_saveexec_b64 s[2:3], s[0:1]
	s_cbranch_execz .LBB185_7
; %bb.6:
	v_add_u32_e32 v3, s4, v5
	v_mov_b32_e32 v4, 0
	v_lshlrev_b64 v[3:4], 1, v[3:4]
	v_mov_b32_e32 v6, s15
	v_add_co_u32_e64 v3, s[0:1], s14, v3
	v_addc_co_u32_e64 v4, s[0:1], v6, v4, s[0:1]
	global_load_ushort v3, v[3:4], off
	v_add_u32_e32 v5, 0x100, v5
.LBB185_7:
	s_or_b64 exec, exec, s[2:3]
	v_cmp_gt_i32_e64 s[0:1], s6, v5
	v_mov_b32_e32 v4, 0
	v_mov_b32_e32 v6, 0
	s_and_saveexec_b64 s[2:3], s[0:1]
	s_cbranch_execz .LBB185_9
; %bb.8:
	v_add_u32_e32 v6, s4, v5
	v_mov_b32_e32 v7, 0
	v_lshlrev_b64 v[6:7], 1, v[6:7]
	v_mov_b32_e32 v8, s15
	v_add_co_u32_e64 v6, s[0:1], s14, v6
	v_addc_co_u32_e64 v7, s[0:1], v8, v7, s[0:1]
	global_load_ushort v6, v[6:7], off
	v_add_u32_e32 v5, 0x100, v5
.LBB185_9:
	s_or_b64 exec, exec, s[2:3]
	v_cmp_gt_i32_e64 s[0:1], s6, v5
	s_and_saveexec_b64 s[2:3], s[0:1]
	s_cbranch_execz .LBB185_11
; %bb.10:
	v_add_u32_e32 v7, s4, v5
	v_mov_b32_e32 v8, 0
	v_lshlrev_b64 v[7:8], 1, v[7:8]
	v_mov_b32_e32 v4, s15
	v_add_co_u32_e64 v7, s[0:1], s14, v7
	v_addc_co_u32_e64 v8, s[0:1], v4, v8, s[0:1]
	global_load_ushort v4, v[7:8], off
	v_add_u32_e32 v5, 0x100, v5
.LBB185_11:
	s_or_b64 exec, exec, s[2:3]
	v_cmp_gt_i32_e64 s[0:1], s6, v5
	v_mov_b32_e32 v7, 0
	v_mov_b32_e32 v8, 0
	s_and_saveexec_b64 s[2:3], s[0:1]
	s_cbranch_execz .LBB185_13
; %bb.12:
	v_add_u32_e32 v8, s4, v5
	v_mov_b32_e32 v9, 0
	v_lshlrev_b64 v[8:9], 1, v[8:9]
	v_mov_b32_e32 v10, s15
	v_add_co_u32_e64 v8, s[0:1], s14, v8
	v_addc_co_u32_e64 v9, s[0:1], v10, v9, s[0:1]
	global_load_ushort v8, v[8:9], off
	v_add_u32_e32 v5, 0x100, v5
.LBB185_13:
	;; [unrolled: 30-line block ×7, first 2 shown]
	s_or_b64 exec, exec, s[2:3]
	v_cmp_gt_i32_e64 s[0:1], s6, v5
	s_and_saveexec_b64 s[2:3], s[0:1]
	s_cbranch_execz .LBB185_35
; %bb.34:
	v_add_u32_e32 v19, s4, v5
	v_mov_b32_e32 v20, 0
	v_lshlrev_b64 v[19:20], 1, v[19:20]
	v_mov_b32_e32 v5, s15
	v_add_co_u32_e64 v19, s[0:1], s14, v19
	v_addc_co_u32_e64 v20, s[0:1], v5, v20, s[0:1]
	global_load_ushort v17, v[19:20], off
.LBB185_35:
	s_or_b64 exec, exec, s[2:3]
	s_waitcnt vmcnt(0)
	v_cmp_eq_f16_e64 s[0:1], s10, v2
	s_cmp_eq_u32 s9, 0
	v_cndmask_b32_e64 v5, 0, 1, s[0:1]
	v_cmp_neq_f16_e64 s[0:1], s10, v2
	v_cndmask_b32_e64 v2, 0, 1, s[0:1]
	s_cselect_b64 s[0:1], -1, 0
	v_cndmask_b32_e64 v2, v2, v5, s[0:1]
	v_cndmask_b32_e64 v5, 0, 1, vcc
	v_cmp_eq_f16_e64 s[2:3], s10, v3
	v_and_b32_e32 v2, v5, v2
	v_cndmask_b32_e64 v5, 0, 1, s[2:3]
	v_cmp_neq_f16_e64 s[2:3], s10, v3
	v_cndmask_b32_e64 v3, 0, 1, s[2:3]
	v_cndmask_b32_e64 v3, v3, v5, s[0:1]
	v_mov_b32_e32 v20, 1
	v_and_b32_sdwa v3, v3, v20 dst_sel:BYTE_1 dst_unused:UNUSED_PAD src0_sel:DWORD src1_sel:DWORD
	v_or_b32_e32 v19, 0x100, v0
	v_or_b32_e32 v3, v2, v3
	v_and_b32_e32 v3, 0xffff, v3
	v_cmp_gt_i32_e64 s[2:3], s6, v19
	v_cndmask_b32_e64 v2, v2, v3, s[2:3]
	v_cmp_eq_f16_e64 s[2:3], s10, v6
	v_cndmask_b32_e64 v5, 0, 1, s[2:3]
	v_cmp_neq_f16_e64 s[2:3], s10, v6
	v_cndmask_b32_e64 v6, 0, 1, s[2:3]
	v_cndmask_b32_e64 v5, v6, v5, s[0:1]
	v_or_b32_e32 v3, 0x200, v0
	v_and_b32_e32 v5, 1, v5
	v_lshl_or_b32 v5, v5, 16, v2
	v_cmp_gt_i32_e64 s[2:3], s6, v3
	v_cndmask_b32_e64 v2, v2, v5, s[2:3]
	v_cmp_eq_f16_e64 s[2:3], s10, v4
	v_cndmask_b32_e64 v6, 0, 1, s[2:3]
	v_cmp_neq_f16_e64 s[2:3], s10, v4
	v_cndmask_b32_e64 v4, 0, 1, s[2:3]
	s_movk_i32 s7, 0xff
	v_cndmask_b32_e64 v4, v4, v6, s[0:1]
	v_and_b32_sdwa v3, v2, s7 dst_sel:DWORD dst_unused:UNUSED_PAD src0_sel:WORD_1 src1_sel:DWORD
	v_and_b32_sdwa v4, v4, v20 dst_sel:BYTE_1 dst_unused:UNUSED_PAD src0_sel:DWORD src1_sel:DWORD
	s_mov_b32 s5, 0xffff
	v_or_b32_e32 v5, 0x300, v0
	v_or_b32_sdwa v3, v3, v4 dst_sel:WORD_1 dst_unused:UNUSED_PAD src0_sel:DWORD src1_sel:DWORD
	v_and_or_b32 v3, v2, s5, v3
	v_cmp_gt_i32_e64 s[2:3], s6, v5
	v_cndmask_b32_e64 v5, v2, v3, s[2:3]
	v_cmp_eq_f16_e64 s[2:3], s10, v8
	v_cndmask_b32_e64 v2, 0, 1, s[2:3]
	v_cmp_neq_f16_e64 s[2:3], s10, v8
	v_cndmask_b32_e64 v3, 0, 1, s[2:3]
	v_cndmask_b32_e64 v2, v3, v2, s[0:1]
	v_and_b32_e32 v2, 1, v2
	v_or_b32_e32 v3, 0x400, v0
	v_and_b32_e32 v2, 0xffff, v2
	v_cmp_gt_i32_e64 s[2:3], s6, v3
	v_cndmask_b32_e64 v2, 0, v2, s[2:3]
	v_cmp_eq_f16_e64 s[2:3], s10, v7
	v_cndmask_b32_e64 v4, 0, 1, s[2:3]
	v_cmp_neq_f16_e64 s[2:3], s10, v7
	v_cndmask_b32_e64 v6, 0, 1, s[2:3]
	v_cndmask_b32_e64 v4, v6, v4, s[0:1]
	v_and_b32_sdwa v4, v4, v20 dst_sel:BYTE_1 dst_unused:UNUSED_PAD src0_sel:DWORD src1_sel:DWORD
	v_or_b32_e32 v3, 0x500, v0
	v_or_b32_sdwa v4, v2, v4 dst_sel:DWORD dst_unused:UNUSED_PAD src0_sel:BYTE_0 src1_sel:DWORD
	v_and_b32_e32 v4, 0xffff, v4
	v_cmp_gt_i32_e64 s[2:3], s6, v3
	v_cndmask_b32_e64 v2, v2, v4, s[2:3]
	v_cmp_eq_f16_e64 s[2:3], s10, v10
	v_cndmask_b32_e64 v4, 0, 1, s[2:3]
	v_cmp_neq_f16_e64 s[2:3], s10, v10
	v_cndmask_b32_e64 v6, 0, 1, s[2:3]
	s_movk_i32 s8, 0xff00
	v_cndmask_b32_e64 v4, v6, v4, s[0:1]
	v_and_b32_sdwa v3, v2, s8 dst_sel:DWORD dst_unused:UNUSED_PAD src0_sel:WORD_1 src1_sel:DWORD
	v_and_b32_e32 v4, 1, v4
	v_or_b32_sdwa v3, v4, v3 dst_sel:WORD_1 dst_unused:UNUSED_PAD src0_sel:DWORD src1_sel:DWORD
	v_or_b32_e32 v4, 0x600, v0
	v_and_or_b32 v3, v2, s5, v3
	v_cmp_gt_i32_e64 s[2:3], s6, v4
	v_cndmask_b32_e64 v2, v2, v3, s[2:3]
	v_cmp_eq_f16_e64 s[2:3], s10, v9
	v_cndmask_b32_e64 v6, 0, 1, s[2:3]
	v_cmp_neq_f16_e64 s[2:3], s10, v9
	v_cndmask_b32_e64 v7, 0, 1, s[2:3]
	v_cndmask_b32_e64 v6, v7, v6, s[0:1]
	v_and_b32_sdwa v3, v2, s7 dst_sel:DWORD dst_unused:UNUSED_PAD src0_sel:WORD_1 src1_sel:DWORD
	v_and_b32_sdwa v6, v6, v20 dst_sel:BYTE_1 dst_unused:UNUSED_PAD src0_sel:DWORD src1_sel:DWORD
	v_or_b32_e32 v4, 0x700, v0
	v_or_b32_sdwa v3, v3, v6 dst_sel:WORD_1 dst_unused:UNUSED_PAD src0_sel:DWORD src1_sel:DWORD
	v_and_or_b32 v3, v2, s5, v3
	v_cmp_gt_i32_e64 s[2:3], s6, v4
	v_cndmask_b32_e64 v4, v2, v3, s[2:3]
	v_cmp_eq_f16_e64 s[2:3], s10, v12
	v_or_b32_e32 v2, 0x800, v0
	v_cndmask_b32_e64 v3, 0, 1, s[2:3]
	v_cmp_neq_f16_e64 s[2:3], s10, v12
	v_cndmask_b32_e64 v6, 0, 1, s[2:3]
	v_cmp_gt_i32_e64 s[2:3], s6, v2
	v_cndmask_b32_e64 v2, 0, 1, s[2:3]
	v_cmp_eq_f16_e64 s[2:3], s10, v11
	v_cndmask_b32_e64 v3, v6, v3, s[0:1]
	v_cndmask_b32_e64 v6, 0, 1, s[2:3]
	v_cmp_neq_f16_e64 s[2:3], s10, v11
	v_cndmask_b32_e64 v7, 0, 1, s[2:3]
	v_cndmask_b32_e64 v6, v7, v6, s[0:1]
	v_and_b32_e32 v2, v2, v3
	v_and_b32_sdwa v6, v6, v20 dst_sel:BYTE_1 dst_unused:UNUSED_PAD src0_sel:DWORD src1_sel:DWORD
	v_or_b32_e32 v3, 0x900, v0
	v_or_b32_e32 v6, v2, v6
	v_and_b32_e32 v6, 0xffff, v6
	v_cmp_gt_i32_e64 s[2:3], s6, v3
	v_cndmask_b32_e64 v2, v2, v6, s[2:3]
	v_cmp_eq_f16_e64 s[2:3], s10, v14
	v_cndmask_b32_e64 v6, 0, 1, s[2:3]
	v_cmp_neq_f16_e64 s[2:3], s10, v14
	v_cndmask_b32_e64 v7, 0, 1, s[2:3]
	v_cndmask_b32_e64 v6, v7, v6, s[0:1]
	v_or_b32_e32 v3, 0xa00, v0
	v_and_b32_sdwa v6, v6, v20 dst_sel:WORD_1 dst_unused:UNUSED_PAD src0_sel:DWORD src1_sel:DWORD
	s_movk_i32 s2, 0x1ff
	v_and_or_b32 v6, v2, s2, v6
	v_cmp_gt_i32_e64 s[2:3], s6, v3
	v_cndmask_b32_e64 v2, v2, v6, s[2:3]
	v_cmp_eq_f16_e64 s[2:3], s10, v13
	v_cndmask_b32_e64 v7, 0, 1, s[2:3]
	v_cmp_neq_f16_e64 s[2:3], s10, v13
	v_cndmask_b32_e64 v8, 0, 1, s[2:3]
	v_cndmask_b32_e64 v7, v8, v7, s[0:1]
	v_and_b32_sdwa v3, v2, s7 dst_sel:DWORD dst_unused:UNUSED_PAD src0_sel:WORD_1 src1_sel:DWORD
	v_and_b32_sdwa v7, v7, v20 dst_sel:BYTE_1 dst_unused:UNUSED_PAD src0_sel:DWORD src1_sel:DWORD
	v_or_b32_e32 v6, 0xb00, v0
	v_or_b32_sdwa v3, v3, v7 dst_sel:WORD_1 dst_unused:UNUSED_PAD src0_sel:DWORD src1_sel:DWORD
	v_and_or_b32 v3, v2, s5, v3
	v_cmp_gt_i32_e64 s[2:3], s6, v6
	v_cndmask_b32_e64 v3, v2, v3, s[2:3]
	v_cmp_eq_f16_e64 s[2:3], s10, v16
	v_cndmask_b32_e64 v6, 0, 1, s[2:3]
	v_cmp_neq_f16_e64 s[2:3], s10, v16
	v_cndmask_b32_e64 v7, 0, 1, s[2:3]
	v_or_b32_e32 v2, 0xc00, v0
	v_cndmask_b32_e64 v6, v7, v6, s[0:1]
	v_and_b32_e32 v6, 1, v6
	v_cmp_gt_i32_e64 s[2:3], s6, v2
	v_cndmask_b32_e64 v2, 0, v6, s[2:3]
	v_cmp_eq_f16_e64 s[2:3], s10, v15
	v_cndmask_b32_e64 v7, 0, 1, s[2:3]
	v_cmp_neq_f16_e64 s[2:3], s10, v15
	v_cndmask_b32_e64 v8, 0, 1, s[2:3]
	v_cndmask_b32_e64 v7, v8, v7, s[0:1]
	v_and_b32_sdwa v7, v7, v20 dst_sel:BYTE_1 dst_unused:UNUSED_PAD src0_sel:DWORD src1_sel:DWORD
	v_or_b32_e32 v6, 0xd00, v0
	v_or_b32_sdwa v7, v2, v7 dst_sel:DWORD dst_unused:UNUSED_PAD src0_sel:BYTE_0 src1_sel:DWORD
	v_and_b32_e32 v7, 0xffff, v7
	v_cmp_gt_i32_e64 s[2:3], s6, v6
	v_cndmask_b32_e64 v2, v2, v7, s[2:3]
	v_cmp_eq_f16_e64 s[2:3], s10, v18
	v_cndmask_b32_e64 v7, 0, 1, s[2:3]
	v_cmp_neq_f16_e64 s[2:3], s10, v18
	v_cndmask_b32_e64 v8, 0, 1, s[2:3]
	v_cndmask_b32_e64 v7, v8, v7, s[0:1]
	v_and_b32_sdwa v6, v2, s8 dst_sel:DWORD dst_unused:UNUSED_PAD src0_sel:WORD_1 src1_sel:DWORD
	v_and_b32_e32 v7, 1, v7
	v_or_b32_sdwa v6, v7, v6 dst_sel:WORD_1 dst_unused:UNUSED_PAD src0_sel:DWORD src1_sel:DWORD
	v_or_b32_e32 v7, 0xe00, v0
	v_and_or_b32 v6, v2, s5, v6
	v_cmp_gt_i32_e64 s[2:3], s6, v7
	v_cndmask_b32_e64 v2, v2, v6, s[2:3]
	v_cmp_eq_f16_e64 s[2:3], s10, v17
	v_cndmask_b32_e64 v8, 0, 1, s[2:3]
	v_cmp_neq_f16_e64 s[2:3], s10, v17
	v_cndmask_b32_e64 v9, 0, 1, s[2:3]
	v_cndmask_b32_e64 v8, v9, v8, s[0:1]
	v_and_b32_sdwa v6, v2, s7 dst_sel:DWORD dst_unused:UNUSED_PAD src0_sel:WORD_1 src1_sel:DWORD
	v_and_b32_sdwa v8, v8, v20 dst_sel:BYTE_1 dst_unused:UNUSED_PAD src0_sel:DWORD src1_sel:DWORD
	v_or_b32_e32 v7, 0xf00, v0
	v_or_b32_sdwa v6, v6, v8 dst_sel:WORD_1 dst_unused:UNUSED_PAD src0_sel:DWORD src1_sel:DWORD
	v_and_or_b32 v6, v2, s5, v6
	v_cmp_gt_i32_e64 s[0:1], s6, v7
	v_cndmask_b32_e64 v2, v2, v6, s[0:1]
	s_and_saveexec_b64 s[0:1], vcc
	s_cbranch_execnz .LBB185_53
; %bb.36:
	s_or_b64 exec, exec, s[0:1]
	v_cmp_gt_i32_e32 vcc, s6, v0
	s_and_saveexec_b64 s[0:1], vcc
	s_cbranch_execnz .LBB185_54
.LBB185_37:
	s_or_b64 exec, exec, s[0:1]
	v_cmp_gt_i32_e32 vcc, s6, v0
	s_and_saveexec_b64 s[0:1], vcc
	s_cbranch_execnz .LBB185_55
.LBB185_38:
	s_or_b64 exec, exec, s[0:1]
	v_cmp_gt_i32_e32 vcc, s6, v0
	s_and_saveexec_b64 s[0:1], vcc
	s_cbranch_execnz .LBB185_56
.LBB185_39:
	s_or_b64 exec, exec, s[0:1]
	v_cmp_gt_i32_e32 vcc, s6, v0
	s_and_saveexec_b64 s[0:1], vcc
	s_cbranch_execnz .LBB185_57
.LBB185_40:
	s_or_b64 exec, exec, s[0:1]
	v_cmp_gt_i32_e32 vcc, s6, v0
	s_and_saveexec_b64 s[0:1], vcc
	s_cbranch_execnz .LBB185_58
.LBB185_41:
	s_or_b64 exec, exec, s[0:1]
	v_cmp_gt_i32_e32 vcc, s6, v0
	s_and_saveexec_b64 s[0:1], vcc
	s_cbranch_execnz .LBB185_59
.LBB185_42:
	s_or_b64 exec, exec, s[0:1]
	v_cmp_gt_i32_e32 vcc, s6, v0
	s_and_saveexec_b64 s[0:1], vcc
	s_cbranch_execnz .LBB185_60
.LBB185_43:
	s_or_b64 exec, exec, s[0:1]
	v_cmp_gt_i32_e32 vcc, s6, v0
	s_and_saveexec_b64 s[0:1], vcc
	s_cbranch_execnz .LBB185_61
.LBB185_44:
	s_or_b64 exec, exec, s[0:1]
	v_cmp_gt_i32_e32 vcc, s6, v0
	s_and_saveexec_b64 s[0:1], vcc
	s_cbranch_execnz .LBB185_62
.LBB185_45:
	s_or_b64 exec, exec, s[0:1]
	v_cmp_gt_i32_e32 vcc, s6, v0
	s_and_saveexec_b64 s[0:1], vcc
	s_cbranch_execnz .LBB185_63
.LBB185_46:
	s_or_b64 exec, exec, s[0:1]
	v_cmp_gt_i32_e32 vcc, s6, v0
	s_and_saveexec_b64 s[0:1], vcc
	s_cbranch_execnz .LBB185_64
.LBB185_47:
	s_or_b64 exec, exec, s[0:1]
	v_cmp_gt_i32_e32 vcc, s6, v0
	s_and_saveexec_b64 s[0:1], vcc
	s_cbranch_execnz .LBB185_65
.LBB185_48:
	s_or_b64 exec, exec, s[0:1]
	v_cmp_gt_i32_e32 vcc, s6, v0
	s_and_saveexec_b64 s[0:1], vcc
	s_cbranch_execnz .LBB185_66
.LBB185_49:
	s_or_b64 exec, exec, s[0:1]
	v_cmp_gt_i32_e32 vcc, s6, v0
	s_and_saveexec_b64 s[0:1], vcc
	s_cbranch_execnz .LBB185_67
.LBB185_50:
	s_or_b64 exec, exec, s[0:1]
	v_cmp_gt_i32_e32 vcc, s6, v0
	s_and_saveexec_b64 s[0:1], vcc
	s_cbranch_execz .LBB185_52
.LBB185_51:
	v_lshrrev_b32_e32 v1, 24, v2
	v_add_u32_e32 v0, s4, v0
	global_store_byte v0, v1, s[12:13]
.LBB185_52:
	s_endpgm
.LBB185_53:
	v_mov_b32_e32 v0, v19
	global_store_byte v1, v5, s[12:13]
	s_or_b64 exec, exec, s[0:1]
	v_cmp_gt_i32_e32 vcc, s6, v0
	s_and_saveexec_b64 s[0:1], vcc
	s_cbranch_execz .LBB185_37
.LBB185_54:
	v_lshrrev_b32_e32 v1, 8, v5
	v_add_u32_e32 v6, s4, v0
	v_add_u32_e32 v0, 0x100, v0
	global_store_byte v6, v1, s[12:13]
	s_or_b64 exec, exec, s[0:1]
	v_cmp_gt_i32_e32 vcc, s6, v0
	s_and_saveexec_b64 s[0:1], vcc
	s_cbranch_execz .LBB185_38
.LBB185_55:
	v_add_u32_e32 v1, s4, v0
	v_add_u32_e32 v0, 0x100, v0
	global_store_byte_d16_hi v1, v5, s[12:13]
	s_or_b64 exec, exec, s[0:1]
	v_cmp_gt_i32_e32 vcc, s6, v0
	s_and_saveexec_b64 s[0:1], vcc
	s_cbranch_execz .LBB185_39
.LBB185_56:
	v_lshrrev_b32_e32 v1, 24, v5
	v_add_u32_e32 v5, s4, v0
	v_add_u32_e32 v0, 0x100, v0
	global_store_byte v5, v1, s[12:13]
	s_or_b64 exec, exec, s[0:1]
	v_cmp_gt_i32_e32 vcc, s6, v0
	s_and_saveexec_b64 s[0:1], vcc
	s_cbranch_execz .LBB185_40
.LBB185_57:
	v_add_u32_e32 v1, s4, v0
	v_add_u32_e32 v0, 0x100, v0
	global_store_byte v1, v4, s[12:13]
	s_or_b64 exec, exec, s[0:1]
	v_cmp_gt_i32_e32 vcc, s6, v0
	s_and_saveexec_b64 s[0:1], vcc
	s_cbranch_execz .LBB185_41
.LBB185_58:
	v_lshrrev_b32_e32 v1, 8, v4
	v_add_u32_e32 v5, s4, v0
	v_add_u32_e32 v0, 0x100, v0
	global_store_byte v5, v1, s[12:13]
	s_or_b64 exec, exec, s[0:1]
	v_cmp_gt_i32_e32 vcc, s6, v0
	s_and_saveexec_b64 s[0:1], vcc
	s_cbranch_execz .LBB185_42
.LBB185_59:
	v_add_u32_e32 v1, s4, v0
	v_add_u32_e32 v0, 0x100, v0
	global_store_byte_d16_hi v1, v4, s[12:13]
	s_or_b64 exec, exec, s[0:1]
	v_cmp_gt_i32_e32 vcc, s6, v0
	s_and_saveexec_b64 s[0:1], vcc
	s_cbranch_execz .LBB185_43
.LBB185_60:
	v_lshrrev_b32_e32 v1, 24, v4
	v_add_u32_e32 v4, s4, v0
	v_add_u32_e32 v0, 0x100, v0
	global_store_byte v4, v1, s[12:13]
	s_or_b64 exec, exec, s[0:1]
	v_cmp_gt_i32_e32 vcc, s6, v0
	s_and_saveexec_b64 s[0:1], vcc
	s_cbranch_execz .LBB185_44
.LBB185_61:
	v_add_u32_e32 v1, s4, v0
	v_add_u32_e32 v0, 0x100, v0
	global_store_byte v1, v3, s[12:13]
	s_or_b64 exec, exec, s[0:1]
	v_cmp_gt_i32_e32 vcc, s6, v0
	s_and_saveexec_b64 s[0:1], vcc
	s_cbranch_execz .LBB185_45
.LBB185_62:
	v_lshrrev_b32_e32 v1, 8, v3
	v_add_u32_e32 v4, s4, v0
	v_add_u32_e32 v0, 0x100, v0
	global_store_byte v4, v1, s[12:13]
	s_or_b64 exec, exec, s[0:1]
	v_cmp_gt_i32_e32 vcc, s6, v0
	s_and_saveexec_b64 s[0:1], vcc
	s_cbranch_execz .LBB185_46
.LBB185_63:
	v_add_u32_e32 v1, s4, v0
	v_add_u32_e32 v0, 0x100, v0
	global_store_byte_d16_hi v1, v3, s[12:13]
	s_or_b64 exec, exec, s[0:1]
	v_cmp_gt_i32_e32 vcc, s6, v0
	s_and_saveexec_b64 s[0:1], vcc
	s_cbranch_execz .LBB185_47
.LBB185_64:
	v_lshrrev_b32_e32 v1, 24, v3
	v_add_u32_e32 v3, s4, v0
	v_add_u32_e32 v0, 0x100, v0
	global_store_byte v3, v1, s[12:13]
	s_or_b64 exec, exec, s[0:1]
	v_cmp_gt_i32_e32 vcc, s6, v0
	s_and_saveexec_b64 s[0:1], vcc
	s_cbranch_execz .LBB185_48
.LBB185_65:
	v_add_u32_e32 v1, s4, v0
	v_add_u32_e32 v0, 0x100, v0
	global_store_byte v1, v2, s[12:13]
	s_or_b64 exec, exec, s[0:1]
	v_cmp_gt_i32_e32 vcc, s6, v0
	s_and_saveexec_b64 s[0:1], vcc
	s_cbranch_execz .LBB185_49
.LBB185_66:
	v_lshrrev_b32_e32 v1, 8, v2
	v_add_u32_e32 v3, s4, v0
	v_add_u32_e32 v0, 0x100, v0
	global_store_byte v3, v1, s[12:13]
	s_or_b64 exec, exec, s[0:1]
	v_cmp_gt_i32_e32 vcc, s6, v0
	s_and_saveexec_b64 s[0:1], vcc
	s_cbranch_execz .LBB185_50
.LBB185_67:
	v_add_u32_e32 v1, s4, v0
	v_add_u32_e32 v0, 0x100, v0
	global_store_byte_d16_hi v1, v2, s[12:13]
	s_or_b64 exec, exec, s[0:1]
	v_cmp_gt_i32_e32 vcc, s6, v0
	s_and_saveexec_b64 s[0:1], vcc
	s_cbranch_execnz .LBB185_51
	s_branch .LBB185_52
	.section	.rodata,"a",@progbits
	.p2align	6, 0x0
	.amdhsa_kernel _ZN2at6native29vectorized_elementwise_kernelILi8ENS0_13AUnaryFunctorIN3c104HalfES4_bNS0_12_GLOBAL__N_116CompareEqFunctorIS4_EEEESt5arrayIPcLm2EEEEviT0_T1_
		.amdhsa_group_segment_fixed_size 0
		.amdhsa_private_segment_fixed_size 0
		.amdhsa_kernarg_size 32
		.amdhsa_user_sgpr_count 6
		.amdhsa_user_sgpr_private_segment_buffer 1
		.amdhsa_user_sgpr_dispatch_ptr 0
		.amdhsa_user_sgpr_queue_ptr 0
		.amdhsa_user_sgpr_kernarg_segment_ptr 1
		.amdhsa_user_sgpr_dispatch_id 0
		.amdhsa_user_sgpr_flat_scratch_init 0
		.amdhsa_user_sgpr_private_segment_size 0
		.amdhsa_uses_dynamic_stack 0
		.amdhsa_system_sgpr_private_segment_wavefront_offset 0
		.amdhsa_system_sgpr_workgroup_id_x 1
		.amdhsa_system_sgpr_workgroup_id_y 0
		.amdhsa_system_sgpr_workgroup_id_z 0
		.amdhsa_system_sgpr_workgroup_info 0
		.amdhsa_system_vgpr_workitem_id 0
		.amdhsa_next_free_vgpr 21
		.amdhsa_next_free_sgpr 20
		.amdhsa_reserve_vcc 1
		.amdhsa_reserve_flat_scratch 0
		.amdhsa_float_round_mode_32 0
		.amdhsa_float_round_mode_16_64 0
		.amdhsa_float_denorm_mode_32 3
		.amdhsa_float_denorm_mode_16_64 3
		.amdhsa_dx10_clamp 1
		.amdhsa_ieee_mode 1
		.amdhsa_fp16_overflow 0
		.amdhsa_exception_fp_ieee_invalid_op 0
		.amdhsa_exception_fp_denorm_src 0
		.amdhsa_exception_fp_ieee_div_zero 0
		.amdhsa_exception_fp_ieee_overflow 0
		.amdhsa_exception_fp_ieee_underflow 0
		.amdhsa_exception_fp_ieee_inexact 0
		.amdhsa_exception_int_div_zero 0
	.end_amdhsa_kernel
	.section	.text._ZN2at6native29vectorized_elementwise_kernelILi8ENS0_13AUnaryFunctorIN3c104HalfES4_bNS0_12_GLOBAL__N_116CompareEqFunctorIS4_EEEESt5arrayIPcLm2EEEEviT0_T1_,"axG",@progbits,_ZN2at6native29vectorized_elementwise_kernelILi8ENS0_13AUnaryFunctorIN3c104HalfES4_bNS0_12_GLOBAL__N_116CompareEqFunctorIS4_EEEESt5arrayIPcLm2EEEEviT0_T1_,comdat
.Lfunc_end185:
	.size	_ZN2at6native29vectorized_elementwise_kernelILi8ENS0_13AUnaryFunctorIN3c104HalfES4_bNS0_12_GLOBAL__N_116CompareEqFunctorIS4_EEEESt5arrayIPcLm2EEEEviT0_T1_, .Lfunc_end185-_ZN2at6native29vectorized_elementwise_kernelILi8ENS0_13AUnaryFunctorIN3c104HalfES4_bNS0_12_GLOBAL__N_116CompareEqFunctorIS4_EEEESt5arrayIPcLm2EEEEviT0_T1_
                                        ; -- End function
	.set _ZN2at6native29vectorized_elementwise_kernelILi8ENS0_13AUnaryFunctorIN3c104HalfES4_bNS0_12_GLOBAL__N_116CompareEqFunctorIS4_EEEESt5arrayIPcLm2EEEEviT0_T1_.num_vgpr, 21
	.set _ZN2at6native29vectorized_elementwise_kernelILi8ENS0_13AUnaryFunctorIN3c104HalfES4_bNS0_12_GLOBAL__N_116CompareEqFunctorIS4_EEEESt5arrayIPcLm2EEEEviT0_T1_.num_agpr, 0
	.set _ZN2at6native29vectorized_elementwise_kernelILi8ENS0_13AUnaryFunctorIN3c104HalfES4_bNS0_12_GLOBAL__N_116CompareEqFunctorIS4_EEEESt5arrayIPcLm2EEEEviT0_T1_.numbered_sgpr, 20
	.set _ZN2at6native29vectorized_elementwise_kernelILi8ENS0_13AUnaryFunctorIN3c104HalfES4_bNS0_12_GLOBAL__N_116CompareEqFunctorIS4_EEEESt5arrayIPcLm2EEEEviT0_T1_.num_named_barrier, 0
	.set _ZN2at6native29vectorized_elementwise_kernelILi8ENS0_13AUnaryFunctorIN3c104HalfES4_bNS0_12_GLOBAL__N_116CompareEqFunctorIS4_EEEESt5arrayIPcLm2EEEEviT0_T1_.private_seg_size, 0
	.set _ZN2at6native29vectorized_elementwise_kernelILi8ENS0_13AUnaryFunctorIN3c104HalfES4_bNS0_12_GLOBAL__N_116CompareEqFunctorIS4_EEEESt5arrayIPcLm2EEEEviT0_T1_.uses_vcc, 1
	.set _ZN2at6native29vectorized_elementwise_kernelILi8ENS0_13AUnaryFunctorIN3c104HalfES4_bNS0_12_GLOBAL__N_116CompareEqFunctorIS4_EEEESt5arrayIPcLm2EEEEviT0_T1_.uses_flat_scratch, 0
	.set _ZN2at6native29vectorized_elementwise_kernelILi8ENS0_13AUnaryFunctorIN3c104HalfES4_bNS0_12_GLOBAL__N_116CompareEqFunctorIS4_EEEESt5arrayIPcLm2EEEEviT0_T1_.has_dyn_sized_stack, 0
	.set _ZN2at6native29vectorized_elementwise_kernelILi8ENS0_13AUnaryFunctorIN3c104HalfES4_bNS0_12_GLOBAL__N_116CompareEqFunctorIS4_EEEESt5arrayIPcLm2EEEEviT0_T1_.has_recursion, 0
	.set _ZN2at6native29vectorized_elementwise_kernelILi8ENS0_13AUnaryFunctorIN3c104HalfES4_bNS0_12_GLOBAL__N_116CompareEqFunctorIS4_EEEESt5arrayIPcLm2EEEEviT0_T1_.has_indirect_call, 0
	.section	.AMDGPU.csdata,"",@progbits
; Kernel info:
; codeLenInByte = 4284
; TotalNumSgprs: 24
; NumVgprs: 21
; ScratchSize: 0
; MemoryBound: 0
; FloatMode: 240
; IeeeMode: 1
; LDSByteSize: 0 bytes/workgroup (compile time only)
; SGPRBlocks: 2
; VGPRBlocks: 5
; NumSGPRsForWavesPerEU: 24
; NumVGPRsForWavesPerEU: 21
; Occupancy: 10
; WaveLimiterHint : 1
; COMPUTE_PGM_RSRC2:SCRATCH_EN: 0
; COMPUTE_PGM_RSRC2:USER_SGPR: 6
; COMPUTE_PGM_RSRC2:TRAP_HANDLER: 0
; COMPUTE_PGM_RSRC2:TGID_X_EN: 1
; COMPUTE_PGM_RSRC2:TGID_Y_EN: 0
; COMPUTE_PGM_RSRC2:TGID_Z_EN: 0
; COMPUTE_PGM_RSRC2:TIDIG_COMP_CNT: 0
	.section	.text._ZN2at6native29vectorized_elementwise_kernelILi4ENS0_13AUnaryFunctorIN3c104HalfES4_bNS0_12_GLOBAL__N_116CompareEqFunctorIS4_EEEESt5arrayIPcLm2EEEEviT0_T1_,"axG",@progbits,_ZN2at6native29vectorized_elementwise_kernelILi4ENS0_13AUnaryFunctorIN3c104HalfES4_bNS0_12_GLOBAL__N_116CompareEqFunctorIS4_EEEESt5arrayIPcLm2EEEEviT0_T1_,comdat
	.globl	_ZN2at6native29vectorized_elementwise_kernelILi4ENS0_13AUnaryFunctorIN3c104HalfES4_bNS0_12_GLOBAL__N_116CompareEqFunctorIS4_EEEESt5arrayIPcLm2EEEEviT0_T1_ ; -- Begin function _ZN2at6native29vectorized_elementwise_kernelILi4ENS0_13AUnaryFunctorIN3c104HalfES4_bNS0_12_GLOBAL__N_116CompareEqFunctorIS4_EEEESt5arrayIPcLm2EEEEviT0_T1_
	.p2align	8
	.type	_ZN2at6native29vectorized_elementwise_kernelILi4ENS0_13AUnaryFunctorIN3c104HalfES4_bNS0_12_GLOBAL__N_116CompareEqFunctorIS4_EEEESt5arrayIPcLm2EEEEviT0_T1_,@function
_ZN2at6native29vectorized_elementwise_kernelILi4ENS0_13AUnaryFunctorIN3c104HalfES4_bNS0_12_GLOBAL__N_116CompareEqFunctorIS4_EEEESt5arrayIPcLm2EEEEviT0_T1_: ; @_ZN2at6native29vectorized_elementwise_kernelILi4ENS0_13AUnaryFunctorIN3c104HalfES4_bNS0_12_GLOBAL__N_116CompareEqFunctorIS4_EEEESt5arrayIPcLm2EEEEviT0_T1_
; %bb.0:
	s_load_dwordx8 s[8:15], s[4:5], 0x0
	s_lshl_b32 s4, s6, 12
	s_mov_b64 s[0:1], -1
	s_waitcnt lgkmcnt(0)
	s_sub_i32 s6, s8, s4
	s_cmpk_gt_i32 s6, 0xfff
	s_cbranch_scc0 .LBB186_2
; %bb.1:
	s_ashr_i32 s5, s4, 31
	s_lshl_b64 s[0:1], s[4:5], 1
	s_add_u32 s0, s14, s0
	s_addc_u32 s1, s15, s1
	v_lshlrev_b32_e32 v5, 3, v0
	global_load_dwordx2 v[1:2], v5, s[0:1]
	global_load_dwordx2 v[3:4], v5, s[0:1] offset:2048
	v_mov_b32_e32 v6, s1
	v_add_co_u32_e32 v5, vcc, s0, v5
	s_movk_i32 s2, 0x1000
	v_addc_co_u32_e32 v6, vcc, 0, v6, vcc
	v_add_co_u32_e32 v5, vcc, s2, v5
	v_addc_co_u32_e32 v6, vcc, 0, v6, vcc
	global_load_dwordx2 v[7:8], v[5:6], off
	global_load_dwordx2 v[9:10], v[5:6], off offset:2048
	s_cmp_eq_u32 s9, 0
	v_mov_b32_e32 v5, 1
	s_waitcnt vmcnt(3)
	v_cmp_eq_f16_e32 vcc, s10, v1
	v_cndmask_b32_e64 v6, 0, 1, vcc
	v_cmp_neq_f16_e32 vcc, s10, v1
	v_cmp_eq_f16_sdwa s[0:1], v1, s10 src0_sel:WORD_1 src1_sel:DWORD
	v_cndmask_b32_e64 v11, 0, 1, vcc
	v_cndmask_b32_e64 v12, 0, 1, s[0:1]
	v_cmp_neq_f16_sdwa s[0:1], v1, s10 src0_sel:WORD_1 src1_sel:DWORD
	v_cmp_eq_f16_e32 vcc, s10, v2
	v_cndmask_b32_e64 v1, 0, 1, s[0:1]
	v_cndmask_b32_e64 v13, 0, 1, vcc
	v_cmp_neq_f16_e32 vcc, s10, v2
	v_cmp_eq_f16_sdwa s[0:1], v2, s10 src0_sel:WORD_1 src1_sel:DWORD
	v_cndmask_b32_e64 v14, 0, 1, vcc
	v_cndmask_b32_e64 v15, 0, 1, s[0:1]
	v_cmp_neq_f16_sdwa s[0:1], v2, s10 src0_sel:WORD_1 src1_sel:DWORD
	s_waitcnt vmcnt(2)
	v_cmp_eq_f16_e32 vcc, s10, v3
	v_cndmask_b32_e64 v2, 0, 1, s[0:1]
	v_cndmask_b32_e64 v16, 0, 1, vcc
	v_cmp_neq_f16_e32 vcc, s10, v3
	v_cmp_eq_f16_sdwa s[0:1], v3, s10 src0_sel:WORD_1 src1_sel:DWORD
	v_cndmask_b32_e64 v17, 0, 1, vcc
	v_cndmask_b32_e64 v18, 0, 1, s[0:1]
	v_cmp_neq_f16_sdwa s[0:1], v3, s10 src0_sel:WORD_1 src1_sel:DWORD
	v_cmp_neq_f16_e32 vcc, s10, v4
	v_cndmask_b32_e64 v3, 0, 1, s[0:1]
	v_cmp_eq_f16_sdwa s[2:3], v4, s10 src0_sel:WORD_1 src1_sel:DWORD
	v_cmp_neq_f16_sdwa s[16:17], v4, s10 src0_sel:WORD_1 src1_sel:DWORD
	v_cmp_eq_f16_e64 s[0:1], s10, v4
	v_cndmask_b32_e64 v19, 0, 1, vcc
	s_cselect_b64 vcc, -1, 0
	v_cndmask_b32_e64 v4, 0, 1, s[0:1]
	v_cndmask_b32_e32 v6, v11, v6, vcc
	v_cndmask_b32_e64 v11, 0, 1, s[2:3]
	v_cndmask_b32_e32 v1, v1, v12, vcc
	;; [unrolled: 2-line block ×3, first 2 shown]
	v_cndmask_b32_e32 v14, v17, v16, vcc
	s_waitcnt vmcnt(1)
	v_cmp_eq_f16_e64 s[0:1], s10, v7
	v_cndmask_b32_e32 v11, v12, v11, vcc
	v_and_b32_e32 v12, 1, v13
	v_and_b32_e32 v13, 1, v14
	v_cndmask_b32_e64 v14, 0, 1, s[0:1]
	v_cmp_neq_f16_e64 s[0:1], s10, v7
	v_cndmask_b32_e32 v2, v2, v15, vcc
	v_cndmask_b32_e64 v15, 0, 1, s[0:1]
	v_cmp_eq_f16_sdwa s[0:1], v7, s10 src0_sel:WORD_1 src1_sel:DWORD
	v_cndmask_b32_e64 v16, 0, 1, s[0:1]
	v_cmp_neq_f16_sdwa s[0:1], v7, s10 src0_sel:WORD_1 src1_sel:DWORD
	v_cndmask_b32_e64 v7, 0, 1, s[0:1]
	v_cmp_eq_f16_e64 s[0:1], s10, v8
	v_cndmask_b32_e64 v17, 0, 1, s[0:1]
	v_cmp_neq_f16_e64 s[0:1], s10, v8
	v_cndmask_b32_e32 v3, v3, v18, vcc
	v_cndmask_b32_e64 v18, 0, 1, s[0:1]
	v_cmp_eq_f16_sdwa s[0:1], v8, s10 src0_sel:WORD_1 src1_sel:DWORD
	v_cndmask_b32_e32 v14, v15, v14, vcc
	v_cndmask_b32_e64 v15, 0, 1, s[0:1]
	v_cmp_neq_f16_sdwa s[0:1], v8, s10 src0_sel:WORD_1 src1_sel:DWORD
	v_cndmask_b32_e64 v8, 0, 1, s[0:1]
	s_waitcnt vmcnt(0)
	v_cmp_eq_f16_e64 s[0:1], s10, v9
	v_cndmask_b32_e32 v8, v8, v15, vcc
	v_cndmask_b32_e64 v15, 0, 1, s[0:1]
	v_cmp_neq_f16_e64 s[0:1], s10, v9
	v_cndmask_b32_e32 v7, v7, v16, vcc
	v_cndmask_b32_e32 v16, v18, v17, vcc
	v_cndmask_b32_e64 v17, 0, 1, s[0:1]
	v_cmp_eq_f16_sdwa s[0:1], v9, s10 src0_sel:WORD_1 src1_sel:DWORD
	v_cndmask_b32_e32 v15, v17, v15, vcc
	v_cndmask_b32_e64 v17, 0, 1, s[0:1]
	v_cmp_neq_f16_sdwa s[0:1], v9, s10 src0_sel:WORD_1 src1_sel:DWORD
	v_cndmask_b32_e64 v9, 0, 1, s[0:1]
	v_cmp_eq_f16_e64 s[0:1], s10, v10
	v_cndmask_b32_e32 v9, v9, v17, vcc
	v_cndmask_b32_e64 v17, 0, 1, s[0:1]
	v_cmp_neq_f16_e64 s[0:1], s10, v10
	v_cndmask_b32_e64 v18, 0, 1, s[0:1]
	v_cmp_eq_f16_sdwa s[0:1], v10, s10 src0_sel:WORD_1 src1_sel:DWORD
	v_cndmask_b32_e32 v17, v18, v17, vcc
	v_cndmask_b32_e64 v18, 0, 1, s[0:1]
	v_cmp_neq_f16_sdwa s[0:1], v10, s10 src0_sel:WORD_1 src1_sel:DWORD
	v_cndmask_b32_e64 v10, 0, 1, s[0:1]
	v_cndmask_b32_e32 v4, v19, v4, vcc
	v_and_b32_e32 v6, 1, v6
	v_and_b32_sdwa v1, v1, v5 dst_sel:BYTE_1 dst_unused:UNUSED_PAD src0_sel:DWORD src1_sel:DWORD
	v_and_b32_sdwa v2, v2, v5 dst_sel:BYTE_1 dst_unused:UNUSED_PAD src0_sel:DWORD src1_sel:DWORD
	v_cndmask_b32_e32 v10, v10, v18, vcc
	v_and_b32_sdwa v3, v3, v5 dst_sel:BYTE_1 dst_unused:UNUSED_PAD src0_sel:DWORD src1_sel:DWORD
	v_and_b32_e32 v4, 1, v4
	v_and_b32_sdwa v11, v11, v5 dst_sel:BYTE_1 dst_unused:UNUSED_PAD src0_sel:DWORD src1_sel:DWORD
	v_and_b32_e32 v14, 1, v14
	;; [unrolled: 2-line block ×5, first 2 shown]
	v_and_b32_sdwa v5, v10, v5 dst_sel:BYTE_1 dst_unused:UNUSED_PAD src0_sel:DWORD src1_sel:DWORD
	v_or_b32_e32 v1, v6, v1
	v_or_b32_sdwa v2, v12, v2 dst_sel:WORD_1 dst_unused:UNUSED_PAD src0_sel:DWORD src1_sel:DWORD
	s_add_u32 s0, s12, s4
	v_or_b32_e32 v9, v15, v9
	v_or_b32_sdwa v5, v17, v5 dst_sel:WORD_1 dst_unused:UNUSED_PAD src0_sel:DWORD src1_sel:DWORD
	v_or_b32_e32 v7, v14, v7
	v_or_b32_sdwa v8, v16, v8 dst_sel:WORD_1 dst_unused:UNUSED_PAD src0_sel:DWORD src1_sel:DWORD
	;; [unrolled: 2-line block ×3, first 2 shown]
	v_or_b32_sdwa v1, v1, v2 dst_sel:DWORD dst_unused:UNUSED_PAD src0_sel:WORD_0 src1_sel:DWORD
	s_addc_u32 s1, s13, s5
	v_lshlrev_b32_e32 v2, 2, v0
	v_or_b32_sdwa v5, v9, v5 dst_sel:DWORD dst_unused:UNUSED_PAD src0_sel:WORD_0 src1_sel:DWORD
	v_or_b32_sdwa v7, v7, v8 dst_sel:DWORD dst_unused:UNUSED_PAD src0_sel:WORD_0 src1_sel:DWORD
	;; [unrolled: 1-line block ×3, first 2 shown]
	global_store_dword v2, v1, s[0:1]
	global_store_dword v2, v3, s[0:1] offset:1024
	global_store_dword v2, v7, s[0:1] offset:2048
	;; [unrolled: 1-line block ×3, first 2 shown]
	s_mov_b64 s[0:1], 0
.LBB186_2:
	s_andn2_b64 vcc, exec, s[0:1]
	s_cbranch_vccnz .LBB186_52
; %bb.3:
	v_cmp_gt_i32_e32 vcc, s6, v0
	v_mov_b32_e32 v3, 0
	v_or_b32_e32 v1, s4, v0
	v_mov_b32_e32 v2, 0
	v_mov_b32_e32 v5, v0
	s_and_saveexec_b64 s[2:3], vcc
	s_cbranch_execz .LBB186_5
; %bb.4:
	v_mov_b32_e32 v2, 0
	v_lshlrev_b64 v[4:5], 1, v[1:2]
	v_mov_b32_e32 v2, s15
	v_add_co_u32_e64 v4, s[0:1], s14, v4
	v_addc_co_u32_e64 v5, s[0:1], v2, v5, s[0:1]
	global_load_ushort v2, v[4:5], off
	v_or_b32_e32 v5, 0x100, v0
.LBB186_5:
	s_or_b64 exec, exec, s[2:3]
	v_cmp_gt_i32_e64 s[0:1], s6, v5
	s_and_saveexec_b64 s[2:3], s[0:1]
	s_cbranch_execz .LBB186_7
; %bb.6:
	v_add_u32_e32 v3, s4, v5
	v_mov_b32_e32 v4, 0
	v_lshlrev_b64 v[3:4], 1, v[3:4]
	v_mov_b32_e32 v6, s15
	v_add_co_u32_e64 v3, s[0:1], s14, v3
	v_addc_co_u32_e64 v4, s[0:1], v6, v4, s[0:1]
	global_load_ushort v3, v[3:4], off
	v_add_u32_e32 v5, 0x100, v5
.LBB186_7:
	s_or_b64 exec, exec, s[2:3]
	v_cmp_gt_i32_e64 s[0:1], s6, v5
	v_mov_b32_e32 v4, 0
	v_mov_b32_e32 v6, 0
	s_and_saveexec_b64 s[2:3], s[0:1]
	s_cbranch_execz .LBB186_9
; %bb.8:
	v_add_u32_e32 v6, s4, v5
	v_mov_b32_e32 v7, 0
	v_lshlrev_b64 v[6:7], 1, v[6:7]
	v_mov_b32_e32 v8, s15
	v_add_co_u32_e64 v6, s[0:1], s14, v6
	v_addc_co_u32_e64 v7, s[0:1], v8, v7, s[0:1]
	global_load_ushort v6, v[6:7], off
	v_add_u32_e32 v5, 0x100, v5
.LBB186_9:
	s_or_b64 exec, exec, s[2:3]
	v_cmp_gt_i32_e64 s[0:1], s6, v5
	s_and_saveexec_b64 s[2:3], s[0:1]
	s_cbranch_execz .LBB186_11
; %bb.10:
	v_add_u32_e32 v7, s4, v5
	v_mov_b32_e32 v8, 0
	v_lshlrev_b64 v[7:8], 1, v[7:8]
	v_mov_b32_e32 v4, s15
	v_add_co_u32_e64 v7, s[0:1], s14, v7
	v_addc_co_u32_e64 v8, s[0:1], v4, v8, s[0:1]
	global_load_ushort v4, v[7:8], off
	v_add_u32_e32 v5, 0x100, v5
.LBB186_11:
	s_or_b64 exec, exec, s[2:3]
	v_cmp_gt_i32_e64 s[0:1], s6, v5
	v_mov_b32_e32 v7, 0
	v_mov_b32_e32 v8, 0
	s_and_saveexec_b64 s[2:3], s[0:1]
	s_cbranch_execz .LBB186_13
; %bb.12:
	v_add_u32_e32 v8, s4, v5
	v_mov_b32_e32 v9, 0
	v_lshlrev_b64 v[8:9], 1, v[8:9]
	v_mov_b32_e32 v10, s15
	v_add_co_u32_e64 v8, s[0:1], s14, v8
	v_addc_co_u32_e64 v9, s[0:1], v10, v9, s[0:1]
	global_load_ushort v8, v[8:9], off
	v_add_u32_e32 v5, 0x100, v5
.LBB186_13:
	;; [unrolled: 30-line block ×7, first 2 shown]
	s_or_b64 exec, exec, s[2:3]
	v_cmp_gt_i32_e64 s[0:1], s6, v5
	s_and_saveexec_b64 s[2:3], s[0:1]
	s_cbranch_execz .LBB186_35
; %bb.34:
	v_add_u32_e32 v19, s4, v5
	v_mov_b32_e32 v20, 0
	v_lshlrev_b64 v[19:20], 1, v[19:20]
	v_mov_b32_e32 v5, s15
	v_add_co_u32_e64 v19, s[0:1], s14, v19
	v_addc_co_u32_e64 v20, s[0:1], v5, v20, s[0:1]
	global_load_ushort v17, v[19:20], off
.LBB186_35:
	s_or_b64 exec, exec, s[2:3]
	s_waitcnt vmcnt(0)
	v_cmp_eq_f16_e64 s[0:1], s10, v2
	s_cmp_eq_u32 s9, 0
	v_cndmask_b32_e64 v5, 0, 1, s[0:1]
	v_cmp_neq_f16_e64 s[0:1], s10, v2
	v_cndmask_b32_e64 v2, 0, 1, s[0:1]
	s_cselect_b64 s[0:1], -1, 0
	v_cndmask_b32_e64 v2, v2, v5, s[0:1]
	v_cndmask_b32_e64 v5, 0, 1, vcc
	v_cmp_eq_f16_e64 s[2:3], s10, v3
	v_and_b32_e32 v2, v5, v2
	v_cndmask_b32_e64 v5, 0, 1, s[2:3]
	v_cmp_neq_f16_e64 s[2:3], s10, v3
	v_cndmask_b32_e64 v3, 0, 1, s[2:3]
	v_cndmask_b32_e64 v3, v3, v5, s[0:1]
	v_mov_b32_e32 v20, 1
	v_and_b32_sdwa v3, v3, v20 dst_sel:BYTE_1 dst_unused:UNUSED_PAD src0_sel:DWORD src1_sel:DWORD
	v_or_b32_e32 v19, 0x100, v0
	v_or_b32_e32 v3, v2, v3
	v_and_b32_e32 v3, 0xffff, v3
	v_cmp_gt_i32_e64 s[2:3], s6, v19
	v_cndmask_b32_e64 v2, v2, v3, s[2:3]
	v_cmp_eq_f16_e64 s[2:3], s10, v6
	v_cndmask_b32_e64 v5, 0, 1, s[2:3]
	v_cmp_neq_f16_e64 s[2:3], s10, v6
	v_cndmask_b32_e64 v6, 0, 1, s[2:3]
	v_cndmask_b32_e64 v5, v6, v5, s[0:1]
	v_or_b32_e32 v3, 0x200, v0
	v_and_b32_e32 v5, 1, v5
	v_lshl_or_b32 v5, v5, 16, v2
	v_cmp_gt_i32_e64 s[2:3], s6, v3
	v_cndmask_b32_e64 v2, v2, v5, s[2:3]
	v_cmp_eq_f16_e64 s[2:3], s10, v4
	v_cndmask_b32_e64 v6, 0, 1, s[2:3]
	v_cmp_neq_f16_e64 s[2:3], s10, v4
	v_cndmask_b32_e64 v4, 0, 1, s[2:3]
	s_movk_i32 s7, 0xff
	v_cndmask_b32_e64 v4, v4, v6, s[0:1]
	v_and_b32_sdwa v3, v2, s7 dst_sel:DWORD dst_unused:UNUSED_PAD src0_sel:WORD_1 src1_sel:DWORD
	v_and_b32_sdwa v4, v4, v20 dst_sel:BYTE_1 dst_unused:UNUSED_PAD src0_sel:DWORD src1_sel:DWORD
	s_mov_b32 s5, 0xffff
	v_or_b32_e32 v5, 0x300, v0
	v_or_b32_sdwa v3, v3, v4 dst_sel:WORD_1 dst_unused:UNUSED_PAD src0_sel:DWORD src1_sel:DWORD
	v_and_or_b32 v3, v2, s5, v3
	v_cmp_gt_i32_e64 s[2:3], s6, v5
	v_cndmask_b32_e64 v5, v2, v3, s[2:3]
	v_cmp_eq_f16_e64 s[2:3], s10, v8
	v_cndmask_b32_e64 v2, 0, 1, s[2:3]
	v_cmp_neq_f16_e64 s[2:3], s10, v8
	v_cndmask_b32_e64 v3, 0, 1, s[2:3]
	v_cndmask_b32_e64 v2, v3, v2, s[0:1]
	v_and_b32_e32 v2, 1, v2
	v_or_b32_e32 v3, 0x400, v0
	v_and_b32_e32 v2, 0xffff, v2
	v_cmp_gt_i32_e64 s[2:3], s6, v3
	v_cndmask_b32_e64 v2, 0, v2, s[2:3]
	v_cmp_eq_f16_e64 s[2:3], s10, v7
	v_cndmask_b32_e64 v4, 0, 1, s[2:3]
	v_cmp_neq_f16_e64 s[2:3], s10, v7
	v_cndmask_b32_e64 v6, 0, 1, s[2:3]
	v_cndmask_b32_e64 v4, v6, v4, s[0:1]
	v_and_b32_sdwa v4, v4, v20 dst_sel:BYTE_1 dst_unused:UNUSED_PAD src0_sel:DWORD src1_sel:DWORD
	v_or_b32_e32 v3, 0x500, v0
	v_or_b32_sdwa v4, v2, v4 dst_sel:DWORD dst_unused:UNUSED_PAD src0_sel:BYTE_0 src1_sel:DWORD
	v_and_b32_e32 v4, 0xffff, v4
	v_cmp_gt_i32_e64 s[2:3], s6, v3
	v_cndmask_b32_e64 v2, v2, v4, s[2:3]
	v_cmp_eq_f16_e64 s[2:3], s10, v10
	v_cndmask_b32_e64 v4, 0, 1, s[2:3]
	v_cmp_neq_f16_e64 s[2:3], s10, v10
	v_cndmask_b32_e64 v6, 0, 1, s[2:3]
	s_movk_i32 s8, 0xff00
	v_cndmask_b32_e64 v4, v6, v4, s[0:1]
	v_and_b32_sdwa v3, v2, s8 dst_sel:DWORD dst_unused:UNUSED_PAD src0_sel:WORD_1 src1_sel:DWORD
	v_and_b32_e32 v4, 1, v4
	v_or_b32_sdwa v3, v4, v3 dst_sel:WORD_1 dst_unused:UNUSED_PAD src0_sel:DWORD src1_sel:DWORD
	v_or_b32_e32 v4, 0x600, v0
	v_and_or_b32 v3, v2, s5, v3
	v_cmp_gt_i32_e64 s[2:3], s6, v4
	v_cndmask_b32_e64 v2, v2, v3, s[2:3]
	v_cmp_eq_f16_e64 s[2:3], s10, v9
	v_cndmask_b32_e64 v6, 0, 1, s[2:3]
	v_cmp_neq_f16_e64 s[2:3], s10, v9
	v_cndmask_b32_e64 v7, 0, 1, s[2:3]
	v_cndmask_b32_e64 v6, v7, v6, s[0:1]
	v_and_b32_sdwa v3, v2, s7 dst_sel:DWORD dst_unused:UNUSED_PAD src0_sel:WORD_1 src1_sel:DWORD
	v_and_b32_sdwa v6, v6, v20 dst_sel:BYTE_1 dst_unused:UNUSED_PAD src0_sel:DWORD src1_sel:DWORD
	v_or_b32_e32 v4, 0x700, v0
	v_or_b32_sdwa v3, v3, v6 dst_sel:WORD_1 dst_unused:UNUSED_PAD src0_sel:DWORD src1_sel:DWORD
	v_and_or_b32 v3, v2, s5, v3
	v_cmp_gt_i32_e64 s[2:3], s6, v4
	v_cndmask_b32_e64 v4, v2, v3, s[2:3]
	v_cmp_eq_f16_e64 s[2:3], s10, v12
	v_or_b32_e32 v2, 0x800, v0
	v_cndmask_b32_e64 v3, 0, 1, s[2:3]
	v_cmp_neq_f16_e64 s[2:3], s10, v12
	v_cndmask_b32_e64 v6, 0, 1, s[2:3]
	v_cmp_gt_i32_e64 s[2:3], s6, v2
	v_cndmask_b32_e64 v2, 0, 1, s[2:3]
	v_cmp_eq_f16_e64 s[2:3], s10, v11
	v_cndmask_b32_e64 v3, v6, v3, s[0:1]
	v_cndmask_b32_e64 v6, 0, 1, s[2:3]
	v_cmp_neq_f16_e64 s[2:3], s10, v11
	v_cndmask_b32_e64 v7, 0, 1, s[2:3]
	v_cndmask_b32_e64 v6, v7, v6, s[0:1]
	v_and_b32_e32 v2, v2, v3
	v_and_b32_sdwa v6, v6, v20 dst_sel:BYTE_1 dst_unused:UNUSED_PAD src0_sel:DWORD src1_sel:DWORD
	v_or_b32_e32 v3, 0x900, v0
	v_or_b32_e32 v6, v2, v6
	v_and_b32_e32 v6, 0xffff, v6
	v_cmp_gt_i32_e64 s[2:3], s6, v3
	v_cndmask_b32_e64 v2, v2, v6, s[2:3]
	v_cmp_eq_f16_e64 s[2:3], s10, v14
	v_cndmask_b32_e64 v6, 0, 1, s[2:3]
	v_cmp_neq_f16_e64 s[2:3], s10, v14
	v_cndmask_b32_e64 v7, 0, 1, s[2:3]
	v_cndmask_b32_e64 v6, v7, v6, s[0:1]
	v_or_b32_e32 v3, 0xa00, v0
	v_and_b32_sdwa v6, v6, v20 dst_sel:WORD_1 dst_unused:UNUSED_PAD src0_sel:DWORD src1_sel:DWORD
	s_movk_i32 s2, 0x1ff
	v_and_or_b32 v6, v2, s2, v6
	v_cmp_gt_i32_e64 s[2:3], s6, v3
	v_cndmask_b32_e64 v2, v2, v6, s[2:3]
	v_cmp_eq_f16_e64 s[2:3], s10, v13
	v_cndmask_b32_e64 v7, 0, 1, s[2:3]
	v_cmp_neq_f16_e64 s[2:3], s10, v13
	v_cndmask_b32_e64 v8, 0, 1, s[2:3]
	v_cndmask_b32_e64 v7, v8, v7, s[0:1]
	v_and_b32_sdwa v3, v2, s7 dst_sel:DWORD dst_unused:UNUSED_PAD src0_sel:WORD_1 src1_sel:DWORD
	v_and_b32_sdwa v7, v7, v20 dst_sel:BYTE_1 dst_unused:UNUSED_PAD src0_sel:DWORD src1_sel:DWORD
	v_or_b32_e32 v6, 0xb00, v0
	v_or_b32_sdwa v3, v3, v7 dst_sel:WORD_1 dst_unused:UNUSED_PAD src0_sel:DWORD src1_sel:DWORD
	v_and_or_b32 v3, v2, s5, v3
	v_cmp_gt_i32_e64 s[2:3], s6, v6
	v_cndmask_b32_e64 v3, v2, v3, s[2:3]
	v_cmp_eq_f16_e64 s[2:3], s10, v16
	v_cndmask_b32_e64 v6, 0, 1, s[2:3]
	v_cmp_neq_f16_e64 s[2:3], s10, v16
	v_cndmask_b32_e64 v7, 0, 1, s[2:3]
	v_or_b32_e32 v2, 0xc00, v0
	v_cndmask_b32_e64 v6, v7, v6, s[0:1]
	v_and_b32_e32 v6, 1, v6
	v_cmp_gt_i32_e64 s[2:3], s6, v2
	v_cndmask_b32_e64 v2, 0, v6, s[2:3]
	v_cmp_eq_f16_e64 s[2:3], s10, v15
	v_cndmask_b32_e64 v7, 0, 1, s[2:3]
	v_cmp_neq_f16_e64 s[2:3], s10, v15
	v_cndmask_b32_e64 v8, 0, 1, s[2:3]
	v_cndmask_b32_e64 v7, v8, v7, s[0:1]
	v_and_b32_sdwa v7, v7, v20 dst_sel:BYTE_1 dst_unused:UNUSED_PAD src0_sel:DWORD src1_sel:DWORD
	v_or_b32_e32 v6, 0xd00, v0
	v_or_b32_sdwa v7, v2, v7 dst_sel:DWORD dst_unused:UNUSED_PAD src0_sel:BYTE_0 src1_sel:DWORD
	v_and_b32_e32 v7, 0xffff, v7
	v_cmp_gt_i32_e64 s[2:3], s6, v6
	v_cndmask_b32_e64 v2, v2, v7, s[2:3]
	v_cmp_eq_f16_e64 s[2:3], s10, v18
	v_cndmask_b32_e64 v7, 0, 1, s[2:3]
	v_cmp_neq_f16_e64 s[2:3], s10, v18
	v_cndmask_b32_e64 v8, 0, 1, s[2:3]
	v_cndmask_b32_e64 v7, v8, v7, s[0:1]
	v_and_b32_sdwa v6, v2, s8 dst_sel:DWORD dst_unused:UNUSED_PAD src0_sel:WORD_1 src1_sel:DWORD
	v_and_b32_e32 v7, 1, v7
	v_or_b32_sdwa v6, v7, v6 dst_sel:WORD_1 dst_unused:UNUSED_PAD src0_sel:DWORD src1_sel:DWORD
	v_or_b32_e32 v7, 0xe00, v0
	v_and_or_b32 v6, v2, s5, v6
	v_cmp_gt_i32_e64 s[2:3], s6, v7
	v_cndmask_b32_e64 v2, v2, v6, s[2:3]
	v_cmp_eq_f16_e64 s[2:3], s10, v17
	v_cndmask_b32_e64 v8, 0, 1, s[2:3]
	v_cmp_neq_f16_e64 s[2:3], s10, v17
	v_cndmask_b32_e64 v9, 0, 1, s[2:3]
	v_cndmask_b32_e64 v8, v9, v8, s[0:1]
	v_and_b32_sdwa v6, v2, s7 dst_sel:DWORD dst_unused:UNUSED_PAD src0_sel:WORD_1 src1_sel:DWORD
	v_and_b32_sdwa v8, v8, v20 dst_sel:BYTE_1 dst_unused:UNUSED_PAD src0_sel:DWORD src1_sel:DWORD
	v_or_b32_e32 v7, 0xf00, v0
	v_or_b32_sdwa v6, v6, v8 dst_sel:WORD_1 dst_unused:UNUSED_PAD src0_sel:DWORD src1_sel:DWORD
	v_and_or_b32 v6, v2, s5, v6
	v_cmp_gt_i32_e64 s[0:1], s6, v7
	v_cndmask_b32_e64 v2, v2, v6, s[0:1]
	s_and_saveexec_b64 s[0:1], vcc
	s_cbranch_execnz .LBB186_53
; %bb.36:
	s_or_b64 exec, exec, s[0:1]
	v_cmp_gt_i32_e32 vcc, s6, v0
	s_and_saveexec_b64 s[0:1], vcc
	s_cbranch_execnz .LBB186_54
.LBB186_37:
	s_or_b64 exec, exec, s[0:1]
	v_cmp_gt_i32_e32 vcc, s6, v0
	s_and_saveexec_b64 s[0:1], vcc
	s_cbranch_execnz .LBB186_55
.LBB186_38:
	s_or_b64 exec, exec, s[0:1]
	v_cmp_gt_i32_e32 vcc, s6, v0
	s_and_saveexec_b64 s[0:1], vcc
	s_cbranch_execnz .LBB186_56
.LBB186_39:
	s_or_b64 exec, exec, s[0:1]
	v_cmp_gt_i32_e32 vcc, s6, v0
	s_and_saveexec_b64 s[0:1], vcc
	s_cbranch_execnz .LBB186_57
.LBB186_40:
	s_or_b64 exec, exec, s[0:1]
	v_cmp_gt_i32_e32 vcc, s6, v0
	s_and_saveexec_b64 s[0:1], vcc
	s_cbranch_execnz .LBB186_58
.LBB186_41:
	s_or_b64 exec, exec, s[0:1]
	v_cmp_gt_i32_e32 vcc, s6, v0
	s_and_saveexec_b64 s[0:1], vcc
	s_cbranch_execnz .LBB186_59
.LBB186_42:
	s_or_b64 exec, exec, s[0:1]
	v_cmp_gt_i32_e32 vcc, s6, v0
	s_and_saveexec_b64 s[0:1], vcc
	s_cbranch_execnz .LBB186_60
.LBB186_43:
	s_or_b64 exec, exec, s[0:1]
	v_cmp_gt_i32_e32 vcc, s6, v0
	s_and_saveexec_b64 s[0:1], vcc
	s_cbranch_execnz .LBB186_61
.LBB186_44:
	s_or_b64 exec, exec, s[0:1]
	v_cmp_gt_i32_e32 vcc, s6, v0
	s_and_saveexec_b64 s[0:1], vcc
	s_cbranch_execnz .LBB186_62
.LBB186_45:
	s_or_b64 exec, exec, s[0:1]
	v_cmp_gt_i32_e32 vcc, s6, v0
	s_and_saveexec_b64 s[0:1], vcc
	s_cbranch_execnz .LBB186_63
.LBB186_46:
	s_or_b64 exec, exec, s[0:1]
	v_cmp_gt_i32_e32 vcc, s6, v0
	s_and_saveexec_b64 s[0:1], vcc
	s_cbranch_execnz .LBB186_64
.LBB186_47:
	s_or_b64 exec, exec, s[0:1]
	v_cmp_gt_i32_e32 vcc, s6, v0
	s_and_saveexec_b64 s[0:1], vcc
	s_cbranch_execnz .LBB186_65
.LBB186_48:
	s_or_b64 exec, exec, s[0:1]
	v_cmp_gt_i32_e32 vcc, s6, v0
	s_and_saveexec_b64 s[0:1], vcc
	s_cbranch_execnz .LBB186_66
.LBB186_49:
	s_or_b64 exec, exec, s[0:1]
	v_cmp_gt_i32_e32 vcc, s6, v0
	s_and_saveexec_b64 s[0:1], vcc
	s_cbranch_execnz .LBB186_67
.LBB186_50:
	s_or_b64 exec, exec, s[0:1]
	v_cmp_gt_i32_e32 vcc, s6, v0
	s_and_saveexec_b64 s[0:1], vcc
	s_cbranch_execz .LBB186_52
.LBB186_51:
	v_lshrrev_b32_e32 v1, 24, v2
	v_add_u32_e32 v0, s4, v0
	global_store_byte v0, v1, s[12:13]
.LBB186_52:
	s_endpgm
.LBB186_53:
	v_mov_b32_e32 v0, v19
	global_store_byte v1, v5, s[12:13]
	s_or_b64 exec, exec, s[0:1]
	v_cmp_gt_i32_e32 vcc, s6, v0
	s_and_saveexec_b64 s[0:1], vcc
	s_cbranch_execz .LBB186_37
.LBB186_54:
	v_lshrrev_b32_e32 v1, 8, v5
	v_add_u32_e32 v6, s4, v0
	v_add_u32_e32 v0, 0x100, v0
	global_store_byte v6, v1, s[12:13]
	s_or_b64 exec, exec, s[0:1]
	v_cmp_gt_i32_e32 vcc, s6, v0
	s_and_saveexec_b64 s[0:1], vcc
	s_cbranch_execz .LBB186_38
.LBB186_55:
	v_add_u32_e32 v1, s4, v0
	v_add_u32_e32 v0, 0x100, v0
	global_store_byte_d16_hi v1, v5, s[12:13]
	s_or_b64 exec, exec, s[0:1]
	v_cmp_gt_i32_e32 vcc, s6, v0
	s_and_saveexec_b64 s[0:1], vcc
	s_cbranch_execz .LBB186_39
.LBB186_56:
	v_lshrrev_b32_e32 v1, 24, v5
	v_add_u32_e32 v5, s4, v0
	v_add_u32_e32 v0, 0x100, v0
	global_store_byte v5, v1, s[12:13]
	s_or_b64 exec, exec, s[0:1]
	v_cmp_gt_i32_e32 vcc, s6, v0
	s_and_saveexec_b64 s[0:1], vcc
	s_cbranch_execz .LBB186_40
.LBB186_57:
	v_add_u32_e32 v1, s4, v0
	v_add_u32_e32 v0, 0x100, v0
	global_store_byte v1, v4, s[12:13]
	s_or_b64 exec, exec, s[0:1]
	v_cmp_gt_i32_e32 vcc, s6, v0
	s_and_saveexec_b64 s[0:1], vcc
	s_cbranch_execz .LBB186_41
.LBB186_58:
	v_lshrrev_b32_e32 v1, 8, v4
	v_add_u32_e32 v5, s4, v0
	v_add_u32_e32 v0, 0x100, v0
	global_store_byte v5, v1, s[12:13]
	s_or_b64 exec, exec, s[0:1]
	v_cmp_gt_i32_e32 vcc, s6, v0
	s_and_saveexec_b64 s[0:1], vcc
	s_cbranch_execz .LBB186_42
.LBB186_59:
	v_add_u32_e32 v1, s4, v0
	v_add_u32_e32 v0, 0x100, v0
	global_store_byte_d16_hi v1, v4, s[12:13]
	s_or_b64 exec, exec, s[0:1]
	v_cmp_gt_i32_e32 vcc, s6, v0
	s_and_saveexec_b64 s[0:1], vcc
	s_cbranch_execz .LBB186_43
.LBB186_60:
	v_lshrrev_b32_e32 v1, 24, v4
	v_add_u32_e32 v4, s4, v0
	v_add_u32_e32 v0, 0x100, v0
	global_store_byte v4, v1, s[12:13]
	s_or_b64 exec, exec, s[0:1]
	v_cmp_gt_i32_e32 vcc, s6, v0
	s_and_saveexec_b64 s[0:1], vcc
	s_cbranch_execz .LBB186_44
.LBB186_61:
	v_add_u32_e32 v1, s4, v0
	v_add_u32_e32 v0, 0x100, v0
	global_store_byte v1, v3, s[12:13]
	s_or_b64 exec, exec, s[0:1]
	v_cmp_gt_i32_e32 vcc, s6, v0
	s_and_saveexec_b64 s[0:1], vcc
	s_cbranch_execz .LBB186_45
.LBB186_62:
	v_lshrrev_b32_e32 v1, 8, v3
	v_add_u32_e32 v4, s4, v0
	v_add_u32_e32 v0, 0x100, v0
	global_store_byte v4, v1, s[12:13]
	s_or_b64 exec, exec, s[0:1]
	v_cmp_gt_i32_e32 vcc, s6, v0
	s_and_saveexec_b64 s[0:1], vcc
	s_cbranch_execz .LBB186_46
.LBB186_63:
	v_add_u32_e32 v1, s4, v0
	v_add_u32_e32 v0, 0x100, v0
	global_store_byte_d16_hi v1, v3, s[12:13]
	s_or_b64 exec, exec, s[0:1]
	v_cmp_gt_i32_e32 vcc, s6, v0
	s_and_saveexec_b64 s[0:1], vcc
	s_cbranch_execz .LBB186_47
.LBB186_64:
	v_lshrrev_b32_e32 v1, 24, v3
	v_add_u32_e32 v3, s4, v0
	v_add_u32_e32 v0, 0x100, v0
	global_store_byte v3, v1, s[12:13]
	s_or_b64 exec, exec, s[0:1]
	v_cmp_gt_i32_e32 vcc, s6, v0
	s_and_saveexec_b64 s[0:1], vcc
	s_cbranch_execz .LBB186_48
.LBB186_65:
	v_add_u32_e32 v1, s4, v0
	v_add_u32_e32 v0, 0x100, v0
	global_store_byte v1, v2, s[12:13]
	s_or_b64 exec, exec, s[0:1]
	v_cmp_gt_i32_e32 vcc, s6, v0
	s_and_saveexec_b64 s[0:1], vcc
	s_cbranch_execz .LBB186_49
.LBB186_66:
	v_lshrrev_b32_e32 v1, 8, v2
	v_add_u32_e32 v3, s4, v0
	v_add_u32_e32 v0, 0x100, v0
	global_store_byte v3, v1, s[12:13]
	s_or_b64 exec, exec, s[0:1]
	v_cmp_gt_i32_e32 vcc, s6, v0
	s_and_saveexec_b64 s[0:1], vcc
	s_cbranch_execz .LBB186_50
.LBB186_67:
	v_add_u32_e32 v1, s4, v0
	v_add_u32_e32 v0, 0x100, v0
	global_store_byte_d16_hi v1, v2, s[12:13]
	s_or_b64 exec, exec, s[0:1]
	v_cmp_gt_i32_e32 vcc, s6, v0
	s_and_saveexec_b64 s[0:1], vcc
	s_cbranch_execnz .LBB186_51
	s_branch .LBB186_52
	.section	.rodata,"a",@progbits
	.p2align	6, 0x0
	.amdhsa_kernel _ZN2at6native29vectorized_elementwise_kernelILi4ENS0_13AUnaryFunctorIN3c104HalfES4_bNS0_12_GLOBAL__N_116CompareEqFunctorIS4_EEEESt5arrayIPcLm2EEEEviT0_T1_
		.amdhsa_group_segment_fixed_size 0
		.amdhsa_private_segment_fixed_size 0
		.amdhsa_kernarg_size 32
		.amdhsa_user_sgpr_count 6
		.amdhsa_user_sgpr_private_segment_buffer 1
		.amdhsa_user_sgpr_dispatch_ptr 0
		.amdhsa_user_sgpr_queue_ptr 0
		.amdhsa_user_sgpr_kernarg_segment_ptr 1
		.amdhsa_user_sgpr_dispatch_id 0
		.amdhsa_user_sgpr_flat_scratch_init 0
		.amdhsa_user_sgpr_private_segment_size 0
		.amdhsa_uses_dynamic_stack 0
		.amdhsa_system_sgpr_private_segment_wavefront_offset 0
		.amdhsa_system_sgpr_workgroup_id_x 1
		.amdhsa_system_sgpr_workgroup_id_y 0
		.amdhsa_system_sgpr_workgroup_id_z 0
		.amdhsa_system_sgpr_workgroup_info 0
		.amdhsa_system_vgpr_workitem_id 0
		.amdhsa_next_free_vgpr 21
		.amdhsa_next_free_sgpr 18
		.amdhsa_reserve_vcc 1
		.amdhsa_reserve_flat_scratch 0
		.amdhsa_float_round_mode_32 0
		.amdhsa_float_round_mode_16_64 0
		.amdhsa_float_denorm_mode_32 3
		.amdhsa_float_denorm_mode_16_64 3
		.amdhsa_dx10_clamp 1
		.amdhsa_ieee_mode 1
		.amdhsa_fp16_overflow 0
		.amdhsa_exception_fp_ieee_invalid_op 0
		.amdhsa_exception_fp_denorm_src 0
		.amdhsa_exception_fp_ieee_div_zero 0
		.amdhsa_exception_fp_ieee_overflow 0
		.amdhsa_exception_fp_ieee_underflow 0
		.amdhsa_exception_fp_ieee_inexact 0
		.amdhsa_exception_int_div_zero 0
	.end_amdhsa_kernel
	.section	.text._ZN2at6native29vectorized_elementwise_kernelILi4ENS0_13AUnaryFunctorIN3c104HalfES4_bNS0_12_GLOBAL__N_116CompareEqFunctorIS4_EEEESt5arrayIPcLm2EEEEviT0_T1_,"axG",@progbits,_ZN2at6native29vectorized_elementwise_kernelILi4ENS0_13AUnaryFunctorIN3c104HalfES4_bNS0_12_GLOBAL__N_116CompareEqFunctorIS4_EEEESt5arrayIPcLm2EEEEviT0_T1_,comdat
.Lfunc_end186:
	.size	_ZN2at6native29vectorized_elementwise_kernelILi4ENS0_13AUnaryFunctorIN3c104HalfES4_bNS0_12_GLOBAL__N_116CompareEqFunctorIS4_EEEESt5arrayIPcLm2EEEEviT0_T1_, .Lfunc_end186-_ZN2at6native29vectorized_elementwise_kernelILi4ENS0_13AUnaryFunctorIN3c104HalfES4_bNS0_12_GLOBAL__N_116CompareEqFunctorIS4_EEEESt5arrayIPcLm2EEEEviT0_T1_
                                        ; -- End function
	.set _ZN2at6native29vectorized_elementwise_kernelILi4ENS0_13AUnaryFunctorIN3c104HalfES4_bNS0_12_GLOBAL__N_116CompareEqFunctorIS4_EEEESt5arrayIPcLm2EEEEviT0_T1_.num_vgpr, 21
	.set _ZN2at6native29vectorized_elementwise_kernelILi4ENS0_13AUnaryFunctorIN3c104HalfES4_bNS0_12_GLOBAL__N_116CompareEqFunctorIS4_EEEESt5arrayIPcLm2EEEEviT0_T1_.num_agpr, 0
	.set _ZN2at6native29vectorized_elementwise_kernelILi4ENS0_13AUnaryFunctorIN3c104HalfES4_bNS0_12_GLOBAL__N_116CompareEqFunctorIS4_EEEESt5arrayIPcLm2EEEEviT0_T1_.numbered_sgpr, 18
	.set _ZN2at6native29vectorized_elementwise_kernelILi4ENS0_13AUnaryFunctorIN3c104HalfES4_bNS0_12_GLOBAL__N_116CompareEqFunctorIS4_EEEESt5arrayIPcLm2EEEEviT0_T1_.num_named_barrier, 0
	.set _ZN2at6native29vectorized_elementwise_kernelILi4ENS0_13AUnaryFunctorIN3c104HalfES4_bNS0_12_GLOBAL__N_116CompareEqFunctorIS4_EEEESt5arrayIPcLm2EEEEviT0_T1_.private_seg_size, 0
	.set _ZN2at6native29vectorized_elementwise_kernelILi4ENS0_13AUnaryFunctorIN3c104HalfES4_bNS0_12_GLOBAL__N_116CompareEqFunctorIS4_EEEESt5arrayIPcLm2EEEEviT0_T1_.uses_vcc, 1
	.set _ZN2at6native29vectorized_elementwise_kernelILi4ENS0_13AUnaryFunctorIN3c104HalfES4_bNS0_12_GLOBAL__N_116CompareEqFunctorIS4_EEEESt5arrayIPcLm2EEEEviT0_T1_.uses_flat_scratch, 0
	.set _ZN2at6native29vectorized_elementwise_kernelILi4ENS0_13AUnaryFunctorIN3c104HalfES4_bNS0_12_GLOBAL__N_116CompareEqFunctorIS4_EEEESt5arrayIPcLm2EEEEviT0_T1_.has_dyn_sized_stack, 0
	.set _ZN2at6native29vectorized_elementwise_kernelILi4ENS0_13AUnaryFunctorIN3c104HalfES4_bNS0_12_GLOBAL__N_116CompareEqFunctorIS4_EEEESt5arrayIPcLm2EEEEviT0_T1_.has_recursion, 0
	.set _ZN2at6native29vectorized_elementwise_kernelILi4ENS0_13AUnaryFunctorIN3c104HalfES4_bNS0_12_GLOBAL__N_116CompareEqFunctorIS4_EEEESt5arrayIPcLm2EEEEviT0_T1_.has_indirect_call, 0
	.section	.AMDGPU.csdata,"",@progbits
; Kernel info:
; codeLenInByte = 4324
; TotalNumSgprs: 22
; NumVgprs: 21
; ScratchSize: 0
; MemoryBound: 0
; FloatMode: 240
; IeeeMode: 1
; LDSByteSize: 0 bytes/workgroup (compile time only)
; SGPRBlocks: 2
; VGPRBlocks: 5
; NumSGPRsForWavesPerEU: 22
; NumVGPRsForWavesPerEU: 21
; Occupancy: 10
; WaveLimiterHint : 1
; COMPUTE_PGM_RSRC2:SCRATCH_EN: 0
; COMPUTE_PGM_RSRC2:USER_SGPR: 6
; COMPUTE_PGM_RSRC2:TRAP_HANDLER: 0
; COMPUTE_PGM_RSRC2:TGID_X_EN: 1
; COMPUTE_PGM_RSRC2:TGID_Y_EN: 0
; COMPUTE_PGM_RSRC2:TGID_Z_EN: 0
; COMPUTE_PGM_RSRC2:TIDIG_COMP_CNT: 0
	.section	.text._ZN2at6native29vectorized_elementwise_kernelILi2ENS0_13AUnaryFunctorIN3c104HalfES4_bNS0_12_GLOBAL__N_116CompareEqFunctorIS4_EEEESt5arrayIPcLm2EEEEviT0_T1_,"axG",@progbits,_ZN2at6native29vectorized_elementwise_kernelILi2ENS0_13AUnaryFunctorIN3c104HalfES4_bNS0_12_GLOBAL__N_116CompareEqFunctorIS4_EEEESt5arrayIPcLm2EEEEviT0_T1_,comdat
	.globl	_ZN2at6native29vectorized_elementwise_kernelILi2ENS0_13AUnaryFunctorIN3c104HalfES4_bNS0_12_GLOBAL__N_116CompareEqFunctorIS4_EEEESt5arrayIPcLm2EEEEviT0_T1_ ; -- Begin function _ZN2at6native29vectorized_elementwise_kernelILi2ENS0_13AUnaryFunctorIN3c104HalfES4_bNS0_12_GLOBAL__N_116CompareEqFunctorIS4_EEEESt5arrayIPcLm2EEEEviT0_T1_
	.p2align	8
	.type	_ZN2at6native29vectorized_elementwise_kernelILi2ENS0_13AUnaryFunctorIN3c104HalfES4_bNS0_12_GLOBAL__N_116CompareEqFunctorIS4_EEEESt5arrayIPcLm2EEEEviT0_T1_,@function
_ZN2at6native29vectorized_elementwise_kernelILi2ENS0_13AUnaryFunctorIN3c104HalfES4_bNS0_12_GLOBAL__N_116CompareEqFunctorIS4_EEEESt5arrayIPcLm2EEEEviT0_T1_: ; @_ZN2at6native29vectorized_elementwise_kernelILi2ENS0_13AUnaryFunctorIN3c104HalfES4_bNS0_12_GLOBAL__N_116CompareEqFunctorIS4_EEEESt5arrayIPcLm2EEEEviT0_T1_
; %bb.0:
	s_load_dwordx8 s[8:15], s[4:5], 0x0
	s_lshl_b32 s4, s6, 12
	s_mov_b64 s[0:1], -1
	s_waitcnt lgkmcnt(0)
	s_sub_i32 s6, s8, s4
	s_cmpk_gt_i32 s6, 0xfff
	s_cbranch_scc0 .LBB187_2
; %bb.1:
	s_ashr_i32 s5, s4, 31
	s_lshl_b64 s[0:1], s[4:5], 1
	s_add_u32 s0, s14, s0
	s_addc_u32 s1, s15, s1
	v_lshlrev_b32_e32 v1, 2, v0
	global_load_dword v3, v1, s[0:1]
	global_load_dword v4, v1, s[0:1] offset:1024
	global_load_dword v5, v1, s[0:1] offset:2048
	;; [unrolled: 1-line block ×3, first 2 shown]
	v_mov_b32_e32 v2, s1
	v_add_co_u32_e32 v1, vcc, s0, v1
	s_movk_i32 s2, 0x1000
	v_addc_co_u32_e32 v2, vcc, 0, v2, vcc
	v_add_co_u32_e32 v1, vcc, s2, v1
	v_addc_co_u32_e32 v2, vcc, 0, v2, vcc
	global_load_dword v7, v[1:2], off
	global_load_dword v8, v[1:2], off offset:1024
	global_load_dword v9, v[1:2], off offset:2048
	s_cmp_eq_u32 s9, 0
	global_load_dword v1, v[1:2], off offset:3072
	v_mov_b32_e32 v10, 1
	s_waitcnt vmcnt(7)
	v_cmp_eq_f16_e32 vcc, s10, v3
	v_cndmask_b32_e64 v2, 0, 1, vcc
	v_cmp_neq_f16_e32 vcc, s10, v3
	v_cmp_eq_f16_sdwa s[0:1], v3, s10 src0_sel:WORD_1 src1_sel:DWORD
	v_cndmask_b32_e64 v11, 0, 1, vcc
	v_cndmask_b32_e64 v12, 0, 1, s[0:1]
	v_cmp_neq_f16_sdwa s[0:1], v3, s10 src0_sel:WORD_1 src1_sel:DWORD
	s_waitcnt vmcnt(6)
	v_cmp_eq_f16_e32 vcc, s10, v4
	v_cndmask_b32_e64 v3, 0, 1, s[0:1]
	v_cndmask_b32_e64 v13, 0, 1, vcc
	v_cmp_neq_f16_e32 vcc, s10, v4
	v_cmp_eq_f16_sdwa s[0:1], v4, s10 src0_sel:WORD_1 src1_sel:DWORD
	v_cndmask_b32_e64 v14, 0, 1, vcc
	v_cndmask_b32_e64 v15, 0, 1, s[0:1]
	v_cmp_neq_f16_sdwa s[0:1], v4, s10 src0_sel:WORD_1 src1_sel:DWORD
	s_waitcnt vmcnt(5)
	v_cmp_eq_f16_e32 vcc, s10, v5
	v_cndmask_b32_e64 v4, 0, 1, s[0:1]
	;; [unrolled: 9-line block ×3, first 2 shown]
	v_cndmask_b32_e64 v19, 0, 1, vcc
	s_cselect_b64 vcc, -1, 0
	v_cmp_neq_f16_e64 s[0:1], s10, v6
	v_cndmask_b32_e32 v2, v11, v2, vcc
	v_cndmask_b32_e64 v11, 0, 1, s[0:1]
	v_cmp_eq_f16_sdwa s[0:1], v6, s10 src0_sel:WORD_1 src1_sel:DWORD
	v_cndmask_b32_e32 v3, v3, v12, vcc
	v_cndmask_b32_e64 v12, 0, 1, s[0:1]
	v_cmp_neq_f16_sdwa s[0:1], v6, s10 src0_sel:WORD_1 src1_sel:DWORD
	v_cndmask_b32_e64 v6, 0, 1, s[0:1]
	v_cndmask_b32_e32 v13, v14, v13, vcc
	v_cndmask_b32_e32 v14, v17, v16, vcc
	s_waitcnt vmcnt(3)
	v_cmp_eq_f16_e64 s[0:1], s10, v7
	v_cndmask_b32_e32 v6, v6, v12, vcc
	v_and_b32_e32 v12, 1, v13
	v_and_b32_e32 v13, 1, v14
	v_cndmask_b32_e64 v14, 0, 1, s[0:1]
	v_cmp_neq_f16_e64 s[0:1], s10, v7
	v_cndmask_b32_e32 v4, v4, v15, vcc
	v_cndmask_b32_e64 v15, 0, 1, s[0:1]
	v_cmp_eq_f16_sdwa s[0:1], v7, s10 src0_sel:WORD_1 src1_sel:DWORD
	v_cndmask_b32_e64 v16, 0, 1, s[0:1]
	v_cmp_neq_f16_sdwa s[0:1], v7, s10 src0_sel:WORD_1 src1_sel:DWORD
	v_cndmask_b32_e64 v7, 0, 1, s[0:1]
	s_waitcnt vmcnt(2)
	v_cmp_eq_f16_e64 s[0:1], s10, v8
	v_cndmask_b32_e64 v17, 0, 1, s[0:1]
	v_cmp_neq_f16_e64 s[0:1], s10, v8
	v_cndmask_b32_e32 v5, v5, v18, vcc
	v_cndmask_b32_e64 v18, 0, 1, s[0:1]
	v_cmp_eq_f16_sdwa s[0:1], v8, s10 src0_sel:WORD_1 src1_sel:DWORD
	v_cndmask_b32_e32 v7, v7, v16, vcc
	v_cndmask_b32_e64 v16, 0, 1, s[0:1]
	v_cmp_neq_f16_sdwa s[0:1], v8, s10 src0_sel:WORD_1 src1_sel:DWORD
	v_cndmask_b32_e64 v8, 0, 1, s[0:1]
	s_waitcnt vmcnt(1)
	v_cmp_eq_f16_e64 s[0:1], s10, v9
	v_cndmask_b32_e32 v8, v8, v16, vcc
	v_cndmask_b32_e64 v16, 0, 1, s[0:1]
	v_cmp_neq_f16_e64 s[0:1], s10, v9
	v_cndmask_b32_e32 v14, v15, v14, vcc
	v_cndmask_b32_e32 v15, v18, v17, vcc
	v_cndmask_b32_e64 v17, 0, 1, s[0:1]
	v_cmp_eq_f16_sdwa s[0:1], v9, s10 src0_sel:WORD_1 src1_sel:DWORD
	v_cndmask_b32_e32 v16, v17, v16, vcc
	v_cndmask_b32_e64 v17, 0, 1, s[0:1]
	v_cmp_neq_f16_sdwa s[0:1], v9, s10 src0_sel:WORD_1 src1_sel:DWORD
	v_cndmask_b32_e64 v9, 0, 1, s[0:1]
	s_waitcnt vmcnt(0)
	v_cmp_eq_f16_e64 s[0:1], s10, v1
	v_cndmask_b32_e32 v9, v9, v17, vcc
	v_cndmask_b32_e64 v17, 0, 1, s[0:1]
	v_cmp_neq_f16_e64 s[0:1], s10, v1
	v_cndmask_b32_e64 v18, 0, 1, s[0:1]
	v_cmp_eq_f16_sdwa s[0:1], v1, s10 src0_sel:WORD_1 src1_sel:DWORD
	v_cndmask_b32_e32 v17, v18, v17, vcc
	v_cndmask_b32_e64 v18, 0, 1, s[0:1]
	v_cmp_neq_f16_sdwa s[0:1], v1, s10 src0_sel:WORD_1 src1_sel:DWORD
	v_cndmask_b32_e64 v1, 0, 1, s[0:1]
	v_cndmask_b32_e32 v11, v11, v19, vcc
	v_and_b32_e32 v2, 1, v2
	v_and_b32_sdwa v3, v3, v10 dst_sel:BYTE_1 dst_unused:UNUSED_PAD src0_sel:DWORD src1_sel:DWORD
	v_cndmask_b32_e32 v1, v1, v18, vcc
	s_add_u32 s0, s12, s4
	v_and_b32_sdwa v4, v4, v10 dst_sel:BYTE_1 dst_unused:UNUSED_PAD src0_sel:DWORD src1_sel:DWORD
	v_and_b32_sdwa v5, v5, v10 dst_sel:BYTE_1 dst_unused:UNUSED_PAD src0_sel:DWORD src1_sel:DWORD
	v_and_b32_e32 v11, 1, v11
	v_and_b32_sdwa v6, v6, v10 dst_sel:BYTE_1 dst_unused:UNUSED_PAD src0_sel:DWORD src1_sel:DWORD
	v_and_b32_e32 v14, 1, v14
	;; [unrolled: 2-line block ×5, first 2 shown]
	v_and_b32_sdwa v1, v1, v10 dst_sel:BYTE_1 dst_unused:UNUSED_PAD src0_sel:DWORD src1_sel:DWORD
	v_or_b32_e32 v2, v2, v3
	s_addc_u32 s1, s13, s5
	v_lshlrev_b32_e32 v3, 1, v0
	v_or_b32_e32 v1, v17, v1
	v_or_b32_e32 v9, v16, v9
	;; [unrolled: 1-line block ×7, first 2 shown]
	global_store_short v3, v2, s[0:1]
	global_store_short v3, v4, s[0:1] offset:512
	global_store_short v3, v5, s[0:1] offset:1024
	;; [unrolled: 1-line block ×7, first 2 shown]
	s_mov_b64 s[0:1], 0
.LBB187_2:
	s_andn2_b64 vcc, exec, s[0:1]
	s_cbranch_vccnz .LBB187_52
; %bb.3:
	v_cmp_gt_i32_e32 vcc, s6, v0
	v_mov_b32_e32 v3, 0
	v_or_b32_e32 v1, s4, v0
	v_mov_b32_e32 v2, 0
	v_mov_b32_e32 v5, v0
	s_and_saveexec_b64 s[2:3], vcc
	s_cbranch_execz .LBB187_5
; %bb.4:
	v_mov_b32_e32 v2, 0
	v_lshlrev_b64 v[4:5], 1, v[1:2]
	v_mov_b32_e32 v2, s15
	v_add_co_u32_e64 v4, s[0:1], s14, v4
	v_addc_co_u32_e64 v5, s[0:1], v2, v5, s[0:1]
	global_load_ushort v2, v[4:5], off
	v_or_b32_e32 v5, 0x100, v0
.LBB187_5:
	s_or_b64 exec, exec, s[2:3]
	v_cmp_gt_i32_e64 s[0:1], s6, v5
	s_and_saveexec_b64 s[2:3], s[0:1]
	s_cbranch_execz .LBB187_7
; %bb.6:
	v_add_u32_e32 v3, s4, v5
	v_mov_b32_e32 v4, 0
	v_lshlrev_b64 v[3:4], 1, v[3:4]
	v_mov_b32_e32 v6, s15
	v_add_co_u32_e64 v3, s[0:1], s14, v3
	v_addc_co_u32_e64 v4, s[0:1], v6, v4, s[0:1]
	global_load_ushort v3, v[3:4], off
	v_add_u32_e32 v5, 0x100, v5
.LBB187_7:
	s_or_b64 exec, exec, s[2:3]
	v_cmp_gt_i32_e64 s[0:1], s6, v5
	v_mov_b32_e32 v4, 0
	v_mov_b32_e32 v6, 0
	s_and_saveexec_b64 s[2:3], s[0:1]
	s_cbranch_execz .LBB187_9
; %bb.8:
	v_add_u32_e32 v6, s4, v5
	v_mov_b32_e32 v7, 0
	v_lshlrev_b64 v[6:7], 1, v[6:7]
	v_mov_b32_e32 v8, s15
	v_add_co_u32_e64 v6, s[0:1], s14, v6
	v_addc_co_u32_e64 v7, s[0:1], v8, v7, s[0:1]
	global_load_ushort v6, v[6:7], off
	v_add_u32_e32 v5, 0x100, v5
.LBB187_9:
	s_or_b64 exec, exec, s[2:3]
	v_cmp_gt_i32_e64 s[0:1], s6, v5
	s_and_saveexec_b64 s[2:3], s[0:1]
	s_cbranch_execz .LBB187_11
; %bb.10:
	v_add_u32_e32 v7, s4, v5
	v_mov_b32_e32 v8, 0
	v_lshlrev_b64 v[7:8], 1, v[7:8]
	v_mov_b32_e32 v4, s15
	v_add_co_u32_e64 v7, s[0:1], s14, v7
	v_addc_co_u32_e64 v8, s[0:1], v4, v8, s[0:1]
	global_load_ushort v4, v[7:8], off
	v_add_u32_e32 v5, 0x100, v5
.LBB187_11:
	s_or_b64 exec, exec, s[2:3]
	v_cmp_gt_i32_e64 s[0:1], s6, v5
	v_mov_b32_e32 v7, 0
	v_mov_b32_e32 v8, 0
	s_and_saveexec_b64 s[2:3], s[0:1]
	s_cbranch_execz .LBB187_13
; %bb.12:
	v_add_u32_e32 v8, s4, v5
	v_mov_b32_e32 v9, 0
	v_lshlrev_b64 v[8:9], 1, v[8:9]
	v_mov_b32_e32 v10, s15
	v_add_co_u32_e64 v8, s[0:1], s14, v8
	v_addc_co_u32_e64 v9, s[0:1], v10, v9, s[0:1]
	global_load_ushort v8, v[8:9], off
	v_add_u32_e32 v5, 0x100, v5
.LBB187_13:
	;; [unrolled: 30-line block ×7, first 2 shown]
	s_or_b64 exec, exec, s[2:3]
	v_cmp_gt_i32_e64 s[0:1], s6, v5
	s_and_saveexec_b64 s[2:3], s[0:1]
	s_cbranch_execz .LBB187_35
; %bb.34:
	v_add_u32_e32 v19, s4, v5
	v_mov_b32_e32 v20, 0
	v_lshlrev_b64 v[19:20], 1, v[19:20]
	v_mov_b32_e32 v5, s15
	v_add_co_u32_e64 v19, s[0:1], s14, v19
	v_addc_co_u32_e64 v20, s[0:1], v5, v20, s[0:1]
	global_load_ushort v17, v[19:20], off
.LBB187_35:
	s_or_b64 exec, exec, s[2:3]
	s_waitcnt vmcnt(0)
	v_cmp_eq_f16_e64 s[0:1], s10, v2
	s_cmp_eq_u32 s9, 0
	v_cndmask_b32_e64 v5, 0, 1, s[0:1]
	v_cmp_neq_f16_e64 s[0:1], s10, v2
	v_cndmask_b32_e64 v2, 0, 1, s[0:1]
	s_cselect_b64 s[0:1], -1, 0
	v_cndmask_b32_e64 v2, v2, v5, s[0:1]
	v_cndmask_b32_e64 v5, 0, 1, vcc
	v_cmp_eq_f16_e64 s[2:3], s10, v3
	v_and_b32_e32 v2, v5, v2
	v_cndmask_b32_e64 v5, 0, 1, s[2:3]
	v_cmp_neq_f16_e64 s[2:3], s10, v3
	v_cndmask_b32_e64 v3, 0, 1, s[2:3]
	v_cndmask_b32_e64 v3, v3, v5, s[0:1]
	v_mov_b32_e32 v20, 1
	v_and_b32_sdwa v3, v3, v20 dst_sel:BYTE_1 dst_unused:UNUSED_PAD src0_sel:DWORD src1_sel:DWORD
	v_or_b32_e32 v19, 0x100, v0
	v_or_b32_e32 v3, v2, v3
	v_and_b32_e32 v3, 0xffff, v3
	v_cmp_gt_i32_e64 s[2:3], s6, v19
	v_cndmask_b32_e64 v2, v2, v3, s[2:3]
	v_cmp_eq_f16_e64 s[2:3], s10, v6
	v_cndmask_b32_e64 v5, 0, 1, s[2:3]
	v_cmp_neq_f16_e64 s[2:3], s10, v6
	v_cndmask_b32_e64 v6, 0, 1, s[2:3]
	v_cndmask_b32_e64 v5, v6, v5, s[0:1]
	v_or_b32_e32 v3, 0x200, v0
	v_and_b32_e32 v5, 1, v5
	v_lshl_or_b32 v5, v5, 16, v2
	v_cmp_gt_i32_e64 s[2:3], s6, v3
	v_cndmask_b32_e64 v2, v2, v5, s[2:3]
	v_cmp_eq_f16_e64 s[2:3], s10, v4
	v_cndmask_b32_e64 v6, 0, 1, s[2:3]
	v_cmp_neq_f16_e64 s[2:3], s10, v4
	v_cndmask_b32_e64 v4, 0, 1, s[2:3]
	s_movk_i32 s7, 0xff
	v_cndmask_b32_e64 v4, v4, v6, s[0:1]
	v_and_b32_sdwa v3, v2, s7 dst_sel:DWORD dst_unused:UNUSED_PAD src0_sel:WORD_1 src1_sel:DWORD
	v_and_b32_sdwa v4, v4, v20 dst_sel:BYTE_1 dst_unused:UNUSED_PAD src0_sel:DWORD src1_sel:DWORD
	s_mov_b32 s5, 0xffff
	v_or_b32_e32 v5, 0x300, v0
	v_or_b32_sdwa v3, v3, v4 dst_sel:WORD_1 dst_unused:UNUSED_PAD src0_sel:DWORD src1_sel:DWORD
	v_and_or_b32 v3, v2, s5, v3
	v_cmp_gt_i32_e64 s[2:3], s6, v5
	v_cndmask_b32_e64 v5, v2, v3, s[2:3]
	v_cmp_eq_f16_e64 s[2:3], s10, v8
	v_cndmask_b32_e64 v2, 0, 1, s[2:3]
	v_cmp_neq_f16_e64 s[2:3], s10, v8
	v_cndmask_b32_e64 v3, 0, 1, s[2:3]
	v_cndmask_b32_e64 v2, v3, v2, s[0:1]
	v_and_b32_e32 v2, 1, v2
	v_or_b32_e32 v3, 0x400, v0
	v_and_b32_e32 v2, 0xffff, v2
	v_cmp_gt_i32_e64 s[2:3], s6, v3
	v_cndmask_b32_e64 v2, 0, v2, s[2:3]
	v_cmp_eq_f16_e64 s[2:3], s10, v7
	v_cndmask_b32_e64 v4, 0, 1, s[2:3]
	v_cmp_neq_f16_e64 s[2:3], s10, v7
	v_cndmask_b32_e64 v6, 0, 1, s[2:3]
	v_cndmask_b32_e64 v4, v6, v4, s[0:1]
	v_and_b32_sdwa v4, v4, v20 dst_sel:BYTE_1 dst_unused:UNUSED_PAD src0_sel:DWORD src1_sel:DWORD
	v_or_b32_e32 v3, 0x500, v0
	v_or_b32_sdwa v4, v2, v4 dst_sel:DWORD dst_unused:UNUSED_PAD src0_sel:BYTE_0 src1_sel:DWORD
	v_and_b32_e32 v4, 0xffff, v4
	v_cmp_gt_i32_e64 s[2:3], s6, v3
	v_cndmask_b32_e64 v2, v2, v4, s[2:3]
	v_cmp_eq_f16_e64 s[2:3], s10, v10
	v_cndmask_b32_e64 v4, 0, 1, s[2:3]
	v_cmp_neq_f16_e64 s[2:3], s10, v10
	v_cndmask_b32_e64 v6, 0, 1, s[2:3]
	s_movk_i32 s8, 0xff00
	v_cndmask_b32_e64 v4, v6, v4, s[0:1]
	v_and_b32_sdwa v3, v2, s8 dst_sel:DWORD dst_unused:UNUSED_PAD src0_sel:WORD_1 src1_sel:DWORD
	v_and_b32_e32 v4, 1, v4
	v_or_b32_sdwa v3, v4, v3 dst_sel:WORD_1 dst_unused:UNUSED_PAD src0_sel:DWORD src1_sel:DWORD
	v_or_b32_e32 v4, 0x600, v0
	v_and_or_b32 v3, v2, s5, v3
	v_cmp_gt_i32_e64 s[2:3], s6, v4
	v_cndmask_b32_e64 v2, v2, v3, s[2:3]
	v_cmp_eq_f16_e64 s[2:3], s10, v9
	v_cndmask_b32_e64 v6, 0, 1, s[2:3]
	v_cmp_neq_f16_e64 s[2:3], s10, v9
	v_cndmask_b32_e64 v7, 0, 1, s[2:3]
	v_cndmask_b32_e64 v6, v7, v6, s[0:1]
	v_and_b32_sdwa v3, v2, s7 dst_sel:DWORD dst_unused:UNUSED_PAD src0_sel:WORD_1 src1_sel:DWORD
	v_and_b32_sdwa v6, v6, v20 dst_sel:BYTE_1 dst_unused:UNUSED_PAD src0_sel:DWORD src1_sel:DWORD
	v_or_b32_e32 v4, 0x700, v0
	v_or_b32_sdwa v3, v3, v6 dst_sel:WORD_1 dst_unused:UNUSED_PAD src0_sel:DWORD src1_sel:DWORD
	v_and_or_b32 v3, v2, s5, v3
	v_cmp_gt_i32_e64 s[2:3], s6, v4
	v_cndmask_b32_e64 v4, v2, v3, s[2:3]
	v_cmp_eq_f16_e64 s[2:3], s10, v12
	v_or_b32_e32 v2, 0x800, v0
	v_cndmask_b32_e64 v3, 0, 1, s[2:3]
	v_cmp_neq_f16_e64 s[2:3], s10, v12
	v_cndmask_b32_e64 v6, 0, 1, s[2:3]
	v_cmp_gt_i32_e64 s[2:3], s6, v2
	v_cndmask_b32_e64 v2, 0, 1, s[2:3]
	v_cmp_eq_f16_e64 s[2:3], s10, v11
	v_cndmask_b32_e64 v3, v6, v3, s[0:1]
	v_cndmask_b32_e64 v6, 0, 1, s[2:3]
	v_cmp_neq_f16_e64 s[2:3], s10, v11
	v_cndmask_b32_e64 v7, 0, 1, s[2:3]
	v_cndmask_b32_e64 v6, v7, v6, s[0:1]
	v_and_b32_e32 v2, v2, v3
	v_and_b32_sdwa v6, v6, v20 dst_sel:BYTE_1 dst_unused:UNUSED_PAD src0_sel:DWORD src1_sel:DWORD
	v_or_b32_e32 v3, 0x900, v0
	v_or_b32_e32 v6, v2, v6
	v_and_b32_e32 v6, 0xffff, v6
	v_cmp_gt_i32_e64 s[2:3], s6, v3
	v_cndmask_b32_e64 v2, v2, v6, s[2:3]
	v_cmp_eq_f16_e64 s[2:3], s10, v14
	v_cndmask_b32_e64 v6, 0, 1, s[2:3]
	v_cmp_neq_f16_e64 s[2:3], s10, v14
	v_cndmask_b32_e64 v7, 0, 1, s[2:3]
	v_cndmask_b32_e64 v6, v7, v6, s[0:1]
	v_or_b32_e32 v3, 0xa00, v0
	v_and_b32_sdwa v6, v6, v20 dst_sel:WORD_1 dst_unused:UNUSED_PAD src0_sel:DWORD src1_sel:DWORD
	s_movk_i32 s2, 0x1ff
	v_and_or_b32 v6, v2, s2, v6
	v_cmp_gt_i32_e64 s[2:3], s6, v3
	v_cndmask_b32_e64 v2, v2, v6, s[2:3]
	v_cmp_eq_f16_e64 s[2:3], s10, v13
	v_cndmask_b32_e64 v7, 0, 1, s[2:3]
	v_cmp_neq_f16_e64 s[2:3], s10, v13
	v_cndmask_b32_e64 v8, 0, 1, s[2:3]
	v_cndmask_b32_e64 v7, v8, v7, s[0:1]
	v_and_b32_sdwa v3, v2, s7 dst_sel:DWORD dst_unused:UNUSED_PAD src0_sel:WORD_1 src1_sel:DWORD
	v_and_b32_sdwa v7, v7, v20 dst_sel:BYTE_1 dst_unused:UNUSED_PAD src0_sel:DWORD src1_sel:DWORD
	v_or_b32_e32 v6, 0xb00, v0
	v_or_b32_sdwa v3, v3, v7 dst_sel:WORD_1 dst_unused:UNUSED_PAD src0_sel:DWORD src1_sel:DWORD
	v_and_or_b32 v3, v2, s5, v3
	v_cmp_gt_i32_e64 s[2:3], s6, v6
	v_cndmask_b32_e64 v3, v2, v3, s[2:3]
	v_cmp_eq_f16_e64 s[2:3], s10, v16
	v_cndmask_b32_e64 v6, 0, 1, s[2:3]
	v_cmp_neq_f16_e64 s[2:3], s10, v16
	v_cndmask_b32_e64 v7, 0, 1, s[2:3]
	v_or_b32_e32 v2, 0xc00, v0
	v_cndmask_b32_e64 v6, v7, v6, s[0:1]
	v_and_b32_e32 v6, 1, v6
	v_cmp_gt_i32_e64 s[2:3], s6, v2
	v_cndmask_b32_e64 v2, 0, v6, s[2:3]
	v_cmp_eq_f16_e64 s[2:3], s10, v15
	v_cndmask_b32_e64 v7, 0, 1, s[2:3]
	v_cmp_neq_f16_e64 s[2:3], s10, v15
	v_cndmask_b32_e64 v8, 0, 1, s[2:3]
	v_cndmask_b32_e64 v7, v8, v7, s[0:1]
	v_and_b32_sdwa v7, v7, v20 dst_sel:BYTE_1 dst_unused:UNUSED_PAD src0_sel:DWORD src1_sel:DWORD
	v_or_b32_e32 v6, 0xd00, v0
	v_or_b32_sdwa v7, v2, v7 dst_sel:DWORD dst_unused:UNUSED_PAD src0_sel:BYTE_0 src1_sel:DWORD
	v_and_b32_e32 v7, 0xffff, v7
	v_cmp_gt_i32_e64 s[2:3], s6, v6
	v_cndmask_b32_e64 v2, v2, v7, s[2:3]
	v_cmp_eq_f16_e64 s[2:3], s10, v18
	v_cndmask_b32_e64 v7, 0, 1, s[2:3]
	v_cmp_neq_f16_e64 s[2:3], s10, v18
	v_cndmask_b32_e64 v8, 0, 1, s[2:3]
	v_cndmask_b32_e64 v7, v8, v7, s[0:1]
	v_and_b32_sdwa v6, v2, s8 dst_sel:DWORD dst_unused:UNUSED_PAD src0_sel:WORD_1 src1_sel:DWORD
	v_and_b32_e32 v7, 1, v7
	v_or_b32_sdwa v6, v7, v6 dst_sel:WORD_1 dst_unused:UNUSED_PAD src0_sel:DWORD src1_sel:DWORD
	v_or_b32_e32 v7, 0xe00, v0
	v_and_or_b32 v6, v2, s5, v6
	v_cmp_gt_i32_e64 s[2:3], s6, v7
	v_cndmask_b32_e64 v2, v2, v6, s[2:3]
	v_cmp_eq_f16_e64 s[2:3], s10, v17
	v_cndmask_b32_e64 v8, 0, 1, s[2:3]
	v_cmp_neq_f16_e64 s[2:3], s10, v17
	v_cndmask_b32_e64 v9, 0, 1, s[2:3]
	v_cndmask_b32_e64 v8, v9, v8, s[0:1]
	v_and_b32_sdwa v6, v2, s7 dst_sel:DWORD dst_unused:UNUSED_PAD src0_sel:WORD_1 src1_sel:DWORD
	v_and_b32_sdwa v8, v8, v20 dst_sel:BYTE_1 dst_unused:UNUSED_PAD src0_sel:DWORD src1_sel:DWORD
	v_or_b32_e32 v7, 0xf00, v0
	v_or_b32_sdwa v6, v6, v8 dst_sel:WORD_1 dst_unused:UNUSED_PAD src0_sel:DWORD src1_sel:DWORD
	v_and_or_b32 v6, v2, s5, v6
	v_cmp_gt_i32_e64 s[0:1], s6, v7
	v_cndmask_b32_e64 v2, v2, v6, s[0:1]
	s_and_saveexec_b64 s[0:1], vcc
	s_cbranch_execnz .LBB187_53
; %bb.36:
	s_or_b64 exec, exec, s[0:1]
	v_cmp_gt_i32_e32 vcc, s6, v0
	s_and_saveexec_b64 s[0:1], vcc
	s_cbranch_execnz .LBB187_54
.LBB187_37:
	s_or_b64 exec, exec, s[0:1]
	v_cmp_gt_i32_e32 vcc, s6, v0
	s_and_saveexec_b64 s[0:1], vcc
	s_cbranch_execnz .LBB187_55
.LBB187_38:
	s_or_b64 exec, exec, s[0:1]
	v_cmp_gt_i32_e32 vcc, s6, v0
	s_and_saveexec_b64 s[0:1], vcc
	s_cbranch_execnz .LBB187_56
.LBB187_39:
	s_or_b64 exec, exec, s[0:1]
	v_cmp_gt_i32_e32 vcc, s6, v0
	s_and_saveexec_b64 s[0:1], vcc
	s_cbranch_execnz .LBB187_57
.LBB187_40:
	s_or_b64 exec, exec, s[0:1]
	v_cmp_gt_i32_e32 vcc, s6, v0
	s_and_saveexec_b64 s[0:1], vcc
	s_cbranch_execnz .LBB187_58
.LBB187_41:
	s_or_b64 exec, exec, s[0:1]
	v_cmp_gt_i32_e32 vcc, s6, v0
	s_and_saveexec_b64 s[0:1], vcc
	s_cbranch_execnz .LBB187_59
.LBB187_42:
	s_or_b64 exec, exec, s[0:1]
	v_cmp_gt_i32_e32 vcc, s6, v0
	s_and_saveexec_b64 s[0:1], vcc
	s_cbranch_execnz .LBB187_60
.LBB187_43:
	s_or_b64 exec, exec, s[0:1]
	v_cmp_gt_i32_e32 vcc, s6, v0
	s_and_saveexec_b64 s[0:1], vcc
	s_cbranch_execnz .LBB187_61
.LBB187_44:
	s_or_b64 exec, exec, s[0:1]
	v_cmp_gt_i32_e32 vcc, s6, v0
	s_and_saveexec_b64 s[0:1], vcc
	s_cbranch_execnz .LBB187_62
.LBB187_45:
	s_or_b64 exec, exec, s[0:1]
	v_cmp_gt_i32_e32 vcc, s6, v0
	s_and_saveexec_b64 s[0:1], vcc
	s_cbranch_execnz .LBB187_63
.LBB187_46:
	s_or_b64 exec, exec, s[0:1]
	v_cmp_gt_i32_e32 vcc, s6, v0
	s_and_saveexec_b64 s[0:1], vcc
	s_cbranch_execnz .LBB187_64
.LBB187_47:
	s_or_b64 exec, exec, s[0:1]
	v_cmp_gt_i32_e32 vcc, s6, v0
	s_and_saveexec_b64 s[0:1], vcc
	s_cbranch_execnz .LBB187_65
.LBB187_48:
	s_or_b64 exec, exec, s[0:1]
	v_cmp_gt_i32_e32 vcc, s6, v0
	s_and_saveexec_b64 s[0:1], vcc
	s_cbranch_execnz .LBB187_66
.LBB187_49:
	s_or_b64 exec, exec, s[0:1]
	v_cmp_gt_i32_e32 vcc, s6, v0
	s_and_saveexec_b64 s[0:1], vcc
	s_cbranch_execnz .LBB187_67
.LBB187_50:
	s_or_b64 exec, exec, s[0:1]
	v_cmp_gt_i32_e32 vcc, s6, v0
	s_and_saveexec_b64 s[0:1], vcc
	s_cbranch_execz .LBB187_52
.LBB187_51:
	v_lshrrev_b32_e32 v1, 24, v2
	v_add_u32_e32 v0, s4, v0
	global_store_byte v0, v1, s[12:13]
.LBB187_52:
	s_endpgm
.LBB187_53:
	v_mov_b32_e32 v0, v19
	global_store_byte v1, v5, s[12:13]
	s_or_b64 exec, exec, s[0:1]
	v_cmp_gt_i32_e32 vcc, s6, v0
	s_and_saveexec_b64 s[0:1], vcc
	s_cbranch_execz .LBB187_37
.LBB187_54:
	v_lshrrev_b32_e32 v1, 8, v5
	v_add_u32_e32 v6, s4, v0
	v_add_u32_e32 v0, 0x100, v0
	global_store_byte v6, v1, s[12:13]
	s_or_b64 exec, exec, s[0:1]
	v_cmp_gt_i32_e32 vcc, s6, v0
	s_and_saveexec_b64 s[0:1], vcc
	s_cbranch_execz .LBB187_38
.LBB187_55:
	v_add_u32_e32 v1, s4, v0
	v_add_u32_e32 v0, 0x100, v0
	global_store_byte_d16_hi v1, v5, s[12:13]
	s_or_b64 exec, exec, s[0:1]
	v_cmp_gt_i32_e32 vcc, s6, v0
	s_and_saveexec_b64 s[0:1], vcc
	s_cbranch_execz .LBB187_39
.LBB187_56:
	v_lshrrev_b32_e32 v1, 24, v5
	v_add_u32_e32 v5, s4, v0
	v_add_u32_e32 v0, 0x100, v0
	global_store_byte v5, v1, s[12:13]
	s_or_b64 exec, exec, s[0:1]
	v_cmp_gt_i32_e32 vcc, s6, v0
	s_and_saveexec_b64 s[0:1], vcc
	s_cbranch_execz .LBB187_40
.LBB187_57:
	v_add_u32_e32 v1, s4, v0
	v_add_u32_e32 v0, 0x100, v0
	global_store_byte v1, v4, s[12:13]
	s_or_b64 exec, exec, s[0:1]
	v_cmp_gt_i32_e32 vcc, s6, v0
	s_and_saveexec_b64 s[0:1], vcc
	s_cbranch_execz .LBB187_41
.LBB187_58:
	v_lshrrev_b32_e32 v1, 8, v4
	v_add_u32_e32 v5, s4, v0
	v_add_u32_e32 v0, 0x100, v0
	global_store_byte v5, v1, s[12:13]
	s_or_b64 exec, exec, s[0:1]
	v_cmp_gt_i32_e32 vcc, s6, v0
	s_and_saveexec_b64 s[0:1], vcc
	s_cbranch_execz .LBB187_42
.LBB187_59:
	v_add_u32_e32 v1, s4, v0
	v_add_u32_e32 v0, 0x100, v0
	global_store_byte_d16_hi v1, v4, s[12:13]
	s_or_b64 exec, exec, s[0:1]
	v_cmp_gt_i32_e32 vcc, s6, v0
	s_and_saveexec_b64 s[0:1], vcc
	s_cbranch_execz .LBB187_43
.LBB187_60:
	v_lshrrev_b32_e32 v1, 24, v4
	v_add_u32_e32 v4, s4, v0
	v_add_u32_e32 v0, 0x100, v0
	global_store_byte v4, v1, s[12:13]
	s_or_b64 exec, exec, s[0:1]
	v_cmp_gt_i32_e32 vcc, s6, v0
	s_and_saveexec_b64 s[0:1], vcc
	s_cbranch_execz .LBB187_44
.LBB187_61:
	v_add_u32_e32 v1, s4, v0
	v_add_u32_e32 v0, 0x100, v0
	global_store_byte v1, v3, s[12:13]
	s_or_b64 exec, exec, s[0:1]
	v_cmp_gt_i32_e32 vcc, s6, v0
	s_and_saveexec_b64 s[0:1], vcc
	s_cbranch_execz .LBB187_45
.LBB187_62:
	v_lshrrev_b32_e32 v1, 8, v3
	v_add_u32_e32 v4, s4, v0
	v_add_u32_e32 v0, 0x100, v0
	global_store_byte v4, v1, s[12:13]
	s_or_b64 exec, exec, s[0:1]
	v_cmp_gt_i32_e32 vcc, s6, v0
	s_and_saveexec_b64 s[0:1], vcc
	s_cbranch_execz .LBB187_46
.LBB187_63:
	v_add_u32_e32 v1, s4, v0
	v_add_u32_e32 v0, 0x100, v0
	global_store_byte_d16_hi v1, v3, s[12:13]
	s_or_b64 exec, exec, s[0:1]
	v_cmp_gt_i32_e32 vcc, s6, v0
	s_and_saveexec_b64 s[0:1], vcc
	s_cbranch_execz .LBB187_47
.LBB187_64:
	v_lshrrev_b32_e32 v1, 24, v3
	v_add_u32_e32 v3, s4, v0
	v_add_u32_e32 v0, 0x100, v0
	global_store_byte v3, v1, s[12:13]
	s_or_b64 exec, exec, s[0:1]
	v_cmp_gt_i32_e32 vcc, s6, v0
	s_and_saveexec_b64 s[0:1], vcc
	s_cbranch_execz .LBB187_48
.LBB187_65:
	v_add_u32_e32 v1, s4, v0
	v_add_u32_e32 v0, 0x100, v0
	global_store_byte v1, v2, s[12:13]
	s_or_b64 exec, exec, s[0:1]
	v_cmp_gt_i32_e32 vcc, s6, v0
	s_and_saveexec_b64 s[0:1], vcc
	s_cbranch_execz .LBB187_49
.LBB187_66:
	v_lshrrev_b32_e32 v1, 8, v2
	v_add_u32_e32 v3, s4, v0
	v_add_u32_e32 v0, 0x100, v0
	global_store_byte v3, v1, s[12:13]
	s_or_b64 exec, exec, s[0:1]
	v_cmp_gt_i32_e32 vcc, s6, v0
	s_and_saveexec_b64 s[0:1], vcc
	s_cbranch_execz .LBB187_50
.LBB187_67:
	v_add_u32_e32 v1, s4, v0
	v_add_u32_e32 v0, 0x100, v0
	global_store_byte_d16_hi v1, v2, s[12:13]
	s_or_b64 exec, exec, s[0:1]
	v_cmp_gt_i32_e32 vcc, s6, v0
	s_and_saveexec_b64 s[0:1], vcc
	s_cbranch_execnz .LBB187_51
	s_branch .LBB187_52
	.section	.rodata,"a",@progbits
	.p2align	6, 0x0
	.amdhsa_kernel _ZN2at6native29vectorized_elementwise_kernelILi2ENS0_13AUnaryFunctorIN3c104HalfES4_bNS0_12_GLOBAL__N_116CompareEqFunctorIS4_EEEESt5arrayIPcLm2EEEEviT0_T1_
		.amdhsa_group_segment_fixed_size 0
		.amdhsa_private_segment_fixed_size 0
		.amdhsa_kernarg_size 32
		.amdhsa_user_sgpr_count 6
		.amdhsa_user_sgpr_private_segment_buffer 1
		.amdhsa_user_sgpr_dispatch_ptr 0
		.amdhsa_user_sgpr_queue_ptr 0
		.amdhsa_user_sgpr_kernarg_segment_ptr 1
		.amdhsa_user_sgpr_dispatch_id 0
		.amdhsa_user_sgpr_flat_scratch_init 0
		.amdhsa_user_sgpr_private_segment_size 0
		.amdhsa_uses_dynamic_stack 0
		.amdhsa_system_sgpr_private_segment_wavefront_offset 0
		.amdhsa_system_sgpr_workgroup_id_x 1
		.amdhsa_system_sgpr_workgroup_id_y 0
		.amdhsa_system_sgpr_workgroup_id_z 0
		.amdhsa_system_sgpr_workgroup_info 0
		.amdhsa_system_vgpr_workitem_id 0
		.amdhsa_next_free_vgpr 21
		.amdhsa_next_free_sgpr 16
		.amdhsa_reserve_vcc 1
		.amdhsa_reserve_flat_scratch 0
		.amdhsa_float_round_mode_32 0
		.amdhsa_float_round_mode_16_64 0
		.amdhsa_float_denorm_mode_32 3
		.amdhsa_float_denorm_mode_16_64 3
		.amdhsa_dx10_clamp 1
		.amdhsa_ieee_mode 1
		.amdhsa_fp16_overflow 0
		.amdhsa_exception_fp_ieee_invalid_op 0
		.amdhsa_exception_fp_denorm_src 0
		.amdhsa_exception_fp_ieee_div_zero 0
		.amdhsa_exception_fp_ieee_overflow 0
		.amdhsa_exception_fp_ieee_underflow 0
		.amdhsa_exception_fp_ieee_inexact 0
		.amdhsa_exception_int_div_zero 0
	.end_amdhsa_kernel
	.section	.text._ZN2at6native29vectorized_elementwise_kernelILi2ENS0_13AUnaryFunctorIN3c104HalfES4_bNS0_12_GLOBAL__N_116CompareEqFunctorIS4_EEEESt5arrayIPcLm2EEEEviT0_T1_,"axG",@progbits,_ZN2at6native29vectorized_elementwise_kernelILi2ENS0_13AUnaryFunctorIN3c104HalfES4_bNS0_12_GLOBAL__N_116CompareEqFunctorIS4_EEEESt5arrayIPcLm2EEEEviT0_T1_,comdat
.Lfunc_end187:
	.size	_ZN2at6native29vectorized_elementwise_kernelILi2ENS0_13AUnaryFunctorIN3c104HalfES4_bNS0_12_GLOBAL__N_116CompareEqFunctorIS4_EEEESt5arrayIPcLm2EEEEviT0_T1_, .Lfunc_end187-_ZN2at6native29vectorized_elementwise_kernelILi2ENS0_13AUnaryFunctorIN3c104HalfES4_bNS0_12_GLOBAL__N_116CompareEqFunctorIS4_EEEESt5arrayIPcLm2EEEEviT0_T1_
                                        ; -- End function
	.set _ZN2at6native29vectorized_elementwise_kernelILi2ENS0_13AUnaryFunctorIN3c104HalfES4_bNS0_12_GLOBAL__N_116CompareEqFunctorIS4_EEEESt5arrayIPcLm2EEEEviT0_T1_.num_vgpr, 21
	.set _ZN2at6native29vectorized_elementwise_kernelILi2ENS0_13AUnaryFunctorIN3c104HalfES4_bNS0_12_GLOBAL__N_116CompareEqFunctorIS4_EEEESt5arrayIPcLm2EEEEviT0_T1_.num_agpr, 0
	.set _ZN2at6native29vectorized_elementwise_kernelILi2ENS0_13AUnaryFunctorIN3c104HalfES4_bNS0_12_GLOBAL__N_116CompareEqFunctorIS4_EEEESt5arrayIPcLm2EEEEviT0_T1_.numbered_sgpr, 16
	.set _ZN2at6native29vectorized_elementwise_kernelILi2ENS0_13AUnaryFunctorIN3c104HalfES4_bNS0_12_GLOBAL__N_116CompareEqFunctorIS4_EEEESt5arrayIPcLm2EEEEviT0_T1_.num_named_barrier, 0
	.set _ZN2at6native29vectorized_elementwise_kernelILi2ENS0_13AUnaryFunctorIN3c104HalfES4_bNS0_12_GLOBAL__N_116CompareEqFunctorIS4_EEEESt5arrayIPcLm2EEEEviT0_T1_.private_seg_size, 0
	.set _ZN2at6native29vectorized_elementwise_kernelILi2ENS0_13AUnaryFunctorIN3c104HalfES4_bNS0_12_GLOBAL__N_116CompareEqFunctorIS4_EEEESt5arrayIPcLm2EEEEviT0_T1_.uses_vcc, 1
	.set _ZN2at6native29vectorized_elementwise_kernelILi2ENS0_13AUnaryFunctorIN3c104HalfES4_bNS0_12_GLOBAL__N_116CompareEqFunctorIS4_EEEESt5arrayIPcLm2EEEEviT0_T1_.uses_flat_scratch, 0
	.set _ZN2at6native29vectorized_elementwise_kernelILi2ENS0_13AUnaryFunctorIN3c104HalfES4_bNS0_12_GLOBAL__N_116CompareEqFunctorIS4_EEEESt5arrayIPcLm2EEEEviT0_T1_.has_dyn_sized_stack, 0
	.set _ZN2at6native29vectorized_elementwise_kernelILi2ENS0_13AUnaryFunctorIN3c104HalfES4_bNS0_12_GLOBAL__N_116CompareEqFunctorIS4_EEEESt5arrayIPcLm2EEEEviT0_T1_.has_recursion, 0
	.set _ZN2at6native29vectorized_elementwise_kernelILi2ENS0_13AUnaryFunctorIN3c104HalfES4_bNS0_12_GLOBAL__N_116CompareEqFunctorIS4_EEEESt5arrayIPcLm2EEEEviT0_T1_.has_indirect_call, 0
	.section	.AMDGPU.csdata,"",@progbits
; Kernel info:
; codeLenInByte = 4356
; TotalNumSgprs: 20
; NumVgprs: 21
; ScratchSize: 0
; MemoryBound: 0
; FloatMode: 240
; IeeeMode: 1
; LDSByteSize: 0 bytes/workgroup (compile time only)
; SGPRBlocks: 2
; VGPRBlocks: 5
; NumSGPRsForWavesPerEU: 20
; NumVGPRsForWavesPerEU: 21
; Occupancy: 10
; WaveLimiterHint : 1
; COMPUTE_PGM_RSRC2:SCRATCH_EN: 0
; COMPUTE_PGM_RSRC2:USER_SGPR: 6
; COMPUTE_PGM_RSRC2:TRAP_HANDLER: 0
; COMPUTE_PGM_RSRC2:TGID_X_EN: 1
; COMPUTE_PGM_RSRC2:TGID_Y_EN: 0
; COMPUTE_PGM_RSRC2:TGID_Z_EN: 0
; COMPUTE_PGM_RSRC2:TIDIG_COMP_CNT: 0
	.section	.text._ZN2at6native27unrolled_elementwise_kernelINS0_13AUnaryFunctorIN3c104HalfES4_bNS0_12_GLOBAL__N_116CompareEqFunctorIS4_EEEESt5arrayIPcLm2EELi4E23TrivialOffsetCalculatorILi1EjESD_NS0_6memory15LoadWithoutCastENSE_16StoreWithoutCastEEEviT_T0_T2_T3_T4_T5_,"axG",@progbits,_ZN2at6native27unrolled_elementwise_kernelINS0_13AUnaryFunctorIN3c104HalfES4_bNS0_12_GLOBAL__N_116CompareEqFunctorIS4_EEEESt5arrayIPcLm2EELi4E23TrivialOffsetCalculatorILi1EjESD_NS0_6memory15LoadWithoutCastENSE_16StoreWithoutCastEEEviT_T0_T2_T3_T4_T5_,comdat
	.globl	_ZN2at6native27unrolled_elementwise_kernelINS0_13AUnaryFunctorIN3c104HalfES4_bNS0_12_GLOBAL__N_116CompareEqFunctorIS4_EEEESt5arrayIPcLm2EELi4E23TrivialOffsetCalculatorILi1EjESD_NS0_6memory15LoadWithoutCastENSE_16StoreWithoutCastEEEviT_T0_T2_T3_T4_T5_ ; -- Begin function _ZN2at6native27unrolled_elementwise_kernelINS0_13AUnaryFunctorIN3c104HalfES4_bNS0_12_GLOBAL__N_116CompareEqFunctorIS4_EEEESt5arrayIPcLm2EELi4E23TrivialOffsetCalculatorILi1EjESD_NS0_6memory15LoadWithoutCastENSE_16StoreWithoutCastEEEviT_T0_T2_T3_T4_T5_
	.p2align	8
	.type	_ZN2at6native27unrolled_elementwise_kernelINS0_13AUnaryFunctorIN3c104HalfES4_bNS0_12_GLOBAL__N_116CompareEqFunctorIS4_EEEESt5arrayIPcLm2EELi4E23TrivialOffsetCalculatorILi1EjESD_NS0_6memory15LoadWithoutCastENSE_16StoreWithoutCastEEEviT_T0_T2_T3_T4_T5_,@function
_ZN2at6native27unrolled_elementwise_kernelINS0_13AUnaryFunctorIN3c104HalfES4_bNS0_12_GLOBAL__N_116CompareEqFunctorIS4_EEEESt5arrayIPcLm2EELi4E23TrivialOffsetCalculatorILi1EjESD_NS0_6memory15LoadWithoutCastENSE_16StoreWithoutCastEEEviT_T0_T2_T3_T4_T5_: ; @_ZN2at6native27unrolled_elementwise_kernelINS0_13AUnaryFunctorIN3c104HalfES4_bNS0_12_GLOBAL__N_116CompareEqFunctorIS4_EEEESt5arrayIPcLm2EELi4E23TrivialOffsetCalculatorILi1EjESD_NS0_6memory15LoadWithoutCastENSE_16StoreWithoutCastEEEviT_T0_T2_T3_T4_T5_
; %bb.0:
	s_load_dwordx8 s[8:15], s[4:5], 0x0
	s_lshl_b32 s4, s6, 10
	v_mov_b32_e32 v3, 0
	v_or_b32_e32 v1, s4, v0
	v_mov_b32_e32 v2, 0
	s_waitcnt lgkmcnt(0)
	s_sub_i32 s5, s8, s4
	v_cmp_gt_i32_e32 vcc, s5, v0
	v_mov_b32_e32 v5, v0
	s_and_saveexec_b64 s[2:3], vcc
	s_cbranch_execz .LBB188_2
; %bb.1:
	v_mov_b32_e32 v2, 0
	v_lshlrev_b64 v[4:5], 1, v[1:2]
	v_mov_b32_e32 v2, s15
	v_add_co_u32_e64 v4, s[0:1], s14, v4
	v_addc_co_u32_e64 v5, s[0:1], v2, v5, s[0:1]
	global_load_ushort v2, v[4:5], off
	v_or_b32_e32 v5, 0x100, v0
.LBB188_2:
	s_or_b64 exec, exec, s[2:3]
	v_cmp_gt_i32_e64 s[0:1], s5, v5
	s_and_saveexec_b64 s[2:3], s[0:1]
	s_cbranch_execz .LBB188_4
; %bb.3:
	v_add_u32_e32 v3, s4, v5
	v_mov_b32_e32 v4, 0
	v_lshlrev_b64 v[3:4], 1, v[3:4]
	v_mov_b32_e32 v6, s15
	v_add_co_u32_e64 v3, s[0:1], s14, v3
	v_addc_co_u32_e64 v4, s[0:1], v6, v4, s[0:1]
	global_load_ushort v3, v[3:4], off
	v_add_u32_e32 v5, 0x100, v5
.LBB188_4:
	s_or_b64 exec, exec, s[2:3]
	v_cmp_gt_i32_e64 s[0:1], s5, v5
	v_mov_b32_e32 v4, 0
	v_mov_b32_e32 v6, 0
	s_and_saveexec_b64 s[2:3], s[0:1]
	s_cbranch_execz .LBB188_6
; %bb.5:
	v_add_u32_e32 v6, s4, v5
	v_mov_b32_e32 v7, 0
	v_lshlrev_b64 v[6:7], 1, v[6:7]
	v_mov_b32_e32 v8, s15
	v_add_co_u32_e64 v6, s[0:1], s14, v6
	v_addc_co_u32_e64 v7, s[0:1], v8, v7, s[0:1]
	global_load_ushort v6, v[6:7], off
	v_add_u32_e32 v5, 0x100, v5
.LBB188_6:
	s_or_b64 exec, exec, s[2:3]
	v_cmp_gt_i32_e64 s[0:1], s5, v5
	s_and_saveexec_b64 s[2:3], s[0:1]
	s_cbranch_execz .LBB188_8
; %bb.7:
	v_add_u32_e32 v4, s4, v5
	v_mov_b32_e32 v5, 0
	v_lshlrev_b64 v[4:5], 1, v[4:5]
	v_mov_b32_e32 v7, s15
	v_add_co_u32_e64 v4, s[0:1], s14, v4
	v_addc_co_u32_e64 v5, s[0:1], v7, v5, s[0:1]
	global_load_ushort v4, v[4:5], off
.LBB188_8:
	s_or_b64 exec, exec, s[2:3]
	s_waitcnt vmcnt(0)
	v_cmp_eq_f16_e64 s[0:1], s10, v2
	v_cmp_eq_f16_e64 s[2:3], s10, v3
	s_cmp_eq_u32 s9, 0
	v_cndmask_b32_e64 v5, 0, 1, s[0:1]
	v_cmp_neq_f16_e64 s[0:1], s10, v2
	v_cndmask_b32_e64 v7, 0, 1, s[2:3]
	v_cmp_neq_f16_e64 s[2:3], s10, v3
	v_cndmask_b32_e64 v2, 0, 1, s[0:1]
	s_cselect_b64 s[0:1], -1, 0
	v_cndmask_b32_e64 v3, 0, 1, s[2:3]
	v_cndmask_b32_e64 v2, v2, v5, s[0:1]
	v_cndmask_b32_e64 v5, 0, 1, vcc
	v_cndmask_b32_e64 v3, v3, v7, s[0:1]
	v_mov_b32_e32 v7, 1
	v_and_b32_e32 v2, v5, v2
	v_and_b32_sdwa v3, v3, v7 dst_sel:BYTE_1 dst_unused:UNUSED_PAD src0_sel:DWORD src1_sel:DWORD
	v_or_b32_e32 v5, 0x100, v0
	v_or_b32_e32 v3, v2, v3
	v_and_b32_e32 v3, 0xffff, v3
	v_cmp_gt_i32_e64 s[2:3], s5, v5
	v_cndmask_b32_e64 v2, v2, v3, s[2:3]
	v_cmp_eq_f16_e64 s[2:3], s10, v6
	v_cndmask_b32_e64 v8, 0, 1, s[2:3]
	v_cmp_neq_f16_e64 s[2:3], s10, v6
	v_cndmask_b32_e64 v6, 0, 1, s[2:3]
	v_cndmask_b32_e64 v6, v6, v8, s[0:1]
	v_or_b32_e32 v3, 0x200, v0
	v_and_b32_sdwa v6, v6, v7 dst_sel:WORD_1 dst_unused:UNUSED_PAD src0_sel:DWORD src1_sel:DWORD
	v_or_b32_e32 v6, v2, v6
	v_cmp_gt_i32_e64 s[2:3], s5, v3
	v_cndmask_b32_e64 v2, v2, v6, s[2:3]
	s_movk_i32 s2, 0xff
	v_and_b32_sdwa v3, v2, s2 dst_sel:DWORD dst_unused:UNUSED_PAD src0_sel:WORD_1 src1_sel:DWORD
	v_cmp_eq_f16_e64 s[2:3], s10, v4
	v_cndmask_b32_e64 v8, 0, 1, s[2:3]
	v_cmp_neq_f16_e64 s[2:3], s10, v4
	v_cndmask_b32_e64 v4, 0, 1, s[2:3]
	v_cndmask_b32_e64 v4, v4, v8, s[0:1]
	v_and_b32_sdwa v4, v4, v7 dst_sel:BYTE_1 dst_unused:UNUSED_PAD src0_sel:DWORD src1_sel:DWORD
	s_mov_b32 s6, 0xffff
	v_or_b32_e32 v6, 0x300, v0
	v_or_b32_sdwa v3, v3, v4 dst_sel:WORD_1 dst_unused:UNUSED_PAD src0_sel:DWORD src1_sel:DWORD
	v_and_or_b32 v3, v2, s6, v3
	v_cmp_gt_i32_e64 s[0:1], s5, v6
	v_cndmask_b32_e64 v2, v2, v3, s[0:1]
	s_and_saveexec_b64 s[0:1], vcc
	s_cbranch_execnz .LBB188_13
; %bb.9:
	s_or_b64 exec, exec, s[0:1]
	v_cmp_gt_i32_e32 vcc, s5, v0
	s_and_saveexec_b64 s[0:1], vcc
	s_cbranch_execnz .LBB188_14
.LBB188_10:
	s_or_b64 exec, exec, s[0:1]
	v_cmp_gt_i32_e32 vcc, s5, v0
	s_and_saveexec_b64 s[0:1], vcc
	s_cbranch_execnz .LBB188_15
.LBB188_11:
	s_or_b64 exec, exec, s[0:1]
	v_cmp_gt_i32_e32 vcc, s5, v0
	s_and_saveexec_b64 s[0:1], vcc
	s_cbranch_execnz .LBB188_16
.LBB188_12:
	s_endpgm
.LBB188_13:
	v_mov_b32_e32 v0, v5
	global_store_byte v1, v2, s[12:13]
	s_or_b64 exec, exec, s[0:1]
	v_cmp_gt_i32_e32 vcc, s5, v0
	s_and_saveexec_b64 s[0:1], vcc
	s_cbranch_execz .LBB188_10
.LBB188_14:
	v_add_u32_e32 v1, 0x100, v0
	v_add_u32_e32 v0, s4, v0
	v_lshrrev_b32_e32 v3, 8, v2
	global_store_byte v0, v3, s[12:13]
	v_mov_b32_e32 v0, v1
	s_or_b64 exec, exec, s[0:1]
	v_cmp_gt_i32_e32 vcc, s5, v0
	s_and_saveexec_b64 s[0:1], vcc
	s_cbranch_execz .LBB188_11
.LBB188_15:
	v_add_u32_e32 v1, 0x100, v0
	v_add_u32_e32 v0, s4, v0
	global_store_byte_d16_hi v0, v2, s[12:13]
	v_mov_b32_e32 v0, v1
	s_or_b64 exec, exec, s[0:1]
	v_cmp_gt_i32_e32 vcc, s5, v0
	s_and_saveexec_b64 s[0:1], vcc
	s_cbranch_execz .LBB188_12
.LBB188_16:
	v_add_u32_e32 v0, s4, v0
	v_lshrrev_b32_e32 v1, 24, v2
	global_store_byte v0, v1, s[12:13]
	s_endpgm
	.section	.rodata,"a",@progbits
	.p2align	6, 0x0
	.amdhsa_kernel _ZN2at6native27unrolled_elementwise_kernelINS0_13AUnaryFunctorIN3c104HalfES4_bNS0_12_GLOBAL__N_116CompareEqFunctorIS4_EEEESt5arrayIPcLm2EELi4E23TrivialOffsetCalculatorILi1EjESD_NS0_6memory15LoadWithoutCastENSE_16StoreWithoutCastEEEviT_T0_T2_T3_T4_T5_
		.amdhsa_group_segment_fixed_size 0
		.amdhsa_private_segment_fixed_size 0
		.amdhsa_kernarg_size 36
		.amdhsa_user_sgpr_count 6
		.amdhsa_user_sgpr_private_segment_buffer 1
		.amdhsa_user_sgpr_dispatch_ptr 0
		.amdhsa_user_sgpr_queue_ptr 0
		.amdhsa_user_sgpr_kernarg_segment_ptr 1
		.amdhsa_user_sgpr_dispatch_id 0
		.amdhsa_user_sgpr_flat_scratch_init 0
		.amdhsa_user_sgpr_private_segment_size 0
		.amdhsa_uses_dynamic_stack 0
		.amdhsa_system_sgpr_private_segment_wavefront_offset 0
		.amdhsa_system_sgpr_workgroup_id_x 1
		.amdhsa_system_sgpr_workgroup_id_y 0
		.amdhsa_system_sgpr_workgroup_id_z 0
		.amdhsa_system_sgpr_workgroup_info 0
		.amdhsa_system_vgpr_workitem_id 0
		.amdhsa_next_free_vgpr 9
		.amdhsa_next_free_sgpr 16
		.amdhsa_reserve_vcc 1
		.amdhsa_reserve_flat_scratch 0
		.amdhsa_float_round_mode_32 0
		.amdhsa_float_round_mode_16_64 0
		.amdhsa_float_denorm_mode_32 3
		.amdhsa_float_denorm_mode_16_64 3
		.amdhsa_dx10_clamp 1
		.amdhsa_ieee_mode 1
		.amdhsa_fp16_overflow 0
		.amdhsa_exception_fp_ieee_invalid_op 0
		.amdhsa_exception_fp_denorm_src 0
		.amdhsa_exception_fp_ieee_div_zero 0
		.amdhsa_exception_fp_ieee_overflow 0
		.amdhsa_exception_fp_ieee_underflow 0
		.amdhsa_exception_fp_ieee_inexact 0
		.amdhsa_exception_int_div_zero 0
	.end_amdhsa_kernel
	.section	.text._ZN2at6native27unrolled_elementwise_kernelINS0_13AUnaryFunctorIN3c104HalfES4_bNS0_12_GLOBAL__N_116CompareEqFunctorIS4_EEEESt5arrayIPcLm2EELi4E23TrivialOffsetCalculatorILi1EjESD_NS0_6memory15LoadWithoutCastENSE_16StoreWithoutCastEEEviT_T0_T2_T3_T4_T5_,"axG",@progbits,_ZN2at6native27unrolled_elementwise_kernelINS0_13AUnaryFunctorIN3c104HalfES4_bNS0_12_GLOBAL__N_116CompareEqFunctorIS4_EEEESt5arrayIPcLm2EELi4E23TrivialOffsetCalculatorILi1EjESD_NS0_6memory15LoadWithoutCastENSE_16StoreWithoutCastEEEviT_T0_T2_T3_T4_T5_,comdat
.Lfunc_end188:
	.size	_ZN2at6native27unrolled_elementwise_kernelINS0_13AUnaryFunctorIN3c104HalfES4_bNS0_12_GLOBAL__N_116CompareEqFunctorIS4_EEEESt5arrayIPcLm2EELi4E23TrivialOffsetCalculatorILi1EjESD_NS0_6memory15LoadWithoutCastENSE_16StoreWithoutCastEEEviT_T0_T2_T3_T4_T5_, .Lfunc_end188-_ZN2at6native27unrolled_elementwise_kernelINS0_13AUnaryFunctorIN3c104HalfES4_bNS0_12_GLOBAL__N_116CompareEqFunctorIS4_EEEESt5arrayIPcLm2EELi4E23TrivialOffsetCalculatorILi1EjESD_NS0_6memory15LoadWithoutCastENSE_16StoreWithoutCastEEEviT_T0_T2_T3_T4_T5_
                                        ; -- End function
	.set _ZN2at6native27unrolled_elementwise_kernelINS0_13AUnaryFunctorIN3c104HalfES4_bNS0_12_GLOBAL__N_116CompareEqFunctorIS4_EEEESt5arrayIPcLm2EELi4E23TrivialOffsetCalculatorILi1EjESD_NS0_6memory15LoadWithoutCastENSE_16StoreWithoutCastEEEviT_T0_T2_T3_T4_T5_.num_vgpr, 9
	.set _ZN2at6native27unrolled_elementwise_kernelINS0_13AUnaryFunctorIN3c104HalfES4_bNS0_12_GLOBAL__N_116CompareEqFunctorIS4_EEEESt5arrayIPcLm2EELi4E23TrivialOffsetCalculatorILi1EjESD_NS0_6memory15LoadWithoutCastENSE_16StoreWithoutCastEEEviT_T0_T2_T3_T4_T5_.num_agpr, 0
	.set _ZN2at6native27unrolled_elementwise_kernelINS0_13AUnaryFunctorIN3c104HalfES4_bNS0_12_GLOBAL__N_116CompareEqFunctorIS4_EEEESt5arrayIPcLm2EELi4E23TrivialOffsetCalculatorILi1EjESD_NS0_6memory15LoadWithoutCastENSE_16StoreWithoutCastEEEviT_T0_T2_T3_T4_T5_.numbered_sgpr, 16
	.set _ZN2at6native27unrolled_elementwise_kernelINS0_13AUnaryFunctorIN3c104HalfES4_bNS0_12_GLOBAL__N_116CompareEqFunctorIS4_EEEESt5arrayIPcLm2EELi4E23TrivialOffsetCalculatorILi1EjESD_NS0_6memory15LoadWithoutCastENSE_16StoreWithoutCastEEEviT_T0_T2_T3_T4_T5_.num_named_barrier, 0
	.set _ZN2at6native27unrolled_elementwise_kernelINS0_13AUnaryFunctorIN3c104HalfES4_bNS0_12_GLOBAL__N_116CompareEqFunctorIS4_EEEESt5arrayIPcLm2EELi4E23TrivialOffsetCalculatorILi1EjESD_NS0_6memory15LoadWithoutCastENSE_16StoreWithoutCastEEEviT_T0_T2_T3_T4_T5_.private_seg_size, 0
	.set _ZN2at6native27unrolled_elementwise_kernelINS0_13AUnaryFunctorIN3c104HalfES4_bNS0_12_GLOBAL__N_116CompareEqFunctorIS4_EEEESt5arrayIPcLm2EELi4E23TrivialOffsetCalculatorILi1EjESD_NS0_6memory15LoadWithoutCastENSE_16StoreWithoutCastEEEviT_T0_T2_T3_T4_T5_.uses_vcc, 1
	.set _ZN2at6native27unrolled_elementwise_kernelINS0_13AUnaryFunctorIN3c104HalfES4_bNS0_12_GLOBAL__N_116CompareEqFunctorIS4_EEEESt5arrayIPcLm2EELi4E23TrivialOffsetCalculatorILi1EjESD_NS0_6memory15LoadWithoutCastENSE_16StoreWithoutCastEEEviT_T0_T2_T3_T4_T5_.uses_flat_scratch, 0
	.set _ZN2at6native27unrolled_elementwise_kernelINS0_13AUnaryFunctorIN3c104HalfES4_bNS0_12_GLOBAL__N_116CompareEqFunctorIS4_EEEESt5arrayIPcLm2EELi4E23TrivialOffsetCalculatorILi1EjESD_NS0_6memory15LoadWithoutCastENSE_16StoreWithoutCastEEEviT_T0_T2_T3_T4_T5_.has_dyn_sized_stack, 0
	.set _ZN2at6native27unrolled_elementwise_kernelINS0_13AUnaryFunctorIN3c104HalfES4_bNS0_12_GLOBAL__N_116CompareEqFunctorIS4_EEEESt5arrayIPcLm2EELi4E23TrivialOffsetCalculatorILi1EjESD_NS0_6memory15LoadWithoutCastENSE_16StoreWithoutCastEEEviT_T0_T2_T3_T4_T5_.has_recursion, 0
	.set _ZN2at6native27unrolled_elementwise_kernelINS0_13AUnaryFunctorIN3c104HalfES4_bNS0_12_GLOBAL__N_116CompareEqFunctorIS4_EEEESt5arrayIPcLm2EELi4E23TrivialOffsetCalculatorILi1EjESD_NS0_6memory15LoadWithoutCastENSE_16StoreWithoutCastEEEviT_T0_T2_T3_T4_T5_.has_indirect_call, 0
	.section	.AMDGPU.csdata,"",@progbits
; Kernel info:
; codeLenInByte = 844
; TotalNumSgprs: 20
; NumVgprs: 9
; ScratchSize: 0
; MemoryBound: 0
; FloatMode: 240
; IeeeMode: 1
; LDSByteSize: 0 bytes/workgroup (compile time only)
; SGPRBlocks: 2
; VGPRBlocks: 2
; NumSGPRsForWavesPerEU: 20
; NumVGPRsForWavesPerEU: 9
; Occupancy: 10
; WaveLimiterHint : 0
; COMPUTE_PGM_RSRC2:SCRATCH_EN: 0
; COMPUTE_PGM_RSRC2:USER_SGPR: 6
; COMPUTE_PGM_RSRC2:TRAP_HANDLER: 0
; COMPUTE_PGM_RSRC2:TGID_X_EN: 1
; COMPUTE_PGM_RSRC2:TGID_Y_EN: 0
; COMPUTE_PGM_RSRC2:TGID_Z_EN: 0
; COMPUTE_PGM_RSRC2:TIDIG_COMP_CNT: 0
	.section	.text._ZN2at6native32elementwise_kernel_manual_unrollILi128ELi8EZNS0_22gpu_kernel_impl_nocastINS0_13AUnaryFunctorIN3c104HalfES5_bNS0_12_GLOBAL__N_116CompareEqFunctorIS5_EEEEEEvRNS_18TensorIteratorBaseERKT_EUlibE_EEviT1_,"axG",@progbits,_ZN2at6native32elementwise_kernel_manual_unrollILi128ELi8EZNS0_22gpu_kernel_impl_nocastINS0_13AUnaryFunctorIN3c104HalfES5_bNS0_12_GLOBAL__N_116CompareEqFunctorIS5_EEEEEEvRNS_18TensorIteratorBaseERKT_EUlibE_EEviT1_,comdat
	.globl	_ZN2at6native32elementwise_kernel_manual_unrollILi128ELi8EZNS0_22gpu_kernel_impl_nocastINS0_13AUnaryFunctorIN3c104HalfES5_bNS0_12_GLOBAL__N_116CompareEqFunctorIS5_EEEEEEvRNS_18TensorIteratorBaseERKT_EUlibE_EEviT1_ ; -- Begin function _ZN2at6native32elementwise_kernel_manual_unrollILi128ELi8EZNS0_22gpu_kernel_impl_nocastINS0_13AUnaryFunctorIN3c104HalfES5_bNS0_12_GLOBAL__N_116CompareEqFunctorIS5_EEEEEEvRNS_18TensorIteratorBaseERKT_EUlibE_EEviT1_
	.p2align	8
	.type	_ZN2at6native32elementwise_kernel_manual_unrollILi128ELi8EZNS0_22gpu_kernel_impl_nocastINS0_13AUnaryFunctorIN3c104HalfES5_bNS0_12_GLOBAL__N_116CompareEqFunctorIS5_EEEEEEvRNS_18TensorIteratorBaseERKT_EUlibE_EEviT1_,@function
_ZN2at6native32elementwise_kernel_manual_unrollILi128ELi8EZNS0_22gpu_kernel_impl_nocastINS0_13AUnaryFunctorIN3c104HalfES5_bNS0_12_GLOBAL__N_116CompareEqFunctorIS5_EEEEEEvRNS_18TensorIteratorBaseERKT_EUlibE_EEviT1_: ; @_ZN2at6native32elementwise_kernel_manual_unrollILi128ELi8EZNS0_22gpu_kernel_impl_nocastINS0_13AUnaryFunctorIN3c104HalfES5_bNS0_12_GLOBAL__N_116CompareEqFunctorIS5_EEEEEEvRNS_18TensorIteratorBaseERKT_EUlibE_EEviT1_
; %bb.0:
	s_load_dword s59, s[4:5], 0x0
	s_load_dword s33, s[4:5], 0x8
	s_add_u32 s34, s4, 8
	s_addc_u32 s35, s5, 0
	v_lshl_or_b32 v19, s6, 10, v0
	v_or_b32_e32 v25, 0x380, v19
	s_waitcnt lgkmcnt(0)
	s_add_i32 s58, s33, -1
	s_cmp_gt_u32 s58, 1
	v_cmp_le_i32_e32 vcc, s59, v25
	s_cselect_b64 s[2:3], -1, 0
	s_and_saveexec_b64 s[0:1], vcc
	s_xor_b64 s[40:41], exec, s[0:1]
	s_cbranch_execz .LBB189_7
; %bb.1:
	s_load_dwordx4 s[24:27], s[34:35], 0x4
	s_load_dwordx2 s[44:45], s[34:35], 0x14
	s_load_dwordx2 s[42:43], s[34:35], 0x158
	s_cmp_lg_u32 s33, 0
	s_cselect_b64 s[50:51], -1, 0
	s_add_u32 s48, s34, 0xc4
	s_load_dwordx4 s[28:31], s[34:35], 0xc4
	s_load_dwordx4 s[20:23], s[34:35], 0x148
	s_addc_u32 s49, s35, 0
	s_min_u32 s60, s58, 15
	s_cmp_gt_u32 s33, 1
	s_cselect_b64 s[46:47], -1, 0
	s_waitcnt lgkmcnt(0)
	s_cmp_eq_u32 s42, 0
	s_cselect_b64 s[0:1], -1, 0
	v_cmp_gt_i32_e32 vcc, s59, v19
	s_and_saveexec_b64 s[52:53], vcc
	s_cbranch_execz .LBB189_14
; %bb.2:
	s_andn2_b64 vcc, exec, s[2:3]
	s_cbranch_vccnz .LBB189_21
; %bb.3:
	s_andn2_b64 vcc, exec, s[50:51]
	s_cbranch_vccnz .LBB189_129
; %bb.4:
	s_add_i32 s61, s60, 1
	s_cmp_eq_u32 s58, 2
	s_cbranch_scc1 .LBB189_131
; %bb.5:
	s_and_b32 s42, s61, 28
	v_mov_b32_e32 v2, 0
	s_mov_b32 s62, 0
	s_mov_b64 s[54:55], s[34:35]
	s_mov_b64 s[56:57], s[48:49]
	v_mov_b32_e32 v0, 0
	v_mov_b32_e32 v1, v19
.LBB189_6:                              ; =>This Inner Loop Header: Depth=1
	s_load_dwordx8 s[12:19], s[54:55], 0x4
	s_load_dwordx4 s[36:39], s[54:55], 0x24
	s_load_dwordx8 s[4:11], s[56:57], 0x0
	s_add_u32 s54, s54, 48
	s_addc_u32 s55, s55, 0
	s_waitcnt lgkmcnt(0)
	v_mul_hi_u32 v3, s13, v1
	s_add_i32 s62, s62, 4
	s_add_u32 s56, s56, 32
	s_addc_u32 s57, s57, 0
	v_add_u32_e32 v3, v1, v3
	v_lshrrev_b32_e32 v3, s14, v3
	v_mul_lo_u32 v4, v3, s12
	v_mul_hi_u32 v5, s16, v3
	s_cmp_lg_u32 s42, s62
	v_sub_u32_e32 v1, v1, v4
	v_add_u32_e32 v4, v3, v5
	v_mul_lo_u32 v5, v1, s4
	v_mul_lo_u32 v6, v1, s5
	v_lshrrev_b32_e32 v1, s17, v4
	v_mul_lo_u32 v4, v1, s15
	v_mul_hi_u32 v7, s19, v1
	v_sub_u32_e32 v3, v3, v4
	v_add_u32_e32 v4, v1, v7
	v_lshrrev_b32_e32 v4, s36, v4
	v_mul_hi_u32 v8, s38, v4
	v_mul_lo_u32 v9, v4, s18
	v_mul_lo_u32 v7, v3, s6
	;; [unrolled: 1-line block ×3, first 2 shown]
	v_sub_u32_e32 v9, v1, v9
	v_add_u32_e32 v1, v4, v8
	v_lshrrev_b32_e32 v1, s39, v1
	v_mul_lo_u32 v8, v1, s37
	v_mul_lo_u32 v10, v9, s8
	;; [unrolled: 1-line block ×3, first 2 shown]
	v_add3_u32 v0, v5, v0, v7
	v_sub_u32_e32 v4, v4, v8
	v_mul_lo_u32 v8, v4, s10
	v_mul_lo_u32 v4, v4, s11
	v_add3_u32 v2, v6, v2, v3
	v_add3_u32 v0, v10, v0, v8
	;; [unrolled: 1-line block ×3, first 2 shown]
	s_cbranch_scc1 .LBB189_6
	s_branch .LBB189_132
.LBB189_7:
	s_andn2_saveexec_b64 s[0:1], s[40:41]
	s_cbranch_execz .LBB189_221
.LBB189_8:
	v_cndmask_b32_e64 v0, 0, 1, s[2:3]
	v_cmp_ne_u32_e64 s[0:1], 1, v0
	s_andn2_b64 vcc, exec, s[2:3]
	s_cbranch_vccnz .LBB189_20
; %bb.9:
	s_cmp_lg_u32 s33, 0
	s_mov_b32 s26, 0
	s_cbranch_scc0 .LBB189_23
; %bb.10:
	s_min_u32 s27, s58, 15
	s_add_i32 s27, s27, 1
	s_cmp_eq_u32 s58, 2
	s_cbranch_scc1 .LBB189_24
; %bb.11:
	s_and_b32 s26, s27, 28
	s_add_u32 s2, s34, 0xc4
	s_addc_u32 s3, s35, 0
	v_mov_b32_e32 v2, 0
	s_mov_b32 s28, 0
	s_mov_b64 s[24:25], s[34:35]
	v_mov_b32_e32 v0, 0
	v_mov_b32_e32 v1, v19
.LBB189_12:                             ; =>This Inner Loop Header: Depth=1
	s_load_dwordx8 s[12:19], s[24:25], 0x4
	s_load_dwordx4 s[20:23], s[24:25], 0x24
	s_load_dwordx8 s[4:11], s[2:3], 0x0
	s_add_u32 s24, s24, 48
	s_addc_u32 s25, s25, 0
	s_waitcnt lgkmcnt(0)
	v_mul_hi_u32 v3, s13, v1
	s_add_i32 s28, s28, 4
	s_add_u32 s2, s2, 32
	s_addc_u32 s3, s3, 0
	v_add_u32_e32 v3, v1, v3
	v_lshrrev_b32_e32 v3, s14, v3
	v_mul_lo_u32 v4, v3, s12
	v_mul_hi_u32 v5, s16, v3
	s_cmp_lg_u32 s26, s28
	v_sub_u32_e32 v1, v1, v4
	v_add_u32_e32 v4, v3, v5
	v_mul_lo_u32 v5, v1, s4
	v_mul_lo_u32 v6, v1, s5
	v_lshrrev_b32_e32 v1, s17, v4
	v_mul_lo_u32 v4, v1, s15
	v_mul_hi_u32 v7, s19, v1
	v_sub_u32_e32 v3, v3, v4
	v_add_u32_e32 v4, v1, v7
	v_lshrrev_b32_e32 v4, s20, v4
	v_mul_hi_u32 v8, s22, v4
	v_mul_lo_u32 v9, v4, s18
	v_mul_lo_u32 v7, v3, s6
	;; [unrolled: 1-line block ×3, first 2 shown]
	v_sub_u32_e32 v9, v1, v9
	v_add_u32_e32 v1, v4, v8
	v_lshrrev_b32_e32 v1, s23, v1
	v_mul_lo_u32 v8, v1, s21
	v_mul_lo_u32 v10, v9, s8
	;; [unrolled: 1-line block ×3, first 2 shown]
	v_add3_u32 v0, v5, v0, v7
	v_sub_u32_e32 v4, v4, v8
	v_mul_lo_u32 v8, v4, s10
	v_mul_lo_u32 v4, v4, s11
	v_add3_u32 v2, v6, v2, v3
	v_add3_u32 v0, v10, v0, v8
	;; [unrolled: 1-line block ×3, first 2 shown]
	s_cbranch_scc1 .LBB189_12
; %bb.13:
	s_and_b32 s6, s27, 3
	s_cmp_eq_u32 s6, 0
	s_cbranch_scc0 .LBB189_25
	s_branch .LBB189_27
.LBB189_14:
	s_or_b64 exec, exec, s[52:53]
	v_cmp_gt_i32_e32 vcc, s59, v19
	s_and_saveexec_b64 s[52:53], vcc
	s_cbranch_execz .LBB189_139
.LBB189_15:
	s_andn2_b64 vcc, exec, s[2:3]
	s_cbranch_vccnz .LBB189_22
; %bb.16:
	s_andn2_b64 vcc, exec, s[50:51]
	s_cbranch_vccnz .LBB189_130
; %bb.17:
	s_add_i32 s61, s60, 1
	s_cmp_eq_u32 s58, 2
	s_cbranch_scc1 .LBB189_147
; %bb.18:
	s_and_b32 s42, s61, 28
	v_mov_b32_e32 v2, 0
	s_mov_b32 s62, 0
	s_mov_b64 s[54:55], s[34:35]
	s_mov_b64 s[56:57], s[48:49]
	v_mov_b32_e32 v0, 0
	v_mov_b32_e32 v1, v19
.LBB189_19:                             ; =>This Inner Loop Header: Depth=1
	s_load_dwordx8 s[12:19], s[54:55], 0x4
	s_load_dwordx4 s[36:39], s[54:55], 0x24
	s_load_dwordx8 s[4:11], s[56:57], 0x0
	s_add_u32 s54, s54, 48
	s_addc_u32 s55, s55, 0
	s_waitcnt lgkmcnt(0)
	v_mul_hi_u32 v3, s13, v1
	s_add_i32 s62, s62, 4
	s_add_u32 s56, s56, 32
	s_addc_u32 s57, s57, 0
	v_add_u32_e32 v3, v1, v3
	v_lshrrev_b32_e32 v3, s14, v3
	v_mul_lo_u32 v4, v3, s12
	v_mul_hi_u32 v5, s16, v3
	s_cmp_eq_u32 s42, s62
	v_sub_u32_e32 v1, v1, v4
	v_add_u32_e32 v4, v3, v5
	v_mul_lo_u32 v5, v1, s4
	v_mul_lo_u32 v6, v1, s5
	v_lshrrev_b32_e32 v1, s17, v4
	v_mul_lo_u32 v4, v1, s15
	v_mul_hi_u32 v7, s19, v1
	v_sub_u32_e32 v3, v3, v4
	v_add_u32_e32 v4, v1, v7
	v_lshrrev_b32_e32 v4, s36, v4
	v_mul_hi_u32 v8, s38, v4
	v_mul_lo_u32 v9, v4, s18
	v_mul_lo_u32 v7, v3, s6
	;; [unrolled: 1-line block ×3, first 2 shown]
	v_sub_u32_e32 v9, v1, v9
	v_add_u32_e32 v1, v4, v8
	v_lshrrev_b32_e32 v1, s39, v1
	v_mul_lo_u32 v8, v1, s37
	v_mul_lo_u32 v10, v9, s8
	;; [unrolled: 1-line block ×3, first 2 shown]
	v_add3_u32 v0, v5, v0, v7
	v_sub_u32_e32 v4, v4, v8
	v_mul_lo_u32 v8, v4, s10
	v_mul_lo_u32 v4, v4, s11
	v_add3_u32 v2, v6, v2, v3
	v_add3_u32 v0, v10, v0, v8
	;; [unrolled: 1-line block ×3, first 2 shown]
	s_cbranch_scc0 .LBB189_19
	s_branch .LBB189_148
.LBB189_20:
                                        ; implicit-def: $vgpr0
                                        ; implicit-def: $vgpr2
	s_branch .LBB189_28
.LBB189_21:
                                        ; implicit-def: $vgpr0
                                        ; implicit-def: $vgpr2
	s_branch .LBB189_136
.LBB189_22:
                                        ; implicit-def: $vgpr0
                                        ; implicit-def: $vgpr2
	s_branch .LBB189_152
.LBB189_23:
	v_mov_b32_e32 v0, 0
	v_mov_b32_e32 v2, 0
	s_branch .LBB189_27
.LBB189_24:
	v_mov_b32_e32 v0, 0
	v_mov_b32_e32 v2, 0
	;; [unrolled: 1-line block ×3, first 2 shown]
	s_and_b32 s6, s27, 3
	s_cmp_eq_u32 s6, 0
	s_cbranch_scc1 .LBB189_27
.LBB189_25:
	s_lshl_b32 s2, s26, 3
	s_add_u32 s2, s34, s2
	s_addc_u32 s3, s35, 0
	s_add_u32 s2, s2, 0xc4
	s_addc_u32 s3, s3, 0
	s_mul_i32 s4, s26, 12
	s_add_u32 s4, s34, s4
	s_addc_u32 s5, s35, 0
.LBB189_26:                             ; =>This Inner Loop Header: Depth=1
	s_load_dwordx2 s[8:9], s[4:5], 0x4
	s_load_dword s7, s[4:5], 0xc
	s_load_dwordx2 s[10:11], s[2:3], 0x0
	s_add_u32 s4, s4, 12
	s_addc_u32 s5, s5, 0
	s_waitcnt lgkmcnt(0)
	v_mul_hi_u32 v4, s9, v1
	s_add_u32 s2, s2, 8
	s_addc_u32 s3, s3, 0
	s_add_i32 s6, s6, -1
	v_add_u32_e32 v4, v1, v4
	v_lshrrev_b32_e32 v4, s7, v4
	v_mul_lo_u32 v5, v4, s8
	s_cmp_lg_u32 s6, 0
	v_sub_u32_e32 v5, v1, v5
	v_mad_u64_u32 v[0:1], s[8:9], v5, s10, v[0:1]
	v_mad_u64_u32 v[2:3], s[8:9], v5, s11, v[2:3]
	v_mov_b32_e32 v1, v4
	s_cbranch_scc1 .LBB189_26
.LBB189_27:
	s_cbranch_execnz .LBB189_30
.LBB189_28:
	s_load_dwordx4 s[4:7], s[34:35], 0x4
	s_load_dwordx2 s[2:3], s[34:35], 0xc4
	s_cmp_lt_u32 s33, 2
	s_waitcnt lgkmcnt(0)
	v_mul_hi_u32 v0, s5, v19
	v_add_u32_e32 v0, v19, v0
	v_lshrrev_b32_e32 v1, s6, v0
	v_mul_lo_u32 v0, v1, s4
	v_sub_u32_e32 v2, v19, v0
	v_mul_lo_u32 v0, v2, s2
	v_mul_lo_u32 v2, v2, s3
	s_cbranch_scc1 .LBB189_30
; %bb.29:
	s_load_dwordx4 s[4:7], s[34:35], 0x10
	s_load_dwordx2 s[2:3], s[34:35], 0xcc
	s_waitcnt lgkmcnt(0)
	v_mul_hi_u32 v3, s5, v1
	v_add_u32_e32 v3, v1, v3
	v_lshrrev_b32_e32 v3, s6, v3
	v_mul_lo_u32 v3, v3, s4
	v_sub_u32_e32 v3, v1, v3
	v_mad_u64_u32 v[0:1], s[4:5], v3, s2, v[0:1]
	v_mad_u64_u32 v[2:3], s[2:3], v3, s3, v[2:3]
.LBB189_30:
	s_and_b64 vcc, exec, s[0:1]
	v_add_u32_e32 v1, 0x80, v19
	s_cbranch_vccnz .LBB189_36
; %bb.31:
	s_cmp_lg_u32 s33, 0
	s_mov_b32 s26, 0
	s_cbranch_scc0 .LBB189_37
; %bb.32:
	s_min_u32 s27, s58, 15
	s_add_i32 s27, s27, 1
	s_cmp_eq_u32 s58, 2
	s_cbranch_scc1 .LBB189_38
; %bb.33:
	s_and_b32 s26, s27, 28
	s_add_u32 s2, s34, 0xc4
	s_addc_u32 s3, s35, 0
	v_mov_b32_e32 v5, 0
	s_mov_b32 s28, 0
	s_mov_b64 s[24:25], s[34:35]
	v_mov_b32_e32 v3, 0
	v_mov_b32_e32 v4, v1
.LBB189_34:                             ; =>This Inner Loop Header: Depth=1
	s_load_dwordx8 s[12:19], s[24:25], 0x4
	s_load_dwordx4 s[20:23], s[24:25], 0x24
	s_load_dwordx8 s[4:11], s[2:3], 0x0
	s_add_u32 s24, s24, 48
	s_addc_u32 s25, s25, 0
	s_waitcnt lgkmcnt(0)
	v_mul_hi_u32 v6, s13, v4
	s_add_i32 s28, s28, 4
	s_add_u32 s2, s2, 32
	s_addc_u32 s3, s3, 0
	v_add_u32_e32 v6, v4, v6
	v_lshrrev_b32_e32 v6, s14, v6
	v_mul_lo_u32 v7, v6, s12
	v_mul_hi_u32 v8, s16, v6
	s_cmp_lg_u32 s26, s28
	v_sub_u32_e32 v4, v4, v7
	v_add_u32_e32 v7, v6, v8
	v_mul_lo_u32 v8, v4, s4
	v_mul_lo_u32 v9, v4, s5
	v_lshrrev_b32_e32 v4, s17, v7
	v_mul_lo_u32 v7, v4, s15
	v_mul_hi_u32 v10, s19, v4
	v_sub_u32_e32 v6, v6, v7
	v_add_u32_e32 v7, v4, v10
	v_lshrrev_b32_e32 v7, s20, v7
	v_mul_hi_u32 v11, s22, v7
	v_mul_lo_u32 v12, v7, s18
	v_mul_lo_u32 v10, v6, s6
	;; [unrolled: 1-line block ×3, first 2 shown]
	v_sub_u32_e32 v12, v4, v12
	v_add_u32_e32 v4, v7, v11
	v_lshrrev_b32_e32 v4, s23, v4
	v_mul_lo_u32 v11, v4, s21
	v_mul_lo_u32 v13, v12, s8
	;; [unrolled: 1-line block ×3, first 2 shown]
	v_add3_u32 v3, v8, v3, v10
	v_sub_u32_e32 v7, v7, v11
	v_mul_lo_u32 v11, v7, s10
	v_mul_lo_u32 v7, v7, s11
	v_add3_u32 v5, v9, v5, v6
	v_add3_u32 v3, v13, v3, v11
	;; [unrolled: 1-line block ×3, first 2 shown]
	s_cbranch_scc1 .LBB189_34
; %bb.35:
	s_and_b32 s6, s27, 3
	s_cmp_eq_u32 s6, 0
	s_cbranch_scc0 .LBB189_39
	s_branch .LBB189_41
.LBB189_36:
                                        ; implicit-def: $vgpr3
                                        ; implicit-def: $vgpr5
	s_branch .LBB189_42
.LBB189_37:
	v_mov_b32_e32 v3, 0
	v_mov_b32_e32 v5, 0
	s_branch .LBB189_41
.LBB189_38:
	v_mov_b32_e32 v3, 0
	v_mov_b32_e32 v5, 0
	;; [unrolled: 1-line block ×3, first 2 shown]
	s_and_b32 s6, s27, 3
	s_cmp_eq_u32 s6, 0
	s_cbranch_scc1 .LBB189_41
.LBB189_39:
	s_lshl_b32 s2, s26, 3
	s_add_u32 s2, s34, s2
	s_addc_u32 s3, s35, 0
	s_add_u32 s2, s2, 0xc4
	s_addc_u32 s3, s3, 0
	s_mul_i32 s4, s26, 12
	s_add_u32 s4, s34, s4
	s_addc_u32 s5, s35, 0
.LBB189_40:                             ; =>This Inner Loop Header: Depth=1
	s_load_dwordx2 s[8:9], s[4:5], 0x4
	s_load_dword s7, s[4:5], 0xc
	s_load_dwordx2 s[10:11], s[2:3], 0x0
	s_add_u32 s4, s4, 12
	s_addc_u32 s5, s5, 0
	s_waitcnt lgkmcnt(0)
	v_mul_hi_u32 v7, s9, v4
	s_add_u32 s2, s2, 8
	s_addc_u32 s3, s3, 0
	s_add_i32 s6, s6, -1
	v_add_u32_e32 v7, v4, v7
	v_lshrrev_b32_e32 v7, s7, v7
	v_mul_lo_u32 v8, v7, s8
	s_cmp_lg_u32 s6, 0
	v_sub_u32_e32 v8, v4, v8
	v_mad_u64_u32 v[3:4], s[8:9], v8, s10, v[3:4]
	v_mad_u64_u32 v[5:6], s[8:9], v8, s11, v[5:6]
	v_mov_b32_e32 v4, v7
	s_cbranch_scc1 .LBB189_40
.LBB189_41:
	s_cbranch_execnz .LBB189_44
.LBB189_42:
	s_load_dwordx4 s[4:7], s[34:35], 0x4
	s_load_dwordx2 s[2:3], s[34:35], 0xc4
	s_cmp_lt_u32 s33, 2
	s_waitcnt lgkmcnt(0)
	v_mul_hi_u32 v3, s5, v1
	v_add_u32_e32 v3, v1, v3
	v_lshrrev_b32_e32 v4, s6, v3
	v_mul_lo_u32 v3, v4, s4
	v_sub_u32_e32 v1, v1, v3
	v_mul_lo_u32 v3, v1, s2
	v_mul_lo_u32 v5, v1, s3
	s_cbranch_scc1 .LBB189_44
; %bb.43:
	s_load_dwordx4 s[4:7], s[34:35], 0x10
	s_load_dwordx2 s[2:3], s[34:35], 0xcc
	s_waitcnt lgkmcnt(0)
	v_mul_hi_u32 v1, s5, v4
	v_add_u32_e32 v1, v4, v1
	v_lshrrev_b32_e32 v1, s6, v1
	v_mul_lo_u32 v1, v1, s4
	v_sub_u32_e32 v1, v4, v1
	v_mad_u64_u32 v[3:4], s[4:5], v1, s2, v[3:4]
	v_mad_u64_u32 v[5:6], s[2:3], v1, s3, v[5:6]
.LBB189_44:
	s_and_b64 vcc, exec, s[0:1]
	v_add_u32_e32 v1, 0x100, v19
	s_cbranch_vccnz .LBB189_50
; %bb.45:
	s_cmp_lg_u32 s33, 0
	s_mov_b32 s26, 0
	s_cbranch_scc0 .LBB189_51
; %bb.46:
	s_min_u32 s27, s58, 15
	s_add_i32 s27, s27, 1
	s_cmp_eq_u32 s58, 2
	s_cbranch_scc1 .LBB189_52
; %bb.47:
	s_and_b32 s26, s27, 28
	s_add_u32 s2, s34, 0xc4
	s_addc_u32 s3, s35, 0
	v_mov_b32_e32 v8, 0
	s_mov_b32 s28, 0
	s_mov_b64 s[24:25], s[34:35]
	v_mov_b32_e32 v6, 0
	v_mov_b32_e32 v4, v1
.LBB189_48:                             ; =>This Inner Loop Header: Depth=1
	s_load_dwordx8 s[12:19], s[24:25], 0x4
	s_load_dwordx4 s[20:23], s[24:25], 0x24
	s_load_dwordx8 s[4:11], s[2:3], 0x0
	s_add_u32 s24, s24, 48
	s_addc_u32 s25, s25, 0
	s_waitcnt lgkmcnt(0)
	v_mul_hi_u32 v7, s13, v4
	s_add_i32 s28, s28, 4
	s_add_u32 s2, s2, 32
	s_addc_u32 s3, s3, 0
	v_add_u32_e32 v7, v4, v7
	v_lshrrev_b32_e32 v7, s14, v7
	v_mul_lo_u32 v9, v7, s12
	v_mul_hi_u32 v10, s16, v7
	s_cmp_lg_u32 s26, s28
	v_sub_u32_e32 v4, v4, v9
	v_add_u32_e32 v9, v7, v10
	v_mul_lo_u32 v10, v4, s4
	v_mul_lo_u32 v11, v4, s5
	v_lshrrev_b32_e32 v4, s17, v9
	v_mul_lo_u32 v9, v4, s15
	v_mul_hi_u32 v12, s19, v4
	v_sub_u32_e32 v7, v7, v9
	v_add_u32_e32 v9, v4, v12
	v_lshrrev_b32_e32 v9, s20, v9
	v_mul_hi_u32 v13, s22, v9
	v_mul_lo_u32 v14, v9, s18
	v_mul_lo_u32 v12, v7, s6
	v_mul_lo_u32 v7, v7, s7
	v_sub_u32_e32 v14, v4, v14
	v_add_u32_e32 v4, v9, v13
	v_lshrrev_b32_e32 v4, s23, v4
	v_mul_lo_u32 v13, v4, s21
	v_mul_lo_u32 v15, v14, s8
	;; [unrolled: 1-line block ×3, first 2 shown]
	v_add3_u32 v6, v10, v6, v12
	v_sub_u32_e32 v9, v9, v13
	v_mul_lo_u32 v13, v9, s10
	v_mul_lo_u32 v9, v9, s11
	v_add3_u32 v7, v11, v8, v7
	v_add3_u32 v6, v15, v6, v13
	v_add3_u32 v8, v14, v7, v9
	s_cbranch_scc1 .LBB189_48
; %bb.49:
	s_and_b32 s6, s27, 3
	s_cmp_eq_u32 s6, 0
	s_cbranch_scc0 .LBB189_53
	s_branch .LBB189_55
.LBB189_50:
                                        ; implicit-def: $vgpr6
                                        ; implicit-def: $vgpr8
	s_branch .LBB189_56
.LBB189_51:
	v_mov_b32_e32 v6, 0
	v_mov_b32_e32 v8, 0
	s_branch .LBB189_55
.LBB189_52:
	v_mov_b32_e32 v6, 0
	v_mov_b32_e32 v8, 0
	;; [unrolled: 1-line block ×3, first 2 shown]
	s_and_b32 s6, s27, 3
	s_cmp_eq_u32 s6, 0
	s_cbranch_scc1 .LBB189_55
.LBB189_53:
	s_lshl_b32 s2, s26, 3
	s_add_u32 s2, s34, s2
	s_addc_u32 s3, s35, 0
	s_add_u32 s2, s2, 0xc4
	s_addc_u32 s3, s3, 0
	s_mul_i32 s4, s26, 12
	s_add_u32 s4, s34, s4
	s_addc_u32 s5, s35, 0
.LBB189_54:                             ; =>This Inner Loop Header: Depth=1
	s_load_dwordx2 s[8:9], s[4:5], 0x4
	s_load_dword s7, s[4:5], 0xc
	s_load_dwordx2 s[10:11], s[2:3], 0x0
	s_add_u32 s4, s4, 12
	s_addc_u32 s5, s5, 0
	s_waitcnt lgkmcnt(0)
	v_mul_hi_u32 v7, s9, v4
	s_add_u32 s2, s2, 8
	s_addc_u32 s3, s3, 0
	s_add_i32 s6, s6, -1
	v_add_u32_e32 v7, v4, v7
	v_lshrrev_b32_e32 v10, s7, v7
	v_mul_lo_u32 v7, v10, s8
	s_cmp_lg_u32 s6, 0
	v_sub_u32_e32 v4, v4, v7
	v_mad_u64_u32 v[6:7], s[8:9], v4, s10, v[6:7]
	v_mad_u64_u32 v[8:9], s[8:9], v4, s11, v[8:9]
	v_mov_b32_e32 v4, v10
	s_cbranch_scc1 .LBB189_54
.LBB189_55:
	s_cbranch_execnz .LBB189_58
.LBB189_56:
	s_load_dwordx4 s[4:7], s[34:35], 0x4
	s_load_dwordx2 s[2:3], s[34:35], 0xc4
	s_cmp_lt_u32 s33, 2
	s_waitcnt lgkmcnt(0)
	v_mul_hi_u32 v4, s5, v1
	v_add_u32_e32 v4, v1, v4
	v_lshrrev_b32_e32 v4, s6, v4
	v_mul_lo_u32 v6, v4, s4
	v_sub_u32_e32 v1, v1, v6
	v_mul_lo_u32 v6, v1, s2
	v_mul_lo_u32 v8, v1, s3
	s_cbranch_scc1 .LBB189_58
; %bb.57:
	s_load_dwordx4 s[4:7], s[34:35], 0x10
	s_load_dwordx2 s[2:3], s[34:35], 0xcc
	s_waitcnt lgkmcnt(0)
	v_mul_hi_u32 v1, s5, v4
	v_add_u32_e32 v1, v4, v1
	v_lshrrev_b32_e32 v1, s6, v1
	v_mul_lo_u32 v1, v1, s4
	v_sub_u32_e32 v1, v4, v1
	v_mad_u64_u32 v[6:7], s[4:5], v1, s2, v[6:7]
	v_mad_u64_u32 v[8:9], s[2:3], v1, s3, v[8:9]
.LBB189_58:
	s_and_b64 vcc, exec, s[0:1]
	v_add_u32_e32 v1, 0x180, v19
	s_cbranch_vccnz .LBB189_64
; %bb.59:
	s_cmp_lg_u32 s33, 0
	s_mov_b32 s26, 0
	s_cbranch_scc0 .LBB189_65
; %bb.60:
	s_min_u32 s27, s58, 15
	s_add_i32 s27, s27, 1
	s_cmp_eq_u32 s58, 2
	s_cbranch_scc1 .LBB189_66
; %bb.61:
	s_and_b32 s26, s27, 28
	s_add_u32 s2, s34, 0xc4
	s_addc_u32 s3, s35, 0
	v_mov_b32_e32 v11, 0
	s_mov_b32 s28, 0
	s_mov_b64 s[24:25], s[34:35]
	v_mov_b32_e32 v9, 0
	v_mov_b32_e32 v4, v1
.LBB189_62:                             ; =>This Inner Loop Header: Depth=1
	s_load_dwordx8 s[12:19], s[24:25], 0x4
	s_load_dwordx4 s[20:23], s[24:25], 0x24
	s_load_dwordx8 s[4:11], s[2:3], 0x0
	s_add_u32 s24, s24, 48
	s_addc_u32 s25, s25, 0
	s_waitcnt lgkmcnt(0)
	v_mul_hi_u32 v7, s13, v4
	s_add_i32 s28, s28, 4
	s_add_u32 s2, s2, 32
	s_addc_u32 s3, s3, 0
	v_add_u32_e32 v7, v4, v7
	v_lshrrev_b32_e32 v7, s14, v7
	v_mul_lo_u32 v10, v7, s12
	v_mul_hi_u32 v12, s16, v7
	s_cmp_lg_u32 s26, s28
	v_sub_u32_e32 v4, v4, v10
	v_add_u32_e32 v10, v7, v12
	v_mul_lo_u32 v12, v4, s4
	v_mul_lo_u32 v13, v4, s5
	v_lshrrev_b32_e32 v4, s17, v10
	v_mul_lo_u32 v10, v4, s15
	v_mul_hi_u32 v14, s19, v4
	v_sub_u32_e32 v7, v7, v10
	v_add_u32_e32 v10, v4, v14
	v_lshrrev_b32_e32 v10, s20, v10
	v_mul_hi_u32 v15, s22, v10
	v_mul_lo_u32 v16, v10, s18
	v_mul_lo_u32 v14, v7, s6
	;; [unrolled: 1-line block ×3, first 2 shown]
	v_sub_u32_e32 v16, v4, v16
	v_add_u32_e32 v4, v10, v15
	v_lshrrev_b32_e32 v4, s23, v4
	v_mul_lo_u32 v15, v4, s21
	v_mul_lo_u32 v17, v16, s8
	;; [unrolled: 1-line block ×3, first 2 shown]
	v_add3_u32 v9, v12, v9, v14
	v_sub_u32_e32 v10, v10, v15
	v_mul_lo_u32 v15, v10, s10
	v_mul_lo_u32 v10, v10, s11
	v_add3_u32 v7, v13, v11, v7
	v_add3_u32 v9, v17, v9, v15
	;; [unrolled: 1-line block ×3, first 2 shown]
	s_cbranch_scc1 .LBB189_62
; %bb.63:
	s_and_b32 s6, s27, 3
	s_cmp_eq_u32 s6, 0
	s_cbranch_scc0 .LBB189_67
	s_branch .LBB189_69
.LBB189_64:
                                        ; implicit-def: $vgpr9
                                        ; implicit-def: $vgpr11
	s_branch .LBB189_70
.LBB189_65:
	v_mov_b32_e32 v9, 0
	v_mov_b32_e32 v11, 0
	s_branch .LBB189_69
.LBB189_66:
	v_mov_b32_e32 v9, 0
	v_mov_b32_e32 v11, 0
	;; [unrolled: 1-line block ×3, first 2 shown]
	s_and_b32 s6, s27, 3
	s_cmp_eq_u32 s6, 0
	s_cbranch_scc1 .LBB189_69
.LBB189_67:
	s_lshl_b32 s2, s26, 3
	s_add_u32 s2, s34, s2
	s_addc_u32 s3, s35, 0
	s_add_u32 s2, s2, 0xc4
	s_addc_u32 s3, s3, 0
	s_mul_i32 s4, s26, 12
	s_add_u32 s4, s34, s4
	s_addc_u32 s5, s35, 0
.LBB189_68:                             ; =>This Inner Loop Header: Depth=1
	s_load_dwordx2 s[8:9], s[4:5], 0x4
	s_load_dword s7, s[4:5], 0xc
	s_load_dwordx2 s[10:11], s[2:3], 0x0
	s_add_u32 s4, s4, 12
	s_addc_u32 s5, s5, 0
	s_waitcnt lgkmcnt(0)
	v_mul_hi_u32 v7, s9, v4
	s_add_u32 s2, s2, 8
	s_addc_u32 s3, s3, 0
	s_add_i32 s6, s6, -1
	v_add_u32_e32 v7, v4, v7
	v_lshrrev_b32_e32 v7, s7, v7
	v_mul_lo_u32 v10, v7, s8
	s_cmp_lg_u32 s6, 0
	v_sub_u32_e32 v4, v4, v10
	v_mad_u64_u32 v[9:10], s[8:9], v4, s10, v[9:10]
	v_mad_u64_u32 v[11:12], s[8:9], v4, s11, v[11:12]
	v_mov_b32_e32 v4, v7
	s_cbranch_scc1 .LBB189_68
.LBB189_69:
	s_cbranch_execnz .LBB189_72
.LBB189_70:
	s_load_dwordx4 s[4:7], s[34:35], 0x4
	s_load_dwordx2 s[2:3], s[34:35], 0xc4
	s_cmp_lt_u32 s33, 2
	s_waitcnt lgkmcnt(0)
	v_mul_hi_u32 v4, s5, v1
	v_add_u32_e32 v4, v1, v4
	v_lshrrev_b32_e32 v4, s6, v4
	v_mul_lo_u32 v7, v4, s4
	v_sub_u32_e32 v1, v1, v7
	v_mul_lo_u32 v9, v1, s2
	v_mul_lo_u32 v11, v1, s3
	s_cbranch_scc1 .LBB189_72
; %bb.71:
	s_load_dwordx4 s[4:7], s[34:35], 0x10
	s_load_dwordx2 s[2:3], s[34:35], 0xcc
	s_waitcnt lgkmcnt(0)
	v_mul_hi_u32 v1, s5, v4
	v_add_u32_e32 v1, v4, v1
	v_lshrrev_b32_e32 v1, s6, v1
	v_mul_lo_u32 v1, v1, s4
	v_sub_u32_e32 v1, v4, v1
	v_mad_u64_u32 v[9:10], s[4:5], v1, s2, v[9:10]
	v_mad_u64_u32 v[11:12], s[2:3], v1, s3, v[11:12]
.LBB189_72:
	s_and_b64 vcc, exec, s[0:1]
	v_add_u32_e32 v1, 0x200, v19
	s_cbranch_vccnz .LBB189_78
; %bb.73:
	s_cmp_lg_u32 s33, 0
	s_mov_b32 s26, 0
	s_cbranch_scc0 .LBB189_79
; %bb.74:
	s_min_u32 s27, s58, 15
	s_add_i32 s27, s27, 1
	s_cmp_eq_u32 s58, 2
	s_cbranch_scc1 .LBB189_80
; %bb.75:
	s_and_b32 s26, s27, 28
	s_add_u32 s2, s34, 0xc4
	s_addc_u32 s3, s35, 0
	v_mov_b32_e32 v14, 0
	s_mov_b32 s28, 0
	s_mov_b64 s[24:25], s[34:35]
	v_mov_b32_e32 v12, 0
	v_mov_b32_e32 v4, v1
.LBB189_76:                             ; =>This Inner Loop Header: Depth=1
	s_load_dwordx8 s[12:19], s[24:25], 0x4
	s_load_dwordx4 s[20:23], s[24:25], 0x24
	s_load_dwordx8 s[4:11], s[2:3], 0x0
	s_add_u32 s24, s24, 48
	s_addc_u32 s25, s25, 0
	s_waitcnt lgkmcnt(0)
	v_mul_hi_u32 v7, s13, v4
	s_add_i32 s28, s28, 4
	s_add_u32 s2, s2, 32
	s_addc_u32 s3, s3, 0
	v_add_u32_e32 v7, v4, v7
	v_lshrrev_b32_e32 v7, s14, v7
	v_mul_lo_u32 v10, v7, s12
	v_mul_hi_u32 v13, s16, v7
	s_cmp_lg_u32 s26, s28
	v_sub_u32_e32 v4, v4, v10
	v_add_u32_e32 v10, v7, v13
	v_mul_lo_u32 v13, v4, s4
	v_mul_lo_u32 v15, v4, s5
	v_lshrrev_b32_e32 v4, s17, v10
	v_mul_lo_u32 v10, v4, s15
	v_mul_hi_u32 v16, s19, v4
	v_sub_u32_e32 v7, v7, v10
	v_add_u32_e32 v10, v4, v16
	v_lshrrev_b32_e32 v10, s20, v10
	v_mul_hi_u32 v17, s22, v10
	v_mul_lo_u32 v18, v10, s18
	v_mul_lo_u32 v16, v7, s6
	;; [unrolled: 1-line block ×3, first 2 shown]
	v_sub_u32_e32 v18, v4, v18
	v_add_u32_e32 v4, v10, v17
	v_lshrrev_b32_e32 v4, s23, v4
	v_mul_lo_u32 v17, v4, s21
	v_mul_lo_u32 v20, v18, s8
	;; [unrolled: 1-line block ×3, first 2 shown]
	v_add3_u32 v12, v13, v12, v16
	v_sub_u32_e32 v10, v10, v17
	v_mul_lo_u32 v17, v10, s10
	v_mul_lo_u32 v10, v10, s11
	v_add3_u32 v7, v15, v14, v7
	v_add3_u32 v12, v20, v12, v17
	;; [unrolled: 1-line block ×3, first 2 shown]
	s_cbranch_scc1 .LBB189_76
; %bb.77:
	s_and_b32 s6, s27, 3
	s_cmp_eq_u32 s6, 0
	s_cbranch_scc0 .LBB189_81
	s_branch .LBB189_83
.LBB189_78:
                                        ; implicit-def: $vgpr12
                                        ; implicit-def: $vgpr14
	s_branch .LBB189_84
.LBB189_79:
	v_mov_b32_e32 v12, 0
	v_mov_b32_e32 v14, 0
	s_branch .LBB189_83
.LBB189_80:
	v_mov_b32_e32 v12, 0
	v_mov_b32_e32 v14, 0
	;; [unrolled: 1-line block ×3, first 2 shown]
	s_and_b32 s6, s27, 3
	s_cmp_eq_u32 s6, 0
	s_cbranch_scc1 .LBB189_83
.LBB189_81:
	s_lshl_b32 s2, s26, 3
	s_add_u32 s2, s34, s2
	s_addc_u32 s3, s35, 0
	s_add_u32 s2, s2, 0xc4
	s_addc_u32 s3, s3, 0
	s_mul_i32 s4, s26, 12
	s_add_u32 s4, s34, s4
	s_addc_u32 s5, s35, 0
.LBB189_82:                             ; =>This Inner Loop Header: Depth=1
	s_load_dwordx2 s[8:9], s[4:5], 0x4
	s_load_dword s7, s[4:5], 0xc
	s_load_dwordx2 s[10:11], s[2:3], 0x0
	s_add_u32 s4, s4, 12
	s_addc_u32 s5, s5, 0
	s_waitcnt lgkmcnt(0)
	v_mul_hi_u32 v7, s9, v4
	s_add_u32 s2, s2, 8
	s_addc_u32 s3, s3, 0
	s_add_i32 s6, s6, -1
	v_add_u32_e32 v7, v4, v7
	v_lshrrev_b32_e32 v7, s7, v7
	v_mul_lo_u32 v10, v7, s8
	s_cmp_lg_u32 s6, 0
	v_sub_u32_e32 v4, v4, v10
	v_mad_u64_u32 v[12:13], s[8:9], v4, s10, v[12:13]
	v_mad_u64_u32 v[14:15], s[8:9], v4, s11, v[14:15]
	v_mov_b32_e32 v4, v7
	s_cbranch_scc1 .LBB189_82
.LBB189_83:
	s_cbranch_execnz .LBB189_86
.LBB189_84:
	s_load_dwordx4 s[4:7], s[34:35], 0x4
	s_load_dwordx2 s[2:3], s[34:35], 0xc4
	s_cmp_lt_u32 s33, 2
	s_waitcnt lgkmcnt(0)
	v_mul_hi_u32 v4, s5, v1
	v_add_u32_e32 v4, v1, v4
	v_lshrrev_b32_e32 v4, s6, v4
	v_mul_lo_u32 v7, v4, s4
	v_sub_u32_e32 v1, v1, v7
	v_mul_lo_u32 v12, v1, s2
	v_mul_lo_u32 v14, v1, s3
	s_cbranch_scc1 .LBB189_86
; %bb.85:
	s_load_dwordx4 s[4:7], s[34:35], 0x10
	s_load_dwordx2 s[2:3], s[34:35], 0xcc
	s_waitcnt lgkmcnt(0)
	v_mul_hi_u32 v1, s5, v4
	v_add_u32_e32 v1, v4, v1
	v_lshrrev_b32_e32 v1, s6, v1
	v_mul_lo_u32 v1, v1, s4
	v_sub_u32_e32 v1, v4, v1
	v_mad_u64_u32 v[12:13], s[4:5], v1, s2, v[12:13]
	v_mad_u64_u32 v[14:15], s[2:3], v1, s3, v[14:15]
.LBB189_86:
	s_and_b64 vcc, exec, s[0:1]
	v_add_u32_e32 v1, 0x280, v19
	s_cbranch_vccnz .LBB189_92
; %bb.87:
	s_cmp_lg_u32 s33, 0
	s_mov_b32 s26, 0
	s_cbranch_scc0 .LBB189_93
; %bb.88:
	s_min_u32 s27, s58, 15
	s_add_i32 s27, s27, 1
	s_cmp_eq_u32 s58, 2
	s_cbranch_scc1 .LBB189_94
; %bb.89:
	s_and_b32 s26, s27, 28
	s_add_u32 s2, s34, 0xc4
	s_addc_u32 s3, s35, 0
	v_mov_b32_e32 v17, 0
	s_mov_b32 s28, 0
	s_mov_b64 s[24:25], s[34:35]
	v_mov_b32_e32 v15, 0
	v_mov_b32_e32 v4, v1
.LBB189_90:                             ; =>This Inner Loop Header: Depth=1
	s_load_dwordx8 s[12:19], s[24:25], 0x4
	s_load_dwordx4 s[20:23], s[24:25], 0x24
	s_load_dwordx8 s[4:11], s[2:3], 0x0
	s_add_u32 s24, s24, 48
	s_addc_u32 s25, s25, 0
	s_waitcnt lgkmcnt(0)
	v_mul_hi_u32 v7, s13, v4
	s_add_i32 s28, s28, 4
	s_add_u32 s2, s2, 32
	s_addc_u32 s3, s3, 0
	v_add_u32_e32 v7, v4, v7
	v_lshrrev_b32_e32 v7, s14, v7
	v_mul_lo_u32 v10, v7, s12
	v_mul_hi_u32 v13, s16, v7
	s_cmp_lg_u32 s26, s28
	v_sub_u32_e32 v4, v4, v10
	v_add_u32_e32 v10, v7, v13
	v_mul_lo_u32 v13, v4, s4
	v_mul_lo_u32 v16, v4, s5
	v_lshrrev_b32_e32 v4, s17, v10
	v_mul_lo_u32 v10, v4, s15
	v_mul_hi_u32 v18, s19, v4
	v_sub_u32_e32 v7, v7, v10
	v_add_u32_e32 v10, v4, v18
	v_lshrrev_b32_e32 v10, s20, v10
	v_mul_hi_u32 v20, s22, v10
	v_mul_lo_u32 v21, v10, s18
	v_mul_lo_u32 v18, v7, s6
	;; [unrolled: 1-line block ×3, first 2 shown]
	v_sub_u32_e32 v21, v4, v21
	v_add_u32_e32 v4, v10, v20
	v_lshrrev_b32_e32 v4, s23, v4
	v_mul_lo_u32 v20, v4, s21
	v_mul_lo_u32 v22, v21, s8
	;; [unrolled: 1-line block ×3, first 2 shown]
	v_add3_u32 v13, v13, v15, v18
	v_sub_u32_e32 v10, v10, v20
	v_mul_lo_u32 v20, v10, s10
	v_mul_lo_u32 v10, v10, s11
	v_add3_u32 v7, v16, v17, v7
	v_add3_u32 v15, v22, v13, v20
	;; [unrolled: 1-line block ×3, first 2 shown]
	s_cbranch_scc1 .LBB189_90
; %bb.91:
	s_and_b32 s6, s27, 3
	s_cmp_eq_u32 s6, 0
	s_cbranch_scc0 .LBB189_95
	s_branch .LBB189_97
.LBB189_92:
                                        ; implicit-def: $vgpr15
                                        ; implicit-def: $vgpr17
	s_branch .LBB189_98
.LBB189_93:
	v_mov_b32_e32 v15, 0
	v_mov_b32_e32 v17, 0
	s_branch .LBB189_97
.LBB189_94:
	v_mov_b32_e32 v15, 0
	v_mov_b32_e32 v17, 0
	;; [unrolled: 1-line block ×3, first 2 shown]
	s_and_b32 s6, s27, 3
	s_cmp_eq_u32 s6, 0
	s_cbranch_scc1 .LBB189_97
.LBB189_95:
	s_lshl_b32 s2, s26, 3
	s_add_u32 s2, s34, s2
	s_addc_u32 s3, s35, 0
	s_add_u32 s2, s2, 0xc4
	s_addc_u32 s3, s3, 0
	s_mul_i32 s4, s26, 12
	s_add_u32 s4, s34, s4
	s_addc_u32 s5, s35, 0
.LBB189_96:                             ; =>This Inner Loop Header: Depth=1
	s_load_dwordx2 s[8:9], s[4:5], 0x4
	s_load_dword s7, s[4:5], 0xc
	s_load_dwordx2 s[10:11], s[2:3], 0x0
	s_add_u32 s4, s4, 12
	s_addc_u32 s5, s5, 0
	s_waitcnt lgkmcnt(0)
	v_mul_hi_u32 v7, s9, v4
	s_add_u32 s2, s2, 8
	s_addc_u32 s3, s3, 0
	s_add_i32 s6, s6, -1
	v_add_u32_e32 v7, v4, v7
	v_lshrrev_b32_e32 v7, s7, v7
	v_mul_lo_u32 v10, v7, s8
	s_cmp_lg_u32 s6, 0
	v_sub_u32_e32 v4, v4, v10
	v_mad_u64_u32 v[15:16], s[8:9], v4, s10, v[15:16]
	v_mad_u64_u32 v[17:18], s[8:9], v4, s11, v[17:18]
	v_mov_b32_e32 v4, v7
	s_cbranch_scc1 .LBB189_96
.LBB189_97:
	s_cbranch_execnz .LBB189_100
.LBB189_98:
	s_load_dwordx4 s[4:7], s[34:35], 0x4
	s_load_dwordx2 s[2:3], s[34:35], 0xc4
	s_cmp_lt_u32 s33, 2
	s_waitcnt lgkmcnt(0)
	v_mul_hi_u32 v4, s5, v1
	v_add_u32_e32 v4, v1, v4
	v_lshrrev_b32_e32 v4, s6, v4
	v_mul_lo_u32 v7, v4, s4
	v_sub_u32_e32 v1, v1, v7
	v_mul_lo_u32 v15, v1, s2
	v_mul_lo_u32 v17, v1, s3
	s_cbranch_scc1 .LBB189_100
; %bb.99:
	s_load_dwordx4 s[4:7], s[34:35], 0x10
	s_load_dwordx2 s[2:3], s[34:35], 0xcc
	s_waitcnt lgkmcnt(0)
	v_mul_hi_u32 v1, s5, v4
	v_add_u32_e32 v1, v4, v1
	v_lshrrev_b32_e32 v1, s6, v1
	v_mul_lo_u32 v1, v1, s4
	v_sub_u32_e32 v1, v4, v1
	v_mad_u64_u32 v[15:16], s[4:5], v1, s2, v[15:16]
	v_mad_u64_u32 v[17:18], s[2:3], v1, s3, v[17:18]
.LBB189_100:
	s_and_b64 vcc, exec, s[0:1]
	v_add_u32_e32 v1, 0x300, v19
	s_cbranch_vccnz .LBB189_106
; %bb.101:
	s_cmp_lg_u32 s33, 0
	s_mov_b32 s26, 0
	s_cbranch_scc0 .LBB189_107
; %bb.102:
	s_min_u32 s27, s58, 15
	s_add_i32 s27, s27, 1
	s_cmp_eq_u32 s58, 2
	s_cbranch_scc1 .LBB189_108
; %bb.103:
	s_and_b32 s26, s27, 28
	s_add_u32 s2, s34, 0xc4
	s_addc_u32 s3, s35, 0
	v_mov_b32_e32 v20, 0
	s_mov_b32 s28, 0
	s_mov_b64 s[24:25], s[34:35]
	v_mov_b32_e32 v18, 0
	v_mov_b32_e32 v4, v1
.LBB189_104:                            ; =>This Inner Loop Header: Depth=1
	s_load_dwordx8 s[12:19], s[24:25], 0x4
	s_load_dwordx4 s[20:23], s[24:25], 0x24
	s_load_dwordx8 s[4:11], s[2:3], 0x0
	s_add_u32 s24, s24, 48
	s_addc_u32 s25, s25, 0
	s_waitcnt lgkmcnt(0)
	v_mul_hi_u32 v7, s13, v4
	s_add_i32 s28, s28, 4
	s_add_u32 s2, s2, 32
	s_addc_u32 s3, s3, 0
	v_add_u32_e32 v7, v4, v7
	v_lshrrev_b32_e32 v7, s14, v7
	v_mul_lo_u32 v10, v7, s12
	v_mul_hi_u32 v13, s16, v7
	s_cmp_lg_u32 s26, s28
	v_sub_u32_e32 v4, v4, v10
	v_add_u32_e32 v10, v7, v13
	v_mul_lo_u32 v13, v4, s4
	v_mul_lo_u32 v16, v4, s5
	v_lshrrev_b32_e32 v4, s17, v10
	v_mul_lo_u32 v10, v4, s15
	v_mul_hi_u32 v19, s19, v4
	v_sub_u32_e32 v7, v7, v10
	v_add_u32_e32 v10, v4, v19
	v_lshrrev_b32_e32 v10, s20, v10
	v_mul_hi_u32 v21, s22, v10
	v_mul_lo_u32 v22, v10, s18
	v_mul_lo_u32 v19, v7, s6
	;; [unrolled: 1-line block ×3, first 2 shown]
	v_sub_u32_e32 v22, v4, v22
	v_add_u32_e32 v4, v10, v21
	v_lshrrev_b32_e32 v4, s23, v4
	v_mul_lo_u32 v21, v4, s21
	v_mul_lo_u32 v23, v22, s8
	;; [unrolled: 1-line block ×3, first 2 shown]
	v_add3_u32 v13, v13, v18, v19
	v_sub_u32_e32 v10, v10, v21
	v_mul_lo_u32 v21, v10, s10
	v_mul_lo_u32 v10, v10, s11
	v_add3_u32 v7, v16, v20, v7
	v_add3_u32 v18, v23, v13, v21
	;; [unrolled: 1-line block ×3, first 2 shown]
	s_cbranch_scc1 .LBB189_104
; %bb.105:
	s_and_b32 s6, s27, 3
	s_cmp_eq_u32 s6, 0
	s_cbranch_scc0 .LBB189_109
	s_branch .LBB189_111
.LBB189_106:
                                        ; implicit-def: $vgpr18
                                        ; implicit-def: $vgpr20
	s_branch .LBB189_112
.LBB189_107:
	v_mov_b32_e32 v18, 0
	v_mov_b32_e32 v20, 0
	s_branch .LBB189_111
.LBB189_108:
	v_mov_b32_e32 v18, 0
	v_mov_b32_e32 v20, 0
	;; [unrolled: 1-line block ×3, first 2 shown]
	s_and_b32 s6, s27, 3
	s_cmp_eq_u32 s6, 0
	s_cbranch_scc1 .LBB189_111
.LBB189_109:
	s_lshl_b32 s2, s26, 3
	s_add_u32 s2, s34, s2
	s_addc_u32 s3, s35, 0
	s_add_u32 s2, s2, 0xc4
	s_addc_u32 s3, s3, 0
	s_mul_i32 s4, s26, 12
	s_add_u32 s4, s34, s4
	s_addc_u32 s5, s35, 0
.LBB189_110:                            ; =>This Inner Loop Header: Depth=1
	s_load_dwordx2 s[8:9], s[4:5], 0x4
	s_load_dword s7, s[4:5], 0xc
	s_load_dwordx2 s[10:11], s[2:3], 0x0
	s_add_u32 s4, s4, 12
	s_addc_u32 s5, s5, 0
	s_waitcnt lgkmcnt(0)
	v_mul_hi_u32 v7, s9, v4
	s_add_u32 s2, s2, 8
	s_addc_u32 s3, s3, 0
	s_add_i32 s6, s6, -1
	v_add_u32_e32 v7, v4, v7
	v_lshrrev_b32_e32 v7, s7, v7
	v_mul_lo_u32 v10, v7, s8
	s_cmp_lg_u32 s6, 0
	v_sub_u32_e32 v4, v4, v10
	v_mad_u64_u32 v[18:19], s[8:9], v4, s10, v[18:19]
	v_mad_u64_u32 v[20:21], s[8:9], v4, s11, v[20:21]
	v_mov_b32_e32 v4, v7
	s_cbranch_scc1 .LBB189_110
.LBB189_111:
	s_cbranch_execnz .LBB189_114
.LBB189_112:
	s_load_dwordx4 s[4:7], s[34:35], 0x4
	s_load_dwordx2 s[2:3], s[34:35], 0xc4
	s_cmp_lt_u32 s33, 2
	s_waitcnt lgkmcnt(0)
	v_mul_hi_u32 v4, s5, v1
	v_add_u32_e32 v4, v1, v4
	v_lshrrev_b32_e32 v4, s6, v4
	v_mul_lo_u32 v7, v4, s4
	v_sub_u32_e32 v1, v1, v7
	v_mul_lo_u32 v18, v1, s2
	v_mul_lo_u32 v20, v1, s3
	s_cbranch_scc1 .LBB189_114
; %bb.113:
	s_load_dwordx4 s[4:7], s[34:35], 0x10
	s_load_dwordx2 s[2:3], s[34:35], 0xcc
	s_waitcnt lgkmcnt(0)
	v_mul_hi_u32 v1, s5, v4
	v_add_u32_e32 v1, v4, v1
	v_lshrrev_b32_e32 v1, s6, v1
	v_mul_lo_u32 v1, v1, s4
	v_sub_u32_e32 v1, v4, v1
	v_mad_u64_u32 v[18:19], s[4:5], v1, s2, v[18:19]
	v_mad_u64_u32 v[20:21], s[2:3], v1, s3, v[20:21]
.LBB189_114:
	s_and_b64 vcc, exec, s[0:1]
	s_cbranch_vccnz .LBB189_120
; %bb.115:
	s_cmp_lg_u32 s33, 0
	s_mov_b32 s24, 0
	s_cbranch_scc0 .LBB189_121
; %bb.116:
	s_min_u32 s25, s58, 15
	s_add_i32 s25, s25, 1
	s_cmp_eq_u32 s58, 2
	s_cbranch_scc1 .LBB189_122
; %bb.117:
	s_and_b32 s24, s25, 28
	s_add_u32 s20, s34, 0xc4
	s_addc_u32 s21, s35, 0
	v_mov_b32_e32 v23, 0
	s_mov_b32 s26, 0
	s_mov_b64 s[22:23], s[34:35]
	v_mov_b32_e32 v21, 0
	v_mov_b32_e32 v1, v25
.LBB189_118:                            ; =>This Inner Loop Header: Depth=1
	s_load_dwordx8 s[8:15], s[22:23], 0x4
	s_load_dwordx4 s[16:19], s[22:23], 0x24
	s_load_dwordx8 s[0:7], s[20:21], 0x0
	s_add_u32 s22, s22, 48
	s_addc_u32 s23, s23, 0
	s_waitcnt lgkmcnt(0)
	v_mul_hi_u32 v4, s9, v1
	s_add_i32 s26, s26, 4
	s_add_u32 s20, s20, 32
	s_addc_u32 s21, s21, 0
	v_add_u32_e32 v4, v1, v4
	v_lshrrev_b32_e32 v4, s10, v4
	v_mul_lo_u32 v7, v4, s8
	v_mul_hi_u32 v10, s12, v4
	s_cmp_lg_u32 s24, s26
	v_sub_u32_e32 v1, v1, v7
	v_add_u32_e32 v7, v4, v10
	v_mul_lo_u32 v10, v1, s0
	v_mul_lo_u32 v13, v1, s1
	v_lshrrev_b32_e32 v1, s13, v7
	v_mul_lo_u32 v7, v1, s11
	v_mul_hi_u32 v16, s15, v1
	v_sub_u32_e32 v4, v4, v7
	v_add_u32_e32 v7, v1, v16
	v_lshrrev_b32_e32 v7, s16, v7
	v_mul_hi_u32 v19, s18, v7
	v_mul_lo_u32 v22, v7, s14
	v_mul_lo_u32 v16, v4, s2
	v_mul_lo_u32 v4, v4, s3
	v_sub_u32_e32 v22, v1, v22
	v_add_u32_e32 v1, v7, v19
	v_lshrrev_b32_e32 v1, s19, v1
	v_mul_lo_u32 v19, v1, s17
	v_mul_lo_u32 v24, v22, s4
	;; [unrolled: 1-line block ×3, first 2 shown]
	v_add3_u32 v10, v10, v21, v16
	v_sub_u32_e32 v7, v7, v19
	v_mul_lo_u32 v19, v7, s6
	v_mul_lo_u32 v7, v7, s7
	v_add3_u32 v4, v13, v23, v4
	v_add3_u32 v21, v24, v10, v19
	;; [unrolled: 1-line block ×3, first 2 shown]
	s_cbranch_scc1 .LBB189_118
; %bb.119:
	s_and_b32 s4, s25, 3
	s_cmp_eq_u32 s4, 0
	s_cbranch_scc0 .LBB189_123
	s_branch .LBB189_125
.LBB189_120:
                                        ; implicit-def: $vgpr21
                                        ; implicit-def: $vgpr23
	s_branch .LBB189_126
.LBB189_121:
	v_mov_b32_e32 v21, 0
	v_mov_b32_e32 v23, 0
	s_branch .LBB189_125
.LBB189_122:
	v_mov_b32_e32 v21, 0
	v_mov_b32_e32 v23, 0
	;; [unrolled: 1-line block ×3, first 2 shown]
	s_and_b32 s4, s25, 3
	s_cmp_eq_u32 s4, 0
	s_cbranch_scc1 .LBB189_125
.LBB189_123:
	s_lshl_b32 s0, s24, 3
	s_add_u32 s0, s34, s0
	s_addc_u32 s1, s35, 0
	s_add_u32 s0, s0, 0xc4
	s_addc_u32 s1, s1, 0
	s_mul_i32 s2, s24, 12
	s_add_u32 s2, s34, s2
	s_addc_u32 s3, s35, 0
.LBB189_124:                            ; =>This Inner Loop Header: Depth=1
	s_load_dwordx2 s[6:7], s[2:3], 0x4
	s_load_dword s5, s[2:3], 0xc
	s_load_dwordx2 s[8:9], s[0:1], 0x0
	s_add_u32 s2, s2, 12
	s_addc_u32 s3, s3, 0
	s_waitcnt lgkmcnt(0)
	v_mul_hi_u32 v4, s7, v1
	s_add_u32 s0, s0, 8
	s_addc_u32 s1, s1, 0
	s_add_i32 s4, s4, -1
	v_add_u32_e32 v4, v1, v4
	v_lshrrev_b32_e32 v4, s5, v4
	v_mul_lo_u32 v7, v4, s6
	s_cmp_lg_u32 s4, 0
	v_sub_u32_e32 v1, v1, v7
	v_mad_u64_u32 v[21:22], s[6:7], v1, s8, v[21:22]
	v_mad_u64_u32 v[23:24], s[6:7], v1, s9, v[23:24]
	v_mov_b32_e32 v1, v4
	s_cbranch_scc1 .LBB189_124
.LBB189_125:
	s_cbranch_execnz .LBB189_128
.LBB189_126:
	s_load_dwordx4 s[0:3], s[34:35], 0x4
	s_load_dwordx2 s[4:5], s[34:35], 0xc4
	s_cmp_lt_u32 s33, 2
	s_waitcnt lgkmcnt(0)
	v_mul_hi_u32 v1, s1, v25
	v_add_u32_e32 v1, v25, v1
	v_lshrrev_b32_e32 v1, s2, v1
	v_mul_lo_u32 v4, v1, s0
	v_sub_u32_e32 v4, v25, v4
	v_mul_lo_u32 v21, v4, s4
	v_mul_lo_u32 v23, v4, s5
	s_cbranch_scc1 .LBB189_128
; %bb.127:
	s_load_dwordx4 s[0:3], s[34:35], 0x10
	s_load_dwordx2 s[4:5], s[34:35], 0xcc
	s_waitcnt lgkmcnt(0)
	v_mul_hi_u32 v4, s1, v1
	v_add_u32_e32 v4, v1, v4
	v_lshrrev_b32_e32 v4, s2, v4
	v_mul_lo_u32 v4, v4, s0
	v_sub_u32_e32 v1, v1, v4
	v_mad_u64_u32 v[21:22], s[0:1], v1, s4, v[21:22]
	v_mad_u64_u32 v[23:24], s[0:1], v1, s5, v[23:24]
.LBB189_128:
	s_load_dwordx4 s[4:7], s[34:35], 0x148
	s_load_dwordx2 s[8:9], s[34:35], 0x158
	s_waitcnt lgkmcnt(0)
	global_load_ushort v1, v2, s[6:7]
	global_load_ushort v4, v5, s[6:7]
	;; [unrolled: 1-line block ×8, first 2 shown]
	s_cmp_eq_u32 s8, 0
	s_waitcnt vmcnt(7)
	v_cmp_neq_f16_e32 vcc, s9, v1
	v_cmp_eq_f16_e64 s[0:1], s9, v1
	v_cndmask_b32_e64 v1, 0, 1, s[0:1]
	v_cndmask_b32_e64 v2, 0, 1, vcc
	s_cselect_b64 vcc, -1, 0
	s_waitcnt vmcnt(6)
	v_cmp_neq_f16_e64 s[0:1], s9, v4
	v_cmp_eq_f16_e64 s[2:3], s9, v4
	v_cndmask_b32_e32 v1, v2, v1, vcc
	v_cndmask_b32_e64 v2, 0, 1, s[2:3]
	v_cndmask_b32_e64 v4, 0, 1, s[0:1]
	s_waitcnt vmcnt(5)
	v_cmp_neq_f16_e64 s[0:1], s9, v7
	v_cmp_eq_f16_e64 s[2:3], s9, v7
	v_cndmask_b32_e32 v2, v4, v2, vcc
	v_cndmask_b32_e64 v4, 0, 1, s[2:3]
	v_cndmask_b32_e64 v5, 0, 1, s[0:1]
	;; [unrolled: 6-line block ×7, first 2 shown]
	v_cndmask_b32_e32 v11, v13, v11, vcc
	v_and_b32_e32 v1, 1, v1
	v_and_b32_e32 v2, 1, v2
	v_and_b32_e32 v4, 1, v4
	v_and_b32_e32 v5, 1, v5
	v_and_b32_e32 v7, 1, v7
	v_and_b32_e32 v8, 1, v8
	v_and_b32_e32 v10, 1, v10
	v_and_b32_e32 v11, 1, v11
	global_store_byte v0, v1, s[4:5]
	global_store_byte v3, v2, s[4:5]
	;; [unrolled: 1-line block ×8, first 2 shown]
	s_endpgm
.LBB189_129:
	v_mov_b32_e32 v0, 0
	v_mov_b32_e32 v2, 0
	s_branch .LBB189_135
.LBB189_130:
	v_mov_b32_e32 v0, 0
	v_mov_b32_e32 v2, 0
	s_branch .LBB189_151
.LBB189_131:
	s_mov_b32 s42, 0
	v_mov_b32_e32 v0, 0
	v_mov_b32_e32 v2, 0
	v_mov_b32_e32 v1, v19
.LBB189_132:
	s_and_b32 s8, s61, 3
	s_cmp_eq_u32 s8, 0
	s_cbranch_scc1 .LBB189_135
; %bb.133:
	s_lshl_b32 s4, s42, 3
	s_add_u32 s4, s34, s4
	s_addc_u32 s5, s35, 0
	s_add_u32 s4, s4, 0xc4
	s_addc_u32 s5, s5, 0
	s_mul_i32 s6, s42, 12
	s_add_u32 s6, s34, s6
	s_addc_u32 s7, s35, 0
.LBB189_134:                            ; =>This Inner Loop Header: Depth=1
	s_load_dwordx2 s[10:11], s[6:7], 0x4
	s_load_dword s9, s[6:7], 0xc
	s_load_dwordx2 s[12:13], s[4:5], 0x0
	s_add_u32 s6, s6, 12
	s_addc_u32 s7, s7, 0
	s_waitcnt lgkmcnt(0)
	v_mul_hi_u32 v3, s11, v1
	s_add_u32 s4, s4, 8
	s_addc_u32 s5, s5, 0
	s_add_i32 s8, s8, -1
	v_add_u32_e32 v3, v1, v3
	v_lshrrev_b32_e32 v4, s9, v3
	v_mul_lo_u32 v3, v4, s10
	s_cmp_lg_u32 s8, 0
	v_sub_u32_e32 v3, v1, v3
	v_mad_u64_u32 v[0:1], s[10:11], v3, s12, v[0:1]
	v_mad_u64_u32 v[2:3], s[10:11], v3, s13, v[2:3]
	v_mov_b32_e32 v1, v4
	s_cbranch_scc1 .LBB189_134
.LBB189_135:
	s_cbranch_execnz .LBB189_138
.LBB189_136:
	v_mul_hi_u32 v0, s25, v19
	s_andn2_b64 vcc, exec, s[46:47]
	v_add_u32_e32 v0, v19, v0
	v_lshrrev_b32_e32 v1, s26, v0
	v_mul_lo_u32 v0, v1, s24
	v_sub_u32_e32 v2, v19, v0
	v_mul_lo_u32 v0, v2, s28
	v_mul_lo_u32 v2, v2, s29
	s_cbranch_vccnz .LBB189_138
; %bb.137:
	v_mul_hi_u32 v3, s44, v1
	v_add_u32_e32 v3, v1, v3
	v_lshrrev_b32_e32 v3, s45, v3
	v_mul_lo_u32 v3, v3, s27
	v_sub_u32_e32 v3, v1, v3
	v_mad_u64_u32 v[0:1], s[4:5], v3, s30, v[0:1]
	v_mad_u64_u32 v[2:3], s[4:5], v3, s31, v[2:3]
.LBB189_138:
	global_load_ushort v1, v2, s[22:23]
	v_add_u32_e32 v19, 0x80, v19
	s_waitcnt vmcnt(0)
	v_cmp_eq_f16_e32 vcc, s43, v1
	v_cndmask_b32_e64 v2, 0, 1, vcc
	v_cmp_neq_f16_e32 vcc, s43, v1
	v_cndmask_b32_e64 v1, 0, 1, vcc
	v_cndmask_b32_e64 v1, v1, v2, s[0:1]
	v_and_b32_e32 v1, 1, v1
	global_store_byte v0, v1, s[20:21]
	s_or_b64 exec, exec, s[52:53]
	v_cmp_gt_i32_e32 vcc, s59, v19
	s_and_saveexec_b64 s[52:53], vcc
	s_cbranch_execnz .LBB189_15
.LBB189_139:
	s_or_b64 exec, exec, s[52:53]
	v_cmp_gt_i32_e32 vcc, s59, v19
	s_and_saveexec_b64 s[52:53], vcc
	s_cbranch_execz .LBB189_155
.LBB189_140:
	s_andn2_b64 vcc, exec, s[2:3]
	s_cbranch_vccnz .LBB189_145
; %bb.141:
	s_andn2_b64 vcc, exec, s[50:51]
	s_cbranch_vccnz .LBB189_146
; %bb.142:
	s_add_i32 s61, s60, 1
	s_cmp_eq_u32 s58, 2
	s_cbranch_scc1 .LBB189_163
; %bb.143:
	s_and_b32 s42, s61, 28
	v_mov_b32_e32 v2, 0
	s_mov_b32 s62, 0
	s_mov_b64 s[54:55], s[34:35]
	s_mov_b64 s[56:57], s[48:49]
	v_mov_b32_e32 v0, 0
	v_mov_b32_e32 v1, v19
.LBB189_144:                            ; =>This Inner Loop Header: Depth=1
	s_load_dwordx8 s[12:19], s[54:55], 0x4
	s_load_dwordx4 s[36:39], s[54:55], 0x24
	s_load_dwordx8 s[4:11], s[56:57], 0x0
	s_add_u32 s54, s54, 48
	s_addc_u32 s55, s55, 0
	s_waitcnt lgkmcnt(0)
	v_mul_hi_u32 v3, s13, v1
	s_add_i32 s62, s62, 4
	s_add_u32 s56, s56, 32
	s_addc_u32 s57, s57, 0
	v_add_u32_e32 v3, v1, v3
	v_lshrrev_b32_e32 v3, s14, v3
	v_mul_lo_u32 v4, v3, s12
	v_mul_hi_u32 v5, s16, v3
	s_cmp_eq_u32 s42, s62
	v_sub_u32_e32 v1, v1, v4
	v_add_u32_e32 v4, v3, v5
	v_mul_lo_u32 v5, v1, s4
	v_mul_lo_u32 v6, v1, s5
	v_lshrrev_b32_e32 v1, s17, v4
	v_mul_lo_u32 v4, v1, s15
	v_mul_hi_u32 v7, s19, v1
	v_sub_u32_e32 v3, v3, v4
	v_add_u32_e32 v4, v1, v7
	v_lshrrev_b32_e32 v4, s36, v4
	v_mul_hi_u32 v8, s38, v4
	v_mul_lo_u32 v9, v4, s18
	v_mul_lo_u32 v7, v3, s6
	;; [unrolled: 1-line block ×3, first 2 shown]
	v_sub_u32_e32 v9, v1, v9
	v_add_u32_e32 v1, v4, v8
	v_lshrrev_b32_e32 v1, s39, v1
	v_mul_lo_u32 v8, v1, s37
	v_mul_lo_u32 v10, v9, s8
	;; [unrolled: 1-line block ×3, first 2 shown]
	v_add3_u32 v0, v5, v0, v7
	v_sub_u32_e32 v4, v4, v8
	v_mul_lo_u32 v8, v4, s10
	v_mul_lo_u32 v4, v4, s11
	v_add3_u32 v2, v6, v2, v3
	v_add3_u32 v0, v10, v0, v8
	;; [unrolled: 1-line block ×3, first 2 shown]
	s_cbranch_scc0 .LBB189_144
	s_branch .LBB189_164
.LBB189_145:
                                        ; implicit-def: $vgpr0
                                        ; implicit-def: $vgpr2
	s_branch .LBB189_168
.LBB189_146:
	v_mov_b32_e32 v0, 0
	v_mov_b32_e32 v2, 0
	s_branch .LBB189_167
.LBB189_147:
	s_mov_b32 s42, 0
	v_mov_b32_e32 v0, 0
	v_mov_b32_e32 v2, 0
	;; [unrolled: 1-line block ×3, first 2 shown]
.LBB189_148:
	s_and_b32 s8, s61, 3
	s_cmp_eq_u32 s8, 0
	s_cbranch_scc1 .LBB189_151
; %bb.149:
	s_lshl_b32 s4, s42, 3
	s_add_u32 s4, s34, s4
	s_addc_u32 s5, s35, 0
	s_add_u32 s4, s4, 0xc4
	s_addc_u32 s5, s5, 0
	s_mul_i32 s6, s42, 12
	s_add_u32 s6, s34, s6
	s_addc_u32 s7, s35, 0
.LBB189_150:                            ; =>This Inner Loop Header: Depth=1
	s_load_dwordx2 s[10:11], s[6:7], 0x4
	s_load_dword s9, s[6:7], 0xc
	s_load_dwordx2 s[12:13], s[4:5], 0x0
	s_add_u32 s6, s6, 12
	s_addc_u32 s7, s7, 0
	s_waitcnt lgkmcnt(0)
	v_mul_hi_u32 v3, s11, v1
	s_add_u32 s4, s4, 8
	s_addc_u32 s5, s5, 0
	s_add_i32 s8, s8, -1
	v_add_u32_e32 v3, v1, v3
	v_lshrrev_b32_e32 v4, s9, v3
	v_mul_lo_u32 v3, v4, s10
	s_cmp_lg_u32 s8, 0
	v_sub_u32_e32 v3, v1, v3
	v_mad_u64_u32 v[0:1], s[10:11], v3, s12, v[0:1]
	v_mad_u64_u32 v[2:3], s[10:11], v3, s13, v[2:3]
	v_mov_b32_e32 v1, v4
	s_cbranch_scc1 .LBB189_150
.LBB189_151:
	s_cbranch_execnz .LBB189_154
.LBB189_152:
	v_mul_hi_u32 v0, s25, v19
	s_andn2_b64 vcc, exec, s[46:47]
	v_add_u32_e32 v0, v19, v0
	v_lshrrev_b32_e32 v1, s26, v0
	v_mul_lo_u32 v0, v1, s24
	v_sub_u32_e32 v2, v19, v0
	v_mul_lo_u32 v0, v2, s28
	v_mul_lo_u32 v2, v2, s29
	s_cbranch_vccnz .LBB189_154
; %bb.153:
	v_mul_hi_u32 v3, s44, v1
	v_add_u32_e32 v3, v1, v3
	v_lshrrev_b32_e32 v3, s45, v3
	v_mul_lo_u32 v3, v3, s27
	v_sub_u32_e32 v3, v1, v3
	v_mad_u64_u32 v[0:1], s[4:5], v3, s30, v[0:1]
	v_mad_u64_u32 v[2:3], s[4:5], v3, s31, v[2:3]
.LBB189_154:
	global_load_ushort v1, v2, s[22:23]
	v_add_u32_e32 v19, 0x80, v19
	s_waitcnt vmcnt(0)
	v_cmp_eq_f16_e32 vcc, s43, v1
	v_cndmask_b32_e64 v2, 0, 1, vcc
	v_cmp_neq_f16_e32 vcc, s43, v1
	v_cndmask_b32_e64 v1, 0, 1, vcc
	v_cndmask_b32_e64 v1, v1, v2, s[0:1]
	v_and_b32_e32 v1, 1, v1
	global_store_byte v0, v1, s[20:21]
	s_or_b64 exec, exec, s[52:53]
	v_cmp_gt_i32_e32 vcc, s59, v19
	s_and_saveexec_b64 s[52:53], vcc
	s_cbranch_execnz .LBB189_140
.LBB189_155:
	s_or_b64 exec, exec, s[52:53]
	v_cmp_gt_i32_e32 vcc, s59, v19
	s_and_saveexec_b64 s[52:53], vcc
	s_cbranch_execz .LBB189_171
.LBB189_156:
	s_andn2_b64 vcc, exec, s[2:3]
	s_cbranch_vccnz .LBB189_161
; %bb.157:
	s_andn2_b64 vcc, exec, s[50:51]
	s_cbranch_vccnz .LBB189_162
; %bb.158:
	s_add_i32 s61, s60, 1
	s_cmp_eq_u32 s58, 2
	s_cbranch_scc1 .LBB189_179
; %bb.159:
	s_and_b32 s42, s61, 28
	v_mov_b32_e32 v2, 0
	s_mov_b32 s62, 0
	s_mov_b64 s[54:55], s[34:35]
	s_mov_b64 s[56:57], s[48:49]
	v_mov_b32_e32 v0, 0
	v_mov_b32_e32 v1, v19
.LBB189_160:                            ; =>This Inner Loop Header: Depth=1
	s_load_dwordx8 s[12:19], s[54:55], 0x4
	s_load_dwordx4 s[36:39], s[54:55], 0x24
	s_load_dwordx8 s[4:11], s[56:57], 0x0
	s_add_u32 s54, s54, 48
	s_addc_u32 s55, s55, 0
	s_waitcnt lgkmcnt(0)
	v_mul_hi_u32 v3, s13, v1
	s_add_i32 s62, s62, 4
	s_add_u32 s56, s56, 32
	s_addc_u32 s57, s57, 0
	v_add_u32_e32 v3, v1, v3
	v_lshrrev_b32_e32 v3, s14, v3
	v_mul_lo_u32 v4, v3, s12
	v_mul_hi_u32 v5, s16, v3
	s_cmp_eq_u32 s42, s62
	v_sub_u32_e32 v1, v1, v4
	v_add_u32_e32 v4, v3, v5
	v_mul_lo_u32 v5, v1, s4
	v_mul_lo_u32 v6, v1, s5
	v_lshrrev_b32_e32 v1, s17, v4
	v_mul_lo_u32 v4, v1, s15
	v_mul_hi_u32 v7, s19, v1
	v_sub_u32_e32 v3, v3, v4
	v_add_u32_e32 v4, v1, v7
	v_lshrrev_b32_e32 v4, s36, v4
	v_mul_hi_u32 v8, s38, v4
	v_mul_lo_u32 v9, v4, s18
	v_mul_lo_u32 v7, v3, s6
	;; [unrolled: 1-line block ×3, first 2 shown]
	v_sub_u32_e32 v9, v1, v9
	v_add_u32_e32 v1, v4, v8
	v_lshrrev_b32_e32 v1, s39, v1
	v_mul_lo_u32 v8, v1, s37
	v_mul_lo_u32 v10, v9, s8
	;; [unrolled: 1-line block ×3, first 2 shown]
	v_add3_u32 v0, v5, v0, v7
	v_sub_u32_e32 v4, v4, v8
	v_mul_lo_u32 v8, v4, s10
	v_mul_lo_u32 v4, v4, s11
	v_add3_u32 v2, v6, v2, v3
	v_add3_u32 v0, v10, v0, v8
	;; [unrolled: 1-line block ×3, first 2 shown]
	s_cbranch_scc0 .LBB189_160
	s_branch .LBB189_180
.LBB189_161:
                                        ; implicit-def: $vgpr0
                                        ; implicit-def: $vgpr2
	s_branch .LBB189_184
.LBB189_162:
	v_mov_b32_e32 v0, 0
	v_mov_b32_e32 v2, 0
	s_branch .LBB189_183
.LBB189_163:
	s_mov_b32 s42, 0
	v_mov_b32_e32 v0, 0
	v_mov_b32_e32 v2, 0
	;; [unrolled: 1-line block ×3, first 2 shown]
.LBB189_164:
	s_and_b32 s8, s61, 3
	s_cmp_eq_u32 s8, 0
	s_cbranch_scc1 .LBB189_167
; %bb.165:
	s_lshl_b32 s4, s42, 3
	s_add_u32 s4, s34, s4
	s_addc_u32 s5, s35, 0
	s_add_u32 s4, s4, 0xc4
	s_addc_u32 s5, s5, 0
	s_mul_i32 s6, s42, 12
	s_add_u32 s6, s34, s6
	s_addc_u32 s7, s35, 0
.LBB189_166:                            ; =>This Inner Loop Header: Depth=1
	s_load_dwordx2 s[10:11], s[6:7], 0x4
	s_load_dword s9, s[6:7], 0xc
	s_load_dwordx2 s[12:13], s[4:5], 0x0
	s_add_u32 s6, s6, 12
	s_addc_u32 s7, s7, 0
	s_waitcnt lgkmcnt(0)
	v_mul_hi_u32 v3, s11, v1
	s_add_u32 s4, s4, 8
	s_addc_u32 s5, s5, 0
	s_add_i32 s8, s8, -1
	v_add_u32_e32 v3, v1, v3
	v_lshrrev_b32_e32 v4, s9, v3
	v_mul_lo_u32 v3, v4, s10
	s_cmp_lg_u32 s8, 0
	v_sub_u32_e32 v3, v1, v3
	v_mad_u64_u32 v[0:1], s[10:11], v3, s12, v[0:1]
	v_mad_u64_u32 v[2:3], s[10:11], v3, s13, v[2:3]
	v_mov_b32_e32 v1, v4
	s_cbranch_scc1 .LBB189_166
.LBB189_167:
	s_cbranch_execnz .LBB189_170
.LBB189_168:
	v_mul_hi_u32 v0, s25, v19
	s_andn2_b64 vcc, exec, s[46:47]
	v_add_u32_e32 v0, v19, v0
	v_lshrrev_b32_e32 v1, s26, v0
	v_mul_lo_u32 v0, v1, s24
	v_sub_u32_e32 v2, v19, v0
	v_mul_lo_u32 v0, v2, s28
	v_mul_lo_u32 v2, v2, s29
	s_cbranch_vccnz .LBB189_170
; %bb.169:
	v_mul_hi_u32 v3, s44, v1
	v_add_u32_e32 v3, v1, v3
	v_lshrrev_b32_e32 v3, s45, v3
	v_mul_lo_u32 v3, v3, s27
	v_sub_u32_e32 v3, v1, v3
	v_mad_u64_u32 v[0:1], s[4:5], v3, s30, v[0:1]
	v_mad_u64_u32 v[2:3], s[4:5], v3, s31, v[2:3]
.LBB189_170:
	global_load_ushort v1, v2, s[22:23]
	v_add_u32_e32 v19, 0x80, v19
	s_waitcnt vmcnt(0)
	v_cmp_eq_f16_e32 vcc, s43, v1
	v_cndmask_b32_e64 v2, 0, 1, vcc
	v_cmp_neq_f16_e32 vcc, s43, v1
	v_cndmask_b32_e64 v1, 0, 1, vcc
	v_cndmask_b32_e64 v1, v1, v2, s[0:1]
	v_and_b32_e32 v1, 1, v1
	global_store_byte v0, v1, s[20:21]
	s_or_b64 exec, exec, s[52:53]
	v_cmp_gt_i32_e32 vcc, s59, v19
	s_and_saveexec_b64 s[52:53], vcc
	s_cbranch_execnz .LBB189_156
.LBB189_171:
	s_or_b64 exec, exec, s[52:53]
	v_cmp_gt_i32_e32 vcc, s59, v19
	s_and_saveexec_b64 s[52:53], vcc
	s_cbranch_execz .LBB189_187
.LBB189_172:
	s_andn2_b64 vcc, exec, s[2:3]
	s_cbranch_vccnz .LBB189_177
; %bb.173:
	s_andn2_b64 vcc, exec, s[50:51]
	s_cbranch_vccnz .LBB189_178
; %bb.174:
	s_add_i32 s61, s60, 1
	s_cmp_eq_u32 s58, 2
	s_cbranch_scc1 .LBB189_195
; %bb.175:
	s_and_b32 s42, s61, 28
	v_mov_b32_e32 v2, 0
	s_mov_b32 s62, 0
	s_mov_b64 s[54:55], s[34:35]
	s_mov_b64 s[56:57], s[48:49]
	v_mov_b32_e32 v0, 0
	v_mov_b32_e32 v1, v19
.LBB189_176:                            ; =>This Inner Loop Header: Depth=1
	s_load_dwordx8 s[12:19], s[54:55], 0x4
	s_load_dwordx4 s[36:39], s[54:55], 0x24
	s_load_dwordx8 s[4:11], s[56:57], 0x0
	s_add_u32 s54, s54, 48
	s_addc_u32 s55, s55, 0
	s_waitcnt lgkmcnt(0)
	v_mul_hi_u32 v3, s13, v1
	s_add_i32 s62, s62, 4
	s_add_u32 s56, s56, 32
	s_addc_u32 s57, s57, 0
	v_add_u32_e32 v3, v1, v3
	v_lshrrev_b32_e32 v3, s14, v3
	v_mul_lo_u32 v4, v3, s12
	v_mul_hi_u32 v5, s16, v3
	s_cmp_eq_u32 s42, s62
	v_sub_u32_e32 v1, v1, v4
	v_add_u32_e32 v4, v3, v5
	v_mul_lo_u32 v5, v1, s4
	v_mul_lo_u32 v6, v1, s5
	v_lshrrev_b32_e32 v1, s17, v4
	v_mul_lo_u32 v4, v1, s15
	v_mul_hi_u32 v7, s19, v1
	v_sub_u32_e32 v3, v3, v4
	v_add_u32_e32 v4, v1, v7
	v_lshrrev_b32_e32 v4, s36, v4
	v_mul_hi_u32 v8, s38, v4
	v_mul_lo_u32 v9, v4, s18
	v_mul_lo_u32 v7, v3, s6
	;; [unrolled: 1-line block ×3, first 2 shown]
	v_sub_u32_e32 v9, v1, v9
	v_add_u32_e32 v1, v4, v8
	v_lshrrev_b32_e32 v1, s39, v1
	v_mul_lo_u32 v8, v1, s37
	v_mul_lo_u32 v10, v9, s8
	;; [unrolled: 1-line block ×3, first 2 shown]
	v_add3_u32 v0, v5, v0, v7
	v_sub_u32_e32 v4, v4, v8
	v_mul_lo_u32 v8, v4, s10
	v_mul_lo_u32 v4, v4, s11
	v_add3_u32 v2, v6, v2, v3
	v_add3_u32 v0, v10, v0, v8
	;; [unrolled: 1-line block ×3, first 2 shown]
	s_cbranch_scc0 .LBB189_176
	s_branch .LBB189_196
.LBB189_177:
                                        ; implicit-def: $vgpr0
                                        ; implicit-def: $vgpr2
	s_branch .LBB189_200
.LBB189_178:
	v_mov_b32_e32 v0, 0
	v_mov_b32_e32 v2, 0
	s_branch .LBB189_199
.LBB189_179:
	s_mov_b32 s42, 0
	v_mov_b32_e32 v0, 0
	v_mov_b32_e32 v2, 0
	;; [unrolled: 1-line block ×3, first 2 shown]
.LBB189_180:
	s_and_b32 s8, s61, 3
	s_cmp_eq_u32 s8, 0
	s_cbranch_scc1 .LBB189_183
; %bb.181:
	s_lshl_b32 s4, s42, 3
	s_add_u32 s4, s34, s4
	s_addc_u32 s5, s35, 0
	s_add_u32 s4, s4, 0xc4
	s_addc_u32 s5, s5, 0
	s_mul_i32 s6, s42, 12
	s_add_u32 s6, s34, s6
	s_addc_u32 s7, s35, 0
.LBB189_182:                            ; =>This Inner Loop Header: Depth=1
	s_load_dwordx2 s[10:11], s[6:7], 0x4
	s_load_dword s9, s[6:7], 0xc
	s_load_dwordx2 s[12:13], s[4:5], 0x0
	s_add_u32 s6, s6, 12
	s_addc_u32 s7, s7, 0
	s_waitcnt lgkmcnt(0)
	v_mul_hi_u32 v3, s11, v1
	s_add_u32 s4, s4, 8
	s_addc_u32 s5, s5, 0
	s_add_i32 s8, s8, -1
	v_add_u32_e32 v3, v1, v3
	v_lshrrev_b32_e32 v4, s9, v3
	v_mul_lo_u32 v3, v4, s10
	s_cmp_lg_u32 s8, 0
	v_sub_u32_e32 v3, v1, v3
	v_mad_u64_u32 v[0:1], s[10:11], v3, s12, v[0:1]
	v_mad_u64_u32 v[2:3], s[10:11], v3, s13, v[2:3]
	v_mov_b32_e32 v1, v4
	s_cbranch_scc1 .LBB189_182
.LBB189_183:
	s_cbranch_execnz .LBB189_186
.LBB189_184:
	v_mul_hi_u32 v0, s25, v19
	s_andn2_b64 vcc, exec, s[46:47]
	v_add_u32_e32 v0, v19, v0
	v_lshrrev_b32_e32 v1, s26, v0
	v_mul_lo_u32 v0, v1, s24
	v_sub_u32_e32 v2, v19, v0
	v_mul_lo_u32 v0, v2, s28
	v_mul_lo_u32 v2, v2, s29
	s_cbranch_vccnz .LBB189_186
; %bb.185:
	v_mul_hi_u32 v3, s44, v1
	v_add_u32_e32 v3, v1, v3
	v_lshrrev_b32_e32 v3, s45, v3
	v_mul_lo_u32 v3, v3, s27
	v_sub_u32_e32 v3, v1, v3
	v_mad_u64_u32 v[0:1], s[4:5], v3, s30, v[0:1]
	v_mad_u64_u32 v[2:3], s[4:5], v3, s31, v[2:3]
.LBB189_186:
	global_load_ushort v1, v2, s[22:23]
	v_add_u32_e32 v19, 0x80, v19
	s_waitcnt vmcnt(0)
	v_cmp_eq_f16_e32 vcc, s43, v1
	v_cndmask_b32_e64 v2, 0, 1, vcc
	v_cmp_neq_f16_e32 vcc, s43, v1
	v_cndmask_b32_e64 v1, 0, 1, vcc
	v_cndmask_b32_e64 v1, v1, v2, s[0:1]
	v_and_b32_e32 v1, 1, v1
	global_store_byte v0, v1, s[20:21]
	s_or_b64 exec, exec, s[52:53]
	v_cmp_gt_i32_e32 vcc, s59, v19
	s_and_saveexec_b64 s[52:53], vcc
	s_cbranch_execnz .LBB189_172
.LBB189_187:
	s_or_b64 exec, exec, s[52:53]
	v_cmp_gt_i32_e32 vcc, s59, v19
	s_and_saveexec_b64 s[52:53], vcc
	s_cbranch_execz .LBB189_203
.LBB189_188:
	s_andn2_b64 vcc, exec, s[2:3]
	s_cbranch_vccnz .LBB189_193
; %bb.189:
	s_andn2_b64 vcc, exec, s[50:51]
	s_cbranch_vccnz .LBB189_194
; %bb.190:
	s_add_i32 s61, s60, 1
	s_cmp_eq_u32 s58, 2
	s_cbranch_scc1 .LBB189_211
; %bb.191:
	s_and_b32 s42, s61, 28
	v_mov_b32_e32 v2, 0
	s_mov_b32 s62, 0
	s_mov_b64 s[54:55], s[34:35]
	s_mov_b64 s[56:57], s[48:49]
	v_mov_b32_e32 v0, 0
	v_mov_b32_e32 v1, v19
.LBB189_192:                            ; =>This Inner Loop Header: Depth=1
	s_load_dwordx8 s[12:19], s[54:55], 0x4
	s_load_dwordx4 s[36:39], s[54:55], 0x24
	s_load_dwordx8 s[4:11], s[56:57], 0x0
	s_add_u32 s54, s54, 48
	s_addc_u32 s55, s55, 0
	s_waitcnt lgkmcnt(0)
	v_mul_hi_u32 v3, s13, v1
	s_add_i32 s62, s62, 4
	s_add_u32 s56, s56, 32
	s_addc_u32 s57, s57, 0
	v_add_u32_e32 v3, v1, v3
	v_lshrrev_b32_e32 v3, s14, v3
	v_mul_lo_u32 v4, v3, s12
	v_mul_hi_u32 v5, s16, v3
	s_cmp_eq_u32 s42, s62
	v_sub_u32_e32 v1, v1, v4
	v_add_u32_e32 v4, v3, v5
	v_mul_lo_u32 v5, v1, s4
	v_mul_lo_u32 v6, v1, s5
	v_lshrrev_b32_e32 v1, s17, v4
	v_mul_lo_u32 v4, v1, s15
	v_mul_hi_u32 v7, s19, v1
	v_sub_u32_e32 v3, v3, v4
	v_add_u32_e32 v4, v1, v7
	v_lshrrev_b32_e32 v4, s36, v4
	v_mul_hi_u32 v8, s38, v4
	v_mul_lo_u32 v9, v4, s18
	v_mul_lo_u32 v7, v3, s6
	;; [unrolled: 1-line block ×3, first 2 shown]
	v_sub_u32_e32 v9, v1, v9
	v_add_u32_e32 v1, v4, v8
	v_lshrrev_b32_e32 v1, s39, v1
	v_mul_lo_u32 v8, v1, s37
	v_mul_lo_u32 v10, v9, s8
	;; [unrolled: 1-line block ×3, first 2 shown]
	v_add3_u32 v0, v5, v0, v7
	v_sub_u32_e32 v4, v4, v8
	v_mul_lo_u32 v8, v4, s10
	v_mul_lo_u32 v4, v4, s11
	v_add3_u32 v2, v6, v2, v3
	v_add3_u32 v0, v10, v0, v8
	;; [unrolled: 1-line block ×3, first 2 shown]
	s_cbranch_scc0 .LBB189_192
	s_branch .LBB189_212
.LBB189_193:
                                        ; implicit-def: $vgpr0
                                        ; implicit-def: $vgpr2
	s_branch .LBB189_216
.LBB189_194:
	v_mov_b32_e32 v0, 0
	v_mov_b32_e32 v2, 0
	s_branch .LBB189_215
.LBB189_195:
	s_mov_b32 s42, 0
	v_mov_b32_e32 v0, 0
	v_mov_b32_e32 v2, 0
	;; [unrolled: 1-line block ×3, first 2 shown]
.LBB189_196:
	s_and_b32 s8, s61, 3
	s_cmp_eq_u32 s8, 0
	s_cbranch_scc1 .LBB189_199
; %bb.197:
	s_lshl_b32 s4, s42, 3
	s_add_u32 s4, s34, s4
	s_addc_u32 s5, s35, 0
	s_add_u32 s4, s4, 0xc4
	s_addc_u32 s5, s5, 0
	s_mul_i32 s6, s42, 12
	s_add_u32 s6, s34, s6
	s_addc_u32 s7, s35, 0
.LBB189_198:                            ; =>This Inner Loop Header: Depth=1
	s_load_dwordx2 s[10:11], s[6:7], 0x4
	s_load_dword s9, s[6:7], 0xc
	s_load_dwordx2 s[12:13], s[4:5], 0x0
	s_add_u32 s6, s6, 12
	s_addc_u32 s7, s7, 0
	s_waitcnt lgkmcnt(0)
	v_mul_hi_u32 v3, s11, v1
	s_add_u32 s4, s4, 8
	s_addc_u32 s5, s5, 0
	s_add_i32 s8, s8, -1
	v_add_u32_e32 v3, v1, v3
	v_lshrrev_b32_e32 v4, s9, v3
	v_mul_lo_u32 v3, v4, s10
	s_cmp_lg_u32 s8, 0
	v_sub_u32_e32 v3, v1, v3
	v_mad_u64_u32 v[0:1], s[10:11], v3, s12, v[0:1]
	v_mad_u64_u32 v[2:3], s[10:11], v3, s13, v[2:3]
	v_mov_b32_e32 v1, v4
	s_cbranch_scc1 .LBB189_198
.LBB189_199:
	s_cbranch_execnz .LBB189_202
.LBB189_200:
	v_mul_hi_u32 v0, s25, v19
	s_andn2_b64 vcc, exec, s[46:47]
	v_add_u32_e32 v0, v19, v0
	v_lshrrev_b32_e32 v1, s26, v0
	v_mul_lo_u32 v0, v1, s24
	v_sub_u32_e32 v2, v19, v0
	v_mul_lo_u32 v0, v2, s28
	v_mul_lo_u32 v2, v2, s29
	s_cbranch_vccnz .LBB189_202
; %bb.201:
	v_mul_hi_u32 v3, s44, v1
	v_add_u32_e32 v3, v1, v3
	v_lshrrev_b32_e32 v3, s45, v3
	v_mul_lo_u32 v3, v3, s27
	v_sub_u32_e32 v3, v1, v3
	v_mad_u64_u32 v[0:1], s[4:5], v3, s30, v[0:1]
	v_mad_u64_u32 v[2:3], s[4:5], v3, s31, v[2:3]
.LBB189_202:
	global_load_ushort v1, v2, s[22:23]
	v_add_u32_e32 v19, 0x80, v19
	s_waitcnt vmcnt(0)
	v_cmp_eq_f16_e32 vcc, s43, v1
	v_cndmask_b32_e64 v2, 0, 1, vcc
	v_cmp_neq_f16_e32 vcc, s43, v1
	v_cndmask_b32_e64 v1, 0, 1, vcc
	v_cndmask_b32_e64 v1, v1, v2, s[0:1]
	v_and_b32_e32 v1, 1, v1
	global_store_byte v0, v1, s[20:21]
	s_or_b64 exec, exec, s[52:53]
	v_cmp_gt_i32_e32 vcc, s59, v19
	s_and_saveexec_b64 s[52:53], vcc
	s_cbranch_execnz .LBB189_188
.LBB189_203:
	s_or_b64 exec, exec, s[52:53]
	v_cmp_gt_i32_e32 vcc, s59, v19
	s_and_saveexec_b64 s[52:53], vcc
	s_cbranch_execz .LBB189_219
.LBB189_204:
	s_andn2_b64 vcc, exec, s[2:3]
	s_cbranch_vccnz .LBB189_209
; %bb.205:
	s_andn2_b64 vcc, exec, s[50:51]
	s_cbranch_vccnz .LBB189_210
; %bb.206:
	s_add_i32 s61, s60, 1
	s_cmp_eq_u32 s58, 2
	s_cbranch_scc1 .LBB189_222
; %bb.207:
	s_and_b32 s42, s61, 28
	v_mov_b32_e32 v2, 0
	s_mov_b32 s62, 0
	s_mov_b64 s[54:55], s[34:35]
	s_mov_b64 s[56:57], s[48:49]
	v_mov_b32_e32 v0, 0
	v_mov_b32_e32 v1, v19
.LBB189_208:                            ; =>This Inner Loop Header: Depth=1
	s_load_dwordx8 s[12:19], s[54:55], 0x4
	s_load_dwordx4 s[36:39], s[54:55], 0x24
	s_load_dwordx8 s[4:11], s[56:57], 0x0
	s_add_u32 s54, s54, 48
	s_addc_u32 s55, s55, 0
	s_waitcnt lgkmcnt(0)
	v_mul_hi_u32 v3, s13, v1
	s_add_i32 s62, s62, 4
	s_add_u32 s56, s56, 32
	s_addc_u32 s57, s57, 0
	v_add_u32_e32 v3, v1, v3
	v_lshrrev_b32_e32 v3, s14, v3
	v_mul_lo_u32 v4, v3, s12
	v_mul_hi_u32 v5, s16, v3
	s_cmp_eq_u32 s42, s62
	v_sub_u32_e32 v1, v1, v4
	v_add_u32_e32 v4, v3, v5
	v_mul_lo_u32 v5, v1, s4
	v_mul_lo_u32 v6, v1, s5
	v_lshrrev_b32_e32 v1, s17, v4
	v_mul_lo_u32 v4, v1, s15
	v_mul_hi_u32 v7, s19, v1
	v_sub_u32_e32 v3, v3, v4
	v_add_u32_e32 v4, v1, v7
	v_lshrrev_b32_e32 v4, s36, v4
	v_mul_hi_u32 v8, s38, v4
	v_mul_lo_u32 v9, v4, s18
	v_mul_lo_u32 v7, v3, s6
	;; [unrolled: 1-line block ×3, first 2 shown]
	v_sub_u32_e32 v9, v1, v9
	v_add_u32_e32 v1, v4, v8
	v_lshrrev_b32_e32 v1, s39, v1
	v_mul_lo_u32 v8, v1, s37
	v_mul_lo_u32 v10, v9, s8
	v_mul_lo_u32 v9, v9, s9
	v_add3_u32 v0, v5, v0, v7
	v_sub_u32_e32 v4, v4, v8
	v_mul_lo_u32 v8, v4, s10
	v_mul_lo_u32 v4, v4, s11
	v_add3_u32 v2, v6, v2, v3
	v_add3_u32 v0, v10, v0, v8
	;; [unrolled: 1-line block ×3, first 2 shown]
	s_cbranch_scc0 .LBB189_208
	s_branch .LBB189_223
.LBB189_209:
                                        ; implicit-def: $vgpr0
                                        ; implicit-def: $vgpr2
	s_branch .LBB189_227
.LBB189_210:
	v_mov_b32_e32 v0, 0
	v_mov_b32_e32 v2, 0
	s_branch .LBB189_226
.LBB189_211:
	s_mov_b32 s42, 0
	v_mov_b32_e32 v0, 0
	v_mov_b32_e32 v2, 0
	;; [unrolled: 1-line block ×3, first 2 shown]
.LBB189_212:
	s_and_b32 s8, s61, 3
	s_cmp_eq_u32 s8, 0
	s_cbranch_scc1 .LBB189_215
; %bb.213:
	s_lshl_b32 s4, s42, 3
	s_add_u32 s4, s34, s4
	s_addc_u32 s5, s35, 0
	s_add_u32 s4, s4, 0xc4
	s_addc_u32 s5, s5, 0
	s_mul_i32 s6, s42, 12
	s_add_u32 s6, s34, s6
	s_addc_u32 s7, s35, 0
.LBB189_214:                            ; =>This Inner Loop Header: Depth=1
	s_load_dwordx2 s[10:11], s[6:7], 0x4
	s_load_dword s9, s[6:7], 0xc
	s_load_dwordx2 s[12:13], s[4:5], 0x0
	s_add_u32 s6, s6, 12
	s_addc_u32 s7, s7, 0
	s_waitcnt lgkmcnt(0)
	v_mul_hi_u32 v3, s11, v1
	s_add_u32 s4, s4, 8
	s_addc_u32 s5, s5, 0
	s_add_i32 s8, s8, -1
	v_add_u32_e32 v3, v1, v3
	v_lshrrev_b32_e32 v4, s9, v3
	v_mul_lo_u32 v3, v4, s10
	s_cmp_lg_u32 s8, 0
	v_sub_u32_e32 v3, v1, v3
	v_mad_u64_u32 v[0:1], s[10:11], v3, s12, v[0:1]
	v_mad_u64_u32 v[2:3], s[10:11], v3, s13, v[2:3]
	v_mov_b32_e32 v1, v4
	s_cbranch_scc1 .LBB189_214
.LBB189_215:
	s_cbranch_execnz .LBB189_218
.LBB189_216:
	v_mul_hi_u32 v0, s25, v19
	s_andn2_b64 vcc, exec, s[46:47]
	v_add_u32_e32 v0, v19, v0
	v_lshrrev_b32_e32 v1, s26, v0
	v_mul_lo_u32 v0, v1, s24
	v_sub_u32_e32 v2, v19, v0
	v_mul_lo_u32 v0, v2, s28
	v_mul_lo_u32 v2, v2, s29
	s_cbranch_vccnz .LBB189_218
; %bb.217:
	v_mul_hi_u32 v3, s44, v1
	v_add_u32_e32 v3, v1, v3
	v_lshrrev_b32_e32 v3, s45, v3
	v_mul_lo_u32 v3, v3, s27
	v_sub_u32_e32 v3, v1, v3
	v_mad_u64_u32 v[0:1], s[4:5], v3, s30, v[0:1]
	v_mad_u64_u32 v[2:3], s[4:5], v3, s31, v[2:3]
.LBB189_218:
	global_load_ushort v1, v2, s[22:23]
	v_add_u32_e32 v19, 0x80, v19
	s_waitcnt vmcnt(0)
	v_cmp_eq_f16_e32 vcc, s43, v1
	v_cndmask_b32_e64 v2, 0, 1, vcc
	v_cmp_neq_f16_e32 vcc, s43, v1
	v_cndmask_b32_e64 v1, 0, 1, vcc
	v_cndmask_b32_e64 v1, v1, v2, s[0:1]
	v_and_b32_e32 v1, 1, v1
	global_store_byte v0, v1, s[20:21]
	s_or_b64 exec, exec, s[52:53]
	v_cmp_gt_i32_e32 vcc, s59, v19
	s_and_saveexec_b64 s[52:53], vcc
	s_cbranch_execnz .LBB189_204
.LBB189_219:
	s_or_b64 exec, exec, s[52:53]
	v_cmp_gt_i32_e32 vcc, s59, v19
	s_and_saveexec_b64 s[52:53], vcc
	s_cbranch_execnz .LBB189_230
.LBB189_220:
	s_or_b64 exec, exec, s[52:53]
                                        ; implicit-def: $vgpr25
                                        ; implicit-def: $vgpr19
	s_andn2_saveexec_b64 s[0:1], s[40:41]
	s_cbranch_execnz .LBB189_8
.LBB189_221:
	s_endpgm
.LBB189_222:
	s_mov_b32 s42, 0
	v_mov_b32_e32 v0, 0
	v_mov_b32_e32 v2, 0
	;; [unrolled: 1-line block ×3, first 2 shown]
.LBB189_223:
	s_and_b32 s8, s61, 3
	s_cmp_eq_u32 s8, 0
	s_cbranch_scc1 .LBB189_226
; %bb.224:
	s_lshl_b32 s4, s42, 3
	s_add_u32 s4, s34, s4
	s_addc_u32 s5, s35, 0
	s_add_u32 s4, s4, 0xc4
	s_addc_u32 s5, s5, 0
	s_mul_i32 s6, s42, 12
	s_add_u32 s6, s34, s6
	s_addc_u32 s7, s35, 0
.LBB189_225:                            ; =>This Inner Loop Header: Depth=1
	s_load_dwordx2 s[10:11], s[6:7], 0x4
	s_load_dword s9, s[6:7], 0xc
	s_load_dwordx2 s[12:13], s[4:5], 0x0
	s_add_u32 s6, s6, 12
	s_addc_u32 s7, s7, 0
	s_waitcnt lgkmcnt(0)
	v_mul_hi_u32 v3, s11, v1
	s_add_u32 s4, s4, 8
	s_addc_u32 s5, s5, 0
	s_add_i32 s8, s8, -1
	v_add_u32_e32 v3, v1, v3
	v_lshrrev_b32_e32 v4, s9, v3
	v_mul_lo_u32 v3, v4, s10
	s_cmp_lg_u32 s8, 0
	v_sub_u32_e32 v3, v1, v3
	v_mad_u64_u32 v[0:1], s[10:11], v3, s12, v[0:1]
	v_mad_u64_u32 v[2:3], s[10:11], v3, s13, v[2:3]
	v_mov_b32_e32 v1, v4
	s_cbranch_scc1 .LBB189_225
.LBB189_226:
	s_cbranch_execnz .LBB189_229
.LBB189_227:
	v_mul_hi_u32 v0, s25, v19
	s_andn2_b64 vcc, exec, s[46:47]
	v_add_u32_e32 v0, v19, v0
	v_lshrrev_b32_e32 v1, s26, v0
	v_mul_lo_u32 v0, v1, s24
	v_sub_u32_e32 v2, v19, v0
	v_mul_lo_u32 v0, v2, s28
	v_mul_lo_u32 v2, v2, s29
	s_cbranch_vccnz .LBB189_229
; %bb.228:
	v_mul_hi_u32 v3, s44, v1
	v_add_u32_e32 v3, v1, v3
	v_lshrrev_b32_e32 v3, s45, v3
	v_mul_lo_u32 v3, v3, s27
	v_sub_u32_e32 v3, v1, v3
	v_mad_u64_u32 v[0:1], s[4:5], v3, s30, v[0:1]
	v_mad_u64_u32 v[2:3], s[4:5], v3, s31, v[2:3]
.LBB189_229:
	global_load_ushort v1, v2, s[22:23]
	v_add_u32_e32 v19, 0x80, v19
	s_waitcnt vmcnt(0)
	v_cmp_eq_f16_e32 vcc, s43, v1
	v_cndmask_b32_e64 v2, 0, 1, vcc
	v_cmp_neq_f16_e32 vcc, s43, v1
	v_cndmask_b32_e64 v1, 0, 1, vcc
	v_cndmask_b32_e64 v1, v1, v2, s[0:1]
	v_and_b32_e32 v1, 1, v1
	global_store_byte v0, v1, s[20:21]
	s_or_b64 exec, exec, s[52:53]
	v_cmp_gt_i32_e32 vcc, s59, v19
	s_and_saveexec_b64 s[52:53], vcc
	s_cbranch_execz .LBB189_220
.LBB189_230:
	s_andn2_b64 vcc, exec, s[2:3]
	s_cbranch_vccnz .LBB189_235
; %bb.231:
	s_andn2_b64 vcc, exec, s[50:51]
	s_cbranch_vccnz .LBB189_236
; %bb.232:
	s_add_i32 s60, s60, 1
	s_cmp_eq_u32 s58, 2
	s_cbranch_scc1 .LBB189_237
; %bb.233:
	s_and_b32 s42, s60, 28
	v_mov_b32_e32 v2, 0
	s_mov_b32 s54, 0
	s_mov_b64 s[50:51], s[34:35]
	v_mov_b32_e32 v0, 0
	v_mov_b32_e32 v1, v19
.LBB189_234:                            ; =>This Inner Loop Header: Depth=1
	s_load_dwordx8 s[12:19], s[50:51], 0x4
	s_load_dwordx4 s[36:39], s[50:51], 0x24
	s_load_dwordx8 s[4:11], s[48:49], 0x0
	s_add_u32 s50, s50, 48
	s_addc_u32 s51, s51, 0
	s_waitcnt lgkmcnt(0)
	v_mul_hi_u32 v3, s13, v1
	s_add_i32 s54, s54, 4
	s_add_u32 s48, s48, 32
	s_addc_u32 s49, s49, 0
	v_add_u32_e32 v3, v1, v3
	v_lshrrev_b32_e32 v3, s14, v3
	v_mul_lo_u32 v4, v3, s12
	v_mul_hi_u32 v5, s16, v3
	s_cmp_eq_u32 s42, s54
	v_sub_u32_e32 v1, v1, v4
	v_add_u32_e32 v4, v3, v5
	v_mul_lo_u32 v5, v1, s4
	v_mul_lo_u32 v6, v1, s5
	v_lshrrev_b32_e32 v1, s17, v4
	v_mul_lo_u32 v4, v1, s15
	v_mul_hi_u32 v7, s19, v1
	v_sub_u32_e32 v3, v3, v4
	v_add_u32_e32 v4, v1, v7
	v_lshrrev_b32_e32 v4, s36, v4
	v_mul_hi_u32 v8, s38, v4
	v_mul_lo_u32 v9, v4, s18
	v_mul_lo_u32 v7, v3, s6
	;; [unrolled: 1-line block ×3, first 2 shown]
	v_sub_u32_e32 v9, v1, v9
	v_add_u32_e32 v1, v4, v8
	v_lshrrev_b32_e32 v1, s39, v1
	v_mul_lo_u32 v8, v1, s37
	v_mul_lo_u32 v10, v9, s8
	;; [unrolled: 1-line block ×3, first 2 shown]
	v_add3_u32 v0, v5, v0, v7
	v_sub_u32_e32 v4, v4, v8
	v_mul_lo_u32 v8, v4, s10
	v_mul_lo_u32 v4, v4, s11
	v_add3_u32 v2, v6, v2, v3
	v_add3_u32 v0, v10, v0, v8
	;; [unrolled: 1-line block ×3, first 2 shown]
	s_cbranch_scc0 .LBB189_234
	s_branch .LBB189_238
.LBB189_235:
                                        ; implicit-def: $vgpr0
                                        ; implicit-def: $vgpr2
	s_branch .LBB189_242
.LBB189_236:
	v_mov_b32_e32 v0, 0
	v_mov_b32_e32 v2, 0
	s_branch .LBB189_241
.LBB189_237:
	s_mov_b32 s42, 0
	v_mov_b32_e32 v0, 0
	v_mov_b32_e32 v2, 0
	;; [unrolled: 1-line block ×3, first 2 shown]
.LBB189_238:
	s_and_b32 s8, s60, 3
	s_cmp_eq_u32 s8, 0
	s_cbranch_scc1 .LBB189_241
; %bb.239:
	s_lshl_b32 s4, s42, 3
	s_add_u32 s4, s34, s4
	s_addc_u32 s5, s35, 0
	s_add_u32 s4, s4, 0xc4
	s_addc_u32 s5, s5, 0
	s_mul_i32 s6, s42, 12
	s_add_u32 s6, s34, s6
	s_addc_u32 s7, s35, 0
.LBB189_240:                            ; =>This Inner Loop Header: Depth=1
	s_load_dwordx2 s[10:11], s[6:7], 0x4
	s_load_dword s9, s[6:7], 0xc
	s_load_dwordx2 s[12:13], s[4:5], 0x0
	s_add_u32 s6, s6, 12
	s_addc_u32 s7, s7, 0
	s_waitcnt lgkmcnt(0)
	v_mul_hi_u32 v3, s11, v1
	s_add_u32 s4, s4, 8
	s_addc_u32 s5, s5, 0
	s_add_i32 s8, s8, -1
	v_add_u32_e32 v3, v1, v3
	v_lshrrev_b32_e32 v4, s9, v3
	v_mul_lo_u32 v3, v4, s10
	s_cmp_lg_u32 s8, 0
	v_sub_u32_e32 v3, v1, v3
	v_mad_u64_u32 v[0:1], s[10:11], v3, s12, v[0:1]
	v_mad_u64_u32 v[2:3], s[10:11], v3, s13, v[2:3]
	v_mov_b32_e32 v1, v4
	s_cbranch_scc1 .LBB189_240
.LBB189_241:
	s_cbranch_execnz .LBB189_244
.LBB189_242:
	v_mul_hi_u32 v0, s25, v19
	s_andn2_b64 vcc, exec, s[46:47]
	v_add_u32_e32 v0, v19, v0
	v_lshrrev_b32_e32 v1, s26, v0
	v_mul_lo_u32 v0, v1, s24
	v_sub_u32_e32 v2, v19, v0
	v_mul_lo_u32 v0, v2, s28
	v_mul_lo_u32 v2, v2, s29
	s_cbranch_vccnz .LBB189_244
; %bb.243:
	v_mul_hi_u32 v3, s44, v1
	v_add_u32_e32 v3, v1, v3
	v_lshrrev_b32_e32 v3, s45, v3
	v_mul_lo_u32 v3, v3, s27
	v_sub_u32_e32 v3, v1, v3
	v_mad_u64_u32 v[0:1], s[4:5], v3, s30, v[0:1]
	v_mad_u64_u32 v[2:3], s[4:5], v3, s31, v[2:3]
.LBB189_244:
	global_load_ushort v1, v2, s[22:23]
	s_waitcnt vmcnt(0)
	v_cmp_eq_f16_e32 vcc, s43, v1
	v_cndmask_b32_e64 v2, 0, 1, vcc
	v_cmp_neq_f16_e32 vcc, s43, v1
	v_cndmask_b32_e64 v1, 0, 1, vcc
	v_cndmask_b32_e64 v1, v1, v2, s[0:1]
	v_and_b32_e32 v1, 1, v1
	global_store_byte v0, v1, s[20:21]
	s_or_b64 exec, exec, s[52:53]
                                        ; implicit-def: $vgpr25
                                        ; implicit-def: $vgpr19
	s_andn2_saveexec_b64 s[0:1], s[40:41]
	s_cbranch_execz .LBB189_221
	s_branch .LBB189_8
	.section	.rodata,"a",@progbits
	.p2align	6, 0x0
	.amdhsa_kernel _ZN2at6native32elementwise_kernel_manual_unrollILi128ELi8EZNS0_22gpu_kernel_impl_nocastINS0_13AUnaryFunctorIN3c104HalfES5_bNS0_12_GLOBAL__N_116CompareEqFunctorIS5_EEEEEEvRNS_18TensorIteratorBaseERKT_EUlibE_EEviT1_
		.amdhsa_group_segment_fixed_size 0
		.amdhsa_private_segment_fixed_size 0
		.amdhsa_kernarg_size 360
		.amdhsa_user_sgpr_count 6
		.amdhsa_user_sgpr_private_segment_buffer 1
		.amdhsa_user_sgpr_dispatch_ptr 0
		.amdhsa_user_sgpr_queue_ptr 0
		.amdhsa_user_sgpr_kernarg_segment_ptr 1
		.amdhsa_user_sgpr_dispatch_id 0
		.amdhsa_user_sgpr_flat_scratch_init 0
		.amdhsa_user_sgpr_private_segment_size 0
		.amdhsa_uses_dynamic_stack 0
		.amdhsa_system_sgpr_private_segment_wavefront_offset 0
		.amdhsa_system_sgpr_workgroup_id_x 1
		.amdhsa_system_sgpr_workgroup_id_y 0
		.amdhsa_system_sgpr_workgroup_id_z 0
		.amdhsa_system_sgpr_workgroup_info 0
		.amdhsa_system_vgpr_workitem_id 0
		.amdhsa_next_free_vgpr 26
		.amdhsa_next_free_sgpr 63
		.amdhsa_reserve_vcc 1
		.amdhsa_reserve_flat_scratch 0
		.amdhsa_float_round_mode_32 0
		.amdhsa_float_round_mode_16_64 0
		.amdhsa_float_denorm_mode_32 3
		.amdhsa_float_denorm_mode_16_64 3
		.amdhsa_dx10_clamp 1
		.amdhsa_ieee_mode 1
		.amdhsa_fp16_overflow 0
		.amdhsa_exception_fp_ieee_invalid_op 0
		.amdhsa_exception_fp_denorm_src 0
		.amdhsa_exception_fp_ieee_div_zero 0
		.amdhsa_exception_fp_ieee_overflow 0
		.amdhsa_exception_fp_ieee_underflow 0
		.amdhsa_exception_fp_ieee_inexact 0
		.amdhsa_exception_int_div_zero 0
	.end_amdhsa_kernel
	.section	.text._ZN2at6native32elementwise_kernel_manual_unrollILi128ELi8EZNS0_22gpu_kernel_impl_nocastINS0_13AUnaryFunctorIN3c104HalfES5_bNS0_12_GLOBAL__N_116CompareEqFunctorIS5_EEEEEEvRNS_18TensorIteratorBaseERKT_EUlibE_EEviT1_,"axG",@progbits,_ZN2at6native32elementwise_kernel_manual_unrollILi128ELi8EZNS0_22gpu_kernel_impl_nocastINS0_13AUnaryFunctorIN3c104HalfES5_bNS0_12_GLOBAL__N_116CompareEqFunctorIS5_EEEEEEvRNS_18TensorIteratorBaseERKT_EUlibE_EEviT1_,comdat
.Lfunc_end189:
	.size	_ZN2at6native32elementwise_kernel_manual_unrollILi128ELi8EZNS0_22gpu_kernel_impl_nocastINS0_13AUnaryFunctorIN3c104HalfES5_bNS0_12_GLOBAL__N_116CompareEqFunctorIS5_EEEEEEvRNS_18TensorIteratorBaseERKT_EUlibE_EEviT1_, .Lfunc_end189-_ZN2at6native32elementwise_kernel_manual_unrollILi128ELi8EZNS0_22gpu_kernel_impl_nocastINS0_13AUnaryFunctorIN3c104HalfES5_bNS0_12_GLOBAL__N_116CompareEqFunctorIS5_EEEEEEvRNS_18TensorIteratorBaseERKT_EUlibE_EEviT1_
                                        ; -- End function
	.set _ZN2at6native32elementwise_kernel_manual_unrollILi128ELi8EZNS0_22gpu_kernel_impl_nocastINS0_13AUnaryFunctorIN3c104HalfES5_bNS0_12_GLOBAL__N_116CompareEqFunctorIS5_EEEEEEvRNS_18TensorIteratorBaseERKT_EUlibE_EEviT1_.num_vgpr, 26
	.set _ZN2at6native32elementwise_kernel_manual_unrollILi128ELi8EZNS0_22gpu_kernel_impl_nocastINS0_13AUnaryFunctorIN3c104HalfES5_bNS0_12_GLOBAL__N_116CompareEqFunctorIS5_EEEEEEvRNS_18TensorIteratorBaseERKT_EUlibE_EEviT1_.num_agpr, 0
	.set _ZN2at6native32elementwise_kernel_manual_unrollILi128ELi8EZNS0_22gpu_kernel_impl_nocastINS0_13AUnaryFunctorIN3c104HalfES5_bNS0_12_GLOBAL__N_116CompareEqFunctorIS5_EEEEEEvRNS_18TensorIteratorBaseERKT_EUlibE_EEviT1_.numbered_sgpr, 63
	.set _ZN2at6native32elementwise_kernel_manual_unrollILi128ELi8EZNS0_22gpu_kernel_impl_nocastINS0_13AUnaryFunctorIN3c104HalfES5_bNS0_12_GLOBAL__N_116CompareEqFunctorIS5_EEEEEEvRNS_18TensorIteratorBaseERKT_EUlibE_EEviT1_.num_named_barrier, 0
	.set _ZN2at6native32elementwise_kernel_manual_unrollILi128ELi8EZNS0_22gpu_kernel_impl_nocastINS0_13AUnaryFunctorIN3c104HalfES5_bNS0_12_GLOBAL__N_116CompareEqFunctorIS5_EEEEEEvRNS_18TensorIteratorBaseERKT_EUlibE_EEviT1_.private_seg_size, 0
	.set _ZN2at6native32elementwise_kernel_manual_unrollILi128ELi8EZNS0_22gpu_kernel_impl_nocastINS0_13AUnaryFunctorIN3c104HalfES5_bNS0_12_GLOBAL__N_116CompareEqFunctorIS5_EEEEEEvRNS_18TensorIteratorBaseERKT_EUlibE_EEviT1_.uses_vcc, 1
	.set _ZN2at6native32elementwise_kernel_manual_unrollILi128ELi8EZNS0_22gpu_kernel_impl_nocastINS0_13AUnaryFunctorIN3c104HalfES5_bNS0_12_GLOBAL__N_116CompareEqFunctorIS5_EEEEEEvRNS_18TensorIteratorBaseERKT_EUlibE_EEviT1_.uses_flat_scratch, 0
	.set _ZN2at6native32elementwise_kernel_manual_unrollILi128ELi8EZNS0_22gpu_kernel_impl_nocastINS0_13AUnaryFunctorIN3c104HalfES5_bNS0_12_GLOBAL__N_116CompareEqFunctorIS5_EEEEEEvRNS_18TensorIteratorBaseERKT_EUlibE_EEviT1_.has_dyn_sized_stack, 0
	.set _ZN2at6native32elementwise_kernel_manual_unrollILi128ELi8EZNS0_22gpu_kernel_impl_nocastINS0_13AUnaryFunctorIN3c104HalfES5_bNS0_12_GLOBAL__N_116CompareEqFunctorIS5_EEEEEEvRNS_18TensorIteratorBaseERKT_EUlibE_EEviT1_.has_recursion, 0
	.set _ZN2at6native32elementwise_kernel_manual_unrollILi128ELi8EZNS0_22gpu_kernel_impl_nocastINS0_13AUnaryFunctorIN3c104HalfES5_bNS0_12_GLOBAL__N_116CompareEqFunctorIS5_EEEEEEvRNS_18TensorIteratorBaseERKT_EUlibE_EEviT1_.has_indirect_call, 0
	.section	.AMDGPU.csdata,"",@progbits
; Kernel info:
; codeLenInByte = 11744
; TotalNumSgprs: 67
; NumVgprs: 26
; ScratchSize: 0
; MemoryBound: 0
; FloatMode: 240
; IeeeMode: 1
; LDSByteSize: 0 bytes/workgroup (compile time only)
; SGPRBlocks: 8
; VGPRBlocks: 6
; NumSGPRsForWavesPerEU: 67
; NumVGPRsForWavesPerEU: 26
; Occupancy: 9
; WaveLimiterHint : 1
; COMPUTE_PGM_RSRC2:SCRATCH_EN: 0
; COMPUTE_PGM_RSRC2:USER_SGPR: 6
; COMPUTE_PGM_RSRC2:TRAP_HANDLER: 0
; COMPUTE_PGM_RSRC2:TGID_X_EN: 1
; COMPUTE_PGM_RSRC2:TGID_Y_EN: 0
; COMPUTE_PGM_RSRC2:TGID_Z_EN: 0
; COMPUTE_PGM_RSRC2:TIDIG_COMP_CNT: 0
	.section	.text._ZN2at6native32elementwise_kernel_manual_unrollILi128ELi4EZNS0_15gpu_kernel_implINS0_13AUnaryFunctorIN3c104HalfES5_bNS0_12_GLOBAL__N_116CompareEqFunctorIS5_EEEEEEvRNS_18TensorIteratorBaseERKT_EUlibE_EEviT1_,"axG",@progbits,_ZN2at6native32elementwise_kernel_manual_unrollILi128ELi4EZNS0_15gpu_kernel_implINS0_13AUnaryFunctorIN3c104HalfES5_bNS0_12_GLOBAL__N_116CompareEqFunctorIS5_EEEEEEvRNS_18TensorIteratorBaseERKT_EUlibE_EEviT1_,comdat
	.globl	_ZN2at6native32elementwise_kernel_manual_unrollILi128ELi4EZNS0_15gpu_kernel_implINS0_13AUnaryFunctorIN3c104HalfES5_bNS0_12_GLOBAL__N_116CompareEqFunctorIS5_EEEEEEvRNS_18TensorIteratorBaseERKT_EUlibE_EEviT1_ ; -- Begin function _ZN2at6native32elementwise_kernel_manual_unrollILi128ELi4EZNS0_15gpu_kernel_implINS0_13AUnaryFunctorIN3c104HalfES5_bNS0_12_GLOBAL__N_116CompareEqFunctorIS5_EEEEEEvRNS_18TensorIteratorBaseERKT_EUlibE_EEviT1_
	.p2align	8
	.type	_ZN2at6native32elementwise_kernel_manual_unrollILi128ELi4EZNS0_15gpu_kernel_implINS0_13AUnaryFunctorIN3c104HalfES5_bNS0_12_GLOBAL__N_116CompareEqFunctorIS5_EEEEEEvRNS_18TensorIteratorBaseERKT_EUlibE_EEviT1_,@function
_ZN2at6native32elementwise_kernel_manual_unrollILi128ELi4EZNS0_15gpu_kernel_implINS0_13AUnaryFunctorIN3c104HalfES5_bNS0_12_GLOBAL__N_116CompareEqFunctorIS5_EEEEEEvRNS_18TensorIteratorBaseERKT_EUlibE_EEviT1_: ; @_ZN2at6native32elementwise_kernel_manual_unrollILi128ELi4EZNS0_15gpu_kernel_implINS0_13AUnaryFunctorIN3c104HalfES5_bNS0_12_GLOBAL__N_116CompareEqFunctorIS5_EEEEEEvRNS_18TensorIteratorBaseERKT_EUlibE_EEviT1_
; %bb.0:
	s_load_dwordx2 s[16:17], s[4:5], 0x24
	s_load_dword s33, s[4:5], 0x0
	s_load_dwordx8 s[8:15], s[4:5], 0x8
	v_lshl_or_b32 v2, s6, 9, v0
	v_or_b32_e32 v0, 0x180, v2
	s_waitcnt lgkmcnt(0)
	s_bfe_u32 s15, s17, 0x80008
	v_cmp_le_i32_e32 vcc, s33, v0
	s_mov_b64 s[6:7], 0
	s_mov_b64 s[20:21], 0
	s_and_saveexec_b64 s[0:1], vcc
	s_xor_b64 s[18:19], exec, s[0:1]
	s_cbranch_execz .LBB190_1027
; %bb.1:
	s_cmp_eq_u32 s14, 0
	s_cselect_b64 s[0:1], -1, 0
	v_cmp_gt_i32_e32 vcc, s33, v2
	s_mov_b64 s[2:3], -1
	s_mov_b64 s[28:29], 0
	s_mov_b64 s[22:23], 0
	s_and_saveexec_b64 s[24:25], vcc
	s_cbranch_execz .LBB190_252
; %bb.2:
	v_mul_lo_u32 v0, v2, s13
	v_mov_b32_e32 v1, s11
	s_and_b32 s26, 0xffff, s15
	s_cmp_lt_i32 s26, 11
	v_ashrrev_i32_e32 v3, 31, v0
	v_add_co_u32_e32 v0, vcc, s10, v0
	v_addc_co_u32_e32 v1, vcc, v1, v3, vcc
	s_cbranch_scc1 .LBB190_9
; %bb.3:
	s_cmp_gt_i32 s26, 25
	s_cbranch_scc0 .LBB190_18
; %bb.4:
	s_cmp_gt_i32 s26, 28
	s_cbranch_scc0 .LBB190_22
	;; [unrolled: 3-line block ×4, first 2 shown]
; %bb.7:
	s_cmp_eq_u32 s26, 46
	s_mov_b64 s[4:5], 0
	s_cbranch_scc0 .LBB190_28
; %bb.8:
	global_load_dword v3, v[0:1], off
	s_waitcnt vmcnt(0)
	v_lshlrev_b32_e32 v3, 16, v3
	v_cvt_f16_f32_e32 v3, v3
	s_branch .LBB190_30
.LBB190_9:
                                        ; implicit-def: $vgpr3
	s_mov_b64 s[2:3], 0
	s_cbranch_execnz .LBB190_203
.LBB190_10:
	s_andn2_b64 vcc, exec, s[2:3]
	s_cbranch_vccnz .LBB190_250
.LBB190_11:
	s_waitcnt vmcnt(0)
	v_cmp_eq_f16_e32 vcc, s16, v3
	v_cndmask_b32_e64 v0, 0, 1, vcc
	v_cmp_neq_f16_e32 vcc, s16, v3
	v_mul_lo_u32 v3, v2, s12
	v_cndmask_b32_e64 v1, 0, 1, vcc
	v_cndmask_b32_e64 v0, v1, v0, s[0:1]
	v_and_b32_e32 v0, 1, v0
	v_cmp_eq_u32_e64 s[2:3], 1, v0
	v_ashrrev_i32_e32 v1, 31, v3
	v_mov_b32_e32 v4, s9
	s_and_b32 s34, s17, 0xff
	v_add_co_u32_e32 v0, vcc, s8, v3
	s_cmp_lt_i32 s34, 11
	v_addc_co_u32_e32 v1, vcc, v4, v1, vcc
	s_cbranch_scc1 .LBB190_19
; %bb.12:
	s_and_b32 s35, 0xffff, s34
	s_cmp_gt_i32 s35, 25
	s_cbranch_scc0 .LBB190_23
; %bb.13:
	s_cmp_gt_i32 s35, 28
	s_cbranch_scc0 .LBB190_25
; %bb.14:
	;; [unrolled: 3-line block ×4, first 2 shown]
	s_mov_b64 s[26:27], 0
	s_mov_b64 s[4:5], -1
	s_cmp_eq_u32 s35, 46
	s_mov_b64 s[20:21], 0
	s_cbranch_scc0 .LBB190_34
; %bb.17:
	v_cndmask_b32_e64 v3, 0, 1.0, s[2:3]
	v_bfe_u32 v4, v3, 16, 1
	s_movk_i32 s4, 0x7fff
	v_add3_u32 v3, v3, v4, s4
	v_lshrrev_b32_e32 v3, 16, v3
	global_store_dword v[0:1], v3, off
	s_mov_b64 s[20:21], -1
	s_mov_b64 s[4:5], 0
	s_branch .LBB190_34
.LBB190_18:
	s_mov_b64 s[2:3], 0
                                        ; implicit-def: $vgpr3
	s_cbranch_execnz .LBB190_168
	s_branch .LBB190_202
.LBB190_19:
	s_mov_b64 s[4:5], 0
	s_mov_b64 s[20:21], 0
	s_cbranch_execnz .LBB190_103
.LBB190_20:
	s_andn2_b64 vcc, exec, s[20:21]
	s_cbranch_vccnz .LBB190_141
.LBB190_21:
	v_add_u32_e32 v2, 0x80, v2
	s_mov_b64 s[2:3], -1
	s_branch .LBB190_251
.LBB190_22:
	s_mov_b64 s[4:5], -1
	s_mov_b64 s[2:3], 0
                                        ; implicit-def: $vgpr3
	s_branch .LBB190_149
.LBB190_23:
	s_mov_b64 s[26:27], -1
	s_mov_b64 s[4:5], 0
	s_mov_b64 s[20:21], 0
	s_branch .LBB190_61
.LBB190_24:
	s_mov_b64 s[4:5], -1
	s_mov_b64 s[2:3], 0
                                        ; implicit-def: $vgpr3
	s_branch .LBB190_144
.LBB190_25:
	s_mov_b64 s[26:27], -1
	s_mov_b64 s[4:5], 0
	s_mov_b64 s[20:21], 0
	s_branch .LBB190_44
.LBB190_26:
	s_mov_b64 s[4:5], -1
	s_branch .LBB190_29
.LBB190_27:
	s_mov_b64 s[26:27], -1
	s_mov_b64 s[4:5], 0
	s_mov_b64 s[20:21], 0
	s_branch .LBB190_40
.LBB190_28:
	s_mov_b64 s[22:23], -1
.LBB190_29:
	s_mov_b64 s[2:3], 0
                                        ; implicit-def: $vgpr3
.LBB190_30:
	s_and_b64 vcc, exec, s[4:5]
	s_cbranch_vccz .LBB190_143
; %bb.31:
	s_cmp_eq_u32 s26, 44
	s_cbranch_scc0 .LBB190_142
; %bb.32:
	global_load_ubyte v3, v[0:1], off
	s_movk_i32 s4, 0xff
	v_mov_b32_e32 v5, 0x7e00
	s_mov_b64 s[2:3], -1
	s_mov_b64 s[22:23], 0
	s_waitcnt vmcnt(0)
	v_lshlrev_b32_e32 v4, 23, v3
	v_cvt_f16_f32_e32 v4, v4
	v_cmp_ne_u32_e32 vcc, s4, v3
	v_cndmask_b32_e32 v4, v5, v4, vcc
	v_cmp_ne_u32_e32 vcc, 0, v3
	v_cndmask_b32_e32 v3, 0, v4, vcc
	s_branch .LBB190_143
.LBB190_33:
	s_mov_b64 s[26:27], -1
	s_mov_b64 s[4:5], 0
	s_mov_b64 s[20:21], 0
.LBB190_34:
	s_and_b64 vcc, exec, s[26:27]
	s_cbranch_vccz .LBB190_39
; %bb.35:
	s_cmp_eq_u32 s35, 44
	s_mov_b64 s[4:5], -1
	s_cbranch_scc0 .LBB190_39
; %bb.36:
	v_cndmask_b32_e64 v4, 0, 1.0, s[2:3]
	v_lshrrev_b32_e32 v3, 23, v4
	s_movk_i32 s4, 0xff
	v_cmp_ne_u32_e32 vcc, s4, v3
	v_mov_b32_e32 v5, 0xff
	s_and_saveexec_b64 s[20:21], vcc
; %bb.37:
	s_mov_b32 s4, 0x3fffff
	v_and_b32_e32 v5, 0x400000, v4
	v_and_or_b32 v4, v4, s4, v3
	v_cmp_ne_u32_e32 vcc, 0, v5
	v_cmp_ne_u32_e64 s[4:5], 0, v4
	s_and_b64 s[4:5], vcc, s[4:5]
	v_cndmask_b32_e64 v4, 0, 1, s[4:5]
	v_add_u32_e32 v5, v3, v4
; %bb.38:
	s_or_b64 exec, exec, s[20:21]
	s_mov_b64 s[20:21], -1
	s_mov_b64 s[4:5], 0
	global_store_byte v[0:1], v5, off
.LBB190_39:
	s_mov_b64 s[26:27], 0
.LBB190_40:
	s_and_b64 vcc, exec, s[26:27]
	s_cbranch_vccz .LBB190_43
; %bb.41:
	s_cmp_eq_u32 s35, 29
	s_mov_b64 s[4:5], -1
	s_cbranch_scc0 .LBB190_43
; %bb.42:
	s_mov_b32 s4, 0
	v_cndmask_b32_e64 v3, 0, 1, s[2:3]
	v_mov_b32_e32 v4, s4
	global_store_dwordx2 v[0:1], v[3:4], off
	s_mov_b64 s[20:21], -1
	s_mov_b64 s[4:5], 0
.LBB190_43:
	s_mov_b64 s[26:27], 0
.LBB190_44:
	s_and_b64 vcc, exec, s[26:27]
	s_cbranch_vccz .LBB190_60
; %bb.45:
	s_cmp_lt_i32 s35, 27
	s_mov_b64 s[20:21], -1
	s_cbranch_scc1 .LBB190_51
; %bb.46:
	s_cmp_gt_i32 s35, 27
	s_cbranch_scc0 .LBB190_48
; %bb.47:
	v_cndmask_b32_e64 v3, 0, 1, s[2:3]
	s_mov_b64 s[20:21], 0
	global_store_dword v[0:1], v3, off
.LBB190_48:
	s_andn2_b64 vcc, exec, s[20:21]
	s_cbranch_vccnz .LBB190_50
; %bb.49:
	v_cndmask_b32_e64 v3, 0, 1, s[2:3]
	global_store_short v[0:1], v3, off
.LBB190_50:
	s_mov_b64 s[20:21], 0
.LBB190_51:
	s_andn2_b64 vcc, exec, s[20:21]
	s_cbranch_vccnz .LBB190_59
; %bb.52:
	v_cndmask_b32_e64 v4, 0, 1.0, s[2:3]
	s_mov_b32 s20, 0x43800000
	v_cmp_gt_u32_e32 vcc, s20, v4
	v_mov_b32_e32 v5, 0x80
	s_and_saveexec_b64 s[20:21], vcc
	s_cbranch_execz .LBB190_58
; %bb.53:
	s_mov_b32 s26, 0x3bffffff
	v_cmp_lt_u32_e32 vcc, s26, v4
	s_mov_b64 s[26:27], 0
                                        ; implicit-def: $vgpr3
	s_and_saveexec_b64 s[30:31], vcc
	s_xor_b64 s[30:31], exec, s[30:31]
	s_cbranch_execz .LBB190_279
; %bb.54:
	v_bfe_u32 v3, v4, 20, 1
	s_mov_b32 s36, 0x487ffff
	v_add3_u32 v3, v4, v3, s36
	s_mov_b64 s[26:27], exec
	v_lshrrev_b32_e32 v3, 20, v3
                                        ; implicit-def: $vgpr4
	s_andn2_saveexec_b64 s[30:31], s[30:31]
	s_cbranch_execnz .LBB190_280
.LBB190_55:
	s_or_b64 exec, exec, s[30:31]
	v_mov_b32_e32 v5, 0
	s_and_saveexec_b64 s[30:31], s[26:27]
.LBB190_56:
	v_mov_b32_e32 v5, v3
.LBB190_57:
	s_or_b64 exec, exec, s[30:31]
.LBB190_58:
	s_or_b64 exec, exec, s[20:21]
	global_store_byte v[0:1], v5, off
.LBB190_59:
	s_mov_b64 s[20:21], -1
.LBB190_60:
	s_mov_b64 s[26:27], 0
.LBB190_61:
	s_and_b64 vcc, exec, s[26:27]
	s_cbranch_vccz .LBB190_102
; %bb.62:
	s_cmp_gt_i32 s35, 22
	s_mov_b64 s[26:27], -1
	s_cbranch_scc0 .LBB190_94
; %bb.63:
	s_cmp_lt_i32 s35, 24
	s_mov_b64 s[20:21], -1
	s_cbranch_scc1 .LBB190_83
; %bb.64:
	s_cmp_gt_i32 s35, 24
	s_cbranch_scc0 .LBB190_72
; %bb.65:
	v_cndmask_b32_e64 v4, 0, 1.0, s[2:3]
	s_mov_b32 s20, 0x47800000
	v_cmp_gt_u32_e32 vcc, s20, v4
	v_mov_b32_e32 v5, 0x80
	s_and_saveexec_b64 s[20:21], vcc
	s_cbranch_execz .LBB190_71
; %bb.66:
	s_mov_b32 s26, 0x37ffffff
	v_cmp_lt_u32_e32 vcc, s26, v4
	s_mov_b64 s[26:27], 0
                                        ; implicit-def: $vgpr3
	s_and_saveexec_b64 s[30:31], vcc
	s_xor_b64 s[30:31], exec, s[30:31]
	s_cbranch_execz .LBB190_283
; %bb.67:
	v_bfe_u32 v3, v4, 21, 1
	s_mov_b32 s36, 0x88fffff
	v_add3_u32 v3, v4, v3, s36
	s_mov_b64 s[26:27], exec
	v_lshrrev_b32_e32 v3, 21, v3
                                        ; implicit-def: $vgpr4
	s_andn2_saveexec_b64 s[30:31], s[30:31]
	s_cbranch_execnz .LBB190_284
.LBB190_68:
	s_or_b64 exec, exec, s[30:31]
	v_mov_b32_e32 v5, 0
	s_and_saveexec_b64 s[30:31], s[26:27]
.LBB190_69:
	v_mov_b32_e32 v5, v3
.LBB190_70:
	s_or_b64 exec, exec, s[30:31]
.LBB190_71:
	s_or_b64 exec, exec, s[20:21]
	s_mov_b64 s[20:21], 0
	global_store_byte v[0:1], v5, off
.LBB190_72:
	s_and_b64 vcc, exec, s[20:21]
	s_cbranch_vccz .LBB190_82
; %bb.73:
	v_cndmask_b32_e64 v3, 0, 1.0, s[2:3]
	s_mov_b32 s20, 0x43f00000
	v_cmp_gt_u32_e32 vcc, s20, v3
                                        ; implicit-def: $vgpr4
	s_and_saveexec_b64 s[20:21], vcc
	s_xor_b64 s[20:21], exec, s[20:21]
	s_cbranch_execz .LBB190_79
; %bb.74:
	s_mov_b32 s26, 0x3c7fffff
	v_cmp_lt_u32_e32 vcc, s26, v3
                                        ; implicit-def: $vgpr4
	s_and_saveexec_b64 s[26:27], vcc
	s_xor_b64 s[26:27], exec, s[26:27]
; %bb.75:
	v_bfe_u32 v4, v3, 20, 1
	s_mov_b32 s30, 0x407ffff
	v_add3_u32 v3, v3, v4, s30
	v_lshrrev_b32_e32 v4, 20, v3
	v_and_b32_e32 v3, 0xff00000, v3
	s_mov_b32 s30, 0x7f00000
	v_mov_b32_e32 v5, 0x7e
	v_cmp_ne_u32_e32 vcc, s30, v3
	v_cndmask_b32_e32 v4, v5, v4, vcc
                                        ; implicit-def: $vgpr3
; %bb.76:
	s_andn2_saveexec_b64 s[26:27], s[26:27]
; %bb.77:
	v_add_f32_e32 v4, 0x46800000, v3
; %bb.78:
	s_or_b64 exec, exec, s[26:27]
                                        ; implicit-def: $vgpr3
.LBB190_79:
	s_andn2_saveexec_b64 s[20:21], s[20:21]
; %bb.80:
	s_mov_b32 s26, 0x7f800000
	v_mov_b32_e32 v4, 0x7e
	v_mov_b32_e32 v5, 0x7f
	v_cmp_lt_u32_e32 vcc, s26, v3
	v_cndmask_b32_e32 v4, v4, v5, vcc
; %bb.81:
	s_or_b64 exec, exec, s[20:21]
	global_store_byte v[0:1], v4, off
.LBB190_82:
	s_mov_b64 s[20:21], 0
.LBB190_83:
	s_andn2_b64 vcc, exec, s[20:21]
	s_cbranch_vccnz .LBB190_93
; %bb.84:
	v_cndmask_b32_e64 v3, 0, 1.0, s[2:3]
	s_mov_b32 s20, 0x47800000
	v_cmp_gt_u32_e32 vcc, s20, v3
                                        ; implicit-def: $vgpr4
	s_and_saveexec_b64 s[20:21], vcc
	s_xor_b64 s[20:21], exec, s[20:21]
	s_cbranch_execz .LBB190_90
; %bb.85:
	s_mov_b32 s26, 0x387fffff
	v_cmp_lt_u32_e32 vcc, s26, v3
                                        ; implicit-def: $vgpr4
	s_and_saveexec_b64 s[26:27], vcc
	s_xor_b64 s[26:27], exec, s[26:27]
; %bb.86:
	v_bfe_u32 v4, v3, 21, 1
	s_mov_b32 s30, 0x80fffff
	v_add3_u32 v3, v3, v4, s30
	v_lshrrev_b32_e32 v4, 21, v3
                                        ; implicit-def: $vgpr3
; %bb.87:
	s_andn2_saveexec_b64 s[26:27], s[26:27]
; %bb.88:
	v_add_f32_e32 v4, 0x43000000, v3
; %bb.89:
	s_or_b64 exec, exec, s[26:27]
                                        ; implicit-def: $vgpr3
.LBB190_90:
	s_andn2_saveexec_b64 s[20:21], s[20:21]
; %bb.91:
	s_mov_b32 s26, 0x7f800000
	v_mov_b32_e32 v4, 0x7c
	v_mov_b32_e32 v5, 0x7f
	v_cmp_lt_u32_e32 vcc, s26, v3
	v_cndmask_b32_e32 v4, v4, v5, vcc
; %bb.92:
	s_or_b64 exec, exec, s[20:21]
	global_store_byte v[0:1], v4, off
.LBB190_93:
	s_mov_b64 s[26:27], 0
	s_mov_b64 s[20:21], -1
.LBB190_94:
	s_andn2_b64 vcc, exec, s[26:27]
	s_cbranch_vccnz .LBB190_102
; %bb.95:
	s_cmp_gt_i32 s35, 14
	s_mov_b64 s[26:27], -1
	s_cbranch_scc0 .LBB190_99
; %bb.96:
	s_cmp_eq_u32 s35, 15
	s_mov_b64 s[4:5], -1
	s_cbranch_scc0 .LBB190_98
; %bb.97:
	v_cndmask_b32_e64 v3, 0, 1.0, s[2:3]
	v_bfe_u32 v4, v3, 16, 1
	s_movk_i32 s4, 0x7fff
	v_add3_u32 v3, v3, v4, s4
	global_store_short_d16_hi v[0:1], v3, off
	s_mov_b64 s[20:21], -1
	s_mov_b64 s[4:5], 0
.LBB190_98:
	s_mov_b64 s[26:27], 0
.LBB190_99:
	s_and_b64 vcc, exec, s[26:27]
	s_cbranch_vccz .LBB190_102
; %bb.100:
	s_cmp_eq_u32 s35, 11
	s_mov_b64 s[4:5], -1
	s_cbranch_scc0 .LBB190_102
; %bb.101:
	v_cndmask_b32_e64 v3, 0, 1, s[2:3]
	s_mov_b64 s[20:21], -1
	s_mov_b64 s[4:5], 0
	global_store_byte v[0:1], v3, off
.LBB190_102:
	s_branch .LBB190_20
.LBB190_103:
	s_and_b32 s26, 0xffff, s34
	s_cmp_lt_i32 s26, 5
	s_mov_b64 s[20:21], -1
	s_cbranch_scc1 .LBB190_124
; %bb.104:
	s_cmp_lt_i32 s26, 8
	s_cbranch_scc1 .LBB190_114
; %bb.105:
	s_cmp_lt_i32 s26, 9
	s_cbranch_scc1 .LBB190_111
; %bb.106:
	s_cmp_gt_i32 s26, 9
	s_cbranch_scc0 .LBB190_108
; %bb.107:
	v_cndmask_b32_e64 v3, 0, 1, s[2:3]
	v_cvt_f64_u32_e32 v[3:4], v3
	v_mov_b32_e32 v5, 0
	v_mov_b32_e32 v6, v5
	s_mov_b64 s[20:21], 0
	global_store_dwordx4 v[0:1], v[3:6], off
.LBB190_108:
	s_andn2_b64 vcc, exec, s[20:21]
	s_cbranch_vccnz .LBB190_110
; %bb.109:
	v_cndmask_b32_e64 v3, 0, 1.0, s[2:3]
	v_mov_b32_e32 v4, 0
	global_store_dwordx2 v[0:1], v[3:4], off
.LBB190_110:
	s_mov_b64 s[20:21], 0
.LBB190_111:
	s_andn2_b64 vcc, exec, s[20:21]
	s_cbranch_vccnz .LBB190_113
; %bb.112:
	v_cndmask_b32_e64 v3, 0, 1.0, s[2:3]
	v_cvt_f16_f32_e32 v3, v3
	global_store_dword v[0:1], v3, off
.LBB190_113:
	s_mov_b64 s[20:21], 0
.LBB190_114:
	s_andn2_b64 vcc, exec, s[20:21]
	s_cbranch_vccnz .LBB190_123
; %bb.115:
	s_cmp_lt_i32 s26, 6
	s_mov_b64 s[20:21], -1
	s_cbranch_scc1 .LBB190_121
; %bb.116:
	s_cmp_gt_i32 s26, 6
	s_cbranch_scc0 .LBB190_118
; %bb.117:
	v_cndmask_b32_e64 v3, 0, 1, s[2:3]
	v_cvt_f64_u32_e32 v[3:4], v3
	s_mov_b64 s[20:21], 0
	global_store_dwordx2 v[0:1], v[3:4], off
.LBB190_118:
	s_andn2_b64 vcc, exec, s[20:21]
	s_cbranch_vccnz .LBB190_120
; %bb.119:
	v_cndmask_b32_e64 v3, 0, 1.0, s[2:3]
	global_store_dword v[0:1], v3, off
.LBB190_120:
	s_mov_b64 s[20:21], 0
.LBB190_121:
	s_andn2_b64 vcc, exec, s[20:21]
	s_cbranch_vccnz .LBB190_123
; %bb.122:
	v_cndmask_b32_e64 v3, 0, 1.0, s[2:3]
	v_cvt_f16_f32_e32 v3, v3
	global_store_short v[0:1], v3, off
.LBB190_123:
	s_mov_b64 s[20:21], 0
.LBB190_124:
	s_andn2_b64 vcc, exec, s[20:21]
	s_cbranch_vccnz .LBB190_140
; %bb.125:
	s_cmp_lt_i32 s26, 2
	s_mov_b64 s[20:21], -1
	s_cbranch_scc1 .LBB190_135
; %bb.126:
	s_cmp_lt_i32 s26, 3
	s_cbranch_scc1 .LBB190_132
; %bb.127:
	s_cmp_gt_i32 s26, 3
	s_cbranch_scc0 .LBB190_129
; %bb.128:
	s_mov_b32 s20, 0
	v_cndmask_b32_e64 v3, 0, 1, s[2:3]
	v_mov_b32_e32 v4, s20
	global_store_dwordx2 v[0:1], v[3:4], off
	s_mov_b64 s[20:21], 0
.LBB190_129:
	s_andn2_b64 vcc, exec, s[20:21]
	s_cbranch_vccnz .LBB190_131
; %bb.130:
	v_cndmask_b32_e64 v3, 0, 1, s[2:3]
	global_store_dword v[0:1], v3, off
.LBB190_131:
	s_mov_b64 s[20:21], 0
.LBB190_132:
	s_andn2_b64 vcc, exec, s[20:21]
	s_cbranch_vccnz .LBB190_134
; %bb.133:
	v_cndmask_b32_e64 v3, 0, 1, s[2:3]
	global_store_short v[0:1], v3, off
.LBB190_134:
	s_mov_b64 s[20:21], 0
.LBB190_135:
	s_andn2_b64 vcc, exec, s[20:21]
	s_cbranch_vccnz .LBB190_140
; %bb.136:
	s_mov_b64 s[20:21], -1
	s_cmp_gt_i32 s26, 0
	v_cndmask_b32_e64 v3, 0, 1, s[2:3]
	s_cbranch_scc0 .LBB190_138
; %bb.137:
	global_store_byte v[0:1], v3, off
	s_mov_b64 s[20:21], 0
.LBB190_138:
	s_andn2_b64 vcc, exec, s[20:21]
	s_cbranch_vccnz .LBB190_140
; %bb.139:
	global_store_byte v[0:1], v3, off
.LBB190_140:
	s_branch .LBB190_21
.LBB190_141:
	s_mov_b64 s[2:3], 0
                                        ; implicit-def: $vgpr2
	s_branch .LBB190_251
.LBB190_142:
	s_mov_b64 s[22:23], -1
                                        ; implicit-def: $vgpr3
.LBB190_143:
	s_mov_b64 s[4:5], 0
.LBB190_144:
	s_and_b64 vcc, exec, s[4:5]
	s_cbranch_vccz .LBB190_148
; %bb.145:
	s_cmp_eq_u32 s26, 29
	s_cbranch_scc0 .LBB190_147
; %bb.146:
	global_load_dwordx2 v[3:4], v[0:1], off
	s_mov_b64 s[2:3], -1
	s_mov_b64 s[22:23], 0
	s_mov_b64 s[4:5], 0
	s_waitcnt vmcnt(0)
	v_ffbh_u32_e32 v5, v4
	v_min_u32_e32 v5, 32, v5
	v_lshlrev_b64 v[3:4], v5, v[3:4]
	v_min_u32_e32 v3, 1, v3
	v_or_b32_e32 v3, v4, v3
	v_cvt_f32_u32_e32 v3, v3
	v_sub_u32_e32 v4, 32, v5
	v_ldexp_f32 v3, v3, v4
	v_cvt_f16_f32_e32 v3, v3
	s_branch .LBB190_149
.LBB190_147:
	s_mov_b64 s[22:23], -1
                                        ; implicit-def: $vgpr3
.LBB190_148:
	s_mov_b64 s[4:5], 0
.LBB190_149:
	s_and_b64 vcc, exec, s[4:5]
	s_cbranch_vccz .LBB190_167
; %bb.150:
	s_cmp_lt_i32 s26, 27
	s_cbranch_scc1 .LBB190_153
; %bb.151:
	s_cmp_gt_i32 s26, 27
	s_cbranch_scc0 .LBB190_154
; %bb.152:
	global_load_dword v3, v[0:1], off
	s_mov_b64 s[2:3], 0
	s_waitcnt vmcnt(0)
	v_cvt_f32_u32_e32 v3, v3
	v_cvt_f16_f32_e32 v3, v3
	s_branch .LBB190_155
.LBB190_153:
	s_mov_b64 s[2:3], -1
                                        ; implicit-def: $vgpr3
	s_branch .LBB190_158
.LBB190_154:
	s_mov_b64 s[2:3], -1
                                        ; implicit-def: $vgpr3
.LBB190_155:
	s_andn2_b64 vcc, exec, s[2:3]
	s_cbranch_vccnz .LBB190_157
; %bb.156:
	global_load_ushort v3, v[0:1], off
	s_waitcnt vmcnt(0)
	v_cvt_f16_u16_e32 v3, v3
.LBB190_157:
	s_mov_b64 s[2:3], 0
.LBB190_158:
	s_andn2_b64 vcc, exec, s[2:3]
	s_cbranch_vccnz .LBB190_166
; %bb.159:
	global_load_ubyte v4, v[0:1], off
	s_movk_i32 s2, 0x7f
	s_waitcnt vmcnt(0)
	v_cmp_lt_i16_e32 vcc, s2, v4
	s_mov_b64 s[2:3], 0
	s_and_saveexec_b64 s[4:5], vcc
	s_xor_b64 s[4:5], exec, s[4:5]
	s_cbranch_execz .LBB190_179
; %bb.160:
	s_movk_i32 s2, 0x80
	v_cmp_eq_u16_e32 vcc, s2, v4
	s_mov_b64 s[2:3], -1
	s_and_saveexec_b64 s[20:21], vcc
; %bb.161:
	s_xor_b64 s[2:3], exec, -1
; %bb.162:
	s_or_b64 exec, exec, s[20:21]
	s_and_b64 s[2:3], s[2:3], exec
	s_or_saveexec_b64 s[4:5], s[4:5]
	v_mov_b32_e32 v3, 0x7e00
	s_xor_b64 exec, exec, s[4:5]
	s_cbranch_execnz .LBB190_180
.LBB190_163:
	s_or_b64 exec, exec, s[4:5]
	s_and_saveexec_b64 s[4:5], s[2:3]
	s_cbranch_execz .LBB190_165
.LBB190_164:
	v_lshlrev_b32_e32 v3, 24, v4
	v_and_b32_e32 v4, 0xffff, v4
	v_and_b32_e32 v5, 7, v4
	v_ffbh_u32_e32 v7, v5
	v_min_u32_e32 v7, 32, v7
	v_subrev_u32_e32 v8, 28, v7
	v_bfe_u32 v6, v4, 3, 4
	v_lshlrev_b32_e32 v4, v8, v4
	v_sub_u32_e32 v7, 29, v7
	v_and_b32_e32 v4, 7, v4
	v_cmp_eq_u32_e32 vcc, 0, v6
	v_cndmask_b32_e32 v6, v6, v7, vcc
	v_cndmask_b32_e32 v4, v5, v4, vcc
	v_mov_b32_e32 v5, 0x3b800000
	v_lshlrev_b32_e32 v4, 20, v4
	v_and_b32_e32 v3, 0x80000000, v3
	v_lshl_add_u32 v5, v6, 23, v5
	v_or3_b32 v3, v3, v5, v4
	v_cvt_f16_f32_e32 v3, v3
.LBB190_165:
	s_or_b64 exec, exec, s[4:5]
.LBB190_166:
	s_mov_b64 s[2:3], -1
.LBB190_167:
	s_branch .LBB190_202
.LBB190_168:
	s_cmp_gt_i32 s26, 22
	s_cbranch_scc0 .LBB190_178
; %bb.169:
	s_cmp_lt_i32 s26, 24
	s_cbranch_scc1 .LBB190_181
; %bb.170:
	s_cmp_gt_i32 s26, 24
	s_cbranch_scc0 .LBB190_182
; %bb.171:
	global_load_ubyte v4, v[0:1], off
	s_movk_i32 s2, 0x7f
	s_waitcnt vmcnt(0)
	v_cmp_lt_i16_e32 vcc, s2, v4
	s_mov_b64 s[2:3], 0
	s_and_saveexec_b64 s[4:5], vcc
	s_xor_b64 s[4:5], exec, s[4:5]
	s_cbranch_execz .LBB190_194
; %bb.172:
	s_movk_i32 s2, 0x80
	v_cmp_eq_u16_e32 vcc, s2, v4
	s_mov_b64 s[2:3], -1
	s_and_saveexec_b64 s[20:21], vcc
; %bb.173:
	s_xor_b64 s[2:3], exec, -1
; %bb.174:
	s_or_b64 exec, exec, s[20:21]
	s_and_b64 s[2:3], s[2:3], exec
	s_or_saveexec_b64 s[4:5], s[4:5]
	v_mov_b32_e32 v3, 0x7e00
	s_xor_b64 exec, exec, s[4:5]
	s_cbranch_execnz .LBB190_195
.LBB190_175:
	s_or_b64 exec, exec, s[4:5]
	s_and_saveexec_b64 s[4:5], s[2:3]
	s_cbranch_execz .LBB190_177
.LBB190_176:
	v_lshlrev_b32_e32 v3, 24, v4
	v_and_b32_e32 v4, 0xffff, v4
	v_and_b32_e32 v5, 3, v4
	v_ffbh_u32_e32 v7, v5
	v_min_u32_e32 v7, 32, v7
	v_subrev_u32_e32 v8, 29, v7
	v_bfe_u32 v6, v4, 2, 5
	v_lshlrev_b32_e32 v4, v8, v4
	v_sub_u32_e32 v7, 30, v7
	v_and_b32_e32 v4, 3, v4
	v_cmp_eq_u32_e32 vcc, 0, v6
	v_cndmask_b32_e32 v6, v6, v7, vcc
	v_cndmask_b32_e32 v4, v5, v4, vcc
	v_mov_b32_e32 v5, 0x37800000
	v_lshlrev_b32_e32 v4, 21, v4
	v_and_b32_e32 v3, 0x80000000, v3
	v_lshl_add_u32 v5, v6, 23, v5
	v_or3_b32 v3, v3, v5, v4
	v_cvt_f16_f32_e32 v3, v3
.LBB190_177:
	s_or_b64 exec, exec, s[4:5]
	s_mov_b64 s[2:3], 0
	s_branch .LBB190_183
.LBB190_178:
	s_mov_b64 s[4:5], -1
                                        ; implicit-def: $vgpr3
	s_branch .LBB190_189
.LBB190_179:
	s_or_saveexec_b64 s[4:5], s[4:5]
	v_mov_b32_e32 v3, 0x7e00
	s_xor_b64 exec, exec, s[4:5]
	s_cbranch_execz .LBB190_163
.LBB190_180:
	v_cmp_ne_u16_e32 vcc, 0, v4
	s_andn2_b64 s[2:3], s[2:3], exec
	s_and_b64 s[20:21], vcc, exec
	s_or_b64 s[2:3], s[2:3], s[20:21]
	v_mov_b32_e32 v3, v4
	s_or_b64 exec, exec, s[4:5]
	s_and_saveexec_b64 s[4:5], s[2:3]
	s_cbranch_execnz .LBB190_164
	s_branch .LBB190_165
.LBB190_181:
	s_mov_b64 s[2:3], -1
                                        ; implicit-def: $vgpr3
	s_branch .LBB190_186
.LBB190_182:
	s_mov_b64 s[2:3], -1
                                        ; implicit-def: $vgpr3
.LBB190_183:
	s_and_b64 vcc, exec, s[2:3]
	s_cbranch_vccz .LBB190_185
; %bb.184:
	global_load_ubyte v3, v[0:1], off
	s_mov_b32 s2, 0x7f800000
	s_waitcnt vmcnt(0)
	v_lshlrev_b32_e32 v3, 24, v3
	v_and_b32_e32 v4, 0x7f000000, v3
	v_ffbh_u32_e32 v5, v4
	v_min_u32_e32 v5, 32, v5
	v_sub_u32_e64 v5, v5, 4 clamp
	v_lshlrev_b32_e32 v7, v5, v4
	v_lshlrev_b32_e32 v5, 23, v5
	v_lshrrev_b32_e32 v7, 4, v7
	v_add_u32_e32 v6, 0x1000000, v4
	v_sub_u32_e32 v5, v7, v5
	v_ashrrev_i32_e32 v6, 8, v6
	v_add_u32_e32 v5, 0x3c000000, v5
	v_and_or_b32 v5, v6, s2, v5
	v_cmp_ne_u32_e32 vcc, 0, v4
	v_cndmask_b32_e32 v4, 0, v5, vcc
	s_brev_b32 s2, 1
	v_and_or_b32 v3, v3, s2, v4
	v_cvt_f16_f32_e32 v3, v3
.LBB190_185:
	s_mov_b64 s[2:3], 0
.LBB190_186:
	s_andn2_b64 vcc, exec, s[2:3]
	s_cbranch_vccnz .LBB190_188
; %bb.187:
	global_load_ubyte v3, v[0:1], off
	s_movk_i32 s2, 0x7f00
	s_brev_b32 s3, 16
	s_waitcnt vmcnt(0)
	v_lshlrev_b16_e32 v4, 8, v3
	v_lshlrev_b32_e32 v3, 25, v3
	v_lshrrev_b32_e32 v5, 4, v3
	v_and_or_b32 v6, v4, s2, 0.5
	v_or_b32_e32 v5, 0x70000000, v5
	v_add_f32_e32 v6, -0.5, v6
	v_mul_f32_e32 v5, 0x7800000, v5
	v_cmp_gt_u32_e32 vcc, s3, v3
	v_bfe_i32 v4, v4, 0, 16
	v_cndmask_b32_e32 v3, v5, v6, vcc
	s_brev_b32 s2, 1
	v_and_or_b32 v3, v4, s2, v3
	v_cvt_f16_f32_e32 v3, v3
.LBB190_188:
	s_mov_b64 s[4:5], 0
	s_mov_b64 s[2:3], -1
.LBB190_189:
	s_andn2_b64 vcc, exec, s[4:5]
	s_cbranch_vccnz .LBB190_202
; %bb.190:
	s_cmp_gt_i32 s26, 14
	s_cbranch_scc0 .LBB190_193
; %bb.191:
	s_cmp_eq_u32 s26, 15
	s_cbranch_scc0 .LBB190_196
; %bb.192:
	global_load_ushort v3, v[0:1], off
	s_mov_b64 s[2:3], -1
	s_mov_b64 s[22:23], 0
	s_waitcnt vmcnt(0)
	v_lshlrev_b32_e32 v3, 16, v3
	v_cvt_f16_f32_e32 v3, v3
	s_branch .LBB190_197
.LBB190_193:
	s_mov_b64 s[4:5], -1
                                        ; implicit-def: $vgpr3
	s_branch .LBB190_198
.LBB190_194:
	s_or_saveexec_b64 s[4:5], s[4:5]
	v_mov_b32_e32 v3, 0x7e00
	s_xor_b64 exec, exec, s[4:5]
	s_cbranch_execz .LBB190_175
.LBB190_195:
	v_cmp_ne_u16_e32 vcc, 0, v4
	s_andn2_b64 s[2:3], s[2:3], exec
	s_and_b64 s[20:21], vcc, exec
	s_or_b64 s[2:3], s[2:3], s[20:21]
	v_mov_b32_e32 v3, v4
	s_or_b64 exec, exec, s[4:5]
	s_and_saveexec_b64 s[4:5], s[2:3]
	s_cbranch_execnz .LBB190_176
	s_branch .LBB190_177
.LBB190_196:
	s_mov_b64 s[22:23], -1
                                        ; implicit-def: $vgpr3
.LBB190_197:
	s_mov_b64 s[4:5], 0
.LBB190_198:
	s_and_b64 vcc, exec, s[4:5]
	s_cbranch_vccz .LBB190_202
; %bb.199:
	s_cmp_eq_u32 s26, 11
	s_cbranch_scc0 .LBB190_201
; %bb.200:
	global_load_ubyte v3, v[0:1], off
	v_mov_b32_e32 v4, 0x3c00
	s_mov_b64 s[2:3], -1
	s_mov_b64 s[22:23], 0
	s_waitcnt vmcnt(0)
	v_cmp_ne_u16_e32 vcc, 0, v3
	v_cndmask_b32_e32 v3, 0, v4, vcc
	s_branch .LBB190_202
.LBB190_201:
	s_mov_b64 s[22:23], -1
                                        ; implicit-def: $vgpr3
.LBB190_202:
	s_branch .LBB190_10
.LBB190_203:
	s_cmp_lt_i32 s26, 5
	s_cbranch_scc1 .LBB190_208
; %bb.204:
	s_cmp_lt_i32 s26, 8
	s_cbranch_scc1 .LBB190_209
; %bb.205:
	;; [unrolled: 3-line block ×3, first 2 shown]
	s_cmp_gt_i32 s26, 9
	s_cbranch_scc0 .LBB190_211
; %bb.207:
	global_load_dwordx2 v[3:4], v[0:1], off
	s_movk_i32 s2, 0x1ff
	s_movk_i32 s3, 0xffe
	v_mov_b32_e32 v5, 0x7c00
	v_mov_b32_e32 v6, 0x7e00
	s_movk_i32 s4, 0x40f
	s_mov_b32 s5, 0x8000
	s_waitcnt vmcnt(0)
	v_and_or_b32 v3, v4, s2, v3
	v_cmp_ne_u32_e32 vcc, 0, v3
	v_lshrrev_b32_e32 v7, 8, v4
	v_bfe_u32 v8, v4, 20, 11
	v_cndmask_b32_e64 v3, 0, 1, vcc
	v_sub_u32_e32 v9, 0x3f1, v8
	v_and_or_b32 v3, v7, s3, v3
	v_add_u32_e32 v8, 0xfffffc10, v8
	v_med3_i32 v7, v9, 0, 13
	v_or_b32_e32 v9, 0x1000, v3
	v_cmp_ne_u32_e32 vcc, 0, v3
	v_lshl_or_b32 v10, v8, 12, v3
	v_cndmask_b32_e32 v3, v5, v6, vcc
	v_lshrrev_b32_e32 v6, v7, v9
	v_lshlrev_b32_e32 v7, v7, v6
	v_cmp_ne_u32_e32 vcc, v7, v9
	v_cndmask_b32_e64 v7, 0, 1, vcc
	v_or_b32_e32 v6, v6, v7
	v_cmp_gt_i32_e32 vcc, 1, v8
	v_cndmask_b32_e32 v6, v10, v6, vcc
	v_and_b32_e32 v7, 7, v6
	v_cmp_lt_i32_e32 vcc, 5, v7
	v_cndmask_b32_e64 v9, 0, 1, vcc
	v_cmp_eq_u32_e32 vcc, 3, v7
	v_cndmask_b32_e64 v7, 0, 1, vcc
	v_lshrrev_b32_e32 v6, 2, v6
	v_or_b32_e32 v7, v7, v9
	v_add_u32_e32 v6, v6, v7
	v_cmp_gt_i32_e32 vcc, 31, v8
	v_cndmask_b32_e32 v5, v5, v6, vcc
	v_cmp_eq_u32_e32 vcc, s4, v8
	v_lshrrev_b32_e32 v4, 16, v4
	v_cndmask_b32_e32 v3, v5, v3, vcc
	v_and_or_b32 v3, v4, s5, v3
	s_mov_b64 s[2:3], 0
	s_branch .LBB190_212
.LBB190_208:
                                        ; implicit-def: $vgpr3
	s_branch .LBB190_230
.LBB190_209:
	s_mov_b64 s[2:3], -1
                                        ; implicit-def: $vgpr3
	s_branch .LBB190_218
.LBB190_210:
	s_mov_b64 s[2:3], -1
                                        ; implicit-def: $vgpr3
	s_branch .LBB190_215
.LBB190_211:
	s_mov_b64 s[2:3], -1
                                        ; implicit-def: $vgpr3
.LBB190_212:
	s_andn2_b64 vcc, exec, s[2:3]
	s_cbranch_vccnz .LBB190_214
; %bb.213:
	global_load_dword v3, v[0:1], off
	s_waitcnt vmcnt(0)
	v_cvt_f16_f32_e32 v3, v3
.LBB190_214:
	s_mov_b64 s[2:3], 0
.LBB190_215:
	s_andn2_b64 vcc, exec, s[2:3]
	s_cbranch_vccnz .LBB190_217
; %bb.216:
	global_load_dword v3, v[0:1], off
.LBB190_217:
	s_mov_b64 s[2:3], 0
.LBB190_218:
	s_andn2_b64 vcc, exec, s[2:3]
	s_cbranch_vccnz .LBB190_229
; %bb.219:
	s_cmp_lt_i32 s26, 6
	s_cbranch_scc1 .LBB190_222
; %bb.220:
	s_cmp_gt_i32 s26, 6
	s_cbranch_scc0 .LBB190_223
; %bb.221:
	global_load_dwordx2 v[3:4], v[0:1], off
	s_movk_i32 s2, 0x1ff
	s_movk_i32 s3, 0xffe
	v_mov_b32_e32 v5, 0x7c00
	v_mov_b32_e32 v6, 0x7e00
	s_movk_i32 s4, 0x40f
	s_mov_b32 s5, 0x8000
	s_waitcnt vmcnt(0)
	v_and_or_b32 v3, v4, s2, v3
	v_cmp_ne_u32_e32 vcc, 0, v3
	v_lshrrev_b32_e32 v7, 8, v4
	v_bfe_u32 v8, v4, 20, 11
	v_cndmask_b32_e64 v3, 0, 1, vcc
	v_sub_u32_e32 v9, 0x3f1, v8
	v_and_or_b32 v3, v7, s3, v3
	v_add_u32_e32 v8, 0xfffffc10, v8
	v_med3_i32 v7, v9, 0, 13
	v_or_b32_e32 v9, 0x1000, v3
	v_cmp_ne_u32_e32 vcc, 0, v3
	v_lshl_or_b32 v10, v8, 12, v3
	v_cndmask_b32_e32 v3, v5, v6, vcc
	v_lshrrev_b32_e32 v6, v7, v9
	v_lshlrev_b32_e32 v7, v7, v6
	v_cmp_ne_u32_e32 vcc, v7, v9
	v_cndmask_b32_e64 v7, 0, 1, vcc
	v_or_b32_e32 v6, v6, v7
	v_cmp_gt_i32_e32 vcc, 1, v8
	v_cndmask_b32_e32 v6, v10, v6, vcc
	v_and_b32_e32 v7, 7, v6
	v_cmp_lt_i32_e32 vcc, 5, v7
	v_cndmask_b32_e64 v9, 0, 1, vcc
	v_cmp_eq_u32_e32 vcc, 3, v7
	v_cndmask_b32_e64 v7, 0, 1, vcc
	v_lshrrev_b32_e32 v6, 2, v6
	v_or_b32_e32 v7, v7, v9
	v_add_u32_e32 v6, v6, v7
	v_cmp_gt_i32_e32 vcc, 31, v8
	v_cndmask_b32_e32 v5, v5, v6, vcc
	v_cmp_eq_u32_e32 vcc, s4, v8
	v_lshrrev_b32_e32 v4, 16, v4
	v_cndmask_b32_e32 v3, v5, v3, vcc
	v_and_or_b32 v3, v4, s5, v3
	s_mov_b64 s[2:3], 0
	s_branch .LBB190_224
.LBB190_222:
	s_mov_b64 s[2:3], -1
                                        ; implicit-def: $vgpr3
	s_branch .LBB190_227
.LBB190_223:
	s_mov_b64 s[2:3], -1
                                        ; implicit-def: $vgpr3
.LBB190_224:
	s_andn2_b64 vcc, exec, s[2:3]
	s_cbranch_vccnz .LBB190_226
; %bb.225:
	global_load_dword v3, v[0:1], off
	s_waitcnt vmcnt(0)
	v_cvt_f16_f32_e32 v3, v3
.LBB190_226:
	s_mov_b64 s[2:3], 0
.LBB190_227:
	s_andn2_b64 vcc, exec, s[2:3]
	s_cbranch_vccnz .LBB190_229
; %bb.228:
	global_load_ushort v3, v[0:1], off
.LBB190_229:
	s_cbranch_execnz .LBB190_249
.LBB190_230:
	s_cmp_lt_i32 s26, 2
	s_cbranch_scc1 .LBB190_234
; %bb.231:
	s_cmp_lt_i32 s26, 3
	s_cbranch_scc1 .LBB190_235
; %bb.232:
	s_cmp_gt_i32 s26, 3
	s_cbranch_scc0 .LBB190_236
; %bb.233:
	global_load_dwordx2 v[3:4], v[0:1], off
	s_mov_b64 s[2:3], 0
	s_waitcnt vmcnt(0)
	v_xor_b32_e32 v6, v3, v4
	v_ffbh_i32_e32 v5, v4
	v_ashrrev_i32_e32 v6, 31, v6
	v_add_u32_e32 v5, -1, v5
	v_add_u32_e32 v6, 32, v6
	v_min_u32_e32 v5, v5, v6
	v_lshlrev_b64 v[3:4], v5, v[3:4]
	v_min_u32_e32 v3, 1, v3
	v_or_b32_e32 v3, v4, v3
	v_cvt_f32_i32_e32 v3, v3
	v_sub_u32_e32 v4, 32, v5
	v_ldexp_f32 v3, v3, v4
	v_cvt_f16_f32_e32 v3, v3
	s_branch .LBB190_237
.LBB190_234:
	s_mov_b64 s[2:3], -1
                                        ; implicit-def: $vgpr3
	s_branch .LBB190_243
.LBB190_235:
	s_mov_b64 s[2:3], -1
                                        ; implicit-def: $vgpr3
	s_branch .LBB190_240
.LBB190_236:
	s_mov_b64 s[2:3], -1
                                        ; implicit-def: $vgpr3
.LBB190_237:
	s_andn2_b64 vcc, exec, s[2:3]
	s_cbranch_vccnz .LBB190_239
; %bb.238:
	global_load_dword v3, v[0:1], off
	s_waitcnt vmcnt(0)
	v_cvt_f32_i32_e32 v3, v3
	v_cvt_f16_f32_e32 v3, v3
.LBB190_239:
	s_mov_b64 s[2:3], 0
.LBB190_240:
	s_andn2_b64 vcc, exec, s[2:3]
	s_cbranch_vccnz .LBB190_242
; %bb.241:
	global_load_ushort v3, v[0:1], off
	s_waitcnt vmcnt(0)
	v_cvt_f16_i16_e32 v3, v3
.LBB190_242:
	s_mov_b64 s[2:3], 0
.LBB190_243:
	s_andn2_b64 vcc, exec, s[2:3]
	s_cbranch_vccnz .LBB190_249
; %bb.244:
	s_cmp_gt_i32 s26, 0
	s_cbranch_scc0 .LBB190_246
; %bb.245:
	global_load_sbyte v3, v[0:1], off
	s_mov_b64 s[2:3], 0
	s_waitcnt vmcnt(0)
	v_cvt_f16_i16_e32 v3, v3
	s_branch .LBB190_247
.LBB190_246:
	s_mov_b64 s[2:3], -1
                                        ; implicit-def: $vgpr3
.LBB190_247:
	s_andn2_b64 vcc, exec, s[2:3]
	s_cbranch_vccnz .LBB190_249
; %bb.248:
	global_load_ubyte v0, v[0:1], off
	s_waitcnt vmcnt(0)
	v_cvt_f16_u16_e32 v3, v0
.LBB190_249:
	s_branch .LBB190_11
.LBB190_250:
	s_mov_b64 s[4:5], 0
                                        ; implicit-def: $vgpr2
	s_mov_b64 s[2:3], 0
.LBB190_251:
	s_and_b64 s[20:21], s[4:5], exec
	s_and_b64 s[22:23], s[22:23], exec
	s_orn2_b64 s[2:3], s[2:3], exec
.LBB190_252:
	s_or_b64 exec, exec, s[24:25]
	s_mov_b64 s[34:35], 0
	s_mov_b64 s[30:31], 0
                                        ; implicit-def: $vgpr0_vgpr1
                                        ; implicit-def: $vgpr3
	s_and_saveexec_b64 s[24:25], s[2:3]
	s_cbranch_execz .LBB190_261
; %bb.253:
	v_cmp_gt_i32_e32 vcc, s33, v2
	s_mov_b64 s[2:3], -1
	s_mov_b64 s[26:27], s[22:23]
	s_mov_b64 s[28:29], s[20:21]
	s_and_saveexec_b64 s[30:31], vcc
	s_cbranch_execz .LBB190_513
; %bb.254:
	v_mul_lo_u32 v0, v2, s13
	v_mov_b32_e32 v1, s11
	s_and_b32 s34, 0xffff, s15
	s_cmp_lt_i32 s34, 11
	s_waitcnt vmcnt(0)
	v_ashrrev_i32_e32 v3, 31, v0
	v_add_co_u32_e32 v0, vcc, s10, v0
	v_addc_co_u32_e32 v1, vcc, v1, v3, vcc
	s_cbranch_scc1 .LBB190_264
; %bb.255:
	s_cmp_gt_i32 s34, 25
	s_cbranch_scc0 .LBB190_273
; %bb.256:
	s_cmp_gt_i32 s34, 28
	s_cbranch_scc0 .LBB190_275
	;; [unrolled: 3-line block ×4, first 2 shown]
; %bb.259:
	s_cmp_eq_u32 s34, 46
	s_mov_b64 s[4:5], 0
	s_cbranch_scc0 .LBB190_285
; %bb.260:
	global_load_dword v3, v[0:1], off
	s_mov_b64 s[26:27], 0
	s_waitcnt vmcnt(0)
	v_lshlrev_b32_e32 v3, 16, v3
	v_cvt_f16_f32_e32 v3, v3
	s_branch .LBB190_286
.LBB190_261:
	s_or_b64 exec, exec, s[24:25]
	s_mov_b64 s[2:3], 0
	s_and_saveexec_b64 s[4:5], s[22:23]
	s_cbranch_execnz .LBB190_859
.LBB190_262:
	s_or_b64 exec, exec, s[4:5]
	s_and_saveexec_b64 s[4:5], s[28:29]
	s_xor_b64 s[4:5], exec, s[4:5]
	s_cbranch_execz .LBB190_860
.LBB190_263:
	global_load_ubyte v3, v[0:1], off
	v_mov_b32_e32 v4, 0x3c00
	s_or_b64 s[30:31], s[30:31], exec
	s_waitcnt vmcnt(0)
	v_cmp_ne_u16_e32 vcc, 0, v3
	v_cndmask_b32_e32 v3, 0, v4, vcc
	s_or_b64 exec, exec, s[4:5]
	s_and_saveexec_b64 s[4:5], s[34:35]
	s_cbranch_execz .LBB190_906
	s_branch .LBB190_861
.LBB190_264:
	s_mov_b64 s[2:3], 0
                                        ; implicit-def: $vgpr3
	s_mov_b64 s[26:27], s[22:23]
	s_cbranch_execnz .LBB190_463
.LBB190_265:
	s_andn2_b64 vcc, exec, s[2:3]
	s_cbranch_vccnz .LBB190_511
.LBB190_266:
	s_waitcnt vmcnt(0)
	v_cmp_eq_f16_e32 vcc, s16, v3
	v_cndmask_b32_e64 v0, 0, 1, vcc
	v_cmp_neq_f16_e32 vcc, s16, v3
	v_mul_lo_u32 v3, v2, s12
	v_cndmask_b32_e64 v1, 0, 1, vcc
	v_cndmask_b32_e64 v0, v1, v0, s[0:1]
	v_and_b32_e32 v0, 1, v0
	v_cmp_eq_u32_e64 s[2:3], 1, v0
	v_ashrrev_i32_e32 v1, 31, v3
	v_mov_b32_e32 v4, s9
	s_and_b32 s38, s17, 0xff
	v_add_co_u32_e32 v0, vcc, s8, v3
	s_cmp_lt_i32 s38, 11
	v_addc_co_u32_e32 v1, vcc, v4, v1, vcc
	s_cbranch_scc1 .LBB190_274
; %bb.267:
	s_and_b32 s39, 0xffff, s38
	s_cmp_gt_i32 s39, 25
	s_cbranch_scc0 .LBB190_276
; %bb.268:
	s_cmp_gt_i32 s39, 28
	s_cbranch_scc0 .LBB190_278
; %bb.269:
	;; [unrolled: 3-line block ×4, first 2 shown]
	s_mov_b64 s[34:35], 0
	s_mov_b64 s[4:5], -1
	s_cmp_eq_u32 s39, 46
	s_mov_b64 s[28:29], 0
	s_cbranch_scc0 .LBB190_290
; %bb.272:
	v_cndmask_b32_e64 v3, 0, 1.0, s[2:3]
	v_bfe_u32 v4, v3, 16, 1
	s_movk_i32 s4, 0x7fff
	v_add3_u32 v3, v3, v4, s4
	v_lshrrev_b32_e32 v3, 16, v3
	global_store_dword v[0:1], v3, off
	s_mov_b64 s[28:29], -1
	s_mov_b64 s[4:5], 0
	s_branch .LBB190_290
.LBB190_273:
	s_mov_b64 s[4:5], -1
	s_mov_b64 s[2:3], 0
	s_mov_b64 s[26:27], s[22:23]
                                        ; implicit-def: $vgpr3
	s_branch .LBB190_427
.LBB190_274:
	s_mov_b64 s[34:35], -1
	s_mov_b64 s[28:29], 0
	s_mov_b64 s[4:5], s[20:21]
	s_branch .LBB190_359
.LBB190_275:
	s_mov_b64 s[4:5], -1
	s_mov_b64 s[2:3], 0
	s_mov_b64 s[26:27], s[22:23]
                                        ; implicit-def: $vgpr3
	s_branch .LBB190_408
.LBB190_276:
	s_mov_b64 s[34:35], -1
	s_mov_b64 s[28:29], 0
	s_mov_b64 s[4:5], s[20:21]
	s_branch .LBB190_317
.LBB190_277:
	s_mov_b64 s[4:5], -1
	s_mov_b64 s[2:3], 0
	s_mov_b64 s[26:27], s[22:23]
                                        ; implicit-def: $vgpr3
	s_branch .LBB190_403
.LBB190_278:
	s_mov_b64 s[34:35], -1
	s_mov_b64 s[28:29], 0
	s_mov_b64 s[4:5], s[20:21]
	s_branch .LBB190_300
.LBB190_279:
	s_andn2_saveexec_b64 s[30:31], s[30:31]
	s_cbranch_execz .LBB190_55
.LBB190_280:
	v_add_f32_e32 v3, 0x46000000, v4
	v_and_b32_e32 v3, 0xff, v3
	v_cmp_ne_u32_e32 vcc, 0, v3
	s_andn2_b64 s[26:27], s[26:27], exec
	s_and_b64 s[36:37], vcc, exec
	s_or_b64 s[26:27], s[26:27], s[36:37]
	s_or_b64 exec, exec, s[30:31]
	v_mov_b32_e32 v5, 0
	s_and_saveexec_b64 s[30:31], s[26:27]
	s_cbranch_execnz .LBB190_56
	s_branch .LBB190_57
.LBB190_281:
	s_mov_b64 s[4:5], -1
	s_mov_b64 s[2:3], 0
	s_mov_b64 s[26:27], s[22:23]
                                        ; implicit-def: $vgpr3
	s_branch .LBB190_286
.LBB190_282:
	s_mov_b64 s[34:35], -1
	s_mov_b64 s[28:29], 0
	s_mov_b64 s[4:5], s[20:21]
	s_branch .LBB190_296
.LBB190_283:
	s_andn2_saveexec_b64 s[30:31], s[30:31]
	s_cbranch_execz .LBB190_68
.LBB190_284:
	v_add_f32_e32 v3, 0x42800000, v4
	v_and_b32_e32 v3, 0xff, v3
	v_cmp_ne_u32_e32 vcc, 0, v3
	s_andn2_b64 s[26:27], s[26:27], exec
	s_and_b64 s[36:37], vcc, exec
	s_or_b64 s[26:27], s[26:27], s[36:37]
	s_or_b64 exec, exec, s[30:31]
	v_mov_b32_e32 v5, 0
	s_and_saveexec_b64 s[30:31], s[26:27]
	s_cbranch_execnz .LBB190_69
	s_branch .LBB190_70
.LBB190_285:
	s_mov_b64 s[26:27], -1
                                        ; implicit-def: $vgpr3
	s_mov_b64 s[2:3], 0
.LBB190_286:
	s_and_b64 vcc, exec, s[4:5]
	s_cbranch_vccz .LBB190_402
; %bb.287:
	s_cmp_eq_u32 s34, 44
	s_cbranch_scc0 .LBB190_401
; %bb.288:
	global_load_ubyte v3, v[0:1], off
	s_movk_i32 s4, 0xff
	v_mov_b32_e32 v5, 0x7e00
	s_mov_b64 s[2:3], -1
	s_mov_b64 s[26:27], 0
	s_waitcnt vmcnt(0)
	v_lshlrev_b32_e32 v4, 23, v3
	v_cvt_f16_f32_e32 v4, v4
	v_cmp_ne_u32_e32 vcc, s4, v3
	v_cndmask_b32_e32 v4, v5, v4, vcc
	v_cmp_ne_u32_e32 vcc, 0, v3
	v_cndmask_b32_e32 v3, 0, v4, vcc
	s_branch .LBB190_402
.LBB190_289:
	s_mov_b64 s[34:35], -1
	s_mov_b64 s[28:29], 0
	s_mov_b64 s[4:5], s[20:21]
.LBB190_290:
	s_and_b64 vcc, exec, s[34:35]
	s_cbranch_vccz .LBB190_295
; %bb.291:
	s_cmp_eq_u32 s39, 44
	s_mov_b64 s[4:5], -1
	s_cbranch_scc0 .LBB190_295
; %bb.292:
	v_cndmask_b32_e64 v4, 0, 1.0, s[2:3]
	v_lshrrev_b32_e32 v3, 23, v4
	s_movk_i32 s4, 0xff
	v_cmp_ne_u32_e32 vcc, s4, v3
	v_mov_b32_e32 v5, 0xff
	s_and_saveexec_b64 s[28:29], vcc
; %bb.293:
	s_mov_b32 s4, 0x3fffff
	v_and_b32_e32 v5, 0x400000, v4
	v_and_or_b32 v4, v4, s4, v3
	v_cmp_ne_u32_e32 vcc, 0, v5
	v_cmp_ne_u32_e64 s[4:5], 0, v4
	s_and_b64 s[4:5], vcc, s[4:5]
	v_cndmask_b32_e64 v4, 0, 1, s[4:5]
	v_add_u32_e32 v5, v3, v4
; %bb.294:
	s_or_b64 exec, exec, s[28:29]
	s_mov_b64 s[28:29], -1
	s_mov_b64 s[4:5], 0
	global_store_byte v[0:1], v5, off
.LBB190_295:
	s_mov_b64 s[34:35], 0
.LBB190_296:
	s_and_b64 vcc, exec, s[34:35]
	s_cbranch_vccz .LBB190_299
; %bb.297:
	s_cmp_eq_u32 s39, 29
	s_mov_b64 s[4:5], -1
	s_cbranch_scc0 .LBB190_299
; %bb.298:
	s_mov_b32 s4, 0
	v_cndmask_b32_e64 v3, 0, 1, s[2:3]
	v_mov_b32_e32 v4, s4
	global_store_dwordx2 v[0:1], v[3:4], off
	s_mov_b64 s[28:29], -1
	s_mov_b64 s[4:5], 0
.LBB190_299:
	s_mov_b64 s[34:35], 0
.LBB190_300:
	s_and_b64 vcc, exec, s[34:35]
	s_cbranch_vccz .LBB190_316
; %bb.301:
	s_cmp_lt_i32 s39, 27
	s_mov_b64 s[28:29], -1
	s_cbranch_scc1 .LBB190_307
; %bb.302:
	s_cmp_gt_i32 s39, 27
	s_cbranch_scc0 .LBB190_304
; %bb.303:
	v_cndmask_b32_e64 v3, 0, 1, s[2:3]
	s_mov_b64 s[28:29], 0
	global_store_dword v[0:1], v3, off
.LBB190_304:
	s_andn2_b64 vcc, exec, s[28:29]
	s_cbranch_vccnz .LBB190_306
; %bb.305:
	v_cndmask_b32_e64 v3, 0, 1, s[2:3]
	global_store_short v[0:1], v3, off
.LBB190_306:
	s_mov_b64 s[28:29], 0
.LBB190_307:
	s_andn2_b64 vcc, exec, s[28:29]
	s_cbranch_vccnz .LBB190_315
; %bb.308:
	v_cndmask_b32_e64 v4, 0, 1.0, s[2:3]
	s_mov_b32 s28, 0x43800000
	v_cmp_gt_u32_e32 vcc, s28, v4
	v_mov_b32_e32 v5, 0x80
	s_and_saveexec_b64 s[28:29], vcc
	s_cbranch_execz .LBB190_314
; %bb.309:
	s_mov_b32 s34, 0x3bffffff
	v_cmp_lt_u32_e32 vcc, s34, v4
	s_mov_b64 s[34:35], 0
                                        ; implicit-def: $vgpr3
	s_and_saveexec_b64 s[36:37], vcc
	s_xor_b64 s[36:37], exec, s[36:37]
	s_cbranch_execz .LBB190_526
; %bb.310:
	v_bfe_u32 v3, v4, 20, 1
	s_mov_b32 s40, 0x487ffff
	v_add3_u32 v3, v4, v3, s40
	s_mov_b64 s[34:35], exec
	v_lshrrev_b32_e32 v3, 20, v3
                                        ; implicit-def: $vgpr4
	s_andn2_saveexec_b64 s[36:37], s[36:37]
	s_cbranch_execnz .LBB190_527
.LBB190_311:
	s_or_b64 exec, exec, s[36:37]
	v_mov_b32_e32 v5, 0
	s_and_saveexec_b64 s[36:37], s[34:35]
.LBB190_312:
	v_mov_b32_e32 v5, v3
.LBB190_313:
	s_or_b64 exec, exec, s[36:37]
.LBB190_314:
	s_or_b64 exec, exec, s[28:29]
	global_store_byte v[0:1], v5, off
.LBB190_315:
	s_mov_b64 s[28:29], -1
.LBB190_316:
	s_mov_b64 s[34:35], 0
.LBB190_317:
	s_and_b64 vcc, exec, s[34:35]
	s_cbranch_vccz .LBB190_358
; %bb.318:
	s_cmp_gt_i32 s39, 22
	s_mov_b64 s[34:35], -1
	s_cbranch_scc0 .LBB190_350
; %bb.319:
	s_cmp_lt_i32 s39, 24
	s_mov_b64 s[28:29], -1
	s_cbranch_scc1 .LBB190_339
; %bb.320:
	s_cmp_gt_i32 s39, 24
	s_cbranch_scc0 .LBB190_328
; %bb.321:
	v_cndmask_b32_e64 v4, 0, 1.0, s[2:3]
	s_mov_b32 s28, 0x47800000
	v_cmp_gt_u32_e32 vcc, s28, v4
	v_mov_b32_e32 v5, 0x80
	s_and_saveexec_b64 s[28:29], vcc
	s_cbranch_execz .LBB190_327
; %bb.322:
	s_mov_b32 s34, 0x37ffffff
	v_cmp_lt_u32_e32 vcc, s34, v4
	s_mov_b64 s[34:35], 0
                                        ; implicit-def: $vgpr3
	s_and_saveexec_b64 s[36:37], vcc
	s_xor_b64 s[36:37], exec, s[36:37]
	s_cbranch_execz .LBB190_529
; %bb.323:
	v_bfe_u32 v3, v4, 21, 1
	s_mov_b32 s40, 0x88fffff
	v_add3_u32 v3, v4, v3, s40
	s_mov_b64 s[34:35], exec
	v_lshrrev_b32_e32 v3, 21, v3
                                        ; implicit-def: $vgpr4
	s_andn2_saveexec_b64 s[36:37], s[36:37]
	s_cbranch_execnz .LBB190_530
.LBB190_324:
	s_or_b64 exec, exec, s[36:37]
	v_mov_b32_e32 v5, 0
	s_and_saveexec_b64 s[36:37], s[34:35]
.LBB190_325:
	v_mov_b32_e32 v5, v3
.LBB190_326:
	s_or_b64 exec, exec, s[36:37]
.LBB190_327:
	s_or_b64 exec, exec, s[28:29]
	s_mov_b64 s[28:29], 0
	global_store_byte v[0:1], v5, off
.LBB190_328:
	s_and_b64 vcc, exec, s[28:29]
	s_cbranch_vccz .LBB190_338
; %bb.329:
	v_cndmask_b32_e64 v3, 0, 1.0, s[2:3]
	s_mov_b32 s28, 0x43f00000
	v_cmp_gt_u32_e32 vcc, s28, v3
                                        ; implicit-def: $vgpr4
	s_and_saveexec_b64 s[28:29], vcc
	s_xor_b64 s[28:29], exec, s[28:29]
	s_cbranch_execz .LBB190_335
; %bb.330:
	s_mov_b32 s34, 0x3c7fffff
	v_cmp_lt_u32_e32 vcc, s34, v3
                                        ; implicit-def: $vgpr4
	s_and_saveexec_b64 s[34:35], vcc
	s_xor_b64 s[34:35], exec, s[34:35]
; %bb.331:
	v_bfe_u32 v4, v3, 20, 1
	s_mov_b32 s36, 0x407ffff
	v_add3_u32 v3, v3, v4, s36
	v_lshrrev_b32_e32 v4, 20, v3
	v_and_b32_e32 v3, 0xff00000, v3
	s_mov_b32 s36, 0x7f00000
	v_mov_b32_e32 v5, 0x7e
	v_cmp_ne_u32_e32 vcc, s36, v3
	v_cndmask_b32_e32 v4, v5, v4, vcc
                                        ; implicit-def: $vgpr3
; %bb.332:
	s_andn2_saveexec_b64 s[34:35], s[34:35]
; %bb.333:
	v_add_f32_e32 v4, 0x46800000, v3
; %bb.334:
	s_or_b64 exec, exec, s[34:35]
                                        ; implicit-def: $vgpr3
.LBB190_335:
	s_andn2_saveexec_b64 s[28:29], s[28:29]
; %bb.336:
	s_mov_b32 s34, 0x7f800000
	v_mov_b32_e32 v4, 0x7e
	v_mov_b32_e32 v5, 0x7f
	v_cmp_lt_u32_e32 vcc, s34, v3
	v_cndmask_b32_e32 v4, v4, v5, vcc
; %bb.337:
	s_or_b64 exec, exec, s[28:29]
	global_store_byte v[0:1], v4, off
.LBB190_338:
	s_mov_b64 s[28:29], 0
.LBB190_339:
	s_andn2_b64 vcc, exec, s[28:29]
	s_cbranch_vccnz .LBB190_349
; %bb.340:
	v_cndmask_b32_e64 v3, 0, 1.0, s[2:3]
	s_mov_b32 s28, 0x47800000
	v_cmp_gt_u32_e32 vcc, s28, v3
                                        ; implicit-def: $vgpr4
	s_and_saveexec_b64 s[28:29], vcc
	s_xor_b64 s[28:29], exec, s[28:29]
	s_cbranch_execz .LBB190_346
; %bb.341:
	s_mov_b32 s34, 0x387fffff
	v_cmp_lt_u32_e32 vcc, s34, v3
                                        ; implicit-def: $vgpr4
	s_and_saveexec_b64 s[34:35], vcc
	s_xor_b64 s[34:35], exec, s[34:35]
; %bb.342:
	v_bfe_u32 v4, v3, 21, 1
	s_mov_b32 s36, 0x80fffff
	v_add3_u32 v3, v3, v4, s36
	v_lshrrev_b32_e32 v4, 21, v3
                                        ; implicit-def: $vgpr3
; %bb.343:
	s_andn2_saveexec_b64 s[34:35], s[34:35]
; %bb.344:
	v_add_f32_e32 v4, 0x43000000, v3
; %bb.345:
	s_or_b64 exec, exec, s[34:35]
                                        ; implicit-def: $vgpr3
.LBB190_346:
	s_andn2_saveexec_b64 s[28:29], s[28:29]
; %bb.347:
	s_mov_b32 s34, 0x7f800000
	v_mov_b32_e32 v4, 0x7c
	v_mov_b32_e32 v5, 0x7f
	v_cmp_lt_u32_e32 vcc, s34, v3
	v_cndmask_b32_e32 v4, v4, v5, vcc
; %bb.348:
	s_or_b64 exec, exec, s[28:29]
	global_store_byte v[0:1], v4, off
.LBB190_349:
	s_mov_b64 s[34:35], 0
	s_mov_b64 s[28:29], -1
.LBB190_350:
	s_andn2_b64 vcc, exec, s[34:35]
	s_cbranch_vccnz .LBB190_358
; %bb.351:
	s_cmp_gt_i32 s39, 14
	s_mov_b64 s[34:35], -1
	s_cbranch_scc0 .LBB190_355
; %bb.352:
	s_cmp_eq_u32 s39, 15
	s_mov_b64 s[4:5], -1
	s_cbranch_scc0 .LBB190_354
; %bb.353:
	v_cndmask_b32_e64 v3, 0, 1.0, s[2:3]
	v_bfe_u32 v4, v3, 16, 1
	s_movk_i32 s4, 0x7fff
	v_add3_u32 v3, v3, v4, s4
	global_store_short_d16_hi v[0:1], v3, off
	s_mov_b64 s[28:29], -1
	s_mov_b64 s[4:5], 0
.LBB190_354:
	s_mov_b64 s[34:35], 0
.LBB190_355:
	s_and_b64 vcc, exec, s[34:35]
	s_cbranch_vccz .LBB190_358
; %bb.356:
	s_cmp_eq_u32 s39, 11
	s_mov_b64 s[4:5], -1
	s_cbranch_scc0 .LBB190_358
; %bb.357:
	v_cndmask_b32_e64 v3, 0, 1, s[2:3]
	s_mov_b64 s[28:29], -1
	s_mov_b64 s[4:5], 0
	global_store_byte v[0:1], v3, off
.LBB190_358:
	s_mov_b64 s[34:35], 0
.LBB190_359:
	s_and_b64 vcc, exec, s[34:35]
	s_cbranch_vccz .LBB190_398
; %bb.360:
	s_and_b32 s34, 0xffff, s38
	s_cmp_lt_i32 s34, 5
	s_mov_b64 s[28:29], -1
	s_cbranch_scc1 .LBB190_381
; %bb.361:
	s_cmp_lt_i32 s34, 8
	s_cbranch_scc1 .LBB190_371
; %bb.362:
	s_cmp_lt_i32 s34, 9
	s_cbranch_scc1 .LBB190_368
; %bb.363:
	s_cmp_gt_i32 s34, 9
	s_cbranch_scc0 .LBB190_365
; %bb.364:
	v_cndmask_b32_e64 v3, 0, 1, s[2:3]
	v_cvt_f64_u32_e32 v[3:4], v3
	v_mov_b32_e32 v5, 0
	v_mov_b32_e32 v6, v5
	s_mov_b64 s[28:29], 0
	global_store_dwordx4 v[0:1], v[3:6], off
.LBB190_365:
	s_andn2_b64 vcc, exec, s[28:29]
	s_cbranch_vccnz .LBB190_367
; %bb.366:
	v_cndmask_b32_e64 v3, 0, 1.0, s[2:3]
	v_mov_b32_e32 v4, 0
	global_store_dwordx2 v[0:1], v[3:4], off
.LBB190_367:
	s_mov_b64 s[28:29], 0
.LBB190_368:
	s_andn2_b64 vcc, exec, s[28:29]
	s_cbranch_vccnz .LBB190_370
; %bb.369:
	v_cndmask_b32_e64 v3, 0, 1.0, s[2:3]
	v_cvt_f16_f32_e32 v3, v3
	global_store_dword v[0:1], v3, off
.LBB190_370:
	s_mov_b64 s[28:29], 0
.LBB190_371:
	s_andn2_b64 vcc, exec, s[28:29]
	s_cbranch_vccnz .LBB190_380
; %bb.372:
	s_cmp_lt_i32 s34, 6
	s_mov_b64 s[28:29], -1
	s_cbranch_scc1 .LBB190_378
; %bb.373:
	s_cmp_gt_i32 s34, 6
	s_cbranch_scc0 .LBB190_375
; %bb.374:
	v_cndmask_b32_e64 v3, 0, 1, s[2:3]
	v_cvt_f64_u32_e32 v[3:4], v3
	s_mov_b64 s[28:29], 0
	global_store_dwordx2 v[0:1], v[3:4], off
.LBB190_375:
	s_andn2_b64 vcc, exec, s[28:29]
	s_cbranch_vccnz .LBB190_377
; %bb.376:
	v_cndmask_b32_e64 v3, 0, 1.0, s[2:3]
	global_store_dword v[0:1], v3, off
.LBB190_377:
	s_mov_b64 s[28:29], 0
.LBB190_378:
	s_andn2_b64 vcc, exec, s[28:29]
	s_cbranch_vccnz .LBB190_380
; %bb.379:
	v_cndmask_b32_e64 v3, 0, 1.0, s[2:3]
	v_cvt_f16_f32_e32 v3, v3
	global_store_short v[0:1], v3, off
.LBB190_380:
	s_mov_b64 s[28:29], 0
.LBB190_381:
	s_andn2_b64 vcc, exec, s[28:29]
	s_cbranch_vccnz .LBB190_397
; %bb.382:
	s_cmp_lt_i32 s34, 2
	s_mov_b64 s[28:29], -1
	s_cbranch_scc1 .LBB190_392
; %bb.383:
	s_cmp_lt_i32 s34, 3
	s_cbranch_scc1 .LBB190_389
; %bb.384:
	s_cmp_gt_i32 s34, 3
	s_cbranch_scc0 .LBB190_386
; %bb.385:
	s_mov_b32 s28, 0
	v_cndmask_b32_e64 v3, 0, 1, s[2:3]
	v_mov_b32_e32 v4, s28
	s_mov_b64 s[28:29], 0
	global_store_dwordx2 v[0:1], v[3:4], off
.LBB190_386:
	s_andn2_b64 vcc, exec, s[28:29]
	s_cbranch_vccnz .LBB190_388
; %bb.387:
	v_cndmask_b32_e64 v3, 0, 1, s[2:3]
	global_store_dword v[0:1], v3, off
.LBB190_388:
	s_mov_b64 s[28:29], 0
.LBB190_389:
	s_andn2_b64 vcc, exec, s[28:29]
	s_cbranch_vccnz .LBB190_391
; %bb.390:
	v_cndmask_b32_e64 v3, 0, 1, s[2:3]
	global_store_short v[0:1], v3, off
.LBB190_391:
	s_mov_b64 s[28:29], 0
.LBB190_392:
	s_andn2_b64 vcc, exec, s[28:29]
	s_cbranch_vccnz .LBB190_397
; %bb.393:
	s_mov_b64 s[28:29], -1
	s_cmp_gt_i32 s34, 0
	v_cndmask_b32_e64 v3, 0, 1, s[2:3]
	s_cbranch_scc0 .LBB190_395
; %bb.394:
	s_mov_b64 s[28:29], 0
	global_store_byte v[0:1], v3, off
.LBB190_395:
	s_andn2_b64 vcc, exec, s[28:29]
	s_cbranch_vccnz .LBB190_397
; %bb.396:
	global_store_byte v[0:1], v3, off
.LBB190_397:
	s_mov_b64 s[28:29], -1
.LBB190_398:
	s_andn2_b64 vcc, exec, s[28:29]
	s_cbranch_vccnz .LBB190_400
; %bb.399:
	v_add_u32_e32 v2, 0x80, v2
	s_mov_b64 s[2:3], -1
	s_branch .LBB190_512
.LBB190_400:
	s_mov_b64 s[2:3], 0
                                        ; implicit-def: $vgpr2
	s_branch .LBB190_512
.LBB190_401:
	s_mov_b64 s[26:27], -1
                                        ; implicit-def: $vgpr3
.LBB190_402:
	s_mov_b64 s[4:5], 0
.LBB190_403:
	s_and_b64 vcc, exec, s[4:5]
	s_cbranch_vccz .LBB190_407
; %bb.404:
	s_cmp_eq_u32 s34, 29
	s_cbranch_scc0 .LBB190_406
; %bb.405:
	global_load_dwordx2 v[3:4], v[0:1], off
	s_mov_b64 s[2:3], -1
	s_mov_b64 s[26:27], 0
	s_mov_b64 s[4:5], 0
	s_waitcnt vmcnt(0)
	v_ffbh_u32_e32 v5, v4
	v_min_u32_e32 v5, 32, v5
	v_lshlrev_b64 v[3:4], v5, v[3:4]
	v_min_u32_e32 v3, 1, v3
	v_or_b32_e32 v3, v4, v3
	v_cvt_f32_u32_e32 v3, v3
	v_sub_u32_e32 v4, 32, v5
	v_ldexp_f32 v3, v3, v4
	v_cvt_f16_f32_e32 v3, v3
	s_branch .LBB190_408
.LBB190_406:
	s_mov_b64 s[26:27], -1
                                        ; implicit-def: $vgpr3
.LBB190_407:
	s_mov_b64 s[4:5], 0
.LBB190_408:
	s_and_b64 vcc, exec, s[4:5]
	s_cbranch_vccz .LBB190_426
; %bb.409:
	s_cmp_lt_i32 s34, 27
	s_cbranch_scc1 .LBB190_412
; %bb.410:
	s_cmp_gt_i32 s34, 27
	s_cbranch_scc0 .LBB190_413
; %bb.411:
	global_load_dword v3, v[0:1], off
	s_mov_b64 s[2:3], 0
	s_waitcnt vmcnt(0)
	v_cvt_f32_u32_e32 v3, v3
	v_cvt_f16_f32_e32 v3, v3
	s_branch .LBB190_414
.LBB190_412:
	s_mov_b64 s[2:3], -1
                                        ; implicit-def: $vgpr3
	s_branch .LBB190_417
.LBB190_413:
	s_mov_b64 s[2:3], -1
                                        ; implicit-def: $vgpr3
.LBB190_414:
	s_andn2_b64 vcc, exec, s[2:3]
	s_cbranch_vccnz .LBB190_416
; %bb.415:
	global_load_ushort v3, v[0:1], off
	s_waitcnt vmcnt(0)
	v_cvt_f16_u16_e32 v3, v3
.LBB190_416:
	s_mov_b64 s[2:3], 0
.LBB190_417:
	s_andn2_b64 vcc, exec, s[2:3]
	s_cbranch_vccnz .LBB190_425
; %bb.418:
	global_load_ubyte v4, v[0:1], off
	s_movk_i32 s2, 0x7f
	s_waitcnt vmcnt(0)
	v_cmp_lt_i16_e32 vcc, s2, v4
	s_mov_b64 s[2:3], 0
	s_and_saveexec_b64 s[4:5], vcc
	s_xor_b64 s[4:5], exec, s[4:5]
	s_cbranch_execz .LBB190_439
; %bb.419:
	s_movk_i32 s2, 0x80
	v_cmp_eq_u16_e32 vcc, s2, v4
	s_mov_b64 s[2:3], -1
	s_and_saveexec_b64 s[28:29], vcc
; %bb.420:
	s_xor_b64 s[2:3], exec, -1
; %bb.421:
	s_or_b64 exec, exec, s[28:29]
	s_and_b64 s[2:3], s[2:3], exec
	s_or_saveexec_b64 s[4:5], s[4:5]
	v_mov_b32_e32 v3, 0x7e00
	s_xor_b64 exec, exec, s[4:5]
	s_cbranch_execnz .LBB190_440
.LBB190_422:
	s_or_b64 exec, exec, s[4:5]
	s_and_saveexec_b64 s[4:5], s[2:3]
	s_cbranch_execz .LBB190_424
.LBB190_423:
	v_lshlrev_b32_e32 v3, 24, v4
	v_and_b32_e32 v4, 0xffff, v4
	v_and_b32_e32 v5, 7, v4
	v_ffbh_u32_e32 v7, v5
	v_min_u32_e32 v7, 32, v7
	v_subrev_u32_e32 v8, 28, v7
	v_bfe_u32 v6, v4, 3, 4
	v_lshlrev_b32_e32 v4, v8, v4
	v_sub_u32_e32 v7, 29, v7
	v_and_b32_e32 v4, 7, v4
	v_cmp_eq_u32_e32 vcc, 0, v6
	v_cndmask_b32_e32 v6, v6, v7, vcc
	v_cndmask_b32_e32 v4, v5, v4, vcc
	v_mov_b32_e32 v5, 0x3b800000
	v_lshlrev_b32_e32 v4, 20, v4
	v_and_b32_e32 v3, 0x80000000, v3
	v_lshl_add_u32 v5, v6, 23, v5
	v_or3_b32 v3, v3, v5, v4
	v_cvt_f16_f32_e32 v3, v3
.LBB190_424:
	s_or_b64 exec, exec, s[4:5]
.LBB190_425:
	s_mov_b64 s[2:3], -1
.LBB190_426:
	s_mov_b64 s[4:5], 0
.LBB190_427:
	s_and_b64 vcc, exec, s[4:5]
	s_cbranch_vccz .LBB190_462
; %bb.428:
	s_cmp_gt_i32 s34, 22
	s_cbranch_scc0 .LBB190_438
; %bb.429:
	s_cmp_lt_i32 s34, 24
	s_cbranch_scc1 .LBB190_441
; %bb.430:
	s_cmp_gt_i32 s34, 24
	s_cbranch_scc0 .LBB190_442
; %bb.431:
	global_load_ubyte v4, v[0:1], off
	s_movk_i32 s2, 0x7f
	s_waitcnt vmcnt(0)
	v_cmp_lt_i16_e32 vcc, s2, v4
	s_mov_b64 s[2:3], 0
	s_and_saveexec_b64 s[4:5], vcc
	s_xor_b64 s[4:5], exec, s[4:5]
	s_cbranch_execz .LBB190_454
; %bb.432:
	s_movk_i32 s2, 0x80
	v_cmp_eq_u16_e32 vcc, s2, v4
	s_mov_b64 s[2:3], -1
	s_and_saveexec_b64 s[28:29], vcc
; %bb.433:
	s_xor_b64 s[2:3], exec, -1
; %bb.434:
	s_or_b64 exec, exec, s[28:29]
	s_and_b64 s[2:3], s[2:3], exec
	s_or_saveexec_b64 s[4:5], s[4:5]
	v_mov_b32_e32 v3, 0x7e00
	s_xor_b64 exec, exec, s[4:5]
	s_cbranch_execnz .LBB190_455
.LBB190_435:
	s_or_b64 exec, exec, s[4:5]
	s_and_saveexec_b64 s[4:5], s[2:3]
	s_cbranch_execz .LBB190_437
.LBB190_436:
	v_lshlrev_b32_e32 v3, 24, v4
	v_and_b32_e32 v4, 0xffff, v4
	v_and_b32_e32 v5, 3, v4
	v_ffbh_u32_e32 v7, v5
	v_min_u32_e32 v7, 32, v7
	v_subrev_u32_e32 v8, 29, v7
	v_bfe_u32 v6, v4, 2, 5
	v_lshlrev_b32_e32 v4, v8, v4
	v_sub_u32_e32 v7, 30, v7
	v_and_b32_e32 v4, 3, v4
	v_cmp_eq_u32_e32 vcc, 0, v6
	v_cndmask_b32_e32 v6, v6, v7, vcc
	v_cndmask_b32_e32 v4, v5, v4, vcc
	v_mov_b32_e32 v5, 0x37800000
	v_lshlrev_b32_e32 v4, 21, v4
	v_and_b32_e32 v3, 0x80000000, v3
	v_lshl_add_u32 v5, v6, 23, v5
	v_or3_b32 v3, v3, v5, v4
	v_cvt_f16_f32_e32 v3, v3
.LBB190_437:
	s_or_b64 exec, exec, s[4:5]
	s_mov_b64 s[2:3], 0
	s_branch .LBB190_443
.LBB190_438:
	s_mov_b64 s[4:5], -1
                                        ; implicit-def: $vgpr3
	s_branch .LBB190_449
.LBB190_439:
	s_or_saveexec_b64 s[4:5], s[4:5]
	v_mov_b32_e32 v3, 0x7e00
	s_xor_b64 exec, exec, s[4:5]
	s_cbranch_execz .LBB190_422
.LBB190_440:
	v_cmp_ne_u16_e32 vcc, 0, v4
	s_andn2_b64 s[2:3], s[2:3], exec
	s_and_b64 s[28:29], vcc, exec
	s_or_b64 s[2:3], s[2:3], s[28:29]
	v_mov_b32_e32 v3, v4
	s_or_b64 exec, exec, s[4:5]
	s_and_saveexec_b64 s[4:5], s[2:3]
	s_cbranch_execnz .LBB190_423
	s_branch .LBB190_424
.LBB190_441:
	s_mov_b64 s[2:3], -1
                                        ; implicit-def: $vgpr3
	s_branch .LBB190_446
.LBB190_442:
	s_mov_b64 s[2:3], -1
                                        ; implicit-def: $vgpr3
.LBB190_443:
	s_and_b64 vcc, exec, s[2:3]
	s_cbranch_vccz .LBB190_445
; %bb.444:
	global_load_ubyte v3, v[0:1], off
	s_mov_b32 s2, 0x7f800000
	s_waitcnt vmcnt(0)
	v_lshlrev_b32_e32 v3, 24, v3
	v_and_b32_e32 v4, 0x7f000000, v3
	v_ffbh_u32_e32 v5, v4
	v_min_u32_e32 v5, 32, v5
	v_sub_u32_e64 v5, v5, 4 clamp
	v_lshlrev_b32_e32 v7, v5, v4
	v_lshlrev_b32_e32 v5, 23, v5
	v_lshrrev_b32_e32 v7, 4, v7
	v_add_u32_e32 v6, 0x1000000, v4
	v_sub_u32_e32 v5, v7, v5
	v_ashrrev_i32_e32 v6, 8, v6
	v_add_u32_e32 v5, 0x3c000000, v5
	v_and_or_b32 v5, v6, s2, v5
	v_cmp_ne_u32_e32 vcc, 0, v4
	v_cndmask_b32_e32 v4, 0, v5, vcc
	s_brev_b32 s2, 1
	v_and_or_b32 v3, v3, s2, v4
	v_cvt_f16_f32_e32 v3, v3
.LBB190_445:
	s_mov_b64 s[2:3], 0
.LBB190_446:
	s_andn2_b64 vcc, exec, s[2:3]
	s_cbranch_vccnz .LBB190_448
; %bb.447:
	global_load_ubyte v3, v[0:1], off
	s_movk_i32 s2, 0x7f00
	s_brev_b32 s3, 16
	s_waitcnt vmcnt(0)
	v_lshlrev_b16_e32 v4, 8, v3
	v_lshlrev_b32_e32 v3, 25, v3
	v_lshrrev_b32_e32 v5, 4, v3
	v_and_or_b32 v6, v4, s2, 0.5
	v_or_b32_e32 v5, 0x70000000, v5
	v_add_f32_e32 v6, -0.5, v6
	v_mul_f32_e32 v5, 0x7800000, v5
	v_cmp_gt_u32_e32 vcc, s3, v3
	v_bfe_i32 v4, v4, 0, 16
	v_cndmask_b32_e32 v3, v5, v6, vcc
	s_brev_b32 s2, 1
	v_and_or_b32 v3, v4, s2, v3
	v_cvt_f16_f32_e32 v3, v3
.LBB190_448:
	s_mov_b64 s[4:5], 0
	s_mov_b64 s[2:3], -1
.LBB190_449:
	s_andn2_b64 vcc, exec, s[4:5]
	s_cbranch_vccnz .LBB190_462
; %bb.450:
	s_cmp_gt_i32 s34, 14
	s_cbranch_scc0 .LBB190_453
; %bb.451:
	s_cmp_eq_u32 s34, 15
	s_cbranch_scc0 .LBB190_456
; %bb.452:
	global_load_ushort v3, v[0:1], off
	s_mov_b64 s[2:3], -1
	s_mov_b64 s[26:27], 0
	s_waitcnt vmcnt(0)
	v_lshlrev_b32_e32 v3, 16, v3
	v_cvt_f16_f32_e32 v3, v3
	s_branch .LBB190_457
.LBB190_453:
	s_mov_b64 s[4:5], -1
                                        ; implicit-def: $vgpr3
	s_branch .LBB190_458
.LBB190_454:
	s_or_saveexec_b64 s[4:5], s[4:5]
	v_mov_b32_e32 v3, 0x7e00
	s_xor_b64 exec, exec, s[4:5]
	s_cbranch_execz .LBB190_435
.LBB190_455:
	v_cmp_ne_u16_e32 vcc, 0, v4
	s_andn2_b64 s[2:3], s[2:3], exec
	s_and_b64 s[28:29], vcc, exec
	s_or_b64 s[2:3], s[2:3], s[28:29]
	v_mov_b32_e32 v3, v4
	s_or_b64 exec, exec, s[4:5]
	s_and_saveexec_b64 s[4:5], s[2:3]
	s_cbranch_execnz .LBB190_436
	s_branch .LBB190_437
.LBB190_456:
	s_mov_b64 s[26:27], -1
                                        ; implicit-def: $vgpr3
.LBB190_457:
	s_mov_b64 s[4:5], 0
.LBB190_458:
	s_and_b64 vcc, exec, s[4:5]
	s_cbranch_vccz .LBB190_462
; %bb.459:
	s_cmp_eq_u32 s34, 11
	s_cbranch_scc0 .LBB190_461
; %bb.460:
	global_load_ubyte v3, v[0:1], off
	v_mov_b32_e32 v4, 0x3c00
	s_mov_b64 s[2:3], -1
	s_mov_b64 s[26:27], 0
	s_waitcnt vmcnt(0)
	v_cmp_ne_u16_e32 vcc, 0, v3
	v_cndmask_b32_e32 v3, 0, v4, vcc
	s_branch .LBB190_462
.LBB190_461:
	s_mov_b64 s[26:27], -1
                                        ; implicit-def: $vgpr3
.LBB190_462:
	s_branch .LBB190_265
.LBB190_463:
	s_cmp_lt_i32 s34, 5
	s_cbranch_scc1 .LBB190_468
; %bb.464:
	s_cmp_lt_i32 s34, 8
	s_cbranch_scc1 .LBB190_469
; %bb.465:
	;; [unrolled: 3-line block ×3, first 2 shown]
	s_cmp_gt_i32 s34, 9
	s_cbranch_scc0 .LBB190_471
; %bb.467:
	global_load_dwordx2 v[3:4], v[0:1], off
	s_movk_i32 s2, 0x1ff
	s_movk_i32 s3, 0xffe
	v_mov_b32_e32 v5, 0x7c00
	v_mov_b32_e32 v6, 0x7e00
	s_movk_i32 s4, 0x40f
	s_mov_b32 s5, 0x8000
	s_waitcnt vmcnt(0)
	v_and_or_b32 v3, v4, s2, v3
	v_cmp_ne_u32_e32 vcc, 0, v3
	v_lshrrev_b32_e32 v7, 8, v4
	v_bfe_u32 v8, v4, 20, 11
	v_cndmask_b32_e64 v3, 0, 1, vcc
	v_sub_u32_e32 v9, 0x3f1, v8
	v_and_or_b32 v3, v7, s3, v3
	v_add_u32_e32 v8, 0xfffffc10, v8
	v_med3_i32 v7, v9, 0, 13
	v_or_b32_e32 v9, 0x1000, v3
	v_cmp_ne_u32_e32 vcc, 0, v3
	v_lshl_or_b32 v10, v8, 12, v3
	v_cndmask_b32_e32 v3, v5, v6, vcc
	v_lshrrev_b32_e32 v6, v7, v9
	v_lshlrev_b32_e32 v7, v7, v6
	v_cmp_ne_u32_e32 vcc, v7, v9
	v_cndmask_b32_e64 v7, 0, 1, vcc
	v_or_b32_e32 v6, v6, v7
	v_cmp_gt_i32_e32 vcc, 1, v8
	v_cndmask_b32_e32 v6, v10, v6, vcc
	v_and_b32_e32 v7, 7, v6
	v_cmp_lt_i32_e32 vcc, 5, v7
	v_cndmask_b32_e64 v9, 0, 1, vcc
	v_cmp_eq_u32_e32 vcc, 3, v7
	v_cndmask_b32_e64 v7, 0, 1, vcc
	v_lshrrev_b32_e32 v6, 2, v6
	v_or_b32_e32 v7, v7, v9
	v_add_u32_e32 v6, v6, v7
	v_cmp_gt_i32_e32 vcc, 31, v8
	v_cndmask_b32_e32 v5, v5, v6, vcc
	v_cmp_eq_u32_e32 vcc, s4, v8
	v_lshrrev_b32_e32 v4, 16, v4
	v_cndmask_b32_e32 v3, v5, v3, vcc
	v_and_or_b32 v3, v4, s5, v3
	s_mov_b64 s[2:3], 0
	s_branch .LBB190_472
.LBB190_468:
	s_mov_b64 s[2:3], -1
                                        ; implicit-def: $vgpr3
	s_branch .LBB190_490
.LBB190_469:
	s_mov_b64 s[2:3], -1
                                        ; implicit-def: $vgpr3
	s_branch .LBB190_478
.LBB190_470:
	s_mov_b64 s[2:3], -1
                                        ; implicit-def: $vgpr3
	s_branch .LBB190_475
.LBB190_471:
	s_mov_b64 s[2:3], -1
                                        ; implicit-def: $vgpr3
.LBB190_472:
	s_andn2_b64 vcc, exec, s[2:3]
	s_cbranch_vccnz .LBB190_474
; %bb.473:
	global_load_dword v3, v[0:1], off
	s_waitcnt vmcnt(0)
	v_cvt_f16_f32_e32 v3, v3
.LBB190_474:
	s_mov_b64 s[2:3], 0
.LBB190_475:
	s_andn2_b64 vcc, exec, s[2:3]
	s_cbranch_vccnz .LBB190_477
; %bb.476:
	global_load_dword v3, v[0:1], off
.LBB190_477:
	s_mov_b64 s[2:3], 0
.LBB190_478:
	s_andn2_b64 vcc, exec, s[2:3]
	s_cbranch_vccnz .LBB190_489
; %bb.479:
	s_cmp_lt_i32 s34, 6
	s_cbranch_scc1 .LBB190_482
; %bb.480:
	s_cmp_gt_i32 s34, 6
	s_cbranch_scc0 .LBB190_483
; %bb.481:
	global_load_dwordx2 v[3:4], v[0:1], off
	s_movk_i32 s2, 0x1ff
	s_movk_i32 s3, 0xffe
	v_mov_b32_e32 v5, 0x7c00
	v_mov_b32_e32 v6, 0x7e00
	s_movk_i32 s4, 0x40f
	s_mov_b32 s5, 0x8000
	s_waitcnt vmcnt(0)
	v_and_or_b32 v3, v4, s2, v3
	v_cmp_ne_u32_e32 vcc, 0, v3
	v_lshrrev_b32_e32 v7, 8, v4
	v_bfe_u32 v8, v4, 20, 11
	v_cndmask_b32_e64 v3, 0, 1, vcc
	v_sub_u32_e32 v9, 0x3f1, v8
	v_and_or_b32 v3, v7, s3, v3
	v_add_u32_e32 v8, 0xfffffc10, v8
	v_med3_i32 v7, v9, 0, 13
	v_or_b32_e32 v9, 0x1000, v3
	v_cmp_ne_u32_e32 vcc, 0, v3
	v_lshl_or_b32 v10, v8, 12, v3
	v_cndmask_b32_e32 v3, v5, v6, vcc
	v_lshrrev_b32_e32 v6, v7, v9
	v_lshlrev_b32_e32 v7, v7, v6
	v_cmp_ne_u32_e32 vcc, v7, v9
	v_cndmask_b32_e64 v7, 0, 1, vcc
	v_or_b32_e32 v6, v6, v7
	v_cmp_gt_i32_e32 vcc, 1, v8
	v_cndmask_b32_e32 v6, v10, v6, vcc
	v_and_b32_e32 v7, 7, v6
	v_cmp_lt_i32_e32 vcc, 5, v7
	v_cndmask_b32_e64 v9, 0, 1, vcc
	v_cmp_eq_u32_e32 vcc, 3, v7
	v_cndmask_b32_e64 v7, 0, 1, vcc
	v_lshrrev_b32_e32 v6, 2, v6
	v_or_b32_e32 v7, v7, v9
	v_add_u32_e32 v6, v6, v7
	v_cmp_gt_i32_e32 vcc, 31, v8
	v_cndmask_b32_e32 v5, v5, v6, vcc
	v_cmp_eq_u32_e32 vcc, s4, v8
	v_lshrrev_b32_e32 v4, 16, v4
	v_cndmask_b32_e32 v3, v5, v3, vcc
	v_and_or_b32 v3, v4, s5, v3
	s_mov_b64 s[2:3], 0
	s_branch .LBB190_484
.LBB190_482:
	s_mov_b64 s[2:3], -1
                                        ; implicit-def: $vgpr3
	s_branch .LBB190_487
.LBB190_483:
	s_mov_b64 s[2:3], -1
                                        ; implicit-def: $vgpr3
.LBB190_484:
	s_andn2_b64 vcc, exec, s[2:3]
	s_cbranch_vccnz .LBB190_486
; %bb.485:
	global_load_dword v3, v[0:1], off
	s_waitcnt vmcnt(0)
	v_cvt_f16_f32_e32 v3, v3
.LBB190_486:
	s_mov_b64 s[2:3], 0
.LBB190_487:
	s_andn2_b64 vcc, exec, s[2:3]
	s_cbranch_vccnz .LBB190_489
; %bb.488:
	global_load_ushort v3, v[0:1], off
.LBB190_489:
	s_mov_b64 s[2:3], 0
.LBB190_490:
	s_andn2_b64 vcc, exec, s[2:3]
	s_cbranch_vccnz .LBB190_510
; %bb.491:
	s_cmp_lt_i32 s34, 2
	s_cbranch_scc1 .LBB190_495
; %bb.492:
	s_cmp_lt_i32 s34, 3
	s_cbranch_scc1 .LBB190_496
; %bb.493:
	s_cmp_gt_i32 s34, 3
	s_cbranch_scc0 .LBB190_497
; %bb.494:
	global_load_dwordx2 v[3:4], v[0:1], off
	s_mov_b64 s[2:3], 0
	s_waitcnt vmcnt(0)
	v_xor_b32_e32 v6, v3, v4
	v_ffbh_i32_e32 v5, v4
	v_ashrrev_i32_e32 v6, 31, v6
	v_add_u32_e32 v5, -1, v5
	v_add_u32_e32 v6, 32, v6
	v_min_u32_e32 v5, v5, v6
	v_lshlrev_b64 v[3:4], v5, v[3:4]
	v_min_u32_e32 v3, 1, v3
	v_or_b32_e32 v3, v4, v3
	v_cvt_f32_i32_e32 v3, v3
	v_sub_u32_e32 v4, 32, v5
	v_ldexp_f32 v3, v3, v4
	v_cvt_f16_f32_e32 v3, v3
	s_branch .LBB190_498
.LBB190_495:
	s_mov_b64 s[2:3], -1
                                        ; implicit-def: $vgpr3
	s_branch .LBB190_504
.LBB190_496:
	s_mov_b64 s[2:3], -1
                                        ; implicit-def: $vgpr3
	s_branch .LBB190_501
.LBB190_497:
	s_mov_b64 s[2:3], -1
                                        ; implicit-def: $vgpr3
.LBB190_498:
	s_andn2_b64 vcc, exec, s[2:3]
	s_cbranch_vccnz .LBB190_500
; %bb.499:
	global_load_dword v3, v[0:1], off
	s_waitcnt vmcnt(0)
	v_cvt_f32_i32_e32 v3, v3
	v_cvt_f16_f32_e32 v3, v3
.LBB190_500:
	s_mov_b64 s[2:3], 0
.LBB190_501:
	s_andn2_b64 vcc, exec, s[2:3]
	s_cbranch_vccnz .LBB190_503
; %bb.502:
	global_load_ushort v3, v[0:1], off
	s_waitcnt vmcnt(0)
	v_cvt_f16_i16_e32 v3, v3
.LBB190_503:
	s_mov_b64 s[2:3], 0
.LBB190_504:
	s_andn2_b64 vcc, exec, s[2:3]
	s_cbranch_vccnz .LBB190_510
; %bb.505:
	s_cmp_gt_i32 s34, 0
	s_cbranch_scc0 .LBB190_507
; %bb.506:
	global_load_sbyte v3, v[0:1], off
	s_mov_b64 s[2:3], 0
	s_waitcnt vmcnt(0)
	v_cvt_f16_i16_e32 v3, v3
	s_branch .LBB190_508
.LBB190_507:
	s_mov_b64 s[2:3], -1
                                        ; implicit-def: $vgpr3
.LBB190_508:
	s_andn2_b64 vcc, exec, s[2:3]
	s_cbranch_vccnz .LBB190_510
; %bb.509:
	global_load_ubyte v0, v[0:1], off
	s_waitcnt vmcnt(0)
	v_cvt_f16_u16_e32 v3, v0
.LBB190_510:
	s_branch .LBB190_266
.LBB190_511:
	s_mov_b64 s[2:3], 0
                                        ; implicit-def: $vgpr2
	s_mov_b64 s[4:5], s[20:21]
.LBB190_512:
	s_andn2_b64 s[28:29], s[20:21], exec
	s_and_b64 s[4:5], s[4:5], exec
	s_or_b64 s[28:29], s[28:29], s[4:5]
	s_andn2_b64 s[4:5], s[22:23], exec
	s_and_b64 s[26:27], s[26:27], exec
	s_or_b64 s[26:27], s[4:5], s[26:27]
	s_orn2_b64 s[2:3], s[2:3], exec
.LBB190_513:
	s_or_b64 exec, exec, s[30:31]
	s_mov_b64 s[4:5], 0
	s_mov_b64 s[34:35], 0
	;; [unrolled: 1-line block ×3, first 2 shown]
                                        ; implicit-def: $vgpr0_vgpr1
                                        ; implicit-def: $vgpr3
	s_and_saveexec_b64 s[30:31], s[2:3]
	s_cbranch_execz .LBB190_858
; %bb.514:
	v_cmp_gt_i32_e32 vcc, s33, v2
	s_mov_b64 s[40:41], -1
	s_mov_b64 s[2:3], s[26:27]
	s_mov_b64 s[4:5], s[28:29]
	s_and_saveexec_b64 s[34:35], vcc
	s_cbranch_execz .LBB190_772
; %bb.515:
	v_mul_lo_u32 v0, v2, s13
	v_mov_b32_e32 v1, s11
	s_and_b32 s40, 0xffff, s15
	s_cmp_lt_i32 s40, 11
	s_waitcnt vmcnt(0)
	v_ashrrev_i32_e32 v3, 31, v0
	v_add_co_u32_e32 v0, vcc, s10, v0
	v_addc_co_u32_e32 v1, vcc, v1, v3, vcc
	s_cbranch_scc1 .LBB190_522
; %bb.516:
	s_cmp_gt_i32 s40, 25
	s_cbranch_scc0 .LBB190_523
; %bb.517:
	s_cmp_gt_i32 s40, 28
	s_cbranch_scc0 .LBB190_524
	;; [unrolled: 3-line block ×4, first 2 shown]
; %bb.520:
	s_cmp_eq_u32 s40, 46
	s_mov_b64 s[4:5], 0
	s_cbranch_scc0 .LBB190_531
; %bb.521:
	global_load_dword v3, v[0:1], off
	s_mov_b64 s[2:3], -1
	s_waitcnt vmcnt(0)
	v_lshlrev_b32_e32 v3, 16, v3
	v_cvt_f16_f32_e32 v3, v3
	s_branch .LBB190_532
.LBB190_522:
	s_mov_b64 s[4:5], -1
	s_mov_b64 s[2:3], 0
                                        ; implicit-def: $vgpr3
	s_mov_b64 s[36:37], s[26:27]
	s_branch .LBB190_597
.LBB190_523:
	s_mov_b64 s[4:5], -1
	s_mov_b64 s[2:3], 0
	s_mov_b64 s[36:37], s[26:27]
                                        ; implicit-def: $vgpr3
	s_branch .LBB190_561
.LBB190_524:
	s_mov_b64 s[4:5], -1
	s_mov_b64 s[2:3], 0
	s_mov_b64 s[36:37], s[26:27]
                                        ; implicit-def: $vgpr3
	s_branch .LBB190_542
.LBB190_525:
	s_mov_b64 s[4:5], -1
	s_mov_b64 s[2:3], 0
	s_mov_b64 s[36:37], s[26:27]
                                        ; implicit-def: $vgpr3
	s_branch .LBB190_537
.LBB190_526:
	s_andn2_saveexec_b64 s[36:37], s[36:37]
	s_cbranch_execz .LBB190_311
.LBB190_527:
	v_add_f32_e32 v3, 0x46000000, v4
	v_and_b32_e32 v3, 0xff, v3
	v_cmp_ne_u32_e32 vcc, 0, v3
	s_andn2_b64 s[34:35], s[34:35], exec
	s_and_b64 s[40:41], vcc, exec
	s_or_b64 s[34:35], s[34:35], s[40:41]
	s_or_b64 exec, exec, s[36:37]
	v_mov_b32_e32 v5, 0
	s_and_saveexec_b64 s[36:37], s[34:35]
	s_cbranch_execnz .LBB190_312
	s_branch .LBB190_313
.LBB190_528:
	s_mov_b64 s[4:5], -1
	s_mov_b64 s[2:3], 0
	s_mov_b64 s[36:37], s[26:27]
                                        ; implicit-def: $vgpr3
	s_branch .LBB190_532
.LBB190_529:
	s_andn2_saveexec_b64 s[36:37], s[36:37]
	s_cbranch_execz .LBB190_324
.LBB190_530:
	v_add_f32_e32 v3, 0x42800000, v4
	v_and_b32_e32 v3, 0xff, v3
	v_cmp_ne_u32_e32 vcc, 0, v3
	s_andn2_b64 s[34:35], s[34:35], exec
	s_and_b64 s[40:41], vcc, exec
	s_or_b64 s[34:35], s[34:35], s[40:41]
	s_or_b64 exec, exec, s[36:37]
	v_mov_b32_e32 v5, 0
	s_and_saveexec_b64 s[36:37], s[34:35]
	s_cbranch_execnz .LBB190_325
	s_branch .LBB190_326
.LBB190_531:
	s_mov_b64 s[36:37], -1
                                        ; implicit-def: $vgpr3
	s_mov_b64 s[2:3], 0
.LBB190_532:
	s_and_b64 vcc, exec, s[4:5]
	s_cbranch_vccz .LBB190_536
; %bb.533:
	s_cmp_eq_u32 s40, 44
	s_cbranch_scc0 .LBB190_535
; %bb.534:
	global_load_ubyte v3, v[0:1], off
	s_movk_i32 s4, 0xff
	v_mov_b32_e32 v5, 0x7e00
	s_mov_b64 s[2:3], -1
	s_mov_b64 s[36:37], 0
	s_waitcnt vmcnt(0)
	v_lshlrev_b32_e32 v4, 23, v3
	v_cvt_f16_f32_e32 v4, v4
	v_cmp_ne_u32_e32 vcc, s4, v3
	v_cndmask_b32_e32 v4, v5, v4, vcc
	v_cmp_ne_u32_e32 vcc, 0, v3
	v_cndmask_b32_e32 v3, 0, v4, vcc
	s_branch .LBB190_536
.LBB190_535:
	s_mov_b64 s[36:37], -1
                                        ; implicit-def: $vgpr3
.LBB190_536:
	s_mov_b64 s[4:5], 0
.LBB190_537:
	s_and_b64 vcc, exec, s[4:5]
	s_cbranch_vccz .LBB190_541
; %bb.538:
	s_cmp_eq_u32 s40, 29
	s_cbranch_scc0 .LBB190_540
; %bb.539:
	global_load_dwordx2 v[3:4], v[0:1], off
	s_mov_b64 s[2:3], -1
	s_mov_b64 s[36:37], 0
	s_mov_b64 s[4:5], 0
	s_waitcnt vmcnt(0)
	v_ffbh_u32_e32 v5, v4
	v_min_u32_e32 v5, 32, v5
	v_lshlrev_b64 v[3:4], v5, v[3:4]
	v_min_u32_e32 v3, 1, v3
	v_or_b32_e32 v3, v4, v3
	v_cvt_f32_u32_e32 v3, v3
	v_sub_u32_e32 v4, 32, v5
	v_ldexp_f32 v3, v3, v4
	v_cvt_f16_f32_e32 v3, v3
	s_branch .LBB190_542
.LBB190_540:
	s_mov_b64 s[36:37], -1
                                        ; implicit-def: $vgpr3
.LBB190_541:
	s_mov_b64 s[4:5], 0
.LBB190_542:
	s_and_b64 vcc, exec, s[4:5]
	s_cbranch_vccz .LBB190_560
; %bb.543:
	s_cmp_lt_i32 s40, 27
	s_cbranch_scc1 .LBB190_546
; %bb.544:
	s_cmp_gt_i32 s40, 27
	s_cbranch_scc0 .LBB190_547
; %bb.545:
	global_load_dword v3, v[0:1], off
	s_mov_b64 s[2:3], 0
	s_waitcnt vmcnt(0)
	v_cvt_f32_u32_e32 v3, v3
	v_cvt_f16_f32_e32 v3, v3
	s_branch .LBB190_548
.LBB190_546:
	s_mov_b64 s[2:3], -1
                                        ; implicit-def: $vgpr3
	s_branch .LBB190_551
.LBB190_547:
	s_mov_b64 s[2:3], -1
                                        ; implicit-def: $vgpr3
.LBB190_548:
	s_andn2_b64 vcc, exec, s[2:3]
	s_cbranch_vccnz .LBB190_550
; %bb.549:
	global_load_ushort v3, v[0:1], off
	s_waitcnt vmcnt(0)
	v_cvt_f16_u16_e32 v3, v3
.LBB190_550:
	s_mov_b64 s[2:3], 0
.LBB190_551:
	s_andn2_b64 vcc, exec, s[2:3]
	s_cbranch_vccnz .LBB190_559
; %bb.552:
	global_load_ubyte v4, v[0:1], off
	s_movk_i32 s2, 0x7f
	s_waitcnt vmcnt(0)
	v_cmp_lt_i16_e32 vcc, s2, v4
	s_mov_b64 s[2:3], 0
	s_and_saveexec_b64 s[4:5], vcc
	s_xor_b64 s[4:5], exec, s[4:5]
	s_cbranch_execz .LBB190_573
; %bb.553:
	s_movk_i32 s2, 0x80
	v_cmp_eq_u16_e32 vcc, s2, v4
	s_mov_b64 s[2:3], -1
	s_and_saveexec_b64 s[38:39], vcc
; %bb.554:
	s_xor_b64 s[2:3], exec, -1
; %bb.555:
	s_or_b64 exec, exec, s[38:39]
	s_and_b64 s[2:3], s[2:3], exec
	s_or_saveexec_b64 s[4:5], s[4:5]
	v_mov_b32_e32 v3, 0x7e00
	s_xor_b64 exec, exec, s[4:5]
	s_cbranch_execnz .LBB190_574
.LBB190_556:
	s_or_b64 exec, exec, s[4:5]
	s_and_saveexec_b64 s[4:5], s[2:3]
	s_cbranch_execz .LBB190_558
.LBB190_557:
	v_lshlrev_b32_e32 v3, 24, v4
	v_and_b32_e32 v4, 0xffff, v4
	v_and_b32_e32 v5, 7, v4
	v_ffbh_u32_e32 v7, v5
	v_min_u32_e32 v7, 32, v7
	v_subrev_u32_e32 v8, 28, v7
	v_bfe_u32 v6, v4, 3, 4
	v_lshlrev_b32_e32 v4, v8, v4
	v_sub_u32_e32 v7, 29, v7
	v_and_b32_e32 v4, 7, v4
	v_cmp_eq_u32_e32 vcc, 0, v6
	v_cndmask_b32_e32 v6, v6, v7, vcc
	v_cndmask_b32_e32 v4, v5, v4, vcc
	v_mov_b32_e32 v5, 0x3b800000
	v_lshlrev_b32_e32 v4, 20, v4
	v_and_b32_e32 v3, 0x80000000, v3
	v_lshl_add_u32 v5, v6, 23, v5
	v_or3_b32 v3, v3, v5, v4
	v_cvt_f16_f32_e32 v3, v3
.LBB190_558:
	s_or_b64 exec, exec, s[4:5]
.LBB190_559:
	s_mov_b64 s[2:3], -1
.LBB190_560:
	s_mov_b64 s[4:5], 0
.LBB190_561:
	s_and_b64 vcc, exec, s[4:5]
	s_cbranch_vccz .LBB190_596
; %bb.562:
	s_cmp_gt_i32 s40, 22
	s_cbranch_scc0 .LBB190_572
; %bb.563:
	s_cmp_lt_i32 s40, 24
	s_cbranch_scc1 .LBB190_575
; %bb.564:
	s_cmp_gt_i32 s40, 24
	s_cbranch_scc0 .LBB190_576
; %bb.565:
	global_load_ubyte v4, v[0:1], off
	s_movk_i32 s2, 0x7f
	s_waitcnt vmcnt(0)
	v_cmp_lt_i16_e32 vcc, s2, v4
	s_mov_b64 s[2:3], 0
	s_and_saveexec_b64 s[4:5], vcc
	s_xor_b64 s[4:5], exec, s[4:5]
	s_cbranch_execz .LBB190_588
; %bb.566:
	s_movk_i32 s2, 0x80
	v_cmp_eq_u16_e32 vcc, s2, v4
	s_mov_b64 s[2:3], -1
	s_and_saveexec_b64 s[38:39], vcc
; %bb.567:
	s_xor_b64 s[2:3], exec, -1
; %bb.568:
	s_or_b64 exec, exec, s[38:39]
	s_and_b64 s[2:3], s[2:3], exec
	s_or_saveexec_b64 s[4:5], s[4:5]
	v_mov_b32_e32 v3, 0x7e00
	s_xor_b64 exec, exec, s[4:5]
	s_cbranch_execnz .LBB190_589
.LBB190_569:
	s_or_b64 exec, exec, s[4:5]
	s_and_saveexec_b64 s[4:5], s[2:3]
	s_cbranch_execz .LBB190_571
.LBB190_570:
	v_lshlrev_b32_e32 v3, 24, v4
	v_and_b32_e32 v4, 0xffff, v4
	v_and_b32_e32 v5, 3, v4
	v_ffbh_u32_e32 v7, v5
	v_min_u32_e32 v7, 32, v7
	v_subrev_u32_e32 v8, 29, v7
	v_bfe_u32 v6, v4, 2, 5
	v_lshlrev_b32_e32 v4, v8, v4
	v_sub_u32_e32 v7, 30, v7
	v_and_b32_e32 v4, 3, v4
	v_cmp_eq_u32_e32 vcc, 0, v6
	v_cndmask_b32_e32 v6, v6, v7, vcc
	v_cndmask_b32_e32 v4, v5, v4, vcc
	v_mov_b32_e32 v5, 0x37800000
	v_lshlrev_b32_e32 v4, 21, v4
	v_and_b32_e32 v3, 0x80000000, v3
	v_lshl_add_u32 v5, v6, 23, v5
	v_or3_b32 v3, v3, v5, v4
	v_cvt_f16_f32_e32 v3, v3
.LBB190_571:
	s_or_b64 exec, exec, s[4:5]
	s_mov_b64 s[2:3], 0
	s_branch .LBB190_577
.LBB190_572:
	s_mov_b64 s[4:5], -1
                                        ; implicit-def: $vgpr3
	s_branch .LBB190_583
.LBB190_573:
	s_or_saveexec_b64 s[4:5], s[4:5]
	v_mov_b32_e32 v3, 0x7e00
	s_xor_b64 exec, exec, s[4:5]
	s_cbranch_execz .LBB190_556
.LBB190_574:
	v_cmp_ne_u16_e32 vcc, 0, v4
	s_andn2_b64 s[2:3], s[2:3], exec
	s_and_b64 s[38:39], vcc, exec
	s_or_b64 s[2:3], s[2:3], s[38:39]
	v_mov_b32_e32 v3, v4
	s_or_b64 exec, exec, s[4:5]
	s_and_saveexec_b64 s[4:5], s[2:3]
	s_cbranch_execnz .LBB190_557
	s_branch .LBB190_558
.LBB190_575:
	s_mov_b64 s[2:3], -1
                                        ; implicit-def: $vgpr3
	s_branch .LBB190_580
.LBB190_576:
	s_mov_b64 s[2:3], -1
                                        ; implicit-def: $vgpr3
.LBB190_577:
	s_and_b64 vcc, exec, s[2:3]
	s_cbranch_vccz .LBB190_579
; %bb.578:
	global_load_ubyte v3, v[0:1], off
	s_mov_b32 s2, 0x7f800000
	s_waitcnt vmcnt(0)
	v_lshlrev_b32_e32 v3, 24, v3
	v_and_b32_e32 v4, 0x7f000000, v3
	v_ffbh_u32_e32 v5, v4
	v_min_u32_e32 v5, 32, v5
	v_sub_u32_e64 v5, v5, 4 clamp
	v_lshlrev_b32_e32 v7, v5, v4
	v_lshlrev_b32_e32 v5, 23, v5
	v_lshrrev_b32_e32 v7, 4, v7
	v_add_u32_e32 v6, 0x1000000, v4
	v_sub_u32_e32 v5, v7, v5
	v_ashrrev_i32_e32 v6, 8, v6
	v_add_u32_e32 v5, 0x3c000000, v5
	v_and_or_b32 v5, v6, s2, v5
	v_cmp_ne_u32_e32 vcc, 0, v4
	v_cndmask_b32_e32 v4, 0, v5, vcc
	s_brev_b32 s2, 1
	v_and_or_b32 v3, v3, s2, v4
	v_cvt_f16_f32_e32 v3, v3
.LBB190_579:
	s_mov_b64 s[2:3], 0
.LBB190_580:
	s_andn2_b64 vcc, exec, s[2:3]
	s_cbranch_vccnz .LBB190_582
; %bb.581:
	global_load_ubyte v3, v[0:1], off
	s_movk_i32 s2, 0x7f00
	s_brev_b32 s3, 16
	s_waitcnt vmcnt(0)
	v_lshlrev_b16_e32 v4, 8, v3
	v_lshlrev_b32_e32 v3, 25, v3
	v_lshrrev_b32_e32 v5, 4, v3
	v_and_or_b32 v6, v4, s2, 0.5
	v_or_b32_e32 v5, 0x70000000, v5
	v_add_f32_e32 v6, -0.5, v6
	v_mul_f32_e32 v5, 0x7800000, v5
	v_cmp_gt_u32_e32 vcc, s3, v3
	v_bfe_i32 v4, v4, 0, 16
	v_cndmask_b32_e32 v3, v5, v6, vcc
	s_brev_b32 s2, 1
	v_and_or_b32 v3, v4, s2, v3
	v_cvt_f16_f32_e32 v3, v3
.LBB190_582:
	s_mov_b64 s[4:5], 0
	s_mov_b64 s[2:3], -1
.LBB190_583:
	s_andn2_b64 vcc, exec, s[4:5]
	s_cbranch_vccnz .LBB190_596
; %bb.584:
	s_cmp_gt_i32 s40, 14
	s_cbranch_scc0 .LBB190_587
; %bb.585:
	s_cmp_eq_u32 s40, 15
	s_cbranch_scc0 .LBB190_590
; %bb.586:
	global_load_ushort v3, v[0:1], off
	s_mov_b64 s[2:3], -1
	s_mov_b64 s[36:37], 0
	s_waitcnt vmcnt(0)
	v_lshlrev_b32_e32 v3, 16, v3
	v_cvt_f16_f32_e32 v3, v3
	s_branch .LBB190_591
.LBB190_587:
	s_mov_b64 s[4:5], -1
                                        ; implicit-def: $vgpr3
	s_branch .LBB190_592
.LBB190_588:
	s_or_saveexec_b64 s[4:5], s[4:5]
	v_mov_b32_e32 v3, 0x7e00
	s_xor_b64 exec, exec, s[4:5]
	s_cbranch_execz .LBB190_569
.LBB190_589:
	v_cmp_ne_u16_e32 vcc, 0, v4
	s_andn2_b64 s[2:3], s[2:3], exec
	s_and_b64 s[38:39], vcc, exec
	s_or_b64 s[2:3], s[2:3], s[38:39]
	v_mov_b32_e32 v3, v4
	s_or_b64 exec, exec, s[4:5]
	s_and_saveexec_b64 s[4:5], s[2:3]
	s_cbranch_execnz .LBB190_570
	s_branch .LBB190_571
.LBB190_590:
	s_mov_b64 s[36:37], -1
                                        ; implicit-def: $vgpr3
.LBB190_591:
	s_mov_b64 s[4:5], 0
.LBB190_592:
	s_and_b64 vcc, exec, s[4:5]
	s_cbranch_vccz .LBB190_596
; %bb.593:
	s_cmp_eq_u32 s40, 11
	s_cbranch_scc0 .LBB190_595
; %bb.594:
	global_load_ubyte v3, v[0:1], off
	v_mov_b32_e32 v4, 0x3c00
	s_mov_b64 s[2:3], -1
	s_mov_b64 s[36:37], 0
	s_waitcnt vmcnt(0)
	v_cmp_ne_u16_e32 vcc, 0, v3
	v_cndmask_b32_e32 v3, 0, v4, vcc
	s_branch .LBB190_596
.LBB190_595:
	s_mov_b64 s[36:37], -1
                                        ; implicit-def: $vgpr3
.LBB190_596:
	s_mov_b64 s[4:5], 0
.LBB190_597:
	s_and_b64 vcc, exec, s[4:5]
	s_cbranch_vccz .LBB190_646
; %bb.598:
	s_cmp_lt_i32 s40, 5
	s_cbranch_scc1 .LBB190_603
; %bb.599:
	s_cmp_lt_i32 s40, 8
	s_cbranch_scc1 .LBB190_604
	;; [unrolled: 3-line block ×3, first 2 shown]
; %bb.601:
	s_cmp_gt_i32 s40, 9
	s_cbranch_scc0 .LBB190_606
; %bb.602:
	global_load_dwordx2 v[3:4], v[0:1], off
	s_movk_i32 s2, 0x1ff
	s_movk_i32 s3, 0xffe
	v_mov_b32_e32 v5, 0x7c00
	v_mov_b32_e32 v6, 0x7e00
	s_movk_i32 s4, 0x40f
	s_mov_b32 s5, 0x8000
	s_waitcnt vmcnt(0)
	v_and_or_b32 v3, v4, s2, v3
	v_cmp_ne_u32_e32 vcc, 0, v3
	v_lshrrev_b32_e32 v7, 8, v4
	v_bfe_u32 v8, v4, 20, 11
	v_cndmask_b32_e64 v3, 0, 1, vcc
	v_sub_u32_e32 v9, 0x3f1, v8
	v_and_or_b32 v3, v7, s3, v3
	v_add_u32_e32 v8, 0xfffffc10, v8
	v_med3_i32 v7, v9, 0, 13
	v_or_b32_e32 v9, 0x1000, v3
	v_cmp_ne_u32_e32 vcc, 0, v3
	v_lshl_or_b32 v10, v8, 12, v3
	v_cndmask_b32_e32 v3, v5, v6, vcc
	v_lshrrev_b32_e32 v6, v7, v9
	v_lshlrev_b32_e32 v7, v7, v6
	v_cmp_ne_u32_e32 vcc, v7, v9
	v_cndmask_b32_e64 v7, 0, 1, vcc
	v_or_b32_e32 v6, v6, v7
	v_cmp_gt_i32_e32 vcc, 1, v8
	v_cndmask_b32_e32 v6, v10, v6, vcc
	v_and_b32_e32 v7, 7, v6
	v_cmp_lt_i32_e32 vcc, 5, v7
	v_cndmask_b32_e64 v9, 0, 1, vcc
	v_cmp_eq_u32_e32 vcc, 3, v7
	v_cndmask_b32_e64 v7, 0, 1, vcc
	v_lshrrev_b32_e32 v6, 2, v6
	v_or_b32_e32 v7, v7, v9
	v_add_u32_e32 v6, v6, v7
	v_cmp_gt_i32_e32 vcc, 31, v8
	v_cndmask_b32_e32 v5, v5, v6, vcc
	v_cmp_eq_u32_e32 vcc, s4, v8
	v_lshrrev_b32_e32 v4, 16, v4
	v_cndmask_b32_e32 v3, v5, v3, vcc
	v_and_or_b32 v3, v4, s5, v3
	s_mov_b64 s[2:3], 0
	s_branch .LBB190_607
.LBB190_603:
	s_mov_b64 s[2:3], -1
                                        ; implicit-def: $vgpr3
	s_branch .LBB190_625
.LBB190_604:
	s_mov_b64 s[2:3], -1
                                        ; implicit-def: $vgpr3
	s_branch .LBB190_613
.LBB190_605:
	s_mov_b64 s[2:3], -1
                                        ; implicit-def: $vgpr3
	s_branch .LBB190_610
.LBB190_606:
	s_mov_b64 s[2:3], -1
                                        ; implicit-def: $vgpr3
.LBB190_607:
	s_andn2_b64 vcc, exec, s[2:3]
	s_cbranch_vccnz .LBB190_609
; %bb.608:
	global_load_dword v3, v[0:1], off
	s_waitcnt vmcnt(0)
	v_cvt_f16_f32_e32 v3, v3
.LBB190_609:
	s_mov_b64 s[2:3], 0
.LBB190_610:
	s_andn2_b64 vcc, exec, s[2:3]
	s_cbranch_vccnz .LBB190_612
; %bb.611:
	global_load_dword v3, v[0:1], off
.LBB190_612:
	s_mov_b64 s[2:3], 0
.LBB190_613:
	s_andn2_b64 vcc, exec, s[2:3]
	s_cbranch_vccnz .LBB190_624
; %bb.614:
	s_cmp_lt_i32 s40, 6
	s_cbranch_scc1 .LBB190_617
; %bb.615:
	s_cmp_gt_i32 s40, 6
	s_cbranch_scc0 .LBB190_618
; %bb.616:
	global_load_dwordx2 v[3:4], v[0:1], off
	s_movk_i32 s2, 0x1ff
	s_movk_i32 s3, 0xffe
	v_mov_b32_e32 v5, 0x7c00
	v_mov_b32_e32 v6, 0x7e00
	s_movk_i32 s4, 0x40f
	s_mov_b32 s5, 0x8000
	s_waitcnt vmcnt(0)
	v_and_or_b32 v3, v4, s2, v3
	v_cmp_ne_u32_e32 vcc, 0, v3
	v_lshrrev_b32_e32 v7, 8, v4
	v_bfe_u32 v8, v4, 20, 11
	v_cndmask_b32_e64 v3, 0, 1, vcc
	v_sub_u32_e32 v9, 0x3f1, v8
	v_and_or_b32 v3, v7, s3, v3
	v_add_u32_e32 v8, 0xfffffc10, v8
	v_med3_i32 v7, v9, 0, 13
	v_or_b32_e32 v9, 0x1000, v3
	v_cmp_ne_u32_e32 vcc, 0, v3
	v_lshl_or_b32 v10, v8, 12, v3
	v_cndmask_b32_e32 v3, v5, v6, vcc
	v_lshrrev_b32_e32 v6, v7, v9
	v_lshlrev_b32_e32 v7, v7, v6
	v_cmp_ne_u32_e32 vcc, v7, v9
	v_cndmask_b32_e64 v7, 0, 1, vcc
	v_or_b32_e32 v6, v6, v7
	v_cmp_gt_i32_e32 vcc, 1, v8
	v_cndmask_b32_e32 v6, v10, v6, vcc
	v_and_b32_e32 v7, 7, v6
	v_cmp_lt_i32_e32 vcc, 5, v7
	v_cndmask_b32_e64 v9, 0, 1, vcc
	v_cmp_eq_u32_e32 vcc, 3, v7
	v_cndmask_b32_e64 v7, 0, 1, vcc
	v_lshrrev_b32_e32 v6, 2, v6
	v_or_b32_e32 v7, v7, v9
	v_add_u32_e32 v6, v6, v7
	v_cmp_gt_i32_e32 vcc, 31, v8
	v_cndmask_b32_e32 v5, v5, v6, vcc
	v_cmp_eq_u32_e32 vcc, s4, v8
	v_lshrrev_b32_e32 v4, 16, v4
	v_cndmask_b32_e32 v3, v5, v3, vcc
	v_and_or_b32 v3, v4, s5, v3
	s_mov_b64 s[2:3], 0
	s_branch .LBB190_619
.LBB190_617:
	s_mov_b64 s[2:3], -1
                                        ; implicit-def: $vgpr3
	s_branch .LBB190_622
.LBB190_618:
	s_mov_b64 s[2:3], -1
                                        ; implicit-def: $vgpr3
.LBB190_619:
	s_andn2_b64 vcc, exec, s[2:3]
	s_cbranch_vccnz .LBB190_621
; %bb.620:
	global_load_dword v3, v[0:1], off
	s_waitcnt vmcnt(0)
	v_cvt_f16_f32_e32 v3, v3
.LBB190_621:
	s_mov_b64 s[2:3], 0
.LBB190_622:
	s_andn2_b64 vcc, exec, s[2:3]
	s_cbranch_vccnz .LBB190_624
; %bb.623:
	global_load_ushort v3, v[0:1], off
.LBB190_624:
	s_mov_b64 s[2:3], 0
.LBB190_625:
	s_andn2_b64 vcc, exec, s[2:3]
	s_cbranch_vccnz .LBB190_645
; %bb.626:
	s_cmp_lt_i32 s40, 2
	s_cbranch_scc1 .LBB190_630
; %bb.627:
	s_cmp_lt_i32 s40, 3
	s_cbranch_scc1 .LBB190_631
; %bb.628:
	s_cmp_gt_i32 s40, 3
	s_cbranch_scc0 .LBB190_632
; %bb.629:
	global_load_dwordx2 v[3:4], v[0:1], off
	s_mov_b64 s[2:3], 0
	s_waitcnt vmcnt(0)
	v_xor_b32_e32 v6, v3, v4
	v_ffbh_i32_e32 v5, v4
	v_ashrrev_i32_e32 v6, 31, v6
	v_add_u32_e32 v5, -1, v5
	v_add_u32_e32 v6, 32, v6
	v_min_u32_e32 v5, v5, v6
	v_lshlrev_b64 v[3:4], v5, v[3:4]
	v_min_u32_e32 v3, 1, v3
	v_or_b32_e32 v3, v4, v3
	v_cvt_f32_i32_e32 v3, v3
	v_sub_u32_e32 v4, 32, v5
	v_ldexp_f32 v3, v3, v4
	v_cvt_f16_f32_e32 v3, v3
	s_branch .LBB190_633
.LBB190_630:
	s_mov_b64 s[2:3], -1
                                        ; implicit-def: $vgpr3
	s_branch .LBB190_639
.LBB190_631:
	s_mov_b64 s[2:3], -1
                                        ; implicit-def: $vgpr3
	s_branch .LBB190_636
.LBB190_632:
	s_mov_b64 s[2:3], -1
                                        ; implicit-def: $vgpr3
.LBB190_633:
	s_andn2_b64 vcc, exec, s[2:3]
	s_cbranch_vccnz .LBB190_635
; %bb.634:
	global_load_dword v3, v[0:1], off
	s_waitcnt vmcnt(0)
	v_cvt_f32_i32_e32 v3, v3
	v_cvt_f16_f32_e32 v3, v3
.LBB190_635:
	s_mov_b64 s[2:3], 0
.LBB190_636:
	s_andn2_b64 vcc, exec, s[2:3]
	s_cbranch_vccnz .LBB190_638
; %bb.637:
	global_load_ushort v3, v[0:1], off
	s_waitcnt vmcnt(0)
	v_cvt_f16_i16_e32 v3, v3
.LBB190_638:
	s_mov_b64 s[2:3], 0
.LBB190_639:
	s_andn2_b64 vcc, exec, s[2:3]
	s_cbranch_vccnz .LBB190_645
; %bb.640:
	s_cmp_gt_i32 s40, 0
	s_cbranch_scc0 .LBB190_642
; %bb.641:
	global_load_sbyte v3, v[0:1], off
	s_mov_b64 s[2:3], 0
	s_waitcnt vmcnt(0)
	v_cvt_f16_i16_e32 v3, v3
	s_branch .LBB190_643
.LBB190_642:
	s_mov_b64 s[2:3], -1
                                        ; implicit-def: $vgpr3
.LBB190_643:
	s_andn2_b64 vcc, exec, s[2:3]
	s_cbranch_vccnz .LBB190_645
; %bb.644:
	global_load_ubyte v0, v[0:1], off
	s_waitcnt vmcnt(0)
	v_cvt_f16_u16_e32 v3, v0
.LBB190_645:
	s_mov_b64 s[2:3], -1
.LBB190_646:
	s_andn2_b64 vcc, exec, s[2:3]
	s_cbranch_vccnz .LBB190_654
; %bb.647:
	s_waitcnt vmcnt(0)
	v_cmp_eq_f16_e32 vcc, s16, v3
	v_cndmask_b32_e64 v0, 0, 1, vcc
	v_cmp_neq_f16_e32 vcc, s16, v3
	v_mul_lo_u32 v3, v2, s12
	v_cndmask_b32_e64 v1, 0, 1, vcc
	v_cndmask_b32_e64 v0, v1, v0, s[0:1]
	v_and_b32_e32 v0, 1, v0
	v_cmp_eq_u32_e64 s[2:3], 1, v0
	v_ashrrev_i32_e32 v1, 31, v3
	v_mov_b32_e32 v4, s9
	s_and_b32 s44, s17, 0xff
	v_add_co_u32_e32 v0, vcc, s8, v3
	s_cmp_lt_i32 s44, 11
	v_addc_co_u32_e32 v1, vcc, v4, v1, vcc
	s_cbranch_scc1 .LBB190_655
; %bb.648:
	s_and_b32 s45, 0xffff, s44
	s_cmp_gt_i32 s45, 25
	s_cbranch_scc0 .LBB190_656
; %bb.649:
	s_cmp_gt_i32 s45, 28
	s_cbranch_scc0 .LBB190_657
; %bb.650:
	;; [unrolled: 3-line block ×4, first 2 shown]
	s_mov_b64 s[40:41], 0
	s_mov_b64 s[4:5], -1
	s_cmp_eq_u32 s45, 46
	s_mov_b64 s[38:39], 0
	s_cbranch_scc0 .LBB190_660
; %bb.653:
	v_cndmask_b32_e64 v3, 0, 1.0, s[2:3]
	v_bfe_u32 v4, v3, 16, 1
	s_movk_i32 s4, 0x7fff
	v_add3_u32 v3, v3, v4, s4
	v_lshrrev_b32_e32 v3, 16, v3
	global_store_dword v[0:1], v3, off
	s_mov_b64 s[38:39], -1
	s_mov_b64 s[4:5], 0
	s_branch .LBB190_660
.LBB190_654:
	s_mov_b64 s[38:39], 0
                                        ; implicit-def: $vgpr2
	s_mov_b64 s[4:5], s[28:29]
	s_branch .LBB190_771
.LBB190_655:
	s_mov_b64 s[40:41], -1
	s_mov_b64 s[38:39], 0
	s_mov_b64 s[4:5], s[28:29]
	s_branch .LBB190_729
.LBB190_656:
	s_mov_b64 s[40:41], -1
	s_mov_b64 s[38:39], 0
	s_mov_b64 s[4:5], s[28:29]
	s_branch .LBB190_687
.LBB190_657:
	s_mov_b64 s[40:41], -1
	s_mov_b64 s[38:39], 0
	s_mov_b64 s[4:5], s[28:29]
	s_branch .LBB190_670
.LBB190_658:
	s_mov_b64 s[40:41], -1
	s_mov_b64 s[38:39], 0
	s_mov_b64 s[4:5], s[28:29]
	s_branch .LBB190_666
.LBB190_659:
	s_mov_b64 s[40:41], -1
	s_mov_b64 s[38:39], 0
	s_mov_b64 s[4:5], s[28:29]
.LBB190_660:
	s_and_b64 vcc, exec, s[40:41]
	s_cbranch_vccz .LBB190_665
; %bb.661:
	s_cmp_eq_u32 s45, 44
	s_mov_b64 s[4:5], -1
	s_cbranch_scc0 .LBB190_665
; %bb.662:
	v_cndmask_b32_e64 v4, 0, 1.0, s[2:3]
	v_lshrrev_b32_e32 v3, 23, v4
	s_movk_i32 s4, 0xff
	v_cmp_ne_u32_e32 vcc, s4, v3
	v_mov_b32_e32 v5, 0xff
	s_and_saveexec_b64 s[38:39], vcc
; %bb.663:
	s_mov_b32 s4, 0x3fffff
	v_and_b32_e32 v5, 0x400000, v4
	v_and_or_b32 v4, v4, s4, v3
	v_cmp_ne_u32_e32 vcc, 0, v5
	v_cmp_ne_u32_e64 s[4:5], 0, v4
	s_and_b64 s[4:5], vcc, s[4:5]
	v_cndmask_b32_e64 v4, 0, 1, s[4:5]
	v_add_u32_e32 v5, v3, v4
; %bb.664:
	s_or_b64 exec, exec, s[38:39]
	s_mov_b64 s[38:39], -1
	s_mov_b64 s[4:5], 0
	global_store_byte v[0:1], v5, off
.LBB190_665:
	s_mov_b64 s[40:41], 0
.LBB190_666:
	s_and_b64 vcc, exec, s[40:41]
	s_cbranch_vccz .LBB190_669
; %bb.667:
	s_cmp_eq_u32 s45, 29
	s_mov_b64 s[4:5], -1
	s_cbranch_scc0 .LBB190_669
; %bb.668:
	s_mov_b32 s4, 0
	v_cndmask_b32_e64 v3, 0, 1, s[2:3]
	v_mov_b32_e32 v4, s4
	global_store_dwordx2 v[0:1], v[3:4], off
	s_mov_b64 s[38:39], -1
	s_mov_b64 s[4:5], 0
.LBB190_669:
	s_mov_b64 s[40:41], 0
.LBB190_670:
	s_and_b64 vcc, exec, s[40:41]
	s_cbranch_vccz .LBB190_686
; %bb.671:
	s_cmp_lt_i32 s45, 27
	s_mov_b64 s[38:39], -1
	s_cbranch_scc1 .LBB190_677
; %bb.672:
	s_cmp_gt_i32 s45, 27
	s_cbranch_scc0 .LBB190_674
; %bb.673:
	v_cndmask_b32_e64 v3, 0, 1, s[2:3]
	s_mov_b64 s[38:39], 0
	global_store_dword v[0:1], v3, off
.LBB190_674:
	s_andn2_b64 vcc, exec, s[38:39]
	s_cbranch_vccnz .LBB190_676
; %bb.675:
	v_cndmask_b32_e64 v3, 0, 1, s[2:3]
	global_store_short v[0:1], v3, off
.LBB190_676:
	s_mov_b64 s[38:39], 0
.LBB190_677:
	s_andn2_b64 vcc, exec, s[38:39]
	s_cbranch_vccnz .LBB190_685
; %bb.678:
	v_cndmask_b32_e64 v4, 0, 1.0, s[2:3]
	s_mov_b32 s38, 0x43800000
	v_cmp_gt_u32_e32 vcc, s38, v4
	v_mov_b32_e32 v5, 0x80
	s_and_saveexec_b64 s[38:39], vcc
	s_cbranch_execz .LBB190_684
; %bb.679:
	s_mov_b32 s40, 0x3bffffff
	v_cmp_lt_u32_e32 vcc, s40, v4
	s_mov_b64 s[40:41], 0
                                        ; implicit-def: $vgpr3
	s_and_saveexec_b64 s[42:43], vcc
	s_xor_b64 s[42:43], exec, s[42:43]
	s_cbranch_execz .LBB190_785
; %bb.680:
	v_bfe_u32 v3, v4, 20, 1
	s_mov_b32 s46, 0x487ffff
	v_add3_u32 v3, v4, v3, s46
	s_mov_b64 s[40:41], exec
	v_lshrrev_b32_e32 v3, 20, v3
                                        ; implicit-def: $vgpr4
	s_andn2_saveexec_b64 s[42:43], s[42:43]
	s_cbranch_execnz .LBB190_786
.LBB190_681:
	s_or_b64 exec, exec, s[42:43]
	v_mov_b32_e32 v5, 0
	s_and_saveexec_b64 s[42:43], s[40:41]
.LBB190_682:
	v_mov_b32_e32 v5, v3
.LBB190_683:
	s_or_b64 exec, exec, s[42:43]
.LBB190_684:
	s_or_b64 exec, exec, s[38:39]
	global_store_byte v[0:1], v5, off
.LBB190_685:
	s_mov_b64 s[38:39], -1
.LBB190_686:
	s_mov_b64 s[40:41], 0
.LBB190_687:
	s_and_b64 vcc, exec, s[40:41]
	s_cbranch_vccz .LBB190_728
; %bb.688:
	s_cmp_gt_i32 s45, 22
	s_mov_b64 s[40:41], -1
	s_cbranch_scc0 .LBB190_720
; %bb.689:
	s_cmp_lt_i32 s45, 24
	s_mov_b64 s[38:39], -1
	s_cbranch_scc1 .LBB190_709
; %bb.690:
	s_cmp_gt_i32 s45, 24
	s_cbranch_scc0 .LBB190_698
; %bb.691:
	v_cndmask_b32_e64 v4, 0, 1.0, s[2:3]
	s_mov_b32 s38, 0x47800000
	v_cmp_gt_u32_e32 vcc, s38, v4
	v_mov_b32_e32 v5, 0x80
	s_and_saveexec_b64 s[38:39], vcc
	s_cbranch_execz .LBB190_697
; %bb.692:
	s_mov_b32 s40, 0x37ffffff
	v_cmp_lt_u32_e32 vcc, s40, v4
	s_mov_b64 s[40:41], 0
                                        ; implicit-def: $vgpr3
	s_and_saveexec_b64 s[42:43], vcc
	s_xor_b64 s[42:43], exec, s[42:43]
	s_cbranch_execz .LBB190_788
; %bb.693:
	v_bfe_u32 v3, v4, 21, 1
	s_mov_b32 s46, 0x88fffff
	v_add3_u32 v3, v4, v3, s46
	s_mov_b64 s[40:41], exec
	v_lshrrev_b32_e32 v3, 21, v3
                                        ; implicit-def: $vgpr4
	s_andn2_saveexec_b64 s[42:43], s[42:43]
	s_cbranch_execnz .LBB190_789
.LBB190_694:
	s_or_b64 exec, exec, s[42:43]
	v_mov_b32_e32 v5, 0
	s_and_saveexec_b64 s[42:43], s[40:41]
.LBB190_695:
	v_mov_b32_e32 v5, v3
.LBB190_696:
	s_or_b64 exec, exec, s[42:43]
.LBB190_697:
	s_or_b64 exec, exec, s[38:39]
	s_mov_b64 s[38:39], 0
	global_store_byte v[0:1], v5, off
.LBB190_698:
	s_and_b64 vcc, exec, s[38:39]
	s_cbranch_vccz .LBB190_708
; %bb.699:
	v_cndmask_b32_e64 v3, 0, 1.0, s[2:3]
	s_mov_b32 s38, 0x43f00000
	v_cmp_gt_u32_e32 vcc, s38, v3
                                        ; implicit-def: $vgpr4
	s_and_saveexec_b64 s[38:39], vcc
	s_xor_b64 s[38:39], exec, s[38:39]
	s_cbranch_execz .LBB190_705
; %bb.700:
	s_mov_b32 s40, 0x3c7fffff
	v_cmp_lt_u32_e32 vcc, s40, v3
                                        ; implicit-def: $vgpr4
	s_and_saveexec_b64 s[40:41], vcc
	s_xor_b64 s[40:41], exec, s[40:41]
; %bb.701:
	v_bfe_u32 v4, v3, 20, 1
	s_mov_b32 s42, 0x407ffff
	v_add3_u32 v3, v3, v4, s42
	v_lshrrev_b32_e32 v4, 20, v3
	v_and_b32_e32 v3, 0xff00000, v3
	s_mov_b32 s42, 0x7f00000
	v_mov_b32_e32 v5, 0x7e
	v_cmp_ne_u32_e32 vcc, s42, v3
	v_cndmask_b32_e32 v4, v5, v4, vcc
                                        ; implicit-def: $vgpr3
; %bb.702:
	s_andn2_saveexec_b64 s[40:41], s[40:41]
; %bb.703:
	v_add_f32_e32 v4, 0x46800000, v3
; %bb.704:
	s_or_b64 exec, exec, s[40:41]
                                        ; implicit-def: $vgpr3
.LBB190_705:
	s_andn2_saveexec_b64 s[38:39], s[38:39]
; %bb.706:
	s_mov_b32 s40, 0x7f800000
	v_mov_b32_e32 v4, 0x7e
	v_mov_b32_e32 v5, 0x7f
	v_cmp_lt_u32_e32 vcc, s40, v3
	v_cndmask_b32_e32 v4, v4, v5, vcc
; %bb.707:
	s_or_b64 exec, exec, s[38:39]
	global_store_byte v[0:1], v4, off
.LBB190_708:
	s_mov_b64 s[38:39], 0
.LBB190_709:
	s_andn2_b64 vcc, exec, s[38:39]
	s_cbranch_vccnz .LBB190_719
; %bb.710:
	v_cndmask_b32_e64 v3, 0, 1.0, s[2:3]
	s_mov_b32 s38, 0x47800000
	v_cmp_gt_u32_e32 vcc, s38, v3
                                        ; implicit-def: $vgpr4
	s_and_saveexec_b64 s[38:39], vcc
	s_xor_b64 s[38:39], exec, s[38:39]
	s_cbranch_execz .LBB190_716
; %bb.711:
	s_mov_b32 s40, 0x387fffff
	v_cmp_lt_u32_e32 vcc, s40, v3
                                        ; implicit-def: $vgpr4
	s_and_saveexec_b64 s[40:41], vcc
	s_xor_b64 s[40:41], exec, s[40:41]
; %bb.712:
	v_bfe_u32 v4, v3, 21, 1
	s_mov_b32 s42, 0x80fffff
	v_add3_u32 v3, v3, v4, s42
	v_lshrrev_b32_e32 v4, 21, v3
                                        ; implicit-def: $vgpr3
; %bb.713:
	s_andn2_saveexec_b64 s[40:41], s[40:41]
; %bb.714:
	v_add_f32_e32 v4, 0x43000000, v3
; %bb.715:
	s_or_b64 exec, exec, s[40:41]
                                        ; implicit-def: $vgpr3
.LBB190_716:
	s_andn2_saveexec_b64 s[38:39], s[38:39]
; %bb.717:
	s_mov_b32 s40, 0x7f800000
	v_mov_b32_e32 v4, 0x7c
	v_mov_b32_e32 v5, 0x7f
	v_cmp_lt_u32_e32 vcc, s40, v3
	v_cndmask_b32_e32 v4, v4, v5, vcc
; %bb.718:
	s_or_b64 exec, exec, s[38:39]
	global_store_byte v[0:1], v4, off
.LBB190_719:
	s_mov_b64 s[40:41], 0
	s_mov_b64 s[38:39], -1
.LBB190_720:
	s_andn2_b64 vcc, exec, s[40:41]
	s_cbranch_vccnz .LBB190_728
; %bb.721:
	s_cmp_gt_i32 s45, 14
	s_mov_b64 s[40:41], -1
	s_cbranch_scc0 .LBB190_725
; %bb.722:
	s_cmp_eq_u32 s45, 15
	s_mov_b64 s[4:5], -1
	s_cbranch_scc0 .LBB190_724
; %bb.723:
	v_cndmask_b32_e64 v3, 0, 1.0, s[2:3]
	v_bfe_u32 v4, v3, 16, 1
	s_movk_i32 s4, 0x7fff
	v_add3_u32 v3, v3, v4, s4
	global_store_short_d16_hi v[0:1], v3, off
	s_mov_b64 s[38:39], -1
	s_mov_b64 s[4:5], 0
.LBB190_724:
	s_mov_b64 s[40:41], 0
.LBB190_725:
	s_and_b64 vcc, exec, s[40:41]
	s_cbranch_vccz .LBB190_728
; %bb.726:
	s_cmp_eq_u32 s45, 11
	s_mov_b64 s[4:5], -1
	s_cbranch_scc0 .LBB190_728
; %bb.727:
	v_cndmask_b32_e64 v3, 0, 1, s[2:3]
	s_mov_b64 s[38:39], -1
	s_mov_b64 s[4:5], 0
	global_store_byte v[0:1], v3, off
.LBB190_728:
	s_mov_b64 s[40:41], 0
.LBB190_729:
	s_and_b64 vcc, exec, s[40:41]
	s_cbranch_vccz .LBB190_768
; %bb.730:
	s_and_b32 s40, 0xffff, s44
	s_cmp_lt_i32 s40, 5
	s_mov_b64 s[38:39], -1
	s_cbranch_scc1 .LBB190_751
; %bb.731:
	s_cmp_lt_i32 s40, 8
	s_cbranch_scc1 .LBB190_741
; %bb.732:
	s_cmp_lt_i32 s40, 9
	s_cbranch_scc1 .LBB190_738
; %bb.733:
	s_cmp_gt_i32 s40, 9
	s_cbranch_scc0 .LBB190_735
; %bb.734:
	v_cndmask_b32_e64 v3, 0, 1, s[2:3]
	v_cvt_f64_u32_e32 v[3:4], v3
	v_mov_b32_e32 v5, 0
	v_mov_b32_e32 v6, v5
	s_mov_b64 s[38:39], 0
	global_store_dwordx4 v[0:1], v[3:6], off
.LBB190_735:
	s_andn2_b64 vcc, exec, s[38:39]
	s_cbranch_vccnz .LBB190_737
; %bb.736:
	v_cndmask_b32_e64 v3, 0, 1.0, s[2:3]
	v_mov_b32_e32 v4, 0
	global_store_dwordx2 v[0:1], v[3:4], off
.LBB190_737:
	s_mov_b64 s[38:39], 0
.LBB190_738:
	s_andn2_b64 vcc, exec, s[38:39]
	s_cbranch_vccnz .LBB190_740
; %bb.739:
	v_cndmask_b32_e64 v3, 0, 1.0, s[2:3]
	v_cvt_f16_f32_e32 v3, v3
	global_store_dword v[0:1], v3, off
.LBB190_740:
	s_mov_b64 s[38:39], 0
.LBB190_741:
	s_andn2_b64 vcc, exec, s[38:39]
	s_cbranch_vccnz .LBB190_750
; %bb.742:
	s_cmp_lt_i32 s40, 6
	s_mov_b64 s[38:39], -1
	s_cbranch_scc1 .LBB190_748
; %bb.743:
	s_cmp_gt_i32 s40, 6
	s_cbranch_scc0 .LBB190_745
; %bb.744:
	v_cndmask_b32_e64 v3, 0, 1, s[2:3]
	v_cvt_f64_u32_e32 v[3:4], v3
	s_mov_b64 s[38:39], 0
	global_store_dwordx2 v[0:1], v[3:4], off
.LBB190_745:
	s_andn2_b64 vcc, exec, s[38:39]
	s_cbranch_vccnz .LBB190_747
; %bb.746:
	v_cndmask_b32_e64 v3, 0, 1.0, s[2:3]
	global_store_dword v[0:1], v3, off
.LBB190_747:
	s_mov_b64 s[38:39], 0
.LBB190_748:
	s_andn2_b64 vcc, exec, s[38:39]
	s_cbranch_vccnz .LBB190_750
; %bb.749:
	v_cndmask_b32_e64 v3, 0, 1.0, s[2:3]
	v_cvt_f16_f32_e32 v3, v3
	global_store_short v[0:1], v3, off
.LBB190_750:
	s_mov_b64 s[38:39], 0
.LBB190_751:
	s_andn2_b64 vcc, exec, s[38:39]
	s_cbranch_vccnz .LBB190_767
; %bb.752:
	s_cmp_lt_i32 s40, 2
	s_mov_b64 s[38:39], -1
	s_cbranch_scc1 .LBB190_762
; %bb.753:
	s_cmp_lt_i32 s40, 3
	s_cbranch_scc1 .LBB190_759
; %bb.754:
	s_cmp_gt_i32 s40, 3
	s_cbranch_scc0 .LBB190_756
; %bb.755:
	s_mov_b32 s38, 0
	v_cndmask_b32_e64 v3, 0, 1, s[2:3]
	v_mov_b32_e32 v4, s38
	s_mov_b64 s[38:39], 0
	global_store_dwordx2 v[0:1], v[3:4], off
.LBB190_756:
	s_andn2_b64 vcc, exec, s[38:39]
	s_cbranch_vccnz .LBB190_758
; %bb.757:
	v_cndmask_b32_e64 v3, 0, 1, s[2:3]
	global_store_dword v[0:1], v3, off
.LBB190_758:
	s_mov_b64 s[38:39], 0
.LBB190_759:
	s_andn2_b64 vcc, exec, s[38:39]
	s_cbranch_vccnz .LBB190_761
; %bb.760:
	v_cndmask_b32_e64 v3, 0, 1, s[2:3]
	global_store_short v[0:1], v3, off
.LBB190_761:
	s_mov_b64 s[38:39], 0
.LBB190_762:
	s_andn2_b64 vcc, exec, s[38:39]
	s_cbranch_vccnz .LBB190_767
; %bb.763:
	s_mov_b64 s[38:39], -1
	s_cmp_gt_i32 s40, 0
	v_cndmask_b32_e64 v3, 0, 1, s[2:3]
	s_cbranch_scc0 .LBB190_765
; %bb.764:
	s_mov_b64 s[38:39], 0
	global_store_byte v[0:1], v3, off
.LBB190_765:
	s_andn2_b64 vcc, exec, s[38:39]
	s_cbranch_vccnz .LBB190_767
; %bb.766:
	global_store_byte v[0:1], v3, off
.LBB190_767:
	s_mov_b64 s[38:39], -1
.LBB190_768:
	s_andn2_b64 vcc, exec, s[38:39]
	s_cbranch_vccnz .LBB190_770
; %bb.769:
	v_add_u32_e32 v2, 0x80, v2
	s_mov_b64 s[38:39], -1
	s_branch .LBB190_771
.LBB190_770:
	s_mov_b64 s[38:39], 0
                                        ; implicit-def: $vgpr2
.LBB190_771:
	s_andn2_b64 s[2:3], s[28:29], exec
	s_and_b64 s[4:5], s[4:5], exec
	s_or_b64 s[4:5], s[2:3], s[4:5]
	s_andn2_b64 s[2:3], s[26:27], exec
	s_and_b64 s[36:37], s[36:37], exec
	s_or_b64 s[2:3], s[2:3], s[36:37]
	s_orn2_b64 s[40:41], s[38:39], exec
.LBB190_772:
	s_or_b64 exec, exec, s[34:35]
	s_mov_b64 s[38:39], 0
	s_mov_b64 s[42:43], 0
	;; [unrolled: 1-line block ×3, first 2 shown]
                                        ; implicit-def: $vgpr0_vgpr1
                                        ; implicit-def: $vgpr3
	s_and_saveexec_b64 s[34:35], s[40:41]
	s_cbranch_execz .LBB190_857
; %bb.773:
	v_cmp_gt_i32_e32 vcc, s33, v2
	s_mov_b64 s[40:41], 0
	s_mov_b64 s[44:45], s[2:3]
	;; [unrolled: 1-line block ×3, first 2 shown]
                                        ; implicit-def: $vgpr0_vgpr1
                                        ; implicit-def: $vgpr3
	s_and_saveexec_b64 s[36:37], vcc
	s_cbranch_execz .LBB190_856
; %bb.774:
	v_mul_lo_u32 v0, v2, s13
	v_mov_b32_e32 v1, s11
	s_and_b32 s33, 0xffff, s15
	s_cmp_lt_i32 s33, 11
	s_waitcnt vmcnt(0)
	v_ashrrev_i32_e32 v3, 31, v0
	v_add_co_u32_e32 v0, vcc, s10, v0
	v_addc_co_u32_e32 v1, vcc, v1, v3, vcc
	s_cbranch_scc1 .LBB190_781
; %bb.775:
	s_cmp_gt_i32 s33, 25
	s_cbranch_scc0 .LBB190_782
; %bb.776:
	s_cmp_gt_i32 s33, 28
	s_cbranch_scc0 .LBB190_783
	;; [unrolled: 3-line block ×4, first 2 shown]
; %bb.779:
	s_cmp_eq_u32 s33, 46
	s_mov_b64 s[44:45], 0
	s_cbranch_scc0 .LBB190_790
; %bb.780:
	global_load_dword v3, v[0:1], off
	s_mov_b64 s[42:43], -1
	s_waitcnt vmcnt(0)
	v_lshlrev_b32_e32 v3, 16, v3
	v_cvt_f16_f32_e32 v3, v3
	s_branch .LBB190_792
.LBB190_781:
	s_mov_b64 s[44:45], -1
                                        ; implicit-def: $vgpr3
	s_mov_b64 s[38:39], s[2:3]
	s_branch .LBB190_855
.LBB190_782:
	s_mov_b64 s[44:45], -1
	s_mov_b64 s[38:39], s[2:3]
                                        ; implicit-def: $vgpr3
	s_branch .LBB190_821
.LBB190_783:
	s_mov_b64 s[44:45], -1
	s_mov_b64 s[38:39], s[2:3]
                                        ; implicit-def: $vgpr3
	s_branch .LBB190_802
.LBB190_784:
	s_mov_b64 s[44:45], -1
	s_mov_b64 s[38:39], s[2:3]
                                        ; implicit-def: $vgpr3
	s_branch .LBB190_797
.LBB190_785:
	s_andn2_saveexec_b64 s[42:43], s[42:43]
	s_cbranch_execz .LBB190_681
.LBB190_786:
	v_add_f32_e32 v3, 0x46000000, v4
	v_and_b32_e32 v3, 0xff, v3
	v_cmp_ne_u32_e32 vcc, 0, v3
	s_andn2_b64 s[40:41], s[40:41], exec
	s_and_b64 s[46:47], vcc, exec
	s_or_b64 s[40:41], s[40:41], s[46:47]
	s_or_b64 exec, exec, s[42:43]
	v_mov_b32_e32 v5, 0
	s_and_saveexec_b64 s[42:43], s[40:41]
	s_cbranch_execnz .LBB190_682
	s_branch .LBB190_683
.LBB190_787:
	s_mov_b64 s[44:45], -1
	s_mov_b64 s[38:39], s[2:3]
	s_branch .LBB190_791
.LBB190_788:
	s_andn2_saveexec_b64 s[42:43], s[42:43]
	s_cbranch_execz .LBB190_694
.LBB190_789:
	v_add_f32_e32 v3, 0x42800000, v4
	v_and_b32_e32 v3, 0xff, v3
	v_cmp_ne_u32_e32 vcc, 0, v3
	s_andn2_b64 s[40:41], s[40:41], exec
	s_and_b64 s[46:47], vcc, exec
	s_or_b64 s[40:41], s[40:41], s[46:47]
	s_or_b64 exec, exec, s[42:43]
	v_mov_b32_e32 v5, 0
	s_and_saveexec_b64 s[42:43], s[40:41]
	s_cbranch_execnz .LBB190_695
	s_branch .LBB190_696
.LBB190_790:
	s_mov_b64 s[38:39], -1
.LBB190_791:
                                        ; implicit-def: $vgpr3
.LBB190_792:
	s_and_b64 vcc, exec, s[44:45]
	s_cbranch_vccz .LBB190_796
; %bb.793:
	s_cmp_eq_u32 s33, 44
	s_cbranch_scc0 .LBB190_795
; %bb.794:
	global_load_ubyte v3, v[0:1], off
	s_movk_i32 s42, 0xff
	v_mov_b32_e32 v5, 0x7e00
	s_mov_b64 s[38:39], 0
	s_waitcnt vmcnt(0)
	v_lshlrev_b32_e32 v4, 23, v3
	v_cvt_f16_f32_e32 v4, v4
	v_cmp_ne_u32_e32 vcc, s42, v3
	s_mov_b64 s[42:43], -1
	v_cndmask_b32_e32 v4, v5, v4, vcc
	v_cmp_ne_u32_e32 vcc, 0, v3
	v_cndmask_b32_e32 v3, 0, v4, vcc
	s_branch .LBB190_796
.LBB190_795:
	s_mov_b64 s[38:39], -1
                                        ; implicit-def: $vgpr3
.LBB190_796:
	s_mov_b64 s[44:45], 0
.LBB190_797:
	s_and_b64 vcc, exec, s[44:45]
	s_cbranch_vccz .LBB190_801
; %bb.798:
	s_cmp_eq_u32 s33, 29
	s_cbranch_scc0 .LBB190_800
; %bb.799:
	global_load_dwordx2 v[3:4], v[0:1], off
	s_mov_b64 s[38:39], 0
	s_mov_b64 s[42:43], -1
	s_mov_b64 s[44:45], 0
	s_waitcnt vmcnt(0)
	v_ffbh_u32_e32 v5, v4
	v_min_u32_e32 v5, 32, v5
	v_lshlrev_b64 v[3:4], v5, v[3:4]
	v_min_u32_e32 v3, 1, v3
	v_or_b32_e32 v3, v4, v3
	v_cvt_f32_u32_e32 v3, v3
	v_sub_u32_e32 v4, 32, v5
	v_ldexp_f32 v3, v3, v4
	v_cvt_f16_f32_e32 v3, v3
	s_branch .LBB190_802
.LBB190_800:
	s_mov_b64 s[38:39], -1
                                        ; implicit-def: $vgpr3
.LBB190_801:
	s_mov_b64 s[44:45], 0
.LBB190_802:
	s_and_b64 vcc, exec, s[44:45]
	s_cbranch_vccz .LBB190_820
; %bb.803:
	s_cmp_lt_i32 s33, 27
	s_cbranch_scc1 .LBB190_806
; %bb.804:
	s_cmp_gt_i32 s33, 27
	s_cbranch_scc0 .LBB190_807
; %bb.805:
	global_load_dword v3, v[0:1], off
	s_mov_b64 s[42:43], 0
	s_waitcnt vmcnt(0)
	v_cvt_f32_u32_e32 v3, v3
	v_cvt_f16_f32_e32 v3, v3
	s_branch .LBB190_808
.LBB190_806:
	s_mov_b64 s[42:43], -1
                                        ; implicit-def: $vgpr3
	s_branch .LBB190_811
.LBB190_807:
	s_mov_b64 s[42:43], -1
                                        ; implicit-def: $vgpr3
.LBB190_808:
	s_andn2_b64 vcc, exec, s[42:43]
	s_cbranch_vccnz .LBB190_810
; %bb.809:
	global_load_ushort v3, v[0:1], off
	s_waitcnt vmcnt(0)
	v_cvt_f16_u16_e32 v3, v3
.LBB190_810:
	s_mov_b64 s[42:43], 0
.LBB190_811:
	s_andn2_b64 vcc, exec, s[42:43]
	s_cbranch_vccnz .LBB190_819
; %bb.812:
	global_load_ubyte v4, v[0:1], off
	s_movk_i32 s42, 0x7f
	s_waitcnt vmcnt(0)
	v_cmp_lt_i16_e32 vcc, s42, v4
	s_mov_b64 s[42:43], 0
	s_and_saveexec_b64 s[44:45], vcc
	s_xor_b64 s[44:45], exec, s[44:45]
	s_cbranch_execz .LBB190_833
; %bb.813:
	s_movk_i32 s42, 0x80
	v_cmp_eq_u16_e32 vcc, s42, v4
	s_mov_b64 s[42:43], -1
	s_and_saveexec_b64 s[46:47], vcc
; %bb.814:
	s_xor_b64 s[42:43], exec, -1
; %bb.815:
	s_or_b64 exec, exec, s[46:47]
	s_and_b64 s[42:43], s[42:43], exec
	s_or_saveexec_b64 s[44:45], s[44:45]
	v_mov_b32_e32 v3, 0x7e00
	s_xor_b64 exec, exec, s[44:45]
	s_cbranch_execnz .LBB190_834
.LBB190_816:
	s_or_b64 exec, exec, s[44:45]
	s_and_saveexec_b64 s[44:45], s[42:43]
	s_cbranch_execz .LBB190_818
.LBB190_817:
	v_lshlrev_b32_e32 v3, 24, v4
	v_and_b32_e32 v4, 0xffff, v4
	v_and_b32_e32 v5, 7, v4
	v_ffbh_u32_e32 v7, v5
	v_min_u32_e32 v7, 32, v7
	v_subrev_u32_e32 v8, 28, v7
	v_bfe_u32 v6, v4, 3, 4
	v_lshlrev_b32_e32 v4, v8, v4
	v_sub_u32_e32 v7, 29, v7
	v_and_b32_e32 v4, 7, v4
	v_cmp_eq_u32_e32 vcc, 0, v6
	v_cndmask_b32_e32 v6, v6, v7, vcc
	v_cndmask_b32_e32 v4, v5, v4, vcc
	v_mov_b32_e32 v5, 0x3b800000
	v_lshlrev_b32_e32 v4, 20, v4
	v_and_b32_e32 v3, 0x80000000, v3
	v_lshl_add_u32 v5, v6, 23, v5
	v_or3_b32 v3, v3, v5, v4
	v_cvt_f16_f32_e32 v3, v3
.LBB190_818:
	s_or_b64 exec, exec, s[44:45]
.LBB190_819:
	s_mov_b64 s[42:43], -1
.LBB190_820:
	s_mov_b64 s[44:45], 0
.LBB190_821:
	s_and_b64 vcc, exec, s[44:45]
	s_cbranch_vccz .LBB190_854
; %bb.822:
	s_cmp_gt_i32 s33, 22
	s_cbranch_scc0 .LBB190_832
; %bb.823:
	s_cmp_lt_i32 s33, 24
	s_cbranch_scc1 .LBB190_835
; %bb.824:
	s_cmp_gt_i32 s33, 24
	s_cbranch_scc0 .LBB190_836
; %bb.825:
	global_load_ubyte v4, v[0:1], off
	s_movk_i32 s40, 0x7f
	s_waitcnt vmcnt(0)
	v_cmp_lt_i16_e32 vcc, s40, v4
	s_mov_b64 s[40:41], 0
	s_and_saveexec_b64 s[42:43], vcc
	s_xor_b64 s[42:43], exec, s[42:43]
	s_cbranch_execz .LBB190_848
; %bb.826:
	s_movk_i32 s40, 0x80
	v_cmp_eq_u16_e32 vcc, s40, v4
	s_mov_b64 s[40:41], -1
	s_and_saveexec_b64 s[44:45], vcc
; %bb.827:
	s_xor_b64 s[40:41], exec, -1
; %bb.828:
	s_or_b64 exec, exec, s[44:45]
	s_and_b64 s[40:41], s[40:41], exec
	s_or_saveexec_b64 s[42:43], s[42:43]
	v_mov_b32_e32 v3, 0x7e00
	s_xor_b64 exec, exec, s[42:43]
	s_cbranch_execnz .LBB190_849
.LBB190_829:
	s_or_b64 exec, exec, s[42:43]
	s_and_saveexec_b64 s[42:43], s[40:41]
	s_cbranch_execz .LBB190_831
.LBB190_830:
	v_lshlrev_b32_e32 v3, 24, v4
	v_and_b32_e32 v4, 0xffff, v4
	v_and_b32_e32 v5, 3, v4
	v_ffbh_u32_e32 v7, v5
	v_min_u32_e32 v7, 32, v7
	v_subrev_u32_e32 v8, 29, v7
	v_bfe_u32 v6, v4, 2, 5
	v_lshlrev_b32_e32 v4, v8, v4
	v_sub_u32_e32 v7, 30, v7
	v_and_b32_e32 v4, 3, v4
	v_cmp_eq_u32_e32 vcc, 0, v6
	v_cndmask_b32_e32 v6, v6, v7, vcc
	v_cndmask_b32_e32 v4, v5, v4, vcc
	v_mov_b32_e32 v5, 0x37800000
	v_lshlrev_b32_e32 v4, 21, v4
	v_and_b32_e32 v3, 0x80000000, v3
	v_lshl_add_u32 v5, v6, 23, v5
	v_or3_b32 v3, v3, v5, v4
	v_cvt_f16_f32_e32 v3, v3
.LBB190_831:
	s_or_b64 exec, exec, s[42:43]
	s_mov_b64 s[40:41], 0
	s_branch .LBB190_837
.LBB190_832:
	s_mov_b64 s[40:41], -1
                                        ; implicit-def: $vgpr3
	s_branch .LBB190_843
.LBB190_833:
	s_or_saveexec_b64 s[44:45], s[44:45]
	v_mov_b32_e32 v3, 0x7e00
	s_xor_b64 exec, exec, s[44:45]
	s_cbranch_execz .LBB190_816
.LBB190_834:
	v_cmp_ne_u16_e32 vcc, 0, v4
	s_andn2_b64 s[42:43], s[42:43], exec
	s_and_b64 s[46:47], vcc, exec
	s_or_b64 s[42:43], s[42:43], s[46:47]
	v_mov_b32_e32 v3, v4
	s_or_b64 exec, exec, s[44:45]
	s_and_saveexec_b64 s[44:45], s[42:43]
	s_cbranch_execnz .LBB190_817
	s_branch .LBB190_818
.LBB190_835:
	s_mov_b64 s[40:41], -1
                                        ; implicit-def: $vgpr3
	s_branch .LBB190_840
.LBB190_836:
	s_mov_b64 s[40:41], -1
                                        ; implicit-def: $vgpr3
.LBB190_837:
	s_and_b64 vcc, exec, s[40:41]
	s_cbranch_vccz .LBB190_839
; %bb.838:
	global_load_ubyte v3, v[0:1], off
	s_mov_b32 s40, 0x7f800000
	s_waitcnt vmcnt(0)
	v_lshlrev_b32_e32 v3, 24, v3
	v_and_b32_e32 v4, 0x7f000000, v3
	v_ffbh_u32_e32 v5, v4
	v_min_u32_e32 v5, 32, v5
	v_sub_u32_e64 v5, v5, 4 clamp
	v_lshlrev_b32_e32 v7, v5, v4
	v_lshlrev_b32_e32 v5, 23, v5
	v_lshrrev_b32_e32 v7, 4, v7
	v_add_u32_e32 v6, 0x1000000, v4
	v_sub_u32_e32 v5, v7, v5
	v_ashrrev_i32_e32 v6, 8, v6
	v_add_u32_e32 v5, 0x3c000000, v5
	v_and_or_b32 v5, v6, s40, v5
	v_cmp_ne_u32_e32 vcc, 0, v4
	v_cndmask_b32_e32 v4, 0, v5, vcc
	s_brev_b32 s40, 1
	v_and_or_b32 v3, v3, s40, v4
	v_cvt_f16_f32_e32 v3, v3
.LBB190_839:
	s_mov_b64 s[40:41], 0
.LBB190_840:
	s_andn2_b64 vcc, exec, s[40:41]
	s_cbranch_vccnz .LBB190_842
; %bb.841:
	global_load_ubyte v3, v[0:1], off
	s_movk_i32 s40, 0x7f00
	s_brev_b32 s41, 16
	s_waitcnt vmcnt(0)
	v_lshlrev_b16_e32 v4, 8, v3
	v_lshlrev_b32_e32 v3, 25, v3
	v_lshrrev_b32_e32 v5, 4, v3
	v_and_or_b32 v6, v4, s40, 0.5
	v_or_b32_e32 v5, 0x70000000, v5
	v_add_f32_e32 v6, -0.5, v6
	v_mul_f32_e32 v5, 0x7800000, v5
	v_cmp_gt_u32_e32 vcc, s41, v3
	v_bfe_i32 v4, v4, 0, 16
	v_cndmask_b32_e32 v3, v5, v6, vcc
	s_brev_b32 s40, 1
	v_and_or_b32 v3, v4, s40, v3
	v_cvt_f16_f32_e32 v3, v3
.LBB190_842:
	s_mov_b64 s[40:41], 0
	s_mov_b64 s[42:43], -1
.LBB190_843:
	s_andn2_b64 vcc, exec, s[40:41]
	s_mov_b64 s[40:41], 0
	s_cbranch_vccnz .LBB190_854
; %bb.844:
	s_cmp_gt_i32 s33, 14
	s_cbranch_scc0 .LBB190_847
; %bb.845:
	s_cmp_eq_u32 s33, 15
	s_cbranch_scc0 .LBB190_850
; %bb.846:
	global_load_ushort v3, v[0:1], off
	s_mov_b64 s[38:39], 0
	s_mov_b64 s[42:43], -1
	s_waitcnt vmcnt(0)
	v_lshlrev_b32_e32 v3, 16, v3
	v_cvt_f16_f32_e32 v3, v3
	s_branch .LBB190_851
.LBB190_847:
	s_mov_b64 s[44:45], -1
                                        ; implicit-def: $vgpr3
	s_branch .LBB190_852
.LBB190_848:
	s_or_saveexec_b64 s[42:43], s[42:43]
	v_mov_b32_e32 v3, 0x7e00
	s_xor_b64 exec, exec, s[42:43]
	s_cbranch_execz .LBB190_829
.LBB190_849:
	v_cmp_ne_u16_e32 vcc, 0, v4
	s_andn2_b64 s[40:41], s[40:41], exec
	s_and_b64 s[44:45], vcc, exec
	s_or_b64 s[40:41], s[40:41], s[44:45]
	v_mov_b32_e32 v3, v4
	s_or_b64 exec, exec, s[42:43]
	s_and_saveexec_b64 s[42:43], s[40:41]
	s_cbranch_execnz .LBB190_830
	s_branch .LBB190_831
.LBB190_850:
	s_mov_b64 s[38:39], -1
                                        ; implicit-def: $vgpr3
.LBB190_851:
	s_mov_b64 s[44:45], 0
.LBB190_852:
	s_and_b64 vcc, exec, s[44:45]
	s_cbranch_vccz .LBB190_854
; %bb.853:
	s_cmp_lg_u32 s33, 11
	s_cselect_b64 s[44:45], -1, 0
	s_andn2_b64 s[38:39], s[38:39], exec
	s_and_b64 s[44:45], s[44:45], exec
	s_mov_b64 s[40:41], -1
	s_or_b64 s[38:39], s[38:39], s[44:45]
.LBB190_854:
	s_mov_b64 s[44:45], 0
.LBB190_855:
	s_and_b64 s[46:47], s[42:43], exec
	s_and_b64 s[42:43], s[44:45], exec
	s_andn2_b64 s[44:45], s[2:3], exec
	s_and_b64 s[38:39], s[38:39], exec
	s_and_b64 s[40:41], s[40:41], exec
	s_or_b64 s[44:45], s[44:45], s[38:39]
.LBB190_856:
	s_or_b64 exec, exec, s[36:37]
	s_and_b64 s[38:39], s[40:41], exec
	s_andn2_b64 s[2:3], s[2:3], exec
	s_and_b64 s[40:41], s[44:45], exec
	s_and_b64 s[36:37], s[46:47], exec
	s_and_b64 s[42:43], s[42:43], exec
	s_or_b64 s[2:3], s[2:3], s[40:41]
.LBB190_857:
	s_or_b64 exec, exec, s[34:35]
	s_andn2_b64 s[28:29], s[28:29], exec
	s_and_b64 s[4:5], s[4:5], exec
	s_andn2_b64 s[26:27], s[26:27], exec
	s_and_b64 s[2:3], s[2:3], exec
	s_or_b64 s[28:29], s[28:29], s[4:5]
	s_and_b64 s[36:37], s[36:37], exec
	s_and_b64 s[34:35], s[42:43], exec
	s_and_b64 s[4:5], s[38:39], exec
	s_or_b64 s[26:27], s[26:27], s[2:3]
.LBB190_858:
	s_or_b64 exec, exec, s[30:31]
	s_andn2_b64 s[2:3], s[20:21], exec
	s_and_b64 s[20:21], s[28:29], exec
	s_or_b64 s[20:21], s[2:3], s[20:21]
	s_and_b64 s[28:29], s[4:5], exec
	s_andn2_b64 s[2:3], s[22:23], exec
	s_and_b64 s[4:5], s[26:27], exec
	s_and_b64 s[30:31], s[36:37], exec
	;; [unrolled: 1-line block ×3, first 2 shown]
	s_or_b64 s[22:23], s[2:3], s[4:5]
	s_or_b64 exec, exec, s[24:25]
	s_mov_b64 s[2:3], 0
	s_and_saveexec_b64 s[4:5], s[22:23]
	s_cbranch_execz .LBB190_262
.LBB190_859:
	s_mov_b64 s[2:3], exec
	s_andn2_b64 s[28:29], s[28:29], exec
	s_trap 2
	s_or_b64 exec, exec, s[4:5]
	s_and_saveexec_b64 s[4:5], s[28:29]
	s_xor_b64 s[4:5], exec, s[4:5]
	s_cbranch_execnz .LBB190_263
.LBB190_860:
	s_or_b64 exec, exec, s[4:5]
	s_and_saveexec_b64 s[4:5], s[34:35]
	s_cbranch_execz .LBB190_906
.LBB190_861:
	s_sext_i32_i16 s22, s15
	s_cmp_lt_i32 s22, 5
	s_cbranch_scc1 .LBB190_866
; %bb.862:
	s_cmp_lt_i32 s22, 8
	s_cbranch_scc1 .LBB190_867
; %bb.863:
	;; [unrolled: 3-line block ×3, first 2 shown]
	s_cmp_gt_i32 s22, 9
	s_cbranch_scc0 .LBB190_869
; %bb.865:
	global_load_dwordx2 v[3:4], v[0:1], off
	s_movk_i32 s22, 0x1ff
	s_movk_i32 s23, 0xffe
	v_mov_b32_e32 v5, 0x7c00
	v_mov_b32_e32 v6, 0x7e00
	s_movk_i32 s24, 0x40f
	s_mov_b32 s25, 0x8000
	s_waitcnt vmcnt(0)
	v_and_or_b32 v3, v4, s22, v3
	v_cmp_ne_u32_e32 vcc, 0, v3
	v_lshrrev_b32_e32 v7, 8, v4
	v_bfe_u32 v8, v4, 20, 11
	v_cndmask_b32_e64 v3, 0, 1, vcc
	v_sub_u32_e32 v9, 0x3f1, v8
	v_and_or_b32 v3, v7, s23, v3
	v_add_u32_e32 v8, 0xfffffc10, v8
	v_med3_i32 v7, v9, 0, 13
	v_or_b32_e32 v9, 0x1000, v3
	v_cmp_ne_u32_e32 vcc, 0, v3
	v_lshl_or_b32 v10, v8, 12, v3
	v_cndmask_b32_e32 v3, v5, v6, vcc
	v_lshrrev_b32_e32 v6, v7, v9
	v_lshlrev_b32_e32 v7, v7, v6
	v_cmp_ne_u32_e32 vcc, v7, v9
	v_cndmask_b32_e64 v7, 0, 1, vcc
	v_or_b32_e32 v6, v6, v7
	v_cmp_gt_i32_e32 vcc, 1, v8
	v_cndmask_b32_e32 v6, v10, v6, vcc
	v_and_b32_e32 v7, 7, v6
	v_cmp_lt_i32_e32 vcc, 5, v7
	v_cndmask_b32_e64 v9, 0, 1, vcc
	v_cmp_eq_u32_e32 vcc, 3, v7
	v_cndmask_b32_e64 v7, 0, 1, vcc
	v_lshrrev_b32_e32 v6, 2, v6
	v_or_b32_e32 v7, v7, v9
	v_add_u32_e32 v6, v6, v7
	v_cmp_gt_i32_e32 vcc, 31, v8
	v_cndmask_b32_e32 v5, v5, v6, vcc
	v_cmp_eq_u32_e32 vcc, s24, v8
	v_lshrrev_b32_e32 v4, 16, v4
	v_cndmask_b32_e32 v3, v5, v3, vcc
	v_and_or_b32 v3, v4, s25, v3
	s_mov_b64 s[22:23], 0
	s_branch .LBB190_870
.LBB190_866:
                                        ; implicit-def: $vgpr3
	s_branch .LBB190_887
.LBB190_867:
                                        ; implicit-def: $vgpr3
	s_branch .LBB190_876
.LBB190_868:
	s_mov_b64 s[22:23], -1
                                        ; implicit-def: $vgpr3
	s_branch .LBB190_873
.LBB190_869:
	s_mov_b64 s[22:23], -1
                                        ; implicit-def: $vgpr3
.LBB190_870:
	s_andn2_b64 vcc, exec, s[22:23]
	s_cbranch_vccnz .LBB190_872
; %bb.871:
	global_load_dword v3, v[0:1], off
	s_waitcnt vmcnt(0)
	v_cvt_f16_f32_e32 v3, v3
.LBB190_872:
	s_mov_b64 s[22:23], 0
.LBB190_873:
	s_andn2_b64 vcc, exec, s[22:23]
	s_cbranch_vccnz .LBB190_875
; %bb.874:
	global_load_dword v3, v[0:1], off
.LBB190_875:
	s_cbranch_execnz .LBB190_886
.LBB190_876:
	s_sext_i32_i16 s22, s15
	s_cmp_lt_i32 s22, 6
	s_cbranch_scc1 .LBB190_879
; %bb.877:
	s_cmp_gt_i32 s22, 6
	s_cbranch_scc0 .LBB190_880
; %bb.878:
	global_load_dwordx2 v[3:4], v[0:1], off
	s_movk_i32 s22, 0x1ff
	s_movk_i32 s23, 0xffe
	v_mov_b32_e32 v5, 0x7c00
	v_mov_b32_e32 v6, 0x7e00
	s_movk_i32 s24, 0x40f
	s_mov_b32 s25, 0x8000
	s_waitcnt vmcnt(0)
	v_and_or_b32 v3, v4, s22, v3
	v_cmp_ne_u32_e32 vcc, 0, v3
	v_lshrrev_b32_e32 v7, 8, v4
	v_bfe_u32 v8, v4, 20, 11
	v_cndmask_b32_e64 v3, 0, 1, vcc
	v_sub_u32_e32 v9, 0x3f1, v8
	v_and_or_b32 v3, v7, s23, v3
	v_add_u32_e32 v8, 0xfffffc10, v8
	v_med3_i32 v7, v9, 0, 13
	v_or_b32_e32 v9, 0x1000, v3
	v_cmp_ne_u32_e32 vcc, 0, v3
	v_lshl_or_b32 v10, v8, 12, v3
	v_cndmask_b32_e32 v3, v5, v6, vcc
	v_lshrrev_b32_e32 v6, v7, v9
	v_lshlrev_b32_e32 v7, v7, v6
	v_cmp_ne_u32_e32 vcc, v7, v9
	v_cndmask_b32_e64 v7, 0, 1, vcc
	v_or_b32_e32 v6, v6, v7
	v_cmp_gt_i32_e32 vcc, 1, v8
	v_cndmask_b32_e32 v6, v10, v6, vcc
	v_and_b32_e32 v7, 7, v6
	v_cmp_lt_i32_e32 vcc, 5, v7
	v_cndmask_b32_e64 v9, 0, 1, vcc
	v_cmp_eq_u32_e32 vcc, 3, v7
	v_cndmask_b32_e64 v7, 0, 1, vcc
	v_lshrrev_b32_e32 v6, 2, v6
	v_or_b32_e32 v7, v7, v9
	v_add_u32_e32 v6, v6, v7
	v_cmp_gt_i32_e32 vcc, 31, v8
	v_cndmask_b32_e32 v5, v5, v6, vcc
	v_cmp_eq_u32_e32 vcc, s24, v8
	v_lshrrev_b32_e32 v4, 16, v4
	v_cndmask_b32_e32 v3, v5, v3, vcc
	v_and_or_b32 v3, v4, s25, v3
	s_mov_b64 s[22:23], 0
	s_branch .LBB190_881
.LBB190_879:
	s_mov_b64 s[22:23], -1
                                        ; implicit-def: $vgpr3
	s_branch .LBB190_884
.LBB190_880:
	s_mov_b64 s[22:23], -1
                                        ; implicit-def: $vgpr3
.LBB190_881:
	s_andn2_b64 vcc, exec, s[22:23]
	s_cbranch_vccnz .LBB190_883
; %bb.882:
	global_load_dword v3, v[0:1], off
	s_waitcnt vmcnt(0)
	v_cvt_f16_f32_e32 v3, v3
.LBB190_883:
	s_mov_b64 s[22:23], 0
.LBB190_884:
	s_andn2_b64 vcc, exec, s[22:23]
	s_cbranch_vccnz .LBB190_886
; %bb.885:
	global_load_ushort v3, v[0:1], off
.LBB190_886:
	s_cbranch_execnz .LBB190_905
.LBB190_887:
	s_sext_i32_i16 s22, s15
	s_cmp_lt_i32 s22, 2
	s_cbranch_scc1 .LBB190_891
; %bb.888:
	s_cmp_lt_i32 s22, 3
	s_cbranch_scc1 .LBB190_892
; %bb.889:
	s_cmp_gt_i32 s22, 3
	s_cbranch_scc0 .LBB190_893
; %bb.890:
	global_load_dwordx2 v[3:4], v[0:1], off
	s_mov_b64 s[22:23], 0
	s_waitcnt vmcnt(0)
	v_xor_b32_e32 v6, v3, v4
	v_ffbh_i32_e32 v5, v4
	v_ashrrev_i32_e32 v6, 31, v6
	v_add_u32_e32 v5, -1, v5
	v_add_u32_e32 v6, 32, v6
	v_min_u32_e32 v5, v5, v6
	v_lshlrev_b64 v[3:4], v5, v[3:4]
	v_min_u32_e32 v3, 1, v3
	v_or_b32_e32 v3, v4, v3
	v_cvt_f32_i32_e32 v3, v3
	v_sub_u32_e32 v4, 32, v5
	v_ldexp_f32 v3, v3, v4
	v_cvt_f16_f32_e32 v3, v3
	s_branch .LBB190_894
.LBB190_891:
                                        ; implicit-def: $vgpr3
	s_branch .LBB190_900
.LBB190_892:
	s_mov_b64 s[22:23], -1
                                        ; implicit-def: $vgpr3
	s_branch .LBB190_897
.LBB190_893:
	s_mov_b64 s[22:23], -1
                                        ; implicit-def: $vgpr3
.LBB190_894:
	s_andn2_b64 vcc, exec, s[22:23]
	s_cbranch_vccnz .LBB190_896
; %bb.895:
	global_load_dword v3, v[0:1], off
	s_waitcnt vmcnt(0)
	v_cvt_f32_i32_e32 v3, v3
	v_cvt_f16_f32_e32 v3, v3
.LBB190_896:
	s_mov_b64 s[22:23], 0
.LBB190_897:
	s_andn2_b64 vcc, exec, s[22:23]
	s_cbranch_vccnz .LBB190_899
; %bb.898:
	global_load_ushort v3, v[0:1], off
	s_waitcnt vmcnt(0)
	v_cvt_f16_i16_e32 v3, v3
.LBB190_899:
	s_cbranch_execnz .LBB190_905
.LBB190_900:
	s_sext_i32_i16 s22, s15
	s_cmp_gt_i32 s22, 0
	s_cbranch_scc0 .LBB190_902
; %bb.901:
	global_load_sbyte v3, v[0:1], off
	s_mov_b64 s[22:23], 0
	s_waitcnt vmcnt(0)
	v_cvt_f16_i16_e32 v3, v3
	s_branch .LBB190_903
.LBB190_902:
	s_mov_b64 s[22:23], -1
                                        ; implicit-def: $vgpr3
.LBB190_903:
	s_andn2_b64 vcc, exec, s[22:23]
	s_cbranch_vccnz .LBB190_905
; %bb.904:
	global_load_ubyte v0, v[0:1], off
	s_waitcnt vmcnt(0)
	v_cvt_f16_u16_e32 v3, v0
.LBB190_905:
	s_or_b64 s[30:31], s[30:31], exec
.LBB190_906:
	s_or_b64 exec, exec, s[4:5]
	s_mov_b64 s[26:27], 0
	s_mov_b64 s[24:25], 0
                                        ; implicit-def: $sgpr4_sgpr5
                                        ; implicit-def: $sgpr33
                                        ; implicit-def: $vgpr0_vgpr1
	s_and_saveexec_b64 s[22:23], s[30:31]
	s_cbranch_execz .LBB190_981
; %bb.907:
	s_waitcnt vmcnt(0)
	v_cmp_eq_f16_e32 vcc, s16, v3
	v_cndmask_b32_e64 v0, 0, 1, vcc
	v_cmp_neq_f16_e32 vcc, s16, v3
	v_mul_lo_u32 v2, v2, s12
	v_cndmask_b32_e64 v1, 0, 1, vcc
	v_cndmask_b32_e64 v0, v1, v0, s[0:1]
	v_and_b32_e32 v0, 1, v0
	v_cmp_eq_u32_e64 s[4:5], 1, v0
	v_ashrrev_i32_e32 v1, 31, v2
	v_mov_b32_e32 v3, s9
	s_and_b32 s33, s17, 0xff
	v_add_co_u32_e32 v0, vcc, s8, v2
	s_cmp_lt_i32 s33, 11
	v_addc_co_u32_e32 v1, vcc, v3, v1, vcc
	s_cbranch_scc1 .LBB190_984
; %bb.908:
	s_and_b32 s34, 0xffff, s33
	s_mov_b64 s[26:27], -1
	s_cmp_gt_i32 s34, 25
	s_mov_b64 s[0:1], s[20:21]
	s_cbranch_scc0 .LBB190_941
; %bb.909:
	s_mov_b64 s[24:25], -1
	s_cmp_gt_i32 s34, 28
	s_mov_b64 s[0:1], s[20:21]
	s_cbranch_scc0 .LBB190_925
; %bb.910:
	s_cmp_gt_i32 s34, 43
	s_mov_b64 s[0:1], s[20:21]
	s_cbranch_scc0 .LBB190_921
; %bb.911:
	;; [unrolled: 4-line block ×3, first 2 shown]
	s_cmp_eq_u32 s34, 46
	s_mov_b64 s[0:1], -1
	s_cbranch_scc0 .LBB190_914
; %bb.913:
	v_cndmask_b32_e64 v2, 0, 1.0, s[4:5]
	v_bfe_u32 v3, v2, 16, 1
	s_movk_i32 s0, 0x7fff
	v_add3_u32 v2, v2, v3, s0
	v_lshrrev_b32_e32 v2, 16, v2
	global_store_dword v[0:1], v2, off
	s_mov_b64 s[0:1], 0
.LBB190_914:
	s_mov_b64 s[24:25], 0
.LBB190_915:
	s_and_b64 vcc, exec, s[24:25]
	s_cbranch_vccz .LBB190_920
; %bb.916:
	s_cmp_eq_u32 s34, 44
	s_mov_b64 s[0:1], -1
	s_cbranch_scc0 .LBB190_920
; %bb.917:
	v_cndmask_b32_e64 v3, 0, 1.0, s[4:5]
	v_lshrrev_b32_e32 v2, 23, v3
	s_movk_i32 s0, 0xff
	v_cmp_ne_u32_e32 vcc, s0, v2
	v_mov_b32_e32 v4, 0xff
	s_and_saveexec_b64 s[24:25], vcc
; %bb.918:
	s_mov_b32 s0, 0x3fffff
	v_and_b32_e32 v4, 0x400000, v3
	v_and_or_b32 v3, v3, s0, v2
	v_cmp_ne_u32_e32 vcc, 0, v4
	v_cmp_ne_u32_e64 s[0:1], 0, v3
	s_and_b64 s[0:1], vcc, s[0:1]
	v_cndmask_b32_e64 v3, 0, 1, s[0:1]
	v_add_u32_e32 v4, v2, v3
; %bb.919:
	s_or_b64 exec, exec, s[24:25]
	s_mov_b64 s[0:1], 0
	global_store_byte v[0:1], v4, off
.LBB190_920:
	s_mov_b64 s[24:25], 0
.LBB190_921:
	s_and_b64 vcc, exec, s[24:25]
	s_cbranch_vccz .LBB190_924
; %bb.922:
	s_cmp_eq_u32 s34, 29
	s_mov_b64 s[0:1], -1
	s_cbranch_scc0 .LBB190_924
; %bb.923:
	s_mov_b32 s0, 0
	v_cndmask_b32_e64 v2, 0, 1, s[4:5]
	v_mov_b32_e32 v3, s0
	global_store_dwordx2 v[0:1], v[2:3], off
	s_mov_b64 s[0:1], 0
.LBB190_924:
	s_mov_b64 s[24:25], 0
.LBB190_925:
	s_and_b64 vcc, exec, s[24:25]
	s_cbranch_vccz .LBB190_940
; %bb.926:
	s_cmp_lt_i32 s34, 27
	s_mov_b64 s[24:25], -1
	s_cbranch_scc1 .LBB190_932
; %bb.927:
	s_cmp_gt_i32 s34, 27
	v_cndmask_b32_e64 v2, 0, 1, s[4:5]
	s_cbranch_scc0 .LBB190_929
; %bb.928:
	s_mov_b64 s[24:25], 0
	global_store_dword v[0:1], v2, off
.LBB190_929:
	s_andn2_b64 vcc, exec, s[24:25]
	s_cbranch_vccnz .LBB190_931
; %bb.930:
	global_store_short v[0:1], v2, off
.LBB190_931:
	s_mov_b64 s[24:25], 0
.LBB190_932:
	s_andn2_b64 vcc, exec, s[24:25]
	s_cbranch_vccnz .LBB190_940
; %bb.933:
	v_cndmask_b32_e64 v3, 0, 1.0, s[4:5]
	s_mov_b32 s24, 0x43800000
	v_cmp_gt_u32_e32 vcc, s24, v3
	v_mov_b32_e32 v4, 0x80
	s_and_saveexec_b64 s[24:25], vcc
	s_cbranch_execz .LBB190_939
; %bb.934:
	s_mov_b32 s26, 0x3bffffff
	v_cmp_lt_u32_e32 vcc, s26, v3
	s_mov_b64 s[26:27], 0
                                        ; implicit-def: $vgpr2
	s_and_saveexec_b64 s[28:29], vcc
	s_xor_b64 s[28:29], exec, s[28:29]
	s_cbranch_execz .LBB190_1041
; %bb.935:
	v_bfe_u32 v2, v3, 20, 1
	s_mov_b32 s30, 0x487ffff
	v_add3_u32 v2, v3, v2, s30
	s_mov_b64 s[26:27], exec
	v_lshrrev_b32_e32 v2, 20, v2
                                        ; implicit-def: $vgpr3
	s_andn2_saveexec_b64 s[28:29], s[28:29]
	s_cbranch_execnz .LBB190_1042
.LBB190_936:
	s_or_b64 exec, exec, s[28:29]
	v_mov_b32_e32 v4, 0
	s_and_saveexec_b64 s[28:29], s[26:27]
.LBB190_937:
	v_mov_b32_e32 v4, v2
.LBB190_938:
	s_or_b64 exec, exec, s[28:29]
.LBB190_939:
	s_or_b64 exec, exec, s[24:25]
	global_store_byte v[0:1], v4, off
.LBB190_940:
	s_mov_b64 s[26:27], 0
.LBB190_941:
	s_mov_b64 s[24:25], 0
	s_and_b64 vcc, exec, s[26:27]
	s_cbranch_vccz .LBB190_985
; %bb.942:
	s_cmp_gt_i32 s34, 22
	s_mov_b64 s[26:27], -1
	s_cbranch_scc0 .LBB190_974
; %bb.943:
	s_cmp_lt_i32 s34, 24
	s_cbranch_scc1 .LBB190_963
; %bb.944:
	s_cmp_gt_i32 s34, 24
	s_cbranch_scc0 .LBB190_952
; %bb.945:
	v_cndmask_b32_e64 v3, 0, 1.0, s[4:5]
	s_mov_b32 s26, 0x47800000
	v_cmp_gt_u32_e32 vcc, s26, v3
	v_mov_b32_e32 v4, 0x80
	s_and_saveexec_b64 s[26:27], vcc
	s_cbranch_execz .LBB190_951
; %bb.946:
	s_mov_b32 s28, 0x37ffffff
	v_cmp_lt_u32_e32 vcc, s28, v3
	s_mov_b64 s[28:29], 0
                                        ; implicit-def: $vgpr2
	s_and_saveexec_b64 s[30:31], vcc
	s_xor_b64 s[30:31], exec, s[30:31]
	s_cbranch_execz .LBB190_1166
; %bb.947:
	v_bfe_u32 v2, v3, 21, 1
	s_mov_b32 s35, 0x88fffff
	v_add3_u32 v2, v3, v2, s35
	s_mov_b64 s[28:29], exec
	v_lshrrev_b32_e32 v2, 21, v2
                                        ; implicit-def: $vgpr3
	s_andn2_saveexec_b64 s[30:31], s[30:31]
	s_cbranch_execnz .LBB190_1167
.LBB190_948:
	s_or_b64 exec, exec, s[30:31]
	v_mov_b32_e32 v4, 0
	s_and_saveexec_b64 s[30:31], s[28:29]
.LBB190_949:
	v_mov_b32_e32 v4, v2
.LBB190_950:
	s_or_b64 exec, exec, s[30:31]
.LBB190_951:
	s_or_b64 exec, exec, s[26:27]
	s_mov_b64 s[26:27], 0
	global_store_byte v[0:1], v4, off
.LBB190_952:
	s_and_b64 vcc, exec, s[26:27]
	s_cbranch_vccz .LBB190_962
; %bb.953:
	v_cndmask_b32_e64 v2, 0, 1.0, s[4:5]
	s_mov_b32 s26, 0x43f00000
	v_cmp_gt_u32_e32 vcc, s26, v2
                                        ; implicit-def: $vgpr3
	s_and_saveexec_b64 s[26:27], vcc
	s_xor_b64 s[26:27], exec, s[26:27]
	s_cbranch_execz .LBB190_959
; %bb.954:
	s_mov_b32 s28, 0x3c7fffff
	v_cmp_lt_u32_e32 vcc, s28, v2
                                        ; implicit-def: $vgpr3
	s_and_saveexec_b64 s[28:29], vcc
	s_xor_b64 s[28:29], exec, s[28:29]
; %bb.955:
	v_bfe_u32 v3, v2, 20, 1
	s_mov_b32 s30, 0x407ffff
	v_add3_u32 v2, v2, v3, s30
	v_lshrrev_b32_e32 v3, 20, v2
	v_and_b32_e32 v2, 0xff00000, v2
	s_mov_b32 s30, 0x7f00000
	v_mov_b32_e32 v4, 0x7e
	v_cmp_ne_u32_e32 vcc, s30, v2
	v_cndmask_b32_e32 v3, v4, v3, vcc
                                        ; implicit-def: $vgpr2
; %bb.956:
	s_andn2_saveexec_b64 s[28:29], s[28:29]
; %bb.957:
	v_add_f32_e32 v3, 0x46800000, v2
; %bb.958:
	s_or_b64 exec, exec, s[28:29]
                                        ; implicit-def: $vgpr2
.LBB190_959:
	s_andn2_saveexec_b64 s[26:27], s[26:27]
; %bb.960:
	s_mov_b32 s28, 0x7f800000
	v_mov_b32_e32 v3, 0x7e
	v_mov_b32_e32 v4, 0x7f
	v_cmp_lt_u32_e32 vcc, s28, v2
	v_cndmask_b32_e32 v3, v3, v4, vcc
; %bb.961:
	s_or_b64 exec, exec, s[26:27]
	global_store_byte v[0:1], v3, off
.LBB190_962:
	s_mov_b64 s[26:27], 0
.LBB190_963:
	s_andn2_b64 vcc, exec, s[26:27]
	s_cbranch_vccnz .LBB190_973
; %bb.964:
	v_cndmask_b32_e64 v2, 0, 1.0, s[4:5]
	s_mov_b32 s26, 0x47800000
	v_cmp_gt_u32_e32 vcc, s26, v2
                                        ; implicit-def: $vgpr3
	s_and_saveexec_b64 s[26:27], vcc
	s_xor_b64 s[26:27], exec, s[26:27]
	s_cbranch_execz .LBB190_970
; %bb.965:
	s_mov_b32 s28, 0x387fffff
	v_cmp_lt_u32_e32 vcc, s28, v2
                                        ; implicit-def: $vgpr3
	s_and_saveexec_b64 s[28:29], vcc
	s_xor_b64 s[28:29], exec, s[28:29]
; %bb.966:
	v_bfe_u32 v3, v2, 21, 1
	s_mov_b32 s30, 0x80fffff
	v_add3_u32 v2, v2, v3, s30
	v_lshrrev_b32_e32 v3, 21, v2
                                        ; implicit-def: $vgpr2
; %bb.967:
	s_andn2_saveexec_b64 s[28:29], s[28:29]
; %bb.968:
	v_add_f32_e32 v3, 0x43000000, v2
; %bb.969:
	s_or_b64 exec, exec, s[28:29]
                                        ; implicit-def: $vgpr2
.LBB190_970:
	s_andn2_saveexec_b64 s[26:27], s[26:27]
; %bb.971:
	s_mov_b32 s28, 0x7f800000
	v_mov_b32_e32 v3, 0x7c
	v_mov_b32_e32 v4, 0x7f
	v_cmp_lt_u32_e32 vcc, s28, v2
	v_cndmask_b32_e32 v3, v3, v4, vcc
; %bb.972:
	s_or_b64 exec, exec, s[26:27]
	global_store_byte v[0:1], v3, off
.LBB190_973:
	s_mov_b64 s[26:27], 0
.LBB190_974:
	s_andn2_b64 vcc, exec, s[26:27]
	s_mov_b64 s[26:27], 0
	s_cbranch_vccnz .LBB190_986
; %bb.975:
	s_cmp_gt_i32 s34, 14
	s_mov_b64 s[28:29], -1
	s_cbranch_scc0 .LBB190_979
; %bb.976:
	s_cmp_eq_u32 s34, 15
	s_mov_b64 s[0:1], -1
	s_cbranch_scc0 .LBB190_978
; %bb.977:
	v_cndmask_b32_e64 v2, 0, 1.0, s[4:5]
	v_bfe_u32 v3, v2, 16, 1
	s_movk_i32 s0, 0x7fff
	v_add3_u32 v2, v2, v3, s0
	global_store_short_d16_hi v[0:1], v2, off
	s_mov_b64 s[0:1], 0
.LBB190_978:
	s_mov_b64 s[28:29], 0
.LBB190_979:
	s_and_b64 vcc, exec, s[28:29]
	s_cbranch_vccz .LBB190_986
; %bb.980:
	s_cmp_lg_u32 s34, 11
	s_cselect_b64 s[28:29], -1, 0
	s_andn2_b64 s[0:1], s[0:1], exec
	s_and_b64 s[28:29], s[28:29], exec
	s_mov_b64 s[26:27], -1
	s_or_b64 s[0:1], s[0:1], s[28:29]
	s_branch .LBB190_986
.LBB190_981:
	s_or_b64 exec, exec, s[22:23]
	s_and_saveexec_b64 s[0:1], s[20:21]
	s_cbranch_execnz .LBB190_987
.LBB190_982:
	s_or_b64 exec, exec, s[0:1]
	s_and_saveexec_b64 s[0:1], s[26:27]
	s_xor_b64 s[0:1], exec, s[0:1]
	s_cbranch_execz .LBB190_988
.LBB190_983:
	v_cndmask_b32_e64 v2, 0, 1, s[4:5]
	global_store_byte v[0:1], v2, off
	s_or_b64 exec, exec, s[0:1]
	s_and_saveexec_b64 s[0:1], s[24:25]
	s_xor_b64 s[0:1], exec, s[0:1]
	s_cbranch_execz .LBB190_1026
	s_branch .LBB190_989
.LBB190_984:
	s_mov_b64 s[24:25], -1
	s_mov_b64 s[0:1], s[20:21]
	s_branch .LBB190_986
.LBB190_985:
	s_mov_b64 s[26:27], 0
.LBB190_986:
	s_andn2_b64 s[20:21], s[20:21], exec
	s_and_b64 s[0:1], s[0:1], exec
	s_and_b64 s[24:25], s[24:25], exec
	;; [unrolled: 1-line block ×3, first 2 shown]
	s_or_b64 s[20:21], s[20:21], s[0:1]
	s_or_b64 exec, exec, s[22:23]
	s_and_saveexec_b64 s[0:1], s[20:21]
	s_cbranch_execz .LBB190_982
.LBB190_987:
	s_or_b64 s[2:3], s[2:3], exec
	s_andn2_b64 s[26:27], s[26:27], exec
	s_trap 2
	s_or_b64 exec, exec, s[0:1]
	s_and_saveexec_b64 s[0:1], s[26:27]
	s_xor_b64 s[0:1], exec, s[0:1]
	s_cbranch_execnz .LBB190_983
.LBB190_988:
	s_or_b64 exec, exec, s[0:1]
	s_and_saveexec_b64 s[0:1], s[24:25]
	s_xor_b64 s[0:1], exec, s[0:1]
	s_cbranch_execz .LBB190_1026
.LBB190_989:
	s_sext_i32_i16 s22, s33
	s_cmp_lt_i32 s22, 5
	s_mov_b64 s[20:21], -1
	s_cbranch_scc1 .LBB190_1010
; %bb.990:
	s_cmp_lt_i32 s22, 8
	s_cbranch_scc1 .LBB190_1000
; %bb.991:
	s_cmp_lt_i32 s22, 9
	s_cbranch_scc1 .LBB190_997
; %bb.992:
	s_cmp_gt_i32 s22, 9
	s_cbranch_scc0 .LBB190_994
; %bb.993:
	v_cndmask_b32_e64 v2, 0, 1, s[4:5]
	s_waitcnt vmcnt(0)
	v_cvt_f64_u32_e32 v[2:3], v2
	v_mov_b32_e32 v4, 0
	v_mov_b32_e32 v5, v4
	s_mov_b64 s[20:21], 0
	global_store_dwordx4 v[0:1], v[2:5], off
.LBB190_994:
	s_andn2_b64 vcc, exec, s[20:21]
	s_cbranch_vccnz .LBB190_996
; %bb.995:
	v_cndmask_b32_e64 v2, 0, 1.0, s[4:5]
	s_waitcnt vmcnt(0)
	v_mov_b32_e32 v3, 0
	global_store_dwordx2 v[0:1], v[2:3], off
.LBB190_996:
	s_mov_b64 s[20:21], 0
.LBB190_997:
	s_andn2_b64 vcc, exec, s[20:21]
	s_cbranch_vccnz .LBB190_999
; %bb.998:
	v_cndmask_b32_e64 v2, 0, 1.0, s[4:5]
	v_cvt_f16_f32_e32 v2, v2
	global_store_dword v[0:1], v2, off
.LBB190_999:
	s_mov_b64 s[20:21], 0
.LBB190_1000:
	s_andn2_b64 vcc, exec, s[20:21]
	s_cbranch_vccnz .LBB190_1009
; %bb.1001:
	s_sext_i32_i16 s22, s33
	s_cmp_lt_i32 s22, 6
	s_mov_b64 s[20:21], -1
	s_cbranch_scc1 .LBB190_1007
; %bb.1002:
	s_cmp_gt_i32 s22, 6
	s_cbranch_scc0 .LBB190_1004
; %bb.1003:
	v_cndmask_b32_e64 v2, 0, 1, s[4:5]
	s_waitcnt vmcnt(0)
	v_cvt_f64_u32_e32 v[2:3], v2
	s_mov_b64 s[20:21], 0
	global_store_dwordx2 v[0:1], v[2:3], off
.LBB190_1004:
	s_andn2_b64 vcc, exec, s[20:21]
	s_cbranch_vccnz .LBB190_1006
; %bb.1005:
	v_cndmask_b32_e64 v2, 0, 1.0, s[4:5]
	global_store_dword v[0:1], v2, off
.LBB190_1006:
	s_mov_b64 s[20:21], 0
.LBB190_1007:
	s_andn2_b64 vcc, exec, s[20:21]
	s_cbranch_vccnz .LBB190_1009
; %bb.1008:
	v_cndmask_b32_e64 v2, 0, 1.0, s[4:5]
	v_cvt_f16_f32_e32 v2, v2
	global_store_short v[0:1], v2, off
.LBB190_1009:
	s_mov_b64 s[20:21], 0
.LBB190_1010:
	s_andn2_b64 vcc, exec, s[20:21]
	s_cbranch_vccnz .LBB190_1026
; %bb.1011:
	s_sext_i32_i16 s22, s33
	s_cmp_lt_i32 s22, 2
	s_mov_b64 s[20:21], -1
	s_cbranch_scc1 .LBB190_1021
; %bb.1012:
	s_cmp_lt_i32 s22, 3
	s_cbranch_scc1 .LBB190_1018
; %bb.1013:
	s_cmp_gt_i32 s22, 3
	s_cbranch_scc0 .LBB190_1015
; %bb.1014:
	s_mov_b32 s20, 0
	v_cndmask_b32_e64 v2, 0, 1, s[4:5]
	s_waitcnt vmcnt(0)
	v_mov_b32_e32 v3, s20
	s_mov_b64 s[20:21], 0
	global_store_dwordx2 v[0:1], v[2:3], off
.LBB190_1015:
	s_andn2_b64 vcc, exec, s[20:21]
	s_cbranch_vccnz .LBB190_1017
; %bb.1016:
	v_cndmask_b32_e64 v2, 0, 1, s[4:5]
	global_store_dword v[0:1], v2, off
.LBB190_1017:
	s_mov_b64 s[20:21], 0
.LBB190_1018:
	s_andn2_b64 vcc, exec, s[20:21]
	s_cbranch_vccnz .LBB190_1020
; %bb.1019:
	v_cndmask_b32_e64 v2, 0, 1, s[4:5]
	global_store_short v[0:1], v2, off
.LBB190_1020:
	s_mov_b64 s[20:21], 0
.LBB190_1021:
	s_andn2_b64 vcc, exec, s[20:21]
	s_cbranch_vccnz .LBB190_1026
; %bb.1022:
	s_sext_i32_i16 s22, s33
	s_mov_b64 s[20:21], -1
	s_cmp_gt_i32 s22, 0
	v_cndmask_b32_e64 v2, 0, 1, s[4:5]
	s_cbranch_scc0 .LBB190_1024
; %bb.1023:
	s_mov_b64 s[20:21], 0
	global_store_byte v[0:1], v2, off
.LBB190_1024:
	s_andn2_b64 vcc, exec, s[20:21]
	s_cbranch_vccnz .LBB190_1026
; %bb.1025:
	global_store_byte v[0:1], v2, off
.LBB190_1026:
	s_or_b64 exec, exec, s[0:1]
	s_and_b64 s[20:21], s[2:3], exec
                                        ; implicit-def: $vgpr2
.LBB190_1027:
	s_or_saveexec_b64 s[18:19], s[18:19]
	s_mov_b64 s[0:1], 0
                                        ; implicit-def: $sgpr2_sgpr3
                                        ; implicit-def: $sgpr26
                                        ; implicit-def: $vgpr0_vgpr1
	s_xor_b64 exec, exec, s[18:19]
	s_cbranch_execz .LBB190_1975
; %bb.1028:
	v_mul_lo_u32 v4, s13, v2
	v_mov_b32_e32 v1, s11
	s_and_b32 s15, 0xffff, s15
	s_cmp_lt_i32 s15, 11
	s_waitcnt vmcnt(0)
	v_ashrrev_i32_e32 v3, 31, v4
	v_add_co_u32_e32 v0, vcc, s10, v4
	v_addc_co_u32_e32 v1, vcc, v1, v3, vcc
	s_cbranch_scc1 .LBB190_1035
; %bb.1029:
	s_cmp_gt_i32 s15, 25
	s_mov_b64 s[2:3], 0
	s_cbranch_scc0 .LBB190_1037
; %bb.1030:
	s_cmp_gt_i32 s15, 28
	s_cbranch_scc0 .LBB190_1038
; %bb.1031:
	s_cmp_gt_i32 s15, 43
	;; [unrolled: 3-line block ×3, first 2 shown]
	s_cbranch_scc0 .LBB190_1040
; %bb.1033:
	s_cmp_eq_u32 s15, 46
	s_cbranch_scc0 .LBB190_1043
; %bb.1034:
	global_load_dword v3, v[0:1], off
	s_mov_b64 s[4:5], -1
	s_waitcnt vmcnt(0)
	v_lshlrev_b32_e32 v3, 16, v3
	v_cvt_f16_f32_e32 v3, v3
	s_branch .LBB190_1044
.LBB190_1035:
	s_mov_b64 s[4:5], 0
                                        ; implicit-def: $vgpr3
	s_mov_b64 s[22:23], s[20:21]
	s_cbranch_execnz .LBB190_1107
.LBB190_1036:
	s_andn2_b64 vcc, exec, s[4:5]
	s_cbranch_vccz .LBB190_1152
	s_branch .LBB190_1973
.LBB190_1037:
	s_mov_b64 s[4:5], 0
                                        ; implicit-def: $vgpr3
	s_cbranch_execnz .LBB190_1072
	s_branch .LBB190_1103
.LBB190_1038:
	s_mov_b64 s[6:7], -1
	s_mov_b64 s[4:5], 0
                                        ; implicit-def: $vgpr3
	s_branch .LBB190_1053
.LBB190_1039:
	s_mov_b64 s[4:5], 0
                                        ; implicit-def: $vgpr3
	s_cbranch_execnz .LBB190_1049
	s_branch .LBB190_1052
.LBB190_1040:
	s_mov_b64 s[6:7], -1
	s_mov_b64 s[4:5], 0
                                        ; implicit-def: $vgpr3
	s_branch .LBB190_1044
.LBB190_1041:
	s_andn2_saveexec_b64 s[28:29], s[28:29]
	s_cbranch_execz .LBB190_936
.LBB190_1042:
	v_add_f32_e32 v2, 0x46000000, v3
	v_and_b32_e32 v2, 0xff, v2
	v_cmp_ne_u32_e32 vcc, 0, v2
	s_andn2_b64 s[26:27], s[26:27], exec
	s_and_b64 s[30:31], vcc, exec
	s_or_b64 s[26:27], s[26:27], s[30:31]
	s_or_b64 exec, exec, s[28:29]
	v_mov_b32_e32 v4, 0
	s_and_saveexec_b64 s[28:29], s[26:27]
	s_cbranch_execnz .LBB190_937
	s_branch .LBB190_938
.LBB190_1043:
	s_mov_b64 s[0:1], -1
                                        ; implicit-def: $vgpr3
	s_mov_b64 s[4:5], 0
.LBB190_1044:
	s_and_b64 vcc, exec, s[6:7]
	s_cbranch_vccz .LBB190_1047
; %bb.1045:
	s_cmp_eq_u32 s15, 44
	s_cbranch_scc0 .LBB190_1048
; %bb.1046:
	global_load_ubyte v3, v[0:1], off
	s_movk_i32 s4, 0xff
	v_mov_b32_e32 v6, 0x7e00
	s_mov_b64 s[0:1], 0
	s_waitcnt vmcnt(0)
	v_lshlrev_b32_e32 v5, 23, v3
	v_cvt_f16_f32_e32 v5, v5
	v_cmp_ne_u32_e32 vcc, s4, v3
	s_mov_b64 s[4:5], -1
	v_cndmask_b32_e32 v5, v6, v5, vcc
	v_cmp_ne_u32_e32 vcc, 0, v3
	v_cndmask_b32_e32 v3, 0, v5, vcc
.LBB190_1047:
	s_branch .LBB190_1052
.LBB190_1048:
	s_mov_b64 s[0:1], -1
                                        ; implicit-def: $vgpr3
	s_branch .LBB190_1052
.LBB190_1049:
	s_cmp_eq_u32 s15, 29
	s_cbranch_scc0 .LBB190_1051
; %bb.1050:
	global_load_dwordx2 v[5:6], v[0:1], off
	s_mov_b64 s[0:1], 0
	s_mov_b64 s[4:5], -1
	s_mov_b64 s[6:7], 0
	s_waitcnt vmcnt(0)
	v_ffbh_u32_e32 v3, v6
	v_min_u32_e32 v3, 32, v3
	v_lshlrev_b64 v[5:6], v3, v[5:6]
	v_sub_u32_e32 v3, 32, v3
	v_min_u32_e32 v5, 1, v5
	v_or_b32_e32 v5, v6, v5
	v_cvt_f32_u32_e32 v5, v5
	v_ldexp_f32 v3, v5, v3
	v_cvt_f16_f32_e32 v3, v3
	s_branch .LBB190_1053
.LBB190_1051:
	s_mov_b64 s[0:1], -1
                                        ; implicit-def: $vgpr3
.LBB190_1052:
	s_mov_b64 s[6:7], 0
.LBB190_1053:
	s_and_b64 vcc, exec, s[6:7]
	s_cbranch_vccz .LBB190_1071
; %bb.1054:
	s_cmp_lt_i32 s15, 27
	s_cbranch_scc1 .LBB190_1057
; %bb.1055:
	s_cmp_gt_i32 s15, 27
	s_cbranch_scc0 .LBB190_1058
; %bb.1056:
	global_load_dword v3, v[0:1], off
	s_mov_b64 s[4:5], 0
	s_waitcnt vmcnt(0)
	v_cvt_f32_u32_e32 v3, v3
	v_cvt_f16_f32_e32 v3, v3
	s_branch .LBB190_1059
.LBB190_1057:
	s_mov_b64 s[4:5], -1
                                        ; implicit-def: $vgpr3
	s_branch .LBB190_1062
.LBB190_1058:
	s_mov_b64 s[4:5], -1
                                        ; implicit-def: $vgpr3
.LBB190_1059:
	s_andn2_b64 vcc, exec, s[4:5]
	s_cbranch_vccnz .LBB190_1061
; %bb.1060:
	global_load_ushort v3, v[0:1], off
	s_waitcnt vmcnt(0)
	v_cvt_f16_u16_e32 v3, v3
.LBB190_1061:
	s_mov_b64 s[4:5], 0
.LBB190_1062:
	s_andn2_b64 vcc, exec, s[4:5]
	s_cbranch_vccnz .LBB190_1070
; %bb.1063:
	global_load_ubyte v5, v[0:1], off
	s_movk_i32 s4, 0x7f
	s_waitcnt vmcnt(0)
	v_cmp_lt_i16_e32 vcc, s4, v5
	s_mov_b64 s[4:5], 0
	s_and_saveexec_b64 s[6:7], vcc
	s_xor_b64 s[6:7], exec, s[6:7]
	s_cbranch_execz .LBB190_1083
; %bb.1064:
	s_movk_i32 s4, 0x80
	v_cmp_eq_u16_e32 vcc, s4, v5
	s_mov_b64 s[4:5], -1
	s_and_saveexec_b64 s[22:23], vcc
; %bb.1065:
	s_xor_b64 s[4:5], exec, -1
; %bb.1066:
	s_or_b64 exec, exec, s[22:23]
	s_and_b64 s[4:5], s[4:5], exec
	s_or_saveexec_b64 s[6:7], s[6:7]
	v_mov_b32_e32 v3, 0x7e00
	s_xor_b64 exec, exec, s[6:7]
	s_cbranch_execnz .LBB190_1084
.LBB190_1067:
	s_or_b64 exec, exec, s[6:7]
	s_and_saveexec_b64 s[6:7], s[4:5]
	s_cbranch_execz .LBB190_1069
.LBB190_1068:
	v_lshlrev_b32_e32 v3, 24, v5
	v_and_b32_e32 v5, 0xffff, v5
	v_and_b32_e32 v6, 7, v5
	v_ffbh_u32_e32 v8, v6
	v_min_u32_e32 v8, 32, v8
	v_subrev_u32_e32 v9, 28, v8
	v_bfe_u32 v7, v5, 3, 4
	v_lshlrev_b32_e32 v5, v9, v5
	v_sub_u32_e32 v8, 29, v8
	v_and_b32_e32 v5, 7, v5
	v_cmp_eq_u32_e32 vcc, 0, v7
	v_cndmask_b32_e32 v7, v7, v8, vcc
	v_cndmask_b32_e32 v5, v6, v5, vcc
	v_mov_b32_e32 v6, 0x3b800000
	v_lshlrev_b32_e32 v5, 20, v5
	v_and_b32_e32 v3, 0x80000000, v3
	v_lshl_add_u32 v6, v7, 23, v6
	v_or3_b32 v3, v3, v6, v5
	v_cvt_f16_f32_e32 v3, v3
.LBB190_1069:
	s_or_b64 exec, exec, s[6:7]
.LBB190_1070:
	s_mov_b64 s[4:5], -1
.LBB190_1071:
	s_branch .LBB190_1103
.LBB190_1072:
	s_cmp_gt_i32 s15, 22
	s_cbranch_scc0 .LBB190_1082
; %bb.1073:
	s_cmp_lt_i32 s15, 24
	s_cbranch_scc1 .LBB190_1085
; %bb.1074:
	s_cmp_gt_i32 s15, 24
	s_cbranch_scc0 .LBB190_1086
; %bb.1075:
	global_load_ubyte v5, v[0:1], off
	s_movk_i32 s2, 0x7f
	s_waitcnt vmcnt(0)
	v_cmp_lt_i16_e32 vcc, s2, v5
	s_mov_b64 s[2:3], 0
	s_and_saveexec_b64 s[4:5], vcc
	s_xor_b64 s[4:5], exec, s[4:5]
	s_cbranch_execz .LBB190_1097
; %bb.1076:
	s_movk_i32 s2, 0x80
	v_cmp_eq_u16_e32 vcc, s2, v5
	s_mov_b64 s[2:3], -1
	s_and_saveexec_b64 s[6:7], vcc
; %bb.1077:
	s_xor_b64 s[2:3], exec, -1
; %bb.1078:
	s_or_b64 exec, exec, s[6:7]
	s_and_b64 s[2:3], s[2:3], exec
	s_or_saveexec_b64 s[4:5], s[4:5]
	v_mov_b32_e32 v3, 0x7e00
	s_xor_b64 exec, exec, s[4:5]
	s_cbranch_execnz .LBB190_1098
.LBB190_1079:
	s_or_b64 exec, exec, s[4:5]
	s_and_saveexec_b64 s[4:5], s[2:3]
	s_cbranch_execz .LBB190_1081
.LBB190_1080:
	v_lshlrev_b32_e32 v3, 24, v5
	v_and_b32_e32 v5, 0xffff, v5
	v_and_b32_e32 v6, 3, v5
	v_ffbh_u32_e32 v8, v6
	v_min_u32_e32 v8, 32, v8
	v_subrev_u32_e32 v9, 29, v8
	v_bfe_u32 v7, v5, 2, 5
	v_lshlrev_b32_e32 v5, v9, v5
	v_sub_u32_e32 v8, 30, v8
	v_and_b32_e32 v5, 3, v5
	v_cmp_eq_u32_e32 vcc, 0, v7
	v_cndmask_b32_e32 v7, v7, v8, vcc
	v_cndmask_b32_e32 v5, v6, v5, vcc
	v_mov_b32_e32 v6, 0x37800000
	v_lshlrev_b32_e32 v5, 21, v5
	v_and_b32_e32 v3, 0x80000000, v3
	v_lshl_add_u32 v6, v7, 23, v6
	v_or3_b32 v3, v3, v6, v5
	v_cvt_f16_f32_e32 v3, v3
.LBB190_1081:
	s_or_b64 exec, exec, s[4:5]
	s_mov_b64 s[2:3], 0
	s_branch .LBB190_1087
.LBB190_1082:
                                        ; implicit-def: $vgpr3
	s_mov_b64 s[2:3], 0
	s_branch .LBB190_1093
.LBB190_1083:
	s_or_saveexec_b64 s[6:7], s[6:7]
	v_mov_b32_e32 v3, 0x7e00
	s_xor_b64 exec, exec, s[6:7]
	s_cbranch_execz .LBB190_1067
.LBB190_1084:
	v_cmp_ne_u16_e32 vcc, 0, v5
	s_andn2_b64 s[4:5], s[4:5], exec
	s_and_b64 s[22:23], vcc, exec
	s_or_b64 s[4:5], s[4:5], s[22:23]
	v_mov_b32_e32 v3, v5
	s_or_b64 exec, exec, s[6:7]
	s_and_saveexec_b64 s[6:7], s[4:5]
	s_cbranch_execnz .LBB190_1068
	s_branch .LBB190_1069
.LBB190_1085:
	s_mov_b64 s[2:3], -1
                                        ; implicit-def: $vgpr3
	s_branch .LBB190_1090
.LBB190_1086:
	s_mov_b64 s[2:3], -1
                                        ; implicit-def: $vgpr3
.LBB190_1087:
	s_and_b64 vcc, exec, s[2:3]
	s_cbranch_vccz .LBB190_1089
; %bb.1088:
	global_load_ubyte v3, v[0:1], off
	s_mov_b32 s2, 0x7f800000
	s_waitcnt vmcnt(0)
	v_lshlrev_b32_e32 v3, 24, v3
	v_and_b32_e32 v5, 0x7f000000, v3
	v_ffbh_u32_e32 v6, v5
	v_min_u32_e32 v6, 32, v6
	v_sub_u32_e64 v6, v6, 4 clamp
	v_lshlrev_b32_e32 v8, v6, v5
	v_lshlrev_b32_e32 v6, 23, v6
	v_lshrrev_b32_e32 v8, 4, v8
	v_add_u32_e32 v7, 0x1000000, v5
	v_sub_u32_e32 v6, v8, v6
	v_ashrrev_i32_e32 v7, 8, v7
	v_add_u32_e32 v6, 0x3c000000, v6
	v_and_or_b32 v6, v7, s2, v6
	v_cmp_ne_u32_e32 vcc, 0, v5
	v_cndmask_b32_e32 v5, 0, v6, vcc
	s_brev_b32 s2, 1
	v_and_or_b32 v3, v3, s2, v5
	v_cvt_f16_f32_e32 v3, v3
.LBB190_1089:
	s_mov_b64 s[2:3], 0
.LBB190_1090:
	s_andn2_b64 vcc, exec, s[2:3]
	s_cbranch_vccnz .LBB190_1092
; %bb.1091:
	global_load_ubyte v3, v[0:1], off
	s_movk_i32 s2, 0x7f00
	s_brev_b32 s3, 16
	s_waitcnt vmcnt(0)
	v_lshlrev_b16_e32 v5, 8, v3
	v_lshlrev_b32_e32 v3, 25, v3
	v_lshrrev_b32_e32 v6, 4, v3
	v_and_or_b32 v7, v5, s2, 0.5
	v_or_b32_e32 v6, 0x70000000, v6
	v_add_f32_e32 v7, -0.5, v7
	v_mul_f32_e32 v6, 0x7800000, v6
	v_cmp_gt_u32_e32 vcc, s3, v3
	v_bfe_i32 v5, v5, 0, 16
	v_cndmask_b32_e32 v3, v6, v7, vcc
	s_brev_b32 s2, 1
	v_and_or_b32 v3, v5, s2, v3
	v_cvt_f16_f32_e32 v3, v3
.LBB190_1092:
	s_mov_b64 s[4:5], -1
	s_mov_b64 s[2:3], 0
	s_cbranch_execnz .LBB190_1103
.LBB190_1093:
	s_cmp_gt_i32 s15, 14
	s_cbranch_scc0 .LBB190_1096
; %bb.1094:
	s_cmp_eq_u32 s15, 15
	s_cbranch_scc0 .LBB190_1099
; %bb.1095:
	global_load_ushort v3, v[0:1], off
	s_mov_b64 s[0:1], 0
	s_mov_b64 s[4:5], -1
	s_waitcnt vmcnt(0)
	v_lshlrev_b32_e32 v3, 16, v3
	v_cvt_f16_f32_e32 v3, v3
	s_branch .LBB190_1100
.LBB190_1096:
	s_mov_b64 s[6:7], -1
                                        ; implicit-def: $vgpr3
	s_branch .LBB190_1101
.LBB190_1097:
	s_or_saveexec_b64 s[4:5], s[4:5]
	v_mov_b32_e32 v3, 0x7e00
	s_xor_b64 exec, exec, s[4:5]
	s_cbranch_execz .LBB190_1079
.LBB190_1098:
	v_cmp_ne_u16_e32 vcc, 0, v5
	s_andn2_b64 s[2:3], s[2:3], exec
	s_and_b64 s[6:7], vcc, exec
	s_or_b64 s[2:3], s[2:3], s[6:7]
	v_mov_b32_e32 v3, v5
	s_or_b64 exec, exec, s[4:5]
	s_and_saveexec_b64 s[4:5], s[2:3]
	s_cbranch_execnz .LBB190_1080
	s_branch .LBB190_1081
.LBB190_1099:
	s_mov_b64 s[0:1], -1
                                        ; implicit-def: $vgpr3
.LBB190_1100:
	s_mov_b64 s[6:7], 0
.LBB190_1101:
	s_and_b64 vcc, exec, s[6:7]
	s_cbranch_vccz .LBB190_1103
; %bb.1102:
	s_cmp_lg_u32 s15, 11
	s_mov_b64 s[2:3], -1
	s_cselect_b64 s[0:1], -1, 0
.LBB190_1103:
	s_and_b64 vcc, exec, s[0:1]
	s_mov_b64 s[22:23], s[20:21]
	s_cbranch_vccnz .LBB190_1164
; %bb.1104:
	s_andn2_b64 vcc, exec, s[2:3]
	s_cbranch_vccnz .LBB190_1106
.LBB190_1105:
	global_load_ubyte v3, v[0:1], off
	v_mov_b32_e32 v5, 0x3c00
	s_mov_b64 s[4:5], -1
	s_waitcnt vmcnt(0)
	v_cmp_ne_u16_e32 vcc, 0, v3
	v_cndmask_b32_e32 v3, 0, v5, vcc
.LBB190_1106:
	s_branch .LBB190_1036
.LBB190_1107:
	s_cmp_lt_i32 s15, 5
	s_cbranch_scc1 .LBB190_1112
; %bb.1108:
	s_cmp_lt_i32 s15, 8
	s_cbranch_scc1 .LBB190_1113
; %bb.1109:
	;; [unrolled: 3-line block ×3, first 2 shown]
	s_cmp_gt_i32 s15, 9
	s_cbranch_scc0 .LBB190_1115
; %bb.1111:
	global_load_dwordx2 v[5:6], v[0:1], off
	s_movk_i32 s0, 0x1ff
	s_movk_i32 s1, 0xffe
	v_mov_b32_e32 v3, 0x7c00
	v_mov_b32_e32 v7, 0x7e00
	s_movk_i32 s2, 0x40f
	s_mov_b32 s3, 0x8000
	s_waitcnt vmcnt(0)
	v_and_or_b32 v5, v6, s0, v5
	v_cmp_ne_u32_e32 vcc, 0, v5
	v_lshrrev_b32_e32 v8, 8, v6
	v_bfe_u32 v9, v6, 20, 11
	v_cndmask_b32_e64 v5, 0, 1, vcc
	v_sub_u32_e32 v10, 0x3f1, v9
	v_and_or_b32 v5, v8, s1, v5
	v_add_u32_e32 v9, 0xfffffc10, v9
	v_med3_i32 v8, v10, 0, 13
	v_or_b32_e32 v10, 0x1000, v5
	v_cmp_ne_u32_e32 vcc, 0, v5
	v_lshl_or_b32 v11, v9, 12, v5
	v_cndmask_b32_e32 v5, v3, v7, vcc
	v_lshrrev_b32_e32 v7, v8, v10
	v_lshlrev_b32_e32 v8, v8, v7
	v_cmp_ne_u32_e32 vcc, v8, v10
	v_cndmask_b32_e64 v8, 0, 1, vcc
	v_or_b32_e32 v7, v7, v8
	v_cmp_gt_i32_e32 vcc, 1, v9
	v_cndmask_b32_e32 v7, v11, v7, vcc
	v_and_b32_e32 v8, 7, v7
	v_cmp_lt_i32_e32 vcc, 5, v8
	v_cndmask_b32_e64 v10, 0, 1, vcc
	v_cmp_eq_u32_e32 vcc, 3, v8
	v_cndmask_b32_e64 v8, 0, 1, vcc
	v_lshrrev_b32_e32 v7, 2, v7
	v_or_b32_e32 v8, v8, v10
	v_add_u32_e32 v7, v7, v8
	v_cmp_gt_i32_e32 vcc, 31, v9
	v_cndmask_b32_e32 v3, v3, v7, vcc
	v_cmp_eq_u32_e32 vcc, s2, v9
	v_lshrrev_b32_e32 v6, 16, v6
	v_cndmask_b32_e32 v3, v3, v5, vcc
	v_and_or_b32 v3, v6, s3, v3
	s_mov_b64 s[0:1], 0
	s_branch .LBB190_1116
.LBB190_1112:
                                        ; implicit-def: $vgpr3
	s_branch .LBB190_1133
.LBB190_1113:
                                        ; implicit-def: $vgpr3
	s_branch .LBB190_1122
.LBB190_1114:
	s_mov_b64 s[0:1], -1
                                        ; implicit-def: $vgpr3
	s_branch .LBB190_1119
.LBB190_1115:
	s_mov_b64 s[0:1], -1
                                        ; implicit-def: $vgpr3
.LBB190_1116:
	s_andn2_b64 vcc, exec, s[0:1]
	s_cbranch_vccnz .LBB190_1118
; %bb.1117:
	global_load_dword v3, v[0:1], off
	s_waitcnt vmcnt(0)
	v_cvt_f16_f32_e32 v3, v3
.LBB190_1118:
	s_mov_b64 s[0:1], 0
.LBB190_1119:
	s_andn2_b64 vcc, exec, s[0:1]
	s_cbranch_vccnz .LBB190_1121
; %bb.1120:
	global_load_dword v3, v[0:1], off
.LBB190_1121:
	s_cbranch_execnz .LBB190_1132
.LBB190_1122:
	s_cmp_lt_i32 s15, 6
	s_cbranch_scc1 .LBB190_1125
; %bb.1123:
	s_cmp_gt_i32 s15, 6
	s_cbranch_scc0 .LBB190_1126
; %bb.1124:
	global_load_dwordx2 v[5:6], v[0:1], off
	s_movk_i32 s0, 0x1ff
	s_movk_i32 s1, 0xffe
	s_waitcnt vmcnt(1)
	v_mov_b32_e32 v3, 0x7c00
	v_mov_b32_e32 v7, 0x7e00
	s_movk_i32 s2, 0x40f
	s_mov_b32 s3, 0x8000
	s_waitcnt vmcnt(0)
	v_and_or_b32 v5, v6, s0, v5
	v_cmp_ne_u32_e32 vcc, 0, v5
	v_lshrrev_b32_e32 v8, 8, v6
	v_bfe_u32 v9, v6, 20, 11
	v_cndmask_b32_e64 v5, 0, 1, vcc
	v_sub_u32_e32 v10, 0x3f1, v9
	v_and_or_b32 v5, v8, s1, v5
	v_add_u32_e32 v9, 0xfffffc10, v9
	v_med3_i32 v8, v10, 0, 13
	v_or_b32_e32 v10, 0x1000, v5
	v_cmp_ne_u32_e32 vcc, 0, v5
	v_lshl_or_b32 v11, v9, 12, v5
	v_cndmask_b32_e32 v5, v3, v7, vcc
	v_lshrrev_b32_e32 v7, v8, v10
	v_lshlrev_b32_e32 v8, v8, v7
	v_cmp_ne_u32_e32 vcc, v8, v10
	v_cndmask_b32_e64 v8, 0, 1, vcc
	v_or_b32_e32 v7, v7, v8
	v_cmp_gt_i32_e32 vcc, 1, v9
	v_cndmask_b32_e32 v7, v11, v7, vcc
	v_and_b32_e32 v8, 7, v7
	v_cmp_lt_i32_e32 vcc, 5, v8
	v_cndmask_b32_e64 v10, 0, 1, vcc
	v_cmp_eq_u32_e32 vcc, 3, v8
	v_cndmask_b32_e64 v8, 0, 1, vcc
	v_lshrrev_b32_e32 v7, 2, v7
	v_or_b32_e32 v8, v8, v10
	v_add_u32_e32 v7, v7, v8
	v_cmp_gt_i32_e32 vcc, 31, v9
	v_cndmask_b32_e32 v3, v3, v7, vcc
	v_cmp_eq_u32_e32 vcc, s2, v9
	v_lshrrev_b32_e32 v6, 16, v6
	v_cndmask_b32_e32 v3, v3, v5, vcc
	v_and_or_b32 v3, v6, s3, v3
	s_mov_b64 s[0:1], 0
	s_branch .LBB190_1127
.LBB190_1125:
	s_mov_b64 s[0:1], -1
                                        ; implicit-def: $vgpr3
	s_branch .LBB190_1130
.LBB190_1126:
	s_mov_b64 s[0:1], -1
                                        ; implicit-def: $vgpr3
.LBB190_1127:
	s_andn2_b64 vcc, exec, s[0:1]
	s_cbranch_vccnz .LBB190_1129
; %bb.1128:
	global_load_dword v3, v[0:1], off
	s_waitcnt vmcnt(0)
	v_cvt_f16_f32_e32 v3, v3
.LBB190_1129:
	s_mov_b64 s[0:1], 0
.LBB190_1130:
	s_andn2_b64 vcc, exec, s[0:1]
	s_cbranch_vccnz .LBB190_1132
; %bb.1131:
	global_load_ushort v3, v[0:1], off
.LBB190_1132:
	s_cbranch_execnz .LBB190_1151
.LBB190_1133:
	s_cmp_lt_i32 s15, 2
	s_cbranch_scc1 .LBB190_1137
; %bb.1134:
	s_cmp_lt_i32 s15, 3
	s_cbranch_scc1 .LBB190_1138
; %bb.1135:
	s_cmp_gt_i32 s15, 3
	s_cbranch_scc0 .LBB190_1139
; %bb.1136:
	global_load_dwordx2 v[5:6], v[0:1], off
	s_mov_b64 s[0:1], 0
	s_waitcnt vmcnt(0)
	v_xor_b32_e32 v7, v5, v6
	v_ffbh_i32_e32 v3, v6
	v_ashrrev_i32_e32 v7, 31, v7
	v_add_u32_e32 v3, -1, v3
	v_add_u32_e32 v7, 32, v7
	v_min_u32_e32 v3, v3, v7
	v_lshlrev_b64 v[5:6], v3, v[5:6]
	v_sub_u32_e32 v3, 32, v3
	v_min_u32_e32 v5, 1, v5
	v_or_b32_e32 v5, v6, v5
	v_cvt_f32_i32_e32 v5, v5
	v_ldexp_f32 v3, v5, v3
	v_cvt_f16_f32_e32 v3, v3
	s_branch .LBB190_1140
.LBB190_1137:
                                        ; implicit-def: $vgpr3
	s_branch .LBB190_1146
.LBB190_1138:
	s_mov_b64 s[0:1], -1
                                        ; implicit-def: $vgpr3
	s_branch .LBB190_1143
.LBB190_1139:
	s_mov_b64 s[0:1], -1
                                        ; implicit-def: $vgpr3
.LBB190_1140:
	s_andn2_b64 vcc, exec, s[0:1]
	s_cbranch_vccnz .LBB190_1142
; %bb.1141:
	global_load_dword v3, v[0:1], off
	s_waitcnt vmcnt(0)
	v_cvt_f32_i32_e32 v3, v3
	v_cvt_f16_f32_e32 v3, v3
.LBB190_1142:
	s_mov_b64 s[0:1], 0
.LBB190_1143:
	s_andn2_b64 vcc, exec, s[0:1]
	s_cbranch_vccnz .LBB190_1145
; %bb.1144:
	global_load_ushort v3, v[0:1], off
	s_waitcnt vmcnt(0)
	v_cvt_f16_i16_e32 v3, v3
.LBB190_1145:
	s_cbranch_execnz .LBB190_1151
.LBB190_1146:
	s_cmp_gt_i32 s15, 0
	s_cbranch_scc0 .LBB190_1148
; %bb.1147:
	global_load_sbyte v3, v[0:1], off
	s_mov_b64 s[0:1], 0
	s_waitcnt vmcnt(0)
	v_cvt_f16_i16_e32 v3, v3
	s_branch .LBB190_1149
.LBB190_1148:
	s_mov_b64 s[0:1], -1
                                        ; implicit-def: $vgpr3
.LBB190_1149:
	s_andn2_b64 vcc, exec, s[0:1]
	s_cbranch_vccnz .LBB190_1151
; %bb.1150:
	global_load_ubyte v0, v[0:1], off
	s_waitcnt vmcnt(0)
	v_cvt_f16_u16_e32 v3, v0
.LBB190_1151:
.LBB190_1152:
	s_lshl_b32 s13, s13, 7
	v_add_u32_e32 v5, s13, v4
	v_ashrrev_i32_e32 v1, 31, v5
	v_mov_b32_e32 v4, s11
	v_add_co_u32_e32 v0, vcc, s10, v5
	s_cmp_lt_i32 s15, 11
	v_addc_co_u32_e32 v1, vcc, v4, v1, vcc
	s_cbranch_scc1 .LBB190_1159
; %bb.1153:
	s_cmp_gt_i32 s15, 25
	s_mov_b64 s[2:3], 0
	s_cbranch_scc0 .LBB190_1161
; %bb.1154:
	s_cmp_gt_i32 s15, 28
	s_cbranch_scc0 .LBB190_1162
; %bb.1155:
	s_cmp_gt_i32 s15, 43
	;; [unrolled: 3-line block ×3, first 2 shown]
	s_cbranch_scc0 .LBB190_1165
; %bb.1157:
	s_cmp_eq_u32 s15, 46
	s_mov_b64 s[6:7], 0
	s_cbranch_scc0 .LBB190_1168
; %bb.1158:
	global_load_dword v4, v[0:1], off
	s_mov_b64 s[0:1], 0
	s_mov_b64 s[4:5], -1
	s_waitcnt vmcnt(0)
	v_lshlrev_b32_e32 v4, 16, v4
	v_cvt_f16_f32_e32 v4, v4
	s_branch .LBB190_1169
.LBB190_1159:
	s_mov_b64 s[4:5], 0
                                        ; implicit-def: $vgpr4
	s_cbranch_execnz .LBB190_1234
.LBB190_1160:
	s_andn2_b64 vcc, exec, s[4:5]
	s_cbranch_vccnz .LBB190_1973
	s_branch .LBB190_1281
.LBB190_1161:
	s_mov_b64 s[4:5], 0
	s_mov_b64 s[0:1], 0
                                        ; implicit-def: $vgpr4
	s_cbranch_execnz .LBB190_1198
	s_branch .LBB190_1230
.LBB190_1162:
	s_mov_b64 s[6:7], -1
	s_mov_b64 s[4:5], 0
	s_mov_b64 s[0:1], 0
                                        ; implicit-def: $vgpr4
	s_branch .LBB190_1179
.LBB190_1163:
	s_mov_b64 s[6:7], -1
	s_mov_b64 s[4:5], 0
	s_mov_b64 s[0:1], 0
                                        ; implicit-def: $vgpr4
	s_branch .LBB190_1174
.LBB190_1164:
	s_or_b64 s[22:23], s[20:21], exec
	s_trap 2
	s_cbranch_execz .LBB190_1105
	s_branch .LBB190_1106
.LBB190_1165:
	s_mov_b64 s[6:7], -1
	s_mov_b64 s[4:5], 0
	s_mov_b64 s[0:1], 0
                                        ; implicit-def: $vgpr4
	s_branch .LBB190_1169
.LBB190_1166:
	s_andn2_saveexec_b64 s[30:31], s[30:31]
	s_cbranch_execz .LBB190_948
.LBB190_1167:
	v_add_f32_e32 v2, 0x42800000, v3
	v_and_b32_e32 v2, 0xff, v2
	v_cmp_ne_u32_e32 vcc, 0, v2
	s_andn2_b64 s[28:29], s[28:29], exec
	s_and_b64 s[36:37], vcc, exec
	s_or_b64 s[28:29], s[28:29], s[36:37]
	s_or_b64 exec, exec, s[30:31]
	v_mov_b32_e32 v4, 0
	s_and_saveexec_b64 s[30:31], s[28:29]
	s_cbranch_execnz .LBB190_949
	s_branch .LBB190_950
.LBB190_1168:
	s_mov_b64 s[0:1], -1
                                        ; implicit-def: $vgpr4
	s_mov_b64 s[4:5], 0
.LBB190_1169:
	s_and_b64 vcc, exec, s[6:7]
	s_cbranch_vccz .LBB190_1173
; %bb.1170:
	s_cmp_eq_u32 s15, 44
	s_cbranch_scc0 .LBB190_1172
; %bb.1171:
	global_load_ubyte v4, v[0:1], off
	s_movk_i32 s4, 0xff
	v_mov_b32_e32 v7, 0x7e00
	s_mov_b64 s[0:1], 0
	s_waitcnt vmcnt(0)
	v_lshlrev_b32_e32 v6, 23, v4
	v_cvt_f16_f32_e32 v6, v6
	v_cmp_ne_u32_e32 vcc, s4, v4
	s_mov_b64 s[4:5], -1
	v_cndmask_b32_e32 v6, v7, v6, vcc
	v_cmp_ne_u32_e32 vcc, 0, v4
	v_cndmask_b32_e32 v4, 0, v6, vcc
	s_branch .LBB190_1173
.LBB190_1172:
	s_mov_b64 s[0:1], -1
                                        ; implicit-def: $vgpr4
.LBB190_1173:
	s_mov_b64 s[6:7], 0
.LBB190_1174:
	s_and_b64 vcc, exec, s[6:7]
	s_cbranch_vccz .LBB190_1178
; %bb.1175:
	s_cmp_eq_u32 s15, 29
	s_cbranch_scc0 .LBB190_1177
; %bb.1176:
	global_load_dwordx2 v[6:7], v[0:1], off
	s_mov_b64 s[0:1], 0
	s_mov_b64 s[4:5], -1
	s_mov_b64 s[6:7], 0
	s_waitcnt vmcnt(0)
	v_ffbh_u32_e32 v4, v7
	v_min_u32_e32 v4, 32, v4
	v_lshlrev_b64 v[6:7], v4, v[6:7]
	v_sub_u32_e32 v4, 32, v4
	v_min_u32_e32 v6, 1, v6
	v_or_b32_e32 v6, v7, v6
	v_cvt_f32_u32_e32 v6, v6
	v_ldexp_f32 v4, v6, v4
	v_cvt_f16_f32_e32 v4, v4
	s_branch .LBB190_1179
.LBB190_1177:
	s_mov_b64 s[0:1], -1
                                        ; implicit-def: $vgpr4
.LBB190_1178:
	s_mov_b64 s[6:7], 0
.LBB190_1179:
	s_and_b64 vcc, exec, s[6:7]
	s_cbranch_vccz .LBB190_1197
; %bb.1180:
	s_cmp_lt_i32 s15, 27
	s_cbranch_scc1 .LBB190_1183
; %bb.1181:
	s_cmp_gt_i32 s15, 27
	s_cbranch_scc0 .LBB190_1184
; %bb.1182:
	global_load_dword v4, v[0:1], off
	s_mov_b64 s[4:5], 0
	s_waitcnt vmcnt(0)
	v_cvt_f32_u32_e32 v4, v4
	v_cvt_f16_f32_e32 v4, v4
	s_branch .LBB190_1185
.LBB190_1183:
	s_mov_b64 s[4:5], -1
                                        ; implicit-def: $vgpr4
	s_branch .LBB190_1188
.LBB190_1184:
	s_mov_b64 s[4:5], -1
                                        ; implicit-def: $vgpr4
.LBB190_1185:
	s_andn2_b64 vcc, exec, s[4:5]
	s_cbranch_vccnz .LBB190_1187
; %bb.1186:
	global_load_ushort v4, v[0:1], off
	s_waitcnt vmcnt(0)
	v_cvt_f16_u16_e32 v4, v4
.LBB190_1187:
	s_mov_b64 s[4:5], 0
.LBB190_1188:
	s_andn2_b64 vcc, exec, s[4:5]
	s_cbranch_vccnz .LBB190_1196
; %bb.1189:
	global_load_ubyte v6, v[0:1], off
	s_movk_i32 s4, 0x7f
	s_waitcnt vmcnt(0)
	v_cmp_lt_i16_e32 vcc, s4, v6
	s_mov_b64 s[4:5], 0
	s_and_saveexec_b64 s[6:7], vcc
	s_xor_b64 s[6:7], exec, s[6:7]
	s_cbranch_execz .LBB190_1209
; %bb.1190:
	s_movk_i32 s4, 0x80
	v_cmp_eq_u16_e32 vcc, s4, v6
	s_mov_b64 s[4:5], -1
	s_and_saveexec_b64 s[24:25], vcc
; %bb.1191:
	s_xor_b64 s[4:5], exec, -1
; %bb.1192:
	s_or_b64 exec, exec, s[24:25]
	s_and_b64 s[4:5], s[4:5], exec
	s_or_saveexec_b64 s[6:7], s[6:7]
	v_mov_b32_e32 v4, 0x7e00
	s_xor_b64 exec, exec, s[6:7]
	s_cbranch_execnz .LBB190_1210
.LBB190_1193:
	s_or_b64 exec, exec, s[6:7]
	s_and_saveexec_b64 s[6:7], s[4:5]
	s_cbranch_execz .LBB190_1195
.LBB190_1194:
	v_lshlrev_b32_e32 v4, 24, v6
	v_and_b32_e32 v6, 0xffff, v6
	v_and_b32_e32 v7, 7, v6
	v_ffbh_u32_e32 v9, v7
	v_min_u32_e32 v9, 32, v9
	v_subrev_u32_e32 v10, 28, v9
	v_bfe_u32 v8, v6, 3, 4
	v_lshlrev_b32_e32 v6, v10, v6
	v_sub_u32_e32 v9, 29, v9
	v_and_b32_e32 v6, 7, v6
	v_cmp_eq_u32_e32 vcc, 0, v8
	v_cndmask_b32_e32 v8, v8, v9, vcc
	v_cndmask_b32_e32 v6, v7, v6, vcc
	v_mov_b32_e32 v7, 0x3b800000
	v_lshlrev_b32_e32 v6, 20, v6
	v_and_b32_e32 v4, 0x80000000, v4
	v_lshl_add_u32 v7, v8, 23, v7
	v_or3_b32 v4, v4, v7, v6
	v_cvt_f16_f32_e32 v4, v4
.LBB190_1195:
	s_or_b64 exec, exec, s[6:7]
.LBB190_1196:
	s_mov_b64 s[4:5], -1
.LBB190_1197:
	s_branch .LBB190_1230
.LBB190_1198:
	s_cmp_gt_i32 s15, 22
	s_cbranch_scc0 .LBB190_1208
; %bb.1199:
	s_cmp_lt_i32 s15, 24
	s_cbranch_scc1 .LBB190_1211
; %bb.1200:
	s_cmp_gt_i32 s15, 24
	s_cbranch_scc0 .LBB190_1212
; %bb.1201:
	global_load_ubyte v6, v[0:1], off
	s_movk_i32 s2, 0x7f
	s_waitcnt vmcnt(0)
	v_cmp_lt_i16_e32 vcc, s2, v6
	s_mov_b64 s[2:3], 0
	s_and_saveexec_b64 s[4:5], vcc
	s_xor_b64 s[4:5], exec, s[4:5]
	s_cbranch_execz .LBB190_1224
; %bb.1202:
	s_movk_i32 s2, 0x80
	v_cmp_eq_u16_e32 vcc, s2, v6
	s_mov_b64 s[2:3], -1
	s_and_saveexec_b64 s[6:7], vcc
; %bb.1203:
	s_xor_b64 s[2:3], exec, -1
; %bb.1204:
	s_or_b64 exec, exec, s[6:7]
	s_and_b64 s[2:3], s[2:3], exec
	s_or_saveexec_b64 s[4:5], s[4:5]
	v_mov_b32_e32 v4, 0x7e00
	s_xor_b64 exec, exec, s[4:5]
	s_cbranch_execnz .LBB190_1225
.LBB190_1205:
	s_or_b64 exec, exec, s[4:5]
	s_and_saveexec_b64 s[4:5], s[2:3]
	s_cbranch_execz .LBB190_1207
.LBB190_1206:
	v_lshlrev_b32_e32 v4, 24, v6
	v_and_b32_e32 v6, 0xffff, v6
	v_and_b32_e32 v7, 3, v6
	v_ffbh_u32_e32 v9, v7
	v_min_u32_e32 v9, 32, v9
	v_subrev_u32_e32 v10, 29, v9
	v_bfe_u32 v8, v6, 2, 5
	v_lshlrev_b32_e32 v6, v10, v6
	v_sub_u32_e32 v9, 30, v9
	v_and_b32_e32 v6, 3, v6
	v_cmp_eq_u32_e32 vcc, 0, v8
	v_cndmask_b32_e32 v8, v8, v9, vcc
	v_cndmask_b32_e32 v6, v7, v6, vcc
	v_mov_b32_e32 v7, 0x37800000
	v_lshlrev_b32_e32 v6, 21, v6
	v_and_b32_e32 v4, 0x80000000, v4
	v_lshl_add_u32 v7, v8, 23, v7
	v_or3_b32 v4, v4, v7, v6
	v_cvt_f16_f32_e32 v4, v4
.LBB190_1207:
	s_or_b64 exec, exec, s[4:5]
	s_mov_b64 s[2:3], 0
	s_branch .LBB190_1213
.LBB190_1208:
	s_mov_b64 s[2:3], -1
                                        ; implicit-def: $vgpr4
	s_branch .LBB190_1219
.LBB190_1209:
	s_or_saveexec_b64 s[6:7], s[6:7]
	v_mov_b32_e32 v4, 0x7e00
	s_xor_b64 exec, exec, s[6:7]
	s_cbranch_execz .LBB190_1193
.LBB190_1210:
	v_cmp_ne_u16_e32 vcc, 0, v6
	s_andn2_b64 s[4:5], s[4:5], exec
	s_and_b64 s[24:25], vcc, exec
	s_or_b64 s[4:5], s[4:5], s[24:25]
	v_mov_b32_e32 v4, v6
	s_or_b64 exec, exec, s[6:7]
	s_and_saveexec_b64 s[6:7], s[4:5]
	s_cbranch_execnz .LBB190_1194
	s_branch .LBB190_1195
.LBB190_1211:
	s_mov_b64 s[2:3], -1
                                        ; implicit-def: $vgpr4
	s_branch .LBB190_1216
.LBB190_1212:
	s_mov_b64 s[2:3], -1
                                        ; implicit-def: $vgpr4
.LBB190_1213:
	s_and_b64 vcc, exec, s[2:3]
	s_cbranch_vccz .LBB190_1215
; %bb.1214:
	global_load_ubyte v4, v[0:1], off
	s_mov_b32 s2, 0x7f800000
	s_waitcnt vmcnt(0)
	v_lshlrev_b32_e32 v4, 24, v4
	v_and_b32_e32 v6, 0x7f000000, v4
	v_ffbh_u32_e32 v7, v6
	v_min_u32_e32 v7, 32, v7
	v_sub_u32_e64 v7, v7, 4 clamp
	v_lshlrev_b32_e32 v9, v7, v6
	v_lshlrev_b32_e32 v7, 23, v7
	v_lshrrev_b32_e32 v9, 4, v9
	v_add_u32_e32 v8, 0x1000000, v6
	v_sub_u32_e32 v7, v9, v7
	v_ashrrev_i32_e32 v8, 8, v8
	v_add_u32_e32 v7, 0x3c000000, v7
	v_and_or_b32 v7, v8, s2, v7
	v_cmp_ne_u32_e32 vcc, 0, v6
	v_cndmask_b32_e32 v6, 0, v7, vcc
	s_brev_b32 s2, 1
	v_and_or_b32 v4, v4, s2, v6
	v_cvt_f16_f32_e32 v4, v4
.LBB190_1215:
	s_mov_b64 s[2:3], 0
.LBB190_1216:
	s_andn2_b64 vcc, exec, s[2:3]
	s_cbranch_vccnz .LBB190_1218
; %bb.1217:
	global_load_ubyte v4, v[0:1], off
	s_movk_i32 s2, 0x7f00
	s_brev_b32 s3, 16
	s_waitcnt vmcnt(0)
	v_lshlrev_b16_e32 v6, 8, v4
	v_lshlrev_b32_e32 v4, 25, v4
	v_lshrrev_b32_e32 v7, 4, v4
	v_and_or_b32 v8, v6, s2, 0.5
	v_or_b32_e32 v7, 0x70000000, v7
	v_add_f32_e32 v8, -0.5, v8
	v_mul_f32_e32 v7, 0x7800000, v7
	v_cmp_gt_u32_e32 vcc, s3, v4
	v_bfe_i32 v6, v6, 0, 16
	v_cndmask_b32_e32 v4, v7, v8, vcc
	s_brev_b32 s2, 1
	v_and_or_b32 v4, v6, s2, v4
	v_cvt_f16_f32_e32 v4, v4
.LBB190_1218:
	s_mov_b64 s[2:3], 0
	s_mov_b64 s[4:5], -1
.LBB190_1219:
	s_andn2_b64 vcc, exec, s[2:3]
	s_mov_b64 s[2:3], 0
	s_cbranch_vccnz .LBB190_1230
; %bb.1220:
	s_cmp_gt_i32 s15, 14
	s_cbranch_scc0 .LBB190_1223
; %bb.1221:
	s_cmp_eq_u32 s15, 15
	s_cbranch_scc0 .LBB190_1226
; %bb.1222:
	global_load_ushort v4, v[0:1], off
	s_mov_b64 s[0:1], 0
	s_mov_b64 s[4:5], -1
	s_waitcnt vmcnt(0)
	v_lshlrev_b32_e32 v4, 16, v4
	v_cvt_f16_f32_e32 v4, v4
	s_branch .LBB190_1227
.LBB190_1223:
	s_mov_b64 s[6:7], -1
                                        ; implicit-def: $vgpr4
	s_branch .LBB190_1228
.LBB190_1224:
	s_or_saveexec_b64 s[4:5], s[4:5]
	v_mov_b32_e32 v4, 0x7e00
	s_xor_b64 exec, exec, s[4:5]
	s_cbranch_execz .LBB190_1205
.LBB190_1225:
	v_cmp_ne_u16_e32 vcc, 0, v6
	s_andn2_b64 s[2:3], s[2:3], exec
	s_and_b64 s[6:7], vcc, exec
	s_or_b64 s[2:3], s[2:3], s[6:7]
	v_mov_b32_e32 v4, v6
	s_or_b64 exec, exec, s[4:5]
	s_and_saveexec_b64 s[4:5], s[2:3]
	s_cbranch_execnz .LBB190_1206
	s_branch .LBB190_1207
.LBB190_1226:
	s_mov_b64 s[0:1], -1
                                        ; implicit-def: $vgpr4
.LBB190_1227:
	s_mov_b64 s[6:7], 0
.LBB190_1228:
	s_and_b64 vcc, exec, s[6:7]
	s_cbranch_vccz .LBB190_1230
; %bb.1229:
	s_cmp_lg_u32 s15, 11
	s_mov_b64 s[2:3], -1
	s_cselect_b64 s[0:1], -1, 0
.LBB190_1230:
	s_and_b64 vcc, exec, s[0:1]
	s_cbranch_vccnz .LBB190_1293
; %bb.1231:
	s_andn2_b64 vcc, exec, s[2:3]
	s_cbranch_vccnz .LBB190_1233
.LBB190_1232:
	global_load_ubyte v4, v[0:1], off
	v_mov_b32_e32 v6, 0x3c00
	s_mov_b64 s[4:5], -1
	s_waitcnt vmcnt(0)
	v_cmp_ne_u16_e32 vcc, 0, v4
	v_cndmask_b32_e32 v4, 0, v6, vcc
.LBB190_1233:
	s_branch .LBB190_1160
.LBB190_1234:
	s_cmp_lt_i32 s15, 5
	s_cbranch_scc1 .LBB190_1239
; %bb.1235:
	s_cmp_lt_i32 s15, 8
	s_cbranch_scc1 .LBB190_1240
; %bb.1236:
	;; [unrolled: 3-line block ×3, first 2 shown]
	s_cmp_gt_i32 s15, 9
	s_cbranch_scc0 .LBB190_1242
; %bb.1238:
	global_load_dwordx2 v[6:7], v[0:1], off
	s_movk_i32 s0, 0x1ff
	s_movk_i32 s1, 0xffe
	v_mov_b32_e32 v4, 0x7c00
	v_mov_b32_e32 v8, 0x7e00
	s_movk_i32 s2, 0x40f
	s_mov_b32 s3, 0x8000
	s_waitcnt vmcnt(0)
	v_and_or_b32 v6, v7, s0, v6
	v_cmp_ne_u32_e32 vcc, 0, v6
	v_lshrrev_b32_e32 v9, 8, v7
	v_bfe_u32 v10, v7, 20, 11
	v_cndmask_b32_e64 v6, 0, 1, vcc
	v_sub_u32_e32 v11, 0x3f1, v10
	v_and_or_b32 v6, v9, s1, v6
	v_add_u32_e32 v10, 0xfffffc10, v10
	v_med3_i32 v9, v11, 0, 13
	v_or_b32_e32 v11, 0x1000, v6
	v_cmp_ne_u32_e32 vcc, 0, v6
	v_lshl_or_b32 v12, v10, 12, v6
	v_cndmask_b32_e32 v6, v4, v8, vcc
	v_lshrrev_b32_e32 v8, v9, v11
	v_lshlrev_b32_e32 v9, v9, v8
	v_cmp_ne_u32_e32 vcc, v9, v11
	v_cndmask_b32_e64 v9, 0, 1, vcc
	v_or_b32_e32 v8, v8, v9
	v_cmp_gt_i32_e32 vcc, 1, v10
	v_cndmask_b32_e32 v8, v12, v8, vcc
	v_and_b32_e32 v9, 7, v8
	v_cmp_lt_i32_e32 vcc, 5, v9
	v_cndmask_b32_e64 v11, 0, 1, vcc
	v_cmp_eq_u32_e32 vcc, 3, v9
	v_cndmask_b32_e64 v9, 0, 1, vcc
	v_lshrrev_b32_e32 v8, 2, v8
	v_or_b32_e32 v9, v9, v11
	v_add_u32_e32 v8, v8, v9
	v_cmp_gt_i32_e32 vcc, 31, v10
	v_cndmask_b32_e32 v4, v4, v8, vcc
	v_cmp_eq_u32_e32 vcc, s2, v10
	v_lshrrev_b32_e32 v7, 16, v7
	v_cndmask_b32_e32 v4, v4, v6, vcc
	v_and_or_b32 v4, v7, s3, v4
	s_mov_b64 s[0:1], 0
	s_branch .LBB190_1243
.LBB190_1239:
                                        ; implicit-def: $vgpr4
	s_branch .LBB190_1261
.LBB190_1240:
	s_mov_b64 s[0:1], -1
                                        ; implicit-def: $vgpr4
	s_branch .LBB190_1249
.LBB190_1241:
	s_mov_b64 s[0:1], -1
                                        ; implicit-def: $vgpr4
	s_branch .LBB190_1246
.LBB190_1242:
	s_mov_b64 s[0:1], -1
                                        ; implicit-def: $vgpr4
.LBB190_1243:
	s_andn2_b64 vcc, exec, s[0:1]
	s_cbranch_vccnz .LBB190_1245
; %bb.1244:
	global_load_dword v4, v[0:1], off
	s_waitcnt vmcnt(0)
	v_cvt_f16_f32_e32 v4, v4
.LBB190_1245:
	s_mov_b64 s[0:1], 0
.LBB190_1246:
	s_andn2_b64 vcc, exec, s[0:1]
	s_cbranch_vccnz .LBB190_1248
; %bb.1247:
	global_load_dword v4, v[0:1], off
.LBB190_1248:
	s_mov_b64 s[0:1], 0
.LBB190_1249:
	s_andn2_b64 vcc, exec, s[0:1]
	s_cbranch_vccnz .LBB190_1260
; %bb.1250:
	s_cmp_lt_i32 s15, 6
	s_cbranch_scc1 .LBB190_1253
; %bb.1251:
	s_cmp_gt_i32 s15, 6
	s_cbranch_scc0 .LBB190_1254
; %bb.1252:
	global_load_dwordx2 v[6:7], v[0:1], off
	s_movk_i32 s0, 0x1ff
	s_movk_i32 s1, 0xffe
	s_waitcnt vmcnt(1)
	v_mov_b32_e32 v4, 0x7c00
	v_mov_b32_e32 v8, 0x7e00
	s_movk_i32 s2, 0x40f
	s_mov_b32 s3, 0x8000
	s_waitcnt vmcnt(0)
	v_and_or_b32 v6, v7, s0, v6
	v_cmp_ne_u32_e32 vcc, 0, v6
	v_lshrrev_b32_e32 v9, 8, v7
	v_bfe_u32 v10, v7, 20, 11
	v_cndmask_b32_e64 v6, 0, 1, vcc
	v_sub_u32_e32 v11, 0x3f1, v10
	v_and_or_b32 v6, v9, s1, v6
	v_add_u32_e32 v10, 0xfffffc10, v10
	v_med3_i32 v9, v11, 0, 13
	v_or_b32_e32 v11, 0x1000, v6
	v_cmp_ne_u32_e32 vcc, 0, v6
	v_lshl_or_b32 v12, v10, 12, v6
	v_cndmask_b32_e32 v6, v4, v8, vcc
	v_lshrrev_b32_e32 v8, v9, v11
	v_lshlrev_b32_e32 v9, v9, v8
	v_cmp_ne_u32_e32 vcc, v9, v11
	v_cndmask_b32_e64 v9, 0, 1, vcc
	v_or_b32_e32 v8, v8, v9
	v_cmp_gt_i32_e32 vcc, 1, v10
	v_cndmask_b32_e32 v8, v12, v8, vcc
	v_and_b32_e32 v9, 7, v8
	v_cmp_lt_i32_e32 vcc, 5, v9
	v_cndmask_b32_e64 v11, 0, 1, vcc
	v_cmp_eq_u32_e32 vcc, 3, v9
	v_cndmask_b32_e64 v9, 0, 1, vcc
	v_lshrrev_b32_e32 v8, 2, v8
	v_or_b32_e32 v9, v9, v11
	v_add_u32_e32 v8, v8, v9
	v_cmp_gt_i32_e32 vcc, 31, v10
	v_cndmask_b32_e32 v4, v4, v8, vcc
	v_cmp_eq_u32_e32 vcc, s2, v10
	v_lshrrev_b32_e32 v7, 16, v7
	v_cndmask_b32_e32 v4, v4, v6, vcc
	v_and_or_b32 v4, v7, s3, v4
	s_mov_b64 s[0:1], 0
	s_branch .LBB190_1255
.LBB190_1253:
	s_mov_b64 s[0:1], -1
                                        ; implicit-def: $vgpr4
	s_branch .LBB190_1258
.LBB190_1254:
	s_mov_b64 s[0:1], -1
                                        ; implicit-def: $vgpr4
.LBB190_1255:
	s_andn2_b64 vcc, exec, s[0:1]
	s_cbranch_vccnz .LBB190_1257
; %bb.1256:
	global_load_dword v4, v[0:1], off
	s_waitcnt vmcnt(0)
	v_cvt_f16_f32_e32 v4, v4
.LBB190_1257:
	s_mov_b64 s[0:1], 0
.LBB190_1258:
	s_andn2_b64 vcc, exec, s[0:1]
	s_cbranch_vccnz .LBB190_1260
; %bb.1259:
	global_load_ushort v4, v[0:1], off
.LBB190_1260:
	s_cbranch_execnz .LBB190_1280
.LBB190_1261:
	s_cmp_lt_i32 s15, 2
	s_cbranch_scc1 .LBB190_1265
; %bb.1262:
	s_cmp_lt_i32 s15, 3
	s_cbranch_scc1 .LBB190_1266
; %bb.1263:
	s_cmp_gt_i32 s15, 3
	s_cbranch_scc0 .LBB190_1267
; %bb.1264:
	global_load_dwordx2 v[6:7], v[0:1], off
	s_mov_b64 s[0:1], 0
	s_waitcnt vmcnt(0)
	v_xor_b32_e32 v8, v6, v7
	v_ffbh_i32_e32 v4, v7
	v_ashrrev_i32_e32 v8, 31, v8
	v_add_u32_e32 v4, -1, v4
	v_add_u32_e32 v8, 32, v8
	v_min_u32_e32 v4, v4, v8
	v_lshlrev_b64 v[6:7], v4, v[6:7]
	v_sub_u32_e32 v4, 32, v4
	v_min_u32_e32 v6, 1, v6
	v_or_b32_e32 v6, v7, v6
	v_cvt_f32_i32_e32 v6, v6
	v_ldexp_f32 v4, v6, v4
	v_cvt_f16_f32_e32 v4, v4
	s_branch .LBB190_1268
.LBB190_1265:
	s_mov_b64 s[0:1], -1
                                        ; implicit-def: $vgpr4
	s_branch .LBB190_1274
.LBB190_1266:
	s_mov_b64 s[0:1], -1
                                        ; implicit-def: $vgpr4
	s_branch .LBB190_1271
.LBB190_1267:
	s_mov_b64 s[0:1], -1
                                        ; implicit-def: $vgpr4
.LBB190_1268:
	s_andn2_b64 vcc, exec, s[0:1]
	s_cbranch_vccnz .LBB190_1270
; %bb.1269:
	global_load_dword v4, v[0:1], off
	s_waitcnt vmcnt(0)
	v_cvt_f32_i32_e32 v4, v4
	v_cvt_f16_f32_e32 v4, v4
.LBB190_1270:
	s_mov_b64 s[0:1], 0
.LBB190_1271:
	s_andn2_b64 vcc, exec, s[0:1]
	s_cbranch_vccnz .LBB190_1273
; %bb.1272:
	global_load_ushort v4, v[0:1], off
	s_waitcnt vmcnt(0)
	v_cvt_f16_i16_e32 v4, v4
.LBB190_1273:
	s_mov_b64 s[0:1], 0
.LBB190_1274:
	s_andn2_b64 vcc, exec, s[0:1]
	s_cbranch_vccnz .LBB190_1280
; %bb.1275:
	s_cmp_gt_i32 s15, 0
	s_cbranch_scc0 .LBB190_1277
; %bb.1276:
	global_load_sbyte v4, v[0:1], off
	s_mov_b64 s[0:1], 0
	s_waitcnt vmcnt(0)
	v_cvt_f16_i16_e32 v4, v4
	s_branch .LBB190_1278
.LBB190_1277:
	s_mov_b64 s[0:1], -1
                                        ; implicit-def: $vgpr4
.LBB190_1278:
	s_andn2_b64 vcc, exec, s[0:1]
	s_cbranch_vccnz .LBB190_1280
; %bb.1279:
	global_load_ubyte v0, v[0:1], off
	s_waitcnt vmcnt(0)
	v_cvt_f16_u16_e32 v4, v0
.LBB190_1280:
.LBB190_1281:
	v_add_u32_e32 v6, s13, v5
	v_ashrrev_i32_e32 v1, 31, v6
	v_mov_b32_e32 v5, s11
	v_add_co_u32_e32 v0, vcc, s10, v6
	s_cmp_lt_i32 s15, 11
	v_addc_co_u32_e32 v1, vcc, v5, v1, vcc
	s_cbranch_scc1 .LBB190_1288
; %bb.1282:
	s_cmp_gt_i32 s15, 25
	s_mov_b64 s[2:3], 0
	s_cbranch_scc0 .LBB190_1290
; %bb.1283:
	s_cmp_gt_i32 s15, 28
	s_cbranch_scc0 .LBB190_1291
; %bb.1284:
	s_cmp_gt_i32 s15, 43
	;; [unrolled: 3-line block ×3, first 2 shown]
	s_cbranch_scc0 .LBB190_1294
; %bb.1286:
	s_cmp_eq_u32 s15, 46
	s_mov_b64 s[6:7], 0
	s_cbranch_scc0 .LBB190_1295
; %bb.1287:
	global_load_dword v5, v[0:1], off
	s_mov_b64 s[0:1], 0
	s_mov_b64 s[4:5], -1
	s_waitcnt vmcnt(0)
	v_lshlrev_b32_e32 v5, 16, v5
	v_cvt_f16_f32_e32 v5, v5
	s_branch .LBB190_1296
.LBB190_1288:
	s_mov_b64 s[4:5], 0
                                        ; implicit-def: $vgpr5
	s_cbranch_execnz .LBB190_1362
.LBB190_1289:
	s_andn2_b64 vcc, exec, s[4:5]
	s_cbranch_vccnz .LBB190_1973
	s_branch .LBB190_1410
.LBB190_1290:
	s_mov_b64 s[6:7], -1
	s_mov_b64 s[4:5], 0
	s_mov_b64 s[0:1], 0
                                        ; implicit-def: $vgpr5
	s_branch .LBB190_1325
.LBB190_1291:
	s_mov_b64 s[6:7], -1
	s_mov_b64 s[4:5], 0
	s_mov_b64 s[0:1], 0
                                        ; implicit-def: $vgpr5
	s_branch .LBB190_1306
.LBB190_1292:
	s_mov_b64 s[6:7], -1
	s_mov_b64 s[4:5], 0
	s_mov_b64 s[0:1], 0
                                        ; implicit-def: $vgpr5
	s_branch .LBB190_1301
.LBB190_1293:
	s_trap 2
	s_or_b64 s[22:23], s[22:23], exec
	s_cbranch_execz .LBB190_1232
	s_branch .LBB190_1233
.LBB190_1294:
	s_mov_b64 s[6:7], -1
	s_mov_b64 s[4:5], 0
	s_mov_b64 s[0:1], 0
                                        ; implicit-def: $vgpr5
	s_branch .LBB190_1296
.LBB190_1295:
	s_mov_b64 s[0:1], -1
                                        ; implicit-def: $vgpr5
	s_mov_b64 s[4:5], 0
.LBB190_1296:
	s_and_b64 vcc, exec, s[6:7]
	s_cbranch_vccz .LBB190_1300
; %bb.1297:
	s_cmp_eq_u32 s15, 44
	s_cbranch_scc0 .LBB190_1299
; %bb.1298:
	global_load_ubyte v5, v[0:1], off
	s_movk_i32 s4, 0xff
	v_mov_b32_e32 v8, 0x7e00
	s_mov_b64 s[0:1], 0
	s_waitcnt vmcnt(0)
	v_lshlrev_b32_e32 v7, 23, v5
	v_cvt_f16_f32_e32 v7, v7
	v_cmp_ne_u32_e32 vcc, s4, v5
	s_mov_b64 s[4:5], -1
	v_cndmask_b32_e32 v7, v8, v7, vcc
	v_cmp_ne_u32_e32 vcc, 0, v5
	v_cndmask_b32_e32 v5, 0, v7, vcc
	s_branch .LBB190_1300
.LBB190_1299:
	s_mov_b64 s[0:1], -1
                                        ; implicit-def: $vgpr5
.LBB190_1300:
	s_mov_b64 s[6:7], 0
.LBB190_1301:
	s_and_b64 vcc, exec, s[6:7]
	s_cbranch_vccz .LBB190_1305
; %bb.1302:
	s_cmp_eq_u32 s15, 29
	s_cbranch_scc0 .LBB190_1304
; %bb.1303:
	global_load_dwordx2 v[7:8], v[0:1], off
	s_mov_b64 s[0:1], 0
	s_mov_b64 s[4:5], -1
	s_mov_b64 s[6:7], 0
	s_waitcnt vmcnt(0)
	v_ffbh_u32_e32 v5, v8
	v_min_u32_e32 v5, 32, v5
	v_lshlrev_b64 v[7:8], v5, v[7:8]
	v_sub_u32_e32 v5, 32, v5
	v_min_u32_e32 v7, 1, v7
	v_or_b32_e32 v7, v8, v7
	v_cvt_f32_u32_e32 v7, v7
	v_ldexp_f32 v5, v7, v5
	v_cvt_f16_f32_e32 v5, v5
	s_branch .LBB190_1306
.LBB190_1304:
	s_mov_b64 s[0:1], -1
                                        ; implicit-def: $vgpr5
.LBB190_1305:
	s_mov_b64 s[6:7], 0
.LBB190_1306:
	s_and_b64 vcc, exec, s[6:7]
	s_cbranch_vccz .LBB190_1324
; %bb.1307:
	s_cmp_lt_i32 s15, 27
	s_cbranch_scc1 .LBB190_1310
; %bb.1308:
	s_cmp_gt_i32 s15, 27
	s_cbranch_scc0 .LBB190_1311
; %bb.1309:
	global_load_dword v5, v[0:1], off
	s_mov_b64 s[4:5], 0
	s_waitcnt vmcnt(0)
	v_cvt_f32_u32_e32 v5, v5
	v_cvt_f16_f32_e32 v5, v5
	s_branch .LBB190_1312
.LBB190_1310:
	s_mov_b64 s[4:5], -1
                                        ; implicit-def: $vgpr5
	s_branch .LBB190_1315
.LBB190_1311:
	s_mov_b64 s[4:5], -1
                                        ; implicit-def: $vgpr5
.LBB190_1312:
	s_andn2_b64 vcc, exec, s[4:5]
	s_cbranch_vccnz .LBB190_1314
; %bb.1313:
	global_load_ushort v5, v[0:1], off
	s_waitcnt vmcnt(0)
	v_cvt_f16_u16_e32 v5, v5
.LBB190_1314:
	s_mov_b64 s[4:5], 0
.LBB190_1315:
	s_andn2_b64 vcc, exec, s[4:5]
	s_cbranch_vccnz .LBB190_1323
; %bb.1316:
	global_load_ubyte v7, v[0:1], off
	s_movk_i32 s4, 0x7f
	s_waitcnt vmcnt(0)
	v_cmp_lt_i16_e32 vcc, s4, v7
	s_mov_b64 s[4:5], 0
	s_and_saveexec_b64 s[6:7], vcc
	s_xor_b64 s[6:7], exec, s[6:7]
	s_cbranch_execz .LBB190_1337
; %bb.1317:
	s_movk_i32 s4, 0x80
	v_cmp_eq_u16_e32 vcc, s4, v7
	s_mov_b64 s[4:5], -1
	s_and_saveexec_b64 s[24:25], vcc
; %bb.1318:
	s_xor_b64 s[4:5], exec, -1
; %bb.1319:
	s_or_b64 exec, exec, s[24:25]
	s_and_b64 s[4:5], s[4:5], exec
	s_or_saveexec_b64 s[6:7], s[6:7]
	v_mov_b32_e32 v5, 0x7e00
	s_xor_b64 exec, exec, s[6:7]
	s_cbranch_execnz .LBB190_1338
.LBB190_1320:
	s_or_b64 exec, exec, s[6:7]
	s_and_saveexec_b64 s[6:7], s[4:5]
	s_cbranch_execz .LBB190_1322
.LBB190_1321:
	v_lshlrev_b32_e32 v5, 24, v7
	v_and_b32_e32 v7, 0xffff, v7
	v_and_b32_e32 v8, 7, v7
	v_ffbh_u32_e32 v10, v8
	v_min_u32_e32 v10, 32, v10
	v_subrev_u32_e32 v11, 28, v10
	v_bfe_u32 v9, v7, 3, 4
	v_lshlrev_b32_e32 v7, v11, v7
	v_sub_u32_e32 v10, 29, v10
	v_and_b32_e32 v7, 7, v7
	v_cmp_eq_u32_e32 vcc, 0, v9
	v_cndmask_b32_e32 v9, v9, v10, vcc
	v_cndmask_b32_e32 v7, v8, v7, vcc
	v_mov_b32_e32 v8, 0x3b800000
	v_lshlrev_b32_e32 v7, 20, v7
	v_and_b32_e32 v5, 0x80000000, v5
	v_lshl_add_u32 v8, v9, 23, v8
	v_or3_b32 v5, v5, v8, v7
	v_cvt_f16_f32_e32 v5, v5
.LBB190_1322:
	s_or_b64 exec, exec, s[6:7]
.LBB190_1323:
	s_mov_b64 s[4:5], -1
.LBB190_1324:
	s_mov_b64 s[6:7], 0
.LBB190_1325:
	s_and_b64 vcc, exec, s[6:7]
	s_cbranch_vccz .LBB190_1358
; %bb.1326:
	s_cmp_gt_i32 s15, 22
	s_cbranch_scc0 .LBB190_1336
; %bb.1327:
	s_cmp_lt_i32 s15, 24
	s_cbranch_scc1 .LBB190_1339
; %bb.1328:
	s_cmp_gt_i32 s15, 24
	s_cbranch_scc0 .LBB190_1340
; %bb.1329:
	global_load_ubyte v7, v[0:1], off
	s_movk_i32 s2, 0x7f
	s_waitcnt vmcnt(0)
	v_cmp_lt_i16_e32 vcc, s2, v7
	s_mov_b64 s[2:3], 0
	s_and_saveexec_b64 s[4:5], vcc
	s_xor_b64 s[4:5], exec, s[4:5]
	s_cbranch_execz .LBB190_1352
; %bb.1330:
	s_movk_i32 s2, 0x80
	v_cmp_eq_u16_e32 vcc, s2, v7
	s_mov_b64 s[2:3], -1
	s_and_saveexec_b64 s[6:7], vcc
; %bb.1331:
	s_xor_b64 s[2:3], exec, -1
; %bb.1332:
	s_or_b64 exec, exec, s[6:7]
	s_and_b64 s[2:3], s[2:3], exec
	s_or_saveexec_b64 s[4:5], s[4:5]
	v_mov_b32_e32 v5, 0x7e00
	s_xor_b64 exec, exec, s[4:5]
	s_cbranch_execnz .LBB190_1353
.LBB190_1333:
	s_or_b64 exec, exec, s[4:5]
	s_and_saveexec_b64 s[4:5], s[2:3]
	s_cbranch_execz .LBB190_1335
.LBB190_1334:
	v_lshlrev_b32_e32 v5, 24, v7
	v_and_b32_e32 v7, 0xffff, v7
	v_and_b32_e32 v8, 3, v7
	v_ffbh_u32_e32 v10, v8
	v_min_u32_e32 v10, 32, v10
	v_subrev_u32_e32 v11, 29, v10
	v_bfe_u32 v9, v7, 2, 5
	v_lshlrev_b32_e32 v7, v11, v7
	v_sub_u32_e32 v10, 30, v10
	v_and_b32_e32 v7, 3, v7
	v_cmp_eq_u32_e32 vcc, 0, v9
	v_cndmask_b32_e32 v9, v9, v10, vcc
	v_cndmask_b32_e32 v7, v8, v7, vcc
	v_mov_b32_e32 v8, 0x37800000
	v_lshlrev_b32_e32 v7, 21, v7
	v_and_b32_e32 v5, 0x80000000, v5
	v_lshl_add_u32 v8, v9, 23, v8
	v_or3_b32 v5, v5, v8, v7
	v_cvt_f16_f32_e32 v5, v5
.LBB190_1335:
	s_or_b64 exec, exec, s[4:5]
	s_mov_b64 s[2:3], 0
	s_branch .LBB190_1341
.LBB190_1336:
	s_mov_b64 s[2:3], -1
                                        ; implicit-def: $vgpr5
	s_branch .LBB190_1347
.LBB190_1337:
	s_or_saveexec_b64 s[6:7], s[6:7]
	v_mov_b32_e32 v5, 0x7e00
	s_xor_b64 exec, exec, s[6:7]
	s_cbranch_execz .LBB190_1320
.LBB190_1338:
	v_cmp_ne_u16_e32 vcc, 0, v7
	s_andn2_b64 s[4:5], s[4:5], exec
	s_and_b64 s[24:25], vcc, exec
	s_or_b64 s[4:5], s[4:5], s[24:25]
	v_mov_b32_e32 v5, v7
	s_or_b64 exec, exec, s[6:7]
	s_and_saveexec_b64 s[6:7], s[4:5]
	s_cbranch_execnz .LBB190_1321
	s_branch .LBB190_1322
.LBB190_1339:
	s_mov_b64 s[2:3], -1
                                        ; implicit-def: $vgpr5
	s_branch .LBB190_1344
.LBB190_1340:
	s_mov_b64 s[2:3], -1
                                        ; implicit-def: $vgpr5
.LBB190_1341:
	s_and_b64 vcc, exec, s[2:3]
	s_cbranch_vccz .LBB190_1343
; %bb.1342:
	global_load_ubyte v5, v[0:1], off
	s_mov_b32 s2, 0x7f800000
	s_waitcnt vmcnt(0)
	v_lshlrev_b32_e32 v5, 24, v5
	v_and_b32_e32 v7, 0x7f000000, v5
	v_ffbh_u32_e32 v8, v7
	v_min_u32_e32 v8, 32, v8
	v_sub_u32_e64 v8, v8, 4 clamp
	v_lshlrev_b32_e32 v10, v8, v7
	v_lshlrev_b32_e32 v8, 23, v8
	v_lshrrev_b32_e32 v10, 4, v10
	v_add_u32_e32 v9, 0x1000000, v7
	v_sub_u32_e32 v8, v10, v8
	v_ashrrev_i32_e32 v9, 8, v9
	v_add_u32_e32 v8, 0x3c000000, v8
	v_and_or_b32 v8, v9, s2, v8
	v_cmp_ne_u32_e32 vcc, 0, v7
	v_cndmask_b32_e32 v7, 0, v8, vcc
	s_brev_b32 s2, 1
	v_and_or_b32 v5, v5, s2, v7
	v_cvt_f16_f32_e32 v5, v5
.LBB190_1343:
	s_mov_b64 s[2:3], 0
.LBB190_1344:
	s_andn2_b64 vcc, exec, s[2:3]
	s_cbranch_vccnz .LBB190_1346
; %bb.1345:
	global_load_ubyte v5, v[0:1], off
	s_movk_i32 s2, 0x7f00
	s_brev_b32 s3, 16
	s_waitcnt vmcnt(0)
	v_lshlrev_b16_e32 v7, 8, v5
	v_lshlrev_b32_e32 v5, 25, v5
	v_lshrrev_b32_e32 v8, 4, v5
	v_and_or_b32 v9, v7, s2, 0.5
	v_or_b32_e32 v8, 0x70000000, v8
	v_add_f32_e32 v9, -0.5, v9
	v_mul_f32_e32 v8, 0x7800000, v8
	v_cmp_gt_u32_e32 vcc, s3, v5
	v_bfe_i32 v7, v7, 0, 16
	v_cndmask_b32_e32 v5, v8, v9, vcc
	s_brev_b32 s2, 1
	v_and_or_b32 v5, v7, s2, v5
	v_cvt_f16_f32_e32 v5, v5
.LBB190_1346:
	s_mov_b64 s[2:3], 0
	s_mov_b64 s[4:5], -1
.LBB190_1347:
	s_andn2_b64 vcc, exec, s[2:3]
	s_mov_b64 s[2:3], 0
	s_cbranch_vccnz .LBB190_1358
; %bb.1348:
	s_cmp_gt_i32 s15, 14
	s_cbranch_scc0 .LBB190_1351
; %bb.1349:
	s_cmp_eq_u32 s15, 15
	s_cbranch_scc0 .LBB190_1354
; %bb.1350:
	global_load_ushort v5, v[0:1], off
	s_mov_b64 s[0:1], 0
	s_mov_b64 s[4:5], -1
	s_waitcnt vmcnt(0)
	v_lshlrev_b32_e32 v5, 16, v5
	v_cvt_f16_f32_e32 v5, v5
	s_branch .LBB190_1355
.LBB190_1351:
	s_mov_b64 s[6:7], -1
                                        ; implicit-def: $vgpr5
	s_branch .LBB190_1356
.LBB190_1352:
	s_or_saveexec_b64 s[4:5], s[4:5]
	v_mov_b32_e32 v5, 0x7e00
	s_xor_b64 exec, exec, s[4:5]
	s_cbranch_execz .LBB190_1333
.LBB190_1353:
	v_cmp_ne_u16_e32 vcc, 0, v7
	s_andn2_b64 s[2:3], s[2:3], exec
	s_and_b64 s[6:7], vcc, exec
	s_or_b64 s[2:3], s[2:3], s[6:7]
	v_mov_b32_e32 v5, v7
	s_or_b64 exec, exec, s[4:5]
	s_and_saveexec_b64 s[4:5], s[2:3]
	s_cbranch_execnz .LBB190_1334
	s_branch .LBB190_1335
.LBB190_1354:
	s_mov_b64 s[0:1], -1
                                        ; implicit-def: $vgpr5
.LBB190_1355:
	s_mov_b64 s[6:7], 0
.LBB190_1356:
	s_and_b64 vcc, exec, s[6:7]
	s_cbranch_vccz .LBB190_1358
; %bb.1357:
	s_cmp_lg_u32 s15, 11
	s_mov_b64 s[2:3], -1
	s_cselect_b64 s[0:1], -1, 0
.LBB190_1358:
	s_and_b64 vcc, exec, s[0:1]
	s_cbranch_vccnz .LBB190_1421
; %bb.1359:
	s_andn2_b64 vcc, exec, s[2:3]
	s_cbranch_vccnz .LBB190_1361
.LBB190_1360:
	global_load_ubyte v5, v[0:1], off
	v_mov_b32_e32 v7, 0x3c00
	s_mov_b64 s[4:5], -1
	s_waitcnt vmcnt(0)
	v_cmp_ne_u16_e32 vcc, 0, v5
	v_cndmask_b32_e32 v5, 0, v7, vcc
.LBB190_1361:
	s_branch .LBB190_1289
.LBB190_1362:
	s_cmp_lt_i32 s15, 5
	s_cbranch_scc1 .LBB190_1367
; %bb.1363:
	s_cmp_lt_i32 s15, 8
	s_cbranch_scc1 .LBB190_1368
; %bb.1364:
	;; [unrolled: 3-line block ×3, first 2 shown]
	s_cmp_gt_i32 s15, 9
	s_cbranch_scc0 .LBB190_1370
; %bb.1366:
	global_load_dwordx2 v[7:8], v[0:1], off
	s_movk_i32 s0, 0x1ff
	s_movk_i32 s1, 0xffe
	v_mov_b32_e32 v5, 0x7c00
	v_mov_b32_e32 v9, 0x7e00
	s_movk_i32 s2, 0x40f
	s_mov_b32 s3, 0x8000
	s_waitcnt vmcnt(0)
	v_and_or_b32 v7, v8, s0, v7
	v_cmp_ne_u32_e32 vcc, 0, v7
	v_lshrrev_b32_e32 v10, 8, v8
	v_bfe_u32 v11, v8, 20, 11
	v_cndmask_b32_e64 v7, 0, 1, vcc
	v_sub_u32_e32 v12, 0x3f1, v11
	v_and_or_b32 v7, v10, s1, v7
	v_add_u32_e32 v11, 0xfffffc10, v11
	v_med3_i32 v10, v12, 0, 13
	v_or_b32_e32 v12, 0x1000, v7
	v_cmp_ne_u32_e32 vcc, 0, v7
	v_lshl_or_b32 v13, v11, 12, v7
	v_cndmask_b32_e32 v7, v5, v9, vcc
	v_lshrrev_b32_e32 v9, v10, v12
	v_lshlrev_b32_e32 v10, v10, v9
	v_cmp_ne_u32_e32 vcc, v10, v12
	v_cndmask_b32_e64 v10, 0, 1, vcc
	v_or_b32_e32 v9, v9, v10
	v_cmp_gt_i32_e32 vcc, 1, v11
	v_cndmask_b32_e32 v9, v13, v9, vcc
	v_and_b32_e32 v10, 7, v9
	v_cmp_lt_i32_e32 vcc, 5, v10
	v_cndmask_b32_e64 v12, 0, 1, vcc
	v_cmp_eq_u32_e32 vcc, 3, v10
	v_cndmask_b32_e64 v10, 0, 1, vcc
	v_lshrrev_b32_e32 v9, 2, v9
	v_or_b32_e32 v10, v10, v12
	v_add_u32_e32 v9, v9, v10
	v_cmp_gt_i32_e32 vcc, 31, v11
	v_cndmask_b32_e32 v5, v5, v9, vcc
	v_cmp_eq_u32_e32 vcc, s2, v11
	v_lshrrev_b32_e32 v8, 16, v8
	v_cndmask_b32_e32 v5, v5, v7, vcc
	v_and_or_b32 v5, v8, s3, v5
	s_mov_b64 s[0:1], 0
	s_branch .LBB190_1371
.LBB190_1367:
	s_mov_b64 s[0:1], -1
                                        ; implicit-def: $vgpr5
	s_branch .LBB190_1389
.LBB190_1368:
	s_mov_b64 s[0:1], -1
                                        ; implicit-def: $vgpr5
	s_branch .LBB190_1377
.LBB190_1369:
	s_mov_b64 s[0:1], -1
                                        ; implicit-def: $vgpr5
	s_branch .LBB190_1374
.LBB190_1370:
	s_mov_b64 s[0:1], -1
                                        ; implicit-def: $vgpr5
.LBB190_1371:
	s_andn2_b64 vcc, exec, s[0:1]
	s_cbranch_vccnz .LBB190_1373
; %bb.1372:
	global_load_dword v5, v[0:1], off
	s_waitcnt vmcnt(0)
	v_cvt_f16_f32_e32 v5, v5
.LBB190_1373:
	s_mov_b64 s[0:1], 0
.LBB190_1374:
	s_andn2_b64 vcc, exec, s[0:1]
	s_cbranch_vccnz .LBB190_1376
; %bb.1375:
	global_load_dword v5, v[0:1], off
.LBB190_1376:
	s_mov_b64 s[0:1], 0
.LBB190_1377:
	s_andn2_b64 vcc, exec, s[0:1]
	s_cbranch_vccnz .LBB190_1388
; %bb.1378:
	s_cmp_lt_i32 s15, 6
	s_cbranch_scc1 .LBB190_1381
; %bb.1379:
	s_cmp_gt_i32 s15, 6
	s_cbranch_scc0 .LBB190_1382
; %bb.1380:
	global_load_dwordx2 v[7:8], v[0:1], off
	s_movk_i32 s0, 0x1ff
	s_movk_i32 s1, 0xffe
	s_waitcnt vmcnt(1)
	v_mov_b32_e32 v5, 0x7c00
	v_mov_b32_e32 v9, 0x7e00
	s_movk_i32 s2, 0x40f
	s_mov_b32 s3, 0x8000
	s_waitcnt vmcnt(0)
	v_and_or_b32 v7, v8, s0, v7
	v_cmp_ne_u32_e32 vcc, 0, v7
	v_lshrrev_b32_e32 v10, 8, v8
	v_bfe_u32 v11, v8, 20, 11
	v_cndmask_b32_e64 v7, 0, 1, vcc
	v_sub_u32_e32 v12, 0x3f1, v11
	v_and_or_b32 v7, v10, s1, v7
	v_add_u32_e32 v11, 0xfffffc10, v11
	v_med3_i32 v10, v12, 0, 13
	v_or_b32_e32 v12, 0x1000, v7
	v_cmp_ne_u32_e32 vcc, 0, v7
	v_lshl_or_b32 v13, v11, 12, v7
	v_cndmask_b32_e32 v7, v5, v9, vcc
	v_lshrrev_b32_e32 v9, v10, v12
	v_lshlrev_b32_e32 v10, v10, v9
	v_cmp_ne_u32_e32 vcc, v10, v12
	v_cndmask_b32_e64 v10, 0, 1, vcc
	v_or_b32_e32 v9, v9, v10
	v_cmp_gt_i32_e32 vcc, 1, v11
	v_cndmask_b32_e32 v9, v13, v9, vcc
	v_and_b32_e32 v10, 7, v9
	v_cmp_lt_i32_e32 vcc, 5, v10
	v_cndmask_b32_e64 v12, 0, 1, vcc
	v_cmp_eq_u32_e32 vcc, 3, v10
	v_cndmask_b32_e64 v10, 0, 1, vcc
	v_lshrrev_b32_e32 v9, 2, v9
	v_or_b32_e32 v10, v10, v12
	v_add_u32_e32 v9, v9, v10
	v_cmp_gt_i32_e32 vcc, 31, v11
	v_cndmask_b32_e32 v5, v5, v9, vcc
	v_cmp_eq_u32_e32 vcc, s2, v11
	v_lshrrev_b32_e32 v8, 16, v8
	v_cndmask_b32_e32 v5, v5, v7, vcc
	v_and_or_b32 v5, v8, s3, v5
	s_mov_b64 s[0:1], 0
	s_branch .LBB190_1383
.LBB190_1381:
	s_mov_b64 s[0:1], -1
                                        ; implicit-def: $vgpr5
	s_branch .LBB190_1386
.LBB190_1382:
	s_mov_b64 s[0:1], -1
                                        ; implicit-def: $vgpr5
.LBB190_1383:
	s_andn2_b64 vcc, exec, s[0:1]
	s_cbranch_vccnz .LBB190_1385
; %bb.1384:
	global_load_dword v5, v[0:1], off
	s_waitcnt vmcnt(0)
	v_cvt_f16_f32_e32 v5, v5
.LBB190_1385:
	s_mov_b64 s[0:1], 0
.LBB190_1386:
	s_andn2_b64 vcc, exec, s[0:1]
	s_cbranch_vccnz .LBB190_1388
; %bb.1387:
	global_load_ushort v5, v[0:1], off
.LBB190_1388:
	s_mov_b64 s[0:1], 0
.LBB190_1389:
	s_andn2_b64 vcc, exec, s[0:1]
	s_cbranch_vccnz .LBB190_1409
; %bb.1390:
	s_cmp_lt_i32 s15, 2
	s_cbranch_scc1 .LBB190_1394
; %bb.1391:
	s_cmp_lt_i32 s15, 3
	s_cbranch_scc1 .LBB190_1395
; %bb.1392:
	s_cmp_gt_i32 s15, 3
	s_cbranch_scc0 .LBB190_1396
; %bb.1393:
	global_load_dwordx2 v[7:8], v[0:1], off
	s_mov_b64 s[0:1], 0
	s_waitcnt vmcnt(0)
	v_xor_b32_e32 v9, v7, v8
	v_ffbh_i32_e32 v5, v8
	v_ashrrev_i32_e32 v9, 31, v9
	v_add_u32_e32 v5, -1, v5
	v_add_u32_e32 v9, 32, v9
	v_min_u32_e32 v5, v5, v9
	v_lshlrev_b64 v[7:8], v5, v[7:8]
	v_sub_u32_e32 v5, 32, v5
	v_min_u32_e32 v7, 1, v7
	v_or_b32_e32 v7, v8, v7
	v_cvt_f32_i32_e32 v7, v7
	v_ldexp_f32 v5, v7, v5
	v_cvt_f16_f32_e32 v5, v5
	s_branch .LBB190_1397
.LBB190_1394:
	s_mov_b64 s[0:1], -1
                                        ; implicit-def: $vgpr5
	s_branch .LBB190_1403
.LBB190_1395:
	s_mov_b64 s[0:1], -1
                                        ; implicit-def: $vgpr5
	s_branch .LBB190_1400
.LBB190_1396:
	s_mov_b64 s[0:1], -1
                                        ; implicit-def: $vgpr5
.LBB190_1397:
	s_andn2_b64 vcc, exec, s[0:1]
	s_cbranch_vccnz .LBB190_1399
; %bb.1398:
	global_load_dword v5, v[0:1], off
	s_waitcnt vmcnt(0)
	v_cvt_f32_i32_e32 v5, v5
	v_cvt_f16_f32_e32 v5, v5
.LBB190_1399:
	s_mov_b64 s[0:1], 0
.LBB190_1400:
	s_andn2_b64 vcc, exec, s[0:1]
	s_cbranch_vccnz .LBB190_1402
; %bb.1401:
	global_load_ushort v5, v[0:1], off
	s_waitcnt vmcnt(0)
	v_cvt_f16_i16_e32 v5, v5
.LBB190_1402:
	s_mov_b64 s[0:1], 0
.LBB190_1403:
	s_andn2_b64 vcc, exec, s[0:1]
	s_cbranch_vccnz .LBB190_1409
; %bb.1404:
	s_cmp_gt_i32 s15, 0
	s_cbranch_scc0 .LBB190_1406
; %bb.1405:
	global_load_sbyte v5, v[0:1], off
	s_mov_b64 s[0:1], 0
	s_waitcnt vmcnt(0)
	v_cvt_f16_i16_e32 v5, v5
	s_branch .LBB190_1407
.LBB190_1406:
	s_mov_b64 s[0:1], -1
                                        ; implicit-def: $vgpr5
.LBB190_1407:
	s_andn2_b64 vcc, exec, s[0:1]
	s_cbranch_vccnz .LBB190_1409
; %bb.1408:
	global_load_ubyte v0, v[0:1], off
	s_waitcnt vmcnt(0)
	v_cvt_f16_u16_e32 v5, v0
.LBB190_1409:
.LBB190_1410:
	v_add_u32_e32 v0, s13, v6
	v_ashrrev_i32_e32 v1, 31, v0
	v_mov_b32_e32 v6, s11
	v_add_co_u32_e32 v0, vcc, s10, v0
	s_cmp_lt_i32 s15, 11
	v_addc_co_u32_e32 v1, vcc, v6, v1, vcc
	s_cbranch_scc1 .LBB190_1417
; %bb.1411:
	s_cmp_gt_i32 s15, 25
	s_mov_b64 s[2:3], 0
	s_cbranch_scc0 .LBB190_1418
; %bb.1412:
	s_cmp_gt_i32 s15, 28
	s_cbranch_scc0 .LBB190_1419
; %bb.1413:
	s_cmp_gt_i32 s15, 43
	;; [unrolled: 3-line block ×3, first 2 shown]
	s_cbranch_scc0 .LBB190_1422
; %bb.1415:
	s_cmp_eq_u32 s15, 46
	s_mov_b64 s[6:7], 0
	s_cbranch_scc0 .LBB190_1423
; %bb.1416:
	global_load_dword v6, v[0:1], off
	s_mov_b64 s[0:1], 0
	s_mov_b64 s[4:5], -1
	s_waitcnt vmcnt(0)
	v_lshlrev_b32_e32 v6, 16, v6
	v_cvt_f16_f32_e32 v6, v6
	s_branch .LBB190_1424
.LBB190_1417:
	s_mov_b64 s[0:1], -1
	s_mov_b64 s[4:5], 0
                                        ; implicit-def: $vgpr6
	s_branch .LBB190_1490
.LBB190_1418:
	s_mov_b64 s[6:7], -1
	s_mov_b64 s[4:5], 0
	s_mov_b64 s[0:1], 0
                                        ; implicit-def: $vgpr6
	s_branch .LBB190_1453
.LBB190_1419:
	s_mov_b64 s[6:7], -1
	s_mov_b64 s[4:5], 0
	s_mov_b64 s[0:1], 0
                                        ; implicit-def: $vgpr6
	s_branch .LBB190_1434
.LBB190_1420:
	s_mov_b64 s[6:7], -1
	s_mov_b64 s[4:5], 0
	s_mov_b64 s[0:1], 0
                                        ; implicit-def: $vgpr6
	s_branch .LBB190_1429
.LBB190_1421:
	s_trap 2
	s_or_b64 s[22:23], s[22:23], exec
	s_cbranch_execz .LBB190_1360
	s_branch .LBB190_1361
.LBB190_1422:
	s_mov_b64 s[6:7], -1
	s_mov_b64 s[4:5], 0
	s_mov_b64 s[0:1], 0
                                        ; implicit-def: $vgpr6
	s_branch .LBB190_1424
.LBB190_1423:
	s_mov_b64 s[0:1], -1
                                        ; implicit-def: $vgpr6
	s_mov_b64 s[4:5], 0
.LBB190_1424:
	s_and_b64 vcc, exec, s[6:7]
	s_cbranch_vccz .LBB190_1428
; %bb.1425:
	s_cmp_eq_u32 s15, 44
	s_cbranch_scc0 .LBB190_1427
; %bb.1426:
	global_load_ubyte v6, v[0:1], off
	s_movk_i32 s4, 0xff
	v_mov_b32_e32 v8, 0x7e00
	s_mov_b64 s[0:1], 0
	s_waitcnt vmcnt(0)
	v_lshlrev_b32_e32 v7, 23, v6
	v_cvt_f16_f32_e32 v7, v7
	v_cmp_ne_u32_e32 vcc, s4, v6
	s_mov_b64 s[4:5], -1
	v_cndmask_b32_e32 v7, v8, v7, vcc
	v_cmp_ne_u32_e32 vcc, 0, v6
	v_cndmask_b32_e32 v6, 0, v7, vcc
	s_branch .LBB190_1428
.LBB190_1427:
	s_mov_b64 s[0:1], -1
                                        ; implicit-def: $vgpr6
.LBB190_1428:
	s_mov_b64 s[6:7], 0
.LBB190_1429:
	s_and_b64 vcc, exec, s[6:7]
	s_cbranch_vccz .LBB190_1433
; %bb.1430:
	s_cmp_eq_u32 s15, 29
	s_cbranch_scc0 .LBB190_1432
; %bb.1431:
	global_load_dwordx2 v[6:7], v[0:1], off
	s_mov_b64 s[0:1], 0
	s_mov_b64 s[4:5], -1
	s_mov_b64 s[6:7], 0
	s_waitcnt vmcnt(0)
	v_ffbh_u32_e32 v8, v7
	v_min_u32_e32 v8, 32, v8
	v_lshlrev_b64 v[6:7], v8, v[6:7]
	v_min_u32_e32 v6, 1, v6
	v_or_b32_e32 v6, v7, v6
	v_cvt_f32_u32_e32 v6, v6
	v_sub_u32_e32 v7, 32, v8
	v_ldexp_f32 v6, v6, v7
	v_cvt_f16_f32_e32 v6, v6
	s_branch .LBB190_1434
.LBB190_1432:
	s_mov_b64 s[0:1], -1
                                        ; implicit-def: $vgpr6
.LBB190_1433:
	s_mov_b64 s[6:7], 0
.LBB190_1434:
	s_and_b64 vcc, exec, s[6:7]
	s_cbranch_vccz .LBB190_1452
; %bb.1435:
	s_cmp_lt_i32 s15, 27
	s_cbranch_scc1 .LBB190_1438
; %bb.1436:
	s_cmp_gt_i32 s15, 27
	s_cbranch_scc0 .LBB190_1439
; %bb.1437:
	global_load_dword v6, v[0:1], off
	s_mov_b64 s[4:5], 0
	s_waitcnt vmcnt(0)
	v_cvt_f32_u32_e32 v6, v6
	v_cvt_f16_f32_e32 v6, v6
	s_branch .LBB190_1440
.LBB190_1438:
	s_mov_b64 s[4:5], -1
                                        ; implicit-def: $vgpr6
	s_branch .LBB190_1443
.LBB190_1439:
	s_mov_b64 s[4:5], -1
                                        ; implicit-def: $vgpr6
.LBB190_1440:
	s_andn2_b64 vcc, exec, s[4:5]
	s_cbranch_vccnz .LBB190_1442
; %bb.1441:
	global_load_ushort v6, v[0:1], off
	s_waitcnt vmcnt(0)
	v_cvt_f16_u16_e32 v6, v6
.LBB190_1442:
	s_mov_b64 s[4:5], 0
.LBB190_1443:
	s_andn2_b64 vcc, exec, s[4:5]
	s_cbranch_vccnz .LBB190_1451
; %bb.1444:
	global_load_ubyte v7, v[0:1], off
	s_movk_i32 s4, 0x7f
	s_waitcnt vmcnt(0)
	v_cmp_lt_i16_e32 vcc, s4, v7
	s_mov_b64 s[4:5], 0
	s_and_saveexec_b64 s[6:7], vcc
	s_xor_b64 s[6:7], exec, s[6:7]
	s_cbranch_execz .LBB190_1465
; %bb.1445:
	s_movk_i32 s4, 0x80
	v_cmp_eq_u16_e32 vcc, s4, v7
	s_mov_b64 s[4:5], -1
	s_and_saveexec_b64 s[10:11], vcc
; %bb.1446:
	s_xor_b64 s[4:5], exec, -1
; %bb.1447:
	s_or_b64 exec, exec, s[10:11]
	s_and_b64 s[4:5], s[4:5], exec
	s_or_saveexec_b64 s[6:7], s[6:7]
	v_mov_b32_e32 v6, 0x7e00
	s_xor_b64 exec, exec, s[6:7]
	s_cbranch_execnz .LBB190_1466
.LBB190_1448:
	s_or_b64 exec, exec, s[6:7]
	s_and_saveexec_b64 s[6:7], s[4:5]
	s_cbranch_execz .LBB190_1450
.LBB190_1449:
	v_lshlrev_b32_e32 v6, 24, v7
	v_and_b32_e32 v7, 0xffff, v7
	v_and_b32_e32 v8, 7, v7
	v_ffbh_u32_e32 v10, v8
	v_min_u32_e32 v10, 32, v10
	v_subrev_u32_e32 v11, 28, v10
	v_bfe_u32 v9, v7, 3, 4
	v_lshlrev_b32_e32 v7, v11, v7
	v_sub_u32_e32 v10, 29, v10
	v_and_b32_e32 v7, 7, v7
	v_cmp_eq_u32_e32 vcc, 0, v9
	v_cndmask_b32_e32 v9, v9, v10, vcc
	v_cndmask_b32_e32 v7, v8, v7, vcc
	v_mov_b32_e32 v8, 0x3b800000
	v_lshlrev_b32_e32 v7, 20, v7
	v_and_b32_e32 v6, 0x80000000, v6
	v_lshl_add_u32 v8, v9, 23, v8
	v_or3_b32 v6, v6, v8, v7
	v_cvt_f16_f32_e32 v6, v6
.LBB190_1450:
	s_or_b64 exec, exec, s[6:7]
.LBB190_1451:
	s_mov_b64 s[4:5], -1
.LBB190_1452:
	s_mov_b64 s[6:7], 0
.LBB190_1453:
	s_and_b64 vcc, exec, s[6:7]
	s_cbranch_vccz .LBB190_1486
; %bb.1454:
	s_cmp_gt_i32 s15, 22
	s_cbranch_scc0 .LBB190_1464
; %bb.1455:
	s_cmp_lt_i32 s15, 24
	s_cbranch_scc1 .LBB190_1467
; %bb.1456:
	s_cmp_gt_i32 s15, 24
	s_cbranch_scc0 .LBB190_1468
; %bb.1457:
	global_load_ubyte v7, v[0:1], off
	s_movk_i32 s2, 0x7f
	s_waitcnt vmcnt(0)
	v_cmp_lt_i16_e32 vcc, s2, v7
	s_mov_b64 s[2:3], 0
	s_and_saveexec_b64 s[4:5], vcc
	s_xor_b64 s[4:5], exec, s[4:5]
	s_cbranch_execz .LBB190_1480
; %bb.1458:
	s_movk_i32 s2, 0x80
	v_cmp_eq_u16_e32 vcc, s2, v7
	s_mov_b64 s[2:3], -1
	s_and_saveexec_b64 s[6:7], vcc
; %bb.1459:
	s_xor_b64 s[2:3], exec, -1
; %bb.1460:
	s_or_b64 exec, exec, s[6:7]
	s_and_b64 s[2:3], s[2:3], exec
	s_or_saveexec_b64 s[4:5], s[4:5]
	v_mov_b32_e32 v6, 0x7e00
	s_xor_b64 exec, exec, s[4:5]
	s_cbranch_execnz .LBB190_1481
.LBB190_1461:
	s_or_b64 exec, exec, s[4:5]
	s_and_saveexec_b64 s[4:5], s[2:3]
	s_cbranch_execz .LBB190_1463
.LBB190_1462:
	v_lshlrev_b32_e32 v6, 24, v7
	v_and_b32_e32 v7, 0xffff, v7
	v_and_b32_e32 v8, 3, v7
	v_ffbh_u32_e32 v10, v8
	v_min_u32_e32 v10, 32, v10
	v_subrev_u32_e32 v11, 29, v10
	v_bfe_u32 v9, v7, 2, 5
	v_lshlrev_b32_e32 v7, v11, v7
	v_sub_u32_e32 v10, 30, v10
	v_and_b32_e32 v7, 3, v7
	v_cmp_eq_u32_e32 vcc, 0, v9
	v_cndmask_b32_e32 v9, v9, v10, vcc
	v_cndmask_b32_e32 v7, v8, v7, vcc
	v_mov_b32_e32 v8, 0x37800000
	v_lshlrev_b32_e32 v7, 21, v7
	v_and_b32_e32 v6, 0x80000000, v6
	v_lshl_add_u32 v8, v9, 23, v8
	v_or3_b32 v6, v6, v8, v7
	v_cvt_f16_f32_e32 v6, v6
.LBB190_1463:
	s_or_b64 exec, exec, s[4:5]
	s_mov_b64 s[2:3], 0
	s_branch .LBB190_1469
.LBB190_1464:
	s_mov_b64 s[2:3], -1
                                        ; implicit-def: $vgpr6
	s_branch .LBB190_1475
.LBB190_1465:
	s_or_saveexec_b64 s[6:7], s[6:7]
	v_mov_b32_e32 v6, 0x7e00
	s_xor_b64 exec, exec, s[6:7]
	s_cbranch_execz .LBB190_1448
.LBB190_1466:
	v_cmp_ne_u16_e32 vcc, 0, v7
	s_andn2_b64 s[4:5], s[4:5], exec
	s_and_b64 s[10:11], vcc, exec
	s_or_b64 s[4:5], s[4:5], s[10:11]
	v_mov_b32_e32 v6, v7
	s_or_b64 exec, exec, s[6:7]
	s_and_saveexec_b64 s[6:7], s[4:5]
	s_cbranch_execnz .LBB190_1449
	s_branch .LBB190_1450
.LBB190_1467:
	s_mov_b64 s[2:3], -1
                                        ; implicit-def: $vgpr6
	s_branch .LBB190_1472
.LBB190_1468:
	s_mov_b64 s[2:3], -1
                                        ; implicit-def: $vgpr6
.LBB190_1469:
	s_and_b64 vcc, exec, s[2:3]
	s_cbranch_vccz .LBB190_1471
; %bb.1470:
	global_load_ubyte v6, v[0:1], off
	s_mov_b32 s2, 0x7f800000
	s_waitcnt vmcnt(0)
	v_lshlrev_b32_e32 v6, 24, v6
	v_and_b32_e32 v7, 0x7f000000, v6
	v_ffbh_u32_e32 v8, v7
	v_min_u32_e32 v8, 32, v8
	v_sub_u32_e64 v8, v8, 4 clamp
	v_lshlrev_b32_e32 v10, v8, v7
	v_lshlrev_b32_e32 v8, 23, v8
	v_lshrrev_b32_e32 v10, 4, v10
	v_add_u32_e32 v9, 0x1000000, v7
	v_sub_u32_e32 v8, v10, v8
	v_ashrrev_i32_e32 v9, 8, v9
	v_add_u32_e32 v8, 0x3c000000, v8
	v_and_or_b32 v8, v9, s2, v8
	v_cmp_ne_u32_e32 vcc, 0, v7
	v_cndmask_b32_e32 v7, 0, v8, vcc
	s_brev_b32 s2, 1
	v_and_or_b32 v6, v6, s2, v7
	v_cvt_f16_f32_e32 v6, v6
.LBB190_1471:
	s_mov_b64 s[2:3], 0
.LBB190_1472:
	s_andn2_b64 vcc, exec, s[2:3]
	s_cbranch_vccnz .LBB190_1474
; %bb.1473:
	global_load_ubyte v6, v[0:1], off
	s_movk_i32 s2, 0x7f00
	s_brev_b32 s3, 16
	s_waitcnt vmcnt(0)
	v_lshlrev_b16_e32 v7, 8, v6
	v_lshlrev_b32_e32 v6, 25, v6
	v_lshrrev_b32_e32 v8, 4, v6
	v_and_or_b32 v9, v7, s2, 0.5
	v_or_b32_e32 v8, 0x70000000, v8
	v_add_f32_e32 v9, -0.5, v9
	v_mul_f32_e32 v8, 0x7800000, v8
	v_cmp_gt_u32_e32 vcc, s3, v6
	v_bfe_i32 v7, v7, 0, 16
	v_cndmask_b32_e32 v6, v8, v9, vcc
	s_brev_b32 s2, 1
	v_and_or_b32 v6, v7, s2, v6
	v_cvt_f16_f32_e32 v6, v6
.LBB190_1474:
	s_mov_b64 s[2:3], 0
	s_mov_b64 s[4:5], -1
.LBB190_1475:
	s_andn2_b64 vcc, exec, s[2:3]
	s_mov_b64 s[2:3], 0
	s_cbranch_vccnz .LBB190_1486
; %bb.1476:
	s_cmp_gt_i32 s15, 14
	s_cbranch_scc0 .LBB190_1479
; %bb.1477:
	s_cmp_eq_u32 s15, 15
	s_cbranch_scc0 .LBB190_1482
; %bb.1478:
	global_load_ushort v6, v[0:1], off
	s_mov_b64 s[0:1], 0
	s_mov_b64 s[4:5], -1
	s_waitcnt vmcnt(0)
	v_lshlrev_b32_e32 v6, 16, v6
	v_cvt_f16_f32_e32 v6, v6
	s_branch .LBB190_1483
.LBB190_1479:
	s_mov_b64 s[6:7], -1
                                        ; implicit-def: $vgpr6
	s_branch .LBB190_1484
.LBB190_1480:
	s_or_saveexec_b64 s[4:5], s[4:5]
	v_mov_b32_e32 v6, 0x7e00
	s_xor_b64 exec, exec, s[4:5]
	s_cbranch_execz .LBB190_1461
.LBB190_1481:
	v_cmp_ne_u16_e32 vcc, 0, v7
	s_andn2_b64 s[2:3], s[2:3], exec
	s_and_b64 s[6:7], vcc, exec
	s_or_b64 s[2:3], s[2:3], s[6:7]
	v_mov_b32_e32 v6, v7
	s_or_b64 exec, exec, s[4:5]
	s_and_saveexec_b64 s[4:5], s[2:3]
	s_cbranch_execnz .LBB190_1462
	s_branch .LBB190_1463
.LBB190_1482:
	s_mov_b64 s[0:1], -1
                                        ; implicit-def: $vgpr6
.LBB190_1483:
	s_mov_b64 s[6:7], 0
.LBB190_1484:
	s_and_b64 vcc, exec, s[6:7]
	s_cbranch_vccz .LBB190_1486
; %bb.1485:
	s_cmp_lg_u32 s15, 11
	s_mov_b64 s[2:3], -1
	s_cselect_b64 s[0:1], -1, 0
.LBB190_1486:
	s_and_b64 vcc, exec, s[0:1]
	s_cbranch_vccnz .LBB190_2019
; %bb.1487:
	s_andn2_b64 vcc, exec, s[2:3]
	s_cbranch_vccnz .LBB190_1489
.LBB190_1488:
	global_load_ubyte v6, v[0:1], off
	v_mov_b32_e32 v7, 0x3c00
	s_mov_b64 s[4:5], -1
	s_waitcnt vmcnt(0)
	v_cmp_ne_u16_e32 vcc, 0, v6
	v_cndmask_b32_e32 v6, 0, v7, vcc
.LBB190_1489:
	s_mov_b64 s[0:1], 0
.LBB190_1490:
	s_and_b64 vcc, exec, s[0:1]
	s_cbranch_vccz .LBB190_1539
; %bb.1491:
	s_cmp_lt_i32 s15, 5
	s_cbranch_scc1 .LBB190_1496
; %bb.1492:
	s_cmp_lt_i32 s15, 8
	s_cbranch_scc1 .LBB190_1497
	;; [unrolled: 3-line block ×3, first 2 shown]
; %bb.1494:
	s_cmp_gt_i32 s15, 9
	s_cbranch_scc0 .LBB190_1499
; %bb.1495:
	global_load_dwordx2 v[6:7], v[0:1], off
	s_movk_i32 s0, 0x1ff
	s_movk_i32 s1, 0xffe
	v_mov_b32_e32 v8, 0x7c00
	v_mov_b32_e32 v9, 0x7e00
	s_movk_i32 s2, 0x40f
	s_mov_b32 s3, 0x8000
	s_waitcnt vmcnt(0)
	v_and_or_b32 v6, v7, s0, v6
	v_cmp_ne_u32_e32 vcc, 0, v6
	v_lshrrev_b32_e32 v10, 8, v7
	v_bfe_u32 v11, v7, 20, 11
	v_cndmask_b32_e64 v6, 0, 1, vcc
	v_sub_u32_e32 v12, 0x3f1, v11
	v_and_or_b32 v6, v10, s1, v6
	v_add_u32_e32 v11, 0xfffffc10, v11
	v_med3_i32 v10, v12, 0, 13
	v_or_b32_e32 v12, 0x1000, v6
	v_cmp_ne_u32_e32 vcc, 0, v6
	v_lshl_or_b32 v13, v11, 12, v6
	v_cndmask_b32_e32 v6, v8, v9, vcc
	v_lshrrev_b32_e32 v9, v10, v12
	v_lshlrev_b32_e32 v10, v10, v9
	v_cmp_ne_u32_e32 vcc, v10, v12
	v_cndmask_b32_e64 v10, 0, 1, vcc
	v_or_b32_e32 v9, v9, v10
	v_cmp_gt_i32_e32 vcc, 1, v11
	v_cndmask_b32_e32 v9, v13, v9, vcc
	v_and_b32_e32 v10, 7, v9
	v_cmp_lt_i32_e32 vcc, 5, v10
	v_cndmask_b32_e64 v12, 0, 1, vcc
	v_cmp_eq_u32_e32 vcc, 3, v10
	v_cndmask_b32_e64 v10, 0, 1, vcc
	v_lshrrev_b32_e32 v9, 2, v9
	v_or_b32_e32 v10, v10, v12
	v_add_u32_e32 v9, v9, v10
	v_cmp_gt_i32_e32 vcc, 31, v11
	v_cndmask_b32_e32 v8, v8, v9, vcc
	v_cmp_eq_u32_e32 vcc, s2, v11
	v_lshrrev_b32_e32 v7, 16, v7
	v_cndmask_b32_e32 v6, v8, v6, vcc
	v_and_or_b32 v6, v7, s3, v6
	s_mov_b64 s[0:1], 0
	s_branch .LBB190_1500
.LBB190_1496:
	s_mov_b64 s[0:1], -1
                                        ; implicit-def: $vgpr6
	s_branch .LBB190_1518
.LBB190_1497:
	s_mov_b64 s[0:1], -1
                                        ; implicit-def: $vgpr6
	s_branch .LBB190_1506
.LBB190_1498:
	s_mov_b64 s[0:1], -1
                                        ; implicit-def: $vgpr6
	s_branch .LBB190_1503
.LBB190_1499:
	s_mov_b64 s[0:1], -1
                                        ; implicit-def: $vgpr6
.LBB190_1500:
	s_andn2_b64 vcc, exec, s[0:1]
	s_cbranch_vccnz .LBB190_1502
; %bb.1501:
	global_load_dword v6, v[0:1], off
	s_waitcnt vmcnt(0)
	v_cvt_f16_f32_e32 v6, v6
.LBB190_1502:
	s_mov_b64 s[0:1], 0
.LBB190_1503:
	s_andn2_b64 vcc, exec, s[0:1]
	s_cbranch_vccnz .LBB190_1505
; %bb.1504:
	global_load_dword v6, v[0:1], off
.LBB190_1505:
	s_mov_b64 s[0:1], 0
.LBB190_1506:
	s_andn2_b64 vcc, exec, s[0:1]
	s_cbranch_vccnz .LBB190_1517
; %bb.1507:
	s_cmp_lt_i32 s15, 6
	s_cbranch_scc1 .LBB190_1510
; %bb.1508:
	s_cmp_gt_i32 s15, 6
	s_cbranch_scc0 .LBB190_1511
; %bb.1509:
	global_load_dwordx2 v[6:7], v[0:1], off
	s_movk_i32 s0, 0x1ff
	s_movk_i32 s1, 0xffe
	v_mov_b32_e32 v8, 0x7c00
	v_mov_b32_e32 v9, 0x7e00
	s_movk_i32 s2, 0x40f
	s_mov_b32 s3, 0x8000
	s_waitcnt vmcnt(0)
	v_and_or_b32 v6, v7, s0, v6
	v_cmp_ne_u32_e32 vcc, 0, v6
	v_lshrrev_b32_e32 v10, 8, v7
	v_bfe_u32 v11, v7, 20, 11
	v_cndmask_b32_e64 v6, 0, 1, vcc
	v_sub_u32_e32 v12, 0x3f1, v11
	v_and_or_b32 v6, v10, s1, v6
	v_add_u32_e32 v11, 0xfffffc10, v11
	v_med3_i32 v10, v12, 0, 13
	v_or_b32_e32 v12, 0x1000, v6
	v_cmp_ne_u32_e32 vcc, 0, v6
	v_lshl_or_b32 v13, v11, 12, v6
	v_cndmask_b32_e32 v6, v8, v9, vcc
	v_lshrrev_b32_e32 v9, v10, v12
	v_lshlrev_b32_e32 v10, v10, v9
	v_cmp_ne_u32_e32 vcc, v10, v12
	v_cndmask_b32_e64 v10, 0, 1, vcc
	v_or_b32_e32 v9, v9, v10
	v_cmp_gt_i32_e32 vcc, 1, v11
	v_cndmask_b32_e32 v9, v13, v9, vcc
	v_and_b32_e32 v10, 7, v9
	v_cmp_lt_i32_e32 vcc, 5, v10
	v_cndmask_b32_e64 v12, 0, 1, vcc
	v_cmp_eq_u32_e32 vcc, 3, v10
	v_cndmask_b32_e64 v10, 0, 1, vcc
	v_lshrrev_b32_e32 v9, 2, v9
	v_or_b32_e32 v10, v10, v12
	v_add_u32_e32 v9, v9, v10
	v_cmp_gt_i32_e32 vcc, 31, v11
	v_cndmask_b32_e32 v8, v8, v9, vcc
	v_cmp_eq_u32_e32 vcc, s2, v11
	v_lshrrev_b32_e32 v7, 16, v7
	v_cndmask_b32_e32 v6, v8, v6, vcc
	v_and_or_b32 v6, v7, s3, v6
	s_mov_b64 s[0:1], 0
	s_branch .LBB190_1512
.LBB190_1510:
	s_mov_b64 s[0:1], -1
                                        ; implicit-def: $vgpr6
	s_branch .LBB190_1515
.LBB190_1511:
	s_mov_b64 s[0:1], -1
                                        ; implicit-def: $vgpr6
.LBB190_1512:
	s_andn2_b64 vcc, exec, s[0:1]
	s_cbranch_vccnz .LBB190_1514
; %bb.1513:
	global_load_dword v6, v[0:1], off
	s_waitcnt vmcnt(0)
	v_cvt_f16_f32_e32 v6, v6
.LBB190_1514:
	s_mov_b64 s[0:1], 0
.LBB190_1515:
	s_andn2_b64 vcc, exec, s[0:1]
	s_cbranch_vccnz .LBB190_1517
; %bb.1516:
	global_load_ushort v6, v[0:1], off
.LBB190_1517:
	s_mov_b64 s[0:1], 0
.LBB190_1518:
	s_andn2_b64 vcc, exec, s[0:1]
	s_cbranch_vccnz .LBB190_1538
; %bb.1519:
	s_cmp_lt_i32 s15, 2
	s_cbranch_scc1 .LBB190_1523
; %bb.1520:
	s_cmp_lt_i32 s15, 3
	s_cbranch_scc1 .LBB190_1524
; %bb.1521:
	s_cmp_gt_i32 s15, 3
	s_cbranch_scc0 .LBB190_1525
; %bb.1522:
	global_load_dwordx2 v[6:7], v[0:1], off
	s_mov_b64 s[0:1], 0
	s_waitcnt vmcnt(0)
	v_xor_b32_e32 v9, v6, v7
	v_ffbh_i32_e32 v8, v7
	v_ashrrev_i32_e32 v9, 31, v9
	v_add_u32_e32 v8, -1, v8
	v_add_u32_e32 v9, 32, v9
	v_min_u32_e32 v8, v8, v9
	v_lshlrev_b64 v[6:7], v8, v[6:7]
	v_min_u32_e32 v6, 1, v6
	v_or_b32_e32 v6, v7, v6
	v_cvt_f32_i32_e32 v6, v6
	v_sub_u32_e32 v7, 32, v8
	v_ldexp_f32 v6, v6, v7
	v_cvt_f16_f32_e32 v6, v6
	s_branch .LBB190_1526
.LBB190_1523:
	s_mov_b64 s[0:1], -1
                                        ; implicit-def: $vgpr6
	s_branch .LBB190_1532
.LBB190_1524:
	s_mov_b64 s[0:1], -1
                                        ; implicit-def: $vgpr6
	s_branch .LBB190_1529
.LBB190_1525:
	s_mov_b64 s[0:1], -1
                                        ; implicit-def: $vgpr6
.LBB190_1526:
	s_andn2_b64 vcc, exec, s[0:1]
	s_cbranch_vccnz .LBB190_1528
; %bb.1527:
	global_load_dword v6, v[0:1], off
	s_waitcnt vmcnt(0)
	v_cvt_f32_i32_e32 v6, v6
	v_cvt_f16_f32_e32 v6, v6
.LBB190_1528:
	s_mov_b64 s[0:1], 0
.LBB190_1529:
	s_andn2_b64 vcc, exec, s[0:1]
	s_cbranch_vccnz .LBB190_1531
; %bb.1530:
	global_load_ushort v6, v[0:1], off
	s_waitcnt vmcnt(0)
	v_cvt_f16_i16_e32 v6, v6
.LBB190_1531:
	s_mov_b64 s[0:1], 0
.LBB190_1532:
	s_andn2_b64 vcc, exec, s[0:1]
	s_cbranch_vccnz .LBB190_1538
; %bb.1533:
	s_cmp_gt_i32 s15, 0
	s_cbranch_scc0 .LBB190_1535
; %bb.1534:
	global_load_sbyte v6, v[0:1], off
	s_mov_b64 s[0:1], 0
	s_waitcnt vmcnt(0)
	v_cvt_f16_i16_e32 v6, v6
	s_branch .LBB190_1536
.LBB190_1535:
	s_mov_b64 s[0:1], -1
                                        ; implicit-def: $vgpr6
.LBB190_1536:
	s_andn2_b64 vcc, exec, s[0:1]
	s_cbranch_vccnz .LBB190_1538
; %bb.1537:
	global_load_ubyte v0, v[0:1], off
	s_waitcnt vmcnt(0)
	v_cvt_f16_u16_e32 v6, v0
.LBB190_1538:
	s_mov_b64 s[4:5], -1
.LBB190_1539:
	s_andn2_b64 vcc, exec, s[4:5]
	s_cbranch_vccnz .LBB190_1973
; %bb.1540:
	s_waitcnt vmcnt(0)
	v_cmp_eq_f16_e32 vcc, s16, v3
	s_cmp_eq_u32 s14, 0
	v_cndmask_b32_e64 v0, 0, 1, vcc
	v_cmp_neq_f16_e32 vcc, s16, v3
	v_mul_lo_u32 v2, s12, v2
	v_cndmask_b32_e64 v1, 0, 1, vcc
	s_cselect_b64 s[0:1], -1, 0
	v_cndmask_b32_e64 v0, v1, v0, s[0:1]
	v_and_b32_e32 v0, 1, v0
	v_cmp_eq_u32_e64 s[2:3], 1, v0
	v_ashrrev_i32_e32 v1, 31, v2
	v_mov_b32_e32 v3, s9
	s_and_b32 s26, s17, 0xff
	v_add_co_u32_e32 v0, vcc, s8, v2
	s_cmp_lt_i32 s26, 11
	v_addc_co_u32_e32 v1, vcc, v3, v1, vcc
	s_cbranch_scc1 .LBB190_1618
; %bb.1541:
	s_and_b32 s13, 0xffff, s26
	s_mov_b64 s[14:15], -1
	s_mov_b64 s[6:7], 0
	s_cmp_gt_i32 s13, 25
	s_mov_b64 s[10:11], 0
	s_mov_b64 s[4:5], 0
	s_cbranch_scc0 .LBB190_1574
; %bb.1542:
	s_cmp_gt_i32 s13, 28
	s_cbranch_scc0 .LBB190_1557
; %bb.1543:
	s_cmp_gt_i32 s13, 43
	;; [unrolled: 3-line block ×3, first 2 shown]
	s_cbranch_scc0 .LBB190_1547
; %bb.1545:
	s_mov_b64 s[4:5], -1
	s_mov_b64 s[14:15], 0
	s_cmp_eq_u32 s13, 46
	s_cbranch_scc0 .LBB190_1547
; %bb.1546:
	v_cndmask_b32_e64 v3, 0, 1.0, s[2:3]
	v_bfe_u32 v7, v3, 16, 1
	s_movk_i32 s4, 0x7fff
	v_add3_u32 v3, v3, v7, s4
	v_lshrrev_b32_e32 v3, 16, v3
	global_store_dword v[0:1], v3, off
	s_mov_b64 s[4:5], 0
	s_mov_b64 s[10:11], -1
.LBB190_1547:
	s_and_b64 vcc, exec, s[14:15]
	s_cbranch_vccz .LBB190_1552
; %bb.1548:
	s_cmp_eq_u32 s13, 44
	s_mov_b64 s[4:5], -1
	s_cbranch_scc0 .LBB190_1552
; %bb.1549:
	v_cndmask_b32_e64 v7, 0, 1.0, s[2:3]
	v_lshrrev_b32_e32 v3, 23, v7
	s_movk_i32 s4, 0xff
	v_cmp_ne_u32_e32 vcc, s4, v3
	v_mov_b32_e32 v8, 0xff
	s_and_saveexec_b64 s[10:11], vcc
; %bb.1550:
	s_mov_b32 s4, 0x3fffff
	v_and_b32_e32 v8, 0x400000, v7
	v_and_or_b32 v7, v7, s4, v3
	v_cmp_ne_u32_e32 vcc, 0, v8
	v_cmp_ne_u32_e64 s[4:5], 0, v7
	s_and_b64 s[4:5], vcc, s[4:5]
	v_cndmask_b32_e64 v7, 0, 1, s[4:5]
	v_add_u32_e32 v8, v3, v7
; %bb.1551:
	s_or_b64 exec, exec, s[10:11]
	s_mov_b64 s[4:5], 0
	s_mov_b64 s[10:11], -1
	global_store_byte v[0:1], v8, off
.LBB190_1552:
	s_mov_b64 s[14:15], 0
.LBB190_1553:
	s_and_b64 vcc, exec, s[14:15]
	s_cbranch_vccz .LBB190_1556
; %bb.1554:
	s_cmp_eq_u32 s13, 29
	s_mov_b64 s[4:5], -1
	s_cbranch_scc0 .LBB190_1556
; %bb.1555:
	s_mov_b32 s4, 0
	v_cndmask_b32_e64 v7, 0, 1, s[2:3]
	v_mov_b32_e32 v8, s4
	global_store_dwordx2 v[0:1], v[7:8], off
	s_mov_b64 s[4:5], 0
	s_mov_b64 s[10:11], -1
.LBB190_1556:
	s_mov_b64 s[14:15], 0
.LBB190_1557:
	s_and_b64 vcc, exec, s[14:15]
	s_cbranch_vccz .LBB190_1573
; %bb.1558:
	s_cmp_lt_i32 s13, 27
	s_mov_b64 s[10:11], -1
	s_cbranch_scc1 .LBB190_1564
; %bb.1559:
	s_cmp_gt_i32 s13, 27
	s_cbranch_scc0 .LBB190_1561
; %bb.1560:
	v_cndmask_b32_e64 v3, 0, 1, s[2:3]
	s_mov_b64 s[10:11], 0
	global_store_dword v[0:1], v3, off
.LBB190_1561:
	s_andn2_b64 vcc, exec, s[10:11]
	s_cbranch_vccnz .LBB190_1563
; %bb.1562:
	v_cndmask_b32_e64 v3, 0, 1, s[2:3]
	global_store_short v[0:1], v3, off
.LBB190_1563:
	s_mov_b64 s[10:11], 0
.LBB190_1564:
	s_andn2_b64 vcc, exec, s[10:11]
	s_cbranch_vccnz .LBB190_1572
; %bb.1565:
	v_cndmask_b32_e64 v7, 0, 1.0, s[2:3]
	s_mov_b32 s10, 0x43800000
	v_cmp_gt_u32_e32 vcc, s10, v7
	v_mov_b32_e32 v8, 0x80
	s_and_saveexec_b64 s[10:11], vcc
	s_cbranch_execz .LBB190_1571
; %bb.1566:
	s_mov_b32 s14, 0x3bffffff
	v_cmp_lt_u32_e32 vcc, s14, v7
	s_mov_b64 s[14:15], 0
                                        ; implicit-def: $vgpr3
	s_and_saveexec_b64 s[24:25], vcc
	s_xor_b64 s[24:25], exec, s[24:25]
	s_cbranch_execz .LBB190_2020
; %bb.1567:
	v_bfe_u32 v3, v7, 20, 1
	s_mov_b32 s17, 0x487ffff
	v_add3_u32 v3, v7, v3, s17
	s_mov_b64 s[14:15], exec
	v_lshrrev_b32_e32 v3, 20, v3
                                        ; implicit-def: $vgpr7
	s_andn2_saveexec_b64 s[24:25], s[24:25]
	s_cbranch_execnz .LBB190_2021
.LBB190_1568:
	s_or_b64 exec, exec, s[24:25]
	v_mov_b32_e32 v8, 0
	s_and_saveexec_b64 s[24:25], s[14:15]
.LBB190_1569:
	v_mov_b32_e32 v8, v3
.LBB190_1570:
	s_or_b64 exec, exec, s[24:25]
.LBB190_1571:
	s_or_b64 exec, exec, s[10:11]
	global_store_byte v[0:1], v8, off
.LBB190_1572:
	s_mov_b64 s[10:11], -1
.LBB190_1573:
	s_mov_b64 s[14:15], 0
.LBB190_1574:
	s_and_b64 vcc, exec, s[14:15]
	s_cbranch_vccz .LBB190_1614
; %bb.1575:
	s_cmp_gt_i32 s13, 22
	s_mov_b64 s[6:7], -1
	s_cbranch_scc0 .LBB190_1607
; %bb.1576:
	s_cmp_lt_i32 s13, 24
	s_cbranch_scc1 .LBB190_1596
; %bb.1577:
	s_cmp_gt_i32 s13, 24
	s_cbranch_scc0 .LBB190_1585
; %bb.1578:
	v_cndmask_b32_e64 v7, 0, 1.0, s[2:3]
	s_mov_b32 s6, 0x47800000
	v_cmp_gt_u32_e32 vcc, s6, v7
	v_mov_b32_e32 v8, 0x80
	s_and_saveexec_b64 s[6:7], vcc
	s_cbranch_execz .LBB190_1584
; %bb.1579:
	s_mov_b32 s10, 0x37ffffff
	v_cmp_lt_u32_e32 vcc, s10, v7
	s_mov_b64 s[10:11], 0
                                        ; implicit-def: $vgpr3
	s_and_saveexec_b64 s[14:15], vcc
	s_xor_b64 s[14:15], exec, s[14:15]
	s_cbranch_execz .LBB190_2023
; %bb.1580:
	v_bfe_u32 v3, v7, 21, 1
	s_mov_b32 s17, 0x88fffff
	v_add3_u32 v3, v7, v3, s17
	s_mov_b64 s[10:11], exec
	v_lshrrev_b32_e32 v3, 21, v3
                                        ; implicit-def: $vgpr7
	s_andn2_saveexec_b64 s[14:15], s[14:15]
	s_cbranch_execnz .LBB190_2024
.LBB190_1581:
	s_or_b64 exec, exec, s[14:15]
	v_mov_b32_e32 v8, 0
	s_and_saveexec_b64 s[14:15], s[10:11]
.LBB190_1582:
	v_mov_b32_e32 v8, v3
.LBB190_1583:
	s_or_b64 exec, exec, s[14:15]
.LBB190_1584:
	s_or_b64 exec, exec, s[6:7]
	s_mov_b64 s[6:7], 0
	global_store_byte v[0:1], v8, off
.LBB190_1585:
	s_and_b64 vcc, exec, s[6:7]
	s_cbranch_vccz .LBB190_1595
; %bb.1586:
	v_cndmask_b32_e64 v3, 0, 1.0, s[2:3]
	s_mov_b32 s6, 0x43f00000
	v_cmp_gt_u32_e32 vcc, s6, v3
                                        ; implicit-def: $vgpr7
	s_and_saveexec_b64 s[6:7], vcc
	s_xor_b64 s[6:7], exec, s[6:7]
	s_cbranch_execz .LBB190_1592
; %bb.1587:
	s_mov_b32 s10, 0x3c7fffff
	v_cmp_lt_u32_e32 vcc, s10, v3
                                        ; implicit-def: $vgpr7
	s_and_saveexec_b64 s[10:11], vcc
	s_xor_b64 s[10:11], exec, s[10:11]
; %bb.1588:
	v_bfe_u32 v7, v3, 20, 1
	s_mov_b32 s14, 0x407ffff
	v_add3_u32 v3, v3, v7, s14
	v_lshrrev_b32_e32 v7, 20, v3
	v_and_b32_e32 v3, 0xff00000, v3
	s_mov_b32 s14, 0x7f00000
	v_mov_b32_e32 v8, 0x7e
	v_cmp_ne_u32_e32 vcc, s14, v3
	v_cndmask_b32_e32 v7, v8, v7, vcc
                                        ; implicit-def: $vgpr3
; %bb.1589:
	s_andn2_saveexec_b64 s[10:11], s[10:11]
; %bb.1590:
	v_add_f32_e32 v7, 0x46800000, v3
; %bb.1591:
	s_or_b64 exec, exec, s[10:11]
                                        ; implicit-def: $vgpr3
.LBB190_1592:
	s_andn2_saveexec_b64 s[6:7], s[6:7]
; %bb.1593:
	s_mov_b32 s10, 0x7f800000
	v_mov_b32_e32 v7, 0x7e
	v_mov_b32_e32 v8, 0x7f
	v_cmp_lt_u32_e32 vcc, s10, v3
	v_cndmask_b32_e32 v7, v7, v8, vcc
; %bb.1594:
	s_or_b64 exec, exec, s[6:7]
	global_store_byte v[0:1], v7, off
.LBB190_1595:
	s_mov_b64 s[6:7], 0
.LBB190_1596:
	s_andn2_b64 vcc, exec, s[6:7]
	s_cbranch_vccnz .LBB190_1606
; %bb.1597:
	v_cndmask_b32_e64 v3, 0, 1.0, s[2:3]
	s_mov_b32 s6, 0x47800000
	v_cmp_gt_u32_e32 vcc, s6, v3
                                        ; implicit-def: $vgpr7
	s_and_saveexec_b64 s[6:7], vcc
	s_xor_b64 s[6:7], exec, s[6:7]
	s_cbranch_execz .LBB190_1603
; %bb.1598:
	s_mov_b32 s10, 0x387fffff
	v_cmp_lt_u32_e32 vcc, s10, v3
                                        ; implicit-def: $vgpr7
	s_and_saveexec_b64 s[10:11], vcc
	s_xor_b64 s[10:11], exec, s[10:11]
; %bb.1599:
	v_bfe_u32 v7, v3, 21, 1
	s_mov_b32 s14, 0x80fffff
	v_add3_u32 v3, v3, v7, s14
	v_lshrrev_b32_e32 v7, 21, v3
                                        ; implicit-def: $vgpr3
; %bb.1600:
	s_andn2_saveexec_b64 s[10:11], s[10:11]
; %bb.1601:
	v_add_f32_e32 v7, 0x43000000, v3
; %bb.1602:
	s_or_b64 exec, exec, s[10:11]
                                        ; implicit-def: $vgpr3
.LBB190_1603:
	s_andn2_saveexec_b64 s[6:7], s[6:7]
; %bb.1604:
	s_mov_b32 s10, 0x7f800000
	v_mov_b32_e32 v7, 0x7c
	v_mov_b32_e32 v8, 0x7f
	v_cmp_lt_u32_e32 vcc, s10, v3
	v_cndmask_b32_e32 v7, v7, v8, vcc
; %bb.1605:
	s_or_b64 exec, exec, s[6:7]
	global_store_byte v[0:1], v7, off
.LBB190_1606:
	s_mov_b64 s[6:7], 0
	s_mov_b64 s[10:11], -1
.LBB190_1607:
	s_andn2_b64 vcc, exec, s[6:7]
	s_mov_b64 s[6:7], 0
	s_cbranch_vccnz .LBB190_1614
; %bb.1608:
	s_cmp_gt_i32 s13, 14
	s_mov_b64 s[14:15], -1
	s_cbranch_scc0 .LBB190_1612
; %bb.1609:
	s_cmp_eq_u32 s13, 15
	s_mov_b64 s[4:5], -1
	s_cbranch_scc0 .LBB190_1611
; %bb.1610:
	v_cndmask_b32_e64 v3, 0, 1.0, s[2:3]
	v_bfe_u32 v7, v3, 16, 1
	s_movk_i32 s4, 0x7fff
	v_add3_u32 v3, v3, v7, s4
	global_store_short_d16_hi v[0:1], v3, off
	s_mov_b64 s[4:5], 0
	s_mov_b64 s[10:11], -1
.LBB190_1611:
	s_mov_b64 s[14:15], 0
.LBB190_1612:
	s_and_b64 vcc, exec, s[14:15]
	s_cbranch_vccz .LBB190_1614
; %bb.1613:
	s_cmp_lg_u32 s13, 11
	s_mov_b64 s[6:7], -1
	s_cselect_b64 s[4:5], -1, 0
.LBB190_1614:
	s_and_b64 vcc, exec, s[4:5]
	s_cbranch_vccnz .LBB190_2022
; %bb.1615:
	s_andn2_b64 vcc, exec, s[6:7]
	s_cbranch_vccnz .LBB190_1617
.LBB190_1616:
	v_cndmask_b32_e64 v3, 0, 1, s[2:3]
	s_mov_b64 s[10:11], -1
	global_store_byte v[0:1], v3, off
.LBB190_1617:
	s_mov_b64 s[4:5], 0
	s_branch .LBB190_1619
.LBB190_1618:
	s_mov_b64 s[4:5], -1
	s_mov_b64 s[10:11], 0
.LBB190_1619:
	s_and_b64 vcc, exec, s[4:5]
	s_cbranch_vccz .LBB190_1658
; %bb.1620:
	s_and_b32 s6, 0xffff, s26
	s_cmp_lt_i32 s6, 5
	s_mov_b64 s[4:5], -1
	s_cbranch_scc1 .LBB190_1641
; %bb.1621:
	s_cmp_lt_i32 s6, 8
	s_cbranch_scc1 .LBB190_1631
; %bb.1622:
	s_cmp_lt_i32 s6, 9
	s_cbranch_scc1 .LBB190_1628
; %bb.1623:
	s_cmp_gt_i32 s6, 9
	s_cbranch_scc0 .LBB190_1625
; %bb.1624:
	v_cndmask_b32_e64 v3, 0, 1, s[2:3]
	v_cvt_f64_u32_e32 v[7:8], v3
	v_mov_b32_e32 v9, 0
	v_mov_b32_e32 v10, v9
	s_mov_b64 s[4:5], 0
	global_store_dwordx4 v[0:1], v[7:10], off
.LBB190_1625:
	s_andn2_b64 vcc, exec, s[4:5]
	s_cbranch_vccnz .LBB190_1627
; %bb.1626:
	v_cndmask_b32_e64 v7, 0, 1.0, s[2:3]
	v_mov_b32_e32 v8, 0
	global_store_dwordx2 v[0:1], v[7:8], off
.LBB190_1627:
	s_mov_b64 s[4:5], 0
.LBB190_1628:
	s_andn2_b64 vcc, exec, s[4:5]
	s_cbranch_vccnz .LBB190_1630
; %bb.1629:
	v_cndmask_b32_e64 v3, 0, 1.0, s[2:3]
	v_cvt_f16_f32_e32 v3, v3
	global_store_dword v[0:1], v3, off
.LBB190_1630:
	s_mov_b64 s[4:5], 0
.LBB190_1631:
	s_andn2_b64 vcc, exec, s[4:5]
	s_cbranch_vccnz .LBB190_1640
; %bb.1632:
	s_cmp_lt_i32 s6, 6
	s_mov_b64 s[4:5], -1
	s_cbranch_scc1 .LBB190_1638
; %bb.1633:
	s_cmp_gt_i32 s6, 6
	s_cbranch_scc0 .LBB190_1635
; %bb.1634:
	v_cndmask_b32_e64 v3, 0, 1, s[2:3]
	v_cvt_f64_u32_e32 v[7:8], v3
	s_mov_b64 s[4:5], 0
	global_store_dwordx2 v[0:1], v[7:8], off
.LBB190_1635:
	s_andn2_b64 vcc, exec, s[4:5]
	s_cbranch_vccnz .LBB190_1637
; %bb.1636:
	v_cndmask_b32_e64 v3, 0, 1.0, s[2:3]
	global_store_dword v[0:1], v3, off
.LBB190_1637:
	s_mov_b64 s[4:5], 0
.LBB190_1638:
	s_andn2_b64 vcc, exec, s[4:5]
	s_cbranch_vccnz .LBB190_1640
; %bb.1639:
	v_cndmask_b32_e64 v3, 0, 1.0, s[2:3]
	v_cvt_f16_f32_e32 v3, v3
	global_store_short v[0:1], v3, off
.LBB190_1640:
	s_mov_b64 s[4:5], 0
.LBB190_1641:
	s_andn2_b64 vcc, exec, s[4:5]
	s_cbranch_vccnz .LBB190_1657
; %bb.1642:
	s_cmp_lt_i32 s6, 2
	s_mov_b64 s[4:5], -1
	s_cbranch_scc1 .LBB190_1652
; %bb.1643:
	s_cmp_lt_i32 s6, 3
	s_cbranch_scc1 .LBB190_1649
; %bb.1644:
	s_cmp_gt_i32 s6, 3
	s_cbranch_scc0 .LBB190_1646
; %bb.1645:
	s_mov_b32 s4, 0
	v_cndmask_b32_e64 v7, 0, 1, s[2:3]
	v_mov_b32_e32 v8, s4
	global_store_dwordx2 v[0:1], v[7:8], off
	s_mov_b64 s[4:5], 0
.LBB190_1646:
	s_andn2_b64 vcc, exec, s[4:5]
	s_cbranch_vccnz .LBB190_1648
; %bb.1647:
	v_cndmask_b32_e64 v3, 0, 1, s[2:3]
	global_store_dword v[0:1], v3, off
.LBB190_1648:
	s_mov_b64 s[4:5], 0
.LBB190_1649:
	s_andn2_b64 vcc, exec, s[4:5]
	s_cbranch_vccnz .LBB190_1651
; %bb.1650:
	v_cndmask_b32_e64 v3, 0, 1, s[2:3]
	global_store_short v[0:1], v3, off
.LBB190_1651:
	s_mov_b64 s[4:5], 0
.LBB190_1652:
	s_andn2_b64 vcc, exec, s[4:5]
	s_cbranch_vccnz .LBB190_1657
; %bb.1653:
	s_mov_b64 s[4:5], -1
	s_cmp_gt_i32 s6, 0
	v_cndmask_b32_e64 v3, 0, 1, s[2:3]
	s_cbranch_scc0 .LBB190_1655
; %bb.1654:
	global_store_byte v[0:1], v3, off
	s_mov_b64 s[4:5], 0
.LBB190_1655:
	s_andn2_b64 vcc, exec, s[4:5]
	s_cbranch_vccnz .LBB190_1657
; %bb.1656:
	global_store_byte v[0:1], v3, off
.LBB190_1657:
	s_mov_b64 s[10:11], -1
.LBB190_1658:
	s_andn2_b64 vcc, exec, s[10:11]
	s_cbranch_vccnz .LBB190_1973
; %bb.1659:
	v_cmp_eq_f16_e32 vcc, s16, v4
	v_cndmask_b32_e64 v0, 0, 1, vcc
	v_cmp_neq_f16_e32 vcc, s16, v4
	v_cndmask_b32_e64 v1, 0, 1, vcc
	v_cndmask_b32_e64 v0, v1, v0, s[0:1]
	s_lshl_b32 s17, s12, 7
	v_and_b32_e32 v0, 1, v0
	v_add_u32_e32 v2, s17, v2
	v_cmp_eq_u32_e64 s[2:3], 1, v0
	v_ashrrev_i32_e32 v1, 31, v2
	v_mov_b32_e32 v3, s9
	v_add_co_u32_e32 v0, vcc, s8, v2
	s_cmp_lt_i32 s26, 11
	v_addc_co_u32_e32 v1, vcc, v3, v1, vcc
	s_cbranch_scc1 .LBB190_1737
; %bb.1660:
	s_and_b32 s24, 0xffff, s26
	s_mov_b64 s[12:13], -1
	s_mov_b64 s[6:7], 0
	s_cmp_gt_i32 s24, 25
	s_mov_b64 s[10:11], 0
	s_mov_b64 s[4:5], 0
	s_cbranch_scc0 .LBB190_1693
; %bb.1661:
	s_cmp_gt_i32 s24, 28
	s_cbranch_scc0 .LBB190_1676
; %bb.1662:
	s_cmp_gt_i32 s24, 43
	;; [unrolled: 3-line block ×3, first 2 shown]
	s_cbranch_scc0 .LBB190_1666
; %bb.1664:
	s_mov_b64 s[4:5], -1
	s_mov_b64 s[12:13], 0
	s_cmp_eq_u32 s24, 46
	s_cbranch_scc0 .LBB190_1666
; %bb.1665:
	v_cndmask_b32_e64 v3, 0, 1.0, s[2:3]
	v_bfe_u32 v4, v3, 16, 1
	s_movk_i32 s4, 0x7fff
	v_add3_u32 v3, v3, v4, s4
	v_lshrrev_b32_e32 v3, 16, v3
	global_store_dword v[0:1], v3, off
	s_mov_b64 s[4:5], 0
	s_mov_b64 s[10:11], -1
.LBB190_1666:
	s_and_b64 vcc, exec, s[12:13]
	s_cbranch_vccz .LBB190_1671
; %bb.1667:
	s_cmp_eq_u32 s24, 44
	s_mov_b64 s[4:5], -1
	s_cbranch_scc0 .LBB190_1671
; %bb.1668:
	v_cndmask_b32_e64 v4, 0, 1.0, s[2:3]
	v_lshrrev_b32_e32 v3, 23, v4
	s_movk_i32 s4, 0xff
	v_cmp_ne_u32_e32 vcc, s4, v3
	v_mov_b32_e32 v7, 0xff
	s_and_saveexec_b64 s[10:11], vcc
; %bb.1669:
	s_mov_b32 s4, 0x3fffff
	v_and_b32_e32 v7, 0x400000, v4
	v_and_or_b32 v4, v4, s4, v3
	v_cmp_ne_u32_e32 vcc, 0, v7
	v_cmp_ne_u32_e64 s[4:5], 0, v4
	s_and_b64 s[4:5], vcc, s[4:5]
	v_cndmask_b32_e64 v4, 0, 1, s[4:5]
	v_add_u32_e32 v7, v3, v4
; %bb.1670:
	s_or_b64 exec, exec, s[10:11]
	s_mov_b64 s[4:5], 0
	s_mov_b64 s[10:11], -1
	global_store_byte v[0:1], v7, off
.LBB190_1671:
	s_mov_b64 s[12:13], 0
.LBB190_1672:
	s_and_b64 vcc, exec, s[12:13]
	s_cbranch_vccz .LBB190_1675
; %bb.1673:
	s_cmp_eq_u32 s24, 29
	s_mov_b64 s[4:5], -1
	s_cbranch_scc0 .LBB190_1675
; %bb.1674:
	s_mov_b32 s4, 0
	v_cndmask_b32_e64 v3, 0, 1, s[2:3]
	v_mov_b32_e32 v4, s4
	global_store_dwordx2 v[0:1], v[3:4], off
	s_mov_b64 s[4:5], 0
	s_mov_b64 s[10:11], -1
.LBB190_1675:
	s_mov_b64 s[12:13], 0
.LBB190_1676:
	s_and_b64 vcc, exec, s[12:13]
	s_cbranch_vccz .LBB190_1692
; %bb.1677:
	s_cmp_lt_i32 s24, 27
	s_mov_b64 s[10:11], -1
	s_cbranch_scc1 .LBB190_1683
; %bb.1678:
	s_cmp_gt_i32 s24, 27
	s_cbranch_scc0 .LBB190_1680
; %bb.1679:
	v_cndmask_b32_e64 v3, 0, 1, s[2:3]
	s_mov_b64 s[10:11], 0
	global_store_dword v[0:1], v3, off
.LBB190_1680:
	s_andn2_b64 vcc, exec, s[10:11]
	s_cbranch_vccnz .LBB190_1682
; %bb.1681:
	v_cndmask_b32_e64 v3, 0, 1, s[2:3]
	global_store_short v[0:1], v3, off
.LBB190_1682:
	s_mov_b64 s[10:11], 0
.LBB190_1683:
	s_andn2_b64 vcc, exec, s[10:11]
	s_cbranch_vccnz .LBB190_1691
; %bb.1684:
	v_cndmask_b32_e64 v4, 0, 1.0, s[2:3]
	s_mov_b32 s10, 0x43800000
	v_cmp_gt_u32_e32 vcc, s10, v4
	v_mov_b32_e32 v7, 0x80
	s_and_saveexec_b64 s[10:11], vcc
	s_cbranch_execz .LBB190_1690
; %bb.1685:
	s_mov_b32 s12, 0x3bffffff
	v_cmp_lt_u32_e32 vcc, s12, v4
	s_mov_b64 s[12:13], 0
                                        ; implicit-def: $vgpr3
	s_and_saveexec_b64 s[14:15], vcc
	s_xor_b64 s[14:15], exec, s[14:15]
	s_cbranch_execz .LBB190_2025
; %bb.1686:
	v_bfe_u32 v3, v4, 20, 1
	s_mov_b32 s25, 0x487ffff
	v_add3_u32 v3, v4, v3, s25
	s_mov_b64 s[12:13], exec
	v_lshrrev_b32_e32 v3, 20, v3
                                        ; implicit-def: $vgpr4
	s_andn2_saveexec_b64 s[14:15], s[14:15]
	s_cbranch_execnz .LBB190_2026
.LBB190_1687:
	s_or_b64 exec, exec, s[14:15]
	v_mov_b32_e32 v7, 0
	s_and_saveexec_b64 s[14:15], s[12:13]
.LBB190_1688:
	v_mov_b32_e32 v7, v3
.LBB190_1689:
	s_or_b64 exec, exec, s[14:15]
.LBB190_1690:
	s_or_b64 exec, exec, s[10:11]
	global_store_byte v[0:1], v7, off
.LBB190_1691:
	s_mov_b64 s[10:11], -1
.LBB190_1692:
	s_mov_b64 s[12:13], 0
.LBB190_1693:
	s_and_b64 vcc, exec, s[12:13]
	s_cbranch_vccz .LBB190_1733
; %bb.1694:
	s_cmp_gt_i32 s24, 22
	s_mov_b64 s[6:7], -1
	s_cbranch_scc0 .LBB190_1726
; %bb.1695:
	s_cmp_lt_i32 s24, 24
	s_cbranch_scc1 .LBB190_1715
; %bb.1696:
	s_cmp_gt_i32 s24, 24
	s_cbranch_scc0 .LBB190_1704
; %bb.1697:
	v_cndmask_b32_e64 v4, 0, 1.0, s[2:3]
	s_mov_b32 s6, 0x47800000
	v_cmp_gt_u32_e32 vcc, s6, v4
	v_mov_b32_e32 v7, 0x80
	s_and_saveexec_b64 s[6:7], vcc
	s_cbranch_execz .LBB190_1703
; %bb.1698:
	s_mov_b32 s10, 0x37ffffff
	v_cmp_lt_u32_e32 vcc, s10, v4
	s_mov_b64 s[10:11], 0
                                        ; implicit-def: $vgpr3
	s_and_saveexec_b64 s[12:13], vcc
	s_xor_b64 s[12:13], exec, s[12:13]
	s_cbranch_execz .LBB190_2028
; %bb.1699:
	v_bfe_u32 v3, v4, 21, 1
	s_mov_b32 s14, 0x88fffff
	v_add3_u32 v3, v4, v3, s14
	s_mov_b64 s[10:11], exec
	v_lshrrev_b32_e32 v3, 21, v3
                                        ; implicit-def: $vgpr4
	s_andn2_saveexec_b64 s[12:13], s[12:13]
	s_cbranch_execnz .LBB190_2029
.LBB190_1700:
	s_or_b64 exec, exec, s[12:13]
	v_mov_b32_e32 v7, 0
	s_and_saveexec_b64 s[12:13], s[10:11]
.LBB190_1701:
	v_mov_b32_e32 v7, v3
.LBB190_1702:
	s_or_b64 exec, exec, s[12:13]
.LBB190_1703:
	s_or_b64 exec, exec, s[6:7]
	s_mov_b64 s[6:7], 0
	global_store_byte v[0:1], v7, off
.LBB190_1704:
	s_and_b64 vcc, exec, s[6:7]
	s_cbranch_vccz .LBB190_1714
; %bb.1705:
	v_cndmask_b32_e64 v3, 0, 1.0, s[2:3]
	s_mov_b32 s6, 0x43f00000
	v_cmp_gt_u32_e32 vcc, s6, v3
                                        ; implicit-def: $vgpr4
	s_and_saveexec_b64 s[6:7], vcc
	s_xor_b64 s[6:7], exec, s[6:7]
	s_cbranch_execz .LBB190_1711
; %bb.1706:
	s_mov_b32 s10, 0x3c7fffff
	v_cmp_lt_u32_e32 vcc, s10, v3
                                        ; implicit-def: $vgpr4
	s_and_saveexec_b64 s[10:11], vcc
	s_xor_b64 s[10:11], exec, s[10:11]
; %bb.1707:
	v_bfe_u32 v4, v3, 20, 1
	s_mov_b32 s12, 0x407ffff
	v_add3_u32 v3, v3, v4, s12
	v_lshrrev_b32_e32 v4, 20, v3
	v_and_b32_e32 v3, 0xff00000, v3
	s_mov_b32 s12, 0x7f00000
	v_mov_b32_e32 v7, 0x7e
	v_cmp_ne_u32_e32 vcc, s12, v3
	v_cndmask_b32_e32 v4, v7, v4, vcc
                                        ; implicit-def: $vgpr3
; %bb.1708:
	s_andn2_saveexec_b64 s[10:11], s[10:11]
; %bb.1709:
	v_add_f32_e32 v4, 0x46800000, v3
; %bb.1710:
	s_or_b64 exec, exec, s[10:11]
                                        ; implicit-def: $vgpr3
.LBB190_1711:
	s_andn2_saveexec_b64 s[6:7], s[6:7]
; %bb.1712:
	s_mov_b32 s10, 0x7f800000
	v_mov_b32_e32 v4, 0x7e
	v_mov_b32_e32 v7, 0x7f
	v_cmp_lt_u32_e32 vcc, s10, v3
	v_cndmask_b32_e32 v4, v4, v7, vcc
; %bb.1713:
	s_or_b64 exec, exec, s[6:7]
	global_store_byte v[0:1], v4, off
.LBB190_1714:
	s_mov_b64 s[6:7], 0
.LBB190_1715:
	s_andn2_b64 vcc, exec, s[6:7]
	s_cbranch_vccnz .LBB190_1725
; %bb.1716:
	v_cndmask_b32_e64 v3, 0, 1.0, s[2:3]
	s_mov_b32 s6, 0x47800000
	v_cmp_gt_u32_e32 vcc, s6, v3
                                        ; implicit-def: $vgpr4
	s_and_saveexec_b64 s[6:7], vcc
	s_xor_b64 s[6:7], exec, s[6:7]
	s_cbranch_execz .LBB190_1722
; %bb.1717:
	s_mov_b32 s10, 0x387fffff
	v_cmp_lt_u32_e32 vcc, s10, v3
                                        ; implicit-def: $vgpr4
	s_and_saveexec_b64 s[10:11], vcc
	s_xor_b64 s[10:11], exec, s[10:11]
; %bb.1718:
	v_bfe_u32 v4, v3, 21, 1
	s_mov_b32 s12, 0x80fffff
	v_add3_u32 v3, v3, v4, s12
	v_lshrrev_b32_e32 v4, 21, v3
                                        ; implicit-def: $vgpr3
; %bb.1719:
	s_andn2_saveexec_b64 s[10:11], s[10:11]
; %bb.1720:
	v_add_f32_e32 v4, 0x43000000, v3
; %bb.1721:
	s_or_b64 exec, exec, s[10:11]
                                        ; implicit-def: $vgpr3
.LBB190_1722:
	s_andn2_saveexec_b64 s[6:7], s[6:7]
; %bb.1723:
	s_mov_b32 s10, 0x7f800000
	v_mov_b32_e32 v4, 0x7c
	v_mov_b32_e32 v7, 0x7f
	v_cmp_lt_u32_e32 vcc, s10, v3
	v_cndmask_b32_e32 v4, v4, v7, vcc
; %bb.1724:
	s_or_b64 exec, exec, s[6:7]
	global_store_byte v[0:1], v4, off
.LBB190_1725:
	s_mov_b64 s[6:7], 0
	s_mov_b64 s[10:11], -1
.LBB190_1726:
	s_andn2_b64 vcc, exec, s[6:7]
	s_mov_b64 s[6:7], 0
	s_cbranch_vccnz .LBB190_1733
; %bb.1727:
	s_cmp_gt_i32 s24, 14
	s_mov_b64 s[12:13], -1
	s_cbranch_scc0 .LBB190_1731
; %bb.1728:
	s_cmp_eq_u32 s24, 15
	s_mov_b64 s[4:5], -1
	s_cbranch_scc0 .LBB190_1730
; %bb.1729:
	v_cndmask_b32_e64 v3, 0, 1.0, s[2:3]
	v_bfe_u32 v4, v3, 16, 1
	s_movk_i32 s4, 0x7fff
	v_add3_u32 v3, v3, v4, s4
	global_store_short_d16_hi v[0:1], v3, off
	s_mov_b64 s[4:5], 0
	s_mov_b64 s[10:11], -1
.LBB190_1730:
	s_mov_b64 s[12:13], 0
.LBB190_1731:
	s_and_b64 vcc, exec, s[12:13]
	s_cbranch_vccz .LBB190_1733
; %bb.1732:
	s_cmp_lg_u32 s24, 11
	s_mov_b64 s[6:7], -1
	s_cselect_b64 s[4:5], -1, 0
.LBB190_1733:
	s_and_b64 vcc, exec, s[4:5]
	s_cbranch_vccnz .LBB190_2027
; %bb.1734:
	s_andn2_b64 vcc, exec, s[6:7]
	s_cbranch_vccnz .LBB190_1736
.LBB190_1735:
	v_cndmask_b32_e64 v3, 0, 1, s[2:3]
	s_mov_b64 s[10:11], -1
	global_store_byte v[0:1], v3, off
.LBB190_1736:
	s_mov_b64 s[4:5], 0
	s_branch .LBB190_1738
.LBB190_1737:
	s_mov_b64 s[4:5], -1
	s_mov_b64 s[10:11], 0
.LBB190_1738:
	s_and_b64 vcc, exec, s[4:5]
	s_cbranch_vccz .LBB190_1777
; %bb.1739:
	s_and_b32 s6, 0xffff, s26
	s_cmp_lt_i32 s6, 5
	s_mov_b64 s[4:5], -1
	s_cbranch_scc1 .LBB190_1760
; %bb.1740:
	s_cmp_lt_i32 s6, 8
	s_cbranch_scc1 .LBB190_1750
; %bb.1741:
	s_cmp_lt_i32 s6, 9
	s_cbranch_scc1 .LBB190_1747
; %bb.1742:
	s_cmp_gt_i32 s6, 9
	s_cbranch_scc0 .LBB190_1744
; %bb.1743:
	v_cndmask_b32_e64 v3, 0, 1, s[2:3]
	v_cvt_f64_u32_e32 v[7:8], v3
	v_mov_b32_e32 v9, 0
	v_mov_b32_e32 v10, v9
	s_mov_b64 s[4:5], 0
	global_store_dwordx4 v[0:1], v[7:10], off
.LBB190_1744:
	s_andn2_b64 vcc, exec, s[4:5]
	s_cbranch_vccnz .LBB190_1746
; %bb.1745:
	v_cndmask_b32_e64 v3, 0, 1.0, s[2:3]
	v_mov_b32_e32 v4, 0
	global_store_dwordx2 v[0:1], v[3:4], off
.LBB190_1746:
	s_mov_b64 s[4:5], 0
.LBB190_1747:
	s_andn2_b64 vcc, exec, s[4:5]
	s_cbranch_vccnz .LBB190_1749
; %bb.1748:
	v_cndmask_b32_e64 v3, 0, 1.0, s[2:3]
	v_cvt_f16_f32_e32 v3, v3
	global_store_dword v[0:1], v3, off
.LBB190_1749:
	s_mov_b64 s[4:5], 0
.LBB190_1750:
	s_andn2_b64 vcc, exec, s[4:5]
	s_cbranch_vccnz .LBB190_1759
; %bb.1751:
	s_cmp_lt_i32 s6, 6
	s_mov_b64 s[4:5], -1
	s_cbranch_scc1 .LBB190_1757
; %bb.1752:
	s_cmp_gt_i32 s6, 6
	s_cbranch_scc0 .LBB190_1754
; %bb.1753:
	v_cndmask_b32_e64 v3, 0, 1, s[2:3]
	v_cvt_f64_u32_e32 v[3:4], v3
	s_mov_b64 s[4:5], 0
	global_store_dwordx2 v[0:1], v[3:4], off
.LBB190_1754:
	s_andn2_b64 vcc, exec, s[4:5]
	s_cbranch_vccnz .LBB190_1756
; %bb.1755:
	v_cndmask_b32_e64 v3, 0, 1.0, s[2:3]
	global_store_dword v[0:1], v3, off
.LBB190_1756:
	s_mov_b64 s[4:5], 0
.LBB190_1757:
	s_andn2_b64 vcc, exec, s[4:5]
	s_cbranch_vccnz .LBB190_1759
; %bb.1758:
	v_cndmask_b32_e64 v3, 0, 1.0, s[2:3]
	v_cvt_f16_f32_e32 v3, v3
	global_store_short v[0:1], v3, off
.LBB190_1759:
	s_mov_b64 s[4:5], 0
.LBB190_1760:
	s_andn2_b64 vcc, exec, s[4:5]
	s_cbranch_vccnz .LBB190_1776
; %bb.1761:
	s_cmp_lt_i32 s6, 2
	s_mov_b64 s[4:5], -1
	s_cbranch_scc1 .LBB190_1771
; %bb.1762:
	s_cmp_lt_i32 s6, 3
	s_cbranch_scc1 .LBB190_1768
; %bb.1763:
	s_cmp_gt_i32 s6, 3
	s_cbranch_scc0 .LBB190_1765
; %bb.1764:
	s_mov_b32 s4, 0
	v_cndmask_b32_e64 v3, 0, 1, s[2:3]
	v_mov_b32_e32 v4, s4
	global_store_dwordx2 v[0:1], v[3:4], off
	s_mov_b64 s[4:5], 0
.LBB190_1765:
	s_andn2_b64 vcc, exec, s[4:5]
	s_cbranch_vccnz .LBB190_1767
; %bb.1766:
	v_cndmask_b32_e64 v3, 0, 1, s[2:3]
	global_store_dword v[0:1], v3, off
.LBB190_1767:
	s_mov_b64 s[4:5], 0
.LBB190_1768:
	s_andn2_b64 vcc, exec, s[4:5]
	s_cbranch_vccnz .LBB190_1770
; %bb.1769:
	v_cndmask_b32_e64 v3, 0, 1, s[2:3]
	global_store_short v[0:1], v3, off
.LBB190_1770:
	s_mov_b64 s[4:5], 0
.LBB190_1771:
	s_andn2_b64 vcc, exec, s[4:5]
	s_cbranch_vccnz .LBB190_1776
; %bb.1772:
	s_mov_b64 s[4:5], -1
	s_cmp_gt_i32 s6, 0
	v_cndmask_b32_e64 v3, 0, 1, s[2:3]
	s_cbranch_scc0 .LBB190_1774
; %bb.1773:
	global_store_byte v[0:1], v3, off
	s_mov_b64 s[4:5], 0
.LBB190_1774:
	s_andn2_b64 vcc, exec, s[4:5]
	s_cbranch_vccnz .LBB190_1776
; %bb.1775:
	global_store_byte v[0:1], v3, off
.LBB190_1776:
	s_mov_b64 s[10:11], -1
.LBB190_1777:
	s_andn2_b64 vcc, exec, s[10:11]
	s_cbranch_vccnz .LBB190_1973
; %bb.1778:
	v_cmp_eq_f16_e32 vcc, s16, v5
	v_cndmask_b32_e64 v0, 0, 1, vcc
	v_cmp_neq_f16_e32 vcc, s16, v5
	v_cndmask_b32_e64 v1, 0, 1, vcc
	v_cndmask_b32_e64 v0, v1, v0, s[0:1]
	v_and_b32_e32 v0, 1, v0
	v_add_u32_e32 v2, s17, v2
	v_cmp_eq_u32_e64 s[2:3], 1, v0
	v_ashrrev_i32_e32 v1, 31, v2
	v_mov_b32_e32 v3, s9
	v_add_co_u32_e32 v0, vcc, s8, v2
	s_cmp_lt_i32 s26, 11
	v_addc_co_u32_e32 v1, vcc, v3, v1, vcc
	s_cbranch_scc1 .LBB190_1856
; %bb.1779:
	s_and_b32 s24, 0xffff, s26
	s_mov_b64 s[12:13], -1
	s_mov_b64 s[6:7], 0
	s_cmp_gt_i32 s24, 25
	s_mov_b64 s[10:11], 0
	s_mov_b64 s[4:5], 0
	s_cbranch_scc0 .LBB190_1812
; %bb.1780:
	s_cmp_gt_i32 s24, 28
	s_cbranch_scc0 .LBB190_1795
; %bb.1781:
	s_cmp_gt_i32 s24, 43
	;; [unrolled: 3-line block ×3, first 2 shown]
	s_cbranch_scc0 .LBB190_1785
; %bb.1783:
	s_mov_b64 s[4:5], -1
	s_mov_b64 s[12:13], 0
	s_cmp_eq_u32 s24, 46
	s_cbranch_scc0 .LBB190_1785
; %bb.1784:
	v_cndmask_b32_e64 v3, 0, 1.0, s[2:3]
	v_bfe_u32 v4, v3, 16, 1
	s_movk_i32 s4, 0x7fff
	v_add3_u32 v3, v3, v4, s4
	v_lshrrev_b32_e32 v3, 16, v3
	global_store_dword v[0:1], v3, off
	s_mov_b64 s[4:5], 0
	s_mov_b64 s[10:11], -1
.LBB190_1785:
	s_and_b64 vcc, exec, s[12:13]
	s_cbranch_vccz .LBB190_1790
; %bb.1786:
	s_cmp_eq_u32 s24, 44
	s_mov_b64 s[4:5], -1
	s_cbranch_scc0 .LBB190_1790
; %bb.1787:
	v_cndmask_b32_e64 v4, 0, 1.0, s[2:3]
	v_lshrrev_b32_e32 v3, 23, v4
	s_movk_i32 s4, 0xff
	v_cmp_ne_u32_e32 vcc, s4, v3
	v_mov_b32_e32 v5, 0xff
	s_and_saveexec_b64 s[10:11], vcc
; %bb.1788:
	s_mov_b32 s4, 0x3fffff
	v_and_b32_e32 v5, 0x400000, v4
	v_and_or_b32 v4, v4, s4, v3
	v_cmp_ne_u32_e32 vcc, 0, v5
	v_cmp_ne_u32_e64 s[4:5], 0, v4
	s_and_b64 s[4:5], vcc, s[4:5]
	v_cndmask_b32_e64 v4, 0, 1, s[4:5]
	v_add_u32_e32 v5, v3, v4
; %bb.1789:
	s_or_b64 exec, exec, s[10:11]
	s_mov_b64 s[4:5], 0
	s_mov_b64 s[10:11], -1
	global_store_byte v[0:1], v5, off
.LBB190_1790:
	s_mov_b64 s[12:13], 0
.LBB190_1791:
	s_and_b64 vcc, exec, s[12:13]
	s_cbranch_vccz .LBB190_1794
; %bb.1792:
	s_cmp_eq_u32 s24, 29
	s_mov_b64 s[4:5], -1
	s_cbranch_scc0 .LBB190_1794
; %bb.1793:
	s_mov_b32 s4, 0
	v_cndmask_b32_e64 v3, 0, 1, s[2:3]
	v_mov_b32_e32 v4, s4
	global_store_dwordx2 v[0:1], v[3:4], off
	s_mov_b64 s[4:5], 0
	s_mov_b64 s[10:11], -1
.LBB190_1794:
	s_mov_b64 s[12:13], 0
.LBB190_1795:
	s_and_b64 vcc, exec, s[12:13]
	s_cbranch_vccz .LBB190_1811
; %bb.1796:
	s_cmp_lt_i32 s24, 27
	s_mov_b64 s[10:11], -1
	s_cbranch_scc1 .LBB190_1802
; %bb.1797:
	s_cmp_gt_i32 s24, 27
	s_cbranch_scc0 .LBB190_1799
; %bb.1798:
	v_cndmask_b32_e64 v3, 0, 1, s[2:3]
	s_mov_b64 s[10:11], 0
	global_store_dword v[0:1], v3, off
.LBB190_1799:
	s_andn2_b64 vcc, exec, s[10:11]
	s_cbranch_vccnz .LBB190_1801
; %bb.1800:
	v_cndmask_b32_e64 v3, 0, 1, s[2:3]
	global_store_short v[0:1], v3, off
.LBB190_1801:
	s_mov_b64 s[10:11], 0
.LBB190_1802:
	s_andn2_b64 vcc, exec, s[10:11]
	s_cbranch_vccnz .LBB190_1810
; %bb.1803:
	v_cndmask_b32_e64 v4, 0, 1.0, s[2:3]
	s_mov_b32 s10, 0x43800000
	v_cmp_gt_u32_e32 vcc, s10, v4
	v_mov_b32_e32 v5, 0x80
	s_and_saveexec_b64 s[10:11], vcc
	s_cbranch_execz .LBB190_1809
; %bb.1804:
	s_mov_b32 s12, 0x3bffffff
	v_cmp_lt_u32_e32 vcc, s12, v4
	s_mov_b64 s[12:13], 0
                                        ; implicit-def: $vgpr3
	s_and_saveexec_b64 s[14:15], vcc
	s_xor_b64 s[14:15], exec, s[14:15]
	s_cbranch_execz .LBB190_2030
; %bb.1805:
	v_bfe_u32 v3, v4, 20, 1
	s_mov_b32 s25, 0x487ffff
	v_add3_u32 v3, v4, v3, s25
	s_mov_b64 s[12:13], exec
	v_lshrrev_b32_e32 v3, 20, v3
                                        ; implicit-def: $vgpr4
	s_andn2_saveexec_b64 s[14:15], s[14:15]
	s_cbranch_execnz .LBB190_2031
.LBB190_1806:
	s_or_b64 exec, exec, s[14:15]
	v_mov_b32_e32 v5, 0
	s_and_saveexec_b64 s[14:15], s[12:13]
.LBB190_1807:
	v_mov_b32_e32 v5, v3
.LBB190_1808:
	s_or_b64 exec, exec, s[14:15]
.LBB190_1809:
	s_or_b64 exec, exec, s[10:11]
	global_store_byte v[0:1], v5, off
.LBB190_1810:
	s_mov_b64 s[10:11], -1
.LBB190_1811:
	s_mov_b64 s[12:13], 0
.LBB190_1812:
	s_and_b64 vcc, exec, s[12:13]
	s_cbranch_vccz .LBB190_1852
; %bb.1813:
	s_cmp_gt_i32 s24, 22
	s_mov_b64 s[6:7], -1
	s_cbranch_scc0 .LBB190_1845
; %bb.1814:
	s_cmp_lt_i32 s24, 24
	s_cbranch_scc1 .LBB190_1834
; %bb.1815:
	s_cmp_gt_i32 s24, 24
	s_cbranch_scc0 .LBB190_1823
; %bb.1816:
	v_cndmask_b32_e64 v4, 0, 1.0, s[2:3]
	s_mov_b32 s6, 0x47800000
	v_cmp_gt_u32_e32 vcc, s6, v4
	v_mov_b32_e32 v5, 0x80
	s_and_saveexec_b64 s[6:7], vcc
	s_cbranch_execz .LBB190_1822
; %bb.1817:
	s_mov_b32 s10, 0x37ffffff
	v_cmp_lt_u32_e32 vcc, s10, v4
	s_mov_b64 s[10:11], 0
                                        ; implicit-def: $vgpr3
	s_and_saveexec_b64 s[12:13], vcc
	s_xor_b64 s[12:13], exec, s[12:13]
	s_cbranch_execz .LBB190_2033
; %bb.1818:
	v_bfe_u32 v3, v4, 21, 1
	s_mov_b32 s14, 0x88fffff
	v_add3_u32 v3, v4, v3, s14
	s_mov_b64 s[10:11], exec
	v_lshrrev_b32_e32 v3, 21, v3
                                        ; implicit-def: $vgpr4
	s_andn2_saveexec_b64 s[12:13], s[12:13]
	s_cbranch_execnz .LBB190_2034
.LBB190_1819:
	s_or_b64 exec, exec, s[12:13]
	v_mov_b32_e32 v5, 0
	s_and_saveexec_b64 s[12:13], s[10:11]
.LBB190_1820:
	v_mov_b32_e32 v5, v3
.LBB190_1821:
	s_or_b64 exec, exec, s[12:13]
.LBB190_1822:
	s_or_b64 exec, exec, s[6:7]
	s_mov_b64 s[6:7], 0
	global_store_byte v[0:1], v5, off
.LBB190_1823:
	s_and_b64 vcc, exec, s[6:7]
	s_cbranch_vccz .LBB190_1833
; %bb.1824:
	v_cndmask_b32_e64 v3, 0, 1.0, s[2:3]
	s_mov_b32 s6, 0x43f00000
	v_cmp_gt_u32_e32 vcc, s6, v3
                                        ; implicit-def: $vgpr4
	s_and_saveexec_b64 s[6:7], vcc
	s_xor_b64 s[6:7], exec, s[6:7]
	s_cbranch_execz .LBB190_1830
; %bb.1825:
	s_mov_b32 s10, 0x3c7fffff
	v_cmp_lt_u32_e32 vcc, s10, v3
                                        ; implicit-def: $vgpr4
	s_and_saveexec_b64 s[10:11], vcc
	s_xor_b64 s[10:11], exec, s[10:11]
; %bb.1826:
	v_bfe_u32 v4, v3, 20, 1
	s_mov_b32 s12, 0x407ffff
	v_add3_u32 v3, v3, v4, s12
	v_lshrrev_b32_e32 v4, 20, v3
	v_and_b32_e32 v3, 0xff00000, v3
	s_mov_b32 s12, 0x7f00000
	v_mov_b32_e32 v5, 0x7e
	v_cmp_ne_u32_e32 vcc, s12, v3
	v_cndmask_b32_e32 v4, v5, v4, vcc
                                        ; implicit-def: $vgpr3
; %bb.1827:
	s_andn2_saveexec_b64 s[10:11], s[10:11]
; %bb.1828:
	v_add_f32_e32 v4, 0x46800000, v3
; %bb.1829:
	s_or_b64 exec, exec, s[10:11]
                                        ; implicit-def: $vgpr3
.LBB190_1830:
	s_andn2_saveexec_b64 s[6:7], s[6:7]
; %bb.1831:
	s_mov_b32 s10, 0x7f800000
	v_mov_b32_e32 v4, 0x7e
	v_mov_b32_e32 v5, 0x7f
	v_cmp_lt_u32_e32 vcc, s10, v3
	v_cndmask_b32_e32 v4, v4, v5, vcc
; %bb.1832:
	s_or_b64 exec, exec, s[6:7]
	global_store_byte v[0:1], v4, off
.LBB190_1833:
	s_mov_b64 s[6:7], 0
.LBB190_1834:
	s_andn2_b64 vcc, exec, s[6:7]
	s_cbranch_vccnz .LBB190_1844
; %bb.1835:
	v_cndmask_b32_e64 v3, 0, 1.0, s[2:3]
	s_mov_b32 s6, 0x47800000
	v_cmp_gt_u32_e32 vcc, s6, v3
                                        ; implicit-def: $vgpr4
	s_and_saveexec_b64 s[6:7], vcc
	s_xor_b64 s[6:7], exec, s[6:7]
	s_cbranch_execz .LBB190_1841
; %bb.1836:
	s_mov_b32 s10, 0x387fffff
	v_cmp_lt_u32_e32 vcc, s10, v3
                                        ; implicit-def: $vgpr4
	s_and_saveexec_b64 s[10:11], vcc
	s_xor_b64 s[10:11], exec, s[10:11]
; %bb.1837:
	v_bfe_u32 v4, v3, 21, 1
	s_mov_b32 s12, 0x80fffff
	v_add3_u32 v3, v3, v4, s12
	v_lshrrev_b32_e32 v4, 21, v3
                                        ; implicit-def: $vgpr3
; %bb.1838:
	s_andn2_saveexec_b64 s[10:11], s[10:11]
; %bb.1839:
	v_add_f32_e32 v4, 0x43000000, v3
; %bb.1840:
	s_or_b64 exec, exec, s[10:11]
                                        ; implicit-def: $vgpr3
.LBB190_1841:
	s_andn2_saveexec_b64 s[6:7], s[6:7]
; %bb.1842:
	s_mov_b32 s10, 0x7f800000
	v_mov_b32_e32 v4, 0x7c
	v_mov_b32_e32 v5, 0x7f
	v_cmp_lt_u32_e32 vcc, s10, v3
	v_cndmask_b32_e32 v4, v4, v5, vcc
; %bb.1843:
	s_or_b64 exec, exec, s[6:7]
	global_store_byte v[0:1], v4, off
.LBB190_1844:
	s_mov_b64 s[6:7], 0
	s_mov_b64 s[10:11], -1
.LBB190_1845:
	s_andn2_b64 vcc, exec, s[6:7]
	s_mov_b64 s[6:7], 0
	s_cbranch_vccnz .LBB190_1852
; %bb.1846:
	s_cmp_gt_i32 s24, 14
	s_mov_b64 s[12:13], -1
	s_cbranch_scc0 .LBB190_1850
; %bb.1847:
	s_cmp_eq_u32 s24, 15
	s_mov_b64 s[4:5], -1
	s_cbranch_scc0 .LBB190_1849
; %bb.1848:
	v_cndmask_b32_e64 v3, 0, 1.0, s[2:3]
	v_bfe_u32 v4, v3, 16, 1
	s_movk_i32 s4, 0x7fff
	v_add3_u32 v3, v3, v4, s4
	global_store_short_d16_hi v[0:1], v3, off
	s_mov_b64 s[4:5], 0
	s_mov_b64 s[10:11], -1
.LBB190_1849:
	s_mov_b64 s[12:13], 0
.LBB190_1850:
	s_and_b64 vcc, exec, s[12:13]
	s_cbranch_vccz .LBB190_1852
; %bb.1851:
	s_cmp_lg_u32 s24, 11
	s_mov_b64 s[6:7], -1
	s_cselect_b64 s[4:5], -1, 0
.LBB190_1852:
	s_and_b64 vcc, exec, s[4:5]
	s_cbranch_vccnz .LBB190_2032
; %bb.1853:
	s_andn2_b64 vcc, exec, s[6:7]
	s_cbranch_vccnz .LBB190_1855
.LBB190_1854:
	v_cndmask_b32_e64 v3, 0, 1, s[2:3]
	s_mov_b64 s[10:11], -1
	global_store_byte v[0:1], v3, off
.LBB190_1855:
	s_mov_b64 s[4:5], 0
	s_branch .LBB190_1857
.LBB190_1856:
	s_mov_b64 s[4:5], -1
	s_mov_b64 s[10:11], 0
.LBB190_1857:
	s_and_b64 vcc, exec, s[4:5]
	s_cbranch_vccz .LBB190_1896
; %bb.1858:
	s_and_b32 s6, 0xffff, s26
	s_cmp_lt_i32 s6, 5
	s_mov_b64 s[4:5], -1
	s_cbranch_scc1 .LBB190_1879
; %bb.1859:
	s_cmp_lt_i32 s6, 8
	s_cbranch_scc1 .LBB190_1869
; %bb.1860:
	s_cmp_lt_i32 s6, 9
	s_cbranch_scc1 .LBB190_1866
; %bb.1861:
	s_cmp_gt_i32 s6, 9
	s_cbranch_scc0 .LBB190_1863
; %bb.1862:
	v_cndmask_b32_e64 v3, 0, 1, s[2:3]
	v_cvt_f64_u32_e32 v[7:8], v3
	v_mov_b32_e32 v9, 0
	v_mov_b32_e32 v10, v9
	s_mov_b64 s[4:5], 0
	global_store_dwordx4 v[0:1], v[7:10], off
.LBB190_1863:
	s_andn2_b64 vcc, exec, s[4:5]
	s_cbranch_vccnz .LBB190_1865
; %bb.1864:
	v_cndmask_b32_e64 v3, 0, 1.0, s[2:3]
	v_mov_b32_e32 v4, 0
	global_store_dwordx2 v[0:1], v[3:4], off
.LBB190_1865:
	s_mov_b64 s[4:5], 0
.LBB190_1866:
	s_andn2_b64 vcc, exec, s[4:5]
	s_cbranch_vccnz .LBB190_1868
; %bb.1867:
	v_cndmask_b32_e64 v3, 0, 1.0, s[2:3]
	v_cvt_f16_f32_e32 v3, v3
	global_store_dword v[0:1], v3, off
.LBB190_1868:
	s_mov_b64 s[4:5], 0
.LBB190_1869:
	s_andn2_b64 vcc, exec, s[4:5]
	s_cbranch_vccnz .LBB190_1878
; %bb.1870:
	s_cmp_lt_i32 s6, 6
	s_mov_b64 s[4:5], -1
	s_cbranch_scc1 .LBB190_1876
; %bb.1871:
	s_cmp_gt_i32 s6, 6
	s_cbranch_scc0 .LBB190_1873
; %bb.1872:
	v_cndmask_b32_e64 v3, 0, 1, s[2:3]
	v_cvt_f64_u32_e32 v[3:4], v3
	s_mov_b64 s[4:5], 0
	global_store_dwordx2 v[0:1], v[3:4], off
.LBB190_1873:
	s_andn2_b64 vcc, exec, s[4:5]
	s_cbranch_vccnz .LBB190_1875
; %bb.1874:
	v_cndmask_b32_e64 v3, 0, 1.0, s[2:3]
	global_store_dword v[0:1], v3, off
.LBB190_1875:
	s_mov_b64 s[4:5], 0
.LBB190_1876:
	s_andn2_b64 vcc, exec, s[4:5]
	s_cbranch_vccnz .LBB190_1878
; %bb.1877:
	v_cndmask_b32_e64 v3, 0, 1.0, s[2:3]
	v_cvt_f16_f32_e32 v3, v3
	global_store_short v[0:1], v3, off
.LBB190_1878:
	s_mov_b64 s[4:5], 0
.LBB190_1879:
	s_andn2_b64 vcc, exec, s[4:5]
	s_cbranch_vccnz .LBB190_1895
; %bb.1880:
	s_cmp_lt_i32 s6, 2
	s_mov_b64 s[4:5], -1
	s_cbranch_scc1 .LBB190_1890
; %bb.1881:
	s_cmp_lt_i32 s6, 3
	s_cbranch_scc1 .LBB190_1887
; %bb.1882:
	s_cmp_gt_i32 s6, 3
	s_cbranch_scc0 .LBB190_1884
; %bb.1883:
	s_mov_b32 s4, 0
	v_cndmask_b32_e64 v3, 0, 1, s[2:3]
	v_mov_b32_e32 v4, s4
	global_store_dwordx2 v[0:1], v[3:4], off
	s_mov_b64 s[4:5], 0
.LBB190_1884:
	s_andn2_b64 vcc, exec, s[4:5]
	s_cbranch_vccnz .LBB190_1886
; %bb.1885:
	v_cndmask_b32_e64 v3, 0, 1, s[2:3]
	global_store_dword v[0:1], v3, off
.LBB190_1886:
	s_mov_b64 s[4:5], 0
.LBB190_1887:
	s_andn2_b64 vcc, exec, s[4:5]
	s_cbranch_vccnz .LBB190_1889
; %bb.1888:
	v_cndmask_b32_e64 v3, 0, 1, s[2:3]
	global_store_short v[0:1], v3, off
.LBB190_1889:
	s_mov_b64 s[4:5], 0
.LBB190_1890:
	s_andn2_b64 vcc, exec, s[4:5]
	s_cbranch_vccnz .LBB190_1895
; %bb.1891:
	s_mov_b64 s[4:5], -1
	s_cmp_gt_i32 s6, 0
	v_cndmask_b32_e64 v3, 0, 1, s[2:3]
	s_cbranch_scc0 .LBB190_1893
; %bb.1892:
	global_store_byte v[0:1], v3, off
	s_mov_b64 s[4:5], 0
.LBB190_1893:
	s_andn2_b64 vcc, exec, s[4:5]
	s_cbranch_vccnz .LBB190_1895
; %bb.1894:
	global_store_byte v[0:1], v3, off
.LBB190_1895:
	s_mov_b64 s[10:11], -1
.LBB190_1896:
	s_andn2_b64 vcc, exec, s[10:11]
	s_cbranch_vccnz .LBB190_1973
; %bb.1897:
	v_cmp_eq_f16_e32 vcc, s16, v6
	v_cndmask_b32_e64 v0, 0, 1, vcc
	v_cmp_neq_f16_e32 vcc, s16, v6
	v_cndmask_b32_e64 v1, 0, 1, vcc
	v_cndmask_b32_e64 v0, v1, v0, s[0:1]
	v_and_b32_e32 v0, 1, v0
	v_cmp_eq_u32_e64 s[2:3], 1, v0
	v_add_u32_e32 v0, s17, v2
	v_ashrrev_i32_e32 v1, 31, v0
	v_mov_b32_e32 v2, s9
	v_add_co_u32_e32 v0, vcc, s8, v0
	s_cmp_lt_i32 s26, 11
	v_addc_co_u32_e32 v1, vcc, v2, v1, vcc
	s_cbranch_scc1 .LBB190_2018
; %bb.1898:
	s_and_b32 s12, 0xffff, s26
	s_mov_b64 s[6:7], -1
	s_mov_b64 s[4:5], 0
	s_cmp_gt_i32 s12, 25
	s_mov_b64 s[0:1], 0
	s_cbranch_scc0 .LBB190_1931
; %bb.1899:
	s_cmp_gt_i32 s12, 28
	s_cbranch_scc0 .LBB190_1915
; %bb.1900:
	s_cmp_gt_i32 s12, 43
	;; [unrolled: 3-line block ×3, first 2 shown]
	s_cbranch_scc0 .LBB190_1905
; %bb.1902:
	s_cmp_eq_u32 s12, 46
	s_mov_b64 s[0:1], -1
	s_cbranch_scc0 .LBB190_1904
; %bb.1903:
	v_cndmask_b32_e64 v2, 0, 1.0, s[2:3]
	v_bfe_u32 v3, v2, 16, 1
	s_movk_i32 s0, 0x7fff
	v_add3_u32 v2, v2, v3, s0
	v_lshrrev_b32_e32 v2, 16, v2
	global_store_dword v[0:1], v2, off
	s_mov_b64 s[0:1], 0
.LBB190_1904:
	s_mov_b64 s[6:7], 0
.LBB190_1905:
	s_and_b64 vcc, exec, s[6:7]
	s_cbranch_vccz .LBB190_1910
; %bb.1906:
	s_cmp_eq_u32 s12, 44
	s_mov_b64 s[0:1], -1
	s_cbranch_scc0 .LBB190_1910
; %bb.1907:
	v_cndmask_b32_e64 v3, 0, 1.0, s[2:3]
	v_lshrrev_b32_e32 v2, 23, v3
	s_movk_i32 s0, 0xff
	v_cmp_ne_u32_e32 vcc, s0, v2
	v_mov_b32_e32 v4, 0xff
	s_and_saveexec_b64 s[6:7], vcc
; %bb.1908:
	s_mov_b32 s0, 0x3fffff
	v_and_b32_e32 v4, 0x400000, v3
	v_and_or_b32 v3, v3, s0, v2
	v_cmp_ne_u32_e32 vcc, 0, v4
	v_cmp_ne_u32_e64 s[0:1], 0, v3
	s_and_b64 s[0:1], vcc, s[0:1]
	v_cndmask_b32_e64 v3, 0, 1, s[0:1]
	v_add_u32_e32 v4, v2, v3
; %bb.1909:
	s_or_b64 exec, exec, s[6:7]
	s_mov_b64 s[0:1], 0
	global_store_byte v[0:1], v4, off
.LBB190_1910:
	s_mov_b64 s[6:7], 0
.LBB190_1911:
	s_and_b64 vcc, exec, s[6:7]
	s_cbranch_vccz .LBB190_1914
; %bb.1912:
	s_cmp_eq_u32 s12, 29
	s_mov_b64 s[0:1], -1
	s_cbranch_scc0 .LBB190_1914
; %bb.1913:
	s_mov_b32 s0, 0
	v_cndmask_b32_e64 v2, 0, 1, s[2:3]
	v_mov_b32_e32 v3, s0
	global_store_dwordx2 v[0:1], v[2:3], off
	s_mov_b64 s[0:1], 0
.LBB190_1914:
	s_mov_b64 s[6:7], 0
.LBB190_1915:
	s_and_b64 vcc, exec, s[6:7]
	s_cbranch_vccz .LBB190_1930
; %bb.1916:
	s_cmp_lt_i32 s12, 27
	s_mov_b64 s[6:7], -1
	s_cbranch_scc1 .LBB190_1922
; %bb.1917:
	s_cmp_gt_i32 s12, 27
	v_cndmask_b32_e64 v2, 0, 1, s[2:3]
	s_cbranch_scc0 .LBB190_1919
; %bb.1918:
	global_store_dword v[0:1], v2, off
	s_mov_b64 s[6:7], 0
.LBB190_1919:
	s_andn2_b64 vcc, exec, s[6:7]
	s_cbranch_vccnz .LBB190_1921
; %bb.1920:
	global_store_short v[0:1], v2, off
.LBB190_1921:
	s_mov_b64 s[6:7], 0
.LBB190_1922:
	s_andn2_b64 vcc, exec, s[6:7]
	s_cbranch_vccnz .LBB190_1930
; %bb.1923:
	v_cndmask_b32_e64 v3, 0, 1.0, s[2:3]
	s_mov_b32 s6, 0x43800000
	v_cmp_gt_u32_e32 vcc, s6, v3
	v_mov_b32_e32 v4, 0x80
	s_and_saveexec_b64 s[6:7], vcc
	s_cbranch_execz .LBB190_1929
; %bb.1924:
	s_mov_b32 s8, 0x3bffffff
	v_cmp_lt_u32_e32 vcc, s8, v3
	s_mov_b64 s[8:9], 0
                                        ; implicit-def: $vgpr2
	s_and_saveexec_b64 s[10:11], vcc
	s_xor_b64 s[10:11], exec, s[10:11]
	s_cbranch_execz .LBB190_2035
; %bb.1925:
	v_bfe_u32 v2, v3, 20, 1
	s_mov_b32 s13, 0x487ffff
	v_add3_u32 v2, v3, v2, s13
	s_mov_b64 s[8:9], exec
	v_lshrrev_b32_e32 v2, 20, v2
                                        ; implicit-def: $vgpr3
	s_andn2_saveexec_b64 s[10:11], s[10:11]
	s_cbranch_execnz .LBB190_2036
.LBB190_1926:
	s_or_b64 exec, exec, s[10:11]
	v_mov_b32_e32 v4, 0
	s_and_saveexec_b64 s[10:11], s[8:9]
.LBB190_1927:
	v_mov_b32_e32 v4, v2
.LBB190_1928:
	s_or_b64 exec, exec, s[10:11]
.LBB190_1929:
	s_or_b64 exec, exec, s[6:7]
	global_store_byte v[0:1], v4, off
.LBB190_1930:
	s_mov_b64 s[6:7], 0
.LBB190_1931:
	s_and_b64 vcc, exec, s[6:7]
	s_cbranch_vccz .LBB190_1971
; %bb.1932:
	s_cmp_gt_i32 s12, 22
	s_mov_b64 s[4:5], -1
	s_cbranch_scc0 .LBB190_1964
; %bb.1933:
	s_cmp_lt_i32 s12, 24
	s_cbranch_scc1 .LBB190_1953
; %bb.1934:
	s_cmp_gt_i32 s12, 24
	s_cbranch_scc0 .LBB190_1942
; %bb.1935:
	v_cndmask_b32_e64 v3, 0, 1.0, s[2:3]
	s_mov_b32 s4, 0x47800000
	v_cmp_gt_u32_e32 vcc, s4, v3
	v_mov_b32_e32 v4, 0x80
	s_and_saveexec_b64 s[4:5], vcc
	s_cbranch_execz .LBB190_1941
; %bb.1936:
	s_mov_b32 s6, 0x37ffffff
	v_cmp_lt_u32_e32 vcc, s6, v3
	s_mov_b64 s[6:7], 0
                                        ; implicit-def: $vgpr2
	s_and_saveexec_b64 s[8:9], vcc
	s_xor_b64 s[8:9], exec, s[8:9]
	s_cbranch_execz .LBB190_2038
; %bb.1937:
	v_bfe_u32 v2, v3, 21, 1
	s_mov_b32 s10, 0x88fffff
	v_add3_u32 v2, v3, v2, s10
	s_mov_b64 s[6:7], exec
	v_lshrrev_b32_e32 v2, 21, v2
                                        ; implicit-def: $vgpr3
	s_andn2_saveexec_b64 s[8:9], s[8:9]
	s_cbranch_execnz .LBB190_2039
.LBB190_1938:
	s_or_b64 exec, exec, s[8:9]
	v_mov_b32_e32 v4, 0
	s_and_saveexec_b64 s[8:9], s[6:7]
.LBB190_1939:
	v_mov_b32_e32 v4, v2
.LBB190_1940:
	s_or_b64 exec, exec, s[8:9]
.LBB190_1941:
	s_or_b64 exec, exec, s[4:5]
	s_mov_b64 s[4:5], 0
	global_store_byte v[0:1], v4, off
.LBB190_1942:
	s_and_b64 vcc, exec, s[4:5]
	s_cbranch_vccz .LBB190_1952
; %bb.1943:
	v_cndmask_b32_e64 v2, 0, 1.0, s[2:3]
	s_mov_b32 s4, 0x43f00000
	v_cmp_gt_u32_e32 vcc, s4, v2
                                        ; implicit-def: $vgpr3
	s_and_saveexec_b64 s[4:5], vcc
	s_xor_b64 s[4:5], exec, s[4:5]
	s_cbranch_execz .LBB190_1949
; %bb.1944:
	s_mov_b32 s6, 0x3c7fffff
	v_cmp_lt_u32_e32 vcc, s6, v2
                                        ; implicit-def: $vgpr3
	s_and_saveexec_b64 s[6:7], vcc
	s_xor_b64 s[6:7], exec, s[6:7]
; %bb.1945:
	v_bfe_u32 v3, v2, 20, 1
	s_mov_b32 s8, 0x407ffff
	v_add3_u32 v2, v2, v3, s8
	v_lshrrev_b32_e32 v3, 20, v2
	v_and_b32_e32 v2, 0xff00000, v2
	s_mov_b32 s8, 0x7f00000
	v_mov_b32_e32 v4, 0x7e
	v_cmp_ne_u32_e32 vcc, s8, v2
	v_cndmask_b32_e32 v3, v4, v3, vcc
                                        ; implicit-def: $vgpr2
; %bb.1946:
	s_andn2_saveexec_b64 s[6:7], s[6:7]
; %bb.1947:
	v_add_f32_e32 v3, 0x46800000, v2
; %bb.1948:
	s_or_b64 exec, exec, s[6:7]
                                        ; implicit-def: $vgpr2
.LBB190_1949:
	s_andn2_saveexec_b64 s[4:5], s[4:5]
; %bb.1950:
	s_mov_b32 s6, 0x7f800000
	v_mov_b32_e32 v3, 0x7e
	v_mov_b32_e32 v4, 0x7f
	v_cmp_lt_u32_e32 vcc, s6, v2
	v_cndmask_b32_e32 v3, v3, v4, vcc
; %bb.1951:
	s_or_b64 exec, exec, s[4:5]
	global_store_byte v[0:1], v3, off
.LBB190_1952:
	s_mov_b64 s[4:5], 0
.LBB190_1953:
	s_andn2_b64 vcc, exec, s[4:5]
	s_cbranch_vccnz .LBB190_1963
; %bb.1954:
	v_cndmask_b32_e64 v2, 0, 1.0, s[2:3]
	s_mov_b32 s4, 0x47800000
	v_cmp_gt_u32_e32 vcc, s4, v2
                                        ; implicit-def: $vgpr3
	s_and_saveexec_b64 s[4:5], vcc
	s_xor_b64 s[4:5], exec, s[4:5]
	s_cbranch_execz .LBB190_1960
; %bb.1955:
	s_mov_b32 s6, 0x387fffff
	v_cmp_lt_u32_e32 vcc, s6, v2
                                        ; implicit-def: $vgpr3
	s_and_saveexec_b64 s[6:7], vcc
	s_xor_b64 s[6:7], exec, s[6:7]
; %bb.1956:
	v_bfe_u32 v3, v2, 21, 1
	s_mov_b32 s8, 0x80fffff
	v_add3_u32 v2, v2, v3, s8
	v_lshrrev_b32_e32 v3, 21, v2
                                        ; implicit-def: $vgpr2
; %bb.1957:
	s_andn2_saveexec_b64 s[6:7], s[6:7]
; %bb.1958:
	v_add_f32_e32 v3, 0x43000000, v2
; %bb.1959:
	s_or_b64 exec, exec, s[6:7]
                                        ; implicit-def: $vgpr2
.LBB190_1960:
	s_andn2_saveexec_b64 s[4:5], s[4:5]
; %bb.1961:
	s_mov_b32 s6, 0x7f800000
	v_mov_b32_e32 v3, 0x7c
	v_mov_b32_e32 v4, 0x7f
	v_cmp_lt_u32_e32 vcc, s6, v2
	v_cndmask_b32_e32 v3, v3, v4, vcc
; %bb.1962:
	s_or_b64 exec, exec, s[4:5]
	global_store_byte v[0:1], v3, off
.LBB190_1963:
	s_mov_b64 s[4:5], 0
.LBB190_1964:
	s_andn2_b64 vcc, exec, s[4:5]
	s_mov_b64 s[4:5], 0
	s_cbranch_vccnz .LBB190_1971
; %bb.1965:
	s_cmp_gt_i32 s12, 14
	s_mov_b64 s[6:7], -1
	s_cbranch_scc0 .LBB190_1969
; %bb.1966:
	s_cmp_eq_u32 s12, 15
	s_mov_b64 s[0:1], -1
	s_cbranch_scc0 .LBB190_1968
; %bb.1967:
	v_cndmask_b32_e64 v2, 0, 1.0, s[2:3]
	v_bfe_u32 v3, v2, 16, 1
	s_movk_i32 s0, 0x7fff
	v_add3_u32 v2, v2, v3, s0
	global_store_short_d16_hi v[0:1], v2, off
	s_mov_b64 s[0:1], 0
.LBB190_1968:
	s_mov_b64 s[6:7], 0
.LBB190_1969:
	s_and_b64 vcc, exec, s[6:7]
	s_cbranch_vccz .LBB190_1971
; %bb.1970:
	s_cmp_lg_u32 s12, 11
	s_mov_b64 s[4:5], -1
	s_cselect_b64 s[0:1], -1, 0
.LBB190_1971:
	s_and_b64 vcc, exec, s[0:1]
	s_cbranch_vccnz .LBB190_2037
.LBB190_1972:
	s_mov_b64 s[0:1], 0
	s_branch .LBB190_1974
.LBB190_1973:
	s_mov_b64 s[0:1], 0
	s_mov_b64 s[4:5], 0
                                        ; implicit-def: $sgpr2_sgpr3
                                        ; implicit-def: $sgpr26
                                        ; implicit-def: $vgpr0_vgpr1
.LBB190_1974:
	s_and_b64 s[6:7], s[4:5], exec
	s_andn2_b64 s[4:5], s[20:21], exec
	s_and_b64 s[8:9], s[22:23], exec
	s_and_b64 s[0:1], s[0:1], exec
	s_or_b64 s[20:21], s[4:5], s[8:9]
.LBB190_1975:
	s_or_b64 exec, exec, s[18:19]
	s_and_saveexec_b64 s[4:5], s[20:21]
	s_cbranch_execz .LBB190_1978
; %bb.1976:
	; divergent unreachable
	s_or_b64 exec, exec, s[4:5]
	s_and_saveexec_b64 s[4:5], s[6:7]
	s_xor_b64 s[4:5], exec, s[4:5]
	s_cbranch_execnz .LBB190_1979
.LBB190_1977:
	s_or_b64 exec, exec, s[4:5]
	s_and_saveexec_b64 s[4:5], s[0:1]
	s_cbranch_execnz .LBB190_1980
	s_branch .LBB190_2017
.LBB190_1978:
	s_or_b64 exec, exec, s[4:5]
	s_and_saveexec_b64 s[4:5], s[6:7]
	s_xor_b64 s[4:5], exec, s[4:5]
	s_cbranch_execz .LBB190_1977
.LBB190_1979:
	v_cndmask_b32_e64 v2, 0, 1, s[2:3]
	global_store_byte v[0:1], v2, off
	s_or_b64 exec, exec, s[4:5]
	s_and_saveexec_b64 s[4:5], s[0:1]
	s_cbranch_execz .LBB190_2017
.LBB190_1980:
	s_sext_i32_i16 s4, s26
	s_cmp_lt_i32 s4, 5
	s_mov_b64 s[0:1], -1
	s_cbranch_scc1 .LBB190_2001
; %bb.1981:
	s_cmp_lt_i32 s4, 8
	s_cbranch_scc1 .LBB190_1991
; %bb.1982:
	s_cmp_lt_i32 s4, 9
	s_cbranch_scc1 .LBB190_1988
; %bb.1983:
	s_cmp_gt_i32 s4, 9
	s_cbranch_scc0 .LBB190_1985
; %bb.1984:
	v_cndmask_b32_e64 v2, 0, 1, s[2:3]
	s_waitcnt vmcnt(0)
	v_cvt_f64_u32_e32 v[2:3], v2
	v_mov_b32_e32 v4, 0
	v_mov_b32_e32 v5, v4
	s_mov_b64 s[0:1], 0
	global_store_dwordx4 v[0:1], v[2:5], off
.LBB190_1985:
	s_andn2_b64 vcc, exec, s[0:1]
	s_cbranch_vccnz .LBB190_1987
; %bb.1986:
	v_cndmask_b32_e64 v2, 0, 1.0, s[2:3]
	s_waitcnt vmcnt(0)
	v_mov_b32_e32 v3, 0
	global_store_dwordx2 v[0:1], v[2:3], off
.LBB190_1987:
	s_mov_b64 s[0:1], 0
.LBB190_1988:
	s_andn2_b64 vcc, exec, s[0:1]
	s_cbranch_vccnz .LBB190_1990
; %bb.1989:
	v_cndmask_b32_e64 v2, 0, 1.0, s[2:3]
	v_cvt_f16_f32_e32 v2, v2
	global_store_dword v[0:1], v2, off
.LBB190_1990:
	s_mov_b64 s[0:1], 0
.LBB190_1991:
	s_andn2_b64 vcc, exec, s[0:1]
	s_cbranch_vccnz .LBB190_2000
; %bb.1992:
	s_sext_i32_i16 s4, s26
	s_cmp_lt_i32 s4, 6
	s_mov_b64 s[0:1], -1
	s_cbranch_scc1 .LBB190_1998
; %bb.1993:
	s_cmp_gt_i32 s4, 6
	s_cbranch_scc0 .LBB190_1995
; %bb.1994:
	v_cndmask_b32_e64 v2, 0, 1, s[2:3]
	s_waitcnt vmcnt(0)
	v_cvt_f64_u32_e32 v[2:3], v2
	s_mov_b64 s[0:1], 0
	global_store_dwordx2 v[0:1], v[2:3], off
.LBB190_1995:
	s_andn2_b64 vcc, exec, s[0:1]
	s_cbranch_vccnz .LBB190_1997
; %bb.1996:
	v_cndmask_b32_e64 v2, 0, 1.0, s[2:3]
	global_store_dword v[0:1], v2, off
.LBB190_1997:
	s_mov_b64 s[0:1], 0
.LBB190_1998:
	s_andn2_b64 vcc, exec, s[0:1]
	s_cbranch_vccnz .LBB190_2000
; %bb.1999:
	v_cndmask_b32_e64 v2, 0, 1.0, s[2:3]
	v_cvt_f16_f32_e32 v2, v2
	global_store_short v[0:1], v2, off
.LBB190_2000:
	s_mov_b64 s[0:1], 0
.LBB190_2001:
	s_andn2_b64 vcc, exec, s[0:1]
	s_cbranch_vccnz .LBB190_2017
; %bb.2002:
	s_sext_i32_i16 s4, s26
	s_cmp_lt_i32 s4, 2
	s_mov_b64 s[0:1], -1
	s_cbranch_scc1 .LBB190_2012
; %bb.2003:
	s_cmp_lt_i32 s4, 3
	s_cbranch_scc1 .LBB190_2009
; %bb.2004:
	s_cmp_gt_i32 s4, 3
	s_cbranch_scc0 .LBB190_2006
; %bb.2005:
	s_mov_b32 s0, 0
	v_cndmask_b32_e64 v2, 0, 1, s[2:3]
	s_waitcnt vmcnt(0)
	v_mov_b32_e32 v3, s0
	global_store_dwordx2 v[0:1], v[2:3], off
	s_mov_b64 s[0:1], 0
.LBB190_2006:
	s_andn2_b64 vcc, exec, s[0:1]
	s_cbranch_vccnz .LBB190_2008
; %bb.2007:
	v_cndmask_b32_e64 v2, 0, 1, s[2:3]
	global_store_dword v[0:1], v2, off
.LBB190_2008:
	s_mov_b64 s[0:1], 0
.LBB190_2009:
	s_andn2_b64 vcc, exec, s[0:1]
	s_cbranch_vccnz .LBB190_2011
; %bb.2010:
	v_cndmask_b32_e64 v2, 0, 1, s[2:3]
	global_store_short v[0:1], v2, off
.LBB190_2011:
	s_mov_b64 s[0:1], 0
.LBB190_2012:
	s_andn2_b64 vcc, exec, s[0:1]
	s_cbranch_vccnz .LBB190_2017
; %bb.2013:
	s_sext_i32_i16 s4, s26
	s_mov_b64 s[0:1], -1
	s_cmp_gt_i32 s4, 0
	v_cndmask_b32_e64 v2, 0, 1, s[2:3]
	s_cbranch_scc0 .LBB190_2015
; %bb.2014:
	global_store_byte v[0:1], v2, off
	s_mov_b64 s[0:1], 0
.LBB190_2015:
	s_andn2_b64 vcc, exec, s[0:1]
	s_cbranch_vccnz .LBB190_2017
; %bb.2016:
	global_store_byte v[0:1], v2, off
	s_endpgm
.LBB190_2017:
	s_endpgm
.LBB190_2018:
	s_mov_b64 s[4:5], 0
	s_mov_b64 s[0:1], -1
	s_branch .LBB190_1974
.LBB190_2019:
	s_trap 2
	s_or_b64 s[22:23], s[22:23], exec
	s_cbranch_execz .LBB190_1488
	s_branch .LBB190_1489
.LBB190_2020:
	s_andn2_saveexec_b64 s[24:25], s[24:25]
	s_cbranch_execz .LBB190_1568
.LBB190_2021:
	v_add_f32_e32 v3, 0x46000000, v7
	v_and_b32_e32 v3, 0xff, v3
	v_cmp_ne_u32_e32 vcc, 0, v3
	s_andn2_b64 s[14:15], s[14:15], exec
	s_and_b64 s[28:29], vcc, exec
	s_or_b64 s[14:15], s[14:15], s[28:29]
	s_or_b64 exec, exec, s[24:25]
	v_mov_b32_e32 v8, 0
	s_and_saveexec_b64 s[24:25], s[14:15]
	s_cbranch_execnz .LBB190_1569
	s_branch .LBB190_1570
.LBB190_2022:
	s_trap 2
	s_or_b64 s[22:23], s[22:23], exec
	s_cbranch_execz .LBB190_1616
	s_branch .LBB190_1617
.LBB190_2023:
	s_andn2_saveexec_b64 s[14:15], s[14:15]
	s_cbranch_execz .LBB190_1581
.LBB190_2024:
	v_add_f32_e32 v3, 0x42800000, v7
	v_and_b32_e32 v3, 0xff, v3
	v_cmp_ne_u32_e32 vcc, 0, v3
	s_andn2_b64 s[10:11], s[10:11], exec
	s_and_b64 s[24:25], vcc, exec
	s_or_b64 s[10:11], s[10:11], s[24:25]
	s_or_b64 exec, exec, s[14:15]
	v_mov_b32_e32 v8, 0
	s_and_saveexec_b64 s[14:15], s[10:11]
	s_cbranch_execnz .LBB190_1582
	s_branch .LBB190_1583
.LBB190_2025:
	s_andn2_saveexec_b64 s[14:15], s[14:15]
	s_cbranch_execz .LBB190_1687
.LBB190_2026:
	v_add_f32_e32 v3, 0x46000000, v4
	v_and_b32_e32 v3, 0xff, v3
	v_cmp_ne_u32_e32 vcc, 0, v3
	s_andn2_b64 s[12:13], s[12:13], exec
	s_and_b64 s[28:29], vcc, exec
	s_or_b64 s[12:13], s[12:13], s[28:29]
	s_or_b64 exec, exec, s[14:15]
	v_mov_b32_e32 v7, 0
	s_and_saveexec_b64 s[14:15], s[12:13]
	s_cbranch_execnz .LBB190_1688
	s_branch .LBB190_1689
.LBB190_2027:
	s_trap 2
	s_or_b64 s[22:23], s[22:23], exec
	s_cbranch_execz .LBB190_1735
	s_branch .LBB190_1736
.LBB190_2028:
	s_andn2_saveexec_b64 s[12:13], s[12:13]
	s_cbranch_execz .LBB190_1700
.LBB190_2029:
	v_add_f32_e32 v3, 0x42800000, v4
	v_and_b32_e32 v3, 0xff, v3
	v_cmp_ne_u32_e32 vcc, 0, v3
	s_andn2_b64 s[10:11], s[10:11], exec
	s_and_b64 s[14:15], vcc, exec
	s_or_b64 s[10:11], s[10:11], s[14:15]
	s_or_b64 exec, exec, s[12:13]
	v_mov_b32_e32 v7, 0
	s_and_saveexec_b64 s[12:13], s[10:11]
	s_cbranch_execnz .LBB190_1701
	s_branch .LBB190_1702
.LBB190_2030:
	s_andn2_saveexec_b64 s[14:15], s[14:15]
	s_cbranch_execz .LBB190_1806
.LBB190_2031:
	v_add_f32_e32 v3, 0x46000000, v4
	v_and_b32_e32 v3, 0xff, v3
	v_cmp_ne_u32_e32 vcc, 0, v3
	s_andn2_b64 s[12:13], s[12:13], exec
	s_and_b64 s[28:29], vcc, exec
	s_or_b64 s[12:13], s[12:13], s[28:29]
	s_or_b64 exec, exec, s[14:15]
	v_mov_b32_e32 v5, 0
	s_and_saveexec_b64 s[14:15], s[12:13]
	s_cbranch_execnz .LBB190_1807
	s_branch .LBB190_1808
.LBB190_2032:
	s_trap 2
	s_or_b64 s[22:23], s[22:23], exec
	s_cbranch_execz .LBB190_1854
	s_branch .LBB190_1855
.LBB190_2033:
	s_andn2_saveexec_b64 s[12:13], s[12:13]
	s_cbranch_execz .LBB190_1819
.LBB190_2034:
	v_add_f32_e32 v3, 0x42800000, v4
	v_and_b32_e32 v3, 0xff, v3
	v_cmp_ne_u32_e32 vcc, 0, v3
	s_andn2_b64 s[10:11], s[10:11], exec
	s_and_b64 s[14:15], vcc, exec
	s_or_b64 s[10:11], s[10:11], s[14:15]
	s_or_b64 exec, exec, s[12:13]
	v_mov_b32_e32 v5, 0
	s_and_saveexec_b64 s[12:13], s[10:11]
	s_cbranch_execnz .LBB190_1820
	s_branch .LBB190_1821
.LBB190_2035:
	s_andn2_saveexec_b64 s[10:11], s[10:11]
	s_cbranch_execz .LBB190_1926
.LBB190_2036:
	v_add_f32_e32 v2, 0x46000000, v3
	v_and_b32_e32 v2, 0xff, v2
	v_cmp_ne_u32_e32 vcc, 0, v2
	s_andn2_b64 s[8:9], s[8:9], exec
	s_and_b64 s[14:15], vcc, exec
	s_or_b64 s[8:9], s[8:9], s[14:15]
	s_or_b64 exec, exec, s[10:11]
	v_mov_b32_e32 v4, 0
	s_and_saveexec_b64 s[10:11], s[8:9]
	s_cbranch_execnz .LBB190_1927
	s_branch .LBB190_1928
.LBB190_2037:
	s_mov_b64 s[4:5], 0
	s_or_b64 s[22:23], s[22:23], exec
	s_trap 2
	s_branch .LBB190_1972
.LBB190_2038:
	s_andn2_saveexec_b64 s[8:9], s[8:9]
	s_cbranch_execz .LBB190_1938
.LBB190_2039:
	v_add_f32_e32 v2, 0x42800000, v3
	v_and_b32_e32 v2, 0xff, v2
	v_cmp_ne_u32_e32 vcc, 0, v2
	s_andn2_b64 s[6:7], s[6:7], exec
	s_and_b64 s[10:11], vcc, exec
	s_or_b64 s[6:7], s[6:7], s[10:11]
	s_or_b64 exec, exec, s[8:9]
	v_mov_b32_e32 v4, 0
	s_and_saveexec_b64 s[8:9], s[6:7]
	s_cbranch_execnz .LBB190_1939
	s_branch .LBB190_1940
	.section	.rodata,"a",@progbits
	.p2align	6, 0x0
	.amdhsa_kernel _ZN2at6native32elementwise_kernel_manual_unrollILi128ELi4EZNS0_15gpu_kernel_implINS0_13AUnaryFunctorIN3c104HalfES5_bNS0_12_GLOBAL__N_116CompareEqFunctorIS5_EEEEEEvRNS_18TensorIteratorBaseERKT_EUlibE_EEviT1_
		.amdhsa_group_segment_fixed_size 0
		.amdhsa_private_segment_fixed_size 0
		.amdhsa_kernarg_size 48
		.amdhsa_user_sgpr_count 6
		.amdhsa_user_sgpr_private_segment_buffer 1
		.amdhsa_user_sgpr_dispatch_ptr 0
		.amdhsa_user_sgpr_queue_ptr 0
		.amdhsa_user_sgpr_kernarg_segment_ptr 1
		.amdhsa_user_sgpr_dispatch_id 0
		.amdhsa_user_sgpr_flat_scratch_init 0
		.amdhsa_user_sgpr_private_segment_size 0
		.amdhsa_uses_dynamic_stack 0
		.amdhsa_system_sgpr_private_segment_wavefront_offset 0
		.amdhsa_system_sgpr_workgroup_id_x 1
		.amdhsa_system_sgpr_workgroup_id_y 0
		.amdhsa_system_sgpr_workgroup_id_z 0
		.amdhsa_system_sgpr_workgroup_info 0
		.amdhsa_system_vgpr_workitem_id 0
		.amdhsa_next_free_vgpr 14
		.amdhsa_next_free_sgpr 48
		.amdhsa_reserve_vcc 1
		.amdhsa_reserve_flat_scratch 0
		.amdhsa_float_round_mode_32 0
		.amdhsa_float_round_mode_16_64 0
		.amdhsa_float_denorm_mode_32 3
		.amdhsa_float_denorm_mode_16_64 3
		.amdhsa_dx10_clamp 1
		.amdhsa_ieee_mode 1
		.amdhsa_fp16_overflow 0
		.amdhsa_exception_fp_ieee_invalid_op 0
		.amdhsa_exception_fp_denorm_src 0
		.amdhsa_exception_fp_ieee_div_zero 0
		.amdhsa_exception_fp_ieee_overflow 0
		.amdhsa_exception_fp_ieee_underflow 0
		.amdhsa_exception_fp_ieee_inexact 0
		.amdhsa_exception_int_div_zero 0
	.end_amdhsa_kernel
	.section	.text._ZN2at6native32elementwise_kernel_manual_unrollILi128ELi4EZNS0_15gpu_kernel_implINS0_13AUnaryFunctorIN3c104HalfES5_bNS0_12_GLOBAL__N_116CompareEqFunctorIS5_EEEEEEvRNS_18TensorIteratorBaseERKT_EUlibE_EEviT1_,"axG",@progbits,_ZN2at6native32elementwise_kernel_manual_unrollILi128ELi4EZNS0_15gpu_kernel_implINS0_13AUnaryFunctorIN3c104HalfES5_bNS0_12_GLOBAL__N_116CompareEqFunctorIS5_EEEEEEvRNS_18TensorIteratorBaseERKT_EUlibE_EEviT1_,comdat
.Lfunc_end190:
	.size	_ZN2at6native32elementwise_kernel_manual_unrollILi128ELi4EZNS0_15gpu_kernel_implINS0_13AUnaryFunctorIN3c104HalfES5_bNS0_12_GLOBAL__N_116CompareEqFunctorIS5_EEEEEEvRNS_18TensorIteratorBaseERKT_EUlibE_EEviT1_, .Lfunc_end190-_ZN2at6native32elementwise_kernel_manual_unrollILi128ELi4EZNS0_15gpu_kernel_implINS0_13AUnaryFunctorIN3c104HalfES5_bNS0_12_GLOBAL__N_116CompareEqFunctorIS5_EEEEEEvRNS_18TensorIteratorBaseERKT_EUlibE_EEviT1_
                                        ; -- End function
	.set _ZN2at6native32elementwise_kernel_manual_unrollILi128ELi4EZNS0_15gpu_kernel_implINS0_13AUnaryFunctorIN3c104HalfES5_bNS0_12_GLOBAL__N_116CompareEqFunctorIS5_EEEEEEvRNS_18TensorIteratorBaseERKT_EUlibE_EEviT1_.num_vgpr, 14
	.set _ZN2at6native32elementwise_kernel_manual_unrollILi128ELi4EZNS0_15gpu_kernel_implINS0_13AUnaryFunctorIN3c104HalfES5_bNS0_12_GLOBAL__N_116CompareEqFunctorIS5_EEEEEEvRNS_18TensorIteratorBaseERKT_EUlibE_EEviT1_.num_agpr, 0
	.set _ZN2at6native32elementwise_kernel_manual_unrollILi128ELi4EZNS0_15gpu_kernel_implINS0_13AUnaryFunctorIN3c104HalfES5_bNS0_12_GLOBAL__N_116CompareEqFunctorIS5_EEEEEEvRNS_18TensorIteratorBaseERKT_EUlibE_EEviT1_.numbered_sgpr, 48
	.set _ZN2at6native32elementwise_kernel_manual_unrollILi128ELi4EZNS0_15gpu_kernel_implINS0_13AUnaryFunctorIN3c104HalfES5_bNS0_12_GLOBAL__N_116CompareEqFunctorIS5_EEEEEEvRNS_18TensorIteratorBaseERKT_EUlibE_EEviT1_.num_named_barrier, 0
	.set _ZN2at6native32elementwise_kernel_manual_unrollILi128ELi4EZNS0_15gpu_kernel_implINS0_13AUnaryFunctorIN3c104HalfES5_bNS0_12_GLOBAL__N_116CompareEqFunctorIS5_EEEEEEvRNS_18TensorIteratorBaseERKT_EUlibE_EEviT1_.private_seg_size, 0
	.set _ZN2at6native32elementwise_kernel_manual_unrollILi128ELi4EZNS0_15gpu_kernel_implINS0_13AUnaryFunctorIN3c104HalfES5_bNS0_12_GLOBAL__N_116CompareEqFunctorIS5_EEEEEEvRNS_18TensorIteratorBaseERKT_EUlibE_EEviT1_.uses_vcc, 1
	.set _ZN2at6native32elementwise_kernel_manual_unrollILi128ELi4EZNS0_15gpu_kernel_implINS0_13AUnaryFunctorIN3c104HalfES5_bNS0_12_GLOBAL__N_116CompareEqFunctorIS5_EEEEEEvRNS_18TensorIteratorBaseERKT_EUlibE_EEviT1_.uses_flat_scratch, 0
	.set _ZN2at6native32elementwise_kernel_manual_unrollILi128ELi4EZNS0_15gpu_kernel_implINS0_13AUnaryFunctorIN3c104HalfES5_bNS0_12_GLOBAL__N_116CompareEqFunctorIS5_EEEEEEvRNS_18TensorIteratorBaseERKT_EUlibE_EEviT1_.has_dyn_sized_stack, 0
	.set _ZN2at6native32elementwise_kernel_manual_unrollILi128ELi4EZNS0_15gpu_kernel_implINS0_13AUnaryFunctorIN3c104HalfES5_bNS0_12_GLOBAL__N_116CompareEqFunctorIS5_EEEEEEvRNS_18TensorIteratorBaseERKT_EUlibE_EEviT1_.has_recursion, 0
	.set _ZN2at6native32elementwise_kernel_manual_unrollILi128ELi4EZNS0_15gpu_kernel_implINS0_13AUnaryFunctorIN3c104HalfES5_bNS0_12_GLOBAL__N_116CompareEqFunctorIS5_EEEEEEvRNS_18TensorIteratorBaseERKT_EUlibE_EEviT1_.has_indirect_call, 0
	.section	.AMDGPU.csdata,"",@progbits
; Kernel info:
; codeLenInByte = 34960
; TotalNumSgprs: 52
; NumVgprs: 14
; ScratchSize: 0
; MemoryBound: 0
; FloatMode: 240
; IeeeMode: 1
; LDSByteSize: 0 bytes/workgroup (compile time only)
; SGPRBlocks: 6
; VGPRBlocks: 3
; NumSGPRsForWavesPerEU: 52
; NumVGPRsForWavesPerEU: 14
; Occupancy: 10
; WaveLimiterHint : 0
; COMPUTE_PGM_RSRC2:SCRATCH_EN: 0
; COMPUTE_PGM_RSRC2:USER_SGPR: 6
; COMPUTE_PGM_RSRC2:TRAP_HANDLER: 0
; COMPUTE_PGM_RSRC2:TGID_X_EN: 1
; COMPUTE_PGM_RSRC2:TGID_Y_EN: 0
; COMPUTE_PGM_RSRC2:TGID_Z_EN: 0
; COMPUTE_PGM_RSRC2:TIDIG_COMP_CNT: 0
	.section	.text._ZN2at6native32elementwise_kernel_manual_unrollILi128ELi4EZNS0_15gpu_kernel_implINS0_13AUnaryFunctorIN3c104HalfES5_bNS0_12_GLOBAL__N_116CompareEqFunctorIS5_EEEEEEvRNS_18TensorIteratorBaseERKT_EUlibE0_EEviT1_,"axG",@progbits,_ZN2at6native32elementwise_kernel_manual_unrollILi128ELi4EZNS0_15gpu_kernel_implINS0_13AUnaryFunctorIN3c104HalfES5_bNS0_12_GLOBAL__N_116CompareEqFunctorIS5_EEEEEEvRNS_18TensorIteratorBaseERKT_EUlibE0_EEviT1_,comdat
	.globl	_ZN2at6native32elementwise_kernel_manual_unrollILi128ELi4EZNS0_15gpu_kernel_implINS0_13AUnaryFunctorIN3c104HalfES5_bNS0_12_GLOBAL__N_116CompareEqFunctorIS5_EEEEEEvRNS_18TensorIteratorBaseERKT_EUlibE0_EEviT1_ ; -- Begin function _ZN2at6native32elementwise_kernel_manual_unrollILi128ELi4EZNS0_15gpu_kernel_implINS0_13AUnaryFunctorIN3c104HalfES5_bNS0_12_GLOBAL__N_116CompareEqFunctorIS5_EEEEEEvRNS_18TensorIteratorBaseERKT_EUlibE0_EEviT1_
	.p2align	8
	.type	_ZN2at6native32elementwise_kernel_manual_unrollILi128ELi4EZNS0_15gpu_kernel_implINS0_13AUnaryFunctorIN3c104HalfES5_bNS0_12_GLOBAL__N_116CompareEqFunctorIS5_EEEEEEvRNS_18TensorIteratorBaseERKT_EUlibE0_EEviT1_,@function
_ZN2at6native32elementwise_kernel_manual_unrollILi128ELi4EZNS0_15gpu_kernel_implINS0_13AUnaryFunctorIN3c104HalfES5_bNS0_12_GLOBAL__N_116CompareEqFunctorIS5_EEEEEEvRNS_18TensorIteratorBaseERKT_EUlibE0_EEviT1_: ; @_ZN2at6native32elementwise_kernel_manual_unrollILi128ELi4EZNS0_15gpu_kernel_implINS0_13AUnaryFunctorIN3c104HalfES5_bNS0_12_GLOBAL__N_116CompareEqFunctorIS5_EEEEEEvRNS_18TensorIteratorBaseERKT_EUlibE0_EEviT1_
; %bb.0:
	s_load_dword s74, s[4:5], 0x0
	s_load_dword s33, s[4:5], 0x8
	s_add_u32 s34, s4, 8
	s_addc_u32 s35, s5, 0
	v_lshl_or_b32 v8, s6, 9, v0
	v_or_b32_e32 v15, 0x180, v8
	s_waitcnt lgkmcnt(0)
	s_add_i32 s76, s33, -1
	s_cmp_gt_u32 s76, 1
	v_cmp_le_i32_e32 vcc, s74, v15
	s_cselect_b64 s[46:47], -1, 0
	s_mov_b64 s[44:45], 0
	s_mov_b64 s[6:7], 0
	s_and_saveexec_b64 s[0:1], vcc
	s_xor_b64 s[48:49], exec, s[0:1]
	s_cbranch_execz .LBB191_1086
; %bb.1:
	s_load_dwordx4 s[28:31], s[34:35], 0x4
	s_load_dwordx2 s[52:53], s[34:35], 0x14
	s_load_dwordx2 s[50:51], s[34:35], 0x158
	s_load_dword s77, s[34:35], 0x160
	s_cmp_lg_u32 s33, 0
	s_cselect_b64 s[58:59], -1, 0
	s_add_u32 s56, s34, 0xc4
	s_addc_u32 s57, s35, 0
	s_min_u32 s79, s76, 15
	s_load_dwordx4 s[36:39], s[34:35], 0xc4
	s_load_dwordx4 s[24:27], s[34:35], 0x148
	s_cmp_gt_u32 s33, 1
	s_cselect_b64 s[54:55], -1, 0
	s_waitcnt lgkmcnt(0)
	s_bfe_u32 s78, s77, 0x80008
	s_cmp_eq_u32 s50, 0
	s_cselect_b64 s[0:1], -1, 0
	v_cmp_gt_i32_e32 vcc, s74, v8
	s_mov_b64 s[2:3], -1
	s_mov_b64 s[68:69], 0
	s_mov_b64 s[62:63], 0
	;; [unrolled: 1-line block ×3, first 2 shown]
	s_and_saveexec_b64 s[64:65], vcc
	s_cbranch_execz .LBB191_266
; %bb.2:
	s_andn2_b64 vcc, exec, s[46:47]
	s_cbranch_vccnz .LBB191_7
; %bb.3:
	s_andn2_b64 vcc, exec, s[58:59]
	s_cbranch_vccnz .LBB191_8
; %bb.4:
	s_add_i32 s60, s79, 1
	s_cmp_eq_u32 s76, 2
	s_cbranch_scc1 .LBB191_9
; %bb.5:
	s_and_b32 s50, s60, 28
	v_mov_b32_e32 v2, 0
	s_mov_b32 s61, 0
	s_mov_b64 s[2:3], s[34:35]
	s_mov_b64 s[6:7], s[56:57]
	v_mov_b32_e32 v0, 0
	v_mov_b32_e32 v1, v8
.LBB191_6:                              ; =>This Inner Loop Header: Depth=1
	s_load_dwordx8 s[16:23], s[2:3], 0x4
	s_load_dwordx4 s[40:43], s[2:3], 0x24
	s_load_dwordx8 s[8:15], s[6:7], 0x0
	s_add_u32 s2, s2, 48
	s_addc_u32 s3, s3, 0
	s_waitcnt lgkmcnt(0)
	v_mul_hi_u32 v3, s17, v1
	s_add_i32 s61, s61, 4
	s_add_u32 s6, s6, 32
	s_addc_u32 s7, s7, 0
	v_add_u32_e32 v3, v1, v3
	v_lshrrev_b32_e32 v3, s18, v3
	v_mul_lo_u32 v4, v3, s16
	v_mul_hi_u32 v5, s20, v3
	s_cmp_lg_u32 s50, s61
	v_sub_u32_e32 v1, v1, v4
	v_add_u32_e32 v4, v3, v5
	v_mul_lo_u32 v5, v1, s8
	v_mul_lo_u32 v6, v1, s9
	v_lshrrev_b32_e32 v1, s21, v4
	v_mul_lo_u32 v4, v1, s19
	v_mul_hi_u32 v7, s23, v1
	v_sub_u32_e32 v3, v3, v4
	v_add_u32_e32 v4, v1, v7
	v_lshrrev_b32_e32 v4, s40, v4
	v_mul_hi_u32 v9, s42, v4
	v_mul_lo_u32 v10, v4, s22
	v_mul_lo_u32 v7, v3, s10
	;; [unrolled: 1-line block ×3, first 2 shown]
	v_sub_u32_e32 v10, v1, v10
	v_add_u32_e32 v1, v4, v9
	v_lshrrev_b32_e32 v1, s43, v1
	v_mul_lo_u32 v9, v1, s41
	v_mul_lo_u32 v11, v10, s12
	;; [unrolled: 1-line block ×3, first 2 shown]
	v_add3_u32 v0, v5, v0, v7
	v_sub_u32_e32 v4, v4, v9
	v_mul_lo_u32 v9, v4, s14
	v_mul_lo_u32 v4, v4, s15
	v_add3_u32 v2, v6, v2, v3
	v_add3_u32 v0, v11, v0, v9
	;; [unrolled: 1-line block ×3, first 2 shown]
	s_cbranch_scc1 .LBB191_6
	s_branch .LBB191_10
.LBB191_7:
                                        ; implicit-def: $vgpr0
                                        ; implicit-def: $vgpr2
	s_andn2_b64 vcc, exec, s[2:3]
	s_cbranch_vccz .LBB191_14
	s_branch .LBB191_16
.LBB191_8:
	v_mov_b32_e32 v0, 0
	v_mov_b32_e32 v2, 0
	s_branch .LBB191_13
.LBB191_9:
	s_mov_b32 s50, 0
	v_mov_b32_e32 v0, 0
	v_mov_b32_e32 v2, 0
	;; [unrolled: 1-line block ×3, first 2 shown]
.LBB191_10:
	s_and_b32 s8, s60, 3
	s_cmp_eq_u32 s8, 0
	s_cbranch_scc1 .LBB191_13
; %bb.11:
	s_lshl_b32 s2, s50, 3
	s_add_u32 s2, s34, s2
	s_addc_u32 s3, s35, 0
	s_add_u32 s2, s2, 0xc4
	s_addc_u32 s3, s3, 0
	s_mul_i32 s6, s50, 12
	s_add_u32 s6, s34, s6
	s_addc_u32 s7, s35, 0
.LBB191_12:                             ; =>This Inner Loop Header: Depth=1
	s_load_dwordx2 s[10:11], s[6:7], 0x4
	s_load_dword s9, s[6:7], 0xc
	s_load_dwordx2 s[12:13], s[2:3], 0x0
	s_add_u32 s6, s6, 12
	s_addc_u32 s7, s7, 0
	s_waitcnt lgkmcnt(0)
	v_mul_hi_u32 v3, s11, v1
	s_add_u32 s2, s2, 8
	s_addc_u32 s3, s3, 0
	s_add_i32 s8, s8, -1
	v_add_u32_e32 v3, v1, v3
	v_lshrrev_b32_e32 v4, s9, v3
	v_mul_lo_u32 v3, v4, s10
	s_cmp_lg_u32 s8, 0
	v_sub_u32_e32 v3, v1, v3
	v_mad_u64_u32 v[0:1], s[10:11], v3, s12, v[0:1]
	v_mad_u64_u32 v[2:3], s[10:11], v3, s13, v[2:3]
	v_mov_b32_e32 v1, v4
	s_cbranch_scc1 .LBB191_12
.LBB191_13:
	s_cbranch_execnz .LBB191_16
.LBB191_14:
	v_mul_hi_u32 v0, s29, v8
	s_andn2_b64 vcc, exec, s[54:55]
	v_add_u32_e32 v0, v8, v0
	v_lshrrev_b32_e32 v1, s30, v0
	v_mul_lo_u32 v0, v1, s28
	v_sub_u32_e32 v2, v8, v0
	v_mul_lo_u32 v0, v2, s36
	v_mul_lo_u32 v2, v2, s37
	s_cbranch_vccnz .LBB191_16
; %bb.15:
	v_mul_hi_u32 v3, s52, v1
	v_add_u32_e32 v3, v1, v3
	v_lshrrev_b32_e32 v3, s53, v3
	v_mul_lo_u32 v3, v3, s31
	v_sub_u32_e32 v3, v1, v3
	v_mad_u64_u32 v[0:1], s[2:3], v3, s38, v[0:1]
	v_mad_u64_u32 v[2:3], s[2:3], v3, s39, v[2:3]
.LBB191_16:
	v_mov_b32_e32 v3, s27
	s_and_b32 s12, 0xffff, s78
	v_add_co_u32_e32 v1, vcc, s26, v2
	s_cmp_lt_i32 s12, 11
	v_addc_co_u32_e32 v2, vcc, 0, v3, vcc
	s_cbranch_scc1 .LBB191_23
; %bb.17:
	s_cmp_gt_i32 s12, 25
	s_cbranch_scc0 .LBB191_32
; %bb.18:
	s_cmp_gt_i32 s12, 28
	s_cbranch_scc0 .LBB191_35
	;; [unrolled: 3-line block ×4, first 2 shown]
; %bb.21:
	s_cmp_eq_u32 s12, 46
	s_mov_b64 s[6:7], 0
	s_cbranch_scc0 .LBB191_41
; %bb.22:
	global_load_dword v3, v[1:2], off
	s_mov_b64 s[2:3], -1
	s_mov_b64 s[8:9], 0
	s_waitcnt vmcnt(0)
	v_lshlrev_b32_e32 v3, 16, v3
	v_cvt_f16_f32_e32 v3, v3
	s_branch .LBB191_43
.LBB191_23:
	s_mov_b64 s[8:9], 0
                                        ; implicit-def: $vgpr3
	s_mov_b64 s[2:3], 0
	s_cbranch_execnz .LBB191_216
.LBB191_24:
	s_andn2_b64 vcc, exec, s[2:3]
	s_cbranch_vccnz .LBB191_263
.LBB191_25:
	s_waitcnt vmcnt(0)
	v_cmp_eq_f16_e32 vcc, s51, v3
	v_cndmask_b32_e64 v1, 0, 1, vcc
	v_cmp_neq_f16_e32 vcc, s51, v3
	v_cndmask_b32_e64 v2, 0, 1, vcc
	v_cndmask_b32_e64 v1, v2, v1, s[0:1]
	v_and_b32_e32 v1, 1, v1
	v_cmp_eq_u32_e64 s[2:3], 1, v1
	v_mov_b32_e32 v1, s25
	s_and_b32 s16, s77, 0xff
	v_add_co_u32_e32 v0, vcc, s24, v0
	s_cmp_lt_i32 s16, 11
	v_addc_co_u32_e32 v1, vcc, 0, v1, vcc
	s_cbranch_scc1 .LBB191_33
; %bb.26:
	s_and_b32 s17, 0xffff, s16
	s_cmp_gt_i32 s17, 25
	s_cbranch_scc0 .LBB191_36
; %bb.27:
	s_cmp_gt_i32 s17, 28
	s_cbranch_scc0 .LBB191_38
; %bb.28:
	s_cmp_gt_i32 s17, 43
	s_cbranch_scc0 .LBB191_40
; %bb.29:
	s_cmp_gt_i32 s17, 45
	s_cbranch_scc0 .LBB191_46
; %bb.30:
	s_mov_b64 s[12:13], 0
	s_mov_b64 s[6:7], -1
	s_cmp_eq_u32 s17, 46
	s_mov_b64 s[10:11], 0
	s_cbranch_scc0 .LBB191_47
; %bb.31:
	v_cndmask_b32_e64 v2, 0, 1.0, s[2:3]
	v_bfe_u32 v3, v2, 16, 1
	s_movk_i32 s6, 0x7fff
	v_add3_u32 v2, v2, v3, s6
	v_lshrrev_b32_e32 v2, 16, v2
	global_store_dword v[0:1], v2, off
	s_mov_b64 s[10:11], -1
	s_mov_b64 s[6:7], 0
	s_branch .LBB191_47
.LBB191_32:
	s_mov_b64 s[8:9], 0
	s_mov_b64 s[2:3], 0
                                        ; implicit-def: $vgpr3
	s_cbranch_execnz .LBB191_181
	s_branch .LBB191_215
.LBB191_33:
	s_mov_b64 s[6:7], 0
	s_mov_b64 s[10:11], 0
	s_cbranch_execnz .LBB191_116
.LBB191_34:
	s_andn2_b64 vcc, exec, s[10:11]
	s_cbranch_vccnz .LBB191_264
	s_branch .LBB191_154
.LBB191_35:
	s_mov_b64 s[6:7], -1
	s_mov_b64 s[8:9], 0
	s_mov_b64 s[2:3], 0
                                        ; implicit-def: $vgpr3
	s_branch .LBB191_162
.LBB191_36:
	s_mov_b64 s[12:13], -1
	s_mov_b64 s[6:7], 0
	s_mov_b64 s[10:11], 0
	s_branch .LBB191_74
.LBB191_37:
	s_mov_b64 s[6:7], -1
	s_mov_b64 s[8:9], 0
	s_mov_b64 s[2:3], 0
                                        ; implicit-def: $vgpr3
	s_branch .LBB191_157
.LBB191_38:
	s_mov_b64 s[12:13], -1
	s_mov_b64 s[6:7], 0
	s_mov_b64 s[10:11], 0
	s_branch .LBB191_57
.LBB191_39:
	s_mov_b64 s[6:7], -1
	s_mov_b64 s[8:9], 0
	s_branch .LBB191_42
.LBB191_40:
	s_mov_b64 s[12:13], -1
	s_mov_b64 s[6:7], 0
	s_mov_b64 s[10:11], 0
	s_branch .LBB191_53
.LBB191_41:
	s_mov_b64 s[8:9], -1
.LBB191_42:
	s_mov_b64 s[2:3], 0
                                        ; implicit-def: $vgpr3
.LBB191_43:
	s_and_b64 vcc, exec, s[6:7]
	s_cbranch_vccz .LBB191_156
; %bb.44:
	s_cmp_eq_u32 s12, 44
	s_cbranch_scc0 .LBB191_155
; %bb.45:
	global_load_ubyte v3, v[1:2], off
	s_movk_i32 s6, 0xff
	v_mov_b32_e32 v5, 0x7e00
	s_mov_b64 s[2:3], -1
	s_mov_b64 s[8:9], 0
	s_waitcnt vmcnt(0)
	v_lshlrev_b32_e32 v4, 23, v3
	v_cvt_f16_f32_e32 v4, v4
	v_cmp_ne_u32_e32 vcc, s6, v3
	v_cndmask_b32_e32 v4, v5, v4, vcc
	v_cmp_ne_u32_e32 vcc, 0, v3
	v_cndmask_b32_e32 v3, 0, v4, vcc
	s_branch .LBB191_156
.LBB191_46:
	s_mov_b64 s[12:13], -1
	s_mov_b64 s[6:7], 0
	s_mov_b64 s[10:11], 0
.LBB191_47:
	s_and_b64 vcc, exec, s[12:13]
	s_cbranch_vccz .LBB191_52
; %bb.48:
	s_cmp_eq_u32 s17, 44
	s_mov_b64 s[6:7], -1
	s_cbranch_scc0 .LBB191_52
; %bb.49:
	v_cndmask_b32_e64 v3, 0, 1.0, s[2:3]
	v_lshrrev_b32_e32 v2, 23, v3
	s_movk_i32 s6, 0xff
	v_cmp_ne_u32_e32 vcc, s6, v2
	v_mov_b32_e32 v4, 0xff
	s_and_saveexec_b64 s[10:11], vcc
; %bb.50:
	s_mov_b32 s6, 0x3fffff
	v_and_b32_e32 v4, 0x400000, v3
	v_and_or_b32 v3, v3, s6, v2
	v_cmp_ne_u32_e32 vcc, 0, v4
	v_cmp_ne_u32_e64 s[6:7], 0, v3
	s_and_b64 s[6:7], vcc, s[6:7]
	v_cndmask_b32_e64 v3, 0, 1, s[6:7]
	v_add_u32_e32 v4, v2, v3
; %bb.51:
	s_or_b64 exec, exec, s[10:11]
	s_mov_b64 s[10:11], -1
	s_mov_b64 s[6:7], 0
	global_store_byte v[0:1], v4, off
.LBB191_52:
	s_mov_b64 s[12:13], 0
.LBB191_53:
	s_and_b64 vcc, exec, s[12:13]
	s_cbranch_vccz .LBB191_56
; %bb.54:
	s_cmp_eq_u32 s17, 29
	s_mov_b64 s[6:7], -1
	s_cbranch_scc0 .LBB191_56
; %bb.55:
	s_mov_b32 s6, 0
	v_cndmask_b32_e64 v2, 0, 1, s[2:3]
	v_mov_b32_e32 v3, s6
	global_store_dwordx2 v[0:1], v[2:3], off
	s_mov_b64 s[10:11], -1
	s_mov_b64 s[6:7], 0
.LBB191_56:
	s_mov_b64 s[12:13], 0
.LBB191_57:
	s_and_b64 vcc, exec, s[12:13]
	s_cbranch_vccz .LBB191_73
; %bb.58:
	s_cmp_lt_i32 s17, 27
	s_mov_b64 s[10:11], -1
	s_cbranch_scc1 .LBB191_64
; %bb.59:
	s_cmp_gt_i32 s17, 27
	s_cbranch_scc0 .LBB191_61
; %bb.60:
	v_cndmask_b32_e64 v2, 0, 1, s[2:3]
	s_mov_b64 s[10:11], 0
	global_store_dword v[0:1], v2, off
.LBB191_61:
	s_andn2_b64 vcc, exec, s[10:11]
	s_cbranch_vccnz .LBB191_63
; %bb.62:
	v_cndmask_b32_e64 v2, 0, 1, s[2:3]
	global_store_short v[0:1], v2, off
.LBB191_63:
	s_mov_b64 s[10:11], 0
.LBB191_64:
	s_andn2_b64 vcc, exec, s[10:11]
	s_cbranch_vccnz .LBB191_72
; %bb.65:
	v_cndmask_b32_e64 v3, 0, 1.0, s[2:3]
	s_mov_b32 s10, 0x43800000
	v_cmp_gt_u32_e32 vcc, s10, v3
	v_mov_b32_e32 v4, 0x80
	s_and_saveexec_b64 s[10:11], vcc
	s_cbranch_execz .LBB191_71
; %bb.66:
	s_mov_b32 s12, 0x3bffffff
	v_cmp_lt_u32_e32 vcc, s12, v3
	s_mov_b64 s[12:13], 0
                                        ; implicit-def: $vgpr2
	s_and_saveexec_b64 s[14:15], vcc
	s_xor_b64 s[14:15], exec, s[14:15]
	s_cbranch_execz .LBB191_307
; %bb.67:
	v_bfe_u32 v2, v3, 20, 1
	s_mov_b32 s18, 0x487ffff
	v_add3_u32 v2, v3, v2, s18
	s_mov_b64 s[12:13], exec
	v_lshrrev_b32_e32 v2, 20, v2
                                        ; implicit-def: $vgpr3
	s_andn2_saveexec_b64 s[14:15], s[14:15]
	s_cbranch_execnz .LBB191_308
.LBB191_68:
	s_or_b64 exec, exec, s[14:15]
	v_mov_b32_e32 v4, 0
	s_and_saveexec_b64 s[14:15], s[12:13]
.LBB191_69:
	v_mov_b32_e32 v4, v2
.LBB191_70:
	s_or_b64 exec, exec, s[14:15]
.LBB191_71:
	s_or_b64 exec, exec, s[10:11]
	global_store_byte v[0:1], v4, off
.LBB191_72:
	s_mov_b64 s[10:11], -1
.LBB191_73:
	s_mov_b64 s[12:13], 0
.LBB191_74:
	s_and_b64 vcc, exec, s[12:13]
	s_cbranch_vccz .LBB191_115
; %bb.75:
	s_cmp_gt_i32 s17, 22
	s_mov_b64 s[12:13], -1
	s_cbranch_scc0 .LBB191_107
; %bb.76:
	s_cmp_lt_i32 s17, 24
	s_mov_b64 s[10:11], -1
	s_cbranch_scc1 .LBB191_96
; %bb.77:
	s_cmp_gt_i32 s17, 24
	s_cbranch_scc0 .LBB191_85
; %bb.78:
	v_cndmask_b32_e64 v3, 0, 1.0, s[2:3]
	s_mov_b32 s10, 0x47800000
	v_cmp_gt_u32_e32 vcc, s10, v3
	v_mov_b32_e32 v4, 0x80
	s_and_saveexec_b64 s[10:11], vcc
	s_cbranch_execz .LBB191_84
; %bb.79:
	s_mov_b32 s12, 0x37ffffff
	v_cmp_lt_u32_e32 vcc, s12, v3
	s_mov_b64 s[12:13], 0
                                        ; implicit-def: $vgpr2
	s_and_saveexec_b64 s[14:15], vcc
	s_xor_b64 s[14:15], exec, s[14:15]
	s_cbranch_execz .LBB191_311
; %bb.80:
	v_bfe_u32 v2, v3, 21, 1
	s_mov_b32 s18, 0x88fffff
	v_add3_u32 v2, v3, v2, s18
	s_mov_b64 s[12:13], exec
	v_lshrrev_b32_e32 v2, 21, v2
                                        ; implicit-def: $vgpr3
	s_andn2_saveexec_b64 s[14:15], s[14:15]
	s_cbranch_execnz .LBB191_312
.LBB191_81:
	s_or_b64 exec, exec, s[14:15]
	v_mov_b32_e32 v4, 0
	s_and_saveexec_b64 s[14:15], s[12:13]
.LBB191_82:
	v_mov_b32_e32 v4, v2
.LBB191_83:
	s_or_b64 exec, exec, s[14:15]
.LBB191_84:
	s_or_b64 exec, exec, s[10:11]
	s_mov_b64 s[10:11], 0
	global_store_byte v[0:1], v4, off
.LBB191_85:
	s_and_b64 vcc, exec, s[10:11]
	s_cbranch_vccz .LBB191_95
; %bb.86:
	v_cndmask_b32_e64 v2, 0, 1.0, s[2:3]
	s_mov_b32 s10, 0x43f00000
	v_cmp_gt_u32_e32 vcc, s10, v2
                                        ; implicit-def: $vgpr3
	s_and_saveexec_b64 s[10:11], vcc
	s_xor_b64 s[10:11], exec, s[10:11]
	s_cbranch_execz .LBB191_92
; %bb.87:
	s_mov_b32 s12, 0x3c7fffff
	v_cmp_lt_u32_e32 vcc, s12, v2
                                        ; implicit-def: $vgpr3
	s_and_saveexec_b64 s[12:13], vcc
	s_xor_b64 s[12:13], exec, s[12:13]
; %bb.88:
	v_bfe_u32 v3, v2, 20, 1
	s_mov_b32 s14, 0x407ffff
	v_add3_u32 v2, v2, v3, s14
	v_lshrrev_b32_e32 v3, 20, v2
	v_and_b32_e32 v2, 0xff00000, v2
	s_mov_b32 s14, 0x7f00000
	v_mov_b32_e32 v4, 0x7e
	v_cmp_ne_u32_e32 vcc, s14, v2
	v_cndmask_b32_e32 v3, v4, v3, vcc
                                        ; implicit-def: $vgpr2
; %bb.89:
	s_andn2_saveexec_b64 s[12:13], s[12:13]
; %bb.90:
	v_add_f32_e32 v3, 0x46800000, v2
; %bb.91:
	s_or_b64 exec, exec, s[12:13]
                                        ; implicit-def: $vgpr2
.LBB191_92:
	s_andn2_saveexec_b64 s[10:11], s[10:11]
; %bb.93:
	s_mov_b32 s12, 0x7f800000
	v_mov_b32_e32 v3, 0x7e
	v_mov_b32_e32 v4, 0x7f
	v_cmp_lt_u32_e32 vcc, s12, v2
	v_cndmask_b32_e32 v3, v3, v4, vcc
; %bb.94:
	s_or_b64 exec, exec, s[10:11]
	global_store_byte v[0:1], v3, off
.LBB191_95:
	s_mov_b64 s[10:11], 0
.LBB191_96:
	s_andn2_b64 vcc, exec, s[10:11]
	s_cbranch_vccnz .LBB191_106
; %bb.97:
	v_cndmask_b32_e64 v2, 0, 1.0, s[2:3]
	s_mov_b32 s10, 0x47800000
	v_cmp_gt_u32_e32 vcc, s10, v2
                                        ; implicit-def: $vgpr3
	s_and_saveexec_b64 s[10:11], vcc
	s_xor_b64 s[10:11], exec, s[10:11]
	s_cbranch_execz .LBB191_103
; %bb.98:
	s_mov_b32 s12, 0x387fffff
	v_cmp_lt_u32_e32 vcc, s12, v2
                                        ; implicit-def: $vgpr3
	s_and_saveexec_b64 s[12:13], vcc
	s_xor_b64 s[12:13], exec, s[12:13]
; %bb.99:
	v_bfe_u32 v3, v2, 21, 1
	s_mov_b32 s14, 0x80fffff
	v_add3_u32 v2, v2, v3, s14
	v_lshrrev_b32_e32 v3, 21, v2
                                        ; implicit-def: $vgpr2
; %bb.100:
	s_andn2_saveexec_b64 s[12:13], s[12:13]
; %bb.101:
	v_add_f32_e32 v3, 0x43000000, v2
; %bb.102:
	s_or_b64 exec, exec, s[12:13]
                                        ; implicit-def: $vgpr2
.LBB191_103:
	s_andn2_saveexec_b64 s[10:11], s[10:11]
; %bb.104:
	s_mov_b32 s12, 0x7f800000
	v_mov_b32_e32 v3, 0x7c
	v_mov_b32_e32 v4, 0x7f
	v_cmp_lt_u32_e32 vcc, s12, v2
	v_cndmask_b32_e32 v3, v3, v4, vcc
; %bb.105:
	s_or_b64 exec, exec, s[10:11]
	global_store_byte v[0:1], v3, off
.LBB191_106:
	s_mov_b64 s[12:13], 0
	s_mov_b64 s[10:11], -1
.LBB191_107:
	s_andn2_b64 vcc, exec, s[12:13]
	s_cbranch_vccnz .LBB191_115
; %bb.108:
	s_cmp_gt_i32 s17, 14
	s_mov_b64 s[12:13], -1
	s_cbranch_scc0 .LBB191_112
; %bb.109:
	s_cmp_eq_u32 s17, 15
	s_mov_b64 s[6:7], -1
	s_cbranch_scc0 .LBB191_111
; %bb.110:
	v_cndmask_b32_e64 v2, 0, 1.0, s[2:3]
	v_bfe_u32 v3, v2, 16, 1
	s_movk_i32 s6, 0x7fff
	v_add3_u32 v2, v2, v3, s6
	global_store_short_d16_hi v[0:1], v2, off
	s_mov_b64 s[10:11], -1
	s_mov_b64 s[6:7], 0
.LBB191_111:
	s_mov_b64 s[12:13], 0
.LBB191_112:
	s_and_b64 vcc, exec, s[12:13]
	s_cbranch_vccz .LBB191_115
; %bb.113:
	s_cmp_eq_u32 s17, 11
	s_mov_b64 s[6:7], -1
	s_cbranch_scc0 .LBB191_115
; %bb.114:
	v_cndmask_b32_e64 v2, 0, 1, s[2:3]
	s_mov_b64 s[10:11], -1
	s_mov_b64 s[6:7], 0
	global_store_byte v[0:1], v2, off
.LBB191_115:
	s_branch .LBB191_34
.LBB191_116:
	s_and_b32 s12, 0xffff, s16
	s_cmp_lt_i32 s12, 5
	s_mov_b64 s[10:11], -1
	s_cbranch_scc1 .LBB191_137
; %bb.117:
	s_cmp_lt_i32 s12, 8
	s_cbranch_scc1 .LBB191_127
; %bb.118:
	s_cmp_lt_i32 s12, 9
	s_cbranch_scc1 .LBB191_124
; %bb.119:
	s_cmp_gt_i32 s12, 9
	s_cbranch_scc0 .LBB191_121
; %bb.120:
	v_cndmask_b32_e64 v2, 0, 1, s[2:3]
	v_cvt_f64_u32_e32 v[2:3], v2
	v_mov_b32_e32 v4, 0
	v_mov_b32_e32 v5, v4
	s_mov_b64 s[10:11], 0
	global_store_dwordx4 v[0:1], v[2:5], off
.LBB191_121:
	s_andn2_b64 vcc, exec, s[10:11]
	s_cbranch_vccnz .LBB191_123
; %bb.122:
	v_cndmask_b32_e64 v2, 0, 1.0, s[2:3]
	v_mov_b32_e32 v3, 0
	global_store_dwordx2 v[0:1], v[2:3], off
.LBB191_123:
	s_mov_b64 s[10:11], 0
.LBB191_124:
	s_andn2_b64 vcc, exec, s[10:11]
	s_cbranch_vccnz .LBB191_126
; %bb.125:
	v_cndmask_b32_e64 v2, 0, 1.0, s[2:3]
	v_cvt_f16_f32_e32 v2, v2
	global_store_dword v[0:1], v2, off
.LBB191_126:
	s_mov_b64 s[10:11], 0
.LBB191_127:
	s_andn2_b64 vcc, exec, s[10:11]
	s_cbranch_vccnz .LBB191_136
; %bb.128:
	s_cmp_lt_i32 s12, 6
	s_mov_b64 s[10:11], -1
	s_cbranch_scc1 .LBB191_134
; %bb.129:
	s_cmp_gt_i32 s12, 6
	s_cbranch_scc0 .LBB191_131
; %bb.130:
	v_cndmask_b32_e64 v2, 0, 1, s[2:3]
	v_cvt_f64_u32_e32 v[2:3], v2
	s_mov_b64 s[10:11], 0
	global_store_dwordx2 v[0:1], v[2:3], off
.LBB191_131:
	s_andn2_b64 vcc, exec, s[10:11]
	s_cbranch_vccnz .LBB191_133
; %bb.132:
	v_cndmask_b32_e64 v2, 0, 1.0, s[2:3]
	global_store_dword v[0:1], v2, off
.LBB191_133:
	s_mov_b64 s[10:11], 0
.LBB191_134:
	s_andn2_b64 vcc, exec, s[10:11]
	s_cbranch_vccnz .LBB191_136
; %bb.135:
	v_cndmask_b32_e64 v2, 0, 1.0, s[2:3]
	v_cvt_f16_f32_e32 v2, v2
	global_store_short v[0:1], v2, off
.LBB191_136:
	s_mov_b64 s[10:11], 0
.LBB191_137:
	s_andn2_b64 vcc, exec, s[10:11]
	s_cbranch_vccnz .LBB191_153
; %bb.138:
	s_cmp_lt_i32 s12, 2
	s_mov_b64 s[10:11], -1
	s_cbranch_scc1 .LBB191_148
; %bb.139:
	s_cmp_lt_i32 s12, 3
	s_cbranch_scc1 .LBB191_145
; %bb.140:
	s_cmp_gt_i32 s12, 3
	s_cbranch_scc0 .LBB191_142
; %bb.141:
	s_mov_b32 s10, 0
	v_cndmask_b32_e64 v2, 0, 1, s[2:3]
	v_mov_b32_e32 v3, s10
	global_store_dwordx2 v[0:1], v[2:3], off
	s_mov_b64 s[10:11], 0
.LBB191_142:
	s_andn2_b64 vcc, exec, s[10:11]
	s_cbranch_vccnz .LBB191_144
; %bb.143:
	v_cndmask_b32_e64 v2, 0, 1, s[2:3]
	global_store_dword v[0:1], v2, off
.LBB191_144:
	s_mov_b64 s[10:11], 0
.LBB191_145:
	s_andn2_b64 vcc, exec, s[10:11]
	s_cbranch_vccnz .LBB191_147
; %bb.146:
	v_cndmask_b32_e64 v2, 0, 1, s[2:3]
	global_store_short v[0:1], v2, off
.LBB191_147:
	s_mov_b64 s[10:11], 0
.LBB191_148:
	s_andn2_b64 vcc, exec, s[10:11]
	s_cbranch_vccnz .LBB191_153
; %bb.149:
	s_cmp_gt_i32 s12, 0
	s_mov_b64 s[10:11], -1
	s_cbranch_scc0 .LBB191_151
; %bb.150:
	v_cndmask_b32_e64 v2, 0, 1, s[2:3]
	global_store_byte v[0:1], v2, off
	s_mov_b64 s[10:11], 0
.LBB191_151:
	s_andn2_b64 vcc, exec, s[10:11]
	s_cbranch_vccnz .LBB191_153
; %bb.152:
	v_cndmask_b32_e64 v2, 0, 1, s[2:3]
	global_store_byte v[0:1], v2, off
.LBB191_153:
.LBB191_154:
	v_add_u32_e32 v8, 0x80, v8
	s_mov_b64 s[2:3], -1
	s_branch .LBB191_265
.LBB191_155:
	s_mov_b64 s[8:9], -1
                                        ; implicit-def: $vgpr3
.LBB191_156:
	s_mov_b64 s[6:7], 0
.LBB191_157:
	s_and_b64 vcc, exec, s[6:7]
	s_cbranch_vccz .LBB191_161
; %bb.158:
	s_cmp_eq_u32 s12, 29
	s_cbranch_scc0 .LBB191_160
; %bb.159:
	global_load_dwordx2 v[3:4], v[1:2], off
	s_mov_b64 s[2:3], -1
	s_mov_b64 s[8:9], 0
	s_mov_b64 s[6:7], 0
	s_waitcnt vmcnt(0)
	v_ffbh_u32_e32 v5, v4
	v_min_u32_e32 v5, 32, v5
	v_lshlrev_b64 v[3:4], v5, v[3:4]
	v_min_u32_e32 v3, 1, v3
	v_or_b32_e32 v3, v4, v3
	v_cvt_f32_u32_e32 v3, v3
	v_sub_u32_e32 v4, 32, v5
	v_ldexp_f32 v3, v3, v4
	v_cvt_f16_f32_e32 v3, v3
	s_branch .LBB191_162
.LBB191_160:
	s_mov_b64 s[8:9], -1
                                        ; implicit-def: $vgpr3
.LBB191_161:
	s_mov_b64 s[6:7], 0
.LBB191_162:
	s_and_b64 vcc, exec, s[6:7]
	s_cbranch_vccz .LBB191_180
; %bb.163:
	s_cmp_lt_i32 s12, 27
	s_cbranch_scc1 .LBB191_166
; %bb.164:
	s_cmp_gt_i32 s12, 27
	s_cbranch_scc0 .LBB191_167
; %bb.165:
	global_load_dword v3, v[1:2], off
	s_mov_b64 s[2:3], 0
	s_waitcnt vmcnt(0)
	v_cvt_f32_u32_e32 v3, v3
	v_cvt_f16_f32_e32 v3, v3
	s_branch .LBB191_168
.LBB191_166:
	s_mov_b64 s[2:3], -1
                                        ; implicit-def: $vgpr3
	s_branch .LBB191_171
.LBB191_167:
	s_mov_b64 s[2:3], -1
                                        ; implicit-def: $vgpr3
.LBB191_168:
	s_andn2_b64 vcc, exec, s[2:3]
	s_cbranch_vccnz .LBB191_170
; %bb.169:
	global_load_ushort v3, v[1:2], off
	s_waitcnt vmcnt(0)
	v_cvt_f16_u16_e32 v3, v3
.LBB191_170:
	s_mov_b64 s[2:3], 0
.LBB191_171:
	s_andn2_b64 vcc, exec, s[2:3]
	s_cbranch_vccnz .LBB191_179
; %bb.172:
	global_load_ubyte v4, v[1:2], off
	s_movk_i32 s2, 0x7f
	s_waitcnt vmcnt(0)
	v_cmp_lt_i16_e32 vcc, s2, v4
	s_mov_b64 s[2:3], 0
	s_and_saveexec_b64 s[6:7], vcc
	s_xor_b64 s[6:7], exec, s[6:7]
	s_cbranch_execz .LBB191_192
; %bb.173:
	s_movk_i32 s2, 0x80
	v_cmp_eq_u16_e32 vcc, s2, v4
	s_mov_b64 s[2:3], -1
	s_and_saveexec_b64 s[10:11], vcc
; %bb.174:
	s_xor_b64 s[2:3], exec, -1
; %bb.175:
	s_or_b64 exec, exec, s[10:11]
	s_and_b64 s[2:3], s[2:3], exec
	s_or_saveexec_b64 s[6:7], s[6:7]
	v_mov_b32_e32 v3, 0x7e00
	s_xor_b64 exec, exec, s[6:7]
	s_cbranch_execnz .LBB191_193
.LBB191_176:
	s_or_b64 exec, exec, s[6:7]
	s_and_saveexec_b64 s[6:7], s[2:3]
	s_cbranch_execz .LBB191_178
.LBB191_177:
	v_lshlrev_b32_e32 v3, 24, v4
	v_and_b32_e32 v4, 0xffff, v4
	v_and_b32_e32 v5, 7, v4
	v_ffbh_u32_e32 v7, v5
	v_min_u32_e32 v7, 32, v7
	v_subrev_u32_e32 v9, 28, v7
	v_bfe_u32 v6, v4, 3, 4
	v_lshlrev_b32_e32 v4, v9, v4
	v_sub_u32_e32 v7, 29, v7
	v_and_b32_e32 v4, 7, v4
	v_cmp_eq_u32_e32 vcc, 0, v6
	v_cndmask_b32_e32 v6, v6, v7, vcc
	v_cndmask_b32_e32 v4, v5, v4, vcc
	v_mov_b32_e32 v5, 0x3b800000
	v_lshlrev_b32_e32 v4, 20, v4
	v_and_b32_e32 v3, 0x80000000, v3
	v_lshl_add_u32 v5, v6, 23, v5
	v_or3_b32 v3, v3, v5, v4
	v_cvt_f16_f32_e32 v3, v3
.LBB191_178:
	s_or_b64 exec, exec, s[6:7]
.LBB191_179:
	s_mov_b64 s[2:3], -1
.LBB191_180:
	s_branch .LBB191_215
.LBB191_181:
	s_cmp_gt_i32 s12, 22
	s_cbranch_scc0 .LBB191_191
; %bb.182:
	s_cmp_lt_i32 s12, 24
	s_cbranch_scc1 .LBB191_194
; %bb.183:
	s_cmp_gt_i32 s12, 24
	s_cbranch_scc0 .LBB191_195
; %bb.184:
	global_load_ubyte v4, v[1:2], off
	s_movk_i32 s2, 0x7f
	s_waitcnt vmcnt(0)
	v_cmp_lt_i16_e32 vcc, s2, v4
	s_mov_b64 s[2:3], 0
	s_and_saveexec_b64 s[6:7], vcc
	s_xor_b64 s[6:7], exec, s[6:7]
	s_cbranch_execz .LBB191_207
; %bb.185:
	s_movk_i32 s2, 0x80
	v_cmp_eq_u16_e32 vcc, s2, v4
	s_mov_b64 s[2:3], -1
	s_and_saveexec_b64 s[10:11], vcc
; %bb.186:
	s_xor_b64 s[2:3], exec, -1
; %bb.187:
	s_or_b64 exec, exec, s[10:11]
	s_and_b64 s[2:3], s[2:3], exec
	s_or_saveexec_b64 s[6:7], s[6:7]
	v_mov_b32_e32 v3, 0x7e00
	s_xor_b64 exec, exec, s[6:7]
	s_cbranch_execnz .LBB191_208
.LBB191_188:
	s_or_b64 exec, exec, s[6:7]
	s_and_saveexec_b64 s[6:7], s[2:3]
	s_cbranch_execz .LBB191_190
.LBB191_189:
	v_lshlrev_b32_e32 v3, 24, v4
	v_and_b32_e32 v4, 0xffff, v4
	v_and_b32_e32 v5, 3, v4
	v_ffbh_u32_e32 v7, v5
	v_min_u32_e32 v7, 32, v7
	v_subrev_u32_e32 v9, 29, v7
	v_bfe_u32 v6, v4, 2, 5
	v_lshlrev_b32_e32 v4, v9, v4
	v_sub_u32_e32 v7, 30, v7
	v_and_b32_e32 v4, 3, v4
	v_cmp_eq_u32_e32 vcc, 0, v6
	v_cndmask_b32_e32 v6, v6, v7, vcc
	v_cndmask_b32_e32 v4, v5, v4, vcc
	v_mov_b32_e32 v5, 0x37800000
	v_lshlrev_b32_e32 v4, 21, v4
	v_and_b32_e32 v3, 0x80000000, v3
	v_lshl_add_u32 v5, v6, 23, v5
	v_or3_b32 v3, v3, v5, v4
	v_cvt_f16_f32_e32 v3, v3
.LBB191_190:
	s_or_b64 exec, exec, s[6:7]
	s_mov_b64 s[2:3], 0
	s_branch .LBB191_196
.LBB191_191:
	s_mov_b64 s[6:7], -1
                                        ; implicit-def: $vgpr3
	s_branch .LBB191_202
.LBB191_192:
	s_or_saveexec_b64 s[6:7], s[6:7]
	v_mov_b32_e32 v3, 0x7e00
	s_xor_b64 exec, exec, s[6:7]
	s_cbranch_execz .LBB191_176
.LBB191_193:
	v_cmp_ne_u16_e32 vcc, 0, v4
	s_andn2_b64 s[2:3], s[2:3], exec
	s_and_b64 s[10:11], vcc, exec
	s_or_b64 s[2:3], s[2:3], s[10:11]
	v_mov_b32_e32 v3, v4
	s_or_b64 exec, exec, s[6:7]
	s_and_saveexec_b64 s[6:7], s[2:3]
	s_cbranch_execnz .LBB191_177
	s_branch .LBB191_178
.LBB191_194:
	s_mov_b64 s[2:3], -1
                                        ; implicit-def: $vgpr3
	s_branch .LBB191_199
.LBB191_195:
	s_mov_b64 s[2:3], -1
                                        ; implicit-def: $vgpr3
.LBB191_196:
	s_and_b64 vcc, exec, s[2:3]
	s_cbranch_vccz .LBB191_198
; %bb.197:
	global_load_ubyte v3, v[1:2], off
	s_mov_b32 s2, 0x7f800000
	s_waitcnt vmcnt(0)
	v_lshlrev_b32_e32 v3, 24, v3
	v_and_b32_e32 v4, 0x7f000000, v3
	v_ffbh_u32_e32 v5, v4
	v_min_u32_e32 v5, 32, v5
	v_sub_u32_e64 v5, v5, 4 clamp
	v_lshlrev_b32_e32 v7, v5, v4
	v_lshlrev_b32_e32 v5, 23, v5
	v_lshrrev_b32_e32 v7, 4, v7
	v_add_u32_e32 v6, 0x1000000, v4
	v_sub_u32_e32 v5, v7, v5
	v_ashrrev_i32_e32 v6, 8, v6
	v_add_u32_e32 v5, 0x3c000000, v5
	v_and_or_b32 v5, v6, s2, v5
	v_cmp_ne_u32_e32 vcc, 0, v4
	v_cndmask_b32_e32 v4, 0, v5, vcc
	s_brev_b32 s2, 1
	v_and_or_b32 v3, v3, s2, v4
	v_cvt_f16_f32_e32 v3, v3
.LBB191_198:
	s_mov_b64 s[2:3], 0
.LBB191_199:
	s_andn2_b64 vcc, exec, s[2:3]
	s_cbranch_vccnz .LBB191_201
; %bb.200:
	global_load_ubyte v3, v[1:2], off
	s_movk_i32 s2, 0x7f00
	s_brev_b32 s3, 16
	s_waitcnt vmcnt(0)
	v_lshlrev_b16_e32 v4, 8, v3
	v_lshlrev_b32_e32 v3, 25, v3
	v_lshrrev_b32_e32 v5, 4, v3
	v_and_or_b32 v6, v4, s2, 0.5
	v_or_b32_e32 v5, 0x70000000, v5
	v_add_f32_e32 v6, -0.5, v6
	v_mul_f32_e32 v5, 0x7800000, v5
	v_cmp_gt_u32_e32 vcc, s3, v3
	v_bfe_i32 v4, v4, 0, 16
	v_cndmask_b32_e32 v3, v5, v6, vcc
	s_brev_b32 s2, 1
	v_and_or_b32 v3, v4, s2, v3
	v_cvt_f16_f32_e32 v3, v3
.LBB191_201:
	s_mov_b64 s[6:7], 0
	s_mov_b64 s[2:3], -1
.LBB191_202:
	s_andn2_b64 vcc, exec, s[6:7]
	s_cbranch_vccnz .LBB191_215
; %bb.203:
	s_cmp_gt_i32 s12, 14
	s_cbranch_scc0 .LBB191_206
; %bb.204:
	s_cmp_eq_u32 s12, 15
	s_cbranch_scc0 .LBB191_209
; %bb.205:
	global_load_ushort v3, v[1:2], off
	s_mov_b64 s[2:3], -1
	s_mov_b64 s[8:9], 0
	s_waitcnt vmcnt(0)
	v_lshlrev_b32_e32 v3, 16, v3
	v_cvt_f16_f32_e32 v3, v3
	s_branch .LBB191_210
.LBB191_206:
	s_mov_b64 s[6:7], -1
                                        ; implicit-def: $vgpr3
	s_branch .LBB191_211
.LBB191_207:
	s_or_saveexec_b64 s[6:7], s[6:7]
	v_mov_b32_e32 v3, 0x7e00
	s_xor_b64 exec, exec, s[6:7]
	s_cbranch_execz .LBB191_188
.LBB191_208:
	v_cmp_ne_u16_e32 vcc, 0, v4
	s_andn2_b64 s[2:3], s[2:3], exec
	s_and_b64 s[10:11], vcc, exec
	s_or_b64 s[2:3], s[2:3], s[10:11]
	v_mov_b32_e32 v3, v4
	s_or_b64 exec, exec, s[6:7]
	s_and_saveexec_b64 s[6:7], s[2:3]
	s_cbranch_execnz .LBB191_189
	s_branch .LBB191_190
.LBB191_209:
	s_mov_b64 s[8:9], -1
                                        ; implicit-def: $vgpr3
.LBB191_210:
	s_mov_b64 s[6:7], 0
.LBB191_211:
	s_and_b64 vcc, exec, s[6:7]
	s_cbranch_vccz .LBB191_215
; %bb.212:
	s_cmp_eq_u32 s12, 11
	s_cbranch_scc0 .LBB191_214
; %bb.213:
	global_load_ubyte v3, v[1:2], off
	v_mov_b32_e32 v4, 0x3c00
	s_mov_b64 s[2:3], -1
	s_mov_b64 s[8:9], 0
	s_waitcnt vmcnt(0)
	v_cmp_ne_u16_e32 vcc, 0, v3
	v_cndmask_b32_e32 v3, 0, v4, vcc
	s_branch .LBB191_215
.LBB191_214:
	s_mov_b64 s[8:9], -1
                                        ; implicit-def: $vgpr3
.LBB191_215:
	s_branch .LBB191_24
.LBB191_216:
	s_cmp_lt_i32 s12, 5
	s_cbranch_scc1 .LBB191_221
; %bb.217:
	s_cmp_lt_i32 s12, 8
	s_cbranch_scc1 .LBB191_222
; %bb.218:
	;; [unrolled: 3-line block ×3, first 2 shown]
	s_cmp_gt_i32 s12, 9
	s_cbranch_scc0 .LBB191_224
; %bb.220:
	global_load_dwordx2 v[3:4], v[1:2], off
	s_movk_i32 s2, 0x1ff
	s_movk_i32 s3, 0xffe
	v_mov_b32_e32 v5, 0x7c00
	v_mov_b32_e32 v6, 0x7e00
	s_movk_i32 s6, 0x40f
	s_mov_b32 s7, 0x8000
	s_waitcnt vmcnt(0)
	v_and_or_b32 v3, v4, s2, v3
	v_cmp_ne_u32_e32 vcc, 0, v3
	v_lshrrev_b32_e32 v7, 8, v4
	v_bfe_u32 v9, v4, 20, 11
	v_cndmask_b32_e64 v3, 0, 1, vcc
	v_sub_u32_e32 v10, 0x3f1, v9
	v_and_or_b32 v3, v7, s3, v3
	v_add_u32_e32 v9, 0xfffffc10, v9
	v_med3_i32 v7, v10, 0, 13
	v_or_b32_e32 v10, 0x1000, v3
	v_cmp_ne_u32_e32 vcc, 0, v3
	v_lshl_or_b32 v11, v9, 12, v3
	v_cndmask_b32_e32 v3, v5, v6, vcc
	v_lshrrev_b32_e32 v6, v7, v10
	v_lshlrev_b32_e32 v7, v7, v6
	v_cmp_ne_u32_e32 vcc, v7, v10
	v_cndmask_b32_e64 v7, 0, 1, vcc
	v_or_b32_e32 v6, v6, v7
	v_cmp_gt_i32_e32 vcc, 1, v9
	v_cndmask_b32_e32 v6, v11, v6, vcc
	v_and_b32_e32 v7, 7, v6
	v_cmp_lt_i32_e32 vcc, 5, v7
	v_cndmask_b32_e64 v10, 0, 1, vcc
	v_cmp_eq_u32_e32 vcc, 3, v7
	v_cndmask_b32_e64 v7, 0, 1, vcc
	v_lshrrev_b32_e32 v6, 2, v6
	v_or_b32_e32 v7, v7, v10
	v_add_u32_e32 v6, v6, v7
	v_cmp_gt_i32_e32 vcc, 31, v9
	v_cndmask_b32_e32 v5, v5, v6, vcc
	v_cmp_eq_u32_e32 vcc, s6, v9
	v_lshrrev_b32_e32 v4, 16, v4
	v_cndmask_b32_e32 v3, v5, v3, vcc
	v_and_or_b32 v3, v4, s7, v3
	s_mov_b64 s[2:3], 0
	s_branch .LBB191_225
.LBB191_221:
                                        ; implicit-def: $vgpr3
	s_branch .LBB191_243
.LBB191_222:
	s_mov_b64 s[2:3], -1
                                        ; implicit-def: $vgpr3
	s_branch .LBB191_231
.LBB191_223:
	s_mov_b64 s[2:3], -1
                                        ; implicit-def: $vgpr3
	s_branch .LBB191_228
.LBB191_224:
	s_mov_b64 s[2:3], -1
                                        ; implicit-def: $vgpr3
.LBB191_225:
	s_andn2_b64 vcc, exec, s[2:3]
	s_cbranch_vccnz .LBB191_227
; %bb.226:
	global_load_dword v3, v[1:2], off
	s_waitcnt vmcnt(0)
	v_cvt_f16_f32_e32 v3, v3
.LBB191_227:
	s_mov_b64 s[2:3], 0
.LBB191_228:
	s_andn2_b64 vcc, exec, s[2:3]
	s_cbranch_vccnz .LBB191_230
; %bb.229:
	global_load_dword v3, v[1:2], off
.LBB191_230:
	s_mov_b64 s[2:3], 0
.LBB191_231:
	s_andn2_b64 vcc, exec, s[2:3]
	s_cbranch_vccnz .LBB191_242
; %bb.232:
	s_cmp_lt_i32 s12, 6
	s_cbranch_scc1 .LBB191_235
; %bb.233:
	s_cmp_gt_i32 s12, 6
	s_cbranch_scc0 .LBB191_236
; %bb.234:
	global_load_dwordx2 v[3:4], v[1:2], off
	s_movk_i32 s2, 0x1ff
	s_movk_i32 s3, 0xffe
	v_mov_b32_e32 v5, 0x7c00
	v_mov_b32_e32 v6, 0x7e00
	s_movk_i32 s6, 0x40f
	s_mov_b32 s7, 0x8000
	s_waitcnt vmcnt(0)
	v_and_or_b32 v3, v4, s2, v3
	v_cmp_ne_u32_e32 vcc, 0, v3
	v_lshrrev_b32_e32 v7, 8, v4
	v_bfe_u32 v9, v4, 20, 11
	v_cndmask_b32_e64 v3, 0, 1, vcc
	v_sub_u32_e32 v10, 0x3f1, v9
	v_and_or_b32 v3, v7, s3, v3
	v_add_u32_e32 v9, 0xfffffc10, v9
	v_med3_i32 v7, v10, 0, 13
	v_or_b32_e32 v10, 0x1000, v3
	v_cmp_ne_u32_e32 vcc, 0, v3
	v_lshl_or_b32 v11, v9, 12, v3
	v_cndmask_b32_e32 v3, v5, v6, vcc
	v_lshrrev_b32_e32 v6, v7, v10
	v_lshlrev_b32_e32 v7, v7, v6
	v_cmp_ne_u32_e32 vcc, v7, v10
	v_cndmask_b32_e64 v7, 0, 1, vcc
	v_or_b32_e32 v6, v6, v7
	v_cmp_gt_i32_e32 vcc, 1, v9
	v_cndmask_b32_e32 v6, v11, v6, vcc
	v_and_b32_e32 v7, 7, v6
	v_cmp_lt_i32_e32 vcc, 5, v7
	v_cndmask_b32_e64 v10, 0, 1, vcc
	v_cmp_eq_u32_e32 vcc, 3, v7
	v_cndmask_b32_e64 v7, 0, 1, vcc
	v_lshrrev_b32_e32 v6, 2, v6
	v_or_b32_e32 v7, v7, v10
	v_add_u32_e32 v6, v6, v7
	v_cmp_gt_i32_e32 vcc, 31, v9
	v_cndmask_b32_e32 v5, v5, v6, vcc
	v_cmp_eq_u32_e32 vcc, s6, v9
	v_lshrrev_b32_e32 v4, 16, v4
	v_cndmask_b32_e32 v3, v5, v3, vcc
	v_and_or_b32 v3, v4, s7, v3
	s_mov_b64 s[2:3], 0
	s_branch .LBB191_237
.LBB191_235:
	s_mov_b64 s[2:3], -1
                                        ; implicit-def: $vgpr3
	s_branch .LBB191_240
.LBB191_236:
	s_mov_b64 s[2:3], -1
                                        ; implicit-def: $vgpr3
.LBB191_237:
	s_andn2_b64 vcc, exec, s[2:3]
	s_cbranch_vccnz .LBB191_239
; %bb.238:
	global_load_dword v3, v[1:2], off
	s_waitcnt vmcnt(0)
	v_cvt_f16_f32_e32 v3, v3
.LBB191_239:
	s_mov_b64 s[2:3], 0
.LBB191_240:
	s_andn2_b64 vcc, exec, s[2:3]
	s_cbranch_vccnz .LBB191_242
; %bb.241:
	global_load_ushort v3, v[1:2], off
.LBB191_242:
	s_cbranch_execnz .LBB191_262
.LBB191_243:
	s_cmp_lt_i32 s12, 2
	s_cbranch_scc1 .LBB191_247
; %bb.244:
	s_cmp_lt_i32 s12, 3
	s_cbranch_scc1 .LBB191_248
; %bb.245:
	s_cmp_gt_i32 s12, 3
	s_cbranch_scc0 .LBB191_249
; %bb.246:
	global_load_dwordx2 v[3:4], v[1:2], off
	s_mov_b64 s[2:3], 0
	s_waitcnt vmcnt(0)
	v_xor_b32_e32 v6, v3, v4
	v_ffbh_i32_e32 v5, v4
	v_ashrrev_i32_e32 v6, 31, v6
	v_add_u32_e32 v5, -1, v5
	v_add_u32_e32 v6, 32, v6
	v_min_u32_e32 v5, v5, v6
	v_lshlrev_b64 v[3:4], v5, v[3:4]
	v_min_u32_e32 v3, 1, v3
	v_or_b32_e32 v3, v4, v3
	v_cvt_f32_i32_e32 v3, v3
	v_sub_u32_e32 v4, 32, v5
	v_ldexp_f32 v3, v3, v4
	v_cvt_f16_f32_e32 v3, v3
	s_branch .LBB191_250
.LBB191_247:
	s_mov_b64 s[2:3], -1
                                        ; implicit-def: $vgpr3
	s_branch .LBB191_256
.LBB191_248:
	s_mov_b64 s[2:3], -1
                                        ; implicit-def: $vgpr3
	s_branch .LBB191_253
.LBB191_249:
	s_mov_b64 s[2:3], -1
                                        ; implicit-def: $vgpr3
.LBB191_250:
	s_andn2_b64 vcc, exec, s[2:3]
	s_cbranch_vccnz .LBB191_252
; %bb.251:
	global_load_dword v3, v[1:2], off
	s_waitcnt vmcnt(0)
	v_cvt_f32_i32_e32 v3, v3
	v_cvt_f16_f32_e32 v3, v3
.LBB191_252:
	s_mov_b64 s[2:3], 0
.LBB191_253:
	s_andn2_b64 vcc, exec, s[2:3]
	s_cbranch_vccnz .LBB191_255
; %bb.254:
	global_load_ushort v3, v[1:2], off
	s_waitcnt vmcnt(0)
	v_cvt_f16_i16_e32 v3, v3
.LBB191_255:
	s_mov_b64 s[2:3], 0
.LBB191_256:
	s_andn2_b64 vcc, exec, s[2:3]
	s_cbranch_vccnz .LBB191_262
; %bb.257:
	s_cmp_gt_i32 s12, 0
	s_cbranch_scc0 .LBB191_259
; %bb.258:
	global_load_sbyte v3, v[1:2], off
	s_mov_b64 s[2:3], 0
	s_waitcnt vmcnt(0)
	v_cvt_f16_i16_e32 v3, v3
	s_branch .LBB191_260
.LBB191_259:
	s_mov_b64 s[2:3], -1
                                        ; implicit-def: $vgpr3
.LBB191_260:
	s_andn2_b64 vcc, exec, s[2:3]
	s_cbranch_vccnz .LBB191_262
; %bb.261:
	global_load_ubyte v1, v[1:2], off
	s_waitcnt vmcnt(0)
	v_cvt_f16_u16_e32 v3, v1
.LBB191_262:
	s_branch .LBB191_25
.LBB191_263:
	s_mov_b64 s[6:7], 0
.LBB191_264:
	s_mov_b64 s[2:3], 0
                                        ; implicit-def: $vgpr8
.LBB191_265:
	s_and_b64 s[60:61], s[6:7], exec
	s_and_b64 s[62:63], s[8:9], exec
	s_orn2_b64 s[2:3], s[2:3], exec
.LBB191_266:
	s_or_b64 exec, exec, s[64:65]
	s_mov_b64 s[8:9], 0
	s_mov_b64 s[10:11], 0
                                        ; implicit-def: $vgpr1_vgpr2
                                        ; implicit-def: $vgpr0
                                        ; implicit-def: $vgpr3
	s_and_saveexec_b64 s[64:65], s[2:3]
	s_cbranch_execz .LBB191_273
; %bb.267:
	v_cmp_gt_i32_e32 vcc, s74, v8
	s_mov_b64 s[2:3], -1
	s_mov_b64 s[66:67], s[62:63]
	s_mov_b64 s[68:69], s[60:61]
	s_and_saveexec_b64 s[70:71], vcc
	s_cbranch_execz .LBB191_542
; %bb.268:
	s_andn2_b64 vcc, exec, s[46:47]
	s_cbranch_vccnz .LBB191_276
; %bb.269:
	s_andn2_b64 vcc, exec, s[58:59]
	s_cbranch_vccnz .LBB191_277
; %bb.270:
	s_add_i32 s66, s79, 1
	s_cmp_eq_u32 s76, 2
	s_cbranch_scc1 .LBB191_278
; %bb.271:
	s_and_b32 s50, s66, 28
	v_mov_b32_e32 v2, 0
	s_mov_b32 s67, 0
	s_mov_b64 s[2:3], s[34:35]
	s_mov_b64 s[6:7], s[56:57]
	v_mov_b32_e32 v0, 0
	v_mov_b32_e32 v1, v8
.LBB191_272:                            ; =>This Inner Loop Header: Depth=1
	s_load_dwordx8 s[16:23], s[2:3], 0x4
	s_load_dwordx4 s[40:43], s[2:3], 0x24
	s_load_dwordx8 s[8:15], s[6:7], 0x0
	s_add_u32 s2, s2, 48
	s_addc_u32 s3, s3, 0
	s_waitcnt vmcnt(0) lgkmcnt(0)
	v_mul_hi_u32 v3, s17, v1
	s_add_i32 s67, s67, 4
	s_add_u32 s6, s6, 32
	s_addc_u32 s7, s7, 0
	v_add_u32_e32 v3, v1, v3
	v_lshrrev_b32_e32 v3, s18, v3
	v_mul_lo_u32 v4, v3, s16
	v_mul_hi_u32 v5, s20, v3
	s_cmp_eq_u32 s50, s67
	v_sub_u32_e32 v1, v1, v4
	v_add_u32_e32 v4, v3, v5
	v_mul_lo_u32 v5, v1, s8
	v_mul_lo_u32 v6, v1, s9
	v_lshrrev_b32_e32 v1, s21, v4
	v_mul_lo_u32 v4, v1, s19
	v_mul_hi_u32 v7, s23, v1
	v_sub_u32_e32 v3, v3, v4
	v_add_u32_e32 v4, v1, v7
	v_lshrrev_b32_e32 v4, s40, v4
	v_mul_hi_u32 v9, s42, v4
	v_mul_lo_u32 v10, v4, s22
	v_mul_lo_u32 v7, v3, s10
	;; [unrolled: 1-line block ×3, first 2 shown]
	v_sub_u32_e32 v10, v1, v10
	v_add_u32_e32 v1, v4, v9
	v_lshrrev_b32_e32 v1, s43, v1
	v_mul_lo_u32 v9, v1, s41
	v_mul_lo_u32 v11, v10, s12
	;; [unrolled: 1-line block ×3, first 2 shown]
	v_add3_u32 v0, v5, v0, v7
	v_sub_u32_e32 v4, v4, v9
	v_mul_lo_u32 v9, v4, s14
	v_mul_lo_u32 v4, v4, s15
	v_add3_u32 v2, v6, v2, v3
	v_add3_u32 v0, v11, v0, v9
	;; [unrolled: 1-line block ×3, first 2 shown]
	s_cbranch_scc0 .LBB191_272
	s_branch .LBB191_279
.LBB191_273:
	s_or_b64 exec, exec, s[64:65]
	s_mov_b64 s[2:3], 0
	s_and_saveexec_b64 s[6:7], s[62:63]
	s_cbranch_execnz .LBB191_918
.LBB191_274:
	s_or_b64 exec, exec, s[6:7]
	s_and_saveexec_b64 s[6:7], s[68:69]
	s_xor_b64 s[6:7], exec, s[6:7]
	s_cbranch_execz .LBB191_919
.LBB191_275:
	global_load_ubyte v3, v[1:2], off
	v_mov_b32_e32 v4, 0x3c00
	s_or_b64 s[10:11], s[10:11], exec
	s_waitcnt vmcnt(0)
	v_cmp_ne_u16_e32 vcc, 0, v3
	v_cndmask_b32_e32 v3, 0, v4, vcc
	s_or_b64 exec, exec, s[6:7]
	s_and_saveexec_b64 s[6:7], s[8:9]
	s_cbranch_execz .LBB191_965
	s_branch .LBB191_920
.LBB191_276:
                                        ; implicit-def: $vgpr0
                                        ; implicit-def: $vgpr2
	s_andn2_b64 vcc, exec, s[2:3]
	s_cbranch_vccz .LBB191_283
	s_branch .LBB191_285
.LBB191_277:
	v_mov_b32_e32 v0, 0
	v_mov_b32_e32 v2, 0
	s_branch .LBB191_282
.LBB191_278:
	s_mov_b32 s50, 0
	v_mov_b32_e32 v0, 0
	v_mov_b32_e32 v2, 0
	;; [unrolled: 1-line block ×3, first 2 shown]
.LBB191_279:
	s_and_b32 s8, s66, 3
	s_cmp_eq_u32 s8, 0
	s_cbranch_scc1 .LBB191_282
; %bb.280:
	s_lshl_b32 s2, s50, 3
	s_add_u32 s2, s34, s2
	s_addc_u32 s3, s35, 0
	s_add_u32 s2, s2, 0xc4
	s_addc_u32 s3, s3, 0
	s_mul_i32 s6, s50, 12
	s_add_u32 s6, s34, s6
	s_addc_u32 s7, s35, 0
.LBB191_281:                            ; =>This Inner Loop Header: Depth=1
	s_load_dwordx2 s[10:11], s[6:7], 0x4
	s_load_dword s9, s[6:7], 0xc
	s_load_dwordx2 s[12:13], s[2:3], 0x0
	s_add_u32 s6, s6, 12
	s_addc_u32 s7, s7, 0
	s_waitcnt vmcnt(0) lgkmcnt(0)
	v_mul_hi_u32 v3, s11, v1
	s_add_u32 s2, s2, 8
	s_addc_u32 s3, s3, 0
	s_add_i32 s8, s8, -1
	v_add_u32_e32 v3, v1, v3
	v_lshrrev_b32_e32 v4, s9, v3
	v_mul_lo_u32 v3, v4, s10
	s_cmp_lg_u32 s8, 0
	v_sub_u32_e32 v3, v1, v3
	v_mad_u64_u32 v[0:1], s[10:11], v3, s12, v[0:1]
	v_mad_u64_u32 v[2:3], s[10:11], v3, s13, v[2:3]
	v_mov_b32_e32 v1, v4
	s_cbranch_scc1 .LBB191_281
.LBB191_282:
	s_cbranch_execnz .LBB191_285
.LBB191_283:
	v_mul_hi_u32 v0, s29, v8
	s_andn2_b64 vcc, exec, s[54:55]
	v_add_u32_e32 v0, v8, v0
	v_lshrrev_b32_e32 v1, s30, v0
	v_mul_lo_u32 v0, v1, s28
	v_sub_u32_e32 v2, v8, v0
	v_mul_lo_u32 v0, v2, s36
	v_mul_lo_u32 v2, v2, s37
	s_cbranch_vccnz .LBB191_285
; %bb.284:
	s_waitcnt vmcnt(0)
	v_mul_hi_u32 v3, s52, v1
	v_add_u32_e32 v3, v1, v3
	v_lshrrev_b32_e32 v3, s53, v3
	v_mul_lo_u32 v3, v3, s31
	v_sub_u32_e32 v3, v1, v3
	v_mad_u64_u32 v[0:1], s[2:3], v3, s38, v[0:1]
	v_mad_u64_u32 v[2:3], s[2:3], v3, s39, v[2:3]
.LBB191_285:
	s_waitcnt vmcnt(0)
	v_mov_b32_e32 v3, s27
	s_and_b32 s12, 0xffff, s78
	v_add_co_u32_e32 v1, vcc, s26, v2
	s_cmp_lt_i32 s12, 11
	v_addc_co_u32_e32 v2, vcc, 0, v3, vcc
	s_cbranch_scc1 .LBB191_292
; %bb.286:
	s_cmp_gt_i32 s12, 25
	s_cbranch_scc0 .LBB191_301
; %bb.287:
	s_cmp_gt_i32 s12, 28
	s_cbranch_scc0 .LBB191_303
	;; [unrolled: 3-line block ×4, first 2 shown]
; %bb.290:
	s_cmp_eq_u32 s12, 46
	s_mov_b64 s[6:7], 0
	s_cbranch_scc0 .LBB191_313
; %bb.291:
	global_load_dword v3, v[1:2], off
	s_mov_b64 s[2:3], -1
	s_mov_b64 s[8:9], 0
	s_waitcnt vmcnt(0)
	v_lshlrev_b32_e32 v3, 16, v3
	v_cvt_f16_f32_e32 v3, v3
	s_branch .LBB191_314
.LBB191_292:
	s_mov_b64 s[2:3], 0
                                        ; implicit-def: $vgpr3
	s_mov_b64 s[8:9], s[62:63]
	s_cbranch_execnz .LBB191_491
.LBB191_293:
	s_andn2_b64 vcc, exec, s[2:3]
	s_cbranch_vccnz .LBB191_539
.LBB191_294:
	s_waitcnt vmcnt(0)
	v_cmp_eq_f16_e32 vcc, s51, v3
	v_cndmask_b32_e64 v1, 0, 1, vcc
	v_cmp_neq_f16_e32 vcc, s51, v3
	v_cndmask_b32_e64 v2, 0, 1, vcc
	v_cndmask_b32_e64 v1, v2, v1, s[0:1]
	v_and_b32_e32 v1, 1, v1
	v_cmp_eq_u32_e64 s[2:3], 1, v1
	v_mov_b32_e32 v1, s25
	s_and_b32 s16, s77, 0xff
	v_add_co_u32_e32 v0, vcc, s24, v0
	s_cmp_lt_i32 s16, 11
	v_addc_co_u32_e32 v1, vcc, 0, v1, vcc
	s_cbranch_scc1 .LBB191_302
; %bb.295:
	s_and_b32 s17, 0xffff, s16
	s_cmp_gt_i32 s17, 25
	s_cbranch_scc0 .LBB191_304
; %bb.296:
	s_cmp_gt_i32 s17, 28
	s_cbranch_scc0 .LBB191_306
; %bb.297:
	;; [unrolled: 3-line block ×4, first 2 shown]
	s_mov_b64 s[12:13], 0
	s_mov_b64 s[6:7], -1
	s_cmp_eq_u32 s17, 46
	s_mov_b64 s[10:11], 0
	s_cbranch_scc0 .LBB191_318
; %bb.300:
	v_cndmask_b32_e64 v2, 0, 1.0, s[2:3]
	v_bfe_u32 v3, v2, 16, 1
	s_movk_i32 s6, 0x7fff
	v_add3_u32 v2, v2, v3, s6
	v_lshrrev_b32_e32 v2, 16, v2
	global_store_dword v[0:1], v2, off
	s_mov_b64 s[10:11], -1
	s_mov_b64 s[6:7], 0
	s_branch .LBB191_318
.LBB191_301:
	s_mov_b64 s[6:7], -1
	s_mov_b64 s[2:3], 0
	s_mov_b64 s[8:9], s[62:63]
                                        ; implicit-def: $vgpr3
	s_branch .LBB191_455
.LBB191_302:
	s_mov_b64 s[12:13], -1
	s_mov_b64 s[10:11], 0
	s_mov_b64 s[6:7], s[60:61]
	s_branch .LBB191_387
.LBB191_303:
	s_mov_b64 s[6:7], -1
	s_mov_b64 s[2:3], 0
	s_mov_b64 s[8:9], s[62:63]
                                        ; implicit-def: $vgpr3
	s_branch .LBB191_436
.LBB191_304:
	s_mov_b64 s[12:13], -1
	s_mov_b64 s[10:11], 0
	s_mov_b64 s[6:7], s[60:61]
	s_branch .LBB191_345
.LBB191_305:
	s_mov_b64 s[6:7], -1
	s_mov_b64 s[2:3], 0
	s_mov_b64 s[8:9], s[62:63]
                                        ; implicit-def: $vgpr3
	s_branch .LBB191_431
.LBB191_306:
	s_mov_b64 s[12:13], -1
	s_mov_b64 s[10:11], 0
	s_mov_b64 s[6:7], s[60:61]
	s_branch .LBB191_328
.LBB191_307:
	s_andn2_saveexec_b64 s[14:15], s[14:15]
	s_cbranch_execz .LBB191_68
.LBB191_308:
	v_add_f32_e32 v2, 0x46000000, v3
	v_and_b32_e32 v2, 0xff, v2
	v_cmp_ne_u32_e32 vcc, 0, v2
	s_andn2_b64 s[12:13], s[12:13], exec
	s_and_b64 s[18:19], vcc, exec
	s_or_b64 s[12:13], s[12:13], s[18:19]
	s_or_b64 exec, exec, s[14:15]
	v_mov_b32_e32 v4, 0
	s_and_saveexec_b64 s[14:15], s[12:13]
	s_cbranch_execnz .LBB191_69
	s_branch .LBB191_70
.LBB191_309:
	s_mov_b64 s[6:7], -1
	s_mov_b64 s[2:3], 0
	s_mov_b64 s[8:9], s[62:63]
                                        ; implicit-def: $vgpr3
	s_branch .LBB191_314
.LBB191_310:
	s_mov_b64 s[12:13], -1
	s_mov_b64 s[10:11], 0
	s_mov_b64 s[6:7], s[60:61]
	s_branch .LBB191_324
.LBB191_311:
	s_andn2_saveexec_b64 s[14:15], s[14:15]
	s_cbranch_execz .LBB191_81
.LBB191_312:
	v_add_f32_e32 v2, 0x42800000, v3
	v_and_b32_e32 v2, 0xff, v2
	v_cmp_ne_u32_e32 vcc, 0, v2
	s_andn2_b64 s[12:13], s[12:13], exec
	s_and_b64 s[18:19], vcc, exec
	s_or_b64 s[12:13], s[12:13], s[18:19]
	s_or_b64 exec, exec, s[14:15]
	v_mov_b32_e32 v4, 0
	s_and_saveexec_b64 s[14:15], s[12:13]
	s_cbranch_execnz .LBB191_82
	s_branch .LBB191_83
.LBB191_313:
	s_mov_b64 s[8:9], -1
                                        ; implicit-def: $vgpr3
	s_mov_b64 s[2:3], 0
.LBB191_314:
	s_and_b64 vcc, exec, s[6:7]
	s_cbranch_vccz .LBB191_430
; %bb.315:
	s_cmp_eq_u32 s12, 44
	s_cbranch_scc0 .LBB191_429
; %bb.316:
	global_load_ubyte v3, v[1:2], off
	s_movk_i32 s6, 0xff
	v_mov_b32_e32 v5, 0x7e00
	s_mov_b64 s[2:3], -1
	s_mov_b64 s[8:9], 0
	s_waitcnt vmcnt(0)
	v_lshlrev_b32_e32 v4, 23, v3
	v_cvt_f16_f32_e32 v4, v4
	v_cmp_ne_u32_e32 vcc, s6, v3
	v_cndmask_b32_e32 v4, v5, v4, vcc
	v_cmp_ne_u32_e32 vcc, 0, v3
	v_cndmask_b32_e32 v3, 0, v4, vcc
	s_branch .LBB191_430
.LBB191_317:
	s_mov_b64 s[12:13], -1
	s_mov_b64 s[10:11], 0
	s_mov_b64 s[6:7], s[60:61]
.LBB191_318:
	s_and_b64 vcc, exec, s[12:13]
	s_cbranch_vccz .LBB191_323
; %bb.319:
	s_cmp_eq_u32 s17, 44
	s_mov_b64 s[6:7], -1
	s_cbranch_scc0 .LBB191_323
; %bb.320:
	v_cndmask_b32_e64 v3, 0, 1.0, s[2:3]
	v_lshrrev_b32_e32 v2, 23, v3
	s_movk_i32 s6, 0xff
	v_cmp_ne_u32_e32 vcc, s6, v2
	v_mov_b32_e32 v4, 0xff
	s_and_saveexec_b64 s[10:11], vcc
; %bb.321:
	s_mov_b32 s6, 0x3fffff
	v_and_b32_e32 v4, 0x400000, v3
	v_and_or_b32 v3, v3, s6, v2
	v_cmp_ne_u32_e32 vcc, 0, v4
	v_cmp_ne_u32_e64 s[6:7], 0, v3
	s_and_b64 s[6:7], vcc, s[6:7]
	v_cndmask_b32_e64 v3, 0, 1, s[6:7]
	v_add_u32_e32 v4, v2, v3
; %bb.322:
	s_or_b64 exec, exec, s[10:11]
	s_mov_b64 s[10:11], -1
	s_mov_b64 s[6:7], 0
	global_store_byte v[0:1], v4, off
.LBB191_323:
	s_mov_b64 s[12:13], 0
.LBB191_324:
	s_and_b64 vcc, exec, s[12:13]
	s_cbranch_vccz .LBB191_327
; %bb.325:
	s_cmp_eq_u32 s17, 29
	s_mov_b64 s[6:7], -1
	s_cbranch_scc0 .LBB191_327
; %bb.326:
	s_mov_b32 s6, 0
	v_cndmask_b32_e64 v2, 0, 1, s[2:3]
	v_mov_b32_e32 v3, s6
	global_store_dwordx2 v[0:1], v[2:3], off
	s_mov_b64 s[10:11], -1
	s_mov_b64 s[6:7], 0
.LBB191_327:
	s_mov_b64 s[12:13], 0
.LBB191_328:
	s_and_b64 vcc, exec, s[12:13]
	s_cbranch_vccz .LBB191_344
; %bb.329:
	s_cmp_lt_i32 s17, 27
	s_mov_b64 s[10:11], -1
	s_cbranch_scc1 .LBB191_335
; %bb.330:
	s_cmp_gt_i32 s17, 27
	s_cbranch_scc0 .LBB191_332
; %bb.331:
	v_cndmask_b32_e64 v2, 0, 1, s[2:3]
	s_mov_b64 s[10:11], 0
	global_store_dword v[0:1], v2, off
.LBB191_332:
	s_andn2_b64 vcc, exec, s[10:11]
	s_cbranch_vccnz .LBB191_334
; %bb.333:
	v_cndmask_b32_e64 v2, 0, 1, s[2:3]
	global_store_short v[0:1], v2, off
.LBB191_334:
	s_mov_b64 s[10:11], 0
.LBB191_335:
	s_andn2_b64 vcc, exec, s[10:11]
	s_cbranch_vccnz .LBB191_343
; %bb.336:
	v_cndmask_b32_e64 v3, 0, 1.0, s[2:3]
	s_mov_b32 s10, 0x43800000
	v_cmp_gt_u32_e32 vcc, s10, v3
	v_mov_b32_e32 v4, 0x80
	s_and_saveexec_b64 s[10:11], vcc
	s_cbranch_execz .LBB191_342
; %bb.337:
	s_mov_b32 s12, 0x3bffffff
	v_cmp_lt_u32_e32 vcc, s12, v3
	s_mov_b64 s[12:13], 0
                                        ; implicit-def: $vgpr2
	s_and_saveexec_b64 s[14:15], vcc
	s_xor_b64 s[14:15], exec, s[14:15]
	s_cbranch_execz .LBB191_570
; %bb.338:
	v_bfe_u32 v2, v3, 20, 1
	s_mov_b32 s18, 0x487ffff
	v_add3_u32 v2, v3, v2, s18
	s_mov_b64 s[12:13], exec
	v_lshrrev_b32_e32 v2, 20, v2
                                        ; implicit-def: $vgpr3
	s_andn2_saveexec_b64 s[14:15], s[14:15]
	s_cbranch_execnz .LBB191_571
.LBB191_339:
	s_or_b64 exec, exec, s[14:15]
	v_mov_b32_e32 v4, 0
	s_and_saveexec_b64 s[14:15], s[12:13]
.LBB191_340:
	v_mov_b32_e32 v4, v2
.LBB191_341:
	s_or_b64 exec, exec, s[14:15]
.LBB191_342:
	s_or_b64 exec, exec, s[10:11]
	global_store_byte v[0:1], v4, off
.LBB191_343:
	s_mov_b64 s[10:11], -1
.LBB191_344:
	s_mov_b64 s[12:13], 0
.LBB191_345:
	s_and_b64 vcc, exec, s[12:13]
	s_cbranch_vccz .LBB191_386
; %bb.346:
	s_cmp_gt_i32 s17, 22
	s_mov_b64 s[12:13], -1
	s_cbranch_scc0 .LBB191_378
; %bb.347:
	s_cmp_lt_i32 s17, 24
	s_mov_b64 s[10:11], -1
	s_cbranch_scc1 .LBB191_367
; %bb.348:
	s_cmp_gt_i32 s17, 24
	s_cbranch_scc0 .LBB191_356
; %bb.349:
	v_cndmask_b32_e64 v3, 0, 1.0, s[2:3]
	s_mov_b32 s10, 0x47800000
	v_cmp_gt_u32_e32 vcc, s10, v3
	v_mov_b32_e32 v4, 0x80
	s_and_saveexec_b64 s[10:11], vcc
	s_cbranch_execz .LBB191_355
; %bb.350:
	s_mov_b32 s12, 0x37ffffff
	v_cmp_lt_u32_e32 vcc, s12, v3
	s_mov_b64 s[12:13], 0
                                        ; implicit-def: $vgpr2
	s_and_saveexec_b64 s[14:15], vcc
	s_xor_b64 s[14:15], exec, s[14:15]
	s_cbranch_execz .LBB191_573
; %bb.351:
	v_bfe_u32 v2, v3, 21, 1
	s_mov_b32 s18, 0x88fffff
	v_add3_u32 v2, v3, v2, s18
	s_mov_b64 s[12:13], exec
	v_lshrrev_b32_e32 v2, 21, v2
                                        ; implicit-def: $vgpr3
	s_andn2_saveexec_b64 s[14:15], s[14:15]
	s_cbranch_execnz .LBB191_574
.LBB191_352:
	s_or_b64 exec, exec, s[14:15]
	v_mov_b32_e32 v4, 0
	s_and_saveexec_b64 s[14:15], s[12:13]
.LBB191_353:
	v_mov_b32_e32 v4, v2
.LBB191_354:
	s_or_b64 exec, exec, s[14:15]
.LBB191_355:
	s_or_b64 exec, exec, s[10:11]
	s_mov_b64 s[10:11], 0
	global_store_byte v[0:1], v4, off
.LBB191_356:
	s_and_b64 vcc, exec, s[10:11]
	s_cbranch_vccz .LBB191_366
; %bb.357:
	v_cndmask_b32_e64 v2, 0, 1.0, s[2:3]
	s_mov_b32 s10, 0x43f00000
	v_cmp_gt_u32_e32 vcc, s10, v2
                                        ; implicit-def: $vgpr3
	s_and_saveexec_b64 s[10:11], vcc
	s_xor_b64 s[10:11], exec, s[10:11]
	s_cbranch_execz .LBB191_363
; %bb.358:
	s_mov_b32 s12, 0x3c7fffff
	v_cmp_lt_u32_e32 vcc, s12, v2
                                        ; implicit-def: $vgpr3
	s_and_saveexec_b64 s[12:13], vcc
	s_xor_b64 s[12:13], exec, s[12:13]
; %bb.359:
	v_bfe_u32 v3, v2, 20, 1
	s_mov_b32 s14, 0x407ffff
	v_add3_u32 v2, v2, v3, s14
	v_lshrrev_b32_e32 v3, 20, v2
	v_and_b32_e32 v2, 0xff00000, v2
	s_mov_b32 s14, 0x7f00000
	v_mov_b32_e32 v4, 0x7e
	v_cmp_ne_u32_e32 vcc, s14, v2
	v_cndmask_b32_e32 v3, v4, v3, vcc
                                        ; implicit-def: $vgpr2
; %bb.360:
	s_andn2_saveexec_b64 s[12:13], s[12:13]
; %bb.361:
	v_add_f32_e32 v3, 0x46800000, v2
; %bb.362:
	s_or_b64 exec, exec, s[12:13]
                                        ; implicit-def: $vgpr2
.LBB191_363:
	s_andn2_saveexec_b64 s[10:11], s[10:11]
; %bb.364:
	s_mov_b32 s12, 0x7f800000
	v_mov_b32_e32 v3, 0x7e
	v_mov_b32_e32 v4, 0x7f
	v_cmp_lt_u32_e32 vcc, s12, v2
	v_cndmask_b32_e32 v3, v3, v4, vcc
; %bb.365:
	s_or_b64 exec, exec, s[10:11]
	global_store_byte v[0:1], v3, off
.LBB191_366:
	s_mov_b64 s[10:11], 0
.LBB191_367:
	s_andn2_b64 vcc, exec, s[10:11]
	s_cbranch_vccnz .LBB191_377
; %bb.368:
	v_cndmask_b32_e64 v2, 0, 1.0, s[2:3]
	s_mov_b32 s10, 0x47800000
	v_cmp_gt_u32_e32 vcc, s10, v2
                                        ; implicit-def: $vgpr3
	s_and_saveexec_b64 s[10:11], vcc
	s_xor_b64 s[10:11], exec, s[10:11]
	s_cbranch_execz .LBB191_374
; %bb.369:
	s_mov_b32 s12, 0x387fffff
	v_cmp_lt_u32_e32 vcc, s12, v2
                                        ; implicit-def: $vgpr3
	s_and_saveexec_b64 s[12:13], vcc
	s_xor_b64 s[12:13], exec, s[12:13]
; %bb.370:
	v_bfe_u32 v3, v2, 21, 1
	s_mov_b32 s14, 0x80fffff
	v_add3_u32 v2, v2, v3, s14
	v_lshrrev_b32_e32 v3, 21, v2
                                        ; implicit-def: $vgpr2
; %bb.371:
	s_andn2_saveexec_b64 s[12:13], s[12:13]
; %bb.372:
	v_add_f32_e32 v3, 0x43000000, v2
; %bb.373:
	s_or_b64 exec, exec, s[12:13]
                                        ; implicit-def: $vgpr2
.LBB191_374:
	s_andn2_saveexec_b64 s[10:11], s[10:11]
; %bb.375:
	s_mov_b32 s12, 0x7f800000
	v_mov_b32_e32 v3, 0x7c
	v_mov_b32_e32 v4, 0x7f
	v_cmp_lt_u32_e32 vcc, s12, v2
	v_cndmask_b32_e32 v3, v3, v4, vcc
; %bb.376:
	s_or_b64 exec, exec, s[10:11]
	global_store_byte v[0:1], v3, off
.LBB191_377:
	s_mov_b64 s[12:13], 0
	s_mov_b64 s[10:11], -1
.LBB191_378:
	s_andn2_b64 vcc, exec, s[12:13]
	s_cbranch_vccnz .LBB191_386
; %bb.379:
	s_cmp_gt_i32 s17, 14
	s_mov_b64 s[12:13], -1
	s_cbranch_scc0 .LBB191_383
; %bb.380:
	s_cmp_eq_u32 s17, 15
	s_mov_b64 s[6:7], -1
	s_cbranch_scc0 .LBB191_382
; %bb.381:
	v_cndmask_b32_e64 v2, 0, 1.0, s[2:3]
	v_bfe_u32 v3, v2, 16, 1
	s_movk_i32 s6, 0x7fff
	v_add3_u32 v2, v2, v3, s6
	global_store_short_d16_hi v[0:1], v2, off
	s_mov_b64 s[10:11], -1
	s_mov_b64 s[6:7], 0
.LBB191_382:
	s_mov_b64 s[12:13], 0
.LBB191_383:
	s_and_b64 vcc, exec, s[12:13]
	s_cbranch_vccz .LBB191_386
; %bb.384:
	s_cmp_eq_u32 s17, 11
	s_mov_b64 s[6:7], -1
	s_cbranch_scc0 .LBB191_386
; %bb.385:
	v_cndmask_b32_e64 v2, 0, 1, s[2:3]
	s_mov_b64 s[10:11], -1
	s_mov_b64 s[6:7], 0
	global_store_byte v[0:1], v2, off
.LBB191_386:
	s_mov_b64 s[12:13], 0
.LBB191_387:
	s_and_b64 vcc, exec, s[12:13]
	s_cbranch_vccz .LBB191_426
; %bb.388:
	s_and_b32 s12, 0xffff, s16
	s_cmp_lt_i32 s12, 5
	s_mov_b64 s[10:11], -1
	s_cbranch_scc1 .LBB191_409
; %bb.389:
	s_cmp_lt_i32 s12, 8
	s_cbranch_scc1 .LBB191_399
; %bb.390:
	s_cmp_lt_i32 s12, 9
	s_cbranch_scc1 .LBB191_396
; %bb.391:
	s_cmp_gt_i32 s12, 9
	s_cbranch_scc0 .LBB191_393
; %bb.392:
	v_cndmask_b32_e64 v2, 0, 1, s[2:3]
	v_cvt_f64_u32_e32 v[2:3], v2
	v_mov_b32_e32 v4, 0
	v_mov_b32_e32 v5, v4
	s_mov_b64 s[10:11], 0
	global_store_dwordx4 v[0:1], v[2:5], off
.LBB191_393:
	s_andn2_b64 vcc, exec, s[10:11]
	s_cbranch_vccnz .LBB191_395
; %bb.394:
	v_cndmask_b32_e64 v2, 0, 1.0, s[2:3]
	v_mov_b32_e32 v3, 0
	global_store_dwordx2 v[0:1], v[2:3], off
.LBB191_395:
	s_mov_b64 s[10:11], 0
.LBB191_396:
	s_andn2_b64 vcc, exec, s[10:11]
	s_cbranch_vccnz .LBB191_398
; %bb.397:
	v_cndmask_b32_e64 v2, 0, 1.0, s[2:3]
	v_cvt_f16_f32_e32 v2, v2
	global_store_dword v[0:1], v2, off
.LBB191_398:
	s_mov_b64 s[10:11], 0
.LBB191_399:
	s_andn2_b64 vcc, exec, s[10:11]
	s_cbranch_vccnz .LBB191_408
; %bb.400:
	s_cmp_lt_i32 s12, 6
	s_mov_b64 s[10:11], -1
	s_cbranch_scc1 .LBB191_406
; %bb.401:
	s_cmp_gt_i32 s12, 6
	s_cbranch_scc0 .LBB191_403
; %bb.402:
	v_cndmask_b32_e64 v2, 0, 1, s[2:3]
	v_cvt_f64_u32_e32 v[2:3], v2
	s_mov_b64 s[10:11], 0
	global_store_dwordx2 v[0:1], v[2:3], off
.LBB191_403:
	s_andn2_b64 vcc, exec, s[10:11]
	s_cbranch_vccnz .LBB191_405
; %bb.404:
	v_cndmask_b32_e64 v2, 0, 1.0, s[2:3]
	global_store_dword v[0:1], v2, off
.LBB191_405:
	s_mov_b64 s[10:11], 0
.LBB191_406:
	s_andn2_b64 vcc, exec, s[10:11]
	s_cbranch_vccnz .LBB191_408
; %bb.407:
	v_cndmask_b32_e64 v2, 0, 1.0, s[2:3]
	v_cvt_f16_f32_e32 v2, v2
	global_store_short v[0:1], v2, off
.LBB191_408:
	s_mov_b64 s[10:11], 0
.LBB191_409:
	s_andn2_b64 vcc, exec, s[10:11]
	s_cbranch_vccnz .LBB191_425
; %bb.410:
	s_cmp_lt_i32 s12, 2
	s_mov_b64 s[10:11], -1
	s_cbranch_scc1 .LBB191_420
; %bb.411:
	s_cmp_lt_i32 s12, 3
	s_cbranch_scc1 .LBB191_417
; %bb.412:
	s_cmp_gt_i32 s12, 3
	s_cbranch_scc0 .LBB191_414
; %bb.413:
	s_mov_b32 s10, 0
	v_cndmask_b32_e64 v2, 0, 1, s[2:3]
	v_mov_b32_e32 v3, s10
	s_mov_b64 s[10:11], 0
	global_store_dwordx2 v[0:1], v[2:3], off
.LBB191_414:
	s_andn2_b64 vcc, exec, s[10:11]
	s_cbranch_vccnz .LBB191_416
; %bb.415:
	v_cndmask_b32_e64 v2, 0, 1, s[2:3]
	global_store_dword v[0:1], v2, off
.LBB191_416:
	s_mov_b64 s[10:11], 0
.LBB191_417:
	s_andn2_b64 vcc, exec, s[10:11]
	s_cbranch_vccnz .LBB191_419
; %bb.418:
	v_cndmask_b32_e64 v2, 0, 1, s[2:3]
	global_store_short v[0:1], v2, off
.LBB191_419:
	s_mov_b64 s[10:11], 0
.LBB191_420:
	s_andn2_b64 vcc, exec, s[10:11]
	s_cbranch_vccnz .LBB191_425
; %bb.421:
	s_mov_b64 s[10:11], -1
	s_cmp_gt_i32 s12, 0
	v_cndmask_b32_e64 v2, 0, 1, s[2:3]
	s_cbranch_scc0 .LBB191_423
; %bb.422:
	s_mov_b64 s[10:11], 0
	global_store_byte v[0:1], v2, off
.LBB191_423:
	s_andn2_b64 vcc, exec, s[10:11]
	s_cbranch_vccnz .LBB191_425
; %bb.424:
	global_store_byte v[0:1], v2, off
.LBB191_425:
	s_mov_b64 s[10:11], -1
.LBB191_426:
	s_andn2_b64 vcc, exec, s[10:11]
	s_cbranch_vccnz .LBB191_428
; %bb.427:
	v_add_u32_e32 v8, 0x80, v8
	s_mov_b64 s[2:3], -1
	s_branch .LBB191_541
.LBB191_428:
	s_mov_b64 s[2:3], 0
	s_branch .LBB191_540
.LBB191_429:
	s_mov_b64 s[8:9], -1
                                        ; implicit-def: $vgpr3
.LBB191_430:
	s_mov_b64 s[6:7], 0
.LBB191_431:
	s_and_b64 vcc, exec, s[6:7]
	s_cbranch_vccz .LBB191_435
; %bb.432:
	s_cmp_eq_u32 s12, 29
	s_cbranch_scc0 .LBB191_434
; %bb.433:
	global_load_dwordx2 v[3:4], v[1:2], off
	s_mov_b64 s[2:3], -1
	s_mov_b64 s[8:9], 0
	s_mov_b64 s[6:7], 0
	s_waitcnt vmcnt(0)
	v_ffbh_u32_e32 v5, v4
	v_min_u32_e32 v5, 32, v5
	v_lshlrev_b64 v[3:4], v5, v[3:4]
	v_min_u32_e32 v3, 1, v3
	v_or_b32_e32 v3, v4, v3
	v_cvt_f32_u32_e32 v3, v3
	v_sub_u32_e32 v4, 32, v5
	v_ldexp_f32 v3, v3, v4
	v_cvt_f16_f32_e32 v3, v3
	s_branch .LBB191_436
.LBB191_434:
	s_mov_b64 s[8:9], -1
                                        ; implicit-def: $vgpr3
.LBB191_435:
	s_mov_b64 s[6:7], 0
.LBB191_436:
	s_and_b64 vcc, exec, s[6:7]
	s_cbranch_vccz .LBB191_454
; %bb.437:
	s_cmp_lt_i32 s12, 27
	s_cbranch_scc1 .LBB191_440
; %bb.438:
	s_cmp_gt_i32 s12, 27
	s_cbranch_scc0 .LBB191_441
; %bb.439:
	global_load_dword v3, v[1:2], off
	s_mov_b64 s[2:3], 0
	s_waitcnt vmcnt(0)
	v_cvt_f32_u32_e32 v3, v3
	v_cvt_f16_f32_e32 v3, v3
	s_branch .LBB191_442
.LBB191_440:
	s_mov_b64 s[2:3], -1
                                        ; implicit-def: $vgpr3
	s_branch .LBB191_445
.LBB191_441:
	s_mov_b64 s[2:3], -1
                                        ; implicit-def: $vgpr3
.LBB191_442:
	s_andn2_b64 vcc, exec, s[2:3]
	s_cbranch_vccnz .LBB191_444
; %bb.443:
	global_load_ushort v3, v[1:2], off
	s_waitcnt vmcnt(0)
	v_cvt_f16_u16_e32 v3, v3
.LBB191_444:
	s_mov_b64 s[2:3], 0
.LBB191_445:
	s_andn2_b64 vcc, exec, s[2:3]
	s_cbranch_vccnz .LBB191_453
; %bb.446:
	global_load_ubyte v4, v[1:2], off
	s_movk_i32 s2, 0x7f
	s_waitcnt vmcnt(0)
	v_cmp_lt_i16_e32 vcc, s2, v4
	s_mov_b64 s[2:3], 0
	s_and_saveexec_b64 s[6:7], vcc
	s_xor_b64 s[6:7], exec, s[6:7]
	s_cbranch_execz .LBB191_467
; %bb.447:
	s_movk_i32 s2, 0x80
	v_cmp_eq_u16_e32 vcc, s2, v4
	s_mov_b64 s[2:3], -1
	s_and_saveexec_b64 s[10:11], vcc
; %bb.448:
	s_xor_b64 s[2:3], exec, -1
; %bb.449:
	s_or_b64 exec, exec, s[10:11]
	s_and_b64 s[2:3], s[2:3], exec
	s_or_saveexec_b64 s[6:7], s[6:7]
	v_mov_b32_e32 v3, 0x7e00
	s_xor_b64 exec, exec, s[6:7]
	s_cbranch_execnz .LBB191_468
.LBB191_450:
	s_or_b64 exec, exec, s[6:7]
	s_and_saveexec_b64 s[6:7], s[2:3]
	s_cbranch_execz .LBB191_452
.LBB191_451:
	v_lshlrev_b32_e32 v3, 24, v4
	v_and_b32_e32 v4, 0xffff, v4
	v_and_b32_e32 v5, 7, v4
	v_ffbh_u32_e32 v7, v5
	v_min_u32_e32 v7, 32, v7
	v_subrev_u32_e32 v9, 28, v7
	v_bfe_u32 v6, v4, 3, 4
	v_lshlrev_b32_e32 v4, v9, v4
	v_sub_u32_e32 v7, 29, v7
	v_and_b32_e32 v4, 7, v4
	v_cmp_eq_u32_e32 vcc, 0, v6
	v_cndmask_b32_e32 v6, v6, v7, vcc
	v_cndmask_b32_e32 v4, v5, v4, vcc
	v_mov_b32_e32 v5, 0x3b800000
	v_lshlrev_b32_e32 v4, 20, v4
	v_and_b32_e32 v3, 0x80000000, v3
	v_lshl_add_u32 v5, v6, 23, v5
	v_or3_b32 v3, v3, v5, v4
	v_cvt_f16_f32_e32 v3, v3
.LBB191_452:
	s_or_b64 exec, exec, s[6:7]
.LBB191_453:
	s_mov_b64 s[2:3], -1
.LBB191_454:
	s_mov_b64 s[6:7], 0
.LBB191_455:
	s_and_b64 vcc, exec, s[6:7]
	s_cbranch_vccz .LBB191_490
; %bb.456:
	s_cmp_gt_i32 s12, 22
	s_cbranch_scc0 .LBB191_466
; %bb.457:
	s_cmp_lt_i32 s12, 24
	s_cbranch_scc1 .LBB191_469
; %bb.458:
	s_cmp_gt_i32 s12, 24
	s_cbranch_scc0 .LBB191_470
; %bb.459:
	global_load_ubyte v4, v[1:2], off
	s_movk_i32 s2, 0x7f
	s_waitcnt vmcnt(0)
	v_cmp_lt_i16_e32 vcc, s2, v4
	s_mov_b64 s[2:3], 0
	s_and_saveexec_b64 s[6:7], vcc
	s_xor_b64 s[6:7], exec, s[6:7]
	s_cbranch_execz .LBB191_482
; %bb.460:
	s_movk_i32 s2, 0x80
	v_cmp_eq_u16_e32 vcc, s2, v4
	s_mov_b64 s[2:3], -1
	s_and_saveexec_b64 s[10:11], vcc
; %bb.461:
	s_xor_b64 s[2:3], exec, -1
; %bb.462:
	s_or_b64 exec, exec, s[10:11]
	s_and_b64 s[2:3], s[2:3], exec
	s_or_saveexec_b64 s[6:7], s[6:7]
	v_mov_b32_e32 v3, 0x7e00
	s_xor_b64 exec, exec, s[6:7]
	s_cbranch_execnz .LBB191_483
.LBB191_463:
	s_or_b64 exec, exec, s[6:7]
	s_and_saveexec_b64 s[6:7], s[2:3]
	s_cbranch_execz .LBB191_465
.LBB191_464:
	v_lshlrev_b32_e32 v3, 24, v4
	v_and_b32_e32 v4, 0xffff, v4
	v_and_b32_e32 v5, 3, v4
	v_ffbh_u32_e32 v7, v5
	v_min_u32_e32 v7, 32, v7
	v_subrev_u32_e32 v9, 29, v7
	v_bfe_u32 v6, v4, 2, 5
	v_lshlrev_b32_e32 v4, v9, v4
	v_sub_u32_e32 v7, 30, v7
	v_and_b32_e32 v4, 3, v4
	v_cmp_eq_u32_e32 vcc, 0, v6
	v_cndmask_b32_e32 v6, v6, v7, vcc
	v_cndmask_b32_e32 v4, v5, v4, vcc
	v_mov_b32_e32 v5, 0x37800000
	v_lshlrev_b32_e32 v4, 21, v4
	v_and_b32_e32 v3, 0x80000000, v3
	v_lshl_add_u32 v5, v6, 23, v5
	v_or3_b32 v3, v3, v5, v4
	v_cvt_f16_f32_e32 v3, v3
.LBB191_465:
	s_or_b64 exec, exec, s[6:7]
	s_mov_b64 s[2:3], 0
	s_branch .LBB191_471
.LBB191_466:
	s_mov_b64 s[6:7], -1
                                        ; implicit-def: $vgpr3
	s_branch .LBB191_477
.LBB191_467:
	s_or_saveexec_b64 s[6:7], s[6:7]
	v_mov_b32_e32 v3, 0x7e00
	s_xor_b64 exec, exec, s[6:7]
	s_cbranch_execz .LBB191_450
.LBB191_468:
	v_cmp_ne_u16_e32 vcc, 0, v4
	s_andn2_b64 s[2:3], s[2:3], exec
	s_and_b64 s[10:11], vcc, exec
	s_or_b64 s[2:3], s[2:3], s[10:11]
	v_mov_b32_e32 v3, v4
	s_or_b64 exec, exec, s[6:7]
	s_and_saveexec_b64 s[6:7], s[2:3]
	s_cbranch_execnz .LBB191_451
	s_branch .LBB191_452
.LBB191_469:
	s_mov_b64 s[2:3], -1
                                        ; implicit-def: $vgpr3
	s_branch .LBB191_474
.LBB191_470:
	s_mov_b64 s[2:3], -1
                                        ; implicit-def: $vgpr3
.LBB191_471:
	s_and_b64 vcc, exec, s[2:3]
	s_cbranch_vccz .LBB191_473
; %bb.472:
	global_load_ubyte v3, v[1:2], off
	s_mov_b32 s2, 0x7f800000
	s_waitcnt vmcnt(0)
	v_lshlrev_b32_e32 v3, 24, v3
	v_and_b32_e32 v4, 0x7f000000, v3
	v_ffbh_u32_e32 v5, v4
	v_min_u32_e32 v5, 32, v5
	v_sub_u32_e64 v5, v5, 4 clamp
	v_lshlrev_b32_e32 v7, v5, v4
	v_lshlrev_b32_e32 v5, 23, v5
	v_lshrrev_b32_e32 v7, 4, v7
	v_add_u32_e32 v6, 0x1000000, v4
	v_sub_u32_e32 v5, v7, v5
	v_ashrrev_i32_e32 v6, 8, v6
	v_add_u32_e32 v5, 0x3c000000, v5
	v_and_or_b32 v5, v6, s2, v5
	v_cmp_ne_u32_e32 vcc, 0, v4
	v_cndmask_b32_e32 v4, 0, v5, vcc
	s_brev_b32 s2, 1
	v_and_or_b32 v3, v3, s2, v4
	v_cvt_f16_f32_e32 v3, v3
.LBB191_473:
	s_mov_b64 s[2:3], 0
.LBB191_474:
	s_andn2_b64 vcc, exec, s[2:3]
	s_cbranch_vccnz .LBB191_476
; %bb.475:
	global_load_ubyte v3, v[1:2], off
	s_movk_i32 s2, 0x7f00
	s_brev_b32 s3, 16
	s_waitcnt vmcnt(0)
	v_lshlrev_b16_e32 v4, 8, v3
	v_lshlrev_b32_e32 v3, 25, v3
	v_lshrrev_b32_e32 v5, 4, v3
	v_and_or_b32 v6, v4, s2, 0.5
	v_or_b32_e32 v5, 0x70000000, v5
	v_add_f32_e32 v6, -0.5, v6
	v_mul_f32_e32 v5, 0x7800000, v5
	v_cmp_gt_u32_e32 vcc, s3, v3
	v_bfe_i32 v4, v4, 0, 16
	v_cndmask_b32_e32 v3, v5, v6, vcc
	s_brev_b32 s2, 1
	v_and_or_b32 v3, v4, s2, v3
	v_cvt_f16_f32_e32 v3, v3
.LBB191_476:
	s_mov_b64 s[6:7], 0
	s_mov_b64 s[2:3], -1
.LBB191_477:
	s_andn2_b64 vcc, exec, s[6:7]
	s_cbranch_vccnz .LBB191_490
; %bb.478:
	s_cmp_gt_i32 s12, 14
	s_cbranch_scc0 .LBB191_481
; %bb.479:
	s_cmp_eq_u32 s12, 15
	s_cbranch_scc0 .LBB191_484
; %bb.480:
	global_load_ushort v3, v[1:2], off
	s_mov_b64 s[2:3], -1
	s_mov_b64 s[8:9], 0
	s_waitcnt vmcnt(0)
	v_lshlrev_b32_e32 v3, 16, v3
	v_cvt_f16_f32_e32 v3, v3
	s_branch .LBB191_485
.LBB191_481:
	s_mov_b64 s[6:7], -1
                                        ; implicit-def: $vgpr3
	s_branch .LBB191_486
.LBB191_482:
	s_or_saveexec_b64 s[6:7], s[6:7]
	v_mov_b32_e32 v3, 0x7e00
	s_xor_b64 exec, exec, s[6:7]
	s_cbranch_execz .LBB191_463
.LBB191_483:
	v_cmp_ne_u16_e32 vcc, 0, v4
	s_andn2_b64 s[2:3], s[2:3], exec
	s_and_b64 s[10:11], vcc, exec
	s_or_b64 s[2:3], s[2:3], s[10:11]
	v_mov_b32_e32 v3, v4
	s_or_b64 exec, exec, s[6:7]
	s_and_saveexec_b64 s[6:7], s[2:3]
	s_cbranch_execnz .LBB191_464
	s_branch .LBB191_465
.LBB191_484:
	s_mov_b64 s[8:9], -1
                                        ; implicit-def: $vgpr3
.LBB191_485:
	s_mov_b64 s[6:7], 0
.LBB191_486:
	s_and_b64 vcc, exec, s[6:7]
	s_cbranch_vccz .LBB191_490
; %bb.487:
	s_cmp_eq_u32 s12, 11
	s_cbranch_scc0 .LBB191_489
; %bb.488:
	global_load_ubyte v3, v[1:2], off
	v_mov_b32_e32 v4, 0x3c00
	s_mov_b64 s[2:3], -1
	s_mov_b64 s[8:9], 0
	s_waitcnt vmcnt(0)
	v_cmp_ne_u16_e32 vcc, 0, v3
	v_cndmask_b32_e32 v3, 0, v4, vcc
	s_branch .LBB191_490
.LBB191_489:
	s_mov_b64 s[8:9], -1
                                        ; implicit-def: $vgpr3
.LBB191_490:
	s_branch .LBB191_293
.LBB191_491:
	s_cmp_lt_i32 s12, 5
	s_cbranch_scc1 .LBB191_496
; %bb.492:
	s_cmp_lt_i32 s12, 8
	s_cbranch_scc1 .LBB191_497
; %bb.493:
	;; [unrolled: 3-line block ×3, first 2 shown]
	s_cmp_gt_i32 s12, 9
	s_cbranch_scc0 .LBB191_499
; %bb.495:
	global_load_dwordx2 v[3:4], v[1:2], off
	s_movk_i32 s2, 0x1ff
	s_movk_i32 s3, 0xffe
	v_mov_b32_e32 v5, 0x7c00
	v_mov_b32_e32 v6, 0x7e00
	s_movk_i32 s6, 0x40f
	s_mov_b32 s7, 0x8000
	s_waitcnt vmcnt(0)
	v_and_or_b32 v3, v4, s2, v3
	v_cmp_ne_u32_e32 vcc, 0, v3
	v_lshrrev_b32_e32 v7, 8, v4
	v_bfe_u32 v9, v4, 20, 11
	v_cndmask_b32_e64 v3, 0, 1, vcc
	v_sub_u32_e32 v10, 0x3f1, v9
	v_and_or_b32 v3, v7, s3, v3
	v_add_u32_e32 v9, 0xfffffc10, v9
	v_med3_i32 v7, v10, 0, 13
	v_or_b32_e32 v10, 0x1000, v3
	v_cmp_ne_u32_e32 vcc, 0, v3
	v_lshl_or_b32 v11, v9, 12, v3
	v_cndmask_b32_e32 v3, v5, v6, vcc
	v_lshrrev_b32_e32 v6, v7, v10
	v_lshlrev_b32_e32 v7, v7, v6
	v_cmp_ne_u32_e32 vcc, v7, v10
	v_cndmask_b32_e64 v7, 0, 1, vcc
	v_or_b32_e32 v6, v6, v7
	v_cmp_gt_i32_e32 vcc, 1, v9
	v_cndmask_b32_e32 v6, v11, v6, vcc
	v_and_b32_e32 v7, 7, v6
	v_cmp_lt_i32_e32 vcc, 5, v7
	v_cndmask_b32_e64 v10, 0, 1, vcc
	v_cmp_eq_u32_e32 vcc, 3, v7
	v_cndmask_b32_e64 v7, 0, 1, vcc
	v_lshrrev_b32_e32 v6, 2, v6
	v_or_b32_e32 v7, v7, v10
	v_add_u32_e32 v6, v6, v7
	v_cmp_gt_i32_e32 vcc, 31, v9
	v_cndmask_b32_e32 v5, v5, v6, vcc
	v_cmp_eq_u32_e32 vcc, s6, v9
	v_lshrrev_b32_e32 v4, 16, v4
	v_cndmask_b32_e32 v3, v5, v3, vcc
	v_and_or_b32 v3, v4, s7, v3
	s_mov_b64 s[2:3], 0
	s_branch .LBB191_500
.LBB191_496:
	s_mov_b64 s[2:3], -1
                                        ; implicit-def: $vgpr3
	s_branch .LBB191_518
.LBB191_497:
	s_mov_b64 s[2:3], -1
                                        ; implicit-def: $vgpr3
	s_branch .LBB191_506
.LBB191_498:
	s_mov_b64 s[2:3], -1
                                        ; implicit-def: $vgpr3
	s_branch .LBB191_503
.LBB191_499:
	s_mov_b64 s[2:3], -1
                                        ; implicit-def: $vgpr3
.LBB191_500:
	s_andn2_b64 vcc, exec, s[2:3]
	s_cbranch_vccnz .LBB191_502
; %bb.501:
	global_load_dword v3, v[1:2], off
	s_waitcnt vmcnt(0)
	v_cvt_f16_f32_e32 v3, v3
.LBB191_502:
	s_mov_b64 s[2:3], 0
.LBB191_503:
	s_andn2_b64 vcc, exec, s[2:3]
	s_cbranch_vccnz .LBB191_505
; %bb.504:
	global_load_dword v3, v[1:2], off
.LBB191_505:
	s_mov_b64 s[2:3], 0
.LBB191_506:
	s_andn2_b64 vcc, exec, s[2:3]
	s_cbranch_vccnz .LBB191_517
; %bb.507:
	s_cmp_lt_i32 s12, 6
	s_cbranch_scc1 .LBB191_510
; %bb.508:
	s_cmp_gt_i32 s12, 6
	s_cbranch_scc0 .LBB191_511
; %bb.509:
	global_load_dwordx2 v[3:4], v[1:2], off
	s_movk_i32 s2, 0x1ff
	s_movk_i32 s3, 0xffe
	v_mov_b32_e32 v5, 0x7c00
	v_mov_b32_e32 v6, 0x7e00
	s_movk_i32 s6, 0x40f
	s_mov_b32 s7, 0x8000
	s_waitcnt vmcnt(0)
	v_and_or_b32 v3, v4, s2, v3
	v_cmp_ne_u32_e32 vcc, 0, v3
	v_lshrrev_b32_e32 v7, 8, v4
	v_bfe_u32 v9, v4, 20, 11
	v_cndmask_b32_e64 v3, 0, 1, vcc
	v_sub_u32_e32 v10, 0x3f1, v9
	v_and_or_b32 v3, v7, s3, v3
	v_add_u32_e32 v9, 0xfffffc10, v9
	v_med3_i32 v7, v10, 0, 13
	v_or_b32_e32 v10, 0x1000, v3
	v_cmp_ne_u32_e32 vcc, 0, v3
	v_lshl_or_b32 v11, v9, 12, v3
	v_cndmask_b32_e32 v3, v5, v6, vcc
	v_lshrrev_b32_e32 v6, v7, v10
	v_lshlrev_b32_e32 v7, v7, v6
	v_cmp_ne_u32_e32 vcc, v7, v10
	v_cndmask_b32_e64 v7, 0, 1, vcc
	v_or_b32_e32 v6, v6, v7
	v_cmp_gt_i32_e32 vcc, 1, v9
	v_cndmask_b32_e32 v6, v11, v6, vcc
	v_and_b32_e32 v7, 7, v6
	v_cmp_lt_i32_e32 vcc, 5, v7
	v_cndmask_b32_e64 v10, 0, 1, vcc
	v_cmp_eq_u32_e32 vcc, 3, v7
	v_cndmask_b32_e64 v7, 0, 1, vcc
	v_lshrrev_b32_e32 v6, 2, v6
	v_or_b32_e32 v7, v7, v10
	v_add_u32_e32 v6, v6, v7
	v_cmp_gt_i32_e32 vcc, 31, v9
	v_cndmask_b32_e32 v5, v5, v6, vcc
	v_cmp_eq_u32_e32 vcc, s6, v9
	v_lshrrev_b32_e32 v4, 16, v4
	v_cndmask_b32_e32 v3, v5, v3, vcc
	v_and_or_b32 v3, v4, s7, v3
	s_mov_b64 s[2:3], 0
	s_branch .LBB191_512
.LBB191_510:
	s_mov_b64 s[2:3], -1
                                        ; implicit-def: $vgpr3
	s_branch .LBB191_515
.LBB191_511:
	s_mov_b64 s[2:3], -1
                                        ; implicit-def: $vgpr3
.LBB191_512:
	s_andn2_b64 vcc, exec, s[2:3]
	s_cbranch_vccnz .LBB191_514
; %bb.513:
	global_load_dword v3, v[1:2], off
	s_waitcnt vmcnt(0)
	v_cvt_f16_f32_e32 v3, v3
.LBB191_514:
	s_mov_b64 s[2:3], 0
.LBB191_515:
	s_andn2_b64 vcc, exec, s[2:3]
	s_cbranch_vccnz .LBB191_517
; %bb.516:
	global_load_ushort v3, v[1:2], off
.LBB191_517:
	s_mov_b64 s[2:3], 0
.LBB191_518:
	s_andn2_b64 vcc, exec, s[2:3]
	s_cbranch_vccnz .LBB191_538
; %bb.519:
	s_cmp_lt_i32 s12, 2
	s_cbranch_scc1 .LBB191_523
; %bb.520:
	s_cmp_lt_i32 s12, 3
	s_cbranch_scc1 .LBB191_524
; %bb.521:
	s_cmp_gt_i32 s12, 3
	s_cbranch_scc0 .LBB191_525
; %bb.522:
	global_load_dwordx2 v[3:4], v[1:2], off
	s_mov_b64 s[2:3], 0
	s_waitcnt vmcnt(0)
	v_xor_b32_e32 v6, v3, v4
	v_ffbh_i32_e32 v5, v4
	v_ashrrev_i32_e32 v6, 31, v6
	v_add_u32_e32 v5, -1, v5
	v_add_u32_e32 v6, 32, v6
	v_min_u32_e32 v5, v5, v6
	v_lshlrev_b64 v[3:4], v5, v[3:4]
	v_min_u32_e32 v3, 1, v3
	v_or_b32_e32 v3, v4, v3
	v_cvt_f32_i32_e32 v3, v3
	v_sub_u32_e32 v4, 32, v5
	v_ldexp_f32 v3, v3, v4
	v_cvt_f16_f32_e32 v3, v3
	s_branch .LBB191_526
.LBB191_523:
	s_mov_b64 s[2:3], -1
                                        ; implicit-def: $vgpr3
	s_branch .LBB191_532
.LBB191_524:
	s_mov_b64 s[2:3], -1
                                        ; implicit-def: $vgpr3
	s_branch .LBB191_529
.LBB191_525:
	s_mov_b64 s[2:3], -1
                                        ; implicit-def: $vgpr3
.LBB191_526:
	s_andn2_b64 vcc, exec, s[2:3]
	s_cbranch_vccnz .LBB191_528
; %bb.527:
	global_load_dword v3, v[1:2], off
	s_waitcnt vmcnt(0)
	v_cvt_f32_i32_e32 v3, v3
	v_cvt_f16_f32_e32 v3, v3
.LBB191_528:
	s_mov_b64 s[2:3], 0
.LBB191_529:
	s_andn2_b64 vcc, exec, s[2:3]
	s_cbranch_vccnz .LBB191_531
; %bb.530:
	global_load_ushort v3, v[1:2], off
	s_waitcnt vmcnt(0)
	v_cvt_f16_i16_e32 v3, v3
.LBB191_531:
	s_mov_b64 s[2:3], 0
.LBB191_532:
	s_andn2_b64 vcc, exec, s[2:3]
	s_cbranch_vccnz .LBB191_538
; %bb.533:
	s_cmp_gt_i32 s12, 0
	s_cbranch_scc0 .LBB191_535
; %bb.534:
	global_load_sbyte v3, v[1:2], off
	s_mov_b64 s[2:3], 0
	s_waitcnt vmcnt(0)
	v_cvt_f16_i16_e32 v3, v3
	s_branch .LBB191_536
.LBB191_535:
	s_mov_b64 s[2:3], -1
                                        ; implicit-def: $vgpr3
.LBB191_536:
	s_andn2_b64 vcc, exec, s[2:3]
	s_cbranch_vccnz .LBB191_538
; %bb.537:
	global_load_ubyte v1, v[1:2], off
	s_waitcnt vmcnt(0)
	v_cvt_f16_u16_e32 v3, v1
.LBB191_538:
	s_branch .LBB191_294
.LBB191_539:
	s_mov_b64 s[2:3], 0
	s_mov_b64 s[6:7], s[60:61]
.LBB191_540:
                                        ; implicit-def: $vgpr8
.LBB191_541:
	s_andn2_b64 s[10:11], s[60:61], exec
	s_and_b64 s[6:7], s[6:7], exec
	s_or_b64 s[68:69], s[10:11], s[6:7]
	s_andn2_b64 s[6:7], s[62:63], exec
	s_and_b64 s[8:9], s[8:9], exec
	s_or_b64 s[66:67], s[6:7], s[8:9]
	s_orn2_b64 s[2:3], s[2:3], exec
.LBB191_542:
	s_or_b64 exec, exec, s[70:71]
	s_mov_b64 s[6:7], 0
	s_mov_b64 s[8:9], 0
	;; [unrolled: 1-line block ×3, first 2 shown]
                                        ; implicit-def: $vgpr1_vgpr2
                                        ; implicit-def: $vgpr0
                                        ; implicit-def: $vgpr3
	s_and_saveexec_b64 s[70:71], s[2:3]
	s_cbranch_execz .LBB191_917
; %bb.543:
	v_cmp_gt_i32_e32 vcc, s74, v8
	s_mov_b64 s[14:15], -1
	s_mov_b64 s[2:3], s[66:67]
	s_mov_b64 s[6:7], s[68:69]
	s_and_saveexec_b64 s[72:73], vcc
	s_cbranch_execz .LBB191_817
; %bb.544:
	s_andn2_b64 vcc, exec, s[46:47]
	s_cbranch_vccnz .LBB191_549
; %bb.545:
	s_andn2_b64 vcc, exec, s[58:59]
	s_cbranch_vccnz .LBB191_550
; %bb.546:
	s_add_i32 s75, s79, 1
	s_cmp_eq_u32 s76, 2
	s_cbranch_scc1 .LBB191_551
; %bb.547:
	s_and_b32 s50, s75, 28
	v_mov_b32_e32 v2, 0
	s_mov_b32 s80, 0
	s_mov_b64 s[2:3], s[34:35]
	s_mov_b64 s[6:7], s[56:57]
	v_mov_b32_e32 v0, 0
	v_mov_b32_e32 v1, v8
.LBB191_548:                            ; =>This Inner Loop Header: Depth=1
	s_load_dwordx8 s[16:23], s[2:3], 0x4
	s_load_dwordx4 s[40:43], s[2:3], 0x24
	s_load_dwordx8 s[8:15], s[6:7], 0x0
	s_add_u32 s2, s2, 48
	s_addc_u32 s3, s3, 0
	s_waitcnt vmcnt(0) lgkmcnt(0)
	v_mul_hi_u32 v3, s17, v1
	s_add_i32 s80, s80, 4
	s_add_u32 s6, s6, 32
	s_addc_u32 s7, s7, 0
	v_add_u32_e32 v3, v1, v3
	v_lshrrev_b32_e32 v3, s18, v3
	v_mul_lo_u32 v4, v3, s16
	v_mul_hi_u32 v5, s20, v3
	s_cmp_eq_u32 s50, s80
	v_sub_u32_e32 v1, v1, v4
	v_add_u32_e32 v4, v3, v5
	v_mul_lo_u32 v5, v1, s8
	v_mul_lo_u32 v6, v1, s9
	v_lshrrev_b32_e32 v1, s21, v4
	v_mul_lo_u32 v4, v1, s19
	v_mul_hi_u32 v7, s23, v1
	v_sub_u32_e32 v3, v3, v4
	v_add_u32_e32 v4, v1, v7
	v_lshrrev_b32_e32 v4, s40, v4
	v_mul_hi_u32 v9, s42, v4
	v_mul_lo_u32 v10, v4, s22
	v_mul_lo_u32 v7, v3, s10
	;; [unrolled: 1-line block ×3, first 2 shown]
	v_sub_u32_e32 v10, v1, v10
	v_add_u32_e32 v1, v4, v9
	v_lshrrev_b32_e32 v1, s43, v1
	v_mul_lo_u32 v9, v1, s41
	v_mul_lo_u32 v11, v10, s12
	;; [unrolled: 1-line block ×3, first 2 shown]
	v_add3_u32 v0, v5, v0, v7
	v_sub_u32_e32 v4, v4, v9
	v_mul_lo_u32 v9, v4, s14
	v_mul_lo_u32 v4, v4, s15
	v_add3_u32 v2, v6, v2, v3
	v_add3_u32 v0, v11, v0, v9
	;; [unrolled: 1-line block ×3, first 2 shown]
	s_cbranch_scc0 .LBB191_548
	s_branch .LBB191_552
.LBB191_549:
	s_mov_b64 s[2:3], -1
                                        ; implicit-def: $vgpr0
                                        ; implicit-def: $vgpr2
	s_branch .LBB191_556
.LBB191_550:
	v_mov_b32_e32 v0, 0
	v_mov_b32_e32 v2, 0
	s_branch .LBB191_555
.LBB191_551:
	s_mov_b32 s50, 0
	v_mov_b32_e32 v0, 0
	v_mov_b32_e32 v2, 0
	;; [unrolled: 1-line block ×3, first 2 shown]
.LBB191_552:
	s_and_b32 s8, s75, 3
	s_cmp_eq_u32 s8, 0
	s_cbranch_scc1 .LBB191_555
; %bb.553:
	s_lshl_b32 s2, s50, 3
	s_add_u32 s2, s34, s2
	s_addc_u32 s3, s35, 0
	s_add_u32 s2, s2, 0xc4
	s_addc_u32 s3, s3, 0
	s_mul_i32 s6, s50, 12
	s_add_u32 s6, s34, s6
	s_addc_u32 s7, s35, 0
.LBB191_554:                            ; =>This Inner Loop Header: Depth=1
	s_load_dwordx2 s[10:11], s[6:7], 0x4
	s_load_dword s9, s[6:7], 0xc
	s_load_dwordx2 s[12:13], s[2:3], 0x0
	s_add_u32 s6, s6, 12
	s_addc_u32 s7, s7, 0
	s_waitcnt vmcnt(0) lgkmcnt(0)
	v_mul_hi_u32 v3, s11, v1
	s_add_u32 s2, s2, 8
	s_addc_u32 s3, s3, 0
	s_add_i32 s8, s8, -1
	v_add_u32_e32 v3, v1, v3
	v_lshrrev_b32_e32 v4, s9, v3
	v_mul_lo_u32 v3, v4, s10
	s_cmp_lg_u32 s8, 0
	v_sub_u32_e32 v3, v1, v3
	v_mad_u64_u32 v[0:1], s[10:11], v3, s12, v[0:1]
	v_mad_u64_u32 v[2:3], s[10:11], v3, s13, v[2:3]
	v_mov_b32_e32 v1, v4
	s_cbranch_scc1 .LBB191_554
.LBB191_555:
	s_mov_b64 s[2:3], 0
.LBB191_556:
	s_andn2_b64 vcc, exec, s[2:3]
	s_cbranch_vccnz .LBB191_559
; %bb.557:
	v_mul_hi_u32 v0, s29, v8
	s_andn2_b64 vcc, exec, s[54:55]
	v_add_u32_e32 v0, v8, v0
	v_lshrrev_b32_e32 v1, s30, v0
	v_mul_lo_u32 v0, v1, s28
	v_sub_u32_e32 v2, v8, v0
	v_mul_lo_u32 v0, v2, s36
	v_mul_lo_u32 v2, v2, s37
	s_cbranch_vccnz .LBB191_559
; %bb.558:
	s_waitcnt vmcnt(0)
	v_mul_hi_u32 v3, s52, v1
	v_add_u32_e32 v3, v1, v3
	v_lshrrev_b32_e32 v3, s53, v3
	v_mul_lo_u32 v3, v3, s31
	v_sub_u32_e32 v3, v1, v3
	v_mad_u64_u32 v[0:1], s[2:3], v3, s38, v[0:1]
	v_mad_u64_u32 v[2:3], s[2:3], v3, s39, v[2:3]
.LBB191_559:
	s_waitcnt vmcnt(0)
	v_mov_b32_e32 v3, s27
	s_and_b32 s12, 0xffff, s78
	v_add_co_u32_e32 v1, vcc, s26, v2
	s_cmp_lt_i32 s12, 11
	v_addc_co_u32_e32 v2, vcc, 0, v3, vcc
	s_cbranch_scc1 .LBB191_566
; %bb.560:
	s_cmp_gt_i32 s12, 25
	s_cbranch_scc0 .LBB191_567
; %bb.561:
	s_cmp_gt_i32 s12, 28
	s_cbranch_scc0 .LBB191_568
	;; [unrolled: 3-line block ×4, first 2 shown]
; %bb.564:
	s_cmp_eq_u32 s12, 46
	s_mov_b64 s[6:7], 0
	s_cbranch_scc0 .LBB191_575
; %bb.565:
	global_load_dword v3, v[1:2], off
	s_mov_b64 s[2:3], -1
	s_mov_b64 s[8:9], 0
	s_waitcnt vmcnt(0)
	v_lshlrev_b32_e32 v3, 16, v3
	v_cvt_f16_f32_e32 v3, v3
	s_branch .LBB191_576
.LBB191_566:
	s_mov_b64 s[6:7], -1
	s_mov_b64 s[2:3], 0
                                        ; implicit-def: $vgpr3
	s_mov_b64 s[8:9], s[66:67]
	s_branch .LBB191_641
.LBB191_567:
	s_mov_b64 s[6:7], -1
	s_mov_b64 s[2:3], 0
	s_mov_b64 s[8:9], s[66:67]
                                        ; implicit-def: $vgpr3
	s_branch .LBB191_605
.LBB191_568:
	s_mov_b64 s[6:7], -1
	s_mov_b64 s[2:3], 0
	s_mov_b64 s[8:9], s[66:67]
                                        ; implicit-def: $vgpr3
	s_branch .LBB191_586
.LBB191_569:
	s_mov_b64 s[6:7], -1
	s_mov_b64 s[2:3], 0
	s_mov_b64 s[8:9], s[66:67]
                                        ; implicit-def: $vgpr3
	s_branch .LBB191_581
.LBB191_570:
	s_andn2_saveexec_b64 s[14:15], s[14:15]
	s_cbranch_execz .LBB191_339
.LBB191_571:
	v_add_f32_e32 v2, 0x46000000, v3
	v_and_b32_e32 v2, 0xff, v2
	v_cmp_ne_u32_e32 vcc, 0, v2
	s_andn2_b64 s[12:13], s[12:13], exec
	s_and_b64 s[18:19], vcc, exec
	s_or_b64 s[12:13], s[12:13], s[18:19]
	s_or_b64 exec, exec, s[14:15]
	v_mov_b32_e32 v4, 0
	s_and_saveexec_b64 s[14:15], s[12:13]
	s_cbranch_execnz .LBB191_340
	s_branch .LBB191_341
.LBB191_572:
	s_mov_b64 s[6:7], -1
	s_mov_b64 s[2:3], 0
	s_mov_b64 s[8:9], s[66:67]
                                        ; implicit-def: $vgpr3
	s_branch .LBB191_576
.LBB191_573:
	s_andn2_saveexec_b64 s[14:15], s[14:15]
	s_cbranch_execz .LBB191_352
.LBB191_574:
	v_add_f32_e32 v2, 0x42800000, v3
	v_and_b32_e32 v2, 0xff, v2
	v_cmp_ne_u32_e32 vcc, 0, v2
	s_andn2_b64 s[12:13], s[12:13], exec
	s_and_b64 s[18:19], vcc, exec
	s_or_b64 s[12:13], s[12:13], s[18:19]
	s_or_b64 exec, exec, s[14:15]
	v_mov_b32_e32 v4, 0
	s_and_saveexec_b64 s[14:15], s[12:13]
	s_cbranch_execnz .LBB191_353
	s_branch .LBB191_354
.LBB191_575:
	s_mov_b64 s[8:9], -1
                                        ; implicit-def: $vgpr3
	s_mov_b64 s[2:3], 0
.LBB191_576:
	s_and_b64 vcc, exec, s[6:7]
	s_cbranch_vccz .LBB191_580
; %bb.577:
	s_cmp_eq_u32 s12, 44
	s_cbranch_scc0 .LBB191_579
; %bb.578:
	global_load_ubyte v3, v[1:2], off
	s_movk_i32 s6, 0xff
	v_mov_b32_e32 v5, 0x7e00
	s_mov_b64 s[2:3], -1
	s_mov_b64 s[8:9], 0
	s_waitcnt vmcnt(0)
	v_lshlrev_b32_e32 v4, 23, v3
	v_cvt_f16_f32_e32 v4, v4
	v_cmp_ne_u32_e32 vcc, s6, v3
	v_cndmask_b32_e32 v4, v5, v4, vcc
	v_cmp_ne_u32_e32 vcc, 0, v3
	v_cndmask_b32_e32 v3, 0, v4, vcc
	s_branch .LBB191_580
.LBB191_579:
	s_mov_b64 s[8:9], -1
                                        ; implicit-def: $vgpr3
.LBB191_580:
	s_mov_b64 s[6:7], 0
.LBB191_581:
	s_and_b64 vcc, exec, s[6:7]
	s_cbranch_vccz .LBB191_585
; %bb.582:
	s_cmp_eq_u32 s12, 29
	s_cbranch_scc0 .LBB191_584
; %bb.583:
	global_load_dwordx2 v[3:4], v[1:2], off
	s_mov_b64 s[2:3], -1
	s_mov_b64 s[8:9], 0
	s_mov_b64 s[6:7], 0
	s_waitcnt vmcnt(0)
	v_ffbh_u32_e32 v5, v4
	v_min_u32_e32 v5, 32, v5
	v_lshlrev_b64 v[3:4], v5, v[3:4]
	v_min_u32_e32 v3, 1, v3
	v_or_b32_e32 v3, v4, v3
	v_cvt_f32_u32_e32 v3, v3
	v_sub_u32_e32 v4, 32, v5
	v_ldexp_f32 v3, v3, v4
	v_cvt_f16_f32_e32 v3, v3
	s_branch .LBB191_586
.LBB191_584:
	s_mov_b64 s[8:9], -1
                                        ; implicit-def: $vgpr3
.LBB191_585:
	s_mov_b64 s[6:7], 0
.LBB191_586:
	s_and_b64 vcc, exec, s[6:7]
	s_cbranch_vccz .LBB191_604
; %bb.587:
	s_cmp_lt_i32 s12, 27
	s_cbranch_scc1 .LBB191_590
; %bb.588:
	s_cmp_gt_i32 s12, 27
	s_cbranch_scc0 .LBB191_591
; %bb.589:
	global_load_dword v3, v[1:2], off
	s_mov_b64 s[2:3], 0
	s_waitcnt vmcnt(0)
	v_cvt_f32_u32_e32 v3, v3
	v_cvt_f16_f32_e32 v3, v3
	s_branch .LBB191_592
.LBB191_590:
	s_mov_b64 s[2:3], -1
                                        ; implicit-def: $vgpr3
	s_branch .LBB191_595
.LBB191_591:
	s_mov_b64 s[2:3], -1
                                        ; implicit-def: $vgpr3
.LBB191_592:
	s_andn2_b64 vcc, exec, s[2:3]
	s_cbranch_vccnz .LBB191_594
; %bb.593:
	global_load_ushort v3, v[1:2], off
	s_waitcnt vmcnt(0)
	v_cvt_f16_u16_e32 v3, v3
.LBB191_594:
	s_mov_b64 s[2:3], 0
.LBB191_595:
	s_andn2_b64 vcc, exec, s[2:3]
	s_cbranch_vccnz .LBB191_603
; %bb.596:
	global_load_ubyte v4, v[1:2], off
	s_movk_i32 s2, 0x7f
	s_waitcnt vmcnt(0)
	v_cmp_lt_i16_e32 vcc, s2, v4
	s_mov_b64 s[2:3], 0
	s_and_saveexec_b64 s[6:7], vcc
	s_xor_b64 s[6:7], exec, s[6:7]
	s_cbranch_execz .LBB191_617
; %bb.597:
	s_movk_i32 s2, 0x80
	v_cmp_eq_u16_e32 vcc, s2, v4
	s_mov_b64 s[2:3], -1
	s_and_saveexec_b64 s[10:11], vcc
; %bb.598:
	s_xor_b64 s[2:3], exec, -1
; %bb.599:
	s_or_b64 exec, exec, s[10:11]
	s_and_b64 s[2:3], s[2:3], exec
	s_or_saveexec_b64 s[6:7], s[6:7]
	v_mov_b32_e32 v3, 0x7e00
	s_xor_b64 exec, exec, s[6:7]
	s_cbranch_execnz .LBB191_618
.LBB191_600:
	s_or_b64 exec, exec, s[6:7]
	s_and_saveexec_b64 s[6:7], s[2:3]
	s_cbranch_execz .LBB191_602
.LBB191_601:
	v_lshlrev_b32_e32 v3, 24, v4
	v_and_b32_e32 v4, 0xffff, v4
	v_and_b32_e32 v5, 7, v4
	v_ffbh_u32_e32 v7, v5
	v_min_u32_e32 v7, 32, v7
	v_subrev_u32_e32 v9, 28, v7
	v_bfe_u32 v6, v4, 3, 4
	v_lshlrev_b32_e32 v4, v9, v4
	v_sub_u32_e32 v7, 29, v7
	v_and_b32_e32 v4, 7, v4
	v_cmp_eq_u32_e32 vcc, 0, v6
	v_cndmask_b32_e32 v6, v6, v7, vcc
	v_cndmask_b32_e32 v4, v5, v4, vcc
	v_mov_b32_e32 v5, 0x3b800000
	v_lshlrev_b32_e32 v4, 20, v4
	v_and_b32_e32 v3, 0x80000000, v3
	v_lshl_add_u32 v5, v6, 23, v5
	v_or3_b32 v3, v3, v5, v4
	v_cvt_f16_f32_e32 v3, v3
.LBB191_602:
	s_or_b64 exec, exec, s[6:7]
.LBB191_603:
	s_mov_b64 s[2:3], -1
.LBB191_604:
	s_mov_b64 s[6:7], 0
.LBB191_605:
	s_and_b64 vcc, exec, s[6:7]
	s_cbranch_vccz .LBB191_640
; %bb.606:
	s_cmp_gt_i32 s12, 22
	s_cbranch_scc0 .LBB191_616
; %bb.607:
	s_cmp_lt_i32 s12, 24
	s_cbranch_scc1 .LBB191_619
; %bb.608:
	s_cmp_gt_i32 s12, 24
	s_cbranch_scc0 .LBB191_620
; %bb.609:
	global_load_ubyte v4, v[1:2], off
	s_movk_i32 s2, 0x7f
	s_waitcnt vmcnt(0)
	v_cmp_lt_i16_e32 vcc, s2, v4
	s_mov_b64 s[2:3], 0
	s_and_saveexec_b64 s[6:7], vcc
	s_xor_b64 s[6:7], exec, s[6:7]
	s_cbranch_execz .LBB191_632
; %bb.610:
	s_movk_i32 s2, 0x80
	v_cmp_eq_u16_e32 vcc, s2, v4
	s_mov_b64 s[2:3], -1
	s_and_saveexec_b64 s[10:11], vcc
; %bb.611:
	s_xor_b64 s[2:3], exec, -1
; %bb.612:
	s_or_b64 exec, exec, s[10:11]
	s_and_b64 s[2:3], s[2:3], exec
	s_or_saveexec_b64 s[6:7], s[6:7]
	v_mov_b32_e32 v3, 0x7e00
	s_xor_b64 exec, exec, s[6:7]
	s_cbranch_execnz .LBB191_633
.LBB191_613:
	s_or_b64 exec, exec, s[6:7]
	s_and_saveexec_b64 s[6:7], s[2:3]
	s_cbranch_execz .LBB191_615
.LBB191_614:
	v_lshlrev_b32_e32 v3, 24, v4
	v_and_b32_e32 v4, 0xffff, v4
	v_and_b32_e32 v5, 3, v4
	v_ffbh_u32_e32 v7, v5
	v_min_u32_e32 v7, 32, v7
	v_subrev_u32_e32 v9, 29, v7
	v_bfe_u32 v6, v4, 2, 5
	v_lshlrev_b32_e32 v4, v9, v4
	v_sub_u32_e32 v7, 30, v7
	v_and_b32_e32 v4, 3, v4
	v_cmp_eq_u32_e32 vcc, 0, v6
	v_cndmask_b32_e32 v6, v6, v7, vcc
	v_cndmask_b32_e32 v4, v5, v4, vcc
	v_mov_b32_e32 v5, 0x37800000
	v_lshlrev_b32_e32 v4, 21, v4
	v_and_b32_e32 v3, 0x80000000, v3
	v_lshl_add_u32 v5, v6, 23, v5
	v_or3_b32 v3, v3, v5, v4
	v_cvt_f16_f32_e32 v3, v3
.LBB191_615:
	s_or_b64 exec, exec, s[6:7]
	s_mov_b64 s[2:3], 0
	s_branch .LBB191_621
.LBB191_616:
	s_mov_b64 s[6:7], -1
                                        ; implicit-def: $vgpr3
	s_branch .LBB191_627
.LBB191_617:
	s_or_saveexec_b64 s[6:7], s[6:7]
	v_mov_b32_e32 v3, 0x7e00
	s_xor_b64 exec, exec, s[6:7]
	s_cbranch_execz .LBB191_600
.LBB191_618:
	v_cmp_ne_u16_e32 vcc, 0, v4
	s_andn2_b64 s[2:3], s[2:3], exec
	s_and_b64 s[10:11], vcc, exec
	s_or_b64 s[2:3], s[2:3], s[10:11]
	v_mov_b32_e32 v3, v4
	s_or_b64 exec, exec, s[6:7]
	s_and_saveexec_b64 s[6:7], s[2:3]
	s_cbranch_execnz .LBB191_601
	s_branch .LBB191_602
.LBB191_619:
	s_mov_b64 s[2:3], -1
                                        ; implicit-def: $vgpr3
	s_branch .LBB191_624
.LBB191_620:
	s_mov_b64 s[2:3], -1
                                        ; implicit-def: $vgpr3
.LBB191_621:
	s_and_b64 vcc, exec, s[2:3]
	s_cbranch_vccz .LBB191_623
; %bb.622:
	global_load_ubyte v3, v[1:2], off
	s_mov_b32 s2, 0x7f800000
	s_waitcnt vmcnt(0)
	v_lshlrev_b32_e32 v3, 24, v3
	v_and_b32_e32 v4, 0x7f000000, v3
	v_ffbh_u32_e32 v5, v4
	v_min_u32_e32 v5, 32, v5
	v_sub_u32_e64 v5, v5, 4 clamp
	v_lshlrev_b32_e32 v7, v5, v4
	v_lshlrev_b32_e32 v5, 23, v5
	v_lshrrev_b32_e32 v7, 4, v7
	v_add_u32_e32 v6, 0x1000000, v4
	v_sub_u32_e32 v5, v7, v5
	v_ashrrev_i32_e32 v6, 8, v6
	v_add_u32_e32 v5, 0x3c000000, v5
	v_and_or_b32 v5, v6, s2, v5
	v_cmp_ne_u32_e32 vcc, 0, v4
	v_cndmask_b32_e32 v4, 0, v5, vcc
	s_brev_b32 s2, 1
	v_and_or_b32 v3, v3, s2, v4
	v_cvt_f16_f32_e32 v3, v3
.LBB191_623:
	s_mov_b64 s[2:3], 0
.LBB191_624:
	s_andn2_b64 vcc, exec, s[2:3]
	s_cbranch_vccnz .LBB191_626
; %bb.625:
	global_load_ubyte v3, v[1:2], off
	s_movk_i32 s2, 0x7f00
	s_brev_b32 s3, 16
	s_waitcnt vmcnt(0)
	v_lshlrev_b16_e32 v4, 8, v3
	v_lshlrev_b32_e32 v3, 25, v3
	v_lshrrev_b32_e32 v5, 4, v3
	v_and_or_b32 v6, v4, s2, 0.5
	v_or_b32_e32 v5, 0x70000000, v5
	v_add_f32_e32 v6, -0.5, v6
	v_mul_f32_e32 v5, 0x7800000, v5
	v_cmp_gt_u32_e32 vcc, s3, v3
	v_bfe_i32 v4, v4, 0, 16
	v_cndmask_b32_e32 v3, v5, v6, vcc
	s_brev_b32 s2, 1
	v_and_or_b32 v3, v4, s2, v3
	v_cvt_f16_f32_e32 v3, v3
.LBB191_626:
	s_mov_b64 s[6:7], 0
	s_mov_b64 s[2:3], -1
.LBB191_627:
	s_andn2_b64 vcc, exec, s[6:7]
	s_cbranch_vccnz .LBB191_640
; %bb.628:
	s_cmp_gt_i32 s12, 14
	s_cbranch_scc0 .LBB191_631
; %bb.629:
	s_cmp_eq_u32 s12, 15
	s_cbranch_scc0 .LBB191_634
; %bb.630:
	global_load_ushort v3, v[1:2], off
	s_mov_b64 s[2:3], -1
	s_mov_b64 s[8:9], 0
	s_waitcnt vmcnt(0)
	v_lshlrev_b32_e32 v3, 16, v3
	v_cvt_f16_f32_e32 v3, v3
	s_branch .LBB191_635
.LBB191_631:
	s_mov_b64 s[6:7], -1
                                        ; implicit-def: $vgpr3
	s_branch .LBB191_636
.LBB191_632:
	s_or_saveexec_b64 s[6:7], s[6:7]
	v_mov_b32_e32 v3, 0x7e00
	s_xor_b64 exec, exec, s[6:7]
	s_cbranch_execz .LBB191_613
.LBB191_633:
	v_cmp_ne_u16_e32 vcc, 0, v4
	s_andn2_b64 s[2:3], s[2:3], exec
	s_and_b64 s[10:11], vcc, exec
	s_or_b64 s[2:3], s[2:3], s[10:11]
	v_mov_b32_e32 v3, v4
	s_or_b64 exec, exec, s[6:7]
	s_and_saveexec_b64 s[6:7], s[2:3]
	s_cbranch_execnz .LBB191_614
	s_branch .LBB191_615
.LBB191_634:
	s_mov_b64 s[8:9], -1
                                        ; implicit-def: $vgpr3
.LBB191_635:
	s_mov_b64 s[6:7], 0
.LBB191_636:
	s_and_b64 vcc, exec, s[6:7]
	s_cbranch_vccz .LBB191_640
; %bb.637:
	s_cmp_eq_u32 s12, 11
	s_cbranch_scc0 .LBB191_639
; %bb.638:
	global_load_ubyte v3, v[1:2], off
	v_mov_b32_e32 v4, 0x3c00
	s_mov_b64 s[2:3], -1
	s_mov_b64 s[8:9], 0
	s_waitcnt vmcnt(0)
	v_cmp_ne_u16_e32 vcc, 0, v3
	v_cndmask_b32_e32 v3, 0, v4, vcc
	s_branch .LBB191_640
.LBB191_639:
	s_mov_b64 s[8:9], -1
                                        ; implicit-def: $vgpr3
.LBB191_640:
	s_mov_b64 s[6:7], 0
.LBB191_641:
	s_and_b64 vcc, exec, s[6:7]
	s_cbranch_vccz .LBB191_690
; %bb.642:
	s_cmp_lt_i32 s12, 5
	s_cbranch_scc1 .LBB191_647
; %bb.643:
	s_cmp_lt_i32 s12, 8
	s_cbranch_scc1 .LBB191_648
	;; [unrolled: 3-line block ×3, first 2 shown]
; %bb.645:
	s_cmp_gt_i32 s12, 9
	s_cbranch_scc0 .LBB191_650
; %bb.646:
	global_load_dwordx2 v[3:4], v[1:2], off
	s_movk_i32 s2, 0x1ff
	s_movk_i32 s3, 0xffe
	v_mov_b32_e32 v5, 0x7c00
	v_mov_b32_e32 v6, 0x7e00
	s_movk_i32 s6, 0x40f
	s_mov_b32 s7, 0x8000
	s_waitcnt vmcnt(0)
	v_and_or_b32 v3, v4, s2, v3
	v_cmp_ne_u32_e32 vcc, 0, v3
	v_lshrrev_b32_e32 v7, 8, v4
	v_bfe_u32 v9, v4, 20, 11
	v_cndmask_b32_e64 v3, 0, 1, vcc
	v_sub_u32_e32 v10, 0x3f1, v9
	v_and_or_b32 v3, v7, s3, v3
	v_add_u32_e32 v9, 0xfffffc10, v9
	v_med3_i32 v7, v10, 0, 13
	v_or_b32_e32 v10, 0x1000, v3
	v_cmp_ne_u32_e32 vcc, 0, v3
	v_lshl_or_b32 v11, v9, 12, v3
	v_cndmask_b32_e32 v3, v5, v6, vcc
	v_lshrrev_b32_e32 v6, v7, v10
	v_lshlrev_b32_e32 v7, v7, v6
	v_cmp_ne_u32_e32 vcc, v7, v10
	v_cndmask_b32_e64 v7, 0, 1, vcc
	v_or_b32_e32 v6, v6, v7
	v_cmp_gt_i32_e32 vcc, 1, v9
	v_cndmask_b32_e32 v6, v11, v6, vcc
	v_and_b32_e32 v7, 7, v6
	v_cmp_lt_i32_e32 vcc, 5, v7
	v_cndmask_b32_e64 v10, 0, 1, vcc
	v_cmp_eq_u32_e32 vcc, 3, v7
	v_cndmask_b32_e64 v7, 0, 1, vcc
	v_lshrrev_b32_e32 v6, 2, v6
	v_or_b32_e32 v7, v7, v10
	v_add_u32_e32 v6, v6, v7
	v_cmp_gt_i32_e32 vcc, 31, v9
	v_cndmask_b32_e32 v5, v5, v6, vcc
	v_cmp_eq_u32_e32 vcc, s6, v9
	v_lshrrev_b32_e32 v4, 16, v4
	v_cndmask_b32_e32 v3, v5, v3, vcc
	v_and_or_b32 v3, v4, s7, v3
	s_mov_b64 s[2:3], 0
	s_branch .LBB191_651
.LBB191_647:
	s_mov_b64 s[2:3], -1
                                        ; implicit-def: $vgpr3
	s_branch .LBB191_669
.LBB191_648:
	s_mov_b64 s[2:3], -1
                                        ; implicit-def: $vgpr3
	s_branch .LBB191_657
.LBB191_649:
	s_mov_b64 s[2:3], -1
                                        ; implicit-def: $vgpr3
	s_branch .LBB191_654
.LBB191_650:
	s_mov_b64 s[2:3], -1
                                        ; implicit-def: $vgpr3
.LBB191_651:
	s_andn2_b64 vcc, exec, s[2:3]
	s_cbranch_vccnz .LBB191_653
; %bb.652:
	global_load_dword v3, v[1:2], off
	s_waitcnt vmcnt(0)
	v_cvt_f16_f32_e32 v3, v3
.LBB191_653:
	s_mov_b64 s[2:3], 0
.LBB191_654:
	s_andn2_b64 vcc, exec, s[2:3]
	s_cbranch_vccnz .LBB191_656
; %bb.655:
	global_load_dword v3, v[1:2], off
.LBB191_656:
	s_mov_b64 s[2:3], 0
.LBB191_657:
	s_andn2_b64 vcc, exec, s[2:3]
	s_cbranch_vccnz .LBB191_668
; %bb.658:
	s_cmp_lt_i32 s12, 6
	s_cbranch_scc1 .LBB191_661
; %bb.659:
	s_cmp_gt_i32 s12, 6
	s_cbranch_scc0 .LBB191_662
; %bb.660:
	global_load_dwordx2 v[3:4], v[1:2], off
	s_movk_i32 s2, 0x1ff
	s_movk_i32 s3, 0xffe
	v_mov_b32_e32 v5, 0x7c00
	v_mov_b32_e32 v6, 0x7e00
	s_movk_i32 s6, 0x40f
	s_mov_b32 s7, 0x8000
	s_waitcnt vmcnt(0)
	v_and_or_b32 v3, v4, s2, v3
	v_cmp_ne_u32_e32 vcc, 0, v3
	v_lshrrev_b32_e32 v7, 8, v4
	v_bfe_u32 v9, v4, 20, 11
	v_cndmask_b32_e64 v3, 0, 1, vcc
	v_sub_u32_e32 v10, 0x3f1, v9
	v_and_or_b32 v3, v7, s3, v3
	v_add_u32_e32 v9, 0xfffffc10, v9
	v_med3_i32 v7, v10, 0, 13
	v_or_b32_e32 v10, 0x1000, v3
	v_cmp_ne_u32_e32 vcc, 0, v3
	v_lshl_or_b32 v11, v9, 12, v3
	v_cndmask_b32_e32 v3, v5, v6, vcc
	v_lshrrev_b32_e32 v6, v7, v10
	v_lshlrev_b32_e32 v7, v7, v6
	v_cmp_ne_u32_e32 vcc, v7, v10
	v_cndmask_b32_e64 v7, 0, 1, vcc
	v_or_b32_e32 v6, v6, v7
	v_cmp_gt_i32_e32 vcc, 1, v9
	v_cndmask_b32_e32 v6, v11, v6, vcc
	v_and_b32_e32 v7, 7, v6
	v_cmp_lt_i32_e32 vcc, 5, v7
	v_cndmask_b32_e64 v10, 0, 1, vcc
	v_cmp_eq_u32_e32 vcc, 3, v7
	v_cndmask_b32_e64 v7, 0, 1, vcc
	v_lshrrev_b32_e32 v6, 2, v6
	v_or_b32_e32 v7, v7, v10
	v_add_u32_e32 v6, v6, v7
	v_cmp_gt_i32_e32 vcc, 31, v9
	v_cndmask_b32_e32 v5, v5, v6, vcc
	v_cmp_eq_u32_e32 vcc, s6, v9
	v_lshrrev_b32_e32 v4, 16, v4
	v_cndmask_b32_e32 v3, v5, v3, vcc
	v_and_or_b32 v3, v4, s7, v3
	s_mov_b64 s[2:3], 0
	s_branch .LBB191_663
.LBB191_661:
	s_mov_b64 s[2:3], -1
                                        ; implicit-def: $vgpr3
	s_branch .LBB191_666
.LBB191_662:
	s_mov_b64 s[2:3], -1
                                        ; implicit-def: $vgpr3
.LBB191_663:
	s_andn2_b64 vcc, exec, s[2:3]
	s_cbranch_vccnz .LBB191_665
; %bb.664:
	global_load_dword v3, v[1:2], off
	s_waitcnt vmcnt(0)
	v_cvt_f16_f32_e32 v3, v3
.LBB191_665:
	s_mov_b64 s[2:3], 0
.LBB191_666:
	s_andn2_b64 vcc, exec, s[2:3]
	s_cbranch_vccnz .LBB191_668
; %bb.667:
	global_load_ushort v3, v[1:2], off
.LBB191_668:
	s_mov_b64 s[2:3], 0
.LBB191_669:
	s_andn2_b64 vcc, exec, s[2:3]
	s_cbranch_vccnz .LBB191_689
; %bb.670:
	s_cmp_lt_i32 s12, 2
	s_cbranch_scc1 .LBB191_674
; %bb.671:
	s_cmp_lt_i32 s12, 3
	s_cbranch_scc1 .LBB191_675
; %bb.672:
	s_cmp_gt_i32 s12, 3
	s_cbranch_scc0 .LBB191_676
; %bb.673:
	global_load_dwordx2 v[3:4], v[1:2], off
	s_mov_b64 s[2:3], 0
	s_waitcnt vmcnt(0)
	v_xor_b32_e32 v6, v3, v4
	v_ffbh_i32_e32 v5, v4
	v_ashrrev_i32_e32 v6, 31, v6
	v_add_u32_e32 v5, -1, v5
	v_add_u32_e32 v6, 32, v6
	v_min_u32_e32 v5, v5, v6
	v_lshlrev_b64 v[3:4], v5, v[3:4]
	v_min_u32_e32 v3, 1, v3
	v_or_b32_e32 v3, v4, v3
	v_cvt_f32_i32_e32 v3, v3
	v_sub_u32_e32 v4, 32, v5
	v_ldexp_f32 v3, v3, v4
	v_cvt_f16_f32_e32 v3, v3
	s_branch .LBB191_677
.LBB191_674:
	s_mov_b64 s[2:3], -1
                                        ; implicit-def: $vgpr3
	s_branch .LBB191_683
.LBB191_675:
	s_mov_b64 s[2:3], -1
                                        ; implicit-def: $vgpr3
	s_branch .LBB191_680
.LBB191_676:
	s_mov_b64 s[2:3], -1
                                        ; implicit-def: $vgpr3
.LBB191_677:
	s_andn2_b64 vcc, exec, s[2:3]
	s_cbranch_vccnz .LBB191_679
; %bb.678:
	global_load_dword v3, v[1:2], off
	s_waitcnt vmcnt(0)
	v_cvt_f32_i32_e32 v3, v3
	v_cvt_f16_f32_e32 v3, v3
.LBB191_679:
	s_mov_b64 s[2:3], 0
.LBB191_680:
	s_andn2_b64 vcc, exec, s[2:3]
	s_cbranch_vccnz .LBB191_682
; %bb.681:
	global_load_ushort v3, v[1:2], off
	s_waitcnt vmcnt(0)
	v_cvt_f16_i16_e32 v3, v3
.LBB191_682:
	s_mov_b64 s[2:3], 0
.LBB191_683:
	s_andn2_b64 vcc, exec, s[2:3]
	s_cbranch_vccnz .LBB191_689
; %bb.684:
	s_cmp_gt_i32 s12, 0
	s_cbranch_scc0 .LBB191_686
; %bb.685:
	global_load_sbyte v3, v[1:2], off
	s_mov_b64 s[2:3], 0
	s_waitcnt vmcnt(0)
	v_cvt_f16_i16_e32 v3, v3
	s_branch .LBB191_687
.LBB191_686:
	s_mov_b64 s[2:3], -1
                                        ; implicit-def: $vgpr3
.LBB191_687:
	s_andn2_b64 vcc, exec, s[2:3]
	s_cbranch_vccnz .LBB191_689
; %bb.688:
	global_load_ubyte v1, v[1:2], off
	s_waitcnt vmcnt(0)
	v_cvt_f16_u16_e32 v3, v1
.LBB191_689:
	s_mov_b64 s[2:3], -1
.LBB191_690:
	s_andn2_b64 vcc, exec, s[2:3]
	s_cbranch_vccnz .LBB191_698
; %bb.691:
	s_waitcnt vmcnt(0)
	v_cmp_eq_f16_e32 vcc, s51, v3
	v_cndmask_b32_e64 v1, 0, 1, vcc
	v_cmp_neq_f16_e32 vcc, s51, v3
	v_cndmask_b32_e64 v2, 0, 1, vcc
	v_cndmask_b32_e64 v1, v2, v1, s[0:1]
	v_and_b32_e32 v1, 1, v1
	v_cmp_eq_u32_e64 s[2:3], 1, v1
	v_mov_b32_e32 v1, s25
	s_and_b32 s16, s77, 0xff
	v_add_co_u32_e32 v0, vcc, s24, v0
	s_cmp_lt_i32 s16, 11
	v_addc_co_u32_e32 v1, vcc, 0, v1, vcc
	s_cbranch_scc1 .LBB191_699
; %bb.692:
	s_and_b32 s17, 0xffff, s16
	s_cmp_gt_i32 s17, 25
	s_cbranch_scc0 .LBB191_700
; %bb.693:
	s_cmp_gt_i32 s17, 28
	s_cbranch_scc0 .LBB191_701
; %bb.694:
	;; [unrolled: 3-line block ×4, first 2 shown]
	s_mov_b64 s[12:13], 0
	s_mov_b64 s[6:7], -1
	s_cmp_eq_u32 s17, 46
	s_mov_b64 s[10:11], 0
	s_cbranch_scc0 .LBB191_704
; %bb.697:
	v_cndmask_b32_e64 v2, 0, 1.0, s[2:3]
	v_bfe_u32 v3, v2, 16, 1
	s_movk_i32 s6, 0x7fff
	v_add3_u32 v2, v2, v3, s6
	v_lshrrev_b32_e32 v2, 16, v2
	global_store_dword v[0:1], v2, off
	s_mov_b64 s[10:11], -1
	s_mov_b64 s[6:7], 0
	s_branch .LBB191_704
.LBB191_698:
	s_mov_b64 s[10:11], 0
	s_mov_b64 s[6:7], s[68:69]
	s_branch .LBB191_815
.LBB191_699:
	s_mov_b64 s[12:13], -1
	s_mov_b64 s[10:11], 0
	s_mov_b64 s[6:7], s[68:69]
	s_branch .LBB191_773
.LBB191_700:
	s_mov_b64 s[12:13], -1
	s_mov_b64 s[10:11], 0
	s_mov_b64 s[6:7], s[68:69]
	s_branch .LBB191_731
.LBB191_701:
	s_mov_b64 s[12:13], -1
	s_mov_b64 s[10:11], 0
	s_mov_b64 s[6:7], s[68:69]
	s_branch .LBB191_714
.LBB191_702:
	s_mov_b64 s[12:13], -1
	s_mov_b64 s[10:11], 0
	s_mov_b64 s[6:7], s[68:69]
	s_branch .LBB191_710
.LBB191_703:
	s_mov_b64 s[12:13], -1
	s_mov_b64 s[10:11], 0
	s_mov_b64 s[6:7], s[68:69]
.LBB191_704:
	s_and_b64 vcc, exec, s[12:13]
	s_cbranch_vccz .LBB191_709
; %bb.705:
	s_cmp_eq_u32 s17, 44
	s_mov_b64 s[6:7], -1
	s_cbranch_scc0 .LBB191_709
; %bb.706:
	v_cndmask_b32_e64 v3, 0, 1.0, s[2:3]
	v_lshrrev_b32_e32 v2, 23, v3
	s_movk_i32 s6, 0xff
	v_cmp_ne_u32_e32 vcc, s6, v2
	v_mov_b32_e32 v4, 0xff
	s_and_saveexec_b64 s[10:11], vcc
; %bb.707:
	s_mov_b32 s6, 0x3fffff
	v_and_b32_e32 v4, 0x400000, v3
	v_and_or_b32 v3, v3, s6, v2
	v_cmp_ne_u32_e32 vcc, 0, v4
	v_cmp_ne_u32_e64 s[6:7], 0, v3
	s_and_b64 s[6:7], vcc, s[6:7]
	v_cndmask_b32_e64 v3, 0, 1, s[6:7]
	v_add_u32_e32 v4, v2, v3
; %bb.708:
	s_or_b64 exec, exec, s[10:11]
	s_mov_b64 s[10:11], -1
	s_mov_b64 s[6:7], 0
	global_store_byte v[0:1], v4, off
.LBB191_709:
	s_mov_b64 s[12:13], 0
.LBB191_710:
	s_and_b64 vcc, exec, s[12:13]
	s_cbranch_vccz .LBB191_713
; %bb.711:
	s_cmp_eq_u32 s17, 29
	s_mov_b64 s[6:7], -1
	s_cbranch_scc0 .LBB191_713
; %bb.712:
	s_mov_b32 s6, 0
	v_cndmask_b32_e64 v2, 0, 1, s[2:3]
	v_mov_b32_e32 v3, s6
	global_store_dwordx2 v[0:1], v[2:3], off
	s_mov_b64 s[10:11], -1
	s_mov_b64 s[6:7], 0
.LBB191_713:
	s_mov_b64 s[12:13], 0
.LBB191_714:
	s_and_b64 vcc, exec, s[12:13]
	s_cbranch_vccz .LBB191_730
; %bb.715:
	s_cmp_lt_i32 s17, 27
	s_mov_b64 s[10:11], -1
	s_cbranch_scc1 .LBB191_721
; %bb.716:
	s_cmp_gt_i32 s17, 27
	s_cbranch_scc0 .LBB191_718
; %bb.717:
	v_cndmask_b32_e64 v2, 0, 1, s[2:3]
	s_mov_b64 s[10:11], 0
	global_store_dword v[0:1], v2, off
.LBB191_718:
	s_andn2_b64 vcc, exec, s[10:11]
	s_cbranch_vccnz .LBB191_720
; %bb.719:
	v_cndmask_b32_e64 v2, 0, 1, s[2:3]
	global_store_short v[0:1], v2, off
.LBB191_720:
	s_mov_b64 s[10:11], 0
.LBB191_721:
	s_andn2_b64 vcc, exec, s[10:11]
	s_cbranch_vccnz .LBB191_729
; %bb.722:
	v_cndmask_b32_e64 v3, 0, 1.0, s[2:3]
	s_mov_b32 s10, 0x43800000
	v_cmp_gt_u32_e32 vcc, s10, v3
	v_mov_b32_e32 v4, 0x80
	s_and_saveexec_b64 s[10:11], vcc
	s_cbranch_execz .LBB191_728
; %bb.723:
	s_mov_b32 s12, 0x3bffffff
	v_cmp_lt_u32_e32 vcc, s12, v3
	s_mov_b64 s[12:13], 0
                                        ; implicit-def: $vgpr2
	s_and_saveexec_b64 s[14:15], vcc
	s_xor_b64 s[14:15], exec, s[14:15]
	s_cbranch_execz .LBB191_845
; %bb.724:
	v_bfe_u32 v2, v3, 20, 1
	s_mov_b32 s18, 0x487ffff
	v_add3_u32 v2, v3, v2, s18
	s_mov_b64 s[12:13], exec
	v_lshrrev_b32_e32 v2, 20, v2
                                        ; implicit-def: $vgpr3
	s_andn2_saveexec_b64 s[14:15], s[14:15]
	s_cbranch_execnz .LBB191_846
.LBB191_725:
	s_or_b64 exec, exec, s[14:15]
	v_mov_b32_e32 v4, 0
	s_and_saveexec_b64 s[14:15], s[12:13]
.LBB191_726:
	v_mov_b32_e32 v4, v2
.LBB191_727:
	s_or_b64 exec, exec, s[14:15]
.LBB191_728:
	s_or_b64 exec, exec, s[10:11]
	global_store_byte v[0:1], v4, off
.LBB191_729:
	s_mov_b64 s[10:11], -1
.LBB191_730:
	s_mov_b64 s[12:13], 0
.LBB191_731:
	s_and_b64 vcc, exec, s[12:13]
	s_cbranch_vccz .LBB191_772
; %bb.732:
	s_cmp_gt_i32 s17, 22
	s_mov_b64 s[12:13], -1
	s_cbranch_scc0 .LBB191_764
; %bb.733:
	s_cmp_lt_i32 s17, 24
	s_mov_b64 s[10:11], -1
	s_cbranch_scc1 .LBB191_753
; %bb.734:
	s_cmp_gt_i32 s17, 24
	s_cbranch_scc0 .LBB191_742
; %bb.735:
	v_cndmask_b32_e64 v3, 0, 1.0, s[2:3]
	s_mov_b32 s10, 0x47800000
	v_cmp_gt_u32_e32 vcc, s10, v3
	v_mov_b32_e32 v4, 0x80
	s_and_saveexec_b64 s[10:11], vcc
	s_cbranch_execz .LBB191_741
; %bb.736:
	s_mov_b32 s12, 0x37ffffff
	v_cmp_lt_u32_e32 vcc, s12, v3
	s_mov_b64 s[12:13], 0
                                        ; implicit-def: $vgpr2
	s_and_saveexec_b64 s[14:15], vcc
	s_xor_b64 s[14:15], exec, s[14:15]
	s_cbranch_execz .LBB191_848
; %bb.737:
	v_bfe_u32 v2, v3, 21, 1
	s_mov_b32 s18, 0x88fffff
	v_add3_u32 v2, v3, v2, s18
	s_mov_b64 s[12:13], exec
	v_lshrrev_b32_e32 v2, 21, v2
                                        ; implicit-def: $vgpr3
	s_andn2_saveexec_b64 s[14:15], s[14:15]
	s_cbranch_execnz .LBB191_849
.LBB191_738:
	s_or_b64 exec, exec, s[14:15]
	v_mov_b32_e32 v4, 0
	s_and_saveexec_b64 s[14:15], s[12:13]
.LBB191_739:
	v_mov_b32_e32 v4, v2
.LBB191_740:
	s_or_b64 exec, exec, s[14:15]
.LBB191_741:
	s_or_b64 exec, exec, s[10:11]
	s_mov_b64 s[10:11], 0
	global_store_byte v[0:1], v4, off
.LBB191_742:
	s_and_b64 vcc, exec, s[10:11]
	s_cbranch_vccz .LBB191_752
; %bb.743:
	v_cndmask_b32_e64 v2, 0, 1.0, s[2:3]
	s_mov_b32 s10, 0x43f00000
	v_cmp_gt_u32_e32 vcc, s10, v2
                                        ; implicit-def: $vgpr3
	s_and_saveexec_b64 s[10:11], vcc
	s_xor_b64 s[10:11], exec, s[10:11]
	s_cbranch_execz .LBB191_749
; %bb.744:
	s_mov_b32 s12, 0x3c7fffff
	v_cmp_lt_u32_e32 vcc, s12, v2
                                        ; implicit-def: $vgpr3
	s_and_saveexec_b64 s[12:13], vcc
	s_xor_b64 s[12:13], exec, s[12:13]
; %bb.745:
	v_bfe_u32 v3, v2, 20, 1
	s_mov_b32 s14, 0x407ffff
	v_add3_u32 v2, v2, v3, s14
	v_lshrrev_b32_e32 v3, 20, v2
	v_and_b32_e32 v2, 0xff00000, v2
	s_mov_b32 s14, 0x7f00000
	v_mov_b32_e32 v4, 0x7e
	v_cmp_ne_u32_e32 vcc, s14, v2
	v_cndmask_b32_e32 v3, v4, v3, vcc
                                        ; implicit-def: $vgpr2
; %bb.746:
	s_andn2_saveexec_b64 s[12:13], s[12:13]
; %bb.747:
	v_add_f32_e32 v3, 0x46800000, v2
; %bb.748:
	s_or_b64 exec, exec, s[12:13]
                                        ; implicit-def: $vgpr2
.LBB191_749:
	s_andn2_saveexec_b64 s[10:11], s[10:11]
; %bb.750:
	s_mov_b32 s12, 0x7f800000
	v_mov_b32_e32 v3, 0x7e
	v_mov_b32_e32 v4, 0x7f
	v_cmp_lt_u32_e32 vcc, s12, v2
	v_cndmask_b32_e32 v3, v3, v4, vcc
; %bb.751:
	s_or_b64 exec, exec, s[10:11]
	global_store_byte v[0:1], v3, off
.LBB191_752:
	s_mov_b64 s[10:11], 0
.LBB191_753:
	s_andn2_b64 vcc, exec, s[10:11]
	s_cbranch_vccnz .LBB191_763
; %bb.754:
	v_cndmask_b32_e64 v2, 0, 1.0, s[2:3]
	s_mov_b32 s10, 0x47800000
	v_cmp_gt_u32_e32 vcc, s10, v2
                                        ; implicit-def: $vgpr3
	s_and_saveexec_b64 s[10:11], vcc
	s_xor_b64 s[10:11], exec, s[10:11]
	s_cbranch_execz .LBB191_760
; %bb.755:
	s_mov_b32 s12, 0x387fffff
	v_cmp_lt_u32_e32 vcc, s12, v2
                                        ; implicit-def: $vgpr3
	s_and_saveexec_b64 s[12:13], vcc
	s_xor_b64 s[12:13], exec, s[12:13]
; %bb.756:
	v_bfe_u32 v3, v2, 21, 1
	s_mov_b32 s14, 0x80fffff
	v_add3_u32 v2, v2, v3, s14
	v_lshrrev_b32_e32 v3, 21, v2
                                        ; implicit-def: $vgpr2
; %bb.757:
	s_andn2_saveexec_b64 s[12:13], s[12:13]
; %bb.758:
	v_add_f32_e32 v3, 0x43000000, v2
; %bb.759:
	s_or_b64 exec, exec, s[12:13]
                                        ; implicit-def: $vgpr2
.LBB191_760:
	s_andn2_saveexec_b64 s[10:11], s[10:11]
; %bb.761:
	s_mov_b32 s12, 0x7f800000
	v_mov_b32_e32 v3, 0x7c
	v_mov_b32_e32 v4, 0x7f
	v_cmp_lt_u32_e32 vcc, s12, v2
	v_cndmask_b32_e32 v3, v3, v4, vcc
; %bb.762:
	s_or_b64 exec, exec, s[10:11]
	global_store_byte v[0:1], v3, off
.LBB191_763:
	s_mov_b64 s[12:13], 0
	s_mov_b64 s[10:11], -1
.LBB191_764:
	s_andn2_b64 vcc, exec, s[12:13]
	s_cbranch_vccnz .LBB191_772
; %bb.765:
	s_cmp_gt_i32 s17, 14
	s_mov_b64 s[12:13], -1
	s_cbranch_scc0 .LBB191_769
; %bb.766:
	s_cmp_eq_u32 s17, 15
	s_mov_b64 s[6:7], -1
	s_cbranch_scc0 .LBB191_768
; %bb.767:
	v_cndmask_b32_e64 v2, 0, 1.0, s[2:3]
	v_bfe_u32 v3, v2, 16, 1
	s_movk_i32 s6, 0x7fff
	v_add3_u32 v2, v2, v3, s6
	global_store_short_d16_hi v[0:1], v2, off
	s_mov_b64 s[10:11], -1
	s_mov_b64 s[6:7], 0
.LBB191_768:
	s_mov_b64 s[12:13], 0
.LBB191_769:
	s_and_b64 vcc, exec, s[12:13]
	s_cbranch_vccz .LBB191_772
; %bb.770:
	s_cmp_eq_u32 s17, 11
	s_mov_b64 s[6:7], -1
	s_cbranch_scc0 .LBB191_772
; %bb.771:
	v_cndmask_b32_e64 v2, 0, 1, s[2:3]
	s_mov_b64 s[10:11], -1
	s_mov_b64 s[6:7], 0
	global_store_byte v[0:1], v2, off
.LBB191_772:
	s_mov_b64 s[12:13], 0
.LBB191_773:
	s_and_b64 vcc, exec, s[12:13]
	s_cbranch_vccz .LBB191_812
; %bb.774:
	s_and_b32 s12, 0xffff, s16
	s_cmp_lt_i32 s12, 5
	s_mov_b64 s[10:11], -1
	s_cbranch_scc1 .LBB191_795
; %bb.775:
	s_cmp_lt_i32 s12, 8
	s_cbranch_scc1 .LBB191_785
; %bb.776:
	s_cmp_lt_i32 s12, 9
	s_cbranch_scc1 .LBB191_782
; %bb.777:
	s_cmp_gt_i32 s12, 9
	s_cbranch_scc0 .LBB191_779
; %bb.778:
	v_cndmask_b32_e64 v2, 0, 1, s[2:3]
	v_cvt_f64_u32_e32 v[2:3], v2
	v_mov_b32_e32 v4, 0
	v_mov_b32_e32 v5, v4
	s_mov_b64 s[10:11], 0
	global_store_dwordx4 v[0:1], v[2:5], off
.LBB191_779:
	s_andn2_b64 vcc, exec, s[10:11]
	s_cbranch_vccnz .LBB191_781
; %bb.780:
	v_cndmask_b32_e64 v2, 0, 1.0, s[2:3]
	v_mov_b32_e32 v3, 0
	global_store_dwordx2 v[0:1], v[2:3], off
.LBB191_781:
	s_mov_b64 s[10:11], 0
.LBB191_782:
	s_andn2_b64 vcc, exec, s[10:11]
	s_cbranch_vccnz .LBB191_784
; %bb.783:
	v_cndmask_b32_e64 v2, 0, 1.0, s[2:3]
	v_cvt_f16_f32_e32 v2, v2
	global_store_dword v[0:1], v2, off
.LBB191_784:
	s_mov_b64 s[10:11], 0
.LBB191_785:
	s_andn2_b64 vcc, exec, s[10:11]
	s_cbranch_vccnz .LBB191_794
; %bb.786:
	s_cmp_lt_i32 s12, 6
	s_mov_b64 s[10:11], -1
	s_cbranch_scc1 .LBB191_792
; %bb.787:
	s_cmp_gt_i32 s12, 6
	s_cbranch_scc0 .LBB191_789
; %bb.788:
	v_cndmask_b32_e64 v2, 0, 1, s[2:3]
	v_cvt_f64_u32_e32 v[2:3], v2
	s_mov_b64 s[10:11], 0
	global_store_dwordx2 v[0:1], v[2:3], off
.LBB191_789:
	s_andn2_b64 vcc, exec, s[10:11]
	s_cbranch_vccnz .LBB191_791
; %bb.790:
	v_cndmask_b32_e64 v2, 0, 1.0, s[2:3]
	global_store_dword v[0:1], v2, off
.LBB191_791:
	s_mov_b64 s[10:11], 0
.LBB191_792:
	s_andn2_b64 vcc, exec, s[10:11]
	s_cbranch_vccnz .LBB191_794
; %bb.793:
	v_cndmask_b32_e64 v2, 0, 1.0, s[2:3]
	v_cvt_f16_f32_e32 v2, v2
	global_store_short v[0:1], v2, off
.LBB191_794:
	s_mov_b64 s[10:11], 0
.LBB191_795:
	s_andn2_b64 vcc, exec, s[10:11]
	s_cbranch_vccnz .LBB191_811
; %bb.796:
	s_cmp_lt_i32 s12, 2
	s_mov_b64 s[10:11], -1
	s_cbranch_scc1 .LBB191_806
; %bb.797:
	s_cmp_lt_i32 s12, 3
	s_cbranch_scc1 .LBB191_803
; %bb.798:
	s_cmp_gt_i32 s12, 3
	s_cbranch_scc0 .LBB191_800
; %bb.799:
	s_mov_b32 s10, 0
	v_cndmask_b32_e64 v2, 0, 1, s[2:3]
	v_mov_b32_e32 v3, s10
	s_mov_b64 s[10:11], 0
	global_store_dwordx2 v[0:1], v[2:3], off
.LBB191_800:
	s_andn2_b64 vcc, exec, s[10:11]
	s_cbranch_vccnz .LBB191_802
; %bb.801:
	v_cndmask_b32_e64 v2, 0, 1, s[2:3]
	global_store_dword v[0:1], v2, off
.LBB191_802:
	s_mov_b64 s[10:11], 0
.LBB191_803:
	s_andn2_b64 vcc, exec, s[10:11]
	s_cbranch_vccnz .LBB191_805
; %bb.804:
	v_cndmask_b32_e64 v2, 0, 1, s[2:3]
	global_store_short v[0:1], v2, off
.LBB191_805:
	s_mov_b64 s[10:11], 0
.LBB191_806:
	s_andn2_b64 vcc, exec, s[10:11]
	s_cbranch_vccnz .LBB191_811
; %bb.807:
	s_mov_b64 s[10:11], -1
	s_cmp_gt_i32 s12, 0
	v_cndmask_b32_e64 v2, 0, 1, s[2:3]
	s_cbranch_scc0 .LBB191_809
; %bb.808:
	s_mov_b64 s[10:11], 0
	global_store_byte v[0:1], v2, off
.LBB191_809:
	s_andn2_b64 vcc, exec, s[10:11]
	s_cbranch_vccnz .LBB191_811
; %bb.810:
	global_store_byte v[0:1], v2, off
.LBB191_811:
	s_mov_b64 s[10:11], -1
.LBB191_812:
	s_andn2_b64 vcc, exec, s[10:11]
	s_cbranch_vccnz .LBB191_814
; %bb.813:
	v_add_u32_e32 v8, 0x80, v8
	s_mov_b64 s[10:11], -1
	s_branch .LBB191_816
.LBB191_814:
	s_mov_b64 s[10:11], 0
.LBB191_815:
                                        ; implicit-def: $vgpr8
.LBB191_816:
	s_andn2_b64 s[2:3], s[68:69], exec
	s_and_b64 s[6:7], s[6:7], exec
	s_or_b64 s[6:7], s[2:3], s[6:7]
	s_andn2_b64 s[2:3], s[66:67], exec
	s_and_b64 s[8:9], s[8:9], exec
	s_or_b64 s[2:3], s[2:3], s[8:9]
	s_orn2_b64 s[14:15], s[10:11], exec
.LBB191_817:
	s_or_b64 exec, exec, s[72:73]
	s_mov_b64 s[10:11], 0
	s_mov_b64 s[8:9], 0
	;; [unrolled: 1-line block ×3, first 2 shown]
                                        ; implicit-def: $vgpr1_vgpr2
                                        ; implicit-def: $vgpr0
                                        ; implicit-def: $vgpr3
	s_and_saveexec_b64 s[72:73], s[14:15]
	s_cbranch_execz .LBB191_916
; %bb.818:
	v_cmp_gt_i32_e32 vcc, s74, v8
	s_mov_b64 s[14:15], s[2:3]
	s_mov_b64 s[16:17], 0
                                        ; implicit-def: $vgpr1_vgpr2
                                        ; implicit-def: $vgpr0
                                        ; implicit-def: $vgpr3
	s_and_saveexec_b64 s[74:75], vcc
	s_cbranch_execz .LBB191_915
; %bb.819:
	s_andn2_b64 vcc, exec, s[46:47]
	s_cbranch_vccnz .LBB191_824
; %bb.820:
	s_andn2_b64 vcc, exec, s[58:59]
	s_cbranch_vccnz .LBB191_825
; %bb.821:
	s_add_i32 s79, s79, 1
	s_cmp_eq_u32 s76, 2
	s_cbranch_scc1 .LBB191_826
; %bb.822:
	s_and_b32 s50, s79, 28
	v_mov_b32_e32 v2, 0
	s_mov_b32 s80, 0
	s_mov_b64 s[58:59], s[34:35]
	v_mov_b32_e32 v0, 0
	v_mov_b32_e32 v1, v8
.LBB191_823:                            ; =>This Inner Loop Header: Depth=1
	s_load_dwordx8 s[16:23], s[58:59], 0x4
	s_load_dwordx4 s[40:43], s[58:59], 0x24
	s_load_dwordx8 s[8:15], s[56:57], 0x0
	s_add_u32 s58, s58, 48
	s_addc_u32 s59, s59, 0
	s_waitcnt vmcnt(0) lgkmcnt(0)
	v_mul_hi_u32 v3, s17, v1
	s_add_i32 s80, s80, 4
	s_add_u32 s56, s56, 32
	s_addc_u32 s57, s57, 0
	v_add_u32_e32 v3, v1, v3
	v_lshrrev_b32_e32 v3, s18, v3
	v_mul_lo_u32 v4, v3, s16
	v_mul_hi_u32 v5, s20, v3
	s_cmp_eq_u32 s50, s80
	v_sub_u32_e32 v1, v1, v4
	v_add_u32_e32 v4, v3, v5
	v_mul_lo_u32 v5, v1, s8
	v_mul_lo_u32 v6, v1, s9
	v_lshrrev_b32_e32 v1, s21, v4
	v_mul_lo_u32 v4, v1, s19
	v_mul_hi_u32 v7, s23, v1
	v_sub_u32_e32 v3, v3, v4
	v_add_u32_e32 v4, v1, v7
	v_lshrrev_b32_e32 v4, s40, v4
	v_mul_hi_u32 v9, s42, v4
	v_mul_lo_u32 v10, v4, s22
	v_mul_lo_u32 v7, v3, s10
	;; [unrolled: 1-line block ×3, first 2 shown]
	v_sub_u32_e32 v10, v1, v10
	v_add_u32_e32 v1, v4, v9
	v_lshrrev_b32_e32 v1, s43, v1
	v_mul_lo_u32 v9, v1, s41
	v_mul_lo_u32 v11, v10, s12
	;; [unrolled: 1-line block ×3, first 2 shown]
	v_add3_u32 v0, v5, v0, v7
	v_sub_u32_e32 v4, v4, v9
	v_mul_lo_u32 v9, v4, s14
	v_mul_lo_u32 v4, v4, s15
	v_add3_u32 v2, v6, v2, v3
	v_add3_u32 v0, v11, v0, v9
	;; [unrolled: 1-line block ×3, first 2 shown]
	s_cbranch_scc0 .LBB191_823
	s_branch .LBB191_827
.LBB191_824:
	s_mov_b64 s[8:9], -1
                                        ; implicit-def: $vgpr0
                                        ; implicit-def: $vgpr2
	s_branch .LBB191_831
.LBB191_825:
	v_mov_b32_e32 v0, 0
	v_mov_b32_e32 v2, 0
	s_branch .LBB191_830
.LBB191_826:
	s_mov_b32 s50, 0
	v_mov_b32_e32 v0, 0
	v_mov_b32_e32 v2, 0
	;; [unrolled: 1-line block ×3, first 2 shown]
.LBB191_827:
	s_and_b32 s12, s79, 3
	s_cmp_eq_u32 s12, 0
	s_cbranch_scc1 .LBB191_830
; %bb.828:
	s_lshl_b32 s8, s50, 3
	s_add_u32 s8, s34, s8
	s_addc_u32 s9, s35, 0
	s_add_u32 s8, s8, 0xc4
	s_addc_u32 s9, s9, 0
	s_mul_i32 s10, s50, 12
	s_add_u32 s10, s34, s10
	s_addc_u32 s11, s35, 0
.LBB191_829:                            ; =>This Inner Loop Header: Depth=1
	s_load_dwordx2 s[14:15], s[10:11], 0x4
	s_load_dword s13, s[10:11], 0xc
	s_load_dwordx2 s[16:17], s[8:9], 0x0
	s_add_u32 s10, s10, 12
	s_addc_u32 s11, s11, 0
	s_waitcnt vmcnt(0) lgkmcnt(0)
	v_mul_hi_u32 v3, s15, v1
	s_add_u32 s8, s8, 8
	s_addc_u32 s9, s9, 0
	s_add_i32 s12, s12, -1
	v_add_u32_e32 v3, v1, v3
	v_lshrrev_b32_e32 v4, s13, v3
	v_mul_lo_u32 v3, v4, s14
	s_cmp_lg_u32 s12, 0
	v_sub_u32_e32 v3, v1, v3
	v_mad_u64_u32 v[0:1], s[14:15], v3, s16, v[0:1]
	v_mad_u64_u32 v[2:3], s[14:15], v3, s17, v[2:3]
	v_mov_b32_e32 v1, v4
	s_cbranch_scc1 .LBB191_829
.LBB191_830:
	s_mov_b64 s[8:9], 0
.LBB191_831:
	s_andn2_b64 vcc, exec, s[8:9]
	s_cbranch_vccnz .LBB191_834
; %bb.832:
	v_mul_hi_u32 v0, s29, v8
	s_andn2_b64 vcc, exec, s[54:55]
	v_add_u32_e32 v0, v8, v0
	v_lshrrev_b32_e32 v1, s30, v0
	v_mul_lo_u32 v0, v1, s28
	v_sub_u32_e32 v2, v8, v0
	v_mul_lo_u32 v0, v2, s36
	v_mul_lo_u32 v2, v2, s37
	s_cbranch_vccnz .LBB191_834
; %bb.833:
	s_waitcnt vmcnt(0)
	v_mul_hi_u32 v3, s52, v1
	v_add_u32_e32 v3, v1, v3
	v_lshrrev_b32_e32 v3, s53, v3
	v_mul_lo_u32 v3, v3, s31
	v_sub_u32_e32 v3, v1, v3
	v_mad_u64_u32 v[0:1], s[8:9], v3, s38, v[0:1]
	v_mad_u64_u32 v[2:3], s[8:9], v3, s39, v[2:3]
.LBB191_834:
	s_waitcnt vmcnt(0)
	v_mov_b32_e32 v3, s27
	s_and_b32 s18, 0xffff, s78
	v_add_co_u32_e32 v1, vcc, s26, v2
	s_cmp_lt_i32 s18, 11
	v_addc_co_u32_e32 v2, vcc, 0, v3, vcc
	s_cbranch_scc1 .LBB191_841
; %bb.835:
	s_cmp_gt_i32 s18, 25
	s_mov_b64 s[10:11], 0
	s_cbranch_scc0 .LBB191_842
; %bb.836:
	s_cmp_gt_i32 s18, 28
	s_cbranch_scc0 .LBB191_843
; %bb.837:
	s_cmp_gt_i32 s18, 43
	s_cbranch_scc0 .LBB191_844
; %bb.838:
	s_cmp_gt_i32 s18, 45
	s_cbranch_scc0 .LBB191_847
; %bb.839:
	s_cmp_eq_u32 s18, 46
	s_mov_b64 s[14:15], 0
	s_cbranch_scc0 .LBB191_850
; %bb.840:
	global_load_dword v3, v[1:2], off
	s_mov_b64 s[8:9], 0
	s_mov_b64 s[12:13], -1
	s_waitcnt vmcnt(0)
	v_lshlrev_b32_e32 v3, 16, v3
	v_cvt_f16_f32_e32 v3, v3
	s_branch .LBB191_851
.LBB191_841:
	s_mov_b64 s[14:15], -1
	s_mov_b64 s[12:13], 0
	s_mov_b64 s[10:11], 0
	s_mov_b64 s[8:9], s[2:3]
                                        ; implicit-def: $vgpr3
	s_branch .LBB191_914
.LBB191_842:
	s_mov_b64 s[14:15], -1
	s_mov_b64 s[12:13], 0
	s_mov_b64 s[8:9], s[2:3]
                                        ; implicit-def: $vgpr3
	s_branch .LBB191_880
.LBB191_843:
	s_mov_b64 s[14:15], -1
	s_mov_b64 s[12:13], 0
	s_mov_b64 s[8:9], s[2:3]
                                        ; implicit-def: $vgpr3
	s_branch .LBB191_861
.LBB191_844:
	s_mov_b64 s[14:15], -1
	s_mov_b64 s[12:13], 0
	s_mov_b64 s[8:9], s[2:3]
                                        ; implicit-def: $vgpr3
	s_branch .LBB191_856
.LBB191_845:
	s_andn2_saveexec_b64 s[14:15], s[14:15]
	s_cbranch_execz .LBB191_725
.LBB191_846:
	v_add_f32_e32 v2, 0x46000000, v3
	v_and_b32_e32 v2, 0xff, v2
	v_cmp_ne_u32_e32 vcc, 0, v2
	s_andn2_b64 s[12:13], s[12:13], exec
	s_and_b64 s[18:19], vcc, exec
	s_or_b64 s[12:13], s[12:13], s[18:19]
	s_or_b64 exec, exec, s[14:15]
	v_mov_b32_e32 v4, 0
	s_and_saveexec_b64 s[14:15], s[12:13]
	s_cbranch_execnz .LBB191_726
	s_branch .LBB191_727
.LBB191_847:
	s_mov_b64 s[14:15], -1
	s_mov_b64 s[12:13], 0
	s_mov_b64 s[8:9], s[2:3]
                                        ; implicit-def: $vgpr3
	s_branch .LBB191_851
.LBB191_848:
	s_andn2_saveexec_b64 s[14:15], s[14:15]
	s_cbranch_execz .LBB191_738
.LBB191_849:
	v_add_f32_e32 v2, 0x42800000, v3
	v_and_b32_e32 v2, 0xff, v2
	v_cmp_ne_u32_e32 vcc, 0, v2
	s_andn2_b64 s[12:13], s[12:13], exec
	s_and_b64 s[18:19], vcc, exec
	s_or_b64 s[12:13], s[12:13], s[18:19]
	s_or_b64 exec, exec, s[14:15]
	v_mov_b32_e32 v4, 0
	s_and_saveexec_b64 s[14:15], s[12:13]
	s_cbranch_execnz .LBB191_739
	s_branch .LBB191_740
.LBB191_850:
	s_mov_b64 s[8:9], -1
                                        ; implicit-def: $vgpr3
	s_mov_b64 s[12:13], 0
.LBB191_851:
	s_and_b64 vcc, exec, s[14:15]
	s_cbranch_vccz .LBB191_855
; %bb.852:
	s_cmp_eq_u32 s18, 44
	s_cbranch_scc0 .LBB191_854
; %bb.853:
	global_load_ubyte v3, v[1:2], off
	s_movk_i32 s12, 0xff
	v_mov_b32_e32 v5, 0x7e00
	s_mov_b64 s[8:9], 0
	s_waitcnt vmcnt(0)
	v_lshlrev_b32_e32 v4, 23, v3
	v_cvt_f16_f32_e32 v4, v4
	v_cmp_ne_u32_e32 vcc, s12, v3
	s_mov_b64 s[12:13], -1
	v_cndmask_b32_e32 v4, v5, v4, vcc
	v_cmp_ne_u32_e32 vcc, 0, v3
	v_cndmask_b32_e32 v3, 0, v4, vcc
	s_branch .LBB191_855
.LBB191_854:
	s_mov_b64 s[8:9], -1
                                        ; implicit-def: $vgpr3
.LBB191_855:
	s_mov_b64 s[14:15], 0
.LBB191_856:
	s_and_b64 vcc, exec, s[14:15]
	s_cbranch_vccz .LBB191_860
; %bb.857:
	s_cmp_eq_u32 s18, 29
	s_cbranch_scc0 .LBB191_859
; %bb.858:
	global_load_dwordx2 v[3:4], v[1:2], off
	s_mov_b64 s[8:9], 0
	s_mov_b64 s[12:13], -1
	s_mov_b64 s[14:15], 0
	s_waitcnt vmcnt(0)
	v_ffbh_u32_e32 v5, v4
	v_min_u32_e32 v5, 32, v5
	v_lshlrev_b64 v[3:4], v5, v[3:4]
	v_min_u32_e32 v3, 1, v3
	v_or_b32_e32 v3, v4, v3
	v_cvt_f32_u32_e32 v3, v3
	v_sub_u32_e32 v4, 32, v5
	v_ldexp_f32 v3, v3, v4
	v_cvt_f16_f32_e32 v3, v3
	s_branch .LBB191_861
.LBB191_859:
	s_mov_b64 s[8:9], -1
                                        ; implicit-def: $vgpr3
.LBB191_860:
	s_mov_b64 s[14:15], 0
.LBB191_861:
	s_and_b64 vcc, exec, s[14:15]
	s_cbranch_vccz .LBB191_879
; %bb.862:
	s_cmp_lt_i32 s18, 27
	s_cbranch_scc1 .LBB191_865
; %bb.863:
	s_cmp_gt_i32 s18, 27
	s_cbranch_scc0 .LBB191_866
; %bb.864:
	global_load_dword v3, v[1:2], off
	s_mov_b64 s[12:13], 0
	s_waitcnt vmcnt(0)
	v_cvt_f32_u32_e32 v3, v3
	v_cvt_f16_f32_e32 v3, v3
	s_branch .LBB191_867
.LBB191_865:
	s_mov_b64 s[12:13], -1
                                        ; implicit-def: $vgpr3
	s_branch .LBB191_870
.LBB191_866:
	s_mov_b64 s[12:13], -1
                                        ; implicit-def: $vgpr3
.LBB191_867:
	s_andn2_b64 vcc, exec, s[12:13]
	s_cbranch_vccnz .LBB191_869
; %bb.868:
	global_load_ushort v3, v[1:2], off
	s_waitcnt vmcnt(0)
	v_cvt_f16_u16_e32 v3, v3
.LBB191_869:
	s_mov_b64 s[12:13], 0
.LBB191_870:
	s_andn2_b64 vcc, exec, s[12:13]
	s_cbranch_vccnz .LBB191_878
; %bb.871:
	global_load_ubyte v4, v[1:2], off
	s_movk_i32 s12, 0x7f
	s_waitcnt vmcnt(0)
	v_cmp_lt_i16_e32 vcc, s12, v4
	s_mov_b64 s[12:13], 0
	s_and_saveexec_b64 s[14:15], vcc
	s_xor_b64 s[14:15], exec, s[14:15]
	s_cbranch_execz .LBB191_892
; %bb.872:
	s_movk_i32 s12, 0x80
	v_cmp_eq_u16_e32 vcc, s12, v4
	s_mov_b64 s[12:13], -1
	s_and_saveexec_b64 s[16:17], vcc
; %bb.873:
	s_xor_b64 s[12:13], exec, -1
; %bb.874:
	s_or_b64 exec, exec, s[16:17]
	s_and_b64 s[12:13], s[12:13], exec
	s_or_saveexec_b64 s[14:15], s[14:15]
	v_mov_b32_e32 v3, 0x7e00
	s_xor_b64 exec, exec, s[14:15]
	s_cbranch_execnz .LBB191_893
.LBB191_875:
	s_or_b64 exec, exec, s[14:15]
	s_and_saveexec_b64 s[14:15], s[12:13]
	s_cbranch_execz .LBB191_877
.LBB191_876:
	v_lshlrev_b32_e32 v3, 24, v4
	v_and_b32_e32 v4, 0xffff, v4
	v_and_b32_e32 v5, 7, v4
	v_ffbh_u32_e32 v7, v5
	v_min_u32_e32 v7, 32, v7
	v_subrev_u32_e32 v8, 28, v7
	v_bfe_u32 v6, v4, 3, 4
	v_lshlrev_b32_e32 v4, v8, v4
	v_sub_u32_e32 v7, 29, v7
	v_and_b32_e32 v4, 7, v4
	v_cmp_eq_u32_e32 vcc, 0, v6
	v_cndmask_b32_e32 v6, v6, v7, vcc
	v_cndmask_b32_e32 v4, v5, v4, vcc
	v_mov_b32_e32 v5, 0x3b800000
	v_lshlrev_b32_e32 v4, 20, v4
	v_and_b32_e32 v3, 0x80000000, v3
	v_lshl_add_u32 v5, v6, 23, v5
	v_or3_b32 v3, v3, v5, v4
	v_cvt_f16_f32_e32 v3, v3
.LBB191_877:
	s_or_b64 exec, exec, s[14:15]
.LBB191_878:
	s_mov_b64 s[12:13], -1
.LBB191_879:
	s_mov_b64 s[14:15], 0
.LBB191_880:
	s_and_b64 vcc, exec, s[14:15]
	s_cbranch_vccz .LBB191_913
; %bb.881:
	s_cmp_gt_i32 s18, 22
	s_cbranch_scc0 .LBB191_891
; %bb.882:
	s_cmp_lt_i32 s18, 24
	s_cbranch_scc1 .LBB191_894
; %bb.883:
	s_cmp_gt_i32 s18, 24
	s_cbranch_scc0 .LBB191_895
; %bb.884:
	global_load_ubyte v4, v[1:2], off
	s_movk_i32 s10, 0x7f
	s_waitcnt vmcnt(0)
	v_cmp_lt_i16_e32 vcc, s10, v4
	s_mov_b64 s[10:11], 0
	s_and_saveexec_b64 s[12:13], vcc
	s_xor_b64 s[12:13], exec, s[12:13]
	s_cbranch_execz .LBB191_907
; %bb.885:
	s_movk_i32 s10, 0x80
	v_cmp_eq_u16_e32 vcc, s10, v4
	s_mov_b64 s[10:11], -1
	s_and_saveexec_b64 s[14:15], vcc
; %bb.886:
	s_xor_b64 s[10:11], exec, -1
; %bb.887:
	s_or_b64 exec, exec, s[14:15]
	s_and_b64 s[10:11], s[10:11], exec
	s_or_saveexec_b64 s[12:13], s[12:13]
	v_mov_b32_e32 v3, 0x7e00
	s_xor_b64 exec, exec, s[12:13]
	s_cbranch_execnz .LBB191_908
.LBB191_888:
	s_or_b64 exec, exec, s[12:13]
	s_and_saveexec_b64 s[12:13], s[10:11]
	s_cbranch_execz .LBB191_890
.LBB191_889:
	v_lshlrev_b32_e32 v3, 24, v4
	v_and_b32_e32 v4, 0xffff, v4
	v_and_b32_e32 v5, 3, v4
	v_ffbh_u32_e32 v7, v5
	v_min_u32_e32 v7, 32, v7
	v_subrev_u32_e32 v8, 29, v7
	v_bfe_u32 v6, v4, 2, 5
	v_lshlrev_b32_e32 v4, v8, v4
	v_sub_u32_e32 v7, 30, v7
	v_and_b32_e32 v4, 3, v4
	v_cmp_eq_u32_e32 vcc, 0, v6
	v_cndmask_b32_e32 v6, v6, v7, vcc
	v_cndmask_b32_e32 v4, v5, v4, vcc
	v_mov_b32_e32 v5, 0x37800000
	v_lshlrev_b32_e32 v4, 21, v4
	v_and_b32_e32 v3, 0x80000000, v3
	v_lshl_add_u32 v5, v6, 23, v5
	v_or3_b32 v3, v3, v5, v4
	v_cvt_f16_f32_e32 v3, v3
.LBB191_890:
	s_or_b64 exec, exec, s[12:13]
	s_mov_b64 s[10:11], 0
	s_branch .LBB191_896
.LBB191_891:
	s_mov_b64 s[10:11], -1
                                        ; implicit-def: $vgpr3
	s_branch .LBB191_902
.LBB191_892:
	s_or_saveexec_b64 s[14:15], s[14:15]
	v_mov_b32_e32 v3, 0x7e00
	s_xor_b64 exec, exec, s[14:15]
	s_cbranch_execz .LBB191_875
.LBB191_893:
	v_cmp_ne_u16_e32 vcc, 0, v4
	s_andn2_b64 s[12:13], s[12:13], exec
	s_and_b64 s[16:17], vcc, exec
	s_or_b64 s[12:13], s[12:13], s[16:17]
	v_mov_b32_e32 v3, v4
	s_or_b64 exec, exec, s[14:15]
	s_and_saveexec_b64 s[14:15], s[12:13]
	s_cbranch_execnz .LBB191_876
	s_branch .LBB191_877
.LBB191_894:
	s_mov_b64 s[10:11], -1
                                        ; implicit-def: $vgpr3
	s_branch .LBB191_899
.LBB191_895:
	s_mov_b64 s[10:11], -1
                                        ; implicit-def: $vgpr3
.LBB191_896:
	s_and_b64 vcc, exec, s[10:11]
	s_cbranch_vccz .LBB191_898
; %bb.897:
	global_load_ubyte v3, v[1:2], off
	s_mov_b32 s10, 0x7f800000
	s_waitcnt vmcnt(0)
	v_lshlrev_b32_e32 v3, 24, v3
	v_and_b32_e32 v4, 0x7f000000, v3
	v_ffbh_u32_e32 v5, v4
	v_min_u32_e32 v5, 32, v5
	v_sub_u32_e64 v5, v5, 4 clamp
	v_lshlrev_b32_e32 v7, v5, v4
	v_lshlrev_b32_e32 v5, 23, v5
	v_lshrrev_b32_e32 v7, 4, v7
	v_add_u32_e32 v6, 0x1000000, v4
	v_sub_u32_e32 v5, v7, v5
	v_ashrrev_i32_e32 v6, 8, v6
	v_add_u32_e32 v5, 0x3c000000, v5
	v_and_or_b32 v5, v6, s10, v5
	v_cmp_ne_u32_e32 vcc, 0, v4
	v_cndmask_b32_e32 v4, 0, v5, vcc
	s_brev_b32 s10, 1
	v_and_or_b32 v3, v3, s10, v4
	v_cvt_f16_f32_e32 v3, v3
.LBB191_898:
	s_mov_b64 s[10:11], 0
.LBB191_899:
	s_andn2_b64 vcc, exec, s[10:11]
	s_cbranch_vccnz .LBB191_901
; %bb.900:
	global_load_ubyte v3, v[1:2], off
	s_movk_i32 s10, 0x7f00
	s_brev_b32 s11, 16
	s_waitcnt vmcnt(0)
	v_lshlrev_b16_e32 v4, 8, v3
	v_lshlrev_b32_e32 v3, 25, v3
	v_lshrrev_b32_e32 v5, 4, v3
	v_and_or_b32 v6, v4, s10, 0.5
	v_or_b32_e32 v5, 0x70000000, v5
	v_add_f32_e32 v6, -0.5, v6
	v_mul_f32_e32 v5, 0x7800000, v5
	v_cmp_gt_u32_e32 vcc, s11, v3
	v_bfe_i32 v4, v4, 0, 16
	v_cndmask_b32_e32 v3, v5, v6, vcc
	s_brev_b32 s10, 1
	v_and_or_b32 v3, v4, s10, v3
	v_cvt_f16_f32_e32 v3, v3
.LBB191_901:
	s_mov_b64 s[10:11], 0
	s_mov_b64 s[12:13], -1
.LBB191_902:
	s_andn2_b64 vcc, exec, s[10:11]
	s_mov_b64 s[10:11], 0
	s_cbranch_vccnz .LBB191_913
; %bb.903:
	s_cmp_gt_i32 s18, 14
	s_cbranch_scc0 .LBB191_906
; %bb.904:
	s_cmp_eq_u32 s18, 15
	s_cbranch_scc0 .LBB191_909
; %bb.905:
	global_load_ushort v3, v[1:2], off
	s_mov_b64 s[8:9], 0
	s_mov_b64 s[12:13], -1
	s_waitcnt vmcnt(0)
	v_lshlrev_b32_e32 v3, 16, v3
	v_cvt_f16_f32_e32 v3, v3
	s_branch .LBB191_910
.LBB191_906:
	s_mov_b64 s[14:15], -1
                                        ; implicit-def: $vgpr3
	s_branch .LBB191_911
.LBB191_907:
	s_or_saveexec_b64 s[12:13], s[12:13]
	v_mov_b32_e32 v3, 0x7e00
	s_xor_b64 exec, exec, s[12:13]
	s_cbranch_execz .LBB191_888
.LBB191_908:
	v_cmp_ne_u16_e32 vcc, 0, v4
	s_andn2_b64 s[10:11], s[10:11], exec
	s_and_b64 s[14:15], vcc, exec
	s_or_b64 s[10:11], s[10:11], s[14:15]
	v_mov_b32_e32 v3, v4
	s_or_b64 exec, exec, s[12:13]
	s_and_saveexec_b64 s[12:13], s[10:11]
	s_cbranch_execnz .LBB191_889
	s_branch .LBB191_890
.LBB191_909:
	s_mov_b64 s[8:9], -1
                                        ; implicit-def: $vgpr3
.LBB191_910:
	s_mov_b64 s[14:15], 0
.LBB191_911:
	s_and_b64 vcc, exec, s[14:15]
	s_cbranch_vccz .LBB191_913
; %bb.912:
	s_cmp_lg_u32 s18, 11
	s_cselect_b64 s[14:15], -1, 0
	s_andn2_b64 s[8:9], s[8:9], exec
	s_and_b64 s[14:15], s[14:15], exec
	s_mov_b64 s[10:11], -1
	s_or_b64 s[8:9], s[8:9], s[14:15]
.LBB191_913:
	s_mov_b64 s[14:15], 0
.LBB191_914:
	s_and_b64 s[16:17], s[14:15], exec
	s_andn2_b64 s[14:15], s[2:3], exec
	s_and_b64 s[8:9], s[8:9], exec
	s_and_b64 s[12:13], s[12:13], exec
	;; [unrolled: 1-line block ×3, first 2 shown]
	s_or_b64 s[14:15], s[14:15], s[8:9]
.LBB191_915:
	s_or_b64 exec, exec, s[74:75]
	s_andn2_b64 s[2:3], s[2:3], exec
	s_and_b64 s[14:15], s[14:15], exec
	s_and_b64 s[12:13], s[12:13], exec
	;; [unrolled: 1-line block ×4, first 2 shown]
	s_or_b64 s[2:3], s[2:3], s[14:15]
.LBB191_916:
	s_or_b64 exec, exec, s[72:73]
	s_andn2_b64 s[14:15], s[68:69], exec
	s_and_b64 s[6:7], s[6:7], exec
	s_or_b64 s[68:69], s[14:15], s[6:7]
	s_and_b64 s[6:7], s[10:11], exec
	s_andn2_b64 s[10:11], s[66:67], exec
	s_and_b64 s[2:3], s[2:3], exec
	s_and_b64 s[12:13], s[12:13], exec
	;; [unrolled: 1-line block ×3, first 2 shown]
	s_or_b64 s[66:67], s[10:11], s[2:3]
.LBB191_917:
	s_or_b64 exec, exec, s[70:71]
	s_andn2_b64 s[2:3], s[60:61], exec
	s_and_b64 s[10:11], s[68:69], exec
	s_or_b64 s[60:61], s[2:3], s[10:11]
	s_and_b64 s[68:69], s[6:7], exec
	s_andn2_b64 s[2:3], s[62:63], exec
	s_and_b64 s[6:7], s[66:67], exec
	s_and_b64 s[10:11], s[12:13], exec
	;; [unrolled: 1-line block ×3, first 2 shown]
	s_or_b64 s[62:63], s[2:3], s[6:7]
	s_or_b64 exec, exec, s[64:65]
	s_mov_b64 s[2:3], 0
	s_and_saveexec_b64 s[6:7], s[62:63]
	s_cbranch_execz .LBB191_274
.LBB191_918:
	s_mov_b64 s[2:3], exec
	s_andn2_b64 s[68:69], s[68:69], exec
	s_trap 2
	s_or_b64 exec, exec, s[6:7]
	s_and_saveexec_b64 s[6:7], s[68:69]
	s_xor_b64 s[6:7], exec, s[6:7]
	s_cbranch_execnz .LBB191_275
.LBB191_919:
	s_or_b64 exec, exec, s[6:7]
	s_and_saveexec_b64 s[6:7], s[8:9]
	s_cbranch_execz .LBB191_965
.LBB191_920:
	s_sext_i32_i16 s8, s78
	s_cmp_lt_i32 s8, 5
	s_cbranch_scc1 .LBB191_925
; %bb.921:
	s_cmp_lt_i32 s8, 8
	s_cbranch_scc1 .LBB191_926
; %bb.922:
	;; [unrolled: 3-line block ×3, first 2 shown]
	s_cmp_gt_i32 s8, 9
	s_cbranch_scc0 .LBB191_928
; %bb.924:
	global_load_dwordx2 v[3:4], v[1:2], off
	s_movk_i32 s8, 0x1ff
	s_movk_i32 s9, 0xffe
	v_mov_b32_e32 v5, 0x7c00
	v_mov_b32_e32 v6, 0x7e00
	s_movk_i32 s12, 0x40f
	s_mov_b32 s13, 0x8000
	s_waitcnt vmcnt(0)
	v_and_or_b32 v3, v4, s8, v3
	v_cmp_ne_u32_e32 vcc, 0, v3
	v_lshrrev_b32_e32 v7, 8, v4
	v_bfe_u32 v8, v4, 20, 11
	v_cndmask_b32_e64 v3, 0, 1, vcc
	v_sub_u32_e32 v9, 0x3f1, v8
	v_and_or_b32 v3, v7, s9, v3
	v_add_u32_e32 v8, 0xfffffc10, v8
	v_med3_i32 v7, v9, 0, 13
	v_or_b32_e32 v9, 0x1000, v3
	v_cmp_ne_u32_e32 vcc, 0, v3
	v_lshl_or_b32 v10, v8, 12, v3
	v_cndmask_b32_e32 v3, v5, v6, vcc
	v_lshrrev_b32_e32 v6, v7, v9
	v_lshlrev_b32_e32 v7, v7, v6
	v_cmp_ne_u32_e32 vcc, v7, v9
	v_cndmask_b32_e64 v7, 0, 1, vcc
	v_or_b32_e32 v6, v6, v7
	v_cmp_gt_i32_e32 vcc, 1, v8
	v_cndmask_b32_e32 v6, v10, v6, vcc
	v_and_b32_e32 v7, 7, v6
	v_cmp_lt_i32_e32 vcc, 5, v7
	v_cndmask_b32_e64 v9, 0, 1, vcc
	v_cmp_eq_u32_e32 vcc, 3, v7
	v_cndmask_b32_e64 v7, 0, 1, vcc
	v_lshrrev_b32_e32 v6, 2, v6
	v_or_b32_e32 v7, v7, v9
	v_add_u32_e32 v6, v6, v7
	v_cmp_gt_i32_e32 vcc, 31, v8
	v_cndmask_b32_e32 v5, v5, v6, vcc
	v_cmp_eq_u32_e32 vcc, s12, v8
	v_lshrrev_b32_e32 v4, 16, v4
	v_cndmask_b32_e32 v3, v5, v3, vcc
	v_and_or_b32 v3, v4, s13, v3
	s_mov_b64 s[8:9], 0
	s_branch .LBB191_929
.LBB191_925:
                                        ; implicit-def: $vgpr3
	s_branch .LBB191_946
.LBB191_926:
                                        ; implicit-def: $vgpr3
	s_branch .LBB191_935
.LBB191_927:
	s_mov_b64 s[8:9], -1
                                        ; implicit-def: $vgpr3
	s_branch .LBB191_932
.LBB191_928:
	s_mov_b64 s[8:9], -1
                                        ; implicit-def: $vgpr3
.LBB191_929:
	s_andn2_b64 vcc, exec, s[8:9]
	s_cbranch_vccnz .LBB191_931
; %bb.930:
	global_load_dword v3, v[1:2], off
	s_waitcnt vmcnt(0)
	v_cvt_f16_f32_e32 v3, v3
.LBB191_931:
	s_mov_b64 s[8:9], 0
.LBB191_932:
	s_andn2_b64 vcc, exec, s[8:9]
	s_cbranch_vccnz .LBB191_934
; %bb.933:
	global_load_dword v3, v[1:2], off
.LBB191_934:
	s_cbranch_execnz .LBB191_945
.LBB191_935:
	s_sext_i32_i16 s8, s78
	s_cmp_lt_i32 s8, 6
	s_cbranch_scc1 .LBB191_938
; %bb.936:
	s_cmp_gt_i32 s8, 6
	s_cbranch_scc0 .LBB191_939
; %bb.937:
	global_load_dwordx2 v[3:4], v[1:2], off
	s_movk_i32 s8, 0x1ff
	s_movk_i32 s9, 0xffe
	v_mov_b32_e32 v5, 0x7c00
	v_mov_b32_e32 v6, 0x7e00
	s_movk_i32 s12, 0x40f
	s_mov_b32 s13, 0x8000
	s_waitcnt vmcnt(0)
	v_and_or_b32 v3, v4, s8, v3
	v_cmp_ne_u32_e32 vcc, 0, v3
	v_lshrrev_b32_e32 v7, 8, v4
	v_bfe_u32 v8, v4, 20, 11
	v_cndmask_b32_e64 v3, 0, 1, vcc
	v_sub_u32_e32 v9, 0x3f1, v8
	v_and_or_b32 v3, v7, s9, v3
	v_add_u32_e32 v8, 0xfffffc10, v8
	v_med3_i32 v7, v9, 0, 13
	v_or_b32_e32 v9, 0x1000, v3
	v_cmp_ne_u32_e32 vcc, 0, v3
	v_lshl_or_b32 v10, v8, 12, v3
	v_cndmask_b32_e32 v3, v5, v6, vcc
	v_lshrrev_b32_e32 v6, v7, v9
	v_lshlrev_b32_e32 v7, v7, v6
	v_cmp_ne_u32_e32 vcc, v7, v9
	v_cndmask_b32_e64 v7, 0, 1, vcc
	v_or_b32_e32 v6, v6, v7
	v_cmp_gt_i32_e32 vcc, 1, v8
	v_cndmask_b32_e32 v6, v10, v6, vcc
	v_and_b32_e32 v7, 7, v6
	v_cmp_lt_i32_e32 vcc, 5, v7
	v_cndmask_b32_e64 v9, 0, 1, vcc
	v_cmp_eq_u32_e32 vcc, 3, v7
	v_cndmask_b32_e64 v7, 0, 1, vcc
	v_lshrrev_b32_e32 v6, 2, v6
	v_or_b32_e32 v7, v7, v9
	v_add_u32_e32 v6, v6, v7
	v_cmp_gt_i32_e32 vcc, 31, v8
	v_cndmask_b32_e32 v5, v5, v6, vcc
	v_cmp_eq_u32_e32 vcc, s12, v8
	v_lshrrev_b32_e32 v4, 16, v4
	v_cndmask_b32_e32 v3, v5, v3, vcc
	v_and_or_b32 v3, v4, s13, v3
	s_mov_b64 s[8:9], 0
	s_branch .LBB191_940
.LBB191_938:
	s_mov_b64 s[8:9], -1
                                        ; implicit-def: $vgpr3
	s_branch .LBB191_943
.LBB191_939:
	s_mov_b64 s[8:9], -1
                                        ; implicit-def: $vgpr3
.LBB191_940:
	s_andn2_b64 vcc, exec, s[8:9]
	s_cbranch_vccnz .LBB191_942
; %bb.941:
	global_load_dword v3, v[1:2], off
	s_waitcnt vmcnt(0)
	v_cvt_f16_f32_e32 v3, v3
.LBB191_942:
	s_mov_b64 s[8:9], 0
.LBB191_943:
	s_andn2_b64 vcc, exec, s[8:9]
	s_cbranch_vccnz .LBB191_945
; %bb.944:
	global_load_ushort v3, v[1:2], off
.LBB191_945:
	s_cbranch_execnz .LBB191_964
.LBB191_946:
	s_sext_i32_i16 s8, s78
	s_cmp_lt_i32 s8, 2
	s_cbranch_scc1 .LBB191_950
; %bb.947:
	s_cmp_lt_i32 s8, 3
	s_cbranch_scc1 .LBB191_951
; %bb.948:
	s_cmp_gt_i32 s8, 3
	s_cbranch_scc0 .LBB191_952
; %bb.949:
	global_load_dwordx2 v[3:4], v[1:2], off
	s_mov_b64 s[8:9], 0
	s_waitcnt vmcnt(0)
	v_xor_b32_e32 v6, v3, v4
	v_ffbh_i32_e32 v5, v4
	v_ashrrev_i32_e32 v6, 31, v6
	v_add_u32_e32 v5, -1, v5
	v_add_u32_e32 v6, 32, v6
	v_min_u32_e32 v5, v5, v6
	v_lshlrev_b64 v[3:4], v5, v[3:4]
	v_min_u32_e32 v3, 1, v3
	v_or_b32_e32 v3, v4, v3
	v_cvt_f32_i32_e32 v3, v3
	v_sub_u32_e32 v4, 32, v5
	v_ldexp_f32 v3, v3, v4
	v_cvt_f16_f32_e32 v3, v3
	s_branch .LBB191_953
.LBB191_950:
                                        ; implicit-def: $vgpr3
	s_branch .LBB191_959
.LBB191_951:
	s_mov_b64 s[8:9], -1
                                        ; implicit-def: $vgpr3
	s_branch .LBB191_956
.LBB191_952:
	s_mov_b64 s[8:9], -1
                                        ; implicit-def: $vgpr3
.LBB191_953:
	s_andn2_b64 vcc, exec, s[8:9]
	s_cbranch_vccnz .LBB191_955
; %bb.954:
	global_load_dword v3, v[1:2], off
	s_waitcnt vmcnt(0)
	v_cvt_f32_i32_e32 v3, v3
	v_cvt_f16_f32_e32 v3, v3
.LBB191_955:
	s_mov_b64 s[8:9], 0
.LBB191_956:
	s_andn2_b64 vcc, exec, s[8:9]
	s_cbranch_vccnz .LBB191_958
; %bb.957:
	global_load_ushort v3, v[1:2], off
	s_waitcnt vmcnt(0)
	v_cvt_f16_i16_e32 v3, v3
.LBB191_958:
	s_cbranch_execnz .LBB191_964
.LBB191_959:
	s_sext_i32_i16 s8, s78
	s_cmp_gt_i32 s8, 0
	s_cbranch_scc0 .LBB191_961
; %bb.960:
	global_load_sbyte v3, v[1:2], off
	s_mov_b64 s[8:9], 0
	s_waitcnt vmcnt(0)
	v_cvt_f16_i16_e32 v3, v3
	s_branch .LBB191_962
.LBB191_961:
	s_mov_b64 s[8:9], -1
                                        ; implicit-def: $vgpr3
.LBB191_962:
	s_andn2_b64 vcc, exec, s[8:9]
	s_cbranch_vccnz .LBB191_964
; %bb.963:
	global_load_ubyte v1, v[1:2], off
	s_waitcnt vmcnt(0)
	v_cvt_f16_u16_e32 v3, v1
.LBB191_964:
	s_or_b64 s[10:11], s[10:11], exec
.LBB191_965:
	s_or_b64 exec, exec, s[6:7]
	s_mov_b64 s[14:15], 0
	s_mov_b64 s[12:13], 0
                                        ; implicit-def: $sgpr6_sgpr7
                                        ; implicit-def: $sgpr18
                                        ; implicit-def: $vgpr1_vgpr2
	s_and_saveexec_b64 s[8:9], s[10:11]
	s_cbranch_execz .LBB191_1040
; %bb.966:
	s_waitcnt vmcnt(0)
	v_cmp_eq_f16_e32 vcc, s51, v3
	v_cndmask_b32_e64 v1, 0, 1, vcc
	v_cmp_neq_f16_e32 vcc, s51, v3
	v_cndmask_b32_e64 v2, 0, 1, vcc
	v_cndmask_b32_e64 v1, v2, v1, s[0:1]
	v_and_b32_e32 v1, 1, v1
	v_cmp_eq_u32_e64 s[6:7], 1, v1
	v_mov_b32_e32 v2, s25
	s_and_b32 s18, s77, 0xff
	v_add_co_u32_e32 v1, vcc, s24, v0
	s_cmp_lt_i32 s18, 11
	v_addc_co_u32_e32 v2, vcc, 0, v2, vcc
	s_cbranch_scc1 .LBB191_1043
; %bb.967:
	s_and_b32 s19, 0xffff, s18
	s_mov_b64 s[12:13], -1
	s_cmp_gt_i32 s19, 25
	s_mov_b64 s[0:1], s[60:61]
	s_cbranch_scc0 .LBB191_1000
; %bb.968:
	s_mov_b64 s[10:11], -1
	s_cmp_gt_i32 s19, 28
	s_mov_b64 s[0:1], s[60:61]
	s_cbranch_scc0 .LBB191_984
; %bb.969:
	s_cmp_gt_i32 s19, 43
	s_mov_b64 s[0:1], s[60:61]
	s_cbranch_scc0 .LBB191_980
; %bb.970:
	;; [unrolled: 4-line block ×3, first 2 shown]
	s_cmp_eq_u32 s19, 46
	s_mov_b64 s[0:1], -1
	s_cbranch_scc0 .LBB191_973
; %bb.972:
	v_cndmask_b32_e64 v0, 0, 1.0, s[6:7]
	v_bfe_u32 v3, v0, 16, 1
	s_movk_i32 s0, 0x7fff
	v_add3_u32 v0, v0, v3, s0
	v_lshrrev_b32_e32 v0, 16, v0
	global_store_dword v[1:2], v0, off
	s_mov_b64 s[0:1], 0
.LBB191_973:
	s_mov_b64 s[10:11], 0
.LBB191_974:
	s_and_b64 vcc, exec, s[10:11]
	s_cbranch_vccz .LBB191_979
; %bb.975:
	s_cmp_eq_u32 s19, 44
	s_mov_b64 s[0:1], -1
	s_cbranch_scc0 .LBB191_979
; %bb.976:
	v_cndmask_b32_e64 v3, 0, 1.0, s[6:7]
	v_lshrrev_b32_e32 v0, 23, v3
	s_movk_i32 s0, 0xff
	v_cmp_ne_u32_e32 vcc, s0, v0
	v_mov_b32_e32 v4, 0xff
	s_and_saveexec_b64 s[10:11], vcc
; %bb.977:
	s_mov_b32 s0, 0x3fffff
	v_and_b32_e32 v4, 0x400000, v3
	v_and_or_b32 v3, v3, s0, v0
	v_cmp_ne_u32_e32 vcc, 0, v4
	v_cmp_ne_u32_e64 s[0:1], 0, v3
	s_and_b64 s[0:1], vcc, s[0:1]
	v_cndmask_b32_e64 v3, 0, 1, s[0:1]
	v_add_u32_e32 v4, v0, v3
; %bb.978:
	s_or_b64 exec, exec, s[10:11]
	s_mov_b64 s[0:1], 0
	global_store_byte v[1:2], v4, off
.LBB191_979:
	s_mov_b64 s[10:11], 0
.LBB191_980:
	s_and_b64 vcc, exec, s[10:11]
	s_cbranch_vccz .LBB191_983
; %bb.981:
	s_cmp_eq_u32 s19, 29
	s_mov_b64 s[0:1], -1
	s_cbranch_scc0 .LBB191_983
; %bb.982:
	s_mov_b32 s0, 0
	v_cndmask_b32_e64 v3, 0, 1, s[6:7]
	v_mov_b32_e32 v4, s0
	global_store_dwordx2 v[1:2], v[3:4], off
	s_mov_b64 s[0:1], 0
.LBB191_983:
	s_mov_b64 s[10:11], 0
.LBB191_984:
	s_and_b64 vcc, exec, s[10:11]
	s_cbranch_vccz .LBB191_999
; %bb.985:
	s_cmp_lt_i32 s19, 27
	s_mov_b64 s[10:11], -1
	s_cbranch_scc1 .LBB191_991
; %bb.986:
	s_cmp_gt_i32 s19, 27
	s_cbranch_scc0 .LBB191_988
; %bb.987:
	v_cndmask_b32_e64 v0, 0, 1, s[6:7]
	s_mov_b64 s[10:11], 0
	global_store_dword v[1:2], v0, off
.LBB191_988:
	s_andn2_b64 vcc, exec, s[10:11]
	s_cbranch_vccnz .LBB191_990
; %bb.989:
	v_cndmask_b32_e64 v0, 0, 1, s[6:7]
	global_store_short v[1:2], v0, off
.LBB191_990:
	s_mov_b64 s[10:11], 0
.LBB191_991:
	s_andn2_b64 vcc, exec, s[10:11]
	s_cbranch_vccnz .LBB191_999
; %bb.992:
	v_cndmask_b32_e64 v3, 0, 1.0, s[6:7]
	s_mov_b32 s10, 0x43800000
	v_cmp_gt_u32_e32 vcc, s10, v3
	v_mov_b32_e32 v4, 0x80
	s_and_saveexec_b64 s[10:11], vcc
	s_cbranch_execz .LBB191_998
; %bb.993:
	s_mov_b32 s12, 0x3bffffff
	v_cmp_lt_u32_e32 vcc, s12, v3
	s_mov_b64 s[12:13], 0
                                        ; implicit-def: $vgpr0
	s_and_saveexec_b64 s[14:15], vcc
	s_xor_b64 s[14:15], exec, s[14:15]
	s_cbranch_execz .LBB191_1156
; %bb.994:
	v_bfe_u32 v0, v3, 20, 1
	s_mov_b32 s16, 0x487ffff
	v_add3_u32 v0, v3, v0, s16
	s_mov_b64 s[12:13], exec
	v_lshrrev_b32_e32 v0, 20, v0
                                        ; implicit-def: $vgpr3
	s_andn2_saveexec_b64 s[14:15], s[14:15]
	s_cbranch_execnz .LBB191_1157
.LBB191_995:
	s_or_b64 exec, exec, s[14:15]
	v_mov_b32_e32 v4, 0
	s_and_saveexec_b64 s[14:15], s[12:13]
.LBB191_996:
	v_mov_b32_e32 v4, v0
.LBB191_997:
	s_or_b64 exec, exec, s[14:15]
.LBB191_998:
	s_or_b64 exec, exec, s[10:11]
	global_store_byte v[1:2], v4, off
.LBB191_999:
	s_mov_b64 s[12:13], 0
.LBB191_1000:
	s_mov_b64 s[10:11], 0
	s_and_b64 vcc, exec, s[12:13]
	s_cbranch_vccz .LBB191_1044
; %bb.1001:
	s_cmp_gt_i32 s19, 22
	s_mov_b64 s[12:13], -1
	s_cbranch_scc0 .LBB191_1033
; %bb.1002:
	s_cmp_lt_i32 s19, 24
	s_cbranch_scc1 .LBB191_1022
; %bb.1003:
	s_cmp_gt_i32 s19, 24
	s_cbranch_scc0 .LBB191_1011
; %bb.1004:
	v_cndmask_b32_e64 v3, 0, 1.0, s[6:7]
	s_mov_b32 s12, 0x47800000
	v_cmp_gt_u32_e32 vcc, s12, v3
	v_mov_b32_e32 v4, 0x80
	s_and_saveexec_b64 s[12:13], vcc
	s_cbranch_execz .LBB191_1010
; %bb.1005:
	s_mov_b32 s14, 0x37ffffff
	v_cmp_lt_u32_e32 vcc, s14, v3
	s_mov_b64 s[14:15], 0
                                        ; implicit-def: $vgpr0
	s_and_saveexec_b64 s[16:17], vcc
	s_xor_b64 s[16:17], exec, s[16:17]
	s_cbranch_execz .LBB191_1281
; %bb.1006:
	v_bfe_u32 v0, v3, 21, 1
	s_mov_b32 s20, 0x88fffff
	v_add3_u32 v0, v3, v0, s20
	s_mov_b64 s[14:15], exec
	v_lshrrev_b32_e32 v0, 21, v0
                                        ; implicit-def: $vgpr3
	s_andn2_saveexec_b64 s[16:17], s[16:17]
	s_cbranch_execnz .LBB191_1282
.LBB191_1007:
	s_or_b64 exec, exec, s[16:17]
	v_mov_b32_e32 v4, 0
	s_and_saveexec_b64 s[16:17], s[14:15]
.LBB191_1008:
	v_mov_b32_e32 v4, v0
.LBB191_1009:
	s_or_b64 exec, exec, s[16:17]
.LBB191_1010:
	s_or_b64 exec, exec, s[12:13]
	s_mov_b64 s[12:13], 0
	global_store_byte v[1:2], v4, off
.LBB191_1011:
	s_and_b64 vcc, exec, s[12:13]
	s_cbranch_vccz .LBB191_1021
; %bb.1012:
	v_cndmask_b32_e64 v0, 0, 1.0, s[6:7]
	s_mov_b32 s12, 0x43f00000
	v_cmp_gt_u32_e32 vcc, s12, v0
                                        ; implicit-def: $vgpr3
	s_and_saveexec_b64 s[12:13], vcc
	s_xor_b64 s[12:13], exec, s[12:13]
	s_cbranch_execz .LBB191_1018
; %bb.1013:
	s_mov_b32 s14, 0x3c7fffff
	v_cmp_lt_u32_e32 vcc, s14, v0
                                        ; implicit-def: $vgpr3
	s_and_saveexec_b64 s[14:15], vcc
	s_xor_b64 s[14:15], exec, s[14:15]
; %bb.1014:
	v_bfe_u32 v3, v0, 20, 1
	s_mov_b32 s16, 0x407ffff
	v_add3_u32 v0, v0, v3, s16
	v_lshrrev_b32_e32 v3, 20, v0
	v_and_b32_e32 v0, 0xff00000, v0
	s_mov_b32 s16, 0x7f00000
	v_mov_b32_e32 v4, 0x7e
	v_cmp_ne_u32_e32 vcc, s16, v0
	v_cndmask_b32_e32 v3, v4, v3, vcc
                                        ; implicit-def: $vgpr0
; %bb.1015:
	s_andn2_saveexec_b64 s[14:15], s[14:15]
; %bb.1016:
	v_add_f32_e32 v3, 0x46800000, v0
; %bb.1017:
	s_or_b64 exec, exec, s[14:15]
                                        ; implicit-def: $vgpr0
.LBB191_1018:
	s_andn2_saveexec_b64 s[12:13], s[12:13]
; %bb.1019:
	s_mov_b32 s14, 0x7f800000
	v_mov_b32_e32 v3, 0x7e
	v_mov_b32_e32 v4, 0x7f
	v_cmp_lt_u32_e32 vcc, s14, v0
	v_cndmask_b32_e32 v3, v3, v4, vcc
; %bb.1020:
	s_or_b64 exec, exec, s[12:13]
	global_store_byte v[1:2], v3, off
.LBB191_1021:
	s_mov_b64 s[12:13], 0
.LBB191_1022:
	s_andn2_b64 vcc, exec, s[12:13]
	s_cbranch_vccnz .LBB191_1032
; %bb.1023:
	v_cndmask_b32_e64 v0, 0, 1.0, s[6:7]
	s_mov_b32 s12, 0x47800000
	v_cmp_gt_u32_e32 vcc, s12, v0
                                        ; implicit-def: $vgpr3
	s_and_saveexec_b64 s[12:13], vcc
	s_xor_b64 s[12:13], exec, s[12:13]
	s_cbranch_execz .LBB191_1029
; %bb.1024:
	s_mov_b32 s14, 0x387fffff
	v_cmp_lt_u32_e32 vcc, s14, v0
                                        ; implicit-def: $vgpr3
	s_and_saveexec_b64 s[14:15], vcc
	s_xor_b64 s[14:15], exec, s[14:15]
; %bb.1025:
	v_bfe_u32 v3, v0, 21, 1
	s_mov_b32 s16, 0x80fffff
	v_add3_u32 v0, v0, v3, s16
	v_lshrrev_b32_e32 v3, 21, v0
                                        ; implicit-def: $vgpr0
; %bb.1026:
	s_andn2_saveexec_b64 s[14:15], s[14:15]
; %bb.1027:
	v_add_f32_e32 v3, 0x43000000, v0
; %bb.1028:
	s_or_b64 exec, exec, s[14:15]
                                        ; implicit-def: $vgpr0
.LBB191_1029:
	s_andn2_saveexec_b64 s[12:13], s[12:13]
; %bb.1030:
	s_mov_b32 s14, 0x7f800000
	v_mov_b32_e32 v3, 0x7c
	v_mov_b32_e32 v4, 0x7f
	v_cmp_lt_u32_e32 vcc, s14, v0
	v_cndmask_b32_e32 v3, v3, v4, vcc
; %bb.1031:
	s_or_b64 exec, exec, s[12:13]
	global_store_byte v[1:2], v3, off
.LBB191_1032:
	s_mov_b64 s[12:13], 0
.LBB191_1033:
	s_andn2_b64 vcc, exec, s[12:13]
	s_mov_b64 s[14:15], 0
	s_cbranch_vccnz .LBB191_1045
; %bb.1034:
	s_cmp_gt_i32 s19, 14
	s_mov_b64 s[12:13], -1
	s_cbranch_scc0 .LBB191_1038
; %bb.1035:
	s_cmp_eq_u32 s19, 15
	s_mov_b64 s[0:1], -1
	s_cbranch_scc0 .LBB191_1037
; %bb.1036:
	v_cndmask_b32_e64 v0, 0, 1.0, s[6:7]
	v_bfe_u32 v3, v0, 16, 1
	s_movk_i32 s0, 0x7fff
	v_add3_u32 v0, v0, v3, s0
	global_store_short_d16_hi v[1:2], v0, off
	s_mov_b64 s[0:1], 0
.LBB191_1037:
	s_mov_b64 s[12:13], 0
.LBB191_1038:
	s_and_b64 vcc, exec, s[12:13]
	s_cbranch_vccz .LBB191_1045
; %bb.1039:
	s_cmp_lg_u32 s19, 11
	s_cselect_b64 s[12:13], -1, 0
	s_andn2_b64 s[0:1], s[0:1], exec
	s_and_b64 s[12:13], s[12:13], exec
	s_mov_b64 s[14:15], -1
	s_or_b64 s[0:1], s[0:1], s[12:13]
	s_branch .LBB191_1045
.LBB191_1040:
	s_or_b64 exec, exec, s[8:9]
	s_and_saveexec_b64 s[0:1], s[60:61]
	s_cbranch_execnz .LBB191_1046
.LBB191_1041:
	s_or_b64 exec, exec, s[0:1]
	s_and_saveexec_b64 s[0:1], s[14:15]
	s_xor_b64 s[0:1], exec, s[0:1]
	s_cbranch_execz .LBB191_1047
.LBB191_1042:
	v_cndmask_b32_e64 v0, 0, 1, s[6:7]
	global_store_byte v[1:2], v0, off
	s_or_b64 exec, exec, s[0:1]
	s_and_saveexec_b64 s[0:1], s[12:13]
	s_xor_b64 s[0:1], exec, s[0:1]
	s_cbranch_execz .LBB191_1085
	s_branch .LBB191_1048
.LBB191_1043:
	s_mov_b64 s[10:11], -1
	s_mov_b64 s[0:1], s[60:61]
	s_branch .LBB191_1045
.LBB191_1044:
	s_mov_b64 s[14:15], 0
.LBB191_1045:
	s_and_b64 s[12:13], s[10:11], exec
	s_andn2_b64 s[10:11], s[60:61], exec
	s_and_b64 s[0:1], s[0:1], exec
	s_and_b64 s[14:15], s[14:15], exec
	s_or_b64 s[60:61], s[10:11], s[0:1]
	s_or_b64 exec, exec, s[8:9]
	s_and_saveexec_b64 s[0:1], s[60:61]
	s_cbranch_execz .LBB191_1041
.LBB191_1046:
	s_or_b64 s[2:3], s[2:3], exec
	s_andn2_b64 s[14:15], s[14:15], exec
	s_trap 2
	s_or_b64 exec, exec, s[0:1]
	s_and_saveexec_b64 s[0:1], s[14:15]
	s_xor_b64 s[0:1], exec, s[0:1]
	s_cbranch_execnz .LBB191_1042
.LBB191_1047:
	s_or_b64 exec, exec, s[0:1]
	s_and_saveexec_b64 s[0:1], s[12:13]
	s_xor_b64 s[0:1], exec, s[0:1]
	s_cbranch_execz .LBB191_1085
.LBB191_1048:
	s_sext_i32_i16 s10, s18
	s_cmp_lt_i32 s10, 5
	s_mov_b64 s[8:9], -1
	s_cbranch_scc1 .LBB191_1069
; %bb.1049:
	s_cmp_lt_i32 s10, 8
	s_cbranch_scc1 .LBB191_1059
; %bb.1050:
	s_cmp_lt_i32 s10, 9
	s_cbranch_scc1 .LBB191_1056
; %bb.1051:
	s_cmp_gt_i32 s10, 9
	s_cbranch_scc0 .LBB191_1053
; %bb.1052:
	v_cndmask_b32_e64 v0, 0, 1, s[6:7]
	s_waitcnt vmcnt(0)
	v_cvt_f64_u32_e32 v[3:4], v0
	v_mov_b32_e32 v5, 0
	v_mov_b32_e32 v6, v5
	s_mov_b64 s[8:9], 0
	global_store_dwordx4 v[1:2], v[3:6], off
.LBB191_1053:
	s_andn2_b64 vcc, exec, s[8:9]
	s_cbranch_vccnz .LBB191_1055
; %bb.1054:
	s_waitcnt vmcnt(0)
	v_cndmask_b32_e64 v3, 0, 1.0, s[6:7]
	v_mov_b32_e32 v4, 0
	global_store_dwordx2 v[1:2], v[3:4], off
.LBB191_1055:
	s_mov_b64 s[8:9], 0
.LBB191_1056:
	s_andn2_b64 vcc, exec, s[8:9]
	s_cbranch_vccnz .LBB191_1058
; %bb.1057:
	v_cndmask_b32_e64 v0, 0, 1.0, s[6:7]
	v_cvt_f16_f32_e32 v0, v0
	global_store_dword v[1:2], v0, off
.LBB191_1058:
	s_mov_b64 s[8:9], 0
.LBB191_1059:
	s_andn2_b64 vcc, exec, s[8:9]
	s_cbranch_vccnz .LBB191_1068
; %bb.1060:
	s_sext_i32_i16 s10, s18
	s_cmp_lt_i32 s10, 6
	s_mov_b64 s[8:9], -1
	s_cbranch_scc1 .LBB191_1066
; %bb.1061:
	s_cmp_gt_i32 s10, 6
	s_cbranch_scc0 .LBB191_1063
; %bb.1062:
	v_cndmask_b32_e64 v0, 0, 1, s[6:7]
	s_waitcnt vmcnt(0)
	v_cvt_f64_u32_e32 v[3:4], v0
	s_mov_b64 s[8:9], 0
	global_store_dwordx2 v[1:2], v[3:4], off
.LBB191_1063:
	s_andn2_b64 vcc, exec, s[8:9]
	s_cbranch_vccnz .LBB191_1065
; %bb.1064:
	v_cndmask_b32_e64 v0, 0, 1.0, s[6:7]
	global_store_dword v[1:2], v0, off
.LBB191_1065:
	s_mov_b64 s[8:9], 0
.LBB191_1066:
	s_andn2_b64 vcc, exec, s[8:9]
	s_cbranch_vccnz .LBB191_1068
; %bb.1067:
	v_cndmask_b32_e64 v0, 0, 1.0, s[6:7]
	v_cvt_f16_f32_e32 v0, v0
	global_store_short v[1:2], v0, off
.LBB191_1068:
	s_mov_b64 s[8:9], 0
.LBB191_1069:
	s_andn2_b64 vcc, exec, s[8:9]
	s_cbranch_vccnz .LBB191_1085
; %bb.1070:
	s_sext_i32_i16 s10, s18
	s_cmp_lt_i32 s10, 2
	s_mov_b64 s[8:9], -1
	s_cbranch_scc1 .LBB191_1080
; %bb.1071:
	s_cmp_lt_i32 s10, 3
	s_cbranch_scc1 .LBB191_1077
; %bb.1072:
	s_cmp_gt_i32 s10, 3
	s_cbranch_scc0 .LBB191_1074
; %bb.1073:
	s_mov_b32 s8, 0
	s_waitcnt vmcnt(0)
	v_cndmask_b32_e64 v3, 0, 1, s[6:7]
	v_mov_b32_e32 v4, s8
	s_mov_b64 s[8:9], 0
	global_store_dwordx2 v[1:2], v[3:4], off
.LBB191_1074:
	s_andn2_b64 vcc, exec, s[8:9]
	s_cbranch_vccnz .LBB191_1076
; %bb.1075:
	v_cndmask_b32_e64 v0, 0, 1, s[6:7]
	global_store_dword v[1:2], v0, off
.LBB191_1076:
	s_mov_b64 s[8:9], 0
.LBB191_1077:
	s_andn2_b64 vcc, exec, s[8:9]
	s_cbranch_vccnz .LBB191_1079
; %bb.1078:
	v_cndmask_b32_e64 v0, 0, 1, s[6:7]
	global_store_short v[1:2], v0, off
.LBB191_1079:
	s_mov_b64 s[8:9], 0
.LBB191_1080:
	s_andn2_b64 vcc, exec, s[8:9]
	s_cbranch_vccnz .LBB191_1085
; %bb.1081:
	s_sext_i32_i16 s8, s18
	s_cmp_gt_i32 s8, 0
	s_mov_b64 s[8:9], -1
	s_cbranch_scc0 .LBB191_1083
; %bb.1082:
	v_cndmask_b32_e64 v0, 0, 1, s[6:7]
	s_mov_b64 s[8:9], 0
	global_store_byte v[1:2], v0, off
.LBB191_1083:
	s_andn2_b64 vcc, exec, s[8:9]
	s_cbranch_vccnz .LBB191_1085
; %bb.1084:
	v_cndmask_b32_e64 v0, 0, 1, s[6:7]
	global_store_byte v[1:2], v0, off
.LBB191_1085:
	s_or_b64 exec, exec, s[0:1]
	s_and_b64 s[6:7], s[2:3], exec
                                        ; implicit-def: $vgpr15
                                        ; implicit-def: $vgpr8
.LBB191_1086:
	s_or_saveexec_b64 s[28:29], s[48:49]
	s_mov_b64 s[0:1], 0
                                        ; implicit-def: $sgpr2_sgpr3
                                        ; implicit-def: $vgpr0_vgpr1
                                        ; implicit-def: $sgpr22
	s_xor_b64 exec, exec, s[28:29]
	s_cbranch_execz .LBB191_2090
; %bb.1087:
	v_cndmask_b32_e64 v0, 0, 1, s[46:47]
	v_cmp_ne_u32_e64 s[0:1], 1, v0
	s_andn2_b64 vcc, exec, s[46:47]
	s_cbranch_vccnz .LBB191_1093
; %bb.1088:
	s_cmp_lg_u32 s33, 0
	s_mov_b32 s36, 0
	s_cbranch_scc0 .LBB191_1094
; %bb.1089:
	s_min_u32 s37, s76, 15
	s_add_i32 s37, s37, 1
	s_cmp_eq_u32 s76, 2
	s_cbranch_scc1 .LBB191_1095
; %bb.1090:
	s_and_b32 s36, s37, 28
	s_add_u32 s2, s34, 0xc4
	s_addc_u32 s3, s35, 0
	v_mov_b32_e32 v13, 0
	s_mov_b32 s38, 0
	s_mov_b64 s[30:31], s[34:35]
	v_mov_b32_e32 v6, 0
	v_mov_b32_e32 v0, v8
.LBB191_1091:                           ; =>This Inner Loop Header: Depth=1
	s_load_dwordx8 s[16:23], s[30:31], 0x4
	s_load_dwordx4 s[24:27], s[30:31], 0x24
	s_load_dwordx8 s[8:15], s[2:3], 0x0
	s_add_u32 s30, s30, 48
	s_addc_u32 s31, s31, 0
	s_waitcnt lgkmcnt(0)
	v_mul_hi_u32 v1, s17, v0
	s_add_i32 s38, s38, 4
	s_add_u32 s2, s2, 32
	s_addc_u32 s3, s3, 0
	v_add_u32_e32 v1, v0, v1
	v_lshrrev_b32_e32 v1, s18, v1
	v_mul_lo_u32 v2, v1, s16
	s_waitcnt vmcnt(0)
	v_mul_hi_u32 v3, s20, v1
	s_cmp_lg_u32 s36, s38
	v_sub_u32_e32 v0, v0, v2
	v_add_u32_e32 v2, v1, v3
	v_mul_lo_u32 v3, v0, s8
	v_mul_lo_u32 v4, v0, s9
	v_lshrrev_b32_e32 v0, s21, v2
	v_mul_lo_u32 v2, v0, s19
	v_mul_hi_u32 v5, s23, v0
	v_sub_u32_e32 v1, v1, v2
	v_add_u32_e32 v2, v0, v5
	v_lshrrev_b32_e32 v2, s24, v2
	v_mul_hi_u32 v7, s26, v2
	v_mul_lo_u32 v9, v2, s22
	v_mul_lo_u32 v5, v1, s10
	;; [unrolled: 1-line block ×3, first 2 shown]
	v_sub_u32_e32 v9, v0, v9
	v_add_u32_e32 v0, v2, v7
	v_lshrrev_b32_e32 v0, s27, v0
	v_mul_lo_u32 v7, v0, s25
	v_mul_lo_u32 v10, v9, s12
	;; [unrolled: 1-line block ×3, first 2 shown]
	v_add3_u32 v3, v3, v6, v5
	v_sub_u32_e32 v2, v2, v7
	v_mul_lo_u32 v7, v2, s14
	v_mul_lo_u32 v2, v2, s15
	v_add3_u32 v1, v4, v13, v1
	v_add3_u32 v6, v10, v3, v7
	;; [unrolled: 1-line block ×3, first 2 shown]
	s_cbranch_scc1 .LBB191_1091
; %bb.1092:
	s_and_b32 s10, s37, 3
	s_cmp_eq_u32 s10, 0
	s_cbranch_scc0 .LBB191_1096
	s_branch .LBB191_1098
.LBB191_1093:
                                        ; implicit-def: $vgpr6
                                        ; implicit-def: $vgpr13
	s_branch .LBB191_1099
.LBB191_1094:
	v_mov_b32_e32 v6, 0
	v_mov_b32_e32 v13, 0
	s_branch .LBB191_1098
.LBB191_1095:
	v_mov_b32_e32 v6, 0
	v_mov_b32_e32 v13, 0
	;; [unrolled: 1-line block ×3, first 2 shown]
	s_and_b32 s10, s37, 3
	s_cmp_eq_u32 s10, 0
	s_cbranch_scc1 .LBB191_1098
.LBB191_1096:
	s_lshl_b32 s2, s36, 3
	s_add_u32 s2, s34, s2
	s_addc_u32 s3, s35, 0
	s_add_u32 s2, s2, 0xc4
	s_addc_u32 s3, s3, 0
	s_mul_i32 s8, s36, 12
	s_add_u32 s8, s34, s8
	s_addc_u32 s9, s35, 0
.LBB191_1097:                           ; =>This Inner Loop Header: Depth=1
	s_load_dwordx2 s[12:13], s[8:9], 0x4
	s_load_dword s11, s[8:9], 0xc
	s_load_dwordx2 s[14:15], s[2:3], 0x0
	s_add_u32 s8, s8, 12
	s_addc_u32 s9, s9, 0
	s_waitcnt lgkmcnt(0)
	v_mul_hi_u32 v1, s13, v0
	s_add_u32 s2, s2, 8
	s_addc_u32 s3, s3, 0
	s_add_i32 s10, s10, -1
	v_add_u32_e32 v1, v0, v1
	v_lshrrev_b32_e32 v1, s11, v1
	v_mul_lo_u32 v2, v1, s12
	s_cmp_lg_u32 s10, 0
	v_sub_u32_e32 v0, v0, v2
	v_mad_u64_u32 v[6:7], s[12:13], v0, s14, v[6:7]
	v_mad_u64_u32 v[13:14], s[12:13], v0, s15, v[13:14]
	v_mov_b32_e32 v0, v1
	s_cbranch_scc1 .LBB191_1097
.LBB191_1098:
	s_cbranch_execnz .LBB191_1101
.LBB191_1099:
	s_load_dwordx4 s[8:11], s[34:35], 0x4
	s_load_dwordx2 s[2:3], s[34:35], 0xc4
	s_cmp_lt_u32 s33, 2
	s_waitcnt lgkmcnt(0)
	v_mul_hi_u32 v0, s9, v8
	v_add_u32_e32 v0, v8, v0
	v_lshrrev_b32_e32 v0, s10, v0
	v_mul_lo_u32 v1, v0, s8
	v_sub_u32_e32 v1, v8, v1
	v_mul_lo_u32 v6, v1, s2
	v_mul_lo_u32 v13, v1, s3
	s_cbranch_scc1 .LBB191_1101
; %bb.1100:
	s_load_dwordx4 s[8:11], s[34:35], 0x10
	s_load_dwordx2 s[2:3], s[34:35], 0xcc
	s_waitcnt lgkmcnt(0)
	v_mul_hi_u32 v1, s9, v0
	v_add_u32_e32 v1, v0, v1
	v_lshrrev_b32_e32 v1, s10, v1
	v_mul_lo_u32 v1, v1, s8
	v_sub_u32_e32 v0, v0, v1
	v_mad_u64_u32 v[6:7], s[8:9], v0, s2, v[6:7]
	v_mad_u64_u32 v[13:14], s[2:3], v0, s3, v[13:14]
.LBB191_1101:
	s_and_b64 vcc, exec, s[0:1]
	v_add_u32_e32 v0, 0x80, v8
	s_cbranch_vccnz .LBB191_1107
; %bb.1102:
	s_cmp_lg_u32 s33, 0
	s_mov_b32 s36, 0
	s_cbranch_scc0 .LBB191_1108
; %bb.1103:
	s_min_u32 s37, s76, 15
	s_add_i32 s37, s37, 1
	s_cmp_eq_u32 s76, 2
	s_cbranch_scc1 .LBB191_1109
; %bb.1104:
	s_and_b32 s36, s37, 28
	s_add_u32 s2, s34, 0xc4
	s_addc_u32 s3, s35, 0
	v_mov_b32_e32 v11, 0
	s_mov_b32 s38, 0
	s_mov_b64 s[30:31], s[34:35]
	v_mov_b32_e32 v4, 0
	v_mov_b32_e32 v1, v0
.LBB191_1105:                           ; =>This Inner Loop Header: Depth=1
	s_load_dwordx8 s[16:23], s[30:31], 0x4
	s_load_dwordx4 s[24:27], s[30:31], 0x24
	s_load_dwordx8 s[8:15], s[2:3], 0x0
	s_add_u32 s30, s30, 48
	s_addc_u32 s31, s31, 0
	s_waitcnt lgkmcnt(0)
	v_mul_hi_u32 v2, s17, v1
	s_add_i32 s38, s38, 4
	s_add_u32 s2, s2, 32
	s_addc_u32 s3, s3, 0
	v_add_u32_e32 v2, v1, v2
	v_lshrrev_b32_e32 v2, s18, v2
	s_waitcnt vmcnt(0)
	v_mul_lo_u32 v3, v2, s16
	v_mul_hi_u32 v5, s20, v2
	s_cmp_lg_u32 s36, s38
	v_sub_u32_e32 v1, v1, v3
	v_add_u32_e32 v3, v2, v5
	v_mul_lo_u32 v5, v1, s8
	v_mul_lo_u32 v7, v1, s9
	v_lshrrev_b32_e32 v1, s21, v3
	v_mul_lo_u32 v3, v1, s19
	v_mul_hi_u32 v9, s23, v1
	v_sub_u32_e32 v2, v2, v3
	v_add_u32_e32 v3, v1, v9
	v_lshrrev_b32_e32 v3, s24, v3
	v_mul_hi_u32 v10, s26, v3
	v_mul_lo_u32 v12, v3, s22
	v_mul_lo_u32 v9, v2, s10
	;; [unrolled: 1-line block ×3, first 2 shown]
	v_sub_u32_e32 v12, v1, v12
	v_add_u32_e32 v1, v3, v10
	v_lshrrev_b32_e32 v1, s27, v1
	v_mul_lo_u32 v10, v1, s25
	v_mul_lo_u32 v14, v12, s12
	;; [unrolled: 1-line block ×3, first 2 shown]
	v_add3_u32 v4, v5, v4, v9
	v_sub_u32_e32 v3, v3, v10
	v_mul_lo_u32 v10, v3, s14
	v_mul_lo_u32 v3, v3, s15
	v_add3_u32 v2, v7, v11, v2
	v_add3_u32 v4, v14, v4, v10
	;; [unrolled: 1-line block ×3, first 2 shown]
	s_cbranch_scc1 .LBB191_1105
; %bb.1106:
	s_and_b32 s10, s37, 3
	s_cmp_eq_u32 s10, 0
	s_cbranch_scc0 .LBB191_1110
	s_branch .LBB191_1112
.LBB191_1107:
                                        ; implicit-def: $vgpr4
                                        ; implicit-def: $vgpr11
	s_branch .LBB191_1113
.LBB191_1108:
	v_mov_b32_e32 v4, 0
	v_mov_b32_e32 v11, 0
	s_branch .LBB191_1112
.LBB191_1109:
	v_mov_b32_e32 v4, 0
	v_mov_b32_e32 v11, 0
	;; [unrolled: 1-line block ×3, first 2 shown]
	s_and_b32 s10, s37, 3
	s_cmp_eq_u32 s10, 0
	s_cbranch_scc1 .LBB191_1112
.LBB191_1110:
	s_lshl_b32 s2, s36, 3
	s_add_u32 s2, s34, s2
	s_addc_u32 s3, s35, 0
	s_add_u32 s2, s2, 0xc4
	s_addc_u32 s3, s3, 0
	s_mul_i32 s8, s36, 12
	s_add_u32 s8, s34, s8
	s_addc_u32 s9, s35, 0
.LBB191_1111:                           ; =>This Inner Loop Header: Depth=1
	s_load_dwordx2 s[12:13], s[8:9], 0x4
	s_load_dword s11, s[8:9], 0xc
	s_load_dwordx2 s[14:15], s[2:3], 0x0
	s_add_u32 s8, s8, 12
	s_addc_u32 s9, s9, 0
	s_waitcnt lgkmcnt(0)
	v_mul_hi_u32 v2, s13, v1
	s_add_u32 s2, s2, 8
	s_addc_u32 s3, s3, 0
	s_add_i32 s10, s10, -1
	v_add_u32_e32 v2, v1, v2
	v_lshrrev_b32_e32 v2, s11, v2
	s_waitcnt vmcnt(0)
	v_mul_lo_u32 v3, v2, s12
	s_cmp_lg_u32 s10, 0
	v_sub_u32_e32 v1, v1, v3
	v_mad_u64_u32 v[4:5], s[12:13], v1, s14, v[4:5]
	v_mad_u64_u32 v[11:12], s[12:13], v1, s15, v[11:12]
	v_mov_b32_e32 v1, v2
	s_cbranch_scc1 .LBB191_1111
.LBB191_1112:
	s_cbranch_execnz .LBB191_1115
.LBB191_1113:
	s_load_dwordx4 s[8:11], s[34:35], 0x4
	s_load_dwordx2 s[2:3], s[34:35], 0xc4
	s_cmp_lt_u32 s33, 2
	s_waitcnt lgkmcnt(0)
	v_mul_hi_u32 v1, s9, v0
	v_add_u32_e32 v1, v0, v1
	v_lshrrev_b32_e32 v1, s10, v1
	v_mul_lo_u32 v2, v1, s8
	v_sub_u32_e32 v0, v0, v2
	v_mul_lo_u32 v4, v0, s2
	v_mul_lo_u32 v11, v0, s3
	s_cbranch_scc1 .LBB191_1115
; %bb.1114:
	s_load_dwordx4 s[8:11], s[34:35], 0x10
	s_load_dwordx2 s[2:3], s[34:35], 0xcc
	s_waitcnt lgkmcnt(0)
	v_mul_hi_u32 v0, s9, v1
	v_add_u32_e32 v0, v1, v0
	v_lshrrev_b32_e32 v0, s10, v0
	v_mul_lo_u32 v0, v0, s8
	v_sub_u32_e32 v0, v1, v0
	v_mad_u64_u32 v[4:5], s[8:9], v0, s2, v[4:5]
	v_mad_u64_u32 v[11:12], s[2:3], v0, s3, v[11:12]
.LBB191_1115:
	s_and_b64 vcc, exec, s[0:1]
	v_add_u32_e32 v0, 0x100, v8
	s_cbranch_vccnz .LBB191_1121
; %bb.1116:
	s_cmp_lg_u32 s33, 0
	s_mov_b32 s36, 0
	s_cbranch_scc0 .LBB191_1122
; %bb.1117:
	s_min_u32 s37, s76, 15
	s_add_i32 s37, s37, 1
	s_cmp_eq_u32 s76, 2
	s_cbranch_scc1 .LBB191_1123
; %bb.1118:
	s_and_b32 s36, s37, 28
	s_add_u32 s2, s34, 0xc4
	s_addc_u32 s3, s35, 0
	v_mov_b32_e32 v9, 0
	s_mov_b32 s38, 0
	s_mov_b64 s[30:31], s[34:35]
	v_mov_b32_e32 v2, 0
	v_mov_b32_e32 v1, v0
.LBB191_1119:                           ; =>This Inner Loop Header: Depth=1
	s_load_dwordx8 s[16:23], s[30:31], 0x4
	s_load_dwordx4 s[24:27], s[30:31], 0x24
	s_load_dwordx8 s[8:15], s[2:3], 0x0
	s_add_u32 s30, s30, 48
	s_addc_u32 s31, s31, 0
	s_waitcnt vmcnt(0) lgkmcnt(0)
	v_mul_hi_u32 v3, s17, v1
	s_add_i32 s38, s38, 4
	s_add_u32 s2, s2, 32
	s_addc_u32 s3, s3, 0
	v_add_u32_e32 v3, v1, v3
	v_lshrrev_b32_e32 v3, s18, v3
	v_mul_lo_u32 v5, v3, s16
	v_mul_hi_u32 v7, s20, v3
	s_cmp_lg_u32 s36, s38
	v_sub_u32_e32 v1, v1, v5
	v_add_u32_e32 v5, v3, v7
	v_mul_lo_u32 v7, v1, s8
	v_mul_lo_u32 v8, v1, s9
	v_lshrrev_b32_e32 v1, s21, v5
	v_mul_lo_u32 v5, v1, s19
	v_mul_hi_u32 v10, s23, v1
	v_sub_u32_e32 v3, v3, v5
	v_add_u32_e32 v5, v1, v10
	v_lshrrev_b32_e32 v5, s24, v5
	v_mul_hi_u32 v12, s26, v5
	v_mul_lo_u32 v14, v5, s22
	v_mul_lo_u32 v10, v3, s10
	;; [unrolled: 1-line block ×3, first 2 shown]
	v_sub_u32_e32 v14, v1, v14
	v_add_u32_e32 v1, v5, v12
	v_lshrrev_b32_e32 v1, s27, v1
	v_mul_lo_u32 v12, v1, s25
	v_mul_lo_u32 v16, v14, s12
	;; [unrolled: 1-line block ×3, first 2 shown]
	v_add3_u32 v2, v7, v2, v10
	v_sub_u32_e32 v5, v5, v12
	v_mul_lo_u32 v12, v5, s14
	v_mul_lo_u32 v5, v5, s15
	v_add3_u32 v3, v8, v9, v3
	v_add3_u32 v2, v16, v2, v12
	;; [unrolled: 1-line block ×3, first 2 shown]
	s_cbranch_scc1 .LBB191_1119
; %bb.1120:
	s_and_b32 s10, s37, 3
	s_cmp_eq_u32 s10, 0
	s_cbranch_scc0 .LBB191_1124
	s_branch .LBB191_1126
.LBB191_1121:
                                        ; implicit-def: $vgpr2
                                        ; implicit-def: $vgpr9
	s_branch .LBB191_1127
.LBB191_1122:
	v_mov_b32_e32 v2, 0
	v_mov_b32_e32 v9, 0
	s_branch .LBB191_1126
.LBB191_1123:
	v_mov_b32_e32 v2, 0
	v_mov_b32_e32 v9, 0
	;; [unrolled: 1-line block ×3, first 2 shown]
	s_and_b32 s10, s37, 3
	s_cmp_eq_u32 s10, 0
	s_cbranch_scc1 .LBB191_1126
.LBB191_1124:
	s_lshl_b32 s2, s36, 3
	s_add_u32 s2, s34, s2
	s_addc_u32 s3, s35, 0
	s_add_u32 s2, s2, 0xc4
	s_addc_u32 s3, s3, 0
	s_mul_i32 s8, s36, 12
	s_add_u32 s8, s34, s8
	s_addc_u32 s9, s35, 0
.LBB191_1125:                           ; =>This Inner Loop Header: Depth=1
	s_load_dwordx2 s[12:13], s[8:9], 0x4
	s_load_dword s11, s[8:9], 0xc
	s_load_dwordx2 s[14:15], s[2:3], 0x0
	s_add_u32 s8, s8, 12
	s_addc_u32 s9, s9, 0
	s_waitcnt vmcnt(0) lgkmcnt(0)
	v_mul_hi_u32 v3, s13, v1
	s_add_u32 s2, s2, 8
	s_addc_u32 s3, s3, 0
	s_add_i32 s10, s10, -1
	v_add_u32_e32 v3, v1, v3
	v_lshrrev_b32_e32 v5, s11, v3
	v_mul_lo_u32 v3, v5, s12
	s_cmp_lg_u32 s10, 0
	v_sub_u32_e32 v1, v1, v3
	v_mad_u64_u32 v[2:3], s[12:13], v1, s14, v[2:3]
	v_mad_u64_u32 v[9:10], s[12:13], v1, s15, v[9:10]
	v_mov_b32_e32 v1, v5
	s_cbranch_scc1 .LBB191_1125
.LBB191_1126:
	s_cbranch_execnz .LBB191_1129
.LBB191_1127:
	s_load_dwordx4 s[8:11], s[34:35], 0x4
	s_load_dwordx2 s[2:3], s[34:35], 0xc4
	s_cmp_lt_u32 s33, 2
	s_waitcnt lgkmcnt(0)
	v_mul_hi_u32 v1, s9, v0
	v_add_u32_e32 v1, v0, v1
	v_lshrrev_b32_e32 v1, s10, v1
	v_mul_lo_u32 v2, v1, s8
	v_sub_u32_e32 v0, v0, v2
	v_mul_lo_u32 v2, v0, s2
	v_mul_lo_u32 v9, v0, s3
	s_cbranch_scc1 .LBB191_1129
; %bb.1128:
	s_load_dwordx4 s[8:11], s[34:35], 0x10
	s_load_dwordx2 s[2:3], s[34:35], 0xcc
	s_waitcnt lgkmcnt(0)
	v_mul_hi_u32 v0, s9, v1
	v_add_u32_e32 v0, v1, v0
	v_lshrrev_b32_e32 v0, s10, v0
	v_mul_lo_u32 v0, v0, s8
	v_sub_u32_e32 v0, v1, v0
	s_waitcnt vmcnt(0)
	v_mad_u64_u32 v[2:3], s[8:9], v0, s2, v[2:3]
	v_mad_u64_u32 v[9:10], s[2:3], v0, s3, v[9:10]
.LBB191_1129:
	s_and_b64 vcc, exec, s[0:1]
	s_cbranch_vccnz .LBB191_1135
; %bb.1130:
	s_cmp_lg_u32 s33, 0
	s_mov_b32 s30, 0
	s_cbranch_scc0 .LBB191_1136
; %bb.1131:
	s_min_u32 s31, s76, 15
	s_add_i32 s31, s31, 1
	s_cmp_eq_u32 s76, 2
	s_cbranch_scc1 .LBB191_1137
; %bb.1132:
	s_and_b32 s30, s31, 28
	s_add_u32 s24, s34, 0xc4
	s_addc_u32 s25, s35, 0
	v_mov_b32_e32 v7, 0
	s_mov_b32 s36, 0
	s_mov_b64 s[26:27], s[34:35]
	v_mov_b32_e32 v0, 0
	v_mov_b32_e32 v1, v15
.LBB191_1133:                           ; =>This Inner Loop Header: Depth=1
	s_load_dwordx8 s[16:23], s[26:27], 0x4
	s_load_dwordx4 s[0:3], s[26:27], 0x24
	s_load_dwordx8 s[8:15], s[24:25], 0x0
	s_add_u32 s26, s26, 48
	s_addc_u32 s27, s27, 0
	s_waitcnt vmcnt(0) lgkmcnt(0)
	v_mul_hi_u32 v3, s17, v1
	s_add_i32 s36, s36, 4
	s_add_u32 s24, s24, 32
	s_addc_u32 s25, s25, 0
	v_add_u32_e32 v3, v1, v3
	v_lshrrev_b32_e32 v3, s18, v3
	v_mul_lo_u32 v5, v3, s16
	v_mul_hi_u32 v8, s20, v3
	s_cmp_lg_u32 s30, s36
	v_sub_u32_e32 v1, v1, v5
	v_add_u32_e32 v5, v3, v8
	v_mul_lo_u32 v8, v1, s8
	v_mul_lo_u32 v10, v1, s9
	v_lshrrev_b32_e32 v1, s21, v5
	v_mul_lo_u32 v5, v1, s19
	v_mul_hi_u32 v12, s23, v1
	v_sub_u32_e32 v3, v3, v5
	v_add_u32_e32 v5, v1, v12
	v_lshrrev_b32_e32 v5, s0, v5
	v_mul_hi_u32 v14, s2, v5
	v_mul_lo_u32 v16, v5, s22
	v_mul_lo_u32 v12, v3, s10
	;; [unrolled: 1-line block ×3, first 2 shown]
	v_sub_u32_e32 v16, v1, v16
	v_add_u32_e32 v1, v5, v14
	v_lshrrev_b32_e32 v1, s3, v1
	v_mul_lo_u32 v14, v1, s1
	v_mul_lo_u32 v17, v16, s12
	;; [unrolled: 1-line block ×3, first 2 shown]
	v_add3_u32 v0, v8, v0, v12
	v_sub_u32_e32 v5, v5, v14
	v_mul_lo_u32 v14, v5, s14
	v_mul_lo_u32 v5, v5, s15
	v_add3_u32 v3, v10, v7, v3
	v_add3_u32 v0, v17, v0, v14
	;; [unrolled: 1-line block ×3, first 2 shown]
	s_cbranch_scc1 .LBB191_1133
; %bb.1134:
	s_and_b32 s8, s31, 3
	s_cmp_eq_u32 s8, 0
	s_cbranch_scc0 .LBB191_1138
	s_branch .LBB191_1140
.LBB191_1135:
                                        ; implicit-def: $vgpr0
                                        ; implicit-def: $vgpr7
	s_branch .LBB191_1141
.LBB191_1136:
	v_mov_b32_e32 v0, 0
	v_mov_b32_e32 v7, 0
	s_branch .LBB191_1140
.LBB191_1137:
	v_mov_b32_e32 v0, 0
	v_mov_b32_e32 v7, 0
	;; [unrolled: 1-line block ×3, first 2 shown]
	s_and_b32 s8, s31, 3
	s_cmp_eq_u32 s8, 0
	s_cbranch_scc1 .LBB191_1140
.LBB191_1138:
	s_lshl_b32 s0, s30, 3
	s_add_u32 s0, s34, s0
	s_addc_u32 s1, s35, 0
	s_add_u32 s0, s0, 0xc4
	s_addc_u32 s1, s1, 0
	s_mul_i32 s2, s30, 12
	s_add_u32 s2, s34, s2
	s_addc_u32 s3, s35, 0
.LBB191_1139:                           ; =>This Inner Loop Header: Depth=1
	s_load_dwordx2 s[10:11], s[2:3], 0x4
	s_load_dword s9, s[2:3], 0xc
	s_load_dwordx2 s[12:13], s[0:1], 0x0
	s_add_u32 s2, s2, 12
	s_addc_u32 s3, s3, 0
	s_waitcnt vmcnt(0) lgkmcnt(0)
	v_mul_hi_u32 v3, s11, v1
	s_add_u32 s0, s0, 8
	s_addc_u32 s1, s1, 0
	s_add_i32 s8, s8, -1
	v_add_u32_e32 v3, v1, v3
	v_lshrrev_b32_e32 v3, s9, v3
	v_mul_lo_u32 v5, v3, s10
	s_cmp_lg_u32 s8, 0
	v_sub_u32_e32 v5, v1, v5
	v_mad_u64_u32 v[0:1], s[10:11], v5, s12, v[0:1]
	v_mad_u64_u32 v[7:8], s[10:11], v5, s13, v[7:8]
	v_mov_b32_e32 v1, v3
	s_cbranch_scc1 .LBB191_1139
.LBB191_1140:
	s_cbranch_execnz .LBB191_1143
.LBB191_1141:
	s_load_dwordx4 s[0:3], s[34:35], 0x4
	s_load_dwordx2 s[8:9], s[34:35], 0xc4
	s_cmp_lt_u32 s33, 2
	s_waitcnt lgkmcnt(0)
	v_mul_hi_u32 v0, s1, v15
	v_add_u32_e32 v0, v15, v0
	v_lshrrev_b32_e32 v1, s2, v0
	v_mul_lo_u32 v0, v1, s0
	s_waitcnt vmcnt(0)
	v_sub_u32_e32 v3, v15, v0
	v_mul_lo_u32 v0, v3, s8
	v_mul_lo_u32 v7, v3, s9
	s_cbranch_scc1 .LBB191_1143
; %bb.1142:
	s_load_dwordx4 s[0:3], s[34:35], 0x10
	s_load_dwordx2 s[8:9], s[34:35], 0xcc
	s_waitcnt lgkmcnt(0)
	v_mul_hi_u32 v3, s1, v1
	v_add_u32_e32 v3, v1, v3
	v_lshrrev_b32_e32 v3, s2, v3
	v_mul_lo_u32 v3, v3, s0
	v_sub_u32_e32 v3, v1, v3
	v_mad_u64_u32 v[0:1], s[0:1], v3, s8, v[0:1]
	v_mad_u64_u32 v[7:8], s[0:1], v3, s9, v[7:8]
.LBB191_1143:
	s_load_dwordx4 s[8:11], s[34:35], 0x148
	s_load_dword s16, s[4:5], 0x168
	s_waitcnt lgkmcnt(0)
	v_mov_b32_e32 v1, s11
	s_bfe_u32 s17, s16, 0x80008
	v_add_co_u32_e32 v12, vcc, s10, v13
	s_cmp_lt_i32 s17, 11
	v_addc_co_u32_e32 v13, vcc, 0, v1, vcc
	s_cbranch_scc1 .LBB191_1150
; %bb.1144:
	s_and_b32 s18, 0xffff, s17
	s_cmp_gt_i32 s18, 25
	s_mov_b64 s[2:3], 0
	s_cbranch_scc0 .LBB191_1152
; %bb.1145:
	s_cmp_gt_i32 s18, 28
	s_cbranch_scc0 .LBB191_1153
; %bb.1146:
	s_cmp_gt_i32 s18, 43
	;; [unrolled: 3-line block ×3, first 2 shown]
	s_cbranch_scc0 .LBB191_1155
; %bb.1148:
	s_cmp_eq_u32 s18, 46
	s_mov_b64 s[12:13], 0
	s_cbranch_scc0 .LBB191_1158
; %bb.1149:
	global_load_dword v1, v[12:13], off
	s_mov_b64 s[0:1], 0
	s_mov_b64 s[4:5], -1
	s_waitcnt vmcnt(0)
	v_lshlrev_b32_e32 v1, 16, v1
	v_cvt_f16_f32_e32 v1, v1
	s_branch .LBB191_1159
.LBB191_1150:
	s_mov_b64 s[4:5], 0
                                        ; implicit-def: $vgpr1
	s_mov_b64 s[12:13], s[6:7]
	s_cbranch_execnz .LBB191_1222
.LBB191_1151:
	s_andn2_b64 vcc, exec, s[4:5]
	s_cbranch_vccz .LBB191_1267
	s_branch .LBB191_2088
.LBB191_1152:
	s_mov_b64 s[4:5], 0
	s_mov_b64 s[0:1], 0
                                        ; implicit-def: $vgpr1
	s_cbranch_execnz .LBB191_1187
	s_branch .LBB191_1218
.LBB191_1153:
	s_mov_b64 s[12:13], -1
	s_mov_b64 s[4:5], 0
	s_mov_b64 s[0:1], 0
                                        ; implicit-def: $vgpr1
	s_branch .LBB191_1168
.LBB191_1154:
	s_mov_b64 s[4:5], 0
	s_mov_b64 s[0:1], 0
                                        ; implicit-def: $vgpr1
	s_cbranch_execnz .LBB191_1164
	s_branch .LBB191_1167
.LBB191_1155:
	s_mov_b64 s[12:13], -1
	s_mov_b64 s[4:5], 0
	s_mov_b64 s[0:1], 0
                                        ; implicit-def: $vgpr1
	s_branch .LBB191_1159
.LBB191_1156:
	s_andn2_saveexec_b64 s[14:15], s[14:15]
	s_cbranch_execz .LBB191_995
.LBB191_1157:
	v_add_f32_e32 v0, 0x46000000, v3
	v_and_b32_e32 v0, 0xff, v0
	v_cmp_ne_u32_e32 vcc, 0, v0
	s_andn2_b64 s[12:13], s[12:13], exec
	s_and_b64 s[16:17], vcc, exec
	s_or_b64 s[12:13], s[12:13], s[16:17]
	s_or_b64 exec, exec, s[14:15]
	v_mov_b32_e32 v4, 0
	s_and_saveexec_b64 s[14:15], s[12:13]
	s_cbranch_execnz .LBB191_996
	s_branch .LBB191_997
.LBB191_1158:
	s_mov_b64 s[0:1], -1
                                        ; implicit-def: $vgpr1
	s_mov_b64 s[4:5], 0
.LBB191_1159:
	s_and_b64 vcc, exec, s[12:13]
	s_cbranch_vccz .LBB191_1162
; %bb.1160:
	s_cmp_eq_u32 s18, 44
	s_cbranch_scc0 .LBB191_1163
; %bb.1161:
	global_load_ubyte v1, v[12:13], off
	s_movk_i32 s4, 0xff
	v_mov_b32_e32 v5, 0x7e00
	s_mov_b64 s[0:1], 0
	s_waitcnt vmcnt(0)
	v_lshlrev_b32_e32 v3, 23, v1
	v_cvt_f16_f32_e32 v3, v3
	v_cmp_ne_u32_e32 vcc, s4, v1
	s_mov_b64 s[4:5], -1
	v_cndmask_b32_e32 v3, v5, v3, vcc
	v_cmp_ne_u32_e32 vcc, 0, v1
	v_cndmask_b32_e32 v1, 0, v3, vcc
.LBB191_1162:
	s_branch .LBB191_1167
.LBB191_1163:
	s_mov_b64 s[0:1], -1
                                        ; implicit-def: $vgpr1
	s_branch .LBB191_1167
.LBB191_1164:
	s_cmp_eq_u32 s18, 29
	s_cbranch_scc0 .LBB191_1166
; %bb.1165:
	global_load_dwordx2 v[14:15], v[12:13], off
	s_mov_b64 s[0:1], 0
	s_mov_b64 s[4:5], -1
	s_mov_b64 s[12:13], 0
	s_waitcnt vmcnt(0)
	v_ffbh_u32_e32 v1, v15
	v_min_u32_e32 v1, 32, v1
	v_lshlrev_b64 v[14:15], v1, v[14:15]
	v_sub_u32_e32 v1, 32, v1
	v_min_u32_e32 v3, 1, v14
	v_or_b32_e32 v3, v15, v3
	v_cvt_f32_u32_e32 v3, v3
	v_ldexp_f32 v1, v3, v1
	v_cvt_f16_f32_e32 v1, v1
	s_branch .LBB191_1168
.LBB191_1166:
	s_mov_b64 s[0:1], -1
                                        ; implicit-def: $vgpr1
.LBB191_1167:
	s_mov_b64 s[12:13], 0
.LBB191_1168:
	s_and_b64 vcc, exec, s[12:13]
	s_cbranch_vccz .LBB191_1186
; %bb.1169:
	s_cmp_lt_i32 s18, 27
	s_cbranch_scc1 .LBB191_1172
; %bb.1170:
	s_cmp_gt_i32 s18, 27
	s_cbranch_scc0 .LBB191_1173
; %bb.1171:
	global_load_dword v1, v[12:13], off
	s_mov_b64 s[4:5], 0
	s_waitcnt vmcnt(0)
	v_cvt_f32_u32_e32 v1, v1
	v_cvt_f16_f32_e32 v1, v1
	s_branch .LBB191_1174
.LBB191_1172:
	s_mov_b64 s[4:5], -1
                                        ; implicit-def: $vgpr1
	s_branch .LBB191_1177
.LBB191_1173:
	s_mov_b64 s[4:5], -1
                                        ; implicit-def: $vgpr1
.LBB191_1174:
	s_andn2_b64 vcc, exec, s[4:5]
	s_cbranch_vccnz .LBB191_1176
; %bb.1175:
	global_load_ushort v1, v[12:13], off
	s_waitcnt vmcnt(0)
	v_cvt_f16_u16_e32 v1, v1
.LBB191_1176:
	s_mov_b64 s[4:5], 0
.LBB191_1177:
	s_andn2_b64 vcc, exec, s[4:5]
	s_cbranch_vccnz .LBB191_1185
; %bb.1178:
	global_load_ubyte v3, v[12:13], off
	s_movk_i32 s4, 0x7f
	s_waitcnt vmcnt(0)
	v_cmp_lt_i16_e32 vcc, s4, v3
	s_mov_b64 s[4:5], 0
	s_and_saveexec_b64 s[12:13], vcc
	s_xor_b64 s[12:13], exec, s[12:13]
	s_cbranch_execz .LBB191_1198
; %bb.1179:
	s_movk_i32 s4, 0x80
	v_cmp_eq_u16_e32 vcc, s4, v3
	s_mov_b64 s[4:5], -1
	s_and_saveexec_b64 s[14:15], vcc
; %bb.1180:
	s_xor_b64 s[4:5], exec, -1
; %bb.1181:
	s_or_b64 exec, exec, s[14:15]
	s_and_b64 s[4:5], s[4:5], exec
	s_or_saveexec_b64 s[12:13], s[12:13]
	v_mov_b32_e32 v1, 0x7e00
	s_xor_b64 exec, exec, s[12:13]
	s_cbranch_execnz .LBB191_1199
.LBB191_1182:
	s_or_b64 exec, exec, s[12:13]
	s_and_saveexec_b64 s[12:13], s[4:5]
	s_cbranch_execz .LBB191_1184
.LBB191_1183:
	v_lshlrev_b32_e32 v1, 24, v3
	v_and_b32_e32 v3, 0xffff, v3
	v_and_b32_e32 v5, 7, v3
	v_ffbh_u32_e32 v10, v5
	v_min_u32_e32 v10, 32, v10
	v_subrev_u32_e32 v14, 28, v10
	v_bfe_u32 v8, v3, 3, 4
	v_lshlrev_b32_e32 v3, v14, v3
	v_sub_u32_e32 v10, 29, v10
	v_and_b32_e32 v3, 7, v3
	v_cmp_eq_u32_e32 vcc, 0, v8
	v_cndmask_b32_e32 v8, v8, v10, vcc
	v_cndmask_b32_e32 v3, v5, v3, vcc
	v_mov_b32_e32 v5, 0x3b800000
	v_lshlrev_b32_e32 v3, 20, v3
	v_and_b32_e32 v1, 0x80000000, v1
	v_lshl_add_u32 v5, v8, 23, v5
	v_or3_b32 v1, v1, v5, v3
	v_cvt_f16_f32_e32 v1, v1
.LBB191_1184:
	s_or_b64 exec, exec, s[12:13]
.LBB191_1185:
	s_mov_b64 s[4:5], -1
.LBB191_1186:
	s_branch .LBB191_1218
.LBB191_1187:
	s_cmp_gt_i32 s18, 22
	s_cbranch_scc0 .LBB191_1197
; %bb.1188:
	s_cmp_lt_i32 s18, 24
	s_cbranch_scc1 .LBB191_1200
; %bb.1189:
	s_cmp_gt_i32 s18, 24
	s_cbranch_scc0 .LBB191_1201
; %bb.1190:
	global_load_ubyte v3, v[12:13], off
	s_movk_i32 s2, 0x7f
	s_waitcnt vmcnt(0)
	v_cmp_lt_i16_e32 vcc, s2, v3
	s_mov_b64 s[2:3], 0
	s_and_saveexec_b64 s[4:5], vcc
	s_xor_b64 s[4:5], exec, s[4:5]
	s_cbranch_execz .LBB191_1212
; %bb.1191:
	s_movk_i32 s2, 0x80
	v_cmp_eq_u16_e32 vcc, s2, v3
	s_mov_b64 s[2:3], -1
	s_and_saveexec_b64 s[12:13], vcc
; %bb.1192:
	s_xor_b64 s[2:3], exec, -1
; %bb.1193:
	s_or_b64 exec, exec, s[12:13]
	s_and_b64 s[2:3], s[2:3], exec
	s_or_saveexec_b64 s[4:5], s[4:5]
	v_mov_b32_e32 v1, 0x7e00
	s_xor_b64 exec, exec, s[4:5]
	s_cbranch_execnz .LBB191_1213
.LBB191_1194:
	s_or_b64 exec, exec, s[4:5]
	s_and_saveexec_b64 s[4:5], s[2:3]
	s_cbranch_execz .LBB191_1196
.LBB191_1195:
	v_lshlrev_b32_e32 v1, 24, v3
	v_and_b32_e32 v3, 0xffff, v3
	v_and_b32_e32 v5, 3, v3
	v_ffbh_u32_e32 v10, v5
	v_min_u32_e32 v10, 32, v10
	v_subrev_u32_e32 v14, 29, v10
	v_bfe_u32 v8, v3, 2, 5
	v_lshlrev_b32_e32 v3, v14, v3
	v_sub_u32_e32 v10, 30, v10
	v_and_b32_e32 v3, 3, v3
	v_cmp_eq_u32_e32 vcc, 0, v8
	v_cndmask_b32_e32 v8, v8, v10, vcc
	v_cndmask_b32_e32 v3, v5, v3, vcc
	v_mov_b32_e32 v5, 0x37800000
	v_lshlrev_b32_e32 v3, 21, v3
	v_and_b32_e32 v1, 0x80000000, v1
	v_lshl_add_u32 v5, v8, 23, v5
	v_or3_b32 v1, v1, v5, v3
	v_cvt_f16_f32_e32 v1, v1
.LBB191_1196:
	s_or_b64 exec, exec, s[4:5]
	s_mov_b64 s[2:3], 0
	s_branch .LBB191_1202
.LBB191_1197:
                                        ; implicit-def: $vgpr1
	s_mov_b64 s[2:3], 0
	s_branch .LBB191_1208
.LBB191_1198:
	s_or_saveexec_b64 s[12:13], s[12:13]
	v_mov_b32_e32 v1, 0x7e00
	s_xor_b64 exec, exec, s[12:13]
	s_cbranch_execz .LBB191_1182
.LBB191_1199:
	v_cmp_ne_u16_e32 vcc, 0, v3
	s_andn2_b64 s[4:5], s[4:5], exec
	s_and_b64 s[14:15], vcc, exec
	s_or_b64 s[4:5], s[4:5], s[14:15]
	v_mov_b32_e32 v1, v3
	s_or_b64 exec, exec, s[12:13]
	s_and_saveexec_b64 s[12:13], s[4:5]
	s_cbranch_execnz .LBB191_1183
	s_branch .LBB191_1184
.LBB191_1200:
	s_mov_b64 s[2:3], -1
                                        ; implicit-def: $vgpr1
	s_branch .LBB191_1205
.LBB191_1201:
	s_mov_b64 s[2:3], -1
                                        ; implicit-def: $vgpr1
.LBB191_1202:
	s_and_b64 vcc, exec, s[2:3]
	s_cbranch_vccz .LBB191_1204
; %bb.1203:
	global_load_ubyte v1, v[12:13], off
	s_mov_b32 s2, 0x7f800000
	s_waitcnt vmcnt(0)
	v_lshlrev_b32_e32 v1, 24, v1
	v_and_b32_e32 v3, 0x7f000000, v1
	v_ffbh_u32_e32 v5, v3
	v_min_u32_e32 v5, 32, v5
	v_sub_u32_e64 v5, v5, 4 clamp
	v_lshlrev_b32_e32 v10, v5, v3
	v_lshlrev_b32_e32 v5, 23, v5
	v_lshrrev_b32_e32 v10, 4, v10
	v_add_u32_e32 v8, 0x1000000, v3
	v_sub_u32_e32 v5, v10, v5
	v_ashrrev_i32_e32 v8, 8, v8
	v_add_u32_e32 v5, 0x3c000000, v5
	v_and_or_b32 v5, v8, s2, v5
	v_cmp_ne_u32_e32 vcc, 0, v3
	v_cndmask_b32_e32 v3, 0, v5, vcc
	s_brev_b32 s2, 1
	v_and_or_b32 v1, v1, s2, v3
	v_cvt_f16_f32_e32 v1, v1
.LBB191_1204:
	s_mov_b64 s[2:3], 0
.LBB191_1205:
	s_andn2_b64 vcc, exec, s[2:3]
	s_cbranch_vccnz .LBB191_1207
; %bb.1206:
	global_load_ubyte v1, v[12:13], off
	s_movk_i32 s2, 0x7f00
	s_brev_b32 s3, 16
	s_waitcnt vmcnt(0)
	v_lshlrev_b16_e32 v3, 8, v1
	v_lshlrev_b32_e32 v1, 25, v1
	v_lshrrev_b32_e32 v5, 4, v1
	v_and_or_b32 v8, v3, s2, 0.5
	v_or_b32_e32 v5, 0x70000000, v5
	v_add_f32_e32 v8, -0.5, v8
	v_mul_f32_e32 v5, 0x7800000, v5
	v_cmp_gt_u32_e32 vcc, s3, v1
	v_bfe_i32 v3, v3, 0, 16
	v_cndmask_b32_e32 v1, v5, v8, vcc
	s_brev_b32 s2, 1
	v_and_or_b32 v1, v3, s2, v1
	v_cvt_f16_f32_e32 v1, v1
.LBB191_1207:
	s_mov_b64 s[4:5], -1
	s_mov_b64 s[2:3], 0
	s_cbranch_execnz .LBB191_1218
.LBB191_1208:
	s_cmp_gt_i32 s18, 14
	s_cbranch_scc0 .LBB191_1211
; %bb.1209:
	s_cmp_eq_u32 s18, 15
	s_cbranch_scc0 .LBB191_1214
; %bb.1210:
	global_load_ushort v1, v[12:13], off
	s_mov_b64 s[0:1], 0
	s_mov_b64 s[4:5], -1
	s_waitcnt vmcnt(0)
	v_lshlrev_b32_e32 v1, 16, v1
	v_cvt_f16_f32_e32 v1, v1
	s_branch .LBB191_1215
.LBB191_1211:
	s_mov_b64 s[12:13], -1
                                        ; implicit-def: $vgpr1
	s_branch .LBB191_1216
.LBB191_1212:
	s_or_saveexec_b64 s[4:5], s[4:5]
	v_mov_b32_e32 v1, 0x7e00
	s_xor_b64 exec, exec, s[4:5]
	s_cbranch_execz .LBB191_1194
.LBB191_1213:
	v_cmp_ne_u16_e32 vcc, 0, v3
	s_andn2_b64 s[2:3], s[2:3], exec
	s_and_b64 s[12:13], vcc, exec
	s_or_b64 s[2:3], s[2:3], s[12:13]
	v_mov_b32_e32 v1, v3
	s_or_b64 exec, exec, s[4:5]
	s_and_saveexec_b64 s[4:5], s[2:3]
	s_cbranch_execnz .LBB191_1195
	s_branch .LBB191_1196
.LBB191_1214:
	s_mov_b64 s[0:1], -1
                                        ; implicit-def: $vgpr1
.LBB191_1215:
	s_mov_b64 s[12:13], 0
.LBB191_1216:
	s_and_b64 vcc, exec, s[12:13]
	s_cbranch_vccz .LBB191_1218
; %bb.1217:
	s_cmp_lg_u32 s18, 11
	s_mov_b64 s[2:3], -1
	s_cselect_b64 s[0:1], -1, 0
.LBB191_1218:
	s_and_b64 vcc, exec, s[0:1]
	s_mov_b64 s[12:13], s[6:7]
	s_cbranch_vccnz .LBB191_1279
; %bb.1219:
	s_andn2_b64 vcc, exec, s[2:3]
	s_cbranch_vccnz .LBB191_1221
.LBB191_1220:
	global_load_ubyte v1, v[12:13], off
	s_waitcnt vmcnt(1)
	v_mov_b32_e32 v3, 0x3c00
	s_mov_b64 s[4:5], -1
	s_waitcnt vmcnt(0)
	v_cmp_ne_u16_e32 vcc, 0, v1
	v_cndmask_b32_e32 v1, 0, v3, vcc
.LBB191_1221:
	s_branch .LBB191_1151
.LBB191_1222:
	s_and_b32 s2, 0xffff, s17
	s_cmp_lt_i32 s2, 5
	s_cbranch_scc1 .LBB191_1227
; %bb.1223:
	s_cmp_lt_i32 s2, 8
	s_cbranch_scc1 .LBB191_1228
; %bb.1224:
	;; [unrolled: 3-line block ×3, first 2 shown]
	s_cmp_gt_i32 s2, 9
	s_cbranch_scc0 .LBB191_1230
; %bb.1226:
	global_load_dwordx2 v[14:15], v[12:13], off
	s_movk_i32 s0, 0x1ff
	s_movk_i32 s1, 0xffe
	v_mov_b32_e32 v1, 0x7c00
	s_waitcnt vmcnt(1)
	v_mov_b32_e32 v3, 0x7e00
	s_movk_i32 s3, 0x40f
	s_mov_b32 s4, 0x8000
	s_waitcnt vmcnt(0)
	v_and_or_b32 v5, v15, s0, v14
	v_cmp_ne_u32_e32 vcc, 0, v5
	v_lshrrev_b32_e32 v8, 8, v15
	v_bfe_u32 v10, v15, 20, 11
	v_cndmask_b32_e64 v5, 0, 1, vcc
	v_lshrrev_b32_e32 v14, 16, v15
	v_sub_u32_e32 v15, 0x3f1, v10
	v_and_or_b32 v5, v8, s1, v5
	v_add_u32_e32 v10, 0xfffffc10, v10
	v_med3_i32 v8, v15, 0, 13
	v_or_b32_e32 v15, 0x1000, v5
	v_lshl_or_b32 v16, v10, 12, v5
	v_cmp_ne_u32_e32 vcc, 0, v5
	v_lshrrev_b32_e32 v5, v8, v15
	v_lshlrev_b32_e32 v8, v8, v5
	v_cndmask_b32_e32 v3, v1, v3, vcc
	v_cmp_ne_u32_e32 vcc, v8, v15
	v_cndmask_b32_e64 v8, 0, 1, vcc
	v_or_b32_e32 v5, v5, v8
	v_cmp_gt_i32_e32 vcc, 1, v10
	v_cndmask_b32_e32 v5, v16, v5, vcc
	v_and_b32_e32 v8, 7, v5
	v_cmp_lt_i32_e32 vcc, 5, v8
	v_cndmask_b32_e64 v15, 0, 1, vcc
	v_cmp_eq_u32_e32 vcc, 3, v8
	v_cndmask_b32_e64 v8, 0, 1, vcc
	v_lshrrev_b32_e32 v5, 2, v5
	v_or_b32_e32 v8, v8, v15
	v_add_u32_e32 v5, v5, v8
	v_cmp_gt_i32_e32 vcc, 31, v10
	v_cndmask_b32_e32 v1, v1, v5, vcc
	v_cmp_eq_u32_e32 vcc, s3, v10
	v_cndmask_b32_e32 v1, v1, v3, vcc
	v_and_or_b32 v1, v14, s4, v1
	s_mov_b64 s[0:1], 0
	s_branch .LBB191_1231
.LBB191_1227:
                                        ; implicit-def: $vgpr1
	s_branch .LBB191_1248
.LBB191_1228:
                                        ; implicit-def: $vgpr1
	s_branch .LBB191_1237
.LBB191_1229:
	s_mov_b64 s[0:1], -1
                                        ; implicit-def: $vgpr1
	s_branch .LBB191_1234
.LBB191_1230:
	s_mov_b64 s[0:1], -1
                                        ; implicit-def: $vgpr1
.LBB191_1231:
	s_andn2_b64 vcc, exec, s[0:1]
	s_cbranch_vccnz .LBB191_1233
; %bb.1232:
	global_load_dword v1, v[12:13], off
	s_waitcnt vmcnt(0)
	v_cvt_f16_f32_e32 v1, v1
.LBB191_1233:
	s_mov_b64 s[0:1], 0
.LBB191_1234:
	s_andn2_b64 vcc, exec, s[0:1]
	s_cbranch_vccnz .LBB191_1236
; %bb.1235:
	global_load_dword v1, v[12:13], off
.LBB191_1236:
	s_cbranch_execnz .LBB191_1247
.LBB191_1237:
	s_cmp_lt_i32 s2, 6
	s_cbranch_scc1 .LBB191_1240
; %bb.1238:
	s_cmp_gt_i32 s2, 6
	s_cbranch_scc0 .LBB191_1241
; %bb.1239:
	global_load_dwordx2 v[14:15], v[12:13], off
	s_movk_i32 s0, 0x1ff
	s_movk_i32 s1, 0xffe
	s_waitcnt vmcnt(1)
	v_mov_b32_e32 v1, 0x7c00
	v_mov_b32_e32 v3, 0x7e00
	s_movk_i32 s3, 0x40f
	s_mov_b32 s4, 0x8000
	s_waitcnt vmcnt(0)
	v_and_or_b32 v5, v15, s0, v14
	v_cmp_ne_u32_e32 vcc, 0, v5
	v_lshrrev_b32_e32 v8, 8, v15
	v_bfe_u32 v10, v15, 20, 11
	v_cndmask_b32_e64 v5, 0, 1, vcc
	v_lshrrev_b32_e32 v14, 16, v15
	v_sub_u32_e32 v15, 0x3f1, v10
	v_and_or_b32 v5, v8, s1, v5
	v_add_u32_e32 v10, 0xfffffc10, v10
	v_med3_i32 v8, v15, 0, 13
	v_or_b32_e32 v15, 0x1000, v5
	v_lshl_or_b32 v16, v10, 12, v5
	v_cmp_ne_u32_e32 vcc, 0, v5
	v_lshrrev_b32_e32 v5, v8, v15
	v_lshlrev_b32_e32 v8, v8, v5
	v_cndmask_b32_e32 v3, v1, v3, vcc
	v_cmp_ne_u32_e32 vcc, v8, v15
	v_cndmask_b32_e64 v8, 0, 1, vcc
	v_or_b32_e32 v5, v5, v8
	v_cmp_gt_i32_e32 vcc, 1, v10
	v_cndmask_b32_e32 v5, v16, v5, vcc
	v_and_b32_e32 v8, 7, v5
	v_cmp_lt_i32_e32 vcc, 5, v8
	v_cndmask_b32_e64 v15, 0, 1, vcc
	v_cmp_eq_u32_e32 vcc, 3, v8
	v_cndmask_b32_e64 v8, 0, 1, vcc
	v_lshrrev_b32_e32 v5, 2, v5
	v_or_b32_e32 v8, v8, v15
	v_add_u32_e32 v5, v5, v8
	v_cmp_gt_i32_e32 vcc, 31, v10
	v_cndmask_b32_e32 v1, v1, v5, vcc
	v_cmp_eq_u32_e32 vcc, s3, v10
	v_cndmask_b32_e32 v1, v1, v3, vcc
	v_and_or_b32 v1, v14, s4, v1
	s_mov_b64 s[0:1], 0
	s_branch .LBB191_1242
.LBB191_1240:
	s_mov_b64 s[0:1], -1
                                        ; implicit-def: $vgpr1
	s_branch .LBB191_1245
.LBB191_1241:
	s_mov_b64 s[0:1], -1
                                        ; implicit-def: $vgpr1
.LBB191_1242:
	s_andn2_b64 vcc, exec, s[0:1]
	s_cbranch_vccnz .LBB191_1244
; %bb.1243:
	global_load_dword v1, v[12:13], off
	s_waitcnt vmcnt(0)
	v_cvt_f16_f32_e32 v1, v1
.LBB191_1244:
	s_mov_b64 s[0:1], 0
.LBB191_1245:
	s_andn2_b64 vcc, exec, s[0:1]
	s_cbranch_vccnz .LBB191_1247
; %bb.1246:
	global_load_ushort v1, v[12:13], off
.LBB191_1247:
	s_cbranch_execnz .LBB191_1266
.LBB191_1248:
	s_cmp_lt_i32 s2, 2
	s_cbranch_scc1 .LBB191_1252
; %bb.1249:
	s_cmp_lt_i32 s2, 3
	s_cbranch_scc1 .LBB191_1253
; %bb.1250:
	s_cmp_gt_i32 s2, 3
	s_cbranch_scc0 .LBB191_1254
; %bb.1251:
	global_load_dwordx2 v[14:15], v[12:13], off
	s_mov_b64 s[0:1], 0
	s_waitcnt vmcnt(0)
	v_xor_b32_e32 v3, v14, v15
	v_ffbh_i32_e32 v1, v15
	v_ashrrev_i32_e32 v3, 31, v3
	v_add_u32_e32 v1, -1, v1
	v_add_u32_e32 v3, 32, v3
	v_min_u32_e32 v1, v1, v3
	v_lshlrev_b64 v[14:15], v1, v[14:15]
	v_sub_u32_e32 v1, 32, v1
	v_min_u32_e32 v3, 1, v14
	v_or_b32_e32 v3, v15, v3
	v_cvt_f32_i32_e32 v3, v3
	v_ldexp_f32 v1, v3, v1
	v_cvt_f16_f32_e32 v1, v1
	s_branch .LBB191_1255
.LBB191_1252:
                                        ; implicit-def: $vgpr1
	s_branch .LBB191_1261
.LBB191_1253:
	s_mov_b64 s[0:1], -1
                                        ; implicit-def: $vgpr1
	s_branch .LBB191_1258
.LBB191_1254:
	s_mov_b64 s[0:1], -1
                                        ; implicit-def: $vgpr1
.LBB191_1255:
	s_andn2_b64 vcc, exec, s[0:1]
	s_cbranch_vccnz .LBB191_1257
; %bb.1256:
	global_load_dword v1, v[12:13], off
	s_waitcnt vmcnt(0)
	v_cvt_f32_i32_e32 v1, v1
	v_cvt_f16_f32_e32 v1, v1
.LBB191_1257:
	s_mov_b64 s[0:1], 0
.LBB191_1258:
	s_andn2_b64 vcc, exec, s[0:1]
	s_cbranch_vccnz .LBB191_1260
; %bb.1259:
	global_load_ushort v1, v[12:13], off
	s_waitcnt vmcnt(0)
	v_cvt_f16_i16_e32 v1, v1
.LBB191_1260:
	s_cbranch_execnz .LBB191_1266
.LBB191_1261:
	s_cmp_gt_i32 s2, 0
	s_cbranch_scc0 .LBB191_1263
; %bb.1262:
	global_load_sbyte v1, v[12:13], off
	s_mov_b64 s[0:1], 0
	s_waitcnt vmcnt(0)
	v_cvt_f16_i16_e32 v1, v1
	s_branch .LBB191_1264
.LBB191_1263:
	s_mov_b64 s[0:1], -1
                                        ; implicit-def: $vgpr1
.LBB191_1264:
	s_andn2_b64 vcc, exec, s[0:1]
	s_cbranch_vccnz .LBB191_1266
; %bb.1265:
	global_load_ubyte v1, v[12:13], off
	s_waitcnt vmcnt(0)
	v_cvt_f16_u16_e32 v1, v1
.LBB191_1266:
.LBB191_1267:
	s_lshr_b32 s0, s16, 8
	s_waitcnt vmcnt(0)
	v_mov_b32_e32 v3, s11
	s_and_b32 s18, s0, 0xff
	v_add_co_u32_e32 v10, vcc, s10, v11
	s_cmp_lt_i32 s18, 11
	v_addc_co_u32_e32 v11, vcc, 0, v3, vcc
	s_cbranch_scc1 .LBB191_1274
; %bb.1268:
	s_and_b32 s19, 0xffff, s18
	s_cmp_gt_i32 s19, 25
	s_mov_b64 s[2:3], 0
	s_cbranch_scc0 .LBB191_1276
; %bb.1269:
	s_cmp_gt_i32 s19, 28
	s_cbranch_scc0 .LBB191_1277
; %bb.1270:
	s_cmp_gt_i32 s19, 43
	;; [unrolled: 3-line block ×3, first 2 shown]
	s_cbranch_scc0 .LBB191_1280
; %bb.1272:
	s_cmp_eq_u32 s19, 46
	s_mov_b64 s[14:15], 0
	s_cbranch_scc0 .LBB191_1283
; %bb.1273:
	global_load_dword v3, v[10:11], off
	s_mov_b64 s[0:1], 0
	s_mov_b64 s[4:5], -1
	s_waitcnt vmcnt(0)
	v_lshlrev_b32_e32 v3, 16, v3
	v_cvt_f16_f32_e32 v3, v3
	s_branch .LBB191_1284
.LBB191_1274:
	s_mov_b64 s[4:5], 0
                                        ; implicit-def: $vgpr3
	s_cbranch_execnz .LBB191_1349
.LBB191_1275:
	s_andn2_b64 vcc, exec, s[4:5]
	s_cbranch_vccnz .LBB191_2088
	s_branch .LBB191_1396
.LBB191_1276:
	s_mov_b64 s[4:5], 0
	s_mov_b64 s[0:1], 0
                                        ; implicit-def: $vgpr3
	s_cbranch_execnz .LBB191_1313
	s_branch .LBB191_1345
.LBB191_1277:
	s_mov_b64 s[14:15], -1
	s_mov_b64 s[4:5], 0
	s_mov_b64 s[0:1], 0
                                        ; implicit-def: $vgpr3
	s_branch .LBB191_1294
.LBB191_1278:
	s_mov_b64 s[14:15], -1
	s_mov_b64 s[4:5], 0
	s_mov_b64 s[0:1], 0
                                        ; implicit-def: $vgpr3
	s_branch .LBB191_1289
.LBB191_1279:
	s_or_b64 s[12:13], s[6:7], exec
	s_trap 2
	s_cbranch_execz .LBB191_1220
	s_branch .LBB191_1221
.LBB191_1280:
	s_mov_b64 s[14:15], -1
	s_mov_b64 s[4:5], 0
	s_mov_b64 s[0:1], 0
                                        ; implicit-def: $vgpr3
	s_branch .LBB191_1284
.LBB191_1281:
	s_andn2_saveexec_b64 s[16:17], s[16:17]
	s_cbranch_execz .LBB191_1007
.LBB191_1282:
	v_add_f32_e32 v0, 0x42800000, v3
	v_and_b32_e32 v0, 0xff, v0
	v_cmp_ne_u32_e32 vcc, 0, v0
	s_andn2_b64 s[14:15], s[14:15], exec
	s_and_b64 s[20:21], vcc, exec
	s_or_b64 s[14:15], s[14:15], s[20:21]
	s_or_b64 exec, exec, s[16:17]
	v_mov_b32_e32 v4, 0
	s_and_saveexec_b64 s[16:17], s[14:15]
	s_cbranch_execnz .LBB191_1008
	s_branch .LBB191_1009
.LBB191_1283:
	s_mov_b64 s[0:1], -1
                                        ; implicit-def: $vgpr3
	s_mov_b64 s[4:5], 0
.LBB191_1284:
	s_and_b64 vcc, exec, s[14:15]
	s_cbranch_vccz .LBB191_1288
; %bb.1285:
	s_cmp_eq_u32 s19, 44
	s_cbranch_scc0 .LBB191_1287
; %bb.1286:
	global_load_ubyte v3, v[10:11], off
	s_movk_i32 s4, 0xff
	v_mov_b32_e32 v8, 0x7e00
	s_mov_b64 s[0:1], 0
	s_waitcnt vmcnt(0)
	v_lshlrev_b32_e32 v5, 23, v3
	v_cvt_f16_f32_e32 v5, v5
	v_cmp_ne_u32_e32 vcc, s4, v3
	s_mov_b64 s[4:5], -1
	v_cndmask_b32_e32 v5, v8, v5, vcc
	v_cmp_ne_u32_e32 vcc, 0, v3
	v_cndmask_b32_e32 v3, 0, v5, vcc
	s_branch .LBB191_1288
.LBB191_1287:
	s_mov_b64 s[0:1], -1
                                        ; implicit-def: $vgpr3
.LBB191_1288:
	s_mov_b64 s[14:15], 0
.LBB191_1289:
	s_and_b64 vcc, exec, s[14:15]
	s_cbranch_vccz .LBB191_1293
; %bb.1290:
	s_cmp_eq_u32 s19, 29
	s_cbranch_scc0 .LBB191_1292
; %bb.1291:
	global_load_dwordx2 v[12:13], v[10:11], off
	s_mov_b64 s[0:1], 0
	s_mov_b64 s[4:5], -1
	s_mov_b64 s[14:15], 0
	s_waitcnt vmcnt(0)
	v_ffbh_u32_e32 v3, v13
	v_min_u32_e32 v3, 32, v3
	v_lshlrev_b64 v[12:13], v3, v[12:13]
	v_sub_u32_e32 v3, 32, v3
	v_min_u32_e32 v5, 1, v12
	v_or_b32_e32 v5, v13, v5
	v_cvt_f32_u32_e32 v5, v5
	v_ldexp_f32 v3, v5, v3
	v_cvt_f16_f32_e32 v3, v3
	s_branch .LBB191_1294
.LBB191_1292:
	s_mov_b64 s[0:1], -1
                                        ; implicit-def: $vgpr3
.LBB191_1293:
	s_mov_b64 s[14:15], 0
.LBB191_1294:
	s_and_b64 vcc, exec, s[14:15]
	s_cbranch_vccz .LBB191_1312
; %bb.1295:
	s_cmp_lt_i32 s19, 27
	s_cbranch_scc1 .LBB191_1298
; %bb.1296:
	s_cmp_gt_i32 s19, 27
	s_cbranch_scc0 .LBB191_1299
; %bb.1297:
	global_load_dword v3, v[10:11], off
	s_mov_b64 s[4:5], 0
	s_waitcnt vmcnt(0)
	v_cvt_f32_u32_e32 v3, v3
	v_cvt_f16_f32_e32 v3, v3
	s_branch .LBB191_1300
.LBB191_1298:
	s_mov_b64 s[4:5], -1
                                        ; implicit-def: $vgpr3
	s_branch .LBB191_1303
.LBB191_1299:
	s_mov_b64 s[4:5], -1
                                        ; implicit-def: $vgpr3
.LBB191_1300:
	s_andn2_b64 vcc, exec, s[4:5]
	s_cbranch_vccnz .LBB191_1302
; %bb.1301:
	global_load_ushort v3, v[10:11], off
	s_waitcnt vmcnt(0)
	v_cvt_f16_u16_e32 v3, v3
.LBB191_1302:
	s_mov_b64 s[4:5], 0
.LBB191_1303:
	s_andn2_b64 vcc, exec, s[4:5]
	s_cbranch_vccnz .LBB191_1311
; %bb.1304:
	global_load_ubyte v5, v[10:11], off
	s_movk_i32 s4, 0x7f
	s_waitcnt vmcnt(0)
	v_cmp_lt_i16_e32 vcc, s4, v5
	s_mov_b64 s[4:5], 0
	s_and_saveexec_b64 s[14:15], vcc
	s_xor_b64 s[14:15], exec, s[14:15]
	s_cbranch_execz .LBB191_1324
; %bb.1305:
	s_movk_i32 s4, 0x80
	v_cmp_eq_u16_e32 vcc, s4, v5
	s_mov_b64 s[4:5], -1
	s_and_saveexec_b64 s[16:17], vcc
; %bb.1306:
	s_xor_b64 s[4:5], exec, -1
; %bb.1307:
	s_or_b64 exec, exec, s[16:17]
	s_and_b64 s[4:5], s[4:5], exec
	s_or_saveexec_b64 s[14:15], s[14:15]
	v_mov_b32_e32 v3, 0x7e00
	s_xor_b64 exec, exec, s[14:15]
	s_cbranch_execnz .LBB191_1325
.LBB191_1308:
	s_or_b64 exec, exec, s[14:15]
	s_and_saveexec_b64 s[14:15], s[4:5]
	s_cbranch_execz .LBB191_1310
.LBB191_1309:
	v_lshlrev_b32_e32 v3, 24, v5
	v_and_b32_e32 v5, 0xffff, v5
	v_and_b32_e32 v8, 7, v5
	v_ffbh_u32_e32 v13, v8
	v_min_u32_e32 v13, 32, v13
	v_subrev_u32_e32 v14, 28, v13
	v_bfe_u32 v12, v5, 3, 4
	v_lshlrev_b32_e32 v5, v14, v5
	v_sub_u32_e32 v13, 29, v13
	v_and_b32_e32 v5, 7, v5
	v_cmp_eq_u32_e32 vcc, 0, v12
	v_cndmask_b32_e32 v12, v12, v13, vcc
	v_cndmask_b32_e32 v5, v8, v5, vcc
	v_mov_b32_e32 v8, 0x3b800000
	v_lshlrev_b32_e32 v5, 20, v5
	v_and_b32_e32 v3, 0x80000000, v3
	v_lshl_add_u32 v8, v12, 23, v8
	v_or3_b32 v3, v3, v8, v5
	v_cvt_f16_f32_e32 v3, v3
.LBB191_1310:
	s_or_b64 exec, exec, s[14:15]
.LBB191_1311:
	s_mov_b64 s[4:5], -1
.LBB191_1312:
	s_branch .LBB191_1345
.LBB191_1313:
	s_cmp_gt_i32 s19, 22
	s_cbranch_scc0 .LBB191_1323
; %bb.1314:
	s_cmp_lt_i32 s19, 24
	s_cbranch_scc1 .LBB191_1326
; %bb.1315:
	s_cmp_gt_i32 s19, 24
	s_cbranch_scc0 .LBB191_1327
; %bb.1316:
	global_load_ubyte v5, v[10:11], off
	s_movk_i32 s2, 0x7f
	s_waitcnt vmcnt(0)
	v_cmp_lt_i16_e32 vcc, s2, v5
	s_mov_b64 s[2:3], 0
	s_and_saveexec_b64 s[4:5], vcc
	s_xor_b64 s[4:5], exec, s[4:5]
	s_cbranch_execz .LBB191_1339
; %bb.1317:
	s_movk_i32 s2, 0x80
	v_cmp_eq_u16_e32 vcc, s2, v5
	s_mov_b64 s[2:3], -1
	s_and_saveexec_b64 s[14:15], vcc
; %bb.1318:
	s_xor_b64 s[2:3], exec, -1
; %bb.1319:
	s_or_b64 exec, exec, s[14:15]
	s_and_b64 s[2:3], s[2:3], exec
	s_or_saveexec_b64 s[4:5], s[4:5]
	v_mov_b32_e32 v3, 0x7e00
	s_xor_b64 exec, exec, s[4:5]
	s_cbranch_execnz .LBB191_1340
.LBB191_1320:
	s_or_b64 exec, exec, s[4:5]
	s_and_saveexec_b64 s[4:5], s[2:3]
	s_cbranch_execz .LBB191_1322
.LBB191_1321:
	v_lshlrev_b32_e32 v3, 24, v5
	v_and_b32_e32 v5, 0xffff, v5
	v_and_b32_e32 v8, 3, v5
	v_ffbh_u32_e32 v13, v8
	v_min_u32_e32 v13, 32, v13
	v_subrev_u32_e32 v14, 29, v13
	v_bfe_u32 v12, v5, 2, 5
	v_lshlrev_b32_e32 v5, v14, v5
	v_sub_u32_e32 v13, 30, v13
	v_and_b32_e32 v5, 3, v5
	v_cmp_eq_u32_e32 vcc, 0, v12
	v_cndmask_b32_e32 v12, v12, v13, vcc
	v_cndmask_b32_e32 v5, v8, v5, vcc
	v_mov_b32_e32 v8, 0x37800000
	v_lshlrev_b32_e32 v5, 21, v5
	v_and_b32_e32 v3, 0x80000000, v3
	v_lshl_add_u32 v8, v12, 23, v8
	v_or3_b32 v3, v3, v8, v5
	v_cvt_f16_f32_e32 v3, v3
.LBB191_1322:
	s_or_b64 exec, exec, s[4:5]
	s_mov_b64 s[2:3], 0
	s_branch .LBB191_1328
.LBB191_1323:
	s_mov_b64 s[2:3], -1
                                        ; implicit-def: $vgpr3
	s_branch .LBB191_1334
.LBB191_1324:
	s_or_saveexec_b64 s[14:15], s[14:15]
	v_mov_b32_e32 v3, 0x7e00
	s_xor_b64 exec, exec, s[14:15]
	s_cbranch_execz .LBB191_1308
.LBB191_1325:
	v_cmp_ne_u16_e32 vcc, 0, v5
	s_andn2_b64 s[4:5], s[4:5], exec
	s_and_b64 s[16:17], vcc, exec
	s_or_b64 s[4:5], s[4:5], s[16:17]
	v_mov_b32_e32 v3, v5
	s_or_b64 exec, exec, s[14:15]
	s_and_saveexec_b64 s[14:15], s[4:5]
	s_cbranch_execnz .LBB191_1309
	s_branch .LBB191_1310
.LBB191_1326:
	s_mov_b64 s[2:3], -1
                                        ; implicit-def: $vgpr3
	s_branch .LBB191_1331
.LBB191_1327:
	s_mov_b64 s[2:3], -1
                                        ; implicit-def: $vgpr3
.LBB191_1328:
	s_and_b64 vcc, exec, s[2:3]
	s_cbranch_vccz .LBB191_1330
; %bb.1329:
	global_load_ubyte v3, v[10:11], off
	s_mov_b32 s2, 0x7f800000
	s_waitcnt vmcnt(0)
	v_lshlrev_b32_e32 v3, 24, v3
	v_and_b32_e32 v5, 0x7f000000, v3
	v_ffbh_u32_e32 v8, v5
	v_min_u32_e32 v8, 32, v8
	v_sub_u32_e64 v8, v8, 4 clamp
	v_lshlrev_b32_e32 v13, v8, v5
	v_lshlrev_b32_e32 v8, 23, v8
	v_lshrrev_b32_e32 v13, 4, v13
	v_add_u32_e32 v12, 0x1000000, v5
	v_sub_u32_e32 v8, v13, v8
	v_ashrrev_i32_e32 v12, 8, v12
	v_add_u32_e32 v8, 0x3c000000, v8
	v_and_or_b32 v8, v12, s2, v8
	v_cmp_ne_u32_e32 vcc, 0, v5
	v_cndmask_b32_e32 v5, 0, v8, vcc
	s_brev_b32 s2, 1
	v_and_or_b32 v3, v3, s2, v5
	v_cvt_f16_f32_e32 v3, v3
.LBB191_1330:
	s_mov_b64 s[2:3], 0
.LBB191_1331:
	s_andn2_b64 vcc, exec, s[2:3]
	s_cbranch_vccnz .LBB191_1333
; %bb.1332:
	global_load_ubyte v3, v[10:11], off
	s_movk_i32 s2, 0x7f00
	s_brev_b32 s3, 16
	s_waitcnt vmcnt(0)
	v_lshlrev_b16_e32 v5, 8, v3
	v_lshlrev_b32_e32 v3, 25, v3
	v_lshrrev_b32_e32 v8, 4, v3
	v_and_or_b32 v12, v5, s2, 0.5
	v_or_b32_e32 v8, 0x70000000, v8
	v_add_f32_e32 v12, -0.5, v12
	v_mul_f32_e32 v8, 0x7800000, v8
	v_cmp_gt_u32_e32 vcc, s3, v3
	v_bfe_i32 v5, v5, 0, 16
	v_cndmask_b32_e32 v3, v8, v12, vcc
	s_brev_b32 s2, 1
	v_and_or_b32 v3, v5, s2, v3
	v_cvt_f16_f32_e32 v3, v3
.LBB191_1333:
	s_mov_b64 s[2:3], 0
	s_mov_b64 s[4:5], -1
.LBB191_1334:
	s_andn2_b64 vcc, exec, s[2:3]
	s_mov_b64 s[2:3], 0
	s_cbranch_vccnz .LBB191_1345
; %bb.1335:
	s_cmp_gt_i32 s19, 14
	s_cbranch_scc0 .LBB191_1338
; %bb.1336:
	s_cmp_eq_u32 s19, 15
	s_cbranch_scc0 .LBB191_1341
; %bb.1337:
	global_load_ushort v3, v[10:11], off
	s_mov_b64 s[0:1], 0
	s_mov_b64 s[4:5], -1
	s_waitcnt vmcnt(0)
	v_lshlrev_b32_e32 v3, 16, v3
	v_cvt_f16_f32_e32 v3, v3
	s_branch .LBB191_1342
.LBB191_1338:
	s_mov_b64 s[14:15], -1
                                        ; implicit-def: $vgpr3
	s_branch .LBB191_1343
.LBB191_1339:
	s_or_saveexec_b64 s[4:5], s[4:5]
	v_mov_b32_e32 v3, 0x7e00
	s_xor_b64 exec, exec, s[4:5]
	s_cbranch_execz .LBB191_1320
.LBB191_1340:
	v_cmp_ne_u16_e32 vcc, 0, v5
	s_andn2_b64 s[2:3], s[2:3], exec
	s_and_b64 s[14:15], vcc, exec
	s_or_b64 s[2:3], s[2:3], s[14:15]
	v_mov_b32_e32 v3, v5
	s_or_b64 exec, exec, s[4:5]
	s_and_saveexec_b64 s[4:5], s[2:3]
	s_cbranch_execnz .LBB191_1321
	s_branch .LBB191_1322
.LBB191_1341:
	s_mov_b64 s[0:1], -1
                                        ; implicit-def: $vgpr3
.LBB191_1342:
	s_mov_b64 s[14:15], 0
.LBB191_1343:
	s_and_b64 vcc, exec, s[14:15]
	s_cbranch_vccz .LBB191_1345
; %bb.1344:
	s_cmp_lg_u32 s19, 11
	s_mov_b64 s[2:3], -1
	s_cselect_b64 s[0:1], -1, 0
.LBB191_1345:
	s_and_b64 vcc, exec, s[0:1]
	s_cbranch_vccnz .LBB191_1408
; %bb.1346:
	s_andn2_b64 vcc, exec, s[2:3]
	s_cbranch_vccnz .LBB191_1348
.LBB191_1347:
	global_load_ubyte v3, v[10:11], off
	v_mov_b32_e32 v5, 0x3c00
	s_mov_b64 s[4:5], -1
	s_waitcnt vmcnt(0)
	v_cmp_ne_u16_e32 vcc, 0, v3
	v_cndmask_b32_e32 v3, 0, v5, vcc
.LBB191_1348:
	s_branch .LBB191_1275
.LBB191_1349:
	s_and_b32 s2, 0xffff, s18
	s_cmp_lt_i32 s2, 5
	s_cbranch_scc1 .LBB191_1354
; %bb.1350:
	s_cmp_lt_i32 s2, 8
	s_cbranch_scc1 .LBB191_1355
; %bb.1351:
	;; [unrolled: 3-line block ×3, first 2 shown]
	s_cmp_gt_i32 s2, 9
	s_cbranch_scc0 .LBB191_1357
; %bb.1353:
	global_load_dwordx2 v[12:13], v[10:11], off
	s_movk_i32 s0, 0x1ff
	s_movk_i32 s1, 0xffe
	v_mov_b32_e32 v3, 0x7c00
	v_mov_b32_e32 v5, 0x7e00
	s_movk_i32 s3, 0x40f
	s_mov_b32 s4, 0x8000
	s_waitcnt vmcnt(0)
	v_and_or_b32 v8, v13, s0, v12
	v_cmp_ne_u32_e32 vcc, 0, v8
	v_lshrrev_b32_e32 v12, 8, v13
	v_bfe_u32 v14, v13, 20, 11
	v_cndmask_b32_e64 v8, 0, 1, vcc
	v_sub_u32_e32 v15, 0x3f1, v14
	v_and_or_b32 v8, v12, s1, v8
	v_add_u32_e32 v14, 0xfffffc10, v14
	v_med3_i32 v12, v15, 0, 13
	v_or_b32_e32 v15, 0x1000, v8
	v_lshl_or_b32 v16, v14, 12, v8
	v_cmp_ne_u32_e32 vcc, 0, v8
	v_lshrrev_b32_e32 v8, v12, v15
	v_lshlrev_b32_e32 v12, v12, v8
	v_cndmask_b32_e32 v5, v3, v5, vcc
	v_cmp_ne_u32_e32 vcc, v12, v15
	v_cndmask_b32_e64 v12, 0, 1, vcc
	v_or_b32_e32 v8, v8, v12
	v_cmp_gt_i32_e32 vcc, 1, v14
	v_cndmask_b32_e32 v8, v16, v8, vcc
	v_and_b32_e32 v12, 7, v8
	v_cmp_lt_i32_e32 vcc, 5, v12
	v_cndmask_b32_e64 v15, 0, 1, vcc
	v_cmp_eq_u32_e32 vcc, 3, v12
	v_cndmask_b32_e64 v12, 0, 1, vcc
	v_lshrrev_b32_e32 v8, 2, v8
	v_or_b32_e32 v12, v12, v15
	v_add_u32_e32 v8, v8, v12
	v_cmp_gt_i32_e32 vcc, 31, v14
	v_cndmask_b32_e32 v3, v3, v8, vcc
	v_cmp_eq_u32_e32 vcc, s3, v14
	v_lshrrev_b32_e32 v13, 16, v13
	v_cndmask_b32_e32 v3, v3, v5, vcc
	v_and_or_b32 v3, v13, s4, v3
	s_mov_b64 s[0:1], 0
	s_branch .LBB191_1358
.LBB191_1354:
                                        ; implicit-def: $vgpr3
	s_branch .LBB191_1376
.LBB191_1355:
	s_mov_b64 s[0:1], -1
                                        ; implicit-def: $vgpr3
	s_branch .LBB191_1364
.LBB191_1356:
	s_mov_b64 s[0:1], -1
                                        ; implicit-def: $vgpr3
	s_branch .LBB191_1361
.LBB191_1357:
	s_mov_b64 s[0:1], -1
                                        ; implicit-def: $vgpr3
.LBB191_1358:
	s_andn2_b64 vcc, exec, s[0:1]
	s_cbranch_vccnz .LBB191_1360
; %bb.1359:
	global_load_dword v3, v[10:11], off
	s_waitcnt vmcnt(0)
	v_cvt_f16_f32_e32 v3, v3
.LBB191_1360:
	s_mov_b64 s[0:1], 0
.LBB191_1361:
	s_andn2_b64 vcc, exec, s[0:1]
	s_cbranch_vccnz .LBB191_1363
; %bb.1362:
	global_load_dword v3, v[10:11], off
.LBB191_1363:
	s_mov_b64 s[0:1], 0
.LBB191_1364:
	s_andn2_b64 vcc, exec, s[0:1]
	s_cbranch_vccnz .LBB191_1375
; %bb.1365:
	s_cmp_lt_i32 s2, 6
	s_cbranch_scc1 .LBB191_1368
; %bb.1366:
	s_cmp_gt_i32 s2, 6
	s_cbranch_scc0 .LBB191_1369
; %bb.1367:
	global_load_dwordx2 v[12:13], v[10:11], off
	s_movk_i32 s0, 0x1ff
	s_movk_i32 s1, 0xffe
	s_waitcnt vmcnt(1)
	v_mov_b32_e32 v3, 0x7c00
	v_mov_b32_e32 v5, 0x7e00
	s_movk_i32 s3, 0x40f
	s_mov_b32 s4, 0x8000
	s_waitcnt vmcnt(0)
	v_and_or_b32 v8, v13, s0, v12
	v_cmp_ne_u32_e32 vcc, 0, v8
	v_lshrrev_b32_e32 v12, 8, v13
	v_bfe_u32 v14, v13, 20, 11
	v_cndmask_b32_e64 v8, 0, 1, vcc
	v_sub_u32_e32 v15, 0x3f1, v14
	v_and_or_b32 v8, v12, s1, v8
	v_add_u32_e32 v14, 0xfffffc10, v14
	v_med3_i32 v12, v15, 0, 13
	v_or_b32_e32 v15, 0x1000, v8
	v_lshl_or_b32 v16, v14, 12, v8
	v_cmp_ne_u32_e32 vcc, 0, v8
	v_lshrrev_b32_e32 v8, v12, v15
	v_lshlrev_b32_e32 v12, v12, v8
	v_cndmask_b32_e32 v5, v3, v5, vcc
	v_cmp_ne_u32_e32 vcc, v12, v15
	v_cndmask_b32_e64 v12, 0, 1, vcc
	v_or_b32_e32 v8, v8, v12
	v_cmp_gt_i32_e32 vcc, 1, v14
	v_cndmask_b32_e32 v8, v16, v8, vcc
	v_and_b32_e32 v12, 7, v8
	v_cmp_lt_i32_e32 vcc, 5, v12
	v_cndmask_b32_e64 v15, 0, 1, vcc
	v_cmp_eq_u32_e32 vcc, 3, v12
	v_cndmask_b32_e64 v12, 0, 1, vcc
	v_lshrrev_b32_e32 v8, 2, v8
	v_or_b32_e32 v12, v12, v15
	v_add_u32_e32 v8, v8, v12
	v_cmp_gt_i32_e32 vcc, 31, v14
	v_cndmask_b32_e32 v3, v3, v8, vcc
	v_cmp_eq_u32_e32 vcc, s3, v14
	v_lshrrev_b32_e32 v13, 16, v13
	v_cndmask_b32_e32 v3, v3, v5, vcc
	v_and_or_b32 v3, v13, s4, v3
	s_mov_b64 s[0:1], 0
	s_branch .LBB191_1370
.LBB191_1368:
	s_mov_b64 s[0:1], -1
                                        ; implicit-def: $vgpr3
	s_branch .LBB191_1373
.LBB191_1369:
	s_mov_b64 s[0:1], -1
                                        ; implicit-def: $vgpr3
.LBB191_1370:
	s_andn2_b64 vcc, exec, s[0:1]
	s_cbranch_vccnz .LBB191_1372
; %bb.1371:
	global_load_dword v3, v[10:11], off
	s_waitcnt vmcnt(0)
	v_cvt_f16_f32_e32 v3, v3
.LBB191_1372:
	s_mov_b64 s[0:1], 0
.LBB191_1373:
	s_andn2_b64 vcc, exec, s[0:1]
	s_cbranch_vccnz .LBB191_1375
; %bb.1374:
	global_load_ushort v3, v[10:11], off
.LBB191_1375:
	s_cbranch_execnz .LBB191_1395
.LBB191_1376:
	s_cmp_lt_i32 s2, 2
	s_cbranch_scc1 .LBB191_1380
; %bb.1377:
	s_cmp_lt_i32 s2, 3
	s_cbranch_scc1 .LBB191_1381
; %bb.1378:
	s_cmp_gt_i32 s2, 3
	s_cbranch_scc0 .LBB191_1382
; %bb.1379:
	global_load_dwordx2 v[12:13], v[10:11], off
	s_mov_b64 s[0:1], 0
	s_waitcnt vmcnt(0)
	v_xor_b32_e32 v5, v12, v13
	v_ffbh_i32_e32 v3, v13
	v_ashrrev_i32_e32 v5, 31, v5
	v_add_u32_e32 v3, -1, v3
	v_add_u32_e32 v5, 32, v5
	v_min_u32_e32 v3, v3, v5
	v_lshlrev_b64 v[12:13], v3, v[12:13]
	v_sub_u32_e32 v3, 32, v3
	v_min_u32_e32 v5, 1, v12
	v_or_b32_e32 v5, v13, v5
	v_cvt_f32_i32_e32 v5, v5
	v_ldexp_f32 v3, v5, v3
	v_cvt_f16_f32_e32 v3, v3
	s_branch .LBB191_1383
.LBB191_1380:
	s_mov_b64 s[0:1], -1
                                        ; implicit-def: $vgpr3
	s_branch .LBB191_1389
.LBB191_1381:
	s_mov_b64 s[0:1], -1
                                        ; implicit-def: $vgpr3
	s_branch .LBB191_1386
.LBB191_1382:
	s_mov_b64 s[0:1], -1
                                        ; implicit-def: $vgpr3
.LBB191_1383:
	s_andn2_b64 vcc, exec, s[0:1]
	s_cbranch_vccnz .LBB191_1385
; %bb.1384:
	global_load_dword v3, v[10:11], off
	s_waitcnt vmcnt(0)
	v_cvt_f32_i32_e32 v3, v3
	v_cvt_f16_f32_e32 v3, v3
.LBB191_1385:
	s_mov_b64 s[0:1], 0
.LBB191_1386:
	s_andn2_b64 vcc, exec, s[0:1]
	s_cbranch_vccnz .LBB191_1388
; %bb.1387:
	global_load_ushort v3, v[10:11], off
	s_waitcnt vmcnt(0)
	v_cvt_f16_i16_e32 v3, v3
.LBB191_1388:
	s_mov_b64 s[0:1], 0
.LBB191_1389:
	s_andn2_b64 vcc, exec, s[0:1]
	s_cbranch_vccnz .LBB191_1395
; %bb.1390:
	s_cmp_gt_i32 s2, 0
	s_cbranch_scc0 .LBB191_1392
; %bb.1391:
	global_load_sbyte v3, v[10:11], off
	s_mov_b64 s[0:1], 0
	s_waitcnt vmcnt(0)
	v_cvt_f16_i16_e32 v3, v3
	s_branch .LBB191_1393
.LBB191_1392:
	s_mov_b64 s[0:1], -1
                                        ; implicit-def: $vgpr3
.LBB191_1393:
	s_andn2_b64 vcc, exec, s[0:1]
	s_cbranch_vccnz .LBB191_1395
; %bb.1394:
	global_load_ubyte v3, v[10:11], off
	s_waitcnt vmcnt(0)
	v_cvt_f16_u16_e32 v3, v3
.LBB191_1395:
.LBB191_1396:
	v_mov_b32_e32 v5, s11
	v_add_co_u32_e32 v8, vcc, s10, v9
	s_cmp_lt_i32 s18, 11
	v_addc_co_u32_e32 v9, vcc, 0, v5, vcc
	s_cbranch_scc1 .LBB191_1403
; %bb.1397:
	s_and_b32 s19, 0xffff, s18
	s_cmp_gt_i32 s19, 25
	s_mov_b64 s[2:3], 0
	s_cbranch_scc0 .LBB191_1405
; %bb.1398:
	s_cmp_gt_i32 s19, 28
	s_cbranch_scc0 .LBB191_1406
; %bb.1399:
	s_cmp_gt_i32 s19, 43
	;; [unrolled: 3-line block ×3, first 2 shown]
	s_cbranch_scc0 .LBB191_1409
; %bb.1401:
	s_cmp_eq_u32 s19, 46
	s_mov_b64 s[14:15], 0
	s_cbranch_scc0 .LBB191_1410
; %bb.1402:
	global_load_dword v5, v[8:9], off
	s_mov_b64 s[0:1], 0
	s_mov_b64 s[4:5], -1
	s_waitcnt vmcnt(0)
	v_lshlrev_b32_e32 v5, 16, v5
	v_cvt_f16_f32_e32 v10, v5
	s_branch .LBB191_1411
.LBB191_1403:
	s_mov_b64 s[4:5], 0
                                        ; implicit-def: $vgpr10
	s_cbranch_execnz .LBB191_1477
.LBB191_1404:
	s_andn2_b64 vcc, exec, s[4:5]
	s_cbranch_vccnz .LBB191_2088
	s_branch .LBB191_1525
.LBB191_1405:
	s_mov_b64 s[14:15], -1
	s_mov_b64 s[4:5], 0
	s_mov_b64 s[0:1], 0
                                        ; implicit-def: $vgpr10
	s_branch .LBB191_1440
.LBB191_1406:
	s_mov_b64 s[14:15], -1
	s_mov_b64 s[4:5], 0
	s_mov_b64 s[0:1], 0
                                        ; implicit-def: $vgpr10
	s_branch .LBB191_1421
.LBB191_1407:
	s_mov_b64 s[14:15], -1
	s_mov_b64 s[4:5], 0
	s_mov_b64 s[0:1], 0
                                        ; implicit-def: $vgpr10
	s_branch .LBB191_1416
.LBB191_1408:
	s_trap 2
	s_or_b64 s[12:13], s[12:13], exec
	s_cbranch_execz .LBB191_1347
	s_branch .LBB191_1348
.LBB191_1409:
	s_mov_b64 s[14:15], -1
	s_mov_b64 s[4:5], 0
	s_mov_b64 s[0:1], 0
                                        ; implicit-def: $vgpr10
	s_branch .LBB191_1411
.LBB191_1410:
	s_mov_b64 s[0:1], -1
                                        ; implicit-def: $vgpr10
	s_mov_b64 s[4:5], 0
.LBB191_1411:
	s_and_b64 vcc, exec, s[14:15]
	s_cbranch_vccz .LBB191_1415
; %bb.1412:
	s_cmp_eq_u32 s19, 44
	s_cbranch_scc0 .LBB191_1414
; %bb.1413:
	global_load_ubyte v5, v[8:9], off
	s_movk_i32 s4, 0xff
	v_mov_b32_e32 v11, 0x7e00
	s_mov_b64 s[0:1], 0
	s_waitcnt vmcnt(0)
	v_lshlrev_b32_e32 v10, 23, v5
	v_cvt_f16_f32_e32 v10, v10
	v_cmp_ne_u32_e32 vcc, s4, v5
	s_mov_b64 s[4:5], -1
	v_cndmask_b32_e32 v10, v11, v10, vcc
	v_cmp_ne_u32_e32 vcc, 0, v5
	v_cndmask_b32_e32 v10, 0, v10, vcc
	s_branch .LBB191_1415
.LBB191_1414:
	s_mov_b64 s[0:1], -1
                                        ; implicit-def: $vgpr10
.LBB191_1415:
	s_mov_b64 s[14:15], 0
.LBB191_1416:
	s_and_b64 vcc, exec, s[14:15]
	s_cbranch_vccz .LBB191_1420
; %bb.1417:
	s_cmp_eq_u32 s19, 29
	s_cbranch_scc0 .LBB191_1419
; %bb.1418:
	global_load_dwordx2 v[10:11], v[8:9], off
	s_mov_b64 s[0:1], 0
	s_mov_b64 s[4:5], -1
	s_mov_b64 s[14:15], 0
	s_waitcnt vmcnt(0)
	v_ffbh_u32_e32 v5, v11
	v_min_u32_e32 v5, 32, v5
	v_lshlrev_b64 v[10:11], v5, v[10:11]
	v_sub_u32_e32 v5, 32, v5
	v_min_u32_e32 v10, 1, v10
	v_or_b32_e32 v10, v11, v10
	v_cvt_f32_u32_e32 v10, v10
	v_ldexp_f32 v5, v10, v5
	v_cvt_f16_f32_e32 v10, v5
	s_branch .LBB191_1421
.LBB191_1419:
	s_mov_b64 s[0:1], -1
                                        ; implicit-def: $vgpr10
.LBB191_1420:
	s_mov_b64 s[14:15], 0
.LBB191_1421:
	s_and_b64 vcc, exec, s[14:15]
	s_cbranch_vccz .LBB191_1439
; %bb.1422:
	s_cmp_lt_i32 s19, 27
	s_cbranch_scc1 .LBB191_1425
; %bb.1423:
	s_cmp_gt_i32 s19, 27
	s_cbranch_scc0 .LBB191_1426
; %bb.1424:
	global_load_dword v5, v[8:9], off
	s_mov_b64 s[4:5], 0
	s_waitcnt vmcnt(0)
	v_cvt_f32_u32_e32 v5, v5
	v_cvt_f16_f32_e32 v10, v5
	s_branch .LBB191_1427
.LBB191_1425:
	s_mov_b64 s[4:5], -1
                                        ; implicit-def: $vgpr10
	s_branch .LBB191_1430
.LBB191_1426:
	s_mov_b64 s[4:5], -1
                                        ; implicit-def: $vgpr10
.LBB191_1427:
	s_andn2_b64 vcc, exec, s[4:5]
	s_cbranch_vccnz .LBB191_1429
; %bb.1428:
	global_load_ushort v5, v[8:9], off
	s_waitcnt vmcnt(0)
	v_cvt_f16_u16_e32 v10, v5
.LBB191_1429:
	s_mov_b64 s[4:5], 0
.LBB191_1430:
	s_andn2_b64 vcc, exec, s[4:5]
	s_cbranch_vccnz .LBB191_1438
; %bb.1431:
	global_load_ubyte v5, v[8:9], off
	s_movk_i32 s4, 0x7f
	s_waitcnt vmcnt(0)
	v_cmp_lt_i16_e32 vcc, s4, v5
	s_mov_b64 s[4:5], 0
	s_and_saveexec_b64 s[14:15], vcc
	s_xor_b64 s[14:15], exec, s[14:15]
	s_cbranch_execz .LBB191_1452
; %bb.1432:
	s_movk_i32 s4, 0x80
	v_cmp_eq_u16_e32 vcc, s4, v5
	s_mov_b64 s[4:5], -1
	s_and_saveexec_b64 s[16:17], vcc
; %bb.1433:
	s_xor_b64 s[4:5], exec, -1
; %bb.1434:
	s_or_b64 exec, exec, s[16:17]
	s_and_b64 s[4:5], s[4:5], exec
	s_or_saveexec_b64 s[14:15], s[14:15]
	v_mov_b32_e32 v10, 0x7e00
	s_xor_b64 exec, exec, s[14:15]
	s_cbranch_execnz .LBB191_1453
.LBB191_1435:
	s_or_b64 exec, exec, s[14:15]
	s_and_saveexec_b64 s[14:15], s[4:5]
	s_cbranch_execz .LBB191_1437
.LBB191_1436:
	v_lshlrev_b32_e32 v10, 24, v5
	v_and_b32_e32 v5, 0xffff, v5
	v_and_b32_e32 v11, 7, v5
	v_ffbh_u32_e32 v13, v11
	v_min_u32_e32 v13, 32, v13
	v_subrev_u32_e32 v14, 28, v13
	v_bfe_u32 v12, v5, 3, 4
	v_lshlrev_b32_e32 v5, v14, v5
	v_sub_u32_e32 v13, 29, v13
	v_and_b32_e32 v5, 7, v5
	v_cmp_eq_u32_e32 vcc, 0, v12
	v_cndmask_b32_e32 v12, v12, v13, vcc
	v_cndmask_b32_e32 v5, v11, v5, vcc
	v_mov_b32_e32 v11, 0x3b800000
	v_lshlrev_b32_e32 v5, 20, v5
	v_and_b32_e32 v10, 0x80000000, v10
	v_lshl_add_u32 v11, v12, 23, v11
	v_or3_b32 v5, v10, v11, v5
	v_cvt_f16_f32_e32 v10, v5
.LBB191_1437:
	s_or_b64 exec, exec, s[14:15]
.LBB191_1438:
	s_mov_b64 s[4:5], -1
.LBB191_1439:
	s_mov_b64 s[14:15], 0
.LBB191_1440:
	s_and_b64 vcc, exec, s[14:15]
	s_cbranch_vccz .LBB191_1473
; %bb.1441:
	s_cmp_gt_i32 s19, 22
	s_cbranch_scc0 .LBB191_1451
; %bb.1442:
	s_cmp_lt_i32 s19, 24
	s_cbranch_scc1 .LBB191_1454
; %bb.1443:
	s_cmp_gt_i32 s19, 24
	s_cbranch_scc0 .LBB191_1455
; %bb.1444:
	global_load_ubyte v5, v[8:9], off
	s_movk_i32 s2, 0x7f
	s_waitcnt vmcnt(0)
	v_cmp_lt_i16_e32 vcc, s2, v5
	s_mov_b64 s[2:3], 0
	s_and_saveexec_b64 s[4:5], vcc
	s_xor_b64 s[4:5], exec, s[4:5]
	s_cbranch_execz .LBB191_1467
; %bb.1445:
	s_movk_i32 s2, 0x80
	v_cmp_eq_u16_e32 vcc, s2, v5
	s_mov_b64 s[2:3], -1
	s_and_saveexec_b64 s[14:15], vcc
; %bb.1446:
	s_xor_b64 s[2:3], exec, -1
; %bb.1447:
	s_or_b64 exec, exec, s[14:15]
	s_and_b64 s[2:3], s[2:3], exec
	s_or_saveexec_b64 s[4:5], s[4:5]
	v_mov_b32_e32 v10, 0x7e00
	s_xor_b64 exec, exec, s[4:5]
	s_cbranch_execnz .LBB191_1468
.LBB191_1448:
	s_or_b64 exec, exec, s[4:5]
	s_and_saveexec_b64 s[4:5], s[2:3]
	s_cbranch_execz .LBB191_1450
.LBB191_1449:
	v_lshlrev_b32_e32 v10, 24, v5
	v_and_b32_e32 v5, 0xffff, v5
	v_and_b32_e32 v11, 3, v5
	v_ffbh_u32_e32 v13, v11
	v_min_u32_e32 v13, 32, v13
	v_subrev_u32_e32 v14, 29, v13
	v_bfe_u32 v12, v5, 2, 5
	v_lshlrev_b32_e32 v5, v14, v5
	v_sub_u32_e32 v13, 30, v13
	v_and_b32_e32 v5, 3, v5
	v_cmp_eq_u32_e32 vcc, 0, v12
	v_cndmask_b32_e32 v12, v12, v13, vcc
	v_cndmask_b32_e32 v5, v11, v5, vcc
	v_mov_b32_e32 v11, 0x37800000
	v_lshlrev_b32_e32 v5, 21, v5
	v_and_b32_e32 v10, 0x80000000, v10
	v_lshl_add_u32 v11, v12, 23, v11
	v_or3_b32 v5, v10, v11, v5
	v_cvt_f16_f32_e32 v10, v5
.LBB191_1450:
	s_or_b64 exec, exec, s[4:5]
	s_mov_b64 s[2:3], 0
	s_branch .LBB191_1456
.LBB191_1451:
	s_mov_b64 s[2:3], -1
                                        ; implicit-def: $vgpr10
	s_branch .LBB191_1462
.LBB191_1452:
	s_or_saveexec_b64 s[14:15], s[14:15]
	v_mov_b32_e32 v10, 0x7e00
	s_xor_b64 exec, exec, s[14:15]
	s_cbranch_execz .LBB191_1435
.LBB191_1453:
	v_cmp_ne_u16_e32 vcc, 0, v5
	s_andn2_b64 s[4:5], s[4:5], exec
	s_and_b64 s[16:17], vcc, exec
	s_or_b64 s[4:5], s[4:5], s[16:17]
	v_mov_b32_e32 v10, v5
	s_or_b64 exec, exec, s[14:15]
	s_and_saveexec_b64 s[14:15], s[4:5]
	s_cbranch_execnz .LBB191_1436
	s_branch .LBB191_1437
.LBB191_1454:
	s_mov_b64 s[2:3], -1
                                        ; implicit-def: $vgpr10
	s_branch .LBB191_1459
.LBB191_1455:
	s_mov_b64 s[2:3], -1
                                        ; implicit-def: $vgpr10
.LBB191_1456:
	s_and_b64 vcc, exec, s[2:3]
	s_cbranch_vccz .LBB191_1458
; %bb.1457:
	global_load_ubyte v5, v[8:9], off
	s_mov_b32 s2, 0x7f800000
	s_waitcnt vmcnt(0)
	v_lshlrev_b32_e32 v5, 24, v5
	v_and_b32_e32 v10, 0x7f000000, v5
	v_ffbh_u32_e32 v11, v10
	v_min_u32_e32 v11, 32, v11
	v_sub_u32_e64 v11, v11, 4 clamp
	v_lshlrev_b32_e32 v13, v11, v10
	v_lshlrev_b32_e32 v11, 23, v11
	v_lshrrev_b32_e32 v13, 4, v13
	v_add_u32_e32 v12, 0x1000000, v10
	v_sub_u32_e32 v11, v13, v11
	v_ashrrev_i32_e32 v12, 8, v12
	v_add_u32_e32 v11, 0x3c000000, v11
	v_and_or_b32 v11, v12, s2, v11
	v_cmp_ne_u32_e32 vcc, 0, v10
	v_cndmask_b32_e32 v10, 0, v11, vcc
	s_brev_b32 s2, 1
	v_and_or_b32 v5, v5, s2, v10
	v_cvt_f16_f32_e32 v10, v5
.LBB191_1458:
	s_mov_b64 s[2:3], 0
.LBB191_1459:
	s_andn2_b64 vcc, exec, s[2:3]
	s_cbranch_vccnz .LBB191_1461
; %bb.1460:
	global_load_ubyte v5, v[8:9], off
	s_movk_i32 s2, 0x7f00
	s_brev_b32 s3, 16
	s_waitcnt vmcnt(0)
	v_lshlrev_b16_e32 v10, 8, v5
	v_lshlrev_b32_e32 v5, 25, v5
	v_lshrrev_b32_e32 v11, 4, v5
	v_and_or_b32 v12, v10, s2, 0.5
	v_or_b32_e32 v11, 0x70000000, v11
	v_add_f32_e32 v12, -0.5, v12
	v_mul_f32_e32 v11, 0x7800000, v11
	v_cmp_gt_u32_e32 vcc, s3, v5
	v_bfe_i32 v10, v10, 0, 16
	v_cndmask_b32_e32 v5, v11, v12, vcc
	s_brev_b32 s2, 1
	v_and_or_b32 v5, v10, s2, v5
	v_cvt_f16_f32_e32 v10, v5
.LBB191_1461:
	s_mov_b64 s[2:3], 0
	s_mov_b64 s[4:5], -1
.LBB191_1462:
	s_andn2_b64 vcc, exec, s[2:3]
	s_mov_b64 s[2:3], 0
	s_cbranch_vccnz .LBB191_1473
; %bb.1463:
	s_cmp_gt_i32 s19, 14
	s_cbranch_scc0 .LBB191_1466
; %bb.1464:
	s_cmp_eq_u32 s19, 15
	s_cbranch_scc0 .LBB191_1469
; %bb.1465:
	global_load_ushort v5, v[8:9], off
	s_mov_b64 s[0:1], 0
	s_mov_b64 s[4:5], -1
	s_waitcnt vmcnt(0)
	v_lshlrev_b32_e32 v5, 16, v5
	v_cvt_f16_f32_e32 v10, v5
	s_branch .LBB191_1470
.LBB191_1466:
	s_mov_b64 s[14:15], -1
                                        ; implicit-def: $vgpr10
	s_branch .LBB191_1471
.LBB191_1467:
	s_or_saveexec_b64 s[4:5], s[4:5]
	v_mov_b32_e32 v10, 0x7e00
	s_xor_b64 exec, exec, s[4:5]
	s_cbranch_execz .LBB191_1448
.LBB191_1468:
	v_cmp_ne_u16_e32 vcc, 0, v5
	s_andn2_b64 s[2:3], s[2:3], exec
	s_and_b64 s[14:15], vcc, exec
	s_or_b64 s[2:3], s[2:3], s[14:15]
	v_mov_b32_e32 v10, v5
	s_or_b64 exec, exec, s[4:5]
	s_and_saveexec_b64 s[4:5], s[2:3]
	s_cbranch_execnz .LBB191_1449
	s_branch .LBB191_1450
.LBB191_1469:
	s_mov_b64 s[0:1], -1
                                        ; implicit-def: $vgpr10
.LBB191_1470:
	s_mov_b64 s[14:15], 0
.LBB191_1471:
	s_and_b64 vcc, exec, s[14:15]
	s_cbranch_vccz .LBB191_1473
; %bb.1472:
	s_cmp_lg_u32 s19, 11
	s_mov_b64 s[2:3], -1
	s_cselect_b64 s[0:1], -1, 0
.LBB191_1473:
	s_and_b64 vcc, exec, s[0:1]
	s_cbranch_vccnz .LBB191_1536
; %bb.1474:
	s_andn2_b64 vcc, exec, s[2:3]
	s_cbranch_vccnz .LBB191_1476
.LBB191_1475:
	global_load_ubyte v5, v[8:9], off
	v_mov_b32_e32 v10, 0x3c00
	s_mov_b64 s[4:5], -1
	s_waitcnt vmcnt(0)
	v_cmp_ne_u16_e32 vcc, 0, v5
	v_cndmask_b32_e32 v10, 0, v10, vcc
.LBB191_1476:
	s_branch .LBB191_1404
.LBB191_1477:
	s_and_b32 s2, 0xffff, s18
	s_cmp_lt_i32 s2, 5
	s_cbranch_scc1 .LBB191_1482
; %bb.1478:
	s_cmp_lt_i32 s2, 8
	s_cbranch_scc1 .LBB191_1483
; %bb.1479:
	;; [unrolled: 3-line block ×3, first 2 shown]
	s_cmp_gt_i32 s2, 9
	s_cbranch_scc0 .LBB191_1485
; %bb.1481:
	global_load_dwordx2 v[10:11], v[8:9], off
	s_movk_i32 s0, 0x1ff
	s_movk_i32 s1, 0xffe
	v_mov_b32_e32 v5, 0x7c00
	v_mov_b32_e32 v12, 0x7e00
	s_movk_i32 s3, 0x40f
	s_mov_b32 s4, 0x8000
	s_waitcnt vmcnt(0)
	v_and_or_b32 v10, v11, s0, v10
	v_cmp_ne_u32_e32 vcc, 0, v10
	v_lshrrev_b32_e32 v13, 8, v11
	v_bfe_u32 v14, v11, 20, 11
	v_cndmask_b32_e64 v10, 0, 1, vcc
	v_sub_u32_e32 v15, 0x3f1, v14
	v_and_or_b32 v10, v13, s1, v10
	v_add_u32_e32 v14, 0xfffffc10, v14
	v_med3_i32 v13, v15, 0, 13
	v_or_b32_e32 v15, 0x1000, v10
	v_cmp_ne_u32_e32 vcc, 0, v10
	v_lshl_or_b32 v16, v14, 12, v10
	v_cndmask_b32_e32 v10, v5, v12, vcc
	v_lshrrev_b32_e32 v12, v13, v15
	v_lshlrev_b32_e32 v13, v13, v12
	v_cmp_ne_u32_e32 vcc, v13, v15
	v_cndmask_b32_e64 v13, 0, 1, vcc
	v_or_b32_e32 v12, v12, v13
	v_cmp_gt_i32_e32 vcc, 1, v14
	v_cndmask_b32_e32 v12, v16, v12, vcc
	v_and_b32_e32 v13, 7, v12
	v_cmp_lt_i32_e32 vcc, 5, v13
	v_cndmask_b32_e64 v15, 0, 1, vcc
	v_cmp_eq_u32_e32 vcc, 3, v13
	v_cndmask_b32_e64 v13, 0, 1, vcc
	v_lshrrev_b32_e32 v12, 2, v12
	v_or_b32_e32 v13, v13, v15
	v_add_u32_e32 v12, v12, v13
	v_cmp_gt_i32_e32 vcc, 31, v14
	v_cndmask_b32_e32 v5, v5, v12, vcc
	v_cmp_eq_u32_e32 vcc, s3, v14
	v_lshrrev_b32_e32 v11, 16, v11
	v_cndmask_b32_e32 v5, v5, v10, vcc
	v_and_or_b32 v10, v11, s4, v5
	s_mov_b64 s[0:1], 0
	s_branch .LBB191_1486
.LBB191_1482:
	s_mov_b64 s[0:1], -1
                                        ; implicit-def: $vgpr10
	s_branch .LBB191_1504
.LBB191_1483:
	s_mov_b64 s[0:1], -1
                                        ; implicit-def: $vgpr10
	s_branch .LBB191_1492
.LBB191_1484:
	s_mov_b64 s[0:1], -1
                                        ; implicit-def: $vgpr10
	s_branch .LBB191_1489
.LBB191_1485:
	s_mov_b64 s[0:1], -1
                                        ; implicit-def: $vgpr10
.LBB191_1486:
	s_andn2_b64 vcc, exec, s[0:1]
	s_cbranch_vccnz .LBB191_1488
; %bb.1487:
	global_load_dword v5, v[8:9], off
	s_waitcnt vmcnt(0)
	v_cvt_f16_f32_e32 v10, v5
.LBB191_1488:
	s_mov_b64 s[0:1], 0
.LBB191_1489:
	s_andn2_b64 vcc, exec, s[0:1]
	s_cbranch_vccnz .LBB191_1491
; %bb.1490:
	global_load_dword v10, v[8:9], off
.LBB191_1491:
	s_mov_b64 s[0:1], 0
.LBB191_1492:
	s_andn2_b64 vcc, exec, s[0:1]
	s_cbranch_vccnz .LBB191_1503
; %bb.1493:
	s_cmp_lt_i32 s2, 6
	s_cbranch_scc1 .LBB191_1496
; %bb.1494:
	s_cmp_gt_i32 s2, 6
	s_cbranch_scc0 .LBB191_1497
; %bb.1495:
	global_load_dwordx2 v[10:11], v[8:9], off
	s_movk_i32 s0, 0x1ff
	s_movk_i32 s1, 0xffe
	v_mov_b32_e32 v5, 0x7c00
	v_mov_b32_e32 v12, 0x7e00
	s_movk_i32 s3, 0x40f
	s_mov_b32 s4, 0x8000
	s_waitcnt vmcnt(0)
	v_and_or_b32 v10, v11, s0, v10
	v_cmp_ne_u32_e32 vcc, 0, v10
	v_lshrrev_b32_e32 v13, 8, v11
	v_bfe_u32 v14, v11, 20, 11
	v_cndmask_b32_e64 v10, 0, 1, vcc
	v_sub_u32_e32 v15, 0x3f1, v14
	v_and_or_b32 v10, v13, s1, v10
	v_add_u32_e32 v14, 0xfffffc10, v14
	v_med3_i32 v13, v15, 0, 13
	v_or_b32_e32 v15, 0x1000, v10
	v_cmp_ne_u32_e32 vcc, 0, v10
	v_lshl_or_b32 v16, v14, 12, v10
	v_cndmask_b32_e32 v10, v5, v12, vcc
	v_lshrrev_b32_e32 v12, v13, v15
	v_lshlrev_b32_e32 v13, v13, v12
	v_cmp_ne_u32_e32 vcc, v13, v15
	v_cndmask_b32_e64 v13, 0, 1, vcc
	v_or_b32_e32 v12, v12, v13
	v_cmp_gt_i32_e32 vcc, 1, v14
	v_cndmask_b32_e32 v12, v16, v12, vcc
	v_and_b32_e32 v13, 7, v12
	v_cmp_lt_i32_e32 vcc, 5, v13
	v_cndmask_b32_e64 v15, 0, 1, vcc
	v_cmp_eq_u32_e32 vcc, 3, v13
	v_cndmask_b32_e64 v13, 0, 1, vcc
	v_lshrrev_b32_e32 v12, 2, v12
	v_or_b32_e32 v13, v13, v15
	v_add_u32_e32 v12, v12, v13
	v_cmp_gt_i32_e32 vcc, 31, v14
	v_cndmask_b32_e32 v5, v5, v12, vcc
	v_cmp_eq_u32_e32 vcc, s3, v14
	v_lshrrev_b32_e32 v11, 16, v11
	v_cndmask_b32_e32 v5, v5, v10, vcc
	v_and_or_b32 v10, v11, s4, v5
	s_mov_b64 s[0:1], 0
	s_branch .LBB191_1498
.LBB191_1496:
	s_mov_b64 s[0:1], -1
                                        ; implicit-def: $vgpr10
	s_branch .LBB191_1501
.LBB191_1497:
	s_mov_b64 s[0:1], -1
                                        ; implicit-def: $vgpr10
.LBB191_1498:
	s_andn2_b64 vcc, exec, s[0:1]
	s_cbranch_vccnz .LBB191_1500
; %bb.1499:
	global_load_dword v5, v[8:9], off
	s_waitcnt vmcnt(0)
	v_cvt_f16_f32_e32 v10, v5
.LBB191_1500:
	s_mov_b64 s[0:1], 0
.LBB191_1501:
	s_andn2_b64 vcc, exec, s[0:1]
	s_cbranch_vccnz .LBB191_1503
; %bb.1502:
	global_load_ushort v10, v[8:9], off
.LBB191_1503:
	s_mov_b64 s[0:1], 0
.LBB191_1504:
	s_andn2_b64 vcc, exec, s[0:1]
	s_cbranch_vccnz .LBB191_1524
; %bb.1505:
	s_cmp_lt_i32 s2, 2
	s_cbranch_scc1 .LBB191_1509
; %bb.1506:
	s_cmp_lt_i32 s2, 3
	s_cbranch_scc1 .LBB191_1510
; %bb.1507:
	s_cmp_gt_i32 s2, 3
	s_cbranch_scc0 .LBB191_1511
; %bb.1508:
	global_load_dwordx2 v[10:11], v[8:9], off
	s_mov_b64 s[0:1], 0
	s_waitcnt vmcnt(0)
	v_xor_b32_e32 v12, v10, v11
	v_ffbh_i32_e32 v5, v11
	v_ashrrev_i32_e32 v12, 31, v12
	v_add_u32_e32 v5, -1, v5
	v_add_u32_e32 v12, 32, v12
	v_min_u32_e32 v5, v5, v12
	v_lshlrev_b64 v[10:11], v5, v[10:11]
	v_sub_u32_e32 v5, 32, v5
	v_min_u32_e32 v10, 1, v10
	v_or_b32_e32 v10, v11, v10
	v_cvt_f32_i32_e32 v10, v10
	v_ldexp_f32 v5, v10, v5
	v_cvt_f16_f32_e32 v10, v5
	s_branch .LBB191_1512
.LBB191_1509:
	s_mov_b64 s[0:1], -1
                                        ; implicit-def: $vgpr10
	s_branch .LBB191_1518
.LBB191_1510:
	s_mov_b64 s[0:1], -1
                                        ; implicit-def: $vgpr10
	s_branch .LBB191_1515
.LBB191_1511:
	s_mov_b64 s[0:1], -1
                                        ; implicit-def: $vgpr10
.LBB191_1512:
	s_andn2_b64 vcc, exec, s[0:1]
	s_cbranch_vccnz .LBB191_1514
; %bb.1513:
	global_load_dword v5, v[8:9], off
	s_waitcnt vmcnt(0)
	v_cvt_f32_i32_e32 v5, v5
	v_cvt_f16_f32_e32 v10, v5
.LBB191_1514:
	s_mov_b64 s[0:1], 0
.LBB191_1515:
	s_andn2_b64 vcc, exec, s[0:1]
	s_cbranch_vccnz .LBB191_1517
; %bb.1516:
	global_load_ushort v5, v[8:9], off
	s_waitcnt vmcnt(0)
	v_cvt_f16_i16_e32 v10, v5
.LBB191_1517:
	s_mov_b64 s[0:1], 0
.LBB191_1518:
	s_andn2_b64 vcc, exec, s[0:1]
	s_cbranch_vccnz .LBB191_1524
; %bb.1519:
	s_cmp_gt_i32 s2, 0
	s_cbranch_scc0 .LBB191_1521
; %bb.1520:
	global_load_sbyte v5, v[8:9], off
	s_mov_b64 s[0:1], 0
	s_waitcnt vmcnt(0)
	v_cvt_f16_i16_e32 v10, v5
	s_branch .LBB191_1522
.LBB191_1521:
	s_mov_b64 s[0:1], -1
                                        ; implicit-def: $vgpr10
.LBB191_1522:
	s_andn2_b64 vcc, exec, s[0:1]
	s_cbranch_vccnz .LBB191_1524
; %bb.1523:
	global_load_ubyte v5, v[8:9], off
	s_waitcnt vmcnt(0)
	v_cvt_f16_u16_e32 v10, v5
.LBB191_1524:
.LBB191_1525:
	v_mov_b32_e32 v5, s11
	v_add_co_u32_e32 v7, vcc, s10, v7
	s_cmp_lt_i32 s18, 11
	v_addc_co_u32_e32 v8, vcc, 0, v5, vcc
	s_cbranch_scc1 .LBB191_1532
; %bb.1526:
	s_and_b32 s16, 0xffff, s18
	s_cmp_gt_i32 s16, 25
	s_mov_b64 s[2:3], 0
	s_cbranch_scc0 .LBB191_1533
; %bb.1527:
	s_cmp_gt_i32 s16, 28
	s_cbranch_scc0 .LBB191_1534
; %bb.1528:
	s_cmp_gt_i32 s16, 43
	;; [unrolled: 3-line block ×3, first 2 shown]
	s_cbranch_scc0 .LBB191_1537
; %bb.1530:
	s_cmp_eq_u32 s16, 46
	s_mov_b64 s[10:11], 0
	s_cbranch_scc0 .LBB191_1538
; %bb.1531:
	global_load_dword v5, v[7:8], off
	s_mov_b64 s[0:1], 0
	s_mov_b64 s[4:5], -1
	s_waitcnt vmcnt(0)
	v_lshlrev_b32_e32 v5, 16, v5
	v_cvt_f16_f32_e32 v9, v5
	s_branch .LBB191_1539
.LBB191_1532:
	s_mov_b64 s[0:1], -1
	s_mov_b64 s[4:5], 0
                                        ; implicit-def: $vgpr9
	s_branch .LBB191_1605
.LBB191_1533:
	s_mov_b64 s[10:11], -1
	s_mov_b64 s[4:5], 0
	s_mov_b64 s[0:1], 0
                                        ; implicit-def: $vgpr9
	s_branch .LBB191_1568
.LBB191_1534:
	s_mov_b64 s[10:11], -1
	s_mov_b64 s[4:5], 0
	s_mov_b64 s[0:1], 0
                                        ; implicit-def: $vgpr9
	s_branch .LBB191_1549
.LBB191_1535:
	s_mov_b64 s[10:11], -1
	s_mov_b64 s[4:5], 0
	s_mov_b64 s[0:1], 0
                                        ; implicit-def: $vgpr9
	s_branch .LBB191_1544
.LBB191_1536:
	s_trap 2
	s_or_b64 s[12:13], s[12:13], exec
	s_cbranch_execz .LBB191_1475
	s_branch .LBB191_1476
.LBB191_1537:
	s_mov_b64 s[10:11], -1
	s_mov_b64 s[4:5], 0
	s_mov_b64 s[0:1], 0
                                        ; implicit-def: $vgpr9
	s_branch .LBB191_1539
.LBB191_1538:
	s_mov_b64 s[0:1], -1
                                        ; implicit-def: $vgpr9
	s_mov_b64 s[4:5], 0
.LBB191_1539:
	s_and_b64 vcc, exec, s[10:11]
	s_cbranch_vccz .LBB191_1543
; %bb.1540:
	s_cmp_eq_u32 s16, 44
	s_cbranch_scc0 .LBB191_1542
; %bb.1541:
	global_load_ubyte v5, v[7:8], off
	s_movk_i32 s4, 0xff
	v_mov_b32_e32 v11, 0x7e00
	s_mov_b64 s[0:1], 0
	s_waitcnt vmcnt(0)
	v_lshlrev_b32_e32 v9, 23, v5
	v_cvt_f16_f32_e32 v9, v9
	v_cmp_ne_u32_e32 vcc, s4, v5
	s_mov_b64 s[4:5], -1
	v_cndmask_b32_e32 v9, v11, v9, vcc
	v_cmp_ne_u32_e32 vcc, 0, v5
	v_cndmask_b32_e32 v9, 0, v9, vcc
	s_branch .LBB191_1543
.LBB191_1542:
	s_mov_b64 s[0:1], -1
                                        ; implicit-def: $vgpr9
.LBB191_1543:
	s_mov_b64 s[10:11], 0
.LBB191_1544:
	s_and_b64 vcc, exec, s[10:11]
	s_cbranch_vccz .LBB191_1548
; %bb.1545:
	s_cmp_eq_u32 s16, 29
	s_cbranch_scc0 .LBB191_1547
; %bb.1546:
	global_load_dwordx2 v[11:12], v[7:8], off
	s_mov_b64 s[0:1], 0
	s_mov_b64 s[4:5], -1
	s_mov_b64 s[10:11], 0
	s_waitcnt vmcnt(0)
	v_ffbh_u32_e32 v5, v12
	v_min_u32_e32 v5, 32, v5
	v_lshlrev_b64 v[11:12], v5, v[11:12]
	v_sub_u32_e32 v5, 32, v5
	v_min_u32_e32 v9, 1, v11
	v_or_b32_e32 v9, v12, v9
	v_cvt_f32_u32_e32 v9, v9
	v_ldexp_f32 v5, v9, v5
	v_cvt_f16_f32_e32 v9, v5
	s_branch .LBB191_1549
.LBB191_1547:
	s_mov_b64 s[0:1], -1
                                        ; implicit-def: $vgpr9
.LBB191_1548:
	s_mov_b64 s[10:11], 0
.LBB191_1549:
	s_and_b64 vcc, exec, s[10:11]
	s_cbranch_vccz .LBB191_1567
; %bb.1550:
	s_cmp_lt_i32 s16, 27
	s_cbranch_scc1 .LBB191_1553
; %bb.1551:
	s_cmp_gt_i32 s16, 27
	s_cbranch_scc0 .LBB191_1554
; %bb.1552:
	global_load_dword v5, v[7:8], off
	s_mov_b64 s[4:5], 0
	s_waitcnt vmcnt(0)
	v_cvt_f32_u32_e32 v5, v5
	v_cvt_f16_f32_e32 v9, v5
	s_branch .LBB191_1555
.LBB191_1553:
	s_mov_b64 s[4:5], -1
                                        ; implicit-def: $vgpr9
	s_branch .LBB191_1558
.LBB191_1554:
	s_mov_b64 s[4:5], -1
                                        ; implicit-def: $vgpr9
.LBB191_1555:
	s_andn2_b64 vcc, exec, s[4:5]
	s_cbranch_vccnz .LBB191_1557
; %bb.1556:
	global_load_ushort v5, v[7:8], off
	s_waitcnt vmcnt(0)
	v_cvt_f16_u16_e32 v9, v5
.LBB191_1557:
	s_mov_b64 s[4:5], 0
.LBB191_1558:
	s_andn2_b64 vcc, exec, s[4:5]
	s_cbranch_vccnz .LBB191_1566
; %bb.1559:
	global_load_ubyte v5, v[7:8], off
	s_movk_i32 s4, 0x7f
	s_waitcnt vmcnt(0)
	v_cmp_lt_i16_e32 vcc, s4, v5
	s_mov_b64 s[4:5], 0
	s_and_saveexec_b64 s[10:11], vcc
	s_xor_b64 s[10:11], exec, s[10:11]
	s_cbranch_execz .LBB191_1580
; %bb.1560:
	s_movk_i32 s4, 0x80
	v_cmp_eq_u16_e32 vcc, s4, v5
	s_mov_b64 s[4:5], -1
	s_and_saveexec_b64 s[14:15], vcc
; %bb.1561:
	s_xor_b64 s[4:5], exec, -1
; %bb.1562:
	s_or_b64 exec, exec, s[14:15]
	s_and_b64 s[4:5], s[4:5], exec
	s_or_saveexec_b64 s[10:11], s[10:11]
	v_mov_b32_e32 v9, 0x7e00
	s_xor_b64 exec, exec, s[10:11]
	s_cbranch_execnz .LBB191_1581
.LBB191_1563:
	s_or_b64 exec, exec, s[10:11]
	s_and_saveexec_b64 s[10:11], s[4:5]
	s_cbranch_execz .LBB191_1565
.LBB191_1564:
	v_lshlrev_b32_e32 v9, 24, v5
	v_and_b32_e32 v5, 0xffff, v5
	v_and_b32_e32 v11, 7, v5
	v_ffbh_u32_e32 v13, v11
	v_min_u32_e32 v13, 32, v13
	v_subrev_u32_e32 v14, 28, v13
	v_bfe_u32 v12, v5, 3, 4
	v_lshlrev_b32_e32 v5, v14, v5
	v_sub_u32_e32 v13, 29, v13
	v_and_b32_e32 v5, 7, v5
	v_cmp_eq_u32_e32 vcc, 0, v12
	v_cndmask_b32_e32 v12, v12, v13, vcc
	v_cndmask_b32_e32 v5, v11, v5, vcc
	v_mov_b32_e32 v11, 0x3b800000
	v_lshlrev_b32_e32 v5, 20, v5
	v_and_b32_e32 v9, 0x80000000, v9
	v_lshl_add_u32 v11, v12, 23, v11
	v_or3_b32 v5, v9, v11, v5
	v_cvt_f16_f32_e32 v9, v5
.LBB191_1565:
	s_or_b64 exec, exec, s[10:11]
.LBB191_1566:
	s_mov_b64 s[4:5], -1
.LBB191_1567:
	s_mov_b64 s[10:11], 0
.LBB191_1568:
	s_and_b64 vcc, exec, s[10:11]
	s_cbranch_vccz .LBB191_1601
; %bb.1569:
	s_cmp_gt_i32 s16, 22
	s_cbranch_scc0 .LBB191_1579
; %bb.1570:
	s_cmp_lt_i32 s16, 24
	s_cbranch_scc1 .LBB191_1582
; %bb.1571:
	s_cmp_gt_i32 s16, 24
	s_cbranch_scc0 .LBB191_1583
; %bb.1572:
	global_load_ubyte v5, v[7:8], off
	s_movk_i32 s2, 0x7f
	s_waitcnt vmcnt(0)
	v_cmp_lt_i16_e32 vcc, s2, v5
	s_mov_b64 s[2:3], 0
	s_and_saveexec_b64 s[4:5], vcc
	s_xor_b64 s[4:5], exec, s[4:5]
	s_cbranch_execz .LBB191_1595
; %bb.1573:
	s_movk_i32 s2, 0x80
	v_cmp_eq_u16_e32 vcc, s2, v5
	s_mov_b64 s[2:3], -1
	s_and_saveexec_b64 s[10:11], vcc
; %bb.1574:
	s_xor_b64 s[2:3], exec, -1
; %bb.1575:
	s_or_b64 exec, exec, s[10:11]
	s_and_b64 s[2:3], s[2:3], exec
	s_or_saveexec_b64 s[4:5], s[4:5]
	v_mov_b32_e32 v9, 0x7e00
	s_xor_b64 exec, exec, s[4:5]
	s_cbranch_execnz .LBB191_1596
.LBB191_1576:
	s_or_b64 exec, exec, s[4:5]
	s_and_saveexec_b64 s[4:5], s[2:3]
	s_cbranch_execz .LBB191_1578
.LBB191_1577:
	v_lshlrev_b32_e32 v9, 24, v5
	v_and_b32_e32 v5, 0xffff, v5
	v_and_b32_e32 v11, 3, v5
	v_ffbh_u32_e32 v13, v11
	v_min_u32_e32 v13, 32, v13
	v_subrev_u32_e32 v14, 29, v13
	v_bfe_u32 v12, v5, 2, 5
	v_lshlrev_b32_e32 v5, v14, v5
	v_sub_u32_e32 v13, 30, v13
	v_and_b32_e32 v5, 3, v5
	v_cmp_eq_u32_e32 vcc, 0, v12
	v_cndmask_b32_e32 v12, v12, v13, vcc
	v_cndmask_b32_e32 v5, v11, v5, vcc
	v_mov_b32_e32 v11, 0x37800000
	v_lshlrev_b32_e32 v5, 21, v5
	v_and_b32_e32 v9, 0x80000000, v9
	v_lshl_add_u32 v11, v12, 23, v11
	v_or3_b32 v5, v9, v11, v5
	v_cvt_f16_f32_e32 v9, v5
.LBB191_1578:
	s_or_b64 exec, exec, s[4:5]
	s_mov_b64 s[2:3], 0
	s_branch .LBB191_1584
.LBB191_1579:
	s_mov_b64 s[2:3], -1
                                        ; implicit-def: $vgpr9
	s_branch .LBB191_1590
.LBB191_1580:
	s_or_saveexec_b64 s[10:11], s[10:11]
	v_mov_b32_e32 v9, 0x7e00
	s_xor_b64 exec, exec, s[10:11]
	s_cbranch_execz .LBB191_1563
.LBB191_1581:
	v_cmp_ne_u16_e32 vcc, 0, v5
	s_andn2_b64 s[4:5], s[4:5], exec
	s_and_b64 s[14:15], vcc, exec
	s_or_b64 s[4:5], s[4:5], s[14:15]
	v_mov_b32_e32 v9, v5
	s_or_b64 exec, exec, s[10:11]
	s_and_saveexec_b64 s[10:11], s[4:5]
	s_cbranch_execnz .LBB191_1564
	s_branch .LBB191_1565
.LBB191_1582:
	s_mov_b64 s[2:3], -1
                                        ; implicit-def: $vgpr9
	s_branch .LBB191_1587
.LBB191_1583:
	s_mov_b64 s[2:3], -1
                                        ; implicit-def: $vgpr9
.LBB191_1584:
	s_and_b64 vcc, exec, s[2:3]
	s_cbranch_vccz .LBB191_1586
; %bb.1585:
	global_load_ubyte v5, v[7:8], off
	s_mov_b32 s2, 0x7f800000
	s_waitcnt vmcnt(0)
	v_lshlrev_b32_e32 v5, 24, v5
	v_and_b32_e32 v9, 0x7f000000, v5
	v_ffbh_u32_e32 v11, v9
	v_min_u32_e32 v11, 32, v11
	v_sub_u32_e64 v11, v11, 4 clamp
	v_lshlrev_b32_e32 v13, v11, v9
	v_lshlrev_b32_e32 v11, 23, v11
	v_lshrrev_b32_e32 v13, 4, v13
	v_add_u32_e32 v12, 0x1000000, v9
	v_sub_u32_e32 v11, v13, v11
	v_ashrrev_i32_e32 v12, 8, v12
	v_add_u32_e32 v11, 0x3c000000, v11
	v_and_or_b32 v11, v12, s2, v11
	v_cmp_ne_u32_e32 vcc, 0, v9
	v_cndmask_b32_e32 v9, 0, v11, vcc
	s_brev_b32 s2, 1
	v_and_or_b32 v5, v5, s2, v9
	v_cvt_f16_f32_e32 v9, v5
.LBB191_1586:
	s_mov_b64 s[2:3], 0
.LBB191_1587:
	s_andn2_b64 vcc, exec, s[2:3]
	s_cbranch_vccnz .LBB191_1589
; %bb.1588:
	global_load_ubyte v5, v[7:8], off
	s_movk_i32 s2, 0x7f00
	s_brev_b32 s3, 16
	s_waitcnt vmcnt(0)
	v_lshlrev_b16_e32 v9, 8, v5
	v_lshlrev_b32_e32 v5, 25, v5
	v_lshrrev_b32_e32 v11, 4, v5
	v_and_or_b32 v12, v9, s2, 0.5
	v_or_b32_e32 v11, 0x70000000, v11
	v_add_f32_e32 v12, -0.5, v12
	v_mul_f32_e32 v11, 0x7800000, v11
	v_cmp_gt_u32_e32 vcc, s3, v5
	v_bfe_i32 v9, v9, 0, 16
	v_cndmask_b32_e32 v5, v11, v12, vcc
	s_brev_b32 s2, 1
	v_and_or_b32 v5, v9, s2, v5
	v_cvt_f16_f32_e32 v9, v5
.LBB191_1589:
	s_mov_b64 s[2:3], 0
	s_mov_b64 s[4:5], -1
.LBB191_1590:
	s_andn2_b64 vcc, exec, s[2:3]
	s_mov_b64 s[2:3], 0
	s_cbranch_vccnz .LBB191_1601
; %bb.1591:
	s_cmp_gt_i32 s16, 14
	s_cbranch_scc0 .LBB191_1594
; %bb.1592:
	s_cmp_eq_u32 s16, 15
	s_cbranch_scc0 .LBB191_1597
; %bb.1593:
	global_load_ushort v5, v[7:8], off
	s_mov_b64 s[0:1], 0
	s_mov_b64 s[4:5], -1
	s_waitcnt vmcnt(0)
	v_lshlrev_b32_e32 v5, 16, v5
	v_cvt_f16_f32_e32 v9, v5
	s_branch .LBB191_1598
.LBB191_1594:
	s_mov_b64 s[10:11], -1
                                        ; implicit-def: $vgpr9
	s_branch .LBB191_1599
.LBB191_1595:
	s_or_saveexec_b64 s[4:5], s[4:5]
	v_mov_b32_e32 v9, 0x7e00
	s_xor_b64 exec, exec, s[4:5]
	s_cbranch_execz .LBB191_1576
.LBB191_1596:
	v_cmp_ne_u16_e32 vcc, 0, v5
	s_andn2_b64 s[2:3], s[2:3], exec
	s_and_b64 s[10:11], vcc, exec
	s_or_b64 s[2:3], s[2:3], s[10:11]
	v_mov_b32_e32 v9, v5
	s_or_b64 exec, exec, s[4:5]
	s_and_saveexec_b64 s[4:5], s[2:3]
	s_cbranch_execnz .LBB191_1577
	s_branch .LBB191_1578
.LBB191_1597:
	s_mov_b64 s[0:1], -1
                                        ; implicit-def: $vgpr9
.LBB191_1598:
	s_mov_b64 s[10:11], 0
.LBB191_1599:
	s_and_b64 vcc, exec, s[10:11]
	s_cbranch_vccz .LBB191_1601
; %bb.1600:
	s_cmp_lg_u32 s16, 11
	s_mov_b64 s[2:3], -1
	s_cselect_b64 s[0:1], -1, 0
.LBB191_1601:
	s_and_b64 vcc, exec, s[0:1]
	s_cbranch_vccnz .LBB191_2134
; %bb.1602:
	s_andn2_b64 vcc, exec, s[2:3]
	s_cbranch_vccnz .LBB191_1604
.LBB191_1603:
	global_load_ubyte v5, v[7:8], off
	v_mov_b32_e32 v9, 0x3c00
	s_mov_b64 s[4:5], -1
	s_waitcnt vmcnt(0)
	v_cmp_ne_u16_e32 vcc, 0, v5
	v_cndmask_b32_e32 v9, 0, v9, vcc
.LBB191_1604:
	s_mov_b64 s[0:1], 0
.LBB191_1605:
	s_and_b64 vcc, exec, s[0:1]
	s_cbranch_vccz .LBB191_1654
; %bb.1606:
	s_and_b32 s2, 0xffff, s18
	s_cmp_lt_i32 s2, 5
	s_cbranch_scc1 .LBB191_1611
; %bb.1607:
	s_cmp_lt_i32 s2, 8
	s_cbranch_scc1 .LBB191_1612
; %bb.1608:
	;; [unrolled: 3-line block ×3, first 2 shown]
	s_cmp_gt_i32 s2, 9
	s_cbranch_scc0 .LBB191_1614
; %bb.1610:
	global_load_dwordx2 v[11:12], v[7:8], off
	s_movk_i32 s0, 0x1ff
	s_movk_i32 s1, 0xffe
	v_mov_b32_e32 v5, 0x7c00
	v_mov_b32_e32 v9, 0x7e00
	s_movk_i32 s3, 0x40f
	s_mov_b32 s4, 0x8000
	s_waitcnt vmcnt(0)
	v_and_or_b32 v11, v12, s0, v11
	v_cmp_ne_u32_e32 vcc, 0, v11
	v_lshrrev_b32_e32 v13, 8, v12
	v_bfe_u32 v14, v12, 20, 11
	v_cndmask_b32_e64 v11, 0, 1, vcc
	v_sub_u32_e32 v15, 0x3f1, v14
	v_and_or_b32 v11, v13, s1, v11
	v_add_u32_e32 v14, 0xfffffc10, v14
	v_med3_i32 v13, v15, 0, 13
	v_or_b32_e32 v15, 0x1000, v11
	v_lshl_or_b32 v16, v14, 12, v11
	v_cmp_ne_u32_e32 vcc, 0, v11
	v_lshrrev_b32_e32 v11, v13, v15
	v_lshlrev_b32_e32 v13, v13, v11
	v_cndmask_b32_e32 v9, v5, v9, vcc
	v_cmp_ne_u32_e32 vcc, v13, v15
	v_cndmask_b32_e64 v13, 0, 1, vcc
	v_or_b32_e32 v11, v11, v13
	v_cmp_gt_i32_e32 vcc, 1, v14
	v_cndmask_b32_e32 v11, v16, v11, vcc
	v_and_b32_e32 v13, 7, v11
	v_cmp_lt_i32_e32 vcc, 5, v13
	v_cndmask_b32_e64 v15, 0, 1, vcc
	v_cmp_eq_u32_e32 vcc, 3, v13
	v_cndmask_b32_e64 v13, 0, 1, vcc
	v_lshrrev_b32_e32 v11, 2, v11
	v_or_b32_e32 v13, v13, v15
	v_add_u32_e32 v11, v11, v13
	v_cmp_gt_i32_e32 vcc, 31, v14
	v_cndmask_b32_e32 v5, v5, v11, vcc
	v_cmp_eq_u32_e32 vcc, s3, v14
	v_lshrrev_b32_e32 v12, 16, v12
	v_cndmask_b32_e32 v5, v5, v9, vcc
	v_and_or_b32 v9, v12, s4, v5
	s_mov_b64 s[0:1], 0
	s_branch .LBB191_1615
.LBB191_1611:
	s_mov_b64 s[0:1], -1
                                        ; implicit-def: $vgpr9
	s_branch .LBB191_1633
.LBB191_1612:
	s_mov_b64 s[0:1], -1
                                        ; implicit-def: $vgpr9
	s_branch .LBB191_1621
.LBB191_1613:
	s_mov_b64 s[0:1], -1
                                        ; implicit-def: $vgpr9
	s_branch .LBB191_1618
.LBB191_1614:
	s_mov_b64 s[0:1], -1
                                        ; implicit-def: $vgpr9
.LBB191_1615:
	s_andn2_b64 vcc, exec, s[0:1]
	s_cbranch_vccnz .LBB191_1617
; %bb.1616:
	global_load_dword v5, v[7:8], off
	s_waitcnt vmcnt(0)
	v_cvt_f16_f32_e32 v9, v5
.LBB191_1617:
	s_mov_b64 s[0:1], 0
.LBB191_1618:
	s_andn2_b64 vcc, exec, s[0:1]
	s_cbranch_vccnz .LBB191_1620
; %bb.1619:
	global_load_dword v9, v[7:8], off
.LBB191_1620:
	s_mov_b64 s[0:1], 0
.LBB191_1621:
	s_andn2_b64 vcc, exec, s[0:1]
	s_cbranch_vccnz .LBB191_1632
; %bb.1622:
	s_cmp_lt_i32 s2, 6
	s_cbranch_scc1 .LBB191_1625
; %bb.1623:
	s_cmp_gt_i32 s2, 6
	s_cbranch_scc0 .LBB191_1626
; %bb.1624:
	global_load_dwordx2 v[11:12], v[7:8], off
	s_movk_i32 s0, 0x1ff
	s_movk_i32 s1, 0xffe
	v_mov_b32_e32 v5, 0x7c00
	s_waitcnt vmcnt(1)
	v_mov_b32_e32 v9, 0x7e00
	s_movk_i32 s3, 0x40f
	s_mov_b32 s4, 0x8000
	s_waitcnt vmcnt(0)
	v_and_or_b32 v11, v12, s0, v11
	v_cmp_ne_u32_e32 vcc, 0, v11
	v_lshrrev_b32_e32 v13, 8, v12
	v_bfe_u32 v14, v12, 20, 11
	v_cndmask_b32_e64 v11, 0, 1, vcc
	v_sub_u32_e32 v15, 0x3f1, v14
	v_and_or_b32 v11, v13, s1, v11
	v_add_u32_e32 v14, 0xfffffc10, v14
	v_med3_i32 v13, v15, 0, 13
	v_or_b32_e32 v15, 0x1000, v11
	v_lshl_or_b32 v16, v14, 12, v11
	v_cmp_ne_u32_e32 vcc, 0, v11
	v_lshrrev_b32_e32 v11, v13, v15
	v_lshlrev_b32_e32 v13, v13, v11
	v_cndmask_b32_e32 v9, v5, v9, vcc
	v_cmp_ne_u32_e32 vcc, v13, v15
	v_cndmask_b32_e64 v13, 0, 1, vcc
	v_or_b32_e32 v11, v11, v13
	v_cmp_gt_i32_e32 vcc, 1, v14
	v_cndmask_b32_e32 v11, v16, v11, vcc
	v_and_b32_e32 v13, 7, v11
	v_cmp_lt_i32_e32 vcc, 5, v13
	v_cndmask_b32_e64 v15, 0, 1, vcc
	v_cmp_eq_u32_e32 vcc, 3, v13
	v_cndmask_b32_e64 v13, 0, 1, vcc
	v_lshrrev_b32_e32 v11, 2, v11
	v_or_b32_e32 v13, v13, v15
	v_add_u32_e32 v11, v11, v13
	v_cmp_gt_i32_e32 vcc, 31, v14
	v_cndmask_b32_e32 v5, v5, v11, vcc
	v_cmp_eq_u32_e32 vcc, s3, v14
	v_lshrrev_b32_e32 v12, 16, v12
	v_cndmask_b32_e32 v5, v5, v9, vcc
	v_and_or_b32 v9, v12, s4, v5
	s_mov_b64 s[0:1], 0
	s_branch .LBB191_1627
.LBB191_1625:
	s_mov_b64 s[0:1], -1
                                        ; implicit-def: $vgpr9
	s_branch .LBB191_1630
.LBB191_1626:
	s_mov_b64 s[0:1], -1
                                        ; implicit-def: $vgpr9
.LBB191_1627:
	s_andn2_b64 vcc, exec, s[0:1]
	s_cbranch_vccnz .LBB191_1629
; %bb.1628:
	global_load_dword v5, v[7:8], off
	s_waitcnt vmcnt(0)
	v_cvt_f16_f32_e32 v9, v5
.LBB191_1629:
	s_mov_b64 s[0:1], 0
.LBB191_1630:
	s_andn2_b64 vcc, exec, s[0:1]
	s_cbranch_vccnz .LBB191_1632
; %bb.1631:
	global_load_ushort v9, v[7:8], off
.LBB191_1632:
	s_mov_b64 s[0:1], 0
.LBB191_1633:
	s_andn2_b64 vcc, exec, s[0:1]
	s_cbranch_vccnz .LBB191_1653
; %bb.1634:
	s_cmp_lt_i32 s2, 2
	s_cbranch_scc1 .LBB191_1638
; %bb.1635:
	s_cmp_lt_i32 s2, 3
	s_cbranch_scc1 .LBB191_1639
; %bb.1636:
	s_cmp_gt_i32 s2, 3
	s_cbranch_scc0 .LBB191_1640
; %bb.1637:
	global_load_dwordx2 v[11:12], v[7:8], off
	s_mov_b64 s[0:1], 0
	s_waitcnt vmcnt(0)
	v_xor_b32_e32 v9, v11, v12
	v_ffbh_i32_e32 v5, v12
	v_ashrrev_i32_e32 v9, 31, v9
	v_add_u32_e32 v5, -1, v5
	v_add_u32_e32 v9, 32, v9
	v_min_u32_e32 v5, v5, v9
	v_lshlrev_b64 v[11:12], v5, v[11:12]
	v_sub_u32_e32 v5, 32, v5
	v_min_u32_e32 v9, 1, v11
	v_or_b32_e32 v9, v12, v9
	v_cvt_f32_i32_e32 v9, v9
	v_ldexp_f32 v5, v9, v5
	v_cvt_f16_f32_e32 v9, v5
	s_branch .LBB191_1641
.LBB191_1638:
	s_mov_b64 s[0:1], -1
                                        ; implicit-def: $vgpr9
	s_branch .LBB191_1647
.LBB191_1639:
	s_mov_b64 s[0:1], -1
                                        ; implicit-def: $vgpr9
	s_branch .LBB191_1644
.LBB191_1640:
	s_mov_b64 s[0:1], -1
                                        ; implicit-def: $vgpr9
.LBB191_1641:
	s_andn2_b64 vcc, exec, s[0:1]
	s_cbranch_vccnz .LBB191_1643
; %bb.1642:
	global_load_dword v5, v[7:8], off
	s_waitcnt vmcnt(0)
	v_cvt_f32_i32_e32 v5, v5
	v_cvt_f16_f32_e32 v9, v5
.LBB191_1643:
	s_mov_b64 s[0:1], 0
.LBB191_1644:
	s_andn2_b64 vcc, exec, s[0:1]
	s_cbranch_vccnz .LBB191_1646
; %bb.1645:
	global_load_ushort v5, v[7:8], off
	s_waitcnt vmcnt(0)
	v_cvt_f16_i16_e32 v9, v5
.LBB191_1646:
	s_mov_b64 s[0:1], 0
.LBB191_1647:
	s_andn2_b64 vcc, exec, s[0:1]
	s_cbranch_vccnz .LBB191_1653
; %bb.1648:
	s_cmp_gt_i32 s2, 0
	s_cbranch_scc0 .LBB191_1650
; %bb.1649:
	global_load_sbyte v5, v[7:8], off
	s_mov_b64 s[0:1], 0
	s_waitcnt vmcnt(0)
	v_cvt_f16_i16_e32 v9, v5
	s_branch .LBB191_1651
.LBB191_1650:
	s_mov_b64 s[0:1], -1
                                        ; implicit-def: $vgpr9
.LBB191_1651:
	s_andn2_b64 vcc, exec, s[0:1]
	s_cbranch_vccnz .LBB191_1653
; %bb.1652:
	global_load_ubyte v5, v[7:8], off
	s_waitcnt vmcnt(0)
	v_cvt_f16_u16_e32 v9, v5
.LBB191_1653:
	s_mov_b64 s[4:5], -1
.LBB191_1654:
	s_andn2_b64 vcc, exec, s[4:5]
	s_cbranch_vccnz .LBB191_2088
; %bb.1655:
	s_load_dwordx2 s[10:11], s[34:35], 0x158
	s_load_dword s2, s[34:35], 0x160
	s_waitcnt lgkmcnt(0)
	v_cmp_eq_f16_e32 vcc, s11, v1
	s_cmp_eq_u32 s10, 0
	v_cndmask_b32_e64 v5, 0, 1, vcc
	v_cmp_neq_f16_e32 vcc, s11, v1
	v_cndmask_b32_e64 v1, 0, 1, vcc
	s_cselect_b64 s[0:1], -1, 0
	v_cndmask_b32_e64 v1, v1, v5, s[0:1]
	v_and_b32_e32 v1, 1, v1
	s_and_b32 s22, s2, 0xff
	v_cmp_eq_u32_e64 s[2:3], 1, v1
	v_mov_b32_e32 v1, s9
	v_add_co_u32_e32 v5, vcc, s8, v6
	s_cmp_lt_i32 s22, 11
	v_addc_co_u32_e32 v6, vcc, 0, v1, vcc
	s_cbranch_scc1 .LBB191_1733
; %bb.1656:
	s_and_b32 s10, 0xffff, s22
	s_mov_b64 s[18:19], -1
	s_mov_b64 s[14:15], 0
	s_cmp_gt_i32 s10, 25
	s_mov_b64 s[16:17], 0
	s_mov_b64 s[4:5], 0
	s_cbranch_scc0 .LBB191_1689
; %bb.1657:
	s_cmp_gt_i32 s10, 28
	s_cbranch_scc0 .LBB191_1672
; %bb.1658:
	s_cmp_gt_i32 s10, 43
	;; [unrolled: 3-line block ×3, first 2 shown]
	s_cbranch_scc0 .LBB191_1662
; %bb.1660:
	s_mov_b64 s[4:5], -1
	s_mov_b64 s[18:19], 0
	s_cmp_eq_u32 s10, 46
	s_cbranch_scc0 .LBB191_1662
; %bb.1661:
	v_cndmask_b32_e64 v1, 0, 1.0, s[2:3]
	v_bfe_u32 v7, v1, 16, 1
	s_movk_i32 s4, 0x7fff
	v_add3_u32 v1, v1, v7, s4
	v_lshrrev_b32_e32 v1, 16, v1
	global_store_dword v[5:6], v1, off
	s_mov_b64 s[4:5], 0
	s_mov_b64 s[16:17], -1
.LBB191_1662:
	s_and_b64 vcc, exec, s[18:19]
	s_cbranch_vccz .LBB191_1667
; %bb.1663:
	s_cmp_eq_u32 s10, 44
	s_mov_b64 s[4:5], -1
	s_cbranch_scc0 .LBB191_1667
; %bb.1664:
	v_cndmask_b32_e64 v7, 0, 1.0, s[2:3]
	v_lshrrev_b32_e32 v1, 23, v7
	s_movk_i32 s4, 0xff
	v_cmp_ne_u32_e32 vcc, s4, v1
	v_mov_b32_e32 v8, 0xff
	s_and_saveexec_b64 s[16:17], vcc
; %bb.1665:
	s_mov_b32 s4, 0x3fffff
	v_and_b32_e32 v8, 0x400000, v7
	v_and_or_b32 v7, v7, s4, v1
	v_cmp_ne_u32_e32 vcc, 0, v8
	v_cmp_ne_u32_e64 s[4:5], 0, v7
	s_and_b64 s[4:5], vcc, s[4:5]
	v_cndmask_b32_e64 v7, 0, 1, s[4:5]
	v_add_u32_e32 v8, v1, v7
; %bb.1666:
	s_or_b64 exec, exec, s[16:17]
	s_mov_b64 s[4:5], 0
	s_mov_b64 s[16:17], -1
	global_store_byte v[5:6], v8, off
.LBB191_1667:
	s_mov_b64 s[18:19], 0
.LBB191_1668:
	s_and_b64 vcc, exec, s[18:19]
	s_cbranch_vccz .LBB191_1671
; %bb.1669:
	s_cmp_eq_u32 s10, 29
	s_mov_b64 s[4:5], -1
	s_cbranch_scc0 .LBB191_1671
; %bb.1670:
	s_mov_b32 s4, 0
	v_cndmask_b32_e64 v7, 0, 1, s[2:3]
	v_mov_b32_e32 v8, s4
	global_store_dwordx2 v[5:6], v[7:8], off
	s_mov_b64 s[4:5], 0
	s_mov_b64 s[16:17], -1
.LBB191_1671:
	s_mov_b64 s[18:19], 0
.LBB191_1672:
	s_and_b64 vcc, exec, s[18:19]
	s_cbranch_vccz .LBB191_1688
; %bb.1673:
	s_cmp_lt_i32 s10, 27
	s_mov_b64 s[16:17], -1
	s_cbranch_scc1 .LBB191_1679
; %bb.1674:
	s_cmp_gt_i32 s10, 27
	s_cbranch_scc0 .LBB191_1676
; %bb.1675:
	v_cndmask_b32_e64 v1, 0, 1, s[2:3]
	s_mov_b64 s[16:17], 0
	global_store_dword v[5:6], v1, off
.LBB191_1676:
	s_andn2_b64 vcc, exec, s[16:17]
	s_cbranch_vccnz .LBB191_1678
; %bb.1677:
	v_cndmask_b32_e64 v1, 0, 1, s[2:3]
	global_store_short v[5:6], v1, off
.LBB191_1678:
	s_mov_b64 s[16:17], 0
.LBB191_1679:
	s_andn2_b64 vcc, exec, s[16:17]
	s_cbranch_vccnz .LBB191_1687
; %bb.1680:
	v_cndmask_b32_e64 v7, 0, 1.0, s[2:3]
	s_mov_b32 s16, 0x43800000
	v_cmp_gt_u32_e32 vcc, s16, v7
	v_mov_b32_e32 v8, 0x80
	s_and_saveexec_b64 s[16:17], vcc
	s_cbranch_execz .LBB191_1686
; %bb.1681:
	s_mov_b32 s18, 0x3bffffff
	v_cmp_lt_u32_e32 vcc, s18, v7
	s_mov_b64 s[18:19], 0
                                        ; implicit-def: $vgpr1
	s_and_saveexec_b64 s[20:21], vcc
	s_xor_b64 s[20:21], exec, s[20:21]
	s_cbranch_execz .LBB191_2135
; %bb.1682:
	v_bfe_u32 v1, v7, 20, 1
	s_mov_b32 s23, 0x487ffff
	v_add3_u32 v1, v7, v1, s23
	s_mov_b64 s[18:19], exec
	v_lshrrev_b32_e32 v1, 20, v1
                                        ; implicit-def: $vgpr7
	s_andn2_saveexec_b64 s[20:21], s[20:21]
	s_cbranch_execnz .LBB191_2136
.LBB191_1683:
	s_or_b64 exec, exec, s[20:21]
	v_mov_b32_e32 v8, 0
	s_and_saveexec_b64 s[20:21], s[18:19]
.LBB191_1684:
	v_mov_b32_e32 v8, v1
.LBB191_1685:
	s_or_b64 exec, exec, s[20:21]
.LBB191_1686:
	s_or_b64 exec, exec, s[16:17]
	global_store_byte v[5:6], v8, off
.LBB191_1687:
	s_mov_b64 s[16:17], -1
.LBB191_1688:
	s_mov_b64 s[18:19], 0
.LBB191_1689:
	s_and_b64 vcc, exec, s[18:19]
	s_cbranch_vccz .LBB191_1729
; %bb.1690:
	s_cmp_gt_i32 s10, 22
	s_mov_b64 s[14:15], -1
	s_cbranch_scc0 .LBB191_1722
; %bb.1691:
	s_cmp_lt_i32 s10, 24
	s_cbranch_scc1 .LBB191_1711
; %bb.1692:
	s_cmp_gt_i32 s10, 24
	s_cbranch_scc0 .LBB191_1700
; %bb.1693:
	v_cndmask_b32_e64 v7, 0, 1.0, s[2:3]
	s_mov_b32 s14, 0x47800000
	v_cmp_gt_u32_e32 vcc, s14, v7
	v_mov_b32_e32 v8, 0x80
	s_and_saveexec_b64 s[14:15], vcc
	s_cbranch_execz .LBB191_1699
; %bb.1694:
	s_mov_b32 s16, 0x37ffffff
	v_cmp_lt_u32_e32 vcc, s16, v7
	s_mov_b64 s[16:17], 0
                                        ; implicit-def: $vgpr1
	s_and_saveexec_b64 s[18:19], vcc
	s_xor_b64 s[18:19], exec, s[18:19]
	s_cbranch_execz .LBB191_2138
; %bb.1695:
	v_bfe_u32 v1, v7, 21, 1
	s_mov_b32 s20, 0x88fffff
	v_add3_u32 v1, v7, v1, s20
	s_mov_b64 s[16:17], exec
	v_lshrrev_b32_e32 v1, 21, v1
                                        ; implicit-def: $vgpr7
	s_andn2_saveexec_b64 s[18:19], s[18:19]
	s_cbranch_execnz .LBB191_2139
.LBB191_1696:
	s_or_b64 exec, exec, s[18:19]
	v_mov_b32_e32 v8, 0
	s_and_saveexec_b64 s[18:19], s[16:17]
.LBB191_1697:
	v_mov_b32_e32 v8, v1
.LBB191_1698:
	s_or_b64 exec, exec, s[18:19]
.LBB191_1699:
	s_or_b64 exec, exec, s[14:15]
	s_mov_b64 s[14:15], 0
	global_store_byte v[5:6], v8, off
.LBB191_1700:
	s_and_b64 vcc, exec, s[14:15]
	s_cbranch_vccz .LBB191_1710
; %bb.1701:
	v_cndmask_b32_e64 v1, 0, 1.0, s[2:3]
	s_mov_b32 s14, 0x43f00000
	v_cmp_gt_u32_e32 vcc, s14, v1
                                        ; implicit-def: $vgpr7
	s_and_saveexec_b64 s[14:15], vcc
	s_xor_b64 s[14:15], exec, s[14:15]
	s_cbranch_execz .LBB191_1707
; %bb.1702:
	s_mov_b32 s16, 0x3c7fffff
	v_cmp_lt_u32_e32 vcc, s16, v1
                                        ; implicit-def: $vgpr7
	s_and_saveexec_b64 s[16:17], vcc
	s_xor_b64 s[16:17], exec, s[16:17]
; %bb.1703:
	v_bfe_u32 v7, v1, 20, 1
	s_mov_b32 s18, 0x407ffff
	v_add3_u32 v1, v1, v7, s18
	v_lshrrev_b32_e32 v7, 20, v1
	v_and_b32_e32 v1, 0xff00000, v1
	s_mov_b32 s18, 0x7f00000
	v_mov_b32_e32 v8, 0x7e
	v_cmp_ne_u32_e32 vcc, s18, v1
	v_cndmask_b32_e32 v7, v8, v7, vcc
                                        ; implicit-def: $vgpr1
; %bb.1704:
	s_andn2_saveexec_b64 s[16:17], s[16:17]
; %bb.1705:
	v_add_f32_e32 v7, 0x46800000, v1
; %bb.1706:
	s_or_b64 exec, exec, s[16:17]
                                        ; implicit-def: $vgpr1
.LBB191_1707:
	s_andn2_saveexec_b64 s[14:15], s[14:15]
; %bb.1708:
	s_mov_b32 s16, 0x7f800000
	v_mov_b32_e32 v7, 0x7e
	v_mov_b32_e32 v8, 0x7f
	v_cmp_lt_u32_e32 vcc, s16, v1
	v_cndmask_b32_e32 v7, v7, v8, vcc
; %bb.1709:
	s_or_b64 exec, exec, s[14:15]
	global_store_byte v[5:6], v7, off
.LBB191_1710:
	s_mov_b64 s[14:15], 0
.LBB191_1711:
	s_andn2_b64 vcc, exec, s[14:15]
	s_cbranch_vccnz .LBB191_1721
; %bb.1712:
	v_cndmask_b32_e64 v1, 0, 1.0, s[2:3]
	s_mov_b32 s14, 0x47800000
	v_cmp_gt_u32_e32 vcc, s14, v1
                                        ; implicit-def: $vgpr7
	s_and_saveexec_b64 s[14:15], vcc
	s_xor_b64 s[14:15], exec, s[14:15]
	s_cbranch_execz .LBB191_1718
; %bb.1713:
	s_mov_b32 s16, 0x387fffff
	v_cmp_lt_u32_e32 vcc, s16, v1
                                        ; implicit-def: $vgpr7
	s_and_saveexec_b64 s[16:17], vcc
	s_xor_b64 s[16:17], exec, s[16:17]
; %bb.1714:
	v_bfe_u32 v7, v1, 21, 1
	s_mov_b32 s18, 0x80fffff
	v_add3_u32 v1, v1, v7, s18
	v_lshrrev_b32_e32 v7, 21, v1
                                        ; implicit-def: $vgpr1
; %bb.1715:
	s_andn2_saveexec_b64 s[16:17], s[16:17]
; %bb.1716:
	v_add_f32_e32 v7, 0x43000000, v1
; %bb.1717:
	s_or_b64 exec, exec, s[16:17]
                                        ; implicit-def: $vgpr1
.LBB191_1718:
	s_andn2_saveexec_b64 s[14:15], s[14:15]
; %bb.1719:
	s_mov_b32 s16, 0x7f800000
	v_mov_b32_e32 v7, 0x7c
	v_mov_b32_e32 v8, 0x7f
	v_cmp_lt_u32_e32 vcc, s16, v1
	v_cndmask_b32_e32 v7, v7, v8, vcc
; %bb.1720:
	s_or_b64 exec, exec, s[14:15]
	global_store_byte v[5:6], v7, off
.LBB191_1721:
	s_mov_b64 s[14:15], 0
	s_mov_b64 s[16:17], -1
.LBB191_1722:
	s_andn2_b64 vcc, exec, s[14:15]
	s_mov_b64 s[14:15], 0
	s_cbranch_vccnz .LBB191_1729
; %bb.1723:
	s_cmp_gt_i32 s10, 14
	s_mov_b64 s[18:19], -1
	s_cbranch_scc0 .LBB191_1727
; %bb.1724:
	s_cmp_eq_u32 s10, 15
	s_mov_b64 s[4:5], -1
	s_cbranch_scc0 .LBB191_1726
; %bb.1725:
	v_cndmask_b32_e64 v1, 0, 1.0, s[2:3]
	v_bfe_u32 v7, v1, 16, 1
	s_movk_i32 s4, 0x7fff
	v_add3_u32 v1, v1, v7, s4
	global_store_short_d16_hi v[5:6], v1, off
	s_mov_b64 s[4:5], 0
	s_mov_b64 s[16:17], -1
.LBB191_1726:
	s_mov_b64 s[18:19], 0
.LBB191_1727:
	s_and_b64 vcc, exec, s[18:19]
	s_cbranch_vccz .LBB191_1729
; %bb.1728:
	s_cmp_lg_u32 s10, 11
	s_mov_b64 s[14:15], -1
	s_cselect_b64 s[4:5], -1, 0
.LBB191_1729:
	s_and_b64 vcc, exec, s[4:5]
	s_cbranch_vccnz .LBB191_2137
; %bb.1730:
	s_andn2_b64 vcc, exec, s[14:15]
	s_cbranch_vccnz .LBB191_1732
.LBB191_1731:
	v_cndmask_b32_e64 v1, 0, 1, s[2:3]
	s_mov_b64 s[16:17], -1
	global_store_byte v[5:6], v1, off
.LBB191_1732:
	s_mov_b64 s[4:5], 0
	s_branch .LBB191_1734
.LBB191_1733:
	s_mov_b64 s[4:5], -1
	s_mov_b64 s[16:17], 0
.LBB191_1734:
	s_and_b64 vcc, exec, s[4:5]
	s_cbranch_vccz .LBB191_1773
; %bb.1735:
	s_and_b32 s10, 0xffff, s22
	s_cmp_lt_i32 s10, 5
	s_mov_b64 s[4:5], -1
	s_cbranch_scc1 .LBB191_1756
; %bb.1736:
	s_cmp_lt_i32 s10, 8
	s_cbranch_scc1 .LBB191_1746
; %bb.1737:
	s_cmp_lt_i32 s10, 9
	s_cbranch_scc1 .LBB191_1743
; %bb.1738:
	s_cmp_gt_i32 s10, 9
	s_cbranch_scc0 .LBB191_1740
; %bb.1739:
	v_cndmask_b32_e64 v1, 0, 1, s[2:3]
	v_cvt_f64_u32_e32 v[11:12], v1
	v_mov_b32_e32 v13, 0
	v_mov_b32_e32 v14, v13
	s_mov_b64 s[4:5], 0
	global_store_dwordx4 v[5:6], v[11:14], off
.LBB191_1740:
	s_andn2_b64 vcc, exec, s[4:5]
	s_cbranch_vccnz .LBB191_1742
; %bb.1741:
	v_cndmask_b32_e64 v7, 0, 1.0, s[2:3]
	v_mov_b32_e32 v8, 0
	global_store_dwordx2 v[5:6], v[7:8], off
.LBB191_1742:
	s_mov_b64 s[4:5], 0
.LBB191_1743:
	s_andn2_b64 vcc, exec, s[4:5]
	s_cbranch_vccnz .LBB191_1745
; %bb.1744:
	v_cndmask_b32_e64 v1, 0, 1.0, s[2:3]
	v_cvt_f16_f32_e32 v1, v1
	global_store_dword v[5:6], v1, off
.LBB191_1745:
	s_mov_b64 s[4:5], 0
.LBB191_1746:
	s_andn2_b64 vcc, exec, s[4:5]
	s_cbranch_vccnz .LBB191_1755
; %bb.1747:
	s_cmp_lt_i32 s10, 6
	s_mov_b64 s[4:5], -1
	s_cbranch_scc1 .LBB191_1753
; %bb.1748:
	s_cmp_gt_i32 s10, 6
	s_cbranch_scc0 .LBB191_1750
; %bb.1749:
	v_cndmask_b32_e64 v1, 0, 1, s[2:3]
	v_cvt_f64_u32_e32 v[7:8], v1
	s_mov_b64 s[4:5], 0
	global_store_dwordx2 v[5:6], v[7:8], off
.LBB191_1750:
	s_andn2_b64 vcc, exec, s[4:5]
	s_cbranch_vccnz .LBB191_1752
; %bb.1751:
	v_cndmask_b32_e64 v1, 0, 1.0, s[2:3]
	global_store_dword v[5:6], v1, off
.LBB191_1752:
	s_mov_b64 s[4:5], 0
.LBB191_1753:
	s_andn2_b64 vcc, exec, s[4:5]
	s_cbranch_vccnz .LBB191_1755
; %bb.1754:
	v_cndmask_b32_e64 v1, 0, 1.0, s[2:3]
	v_cvt_f16_f32_e32 v1, v1
	global_store_short v[5:6], v1, off
.LBB191_1755:
	s_mov_b64 s[4:5], 0
.LBB191_1756:
	s_andn2_b64 vcc, exec, s[4:5]
	s_cbranch_vccnz .LBB191_1772
; %bb.1757:
	s_cmp_lt_i32 s10, 2
	s_mov_b64 s[4:5], -1
	s_cbranch_scc1 .LBB191_1767
; %bb.1758:
	s_cmp_lt_i32 s10, 3
	s_cbranch_scc1 .LBB191_1764
; %bb.1759:
	s_cmp_gt_i32 s10, 3
	s_cbranch_scc0 .LBB191_1761
; %bb.1760:
	s_mov_b32 s4, 0
	v_cndmask_b32_e64 v7, 0, 1, s[2:3]
	v_mov_b32_e32 v8, s4
	global_store_dwordx2 v[5:6], v[7:8], off
	s_mov_b64 s[4:5], 0
.LBB191_1761:
	s_andn2_b64 vcc, exec, s[4:5]
	s_cbranch_vccnz .LBB191_1763
; %bb.1762:
	v_cndmask_b32_e64 v1, 0, 1, s[2:3]
	global_store_dword v[5:6], v1, off
.LBB191_1763:
	s_mov_b64 s[4:5], 0
.LBB191_1764:
	s_andn2_b64 vcc, exec, s[4:5]
	s_cbranch_vccnz .LBB191_1766
; %bb.1765:
	v_cndmask_b32_e64 v1, 0, 1, s[2:3]
	global_store_short v[5:6], v1, off
.LBB191_1766:
	s_mov_b64 s[4:5], 0
.LBB191_1767:
	s_andn2_b64 vcc, exec, s[4:5]
	s_cbranch_vccnz .LBB191_1772
; %bb.1768:
	s_mov_b64 s[4:5], -1
	s_cmp_gt_i32 s10, 0
	v_cndmask_b32_e64 v1, 0, 1, s[2:3]
	s_cbranch_scc0 .LBB191_1770
; %bb.1769:
	global_store_byte v[5:6], v1, off
	s_mov_b64 s[4:5], 0
.LBB191_1770:
	s_andn2_b64 vcc, exec, s[4:5]
	s_cbranch_vccnz .LBB191_1772
; %bb.1771:
	global_store_byte v[5:6], v1, off
.LBB191_1772:
	s_mov_b64 s[16:17], -1
.LBB191_1773:
	s_andn2_b64 vcc, exec, s[16:17]
	s_cbranch_vccnz .LBB191_2088
; %bb.1774:
	s_waitcnt vmcnt(0)
	v_cmp_eq_f16_e32 vcc, s11, v3
	v_cndmask_b32_e64 v1, 0, 1, vcc
	v_cmp_neq_f16_e32 vcc, s11, v3
	v_cndmask_b32_e64 v3, 0, 1, vcc
	v_cndmask_b32_e64 v1, v3, v1, s[0:1]
	v_and_b32_e32 v1, 1, v1
	v_cmp_eq_u32_e64 s[2:3], 1, v1
	v_mov_b32_e32 v1, s9
	s_and_b32 s23, 0xffff, s22
	v_add_co_u32_e32 v3, vcc, s8, v4
	s_cmp_lt_i32 s23, 11
	v_addc_co_u32_e32 v4, vcc, 0, v1, vcc
	s_cbranch_scc1 .LBB191_1852
; %bb.1775:
	s_mov_b64 s[18:19], -1
	s_mov_b64 s[14:15], 0
	s_cmp_gt_i32 s23, 25
	s_mov_b64 s[16:17], 0
	s_mov_b64 s[4:5], 0
	s_cbranch_scc0 .LBB191_1808
; %bb.1776:
	s_cmp_gt_i32 s23, 28
	s_cbranch_scc0 .LBB191_1791
; %bb.1777:
	s_cmp_gt_i32 s23, 43
	;; [unrolled: 3-line block ×3, first 2 shown]
	s_cbranch_scc0 .LBB191_1781
; %bb.1779:
	s_mov_b64 s[4:5], -1
	s_mov_b64 s[18:19], 0
	s_cmp_eq_u32 s23, 46
	s_cbranch_scc0 .LBB191_1781
; %bb.1780:
	v_cndmask_b32_e64 v1, 0, 1.0, s[2:3]
	v_bfe_u32 v5, v1, 16, 1
	s_movk_i32 s4, 0x7fff
	v_add3_u32 v1, v1, v5, s4
	v_lshrrev_b32_e32 v1, 16, v1
	global_store_dword v[3:4], v1, off
	s_mov_b64 s[4:5], 0
	s_mov_b64 s[16:17], -1
.LBB191_1781:
	s_and_b64 vcc, exec, s[18:19]
	s_cbranch_vccz .LBB191_1786
; %bb.1782:
	s_cmp_eq_u32 s23, 44
	s_mov_b64 s[4:5], -1
	s_cbranch_scc0 .LBB191_1786
; %bb.1783:
	v_cndmask_b32_e64 v5, 0, 1.0, s[2:3]
	v_lshrrev_b32_e32 v1, 23, v5
	s_movk_i32 s4, 0xff
	v_cmp_ne_u32_e32 vcc, s4, v1
	v_mov_b32_e32 v6, 0xff
	s_and_saveexec_b64 s[16:17], vcc
; %bb.1784:
	s_mov_b32 s4, 0x3fffff
	v_and_b32_e32 v6, 0x400000, v5
	v_and_or_b32 v5, v5, s4, v1
	v_cmp_ne_u32_e32 vcc, 0, v6
	v_cmp_ne_u32_e64 s[4:5], 0, v5
	s_and_b64 s[4:5], vcc, s[4:5]
	v_cndmask_b32_e64 v5, 0, 1, s[4:5]
	v_add_u32_e32 v6, v1, v5
; %bb.1785:
	s_or_b64 exec, exec, s[16:17]
	s_mov_b64 s[4:5], 0
	s_mov_b64 s[16:17], -1
	global_store_byte v[3:4], v6, off
.LBB191_1786:
	s_mov_b64 s[18:19], 0
.LBB191_1787:
	s_and_b64 vcc, exec, s[18:19]
	s_cbranch_vccz .LBB191_1790
; %bb.1788:
	s_cmp_eq_u32 s23, 29
	s_mov_b64 s[4:5], -1
	s_cbranch_scc0 .LBB191_1790
; %bb.1789:
	s_mov_b32 s4, 0
	v_cndmask_b32_e64 v5, 0, 1, s[2:3]
	v_mov_b32_e32 v6, s4
	global_store_dwordx2 v[3:4], v[5:6], off
	s_mov_b64 s[4:5], 0
	s_mov_b64 s[16:17], -1
.LBB191_1790:
	s_mov_b64 s[18:19], 0
.LBB191_1791:
	s_and_b64 vcc, exec, s[18:19]
	s_cbranch_vccz .LBB191_1807
; %bb.1792:
	s_cmp_lt_i32 s23, 27
	s_mov_b64 s[16:17], -1
	s_cbranch_scc1 .LBB191_1798
; %bb.1793:
	s_cmp_gt_i32 s23, 27
	s_cbranch_scc0 .LBB191_1795
; %bb.1794:
	v_cndmask_b32_e64 v1, 0, 1, s[2:3]
	s_mov_b64 s[16:17], 0
	global_store_dword v[3:4], v1, off
.LBB191_1795:
	s_andn2_b64 vcc, exec, s[16:17]
	s_cbranch_vccnz .LBB191_1797
; %bb.1796:
	v_cndmask_b32_e64 v1, 0, 1, s[2:3]
	global_store_short v[3:4], v1, off
.LBB191_1797:
	s_mov_b64 s[16:17], 0
.LBB191_1798:
	s_andn2_b64 vcc, exec, s[16:17]
	s_cbranch_vccnz .LBB191_1806
; %bb.1799:
	v_cndmask_b32_e64 v5, 0, 1.0, s[2:3]
	s_mov_b32 s10, 0x43800000
	v_cmp_gt_u32_e32 vcc, s10, v5
	v_mov_b32_e32 v6, 0x80
	s_and_saveexec_b64 s[16:17], vcc
	s_cbranch_execz .LBB191_1805
; %bb.1800:
	s_mov_b32 s10, 0x3bffffff
	v_cmp_lt_u32_e32 vcc, s10, v5
	s_mov_b64 s[18:19], 0
                                        ; implicit-def: $vgpr1
	s_and_saveexec_b64 s[20:21], vcc
	s_xor_b64 s[20:21], exec, s[20:21]
	s_cbranch_execz .LBB191_2140
; %bb.1801:
	v_bfe_u32 v1, v5, 20, 1
	s_mov_b32 s10, 0x487ffff
	v_add3_u32 v1, v5, v1, s10
	s_mov_b64 s[18:19], exec
	v_lshrrev_b32_e32 v1, 20, v1
                                        ; implicit-def: $vgpr5
	s_andn2_saveexec_b64 s[20:21], s[20:21]
	s_cbranch_execnz .LBB191_2141
.LBB191_1802:
	s_or_b64 exec, exec, s[20:21]
	v_mov_b32_e32 v6, 0
	s_and_saveexec_b64 s[20:21], s[18:19]
.LBB191_1803:
	v_mov_b32_e32 v6, v1
.LBB191_1804:
	s_or_b64 exec, exec, s[20:21]
.LBB191_1805:
	s_or_b64 exec, exec, s[16:17]
	global_store_byte v[3:4], v6, off
.LBB191_1806:
	s_mov_b64 s[16:17], -1
.LBB191_1807:
	s_mov_b64 s[18:19], 0
.LBB191_1808:
	s_and_b64 vcc, exec, s[18:19]
	s_cbranch_vccz .LBB191_1848
; %bb.1809:
	s_cmp_gt_i32 s23, 22
	s_mov_b64 s[14:15], -1
	s_cbranch_scc0 .LBB191_1841
; %bb.1810:
	s_cmp_lt_i32 s23, 24
	s_cbranch_scc1 .LBB191_1830
; %bb.1811:
	s_cmp_gt_i32 s23, 24
	s_cbranch_scc0 .LBB191_1819
; %bb.1812:
	v_cndmask_b32_e64 v5, 0, 1.0, s[2:3]
	s_mov_b32 s10, 0x47800000
	v_cmp_gt_u32_e32 vcc, s10, v5
	v_mov_b32_e32 v6, 0x80
	s_and_saveexec_b64 s[14:15], vcc
	s_cbranch_execz .LBB191_1818
; %bb.1813:
	s_mov_b32 s10, 0x37ffffff
	v_cmp_lt_u32_e32 vcc, s10, v5
	s_mov_b64 s[16:17], 0
                                        ; implicit-def: $vgpr1
	s_and_saveexec_b64 s[18:19], vcc
	s_xor_b64 s[18:19], exec, s[18:19]
	s_cbranch_execz .LBB191_2143
; %bb.1814:
	v_bfe_u32 v1, v5, 21, 1
	s_mov_b32 s10, 0x88fffff
	v_add3_u32 v1, v5, v1, s10
	s_mov_b64 s[16:17], exec
	v_lshrrev_b32_e32 v1, 21, v1
                                        ; implicit-def: $vgpr5
	s_andn2_saveexec_b64 s[18:19], s[18:19]
	s_cbranch_execnz .LBB191_2144
.LBB191_1815:
	s_or_b64 exec, exec, s[18:19]
	v_mov_b32_e32 v6, 0
	s_and_saveexec_b64 s[18:19], s[16:17]
.LBB191_1816:
	v_mov_b32_e32 v6, v1
.LBB191_1817:
	s_or_b64 exec, exec, s[18:19]
.LBB191_1818:
	s_or_b64 exec, exec, s[14:15]
	s_mov_b64 s[14:15], 0
	global_store_byte v[3:4], v6, off
.LBB191_1819:
	s_and_b64 vcc, exec, s[14:15]
	s_cbranch_vccz .LBB191_1829
; %bb.1820:
	v_cndmask_b32_e64 v1, 0, 1.0, s[2:3]
	s_mov_b32 s10, 0x43f00000
	v_cmp_gt_u32_e32 vcc, s10, v1
                                        ; implicit-def: $vgpr5
	s_and_saveexec_b64 s[14:15], vcc
	s_xor_b64 s[14:15], exec, s[14:15]
	s_cbranch_execz .LBB191_1826
; %bb.1821:
	s_mov_b32 s10, 0x3c7fffff
	v_cmp_lt_u32_e32 vcc, s10, v1
                                        ; implicit-def: $vgpr5
	s_and_saveexec_b64 s[16:17], vcc
	s_xor_b64 s[16:17], exec, s[16:17]
; %bb.1822:
	v_bfe_u32 v5, v1, 20, 1
	s_mov_b32 s10, 0x407ffff
	v_add3_u32 v1, v1, v5, s10
	v_lshrrev_b32_e32 v5, 20, v1
	v_and_b32_e32 v1, 0xff00000, v1
	s_mov_b32 s10, 0x7f00000
	v_mov_b32_e32 v6, 0x7e
	v_cmp_ne_u32_e32 vcc, s10, v1
	v_cndmask_b32_e32 v5, v6, v5, vcc
                                        ; implicit-def: $vgpr1
; %bb.1823:
	s_andn2_saveexec_b64 s[16:17], s[16:17]
; %bb.1824:
	v_add_f32_e32 v5, 0x46800000, v1
; %bb.1825:
	s_or_b64 exec, exec, s[16:17]
                                        ; implicit-def: $vgpr1
.LBB191_1826:
	s_andn2_saveexec_b64 s[14:15], s[14:15]
; %bb.1827:
	s_mov_b32 s10, 0x7f800000
	v_mov_b32_e32 v5, 0x7e
	v_mov_b32_e32 v6, 0x7f
	v_cmp_lt_u32_e32 vcc, s10, v1
	v_cndmask_b32_e32 v5, v5, v6, vcc
; %bb.1828:
	s_or_b64 exec, exec, s[14:15]
	global_store_byte v[3:4], v5, off
.LBB191_1829:
	s_mov_b64 s[14:15], 0
.LBB191_1830:
	s_andn2_b64 vcc, exec, s[14:15]
	s_cbranch_vccnz .LBB191_1840
; %bb.1831:
	v_cndmask_b32_e64 v1, 0, 1.0, s[2:3]
	s_mov_b32 s10, 0x47800000
	v_cmp_gt_u32_e32 vcc, s10, v1
                                        ; implicit-def: $vgpr5
	s_and_saveexec_b64 s[14:15], vcc
	s_xor_b64 s[14:15], exec, s[14:15]
	s_cbranch_execz .LBB191_1837
; %bb.1832:
	s_mov_b32 s10, 0x387fffff
	v_cmp_lt_u32_e32 vcc, s10, v1
                                        ; implicit-def: $vgpr5
	s_and_saveexec_b64 s[16:17], vcc
	s_xor_b64 s[16:17], exec, s[16:17]
; %bb.1833:
	v_bfe_u32 v5, v1, 21, 1
	s_mov_b32 s10, 0x80fffff
	v_add3_u32 v1, v1, v5, s10
	v_lshrrev_b32_e32 v5, 21, v1
                                        ; implicit-def: $vgpr1
; %bb.1834:
	s_andn2_saveexec_b64 s[16:17], s[16:17]
; %bb.1835:
	v_add_f32_e32 v5, 0x43000000, v1
; %bb.1836:
	s_or_b64 exec, exec, s[16:17]
                                        ; implicit-def: $vgpr1
.LBB191_1837:
	s_andn2_saveexec_b64 s[14:15], s[14:15]
; %bb.1838:
	s_mov_b32 s10, 0x7f800000
	v_mov_b32_e32 v5, 0x7c
	v_mov_b32_e32 v6, 0x7f
	v_cmp_lt_u32_e32 vcc, s10, v1
	v_cndmask_b32_e32 v5, v5, v6, vcc
; %bb.1839:
	s_or_b64 exec, exec, s[14:15]
	global_store_byte v[3:4], v5, off
.LBB191_1840:
	s_mov_b64 s[14:15], 0
	s_mov_b64 s[16:17], -1
.LBB191_1841:
	s_andn2_b64 vcc, exec, s[14:15]
	s_mov_b64 s[14:15], 0
	s_cbranch_vccnz .LBB191_1848
; %bb.1842:
	s_cmp_gt_i32 s23, 14
	s_mov_b64 s[18:19], -1
	s_cbranch_scc0 .LBB191_1846
; %bb.1843:
	s_cmp_eq_u32 s23, 15
	s_mov_b64 s[4:5], -1
	s_cbranch_scc0 .LBB191_1845
; %bb.1844:
	v_cndmask_b32_e64 v1, 0, 1.0, s[2:3]
	v_bfe_u32 v5, v1, 16, 1
	s_movk_i32 s4, 0x7fff
	v_add3_u32 v1, v1, v5, s4
	global_store_short_d16_hi v[3:4], v1, off
	s_mov_b64 s[4:5], 0
	s_mov_b64 s[16:17], -1
.LBB191_1845:
	s_mov_b64 s[18:19], 0
.LBB191_1846:
	s_and_b64 vcc, exec, s[18:19]
	s_cbranch_vccz .LBB191_1848
; %bb.1847:
	s_cmp_lg_u32 s23, 11
	s_mov_b64 s[14:15], -1
	s_cselect_b64 s[4:5], -1, 0
.LBB191_1848:
	s_and_b64 vcc, exec, s[4:5]
	s_cbranch_vccnz .LBB191_2142
; %bb.1849:
	s_andn2_b64 vcc, exec, s[14:15]
	s_cbranch_vccnz .LBB191_1851
.LBB191_1850:
	v_cndmask_b32_e64 v1, 0, 1, s[2:3]
	s_mov_b64 s[16:17], -1
	global_store_byte v[3:4], v1, off
.LBB191_1851:
	s_mov_b64 s[4:5], 0
	s_branch .LBB191_1853
.LBB191_1852:
	s_mov_b64 s[4:5], -1
	s_mov_b64 s[16:17], 0
.LBB191_1853:
	s_and_b64 vcc, exec, s[4:5]
	s_cbranch_vccz .LBB191_1892
; %bb.1854:
	s_cmp_lt_i32 s23, 5
	s_mov_b64 s[4:5], -1
	s_cbranch_scc1 .LBB191_1875
; %bb.1855:
	s_cmp_lt_i32 s23, 8
	s_cbranch_scc1 .LBB191_1865
; %bb.1856:
	s_cmp_lt_i32 s23, 9
	s_cbranch_scc1 .LBB191_1862
; %bb.1857:
	s_cmp_gt_i32 s23, 9
	s_cbranch_scc0 .LBB191_1859
; %bb.1858:
	v_cndmask_b32_e64 v1, 0, 1, s[2:3]
	v_cvt_f64_u32_e32 v[5:6], v1
	v_mov_b32_e32 v7, 0
	v_mov_b32_e32 v8, v7
	s_mov_b64 s[4:5], 0
	global_store_dwordx4 v[3:4], v[5:8], off
.LBB191_1859:
	s_andn2_b64 vcc, exec, s[4:5]
	s_cbranch_vccnz .LBB191_1861
; %bb.1860:
	v_cndmask_b32_e64 v5, 0, 1.0, s[2:3]
	v_mov_b32_e32 v6, 0
	global_store_dwordx2 v[3:4], v[5:6], off
.LBB191_1861:
	s_mov_b64 s[4:5], 0
.LBB191_1862:
	s_andn2_b64 vcc, exec, s[4:5]
	s_cbranch_vccnz .LBB191_1864
; %bb.1863:
	v_cndmask_b32_e64 v1, 0, 1.0, s[2:3]
	v_cvt_f16_f32_e32 v1, v1
	global_store_dword v[3:4], v1, off
.LBB191_1864:
	s_mov_b64 s[4:5], 0
.LBB191_1865:
	s_andn2_b64 vcc, exec, s[4:5]
	s_cbranch_vccnz .LBB191_1874
; %bb.1866:
	s_cmp_lt_i32 s23, 6
	s_mov_b64 s[4:5], -1
	s_cbranch_scc1 .LBB191_1872
; %bb.1867:
	s_cmp_gt_i32 s23, 6
	s_cbranch_scc0 .LBB191_1869
; %bb.1868:
	v_cndmask_b32_e64 v1, 0, 1, s[2:3]
	v_cvt_f64_u32_e32 v[5:6], v1
	s_mov_b64 s[4:5], 0
	global_store_dwordx2 v[3:4], v[5:6], off
.LBB191_1869:
	s_andn2_b64 vcc, exec, s[4:5]
	s_cbranch_vccnz .LBB191_1871
; %bb.1870:
	v_cndmask_b32_e64 v1, 0, 1.0, s[2:3]
	global_store_dword v[3:4], v1, off
.LBB191_1871:
	s_mov_b64 s[4:5], 0
.LBB191_1872:
	s_andn2_b64 vcc, exec, s[4:5]
	s_cbranch_vccnz .LBB191_1874
; %bb.1873:
	v_cndmask_b32_e64 v1, 0, 1.0, s[2:3]
	v_cvt_f16_f32_e32 v1, v1
	global_store_short v[3:4], v1, off
.LBB191_1874:
	s_mov_b64 s[4:5], 0
.LBB191_1875:
	s_andn2_b64 vcc, exec, s[4:5]
	s_cbranch_vccnz .LBB191_1891
; %bb.1876:
	s_cmp_lt_i32 s23, 2
	s_mov_b64 s[4:5], -1
	s_cbranch_scc1 .LBB191_1886
; %bb.1877:
	s_cmp_lt_i32 s23, 3
	s_cbranch_scc1 .LBB191_1883
; %bb.1878:
	s_cmp_gt_i32 s23, 3
	s_cbranch_scc0 .LBB191_1880
; %bb.1879:
	s_mov_b32 s4, 0
	v_cndmask_b32_e64 v5, 0, 1, s[2:3]
	v_mov_b32_e32 v6, s4
	global_store_dwordx2 v[3:4], v[5:6], off
	s_mov_b64 s[4:5], 0
.LBB191_1880:
	s_andn2_b64 vcc, exec, s[4:5]
	s_cbranch_vccnz .LBB191_1882
; %bb.1881:
	v_cndmask_b32_e64 v1, 0, 1, s[2:3]
	global_store_dword v[3:4], v1, off
.LBB191_1882:
	s_mov_b64 s[4:5], 0
.LBB191_1883:
	s_andn2_b64 vcc, exec, s[4:5]
	s_cbranch_vccnz .LBB191_1885
; %bb.1884:
	v_cndmask_b32_e64 v1, 0, 1, s[2:3]
	global_store_short v[3:4], v1, off
.LBB191_1885:
	s_mov_b64 s[4:5], 0
.LBB191_1886:
	s_andn2_b64 vcc, exec, s[4:5]
	s_cbranch_vccnz .LBB191_1891
; %bb.1887:
	s_mov_b64 s[4:5], -1
	s_cmp_gt_i32 s23, 0
	v_cndmask_b32_e64 v1, 0, 1, s[2:3]
	s_cbranch_scc0 .LBB191_1889
; %bb.1888:
	global_store_byte v[3:4], v1, off
	s_mov_b64 s[4:5], 0
.LBB191_1889:
	s_andn2_b64 vcc, exec, s[4:5]
	s_cbranch_vccnz .LBB191_1891
; %bb.1890:
	global_store_byte v[3:4], v1, off
.LBB191_1891:
	s_mov_b64 s[16:17], -1
.LBB191_1892:
	s_andn2_b64 vcc, exec, s[16:17]
	s_cbranch_vccnz .LBB191_2088
; %bb.1893:
	v_cmp_eq_f16_e32 vcc, s11, v10
	v_cndmask_b32_e64 v1, 0, 1, vcc
	v_cmp_neq_f16_e32 vcc, s11, v10
	v_cndmask_b32_e64 v3, 0, 1, vcc
	v_cndmask_b32_e64 v1, v3, v1, s[0:1]
	v_and_b32_e32 v1, 1, v1
	v_cmp_eq_u32_e64 s[2:3], 1, v1
	v_mov_b32_e32 v3, s9
	v_add_co_u32_e32 v1, vcc, s8, v2
	s_cmp_lt_i32 s23, 11
	v_addc_co_u32_e32 v2, vcc, 0, v3, vcc
	s_cbranch_scc1 .LBB191_1971
; %bb.1894:
	s_mov_b64 s[18:19], -1
	s_mov_b64 s[14:15], 0
	s_cmp_gt_i32 s23, 25
	s_mov_b64 s[16:17], 0
	s_mov_b64 s[4:5], 0
	s_cbranch_scc0 .LBB191_1927
; %bb.1895:
	s_cmp_gt_i32 s23, 28
	s_cbranch_scc0 .LBB191_1910
; %bb.1896:
	s_cmp_gt_i32 s23, 43
	;; [unrolled: 3-line block ×3, first 2 shown]
	s_cbranch_scc0 .LBB191_1900
; %bb.1898:
	s_mov_b64 s[4:5], -1
	s_mov_b64 s[18:19], 0
	s_cmp_eq_u32 s23, 46
	s_cbranch_scc0 .LBB191_1900
; %bb.1899:
	v_cndmask_b32_e64 v3, 0, 1.0, s[2:3]
	v_bfe_u32 v4, v3, 16, 1
	s_movk_i32 s4, 0x7fff
	v_add3_u32 v3, v3, v4, s4
	v_lshrrev_b32_e32 v3, 16, v3
	global_store_dword v[1:2], v3, off
	s_mov_b64 s[4:5], 0
	s_mov_b64 s[16:17], -1
.LBB191_1900:
	s_and_b64 vcc, exec, s[18:19]
	s_cbranch_vccz .LBB191_1905
; %bb.1901:
	s_cmp_eq_u32 s23, 44
	s_mov_b64 s[4:5], -1
	s_cbranch_scc0 .LBB191_1905
; %bb.1902:
	v_cndmask_b32_e64 v4, 0, 1.0, s[2:3]
	v_lshrrev_b32_e32 v3, 23, v4
	s_movk_i32 s4, 0xff
	v_cmp_ne_u32_e32 vcc, s4, v3
	v_mov_b32_e32 v5, 0xff
	s_and_saveexec_b64 s[16:17], vcc
; %bb.1903:
	s_mov_b32 s4, 0x3fffff
	v_and_b32_e32 v5, 0x400000, v4
	v_and_or_b32 v4, v4, s4, v3
	v_cmp_ne_u32_e32 vcc, 0, v5
	v_cmp_ne_u32_e64 s[4:5], 0, v4
	s_and_b64 s[4:5], vcc, s[4:5]
	v_cndmask_b32_e64 v4, 0, 1, s[4:5]
	v_add_u32_e32 v5, v3, v4
; %bb.1904:
	s_or_b64 exec, exec, s[16:17]
	s_mov_b64 s[4:5], 0
	s_mov_b64 s[16:17], -1
	global_store_byte v[1:2], v5, off
.LBB191_1905:
	s_mov_b64 s[18:19], 0
.LBB191_1906:
	s_and_b64 vcc, exec, s[18:19]
	s_cbranch_vccz .LBB191_1909
; %bb.1907:
	s_cmp_eq_u32 s23, 29
	s_mov_b64 s[4:5], -1
	s_cbranch_scc0 .LBB191_1909
; %bb.1908:
	s_mov_b32 s4, 0
	v_cndmask_b32_e64 v3, 0, 1, s[2:3]
	v_mov_b32_e32 v4, s4
	global_store_dwordx2 v[1:2], v[3:4], off
	s_mov_b64 s[4:5], 0
	s_mov_b64 s[16:17], -1
.LBB191_1909:
	s_mov_b64 s[18:19], 0
.LBB191_1910:
	s_and_b64 vcc, exec, s[18:19]
	s_cbranch_vccz .LBB191_1926
; %bb.1911:
	s_cmp_lt_i32 s23, 27
	s_mov_b64 s[16:17], -1
	s_cbranch_scc1 .LBB191_1917
; %bb.1912:
	s_cmp_gt_i32 s23, 27
	s_cbranch_scc0 .LBB191_1914
; %bb.1913:
	v_cndmask_b32_e64 v3, 0, 1, s[2:3]
	s_mov_b64 s[16:17], 0
	global_store_dword v[1:2], v3, off
.LBB191_1914:
	s_andn2_b64 vcc, exec, s[16:17]
	s_cbranch_vccnz .LBB191_1916
; %bb.1915:
	v_cndmask_b32_e64 v3, 0, 1, s[2:3]
	global_store_short v[1:2], v3, off
.LBB191_1916:
	s_mov_b64 s[16:17], 0
.LBB191_1917:
	s_andn2_b64 vcc, exec, s[16:17]
	s_cbranch_vccnz .LBB191_1925
; %bb.1918:
	v_cndmask_b32_e64 v4, 0, 1.0, s[2:3]
	s_mov_b32 s10, 0x43800000
	v_cmp_gt_u32_e32 vcc, s10, v4
	v_mov_b32_e32 v5, 0x80
	s_and_saveexec_b64 s[16:17], vcc
	s_cbranch_execz .LBB191_1924
; %bb.1919:
	s_mov_b32 s10, 0x3bffffff
	v_cmp_lt_u32_e32 vcc, s10, v4
	s_mov_b64 s[18:19], 0
                                        ; implicit-def: $vgpr3
	s_and_saveexec_b64 s[20:21], vcc
	s_xor_b64 s[20:21], exec, s[20:21]
	s_cbranch_execz .LBB191_2145
; %bb.1920:
	v_bfe_u32 v3, v4, 20, 1
	s_mov_b32 s10, 0x487ffff
	v_add3_u32 v3, v4, v3, s10
	s_mov_b64 s[18:19], exec
	v_lshrrev_b32_e32 v3, 20, v3
                                        ; implicit-def: $vgpr4
	s_andn2_saveexec_b64 s[20:21], s[20:21]
	s_cbranch_execnz .LBB191_2146
.LBB191_1921:
	s_or_b64 exec, exec, s[20:21]
	v_mov_b32_e32 v5, 0
	s_and_saveexec_b64 s[20:21], s[18:19]
.LBB191_1922:
	v_mov_b32_e32 v5, v3
.LBB191_1923:
	s_or_b64 exec, exec, s[20:21]
.LBB191_1924:
	s_or_b64 exec, exec, s[16:17]
	global_store_byte v[1:2], v5, off
.LBB191_1925:
	s_mov_b64 s[16:17], -1
.LBB191_1926:
	s_mov_b64 s[18:19], 0
.LBB191_1927:
	s_and_b64 vcc, exec, s[18:19]
	s_cbranch_vccz .LBB191_1967
; %bb.1928:
	s_cmp_gt_i32 s23, 22
	s_mov_b64 s[14:15], -1
	s_cbranch_scc0 .LBB191_1960
; %bb.1929:
	s_cmp_lt_i32 s23, 24
	s_cbranch_scc1 .LBB191_1949
; %bb.1930:
	s_cmp_gt_i32 s23, 24
	s_cbranch_scc0 .LBB191_1938
; %bb.1931:
	v_cndmask_b32_e64 v4, 0, 1.0, s[2:3]
	s_mov_b32 s10, 0x47800000
	v_cmp_gt_u32_e32 vcc, s10, v4
	v_mov_b32_e32 v5, 0x80
	s_and_saveexec_b64 s[14:15], vcc
	s_cbranch_execz .LBB191_1937
; %bb.1932:
	s_mov_b32 s10, 0x37ffffff
	v_cmp_lt_u32_e32 vcc, s10, v4
	s_mov_b64 s[16:17], 0
                                        ; implicit-def: $vgpr3
	s_and_saveexec_b64 s[18:19], vcc
	s_xor_b64 s[18:19], exec, s[18:19]
	s_cbranch_execz .LBB191_2148
; %bb.1933:
	v_bfe_u32 v3, v4, 21, 1
	s_mov_b32 s10, 0x88fffff
	v_add3_u32 v3, v4, v3, s10
	s_mov_b64 s[16:17], exec
	v_lshrrev_b32_e32 v3, 21, v3
                                        ; implicit-def: $vgpr4
	s_andn2_saveexec_b64 s[18:19], s[18:19]
	s_cbranch_execnz .LBB191_2149
.LBB191_1934:
	s_or_b64 exec, exec, s[18:19]
	v_mov_b32_e32 v5, 0
	s_and_saveexec_b64 s[18:19], s[16:17]
.LBB191_1935:
	v_mov_b32_e32 v5, v3
.LBB191_1936:
	s_or_b64 exec, exec, s[18:19]
.LBB191_1937:
	s_or_b64 exec, exec, s[14:15]
	s_mov_b64 s[14:15], 0
	global_store_byte v[1:2], v5, off
.LBB191_1938:
	s_and_b64 vcc, exec, s[14:15]
	s_cbranch_vccz .LBB191_1948
; %bb.1939:
	v_cndmask_b32_e64 v3, 0, 1.0, s[2:3]
	s_mov_b32 s10, 0x43f00000
	v_cmp_gt_u32_e32 vcc, s10, v3
                                        ; implicit-def: $vgpr4
	s_and_saveexec_b64 s[14:15], vcc
	s_xor_b64 s[14:15], exec, s[14:15]
	s_cbranch_execz .LBB191_1945
; %bb.1940:
	s_mov_b32 s10, 0x3c7fffff
	v_cmp_lt_u32_e32 vcc, s10, v3
                                        ; implicit-def: $vgpr4
	s_and_saveexec_b64 s[16:17], vcc
	s_xor_b64 s[16:17], exec, s[16:17]
; %bb.1941:
	v_bfe_u32 v4, v3, 20, 1
	s_mov_b32 s10, 0x407ffff
	v_add3_u32 v3, v3, v4, s10
	v_lshrrev_b32_e32 v4, 20, v3
	v_and_b32_e32 v3, 0xff00000, v3
	s_mov_b32 s10, 0x7f00000
	v_mov_b32_e32 v5, 0x7e
	v_cmp_ne_u32_e32 vcc, s10, v3
	v_cndmask_b32_e32 v4, v5, v4, vcc
                                        ; implicit-def: $vgpr3
; %bb.1942:
	s_andn2_saveexec_b64 s[16:17], s[16:17]
; %bb.1943:
	v_add_f32_e32 v4, 0x46800000, v3
; %bb.1944:
	s_or_b64 exec, exec, s[16:17]
                                        ; implicit-def: $vgpr3
.LBB191_1945:
	s_andn2_saveexec_b64 s[14:15], s[14:15]
; %bb.1946:
	s_mov_b32 s10, 0x7f800000
	v_mov_b32_e32 v4, 0x7e
	v_mov_b32_e32 v5, 0x7f
	v_cmp_lt_u32_e32 vcc, s10, v3
	v_cndmask_b32_e32 v4, v4, v5, vcc
; %bb.1947:
	s_or_b64 exec, exec, s[14:15]
	global_store_byte v[1:2], v4, off
.LBB191_1948:
	s_mov_b64 s[14:15], 0
.LBB191_1949:
	s_andn2_b64 vcc, exec, s[14:15]
	s_cbranch_vccnz .LBB191_1959
; %bb.1950:
	v_cndmask_b32_e64 v3, 0, 1.0, s[2:3]
	s_mov_b32 s10, 0x47800000
	v_cmp_gt_u32_e32 vcc, s10, v3
                                        ; implicit-def: $vgpr4
	s_and_saveexec_b64 s[14:15], vcc
	s_xor_b64 s[14:15], exec, s[14:15]
	s_cbranch_execz .LBB191_1956
; %bb.1951:
	s_mov_b32 s10, 0x387fffff
	v_cmp_lt_u32_e32 vcc, s10, v3
                                        ; implicit-def: $vgpr4
	s_and_saveexec_b64 s[16:17], vcc
	s_xor_b64 s[16:17], exec, s[16:17]
; %bb.1952:
	v_bfe_u32 v4, v3, 21, 1
	s_mov_b32 s10, 0x80fffff
	v_add3_u32 v3, v3, v4, s10
	v_lshrrev_b32_e32 v4, 21, v3
                                        ; implicit-def: $vgpr3
; %bb.1953:
	s_andn2_saveexec_b64 s[16:17], s[16:17]
; %bb.1954:
	v_add_f32_e32 v4, 0x43000000, v3
; %bb.1955:
	s_or_b64 exec, exec, s[16:17]
                                        ; implicit-def: $vgpr3
.LBB191_1956:
	s_andn2_saveexec_b64 s[14:15], s[14:15]
; %bb.1957:
	s_mov_b32 s10, 0x7f800000
	v_mov_b32_e32 v4, 0x7c
	v_mov_b32_e32 v5, 0x7f
	v_cmp_lt_u32_e32 vcc, s10, v3
	v_cndmask_b32_e32 v4, v4, v5, vcc
; %bb.1958:
	s_or_b64 exec, exec, s[14:15]
	global_store_byte v[1:2], v4, off
.LBB191_1959:
	s_mov_b64 s[14:15], 0
	s_mov_b64 s[16:17], -1
.LBB191_1960:
	s_andn2_b64 vcc, exec, s[14:15]
	s_mov_b64 s[14:15], 0
	s_cbranch_vccnz .LBB191_1967
; %bb.1961:
	s_cmp_gt_i32 s23, 14
	s_mov_b64 s[18:19], -1
	s_cbranch_scc0 .LBB191_1965
; %bb.1962:
	s_cmp_eq_u32 s23, 15
	s_mov_b64 s[4:5], -1
	s_cbranch_scc0 .LBB191_1964
; %bb.1963:
	v_cndmask_b32_e64 v3, 0, 1.0, s[2:3]
	v_bfe_u32 v4, v3, 16, 1
	s_movk_i32 s4, 0x7fff
	v_add3_u32 v3, v3, v4, s4
	global_store_short_d16_hi v[1:2], v3, off
	s_mov_b64 s[4:5], 0
	s_mov_b64 s[16:17], -1
.LBB191_1964:
	s_mov_b64 s[18:19], 0
.LBB191_1965:
	s_and_b64 vcc, exec, s[18:19]
	s_cbranch_vccz .LBB191_1967
; %bb.1966:
	s_cmp_lg_u32 s23, 11
	s_mov_b64 s[14:15], -1
	s_cselect_b64 s[4:5], -1, 0
.LBB191_1967:
	s_and_b64 vcc, exec, s[4:5]
	s_cbranch_vccnz .LBB191_2147
; %bb.1968:
	s_andn2_b64 vcc, exec, s[14:15]
	s_cbranch_vccnz .LBB191_1970
.LBB191_1969:
	v_cndmask_b32_e64 v3, 0, 1, s[2:3]
	s_mov_b64 s[16:17], -1
	global_store_byte v[1:2], v3, off
.LBB191_1970:
	s_mov_b64 s[4:5], 0
	s_branch .LBB191_1972
.LBB191_1971:
	s_mov_b64 s[4:5], -1
	s_mov_b64 s[16:17], 0
.LBB191_1972:
	s_and_b64 vcc, exec, s[4:5]
	s_cbranch_vccz .LBB191_2011
; %bb.1973:
	s_cmp_lt_i32 s23, 5
	s_mov_b64 s[4:5], -1
	s_cbranch_scc1 .LBB191_1994
; %bb.1974:
	s_cmp_lt_i32 s23, 8
	s_cbranch_scc1 .LBB191_1984
; %bb.1975:
	s_cmp_lt_i32 s23, 9
	s_cbranch_scc1 .LBB191_1981
; %bb.1976:
	s_cmp_gt_i32 s23, 9
	s_cbranch_scc0 .LBB191_1978
; %bb.1977:
	v_cndmask_b32_e64 v3, 0, 1, s[2:3]
	v_cvt_f64_u32_e32 v[3:4], v3
	v_mov_b32_e32 v5, 0
	v_mov_b32_e32 v6, v5
	s_mov_b64 s[4:5], 0
	global_store_dwordx4 v[1:2], v[3:6], off
.LBB191_1978:
	s_andn2_b64 vcc, exec, s[4:5]
	s_cbranch_vccnz .LBB191_1980
; %bb.1979:
	v_cndmask_b32_e64 v3, 0, 1.0, s[2:3]
	v_mov_b32_e32 v4, 0
	global_store_dwordx2 v[1:2], v[3:4], off
.LBB191_1980:
	s_mov_b64 s[4:5], 0
.LBB191_1981:
	s_andn2_b64 vcc, exec, s[4:5]
	s_cbranch_vccnz .LBB191_1983
; %bb.1982:
	v_cndmask_b32_e64 v3, 0, 1.0, s[2:3]
	v_cvt_f16_f32_e32 v3, v3
	global_store_dword v[1:2], v3, off
.LBB191_1983:
	s_mov_b64 s[4:5], 0
.LBB191_1984:
	s_andn2_b64 vcc, exec, s[4:5]
	s_cbranch_vccnz .LBB191_1993
; %bb.1985:
	s_cmp_lt_i32 s23, 6
	s_mov_b64 s[4:5], -1
	s_cbranch_scc1 .LBB191_1991
; %bb.1986:
	s_cmp_gt_i32 s23, 6
	s_cbranch_scc0 .LBB191_1988
; %bb.1987:
	v_cndmask_b32_e64 v3, 0, 1, s[2:3]
	v_cvt_f64_u32_e32 v[3:4], v3
	s_mov_b64 s[4:5], 0
	global_store_dwordx2 v[1:2], v[3:4], off
.LBB191_1988:
	s_andn2_b64 vcc, exec, s[4:5]
	s_cbranch_vccnz .LBB191_1990
; %bb.1989:
	v_cndmask_b32_e64 v3, 0, 1.0, s[2:3]
	global_store_dword v[1:2], v3, off
.LBB191_1990:
	s_mov_b64 s[4:5], 0
.LBB191_1991:
	s_andn2_b64 vcc, exec, s[4:5]
	s_cbranch_vccnz .LBB191_1993
; %bb.1992:
	v_cndmask_b32_e64 v3, 0, 1.0, s[2:3]
	v_cvt_f16_f32_e32 v3, v3
	global_store_short v[1:2], v3, off
.LBB191_1993:
	s_mov_b64 s[4:5], 0
.LBB191_1994:
	s_andn2_b64 vcc, exec, s[4:5]
	s_cbranch_vccnz .LBB191_2010
; %bb.1995:
	s_cmp_lt_i32 s23, 2
	s_mov_b64 s[4:5], -1
	s_cbranch_scc1 .LBB191_2005
; %bb.1996:
	s_cmp_lt_i32 s23, 3
	s_cbranch_scc1 .LBB191_2002
; %bb.1997:
	s_cmp_gt_i32 s23, 3
	s_cbranch_scc0 .LBB191_1999
; %bb.1998:
	s_mov_b32 s4, 0
	v_cndmask_b32_e64 v3, 0, 1, s[2:3]
	v_mov_b32_e32 v4, s4
	global_store_dwordx2 v[1:2], v[3:4], off
	s_mov_b64 s[4:5], 0
.LBB191_1999:
	s_andn2_b64 vcc, exec, s[4:5]
	s_cbranch_vccnz .LBB191_2001
; %bb.2000:
	v_cndmask_b32_e64 v3, 0, 1, s[2:3]
	global_store_dword v[1:2], v3, off
.LBB191_2001:
	s_mov_b64 s[4:5], 0
.LBB191_2002:
	s_andn2_b64 vcc, exec, s[4:5]
	s_cbranch_vccnz .LBB191_2004
; %bb.2003:
	v_cndmask_b32_e64 v3, 0, 1, s[2:3]
	global_store_short v[1:2], v3, off
.LBB191_2004:
	s_mov_b64 s[4:5], 0
.LBB191_2005:
	s_andn2_b64 vcc, exec, s[4:5]
	s_cbranch_vccnz .LBB191_2010
; %bb.2006:
	s_cmp_gt_i32 s23, 0
	s_mov_b64 s[4:5], -1
	s_cbranch_scc0 .LBB191_2008
; %bb.2007:
	v_cndmask_b32_e64 v3, 0, 1, s[2:3]
	global_store_byte v[1:2], v3, off
	s_mov_b64 s[4:5], 0
.LBB191_2008:
	s_andn2_b64 vcc, exec, s[4:5]
	s_cbranch_vccnz .LBB191_2010
; %bb.2009:
	v_cndmask_b32_e64 v3, 0, 1, s[2:3]
	global_store_byte v[1:2], v3, off
.LBB191_2010:
	s_mov_b64 s[16:17], -1
.LBB191_2011:
	s_andn2_b64 vcc, exec, s[16:17]
	s_cbranch_vccnz .LBB191_2088
; %bb.2012:
	v_cmp_eq_f16_e32 vcc, s11, v9
	v_cndmask_b32_e64 v1, 0, 1, vcc
	v_cmp_neq_f16_e32 vcc, s11, v9
	v_cndmask_b32_e64 v2, 0, 1, vcc
	v_cndmask_b32_e64 v1, v2, v1, s[0:1]
	v_and_b32_e32 v1, 1, v1
	v_cmp_eq_u32_e64 s[2:3], 1, v1
	v_mov_b32_e32 v1, s9
	v_add_co_u32_e32 v0, vcc, s8, v0
	s_cmp_lt_i32 s23, 11
	v_addc_co_u32_e32 v1, vcc, 0, v1, vcc
	s_cbranch_scc1 .LBB191_2133
; %bb.2013:
	s_mov_b64 s[8:9], -1
	s_mov_b64 s[4:5], 0
	s_cmp_gt_i32 s23, 25
	s_mov_b64 s[0:1], 0
	s_cbranch_scc0 .LBB191_2046
; %bb.2014:
	s_cmp_gt_i32 s23, 28
	s_cbranch_scc0 .LBB191_2030
; %bb.2015:
	s_cmp_gt_i32 s23, 43
	;; [unrolled: 3-line block ×3, first 2 shown]
	s_cbranch_scc0 .LBB191_2020
; %bb.2017:
	s_cmp_eq_u32 s23, 46
	s_mov_b64 s[0:1], -1
	s_cbranch_scc0 .LBB191_2019
; %bb.2018:
	v_cndmask_b32_e64 v2, 0, 1.0, s[2:3]
	v_bfe_u32 v3, v2, 16, 1
	s_movk_i32 s0, 0x7fff
	v_add3_u32 v2, v2, v3, s0
	v_lshrrev_b32_e32 v2, 16, v2
	global_store_dword v[0:1], v2, off
	s_mov_b64 s[0:1], 0
.LBB191_2019:
	s_mov_b64 s[8:9], 0
.LBB191_2020:
	s_and_b64 vcc, exec, s[8:9]
	s_cbranch_vccz .LBB191_2025
; %bb.2021:
	s_cmp_eq_u32 s23, 44
	s_mov_b64 s[0:1], -1
	s_cbranch_scc0 .LBB191_2025
; %bb.2022:
	v_cndmask_b32_e64 v3, 0, 1.0, s[2:3]
	v_lshrrev_b32_e32 v2, 23, v3
	s_movk_i32 s0, 0xff
	v_cmp_ne_u32_e32 vcc, s0, v2
	v_mov_b32_e32 v4, 0xff
	s_and_saveexec_b64 s[8:9], vcc
; %bb.2023:
	s_mov_b32 s0, 0x3fffff
	v_and_b32_e32 v4, 0x400000, v3
	v_and_or_b32 v3, v3, s0, v2
	v_cmp_ne_u32_e32 vcc, 0, v4
	v_cmp_ne_u32_e64 s[0:1], 0, v3
	s_and_b64 s[0:1], vcc, s[0:1]
	v_cndmask_b32_e64 v3, 0, 1, s[0:1]
	v_add_u32_e32 v4, v2, v3
; %bb.2024:
	s_or_b64 exec, exec, s[8:9]
	s_mov_b64 s[0:1], 0
	global_store_byte v[0:1], v4, off
.LBB191_2025:
	s_mov_b64 s[8:9], 0
.LBB191_2026:
	s_and_b64 vcc, exec, s[8:9]
	s_cbranch_vccz .LBB191_2029
; %bb.2027:
	s_cmp_eq_u32 s23, 29
	s_mov_b64 s[0:1], -1
	s_cbranch_scc0 .LBB191_2029
; %bb.2028:
	s_mov_b32 s0, 0
	v_cndmask_b32_e64 v2, 0, 1, s[2:3]
	v_mov_b32_e32 v3, s0
	global_store_dwordx2 v[0:1], v[2:3], off
	s_mov_b64 s[0:1], 0
.LBB191_2029:
	s_mov_b64 s[8:9], 0
.LBB191_2030:
	s_and_b64 vcc, exec, s[8:9]
	s_cbranch_vccz .LBB191_2045
; %bb.2031:
	s_cmp_lt_i32 s23, 27
	s_mov_b64 s[8:9], -1
	s_cbranch_scc1 .LBB191_2037
; %bb.2032:
	s_cmp_gt_i32 s23, 27
	s_cbranch_scc0 .LBB191_2034
; %bb.2033:
	v_cndmask_b32_e64 v2, 0, 1, s[2:3]
	global_store_dword v[0:1], v2, off
	s_mov_b64 s[8:9], 0
.LBB191_2034:
	s_andn2_b64 vcc, exec, s[8:9]
	s_cbranch_vccnz .LBB191_2036
; %bb.2035:
	v_cndmask_b32_e64 v2, 0, 1, s[2:3]
	global_store_short v[0:1], v2, off
.LBB191_2036:
	s_mov_b64 s[8:9], 0
.LBB191_2037:
	s_andn2_b64 vcc, exec, s[8:9]
	s_cbranch_vccnz .LBB191_2045
; %bb.2038:
	v_cndmask_b32_e64 v3, 0, 1.0, s[2:3]
	s_mov_b32 s8, 0x43800000
	v_cmp_gt_u32_e32 vcc, s8, v3
	v_mov_b32_e32 v4, 0x80
	s_and_saveexec_b64 s[8:9], vcc
	s_cbranch_execz .LBB191_2044
; %bb.2039:
	s_mov_b32 s10, 0x3bffffff
	v_cmp_lt_u32_e32 vcc, s10, v3
	s_mov_b64 s[10:11], 0
                                        ; implicit-def: $vgpr2
	s_and_saveexec_b64 s[14:15], vcc
	s_xor_b64 s[14:15], exec, s[14:15]
	s_cbranch_execz .LBB191_2150
; %bb.2040:
	v_bfe_u32 v2, v3, 20, 1
	s_mov_b32 s16, 0x487ffff
	v_add3_u32 v2, v3, v2, s16
	s_mov_b64 s[10:11], exec
	v_lshrrev_b32_e32 v2, 20, v2
                                        ; implicit-def: $vgpr3
	s_andn2_saveexec_b64 s[14:15], s[14:15]
	s_cbranch_execnz .LBB191_2151
.LBB191_2041:
	s_or_b64 exec, exec, s[14:15]
	v_mov_b32_e32 v4, 0
	s_and_saveexec_b64 s[14:15], s[10:11]
.LBB191_2042:
	v_mov_b32_e32 v4, v2
.LBB191_2043:
	s_or_b64 exec, exec, s[14:15]
.LBB191_2044:
	s_or_b64 exec, exec, s[8:9]
	global_store_byte v[0:1], v4, off
.LBB191_2045:
	s_mov_b64 s[8:9], 0
.LBB191_2046:
	s_and_b64 vcc, exec, s[8:9]
	s_cbranch_vccz .LBB191_2086
; %bb.2047:
	s_cmp_gt_i32 s23, 22
	s_mov_b64 s[4:5], -1
	s_cbranch_scc0 .LBB191_2079
; %bb.2048:
	s_cmp_lt_i32 s23, 24
	s_cbranch_scc1 .LBB191_2068
; %bb.2049:
	s_cmp_gt_i32 s23, 24
	s_cbranch_scc0 .LBB191_2057
; %bb.2050:
	v_cndmask_b32_e64 v3, 0, 1.0, s[2:3]
	s_mov_b32 s4, 0x47800000
	v_cmp_gt_u32_e32 vcc, s4, v3
	v_mov_b32_e32 v4, 0x80
	s_and_saveexec_b64 s[4:5], vcc
	s_cbranch_execz .LBB191_2056
; %bb.2051:
	s_mov_b32 s8, 0x37ffffff
	v_cmp_lt_u32_e32 vcc, s8, v3
	s_mov_b64 s[8:9], 0
                                        ; implicit-def: $vgpr2
	s_and_saveexec_b64 s[10:11], vcc
	s_xor_b64 s[10:11], exec, s[10:11]
	s_cbranch_execz .LBB191_2153
; %bb.2052:
	v_bfe_u32 v2, v3, 21, 1
	s_mov_b32 s14, 0x88fffff
	v_add3_u32 v2, v3, v2, s14
	s_mov_b64 s[8:9], exec
	v_lshrrev_b32_e32 v2, 21, v2
                                        ; implicit-def: $vgpr3
	s_andn2_saveexec_b64 s[10:11], s[10:11]
	s_cbranch_execnz .LBB191_2154
.LBB191_2053:
	s_or_b64 exec, exec, s[10:11]
	v_mov_b32_e32 v4, 0
	s_and_saveexec_b64 s[10:11], s[8:9]
.LBB191_2054:
	v_mov_b32_e32 v4, v2
.LBB191_2055:
	s_or_b64 exec, exec, s[10:11]
.LBB191_2056:
	s_or_b64 exec, exec, s[4:5]
	s_mov_b64 s[4:5], 0
	global_store_byte v[0:1], v4, off
.LBB191_2057:
	s_and_b64 vcc, exec, s[4:5]
	s_cbranch_vccz .LBB191_2067
; %bb.2058:
	v_cndmask_b32_e64 v2, 0, 1.0, s[2:3]
	s_mov_b32 s4, 0x43f00000
	v_cmp_gt_u32_e32 vcc, s4, v2
                                        ; implicit-def: $vgpr3
	s_and_saveexec_b64 s[4:5], vcc
	s_xor_b64 s[4:5], exec, s[4:5]
	s_cbranch_execz .LBB191_2064
; %bb.2059:
	s_mov_b32 s8, 0x3c7fffff
	v_cmp_lt_u32_e32 vcc, s8, v2
                                        ; implicit-def: $vgpr3
	s_and_saveexec_b64 s[8:9], vcc
	s_xor_b64 s[8:9], exec, s[8:9]
; %bb.2060:
	v_bfe_u32 v3, v2, 20, 1
	s_mov_b32 s10, 0x407ffff
	v_add3_u32 v2, v2, v3, s10
	v_lshrrev_b32_e32 v3, 20, v2
	v_and_b32_e32 v2, 0xff00000, v2
	s_mov_b32 s10, 0x7f00000
	v_mov_b32_e32 v4, 0x7e
	v_cmp_ne_u32_e32 vcc, s10, v2
	v_cndmask_b32_e32 v3, v4, v3, vcc
                                        ; implicit-def: $vgpr2
; %bb.2061:
	s_andn2_saveexec_b64 s[8:9], s[8:9]
; %bb.2062:
	v_add_f32_e32 v3, 0x46800000, v2
; %bb.2063:
	s_or_b64 exec, exec, s[8:9]
                                        ; implicit-def: $vgpr2
.LBB191_2064:
	s_andn2_saveexec_b64 s[4:5], s[4:5]
; %bb.2065:
	s_mov_b32 s8, 0x7f800000
	v_mov_b32_e32 v3, 0x7e
	v_mov_b32_e32 v4, 0x7f
	v_cmp_lt_u32_e32 vcc, s8, v2
	v_cndmask_b32_e32 v3, v3, v4, vcc
; %bb.2066:
	s_or_b64 exec, exec, s[4:5]
	global_store_byte v[0:1], v3, off
.LBB191_2067:
	s_mov_b64 s[4:5], 0
.LBB191_2068:
	s_andn2_b64 vcc, exec, s[4:5]
	s_cbranch_vccnz .LBB191_2078
; %bb.2069:
	v_cndmask_b32_e64 v2, 0, 1.0, s[2:3]
	s_mov_b32 s4, 0x47800000
	v_cmp_gt_u32_e32 vcc, s4, v2
                                        ; implicit-def: $vgpr3
	s_and_saveexec_b64 s[4:5], vcc
	s_xor_b64 s[4:5], exec, s[4:5]
	s_cbranch_execz .LBB191_2075
; %bb.2070:
	s_mov_b32 s8, 0x387fffff
	v_cmp_lt_u32_e32 vcc, s8, v2
                                        ; implicit-def: $vgpr3
	s_and_saveexec_b64 s[8:9], vcc
	s_xor_b64 s[8:9], exec, s[8:9]
; %bb.2071:
	v_bfe_u32 v3, v2, 21, 1
	s_mov_b32 s10, 0x80fffff
	v_add3_u32 v2, v2, v3, s10
	v_lshrrev_b32_e32 v3, 21, v2
                                        ; implicit-def: $vgpr2
; %bb.2072:
	s_andn2_saveexec_b64 s[8:9], s[8:9]
; %bb.2073:
	v_add_f32_e32 v3, 0x43000000, v2
; %bb.2074:
	s_or_b64 exec, exec, s[8:9]
                                        ; implicit-def: $vgpr2
.LBB191_2075:
	s_andn2_saveexec_b64 s[4:5], s[4:5]
; %bb.2076:
	s_mov_b32 s8, 0x7f800000
	v_mov_b32_e32 v3, 0x7c
	v_mov_b32_e32 v4, 0x7f
	v_cmp_lt_u32_e32 vcc, s8, v2
	v_cndmask_b32_e32 v3, v3, v4, vcc
; %bb.2077:
	s_or_b64 exec, exec, s[4:5]
	global_store_byte v[0:1], v3, off
.LBB191_2078:
	s_mov_b64 s[4:5], 0
.LBB191_2079:
	s_andn2_b64 vcc, exec, s[4:5]
	s_mov_b64 s[4:5], 0
	s_cbranch_vccnz .LBB191_2086
; %bb.2080:
	s_cmp_gt_i32 s23, 14
	s_mov_b64 s[8:9], -1
	s_cbranch_scc0 .LBB191_2084
; %bb.2081:
	s_cmp_eq_u32 s23, 15
	s_mov_b64 s[0:1], -1
	s_cbranch_scc0 .LBB191_2083
; %bb.2082:
	v_cndmask_b32_e64 v2, 0, 1.0, s[2:3]
	v_bfe_u32 v3, v2, 16, 1
	s_movk_i32 s0, 0x7fff
	v_add3_u32 v2, v2, v3, s0
	global_store_short_d16_hi v[0:1], v2, off
	s_mov_b64 s[0:1], 0
.LBB191_2083:
	s_mov_b64 s[8:9], 0
.LBB191_2084:
	s_and_b64 vcc, exec, s[8:9]
	s_cbranch_vccz .LBB191_2086
; %bb.2085:
	s_cmp_lg_u32 s23, 11
	s_mov_b64 s[4:5], -1
	s_cselect_b64 s[0:1], -1, 0
.LBB191_2086:
	s_and_b64 vcc, exec, s[0:1]
	s_cbranch_vccnz .LBB191_2152
.LBB191_2087:
	s_mov_b64 s[0:1], 0
	s_branch .LBB191_2089
.LBB191_2088:
	s_mov_b64 s[0:1], 0
	s_mov_b64 s[4:5], 0
                                        ; implicit-def: $sgpr2_sgpr3
                                        ; implicit-def: $vgpr0_vgpr1
                                        ; implicit-def: $sgpr22
.LBB191_2089:
	s_and_b64 s[44:45], s[4:5], exec
	s_andn2_b64 s[4:5], s[6:7], exec
	s_and_b64 s[6:7], s[12:13], exec
	s_and_b64 s[0:1], s[0:1], exec
	s_or_b64 s[6:7], s[4:5], s[6:7]
.LBB191_2090:
	s_or_b64 exec, exec, s[28:29]
	s_and_saveexec_b64 s[4:5], s[6:7]
	s_cbranch_execz .LBB191_2093
; %bb.2091:
	; divergent unreachable
	s_or_b64 exec, exec, s[4:5]
	s_and_saveexec_b64 s[4:5], s[44:45]
	s_xor_b64 s[4:5], exec, s[4:5]
	s_cbranch_execnz .LBB191_2094
.LBB191_2092:
	s_or_b64 exec, exec, s[4:5]
	s_and_saveexec_b64 s[4:5], s[0:1]
	s_cbranch_execnz .LBB191_2095
	s_branch .LBB191_2132
.LBB191_2093:
	s_or_b64 exec, exec, s[4:5]
	s_and_saveexec_b64 s[4:5], s[44:45]
	s_xor_b64 s[4:5], exec, s[4:5]
	s_cbranch_execz .LBB191_2092
.LBB191_2094:
	v_cndmask_b32_e64 v2, 0, 1, s[2:3]
	s_waitcnt vmcnt(0)
	global_store_byte v[0:1], v2, off
	s_or_b64 exec, exec, s[4:5]
	s_and_saveexec_b64 s[4:5], s[0:1]
	s_cbranch_execz .LBB191_2132
.LBB191_2095:
	s_sext_i32_i16 s4, s22
	s_cmp_lt_i32 s4, 5
	s_mov_b64 s[0:1], -1
	s_cbranch_scc1 .LBB191_2116
; %bb.2096:
	s_cmp_lt_i32 s4, 8
	s_cbranch_scc1 .LBB191_2106
; %bb.2097:
	s_cmp_lt_i32 s4, 9
	s_cbranch_scc1 .LBB191_2103
; %bb.2098:
	s_cmp_gt_i32 s4, 9
	s_cbranch_scc0 .LBB191_2100
; %bb.2099:
	v_cndmask_b32_e64 v2, 0, 1, s[2:3]
	s_waitcnt vmcnt(0)
	v_cvt_f64_u32_e32 v[2:3], v2
	v_mov_b32_e32 v4, 0
	v_mov_b32_e32 v5, v4
	s_mov_b64 s[0:1], 0
	global_store_dwordx4 v[0:1], v[2:5], off
.LBB191_2100:
	s_andn2_b64 vcc, exec, s[0:1]
	s_cbranch_vccnz .LBB191_2102
; %bb.2101:
	v_cndmask_b32_e64 v2, 0, 1.0, s[2:3]
	s_waitcnt vmcnt(0)
	v_mov_b32_e32 v3, 0
	global_store_dwordx2 v[0:1], v[2:3], off
.LBB191_2102:
	s_mov_b64 s[0:1], 0
.LBB191_2103:
	s_andn2_b64 vcc, exec, s[0:1]
	s_cbranch_vccnz .LBB191_2105
; %bb.2104:
	v_cndmask_b32_e64 v2, 0, 1.0, s[2:3]
	v_cvt_f16_f32_e32 v2, v2
	s_waitcnt vmcnt(0)
	global_store_dword v[0:1], v2, off
.LBB191_2105:
	s_mov_b64 s[0:1], 0
.LBB191_2106:
	s_andn2_b64 vcc, exec, s[0:1]
	s_cbranch_vccnz .LBB191_2115
; %bb.2107:
	s_sext_i32_i16 s4, s22
	s_cmp_lt_i32 s4, 6
	s_mov_b64 s[0:1], -1
	s_cbranch_scc1 .LBB191_2113
; %bb.2108:
	s_cmp_gt_i32 s4, 6
	s_cbranch_scc0 .LBB191_2110
; %bb.2109:
	v_cndmask_b32_e64 v2, 0, 1, s[2:3]
	s_waitcnt vmcnt(0)
	v_cvt_f64_u32_e32 v[2:3], v2
	s_mov_b64 s[0:1], 0
	global_store_dwordx2 v[0:1], v[2:3], off
.LBB191_2110:
	s_andn2_b64 vcc, exec, s[0:1]
	s_cbranch_vccnz .LBB191_2112
; %bb.2111:
	v_cndmask_b32_e64 v2, 0, 1.0, s[2:3]
	s_waitcnt vmcnt(0)
	global_store_dword v[0:1], v2, off
.LBB191_2112:
	s_mov_b64 s[0:1], 0
.LBB191_2113:
	s_andn2_b64 vcc, exec, s[0:1]
	s_cbranch_vccnz .LBB191_2115
; %bb.2114:
	v_cndmask_b32_e64 v2, 0, 1.0, s[2:3]
	v_cvt_f16_f32_e32 v2, v2
	s_waitcnt vmcnt(0)
	global_store_short v[0:1], v2, off
.LBB191_2115:
	s_mov_b64 s[0:1], 0
.LBB191_2116:
	s_andn2_b64 vcc, exec, s[0:1]
	s_cbranch_vccnz .LBB191_2132
; %bb.2117:
	s_sext_i32_i16 s4, s22
	s_cmp_lt_i32 s4, 2
	s_mov_b64 s[0:1], -1
	s_cbranch_scc1 .LBB191_2127
; %bb.2118:
	s_cmp_lt_i32 s4, 3
	s_cbranch_scc1 .LBB191_2124
; %bb.2119:
	s_cmp_gt_i32 s4, 3
	s_cbranch_scc0 .LBB191_2121
; %bb.2120:
	s_mov_b32 s0, 0
	v_cndmask_b32_e64 v2, 0, 1, s[2:3]
	s_waitcnt vmcnt(0)
	v_mov_b32_e32 v3, s0
	global_store_dwordx2 v[0:1], v[2:3], off
	s_mov_b64 s[0:1], 0
.LBB191_2121:
	s_andn2_b64 vcc, exec, s[0:1]
	s_cbranch_vccnz .LBB191_2123
; %bb.2122:
	v_cndmask_b32_e64 v2, 0, 1, s[2:3]
	s_waitcnt vmcnt(0)
	global_store_dword v[0:1], v2, off
.LBB191_2123:
	s_mov_b64 s[0:1], 0
.LBB191_2124:
	s_andn2_b64 vcc, exec, s[0:1]
	s_cbranch_vccnz .LBB191_2126
; %bb.2125:
	v_cndmask_b32_e64 v2, 0, 1, s[2:3]
	s_waitcnt vmcnt(0)
	global_store_short v[0:1], v2, off
.LBB191_2126:
	s_mov_b64 s[0:1], 0
.LBB191_2127:
	s_andn2_b64 vcc, exec, s[0:1]
	s_cbranch_vccnz .LBB191_2132
; %bb.2128:
	s_sext_i32_i16 s0, s22
	s_cmp_gt_i32 s0, 0
	s_mov_b64 s[0:1], -1
	s_cbranch_scc0 .LBB191_2130
; %bb.2129:
	v_cndmask_b32_e64 v2, 0, 1, s[2:3]
	s_waitcnt vmcnt(0)
	global_store_byte v[0:1], v2, off
	s_mov_b64 s[0:1], 0
.LBB191_2130:
	s_andn2_b64 vcc, exec, s[0:1]
	s_cbranch_vccnz .LBB191_2132
; %bb.2131:
	v_cndmask_b32_e64 v2, 0, 1, s[2:3]
	s_waitcnt vmcnt(0)
	global_store_byte v[0:1], v2, off
	s_endpgm
.LBB191_2132:
	s_endpgm
.LBB191_2133:
	s_mov_b64 s[4:5], 0
	s_mov_b64 s[0:1], -1
	s_branch .LBB191_2089
.LBB191_2134:
	s_trap 2
	s_or_b64 s[12:13], s[12:13], exec
	s_cbranch_execz .LBB191_1603
	s_branch .LBB191_1604
.LBB191_2135:
	s_andn2_saveexec_b64 s[20:21], s[20:21]
	s_cbranch_execz .LBB191_1683
.LBB191_2136:
	v_add_f32_e32 v1, 0x46000000, v7
	v_and_b32_e32 v1, 0xff, v1
	v_cmp_ne_u32_e32 vcc, 0, v1
	s_andn2_b64 s[18:19], s[18:19], exec
	s_and_b64 s[24:25], vcc, exec
	s_or_b64 s[18:19], s[18:19], s[24:25]
	s_or_b64 exec, exec, s[20:21]
	v_mov_b32_e32 v8, 0
	s_and_saveexec_b64 s[20:21], s[18:19]
	s_cbranch_execnz .LBB191_1684
	s_branch .LBB191_1685
.LBB191_2137:
	s_trap 2
	s_or_b64 s[12:13], s[12:13], exec
	s_cbranch_execz .LBB191_1731
	s_branch .LBB191_1732
.LBB191_2138:
	s_andn2_saveexec_b64 s[18:19], s[18:19]
	s_cbranch_execz .LBB191_1696
.LBB191_2139:
	v_add_f32_e32 v1, 0x42800000, v7
	v_and_b32_e32 v1, 0xff, v1
	v_cmp_ne_u32_e32 vcc, 0, v1
	s_andn2_b64 s[16:17], s[16:17], exec
	s_and_b64 s[20:21], vcc, exec
	s_or_b64 s[16:17], s[16:17], s[20:21]
	s_or_b64 exec, exec, s[18:19]
	v_mov_b32_e32 v8, 0
	s_and_saveexec_b64 s[18:19], s[16:17]
	s_cbranch_execnz .LBB191_1697
	s_branch .LBB191_1698
.LBB191_2140:
	s_andn2_saveexec_b64 s[20:21], s[20:21]
	s_cbranch_execz .LBB191_1802
.LBB191_2141:
	v_add_f32_e32 v1, 0x46000000, v5
	v_and_b32_e32 v1, 0xff, v1
	v_cmp_ne_u32_e32 vcc, 0, v1
	s_andn2_b64 s[18:19], s[18:19], exec
	s_and_b64 s[24:25], vcc, exec
	s_or_b64 s[18:19], s[18:19], s[24:25]
	s_or_b64 exec, exec, s[20:21]
	v_mov_b32_e32 v6, 0
	s_and_saveexec_b64 s[20:21], s[18:19]
	s_cbranch_execnz .LBB191_1803
	s_branch .LBB191_1804
.LBB191_2142:
	s_trap 2
	s_or_b64 s[12:13], s[12:13], exec
	s_cbranch_execz .LBB191_1850
	s_branch .LBB191_1851
.LBB191_2143:
	s_andn2_saveexec_b64 s[18:19], s[18:19]
	s_cbranch_execz .LBB191_1815
.LBB191_2144:
	v_add_f32_e32 v1, 0x42800000, v5
	v_and_b32_e32 v1, 0xff, v1
	v_cmp_ne_u32_e32 vcc, 0, v1
	s_andn2_b64 s[16:17], s[16:17], exec
	s_and_b64 s[20:21], vcc, exec
	s_or_b64 s[16:17], s[16:17], s[20:21]
	s_or_b64 exec, exec, s[18:19]
	v_mov_b32_e32 v6, 0
	s_and_saveexec_b64 s[18:19], s[16:17]
	s_cbranch_execnz .LBB191_1816
	s_branch .LBB191_1817
.LBB191_2145:
	s_andn2_saveexec_b64 s[20:21], s[20:21]
	s_cbranch_execz .LBB191_1921
.LBB191_2146:
	v_add_f32_e32 v3, 0x46000000, v4
	v_and_b32_e32 v3, 0xff, v3
	v_cmp_ne_u32_e32 vcc, 0, v3
	s_andn2_b64 s[18:19], s[18:19], exec
	s_and_b64 s[24:25], vcc, exec
	s_or_b64 s[18:19], s[18:19], s[24:25]
	s_or_b64 exec, exec, s[20:21]
	v_mov_b32_e32 v5, 0
	s_and_saveexec_b64 s[20:21], s[18:19]
	s_cbranch_execnz .LBB191_1922
	s_branch .LBB191_1923
.LBB191_2147:
	s_trap 2
	s_or_b64 s[12:13], s[12:13], exec
	s_cbranch_execz .LBB191_1969
	s_branch .LBB191_1970
.LBB191_2148:
	s_andn2_saveexec_b64 s[18:19], s[18:19]
	s_cbranch_execz .LBB191_1934
.LBB191_2149:
	v_add_f32_e32 v3, 0x42800000, v4
	v_and_b32_e32 v3, 0xff, v3
	v_cmp_ne_u32_e32 vcc, 0, v3
	s_andn2_b64 s[16:17], s[16:17], exec
	s_and_b64 s[20:21], vcc, exec
	s_or_b64 s[16:17], s[16:17], s[20:21]
	s_or_b64 exec, exec, s[18:19]
	v_mov_b32_e32 v5, 0
	s_and_saveexec_b64 s[18:19], s[16:17]
	s_cbranch_execnz .LBB191_1935
	s_branch .LBB191_1936
.LBB191_2150:
	s_andn2_saveexec_b64 s[14:15], s[14:15]
	s_cbranch_execz .LBB191_2041
.LBB191_2151:
	v_add_f32_e32 v2, 0x46000000, v3
	v_and_b32_e32 v2, 0xff, v2
	v_cmp_ne_u32_e32 vcc, 0, v2
	s_andn2_b64 s[10:11], s[10:11], exec
	s_and_b64 s[16:17], vcc, exec
	s_or_b64 s[10:11], s[10:11], s[16:17]
	s_or_b64 exec, exec, s[14:15]
	v_mov_b32_e32 v4, 0
	s_and_saveexec_b64 s[14:15], s[10:11]
	s_cbranch_execnz .LBB191_2042
	s_branch .LBB191_2043
.LBB191_2152:
	s_mov_b64 s[4:5], 0
	s_or_b64 s[12:13], s[12:13], exec
	s_trap 2
	s_branch .LBB191_2087
.LBB191_2153:
	s_andn2_saveexec_b64 s[10:11], s[10:11]
	s_cbranch_execz .LBB191_2053
.LBB191_2154:
	v_add_f32_e32 v2, 0x42800000, v3
	v_and_b32_e32 v2, 0xff, v2
	v_cmp_ne_u32_e32 vcc, 0, v2
	s_andn2_b64 s[8:9], s[8:9], exec
	s_and_b64 s[14:15], vcc, exec
	s_or_b64 s[8:9], s[8:9], s[14:15]
	s_or_b64 exec, exec, s[10:11]
	v_mov_b32_e32 v4, 0
	s_and_saveexec_b64 s[10:11], s[8:9]
	s_cbranch_execnz .LBB191_2054
	s_branch .LBB191_2055
	.section	.rodata,"a",@progbits
	.p2align	6, 0x0
	.amdhsa_kernel _ZN2at6native32elementwise_kernel_manual_unrollILi128ELi4EZNS0_15gpu_kernel_implINS0_13AUnaryFunctorIN3c104HalfES5_bNS0_12_GLOBAL__N_116CompareEqFunctorIS5_EEEEEEvRNS_18TensorIteratorBaseERKT_EUlibE0_EEviT1_
		.amdhsa_group_segment_fixed_size 0
		.amdhsa_private_segment_fixed_size 0
		.amdhsa_kernarg_size 368
		.amdhsa_user_sgpr_count 6
		.amdhsa_user_sgpr_private_segment_buffer 1
		.amdhsa_user_sgpr_dispatch_ptr 0
		.amdhsa_user_sgpr_queue_ptr 0
		.amdhsa_user_sgpr_kernarg_segment_ptr 1
		.amdhsa_user_sgpr_dispatch_id 0
		.amdhsa_user_sgpr_flat_scratch_init 0
		.amdhsa_user_sgpr_private_segment_size 0
		.amdhsa_uses_dynamic_stack 0
		.amdhsa_system_sgpr_private_segment_wavefront_offset 0
		.amdhsa_system_sgpr_workgroup_id_x 1
		.amdhsa_system_sgpr_workgroup_id_y 0
		.amdhsa_system_sgpr_workgroup_id_z 0
		.amdhsa_system_sgpr_workgroup_info 0
		.amdhsa_system_vgpr_workitem_id 0
		.amdhsa_next_free_vgpr 18
		.amdhsa_next_free_sgpr 81
		.amdhsa_reserve_vcc 1
		.amdhsa_reserve_flat_scratch 0
		.amdhsa_float_round_mode_32 0
		.amdhsa_float_round_mode_16_64 0
		.amdhsa_float_denorm_mode_32 3
		.amdhsa_float_denorm_mode_16_64 3
		.amdhsa_dx10_clamp 1
		.amdhsa_ieee_mode 1
		.amdhsa_fp16_overflow 0
		.amdhsa_exception_fp_ieee_invalid_op 0
		.amdhsa_exception_fp_denorm_src 0
		.amdhsa_exception_fp_ieee_div_zero 0
		.amdhsa_exception_fp_ieee_overflow 0
		.amdhsa_exception_fp_ieee_underflow 0
		.amdhsa_exception_fp_ieee_inexact 0
		.amdhsa_exception_int_div_zero 0
	.end_amdhsa_kernel
	.section	.text._ZN2at6native32elementwise_kernel_manual_unrollILi128ELi4EZNS0_15gpu_kernel_implINS0_13AUnaryFunctorIN3c104HalfES5_bNS0_12_GLOBAL__N_116CompareEqFunctorIS5_EEEEEEvRNS_18TensorIteratorBaseERKT_EUlibE0_EEviT1_,"axG",@progbits,_ZN2at6native32elementwise_kernel_manual_unrollILi128ELi4EZNS0_15gpu_kernel_implINS0_13AUnaryFunctorIN3c104HalfES5_bNS0_12_GLOBAL__N_116CompareEqFunctorIS5_EEEEEEvRNS_18TensorIteratorBaseERKT_EUlibE0_EEviT1_,comdat
.Lfunc_end191:
	.size	_ZN2at6native32elementwise_kernel_manual_unrollILi128ELi4EZNS0_15gpu_kernel_implINS0_13AUnaryFunctorIN3c104HalfES5_bNS0_12_GLOBAL__N_116CompareEqFunctorIS5_EEEEEEvRNS_18TensorIteratorBaseERKT_EUlibE0_EEviT1_, .Lfunc_end191-_ZN2at6native32elementwise_kernel_manual_unrollILi128ELi4EZNS0_15gpu_kernel_implINS0_13AUnaryFunctorIN3c104HalfES5_bNS0_12_GLOBAL__N_116CompareEqFunctorIS5_EEEEEEvRNS_18TensorIteratorBaseERKT_EUlibE0_EEviT1_
                                        ; -- End function
	.set _ZN2at6native32elementwise_kernel_manual_unrollILi128ELi4EZNS0_15gpu_kernel_implINS0_13AUnaryFunctorIN3c104HalfES5_bNS0_12_GLOBAL__N_116CompareEqFunctorIS5_EEEEEEvRNS_18TensorIteratorBaseERKT_EUlibE0_EEviT1_.num_vgpr, 18
	.set _ZN2at6native32elementwise_kernel_manual_unrollILi128ELi4EZNS0_15gpu_kernel_implINS0_13AUnaryFunctorIN3c104HalfES5_bNS0_12_GLOBAL__N_116CompareEqFunctorIS5_EEEEEEvRNS_18TensorIteratorBaseERKT_EUlibE0_EEviT1_.num_agpr, 0
	.set _ZN2at6native32elementwise_kernel_manual_unrollILi128ELi4EZNS0_15gpu_kernel_implINS0_13AUnaryFunctorIN3c104HalfES5_bNS0_12_GLOBAL__N_116CompareEqFunctorIS5_EEEEEEvRNS_18TensorIteratorBaseERKT_EUlibE0_EEviT1_.numbered_sgpr, 81
	.set _ZN2at6native32elementwise_kernel_manual_unrollILi128ELi4EZNS0_15gpu_kernel_implINS0_13AUnaryFunctorIN3c104HalfES5_bNS0_12_GLOBAL__N_116CompareEqFunctorIS5_EEEEEEvRNS_18TensorIteratorBaseERKT_EUlibE0_EEviT1_.num_named_barrier, 0
	.set _ZN2at6native32elementwise_kernel_manual_unrollILi128ELi4EZNS0_15gpu_kernel_implINS0_13AUnaryFunctorIN3c104HalfES5_bNS0_12_GLOBAL__N_116CompareEqFunctorIS5_EEEEEEvRNS_18TensorIteratorBaseERKT_EUlibE0_EEviT1_.private_seg_size, 0
	.set _ZN2at6native32elementwise_kernel_manual_unrollILi128ELi4EZNS0_15gpu_kernel_implINS0_13AUnaryFunctorIN3c104HalfES5_bNS0_12_GLOBAL__N_116CompareEqFunctorIS5_EEEEEEvRNS_18TensorIteratorBaseERKT_EUlibE0_EEviT1_.uses_vcc, 1
	.set _ZN2at6native32elementwise_kernel_manual_unrollILi128ELi4EZNS0_15gpu_kernel_implINS0_13AUnaryFunctorIN3c104HalfES5_bNS0_12_GLOBAL__N_116CompareEqFunctorIS5_EEEEEEvRNS_18TensorIteratorBaseERKT_EUlibE0_EEviT1_.uses_flat_scratch, 0
	.set _ZN2at6native32elementwise_kernel_manual_unrollILi128ELi4EZNS0_15gpu_kernel_implINS0_13AUnaryFunctorIN3c104HalfES5_bNS0_12_GLOBAL__N_116CompareEqFunctorIS5_EEEEEEvRNS_18TensorIteratorBaseERKT_EUlibE0_EEviT1_.has_dyn_sized_stack, 0
	.set _ZN2at6native32elementwise_kernel_manual_unrollILi128ELi4EZNS0_15gpu_kernel_implINS0_13AUnaryFunctorIN3c104HalfES5_bNS0_12_GLOBAL__N_116CompareEqFunctorIS5_EEEEEEvRNS_18TensorIteratorBaseERKT_EUlibE0_EEviT1_.has_recursion, 0
	.set _ZN2at6native32elementwise_kernel_manual_unrollILi128ELi4EZNS0_15gpu_kernel_implINS0_13AUnaryFunctorIN3c104HalfES5_bNS0_12_GLOBAL__N_116CompareEqFunctorIS5_EEEEEEvRNS_18TensorIteratorBaseERKT_EUlibE0_EEviT1_.has_indirect_call, 0
	.section	.AMDGPU.csdata,"",@progbits
; Kernel info:
; codeLenInByte = 40360
; TotalNumSgprs: 85
; NumVgprs: 18
; ScratchSize: 0
; MemoryBound: 0
; FloatMode: 240
; IeeeMode: 1
; LDSByteSize: 0 bytes/workgroup (compile time only)
; SGPRBlocks: 10
; VGPRBlocks: 4
; NumSGPRsForWavesPerEU: 85
; NumVGPRsForWavesPerEU: 18
; Occupancy: 9
; WaveLimiterHint : 1
; COMPUTE_PGM_RSRC2:SCRATCH_EN: 0
; COMPUTE_PGM_RSRC2:USER_SGPR: 6
; COMPUTE_PGM_RSRC2:TRAP_HANDLER: 0
; COMPUTE_PGM_RSRC2:TGID_X_EN: 1
; COMPUTE_PGM_RSRC2:TGID_Y_EN: 0
; COMPUTE_PGM_RSRC2:TGID_Z_EN: 0
; COMPUTE_PGM_RSRC2:TIDIG_COMP_CNT: 0
	.section	.text._ZN2at6native29vectorized_elementwise_kernelILi16ENS0_13BinaryFunctorIN3c108BFloat16ES4_bNS0_12_GLOBAL__N_116CompareEqFunctorIS4_EEEESt5arrayIPcLm3EEEEviT0_T1_,"axG",@progbits,_ZN2at6native29vectorized_elementwise_kernelILi16ENS0_13BinaryFunctorIN3c108BFloat16ES4_bNS0_12_GLOBAL__N_116CompareEqFunctorIS4_EEEESt5arrayIPcLm3EEEEviT0_T1_,comdat
	.globl	_ZN2at6native29vectorized_elementwise_kernelILi16ENS0_13BinaryFunctorIN3c108BFloat16ES4_bNS0_12_GLOBAL__N_116CompareEqFunctorIS4_EEEESt5arrayIPcLm3EEEEviT0_T1_ ; -- Begin function _ZN2at6native29vectorized_elementwise_kernelILi16ENS0_13BinaryFunctorIN3c108BFloat16ES4_bNS0_12_GLOBAL__N_116CompareEqFunctorIS4_EEEESt5arrayIPcLm3EEEEviT0_T1_
	.p2align	8
	.type	_ZN2at6native29vectorized_elementwise_kernelILi16ENS0_13BinaryFunctorIN3c108BFloat16ES4_bNS0_12_GLOBAL__N_116CompareEqFunctorIS4_EEEESt5arrayIPcLm3EEEEviT0_T1_,@function
_ZN2at6native29vectorized_elementwise_kernelILi16ENS0_13BinaryFunctorIN3c108BFloat16ES4_bNS0_12_GLOBAL__N_116CompareEqFunctorIS4_EEEESt5arrayIPcLm3EEEEviT0_T1_: ; @_ZN2at6native29vectorized_elementwise_kernelILi16ENS0_13BinaryFunctorIN3c108BFloat16ES4_bNS0_12_GLOBAL__N_116CompareEqFunctorIS4_EEEESt5arrayIPcLm3EEEEviT0_T1_
; %bb.0:
	s_load_dwordx2 s[12:13], s[4:5], 0x0
	s_load_dwordx4 s[8:11], s[4:5], 0x8
	s_load_dwordx2 s[14:15], s[4:5], 0x18
	s_lshl_b32 s2, s6, 12
	s_mov_b64 s[0:1], -1
	s_waitcnt lgkmcnt(0)
	s_sub_i32 s6, s12, s2
	s_cmpk_gt_i32 s6, 0xfff
	s_cbranch_scc0 .LBB192_2
; %bb.1:
	s_ashr_i32 s3, s2, 31
	s_lshl_b64 s[0:1], s[2:3], 1
	s_add_u32 s4, s10, s0
	s_addc_u32 s5, s11, s1
	s_add_u32 s0, s14, s0
	v_lshlrev_b32_e32 v17, 5, v0
	s_addc_u32 s1, s15, s1
	global_load_dwordx4 v[1:4], v17, s[4:5]
	global_load_dwordx4 v[5:8], v17, s[4:5] offset:16
	global_load_dwordx4 v[9:12], v17, s[0:1]
	global_load_dwordx4 v[13:16], v17, s[0:1] offset:16
	s_cmp_eq_u32 s13, 0
	v_mov_b32_e32 v18, 1
	v_lshlrev_b32_e32 v17, 4, v0
	s_waitcnt vmcnt(3)
	v_lshlrev_b32_e32 v19, 16, v2
	v_and_b32_e32 v2, 0xffff0000, v2
	s_waitcnt vmcnt(1)
	v_lshlrev_b32_e32 v25, 16, v10
	v_and_b32_e32 v10, 0xffff0000, v10
	v_cmp_eq_f32_e32 vcc, v19, v25
	v_cmp_eq_f32_e64 s[0:1], v2, v10
	v_lshlrev_b32_e32 v20, 16, v1
	v_lshlrev_b32_e32 v26, 16, v9
	v_cndmask_b32_e64 v30, 0, 1, vcc
	v_cmp_neq_f32_e32 vcc, v19, v25
	v_cndmask_b32_e64 v25, 0, 1, s[0:1]
	v_cmp_neq_f32_e64 s[0:1], v2, v10
	v_cndmask_b32_e64 v2, 0, 1, s[0:1]
	v_cmp_eq_f32_e64 s[0:1], v20, v26
	v_and_b32_e32 v1, 0xffff0000, v1
	v_and_b32_e32 v9, 0xffff0000, v9
	v_cndmask_b32_e64 v10, 0, 1, s[0:1]
	v_cmp_neq_f32_e64 s[0:1], v20, v26
	v_cndmask_b32_e64 v20, 0, 1, s[0:1]
	v_cmp_eq_f32_e64 s[0:1], v1, v9
	v_lshlrev_b32_e32 v21, 16, v4
	v_lshlrev_b32_e32 v27, 16, v12
	v_cndmask_b32_e64 v26, 0, 1, s[0:1]
	v_cmp_neq_f32_e64 s[0:1], v1, v9
	v_cndmask_b32_e64 v1, 0, 1, s[0:1]
	v_cmp_eq_f32_e64 s[0:1], v21, v27
	v_and_b32_e32 v4, 0xffff0000, v4
	v_and_b32_e32 v12, 0xffff0000, v12
	v_cndmask_b32_e64 v9, 0, 1, s[0:1]
	v_cmp_neq_f32_e64 s[0:1], v21, v27
	v_cndmask_b32_e64 v21, 0, 1, s[0:1]
	v_cmp_eq_f32_e64 s[0:1], v4, v12
	v_lshlrev_b32_e32 v22, 16, v3
	v_lshlrev_b32_e32 v28, 16, v11
	v_cndmask_b32_e64 v27, 0, 1, s[0:1]
	v_cmp_neq_f32_e64 s[0:1], v4, v12
	v_cndmask_b32_e64 v4, 0, 1, s[0:1]
	v_cmp_eq_f32_e64 s[0:1], v22, v28
	v_and_b32_e32 v3, 0xffff0000, v3
	v_and_b32_e32 v11, 0xffff0000, v11
	v_cndmask_b32_e64 v12, 0, 1, s[0:1]
	v_cmp_neq_f32_e64 s[0:1], v22, v28
	v_cndmask_b32_e64 v22, 0, 1, s[0:1]
	v_cmp_eq_f32_e64 s[0:1], v3, v11
	v_cndmask_b32_e64 v28, 0, 1, s[0:1]
	v_cmp_neq_f32_e64 s[0:1], v3, v11
	v_cndmask_b32_e64 v19, 0, 1, vcc
	s_cselect_b64 vcc, -1, 0
	v_cndmask_b32_e64 v3, 0, 1, s[0:1]
	v_cndmask_b32_e32 v11, v19, v30, vcc
	v_cndmask_b32_e32 v2, v2, v25, vcc
	;; [unrolled: 1-line block ×8, first 2 shown]
	v_lshlrev_b32_e32 v23, 16, v6
	s_waitcnt vmcnt(0)
	v_lshlrev_b32_e32 v29, 16, v14
	v_and_b32_sdwa v1, v1, v18 dst_sel:BYTE_1 dst_unused:UNUSED_PAD src0_sel:DWORD src1_sel:DWORD
	v_and_b32_e32 v10, 1, v10
	v_and_b32_sdwa v2, v2, v18 dst_sel:BYTE_1 dst_unused:UNUSED_PAD src0_sel:DWORD src1_sel:DWORD
	v_and_b32_e32 v11, 1, v11
	v_and_b32_sdwa v3, v3, v18 dst_sel:BYTE_1 dst_unused:UNUSED_PAD src0_sel:DWORD src1_sel:DWORD
	v_and_b32_e32 v12, 1, v12
	v_and_b32_sdwa v4, v4, v18 dst_sel:BYTE_1 dst_unused:UNUSED_PAD src0_sel:DWORD src1_sel:DWORD
	v_and_b32_e32 v9, 1, v9
	v_or_b32_e32 v1, v10, v1
	v_or_b32_sdwa v2, v11, v2 dst_sel:WORD_1 dst_unused:UNUSED_PAD src0_sel:DWORD src1_sel:DWORD
	v_or_b32_e32 v3, v12, v3
	v_or_b32_sdwa v4, v9, v4 dst_sel:WORD_1 dst_unused:UNUSED_PAD src0_sel:DWORD src1_sel:DWORD
	v_cmp_eq_f32_e64 s[0:1], v23, v29
	v_and_b32_e32 v6, 0xffff0000, v6
	v_or_b32_sdwa v1, v1, v2 dst_sel:DWORD dst_unused:UNUSED_PAD src0_sel:WORD_0 src1_sel:DWORD
	v_or_b32_sdwa v2, v3, v4 dst_sel:DWORD dst_unused:UNUSED_PAD src0_sel:WORD_0 src1_sel:DWORD
	v_and_b32_e32 v3, 0xffff0000, v14
	v_cndmask_b32_e64 v10, 0, 1, s[0:1]
	v_cmp_neq_f32_e64 s[0:1], v23, v29
	v_cndmask_b32_e64 v11, 0, 1, s[0:1]
	v_cmp_eq_f32_e64 s[0:1], v6, v3
	v_lshlrev_b32_e32 v24, 16, v5
	v_lshlrev_b32_e32 v4, 16, v13
	v_cndmask_b32_e32 v10, v11, v10, vcc
	v_cndmask_b32_e64 v11, 0, 1, s[0:1]
	v_cmp_neq_f32_e64 s[0:1], v6, v3
	v_cndmask_b32_e64 v3, 0, 1, s[0:1]
	v_cmp_eq_f32_e64 s[0:1], v24, v4
	v_and_b32_e32 v5, 0xffff0000, v5
	v_and_b32_e32 v9, 0xffff0000, v13
	v_cndmask_b32_e64 v6, 0, 1, s[0:1]
	v_cmp_neq_f32_e64 s[0:1], v24, v4
	v_cndmask_b32_e64 v4, 0, 1, s[0:1]
	v_cmp_eq_f32_e64 s[0:1], v5, v9
	v_cndmask_b32_e32 v4, v4, v6, vcc
	v_cndmask_b32_e64 v6, 0, 1, s[0:1]
	v_cmp_neq_f32_e64 s[0:1], v5, v9
	v_cndmask_b32_e64 v5, 0, 1, s[0:1]
	v_cndmask_b32_e32 v5, v5, v6, vcc
	v_cndmask_b32_e32 v3, v3, v11, vcc
	v_and_b32_sdwa v5, v5, v18 dst_sel:BYTE_1 dst_unused:UNUSED_PAD src0_sel:DWORD src1_sel:DWORD
	v_and_b32_e32 v4, 1, v4
	v_or_b32_e32 v4, v4, v5
	v_and_b32_sdwa v3, v3, v18 dst_sel:BYTE_1 dst_unused:UNUSED_PAD src0_sel:DWORD src1_sel:DWORD
	v_and_b32_e32 v5, 1, v10
	v_or_b32_sdwa v3, v5, v3 dst_sel:WORD_1 dst_unused:UNUSED_PAD src0_sel:DWORD src1_sel:DWORD
	v_or_b32_sdwa v3, v4, v3 dst_sel:DWORD dst_unused:UNUSED_PAD src0_sel:WORD_0 src1_sel:DWORD
	v_lshlrev_b32_e32 v4, 16, v8
	v_and_b32_e32 v5, 0xffff0000, v8
	v_lshlrev_b32_e32 v8, 16, v16
	v_cmp_eq_f32_e64 s[0:1], v4, v8
	v_and_b32_e32 v9, 0xffff0000, v16
	v_cndmask_b32_e64 v12, 0, 1, s[0:1]
	v_cmp_neq_f32_e64 s[0:1], v4, v8
	v_cndmask_b32_e64 v4, 0, 1, s[0:1]
	v_cmp_eq_f32_e64 s[0:1], v5, v9
	v_lshlrev_b32_e32 v6, 16, v7
	v_lshlrev_b32_e32 v10, 16, v15
	v_cndmask_b32_e64 v8, 0, 1, s[0:1]
	v_cmp_neq_f32_e64 s[0:1], v5, v9
	v_cndmask_b32_e64 v5, 0, 1, s[0:1]
	v_cmp_eq_f32_e64 s[0:1], v6, v10
	v_and_b32_e32 v7, 0xffff0000, v7
	v_and_b32_e32 v11, 0xffff0000, v15
	v_cndmask_b32_e32 v5, v5, v8, vcc
	v_cndmask_b32_e64 v8, 0, 1, s[0:1]
	v_cmp_neq_f32_e64 s[0:1], v6, v10
	v_cndmask_b32_e64 v6, 0, 1, s[0:1]
	v_cmp_eq_f32_e64 s[0:1], v7, v11
	v_cndmask_b32_e32 v6, v6, v8, vcc
	v_cndmask_b32_e64 v8, 0, 1, s[0:1]
	v_cmp_neq_f32_e64 s[0:1], v7, v11
	v_cndmask_b32_e64 v7, 0, 1, s[0:1]
	v_cndmask_b32_e32 v4, v4, v12, vcc
	v_cndmask_b32_e32 v7, v7, v8, vcc
	v_and_b32_sdwa v7, v7, v18 dst_sel:BYTE_1 dst_unused:UNUSED_PAD src0_sel:DWORD src1_sel:DWORD
	v_and_b32_e32 v6, 1, v6
	v_and_b32_sdwa v5, v5, v18 dst_sel:BYTE_1 dst_unused:UNUSED_PAD src0_sel:DWORD src1_sel:DWORD
	v_and_b32_e32 v4, 1, v4
	s_add_u32 s4, s8, s2
	v_or_b32_e32 v6, v6, v7
	v_or_b32_sdwa v4, v4, v5 dst_sel:WORD_1 dst_unused:UNUSED_PAD src0_sel:DWORD src1_sel:DWORD
	s_addc_u32 s5, s9, s3
	v_or_b32_sdwa v4, v6, v4 dst_sel:DWORD dst_unused:UNUSED_PAD src0_sel:WORD_0 src1_sel:DWORD
	global_store_dwordx4 v17, v[1:4], s[4:5]
	s_mov_b64 s[0:1], 0
.LBB192_2:
	s_andn2_b64 vcc, exec, s[0:1]
	s_cbranch_vccnz .LBB192_52
; %bb.3:
	v_cmp_gt_i32_e32 vcc, s6, v0
	v_mov_b32_e32 v3, 0
	v_or_b32_e32 v1, s2, v0
	v_mov_b32_e32 v11, v0
	v_mov_b32_e32 v2, 0
	;; [unrolled: 1-line block ×3, first 2 shown]
	s_and_saveexec_b64 s[4:5], vcc
	s_cbranch_execz .LBB192_5
; %bb.4:
	v_mov_b32_e32 v2, 0
	v_lshlrev_b64 v[4:5], 1, v[1:2]
	v_mov_b32_e32 v2, s15
	v_add_co_u32_e64 v6, s[0:1], s14, v4
	v_addc_co_u32_e64 v7, s[0:1], v2, v5, s[0:1]
	v_mov_b32_e32 v2, s11
	v_add_co_u32_e64 v4, s[0:1], s10, v4
	v_addc_co_u32_e64 v5, s[0:1], v2, v5, s[0:1]
	global_load_ushort v2, v[4:5], off
	global_load_ushort v8, v[6:7], off
	v_or_b32_e32 v11, 0x100, v0
	s_waitcnt vmcnt(1)
	v_lshlrev_b32_e32 v2, 16, v2
	s_waitcnt vmcnt(0)
	v_lshlrev_b32_e32 v4, 16, v8
.LBB192_5:
	s_or_b64 exec, exec, s[4:5]
	v_cmp_gt_i32_e64 s[0:1], s6, v11
	v_mov_b32_e32 v6, 0
	s_and_saveexec_b64 s[4:5], s[0:1]
	s_cbranch_execz .LBB192_7
; %bb.6:
	v_add_u32_e32 v5, s2, v11
	v_mov_b32_e32 v6, 0
	v_lshlrev_b64 v[5:6], 1, v[5:6]
	v_mov_b32_e32 v3, s15
	v_add_co_u32_e64 v7, s[0:1], s14, v5
	v_addc_co_u32_e64 v8, s[0:1], v3, v6, s[0:1]
	v_mov_b32_e32 v3, s11
	v_add_co_u32_e64 v5, s[0:1], s10, v5
	v_addc_co_u32_e64 v6, s[0:1], v3, v6, s[0:1]
	global_load_ushort v3, v[5:6], off
	global_load_ushort v9, v[7:8], off
	v_add_u32_e32 v11, 0x100, v11
	s_waitcnt vmcnt(1)
	v_lshlrev_b32_e32 v3, 16, v3
	s_waitcnt vmcnt(0)
	v_lshlrev_b32_e32 v6, 16, v9
.LBB192_7:
	s_or_b64 exec, exec, s[4:5]
	v_cmp_gt_i32_e64 s[0:1], s6, v11
	v_mov_b32_e32 v5, 0
	v_mov_b32_e32 v7, 0
	v_mov_b32_e32 v8, 0
	s_and_saveexec_b64 s[4:5], s[0:1]
	s_cbranch_execz .LBB192_9
; %bb.8:
	v_add_u32_e32 v7, s2, v11
	v_mov_b32_e32 v8, 0
	v_lshlrev_b64 v[7:8], 1, v[7:8]
	v_mov_b32_e32 v10, s15
	v_add_co_u32_e64 v9, s[0:1], s14, v7
	v_addc_co_u32_e64 v10, s[0:1], v10, v8, s[0:1]
	v_mov_b32_e32 v12, s11
	v_add_co_u32_e64 v7, s[0:1], s10, v7
	v_addc_co_u32_e64 v8, s[0:1], v12, v8, s[0:1]
	global_load_ushort v12, v[7:8], off
	global_load_ushort v13, v[9:10], off
	v_add_u32_e32 v11, 0x100, v11
	s_waitcnt vmcnt(1)
	v_lshlrev_b32_e32 v7, 16, v12
	s_waitcnt vmcnt(0)
	v_lshlrev_b32_e32 v8, 16, v13
.LBB192_9:
	s_or_b64 exec, exec, s[4:5]
	v_cmp_gt_i32_e64 s[0:1], s6, v11
	v_mov_b32_e32 v10, 0
	s_and_saveexec_b64 s[4:5], s[0:1]
	s_cbranch_execz .LBB192_11
; %bb.10:
	v_add_u32_e32 v9, s2, v11
	v_mov_b32_e32 v10, 0
	v_lshlrev_b64 v[9:10], 1, v[9:10]
	v_mov_b32_e32 v5, s15
	v_add_co_u32_e64 v12, s[0:1], s14, v9
	v_addc_co_u32_e64 v13, s[0:1], v5, v10, s[0:1]
	v_mov_b32_e32 v5, s11
	v_add_co_u32_e64 v9, s[0:1], s10, v9
	v_addc_co_u32_e64 v10, s[0:1], v5, v10, s[0:1]
	global_load_ushort v5, v[9:10], off
	global_load_ushort v14, v[12:13], off
	v_add_u32_e32 v11, 0x100, v11
	s_waitcnt vmcnt(1)
	v_lshlrev_b32_e32 v5, 16, v5
	s_waitcnt vmcnt(0)
	v_lshlrev_b32_e32 v10, 16, v14
.LBB192_11:
	s_or_b64 exec, exec, s[4:5]
	v_cmp_gt_i32_e64 s[0:1], s6, v11
	v_mov_b32_e32 v9, 0
	v_mov_b32_e32 v12, 0
	v_mov_b32_e32 v13, 0
	s_and_saveexec_b64 s[4:5], s[0:1]
	s_cbranch_execz .LBB192_13
; %bb.12:
	v_add_u32_e32 v12, s2, v11
	v_mov_b32_e32 v13, 0
	v_lshlrev_b64 v[12:13], 1, v[12:13]
	v_mov_b32_e32 v15, s15
	v_add_co_u32_e64 v14, s[0:1], s14, v12
	v_addc_co_u32_e64 v15, s[0:1], v15, v13, s[0:1]
	v_mov_b32_e32 v16, s11
	v_add_co_u32_e64 v12, s[0:1], s10, v12
	v_addc_co_u32_e64 v13, s[0:1], v16, v13, s[0:1]
	global_load_ushort v16, v[12:13], off
	global_load_ushort v17, v[14:15], off
	v_add_u32_e32 v11, 0x100, v11
	s_waitcnt vmcnt(1)
	v_lshlrev_b32_e32 v12, 16, v16
	s_waitcnt vmcnt(0)
	v_lshlrev_b32_e32 v13, 16, v17
.LBB192_13:
	;; [unrolled: 48-line block ×7, first 2 shown]
	s_or_b64 exec, exec, s[4:5]
	v_cmp_gt_i32_e64 s[0:1], s6, v11
	v_mov_b32_e32 v34, 0
	s_and_saveexec_b64 s[4:5], s[0:1]
	s_cbranch_execz .LBB192_35
; %bb.34:
	v_add_u32_e32 v34, s2, v11
	v_mov_b32_e32 v35, 0
	v_lshlrev_b64 v[34:35], 1, v[34:35]
	v_mov_b32_e32 v11, s15
	v_add_co_u32_e64 v36, s[0:1], s14, v34
	v_addc_co_u32_e64 v37, s[0:1], v11, v35, s[0:1]
	v_mov_b32_e32 v11, s11
	v_add_co_u32_e64 v34, s[0:1], s10, v34
	v_addc_co_u32_e64 v35, s[0:1], v11, v35, s[0:1]
	global_load_ushort v11, v[34:35], off
	global_load_ushort v38, v[36:37], off
	s_waitcnt vmcnt(1)
	v_lshlrev_b32_e32 v30, 16, v11
	s_waitcnt vmcnt(0)
	v_lshlrev_b32_e32 v34, 16, v38
.LBB192_35:
	s_or_b64 exec, exec, s[4:5]
	s_cmp_eq_u32 s13, 0
	s_cselect_b64 s[0:1], -1, 0
	s_and_saveexec_b64 s[4:5], vcc
	s_cbranch_execnz .LBB192_53
; %bb.36:
	s_or_b64 exec, exec, s[4:5]
	v_cmp_gt_i32_e32 vcc, s6, v0
	s_and_saveexec_b64 s[4:5], vcc
	s_cbranch_execnz .LBB192_54
.LBB192_37:
	s_or_b64 exec, exec, s[4:5]
	v_cmp_gt_i32_e32 vcc, s6, v0
	s_and_saveexec_b64 s[4:5], vcc
	s_cbranch_execnz .LBB192_55
.LBB192_38:
	s_or_b64 exec, exec, s[4:5]
	v_cmp_gt_i32_e32 vcc, s6, v0
	s_and_saveexec_b64 s[4:5], vcc
	s_cbranch_execnz .LBB192_56
.LBB192_39:
	s_or_b64 exec, exec, s[4:5]
	v_cmp_gt_i32_e32 vcc, s6, v0
	s_and_saveexec_b64 s[4:5], vcc
	s_cbranch_execnz .LBB192_57
.LBB192_40:
	s_or_b64 exec, exec, s[4:5]
	v_cmp_gt_i32_e32 vcc, s6, v0
	s_and_saveexec_b64 s[4:5], vcc
	s_cbranch_execnz .LBB192_58
.LBB192_41:
	s_or_b64 exec, exec, s[4:5]
	v_cmp_gt_i32_e32 vcc, s6, v0
	s_and_saveexec_b64 s[4:5], vcc
	s_cbranch_execnz .LBB192_59
.LBB192_42:
	s_or_b64 exec, exec, s[4:5]
	v_cmp_gt_i32_e32 vcc, s6, v0
	s_and_saveexec_b64 s[4:5], vcc
	s_cbranch_execnz .LBB192_60
.LBB192_43:
	s_or_b64 exec, exec, s[4:5]
	v_cmp_gt_i32_e32 vcc, s6, v0
	s_and_saveexec_b64 s[4:5], vcc
	s_cbranch_execnz .LBB192_61
.LBB192_44:
	s_or_b64 exec, exec, s[4:5]
	v_cmp_gt_i32_e32 vcc, s6, v0
	s_and_saveexec_b64 s[4:5], vcc
	s_cbranch_execnz .LBB192_62
.LBB192_45:
	s_or_b64 exec, exec, s[4:5]
	v_cmp_gt_i32_e32 vcc, s6, v0
	s_and_saveexec_b64 s[4:5], vcc
	s_cbranch_execnz .LBB192_63
.LBB192_46:
	s_or_b64 exec, exec, s[4:5]
	v_cmp_gt_i32_e32 vcc, s6, v0
	s_and_saveexec_b64 s[4:5], vcc
	s_cbranch_execnz .LBB192_64
.LBB192_47:
	s_or_b64 exec, exec, s[4:5]
	v_cmp_gt_i32_e32 vcc, s6, v0
	s_and_saveexec_b64 s[4:5], vcc
	s_cbranch_execnz .LBB192_65
.LBB192_48:
	s_or_b64 exec, exec, s[4:5]
	v_cmp_gt_i32_e32 vcc, s6, v0
	s_and_saveexec_b64 s[4:5], vcc
	s_cbranch_execnz .LBB192_66
.LBB192_49:
	s_or_b64 exec, exec, s[4:5]
	v_cmp_gt_i32_e32 vcc, s6, v0
	s_and_saveexec_b64 s[4:5], vcc
	s_cbranch_execnz .LBB192_67
.LBB192_50:
	s_or_b64 exec, exec, s[4:5]
	v_cmp_gt_i32_e32 vcc, s6, v0
	s_and_saveexec_b64 s[4:5], vcc
	s_cbranch_execz .LBB192_52
.LBB192_51:
	v_cmp_eq_f32_e32 vcc, v30, v34
	v_cndmask_b32_e64 v1, 0, 1, vcc
	v_cmp_neq_f32_e32 vcc, v30, v34
	v_cndmask_b32_e64 v2, 0, 1, vcc
	v_cndmask_b32_e64 v1, v2, v1, s[0:1]
	v_and_b32_e32 v1, 1, v1
	v_add_u32_e32 v0, s2, v0
	global_store_byte v0, v1, s[8:9]
.LBB192_52:
	s_endpgm
.LBB192_53:
	v_cmp_eq_f32_e32 vcc, v2, v4
	v_cndmask_b32_e64 v11, 0, 1, vcc
	v_cmp_neq_f32_e32 vcc, v2, v4
	v_cndmask_b32_e64 v2, 0, 1, vcc
	v_cndmask_b32_e64 v2, v2, v11, s[0:1]
	v_or_b32_e32 v0, 0x100, v0
	v_and_b32_e32 v2, 1, v2
	global_store_byte v1, v2, s[8:9]
	s_or_b64 exec, exec, s[4:5]
	v_cmp_gt_i32_e32 vcc, s6, v0
	s_and_saveexec_b64 s[4:5], vcc
	s_cbranch_execz .LBB192_37
.LBB192_54:
	v_cmp_eq_f32_e32 vcc, v3, v6
	v_cndmask_b32_e64 v1, 0, 1, vcc
	v_cmp_neq_f32_e32 vcc, v3, v6
	v_cndmask_b32_e64 v2, 0, 1, vcc
	v_cndmask_b32_e64 v1, v2, v1, s[0:1]
	v_and_b32_e32 v1, 1, v1
	v_add_u32_e32 v2, s2, v0
	v_add_u32_e32 v0, 0x100, v0
	global_store_byte v2, v1, s[8:9]
	s_or_b64 exec, exec, s[4:5]
	v_cmp_gt_i32_e32 vcc, s6, v0
	s_and_saveexec_b64 s[4:5], vcc
	s_cbranch_execz .LBB192_38
.LBB192_55:
	v_cmp_eq_f32_e32 vcc, v7, v8
	v_cndmask_b32_e64 v1, 0, 1, vcc
	v_cmp_neq_f32_e32 vcc, v7, v8
	v_cndmask_b32_e64 v2, 0, 1, vcc
	v_cndmask_b32_e64 v1, v2, v1, s[0:1]
	v_and_b32_e32 v1, 1, v1
	v_add_u32_e32 v2, s2, v0
	v_add_u32_e32 v0, 0x100, v0
	global_store_byte v2, v1, s[8:9]
	s_or_b64 exec, exec, s[4:5]
	v_cmp_gt_i32_e32 vcc, s6, v0
	s_and_saveexec_b64 s[4:5], vcc
	s_cbranch_execz .LBB192_39
.LBB192_56:
	v_cmp_eq_f32_e32 vcc, v5, v10
	v_cndmask_b32_e64 v1, 0, 1, vcc
	v_cmp_neq_f32_e32 vcc, v5, v10
	v_cndmask_b32_e64 v2, 0, 1, vcc
	v_cndmask_b32_e64 v1, v2, v1, s[0:1]
	v_and_b32_e32 v1, 1, v1
	v_add_u32_e32 v2, s2, v0
	v_add_u32_e32 v0, 0x100, v0
	global_store_byte v2, v1, s[8:9]
	s_or_b64 exec, exec, s[4:5]
	v_cmp_gt_i32_e32 vcc, s6, v0
	s_and_saveexec_b64 s[4:5], vcc
	s_cbranch_execz .LBB192_40
.LBB192_57:
	v_cmp_eq_f32_e32 vcc, v12, v13
	v_cndmask_b32_e64 v1, 0, 1, vcc
	v_cmp_neq_f32_e32 vcc, v12, v13
	v_cndmask_b32_e64 v2, 0, 1, vcc
	v_cndmask_b32_e64 v1, v2, v1, s[0:1]
	v_and_b32_e32 v1, 1, v1
	v_add_u32_e32 v2, s2, v0
	v_add_u32_e32 v0, 0x100, v0
	global_store_byte v2, v1, s[8:9]
	s_or_b64 exec, exec, s[4:5]
	v_cmp_gt_i32_e32 vcc, s6, v0
	s_and_saveexec_b64 s[4:5], vcc
	s_cbranch_execz .LBB192_41
.LBB192_58:
	v_cmp_eq_f32_e32 vcc, v9, v15
	v_cndmask_b32_e64 v1, 0, 1, vcc
	v_cmp_neq_f32_e32 vcc, v9, v15
	v_cndmask_b32_e64 v2, 0, 1, vcc
	v_cndmask_b32_e64 v1, v2, v1, s[0:1]
	v_and_b32_e32 v1, 1, v1
	v_add_u32_e32 v2, s2, v0
	v_add_u32_e32 v0, 0x100, v0
	global_store_byte v2, v1, s[8:9]
	s_or_b64 exec, exec, s[4:5]
	v_cmp_gt_i32_e32 vcc, s6, v0
	s_and_saveexec_b64 s[4:5], vcc
	s_cbranch_execz .LBB192_42
.LBB192_59:
	v_cmp_eq_f32_e32 vcc, v16, v17
	v_cndmask_b32_e64 v1, 0, 1, vcc
	v_cmp_neq_f32_e32 vcc, v16, v17
	v_cndmask_b32_e64 v2, 0, 1, vcc
	v_cndmask_b32_e64 v1, v2, v1, s[0:1]
	v_and_b32_e32 v1, 1, v1
	v_add_u32_e32 v2, s2, v0
	v_add_u32_e32 v0, 0x100, v0
	global_store_byte v2, v1, s[8:9]
	s_or_b64 exec, exec, s[4:5]
	v_cmp_gt_i32_e32 vcc, s6, v0
	s_and_saveexec_b64 s[4:5], vcc
	s_cbranch_execz .LBB192_43
.LBB192_60:
	v_cmp_eq_f32_e32 vcc, v14, v19
	v_cndmask_b32_e64 v1, 0, 1, vcc
	v_cmp_neq_f32_e32 vcc, v14, v19
	v_cndmask_b32_e64 v2, 0, 1, vcc
	v_cndmask_b32_e64 v1, v2, v1, s[0:1]
	v_and_b32_e32 v1, 1, v1
	v_add_u32_e32 v2, s2, v0
	v_add_u32_e32 v0, 0x100, v0
	global_store_byte v2, v1, s[8:9]
	s_or_b64 exec, exec, s[4:5]
	v_cmp_gt_i32_e32 vcc, s6, v0
	s_and_saveexec_b64 s[4:5], vcc
	s_cbranch_execz .LBB192_44
.LBB192_61:
	v_cmp_eq_f32_e32 vcc, v20, v21
	v_cndmask_b32_e64 v1, 0, 1, vcc
	v_cmp_neq_f32_e32 vcc, v20, v21
	v_cndmask_b32_e64 v2, 0, 1, vcc
	v_cndmask_b32_e64 v1, v2, v1, s[0:1]
	v_and_b32_e32 v1, 1, v1
	v_add_u32_e32 v2, s2, v0
	v_add_u32_e32 v0, 0x100, v0
	global_store_byte v2, v1, s[8:9]
	s_or_b64 exec, exec, s[4:5]
	v_cmp_gt_i32_e32 vcc, s6, v0
	s_and_saveexec_b64 s[4:5], vcc
	s_cbranch_execz .LBB192_45
.LBB192_62:
	v_cmp_eq_f32_e32 vcc, v18, v23
	v_cndmask_b32_e64 v1, 0, 1, vcc
	v_cmp_neq_f32_e32 vcc, v18, v23
	v_cndmask_b32_e64 v2, 0, 1, vcc
	v_cndmask_b32_e64 v1, v2, v1, s[0:1]
	v_and_b32_e32 v1, 1, v1
	v_add_u32_e32 v2, s2, v0
	v_add_u32_e32 v0, 0x100, v0
	global_store_byte v2, v1, s[8:9]
	s_or_b64 exec, exec, s[4:5]
	v_cmp_gt_i32_e32 vcc, s6, v0
	s_and_saveexec_b64 s[4:5], vcc
	s_cbranch_execz .LBB192_46
.LBB192_63:
	v_cmp_eq_f32_e32 vcc, v24, v25
	v_cndmask_b32_e64 v1, 0, 1, vcc
	v_cmp_neq_f32_e32 vcc, v24, v25
	v_cndmask_b32_e64 v2, 0, 1, vcc
	v_cndmask_b32_e64 v1, v2, v1, s[0:1]
	v_and_b32_e32 v1, 1, v1
	v_add_u32_e32 v2, s2, v0
	v_add_u32_e32 v0, 0x100, v0
	global_store_byte v2, v1, s[8:9]
	s_or_b64 exec, exec, s[4:5]
	v_cmp_gt_i32_e32 vcc, s6, v0
	s_and_saveexec_b64 s[4:5], vcc
	s_cbranch_execz .LBB192_47
.LBB192_64:
	v_cmp_eq_f32_e32 vcc, v22, v27
	v_cndmask_b32_e64 v1, 0, 1, vcc
	v_cmp_neq_f32_e32 vcc, v22, v27
	v_cndmask_b32_e64 v2, 0, 1, vcc
	v_cndmask_b32_e64 v1, v2, v1, s[0:1]
	v_and_b32_e32 v1, 1, v1
	v_add_u32_e32 v2, s2, v0
	v_add_u32_e32 v0, 0x100, v0
	global_store_byte v2, v1, s[8:9]
	s_or_b64 exec, exec, s[4:5]
	v_cmp_gt_i32_e32 vcc, s6, v0
	s_and_saveexec_b64 s[4:5], vcc
	s_cbranch_execz .LBB192_48
.LBB192_65:
	v_cmp_eq_f32_e32 vcc, v28, v29
	v_cndmask_b32_e64 v1, 0, 1, vcc
	v_cmp_neq_f32_e32 vcc, v28, v29
	v_cndmask_b32_e64 v2, 0, 1, vcc
	v_cndmask_b32_e64 v1, v2, v1, s[0:1]
	v_and_b32_e32 v1, 1, v1
	v_add_u32_e32 v2, s2, v0
	v_add_u32_e32 v0, 0x100, v0
	global_store_byte v2, v1, s[8:9]
	s_or_b64 exec, exec, s[4:5]
	v_cmp_gt_i32_e32 vcc, s6, v0
	s_and_saveexec_b64 s[4:5], vcc
	s_cbranch_execz .LBB192_49
.LBB192_66:
	v_cmp_eq_f32_e32 vcc, v26, v31
	v_cndmask_b32_e64 v1, 0, 1, vcc
	v_cmp_neq_f32_e32 vcc, v26, v31
	v_cndmask_b32_e64 v2, 0, 1, vcc
	v_cndmask_b32_e64 v1, v2, v1, s[0:1]
	v_and_b32_e32 v1, 1, v1
	v_add_u32_e32 v2, s2, v0
	v_add_u32_e32 v0, 0x100, v0
	global_store_byte v2, v1, s[8:9]
	s_or_b64 exec, exec, s[4:5]
	v_cmp_gt_i32_e32 vcc, s6, v0
	s_and_saveexec_b64 s[4:5], vcc
	s_cbranch_execz .LBB192_50
.LBB192_67:
	v_cmp_eq_f32_e32 vcc, v32, v33
	v_cndmask_b32_e64 v1, 0, 1, vcc
	v_cmp_neq_f32_e32 vcc, v32, v33
	v_cndmask_b32_e64 v2, 0, 1, vcc
	v_cndmask_b32_e64 v1, v2, v1, s[0:1]
	v_and_b32_e32 v1, 1, v1
	v_add_u32_e32 v2, s2, v0
	v_add_u32_e32 v0, 0x100, v0
	global_store_byte v2, v1, s[8:9]
	s_or_b64 exec, exec, s[4:5]
	v_cmp_gt_i32_e32 vcc, s6, v0
	s_and_saveexec_b64 s[4:5], vcc
	s_cbranch_execnz .LBB192_51
	s_branch .LBB192_52
	.section	.rodata,"a",@progbits
	.p2align	6, 0x0
	.amdhsa_kernel _ZN2at6native29vectorized_elementwise_kernelILi16ENS0_13BinaryFunctorIN3c108BFloat16ES4_bNS0_12_GLOBAL__N_116CompareEqFunctorIS4_EEEESt5arrayIPcLm3EEEEviT0_T1_
		.amdhsa_group_segment_fixed_size 0
		.amdhsa_private_segment_fixed_size 0
		.amdhsa_kernarg_size 32
		.amdhsa_user_sgpr_count 6
		.amdhsa_user_sgpr_private_segment_buffer 1
		.amdhsa_user_sgpr_dispatch_ptr 0
		.amdhsa_user_sgpr_queue_ptr 0
		.amdhsa_user_sgpr_kernarg_segment_ptr 1
		.amdhsa_user_sgpr_dispatch_id 0
		.amdhsa_user_sgpr_flat_scratch_init 0
		.amdhsa_user_sgpr_private_segment_size 0
		.amdhsa_uses_dynamic_stack 0
		.amdhsa_system_sgpr_private_segment_wavefront_offset 0
		.amdhsa_system_sgpr_workgroup_id_x 1
		.amdhsa_system_sgpr_workgroup_id_y 0
		.amdhsa_system_sgpr_workgroup_id_z 0
		.amdhsa_system_sgpr_workgroup_info 0
		.amdhsa_system_vgpr_workitem_id 0
		.amdhsa_next_free_vgpr 39
		.amdhsa_next_free_sgpr 16
		.amdhsa_reserve_vcc 1
		.amdhsa_reserve_flat_scratch 0
		.amdhsa_float_round_mode_32 0
		.amdhsa_float_round_mode_16_64 0
		.amdhsa_float_denorm_mode_32 3
		.amdhsa_float_denorm_mode_16_64 3
		.amdhsa_dx10_clamp 1
		.amdhsa_ieee_mode 1
		.amdhsa_fp16_overflow 0
		.amdhsa_exception_fp_ieee_invalid_op 0
		.amdhsa_exception_fp_denorm_src 0
		.amdhsa_exception_fp_ieee_div_zero 0
		.amdhsa_exception_fp_ieee_overflow 0
		.amdhsa_exception_fp_ieee_underflow 0
		.amdhsa_exception_fp_ieee_inexact 0
		.amdhsa_exception_int_div_zero 0
	.end_amdhsa_kernel
	.section	.text._ZN2at6native29vectorized_elementwise_kernelILi16ENS0_13BinaryFunctorIN3c108BFloat16ES4_bNS0_12_GLOBAL__N_116CompareEqFunctorIS4_EEEESt5arrayIPcLm3EEEEviT0_T1_,"axG",@progbits,_ZN2at6native29vectorized_elementwise_kernelILi16ENS0_13BinaryFunctorIN3c108BFloat16ES4_bNS0_12_GLOBAL__N_116CompareEqFunctorIS4_EEEESt5arrayIPcLm3EEEEviT0_T1_,comdat
.Lfunc_end192:
	.size	_ZN2at6native29vectorized_elementwise_kernelILi16ENS0_13BinaryFunctorIN3c108BFloat16ES4_bNS0_12_GLOBAL__N_116CompareEqFunctorIS4_EEEESt5arrayIPcLm3EEEEviT0_T1_, .Lfunc_end192-_ZN2at6native29vectorized_elementwise_kernelILi16ENS0_13BinaryFunctorIN3c108BFloat16ES4_bNS0_12_GLOBAL__N_116CompareEqFunctorIS4_EEEESt5arrayIPcLm3EEEEviT0_T1_
                                        ; -- End function
	.set _ZN2at6native29vectorized_elementwise_kernelILi16ENS0_13BinaryFunctorIN3c108BFloat16ES4_bNS0_12_GLOBAL__N_116CompareEqFunctorIS4_EEEESt5arrayIPcLm3EEEEviT0_T1_.num_vgpr, 39
	.set _ZN2at6native29vectorized_elementwise_kernelILi16ENS0_13BinaryFunctorIN3c108BFloat16ES4_bNS0_12_GLOBAL__N_116CompareEqFunctorIS4_EEEESt5arrayIPcLm3EEEEviT0_T1_.num_agpr, 0
	.set _ZN2at6native29vectorized_elementwise_kernelILi16ENS0_13BinaryFunctorIN3c108BFloat16ES4_bNS0_12_GLOBAL__N_116CompareEqFunctorIS4_EEEESt5arrayIPcLm3EEEEviT0_T1_.numbered_sgpr, 16
	.set _ZN2at6native29vectorized_elementwise_kernelILi16ENS0_13BinaryFunctorIN3c108BFloat16ES4_bNS0_12_GLOBAL__N_116CompareEqFunctorIS4_EEEESt5arrayIPcLm3EEEEviT0_T1_.num_named_barrier, 0
	.set _ZN2at6native29vectorized_elementwise_kernelILi16ENS0_13BinaryFunctorIN3c108BFloat16ES4_bNS0_12_GLOBAL__N_116CompareEqFunctorIS4_EEEESt5arrayIPcLm3EEEEviT0_T1_.private_seg_size, 0
	.set _ZN2at6native29vectorized_elementwise_kernelILi16ENS0_13BinaryFunctorIN3c108BFloat16ES4_bNS0_12_GLOBAL__N_116CompareEqFunctorIS4_EEEESt5arrayIPcLm3EEEEviT0_T1_.uses_vcc, 1
	.set _ZN2at6native29vectorized_elementwise_kernelILi16ENS0_13BinaryFunctorIN3c108BFloat16ES4_bNS0_12_GLOBAL__N_116CompareEqFunctorIS4_EEEESt5arrayIPcLm3EEEEviT0_T1_.uses_flat_scratch, 0
	.set _ZN2at6native29vectorized_elementwise_kernelILi16ENS0_13BinaryFunctorIN3c108BFloat16ES4_bNS0_12_GLOBAL__N_116CompareEqFunctorIS4_EEEESt5arrayIPcLm3EEEEviT0_T1_.has_dyn_sized_stack, 0
	.set _ZN2at6native29vectorized_elementwise_kernelILi16ENS0_13BinaryFunctorIN3c108BFloat16ES4_bNS0_12_GLOBAL__N_116CompareEqFunctorIS4_EEEESt5arrayIPcLm3EEEEviT0_T1_.has_recursion, 0
	.set _ZN2at6native29vectorized_elementwise_kernelILi16ENS0_13BinaryFunctorIN3c108BFloat16ES4_bNS0_12_GLOBAL__N_116CompareEqFunctorIS4_EEEESt5arrayIPcLm3EEEEviT0_T1_.has_indirect_call, 0
	.section	.AMDGPU.csdata,"",@progbits
; Kernel info:
; codeLenInByte = 4464
; TotalNumSgprs: 20
; NumVgprs: 39
; ScratchSize: 0
; MemoryBound: 0
; FloatMode: 240
; IeeeMode: 1
; LDSByteSize: 0 bytes/workgroup (compile time only)
; SGPRBlocks: 2
; VGPRBlocks: 9
; NumSGPRsForWavesPerEU: 20
; NumVGPRsForWavesPerEU: 39
; Occupancy: 6
; WaveLimiterHint : 0
; COMPUTE_PGM_RSRC2:SCRATCH_EN: 0
; COMPUTE_PGM_RSRC2:USER_SGPR: 6
; COMPUTE_PGM_RSRC2:TRAP_HANDLER: 0
; COMPUTE_PGM_RSRC2:TGID_X_EN: 1
; COMPUTE_PGM_RSRC2:TGID_Y_EN: 0
; COMPUTE_PGM_RSRC2:TGID_Z_EN: 0
; COMPUTE_PGM_RSRC2:TIDIG_COMP_CNT: 0
	.section	.text._ZN2at6native29vectorized_elementwise_kernelILi8ENS0_13BinaryFunctorIN3c108BFloat16ES4_bNS0_12_GLOBAL__N_116CompareEqFunctorIS4_EEEESt5arrayIPcLm3EEEEviT0_T1_,"axG",@progbits,_ZN2at6native29vectorized_elementwise_kernelILi8ENS0_13BinaryFunctorIN3c108BFloat16ES4_bNS0_12_GLOBAL__N_116CompareEqFunctorIS4_EEEESt5arrayIPcLm3EEEEviT0_T1_,comdat
	.globl	_ZN2at6native29vectorized_elementwise_kernelILi8ENS0_13BinaryFunctorIN3c108BFloat16ES4_bNS0_12_GLOBAL__N_116CompareEqFunctorIS4_EEEESt5arrayIPcLm3EEEEviT0_T1_ ; -- Begin function _ZN2at6native29vectorized_elementwise_kernelILi8ENS0_13BinaryFunctorIN3c108BFloat16ES4_bNS0_12_GLOBAL__N_116CompareEqFunctorIS4_EEEESt5arrayIPcLm3EEEEviT0_T1_
	.p2align	8
	.type	_ZN2at6native29vectorized_elementwise_kernelILi8ENS0_13BinaryFunctorIN3c108BFloat16ES4_bNS0_12_GLOBAL__N_116CompareEqFunctorIS4_EEEESt5arrayIPcLm3EEEEviT0_T1_,@function
_ZN2at6native29vectorized_elementwise_kernelILi8ENS0_13BinaryFunctorIN3c108BFloat16ES4_bNS0_12_GLOBAL__N_116CompareEqFunctorIS4_EEEESt5arrayIPcLm3EEEEviT0_T1_: ; @_ZN2at6native29vectorized_elementwise_kernelILi8ENS0_13BinaryFunctorIN3c108BFloat16ES4_bNS0_12_GLOBAL__N_116CompareEqFunctorIS4_EEEESt5arrayIPcLm3EEEEviT0_T1_
; %bb.0:
	s_load_dwordx2 s[12:13], s[4:5], 0x0
	s_load_dwordx4 s[8:11], s[4:5], 0x8
	s_load_dwordx2 s[14:15], s[4:5], 0x18
	s_lshl_b32 s2, s6, 12
	s_mov_b64 s[0:1], -1
	s_waitcnt lgkmcnt(0)
	s_sub_i32 s6, s12, s2
	s_cmpk_gt_i32 s6, 0xfff
	s_cbranch_scc0 .LBB193_2
; %bb.1:
	s_ashr_i32 s3, s2, 31
	s_lshl_b64 s[0:1], s[2:3], 1
	s_add_u32 s4, s10, s0
	s_addc_u32 s5, s11, s1
	s_add_u32 s0, s14, s0
	v_lshlrev_b32_e32 v13, 4, v0
	s_addc_u32 s1, s15, s1
	global_load_dwordx4 v[1:4], v13, s[4:5]
	global_load_dwordx4 v[5:8], v13, s[0:1]
	v_mov_b32_e32 v9, s5
	v_add_co_u32_e32 v10, vcc, s4, v13
	v_addc_co_u32_e32 v11, vcc, 0, v9, vcc
	v_add_co_u32_e32 v9, vcc, 0x1000, v10
	v_addc_co_u32_e32 v10, vcc, 0, v11, vcc
	v_mov_b32_e32 v14, s1
	v_add_co_u32_e32 v13, vcc, s0, v13
	s_movk_i32 s7, 0x1000
	v_addc_co_u32_e32 v14, vcc, 0, v14, vcc
	v_add_co_u32_e32 v13, vcc, s7, v13
	v_addc_co_u32_e32 v14, vcc, 0, v14, vcc
	global_load_dwordx4 v[9:12], v[9:10], off
	s_cmp_eq_u32 s13, 0
	global_load_dwordx4 v[13:16], v[13:14], off
	v_mov_b32_e32 v17, 0x100
	v_mov_b32_e32 v18, 0x10000
	;; [unrolled: 1-line block ×3, first 2 shown]
	v_or3_b32 v20, 0, 0, 0
	s_waitcnt vmcnt(3)
	v_lshlrev_b32_e32 v21, 16, v1
	s_waitcnt vmcnt(2)
	v_lshlrev_b32_e32 v24, 16, v5
	v_cmp_eq_f32_e32 vcc, v21, v24
	v_and_b32_e32 v1, 0xffff0000, v1
	v_and_b32_e32 v5, 0xffff0000, v5
	v_cndmask_b32_e64 v27, 0, 1, vcc
	v_cmp_neq_f32_e32 vcc, v21, v24
	v_cndmask_b32_e64 v21, 0, 1, vcc
	v_cmp_eq_f32_e32 vcc, v1, v5
	v_lshlrev_b32_e32 v22, 16, v2
	v_lshlrev_b32_e32 v25, 16, v6
	v_cndmask_b32_e64 v24, 0, 1, vcc
	v_cmp_neq_f32_e32 vcc, v1, v5
	v_cndmask_b32_e64 v1, 0, 1, vcc
	v_cmp_eq_f32_e32 vcc, v22, v25
	v_and_b32_e32 v2, 0xffff0000, v2
	v_and_b32_e32 v6, 0xffff0000, v6
	v_cndmask_b32_e64 v5, 0, 1, vcc
	v_cmp_neq_f32_e32 vcc, v22, v25
	v_cndmask_b32_e64 v22, 0, 1, vcc
	v_cmp_eq_f32_e32 vcc, v2, v6
	v_lshlrev_b32_e32 v23, 16, v3
	v_lshlrev_b32_e32 v26, 16, v7
	v_cndmask_b32_e64 v25, 0, 1, vcc
	v_cmp_neq_f32_e32 vcc, v2, v6
	v_cndmask_b32_e64 v2, 0, 1, vcc
	v_cmp_eq_f32_e32 vcc, v23, v26
	v_and_b32_e32 v3, 0xffff0000, v3
	v_and_b32_e32 v7, 0xffff0000, v7
	v_cndmask_b32_e64 v6, 0, 1, vcc
	v_cmp_neq_f32_e32 vcc, v23, v26
	v_cndmask_b32_e64 v23, 0, 1, vcc
	v_cmp_eq_f32_e32 vcc, v3, v7
	v_cndmask_b32_e64 v26, 0, 1, vcc
	s_cselect_b64 vcc, -1, 0
	v_cndmask_b32_e32 v1, v1, v24, vcc
	v_cndmask_b32_e32 v5, v22, v5, vcc
	v_and_b32_e32 v1, 1, v1
	v_cndmask_b32_e32 v2, v2, v25, vcc
	v_and_b32_e32 v5, 1, v5
	v_cmp_eq_u32_e64 s[0:1], 1, v1
	v_cndmask_b32_e32 v6, v23, v6, vcc
	v_and_b32_e32 v2, 1, v2
	v_cndmask_b32_e64 v1, 0, v17, s[0:1]
	v_cmp_eq_u32_e64 s[0:1], 1, v5
	v_cndmask_b32_e32 v21, v21, v27, vcc
	v_and_b32_e32 v6, 1, v6
	v_cndmask_b32_e64 v5, 0, v18, s[0:1]
	v_cmp_eq_u32_e64 s[0:1], 1, v2
	v_and_b32_e32 v21, 1, v21
	v_cndmask_b32_e64 v2, 0, v19, s[0:1]
	v_cmp_eq_u32_e64 s[0:1], 1, v6
	v_cndmask_b32_e64 v6, 0, 1, s[0:1]
	v_or_b32_e32 v1, v1, v21
	v_cmp_neq_f32_e64 s[0:1], v3, v7
	v_or3_b32 v1, v1, v5, v2
	v_cndmask_b32_e64 v2, 0, 1, s[0:1]
	v_cndmask_b32_e32 v2, v2, v26, vcc
	v_and_b32_e32 v2, 1, v2
	v_cmp_eq_u32_e64 s[0:1], 1, v2
	v_lshlrev_b32_e32 v3, 16, v8
	v_lshlrev_b32_e32 v5, 16, v4
	v_cndmask_b32_e64 v2, 0, v17, s[0:1]
	v_cmp_eq_f32_e64 s[0:1], v5, v3
	v_cndmask_b32_e64 v7, 0, 1, s[0:1]
	v_cmp_neq_f32_e64 s[0:1], v5, v3
	v_cndmask_b32_e64 v3, 0, 1, s[0:1]
	v_cndmask_b32_e32 v3, v3, v7, vcc
	v_and_b32_e32 v3, 1, v3
	v_cmp_eq_u32_e64 s[0:1], 1, v3
	v_and_b32_e32 v5, 0xffff0000, v8
	v_and_b32_e32 v4, 0xffff0000, v4
	v_cndmask_b32_e64 v3, 0, v18, s[0:1]
	v_cmp_eq_f32_e64 s[0:1], v4, v5
	v_or3_b32 v2, v20, v6, v2
	v_cndmask_b32_e64 v6, 0, 1, s[0:1]
	v_cmp_neq_f32_e64 s[0:1], v4, v5
	v_cndmask_b32_e64 v4, 0, 1, s[0:1]
	v_cndmask_b32_e32 v4, v4, v6, vcc
	v_and_b32_e32 v4, 1, v4
	v_cmp_eq_u32_e64 s[0:1], 1, v4
	v_cndmask_b32_e64 v4, 0, v19, s[0:1]
	v_or3_b32 v2, v2, v3, v4
	s_waitcnt vmcnt(0)
	v_lshlrev_b32_e32 v3, 16, v13
	v_lshlrev_b32_e32 v4, 16, v9
	v_cmp_eq_f32_e64 s[0:1], v4, v3
	v_cndmask_b32_e64 v5, 0, 1, s[0:1]
	v_cmp_neq_f32_e64 s[0:1], v4, v3
	v_cndmask_b32_e64 v3, 0, 1, s[0:1]
	v_cndmask_b32_e32 v3, v3, v5, vcc
	v_and_b32_e32 v4, 0xffff0000, v13
	v_and_b32_e32 v5, 0xffff0000, v9
	v_cmp_eq_f32_e64 s[0:1], v5, v4
	v_cndmask_b32_e64 v6, 0, 1, s[0:1]
	v_cmp_neq_f32_e64 s[0:1], v5, v4
	v_cndmask_b32_e64 v4, 0, 1, s[0:1]
	v_cndmask_b32_e32 v4, v4, v6, vcc
	v_and_b32_e32 v4, 1, v4
	v_cmp_eq_u32_e64 s[0:1], 1, v4
	v_and_b32_e32 v3, 1, v3
	v_cndmask_b32_e64 v4, 0, v17, s[0:1]
	v_or_b32_e32 v3, v4, v3
	v_lshlrev_b32_e32 v4, 16, v14
	v_lshlrev_b32_e32 v5, 16, v10
	v_cmp_eq_f32_e64 s[0:1], v5, v4
	v_cndmask_b32_e64 v6, 0, 1, s[0:1]
	v_cmp_neq_f32_e64 s[0:1], v5, v4
	v_cndmask_b32_e64 v4, 0, 1, s[0:1]
	v_cndmask_b32_e32 v4, v4, v6, vcc
	v_and_b32_e32 v4, 1, v4
	v_cmp_eq_u32_e64 s[0:1], 1, v4
	v_and_b32_e32 v5, 0xffff0000, v14
	v_and_b32_e32 v6, 0xffff0000, v10
	v_cndmask_b32_e64 v4, 0, v18, s[0:1]
	v_cmp_eq_f32_e64 s[0:1], v6, v5
	v_cndmask_b32_e64 v7, 0, 1, s[0:1]
	v_cmp_neq_f32_e64 s[0:1], v6, v5
	v_cndmask_b32_e64 v5, 0, 1, s[0:1]
	v_cndmask_b32_e32 v5, v5, v7, vcc
	v_and_b32_e32 v5, 1, v5
	v_cmp_eq_u32_e64 s[0:1], 1, v5
	v_cndmask_b32_e64 v5, 0, v19, s[0:1]
	v_or3_b32 v3, v3, v4, v5
	v_lshlrev_b32_e32 v4, 16, v15
	v_lshlrev_b32_e32 v5, 16, v11
	v_cmp_eq_f32_e64 s[0:1], v5, v4
	v_cndmask_b32_e64 v6, 0, 1, s[0:1]
	v_cmp_neq_f32_e64 s[0:1], v5, v4
	v_cndmask_b32_e64 v4, 0, 1, s[0:1]
	v_cndmask_b32_e32 v4, v4, v6, vcc
	v_and_b32_e32 v4, 1, v4
	v_cmp_eq_u32_e64 s[0:1], 1, v4
	v_and_b32_e32 v5, 0xffff0000, v15
	v_and_b32_e32 v6, 0xffff0000, v11
	v_cndmask_b32_e64 v4, 0, 1, s[0:1]
	v_cmp_eq_f32_e64 s[0:1], v6, v5
	v_cndmask_b32_e64 v7, 0, 1, s[0:1]
	v_cmp_neq_f32_e64 s[0:1], v6, v5
	v_cndmask_b32_e64 v5, 0, 1, s[0:1]
	v_cndmask_b32_e32 v5, v5, v7, vcc
	v_and_b32_e32 v5, 1, v5
	v_cmp_eq_u32_e64 s[0:1], 1, v5
	v_lshlrev_b32_e32 v6, 16, v16
	v_lshlrev_b32_e32 v7, 16, v12
	v_cndmask_b32_e64 v5, 0, v17, s[0:1]
	v_cmp_eq_f32_e64 s[0:1], v7, v6
	v_cndmask_b32_e64 v8, 0, 1, s[0:1]
	v_cmp_neq_f32_e64 s[0:1], v7, v6
	v_cndmask_b32_e64 v6, 0, 1, s[0:1]
	v_cndmask_b32_e32 v6, v6, v8, vcc
	v_and_b32_e32 v6, 1, v6
	v_cmp_eq_u32_e64 s[0:1], 1, v6
	v_or3_b32 v4, v20, v4, v5
	v_and_b32_e32 v5, 0xffff0000, v16
	v_and_b32_e32 v7, 0xffff0000, v12
	v_cndmask_b32_e64 v6, 0, v18, s[0:1]
	v_cmp_eq_f32_e64 s[0:1], v7, v5
	v_cndmask_b32_e64 v8, 0, 1, s[0:1]
	v_cmp_neq_f32_e64 s[0:1], v7, v5
	v_cndmask_b32_e64 v5, 0, 1, s[0:1]
	v_cndmask_b32_e32 v5, v5, v8, vcc
	v_and_b32_e32 v5, 1, v5
	v_cmp_eq_u32_e32 vcc, 1, v5
	v_or3_b32 v1, v1, 0, 0
	v_cndmask_b32_e32 v5, 0, v19, vcc
	s_add_u32 s0, s8, s2
	v_or3_b32 v1, v1, 0, 0
	v_or3_b32 v3, v3, 0, 0
	;; [unrolled: 1-line block ×3, first 2 shown]
	s_addc_u32 s1, s9, s3
	v_lshlrev_b32_e32 v5, 3, v0
	v_or3_b32 v3, v3, 0, 0
	global_store_dwordx2 v5, v[1:2], s[0:1]
	global_store_dwordx2 v5, v[3:4], s[0:1] offset:2048
	s_mov_b64 s[0:1], 0
.LBB193_2:
	s_andn2_b64 vcc, exec, s[0:1]
	s_cbranch_vccnz .LBB193_52
; %bb.3:
	v_cmp_gt_i32_e32 vcc, s6, v0
	v_mov_b32_e32 v3, 0
	v_or_b32_e32 v1, s2, v0
	v_mov_b32_e32 v11, v0
	v_mov_b32_e32 v2, 0
	;; [unrolled: 1-line block ×3, first 2 shown]
	s_and_saveexec_b64 s[4:5], vcc
	s_cbranch_execz .LBB193_5
; %bb.4:
	v_mov_b32_e32 v2, 0
	v_lshlrev_b64 v[4:5], 1, v[1:2]
	v_mov_b32_e32 v2, s15
	v_add_co_u32_e64 v6, s[0:1], s14, v4
	v_addc_co_u32_e64 v7, s[0:1], v2, v5, s[0:1]
	v_mov_b32_e32 v2, s11
	v_add_co_u32_e64 v4, s[0:1], s10, v4
	v_addc_co_u32_e64 v5, s[0:1], v2, v5, s[0:1]
	global_load_ushort v2, v[4:5], off
	global_load_ushort v8, v[6:7], off
	v_or_b32_e32 v11, 0x100, v0
	s_waitcnt vmcnt(1)
	v_lshlrev_b32_e32 v2, 16, v2
	s_waitcnt vmcnt(0)
	v_lshlrev_b32_e32 v4, 16, v8
.LBB193_5:
	s_or_b64 exec, exec, s[4:5]
	v_cmp_gt_i32_e64 s[0:1], s6, v11
	v_mov_b32_e32 v6, 0
	s_and_saveexec_b64 s[4:5], s[0:1]
	s_cbranch_execz .LBB193_7
; %bb.6:
	v_add_u32_e32 v5, s2, v11
	v_mov_b32_e32 v6, 0
	v_lshlrev_b64 v[5:6], 1, v[5:6]
	v_mov_b32_e32 v3, s15
	v_add_co_u32_e64 v7, s[0:1], s14, v5
	v_addc_co_u32_e64 v8, s[0:1], v3, v6, s[0:1]
	v_mov_b32_e32 v3, s11
	v_add_co_u32_e64 v5, s[0:1], s10, v5
	v_addc_co_u32_e64 v6, s[0:1], v3, v6, s[0:1]
	global_load_ushort v3, v[5:6], off
	global_load_ushort v9, v[7:8], off
	v_add_u32_e32 v11, 0x100, v11
	s_waitcnt vmcnt(1)
	v_lshlrev_b32_e32 v3, 16, v3
	s_waitcnt vmcnt(0)
	v_lshlrev_b32_e32 v6, 16, v9
.LBB193_7:
	s_or_b64 exec, exec, s[4:5]
	v_cmp_gt_i32_e64 s[0:1], s6, v11
	v_mov_b32_e32 v5, 0
	v_mov_b32_e32 v7, 0
	v_mov_b32_e32 v8, 0
	s_and_saveexec_b64 s[4:5], s[0:1]
	s_cbranch_execz .LBB193_9
; %bb.8:
	v_add_u32_e32 v7, s2, v11
	v_mov_b32_e32 v8, 0
	v_lshlrev_b64 v[7:8], 1, v[7:8]
	v_mov_b32_e32 v10, s15
	v_add_co_u32_e64 v9, s[0:1], s14, v7
	v_addc_co_u32_e64 v10, s[0:1], v10, v8, s[0:1]
	v_mov_b32_e32 v12, s11
	v_add_co_u32_e64 v7, s[0:1], s10, v7
	v_addc_co_u32_e64 v8, s[0:1], v12, v8, s[0:1]
	global_load_ushort v12, v[7:8], off
	global_load_ushort v13, v[9:10], off
	v_add_u32_e32 v11, 0x100, v11
	s_waitcnt vmcnt(1)
	v_lshlrev_b32_e32 v7, 16, v12
	s_waitcnt vmcnt(0)
	v_lshlrev_b32_e32 v8, 16, v13
.LBB193_9:
	s_or_b64 exec, exec, s[4:5]
	v_cmp_gt_i32_e64 s[0:1], s6, v11
	v_mov_b32_e32 v10, 0
	s_and_saveexec_b64 s[4:5], s[0:1]
	s_cbranch_execz .LBB193_11
; %bb.10:
	v_add_u32_e32 v9, s2, v11
	v_mov_b32_e32 v10, 0
	v_lshlrev_b64 v[9:10], 1, v[9:10]
	v_mov_b32_e32 v5, s15
	v_add_co_u32_e64 v12, s[0:1], s14, v9
	v_addc_co_u32_e64 v13, s[0:1], v5, v10, s[0:1]
	v_mov_b32_e32 v5, s11
	v_add_co_u32_e64 v9, s[0:1], s10, v9
	v_addc_co_u32_e64 v10, s[0:1], v5, v10, s[0:1]
	global_load_ushort v5, v[9:10], off
	global_load_ushort v14, v[12:13], off
	v_add_u32_e32 v11, 0x100, v11
	s_waitcnt vmcnt(1)
	v_lshlrev_b32_e32 v5, 16, v5
	s_waitcnt vmcnt(0)
	v_lshlrev_b32_e32 v10, 16, v14
.LBB193_11:
	s_or_b64 exec, exec, s[4:5]
	v_cmp_gt_i32_e64 s[0:1], s6, v11
	v_mov_b32_e32 v9, 0
	v_mov_b32_e32 v12, 0
	v_mov_b32_e32 v13, 0
	s_and_saveexec_b64 s[4:5], s[0:1]
	s_cbranch_execz .LBB193_13
; %bb.12:
	v_add_u32_e32 v12, s2, v11
	v_mov_b32_e32 v13, 0
	v_lshlrev_b64 v[12:13], 1, v[12:13]
	v_mov_b32_e32 v15, s15
	v_add_co_u32_e64 v14, s[0:1], s14, v12
	v_addc_co_u32_e64 v15, s[0:1], v15, v13, s[0:1]
	v_mov_b32_e32 v16, s11
	v_add_co_u32_e64 v12, s[0:1], s10, v12
	v_addc_co_u32_e64 v13, s[0:1], v16, v13, s[0:1]
	global_load_ushort v16, v[12:13], off
	global_load_ushort v17, v[14:15], off
	v_add_u32_e32 v11, 0x100, v11
	s_waitcnt vmcnt(1)
	v_lshlrev_b32_e32 v12, 16, v16
	s_waitcnt vmcnt(0)
	v_lshlrev_b32_e32 v13, 16, v17
.LBB193_13:
	;; [unrolled: 48-line block ×7, first 2 shown]
	s_or_b64 exec, exec, s[4:5]
	v_cmp_gt_i32_e64 s[0:1], s6, v11
	v_mov_b32_e32 v34, 0
	s_and_saveexec_b64 s[4:5], s[0:1]
	s_cbranch_execz .LBB193_35
; %bb.34:
	v_add_u32_e32 v34, s2, v11
	v_mov_b32_e32 v35, 0
	v_lshlrev_b64 v[34:35], 1, v[34:35]
	v_mov_b32_e32 v11, s15
	v_add_co_u32_e64 v36, s[0:1], s14, v34
	v_addc_co_u32_e64 v37, s[0:1], v11, v35, s[0:1]
	v_mov_b32_e32 v11, s11
	v_add_co_u32_e64 v34, s[0:1], s10, v34
	v_addc_co_u32_e64 v35, s[0:1], v11, v35, s[0:1]
	global_load_ushort v11, v[34:35], off
	global_load_ushort v38, v[36:37], off
	s_waitcnt vmcnt(1)
	v_lshlrev_b32_e32 v30, 16, v11
	s_waitcnt vmcnt(0)
	v_lshlrev_b32_e32 v34, 16, v38
.LBB193_35:
	s_or_b64 exec, exec, s[4:5]
	s_cmp_eq_u32 s13, 0
	s_cselect_b64 s[0:1], -1, 0
	s_and_saveexec_b64 s[4:5], vcc
	s_cbranch_execnz .LBB193_53
; %bb.36:
	s_or_b64 exec, exec, s[4:5]
	v_cmp_gt_i32_e32 vcc, s6, v0
	s_and_saveexec_b64 s[4:5], vcc
	s_cbranch_execnz .LBB193_54
.LBB193_37:
	s_or_b64 exec, exec, s[4:5]
	v_cmp_gt_i32_e32 vcc, s6, v0
	s_and_saveexec_b64 s[4:5], vcc
	s_cbranch_execnz .LBB193_55
.LBB193_38:
	s_or_b64 exec, exec, s[4:5]
	v_cmp_gt_i32_e32 vcc, s6, v0
	s_and_saveexec_b64 s[4:5], vcc
	s_cbranch_execnz .LBB193_56
.LBB193_39:
	s_or_b64 exec, exec, s[4:5]
	v_cmp_gt_i32_e32 vcc, s6, v0
	s_and_saveexec_b64 s[4:5], vcc
	s_cbranch_execnz .LBB193_57
.LBB193_40:
	s_or_b64 exec, exec, s[4:5]
	v_cmp_gt_i32_e32 vcc, s6, v0
	s_and_saveexec_b64 s[4:5], vcc
	s_cbranch_execnz .LBB193_58
.LBB193_41:
	s_or_b64 exec, exec, s[4:5]
	v_cmp_gt_i32_e32 vcc, s6, v0
	s_and_saveexec_b64 s[4:5], vcc
	s_cbranch_execnz .LBB193_59
.LBB193_42:
	s_or_b64 exec, exec, s[4:5]
	v_cmp_gt_i32_e32 vcc, s6, v0
	s_and_saveexec_b64 s[4:5], vcc
	s_cbranch_execnz .LBB193_60
.LBB193_43:
	s_or_b64 exec, exec, s[4:5]
	v_cmp_gt_i32_e32 vcc, s6, v0
	s_and_saveexec_b64 s[4:5], vcc
	s_cbranch_execnz .LBB193_61
.LBB193_44:
	s_or_b64 exec, exec, s[4:5]
	v_cmp_gt_i32_e32 vcc, s6, v0
	s_and_saveexec_b64 s[4:5], vcc
	s_cbranch_execnz .LBB193_62
.LBB193_45:
	s_or_b64 exec, exec, s[4:5]
	v_cmp_gt_i32_e32 vcc, s6, v0
	s_and_saveexec_b64 s[4:5], vcc
	s_cbranch_execnz .LBB193_63
.LBB193_46:
	s_or_b64 exec, exec, s[4:5]
	v_cmp_gt_i32_e32 vcc, s6, v0
	s_and_saveexec_b64 s[4:5], vcc
	s_cbranch_execnz .LBB193_64
.LBB193_47:
	s_or_b64 exec, exec, s[4:5]
	v_cmp_gt_i32_e32 vcc, s6, v0
	s_and_saveexec_b64 s[4:5], vcc
	s_cbranch_execnz .LBB193_65
.LBB193_48:
	s_or_b64 exec, exec, s[4:5]
	v_cmp_gt_i32_e32 vcc, s6, v0
	s_and_saveexec_b64 s[4:5], vcc
	s_cbranch_execnz .LBB193_66
.LBB193_49:
	s_or_b64 exec, exec, s[4:5]
	v_cmp_gt_i32_e32 vcc, s6, v0
	s_and_saveexec_b64 s[4:5], vcc
	s_cbranch_execnz .LBB193_67
.LBB193_50:
	s_or_b64 exec, exec, s[4:5]
	v_cmp_gt_i32_e32 vcc, s6, v0
	s_and_saveexec_b64 s[4:5], vcc
	s_cbranch_execz .LBB193_52
.LBB193_51:
	v_cmp_eq_f32_e32 vcc, v30, v34
	v_cndmask_b32_e64 v1, 0, 1, vcc
	v_cmp_neq_f32_e32 vcc, v30, v34
	v_cndmask_b32_e64 v2, 0, 1, vcc
	v_cndmask_b32_e64 v1, v2, v1, s[0:1]
	v_and_b32_e32 v1, 1, v1
	v_add_u32_e32 v0, s2, v0
	global_store_byte v0, v1, s[8:9]
.LBB193_52:
	s_endpgm
.LBB193_53:
	v_cmp_eq_f32_e32 vcc, v2, v4
	v_cndmask_b32_e64 v11, 0, 1, vcc
	v_cmp_neq_f32_e32 vcc, v2, v4
	v_cndmask_b32_e64 v2, 0, 1, vcc
	v_cndmask_b32_e64 v2, v2, v11, s[0:1]
	v_or_b32_e32 v0, 0x100, v0
	v_and_b32_e32 v2, 1, v2
	global_store_byte v1, v2, s[8:9]
	s_or_b64 exec, exec, s[4:5]
	v_cmp_gt_i32_e32 vcc, s6, v0
	s_and_saveexec_b64 s[4:5], vcc
	s_cbranch_execz .LBB193_37
.LBB193_54:
	v_cmp_eq_f32_e32 vcc, v3, v6
	v_cndmask_b32_e64 v1, 0, 1, vcc
	v_cmp_neq_f32_e32 vcc, v3, v6
	v_cndmask_b32_e64 v2, 0, 1, vcc
	v_cndmask_b32_e64 v1, v2, v1, s[0:1]
	v_and_b32_e32 v1, 1, v1
	v_add_u32_e32 v2, s2, v0
	v_add_u32_e32 v0, 0x100, v0
	global_store_byte v2, v1, s[8:9]
	s_or_b64 exec, exec, s[4:5]
	v_cmp_gt_i32_e32 vcc, s6, v0
	s_and_saveexec_b64 s[4:5], vcc
	s_cbranch_execz .LBB193_38
.LBB193_55:
	v_cmp_eq_f32_e32 vcc, v7, v8
	v_cndmask_b32_e64 v1, 0, 1, vcc
	v_cmp_neq_f32_e32 vcc, v7, v8
	v_cndmask_b32_e64 v2, 0, 1, vcc
	v_cndmask_b32_e64 v1, v2, v1, s[0:1]
	v_and_b32_e32 v1, 1, v1
	v_add_u32_e32 v2, s2, v0
	v_add_u32_e32 v0, 0x100, v0
	global_store_byte v2, v1, s[8:9]
	s_or_b64 exec, exec, s[4:5]
	v_cmp_gt_i32_e32 vcc, s6, v0
	s_and_saveexec_b64 s[4:5], vcc
	s_cbranch_execz .LBB193_39
.LBB193_56:
	v_cmp_eq_f32_e32 vcc, v5, v10
	v_cndmask_b32_e64 v1, 0, 1, vcc
	v_cmp_neq_f32_e32 vcc, v5, v10
	v_cndmask_b32_e64 v2, 0, 1, vcc
	v_cndmask_b32_e64 v1, v2, v1, s[0:1]
	v_and_b32_e32 v1, 1, v1
	v_add_u32_e32 v2, s2, v0
	v_add_u32_e32 v0, 0x100, v0
	global_store_byte v2, v1, s[8:9]
	s_or_b64 exec, exec, s[4:5]
	v_cmp_gt_i32_e32 vcc, s6, v0
	s_and_saveexec_b64 s[4:5], vcc
	s_cbranch_execz .LBB193_40
.LBB193_57:
	v_cmp_eq_f32_e32 vcc, v12, v13
	v_cndmask_b32_e64 v1, 0, 1, vcc
	v_cmp_neq_f32_e32 vcc, v12, v13
	v_cndmask_b32_e64 v2, 0, 1, vcc
	v_cndmask_b32_e64 v1, v2, v1, s[0:1]
	v_and_b32_e32 v1, 1, v1
	v_add_u32_e32 v2, s2, v0
	v_add_u32_e32 v0, 0x100, v0
	global_store_byte v2, v1, s[8:9]
	s_or_b64 exec, exec, s[4:5]
	v_cmp_gt_i32_e32 vcc, s6, v0
	s_and_saveexec_b64 s[4:5], vcc
	s_cbranch_execz .LBB193_41
.LBB193_58:
	v_cmp_eq_f32_e32 vcc, v9, v15
	v_cndmask_b32_e64 v1, 0, 1, vcc
	v_cmp_neq_f32_e32 vcc, v9, v15
	v_cndmask_b32_e64 v2, 0, 1, vcc
	v_cndmask_b32_e64 v1, v2, v1, s[0:1]
	v_and_b32_e32 v1, 1, v1
	v_add_u32_e32 v2, s2, v0
	v_add_u32_e32 v0, 0x100, v0
	global_store_byte v2, v1, s[8:9]
	s_or_b64 exec, exec, s[4:5]
	v_cmp_gt_i32_e32 vcc, s6, v0
	s_and_saveexec_b64 s[4:5], vcc
	s_cbranch_execz .LBB193_42
.LBB193_59:
	v_cmp_eq_f32_e32 vcc, v16, v17
	v_cndmask_b32_e64 v1, 0, 1, vcc
	v_cmp_neq_f32_e32 vcc, v16, v17
	v_cndmask_b32_e64 v2, 0, 1, vcc
	v_cndmask_b32_e64 v1, v2, v1, s[0:1]
	v_and_b32_e32 v1, 1, v1
	v_add_u32_e32 v2, s2, v0
	v_add_u32_e32 v0, 0x100, v0
	global_store_byte v2, v1, s[8:9]
	s_or_b64 exec, exec, s[4:5]
	v_cmp_gt_i32_e32 vcc, s6, v0
	s_and_saveexec_b64 s[4:5], vcc
	s_cbranch_execz .LBB193_43
.LBB193_60:
	v_cmp_eq_f32_e32 vcc, v14, v19
	v_cndmask_b32_e64 v1, 0, 1, vcc
	v_cmp_neq_f32_e32 vcc, v14, v19
	v_cndmask_b32_e64 v2, 0, 1, vcc
	v_cndmask_b32_e64 v1, v2, v1, s[0:1]
	v_and_b32_e32 v1, 1, v1
	v_add_u32_e32 v2, s2, v0
	v_add_u32_e32 v0, 0x100, v0
	global_store_byte v2, v1, s[8:9]
	s_or_b64 exec, exec, s[4:5]
	v_cmp_gt_i32_e32 vcc, s6, v0
	s_and_saveexec_b64 s[4:5], vcc
	s_cbranch_execz .LBB193_44
.LBB193_61:
	v_cmp_eq_f32_e32 vcc, v20, v21
	v_cndmask_b32_e64 v1, 0, 1, vcc
	v_cmp_neq_f32_e32 vcc, v20, v21
	v_cndmask_b32_e64 v2, 0, 1, vcc
	v_cndmask_b32_e64 v1, v2, v1, s[0:1]
	v_and_b32_e32 v1, 1, v1
	v_add_u32_e32 v2, s2, v0
	v_add_u32_e32 v0, 0x100, v0
	global_store_byte v2, v1, s[8:9]
	s_or_b64 exec, exec, s[4:5]
	v_cmp_gt_i32_e32 vcc, s6, v0
	s_and_saveexec_b64 s[4:5], vcc
	s_cbranch_execz .LBB193_45
.LBB193_62:
	v_cmp_eq_f32_e32 vcc, v18, v23
	v_cndmask_b32_e64 v1, 0, 1, vcc
	v_cmp_neq_f32_e32 vcc, v18, v23
	v_cndmask_b32_e64 v2, 0, 1, vcc
	v_cndmask_b32_e64 v1, v2, v1, s[0:1]
	v_and_b32_e32 v1, 1, v1
	v_add_u32_e32 v2, s2, v0
	v_add_u32_e32 v0, 0x100, v0
	global_store_byte v2, v1, s[8:9]
	s_or_b64 exec, exec, s[4:5]
	v_cmp_gt_i32_e32 vcc, s6, v0
	s_and_saveexec_b64 s[4:5], vcc
	s_cbranch_execz .LBB193_46
.LBB193_63:
	v_cmp_eq_f32_e32 vcc, v24, v25
	v_cndmask_b32_e64 v1, 0, 1, vcc
	v_cmp_neq_f32_e32 vcc, v24, v25
	v_cndmask_b32_e64 v2, 0, 1, vcc
	v_cndmask_b32_e64 v1, v2, v1, s[0:1]
	v_and_b32_e32 v1, 1, v1
	v_add_u32_e32 v2, s2, v0
	v_add_u32_e32 v0, 0x100, v0
	global_store_byte v2, v1, s[8:9]
	s_or_b64 exec, exec, s[4:5]
	v_cmp_gt_i32_e32 vcc, s6, v0
	s_and_saveexec_b64 s[4:5], vcc
	s_cbranch_execz .LBB193_47
.LBB193_64:
	v_cmp_eq_f32_e32 vcc, v22, v27
	v_cndmask_b32_e64 v1, 0, 1, vcc
	v_cmp_neq_f32_e32 vcc, v22, v27
	v_cndmask_b32_e64 v2, 0, 1, vcc
	v_cndmask_b32_e64 v1, v2, v1, s[0:1]
	v_and_b32_e32 v1, 1, v1
	v_add_u32_e32 v2, s2, v0
	v_add_u32_e32 v0, 0x100, v0
	global_store_byte v2, v1, s[8:9]
	s_or_b64 exec, exec, s[4:5]
	v_cmp_gt_i32_e32 vcc, s6, v0
	s_and_saveexec_b64 s[4:5], vcc
	s_cbranch_execz .LBB193_48
.LBB193_65:
	v_cmp_eq_f32_e32 vcc, v28, v29
	v_cndmask_b32_e64 v1, 0, 1, vcc
	v_cmp_neq_f32_e32 vcc, v28, v29
	v_cndmask_b32_e64 v2, 0, 1, vcc
	v_cndmask_b32_e64 v1, v2, v1, s[0:1]
	v_and_b32_e32 v1, 1, v1
	v_add_u32_e32 v2, s2, v0
	v_add_u32_e32 v0, 0x100, v0
	global_store_byte v2, v1, s[8:9]
	s_or_b64 exec, exec, s[4:5]
	v_cmp_gt_i32_e32 vcc, s6, v0
	s_and_saveexec_b64 s[4:5], vcc
	s_cbranch_execz .LBB193_49
.LBB193_66:
	v_cmp_eq_f32_e32 vcc, v26, v31
	v_cndmask_b32_e64 v1, 0, 1, vcc
	v_cmp_neq_f32_e32 vcc, v26, v31
	v_cndmask_b32_e64 v2, 0, 1, vcc
	v_cndmask_b32_e64 v1, v2, v1, s[0:1]
	v_and_b32_e32 v1, 1, v1
	v_add_u32_e32 v2, s2, v0
	v_add_u32_e32 v0, 0x100, v0
	global_store_byte v2, v1, s[8:9]
	s_or_b64 exec, exec, s[4:5]
	v_cmp_gt_i32_e32 vcc, s6, v0
	s_and_saveexec_b64 s[4:5], vcc
	s_cbranch_execz .LBB193_50
.LBB193_67:
	v_cmp_eq_f32_e32 vcc, v32, v33
	v_cndmask_b32_e64 v1, 0, 1, vcc
	v_cmp_neq_f32_e32 vcc, v32, v33
	v_cndmask_b32_e64 v2, 0, 1, vcc
	v_cndmask_b32_e64 v1, v2, v1, s[0:1]
	v_and_b32_e32 v1, 1, v1
	v_add_u32_e32 v2, s2, v0
	v_add_u32_e32 v0, 0x100, v0
	global_store_byte v2, v1, s[8:9]
	s_or_b64 exec, exec, s[4:5]
	v_cmp_gt_i32_e32 vcc, s6, v0
	s_and_saveexec_b64 s[4:5], vcc
	s_cbranch_execnz .LBB193_51
	s_branch .LBB193_52
	.section	.rodata,"a",@progbits
	.p2align	6, 0x0
	.amdhsa_kernel _ZN2at6native29vectorized_elementwise_kernelILi8ENS0_13BinaryFunctorIN3c108BFloat16ES4_bNS0_12_GLOBAL__N_116CompareEqFunctorIS4_EEEESt5arrayIPcLm3EEEEviT0_T1_
		.amdhsa_group_segment_fixed_size 0
		.amdhsa_private_segment_fixed_size 0
		.amdhsa_kernarg_size 32
		.amdhsa_user_sgpr_count 6
		.amdhsa_user_sgpr_private_segment_buffer 1
		.amdhsa_user_sgpr_dispatch_ptr 0
		.amdhsa_user_sgpr_queue_ptr 0
		.amdhsa_user_sgpr_kernarg_segment_ptr 1
		.amdhsa_user_sgpr_dispatch_id 0
		.amdhsa_user_sgpr_flat_scratch_init 0
		.amdhsa_user_sgpr_private_segment_size 0
		.amdhsa_uses_dynamic_stack 0
		.amdhsa_system_sgpr_private_segment_wavefront_offset 0
		.amdhsa_system_sgpr_workgroup_id_x 1
		.amdhsa_system_sgpr_workgroup_id_y 0
		.amdhsa_system_sgpr_workgroup_id_z 0
		.amdhsa_system_sgpr_workgroup_info 0
		.amdhsa_system_vgpr_workitem_id 0
		.amdhsa_next_free_vgpr 39
		.amdhsa_next_free_sgpr 16
		.amdhsa_reserve_vcc 1
		.amdhsa_reserve_flat_scratch 0
		.amdhsa_float_round_mode_32 0
		.amdhsa_float_round_mode_16_64 0
		.amdhsa_float_denorm_mode_32 3
		.amdhsa_float_denorm_mode_16_64 3
		.amdhsa_dx10_clamp 1
		.amdhsa_ieee_mode 1
		.amdhsa_fp16_overflow 0
		.amdhsa_exception_fp_ieee_invalid_op 0
		.amdhsa_exception_fp_denorm_src 0
		.amdhsa_exception_fp_ieee_div_zero 0
		.amdhsa_exception_fp_ieee_overflow 0
		.amdhsa_exception_fp_ieee_underflow 0
		.amdhsa_exception_fp_ieee_inexact 0
		.amdhsa_exception_int_div_zero 0
	.end_amdhsa_kernel
	.section	.text._ZN2at6native29vectorized_elementwise_kernelILi8ENS0_13BinaryFunctorIN3c108BFloat16ES4_bNS0_12_GLOBAL__N_116CompareEqFunctorIS4_EEEESt5arrayIPcLm3EEEEviT0_T1_,"axG",@progbits,_ZN2at6native29vectorized_elementwise_kernelILi8ENS0_13BinaryFunctorIN3c108BFloat16ES4_bNS0_12_GLOBAL__N_116CompareEqFunctorIS4_EEEESt5arrayIPcLm3EEEEviT0_T1_,comdat
.Lfunc_end193:
	.size	_ZN2at6native29vectorized_elementwise_kernelILi8ENS0_13BinaryFunctorIN3c108BFloat16ES4_bNS0_12_GLOBAL__N_116CompareEqFunctorIS4_EEEESt5arrayIPcLm3EEEEviT0_T1_, .Lfunc_end193-_ZN2at6native29vectorized_elementwise_kernelILi8ENS0_13BinaryFunctorIN3c108BFloat16ES4_bNS0_12_GLOBAL__N_116CompareEqFunctorIS4_EEEESt5arrayIPcLm3EEEEviT0_T1_
                                        ; -- End function
	.set _ZN2at6native29vectorized_elementwise_kernelILi8ENS0_13BinaryFunctorIN3c108BFloat16ES4_bNS0_12_GLOBAL__N_116CompareEqFunctorIS4_EEEESt5arrayIPcLm3EEEEviT0_T1_.num_vgpr, 39
	.set _ZN2at6native29vectorized_elementwise_kernelILi8ENS0_13BinaryFunctorIN3c108BFloat16ES4_bNS0_12_GLOBAL__N_116CompareEqFunctorIS4_EEEESt5arrayIPcLm3EEEEviT0_T1_.num_agpr, 0
	.set _ZN2at6native29vectorized_elementwise_kernelILi8ENS0_13BinaryFunctorIN3c108BFloat16ES4_bNS0_12_GLOBAL__N_116CompareEqFunctorIS4_EEEESt5arrayIPcLm3EEEEviT0_T1_.numbered_sgpr, 16
	.set _ZN2at6native29vectorized_elementwise_kernelILi8ENS0_13BinaryFunctorIN3c108BFloat16ES4_bNS0_12_GLOBAL__N_116CompareEqFunctorIS4_EEEESt5arrayIPcLm3EEEEviT0_T1_.num_named_barrier, 0
	.set _ZN2at6native29vectorized_elementwise_kernelILi8ENS0_13BinaryFunctorIN3c108BFloat16ES4_bNS0_12_GLOBAL__N_116CompareEqFunctorIS4_EEEESt5arrayIPcLm3EEEEviT0_T1_.private_seg_size, 0
	.set _ZN2at6native29vectorized_elementwise_kernelILi8ENS0_13BinaryFunctorIN3c108BFloat16ES4_bNS0_12_GLOBAL__N_116CompareEqFunctorIS4_EEEESt5arrayIPcLm3EEEEviT0_T1_.uses_vcc, 1
	.set _ZN2at6native29vectorized_elementwise_kernelILi8ENS0_13BinaryFunctorIN3c108BFloat16ES4_bNS0_12_GLOBAL__N_116CompareEqFunctorIS4_EEEESt5arrayIPcLm3EEEEviT0_T1_.uses_flat_scratch, 0
	.set _ZN2at6native29vectorized_elementwise_kernelILi8ENS0_13BinaryFunctorIN3c108BFloat16ES4_bNS0_12_GLOBAL__N_116CompareEqFunctorIS4_EEEESt5arrayIPcLm3EEEEviT0_T1_.has_dyn_sized_stack, 0
	.set _ZN2at6native29vectorized_elementwise_kernelILi8ENS0_13BinaryFunctorIN3c108BFloat16ES4_bNS0_12_GLOBAL__N_116CompareEqFunctorIS4_EEEESt5arrayIPcLm3EEEEviT0_T1_.has_recursion, 0
	.set _ZN2at6native29vectorized_elementwise_kernelILi8ENS0_13BinaryFunctorIN3c108BFloat16ES4_bNS0_12_GLOBAL__N_116CompareEqFunctorIS4_EEEESt5arrayIPcLm3EEEEviT0_T1_.has_indirect_call, 0
	.section	.AMDGPU.csdata,"",@progbits
; Kernel info:
; codeLenInByte = 4704
; TotalNumSgprs: 20
; NumVgprs: 39
; ScratchSize: 0
; MemoryBound: 0
; FloatMode: 240
; IeeeMode: 1
; LDSByteSize: 0 bytes/workgroup (compile time only)
; SGPRBlocks: 2
; VGPRBlocks: 9
; NumSGPRsForWavesPerEU: 20
; NumVGPRsForWavesPerEU: 39
; Occupancy: 6
; WaveLimiterHint : 1
; COMPUTE_PGM_RSRC2:SCRATCH_EN: 0
; COMPUTE_PGM_RSRC2:USER_SGPR: 6
; COMPUTE_PGM_RSRC2:TRAP_HANDLER: 0
; COMPUTE_PGM_RSRC2:TGID_X_EN: 1
; COMPUTE_PGM_RSRC2:TGID_Y_EN: 0
; COMPUTE_PGM_RSRC2:TGID_Z_EN: 0
; COMPUTE_PGM_RSRC2:TIDIG_COMP_CNT: 0
	.section	.text._ZN2at6native29vectorized_elementwise_kernelILi4ENS0_13BinaryFunctorIN3c108BFloat16ES4_bNS0_12_GLOBAL__N_116CompareEqFunctorIS4_EEEESt5arrayIPcLm3EEEEviT0_T1_,"axG",@progbits,_ZN2at6native29vectorized_elementwise_kernelILi4ENS0_13BinaryFunctorIN3c108BFloat16ES4_bNS0_12_GLOBAL__N_116CompareEqFunctorIS4_EEEESt5arrayIPcLm3EEEEviT0_T1_,comdat
	.globl	_ZN2at6native29vectorized_elementwise_kernelILi4ENS0_13BinaryFunctorIN3c108BFloat16ES4_bNS0_12_GLOBAL__N_116CompareEqFunctorIS4_EEEESt5arrayIPcLm3EEEEviT0_T1_ ; -- Begin function _ZN2at6native29vectorized_elementwise_kernelILi4ENS0_13BinaryFunctorIN3c108BFloat16ES4_bNS0_12_GLOBAL__N_116CompareEqFunctorIS4_EEEESt5arrayIPcLm3EEEEviT0_T1_
	.p2align	8
	.type	_ZN2at6native29vectorized_elementwise_kernelILi4ENS0_13BinaryFunctorIN3c108BFloat16ES4_bNS0_12_GLOBAL__N_116CompareEqFunctorIS4_EEEESt5arrayIPcLm3EEEEviT0_T1_,@function
_ZN2at6native29vectorized_elementwise_kernelILi4ENS0_13BinaryFunctorIN3c108BFloat16ES4_bNS0_12_GLOBAL__N_116CompareEqFunctorIS4_EEEESt5arrayIPcLm3EEEEviT0_T1_: ; @_ZN2at6native29vectorized_elementwise_kernelILi4ENS0_13BinaryFunctorIN3c108BFloat16ES4_bNS0_12_GLOBAL__N_116CompareEqFunctorIS4_EEEESt5arrayIPcLm3EEEEviT0_T1_
; %bb.0:
	s_load_dwordx2 s[12:13], s[4:5], 0x0
	s_load_dwordx4 s[8:11], s[4:5], 0x8
	s_load_dwordx2 s[14:15], s[4:5], 0x18
	s_lshl_b32 s2, s6, 12
	s_mov_b64 s[0:1], -1
	s_waitcnt lgkmcnt(0)
	s_sub_i32 s6, s12, s2
	s_cmpk_gt_i32 s6, 0xfff
	s_cbranch_scc0 .LBB194_2
; %bb.1:
	s_ashr_i32 s3, s2, 31
	s_lshl_b64 s[0:1], s[2:3], 1
	s_add_u32 s4, s10, s0
	s_addc_u32 s5, s11, s1
	v_lshlrev_b32_e32 v15, 3, v0
	s_add_u32 s0, s14, s0
	v_mov_b32_e32 v5, s5
	v_add_co_u32_e32 v9, vcc, s4, v15
	s_addc_u32 s1, s15, s1
	global_load_dwordx2 v[1:2], v15, s[4:5]
	global_load_dwordx2 v[3:4], v15, s[4:5] offset:2048
	v_addc_co_u32_e32 v10, vcc, 0, v5, vcc
	global_load_dwordx2 v[5:6], v15, s[0:1]
	global_load_dwordx2 v[7:8], v15, s[0:1] offset:2048
	s_movk_i32 s4, 0x1000
	v_add_co_u32_e32 v9, vcc, s4, v9
	v_addc_co_u32_e32 v10, vcc, 0, v10, vcc
	global_load_dwordx2 v[11:12], v[9:10], off
	global_load_dwordx2 v[13:14], v[9:10], off offset:2048
	v_mov_b32_e32 v9, s1
	v_add_co_u32_e32 v10, vcc, s0, v15
	v_addc_co_u32_e32 v15, vcc, 0, v9, vcc
	v_add_co_u32_e32 v9, vcc, s4, v10
	v_addc_co_u32_e32 v10, vcc, 0, v15, vcc
	global_load_dwordx2 v[15:16], v[9:10], off
	global_load_dwordx2 v[17:18], v[9:10], off offset:2048
	s_cmp_eq_u32 s13, 0
	v_mov_b32_e32 v9, 0x100
	v_mov_b32_e32 v10, 0x10000
	;; [unrolled: 1-line block ×3, first 2 shown]
	s_waitcnt vmcnt(7)
	v_and_b32_e32 v20, 0xffff0000, v1
	v_lshlrev_b32_e32 v1, 16, v1
	v_and_b32_e32 v21, 0xffff0000, v2
	v_lshlrev_b32_e32 v2, 16, v2
	s_waitcnt vmcnt(5)
	v_and_b32_e32 v24, 0xffff0000, v5
	v_lshlrev_b32_e32 v5, 16, v5
	v_cmp_eq_f32_e32 vcc, v1, v5
	v_cndmask_b32_e64 v32, 0, 1, vcc
	v_cmp_neq_f32_e32 vcc, v1, v5
	v_cndmask_b32_e64 v1, 0, 1, vcc
	v_cmp_eq_f32_e32 vcc, v20, v24
	v_and_b32_e32 v25, 0xffff0000, v6
	v_lshlrev_b32_e32 v6, 16, v6
	v_cndmask_b32_e64 v5, 0, 1, vcc
	v_cmp_neq_f32_e32 vcc, v20, v24
	v_cndmask_b32_e64 v20, 0, 1, vcc
	v_cmp_eq_f32_e32 vcc, v2, v6
	v_cndmask_b32_e64 v24, 0, 1, vcc
	v_cmp_neq_f32_e32 vcc, v2, v6
	v_cndmask_b32_e64 v2, 0, 1, vcc
	v_cmp_eq_f32_e32 vcc, v21, v25
	v_cndmask_b32_e64 v6, 0, 1, vcc
	v_cmp_neq_f32_e32 vcc, v21, v25
	v_cndmask_b32_e64 v21, 0, 1, vcc
	s_cselect_b64 vcc, -1, 0
	v_cndmask_b32_e32 v5, v20, v5, vcc
	v_cndmask_b32_e32 v2, v2, v24, vcc
	v_and_b32_e32 v5, 1, v5
	v_cndmask_b32_e32 v6, v21, v6, vcc
	v_and_b32_e32 v2, 1, v2
	v_cmp_eq_u32_e64 s[0:1], 1, v5
	v_and_b32_e32 v6, 1, v6
	v_cndmask_b32_e64 v5, 0, v9, s[0:1]
	v_cmp_eq_u32_e64 s[0:1], 1, v2
	v_and_b32_e32 v22, 0xffff0000, v3
	v_lshlrev_b32_e32 v3, 16, v3
	s_waitcnt vmcnt(4)
	v_and_b32_e32 v26, 0xffff0000, v7
	v_lshlrev_b32_e32 v7, 16, v7
	v_cndmask_b32_e32 v1, v1, v32, vcc
	v_cndmask_b32_e64 v2, 0, v10, s[0:1]
	v_cmp_eq_u32_e64 s[0:1], 1, v6
	v_cndmask_b32_e64 v6, 0, v19, s[0:1]
	v_and_or_b32 v1, v1, 1, v5
	v_cmp_eq_f32_e64 s[0:1], v3, v7
	v_or3_b32 v1, v1, v2, v6
	v_cndmask_b32_e64 v2, 0, 1, s[0:1]
	v_cmp_neq_f32_e64 s[0:1], v3, v7
	v_cndmask_b32_e64 v3, 0, 1, s[0:1]
	v_cmp_eq_f32_e64 s[0:1], v22, v26
	v_cndmask_b32_e32 v2, v3, v2, vcc
	v_cndmask_b32_e64 v3, 0, 1, s[0:1]
	v_cmp_neq_f32_e64 s[0:1], v22, v26
	v_cndmask_b32_e64 v5, 0, 1, s[0:1]
	v_cndmask_b32_e32 v3, v5, v3, vcc
	v_and_b32_e32 v3, 1, v3
	v_cmp_eq_u32_e64 s[0:1], 1, v3
	v_cndmask_b32_e64 v3, 0, v9, s[0:1]
	v_and_b32_e32 v23, 0xffff0000, v4
	v_and_or_b32 v2, v2, 1, v3
	v_lshlrev_b32_e32 v3, 16, v4
	v_lshlrev_b32_e32 v4, 16, v8
	v_cmp_eq_f32_e64 s[0:1], v3, v4
	v_cndmask_b32_e64 v5, 0, 1, s[0:1]
	v_cmp_neq_f32_e64 s[0:1], v3, v4
	v_cndmask_b32_e64 v3, 0, 1, s[0:1]
	v_cndmask_b32_e32 v3, v3, v5, vcc
	v_and_b32_e32 v3, 1, v3
	v_and_b32_e32 v27, 0xffff0000, v8
	v_cmp_eq_u32_e64 s[0:1], 1, v3
	v_cndmask_b32_e64 v3, 0, v10, s[0:1]
	v_cmp_eq_f32_e64 s[0:1], v23, v27
	v_cndmask_b32_e64 v4, 0, 1, s[0:1]
	v_cmp_neq_f32_e64 s[0:1], v23, v27
	v_cndmask_b32_e64 v5, 0, 1, s[0:1]
	v_cndmask_b32_e32 v4, v5, v4, vcc
	v_and_b32_e32 v4, 1, v4
	v_cmp_eq_u32_e64 s[0:1], 1, v4
	v_cndmask_b32_e64 v4, 0, v19, s[0:1]
	v_or3_b32 v2, v2, v3, v4
	s_waitcnt vmcnt(3)
	v_lshlrev_b32_e32 v3, 16, v11
	s_waitcnt vmcnt(1)
	v_lshlrev_b32_e32 v4, 16, v15
	v_cmp_eq_f32_e64 s[0:1], v3, v4
	v_and_b32_e32 v28, 0xffff0000, v11
	v_and_b32_e32 v20, 0xffff0000, v15
	v_cndmask_b32_e64 v5, 0, 1, s[0:1]
	v_cmp_neq_f32_e64 s[0:1], v3, v4
	v_cndmask_b32_e64 v3, 0, 1, s[0:1]
	v_cmp_eq_f32_e64 s[0:1], v28, v20
	v_cndmask_b32_e64 v4, 0, 1, s[0:1]
	v_cmp_neq_f32_e64 s[0:1], v28, v20
	v_cndmask_b32_e32 v3, v3, v5, vcc
	v_cndmask_b32_e64 v5, 0, 1, s[0:1]
	v_cndmask_b32_e32 v4, v5, v4, vcc
	v_and_b32_e32 v4, 1, v4
	v_cmp_eq_u32_e64 s[0:1], 1, v4
	v_cndmask_b32_e64 v4, 0, v9, s[0:1]
	v_and_or_b32 v3, v3, 1, v4
	v_lshlrev_b32_e32 v4, 16, v12
	v_lshlrev_b32_e32 v5, 16, v16
	v_cmp_eq_f32_e64 s[0:1], v4, v5
	v_cndmask_b32_e64 v6, 0, 1, s[0:1]
	v_cmp_neq_f32_e64 s[0:1], v4, v5
	v_cndmask_b32_e64 v4, 0, 1, s[0:1]
	v_cndmask_b32_e32 v4, v4, v6, vcc
	v_and_b32_e32 v4, 1, v4
	v_and_b32_e32 v29, 0xffff0000, v12
	;; [unrolled: 1-line block ×3, first 2 shown]
	v_cmp_eq_u32_e64 s[0:1], 1, v4
	v_cndmask_b32_e64 v4, 0, v10, s[0:1]
	v_cmp_eq_f32_e64 s[0:1], v29, v21
	v_cndmask_b32_e64 v5, 0, 1, s[0:1]
	v_cmp_neq_f32_e64 s[0:1], v29, v21
	v_cndmask_b32_e64 v6, 0, 1, s[0:1]
	v_cndmask_b32_e32 v5, v6, v5, vcc
	v_and_b32_e32 v5, 1, v5
	v_cmp_eq_u32_e64 s[0:1], 1, v5
	v_cndmask_b32_e64 v5, 0, v19, s[0:1]
	v_or3_b32 v3, v3, v4, v5
	v_lshlrev_b32_e32 v4, 16, v13
	s_waitcnt vmcnt(0)
	v_lshlrev_b32_e32 v5, 16, v17
	v_cmp_eq_f32_e64 s[0:1], v4, v5
	v_and_b32_e32 v30, 0xffff0000, v13
	v_and_b32_e32 v24, 0xffff0000, v17
	v_cndmask_b32_e64 v6, 0, 1, s[0:1]
	v_cmp_neq_f32_e64 s[0:1], v4, v5
	v_cndmask_b32_e64 v4, 0, 1, s[0:1]
	v_cmp_eq_f32_e64 s[0:1], v30, v24
	v_cndmask_b32_e64 v5, 0, 1, s[0:1]
	v_cmp_neq_f32_e64 s[0:1], v30, v24
	v_cndmask_b32_e32 v4, v4, v6, vcc
	v_cndmask_b32_e64 v6, 0, 1, s[0:1]
	v_cndmask_b32_e32 v5, v6, v5, vcc
	v_and_b32_e32 v5, 1, v5
	v_cmp_eq_u32_e64 s[0:1], 1, v5
	v_cndmask_b32_e64 v5, 0, v9, s[0:1]
	v_and_or_b32 v4, v4, 1, v5
	v_lshlrev_b32_e32 v5, 16, v14
	v_lshlrev_b32_e32 v6, 16, v18
	v_cmp_eq_f32_e64 s[0:1], v5, v6
	v_cndmask_b32_e64 v7, 0, 1, s[0:1]
	v_cmp_neq_f32_e64 s[0:1], v5, v6
	v_cndmask_b32_e64 v5, 0, 1, s[0:1]
	v_cndmask_b32_e32 v5, v5, v7, vcc
	v_and_b32_e32 v5, 1, v5
	v_and_b32_e32 v31, 0xffff0000, v14
	;; [unrolled: 1-line block ×3, first 2 shown]
	v_cmp_eq_u32_e64 s[0:1], 1, v5
	v_cndmask_b32_e64 v5, 0, v10, s[0:1]
	v_cmp_eq_f32_e64 s[0:1], v31, v25
	v_cndmask_b32_e64 v6, 0, 1, s[0:1]
	v_cmp_neq_f32_e64 s[0:1], v31, v25
	v_cndmask_b32_e64 v7, 0, 1, s[0:1]
	v_cndmask_b32_e32 v6, v7, v6, vcc
	v_and_b32_e32 v6, 1, v6
	v_cmp_eq_u32_e32 vcc, 1, v6
	v_cndmask_b32_e32 v6, 0, v19, vcc
	s_add_u32 s0, s8, s2
	v_or3_b32 v4, v4, v5, v6
	s_addc_u32 s1, s9, s3
	v_lshlrev_b32_e32 v5, 2, v0
	global_store_dword v5, v1, s[0:1]
	global_store_dword v5, v2, s[0:1] offset:1024
	global_store_dword v5, v3, s[0:1] offset:2048
	;; [unrolled: 1-line block ×3, first 2 shown]
	s_mov_b64 s[0:1], 0
.LBB194_2:
	s_andn2_b64 vcc, exec, s[0:1]
	s_cbranch_vccnz .LBB194_52
; %bb.3:
	v_cmp_gt_i32_e32 vcc, s6, v0
	v_mov_b32_e32 v3, 0
	v_or_b32_e32 v1, s2, v0
	v_mov_b32_e32 v11, v0
	v_mov_b32_e32 v2, 0
	;; [unrolled: 1-line block ×3, first 2 shown]
	s_and_saveexec_b64 s[4:5], vcc
	s_cbranch_execz .LBB194_5
; %bb.4:
	v_mov_b32_e32 v2, 0
	v_lshlrev_b64 v[4:5], 1, v[1:2]
	v_mov_b32_e32 v2, s15
	v_add_co_u32_e64 v6, s[0:1], s14, v4
	v_addc_co_u32_e64 v7, s[0:1], v2, v5, s[0:1]
	v_mov_b32_e32 v2, s11
	v_add_co_u32_e64 v4, s[0:1], s10, v4
	v_addc_co_u32_e64 v5, s[0:1], v2, v5, s[0:1]
	global_load_ushort v2, v[4:5], off
	global_load_ushort v8, v[6:7], off
	v_or_b32_e32 v11, 0x100, v0
	s_waitcnt vmcnt(1)
	v_lshlrev_b32_e32 v2, 16, v2
	s_waitcnt vmcnt(0)
	v_lshlrev_b32_e32 v4, 16, v8
.LBB194_5:
	s_or_b64 exec, exec, s[4:5]
	v_cmp_gt_i32_e64 s[0:1], s6, v11
	v_mov_b32_e32 v6, 0
	s_and_saveexec_b64 s[4:5], s[0:1]
	s_cbranch_execz .LBB194_7
; %bb.6:
	v_add_u32_e32 v5, s2, v11
	v_mov_b32_e32 v6, 0
	v_lshlrev_b64 v[5:6], 1, v[5:6]
	v_mov_b32_e32 v3, s15
	v_add_co_u32_e64 v7, s[0:1], s14, v5
	v_addc_co_u32_e64 v8, s[0:1], v3, v6, s[0:1]
	v_mov_b32_e32 v3, s11
	v_add_co_u32_e64 v5, s[0:1], s10, v5
	v_addc_co_u32_e64 v6, s[0:1], v3, v6, s[0:1]
	global_load_ushort v3, v[5:6], off
	global_load_ushort v9, v[7:8], off
	v_add_u32_e32 v11, 0x100, v11
	s_waitcnt vmcnt(1)
	v_lshlrev_b32_e32 v3, 16, v3
	s_waitcnt vmcnt(0)
	v_lshlrev_b32_e32 v6, 16, v9
.LBB194_7:
	s_or_b64 exec, exec, s[4:5]
	v_cmp_gt_i32_e64 s[0:1], s6, v11
	v_mov_b32_e32 v5, 0
	v_mov_b32_e32 v7, 0
	v_mov_b32_e32 v8, 0
	s_and_saveexec_b64 s[4:5], s[0:1]
	s_cbranch_execz .LBB194_9
; %bb.8:
	v_add_u32_e32 v7, s2, v11
	v_mov_b32_e32 v8, 0
	v_lshlrev_b64 v[7:8], 1, v[7:8]
	v_mov_b32_e32 v10, s15
	v_add_co_u32_e64 v9, s[0:1], s14, v7
	v_addc_co_u32_e64 v10, s[0:1], v10, v8, s[0:1]
	v_mov_b32_e32 v12, s11
	v_add_co_u32_e64 v7, s[0:1], s10, v7
	v_addc_co_u32_e64 v8, s[0:1], v12, v8, s[0:1]
	global_load_ushort v12, v[7:8], off
	global_load_ushort v13, v[9:10], off
	v_add_u32_e32 v11, 0x100, v11
	s_waitcnt vmcnt(1)
	v_lshlrev_b32_e32 v7, 16, v12
	s_waitcnt vmcnt(0)
	v_lshlrev_b32_e32 v8, 16, v13
.LBB194_9:
	s_or_b64 exec, exec, s[4:5]
	v_cmp_gt_i32_e64 s[0:1], s6, v11
	v_mov_b32_e32 v10, 0
	s_and_saveexec_b64 s[4:5], s[0:1]
	s_cbranch_execz .LBB194_11
; %bb.10:
	v_add_u32_e32 v9, s2, v11
	v_mov_b32_e32 v10, 0
	v_lshlrev_b64 v[9:10], 1, v[9:10]
	v_mov_b32_e32 v5, s15
	v_add_co_u32_e64 v12, s[0:1], s14, v9
	v_addc_co_u32_e64 v13, s[0:1], v5, v10, s[0:1]
	v_mov_b32_e32 v5, s11
	v_add_co_u32_e64 v9, s[0:1], s10, v9
	v_addc_co_u32_e64 v10, s[0:1], v5, v10, s[0:1]
	global_load_ushort v5, v[9:10], off
	global_load_ushort v14, v[12:13], off
	v_add_u32_e32 v11, 0x100, v11
	s_waitcnt vmcnt(1)
	v_lshlrev_b32_e32 v5, 16, v5
	s_waitcnt vmcnt(0)
	v_lshlrev_b32_e32 v10, 16, v14
.LBB194_11:
	s_or_b64 exec, exec, s[4:5]
	v_cmp_gt_i32_e64 s[0:1], s6, v11
	v_mov_b32_e32 v9, 0
	v_mov_b32_e32 v12, 0
	v_mov_b32_e32 v13, 0
	s_and_saveexec_b64 s[4:5], s[0:1]
	s_cbranch_execz .LBB194_13
; %bb.12:
	v_add_u32_e32 v12, s2, v11
	v_mov_b32_e32 v13, 0
	v_lshlrev_b64 v[12:13], 1, v[12:13]
	v_mov_b32_e32 v15, s15
	v_add_co_u32_e64 v14, s[0:1], s14, v12
	v_addc_co_u32_e64 v15, s[0:1], v15, v13, s[0:1]
	v_mov_b32_e32 v16, s11
	v_add_co_u32_e64 v12, s[0:1], s10, v12
	v_addc_co_u32_e64 v13, s[0:1], v16, v13, s[0:1]
	global_load_ushort v16, v[12:13], off
	global_load_ushort v17, v[14:15], off
	v_add_u32_e32 v11, 0x100, v11
	s_waitcnt vmcnt(1)
	v_lshlrev_b32_e32 v12, 16, v16
	s_waitcnt vmcnt(0)
	v_lshlrev_b32_e32 v13, 16, v17
.LBB194_13:
	;; [unrolled: 48-line block ×7, first 2 shown]
	s_or_b64 exec, exec, s[4:5]
	v_cmp_gt_i32_e64 s[0:1], s6, v11
	v_mov_b32_e32 v34, 0
	s_and_saveexec_b64 s[4:5], s[0:1]
	s_cbranch_execz .LBB194_35
; %bb.34:
	v_add_u32_e32 v34, s2, v11
	v_mov_b32_e32 v35, 0
	v_lshlrev_b64 v[34:35], 1, v[34:35]
	v_mov_b32_e32 v11, s15
	v_add_co_u32_e64 v36, s[0:1], s14, v34
	v_addc_co_u32_e64 v37, s[0:1], v11, v35, s[0:1]
	v_mov_b32_e32 v11, s11
	v_add_co_u32_e64 v34, s[0:1], s10, v34
	v_addc_co_u32_e64 v35, s[0:1], v11, v35, s[0:1]
	global_load_ushort v11, v[34:35], off
	global_load_ushort v38, v[36:37], off
	s_waitcnt vmcnt(1)
	v_lshlrev_b32_e32 v30, 16, v11
	s_waitcnt vmcnt(0)
	v_lshlrev_b32_e32 v34, 16, v38
.LBB194_35:
	s_or_b64 exec, exec, s[4:5]
	s_cmp_eq_u32 s13, 0
	s_cselect_b64 s[0:1], -1, 0
	s_and_saveexec_b64 s[4:5], vcc
	s_cbranch_execnz .LBB194_53
; %bb.36:
	s_or_b64 exec, exec, s[4:5]
	v_cmp_gt_i32_e32 vcc, s6, v0
	s_and_saveexec_b64 s[4:5], vcc
	s_cbranch_execnz .LBB194_54
.LBB194_37:
	s_or_b64 exec, exec, s[4:5]
	v_cmp_gt_i32_e32 vcc, s6, v0
	s_and_saveexec_b64 s[4:5], vcc
	s_cbranch_execnz .LBB194_55
.LBB194_38:
	s_or_b64 exec, exec, s[4:5]
	v_cmp_gt_i32_e32 vcc, s6, v0
	s_and_saveexec_b64 s[4:5], vcc
	s_cbranch_execnz .LBB194_56
.LBB194_39:
	s_or_b64 exec, exec, s[4:5]
	v_cmp_gt_i32_e32 vcc, s6, v0
	s_and_saveexec_b64 s[4:5], vcc
	s_cbranch_execnz .LBB194_57
.LBB194_40:
	s_or_b64 exec, exec, s[4:5]
	v_cmp_gt_i32_e32 vcc, s6, v0
	s_and_saveexec_b64 s[4:5], vcc
	s_cbranch_execnz .LBB194_58
.LBB194_41:
	s_or_b64 exec, exec, s[4:5]
	v_cmp_gt_i32_e32 vcc, s6, v0
	s_and_saveexec_b64 s[4:5], vcc
	s_cbranch_execnz .LBB194_59
.LBB194_42:
	s_or_b64 exec, exec, s[4:5]
	v_cmp_gt_i32_e32 vcc, s6, v0
	s_and_saveexec_b64 s[4:5], vcc
	s_cbranch_execnz .LBB194_60
.LBB194_43:
	s_or_b64 exec, exec, s[4:5]
	v_cmp_gt_i32_e32 vcc, s6, v0
	s_and_saveexec_b64 s[4:5], vcc
	s_cbranch_execnz .LBB194_61
.LBB194_44:
	s_or_b64 exec, exec, s[4:5]
	v_cmp_gt_i32_e32 vcc, s6, v0
	s_and_saveexec_b64 s[4:5], vcc
	s_cbranch_execnz .LBB194_62
.LBB194_45:
	s_or_b64 exec, exec, s[4:5]
	v_cmp_gt_i32_e32 vcc, s6, v0
	s_and_saveexec_b64 s[4:5], vcc
	s_cbranch_execnz .LBB194_63
.LBB194_46:
	s_or_b64 exec, exec, s[4:5]
	v_cmp_gt_i32_e32 vcc, s6, v0
	s_and_saveexec_b64 s[4:5], vcc
	s_cbranch_execnz .LBB194_64
.LBB194_47:
	s_or_b64 exec, exec, s[4:5]
	v_cmp_gt_i32_e32 vcc, s6, v0
	s_and_saveexec_b64 s[4:5], vcc
	s_cbranch_execnz .LBB194_65
.LBB194_48:
	s_or_b64 exec, exec, s[4:5]
	v_cmp_gt_i32_e32 vcc, s6, v0
	s_and_saveexec_b64 s[4:5], vcc
	s_cbranch_execnz .LBB194_66
.LBB194_49:
	s_or_b64 exec, exec, s[4:5]
	v_cmp_gt_i32_e32 vcc, s6, v0
	s_and_saveexec_b64 s[4:5], vcc
	s_cbranch_execnz .LBB194_67
.LBB194_50:
	s_or_b64 exec, exec, s[4:5]
	v_cmp_gt_i32_e32 vcc, s6, v0
	s_and_saveexec_b64 s[4:5], vcc
	s_cbranch_execz .LBB194_52
.LBB194_51:
	v_cmp_eq_f32_e32 vcc, v30, v34
	v_cndmask_b32_e64 v1, 0, 1, vcc
	v_cmp_neq_f32_e32 vcc, v30, v34
	v_cndmask_b32_e64 v2, 0, 1, vcc
	v_cndmask_b32_e64 v1, v2, v1, s[0:1]
	v_and_b32_e32 v1, 1, v1
	v_add_u32_e32 v0, s2, v0
	global_store_byte v0, v1, s[8:9]
.LBB194_52:
	s_endpgm
.LBB194_53:
	v_cmp_eq_f32_e32 vcc, v2, v4
	v_cndmask_b32_e64 v11, 0, 1, vcc
	v_cmp_neq_f32_e32 vcc, v2, v4
	v_cndmask_b32_e64 v2, 0, 1, vcc
	v_cndmask_b32_e64 v2, v2, v11, s[0:1]
	v_or_b32_e32 v0, 0x100, v0
	v_and_b32_e32 v2, 1, v2
	global_store_byte v1, v2, s[8:9]
	s_or_b64 exec, exec, s[4:5]
	v_cmp_gt_i32_e32 vcc, s6, v0
	s_and_saveexec_b64 s[4:5], vcc
	s_cbranch_execz .LBB194_37
.LBB194_54:
	v_cmp_eq_f32_e32 vcc, v3, v6
	v_cndmask_b32_e64 v1, 0, 1, vcc
	v_cmp_neq_f32_e32 vcc, v3, v6
	v_cndmask_b32_e64 v2, 0, 1, vcc
	v_cndmask_b32_e64 v1, v2, v1, s[0:1]
	v_and_b32_e32 v1, 1, v1
	v_add_u32_e32 v2, s2, v0
	v_add_u32_e32 v0, 0x100, v0
	global_store_byte v2, v1, s[8:9]
	s_or_b64 exec, exec, s[4:5]
	v_cmp_gt_i32_e32 vcc, s6, v0
	s_and_saveexec_b64 s[4:5], vcc
	s_cbranch_execz .LBB194_38
.LBB194_55:
	v_cmp_eq_f32_e32 vcc, v7, v8
	v_cndmask_b32_e64 v1, 0, 1, vcc
	v_cmp_neq_f32_e32 vcc, v7, v8
	v_cndmask_b32_e64 v2, 0, 1, vcc
	v_cndmask_b32_e64 v1, v2, v1, s[0:1]
	v_and_b32_e32 v1, 1, v1
	v_add_u32_e32 v2, s2, v0
	v_add_u32_e32 v0, 0x100, v0
	global_store_byte v2, v1, s[8:9]
	s_or_b64 exec, exec, s[4:5]
	v_cmp_gt_i32_e32 vcc, s6, v0
	s_and_saveexec_b64 s[4:5], vcc
	s_cbranch_execz .LBB194_39
.LBB194_56:
	v_cmp_eq_f32_e32 vcc, v5, v10
	v_cndmask_b32_e64 v1, 0, 1, vcc
	v_cmp_neq_f32_e32 vcc, v5, v10
	v_cndmask_b32_e64 v2, 0, 1, vcc
	v_cndmask_b32_e64 v1, v2, v1, s[0:1]
	v_and_b32_e32 v1, 1, v1
	v_add_u32_e32 v2, s2, v0
	v_add_u32_e32 v0, 0x100, v0
	global_store_byte v2, v1, s[8:9]
	s_or_b64 exec, exec, s[4:5]
	v_cmp_gt_i32_e32 vcc, s6, v0
	s_and_saveexec_b64 s[4:5], vcc
	s_cbranch_execz .LBB194_40
.LBB194_57:
	v_cmp_eq_f32_e32 vcc, v12, v13
	v_cndmask_b32_e64 v1, 0, 1, vcc
	v_cmp_neq_f32_e32 vcc, v12, v13
	v_cndmask_b32_e64 v2, 0, 1, vcc
	v_cndmask_b32_e64 v1, v2, v1, s[0:1]
	v_and_b32_e32 v1, 1, v1
	v_add_u32_e32 v2, s2, v0
	v_add_u32_e32 v0, 0x100, v0
	global_store_byte v2, v1, s[8:9]
	s_or_b64 exec, exec, s[4:5]
	v_cmp_gt_i32_e32 vcc, s6, v0
	s_and_saveexec_b64 s[4:5], vcc
	s_cbranch_execz .LBB194_41
.LBB194_58:
	v_cmp_eq_f32_e32 vcc, v9, v15
	v_cndmask_b32_e64 v1, 0, 1, vcc
	v_cmp_neq_f32_e32 vcc, v9, v15
	v_cndmask_b32_e64 v2, 0, 1, vcc
	v_cndmask_b32_e64 v1, v2, v1, s[0:1]
	v_and_b32_e32 v1, 1, v1
	v_add_u32_e32 v2, s2, v0
	v_add_u32_e32 v0, 0x100, v0
	global_store_byte v2, v1, s[8:9]
	s_or_b64 exec, exec, s[4:5]
	v_cmp_gt_i32_e32 vcc, s6, v0
	s_and_saveexec_b64 s[4:5], vcc
	s_cbranch_execz .LBB194_42
.LBB194_59:
	v_cmp_eq_f32_e32 vcc, v16, v17
	v_cndmask_b32_e64 v1, 0, 1, vcc
	v_cmp_neq_f32_e32 vcc, v16, v17
	v_cndmask_b32_e64 v2, 0, 1, vcc
	v_cndmask_b32_e64 v1, v2, v1, s[0:1]
	v_and_b32_e32 v1, 1, v1
	v_add_u32_e32 v2, s2, v0
	v_add_u32_e32 v0, 0x100, v0
	global_store_byte v2, v1, s[8:9]
	s_or_b64 exec, exec, s[4:5]
	v_cmp_gt_i32_e32 vcc, s6, v0
	s_and_saveexec_b64 s[4:5], vcc
	s_cbranch_execz .LBB194_43
.LBB194_60:
	v_cmp_eq_f32_e32 vcc, v14, v19
	v_cndmask_b32_e64 v1, 0, 1, vcc
	v_cmp_neq_f32_e32 vcc, v14, v19
	v_cndmask_b32_e64 v2, 0, 1, vcc
	v_cndmask_b32_e64 v1, v2, v1, s[0:1]
	v_and_b32_e32 v1, 1, v1
	v_add_u32_e32 v2, s2, v0
	v_add_u32_e32 v0, 0x100, v0
	global_store_byte v2, v1, s[8:9]
	s_or_b64 exec, exec, s[4:5]
	v_cmp_gt_i32_e32 vcc, s6, v0
	s_and_saveexec_b64 s[4:5], vcc
	s_cbranch_execz .LBB194_44
.LBB194_61:
	v_cmp_eq_f32_e32 vcc, v20, v21
	v_cndmask_b32_e64 v1, 0, 1, vcc
	v_cmp_neq_f32_e32 vcc, v20, v21
	v_cndmask_b32_e64 v2, 0, 1, vcc
	v_cndmask_b32_e64 v1, v2, v1, s[0:1]
	v_and_b32_e32 v1, 1, v1
	v_add_u32_e32 v2, s2, v0
	v_add_u32_e32 v0, 0x100, v0
	global_store_byte v2, v1, s[8:9]
	s_or_b64 exec, exec, s[4:5]
	v_cmp_gt_i32_e32 vcc, s6, v0
	s_and_saveexec_b64 s[4:5], vcc
	s_cbranch_execz .LBB194_45
.LBB194_62:
	v_cmp_eq_f32_e32 vcc, v18, v23
	v_cndmask_b32_e64 v1, 0, 1, vcc
	v_cmp_neq_f32_e32 vcc, v18, v23
	v_cndmask_b32_e64 v2, 0, 1, vcc
	v_cndmask_b32_e64 v1, v2, v1, s[0:1]
	v_and_b32_e32 v1, 1, v1
	v_add_u32_e32 v2, s2, v0
	v_add_u32_e32 v0, 0x100, v0
	global_store_byte v2, v1, s[8:9]
	s_or_b64 exec, exec, s[4:5]
	v_cmp_gt_i32_e32 vcc, s6, v0
	s_and_saveexec_b64 s[4:5], vcc
	s_cbranch_execz .LBB194_46
.LBB194_63:
	v_cmp_eq_f32_e32 vcc, v24, v25
	v_cndmask_b32_e64 v1, 0, 1, vcc
	v_cmp_neq_f32_e32 vcc, v24, v25
	v_cndmask_b32_e64 v2, 0, 1, vcc
	v_cndmask_b32_e64 v1, v2, v1, s[0:1]
	v_and_b32_e32 v1, 1, v1
	v_add_u32_e32 v2, s2, v0
	v_add_u32_e32 v0, 0x100, v0
	global_store_byte v2, v1, s[8:9]
	s_or_b64 exec, exec, s[4:5]
	v_cmp_gt_i32_e32 vcc, s6, v0
	s_and_saveexec_b64 s[4:5], vcc
	s_cbranch_execz .LBB194_47
.LBB194_64:
	v_cmp_eq_f32_e32 vcc, v22, v27
	v_cndmask_b32_e64 v1, 0, 1, vcc
	v_cmp_neq_f32_e32 vcc, v22, v27
	v_cndmask_b32_e64 v2, 0, 1, vcc
	v_cndmask_b32_e64 v1, v2, v1, s[0:1]
	v_and_b32_e32 v1, 1, v1
	v_add_u32_e32 v2, s2, v0
	v_add_u32_e32 v0, 0x100, v0
	global_store_byte v2, v1, s[8:9]
	s_or_b64 exec, exec, s[4:5]
	v_cmp_gt_i32_e32 vcc, s6, v0
	s_and_saveexec_b64 s[4:5], vcc
	s_cbranch_execz .LBB194_48
.LBB194_65:
	v_cmp_eq_f32_e32 vcc, v28, v29
	v_cndmask_b32_e64 v1, 0, 1, vcc
	v_cmp_neq_f32_e32 vcc, v28, v29
	v_cndmask_b32_e64 v2, 0, 1, vcc
	v_cndmask_b32_e64 v1, v2, v1, s[0:1]
	v_and_b32_e32 v1, 1, v1
	v_add_u32_e32 v2, s2, v0
	v_add_u32_e32 v0, 0x100, v0
	global_store_byte v2, v1, s[8:9]
	s_or_b64 exec, exec, s[4:5]
	v_cmp_gt_i32_e32 vcc, s6, v0
	s_and_saveexec_b64 s[4:5], vcc
	s_cbranch_execz .LBB194_49
.LBB194_66:
	v_cmp_eq_f32_e32 vcc, v26, v31
	v_cndmask_b32_e64 v1, 0, 1, vcc
	v_cmp_neq_f32_e32 vcc, v26, v31
	v_cndmask_b32_e64 v2, 0, 1, vcc
	v_cndmask_b32_e64 v1, v2, v1, s[0:1]
	v_and_b32_e32 v1, 1, v1
	v_add_u32_e32 v2, s2, v0
	v_add_u32_e32 v0, 0x100, v0
	global_store_byte v2, v1, s[8:9]
	s_or_b64 exec, exec, s[4:5]
	v_cmp_gt_i32_e32 vcc, s6, v0
	s_and_saveexec_b64 s[4:5], vcc
	s_cbranch_execz .LBB194_50
.LBB194_67:
	v_cmp_eq_f32_e32 vcc, v32, v33
	v_cndmask_b32_e64 v1, 0, 1, vcc
	v_cmp_neq_f32_e32 vcc, v32, v33
	v_cndmask_b32_e64 v2, 0, 1, vcc
	v_cndmask_b32_e64 v1, v2, v1, s[0:1]
	v_and_b32_e32 v1, 1, v1
	v_add_u32_e32 v2, s2, v0
	v_add_u32_e32 v0, 0x100, v0
	global_store_byte v2, v1, s[8:9]
	s_or_b64 exec, exec, s[4:5]
	v_cmp_gt_i32_e32 vcc, s6, v0
	s_and_saveexec_b64 s[4:5], vcc
	s_cbranch_execnz .LBB194_51
	s_branch .LBB194_52
	.section	.rodata,"a",@progbits
	.p2align	6, 0x0
	.amdhsa_kernel _ZN2at6native29vectorized_elementwise_kernelILi4ENS0_13BinaryFunctorIN3c108BFloat16ES4_bNS0_12_GLOBAL__N_116CompareEqFunctorIS4_EEEESt5arrayIPcLm3EEEEviT0_T1_
		.amdhsa_group_segment_fixed_size 0
		.amdhsa_private_segment_fixed_size 0
		.amdhsa_kernarg_size 32
		.amdhsa_user_sgpr_count 6
		.amdhsa_user_sgpr_private_segment_buffer 1
		.amdhsa_user_sgpr_dispatch_ptr 0
		.amdhsa_user_sgpr_queue_ptr 0
		.amdhsa_user_sgpr_kernarg_segment_ptr 1
		.amdhsa_user_sgpr_dispatch_id 0
		.amdhsa_user_sgpr_flat_scratch_init 0
		.amdhsa_user_sgpr_private_segment_size 0
		.amdhsa_uses_dynamic_stack 0
		.amdhsa_system_sgpr_private_segment_wavefront_offset 0
		.amdhsa_system_sgpr_workgroup_id_x 1
		.amdhsa_system_sgpr_workgroup_id_y 0
		.amdhsa_system_sgpr_workgroup_id_z 0
		.amdhsa_system_sgpr_workgroup_info 0
		.amdhsa_system_vgpr_workitem_id 0
		.amdhsa_next_free_vgpr 39
		.amdhsa_next_free_sgpr 16
		.amdhsa_reserve_vcc 1
		.amdhsa_reserve_flat_scratch 0
		.amdhsa_float_round_mode_32 0
		.amdhsa_float_round_mode_16_64 0
		.amdhsa_float_denorm_mode_32 3
		.amdhsa_float_denorm_mode_16_64 3
		.amdhsa_dx10_clamp 1
		.amdhsa_ieee_mode 1
		.amdhsa_fp16_overflow 0
		.amdhsa_exception_fp_ieee_invalid_op 0
		.amdhsa_exception_fp_denorm_src 0
		.amdhsa_exception_fp_ieee_div_zero 0
		.amdhsa_exception_fp_ieee_overflow 0
		.amdhsa_exception_fp_ieee_underflow 0
		.amdhsa_exception_fp_ieee_inexact 0
		.amdhsa_exception_int_div_zero 0
	.end_amdhsa_kernel
	.section	.text._ZN2at6native29vectorized_elementwise_kernelILi4ENS0_13BinaryFunctorIN3c108BFloat16ES4_bNS0_12_GLOBAL__N_116CompareEqFunctorIS4_EEEESt5arrayIPcLm3EEEEviT0_T1_,"axG",@progbits,_ZN2at6native29vectorized_elementwise_kernelILi4ENS0_13BinaryFunctorIN3c108BFloat16ES4_bNS0_12_GLOBAL__N_116CompareEqFunctorIS4_EEEESt5arrayIPcLm3EEEEviT0_T1_,comdat
.Lfunc_end194:
	.size	_ZN2at6native29vectorized_elementwise_kernelILi4ENS0_13BinaryFunctorIN3c108BFloat16ES4_bNS0_12_GLOBAL__N_116CompareEqFunctorIS4_EEEESt5arrayIPcLm3EEEEviT0_T1_, .Lfunc_end194-_ZN2at6native29vectorized_elementwise_kernelILi4ENS0_13BinaryFunctorIN3c108BFloat16ES4_bNS0_12_GLOBAL__N_116CompareEqFunctorIS4_EEEESt5arrayIPcLm3EEEEviT0_T1_
                                        ; -- End function
	.set _ZN2at6native29vectorized_elementwise_kernelILi4ENS0_13BinaryFunctorIN3c108BFloat16ES4_bNS0_12_GLOBAL__N_116CompareEqFunctorIS4_EEEESt5arrayIPcLm3EEEEviT0_T1_.num_vgpr, 39
	.set _ZN2at6native29vectorized_elementwise_kernelILi4ENS0_13BinaryFunctorIN3c108BFloat16ES4_bNS0_12_GLOBAL__N_116CompareEqFunctorIS4_EEEESt5arrayIPcLm3EEEEviT0_T1_.num_agpr, 0
	.set _ZN2at6native29vectorized_elementwise_kernelILi4ENS0_13BinaryFunctorIN3c108BFloat16ES4_bNS0_12_GLOBAL__N_116CompareEqFunctorIS4_EEEESt5arrayIPcLm3EEEEviT0_T1_.numbered_sgpr, 16
	.set _ZN2at6native29vectorized_elementwise_kernelILi4ENS0_13BinaryFunctorIN3c108BFloat16ES4_bNS0_12_GLOBAL__N_116CompareEqFunctorIS4_EEEESt5arrayIPcLm3EEEEviT0_T1_.num_named_barrier, 0
	.set _ZN2at6native29vectorized_elementwise_kernelILi4ENS0_13BinaryFunctorIN3c108BFloat16ES4_bNS0_12_GLOBAL__N_116CompareEqFunctorIS4_EEEESt5arrayIPcLm3EEEEviT0_T1_.private_seg_size, 0
	.set _ZN2at6native29vectorized_elementwise_kernelILi4ENS0_13BinaryFunctorIN3c108BFloat16ES4_bNS0_12_GLOBAL__N_116CompareEqFunctorIS4_EEEESt5arrayIPcLm3EEEEviT0_T1_.uses_vcc, 1
	.set _ZN2at6native29vectorized_elementwise_kernelILi4ENS0_13BinaryFunctorIN3c108BFloat16ES4_bNS0_12_GLOBAL__N_116CompareEqFunctorIS4_EEEESt5arrayIPcLm3EEEEviT0_T1_.uses_flat_scratch, 0
	.set _ZN2at6native29vectorized_elementwise_kernelILi4ENS0_13BinaryFunctorIN3c108BFloat16ES4_bNS0_12_GLOBAL__N_116CompareEqFunctorIS4_EEEESt5arrayIPcLm3EEEEviT0_T1_.has_dyn_sized_stack, 0
	.set _ZN2at6native29vectorized_elementwise_kernelILi4ENS0_13BinaryFunctorIN3c108BFloat16ES4_bNS0_12_GLOBAL__N_116CompareEqFunctorIS4_EEEESt5arrayIPcLm3EEEEviT0_T1_.has_recursion, 0
	.set _ZN2at6native29vectorized_elementwise_kernelILi4ENS0_13BinaryFunctorIN3c108BFloat16ES4_bNS0_12_GLOBAL__N_116CompareEqFunctorIS4_EEEESt5arrayIPcLm3EEEEviT0_T1_.has_indirect_call, 0
	.section	.AMDGPU.csdata,"",@progbits
; Kernel info:
; codeLenInByte = 4692
; TotalNumSgprs: 20
; NumVgprs: 39
; ScratchSize: 0
; MemoryBound: 0
; FloatMode: 240
; IeeeMode: 1
; LDSByteSize: 0 bytes/workgroup (compile time only)
; SGPRBlocks: 2
; VGPRBlocks: 9
; NumSGPRsForWavesPerEU: 20
; NumVGPRsForWavesPerEU: 39
; Occupancy: 6
; WaveLimiterHint : 1
; COMPUTE_PGM_RSRC2:SCRATCH_EN: 0
; COMPUTE_PGM_RSRC2:USER_SGPR: 6
; COMPUTE_PGM_RSRC2:TRAP_HANDLER: 0
; COMPUTE_PGM_RSRC2:TGID_X_EN: 1
; COMPUTE_PGM_RSRC2:TGID_Y_EN: 0
; COMPUTE_PGM_RSRC2:TGID_Z_EN: 0
; COMPUTE_PGM_RSRC2:TIDIG_COMP_CNT: 0
	.section	.text._ZN2at6native29vectorized_elementwise_kernelILi2ENS0_13BinaryFunctorIN3c108BFloat16ES4_bNS0_12_GLOBAL__N_116CompareEqFunctorIS4_EEEESt5arrayIPcLm3EEEEviT0_T1_,"axG",@progbits,_ZN2at6native29vectorized_elementwise_kernelILi2ENS0_13BinaryFunctorIN3c108BFloat16ES4_bNS0_12_GLOBAL__N_116CompareEqFunctorIS4_EEEESt5arrayIPcLm3EEEEviT0_T1_,comdat
	.globl	_ZN2at6native29vectorized_elementwise_kernelILi2ENS0_13BinaryFunctorIN3c108BFloat16ES4_bNS0_12_GLOBAL__N_116CompareEqFunctorIS4_EEEESt5arrayIPcLm3EEEEviT0_T1_ ; -- Begin function _ZN2at6native29vectorized_elementwise_kernelILi2ENS0_13BinaryFunctorIN3c108BFloat16ES4_bNS0_12_GLOBAL__N_116CompareEqFunctorIS4_EEEESt5arrayIPcLm3EEEEviT0_T1_
	.p2align	8
	.type	_ZN2at6native29vectorized_elementwise_kernelILi2ENS0_13BinaryFunctorIN3c108BFloat16ES4_bNS0_12_GLOBAL__N_116CompareEqFunctorIS4_EEEESt5arrayIPcLm3EEEEviT0_T1_,@function
_ZN2at6native29vectorized_elementwise_kernelILi2ENS0_13BinaryFunctorIN3c108BFloat16ES4_bNS0_12_GLOBAL__N_116CompareEqFunctorIS4_EEEESt5arrayIPcLm3EEEEviT0_T1_: ; @_ZN2at6native29vectorized_elementwise_kernelILi2ENS0_13BinaryFunctorIN3c108BFloat16ES4_bNS0_12_GLOBAL__N_116CompareEqFunctorIS4_EEEESt5arrayIPcLm3EEEEviT0_T1_
; %bb.0:
	s_load_dwordx2 s[12:13], s[4:5], 0x0
	s_load_dwordx4 s[8:11], s[4:5], 0x8
	s_load_dwordx2 s[14:15], s[4:5], 0x18
	s_lshl_b32 s2, s6, 12
	s_mov_b64 s[0:1], -1
	s_waitcnt lgkmcnt(0)
	s_sub_i32 s6, s12, s2
	s_cmpk_gt_i32 s6, 0xfff
	s_cbranch_scc0 .LBB195_2
; %bb.1:
	s_ashr_i32 s3, s2, 31
	s_lshl_b64 s[0:1], s[2:3], 1
	s_add_u32 s4, s10, s0
	s_addc_u32 s5, s11, s1
	v_lshlrev_b32_e32 v3, 2, v0
	s_add_u32 s0, s14, s0
	s_addc_u32 s1, s15, s1
	global_load_dword v5, v3, s[4:5]
	global_load_dword v6, v3, s[4:5] offset:1024
	global_load_dword v7, v3, s[4:5] offset:2048
	;; [unrolled: 1-line block ×3, first 2 shown]
	global_load_dword v9, v3, s[0:1]
	global_load_dword v10, v3, s[0:1] offset:1024
	global_load_dword v11, v3, s[0:1] offset:2048
	;; [unrolled: 1-line block ×3, first 2 shown]
	v_mov_b32_e32 v1, s5
	v_add_co_u32_e32 v2, vcc, s4, v3
	v_addc_co_u32_e32 v4, vcc, 0, v1, vcc
	s_movk_i32 s7, 0x1000
	v_add_co_u32_e32 v1, vcc, s7, v2
	v_addc_co_u32_e32 v2, vcc, 0, v4, vcc
	global_load_dword v4, v[1:2], off
	global_load_dword v13, v[1:2], off offset:1024
	global_load_dword v14, v[1:2], off offset:2048
	;; [unrolled: 1-line block ×3, first 2 shown]
	v_mov_b32_e32 v1, s1
	v_add_co_u32_e32 v2, vcc, s0, v3
	v_addc_co_u32_e32 v3, vcc, 0, v1, vcc
	v_add_co_u32_e32 v1, vcc, s7, v2
	v_addc_co_u32_e32 v2, vcc, 0, v3, vcc
	global_load_dword v3, v[1:2], off
	global_load_dword v16, v[1:2], off offset:1024
	global_load_dword v17, v[1:2], off offset:2048
	;; [unrolled: 1-line block ×3, first 2 shown]
	s_cmp_eq_u32 s13, 0
	v_mov_b32_e32 v1, 0x100
	s_waitcnt vmcnt(15)
	v_and_b32_e32 v2, 0xffff0000, v5
	v_lshlrev_b32_e32 v5, 16, v5
	s_waitcnt vmcnt(14)
	v_and_b32_e32 v19, 0xffff0000, v6
	v_lshlrev_b32_e32 v6, 16, v6
	;; [unrolled: 3-line block ×3, first 2 shown]
	v_cmp_eq_f32_e32 vcc, v5, v9
	v_cndmask_b32_e64 v30, 0, 1, vcc
	v_cmp_neq_f32_e32 vcc, v5, v9
	v_cndmask_b32_e64 v5, 0, 1, vcc
	v_cmp_eq_f32_e32 vcc, v2, v22
	s_waitcnt vmcnt(10)
	v_and_b32_e32 v23, 0xffff0000, v10
	v_lshlrev_b32_e32 v10, 16, v10
	v_cndmask_b32_e64 v9, 0, 1, vcc
	v_cmp_neq_f32_e32 vcc, v2, v22
	v_cndmask_b32_e64 v2, 0, 1, vcc
	v_cmp_eq_f32_e32 vcc, v6, v10
	v_cndmask_b32_e64 v22, 0, 1, vcc
	v_cmp_neq_f32_e32 vcc, v6, v10
	v_cndmask_b32_e64 v6, 0, 1, vcc
	v_cmp_eq_f32_e32 vcc, v19, v23
	v_cndmask_b32_e64 v10, 0, 1, vcc
	v_cmp_neq_f32_e32 vcc, v19, v23
	v_cndmask_b32_e64 v19, 0, 1, vcc
	s_cselect_b64 vcc, -1, 0
	v_cndmask_b32_e32 v2, v2, v9, vcc
	v_cndmask_b32_e32 v9, v19, v10, vcc
	v_and_b32_e32 v2, 1, v2
	v_cndmask_b32_e32 v5, v5, v30, vcc
	v_and_b32_e32 v9, 1, v9
	v_cmp_eq_u32_e64 s[0:1], 1, v2
	v_cndmask_b32_e32 v6, v6, v22, vcc
	v_and_b32_e32 v5, 1, v5
	v_cndmask_b32_e64 v2, 0, v1, s[0:1]
	v_cmp_eq_u32_e64 s[0:1], 1, v9
	v_and_b32_e32 v6, 1, v6
	v_or_b32_e32 v2, v2, v5
	v_cndmask_b32_e64 v5, 0, v1, s[0:1]
	v_and_b32_e32 v20, 0xffff0000, v7
	v_or_b32_e32 v5, v5, v6
	v_lshlrev_b32_e32 v6, 16, v7
	s_waitcnt vmcnt(9)
	v_lshlrev_b32_e32 v7, 16, v11
	v_cmp_eq_f32_e64 s[0:1], v6, v7
	v_and_b32_e32 v24, 0xffff0000, v11
	v_cndmask_b32_e64 v9, 0, 1, s[0:1]
	v_cmp_neq_f32_e64 s[0:1], v6, v7
	v_cndmask_b32_e64 v6, 0, 1, s[0:1]
	v_cmp_eq_f32_e64 s[0:1], v20, v24
	v_cndmask_b32_e64 v7, 0, 1, s[0:1]
	v_cmp_neq_f32_e64 s[0:1], v20, v24
	v_cndmask_b32_e32 v6, v6, v9, vcc
	v_cndmask_b32_e64 v9, 0, 1, s[0:1]
	v_cndmask_b32_e32 v7, v9, v7, vcc
	v_and_b32_e32 v7, 1, v7
	v_cmp_eq_u32_e64 s[0:1], 1, v7
	v_and_b32_e32 v6, 1, v6
	v_cndmask_b32_e64 v7, 0, v1, s[0:1]
	v_and_b32_e32 v21, 0xffff0000, v8
	v_or_b32_e32 v6, v7, v6
	v_lshlrev_b32_e32 v7, 16, v8
	s_waitcnt vmcnt(8)
	v_lshlrev_b32_e32 v8, 16, v12
	v_cmp_eq_f32_e64 s[0:1], v7, v8
	v_and_b32_e32 v25, 0xffff0000, v12
	v_cndmask_b32_e64 v9, 0, 1, s[0:1]
	v_cmp_neq_f32_e64 s[0:1], v7, v8
	v_cndmask_b32_e64 v7, 0, 1, s[0:1]
	v_cmp_eq_f32_e64 s[0:1], v21, v25
	v_cndmask_b32_e64 v8, 0, 1, s[0:1]
	v_cmp_neq_f32_e64 s[0:1], v21, v25
	v_cndmask_b32_e32 v7, v7, v9, vcc
	v_cndmask_b32_e64 v9, 0, 1, s[0:1]
	v_cndmask_b32_e32 v8, v9, v8, vcc
	v_and_b32_e32 v8, 1, v8
	s_waitcnt vmcnt(7)
	v_and_b32_e32 v26, 0xffff0000, v4
	s_waitcnt vmcnt(3)
	v_and_b32_e32 v10, 0xffff0000, v3
	v_cmp_eq_u32_e64 s[0:1], 1, v8
	v_lshlrev_b32_e32 v4, 16, v4
	v_lshlrev_b32_e32 v3, 16, v3
	v_and_b32_e32 v7, 1, v7
	v_cndmask_b32_e64 v8, 0, v1, s[0:1]
	v_cmp_eq_f32_e64 s[0:1], v4, v3
	v_or_b32_e32 v7, v8, v7
	v_cndmask_b32_e64 v8, 0, 1, s[0:1]
	v_cmp_neq_f32_e64 s[0:1], v4, v3
	v_cndmask_b32_e64 v3, 0, 1, s[0:1]
	v_cmp_eq_f32_e64 s[0:1], v26, v10
	v_cndmask_b32_e64 v4, 0, 1, s[0:1]
	v_cmp_neq_f32_e64 s[0:1], v26, v10
	v_cndmask_b32_e32 v3, v3, v8, vcc
	v_cndmask_b32_e64 v8, 0, 1, s[0:1]
	v_cndmask_b32_e32 v4, v8, v4, vcc
	v_and_b32_e32 v4, 1, v4
	v_cmp_eq_u32_e64 s[0:1], 1, v4
	v_and_b32_e32 v3, 1, v3
	v_cndmask_b32_e64 v4, 0, v1, s[0:1]
	v_or_b32_e32 v3, v4, v3
	v_lshlrev_b32_e32 v4, 16, v13
	s_waitcnt vmcnt(2)
	v_lshlrev_b32_e32 v8, 16, v16
	v_cmp_eq_f32_e64 s[0:1], v4, v8
	v_and_b32_e32 v27, 0xffff0000, v13
	v_and_b32_e32 v19, 0xffff0000, v16
	v_cndmask_b32_e64 v9, 0, 1, s[0:1]
	v_cmp_neq_f32_e64 s[0:1], v4, v8
	v_cndmask_b32_e64 v4, 0, 1, s[0:1]
	v_cmp_eq_f32_e64 s[0:1], v27, v19
	v_cndmask_b32_e64 v8, 0, 1, s[0:1]
	v_cmp_neq_f32_e64 s[0:1], v27, v19
	v_cndmask_b32_e32 v4, v4, v9, vcc
	v_cndmask_b32_e64 v9, 0, 1, s[0:1]
	v_cndmask_b32_e32 v8, v9, v8, vcc
	v_and_b32_e32 v8, 1, v8
	v_cmp_eq_u32_e64 s[0:1], 1, v8
	v_and_b32_e32 v4, 1, v4
	v_cndmask_b32_e64 v8, 0, v1, s[0:1]
	v_or_b32_e32 v4, v8, v4
	v_lshlrev_b32_e32 v8, 16, v14
	s_waitcnt vmcnt(1)
	v_lshlrev_b32_e32 v9, 16, v17
	v_cmp_eq_f32_e64 s[0:1], v8, v9
	v_and_b32_e32 v28, 0xffff0000, v14
	v_and_b32_e32 v22, 0xffff0000, v17
	;; [unrolled: 20-line block ×3, first 2 shown]
	v_cndmask_b32_e64 v11, 0, 1, s[0:1]
	v_cmp_neq_f32_e64 s[0:1], v9, v10
	v_cndmask_b32_e64 v9, 0, 1, s[0:1]
	v_cmp_eq_f32_e64 s[0:1], v29, v23
	v_cndmask_b32_e64 v10, 0, 1, s[0:1]
	v_cmp_neq_f32_e64 s[0:1], v29, v23
	v_cndmask_b32_e32 v9, v9, v11, vcc
	v_cndmask_b32_e64 v11, 0, 1, s[0:1]
	v_cndmask_b32_e32 v10, v11, v10, vcc
	v_and_b32_e32 v10, 1, v10
	v_cmp_eq_u32_e32 vcc, 1, v10
	v_and_b32_e32 v9, 1, v9
	v_cndmask_b32_e32 v1, 0, v1, vcc
	s_add_u32 s0, s8, s2
	v_or_b32_e32 v1, v1, v9
	s_addc_u32 s1, s9, s3
	v_lshlrev_b32_e32 v9, 1, v0
	global_store_short v9, v2, s[0:1]
	global_store_short v9, v5, s[0:1] offset:512
	global_store_short v9, v6, s[0:1] offset:1024
	;; [unrolled: 1-line block ×7, first 2 shown]
	s_mov_b64 s[0:1], 0
.LBB195_2:
	s_andn2_b64 vcc, exec, s[0:1]
	s_cbranch_vccnz .LBB195_52
; %bb.3:
	v_cmp_gt_i32_e32 vcc, s6, v0
	v_mov_b32_e32 v3, 0
	v_or_b32_e32 v1, s2, v0
	v_mov_b32_e32 v11, v0
	v_mov_b32_e32 v2, 0
	;; [unrolled: 1-line block ×3, first 2 shown]
	s_and_saveexec_b64 s[4:5], vcc
	s_cbranch_execz .LBB195_5
; %bb.4:
	v_mov_b32_e32 v2, 0
	v_lshlrev_b64 v[4:5], 1, v[1:2]
	v_mov_b32_e32 v2, s15
	v_add_co_u32_e64 v6, s[0:1], s14, v4
	v_addc_co_u32_e64 v7, s[0:1], v2, v5, s[0:1]
	v_mov_b32_e32 v2, s11
	v_add_co_u32_e64 v4, s[0:1], s10, v4
	v_addc_co_u32_e64 v5, s[0:1], v2, v5, s[0:1]
	global_load_ushort v2, v[4:5], off
	global_load_ushort v8, v[6:7], off
	v_or_b32_e32 v11, 0x100, v0
	s_waitcnt vmcnt(1)
	v_lshlrev_b32_e32 v2, 16, v2
	s_waitcnt vmcnt(0)
	v_lshlrev_b32_e32 v4, 16, v8
.LBB195_5:
	s_or_b64 exec, exec, s[4:5]
	v_cmp_gt_i32_e64 s[0:1], s6, v11
	v_mov_b32_e32 v6, 0
	s_and_saveexec_b64 s[4:5], s[0:1]
	s_cbranch_execz .LBB195_7
; %bb.6:
	v_add_u32_e32 v5, s2, v11
	v_mov_b32_e32 v6, 0
	v_lshlrev_b64 v[5:6], 1, v[5:6]
	v_mov_b32_e32 v3, s15
	v_add_co_u32_e64 v7, s[0:1], s14, v5
	v_addc_co_u32_e64 v8, s[0:1], v3, v6, s[0:1]
	v_mov_b32_e32 v3, s11
	v_add_co_u32_e64 v5, s[0:1], s10, v5
	v_addc_co_u32_e64 v6, s[0:1], v3, v6, s[0:1]
	global_load_ushort v3, v[5:6], off
	global_load_ushort v9, v[7:8], off
	v_add_u32_e32 v11, 0x100, v11
	s_waitcnt vmcnt(1)
	v_lshlrev_b32_e32 v3, 16, v3
	s_waitcnt vmcnt(0)
	v_lshlrev_b32_e32 v6, 16, v9
.LBB195_7:
	s_or_b64 exec, exec, s[4:5]
	v_cmp_gt_i32_e64 s[0:1], s6, v11
	v_mov_b32_e32 v5, 0
	v_mov_b32_e32 v7, 0
	v_mov_b32_e32 v8, 0
	s_and_saveexec_b64 s[4:5], s[0:1]
	s_cbranch_execz .LBB195_9
; %bb.8:
	v_add_u32_e32 v7, s2, v11
	v_mov_b32_e32 v8, 0
	v_lshlrev_b64 v[7:8], 1, v[7:8]
	v_mov_b32_e32 v10, s15
	v_add_co_u32_e64 v9, s[0:1], s14, v7
	v_addc_co_u32_e64 v10, s[0:1], v10, v8, s[0:1]
	v_mov_b32_e32 v12, s11
	v_add_co_u32_e64 v7, s[0:1], s10, v7
	v_addc_co_u32_e64 v8, s[0:1], v12, v8, s[0:1]
	global_load_ushort v12, v[7:8], off
	global_load_ushort v13, v[9:10], off
	v_add_u32_e32 v11, 0x100, v11
	s_waitcnt vmcnt(1)
	v_lshlrev_b32_e32 v7, 16, v12
	s_waitcnt vmcnt(0)
	v_lshlrev_b32_e32 v8, 16, v13
.LBB195_9:
	s_or_b64 exec, exec, s[4:5]
	v_cmp_gt_i32_e64 s[0:1], s6, v11
	v_mov_b32_e32 v10, 0
	s_and_saveexec_b64 s[4:5], s[0:1]
	s_cbranch_execz .LBB195_11
; %bb.10:
	v_add_u32_e32 v9, s2, v11
	v_mov_b32_e32 v10, 0
	v_lshlrev_b64 v[9:10], 1, v[9:10]
	v_mov_b32_e32 v5, s15
	v_add_co_u32_e64 v12, s[0:1], s14, v9
	v_addc_co_u32_e64 v13, s[0:1], v5, v10, s[0:1]
	v_mov_b32_e32 v5, s11
	v_add_co_u32_e64 v9, s[0:1], s10, v9
	v_addc_co_u32_e64 v10, s[0:1], v5, v10, s[0:1]
	global_load_ushort v5, v[9:10], off
	global_load_ushort v14, v[12:13], off
	v_add_u32_e32 v11, 0x100, v11
	s_waitcnt vmcnt(1)
	v_lshlrev_b32_e32 v5, 16, v5
	s_waitcnt vmcnt(0)
	v_lshlrev_b32_e32 v10, 16, v14
.LBB195_11:
	s_or_b64 exec, exec, s[4:5]
	v_cmp_gt_i32_e64 s[0:1], s6, v11
	v_mov_b32_e32 v9, 0
	v_mov_b32_e32 v12, 0
	v_mov_b32_e32 v13, 0
	s_and_saveexec_b64 s[4:5], s[0:1]
	s_cbranch_execz .LBB195_13
; %bb.12:
	v_add_u32_e32 v12, s2, v11
	v_mov_b32_e32 v13, 0
	v_lshlrev_b64 v[12:13], 1, v[12:13]
	v_mov_b32_e32 v15, s15
	v_add_co_u32_e64 v14, s[0:1], s14, v12
	v_addc_co_u32_e64 v15, s[0:1], v15, v13, s[0:1]
	v_mov_b32_e32 v16, s11
	v_add_co_u32_e64 v12, s[0:1], s10, v12
	v_addc_co_u32_e64 v13, s[0:1], v16, v13, s[0:1]
	global_load_ushort v16, v[12:13], off
	global_load_ushort v17, v[14:15], off
	v_add_u32_e32 v11, 0x100, v11
	s_waitcnt vmcnt(1)
	v_lshlrev_b32_e32 v12, 16, v16
	s_waitcnt vmcnt(0)
	v_lshlrev_b32_e32 v13, 16, v17
.LBB195_13:
	;; [unrolled: 48-line block ×7, first 2 shown]
	s_or_b64 exec, exec, s[4:5]
	v_cmp_gt_i32_e64 s[0:1], s6, v11
	v_mov_b32_e32 v34, 0
	s_and_saveexec_b64 s[4:5], s[0:1]
	s_cbranch_execz .LBB195_35
; %bb.34:
	v_add_u32_e32 v34, s2, v11
	v_mov_b32_e32 v35, 0
	v_lshlrev_b64 v[34:35], 1, v[34:35]
	v_mov_b32_e32 v11, s15
	v_add_co_u32_e64 v36, s[0:1], s14, v34
	v_addc_co_u32_e64 v37, s[0:1], v11, v35, s[0:1]
	v_mov_b32_e32 v11, s11
	v_add_co_u32_e64 v34, s[0:1], s10, v34
	v_addc_co_u32_e64 v35, s[0:1], v11, v35, s[0:1]
	global_load_ushort v11, v[34:35], off
	global_load_ushort v38, v[36:37], off
	s_waitcnt vmcnt(1)
	v_lshlrev_b32_e32 v30, 16, v11
	s_waitcnt vmcnt(0)
	v_lshlrev_b32_e32 v34, 16, v38
.LBB195_35:
	s_or_b64 exec, exec, s[4:5]
	s_cmp_eq_u32 s13, 0
	s_cselect_b64 s[0:1], -1, 0
	s_and_saveexec_b64 s[4:5], vcc
	s_cbranch_execnz .LBB195_53
; %bb.36:
	s_or_b64 exec, exec, s[4:5]
	v_cmp_gt_i32_e32 vcc, s6, v0
	s_and_saveexec_b64 s[4:5], vcc
	s_cbranch_execnz .LBB195_54
.LBB195_37:
	s_or_b64 exec, exec, s[4:5]
	v_cmp_gt_i32_e32 vcc, s6, v0
	s_and_saveexec_b64 s[4:5], vcc
	s_cbranch_execnz .LBB195_55
.LBB195_38:
	s_or_b64 exec, exec, s[4:5]
	v_cmp_gt_i32_e32 vcc, s6, v0
	s_and_saveexec_b64 s[4:5], vcc
	s_cbranch_execnz .LBB195_56
.LBB195_39:
	s_or_b64 exec, exec, s[4:5]
	v_cmp_gt_i32_e32 vcc, s6, v0
	s_and_saveexec_b64 s[4:5], vcc
	s_cbranch_execnz .LBB195_57
.LBB195_40:
	s_or_b64 exec, exec, s[4:5]
	v_cmp_gt_i32_e32 vcc, s6, v0
	s_and_saveexec_b64 s[4:5], vcc
	s_cbranch_execnz .LBB195_58
.LBB195_41:
	s_or_b64 exec, exec, s[4:5]
	v_cmp_gt_i32_e32 vcc, s6, v0
	s_and_saveexec_b64 s[4:5], vcc
	s_cbranch_execnz .LBB195_59
.LBB195_42:
	s_or_b64 exec, exec, s[4:5]
	v_cmp_gt_i32_e32 vcc, s6, v0
	s_and_saveexec_b64 s[4:5], vcc
	s_cbranch_execnz .LBB195_60
.LBB195_43:
	s_or_b64 exec, exec, s[4:5]
	v_cmp_gt_i32_e32 vcc, s6, v0
	s_and_saveexec_b64 s[4:5], vcc
	s_cbranch_execnz .LBB195_61
.LBB195_44:
	s_or_b64 exec, exec, s[4:5]
	v_cmp_gt_i32_e32 vcc, s6, v0
	s_and_saveexec_b64 s[4:5], vcc
	s_cbranch_execnz .LBB195_62
.LBB195_45:
	s_or_b64 exec, exec, s[4:5]
	v_cmp_gt_i32_e32 vcc, s6, v0
	s_and_saveexec_b64 s[4:5], vcc
	s_cbranch_execnz .LBB195_63
.LBB195_46:
	s_or_b64 exec, exec, s[4:5]
	v_cmp_gt_i32_e32 vcc, s6, v0
	s_and_saveexec_b64 s[4:5], vcc
	s_cbranch_execnz .LBB195_64
.LBB195_47:
	s_or_b64 exec, exec, s[4:5]
	v_cmp_gt_i32_e32 vcc, s6, v0
	s_and_saveexec_b64 s[4:5], vcc
	s_cbranch_execnz .LBB195_65
.LBB195_48:
	s_or_b64 exec, exec, s[4:5]
	v_cmp_gt_i32_e32 vcc, s6, v0
	s_and_saveexec_b64 s[4:5], vcc
	s_cbranch_execnz .LBB195_66
.LBB195_49:
	s_or_b64 exec, exec, s[4:5]
	v_cmp_gt_i32_e32 vcc, s6, v0
	s_and_saveexec_b64 s[4:5], vcc
	s_cbranch_execnz .LBB195_67
.LBB195_50:
	s_or_b64 exec, exec, s[4:5]
	v_cmp_gt_i32_e32 vcc, s6, v0
	s_and_saveexec_b64 s[4:5], vcc
	s_cbranch_execz .LBB195_52
.LBB195_51:
	v_cmp_eq_f32_e32 vcc, v30, v34
	v_cndmask_b32_e64 v1, 0, 1, vcc
	v_cmp_neq_f32_e32 vcc, v30, v34
	v_cndmask_b32_e64 v2, 0, 1, vcc
	v_cndmask_b32_e64 v1, v2, v1, s[0:1]
	v_and_b32_e32 v1, 1, v1
	v_add_u32_e32 v0, s2, v0
	global_store_byte v0, v1, s[8:9]
.LBB195_52:
	s_endpgm
.LBB195_53:
	v_cmp_eq_f32_e32 vcc, v2, v4
	v_cndmask_b32_e64 v11, 0, 1, vcc
	v_cmp_neq_f32_e32 vcc, v2, v4
	v_cndmask_b32_e64 v2, 0, 1, vcc
	v_cndmask_b32_e64 v2, v2, v11, s[0:1]
	v_or_b32_e32 v0, 0x100, v0
	v_and_b32_e32 v2, 1, v2
	global_store_byte v1, v2, s[8:9]
	s_or_b64 exec, exec, s[4:5]
	v_cmp_gt_i32_e32 vcc, s6, v0
	s_and_saveexec_b64 s[4:5], vcc
	s_cbranch_execz .LBB195_37
.LBB195_54:
	v_cmp_eq_f32_e32 vcc, v3, v6
	v_cndmask_b32_e64 v1, 0, 1, vcc
	v_cmp_neq_f32_e32 vcc, v3, v6
	v_cndmask_b32_e64 v2, 0, 1, vcc
	v_cndmask_b32_e64 v1, v2, v1, s[0:1]
	v_and_b32_e32 v1, 1, v1
	v_add_u32_e32 v2, s2, v0
	v_add_u32_e32 v0, 0x100, v0
	global_store_byte v2, v1, s[8:9]
	s_or_b64 exec, exec, s[4:5]
	v_cmp_gt_i32_e32 vcc, s6, v0
	s_and_saveexec_b64 s[4:5], vcc
	s_cbranch_execz .LBB195_38
.LBB195_55:
	v_cmp_eq_f32_e32 vcc, v7, v8
	v_cndmask_b32_e64 v1, 0, 1, vcc
	v_cmp_neq_f32_e32 vcc, v7, v8
	v_cndmask_b32_e64 v2, 0, 1, vcc
	v_cndmask_b32_e64 v1, v2, v1, s[0:1]
	v_and_b32_e32 v1, 1, v1
	v_add_u32_e32 v2, s2, v0
	v_add_u32_e32 v0, 0x100, v0
	global_store_byte v2, v1, s[8:9]
	s_or_b64 exec, exec, s[4:5]
	v_cmp_gt_i32_e32 vcc, s6, v0
	s_and_saveexec_b64 s[4:5], vcc
	s_cbranch_execz .LBB195_39
.LBB195_56:
	v_cmp_eq_f32_e32 vcc, v5, v10
	v_cndmask_b32_e64 v1, 0, 1, vcc
	v_cmp_neq_f32_e32 vcc, v5, v10
	v_cndmask_b32_e64 v2, 0, 1, vcc
	v_cndmask_b32_e64 v1, v2, v1, s[0:1]
	v_and_b32_e32 v1, 1, v1
	v_add_u32_e32 v2, s2, v0
	v_add_u32_e32 v0, 0x100, v0
	global_store_byte v2, v1, s[8:9]
	s_or_b64 exec, exec, s[4:5]
	v_cmp_gt_i32_e32 vcc, s6, v0
	s_and_saveexec_b64 s[4:5], vcc
	s_cbranch_execz .LBB195_40
.LBB195_57:
	v_cmp_eq_f32_e32 vcc, v12, v13
	v_cndmask_b32_e64 v1, 0, 1, vcc
	v_cmp_neq_f32_e32 vcc, v12, v13
	v_cndmask_b32_e64 v2, 0, 1, vcc
	v_cndmask_b32_e64 v1, v2, v1, s[0:1]
	v_and_b32_e32 v1, 1, v1
	v_add_u32_e32 v2, s2, v0
	v_add_u32_e32 v0, 0x100, v0
	global_store_byte v2, v1, s[8:9]
	s_or_b64 exec, exec, s[4:5]
	v_cmp_gt_i32_e32 vcc, s6, v0
	s_and_saveexec_b64 s[4:5], vcc
	s_cbranch_execz .LBB195_41
.LBB195_58:
	v_cmp_eq_f32_e32 vcc, v9, v15
	v_cndmask_b32_e64 v1, 0, 1, vcc
	v_cmp_neq_f32_e32 vcc, v9, v15
	v_cndmask_b32_e64 v2, 0, 1, vcc
	v_cndmask_b32_e64 v1, v2, v1, s[0:1]
	v_and_b32_e32 v1, 1, v1
	v_add_u32_e32 v2, s2, v0
	v_add_u32_e32 v0, 0x100, v0
	global_store_byte v2, v1, s[8:9]
	s_or_b64 exec, exec, s[4:5]
	v_cmp_gt_i32_e32 vcc, s6, v0
	s_and_saveexec_b64 s[4:5], vcc
	s_cbranch_execz .LBB195_42
.LBB195_59:
	v_cmp_eq_f32_e32 vcc, v16, v17
	v_cndmask_b32_e64 v1, 0, 1, vcc
	v_cmp_neq_f32_e32 vcc, v16, v17
	v_cndmask_b32_e64 v2, 0, 1, vcc
	v_cndmask_b32_e64 v1, v2, v1, s[0:1]
	v_and_b32_e32 v1, 1, v1
	v_add_u32_e32 v2, s2, v0
	v_add_u32_e32 v0, 0x100, v0
	global_store_byte v2, v1, s[8:9]
	s_or_b64 exec, exec, s[4:5]
	v_cmp_gt_i32_e32 vcc, s6, v0
	s_and_saveexec_b64 s[4:5], vcc
	s_cbranch_execz .LBB195_43
.LBB195_60:
	v_cmp_eq_f32_e32 vcc, v14, v19
	v_cndmask_b32_e64 v1, 0, 1, vcc
	v_cmp_neq_f32_e32 vcc, v14, v19
	v_cndmask_b32_e64 v2, 0, 1, vcc
	v_cndmask_b32_e64 v1, v2, v1, s[0:1]
	v_and_b32_e32 v1, 1, v1
	v_add_u32_e32 v2, s2, v0
	v_add_u32_e32 v0, 0x100, v0
	global_store_byte v2, v1, s[8:9]
	s_or_b64 exec, exec, s[4:5]
	v_cmp_gt_i32_e32 vcc, s6, v0
	s_and_saveexec_b64 s[4:5], vcc
	s_cbranch_execz .LBB195_44
.LBB195_61:
	v_cmp_eq_f32_e32 vcc, v20, v21
	v_cndmask_b32_e64 v1, 0, 1, vcc
	v_cmp_neq_f32_e32 vcc, v20, v21
	v_cndmask_b32_e64 v2, 0, 1, vcc
	v_cndmask_b32_e64 v1, v2, v1, s[0:1]
	v_and_b32_e32 v1, 1, v1
	v_add_u32_e32 v2, s2, v0
	v_add_u32_e32 v0, 0x100, v0
	global_store_byte v2, v1, s[8:9]
	s_or_b64 exec, exec, s[4:5]
	v_cmp_gt_i32_e32 vcc, s6, v0
	s_and_saveexec_b64 s[4:5], vcc
	s_cbranch_execz .LBB195_45
.LBB195_62:
	v_cmp_eq_f32_e32 vcc, v18, v23
	v_cndmask_b32_e64 v1, 0, 1, vcc
	v_cmp_neq_f32_e32 vcc, v18, v23
	v_cndmask_b32_e64 v2, 0, 1, vcc
	v_cndmask_b32_e64 v1, v2, v1, s[0:1]
	v_and_b32_e32 v1, 1, v1
	v_add_u32_e32 v2, s2, v0
	v_add_u32_e32 v0, 0x100, v0
	global_store_byte v2, v1, s[8:9]
	s_or_b64 exec, exec, s[4:5]
	v_cmp_gt_i32_e32 vcc, s6, v0
	s_and_saveexec_b64 s[4:5], vcc
	s_cbranch_execz .LBB195_46
.LBB195_63:
	v_cmp_eq_f32_e32 vcc, v24, v25
	v_cndmask_b32_e64 v1, 0, 1, vcc
	v_cmp_neq_f32_e32 vcc, v24, v25
	v_cndmask_b32_e64 v2, 0, 1, vcc
	v_cndmask_b32_e64 v1, v2, v1, s[0:1]
	v_and_b32_e32 v1, 1, v1
	v_add_u32_e32 v2, s2, v0
	v_add_u32_e32 v0, 0x100, v0
	global_store_byte v2, v1, s[8:9]
	s_or_b64 exec, exec, s[4:5]
	v_cmp_gt_i32_e32 vcc, s6, v0
	s_and_saveexec_b64 s[4:5], vcc
	s_cbranch_execz .LBB195_47
.LBB195_64:
	v_cmp_eq_f32_e32 vcc, v22, v27
	v_cndmask_b32_e64 v1, 0, 1, vcc
	v_cmp_neq_f32_e32 vcc, v22, v27
	v_cndmask_b32_e64 v2, 0, 1, vcc
	v_cndmask_b32_e64 v1, v2, v1, s[0:1]
	v_and_b32_e32 v1, 1, v1
	v_add_u32_e32 v2, s2, v0
	v_add_u32_e32 v0, 0x100, v0
	global_store_byte v2, v1, s[8:9]
	s_or_b64 exec, exec, s[4:5]
	v_cmp_gt_i32_e32 vcc, s6, v0
	s_and_saveexec_b64 s[4:5], vcc
	s_cbranch_execz .LBB195_48
.LBB195_65:
	v_cmp_eq_f32_e32 vcc, v28, v29
	v_cndmask_b32_e64 v1, 0, 1, vcc
	v_cmp_neq_f32_e32 vcc, v28, v29
	v_cndmask_b32_e64 v2, 0, 1, vcc
	v_cndmask_b32_e64 v1, v2, v1, s[0:1]
	v_and_b32_e32 v1, 1, v1
	v_add_u32_e32 v2, s2, v0
	v_add_u32_e32 v0, 0x100, v0
	global_store_byte v2, v1, s[8:9]
	s_or_b64 exec, exec, s[4:5]
	v_cmp_gt_i32_e32 vcc, s6, v0
	s_and_saveexec_b64 s[4:5], vcc
	s_cbranch_execz .LBB195_49
.LBB195_66:
	v_cmp_eq_f32_e32 vcc, v26, v31
	v_cndmask_b32_e64 v1, 0, 1, vcc
	v_cmp_neq_f32_e32 vcc, v26, v31
	v_cndmask_b32_e64 v2, 0, 1, vcc
	v_cndmask_b32_e64 v1, v2, v1, s[0:1]
	v_and_b32_e32 v1, 1, v1
	v_add_u32_e32 v2, s2, v0
	v_add_u32_e32 v0, 0x100, v0
	global_store_byte v2, v1, s[8:9]
	s_or_b64 exec, exec, s[4:5]
	v_cmp_gt_i32_e32 vcc, s6, v0
	s_and_saveexec_b64 s[4:5], vcc
	s_cbranch_execz .LBB195_50
.LBB195_67:
	v_cmp_eq_f32_e32 vcc, v32, v33
	v_cndmask_b32_e64 v1, 0, 1, vcc
	v_cmp_neq_f32_e32 vcc, v32, v33
	v_cndmask_b32_e64 v2, 0, 1, vcc
	v_cndmask_b32_e64 v1, v2, v1, s[0:1]
	v_and_b32_e32 v1, 1, v1
	v_add_u32_e32 v2, s2, v0
	v_add_u32_e32 v0, 0x100, v0
	global_store_byte v2, v1, s[8:9]
	s_or_b64 exec, exec, s[4:5]
	v_cmp_gt_i32_e32 vcc, s6, v0
	s_and_saveexec_b64 s[4:5], vcc
	s_cbranch_execnz .LBB195_51
	s_branch .LBB195_52
	.section	.rodata,"a",@progbits
	.p2align	6, 0x0
	.amdhsa_kernel _ZN2at6native29vectorized_elementwise_kernelILi2ENS0_13BinaryFunctorIN3c108BFloat16ES4_bNS0_12_GLOBAL__N_116CompareEqFunctorIS4_EEEESt5arrayIPcLm3EEEEviT0_T1_
		.amdhsa_group_segment_fixed_size 0
		.amdhsa_private_segment_fixed_size 0
		.amdhsa_kernarg_size 32
		.amdhsa_user_sgpr_count 6
		.amdhsa_user_sgpr_private_segment_buffer 1
		.amdhsa_user_sgpr_dispatch_ptr 0
		.amdhsa_user_sgpr_queue_ptr 0
		.amdhsa_user_sgpr_kernarg_segment_ptr 1
		.amdhsa_user_sgpr_dispatch_id 0
		.amdhsa_user_sgpr_flat_scratch_init 0
		.amdhsa_user_sgpr_private_segment_size 0
		.amdhsa_uses_dynamic_stack 0
		.amdhsa_system_sgpr_private_segment_wavefront_offset 0
		.amdhsa_system_sgpr_workgroup_id_x 1
		.amdhsa_system_sgpr_workgroup_id_y 0
		.amdhsa_system_sgpr_workgroup_id_z 0
		.amdhsa_system_sgpr_workgroup_info 0
		.amdhsa_system_vgpr_workitem_id 0
		.amdhsa_next_free_vgpr 39
		.amdhsa_next_free_sgpr 16
		.amdhsa_reserve_vcc 1
		.amdhsa_reserve_flat_scratch 0
		.amdhsa_float_round_mode_32 0
		.amdhsa_float_round_mode_16_64 0
		.amdhsa_float_denorm_mode_32 3
		.amdhsa_float_denorm_mode_16_64 3
		.amdhsa_dx10_clamp 1
		.amdhsa_ieee_mode 1
		.amdhsa_fp16_overflow 0
		.amdhsa_exception_fp_ieee_invalid_op 0
		.amdhsa_exception_fp_denorm_src 0
		.amdhsa_exception_fp_ieee_div_zero 0
		.amdhsa_exception_fp_ieee_overflow 0
		.amdhsa_exception_fp_ieee_underflow 0
		.amdhsa_exception_fp_ieee_inexact 0
		.amdhsa_exception_int_div_zero 0
	.end_amdhsa_kernel
	.section	.text._ZN2at6native29vectorized_elementwise_kernelILi2ENS0_13BinaryFunctorIN3c108BFloat16ES4_bNS0_12_GLOBAL__N_116CompareEqFunctorIS4_EEEESt5arrayIPcLm3EEEEviT0_T1_,"axG",@progbits,_ZN2at6native29vectorized_elementwise_kernelILi2ENS0_13BinaryFunctorIN3c108BFloat16ES4_bNS0_12_GLOBAL__N_116CompareEqFunctorIS4_EEEESt5arrayIPcLm3EEEEviT0_T1_,comdat
.Lfunc_end195:
	.size	_ZN2at6native29vectorized_elementwise_kernelILi2ENS0_13BinaryFunctorIN3c108BFloat16ES4_bNS0_12_GLOBAL__N_116CompareEqFunctorIS4_EEEESt5arrayIPcLm3EEEEviT0_T1_, .Lfunc_end195-_ZN2at6native29vectorized_elementwise_kernelILi2ENS0_13BinaryFunctorIN3c108BFloat16ES4_bNS0_12_GLOBAL__N_116CompareEqFunctorIS4_EEEESt5arrayIPcLm3EEEEviT0_T1_
                                        ; -- End function
	.set _ZN2at6native29vectorized_elementwise_kernelILi2ENS0_13BinaryFunctorIN3c108BFloat16ES4_bNS0_12_GLOBAL__N_116CompareEqFunctorIS4_EEEESt5arrayIPcLm3EEEEviT0_T1_.num_vgpr, 39
	.set _ZN2at6native29vectorized_elementwise_kernelILi2ENS0_13BinaryFunctorIN3c108BFloat16ES4_bNS0_12_GLOBAL__N_116CompareEqFunctorIS4_EEEESt5arrayIPcLm3EEEEviT0_T1_.num_agpr, 0
	.set _ZN2at6native29vectorized_elementwise_kernelILi2ENS0_13BinaryFunctorIN3c108BFloat16ES4_bNS0_12_GLOBAL__N_116CompareEqFunctorIS4_EEEESt5arrayIPcLm3EEEEviT0_T1_.numbered_sgpr, 16
	.set _ZN2at6native29vectorized_elementwise_kernelILi2ENS0_13BinaryFunctorIN3c108BFloat16ES4_bNS0_12_GLOBAL__N_116CompareEqFunctorIS4_EEEESt5arrayIPcLm3EEEEviT0_T1_.num_named_barrier, 0
	.set _ZN2at6native29vectorized_elementwise_kernelILi2ENS0_13BinaryFunctorIN3c108BFloat16ES4_bNS0_12_GLOBAL__N_116CompareEqFunctorIS4_EEEESt5arrayIPcLm3EEEEviT0_T1_.private_seg_size, 0
	.set _ZN2at6native29vectorized_elementwise_kernelILi2ENS0_13BinaryFunctorIN3c108BFloat16ES4_bNS0_12_GLOBAL__N_116CompareEqFunctorIS4_EEEESt5arrayIPcLm3EEEEviT0_T1_.uses_vcc, 1
	.set _ZN2at6native29vectorized_elementwise_kernelILi2ENS0_13BinaryFunctorIN3c108BFloat16ES4_bNS0_12_GLOBAL__N_116CompareEqFunctorIS4_EEEESt5arrayIPcLm3EEEEviT0_T1_.uses_flat_scratch, 0
	.set _ZN2at6native29vectorized_elementwise_kernelILi2ENS0_13BinaryFunctorIN3c108BFloat16ES4_bNS0_12_GLOBAL__N_116CompareEqFunctorIS4_EEEESt5arrayIPcLm3EEEEviT0_T1_.has_dyn_sized_stack, 0
	.set _ZN2at6native29vectorized_elementwise_kernelILi2ENS0_13BinaryFunctorIN3c108BFloat16ES4_bNS0_12_GLOBAL__N_116CompareEqFunctorIS4_EEEESt5arrayIPcLm3EEEEviT0_T1_.has_recursion, 0
	.set _ZN2at6native29vectorized_elementwise_kernelILi2ENS0_13BinaryFunctorIN3c108BFloat16ES4_bNS0_12_GLOBAL__N_116CompareEqFunctorIS4_EEEESt5arrayIPcLm3EEEEviT0_T1_.has_indirect_call, 0
	.section	.AMDGPU.csdata,"",@progbits
; Kernel info:
; codeLenInByte = 4712
; TotalNumSgprs: 20
; NumVgprs: 39
; ScratchSize: 0
; MemoryBound: 0
; FloatMode: 240
; IeeeMode: 1
; LDSByteSize: 0 bytes/workgroup (compile time only)
; SGPRBlocks: 2
; VGPRBlocks: 9
; NumSGPRsForWavesPerEU: 20
; NumVGPRsForWavesPerEU: 39
; Occupancy: 6
; WaveLimiterHint : 1
; COMPUTE_PGM_RSRC2:SCRATCH_EN: 0
; COMPUTE_PGM_RSRC2:USER_SGPR: 6
; COMPUTE_PGM_RSRC2:TRAP_HANDLER: 0
; COMPUTE_PGM_RSRC2:TGID_X_EN: 1
; COMPUTE_PGM_RSRC2:TGID_Y_EN: 0
; COMPUTE_PGM_RSRC2:TGID_Z_EN: 0
; COMPUTE_PGM_RSRC2:TIDIG_COMP_CNT: 0
	.section	.text._ZN2at6native27unrolled_elementwise_kernelINS0_13BinaryFunctorIN3c108BFloat16ES4_bNS0_12_GLOBAL__N_116CompareEqFunctorIS4_EEEESt5arrayIPcLm3EELi4E23TrivialOffsetCalculatorILi2EjESC_ILi1EjENS0_6memory15LoadWithoutCastENSF_16StoreWithoutCastEEEviT_T0_T2_T3_T4_T5_,"axG",@progbits,_ZN2at6native27unrolled_elementwise_kernelINS0_13BinaryFunctorIN3c108BFloat16ES4_bNS0_12_GLOBAL__N_116CompareEqFunctorIS4_EEEESt5arrayIPcLm3EELi4E23TrivialOffsetCalculatorILi2EjESC_ILi1EjENS0_6memory15LoadWithoutCastENSF_16StoreWithoutCastEEEviT_T0_T2_T3_T4_T5_,comdat
	.globl	_ZN2at6native27unrolled_elementwise_kernelINS0_13BinaryFunctorIN3c108BFloat16ES4_bNS0_12_GLOBAL__N_116CompareEqFunctorIS4_EEEESt5arrayIPcLm3EELi4E23TrivialOffsetCalculatorILi2EjESC_ILi1EjENS0_6memory15LoadWithoutCastENSF_16StoreWithoutCastEEEviT_T0_T2_T3_T4_T5_ ; -- Begin function _ZN2at6native27unrolled_elementwise_kernelINS0_13BinaryFunctorIN3c108BFloat16ES4_bNS0_12_GLOBAL__N_116CompareEqFunctorIS4_EEEESt5arrayIPcLm3EELi4E23TrivialOffsetCalculatorILi2EjESC_ILi1EjENS0_6memory15LoadWithoutCastENSF_16StoreWithoutCastEEEviT_T0_T2_T3_T4_T5_
	.p2align	8
	.type	_ZN2at6native27unrolled_elementwise_kernelINS0_13BinaryFunctorIN3c108BFloat16ES4_bNS0_12_GLOBAL__N_116CompareEqFunctorIS4_EEEESt5arrayIPcLm3EELi4E23TrivialOffsetCalculatorILi2EjESC_ILi1EjENS0_6memory15LoadWithoutCastENSF_16StoreWithoutCastEEEviT_T0_T2_T3_T4_T5_,@function
_ZN2at6native27unrolled_elementwise_kernelINS0_13BinaryFunctorIN3c108BFloat16ES4_bNS0_12_GLOBAL__N_116CompareEqFunctorIS4_EEEESt5arrayIPcLm3EELi4E23TrivialOffsetCalculatorILi2EjESC_ILi1EjENS0_6memory15LoadWithoutCastENSF_16StoreWithoutCastEEEviT_T0_T2_T3_T4_T5_: ; @_ZN2at6native27unrolled_elementwise_kernelINS0_13BinaryFunctorIN3c108BFloat16ES4_bNS0_12_GLOBAL__N_116CompareEqFunctorIS4_EEEESt5arrayIPcLm3EELi4E23TrivialOffsetCalculatorILi2EjESC_ILi1EjENS0_6memory15LoadWithoutCastENSF_16StoreWithoutCastEEEviT_T0_T2_T3_T4_T5_
; %bb.0:
	s_load_dwordx2 s[2:3], s[4:5], 0x0
	s_load_dwordx4 s[8:11], s[4:5], 0x8
	s_load_dwordx2 s[12:13], s[4:5], 0x18
	s_lshl_b32 s6, s6, 10
	v_mov_b32_e32 v3, 0
	s_waitcnt lgkmcnt(0)
	s_sub_i32 s7, s2, s6
	v_cmp_gt_i32_e32 vcc, s7, v0
	v_or_b32_e32 v1, s6, v0
	v_mov_b32_e32 v6, v0
	v_mov_b32_e32 v2, 0
	;; [unrolled: 1-line block ×3, first 2 shown]
	s_and_saveexec_b64 s[4:5], vcc
	s_cbranch_execz .LBB196_2
; %bb.1:
	v_mov_b32_e32 v2, 0
	v_lshlrev_b64 v[4:5], 1, v[1:2]
	v_mov_b32_e32 v2, s13
	v_add_co_u32_e64 v6, s[0:1], s12, v4
	v_addc_co_u32_e64 v7, s[0:1], v2, v5, s[0:1]
	v_mov_b32_e32 v2, s11
	v_add_co_u32_e64 v4, s[0:1], s10, v4
	v_addc_co_u32_e64 v5, s[0:1], v2, v5, s[0:1]
	global_load_ushort v2, v[4:5], off
	global_load_ushort v8, v[6:7], off
	v_or_b32_e32 v6, 0x100, v0
	s_waitcnt vmcnt(1)
	v_lshlrev_b32_e32 v2, 16, v2
	s_waitcnt vmcnt(0)
	v_lshlrev_b32_e32 v4, 16, v8
.LBB196_2:
	s_or_b64 exec, exec, s[4:5]
	v_cmp_gt_i32_e64 s[0:1], s7, v6
	v_mov_b32_e32 v5, 0
	s_and_saveexec_b64 s[4:5], s[0:1]
	s_cbranch_execz .LBB196_4
; %bb.3:
	v_add_u32_e32 v7, s6, v6
	v_mov_b32_e32 v8, 0
	v_lshlrev_b64 v[7:8], 1, v[7:8]
	v_mov_b32_e32 v3, s13
	v_add_co_u32_e64 v9, s[0:1], s12, v7
	v_addc_co_u32_e64 v10, s[0:1], v3, v8, s[0:1]
	v_mov_b32_e32 v3, s11
	v_add_co_u32_e64 v7, s[0:1], s10, v7
	v_addc_co_u32_e64 v8, s[0:1], v3, v8, s[0:1]
	global_load_ushort v3, v[7:8], off
	global_load_ushort v5, v[9:10], off
	v_add_u32_e32 v6, 0x100, v6
	s_waitcnt vmcnt(1)
	v_lshlrev_b32_e32 v3, 16, v3
	s_waitcnt vmcnt(0)
	v_lshlrev_b32_e32 v5, 16, v5
.LBB196_4:
	s_or_b64 exec, exec, s[4:5]
	v_cmp_gt_i32_e64 s[0:1], s7, v6
	v_mov_b32_e32 v7, 0
	v_mov_b32_e32 v8, 0
	v_mov_b32_e32 v9, 0
	s_and_saveexec_b64 s[4:5], s[0:1]
	s_cbranch_execz .LBB196_6
; %bb.5:
	v_add_u32_e32 v8, s6, v6
	v_mov_b32_e32 v9, 0
	v_lshlrev_b64 v[8:9], 1, v[8:9]
	v_mov_b32_e32 v11, s13
	v_add_co_u32_e64 v10, s[0:1], s12, v8
	v_addc_co_u32_e64 v11, s[0:1], v11, v9, s[0:1]
	v_mov_b32_e32 v12, s11
	v_add_co_u32_e64 v8, s[0:1], s10, v8
	v_addc_co_u32_e64 v9, s[0:1], v12, v9, s[0:1]
	global_load_ushort v12, v[8:9], off
	global_load_ushort v13, v[10:11], off
	v_add_u32_e32 v6, 0x100, v6
	s_waitcnt vmcnt(1)
	v_lshlrev_b32_e32 v8, 16, v12
	s_waitcnt vmcnt(0)
	v_lshlrev_b32_e32 v9, 16, v13
.LBB196_6:
	s_or_b64 exec, exec, s[4:5]
	v_cmp_gt_i32_e64 s[0:1], s7, v6
	v_mov_b32_e32 v10, 0
	s_and_saveexec_b64 s[4:5], s[0:1]
	s_cbranch_execz .LBB196_8
; %bb.7:
	v_add_u32_e32 v6, s6, v6
	v_mov_b32_e32 v7, 0
	v_lshlrev_b64 v[6:7], 1, v[6:7]
	v_mov_b32_e32 v11, s13
	v_add_co_u32_e64 v10, s[0:1], s12, v6
	v_addc_co_u32_e64 v11, s[0:1], v11, v7, s[0:1]
	v_mov_b32_e32 v12, s11
	v_add_co_u32_e64 v6, s[0:1], s10, v6
	v_addc_co_u32_e64 v7, s[0:1], v12, v7, s[0:1]
	global_load_ushort v12, v[6:7], off
	global_load_ushort v13, v[10:11], off
	s_waitcnt vmcnt(1)
	v_lshlrev_b32_e32 v7, 16, v12
	s_waitcnt vmcnt(0)
	v_lshlrev_b32_e32 v10, 16, v13
.LBB196_8:
	s_or_b64 exec, exec, s[4:5]
	v_cmp_eq_f32_e64 s[0:1], v2, v4
	s_cmp_eq_u32 s3, 0
	v_cndmask_b32_e64 v6, 0, 1, s[0:1]
	v_cmp_neq_f32_e64 s[0:1], v2, v4
	v_cndmask_b32_e64 v2, 0, 1, s[0:1]
	s_cselect_b64 s[0:1], -1, 0
	v_cmp_eq_f32_e64 s[2:3], v3, v5
	v_cndmask_b32_e64 v2, v2, v6, s[0:1]
	v_cndmask_b32_e64 v6, 0, 1, s[2:3]
	v_cmp_neq_f32_e64 s[2:3], v3, v5
	v_cndmask_b32_e64 v3, 0, 1, s[2:3]
	v_cndmask_b32_e64 v4, 0, 1, vcc
	v_cndmask_b32_e64 v3, v3, v6, s[0:1]
	v_mov_b32_e32 v5, 1
	v_and_b32_e32 v2, v4, v2
	v_and_b32_sdwa v3, v3, v5 dst_sel:BYTE_1 dst_unused:UNUSED_PAD src0_sel:DWORD src1_sel:DWORD
	v_or_b32_e32 v4, 0x100, v0
	v_or_b32_e32 v3, v2, v3
	v_and_b32_e32 v3, 0xffff, v3
	v_cmp_gt_i32_e64 s[2:3], s7, v4
	v_cndmask_b32_e64 v2, v2, v3, s[2:3]
	v_cmp_eq_f32_e64 s[2:3], v8, v9
	v_cndmask_b32_e64 v6, 0, 1, s[2:3]
	v_cmp_neq_f32_e64 s[2:3], v8, v9
	v_cndmask_b32_e64 v8, 0, 1, s[2:3]
	v_cndmask_b32_e64 v6, v8, v6, s[0:1]
	v_or_b32_e32 v3, 0x200, v0
	v_and_b32_sdwa v6, v6, v5 dst_sel:WORD_1 dst_unused:UNUSED_PAD src0_sel:DWORD src1_sel:DWORD
	v_or_b32_e32 v6, v2, v6
	v_cmp_gt_i32_e64 s[2:3], s7, v3
	v_cndmask_b32_e64 v2, v2, v6, s[2:3]
	s_movk_i32 s2, 0xff
	v_and_b32_sdwa v3, v2, s2 dst_sel:DWORD dst_unused:UNUSED_PAD src0_sel:WORD_1 src1_sel:DWORD
	v_cmp_eq_f32_e64 s[2:3], v7, v10
	v_cndmask_b32_e64 v8, 0, 1, s[2:3]
	v_cmp_neq_f32_e64 s[2:3], v7, v10
	v_cndmask_b32_e64 v7, 0, 1, s[2:3]
	v_cndmask_b32_e64 v7, v7, v8, s[0:1]
	v_and_b32_sdwa v5, v7, v5 dst_sel:BYTE_1 dst_unused:UNUSED_PAD src0_sel:DWORD src1_sel:DWORD
	s_mov_b32 s4, 0xffff
	v_or_b32_e32 v6, 0x300, v0
	v_or_b32_sdwa v3, v3, v5 dst_sel:WORD_1 dst_unused:UNUSED_PAD src0_sel:DWORD src1_sel:DWORD
	v_and_or_b32 v3, v2, s4, v3
	v_cmp_gt_i32_e64 s[0:1], s7, v6
	v_cndmask_b32_e64 v2, v2, v3, s[0:1]
	s_and_saveexec_b64 s[0:1], vcc
	s_cbranch_execnz .LBB196_13
; %bb.9:
	s_or_b64 exec, exec, s[0:1]
	v_cmp_gt_i32_e32 vcc, s7, v0
	s_and_saveexec_b64 s[0:1], vcc
	s_cbranch_execnz .LBB196_14
.LBB196_10:
	s_or_b64 exec, exec, s[0:1]
	v_cmp_gt_i32_e32 vcc, s7, v0
	s_and_saveexec_b64 s[0:1], vcc
	s_cbranch_execnz .LBB196_15
.LBB196_11:
	s_or_b64 exec, exec, s[0:1]
	v_cmp_gt_i32_e32 vcc, s7, v0
	s_and_saveexec_b64 s[0:1], vcc
	s_cbranch_execnz .LBB196_16
.LBB196_12:
	s_endpgm
.LBB196_13:
	v_mov_b32_e32 v0, v4
	global_store_byte v1, v2, s[8:9]
	s_or_b64 exec, exec, s[0:1]
	v_cmp_gt_i32_e32 vcc, s7, v0
	s_and_saveexec_b64 s[0:1], vcc
	s_cbranch_execz .LBB196_10
.LBB196_14:
	v_add_u32_e32 v1, 0x100, v0
	v_add_u32_e32 v0, s6, v0
	v_lshrrev_b32_e32 v3, 8, v2
	global_store_byte v0, v3, s[8:9]
	v_mov_b32_e32 v0, v1
	s_or_b64 exec, exec, s[0:1]
	v_cmp_gt_i32_e32 vcc, s7, v0
	s_and_saveexec_b64 s[0:1], vcc
	s_cbranch_execz .LBB196_11
.LBB196_15:
	v_add_u32_e32 v1, 0x100, v0
	v_add_u32_e32 v0, s6, v0
	global_store_byte_d16_hi v0, v2, s[8:9]
	v_mov_b32_e32 v0, v1
	s_or_b64 exec, exec, s[0:1]
	v_cmp_gt_i32_e32 vcc, s7, v0
	s_and_saveexec_b64 s[0:1], vcc
	s_cbranch_execz .LBB196_12
.LBB196_16:
	v_add_u32_e32 v0, s6, v0
	v_lshrrev_b32_e32 v1, 24, v2
	global_store_byte v0, v1, s[8:9]
	s_endpgm
	.section	.rodata,"a",@progbits
	.p2align	6, 0x0
	.amdhsa_kernel _ZN2at6native27unrolled_elementwise_kernelINS0_13BinaryFunctorIN3c108BFloat16ES4_bNS0_12_GLOBAL__N_116CompareEqFunctorIS4_EEEESt5arrayIPcLm3EELi4E23TrivialOffsetCalculatorILi2EjESC_ILi1EjENS0_6memory15LoadWithoutCastENSF_16StoreWithoutCastEEEviT_T0_T2_T3_T4_T5_
		.amdhsa_group_segment_fixed_size 0
		.amdhsa_private_segment_fixed_size 0
		.amdhsa_kernarg_size 36
		.amdhsa_user_sgpr_count 6
		.amdhsa_user_sgpr_private_segment_buffer 1
		.amdhsa_user_sgpr_dispatch_ptr 0
		.amdhsa_user_sgpr_queue_ptr 0
		.amdhsa_user_sgpr_kernarg_segment_ptr 1
		.amdhsa_user_sgpr_dispatch_id 0
		.amdhsa_user_sgpr_flat_scratch_init 0
		.amdhsa_user_sgpr_private_segment_size 0
		.amdhsa_uses_dynamic_stack 0
		.amdhsa_system_sgpr_private_segment_wavefront_offset 0
		.amdhsa_system_sgpr_workgroup_id_x 1
		.amdhsa_system_sgpr_workgroup_id_y 0
		.amdhsa_system_sgpr_workgroup_id_z 0
		.amdhsa_system_sgpr_workgroup_info 0
		.amdhsa_system_vgpr_workitem_id 0
		.amdhsa_next_free_vgpr 14
		.amdhsa_next_free_sgpr 14
		.amdhsa_reserve_vcc 1
		.amdhsa_reserve_flat_scratch 0
		.amdhsa_float_round_mode_32 0
		.amdhsa_float_round_mode_16_64 0
		.amdhsa_float_denorm_mode_32 3
		.amdhsa_float_denorm_mode_16_64 3
		.amdhsa_dx10_clamp 1
		.amdhsa_ieee_mode 1
		.amdhsa_fp16_overflow 0
		.amdhsa_exception_fp_ieee_invalid_op 0
		.amdhsa_exception_fp_denorm_src 0
		.amdhsa_exception_fp_ieee_div_zero 0
		.amdhsa_exception_fp_ieee_overflow 0
		.amdhsa_exception_fp_ieee_underflow 0
		.amdhsa_exception_fp_ieee_inexact 0
		.amdhsa_exception_int_div_zero 0
	.end_amdhsa_kernel
	.section	.text._ZN2at6native27unrolled_elementwise_kernelINS0_13BinaryFunctorIN3c108BFloat16ES4_bNS0_12_GLOBAL__N_116CompareEqFunctorIS4_EEEESt5arrayIPcLm3EELi4E23TrivialOffsetCalculatorILi2EjESC_ILi1EjENS0_6memory15LoadWithoutCastENSF_16StoreWithoutCastEEEviT_T0_T2_T3_T4_T5_,"axG",@progbits,_ZN2at6native27unrolled_elementwise_kernelINS0_13BinaryFunctorIN3c108BFloat16ES4_bNS0_12_GLOBAL__N_116CompareEqFunctorIS4_EEEESt5arrayIPcLm3EELi4E23TrivialOffsetCalculatorILi2EjESC_ILi1EjENS0_6memory15LoadWithoutCastENSF_16StoreWithoutCastEEEviT_T0_T2_T3_T4_T5_,comdat
.Lfunc_end196:
	.size	_ZN2at6native27unrolled_elementwise_kernelINS0_13BinaryFunctorIN3c108BFloat16ES4_bNS0_12_GLOBAL__N_116CompareEqFunctorIS4_EEEESt5arrayIPcLm3EELi4E23TrivialOffsetCalculatorILi2EjESC_ILi1EjENS0_6memory15LoadWithoutCastENSF_16StoreWithoutCastEEEviT_T0_T2_T3_T4_T5_, .Lfunc_end196-_ZN2at6native27unrolled_elementwise_kernelINS0_13BinaryFunctorIN3c108BFloat16ES4_bNS0_12_GLOBAL__N_116CompareEqFunctorIS4_EEEESt5arrayIPcLm3EELi4E23TrivialOffsetCalculatorILi2EjESC_ILi1EjENS0_6memory15LoadWithoutCastENSF_16StoreWithoutCastEEEviT_T0_T2_T3_T4_T5_
                                        ; -- End function
	.set _ZN2at6native27unrolled_elementwise_kernelINS0_13BinaryFunctorIN3c108BFloat16ES4_bNS0_12_GLOBAL__N_116CompareEqFunctorIS4_EEEESt5arrayIPcLm3EELi4E23TrivialOffsetCalculatorILi2EjESC_ILi1EjENS0_6memory15LoadWithoutCastENSF_16StoreWithoutCastEEEviT_T0_T2_T3_T4_T5_.num_vgpr, 14
	.set _ZN2at6native27unrolled_elementwise_kernelINS0_13BinaryFunctorIN3c108BFloat16ES4_bNS0_12_GLOBAL__N_116CompareEqFunctorIS4_EEEESt5arrayIPcLm3EELi4E23TrivialOffsetCalculatorILi2EjESC_ILi1EjENS0_6memory15LoadWithoutCastENSF_16StoreWithoutCastEEEviT_T0_T2_T3_T4_T5_.num_agpr, 0
	.set _ZN2at6native27unrolled_elementwise_kernelINS0_13BinaryFunctorIN3c108BFloat16ES4_bNS0_12_GLOBAL__N_116CompareEqFunctorIS4_EEEESt5arrayIPcLm3EELi4E23TrivialOffsetCalculatorILi2EjESC_ILi1EjENS0_6memory15LoadWithoutCastENSF_16StoreWithoutCastEEEviT_T0_T2_T3_T4_T5_.numbered_sgpr, 14
	.set _ZN2at6native27unrolled_elementwise_kernelINS0_13BinaryFunctorIN3c108BFloat16ES4_bNS0_12_GLOBAL__N_116CompareEqFunctorIS4_EEEESt5arrayIPcLm3EELi4E23TrivialOffsetCalculatorILi2EjESC_ILi1EjENS0_6memory15LoadWithoutCastENSF_16StoreWithoutCastEEEviT_T0_T2_T3_T4_T5_.num_named_barrier, 0
	.set _ZN2at6native27unrolled_elementwise_kernelINS0_13BinaryFunctorIN3c108BFloat16ES4_bNS0_12_GLOBAL__N_116CompareEqFunctorIS4_EEEESt5arrayIPcLm3EELi4E23TrivialOffsetCalculatorILi2EjESC_ILi1EjENS0_6memory15LoadWithoutCastENSF_16StoreWithoutCastEEEviT_T0_T2_T3_T4_T5_.private_seg_size, 0
	.set _ZN2at6native27unrolled_elementwise_kernelINS0_13BinaryFunctorIN3c108BFloat16ES4_bNS0_12_GLOBAL__N_116CompareEqFunctorIS4_EEEESt5arrayIPcLm3EELi4E23TrivialOffsetCalculatorILi2EjESC_ILi1EjENS0_6memory15LoadWithoutCastENSF_16StoreWithoutCastEEEviT_T0_T2_T3_T4_T5_.uses_vcc, 1
	.set _ZN2at6native27unrolled_elementwise_kernelINS0_13BinaryFunctorIN3c108BFloat16ES4_bNS0_12_GLOBAL__N_116CompareEqFunctorIS4_EEEESt5arrayIPcLm3EELi4E23TrivialOffsetCalculatorILi2EjESC_ILi1EjENS0_6memory15LoadWithoutCastENSF_16StoreWithoutCastEEEviT_T0_T2_T3_T4_T5_.uses_flat_scratch, 0
	.set _ZN2at6native27unrolled_elementwise_kernelINS0_13BinaryFunctorIN3c108BFloat16ES4_bNS0_12_GLOBAL__N_116CompareEqFunctorIS4_EEEESt5arrayIPcLm3EELi4E23TrivialOffsetCalculatorILi2EjESC_ILi1EjENS0_6memory15LoadWithoutCastENSF_16StoreWithoutCastEEEviT_T0_T2_T3_T4_T5_.has_dyn_sized_stack, 0
	.set _ZN2at6native27unrolled_elementwise_kernelINS0_13BinaryFunctorIN3c108BFloat16ES4_bNS0_12_GLOBAL__N_116CompareEqFunctorIS4_EEEESt5arrayIPcLm3EELi4E23TrivialOffsetCalculatorILi2EjESC_ILi1EjENS0_6memory15LoadWithoutCastENSF_16StoreWithoutCastEEEviT_T0_T2_T3_T4_T5_.has_recursion, 0
	.set _ZN2at6native27unrolled_elementwise_kernelINS0_13BinaryFunctorIN3c108BFloat16ES4_bNS0_12_GLOBAL__N_116CompareEqFunctorIS4_EEEESt5arrayIPcLm3EELi4E23TrivialOffsetCalculatorILi2EjESC_ILi1EjENS0_6memory15LoadWithoutCastENSF_16StoreWithoutCastEEEviT_T0_T2_T3_T4_T5_.has_indirect_call, 0
	.section	.AMDGPU.csdata,"",@progbits
; Kernel info:
; codeLenInByte = 1048
; TotalNumSgprs: 18
; NumVgprs: 14
; ScratchSize: 0
; MemoryBound: 0
; FloatMode: 240
; IeeeMode: 1
; LDSByteSize: 0 bytes/workgroup (compile time only)
; SGPRBlocks: 2
; VGPRBlocks: 3
; NumSGPRsForWavesPerEU: 18
; NumVGPRsForWavesPerEU: 14
; Occupancy: 10
; WaveLimiterHint : 0
; COMPUTE_PGM_RSRC2:SCRATCH_EN: 0
; COMPUTE_PGM_RSRC2:USER_SGPR: 6
; COMPUTE_PGM_RSRC2:TRAP_HANDLER: 0
; COMPUTE_PGM_RSRC2:TGID_X_EN: 1
; COMPUTE_PGM_RSRC2:TGID_Y_EN: 0
; COMPUTE_PGM_RSRC2:TGID_Z_EN: 0
; COMPUTE_PGM_RSRC2:TIDIG_COMP_CNT: 0
	.section	.text._ZN2at6native32elementwise_kernel_manual_unrollILi128ELi8EZNS0_22gpu_kernel_impl_nocastINS0_13BinaryFunctorIN3c108BFloat16ES5_bNS0_12_GLOBAL__N_116CompareEqFunctorIS5_EEEEEEvRNS_18TensorIteratorBaseERKT_EUlibE_EEviT1_,"axG",@progbits,_ZN2at6native32elementwise_kernel_manual_unrollILi128ELi8EZNS0_22gpu_kernel_impl_nocastINS0_13BinaryFunctorIN3c108BFloat16ES5_bNS0_12_GLOBAL__N_116CompareEqFunctorIS5_EEEEEEvRNS_18TensorIteratorBaseERKT_EUlibE_EEviT1_,comdat
	.globl	_ZN2at6native32elementwise_kernel_manual_unrollILi128ELi8EZNS0_22gpu_kernel_impl_nocastINS0_13BinaryFunctorIN3c108BFloat16ES5_bNS0_12_GLOBAL__N_116CompareEqFunctorIS5_EEEEEEvRNS_18TensorIteratorBaseERKT_EUlibE_EEviT1_ ; -- Begin function _ZN2at6native32elementwise_kernel_manual_unrollILi128ELi8EZNS0_22gpu_kernel_impl_nocastINS0_13BinaryFunctorIN3c108BFloat16ES5_bNS0_12_GLOBAL__N_116CompareEqFunctorIS5_EEEEEEvRNS_18TensorIteratorBaseERKT_EUlibE_EEviT1_
	.p2align	8
	.type	_ZN2at6native32elementwise_kernel_manual_unrollILi128ELi8EZNS0_22gpu_kernel_impl_nocastINS0_13BinaryFunctorIN3c108BFloat16ES5_bNS0_12_GLOBAL__N_116CompareEqFunctorIS5_EEEEEEvRNS_18TensorIteratorBaseERKT_EUlibE_EEviT1_,@function
_ZN2at6native32elementwise_kernel_manual_unrollILi128ELi8EZNS0_22gpu_kernel_impl_nocastINS0_13BinaryFunctorIN3c108BFloat16ES5_bNS0_12_GLOBAL__N_116CompareEqFunctorIS5_EEEEEEvRNS_18TensorIteratorBaseERKT_EUlibE_EEviT1_: ; @_ZN2at6native32elementwise_kernel_manual_unrollILi128ELi8EZNS0_22gpu_kernel_impl_nocastINS0_13BinaryFunctorIN3c108BFloat16ES5_bNS0_12_GLOBAL__N_116CompareEqFunctorIS5_EEEEEEvRNS_18TensorIteratorBaseERKT_EUlibE_EEviT1_
; %bb.0:
	s_load_dword s38, s[4:5], 0x0
	s_load_dword s33, s[4:5], 0x8
	s_add_u32 s2, s4, 8
	s_addc_u32 s3, s5, 0
	v_lshl_or_b32 v31, s6, 10, v0
	v_or_b32_e32 v41, 0x380, v31
	s_waitcnt lgkmcnt(0)
	s_add_i32 s36, s33, -1
	s_cmp_gt_u32 s36, 1
	v_cmp_le_i32_e32 vcc, s38, v41
	s_cselect_b64 s[16:17], -1, 0
	s_and_saveexec_b64 s[0:1], vcc
	s_xor_b64 s[18:19], exec, s[0:1]
	s_cbranch_execz .LBB197_106
; %bb.1:
	s_load_dwordx4 s[12:15], s[2:3], 0x4
	s_load_dwordx2 s[24:25], s[2:3], 0x14
	s_load_dwordx4 s[8:11], s[2:3], 0xc4
	s_load_dwordx2 s[22:23], s[2:3], 0xd4
	s_load_dword s0, s[2:3], 0x1a0
	s_cmp_lg_u32 s33, 0
	s_load_dwordx2 s[20:21], s[2:3], 0x198
	s_load_dwordx4 s[4:7], s[2:3], 0x188
	s_cselect_b64 s[28:29], -1, 0
	s_min_u32 s37, s36, 15
	s_cmp_gt_u32 s33, 1
	s_cselect_b64 s[26:27], -1, 0
	s_waitcnt lgkmcnt(0)
	s_cmp_eq_u32 s0, 0
	s_cselect_b64 s[0:1], -1, 0
	v_cmp_gt_i32_e32 vcc, s38, v31
	s_and_saveexec_b64 s[30:31], vcc
	s_cbranch_execnz .LBB197_9
; %bb.2:
	s_or_b64 exec, exec, s[30:31]
	v_cmp_gt_i32_e32 vcc, s38, v31
	s_and_saveexec_b64 s[30:31], vcc
	s_cbranch_execnz .LBB197_21
.LBB197_3:
	s_or_b64 exec, exec, s[30:31]
	v_cmp_gt_i32_e32 vcc, s38, v31
	s_and_saveexec_b64 s[30:31], vcc
	s_cbranch_execnz .LBB197_33
.LBB197_4:
	s_or_b64 exec, exec, s[30:31]
	v_cmp_gt_i32_e32 vcc, s38, v31
	s_and_saveexec_b64 s[30:31], vcc
	s_cbranch_execnz .LBB197_45
.LBB197_5:
	s_or_b64 exec, exec, s[30:31]
	v_cmp_gt_i32_e32 vcc, s38, v31
	s_and_saveexec_b64 s[30:31], vcc
	s_cbranch_execnz .LBB197_57
.LBB197_6:
	s_or_b64 exec, exec, s[30:31]
	v_cmp_gt_i32_e32 vcc, s38, v31
	s_and_saveexec_b64 s[30:31], vcc
	s_cbranch_execnz .LBB197_69
.LBB197_7:
	s_or_b64 exec, exec, s[30:31]
	v_cmp_gt_i32_e32 vcc, s38, v31
	s_and_saveexec_b64 s[30:31], vcc
	s_cbranch_execnz .LBB197_81
.LBB197_8:
	s_or_b64 exec, exec, s[30:31]
	v_cmp_gt_i32_e32 vcc, s38, v31
	s_and_saveexec_b64 s[30:31], vcc
	s_cbranch_execnz .LBB197_93
	s_branch .LBB197_105
.LBB197_9:
	s_andn2_b64 vcc, exec, s[16:17]
	s_cbranch_vccnz .LBB197_15
; %bb.10:
	s_andn2_b64 vcc, exec, s[28:29]
	s_cbranch_vccnz .LBB197_16
; %bb.11:
	s_add_i32 s34, s37, 1
	s_and_b32 s39, s34, 30
	s_add_u32 s34, s2, 0xffffffe8
	s_addc_u32 s35, s3, -1
	v_mov_b32_e32 v2, 0
	v_mov_b32_e32 v4, 0
	;; [unrolled: 1-line block ×4, first 2 shown]
.LBB197_12:                             ; =>This Inner Loop Header: Depth=1
	s_load_dwordx4 s[40:43], s[34:35], 0x1c
	s_load_dwordx2 s[48:49], s[34:35], 0x2c
	s_load_dwordx2 s[50:51], s[34:35], 0xec
	s_load_dwordx4 s[44:47], s[34:35], 0xdc
	s_add_u32 s34, s34, 24
	s_waitcnt lgkmcnt(0)
	v_mul_hi_u32 v3, s41, v1
	s_addc_u32 s35, s35, 0
	s_add_i32 s39, s39, -2
	s_cmp_lg_u32 s39, 0
	v_add_u32_e32 v3, v1, v3
	v_lshrrev_b32_e32 v3, s42, v3
	v_mul_lo_u32 v5, v3, s40
	v_mul_hi_u32 v6, s48, v3
	v_sub_u32_e32 v5, v1, v5
	v_add_u32_e32 v1, v3, v6
	v_lshrrev_b32_e32 v1, s49, v1
	v_mul_lo_u32 v8, v1, s43
	v_mul_lo_u32 v6, v5, s44
	;; [unrolled: 1-line block ×4, first 2 shown]
	v_sub_u32_e32 v3, v3, v8
	v_mul_lo_u32 v8, v3, s47
	v_mul_lo_u32 v9, v3, s50
	;; [unrolled: 1-line block ×3, first 2 shown]
	v_add3_u32 v0, v6, v0, v8
	v_add3_u32 v4, v7, v4, v9
	v_add3_u32 v2, v5, v2, v3
	s_cbranch_scc1 .LBB197_12
; %bb.13:
	s_bitcmp1_b32 s37, 0
	s_cselect_b64 s[40:41], -1, 0
	s_and_b64 vcc, exec, s[40:41]
	s_cbranch_vccnz .LBB197_17
; %bb.14:
	s_load_dwordx2 s[40:41], s[34:35], 0x1c
	s_load_dword s39, s[34:35], 0x24
	s_load_dwordx2 s[42:43], s[34:35], 0xdc
	s_waitcnt lgkmcnt(0)
	v_mul_hi_u32 v3, s41, v1
	v_add_u32_e32 v3, v1, v3
	v_lshrrev_b32_e32 v3, s39, v3
	v_mul_lo_u32 v3, v3, s40
	s_load_dword s39, s[34:35], 0xe4
	v_sub_u32_e32 v3, v1, v3
	v_mad_u64_u32 v[0:1], s[34:35], v3, s42, v[0:1]
	v_mad_u64_u32 v[4:5], s[34:35], v3, s43, v[4:5]
	s_waitcnt lgkmcnt(0)
	v_mad_u64_u32 v[2:3], s[34:35], v3, s39, v[2:3]
	s_cbranch_execz .LBB197_18
	s_branch .LBB197_20
.LBB197_15:
                                        ; implicit-def: $vgpr0
                                        ; implicit-def: $vgpr4
                                        ; implicit-def: $vgpr2
	s_branch .LBB197_18
.LBB197_16:
	v_mov_b32_e32 v0, 0
	v_mov_b32_e32 v4, 0
	;; [unrolled: 1-line block ×3, first 2 shown]
.LBB197_17:
	s_cbranch_execnz .LBB197_20
.LBB197_18:
	v_mul_hi_u32 v0, s13, v31
	s_andn2_b64 vcc, exec, s[26:27]
	v_add_u32_e32 v0, v31, v0
	v_lshrrev_b32_e32 v1, s14, v0
	v_mul_lo_u32 v0, v1, s12
	v_sub_u32_e32 v2, v31, v0
	v_mul_lo_u32 v0, v2, s8
	v_mul_lo_u32 v4, v2, s9
	;; [unrolled: 1-line block ×3, first 2 shown]
	s_cbranch_vccnz .LBB197_20
; %bb.19:
	v_mul_hi_u32 v3, s24, v1
	v_add_u32_e32 v3, v1, v3
	v_lshrrev_b32_e32 v3, s25, v3
	v_mul_lo_u32 v3, v3, s15
	v_sub_u32_e32 v3, v1, v3
	v_mad_u64_u32 v[0:1], s[34:35], v3, s11, v[0:1]
	v_mad_u64_u32 v[4:5], s[34:35], v3, s22, v[4:5]
	;; [unrolled: 1-line block ×3, first 2 shown]
.LBB197_20:
	global_load_ushort v1, v2, s[20:21]
	global_load_ushort v3, v4, s[6:7]
	v_add_u32_e32 v31, 0x80, v31
	s_waitcnt vmcnt(1)
	v_lshlrev_b32_e32 v1, 16, v1
	s_waitcnt vmcnt(0)
	v_lshlrev_b32_e32 v2, 16, v3
	v_cmp_eq_f32_e32 vcc, v2, v1
	v_cndmask_b32_e64 v3, 0, 1, vcc
	v_cmp_neq_f32_e32 vcc, v2, v1
	v_cndmask_b32_e64 v1, 0, 1, vcc
	v_cndmask_b32_e64 v1, v1, v3, s[0:1]
	v_and_b32_e32 v1, 1, v1
	global_store_byte v0, v1, s[4:5]
	s_or_b64 exec, exec, s[30:31]
	v_cmp_gt_i32_e32 vcc, s38, v31
	s_and_saveexec_b64 s[30:31], vcc
	s_cbranch_execz .LBB197_3
.LBB197_21:
	s_andn2_b64 vcc, exec, s[16:17]
	s_cbranch_vccnz .LBB197_27
; %bb.22:
	s_andn2_b64 vcc, exec, s[28:29]
	s_cbranch_vccnz .LBB197_28
; %bb.23:
	s_add_i32 s34, s37, 1
	s_and_b32 s39, s34, 30
	s_add_u32 s34, s2, 0xffffffe8
	s_addc_u32 s35, s3, -1
	v_mov_b32_e32 v2, 0
	v_mov_b32_e32 v4, 0
	;; [unrolled: 1-line block ×4, first 2 shown]
.LBB197_24:                             ; =>This Inner Loop Header: Depth=1
	s_load_dwordx4 s[40:43], s[34:35], 0x1c
	s_load_dwordx2 s[48:49], s[34:35], 0x2c
	s_load_dwordx2 s[50:51], s[34:35], 0xec
	s_load_dwordx4 s[44:47], s[34:35], 0xdc
	s_add_u32 s34, s34, 24
	s_waitcnt lgkmcnt(0)
	v_mul_hi_u32 v3, s41, v1
	s_addc_u32 s35, s35, 0
	s_add_i32 s39, s39, -2
	s_cmp_eq_u32 s39, 0
	v_add_u32_e32 v3, v1, v3
	v_lshrrev_b32_e32 v3, s42, v3
	v_mul_lo_u32 v5, v3, s40
	v_mul_hi_u32 v6, s48, v3
	v_sub_u32_e32 v5, v1, v5
	v_add_u32_e32 v1, v3, v6
	v_lshrrev_b32_e32 v1, s49, v1
	v_mul_lo_u32 v8, v1, s43
	v_mul_lo_u32 v6, v5, s44
	;; [unrolled: 1-line block ×4, first 2 shown]
	v_sub_u32_e32 v3, v3, v8
	v_mul_lo_u32 v8, v3, s47
	v_mul_lo_u32 v9, v3, s50
	;; [unrolled: 1-line block ×3, first 2 shown]
	v_add3_u32 v0, v6, v0, v8
	v_add3_u32 v4, v7, v4, v9
	;; [unrolled: 1-line block ×3, first 2 shown]
	s_cbranch_scc0 .LBB197_24
; %bb.25:
	s_bitcmp1_b32 s37, 0
	s_cselect_b64 s[40:41], -1, 0
	s_and_b64 vcc, exec, s[40:41]
	s_cbranch_vccnz .LBB197_29
; %bb.26:
	s_load_dwordx2 s[40:41], s[34:35], 0x1c
	s_load_dword s39, s[34:35], 0x24
	s_load_dwordx2 s[42:43], s[34:35], 0xdc
	s_waitcnt lgkmcnt(0)
	v_mul_hi_u32 v3, s41, v1
	v_add_u32_e32 v3, v1, v3
	v_lshrrev_b32_e32 v3, s39, v3
	v_mul_lo_u32 v3, v3, s40
	s_load_dword s39, s[34:35], 0xe4
	v_sub_u32_e32 v3, v1, v3
	v_mad_u64_u32 v[0:1], s[34:35], v3, s42, v[0:1]
	v_mad_u64_u32 v[4:5], s[34:35], v3, s43, v[4:5]
	s_waitcnt lgkmcnt(0)
	v_mad_u64_u32 v[2:3], s[34:35], v3, s39, v[2:3]
	s_branch .LBB197_29
.LBB197_27:
                                        ; implicit-def: $vgpr0
                                        ; implicit-def: $vgpr4
                                        ; implicit-def: $vgpr2
	s_branch .LBB197_30
.LBB197_28:
	v_mov_b32_e32 v0, 0
	v_mov_b32_e32 v4, 0
	;; [unrolled: 1-line block ×3, first 2 shown]
.LBB197_29:
	s_cbranch_execnz .LBB197_32
.LBB197_30:
	v_mul_hi_u32 v0, s13, v31
	s_andn2_b64 vcc, exec, s[26:27]
	v_add_u32_e32 v0, v31, v0
	v_lshrrev_b32_e32 v1, s14, v0
	v_mul_lo_u32 v0, v1, s12
	v_sub_u32_e32 v2, v31, v0
	v_mul_lo_u32 v0, v2, s8
	v_mul_lo_u32 v4, v2, s9
	;; [unrolled: 1-line block ×3, first 2 shown]
	s_cbranch_vccnz .LBB197_32
; %bb.31:
	v_mul_hi_u32 v3, s24, v1
	v_add_u32_e32 v3, v1, v3
	v_lshrrev_b32_e32 v3, s25, v3
	v_mul_lo_u32 v3, v3, s15
	v_sub_u32_e32 v3, v1, v3
	v_mad_u64_u32 v[0:1], s[34:35], v3, s11, v[0:1]
	v_mad_u64_u32 v[4:5], s[34:35], v3, s22, v[4:5]
	;; [unrolled: 1-line block ×3, first 2 shown]
.LBB197_32:
	global_load_ushort v1, v2, s[20:21]
	global_load_ushort v3, v4, s[6:7]
	v_add_u32_e32 v31, 0x80, v31
	s_waitcnt vmcnt(1)
	v_lshlrev_b32_e32 v1, 16, v1
	s_waitcnt vmcnt(0)
	v_lshlrev_b32_e32 v2, 16, v3
	v_cmp_eq_f32_e32 vcc, v2, v1
	v_cndmask_b32_e64 v3, 0, 1, vcc
	v_cmp_neq_f32_e32 vcc, v2, v1
	v_cndmask_b32_e64 v1, 0, 1, vcc
	v_cndmask_b32_e64 v1, v1, v3, s[0:1]
	v_and_b32_e32 v1, 1, v1
	global_store_byte v0, v1, s[4:5]
	s_or_b64 exec, exec, s[30:31]
	v_cmp_gt_i32_e32 vcc, s38, v31
	s_and_saveexec_b64 s[30:31], vcc
	s_cbranch_execz .LBB197_4
.LBB197_33:
	s_andn2_b64 vcc, exec, s[16:17]
	s_cbranch_vccnz .LBB197_39
; %bb.34:
	s_andn2_b64 vcc, exec, s[28:29]
	s_cbranch_vccnz .LBB197_40
; %bb.35:
	s_add_i32 s34, s37, 1
	s_and_b32 s39, s34, 30
	s_add_u32 s34, s2, 0xffffffe8
	s_addc_u32 s35, s3, -1
	v_mov_b32_e32 v2, 0
	v_mov_b32_e32 v4, 0
	;; [unrolled: 1-line block ×4, first 2 shown]
.LBB197_36:                             ; =>This Inner Loop Header: Depth=1
	s_load_dwordx4 s[40:43], s[34:35], 0x1c
	s_load_dwordx2 s[48:49], s[34:35], 0x2c
	s_load_dwordx2 s[50:51], s[34:35], 0xec
	s_load_dwordx4 s[44:47], s[34:35], 0xdc
	s_add_u32 s34, s34, 24
	s_waitcnt lgkmcnt(0)
	v_mul_hi_u32 v3, s41, v1
	s_addc_u32 s35, s35, 0
	s_add_i32 s39, s39, -2
	s_cmp_eq_u32 s39, 0
	v_add_u32_e32 v3, v1, v3
	v_lshrrev_b32_e32 v3, s42, v3
	v_mul_lo_u32 v5, v3, s40
	v_mul_hi_u32 v6, s48, v3
	v_sub_u32_e32 v5, v1, v5
	v_add_u32_e32 v1, v3, v6
	v_lshrrev_b32_e32 v1, s49, v1
	v_mul_lo_u32 v8, v1, s43
	v_mul_lo_u32 v6, v5, s44
	;; [unrolled: 1-line block ×4, first 2 shown]
	v_sub_u32_e32 v3, v3, v8
	v_mul_lo_u32 v8, v3, s47
	v_mul_lo_u32 v9, v3, s50
	;; [unrolled: 1-line block ×3, first 2 shown]
	v_add3_u32 v0, v6, v0, v8
	v_add3_u32 v4, v7, v4, v9
	;; [unrolled: 1-line block ×3, first 2 shown]
	s_cbranch_scc0 .LBB197_36
; %bb.37:
	s_bitcmp1_b32 s37, 0
	s_cselect_b64 s[40:41], -1, 0
	s_and_b64 vcc, exec, s[40:41]
	s_cbranch_vccnz .LBB197_41
; %bb.38:
	s_load_dwordx2 s[40:41], s[34:35], 0x1c
	s_load_dword s39, s[34:35], 0x24
	s_load_dwordx2 s[42:43], s[34:35], 0xdc
	s_waitcnt lgkmcnt(0)
	v_mul_hi_u32 v3, s41, v1
	v_add_u32_e32 v3, v1, v3
	v_lshrrev_b32_e32 v3, s39, v3
	v_mul_lo_u32 v3, v3, s40
	s_load_dword s39, s[34:35], 0xe4
	v_sub_u32_e32 v3, v1, v3
	v_mad_u64_u32 v[0:1], s[34:35], v3, s42, v[0:1]
	v_mad_u64_u32 v[4:5], s[34:35], v3, s43, v[4:5]
	s_waitcnt lgkmcnt(0)
	v_mad_u64_u32 v[2:3], s[34:35], v3, s39, v[2:3]
	s_branch .LBB197_41
.LBB197_39:
                                        ; implicit-def: $vgpr0
                                        ; implicit-def: $vgpr4
                                        ; implicit-def: $vgpr2
	s_branch .LBB197_42
.LBB197_40:
	v_mov_b32_e32 v0, 0
	v_mov_b32_e32 v4, 0
	;; [unrolled: 1-line block ×3, first 2 shown]
.LBB197_41:
	s_cbranch_execnz .LBB197_44
.LBB197_42:
	v_mul_hi_u32 v0, s13, v31
	s_andn2_b64 vcc, exec, s[26:27]
	v_add_u32_e32 v0, v31, v0
	v_lshrrev_b32_e32 v1, s14, v0
	v_mul_lo_u32 v0, v1, s12
	v_sub_u32_e32 v2, v31, v0
	v_mul_lo_u32 v0, v2, s8
	v_mul_lo_u32 v4, v2, s9
	;; [unrolled: 1-line block ×3, first 2 shown]
	s_cbranch_vccnz .LBB197_44
; %bb.43:
	v_mul_hi_u32 v3, s24, v1
	v_add_u32_e32 v3, v1, v3
	v_lshrrev_b32_e32 v3, s25, v3
	v_mul_lo_u32 v3, v3, s15
	v_sub_u32_e32 v3, v1, v3
	v_mad_u64_u32 v[0:1], s[34:35], v3, s11, v[0:1]
	v_mad_u64_u32 v[4:5], s[34:35], v3, s22, v[4:5]
	;; [unrolled: 1-line block ×3, first 2 shown]
.LBB197_44:
	global_load_ushort v1, v2, s[20:21]
	global_load_ushort v3, v4, s[6:7]
	v_add_u32_e32 v31, 0x80, v31
	s_waitcnt vmcnt(1)
	v_lshlrev_b32_e32 v1, 16, v1
	s_waitcnt vmcnt(0)
	v_lshlrev_b32_e32 v2, 16, v3
	v_cmp_eq_f32_e32 vcc, v2, v1
	v_cndmask_b32_e64 v3, 0, 1, vcc
	v_cmp_neq_f32_e32 vcc, v2, v1
	v_cndmask_b32_e64 v1, 0, 1, vcc
	v_cndmask_b32_e64 v1, v1, v3, s[0:1]
	v_and_b32_e32 v1, 1, v1
	global_store_byte v0, v1, s[4:5]
	s_or_b64 exec, exec, s[30:31]
	v_cmp_gt_i32_e32 vcc, s38, v31
	s_and_saveexec_b64 s[30:31], vcc
	s_cbranch_execz .LBB197_5
.LBB197_45:
	s_andn2_b64 vcc, exec, s[16:17]
	s_cbranch_vccnz .LBB197_51
; %bb.46:
	s_andn2_b64 vcc, exec, s[28:29]
	s_cbranch_vccnz .LBB197_52
; %bb.47:
	s_add_i32 s34, s37, 1
	s_and_b32 s39, s34, 30
	s_add_u32 s34, s2, 0xffffffe8
	s_addc_u32 s35, s3, -1
	v_mov_b32_e32 v2, 0
	v_mov_b32_e32 v4, 0
	;; [unrolled: 1-line block ×4, first 2 shown]
.LBB197_48:                             ; =>This Inner Loop Header: Depth=1
	s_load_dwordx4 s[40:43], s[34:35], 0x1c
	s_load_dwordx2 s[48:49], s[34:35], 0x2c
	s_load_dwordx2 s[50:51], s[34:35], 0xec
	s_load_dwordx4 s[44:47], s[34:35], 0xdc
	s_add_u32 s34, s34, 24
	s_waitcnt lgkmcnt(0)
	v_mul_hi_u32 v3, s41, v1
	s_addc_u32 s35, s35, 0
	s_add_i32 s39, s39, -2
	s_cmp_eq_u32 s39, 0
	v_add_u32_e32 v3, v1, v3
	v_lshrrev_b32_e32 v3, s42, v3
	v_mul_lo_u32 v5, v3, s40
	v_mul_hi_u32 v6, s48, v3
	v_sub_u32_e32 v5, v1, v5
	v_add_u32_e32 v1, v3, v6
	v_lshrrev_b32_e32 v1, s49, v1
	v_mul_lo_u32 v8, v1, s43
	v_mul_lo_u32 v6, v5, s44
	;; [unrolled: 1-line block ×4, first 2 shown]
	v_sub_u32_e32 v3, v3, v8
	v_mul_lo_u32 v8, v3, s47
	v_mul_lo_u32 v9, v3, s50
	;; [unrolled: 1-line block ×3, first 2 shown]
	v_add3_u32 v0, v6, v0, v8
	v_add3_u32 v4, v7, v4, v9
	;; [unrolled: 1-line block ×3, first 2 shown]
	s_cbranch_scc0 .LBB197_48
; %bb.49:
	s_bitcmp1_b32 s37, 0
	s_cselect_b64 s[40:41], -1, 0
	s_and_b64 vcc, exec, s[40:41]
	s_cbranch_vccnz .LBB197_53
; %bb.50:
	s_load_dwordx2 s[40:41], s[34:35], 0x1c
	s_load_dword s39, s[34:35], 0x24
	s_load_dwordx2 s[42:43], s[34:35], 0xdc
	s_waitcnt lgkmcnt(0)
	v_mul_hi_u32 v3, s41, v1
	v_add_u32_e32 v3, v1, v3
	v_lshrrev_b32_e32 v3, s39, v3
	v_mul_lo_u32 v3, v3, s40
	s_load_dword s39, s[34:35], 0xe4
	v_sub_u32_e32 v3, v1, v3
	v_mad_u64_u32 v[0:1], s[34:35], v3, s42, v[0:1]
	v_mad_u64_u32 v[4:5], s[34:35], v3, s43, v[4:5]
	s_waitcnt lgkmcnt(0)
	v_mad_u64_u32 v[2:3], s[34:35], v3, s39, v[2:3]
	s_branch .LBB197_53
.LBB197_51:
                                        ; implicit-def: $vgpr0
                                        ; implicit-def: $vgpr4
                                        ; implicit-def: $vgpr2
	s_branch .LBB197_54
.LBB197_52:
	v_mov_b32_e32 v0, 0
	v_mov_b32_e32 v4, 0
	;; [unrolled: 1-line block ×3, first 2 shown]
.LBB197_53:
	s_cbranch_execnz .LBB197_56
.LBB197_54:
	v_mul_hi_u32 v0, s13, v31
	s_andn2_b64 vcc, exec, s[26:27]
	v_add_u32_e32 v0, v31, v0
	v_lshrrev_b32_e32 v1, s14, v0
	v_mul_lo_u32 v0, v1, s12
	v_sub_u32_e32 v2, v31, v0
	v_mul_lo_u32 v0, v2, s8
	v_mul_lo_u32 v4, v2, s9
	;; [unrolled: 1-line block ×3, first 2 shown]
	s_cbranch_vccnz .LBB197_56
; %bb.55:
	v_mul_hi_u32 v3, s24, v1
	v_add_u32_e32 v3, v1, v3
	v_lshrrev_b32_e32 v3, s25, v3
	v_mul_lo_u32 v3, v3, s15
	v_sub_u32_e32 v3, v1, v3
	v_mad_u64_u32 v[0:1], s[34:35], v3, s11, v[0:1]
	v_mad_u64_u32 v[4:5], s[34:35], v3, s22, v[4:5]
	;; [unrolled: 1-line block ×3, first 2 shown]
.LBB197_56:
	global_load_ushort v1, v2, s[20:21]
	global_load_ushort v3, v4, s[6:7]
	v_add_u32_e32 v31, 0x80, v31
	s_waitcnt vmcnt(1)
	v_lshlrev_b32_e32 v1, 16, v1
	s_waitcnt vmcnt(0)
	v_lshlrev_b32_e32 v2, 16, v3
	v_cmp_eq_f32_e32 vcc, v2, v1
	v_cndmask_b32_e64 v3, 0, 1, vcc
	v_cmp_neq_f32_e32 vcc, v2, v1
	v_cndmask_b32_e64 v1, 0, 1, vcc
	v_cndmask_b32_e64 v1, v1, v3, s[0:1]
	v_and_b32_e32 v1, 1, v1
	global_store_byte v0, v1, s[4:5]
	s_or_b64 exec, exec, s[30:31]
	v_cmp_gt_i32_e32 vcc, s38, v31
	s_and_saveexec_b64 s[30:31], vcc
	s_cbranch_execz .LBB197_6
.LBB197_57:
	s_andn2_b64 vcc, exec, s[16:17]
	s_cbranch_vccnz .LBB197_63
; %bb.58:
	s_andn2_b64 vcc, exec, s[28:29]
	s_cbranch_vccnz .LBB197_64
; %bb.59:
	s_add_i32 s34, s37, 1
	s_and_b32 s39, s34, 30
	s_add_u32 s34, s2, 0xffffffe8
	s_addc_u32 s35, s3, -1
	v_mov_b32_e32 v2, 0
	v_mov_b32_e32 v4, 0
	;; [unrolled: 1-line block ×4, first 2 shown]
.LBB197_60:                             ; =>This Inner Loop Header: Depth=1
	s_load_dwordx4 s[40:43], s[34:35], 0x1c
	s_load_dwordx2 s[48:49], s[34:35], 0x2c
	s_load_dwordx2 s[50:51], s[34:35], 0xec
	s_load_dwordx4 s[44:47], s[34:35], 0xdc
	s_add_u32 s34, s34, 24
	s_waitcnt lgkmcnt(0)
	v_mul_hi_u32 v3, s41, v1
	s_addc_u32 s35, s35, 0
	s_add_i32 s39, s39, -2
	s_cmp_eq_u32 s39, 0
	v_add_u32_e32 v3, v1, v3
	v_lshrrev_b32_e32 v3, s42, v3
	v_mul_lo_u32 v5, v3, s40
	v_mul_hi_u32 v6, s48, v3
	v_sub_u32_e32 v5, v1, v5
	v_add_u32_e32 v1, v3, v6
	v_lshrrev_b32_e32 v1, s49, v1
	v_mul_lo_u32 v8, v1, s43
	v_mul_lo_u32 v6, v5, s44
	;; [unrolled: 1-line block ×4, first 2 shown]
	v_sub_u32_e32 v3, v3, v8
	v_mul_lo_u32 v8, v3, s47
	v_mul_lo_u32 v9, v3, s50
	;; [unrolled: 1-line block ×3, first 2 shown]
	v_add3_u32 v0, v6, v0, v8
	v_add3_u32 v4, v7, v4, v9
	;; [unrolled: 1-line block ×3, first 2 shown]
	s_cbranch_scc0 .LBB197_60
; %bb.61:
	s_bitcmp1_b32 s37, 0
	s_cselect_b64 s[40:41], -1, 0
	s_and_b64 vcc, exec, s[40:41]
	s_cbranch_vccnz .LBB197_65
; %bb.62:
	s_load_dwordx2 s[40:41], s[34:35], 0x1c
	s_load_dword s39, s[34:35], 0x24
	s_load_dwordx2 s[42:43], s[34:35], 0xdc
	s_waitcnt lgkmcnt(0)
	v_mul_hi_u32 v3, s41, v1
	v_add_u32_e32 v3, v1, v3
	v_lshrrev_b32_e32 v3, s39, v3
	v_mul_lo_u32 v3, v3, s40
	s_load_dword s39, s[34:35], 0xe4
	v_sub_u32_e32 v3, v1, v3
	v_mad_u64_u32 v[0:1], s[34:35], v3, s42, v[0:1]
	v_mad_u64_u32 v[4:5], s[34:35], v3, s43, v[4:5]
	s_waitcnt lgkmcnt(0)
	v_mad_u64_u32 v[2:3], s[34:35], v3, s39, v[2:3]
	s_branch .LBB197_65
.LBB197_63:
                                        ; implicit-def: $vgpr0
                                        ; implicit-def: $vgpr4
                                        ; implicit-def: $vgpr2
	s_branch .LBB197_66
.LBB197_64:
	v_mov_b32_e32 v0, 0
	v_mov_b32_e32 v4, 0
	v_mov_b32_e32 v2, 0
.LBB197_65:
	s_cbranch_execnz .LBB197_68
.LBB197_66:
	v_mul_hi_u32 v0, s13, v31
	s_andn2_b64 vcc, exec, s[26:27]
	v_add_u32_e32 v0, v31, v0
	v_lshrrev_b32_e32 v1, s14, v0
	v_mul_lo_u32 v0, v1, s12
	v_sub_u32_e32 v2, v31, v0
	v_mul_lo_u32 v0, v2, s8
	v_mul_lo_u32 v4, v2, s9
	;; [unrolled: 1-line block ×3, first 2 shown]
	s_cbranch_vccnz .LBB197_68
; %bb.67:
	v_mul_hi_u32 v3, s24, v1
	v_add_u32_e32 v3, v1, v3
	v_lshrrev_b32_e32 v3, s25, v3
	v_mul_lo_u32 v3, v3, s15
	v_sub_u32_e32 v3, v1, v3
	v_mad_u64_u32 v[0:1], s[34:35], v3, s11, v[0:1]
	v_mad_u64_u32 v[4:5], s[34:35], v3, s22, v[4:5]
	;; [unrolled: 1-line block ×3, first 2 shown]
.LBB197_68:
	global_load_ushort v1, v2, s[20:21]
	global_load_ushort v3, v4, s[6:7]
	v_add_u32_e32 v31, 0x80, v31
	s_waitcnt vmcnt(1)
	v_lshlrev_b32_e32 v1, 16, v1
	s_waitcnt vmcnt(0)
	v_lshlrev_b32_e32 v2, 16, v3
	v_cmp_eq_f32_e32 vcc, v2, v1
	v_cndmask_b32_e64 v3, 0, 1, vcc
	v_cmp_neq_f32_e32 vcc, v2, v1
	v_cndmask_b32_e64 v1, 0, 1, vcc
	v_cndmask_b32_e64 v1, v1, v3, s[0:1]
	v_and_b32_e32 v1, 1, v1
	global_store_byte v0, v1, s[4:5]
	s_or_b64 exec, exec, s[30:31]
	v_cmp_gt_i32_e32 vcc, s38, v31
	s_and_saveexec_b64 s[30:31], vcc
	s_cbranch_execz .LBB197_7
.LBB197_69:
	s_andn2_b64 vcc, exec, s[16:17]
	s_cbranch_vccnz .LBB197_75
; %bb.70:
	s_andn2_b64 vcc, exec, s[28:29]
	s_cbranch_vccnz .LBB197_76
; %bb.71:
	s_add_i32 s34, s37, 1
	s_and_b32 s39, s34, 30
	s_add_u32 s34, s2, 0xffffffe8
	s_addc_u32 s35, s3, -1
	v_mov_b32_e32 v2, 0
	v_mov_b32_e32 v4, 0
	;; [unrolled: 1-line block ×4, first 2 shown]
.LBB197_72:                             ; =>This Inner Loop Header: Depth=1
	s_load_dwordx4 s[40:43], s[34:35], 0x1c
	s_load_dwordx2 s[48:49], s[34:35], 0x2c
	s_load_dwordx2 s[50:51], s[34:35], 0xec
	s_load_dwordx4 s[44:47], s[34:35], 0xdc
	s_add_u32 s34, s34, 24
	s_waitcnt lgkmcnt(0)
	v_mul_hi_u32 v3, s41, v1
	s_addc_u32 s35, s35, 0
	s_add_i32 s39, s39, -2
	s_cmp_eq_u32 s39, 0
	v_add_u32_e32 v3, v1, v3
	v_lshrrev_b32_e32 v3, s42, v3
	v_mul_lo_u32 v5, v3, s40
	v_mul_hi_u32 v6, s48, v3
	v_sub_u32_e32 v5, v1, v5
	v_add_u32_e32 v1, v3, v6
	v_lshrrev_b32_e32 v1, s49, v1
	v_mul_lo_u32 v8, v1, s43
	v_mul_lo_u32 v6, v5, s44
	;; [unrolled: 1-line block ×4, first 2 shown]
	v_sub_u32_e32 v3, v3, v8
	v_mul_lo_u32 v8, v3, s47
	v_mul_lo_u32 v9, v3, s50
	;; [unrolled: 1-line block ×3, first 2 shown]
	v_add3_u32 v0, v6, v0, v8
	v_add3_u32 v4, v7, v4, v9
	;; [unrolled: 1-line block ×3, first 2 shown]
	s_cbranch_scc0 .LBB197_72
; %bb.73:
	s_bitcmp1_b32 s37, 0
	s_cselect_b64 s[40:41], -1, 0
	s_and_b64 vcc, exec, s[40:41]
	s_cbranch_vccnz .LBB197_77
; %bb.74:
	s_load_dwordx2 s[40:41], s[34:35], 0x1c
	s_load_dword s39, s[34:35], 0x24
	s_load_dwordx2 s[42:43], s[34:35], 0xdc
	s_waitcnt lgkmcnt(0)
	v_mul_hi_u32 v3, s41, v1
	v_add_u32_e32 v3, v1, v3
	v_lshrrev_b32_e32 v3, s39, v3
	v_mul_lo_u32 v3, v3, s40
	s_load_dword s39, s[34:35], 0xe4
	v_sub_u32_e32 v3, v1, v3
	v_mad_u64_u32 v[0:1], s[34:35], v3, s42, v[0:1]
	v_mad_u64_u32 v[4:5], s[34:35], v3, s43, v[4:5]
	s_waitcnt lgkmcnt(0)
	v_mad_u64_u32 v[2:3], s[34:35], v3, s39, v[2:3]
	s_branch .LBB197_77
.LBB197_75:
                                        ; implicit-def: $vgpr0
                                        ; implicit-def: $vgpr4
                                        ; implicit-def: $vgpr2
	s_branch .LBB197_78
.LBB197_76:
	v_mov_b32_e32 v0, 0
	v_mov_b32_e32 v4, 0
	;; [unrolled: 1-line block ×3, first 2 shown]
.LBB197_77:
	s_cbranch_execnz .LBB197_80
.LBB197_78:
	v_mul_hi_u32 v0, s13, v31
	s_andn2_b64 vcc, exec, s[26:27]
	v_add_u32_e32 v0, v31, v0
	v_lshrrev_b32_e32 v1, s14, v0
	v_mul_lo_u32 v0, v1, s12
	v_sub_u32_e32 v2, v31, v0
	v_mul_lo_u32 v0, v2, s8
	v_mul_lo_u32 v4, v2, s9
	;; [unrolled: 1-line block ×3, first 2 shown]
	s_cbranch_vccnz .LBB197_80
; %bb.79:
	v_mul_hi_u32 v3, s24, v1
	v_add_u32_e32 v3, v1, v3
	v_lshrrev_b32_e32 v3, s25, v3
	v_mul_lo_u32 v3, v3, s15
	v_sub_u32_e32 v3, v1, v3
	v_mad_u64_u32 v[0:1], s[34:35], v3, s11, v[0:1]
	v_mad_u64_u32 v[4:5], s[34:35], v3, s22, v[4:5]
	;; [unrolled: 1-line block ×3, first 2 shown]
.LBB197_80:
	global_load_ushort v1, v2, s[20:21]
	global_load_ushort v3, v4, s[6:7]
	v_add_u32_e32 v31, 0x80, v31
	s_waitcnt vmcnt(1)
	v_lshlrev_b32_e32 v1, 16, v1
	s_waitcnt vmcnt(0)
	v_lshlrev_b32_e32 v2, 16, v3
	v_cmp_eq_f32_e32 vcc, v2, v1
	v_cndmask_b32_e64 v3, 0, 1, vcc
	v_cmp_neq_f32_e32 vcc, v2, v1
	v_cndmask_b32_e64 v1, 0, 1, vcc
	v_cndmask_b32_e64 v1, v1, v3, s[0:1]
	v_and_b32_e32 v1, 1, v1
	global_store_byte v0, v1, s[4:5]
	s_or_b64 exec, exec, s[30:31]
	v_cmp_gt_i32_e32 vcc, s38, v31
	s_and_saveexec_b64 s[30:31], vcc
	s_cbranch_execz .LBB197_8
.LBB197_81:
	s_andn2_b64 vcc, exec, s[16:17]
	s_cbranch_vccnz .LBB197_87
; %bb.82:
	s_andn2_b64 vcc, exec, s[28:29]
	s_cbranch_vccnz .LBB197_88
; %bb.83:
	s_add_i32 s34, s37, 1
	s_and_b32 s39, s34, 30
	s_add_u32 s34, s2, 0xffffffe8
	s_addc_u32 s35, s3, -1
	v_mov_b32_e32 v2, 0
	v_mov_b32_e32 v4, 0
	;; [unrolled: 1-line block ×4, first 2 shown]
.LBB197_84:                             ; =>This Inner Loop Header: Depth=1
	s_load_dwordx4 s[40:43], s[34:35], 0x1c
	s_load_dwordx2 s[48:49], s[34:35], 0x2c
	s_load_dwordx2 s[50:51], s[34:35], 0xec
	s_load_dwordx4 s[44:47], s[34:35], 0xdc
	s_add_u32 s34, s34, 24
	s_waitcnt lgkmcnt(0)
	v_mul_hi_u32 v3, s41, v1
	s_addc_u32 s35, s35, 0
	s_add_i32 s39, s39, -2
	s_cmp_eq_u32 s39, 0
	v_add_u32_e32 v3, v1, v3
	v_lshrrev_b32_e32 v3, s42, v3
	v_mul_lo_u32 v5, v3, s40
	v_mul_hi_u32 v6, s48, v3
	v_sub_u32_e32 v5, v1, v5
	v_add_u32_e32 v1, v3, v6
	v_lshrrev_b32_e32 v1, s49, v1
	v_mul_lo_u32 v8, v1, s43
	v_mul_lo_u32 v6, v5, s44
	;; [unrolled: 1-line block ×4, first 2 shown]
	v_sub_u32_e32 v3, v3, v8
	v_mul_lo_u32 v8, v3, s47
	v_mul_lo_u32 v9, v3, s50
	;; [unrolled: 1-line block ×3, first 2 shown]
	v_add3_u32 v0, v6, v0, v8
	v_add3_u32 v4, v7, v4, v9
	;; [unrolled: 1-line block ×3, first 2 shown]
	s_cbranch_scc0 .LBB197_84
; %bb.85:
	s_bitcmp1_b32 s37, 0
	s_cselect_b64 s[40:41], -1, 0
	s_and_b64 vcc, exec, s[40:41]
	s_cbranch_vccnz .LBB197_89
; %bb.86:
	s_load_dwordx2 s[40:41], s[34:35], 0x1c
	s_load_dword s39, s[34:35], 0x24
	s_load_dwordx2 s[42:43], s[34:35], 0xdc
	s_waitcnt lgkmcnt(0)
	v_mul_hi_u32 v3, s41, v1
	v_add_u32_e32 v3, v1, v3
	v_lshrrev_b32_e32 v3, s39, v3
	v_mul_lo_u32 v3, v3, s40
	s_load_dword s39, s[34:35], 0xe4
	v_sub_u32_e32 v3, v1, v3
	v_mad_u64_u32 v[0:1], s[34:35], v3, s42, v[0:1]
	v_mad_u64_u32 v[4:5], s[34:35], v3, s43, v[4:5]
	s_waitcnt lgkmcnt(0)
	v_mad_u64_u32 v[2:3], s[34:35], v3, s39, v[2:3]
	s_branch .LBB197_89
.LBB197_87:
                                        ; implicit-def: $vgpr0
                                        ; implicit-def: $vgpr4
                                        ; implicit-def: $vgpr2
	s_branch .LBB197_90
.LBB197_88:
	v_mov_b32_e32 v0, 0
	v_mov_b32_e32 v4, 0
	;; [unrolled: 1-line block ×3, first 2 shown]
.LBB197_89:
	s_cbranch_execnz .LBB197_92
.LBB197_90:
	v_mul_hi_u32 v0, s13, v31
	s_andn2_b64 vcc, exec, s[26:27]
	v_add_u32_e32 v0, v31, v0
	v_lshrrev_b32_e32 v1, s14, v0
	v_mul_lo_u32 v0, v1, s12
	v_sub_u32_e32 v2, v31, v0
	v_mul_lo_u32 v0, v2, s8
	v_mul_lo_u32 v4, v2, s9
	;; [unrolled: 1-line block ×3, first 2 shown]
	s_cbranch_vccnz .LBB197_92
; %bb.91:
	v_mul_hi_u32 v3, s24, v1
	v_add_u32_e32 v3, v1, v3
	v_lshrrev_b32_e32 v3, s25, v3
	v_mul_lo_u32 v3, v3, s15
	v_sub_u32_e32 v3, v1, v3
	v_mad_u64_u32 v[0:1], s[34:35], v3, s11, v[0:1]
	v_mad_u64_u32 v[4:5], s[34:35], v3, s22, v[4:5]
	v_mad_u64_u32 v[2:3], s[34:35], v3, s23, v[2:3]
.LBB197_92:
	global_load_ushort v1, v2, s[20:21]
	global_load_ushort v3, v4, s[6:7]
	v_add_u32_e32 v31, 0x80, v31
	s_waitcnt vmcnt(1)
	v_lshlrev_b32_e32 v1, 16, v1
	s_waitcnt vmcnt(0)
	v_lshlrev_b32_e32 v2, 16, v3
	v_cmp_eq_f32_e32 vcc, v2, v1
	v_cndmask_b32_e64 v3, 0, 1, vcc
	v_cmp_neq_f32_e32 vcc, v2, v1
	v_cndmask_b32_e64 v1, 0, 1, vcc
	v_cndmask_b32_e64 v1, v1, v3, s[0:1]
	v_and_b32_e32 v1, 1, v1
	global_store_byte v0, v1, s[4:5]
	s_or_b64 exec, exec, s[30:31]
	v_cmp_gt_i32_e32 vcc, s38, v31
	s_and_saveexec_b64 s[30:31], vcc
	s_cbranch_execz .LBB197_105
.LBB197_93:
	s_andn2_b64 vcc, exec, s[16:17]
	s_cbranch_vccnz .LBB197_99
; %bb.94:
	s_andn2_b64 vcc, exec, s[28:29]
	s_cbranch_vccnz .LBB197_100
; %bb.95:
	s_add_i32 s28, s37, 1
	s_and_b32 s34, s28, 30
	s_add_u32 s28, s2, 0xffffffe8
	s_addc_u32 s29, s3, -1
	v_mov_b32_e32 v2, 0
	v_mov_b32_e32 v4, 0
	;; [unrolled: 1-line block ×4, first 2 shown]
.LBB197_96:                             ; =>This Inner Loop Header: Depth=1
	s_load_dwordx4 s[40:43], s[28:29], 0x1c
	s_load_dwordx2 s[38:39], s[28:29], 0x2c
	s_load_dwordx2 s[48:49], s[28:29], 0xec
	s_load_dwordx4 s[44:47], s[28:29], 0xdc
	s_add_u32 s28, s28, 24
	s_waitcnt lgkmcnt(0)
	v_mul_hi_u32 v3, s41, v1
	s_addc_u32 s29, s29, 0
	s_add_i32 s34, s34, -2
	s_cmp_eq_u32 s34, 0
	v_add_u32_e32 v3, v1, v3
	v_lshrrev_b32_e32 v3, s42, v3
	v_mul_lo_u32 v5, v3, s40
	v_mul_hi_u32 v6, s38, v3
	v_sub_u32_e32 v5, v1, v5
	v_add_u32_e32 v1, v3, v6
	v_lshrrev_b32_e32 v1, s39, v1
	v_mul_lo_u32 v8, v1, s43
	v_mul_lo_u32 v6, v5, s44
	;; [unrolled: 1-line block ×4, first 2 shown]
	v_sub_u32_e32 v3, v3, v8
	v_mul_lo_u32 v8, v3, s47
	v_mul_lo_u32 v9, v3, s48
	;; [unrolled: 1-line block ×3, first 2 shown]
	v_add3_u32 v0, v6, v0, v8
	v_add3_u32 v4, v7, v4, v9
	;; [unrolled: 1-line block ×3, first 2 shown]
	s_cbranch_scc0 .LBB197_96
; %bb.97:
	s_bitcmp1_b32 s37, 0
	s_cselect_b64 s[34:35], -1, 0
	s_and_b64 vcc, exec, s[34:35]
	s_cbranch_vccnz .LBB197_101
; %bb.98:
	s_load_dwordx2 s[34:35], s[28:29], 0x1c
	s_load_dword s37, s[28:29], 0x24
	s_load_dwordx2 s[38:39], s[28:29], 0xdc
	s_waitcnt lgkmcnt(0)
	v_mul_hi_u32 v3, s35, v1
	v_add_u32_e32 v3, v1, v3
	v_lshrrev_b32_e32 v3, s37, v3
	v_mul_lo_u32 v3, v3, s34
	s_load_dword s34, s[28:29], 0xe4
	v_sub_u32_e32 v3, v1, v3
	v_mad_u64_u32 v[0:1], s[28:29], v3, s38, v[0:1]
	v_mad_u64_u32 v[4:5], s[28:29], v3, s39, v[4:5]
	s_waitcnt lgkmcnt(0)
	v_mad_u64_u32 v[2:3], s[28:29], v3, s34, v[2:3]
	s_branch .LBB197_101
.LBB197_99:
                                        ; implicit-def: $vgpr0
                                        ; implicit-def: $vgpr4
                                        ; implicit-def: $vgpr2
	s_branch .LBB197_102
.LBB197_100:
	v_mov_b32_e32 v0, 0
	v_mov_b32_e32 v4, 0
	;; [unrolled: 1-line block ×3, first 2 shown]
.LBB197_101:
	s_cbranch_execnz .LBB197_104
.LBB197_102:
	v_mul_hi_u32 v0, s13, v31
	s_andn2_b64 vcc, exec, s[26:27]
	v_add_u32_e32 v0, v31, v0
	v_lshrrev_b32_e32 v1, s14, v0
	v_mul_lo_u32 v0, v1, s12
	v_sub_u32_e32 v2, v31, v0
	v_mul_lo_u32 v0, v2, s8
	v_mul_lo_u32 v4, v2, s9
	;; [unrolled: 1-line block ×3, first 2 shown]
	s_cbranch_vccnz .LBB197_104
; %bb.103:
	v_mul_hi_u32 v3, s24, v1
	v_add_u32_e32 v3, v1, v3
	v_lshrrev_b32_e32 v3, s25, v3
	v_mul_lo_u32 v3, v3, s15
	v_sub_u32_e32 v3, v1, v3
	v_mad_u64_u32 v[0:1], s[8:9], v3, s11, v[0:1]
	v_mad_u64_u32 v[4:5], s[8:9], v3, s22, v[4:5]
	;; [unrolled: 1-line block ×3, first 2 shown]
.LBB197_104:
	global_load_ushort v1, v2, s[20:21]
	global_load_ushort v3, v4, s[6:7]
	s_waitcnt vmcnt(1)
	v_lshlrev_b32_e32 v1, 16, v1
	s_waitcnt vmcnt(0)
	v_lshlrev_b32_e32 v2, 16, v3
	v_cmp_eq_f32_e32 vcc, v2, v1
	v_cndmask_b32_e64 v3, 0, 1, vcc
	v_cmp_neq_f32_e32 vcc, v2, v1
	v_cndmask_b32_e64 v1, 0, 1, vcc
	v_cndmask_b32_e64 v1, v1, v3, s[0:1]
	v_and_b32_e32 v1, 1, v1
	global_store_byte v0, v1, s[4:5]
.LBB197_105:
	s_or_b64 exec, exec, s[30:31]
                                        ; implicit-def: $vgpr41
                                        ; implicit-def: $vgpr31
.LBB197_106:
	s_andn2_saveexec_b64 s[0:1], s[18:19]
	s_cbranch_execz .LBB197_113
; %bb.107:
	v_cndmask_b32_e64 v0, 0, 1, s[16:17]
	v_cmp_ne_u32_e64 s[0:1], 1, v0
	s_andn2_b64 vcc, exec, s[16:17]
	s_cbranch_vccnz .LBB197_114
; %bb.108:
	s_cmp_lg_u32 s33, 0
	s_cbranch_scc0 .LBB197_115
; %bb.109:
	s_min_u32 s6, s36, 15
	s_add_i32 s4, s6, 1
	s_and_b32 s7, s4, 30
	s_add_u32 s4, s2, 0xffffffe8
	s_addc_u32 s5, s3, -1
	v_mov_b32_e32 v2, 0
	v_mov_b32_e32 v4, 0
	;; [unrolled: 1-line block ×4, first 2 shown]
.LBB197_110:                            ; =>This Inner Loop Header: Depth=1
	s_load_dwordx4 s[8:11], s[4:5], 0x1c
	s_load_dwordx2 s[16:17], s[4:5], 0x2c
	s_load_dwordx2 s[18:19], s[4:5], 0xec
	s_load_dwordx4 s[12:15], s[4:5], 0xdc
	s_add_u32 s4, s4, 24
	s_waitcnt lgkmcnt(0)
	v_mul_hi_u32 v3, s9, v1
	s_addc_u32 s5, s5, 0
	s_add_i32 s7, s7, -2
	s_cmp_lg_u32 s7, 0
	v_add_u32_e32 v3, v1, v3
	v_lshrrev_b32_e32 v3, s10, v3
	v_mul_lo_u32 v5, v3, s8
	v_mul_hi_u32 v6, s16, v3
	v_sub_u32_e32 v5, v1, v5
	v_add_u32_e32 v1, v3, v6
	v_lshrrev_b32_e32 v1, s17, v1
	v_mul_lo_u32 v8, v1, s11
	v_mul_lo_u32 v6, v5, s12
	;; [unrolled: 1-line block ×4, first 2 shown]
	v_sub_u32_e32 v3, v3, v8
	v_mul_lo_u32 v8, v3, s15
	v_mul_lo_u32 v9, v3, s18
	;; [unrolled: 1-line block ×3, first 2 shown]
	v_add3_u32 v0, v6, v0, v8
	v_add3_u32 v4, v7, v4, v9
	;; [unrolled: 1-line block ×3, first 2 shown]
	s_cbranch_scc1 .LBB197_110
; %bb.111:
	s_bitcmp1_b32 s6, 0
	s_cselect_b64 s[6:7], -1, 0
	s_and_b64 vcc, exec, s[6:7]
	s_cbranch_vccnz .LBB197_116
; %bb.112:
	s_load_dwordx2 s[6:7], s[4:5], 0x1c
	s_load_dword s10, s[4:5], 0x24
	s_load_dwordx2 s[8:9], s[4:5], 0xdc
	s_waitcnt lgkmcnt(0)
	v_mul_hi_u32 v3, s7, v1
	v_add_u32_e32 v3, v1, v3
	v_lshrrev_b32_e32 v3, s10, v3
	v_mul_lo_u32 v3, v3, s6
	s_load_dword s6, s[4:5], 0xe4
	v_sub_u32_e32 v3, v1, v3
	v_mad_u64_u32 v[0:1], s[4:5], v3, s8, v[0:1]
	v_mad_u64_u32 v[4:5], s[4:5], v3, s9, v[4:5]
	s_waitcnt lgkmcnt(0)
	v_mad_u64_u32 v[2:3], s[4:5], v3, s6, v[2:3]
	s_cbranch_execz .LBB197_117
	s_branch .LBB197_119
.LBB197_113:
	s_endpgm
.LBB197_114:
                                        ; implicit-def: $vgpr0
                                        ; implicit-def: $vgpr4
                                        ; implicit-def: $vgpr2
	s_branch .LBB197_117
.LBB197_115:
	v_mov_b32_e32 v0, 0
	v_mov_b32_e32 v4, 0
	;; [unrolled: 1-line block ×3, first 2 shown]
.LBB197_116:
	s_cbranch_execnz .LBB197_119
.LBB197_117:
	s_load_dwordx4 s[4:7], s[2:3], 0x4
	s_load_dwordx4 s[8:11], s[2:3], 0xc4
	s_cmp_lt_u32 s33, 2
	s_waitcnt lgkmcnt(0)
	v_mul_hi_u32 v0, s5, v31
	v_add_u32_e32 v0, v31, v0
	v_lshrrev_b32_e32 v1, s6, v0
	v_mul_lo_u32 v0, v1, s4
	v_sub_u32_e32 v2, v31, v0
	v_mul_lo_u32 v0, v2, s8
	v_mul_lo_u32 v4, v2, s9
	;; [unrolled: 1-line block ×3, first 2 shown]
	s_cbranch_scc1 .LBB197_119
; %bb.118:
	s_load_dwordx4 s[4:7], s[2:3], 0x10
	s_load_dwordx4 s[8:11], s[2:3], 0xd0
	s_waitcnt lgkmcnt(0)
	v_mul_hi_u32 v3, s5, v1
	v_add_u32_e32 v3, v1, v3
	v_lshrrev_b32_e32 v3, s6, v3
	v_mul_lo_u32 v3, v3, s4
	v_sub_u32_e32 v3, v1, v3
	v_mad_u64_u32 v[0:1], s[4:5], v3, s8, v[0:1]
	v_mad_u64_u32 v[4:5], s[4:5], v3, s9, v[4:5]
	v_mad_u64_u32 v[2:3], s[4:5], v3, s10, v[2:3]
.LBB197_119:
	s_and_b64 vcc, exec, s[0:1]
	v_add_u32_e32 v1, 0x80, v31
	s_cbranch_vccnz .LBB197_125
; %bb.120:
	s_cmp_lg_u32 s33, 0
	s_cbranch_scc0 .LBB197_126
; %bb.121:
	s_min_u32 s6, s36, 15
	s_add_i32 s4, s6, 1
	s_and_b32 s7, s4, 30
	s_add_u32 s4, s2, 0xffffffe8
	s_addc_u32 s5, s3, -1
	v_mov_b32_e32 v7, 0
	v_mov_b32_e32 v9, 0
	;; [unrolled: 1-line block ×4, first 2 shown]
.LBB197_122:                            ; =>This Inner Loop Header: Depth=1
	s_load_dwordx4 s[8:11], s[4:5], 0x1c
	s_load_dwordx2 s[16:17], s[4:5], 0x2c
	s_load_dwordx2 s[18:19], s[4:5], 0xec
	s_load_dwordx4 s[12:15], s[4:5], 0xdc
	s_add_u32 s4, s4, 24
	s_waitcnt lgkmcnt(0)
	v_mul_hi_u32 v6, s9, v3
	s_addc_u32 s5, s5, 0
	s_add_i32 s7, s7, -2
	s_cmp_lg_u32 s7, 0
	v_add_u32_e32 v6, v3, v6
	v_lshrrev_b32_e32 v6, s10, v6
	v_mul_lo_u32 v8, v6, s8
	v_mul_hi_u32 v10, s16, v6
	v_sub_u32_e32 v8, v3, v8
	v_add_u32_e32 v3, v6, v10
	v_lshrrev_b32_e32 v3, s17, v3
	v_mul_lo_u32 v12, v3, s11
	v_mul_lo_u32 v10, v8, s12
	;; [unrolled: 1-line block ×4, first 2 shown]
	v_sub_u32_e32 v6, v6, v12
	v_mul_lo_u32 v12, v6, s15
	v_mul_lo_u32 v13, v6, s18
	;; [unrolled: 1-line block ×3, first 2 shown]
	v_add3_u32 v5, v10, v5, v12
	v_add3_u32 v9, v11, v9, v13
	;; [unrolled: 1-line block ×3, first 2 shown]
	s_cbranch_scc1 .LBB197_122
; %bb.123:
	s_bitcmp1_b32 s6, 0
	s_cselect_b64 s[6:7], -1, 0
	s_and_b64 vcc, exec, s[6:7]
	s_cbranch_vccnz .LBB197_127
; %bb.124:
	s_load_dwordx2 s[6:7], s[4:5], 0x1c
	s_load_dword s10, s[4:5], 0x24
	s_load_dwordx2 s[8:9], s[4:5], 0xdc
	s_waitcnt lgkmcnt(0)
	v_mul_hi_u32 v6, s7, v3
	v_add_u32_e32 v6, v3, v6
	v_lshrrev_b32_e32 v6, s10, v6
	v_mul_lo_u32 v6, v6, s6
	s_load_dword s6, s[4:5], 0xe4
	v_sub_u32_e32 v3, v3, v6
	v_mad_u64_u32 v[5:6], s[4:5], v3, s8, v[5:6]
	v_mad_u64_u32 v[9:10], s[4:5], v3, s9, v[9:10]
	s_waitcnt lgkmcnt(0)
	v_mad_u64_u32 v[7:8], s[4:5], v3, s6, v[7:8]
	s_cbranch_execz .LBB197_128
	s_branch .LBB197_130
.LBB197_125:
                                        ; implicit-def: $vgpr5
                                        ; implicit-def: $vgpr9
                                        ; implicit-def: $vgpr7
	s_branch .LBB197_128
.LBB197_126:
	v_mov_b32_e32 v5, 0
	v_mov_b32_e32 v9, 0
	;; [unrolled: 1-line block ×3, first 2 shown]
.LBB197_127:
	s_cbranch_execnz .LBB197_130
.LBB197_128:
	s_load_dwordx4 s[4:7], s[2:3], 0x4
	s_load_dwordx4 s[8:11], s[2:3], 0xc4
	s_cmp_lt_u32 s33, 2
	s_waitcnt lgkmcnt(0)
	v_mul_hi_u32 v3, s5, v1
	v_add_u32_e32 v3, v1, v3
	v_lshrrev_b32_e32 v3, s6, v3
	v_mul_lo_u32 v5, v3, s4
	v_sub_u32_e32 v1, v1, v5
	v_mul_lo_u32 v5, v1, s8
	v_mul_lo_u32 v9, v1, s9
	;; [unrolled: 1-line block ×3, first 2 shown]
	s_cbranch_scc1 .LBB197_130
; %bb.129:
	s_load_dwordx4 s[4:7], s[2:3], 0x10
	s_load_dwordx4 s[8:11], s[2:3], 0xd0
	s_waitcnt lgkmcnt(0)
	v_mul_hi_u32 v1, s5, v3
	v_add_u32_e32 v1, v3, v1
	v_lshrrev_b32_e32 v1, s6, v1
	v_mul_lo_u32 v1, v1, s4
	v_sub_u32_e32 v1, v3, v1
	v_mad_u64_u32 v[5:6], s[4:5], v1, s8, v[5:6]
	v_mad_u64_u32 v[9:10], s[4:5], v1, s9, v[9:10]
	;; [unrolled: 1-line block ×3, first 2 shown]
.LBB197_130:
	s_and_b64 vcc, exec, s[0:1]
	v_add_u32_e32 v1, 0x100, v31
	s_cbranch_vccnz .LBB197_136
; %bb.131:
	s_cmp_lg_u32 s33, 0
	s_cbranch_scc0 .LBB197_137
; %bb.132:
	s_min_u32 s6, s36, 15
	s_add_i32 s4, s6, 1
	s_and_b32 s7, s4, 30
	s_add_u32 s4, s2, 0xffffffe8
	s_addc_u32 s5, s3, -1
	v_mov_b32_e32 v12, 0
	v_mov_b32_e32 v14, 0
	;; [unrolled: 1-line block ×4, first 2 shown]
.LBB197_133:                            ; =>This Inner Loop Header: Depth=1
	s_load_dwordx4 s[8:11], s[4:5], 0x1c
	s_load_dwordx2 s[16:17], s[4:5], 0x2c
	s_load_dwordx2 s[18:19], s[4:5], 0xec
	s_load_dwordx4 s[12:15], s[4:5], 0xdc
	s_add_u32 s4, s4, 24
	s_waitcnt lgkmcnt(0)
	v_mul_hi_u32 v6, s9, v3
	s_addc_u32 s5, s5, 0
	s_add_i32 s7, s7, -2
	s_cmp_lg_u32 s7, 0
	v_add_u32_e32 v6, v3, v6
	v_lshrrev_b32_e32 v6, s10, v6
	v_mul_lo_u32 v8, v6, s8
	v_mul_hi_u32 v11, s16, v6
	v_sub_u32_e32 v8, v3, v8
	v_add_u32_e32 v3, v6, v11
	v_lshrrev_b32_e32 v3, s17, v3
	v_mul_lo_u32 v15, v3, s11
	v_mul_lo_u32 v11, v8, s12
	;; [unrolled: 1-line block ×4, first 2 shown]
	v_sub_u32_e32 v6, v6, v15
	v_mul_lo_u32 v15, v6, s15
	v_mul_lo_u32 v16, v6, s18
	;; [unrolled: 1-line block ×3, first 2 shown]
	v_add3_u32 v10, v11, v10, v15
	v_add3_u32 v14, v13, v14, v16
	;; [unrolled: 1-line block ×3, first 2 shown]
	s_cbranch_scc1 .LBB197_133
; %bb.134:
	s_bitcmp1_b32 s6, 0
	s_cselect_b64 s[6:7], -1, 0
	s_and_b64 vcc, exec, s[6:7]
	s_cbranch_vccnz .LBB197_138
; %bb.135:
	s_load_dwordx2 s[6:7], s[4:5], 0x1c
	s_load_dword s10, s[4:5], 0x24
	s_load_dwordx2 s[8:9], s[4:5], 0xdc
	s_waitcnt lgkmcnt(0)
	v_mul_hi_u32 v6, s7, v3
	v_add_u32_e32 v6, v3, v6
	v_lshrrev_b32_e32 v6, s10, v6
	v_mul_lo_u32 v6, v6, s6
	s_load_dword s6, s[4:5], 0xe4
	v_sub_u32_e32 v3, v3, v6
	v_mad_u64_u32 v[10:11], s[4:5], v3, s8, v[10:11]
	v_mad_u64_u32 v[14:15], s[4:5], v3, s9, v[14:15]
	s_waitcnt lgkmcnt(0)
	v_mad_u64_u32 v[12:13], s[4:5], v3, s6, v[12:13]
	s_cbranch_execz .LBB197_139
	s_branch .LBB197_141
.LBB197_136:
                                        ; implicit-def: $vgpr10
                                        ; implicit-def: $vgpr14
                                        ; implicit-def: $vgpr12
	s_branch .LBB197_139
.LBB197_137:
	v_mov_b32_e32 v10, 0
	v_mov_b32_e32 v14, 0
	;; [unrolled: 1-line block ×3, first 2 shown]
.LBB197_138:
	s_cbranch_execnz .LBB197_141
.LBB197_139:
	s_load_dwordx4 s[4:7], s[2:3], 0x4
	s_load_dwordx4 s[8:11], s[2:3], 0xc4
	s_cmp_lt_u32 s33, 2
	s_waitcnt lgkmcnt(0)
	v_mul_hi_u32 v3, s5, v1
	v_add_u32_e32 v3, v1, v3
	v_lshrrev_b32_e32 v3, s6, v3
	v_mul_lo_u32 v6, v3, s4
	v_sub_u32_e32 v1, v1, v6
	v_mul_lo_u32 v10, v1, s8
	v_mul_lo_u32 v14, v1, s9
	v_mul_lo_u32 v12, v1, s10
	s_cbranch_scc1 .LBB197_141
; %bb.140:
	s_load_dwordx4 s[4:7], s[2:3], 0x10
	s_load_dwordx4 s[8:11], s[2:3], 0xd0
	s_waitcnt lgkmcnt(0)
	v_mul_hi_u32 v1, s5, v3
	v_add_u32_e32 v1, v3, v1
	v_lshrrev_b32_e32 v1, s6, v1
	v_mul_lo_u32 v1, v1, s4
	v_sub_u32_e32 v1, v3, v1
	v_mad_u64_u32 v[10:11], s[4:5], v1, s8, v[10:11]
	v_mad_u64_u32 v[14:15], s[4:5], v1, s9, v[14:15]
	;; [unrolled: 1-line block ×3, first 2 shown]
.LBB197_141:
	s_and_b64 vcc, exec, s[0:1]
	v_add_u32_e32 v1, 0x180, v31
	s_cbranch_vccnz .LBB197_147
; %bb.142:
	s_cmp_lg_u32 s33, 0
	s_cbranch_scc0 .LBB197_148
; %bb.143:
	s_min_u32 s6, s36, 15
	s_add_i32 s4, s6, 1
	s_and_b32 s7, s4, 30
	s_add_u32 s4, s2, 0xffffffe8
	s_addc_u32 s5, s3, -1
	v_mov_b32_e32 v19, 0
	v_mov_b32_e32 v17, 0
	;; [unrolled: 1-line block ×4, first 2 shown]
.LBB197_144:                            ; =>This Inner Loop Header: Depth=1
	s_load_dwordx4 s[8:11], s[4:5], 0x1c
	s_load_dwordx2 s[16:17], s[4:5], 0x2c
	s_load_dwordx2 s[18:19], s[4:5], 0xec
	s_load_dwordx4 s[12:15], s[4:5], 0xdc
	s_add_u32 s4, s4, 24
	s_waitcnt lgkmcnt(0)
	v_mul_hi_u32 v6, s9, v3
	s_addc_u32 s5, s5, 0
	s_add_i32 s7, s7, -2
	s_cmp_lg_u32 s7, 0
	v_add_u32_e32 v6, v3, v6
	v_lshrrev_b32_e32 v6, s10, v6
	v_mul_lo_u32 v8, v6, s8
	v_mul_hi_u32 v11, s16, v6
	v_sub_u32_e32 v8, v3, v8
	v_add_u32_e32 v3, v6, v11
	v_lshrrev_b32_e32 v3, s17, v3
	v_mul_lo_u32 v16, v3, s11
	v_mul_lo_u32 v11, v8, s12
	;; [unrolled: 1-line block ×4, first 2 shown]
	v_sub_u32_e32 v6, v6, v16
	v_mul_lo_u32 v16, v6, s15
	v_mul_lo_u32 v18, v6, s18
	;; [unrolled: 1-line block ×3, first 2 shown]
	v_add3_u32 v15, v11, v15, v16
	v_add3_u32 v17, v13, v17, v18
	;; [unrolled: 1-line block ×3, first 2 shown]
	s_cbranch_scc1 .LBB197_144
; %bb.145:
	s_bitcmp1_b32 s6, 0
	s_cselect_b64 s[6:7], -1, 0
	s_and_b64 vcc, exec, s[6:7]
	s_cbranch_vccnz .LBB197_149
; %bb.146:
	s_load_dwordx2 s[6:7], s[4:5], 0x1c
	s_load_dword s10, s[4:5], 0x24
	s_load_dwordx2 s[8:9], s[4:5], 0xdc
	s_waitcnt lgkmcnt(0)
	v_mul_hi_u32 v6, s7, v3
	v_add_u32_e32 v6, v3, v6
	v_lshrrev_b32_e32 v6, s10, v6
	v_mul_lo_u32 v6, v6, s6
	s_load_dword s6, s[4:5], 0xe4
	v_sub_u32_e32 v3, v3, v6
	v_mad_u64_u32 v[15:16], s[4:5], v3, s8, v[15:16]
	v_mad_u64_u32 v[17:18], s[4:5], v3, s9, v[17:18]
	s_waitcnt lgkmcnt(0)
	v_mad_u64_u32 v[19:20], s[4:5], v3, s6, v[19:20]
	s_cbranch_execz .LBB197_150
	s_branch .LBB197_152
.LBB197_147:
                                        ; implicit-def: $vgpr15
                                        ; implicit-def: $vgpr17
                                        ; implicit-def: $vgpr19
	s_branch .LBB197_150
.LBB197_148:
	v_mov_b32_e32 v15, 0
	v_mov_b32_e32 v17, 0
	;; [unrolled: 1-line block ×3, first 2 shown]
.LBB197_149:
	s_cbranch_execnz .LBB197_152
.LBB197_150:
	s_load_dwordx4 s[4:7], s[2:3], 0x4
	s_load_dwordx4 s[8:11], s[2:3], 0xc4
	s_cmp_lt_u32 s33, 2
	s_waitcnt lgkmcnt(0)
	v_mul_hi_u32 v3, s5, v1
	v_add_u32_e32 v3, v1, v3
	v_lshrrev_b32_e32 v3, s6, v3
	v_mul_lo_u32 v6, v3, s4
	v_sub_u32_e32 v1, v1, v6
	v_mul_lo_u32 v15, v1, s8
	v_mul_lo_u32 v17, v1, s9
	;; [unrolled: 1-line block ×3, first 2 shown]
	s_cbranch_scc1 .LBB197_152
; %bb.151:
	s_load_dwordx4 s[4:7], s[2:3], 0x10
	s_load_dwordx4 s[8:11], s[2:3], 0xd0
	s_waitcnt lgkmcnt(0)
	v_mul_hi_u32 v1, s5, v3
	v_add_u32_e32 v1, v3, v1
	v_lshrrev_b32_e32 v1, s6, v1
	v_mul_lo_u32 v1, v1, s4
	v_sub_u32_e32 v1, v3, v1
	v_mad_u64_u32 v[15:16], s[4:5], v1, s8, v[15:16]
	v_mad_u64_u32 v[17:18], s[4:5], v1, s9, v[17:18]
	;; [unrolled: 1-line block ×3, first 2 shown]
.LBB197_152:
	s_and_b64 vcc, exec, s[0:1]
	v_add_u32_e32 v1, 0x200, v31
	s_cbranch_vccnz .LBB197_158
; %bb.153:
	s_cmp_lg_u32 s33, 0
	s_cbranch_scc0 .LBB197_159
; %bb.154:
	s_min_u32 s6, s36, 15
	s_add_i32 s4, s6, 1
	s_and_b32 s7, s4, 30
	s_add_u32 s4, s2, 0xffffffe8
	s_addc_u32 s5, s3, -1
	v_mov_b32_e32 v22, 0
	v_mov_b32_e32 v24, 0
	;; [unrolled: 1-line block ×4, first 2 shown]
.LBB197_155:                            ; =>This Inner Loop Header: Depth=1
	s_load_dwordx4 s[8:11], s[4:5], 0x1c
	s_load_dwordx2 s[16:17], s[4:5], 0x2c
	s_load_dwordx2 s[18:19], s[4:5], 0xec
	s_load_dwordx4 s[12:15], s[4:5], 0xdc
	s_add_u32 s4, s4, 24
	s_waitcnt lgkmcnt(0)
	v_mul_hi_u32 v6, s9, v3
	s_addc_u32 s5, s5, 0
	s_add_i32 s7, s7, -2
	s_cmp_lg_u32 s7, 0
	v_add_u32_e32 v6, v3, v6
	v_lshrrev_b32_e32 v6, s10, v6
	v_mul_lo_u32 v8, v6, s8
	v_mul_hi_u32 v11, s16, v6
	v_sub_u32_e32 v8, v3, v8
	v_add_u32_e32 v3, v6, v11
	v_lshrrev_b32_e32 v3, s17, v3
	v_mul_lo_u32 v16, v3, s11
	v_mul_lo_u32 v11, v8, s12
	;; [unrolled: 1-line block ×4, first 2 shown]
	v_sub_u32_e32 v6, v6, v16
	v_mul_lo_u32 v16, v6, s15
	v_mul_lo_u32 v18, v6, s18
	;; [unrolled: 1-line block ×3, first 2 shown]
	v_add3_u32 v20, v11, v20, v16
	v_add3_u32 v24, v13, v24, v18
	;; [unrolled: 1-line block ×3, first 2 shown]
	s_cbranch_scc1 .LBB197_155
; %bb.156:
	s_bitcmp1_b32 s6, 0
	s_cselect_b64 s[6:7], -1, 0
	s_and_b64 vcc, exec, s[6:7]
	s_cbranch_vccnz .LBB197_160
; %bb.157:
	s_load_dwordx2 s[6:7], s[4:5], 0x1c
	s_load_dword s10, s[4:5], 0x24
	s_load_dwordx2 s[8:9], s[4:5], 0xdc
	s_waitcnt lgkmcnt(0)
	v_mul_hi_u32 v6, s7, v3
	v_add_u32_e32 v6, v3, v6
	v_lshrrev_b32_e32 v6, s10, v6
	v_mul_lo_u32 v6, v6, s6
	s_load_dword s6, s[4:5], 0xe4
	v_sub_u32_e32 v3, v3, v6
	v_mad_u64_u32 v[20:21], s[4:5], v3, s8, v[20:21]
	v_mad_u64_u32 v[24:25], s[4:5], v3, s9, v[24:25]
	s_waitcnt lgkmcnt(0)
	v_mad_u64_u32 v[22:23], s[4:5], v3, s6, v[22:23]
	s_cbranch_execz .LBB197_161
	s_branch .LBB197_163
.LBB197_158:
                                        ; implicit-def: $vgpr20
                                        ; implicit-def: $vgpr24
                                        ; implicit-def: $vgpr22
	s_branch .LBB197_161
.LBB197_159:
	v_mov_b32_e32 v20, 0
	v_mov_b32_e32 v24, 0
	v_mov_b32_e32 v22, 0
.LBB197_160:
	s_cbranch_execnz .LBB197_163
.LBB197_161:
	s_load_dwordx4 s[4:7], s[2:3], 0x4
	s_load_dwordx4 s[8:11], s[2:3], 0xc4
	s_cmp_lt_u32 s33, 2
	s_waitcnt lgkmcnt(0)
	v_mul_hi_u32 v3, s5, v1
	v_add_u32_e32 v3, v1, v3
	v_lshrrev_b32_e32 v3, s6, v3
	v_mul_lo_u32 v6, v3, s4
	v_sub_u32_e32 v1, v1, v6
	v_mul_lo_u32 v20, v1, s8
	v_mul_lo_u32 v24, v1, s9
	;; [unrolled: 1-line block ×3, first 2 shown]
	s_cbranch_scc1 .LBB197_163
; %bb.162:
	s_load_dwordx4 s[4:7], s[2:3], 0x10
	s_load_dwordx4 s[8:11], s[2:3], 0xd0
	s_waitcnt lgkmcnt(0)
	v_mul_hi_u32 v1, s5, v3
	v_add_u32_e32 v1, v3, v1
	v_lshrrev_b32_e32 v1, s6, v1
	v_mul_lo_u32 v1, v1, s4
	v_sub_u32_e32 v1, v3, v1
	v_mad_u64_u32 v[20:21], s[4:5], v1, s8, v[20:21]
	v_mad_u64_u32 v[24:25], s[4:5], v1, s9, v[24:25]
	;; [unrolled: 1-line block ×3, first 2 shown]
.LBB197_163:
	s_and_b64 vcc, exec, s[0:1]
	v_add_u32_e32 v1, 0x280, v31
	s_cbranch_vccnz .LBB197_169
; %bb.164:
	s_cmp_lg_u32 s33, 0
	s_cbranch_scc0 .LBB197_170
; %bb.165:
	s_min_u32 s6, s36, 15
	s_add_i32 s4, s6, 1
	s_and_b32 s7, s4, 30
	s_add_u32 s4, s2, 0xffffffe8
	s_addc_u32 s5, s3, -1
	v_mov_b32_e32 v27, 0
	v_mov_b32_e32 v29, 0
	;; [unrolled: 1-line block ×4, first 2 shown]
.LBB197_166:                            ; =>This Inner Loop Header: Depth=1
	s_load_dwordx4 s[8:11], s[4:5], 0x1c
	s_load_dwordx2 s[16:17], s[4:5], 0x2c
	s_load_dwordx2 s[18:19], s[4:5], 0xec
	s_load_dwordx4 s[12:15], s[4:5], 0xdc
	s_add_u32 s4, s4, 24
	s_waitcnt lgkmcnt(0)
	v_mul_hi_u32 v6, s9, v3
	s_addc_u32 s5, s5, 0
	s_add_i32 s7, s7, -2
	s_cmp_lg_u32 s7, 0
	v_add_u32_e32 v6, v3, v6
	v_lshrrev_b32_e32 v6, s10, v6
	v_mul_lo_u32 v8, v6, s8
	v_mul_hi_u32 v11, s16, v6
	v_sub_u32_e32 v8, v3, v8
	v_add_u32_e32 v3, v6, v11
	v_lshrrev_b32_e32 v3, s17, v3
	v_mul_lo_u32 v16, v3, s11
	v_mul_lo_u32 v11, v8, s12
	;; [unrolled: 1-line block ×4, first 2 shown]
	v_sub_u32_e32 v6, v6, v16
	v_mul_lo_u32 v16, v6, s15
	v_mul_lo_u32 v18, v6, s18
	;; [unrolled: 1-line block ×3, first 2 shown]
	v_add3_u32 v25, v11, v25, v16
	v_add3_u32 v29, v13, v29, v18
	;; [unrolled: 1-line block ×3, first 2 shown]
	s_cbranch_scc1 .LBB197_166
; %bb.167:
	s_bitcmp1_b32 s6, 0
	s_cselect_b64 s[6:7], -1, 0
	s_and_b64 vcc, exec, s[6:7]
	s_cbranch_vccnz .LBB197_171
; %bb.168:
	s_load_dwordx2 s[6:7], s[4:5], 0x1c
	s_load_dword s10, s[4:5], 0x24
	s_load_dwordx2 s[8:9], s[4:5], 0xdc
	s_waitcnt lgkmcnt(0)
	v_mul_hi_u32 v6, s7, v3
	v_add_u32_e32 v6, v3, v6
	v_lshrrev_b32_e32 v6, s10, v6
	v_mul_lo_u32 v6, v6, s6
	s_load_dword s6, s[4:5], 0xe4
	v_sub_u32_e32 v3, v3, v6
	v_mad_u64_u32 v[25:26], s[4:5], v3, s8, v[25:26]
	v_mad_u64_u32 v[29:30], s[4:5], v3, s9, v[29:30]
	s_waitcnt lgkmcnt(0)
	v_mad_u64_u32 v[27:28], s[4:5], v3, s6, v[27:28]
	s_cbranch_execz .LBB197_172
	s_branch .LBB197_174
.LBB197_169:
                                        ; implicit-def: $vgpr25
                                        ; implicit-def: $vgpr29
                                        ; implicit-def: $vgpr27
	s_branch .LBB197_172
.LBB197_170:
	v_mov_b32_e32 v25, 0
	v_mov_b32_e32 v29, 0
	;; [unrolled: 1-line block ×3, first 2 shown]
.LBB197_171:
	s_cbranch_execnz .LBB197_174
.LBB197_172:
	s_load_dwordx4 s[4:7], s[2:3], 0x4
	s_load_dwordx4 s[8:11], s[2:3], 0xc4
	s_cmp_lt_u32 s33, 2
	s_waitcnt lgkmcnt(0)
	v_mul_hi_u32 v3, s5, v1
	v_add_u32_e32 v3, v1, v3
	v_lshrrev_b32_e32 v3, s6, v3
	v_mul_lo_u32 v6, v3, s4
	v_sub_u32_e32 v1, v1, v6
	v_mul_lo_u32 v25, v1, s8
	v_mul_lo_u32 v29, v1, s9
	;; [unrolled: 1-line block ×3, first 2 shown]
	s_cbranch_scc1 .LBB197_174
; %bb.173:
	s_load_dwordx4 s[4:7], s[2:3], 0x10
	s_load_dwordx4 s[8:11], s[2:3], 0xd0
	s_waitcnt lgkmcnt(0)
	v_mul_hi_u32 v1, s5, v3
	v_add_u32_e32 v1, v3, v1
	v_lshrrev_b32_e32 v1, s6, v1
	v_mul_lo_u32 v1, v1, s4
	v_sub_u32_e32 v1, v3, v1
	v_mad_u64_u32 v[25:26], s[4:5], v1, s8, v[25:26]
	v_mad_u64_u32 v[29:30], s[4:5], v1, s9, v[29:30]
	;; [unrolled: 1-line block ×3, first 2 shown]
.LBB197_174:
	s_and_b64 vcc, exec, s[0:1]
	v_add_u32_e32 v1, 0x300, v31
	s_cbranch_vccnz .LBB197_180
; %bb.175:
	s_cmp_lg_u32 s33, 0
	s_cbranch_scc0 .LBB197_181
; %bb.176:
	s_min_u32 s6, s36, 15
	s_add_i32 s4, s6, 1
	s_and_b32 s7, s4, 30
	s_add_u32 s4, s2, 0xffffffe8
	s_addc_u32 s5, s3, -1
	v_mov_b32_e32 v32, 0
	v_mov_b32_e32 v34, 0
	;; [unrolled: 1-line block ×4, first 2 shown]
.LBB197_177:                            ; =>This Inner Loop Header: Depth=1
	s_load_dwordx4 s[8:11], s[4:5], 0x1c
	s_load_dwordx2 s[16:17], s[4:5], 0x2c
	s_load_dwordx2 s[18:19], s[4:5], 0xec
	s_load_dwordx4 s[12:15], s[4:5], 0xdc
	s_add_u32 s4, s4, 24
	s_waitcnt lgkmcnt(0)
	v_mul_hi_u32 v6, s9, v3
	s_addc_u32 s5, s5, 0
	s_add_i32 s7, s7, -2
	s_cmp_lg_u32 s7, 0
	v_add_u32_e32 v6, v3, v6
	v_lshrrev_b32_e32 v6, s10, v6
	v_mul_lo_u32 v8, v6, s8
	v_mul_hi_u32 v11, s16, v6
	v_sub_u32_e32 v8, v3, v8
	v_add_u32_e32 v3, v6, v11
	v_lshrrev_b32_e32 v3, s17, v3
	v_mul_lo_u32 v16, v3, s11
	v_mul_lo_u32 v11, v8, s12
	;; [unrolled: 1-line block ×4, first 2 shown]
	v_sub_u32_e32 v6, v6, v16
	v_mul_lo_u32 v16, v6, s15
	v_mul_lo_u32 v18, v6, s18
	;; [unrolled: 1-line block ×3, first 2 shown]
	v_add3_u32 v30, v11, v30, v16
	v_add3_u32 v34, v13, v34, v18
	;; [unrolled: 1-line block ×3, first 2 shown]
	s_cbranch_scc1 .LBB197_177
; %bb.178:
	s_bitcmp1_b32 s6, 0
	s_cselect_b64 s[6:7], -1, 0
	s_and_b64 vcc, exec, s[6:7]
	s_cbranch_vccnz .LBB197_182
; %bb.179:
	s_load_dwordx2 s[6:7], s[4:5], 0x1c
	s_load_dword s10, s[4:5], 0x24
	s_load_dwordx2 s[8:9], s[4:5], 0xdc
	s_waitcnt lgkmcnt(0)
	v_mul_hi_u32 v6, s7, v3
	v_add_u32_e32 v6, v3, v6
	v_lshrrev_b32_e32 v6, s10, v6
	v_mul_lo_u32 v6, v6, s6
	s_load_dword s6, s[4:5], 0xe4
	v_sub_u32_e32 v3, v3, v6
	v_mad_u64_u32 v[30:31], s[4:5], v3, s8, v[30:31]
	v_mad_u64_u32 v[34:35], s[4:5], v3, s9, v[34:35]
	s_waitcnt lgkmcnt(0)
	v_mad_u64_u32 v[32:33], s[4:5], v3, s6, v[32:33]
	s_cbranch_execz .LBB197_183
	s_branch .LBB197_185
.LBB197_180:
                                        ; implicit-def: $vgpr30
                                        ; implicit-def: $vgpr34
                                        ; implicit-def: $vgpr32
	s_branch .LBB197_183
.LBB197_181:
	v_mov_b32_e32 v30, 0
	v_mov_b32_e32 v34, 0
	v_mov_b32_e32 v32, 0
.LBB197_182:
	s_cbranch_execnz .LBB197_185
.LBB197_183:
	s_load_dwordx4 s[4:7], s[2:3], 0x4
	s_load_dwordx4 s[8:11], s[2:3], 0xc4
	s_cmp_lt_u32 s33, 2
	s_waitcnt lgkmcnt(0)
	v_mul_hi_u32 v3, s5, v1
	v_add_u32_e32 v3, v1, v3
	v_lshrrev_b32_e32 v3, s6, v3
	v_mul_lo_u32 v6, v3, s4
	v_sub_u32_e32 v1, v1, v6
	v_mul_lo_u32 v30, v1, s8
	v_mul_lo_u32 v34, v1, s9
	;; [unrolled: 1-line block ×3, first 2 shown]
	s_cbranch_scc1 .LBB197_185
; %bb.184:
	s_load_dwordx4 s[4:7], s[2:3], 0x10
	s_load_dwordx4 s[8:11], s[2:3], 0xd0
	s_waitcnt lgkmcnt(0)
	v_mul_hi_u32 v1, s5, v3
	v_add_u32_e32 v1, v3, v1
	v_lshrrev_b32_e32 v1, s6, v1
	v_mul_lo_u32 v1, v1, s4
	v_sub_u32_e32 v1, v3, v1
	v_mad_u64_u32 v[30:31], s[4:5], v1, s8, v[30:31]
	v_mad_u64_u32 v[34:35], s[4:5], v1, s9, v[34:35]
	v_mad_u64_u32 v[32:33], s[4:5], v1, s10, v[32:33]
.LBB197_185:
	s_and_b64 vcc, exec, s[0:1]
	s_cbranch_vccnz .LBB197_191
; %bb.186:
	s_cmp_lg_u32 s33, 0
	s_cbranch_scc0 .LBB197_192
; %bb.187:
	s_min_u32 s4, s36, 15
	s_add_i32 s0, s4, 1
	s_and_b32 s5, s0, 30
	s_add_u32 s0, s2, 0xffffffe8
	s_addc_u32 s1, s3, -1
	v_mov_b32_e32 v37, 0
	v_mov_b32_e32 v39, 0
	;; [unrolled: 1-line block ×4, first 2 shown]
.LBB197_188:                            ; =>This Inner Loop Header: Depth=1
	s_load_dwordx4 s[8:11], s[0:1], 0x1c
	s_load_dwordx2 s[6:7], s[0:1], 0x2c
	s_load_dwordx2 s[16:17], s[0:1], 0xec
	s_load_dwordx4 s[12:15], s[0:1], 0xdc
	s_add_u32 s0, s0, 24
	s_waitcnt lgkmcnt(0)
	v_mul_hi_u32 v3, s9, v1
	s_addc_u32 s1, s1, 0
	s_add_i32 s5, s5, -2
	s_cmp_lg_u32 s5, 0
	v_add_u32_e32 v3, v1, v3
	v_lshrrev_b32_e32 v3, s10, v3
	v_mul_lo_u32 v6, v3, s8
	v_mul_hi_u32 v8, s6, v3
	v_sub_u32_e32 v6, v1, v6
	v_add_u32_e32 v1, v3, v8
	v_lshrrev_b32_e32 v1, s7, v1
	v_mul_lo_u32 v13, v1, s11
	v_mul_lo_u32 v8, v6, s12
	;; [unrolled: 1-line block ×4, first 2 shown]
	v_sub_u32_e32 v3, v3, v13
	v_mul_lo_u32 v13, v3, s15
	v_mul_lo_u32 v16, v3, s16
	v_mul_lo_u32 v3, v3, s17
	v_add3_u32 v35, v8, v35, v13
	v_add3_u32 v39, v11, v39, v16
	;; [unrolled: 1-line block ×3, first 2 shown]
	s_cbranch_scc1 .LBB197_188
; %bb.189:
	s_bitcmp1_b32 s4, 0
	s_cselect_b64 s[4:5], -1, 0
	s_and_b64 vcc, exec, s[4:5]
	s_cbranch_vccnz .LBB197_193
; %bb.190:
	s_load_dwordx2 s[4:5], s[0:1], 0x1c
	s_load_dword s8, s[0:1], 0x24
	s_load_dwordx2 s[6:7], s[0:1], 0xdc
	s_waitcnt lgkmcnt(0)
	v_mul_hi_u32 v3, s5, v1
	v_add_u32_e32 v3, v1, v3
	v_lshrrev_b32_e32 v3, s8, v3
	v_mul_lo_u32 v3, v3, s4
	s_load_dword s4, s[0:1], 0xe4
	v_sub_u32_e32 v1, v1, v3
	v_mad_u64_u32 v[35:36], s[0:1], v1, s6, v[35:36]
	v_mad_u64_u32 v[39:40], s[0:1], v1, s7, v[39:40]
	s_waitcnt lgkmcnt(0)
	v_mad_u64_u32 v[37:38], s[0:1], v1, s4, v[37:38]
	s_cbranch_execz .LBB197_194
	s_branch .LBB197_196
.LBB197_191:
                                        ; implicit-def: $vgpr35
                                        ; implicit-def: $vgpr39
                                        ; implicit-def: $vgpr37
	s_branch .LBB197_194
.LBB197_192:
	v_mov_b32_e32 v35, 0
	v_mov_b32_e32 v39, 0
	;; [unrolled: 1-line block ×3, first 2 shown]
.LBB197_193:
	s_cbranch_execnz .LBB197_196
.LBB197_194:
	s_load_dwordx4 s[4:7], s[2:3], 0x4
	s_load_dwordx4 s[8:11], s[2:3], 0xc4
	s_cmp_lt_u32 s33, 2
	s_waitcnt lgkmcnt(0)
	v_mul_hi_u32 v1, s5, v41
	v_add_u32_e32 v1, v41, v1
	v_lshrrev_b32_e32 v1, s6, v1
	v_mul_lo_u32 v3, v1, s4
	v_sub_u32_e32 v3, v41, v3
	v_mul_lo_u32 v35, v3, s8
	v_mul_lo_u32 v39, v3, s9
	;; [unrolled: 1-line block ×3, first 2 shown]
	s_cbranch_scc1 .LBB197_196
; %bb.195:
	s_load_dwordx4 s[4:7], s[2:3], 0x10
	s_load_dwordx4 s[8:11], s[2:3], 0xd0
	s_waitcnt lgkmcnt(0)
	v_mul_hi_u32 v3, s5, v1
	v_add_u32_e32 v3, v1, v3
	v_lshrrev_b32_e32 v3, s6, v3
	v_mul_lo_u32 v3, v3, s4
	v_sub_u32_e32 v1, v1, v3
	v_mad_u64_u32 v[35:36], s[0:1], v1, s8, v[35:36]
	v_mad_u64_u32 v[39:40], s[0:1], v1, s9, v[39:40]
	;; [unrolled: 1-line block ×3, first 2 shown]
.LBB197_196:
	s_load_dwordx2 s[0:1], s[2:3], 0x198
	s_load_dwordx4 s[4:7], s[2:3], 0x188
	s_waitcnt lgkmcnt(0)
	s_nop 1
	global_load_ushort v1, v2, s[0:1]
	global_load_ushort v3, v4, s[6:7]
	global_load_ushort v6, v7, s[0:1]
	global_load_ushort v8, v9, s[6:7]
	global_load_ushort v11, v12, s[0:1]
	global_load_ushort v13, v14, s[6:7]
	global_load_ushort v16, v19, s[0:1]
	global_load_ushort v18, v17, s[6:7]
                                        ; kill: killed $vgpr19
                                        ; kill: killed $vgpr4
                                        ; kill: killed $vgpr9
                                        ; kill: killed $vgpr2
                                        ; kill: killed $vgpr14
                                        ; kill: killed $vgpr7
                                        ; kill: killed $vgpr17
                                        ; kill: killed $vgpr12
	global_load_ushort v2, v22, s[0:1]
	global_load_ushort v4, v24, s[6:7]
	;; [unrolled: 1-line block ×8, first 2 shown]
	s_load_dword s0, s[2:3], 0x1a0
	s_waitcnt lgkmcnt(0)
	s_cmp_eq_u32 s0, 0
	s_waitcnt vmcnt(15)
	v_lshlrev_b32_e32 v1, 16, v1
	s_waitcnt vmcnt(14)
	v_lshlrev_b32_e32 v3, 16, v3
	;; [unrolled: 2-line block ×4, first 2 shown]
	v_cmp_neq_f32_e32 vcc, v3, v1
	s_waitcnt vmcnt(11)
	v_lshlrev_b32_e32 v11, 16, v11
	s_waitcnt vmcnt(10)
	v_lshlrev_b32_e32 v13, 16, v13
	v_cmp_eq_f32_e64 s[0:1], v3, v1
	v_cndmask_b32_e64 v3, 0, 1, vcc
	v_cmp_neq_f32_e32 vcc, v8, v6
	s_waitcnt vmcnt(9)
	v_lshlrev_b32_e32 v16, 16, v16
	s_waitcnt vmcnt(8)
	v_lshlrev_b32_e32 v18, 16, v18
	v_cndmask_b32_e64 v1, 0, 1, s[0:1]
	v_cmp_eq_f32_e64 s[0:1], v8, v6
	v_cndmask_b32_e64 v8, 0, 1, vcc
	v_cmp_neq_f32_e32 vcc, v13, v11
	s_waitcnt vmcnt(7)
	v_lshlrev_b32_e32 v2, 16, v2
	s_waitcnt vmcnt(6)
	v_lshlrev_b32_e32 v4, 16, v4
	v_cndmask_b32_e64 v6, 0, 1, s[0:1]
	;; [unrolled: 8-line block ×5, first 2 shown]
	v_cmp_eq_f32_e64 s[0:1], v9, v7
	v_cndmask_b32_e64 v9, 0, 1, vcc
	v_cmp_neq_f32_e32 vcc, v14, v12
	v_cndmask_b32_e64 v7, 0, 1, s[0:1]
	v_cmp_eq_f32_e64 s[0:1], v14, v12
	v_cndmask_b32_e64 v14, 0, 1, vcc
	v_cmp_neq_f32_e32 vcc, v19, v17
	v_cndmask_b32_e64 v12, 0, 1, s[0:1]
	v_cmp_eq_f32_e64 s[0:1], v19, v17
	v_cndmask_b32_e64 v19, 0, 1, vcc
	s_cselect_b64 vcc, -1, 0
	v_cndmask_b32_e64 v17, 0, 1, s[0:1]
	v_cndmask_b32_e32 v1, v3, v1, vcc
	v_cndmask_b32_e32 v3, v8, v6, vcc
	;; [unrolled: 1-line block ×8, first 2 shown]
	v_and_b32_e32 v1, 1, v1
	v_and_b32_e32 v3, 1, v3
	;; [unrolled: 1-line block ×8, first 2 shown]
	global_store_byte v0, v1, s[4:5]
	global_store_byte v5, v3, s[4:5]
	;; [unrolled: 1-line block ×8, first 2 shown]
	s_endpgm
	.section	.rodata,"a",@progbits
	.p2align	6, 0x0
	.amdhsa_kernel _ZN2at6native32elementwise_kernel_manual_unrollILi128ELi8EZNS0_22gpu_kernel_impl_nocastINS0_13BinaryFunctorIN3c108BFloat16ES5_bNS0_12_GLOBAL__N_116CompareEqFunctorIS5_EEEEEEvRNS_18TensorIteratorBaseERKT_EUlibE_EEviT1_
		.amdhsa_group_segment_fixed_size 0
		.amdhsa_private_segment_fixed_size 0
		.amdhsa_kernarg_size 432
		.amdhsa_user_sgpr_count 6
		.amdhsa_user_sgpr_private_segment_buffer 1
		.amdhsa_user_sgpr_dispatch_ptr 0
		.amdhsa_user_sgpr_queue_ptr 0
		.amdhsa_user_sgpr_kernarg_segment_ptr 1
		.amdhsa_user_sgpr_dispatch_id 0
		.amdhsa_user_sgpr_flat_scratch_init 0
		.amdhsa_user_sgpr_private_segment_size 0
		.amdhsa_uses_dynamic_stack 0
		.amdhsa_system_sgpr_private_segment_wavefront_offset 0
		.amdhsa_system_sgpr_workgroup_id_x 1
		.amdhsa_system_sgpr_workgroup_id_y 0
		.amdhsa_system_sgpr_workgroup_id_z 0
		.amdhsa_system_sgpr_workgroup_info 0
		.amdhsa_system_vgpr_workitem_id 0
		.amdhsa_next_free_vgpr 42
		.amdhsa_next_free_sgpr 52
		.amdhsa_reserve_vcc 1
		.amdhsa_reserve_flat_scratch 0
		.amdhsa_float_round_mode_32 0
		.amdhsa_float_round_mode_16_64 0
		.amdhsa_float_denorm_mode_32 3
		.amdhsa_float_denorm_mode_16_64 3
		.amdhsa_dx10_clamp 1
		.amdhsa_ieee_mode 1
		.amdhsa_fp16_overflow 0
		.amdhsa_exception_fp_ieee_invalid_op 0
		.amdhsa_exception_fp_denorm_src 0
		.amdhsa_exception_fp_ieee_div_zero 0
		.amdhsa_exception_fp_ieee_overflow 0
		.amdhsa_exception_fp_ieee_underflow 0
		.amdhsa_exception_fp_ieee_inexact 0
		.amdhsa_exception_int_div_zero 0
	.end_amdhsa_kernel
	.section	.text._ZN2at6native32elementwise_kernel_manual_unrollILi128ELi8EZNS0_22gpu_kernel_impl_nocastINS0_13BinaryFunctorIN3c108BFloat16ES5_bNS0_12_GLOBAL__N_116CompareEqFunctorIS5_EEEEEEvRNS_18TensorIteratorBaseERKT_EUlibE_EEviT1_,"axG",@progbits,_ZN2at6native32elementwise_kernel_manual_unrollILi128ELi8EZNS0_22gpu_kernel_impl_nocastINS0_13BinaryFunctorIN3c108BFloat16ES5_bNS0_12_GLOBAL__N_116CompareEqFunctorIS5_EEEEEEvRNS_18TensorIteratorBaseERKT_EUlibE_EEviT1_,comdat
.Lfunc_end197:
	.size	_ZN2at6native32elementwise_kernel_manual_unrollILi128ELi8EZNS0_22gpu_kernel_impl_nocastINS0_13BinaryFunctorIN3c108BFloat16ES5_bNS0_12_GLOBAL__N_116CompareEqFunctorIS5_EEEEEEvRNS_18TensorIteratorBaseERKT_EUlibE_EEviT1_, .Lfunc_end197-_ZN2at6native32elementwise_kernel_manual_unrollILi128ELi8EZNS0_22gpu_kernel_impl_nocastINS0_13BinaryFunctorIN3c108BFloat16ES5_bNS0_12_GLOBAL__N_116CompareEqFunctorIS5_EEEEEEvRNS_18TensorIteratorBaseERKT_EUlibE_EEviT1_
                                        ; -- End function
	.set _ZN2at6native32elementwise_kernel_manual_unrollILi128ELi8EZNS0_22gpu_kernel_impl_nocastINS0_13BinaryFunctorIN3c108BFloat16ES5_bNS0_12_GLOBAL__N_116CompareEqFunctorIS5_EEEEEEvRNS_18TensorIteratorBaseERKT_EUlibE_EEviT1_.num_vgpr, 42
	.set _ZN2at6native32elementwise_kernel_manual_unrollILi128ELi8EZNS0_22gpu_kernel_impl_nocastINS0_13BinaryFunctorIN3c108BFloat16ES5_bNS0_12_GLOBAL__N_116CompareEqFunctorIS5_EEEEEEvRNS_18TensorIteratorBaseERKT_EUlibE_EEviT1_.num_agpr, 0
	.set _ZN2at6native32elementwise_kernel_manual_unrollILi128ELi8EZNS0_22gpu_kernel_impl_nocastINS0_13BinaryFunctorIN3c108BFloat16ES5_bNS0_12_GLOBAL__N_116CompareEqFunctorIS5_EEEEEEvRNS_18TensorIteratorBaseERKT_EUlibE_EEviT1_.numbered_sgpr, 52
	.set _ZN2at6native32elementwise_kernel_manual_unrollILi128ELi8EZNS0_22gpu_kernel_impl_nocastINS0_13BinaryFunctorIN3c108BFloat16ES5_bNS0_12_GLOBAL__N_116CompareEqFunctorIS5_EEEEEEvRNS_18TensorIteratorBaseERKT_EUlibE_EEviT1_.num_named_barrier, 0
	.set _ZN2at6native32elementwise_kernel_manual_unrollILi128ELi8EZNS0_22gpu_kernel_impl_nocastINS0_13BinaryFunctorIN3c108BFloat16ES5_bNS0_12_GLOBAL__N_116CompareEqFunctorIS5_EEEEEEvRNS_18TensorIteratorBaseERKT_EUlibE_EEviT1_.private_seg_size, 0
	.set _ZN2at6native32elementwise_kernel_manual_unrollILi128ELi8EZNS0_22gpu_kernel_impl_nocastINS0_13BinaryFunctorIN3c108BFloat16ES5_bNS0_12_GLOBAL__N_116CompareEqFunctorIS5_EEEEEEvRNS_18TensorIteratorBaseERKT_EUlibE_EEviT1_.uses_vcc, 1
	.set _ZN2at6native32elementwise_kernel_manual_unrollILi128ELi8EZNS0_22gpu_kernel_impl_nocastINS0_13BinaryFunctorIN3c108BFloat16ES5_bNS0_12_GLOBAL__N_116CompareEqFunctorIS5_EEEEEEvRNS_18TensorIteratorBaseERKT_EUlibE_EEviT1_.uses_flat_scratch, 0
	.set _ZN2at6native32elementwise_kernel_manual_unrollILi128ELi8EZNS0_22gpu_kernel_impl_nocastINS0_13BinaryFunctorIN3c108BFloat16ES5_bNS0_12_GLOBAL__N_116CompareEqFunctorIS5_EEEEEEvRNS_18TensorIteratorBaseERKT_EUlibE_EEviT1_.has_dyn_sized_stack, 0
	.set _ZN2at6native32elementwise_kernel_manual_unrollILi128ELi8EZNS0_22gpu_kernel_impl_nocastINS0_13BinaryFunctorIN3c108BFloat16ES5_bNS0_12_GLOBAL__N_116CompareEqFunctorIS5_EEEEEEvRNS_18TensorIteratorBaseERKT_EUlibE_EEviT1_.has_recursion, 0
	.set _ZN2at6native32elementwise_kernel_manual_unrollILi128ELi8EZNS0_22gpu_kernel_impl_nocastINS0_13BinaryFunctorIN3c108BFloat16ES5_bNS0_12_GLOBAL__N_116CompareEqFunctorIS5_EEEEEEvRNS_18TensorIteratorBaseERKT_EUlibE_EEviT1_.has_indirect_call, 0
	.section	.AMDGPU.csdata,"",@progbits
; Kernel info:
; codeLenInByte = 9868
; TotalNumSgprs: 56
; NumVgprs: 42
; ScratchSize: 0
; MemoryBound: 0
; FloatMode: 240
; IeeeMode: 1
; LDSByteSize: 0 bytes/workgroup (compile time only)
; SGPRBlocks: 6
; VGPRBlocks: 10
; NumSGPRsForWavesPerEU: 56
; NumVGPRsForWavesPerEU: 42
; Occupancy: 5
; WaveLimiterHint : 1
; COMPUTE_PGM_RSRC2:SCRATCH_EN: 0
; COMPUTE_PGM_RSRC2:USER_SGPR: 6
; COMPUTE_PGM_RSRC2:TRAP_HANDLER: 0
; COMPUTE_PGM_RSRC2:TGID_X_EN: 1
; COMPUTE_PGM_RSRC2:TGID_Y_EN: 0
; COMPUTE_PGM_RSRC2:TGID_Z_EN: 0
; COMPUTE_PGM_RSRC2:TIDIG_COMP_CNT: 0
	.section	.text._ZN2at6native32elementwise_kernel_manual_unrollILi128ELi4EZNS0_15gpu_kernel_implINS0_13BinaryFunctorIN3c108BFloat16ES5_bNS0_12_GLOBAL__N_116CompareEqFunctorIS5_EEEEEEvRNS_18TensorIteratorBaseERKT_EUlibE_EEviT1_,"axG",@progbits,_ZN2at6native32elementwise_kernel_manual_unrollILi128ELi4EZNS0_15gpu_kernel_implINS0_13BinaryFunctorIN3c108BFloat16ES5_bNS0_12_GLOBAL__N_116CompareEqFunctorIS5_EEEEEEvRNS_18TensorIteratorBaseERKT_EUlibE_EEviT1_,comdat
	.globl	_ZN2at6native32elementwise_kernel_manual_unrollILi128ELi4EZNS0_15gpu_kernel_implINS0_13BinaryFunctorIN3c108BFloat16ES5_bNS0_12_GLOBAL__N_116CompareEqFunctorIS5_EEEEEEvRNS_18TensorIteratorBaseERKT_EUlibE_EEviT1_ ; -- Begin function _ZN2at6native32elementwise_kernel_manual_unrollILi128ELi4EZNS0_15gpu_kernel_implINS0_13BinaryFunctorIN3c108BFloat16ES5_bNS0_12_GLOBAL__N_116CompareEqFunctorIS5_EEEEEEvRNS_18TensorIteratorBaseERKT_EUlibE_EEviT1_
	.p2align	8
	.type	_ZN2at6native32elementwise_kernel_manual_unrollILi128ELi4EZNS0_15gpu_kernel_implINS0_13BinaryFunctorIN3c108BFloat16ES5_bNS0_12_GLOBAL__N_116CompareEqFunctorIS5_EEEEEEvRNS_18TensorIteratorBaseERKT_EUlibE_EEviT1_,@function
_ZN2at6native32elementwise_kernel_manual_unrollILi128ELi4EZNS0_15gpu_kernel_implINS0_13BinaryFunctorIN3c108BFloat16ES5_bNS0_12_GLOBAL__N_116CompareEqFunctorIS5_EEEEEEvRNS_18TensorIteratorBaseERKT_EUlibE_EEviT1_: ; @_ZN2at6native32elementwise_kernel_manual_unrollILi128ELi4EZNS0_15gpu_kernel_implINS0_13BinaryFunctorIN3c108BFloat16ES5_bNS0_12_GLOBAL__N_116CompareEqFunctorIS5_EEEEEEvRNS_18TensorIteratorBaseERKT_EUlibE_EEviT1_
; %bb.0:
	s_load_dword s33, s[4:5], 0x30
	s_load_dword s50, s[4:5], 0x0
	s_load_dwordx4 s[8:11], s[4:5], 0x8
	s_load_dwordx2 s[16:17], s[4:5], 0x18
	s_load_dwordx4 s[12:15], s[4:5], 0x20
	v_lshl_or_b32 v2, s6, 9, v0
	v_or_b32_e32 v0, 0x180, v2
	s_waitcnt lgkmcnt(0)
	s_lshr_b32 s57, s33, 8
	s_lshr_b32 s56, s33, 16
	v_cmp_le_i32_e32 vcc, s50, v0
	s_mov_b64 s[6:7], 0
	s_mov_b64 s[20:21], 0
	s_and_saveexec_b64 s[0:1], vcc
	s_xor_b64 s[18:19], exec, s[0:1]
	s_cbranch_execz .LBB198_1544
; %bb.1:
	s_cmp_eq_u32 s15, 0
	s_cselect_b64 s[0:1], -1, 0
	v_cmp_gt_i32_e32 vcc, s50, v2
	s_mov_b64 s[2:3], -1
	s_mov_b64 s[30:31], 0
	s_mov_b64 s[24:25], 0
	;; [unrolled: 1-line block ×3, first 2 shown]
	s_and_saveexec_b64 s[26:27], vcc
	s_cbranch_execz .LBB198_383
; %bb.2:
	v_mul_lo_u32 v0, v2, s13
	v_mov_b32_e32 v1, s11
	s_and_b32 s22, s57, 0xff
	s_cmp_lt_i32 s22, 11
	v_ashrrev_i32_e32 v3, 31, v0
	v_add_co_u32_e32 v0, vcc, s10, v0
	v_addc_co_u32_e32 v1, vcc, v1, v3, vcc
	s_cbranch_scc1 .LBB198_9
; %bb.3:
	s_and_b32 s23, 0xffff, s22
	s_cmp_gt_i32 s23, 25
	s_cbranch_scc0 .LBB198_18
; %bb.4:
	s_cmp_gt_i32 s23, 28
	s_cbranch_scc0 .LBB198_28
; %bb.5:
	;; [unrolled: 3-line block ×4, first 2 shown]
	s_cmp_eq_u32 s23, 46
	s_mov_b64 s[4:5], 0
	s_cbranch_scc0 .LBB198_37
; %bb.8:
	global_load_dword v3, v[0:1], off
	s_branch .LBB198_39
.LBB198_9:
                                        ; implicit-def: $vgpr3
	s_mov_b64 s[2:3], 0
	s_cbranch_execnz .LBB198_105
.LBB198_10:
	s_andn2_b64 vcc, exec, s[2:3]
	s_cbranch_vccnz .LBB198_152
.LBB198_11:
	v_mul_lo_u32 v0, v2, s14
	v_mov_b32_e32 v1, s17
	s_and_b32 s28, s56, 0xff
	s_cmp_lt_i32 s28, 11
	v_ashrrev_i32_e32 v4, 31, v0
	v_add_co_u32_e32 v0, vcc, s16, v0
	v_addc_co_u32_e32 v1, vcc, v1, v4, vcc
	s_cbranch_scc1 .LBB198_19
; %bb.12:
	s_and_b32 s29, 0xffff, s28
	s_cmp_gt_i32 s29, 25
	s_cbranch_scc0 .LBB198_29
; %bb.13:
	s_cmp_gt_i32 s29, 28
	s_cbranch_scc0 .LBB198_32
; %bb.14:
	;; [unrolled: 3-line block ×4, first 2 shown]
	s_cmp_eq_u32 s29, 46
	s_mov_b64 s[4:5], 0
	s_cbranch_scc0 .LBB198_153
; %bb.17:
	global_load_dword v4, v[0:1], off
	s_mov_b64 s[2:3], -1
	s_mov_b64 s[22:23], 0
	s_branch .LBB198_155
.LBB198_18:
	s_mov_b64 s[2:3], 0
                                        ; implicit-def: $vgpr3
	s_cbranch_execnz .LBB198_70
	s_branch .LBB198_104
.LBB198_19:
	s_mov_b64 s[22:23], 0
                                        ; implicit-def: $vgpr4
	s_mov_b64 s[2:3], 0
	s_cbranch_execnz .LBB198_332
.LBB198_20:
	s_andn2_b64 vcc, exec, s[2:3]
	s_cbranch_vccnz .LBB198_380
.LBB198_21:
	s_waitcnt vmcnt(0)
	v_lshlrev_b32_e32 v0, 16, v3
	v_lshlrev_b32_e32 v1, 16, v4
	v_cmp_eq_f32_e32 vcc, v0, v1
	v_cndmask_b32_e64 v3, 0, 1, vcc
	v_cmp_neq_f32_e32 vcc, v0, v1
	v_mul_lo_u32 v1, v2, s12
	v_cndmask_b32_e64 v0, 0, 1, vcc
	v_cndmask_b32_e64 v0, v0, v3, s[0:1]
	v_and_b32_e32 v0, 1, v0
	v_cmp_eq_u32_e64 s[2:3], 1, v0
	v_ashrrev_i32_e32 v3, 31, v1
	v_mov_b32_e32 v4, s9
	s_and_b32 s36, s33, 0xff
	v_add_co_u32_e32 v0, vcc, s8, v1
	s_cmp_lt_i32 s36, 11
	v_addc_co_u32_e32 v1, vcc, v4, v3, vcc
	s_cbranch_scc1 .LBB198_30
; %bb.22:
	s_and_b32 s37, 0xffff, s36
	s_cmp_gt_i32 s37, 25
	s_cbranch_scc0 .LBB198_33
; %bb.23:
	s_cmp_gt_i32 s37, 28
	s_cbranch_scc0 .LBB198_36
; %bb.24:
	;; [unrolled: 3-line block ×4, first 2 shown]
	s_mov_b64 s[28:29], 0
	s_mov_b64 s[4:5], -1
	s_cmp_eq_u32 s37, 46
	s_mov_b64 s[20:21], 0
	s_cbranch_scc0 .LBB198_159
; %bb.27:
	v_cndmask_b32_e64 v3, 0, 1.0, s[2:3]
	v_bfe_u32 v4, v3, 16, 1
	s_movk_i32 s4, 0x7fff
	v_add3_u32 v3, v3, v4, s4
	v_lshrrev_b32_e32 v3, 16, v3
	global_store_dword v[0:1], v3, off
	s_mov_b64 s[20:21], -1
	s_mov_b64 s[4:5], 0
	s_branch .LBB198_159
.LBB198_28:
	s_mov_b64 s[4:5], -1
	s_mov_b64 s[2:3], 0
                                        ; implicit-def: $vgpr3
	s_branch .LBB198_51
.LBB198_29:
	s_mov_b64 s[4:5], -1
	s_mov_b64 s[22:23], 0
	s_mov_b64 s[2:3], 0
                                        ; implicit-def: $vgpr4
	s_branch .LBB198_296
.LBB198_30:
	s_mov_b64 s[28:29], -1
	s_mov_b64 s[4:5], 0
	s_mov_b64 s[20:21], 0
	s_branch .LBB198_228
.LBB198_31:
	s_mov_b64 s[4:5], -1
	s_mov_b64 s[2:3], 0
                                        ; implicit-def: $vgpr3
	s_branch .LBB198_46
.LBB198_32:
	s_mov_b64 s[4:5], -1
	s_mov_b64 s[22:23], 0
	s_mov_b64 s[2:3], 0
                                        ; implicit-def: $vgpr4
	s_branch .LBB198_277
.LBB198_33:
	s_mov_b64 s[28:29], -1
	s_mov_b64 s[4:5], 0
	s_mov_b64 s[20:21], 0
	s_branch .LBB198_186
.LBB198_34:
	s_mov_b64 s[4:5], -1
	s_branch .LBB198_38
.LBB198_35:
	s_mov_b64 s[4:5], -1
	s_mov_b64 s[22:23], 0
	s_mov_b64 s[2:3], 0
                                        ; implicit-def: $vgpr4
	s_branch .LBB198_272
.LBB198_36:
	s_mov_b64 s[28:29], -1
	s_mov_b64 s[4:5], 0
	s_mov_b64 s[20:21], 0
	s_branch .LBB198_169
.LBB198_37:
	s_mov_b64 s[24:25], -1
.LBB198_38:
	s_mov_b64 s[2:3], 0
                                        ; implicit-def: $vgpr3
.LBB198_39:
	s_and_b64 vcc, exec, s[4:5]
	s_cbranch_vccz .LBB198_45
; %bb.40:
	s_cmp_eq_u32 s23, 44
	s_cbranch_scc0 .LBB198_44
; %bb.41:
	global_load_ubyte v3, v[0:1], off
	s_movk_i32 s4, 0xff
	v_mov_b32_e32 v4, 0x7f800001
	v_mov_b32_e32 v5, 0x400000
	;; [unrolled: 1-line block ×3, first 2 shown]
	s_mov_b64 s[2:3], -1
	s_mov_b64 s[24:25], 0
	s_waitcnt vmcnt(0)
	v_lshlrev_b32_e32 v7, 23, v3
	v_cmp_ne_u32_e32 vcc, s4, v3
	v_cndmask_b32_e32 v4, v4, v7, vcc
	v_cmp_ne_u32_e32 vcc, 0, v3
	v_cndmask_b32_e32 v3, v5, v4, vcc
	v_add_u32_e32 v4, 0x7fff, v3
	v_cmp_o_f32_e32 vcc, v3, v3
	v_cndmask_b32_sdwa v3, v6, v4, vcc dst_sel:DWORD dst_unused:UNUSED_PAD src0_sel:DWORD src1_sel:WORD_1
	s_branch .LBB198_45
.LBB198_42:
	s_mov_b64 s[4:5], -1
	s_mov_b64 s[22:23], 0
	s_branch .LBB198_154
.LBB198_43:
	s_mov_b64 s[28:29], -1
	s_mov_b64 s[4:5], 0
	s_mov_b64 s[20:21], 0
	s_branch .LBB198_165
.LBB198_44:
	s_mov_b64 s[24:25], -1
                                        ; implicit-def: $vgpr3
.LBB198_45:
	s_mov_b64 s[4:5], 0
.LBB198_46:
	s_and_b64 vcc, exec, s[4:5]
	s_cbranch_vccz .LBB198_50
; %bb.47:
	s_cmp_eq_u32 s23, 29
	s_cbranch_scc0 .LBB198_49
; %bb.48:
	global_load_dwordx2 v[3:4], v[0:1], off
	s_movk_i32 s4, 0x7fff
	s_mov_b64 s[2:3], -1
	s_mov_b64 s[24:25], 0
	s_waitcnt vmcnt(0)
	v_ffbh_u32_e32 v5, v4
	v_min_u32_e32 v5, 32, v5
	v_lshlrev_b64 v[3:4], v5, v[3:4]
	v_min_u32_e32 v3, 1, v3
	v_or_b32_e32 v3, v4, v3
	v_cvt_f32_u32_e32 v3, v3
	v_sub_u32_e32 v4, 32, v5
	v_ldexp_f32 v3, v3, v4
	v_bfe_u32 v4, v3, 16, 1
	v_add3_u32 v3, v3, v4, s4
	v_lshrrev_b32_e32 v3, 16, v3
	s_branch .LBB198_50
.LBB198_49:
	s_mov_b64 s[24:25], -1
                                        ; implicit-def: $vgpr3
.LBB198_50:
	s_mov_b64 s[4:5], 0
.LBB198_51:
	s_and_b64 vcc, exec, s[4:5]
	s_cbranch_vccz .LBB198_69
; %bb.52:
	s_cmp_lt_i32 s23, 27
	s_cbranch_scc1 .LBB198_55
; %bb.53:
	s_cmp_gt_i32 s23, 27
	s_cbranch_scc0 .LBB198_56
; %bb.54:
	global_load_dword v3, v[0:1], off
	s_movk_i32 s2, 0x7fff
	s_waitcnt vmcnt(0)
	v_cvt_f32_u32_e32 v3, v3
	v_bfe_u32 v4, v3, 16, 1
	v_add3_u32 v3, v3, v4, s2
	v_lshrrev_b32_e32 v3, 16, v3
	s_mov_b64 s[2:3], 0
	s_branch .LBB198_57
.LBB198_55:
	s_mov_b64 s[2:3], -1
                                        ; implicit-def: $vgpr3
	s_branch .LBB198_60
.LBB198_56:
	s_mov_b64 s[2:3], -1
                                        ; implicit-def: $vgpr3
.LBB198_57:
	s_andn2_b64 vcc, exec, s[2:3]
	s_cbranch_vccnz .LBB198_59
; %bb.58:
	global_load_ushort v3, v[0:1], off
	s_movk_i32 s2, 0x7fff
	s_waitcnt vmcnt(0)
	v_cvt_f32_u32_e32 v3, v3
	v_bfe_u32 v4, v3, 16, 1
	v_add3_u32 v3, v3, v4, s2
	v_lshrrev_b32_e32 v3, 16, v3
.LBB198_59:
	s_mov_b64 s[2:3], 0
.LBB198_60:
	s_andn2_b64 vcc, exec, s[2:3]
	s_cbranch_vccnz .LBB198_68
; %bb.61:
	global_load_ubyte v3, v[0:1], off
	s_movk_i32 s2, 0x7f
	s_waitcnt vmcnt(0)
	v_cmp_lt_i16_e32 vcc, s2, v3
	s_mov_b64 s[2:3], 0
	s_and_saveexec_b64 s[4:5], vcc
	s_xor_b64 s[4:5], exec, s[4:5]
	s_cbranch_execz .LBB198_81
; %bb.62:
	s_movk_i32 s2, 0x80
	v_cmp_eq_u16_e32 vcc, s2, v3
	s_mov_b64 s[2:3], -1
	s_and_saveexec_b64 s[20:21], vcc
; %bb.63:
	s_xor_b64 s[2:3], exec, -1
; %bb.64:
	s_or_b64 exec, exec, s[20:21]
	s_and_b64 s[2:3], s[2:3], exec
	s_or_saveexec_b64 s[4:5], s[4:5]
	v_mov_b32_e32 v4, 0x7f800001
	s_xor_b64 exec, exec, s[4:5]
	s_cbranch_execnz .LBB198_82
.LBB198_65:
	s_or_b64 exec, exec, s[4:5]
	s_and_saveexec_b64 s[4:5], s[2:3]
	s_cbranch_execz .LBB198_67
.LBB198_66:
	v_lshlrev_b32_e32 v4, 24, v3
	v_and_b32_e32 v3, 0xffff, v3
	v_and_b32_e32 v5, 7, v3
	v_ffbh_u32_e32 v7, v5
	v_min_u32_e32 v7, 32, v7
	v_subrev_u32_e32 v8, 28, v7
	v_bfe_u32 v6, v3, 3, 4
	v_lshlrev_b32_e32 v3, v8, v3
	v_sub_u32_e32 v7, 29, v7
	v_and_b32_e32 v3, 7, v3
	v_cmp_eq_u32_e32 vcc, 0, v6
	v_cndmask_b32_e32 v6, v6, v7, vcc
	v_cndmask_b32_e32 v3, v5, v3, vcc
	v_mov_b32_e32 v5, 0x3b800000
	v_lshlrev_b32_e32 v3, 20, v3
	v_and_b32_e32 v4, 0x80000000, v4
	v_lshl_add_u32 v5, v6, 23, v5
	v_or3_b32 v4, v4, v5, v3
.LBB198_67:
	s_or_b64 exec, exec, s[4:5]
	v_bfe_u32 v3, v4, 16, 1
	s_movk_i32 s2, 0x7fff
	v_add3_u32 v3, v4, v3, s2
	v_cmp_o_f32_e32 vcc, v4, v4
	v_mov_b32_e32 v4, 0x7fc0
	v_cndmask_b32_sdwa v3, v4, v3, vcc dst_sel:DWORD dst_unused:UNUSED_PAD src0_sel:DWORD src1_sel:WORD_1
.LBB198_68:
	s_mov_b64 s[2:3], -1
.LBB198_69:
	s_branch .LBB198_104
.LBB198_70:
	s_cmp_gt_i32 s23, 22
	s_cbranch_scc0 .LBB198_80
; %bb.71:
	s_cmp_lt_i32 s23, 24
	s_cbranch_scc1 .LBB198_83
; %bb.72:
	s_cmp_gt_i32 s23, 24
	s_cbranch_scc0 .LBB198_84
; %bb.73:
	global_load_ubyte v3, v[0:1], off
	s_movk_i32 s2, 0x7f
	s_waitcnt vmcnt(0)
	v_cmp_lt_i16_e32 vcc, s2, v3
	s_mov_b64 s[2:3], 0
	s_and_saveexec_b64 s[4:5], vcc
	s_xor_b64 s[4:5], exec, s[4:5]
	s_cbranch_execz .LBB198_96
; %bb.74:
	s_movk_i32 s2, 0x80
	v_cmp_eq_u16_e32 vcc, s2, v3
	s_mov_b64 s[2:3], -1
	s_and_saveexec_b64 s[20:21], vcc
; %bb.75:
	s_xor_b64 s[2:3], exec, -1
; %bb.76:
	s_or_b64 exec, exec, s[20:21]
	s_and_b64 s[2:3], s[2:3], exec
	s_or_saveexec_b64 s[4:5], s[4:5]
	v_mov_b32_e32 v4, 0x7f800001
	s_xor_b64 exec, exec, s[4:5]
	s_cbranch_execnz .LBB198_97
.LBB198_77:
	s_or_b64 exec, exec, s[4:5]
	s_and_saveexec_b64 s[4:5], s[2:3]
	s_cbranch_execz .LBB198_79
.LBB198_78:
	v_lshlrev_b32_e32 v4, 24, v3
	v_and_b32_e32 v3, 0xffff, v3
	v_and_b32_e32 v5, 3, v3
	v_ffbh_u32_e32 v7, v5
	v_min_u32_e32 v7, 32, v7
	v_subrev_u32_e32 v8, 29, v7
	v_bfe_u32 v6, v3, 2, 5
	v_lshlrev_b32_e32 v3, v8, v3
	v_sub_u32_e32 v7, 30, v7
	v_and_b32_e32 v3, 3, v3
	v_cmp_eq_u32_e32 vcc, 0, v6
	v_cndmask_b32_e32 v6, v6, v7, vcc
	v_cndmask_b32_e32 v3, v5, v3, vcc
	v_mov_b32_e32 v5, 0x37800000
	v_lshlrev_b32_e32 v3, 21, v3
	v_and_b32_e32 v4, 0x80000000, v4
	v_lshl_add_u32 v5, v6, 23, v5
	v_or3_b32 v4, v4, v5, v3
.LBB198_79:
	s_or_b64 exec, exec, s[4:5]
	v_bfe_u32 v3, v4, 16, 1
	s_movk_i32 s2, 0x7fff
	v_add3_u32 v3, v4, v3, s2
	v_cmp_o_f32_e32 vcc, v4, v4
	v_mov_b32_e32 v4, 0x7fc0
	v_cndmask_b32_sdwa v3, v4, v3, vcc dst_sel:DWORD dst_unused:UNUSED_PAD src0_sel:DWORD src1_sel:WORD_1
	s_mov_b64 s[2:3], 0
	s_branch .LBB198_85
.LBB198_80:
	s_mov_b64 s[4:5], -1
                                        ; implicit-def: $vgpr3
	s_branch .LBB198_91
.LBB198_81:
	s_or_saveexec_b64 s[4:5], s[4:5]
	v_mov_b32_e32 v4, 0x7f800001
	s_xor_b64 exec, exec, s[4:5]
	s_cbranch_execz .LBB198_65
.LBB198_82:
	v_cmp_ne_u16_e32 vcc, 0, v3
	s_andn2_b64 s[2:3], s[2:3], exec
	s_and_b64 s[20:21], vcc, exec
	v_mov_b32_e32 v4, 0
	s_or_b64 s[2:3], s[2:3], s[20:21]
	s_or_b64 exec, exec, s[4:5]
	s_and_saveexec_b64 s[4:5], s[2:3]
	s_cbranch_execnz .LBB198_66
	s_branch .LBB198_67
.LBB198_83:
	s_mov_b64 s[2:3], -1
                                        ; implicit-def: $vgpr3
	s_branch .LBB198_88
.LBB198_84:
	s_mov_b64 s[2:3], -1
                                        ; implicit-def: $vgpr3
.LBB198_85:
	s_and_b64 vcc, exec, s[2:3]
	s_cbranch_vccz .LBB198_87
; %bb.86:
	global_load_ubyte v3, v[0:1], off
	s_mov_b32 s2, 0x7f800000
	s_brev_b32 s3, 1
	s_movk_i32 s4, 0x7fff
	s_waitcnt vmcnt(0)
	v_lshlrev_b32_e32 v3, 24, v3
	v_and_b32_e32 v4, 0x7f000000, v3
	v_ffbh_u32_e32 v5, v4
	v_min_u32_e32 v5, 32, v5
	v_sub_u32_e64 v5, v5, 4 clamp
	v_lshlrev_b32_e32 v7, v5, v4
	v_lshlrev_b32_e32 v5, 23, v5
	v_lshrrev_b32_e32 v7, 4, v7
	v_add_u32_e32 v6, 0x1000000, v4
	v_sub_u32_e32 v5, v7, v5
	v_ashrrev_i32_e32 v6, 8, v6
	v_add_u32_e32 v5, 0x3c000000, v5
	v_and_or_b32 v5, v6, s2, v5
	v_cmp_ne_u32_e32 vcc, 0, v4
	v_cndmask_b32_e32 v4, 0, v5, vcc
	v_and_or_b32 v3, v3, s3, v4
	v_bfe_u32 v4, v4, 16, 1
	v_add3_u32 v4, v3, v4, s4
	v_cmp_o_f32_e32 vcc, v3, v3
	v_mov_b32_e32 v3, 0x7fc0
	v_cndmask_b32_sdwa v3, v3, v4, vcc dst_sel:DWORD dst_unused:UNUSED_PAD src0_sel:DWORD src1_sel:WORD_1
.LBB198_87:
	s_mov_b64 s[2:3], 0
.LBB198_88:
	s_andn2_b64 vcc, exec, s[2:3]
	s_cbranch_vccnz .LBB198_90
; %bb.89:
	global_load_ubyte v3, v[0:1], off
	s_movk_i32 s2, 0x7f00
	s_brev_b32 s3, 16
	s_brev_b32 s4, 1
	s_movk_i32 s5, 0x7fff
	s_waitcnt vmcnt(0)
	v_lshlrev_b16_e32 v4, 8, v3
	v_lshlrev_b32_e32 v3, 25, v3
	v_lshrrev_b32_e32 v5, 4, v3
	v_and_or_b32 v6, v4, s2, 0.5
	v_or_b32_e32 v5, 0x70000000, v5
	v_add_f32_e32 v6, -0.5, v6
	v_mul_f32_e32 v5, 0x7800000, v5
	v_cmp_gt_u32_e32 vcc, s3, v3
	v_bfe_i32 v4, v4, 0, 16
	v_cndmask_b32_e32 v3, v5, v6, vcc
	v_and_or_b32 v4, v4, s4, v3
	v_bfe_u32 v3, v3, 16, 1
	v_add3_u32 v3, v4, v3, s5
	v_cmp_o_f32_e32 vcc, v4, v4
	v_mov_b32_e32 v4, 0x7fc0
	v_cndmask_b32_sdwa v3, v4, v3, vcc dst_sel:DWORD dst_unused:UNUSED_PAD src0_sel:DWORD src1_sel:WORD_1
.LBB198_90:
	s_mov_b64 s[4:5], 0
	s_mov_b64 s[2:3], -1
.LBB198_91:
	s_andn2_b64 vcc, exec, s[4:5]
	s_cbranch_vccnz .LBB198_104
; %bb.92:
	s_cmp_gt_i32 s23, 14
	s_cbranch_scc0 .LBB198_95
; %bb.93:
	s_cmp_eq_u32 s23, 15
	s_cbranch_scc0 .LBB198_98
; %bb.94:
	global_load_ushort v3, v[0:1], off
	s_mov_b64 s[2:3], -1
	s_mov_b64 s[24:25], 0
	s_branch .LBB198_99
.LBB198_95:
	s_mov_b64 s[4:5], -1
                                        ; implicit-def: $vgpr3
	s_branch .LBB198_100
.LBB198_96:
	s_or_saveexec_b64 s[4:5], s[4:5]
	v_mov_b32_e32 v4, 0x7f800001
	s_xor_b64 exec, exec, s[4:5]
	s_cbranch_execz .LBB198_77
.LBB198_97:
	v_cmp_ne_u16_e32 vcc, 0, v3
	s_andn2_b64 s[2:3], s[2:3], exec
	s_and_b64 s[20:21], vcc, exec
	v_mov_b32_e32 v4, 0
	s_or_b64 s[2:3], s[2:3], s[20:21]
	s_or_b64 exec, exec, s[4:5]
	s_and_saveexec_b64 s[4:5], s[2:3]
	s_cbranch_execnz .LBB198_78
	s_branch .LBB198_79
.LBB198_98:
	s_mov_b64 s[24:25], -1
                                        ; implicit-def: $vgpr3
.LBB198_99:
	s_mov_b64 s[4:5], 0
.LBB198_100:
	s_and_b64 vcc, exec, s[4:5]
	s_cbranch_vccz .LBB198_104
; %bb.101:
	s_cmp_eq_u32 s23, 11
	s_cbranch_scc0 .LBB198_103
; %bb.102:
	global_load_ubyte v3, v[0:1], off
	s_mov_b64 s[2:3], -1
	s_mov_b64 s[24:25], 0
	s_waitcnt vmcnt(0)
	v_cmp_ne_u16_e32 vcc, 0, v3
	v_cndmask_b32_e64 v3, 0, 1.0, vcc
	v_lshrrev_b32_e32 v3, 16, v3
	s_branch .LBB198_104
.LBB198_103:
	s_mov_b64 s[24:25], -1
                                        ; implicit-def: $vgpr3
.LBB198_104:
	s_branch .LBB198_10
.LBB198_105:
	s_and_b32 s4, 0xffff, s22
	s_cmp_lt_i32 s4, 5
	s_cbranch_scc1 .LBB198_110
; %bb.106:
	s_cmp_lt_i32 s4, 8
	s_cbranch_scc1 .LBB198_111
; %bb.107:
	;; [unrolled: 3-line block ×3, first 2 shown]
	s_cmp_gt_i32 s4, 9
	s_cbranch_scc0 .LBB198_113
; %bb.109:
	global_load_dwordx2 v[3:4], v[0:1], off
	s_movk_i32 s2, 0x7fff
	s_waitcnt vmcnt(0)
	v_cvt_f32_f64_e32 v3, v[3:4]
	v_mov_b32_e32 v4, 0x7fc0
	v_bfe_u32 v5, v3, 16, 1
	v_cmp_o_f32_e32 vcc, v3, v3
	v_add3_u32 v3, v3, v5, s2
	v_cndmask_b32_sdwa v3, v4, v3, vcc dst_sel:DWORD dst_unused:UNUSED_PAD src0_sel:DWORD src1_sel:WORD_1
	s_mov_b64 s[2:3], 0
	s_branch .LBB198_114
.LBB198_110:
                                        ; implicit-def: $vgpr3
	s_branch .LBB198_132
.LBB198_111:
	s_mov_b64 s[2:3], -1
                                        ; implicit-def: $vgpr3
	s_branch .LBB198_120
.LBB198_112:
	s_mov_b64 s[2:3], -1
                                        ; implicit-def: $vgpr3
	s_branch .LBB198_117
.LBB198_113:
	s_mov_b64 s[2:3], -1
                                        ; implicit-def: $vgpr3
.LBB198_114:
	s_andn2_b64 vcc, exec, s[2:3]
	s_cbranch_vccnz .LBB198_116
; %bb.115:
	global_load_dword v3, v[0:1], off
	s_movk_i32 s2, 0x7fff
	v_mov_b32_e32 v4, 0x7fc0
	s_waitcnt vmcnt(0)
	v_bfe_u32 v5, v3, 16, 1
	v_cmp_o_f32_e32 vcc, v3, v3
	v_add3_u32 v3, v3, v5, s2
	v_cndmask_b32_sdwa v3, v4, v3, vcc dst_sel:DWORD dst_unused:UNUSED_PAD src0_sel:DWORD src1_sel:WORD_1
.LBB198_116:
	s_mov_b64 s[2:3], 0
.LBB198_117:
	s_andn2_b64 vcc, exec, s[2:3]
	s_cbranch_vccnz .LBB198_119
; %bb.118:
	global_load_dword v3, v[0:1], off
	s_movk_i32 s2, 0x7fff
	v_mov_b32_e32 v5, 0x7fc0
	s_waitcnt vmcnt(0)
	v_cvt_f32_f16_e32 v4, v3
	v_cmp_o_f16_e32 vcc, v3, v3
	v_bfe_u32 v3, v4, 16, 1
	v_add3_u32 v3, v4, v3, s2
	v_cndmask_b32_sdwa v3, v5, v3, vcc dst_sel:DWORD dst_unused:UNUSED_PAD src0_sel:DWORD src1_sel:WORD_1
.LBB198_119:
	s_mov_b64 s[2:3], 0
.LBB198_120:
	s_andn2_b64 vcc, exec, s[2:3]
	s_cbranch_vccnz .LBB198_131
; %bb.121:
	s_cmp_lt_i32 s4, 6
	s_cbranch_scc1 .LBB198_124
; %bb.122:
	s_cmp_gt_i32 s4, 6
	s_cbranch_scc0 .LBB198_125
; %bb.123:
	global_load_dwordx2 v[3:4], v[0:1], off
	s_movk_i32 s2, 0x7fff
	s_waitcnt vmcnt(0)
	v_cvt_f32_f64_e32 v3, v[3:4]
	v_mov_b32_e32 v4, 0x7fc0
	v_bfe_u32 v5, v3, 16, 1
	v_cmp_o_f32_e32 vcc, v3, v3
	v_add3_u32 v3, v3, v5, s2
	v_cndmask_b32_sdwa v3, v4, v3, vcc dst_sel:DWORD dst_unused:UNUSED_PAD src0_sel:DWORD src1_sel:WORD_1
	s_mov_b64 s[2:3], 0
	s_branch .LBB198_126
.LBB198_124:
	s_mov_b64 s[2:3], -1
                                        ; implicit-def: $vgpr3
	s_branch .LBB198_129
.LBB198_125:
	s_mov_b64 s[2:3], -1
                                        ; implicit-def: $vgpr3
.LBB198_126:
	s_andn2_b64 vcc, exec, s[2:3]
	s_cbranch_vccnz .LBB198_128
; %bb.127:
	global_load_dword v3, v[0:1], off
	s_movk_i32 s2, 0x7fff
	v_mov_b32_e32 v4, 0x7fc0
	s_waitcnt vmcnt(0)
	v_bfe_u32 v5, v3, 16, 1
	v_cmp_o_f32_e32 vcc, v3, v3
	v_add3_u32 v3, v3, v5, s2
	v_cndmask_b32_sdwa v3, v4, v3, vcc dst_sel:DWORD dst_unused:UNUSED_PAD src0_sel:DWORD src1_sel:WORD_1
.LBB198_128:
	s_mov_b64 s[2:3], 0
.LBB198_129:
	s_andn2_b64 vcc, exec, s[2:3]
	s_cbranch_vccnz .LBB198_131
; %bb.130:
	global_load_ushort v3, v[0:1], off
	s_movk_i32 s2, 0x7fff
	v_mov_b32_e32 v5, 0x7fc0
	s_waitcnt vmcnt(0)
	v_cvt_f32_f16_e32 v4, v3
	v_cmp_o_f16_e32 vcc, v3, v3
	v_bfe_u32 v3, v4, 16, 1
	v_add3_u32 v3, v4, v3, s2
	v_cndmask_b32_sdwa v3, v5, v3, vcc dst_sel:DWORD dst_unused:UNUSED_PAD src0_sel:DWORD src1_sel:WORD_1
.LBB198_131:
	s_cbranch_execnz .LBB198_151
.LBB198_132:
	s_cmp_lt_i32 s4, 2
	s_cbranch_scc1 .LBB198_136
; %bb.133:
	s_cmp_lt_i32 s4, 3
	s_cbranch_scc1 .LBB198_137
; %bb.134:
	s_cmp_gt_i32 s4, 3
	s_cbranch_scc0 .LBB198_138
; %bb.135:
	global_load_dwordx2 v[3:4], v[0:1], off
	s_movk_i32 s2, 0x7fff
	s_waitcnt vmcnt(0)
	v_xor_b32_e32 v6, v3, v4
	v_ffbh_i32_e32 v5, v4
	v_ashrrev_i32_e32 v6, 31, v6
	v_add_u32_e32 v5, -1, v5
	v_add_u32_e32 v6, 32, v6
	v_min_u32_e32 v5, v5, v6
	v_lshlrev_b64 v[3:4], v5, v[3:4]
	v_min_u32_e32 v3, 1, v3
	v_or_b32_e32 v3, v4, v3
	v_cvt_f32_i32_e32 v3, v3
	v_sub_u32_e32 v4, 32, v5
	v_ldexp_f32 v3, v3, v4
	v_bfe_u32 v4, v3, 16, 1
	v_add3_u32 v3, v3, v4, s2
	v_lshrrev_b32_e32 v3, 16, v3
	s_mov_b64 s[2:3], 0
	s_branch .LBB198_139
.LBB198_136:
	s_mov_b64 s[2:3], -1
                                        ; implicit-def: $vgpr3
	s_branch .LBB198_145
.LBB198_137:
	s_mov_b64 s[2:3], -1
                                        ; implicit-def: $vgpr3
	s_branch .LBB198_142
.LBB198_138:
	s_mov_b64 s[2:3], -1
                                        ; implicit-def: $vgpr3
.LBB198_139:
	s_andn2_b64 vcc, exec, s[2:3]
	s_cbranch_vccnz .LBB198_141
; %bb.140:
	global_load_dword v3, v[0:1], off
	s_movk_i32 s2, 0x7fff
	s_waitcnt vmcnt(0)
	v_cvt_f32_i32_e32 v3, v3
	v_bfe_u32 v4, v3, 16, 1
	v_add3_u32 v3, v3, v4, s2
	v_lshrrev_b32_e32 v3, 16, v3
.LBB198_141:
	s_mov_b64 s[2:3], 0
.LBB198_142:
	s_andn2_b64 vcc, exec, s[2:3]
	s_cbranch_vccnz .LBB198_144
; %bb.143:
	global_load_sshort v3, v[0:1], off
	s_movk_i32 s2, 0x7fff
	s_waitcnt vmcnt(0)
	v_cvt_f32_i32_e32 v3, v3
	v_bfe_u32 v4, v3, 16, 1
	v_add3_u32 v3, v3, v4, s2
	v_lshrrev_b32_e32 v3, 16, v3
.LBB198_144:
	s_mov_b64 s[2:3], 0
.LBB198_145:
	s_andn2_b64 vcc, exec, s[2:3]
	s_cbranch_vccnz .LBB198_151
; %bb.146:
	s_cmp_gt_i32 s4, 0
	s_cbranch_scc0 .LBB198_148
; %bb.147:
	global_load_sbyte v3, v[0:1], off
	s_movk_i32 s2, 0x7fff
	s_waitcnt vmcnt(0)
	v_cvt_f32_i32_e32 v3, v3
	v_bfe_u32 v4, v3, 16, 1
	v_add3_u32 v3, v3, v4, s2
	v_lshrrev_b32_e32 v3, 16, v3
	s_mov_b64 s[2:3], 0
	s_branch .LBB198_149
.LBB198_148:
	s_mov_b64 s[2:3], -1
                                        ; implicit-def: $vgpr3
.LBB198_149:
	s_andn2_b64 vcc, exec, s[2:3]
	s_cbranch_vccnz .LBB198_151
; %bb.150:
	global_load_ubyte v0, v[0:1], off
	s_movk_i32 s2, 0x7fff
	s_waitcnt vmcnt(0)
	v_cvt_f32_ubyte0_e32 v0, v0
	v_bfe_u32 v1, v0, 16, 1
	v_add3_u32 v0, v0, v1, s2
	v_lshrrev_b32_e32 v3, 16, v0
.LBB198_151:
	s_branch .LBB198_11
.LBB198_152:
	s_mov_b64 s[4:5], 0
	s_mov_b64 s[22:23], 0
	s_branch .LBB198_381
.LBB198_153:
	s_mov_b64 s[22:23], -1
.LBB198_154:
	s_mov_b64 s[2:3], 0
                                        ; implicit-def: $vgpr4
.LBB198_155:
	s_and_b64 vcc, exec, s[4:5]
	s_cbranch_vccz .LBB198_271
; %bb.156:
	s_cmp_eq_u32 s29, 44
	s_cbranch_scc0 .LBB198_270
; %bb.157:
	global_load_ubyte v4, v[0:1], off
	s_movk_i32 s4, 0xff
	v_mov_b32_e32 v5, 0x7f800001
	v_mov_b32_e32 v6, 0x400000
	;; [unrolled: 1-line block ×3, first 2 shown]
	s_mov_b64 s[2:3], -1
	s_mov_b64 s[22:23], 0
	s_waitcnt vmcnt(0)
	v_lshlrev_b32_e32 v8, 23, v4
	v_cmp_ne_u32_e32 vcc, s4, v4
	v_cndmask_b32_e32 v5, v5, v8, vcc
	v_cmp_ne_u32_e32 vcc, 0, v4
	v_cndmask_b32_e32 v4, v6, v5, vcc
	v_add_u32_e32 v5, 0x7fff, v4
	v_cmp_o_f32_e32 vcc, v4, v4
	v_cndmask_b32_sdwa v4, v7, v5, vcc dst_sel:DWORD dst_unused:UNUSED_PAD src0_sel:DWORD src1_sel:WORD_1
	s_branch .LBB198_271
.LBB198_158:
	s_mov_b64 s[28:29], -1
	s_mov_b64 s[4:5], 0
	s_mov_b64 s[20:21], 0
.LBB198_159:
	s_and_b64 vcc, exec, s[28:29]
	s_cbranch_vccz .LBB198_164
; %bb.160:
	s_cmp_eq_u32 s37, 44
	s_mov_b64 s[4:5], -1
	s_cbranch_scc0 .LBB198_164
; %bb.161:
	v_cndmask_b32_e64 v4, 0, 1.0, s[2:3]
	v_lshrrev_b32_e32 v3, 23, v4
	s_movk_i32 s4, 0xff
	v_cmp_ne_u32_e32 vcc, s4, v3
	v_mov_b32_e32 v5, 0xff
	s_and_saveexec_b64 s[20:21], vcc
; %bb.162:
	s_mov_b32 s4, 0x3fffff
	v_and_b32_e32 v5, 0x400000, v4
	v_and_or_b32 v4, v4, s4, v3
	v_cmp_ne_u32_e32 vcc, 0, v5
	v_cmp_ne_u32_e64 s[4:5], 0, v4
	s_and_b64 s[4:5], vcc, s[4:5]
	v_cndmask_b32_e64 v4, 0, 1, s[4:5]
	v_add_u32_e32 v5, v3, v4
; %bb.163:
	s_or_b64 exec, exec, s[20:21]
	s_mov_b64 s[20:21], -1
	s_mov_b64 s[4:5], 0
	global_store_byte v[0:1], v5, off
.LBB198_164:
	s_mov_b64 s[28:29], 0
.LBB198_165:
	s_and_b64 vcc, exec, s[28:29]
	s_cbranch_vccz .LBB198_168
; %bb.166:
	s_cmp_eq_u32 s37, 29
	s_mov_b64 s[4:5], -1
	s_cbranch_scc0 .LBB198_168
; %bb.167:
	s_mov_b32 s4, 0
	v_cndmask_b32_e64 v3, 0, 1, s[2:3]
	v_mov_b32_e32 v4, s4
	global_store_dwordx2 v[0:1], v[3:4], off
	s_mov_b64 s[20:21], -1
	s_mov_b64 s[4:5], 0
.LBB198_168:
	s_mov_b64 s[28:29], 0
.LBB198_169:
	s_and_b64 vcc, exec, s[28:29]
	s_cbranch_vccz .LBB198_185
; %bb.170:
	s_cmp_lt_i32 s37, 27
	s_mov_b64 s[20:21], -1
	s_cbranch_scc1 .LBB198_176
; %bb.171:
	s_cmp_gt_i32 s37, 27
	s_cbranch_scc0 .LBB198_173
; %bb.172:
	v_cndmask_b32_e64 v3, 0, 1, s[2:3]
	s_mov_b64 s[20:21], 0
	global_store_dword v[0:1], v3, off
.LBB198_173:
	s_andn2_b64 vcc, exec, s[20:21]
	s_cbranch_vccnz .LBB198_175
; %bb.174:
	v_cndmask_b32_e64 v3, 0, 1, s[2:3]
	global_store_short v[0:1], v3, off
.LBB198_175:
	s_mov_b64 s[20:21], 0
.LBB198_176:
	s_andn2_b64 vcc, exec, s[20:21]
	s_cbranch_vccnz .LBB198_184
; %bb.177:
	v_cndmask_b32_e64 v4, 0, 1.0, s[2:3]
	s_mov_b32 s20, 0x43800000
	v_cmp_gt_u32_e32 vcc, s20, v4
	v_mov_b32_e32 v5, 0x80
	s_and_saveexec_b64 s[20:21], vcc
	s_cbranch_execz .LBB198_183
; %bb.178:
	s_mov_b32 s28, 0x3bffffff
	v_cmp_lt_u32_e32 vcc, s28, v4
	s_mov_b64 s[28:29], 0
                                        ; implicit-def: $vgpr3
	s_and_saveexec_b64 s[34:35], vcc
	s_xor_b64 s[34:35], exec, s[34:35]
	s_cbranch_execz .LBB198_412
; %bb.179:
	v_bfe_u32 v3, v4, 20, 1
	s_mov_b32 s38, 0x487ffff
	v_add3_u32 v3, v4, v3, s38
	s_mov_b64 s[28:29], exec
	v_lshrrev_b32_e32 v3, 20, v3
                                        ; implicit-def: $vgpr4
	s_andn2_saveexec_b64 s[34:35], s[34:35]
	s_cbranch_execnz .LBB198_413
.LBB198_180:
	s_or_b64 exec, exec, s[34:35]
	v_mov_b32_e32 v5, 0
	s_and_saveexec_b64 s[34:35], s[28:29]
.LBB198_181:
	v_mov_b32_e32 v5, v3
.LBB198_182:
	s_or_b64 exec, exec, s[34:35]
.LBB198_183:
	s_or_b64 exec, exec, s[20:21]
	global_store_byte v[0:1], v5, off
.LBB198_184:
	s_mov_b64 s[20:21], -1
.LBB198_185:
	s_mov_b64 s[28:29], 0
.LBB198_186:
	s_and_b64 vcc, exec, s[28:29]
	s_cbranch_vccz .LBB198_227
; %bb.187:
	s_cmp_gt_i32 s37, 22
	s_mov_b64 s[28:29], -1
	s_cbranch_scc0 .LBB198_219
; %bb.188:
	s_cmp_lt_i32 s37, 24
	s_mov_b64 s[20:21], -1
	s_cbranch_scc1 .LBB198_208
; %bb.189:
	s_cmp_gt_i32 s37, 24
	s_cbranch_scc0 .LBB198_197
; %bb.190:
	v_cndmask_b32_e64 v4, 0, 1.0, s[2:3]
	s_mov_b32 s20, 0x47800000
	v_cmp_gt_u32_e32 vcc, s20, v4
	v_mov_b32_e32 v5, 0x80
	s_and_saveexec_b64 s[20:21], vcc
	s_cbranch_execz .LBB198_196
; %bb.191:
	s_mov_b32 s28, 0x37ffffff
	v_cmp_lt_u32_e32 vcc, s28, v4
	s_mov_b64 s[28:29], 0
                                        ; implicit-def: $vgpr3
	s_and_saveexec_b64 s[34:35], vcc
	s_xor_b64 s[34:35], exec, s[34:35]
	s_cbranch_execz .LBB198_531
; %bb.192:
	v_bfe_u32 v3, v4, 21, 1
	s_mov_b32 s38, 0x88fffff
	v_add3_u32 v3, v4, v3, s38
	s_mov_b64 s[28:29], exec
	v_lshrrev_b32_e32 v3, 21, v3
                                        ; implicit-def: $vgpr4
	s_andn2_saveexec_b64 s[34:35], s[34:35]
	s_cbranch_execnz .LBB198_532
.LBB198_193:
	s_or_b64 exec, exec, s[34:35]
	v_mov_b32_e32 v5, 0
	s_and_saveexec_b64 s[34:35], s[28:29]
.LBB198_194:
	v_mov_b32_e32 v5, v3
.LBB198_195:
	s_or_b64 exec, exec, s[34:35]
.LBB198_196:
	s_or_b64 exec, exec, s[20:21]
	s_mov_b64 s[20:21], 0
	global_store_byte v[0:1], v5, off
.LBB198_197:
	s_and_b64 vcc, exec, s[20:21]
	s_cbranch_vccz .LBB198_207
; %bb.198:
	v_cndmask_b32_e64 v3, 0, 1.0, s[2:3]
	s_mov_b32 s20, 0x43f00000
	v_cmp_gt_u32_e32 vcc, s20, v3
                                        ; implicit-def: $vgpr4
	s_and_saveexec_b64 s[20:21], vcc
	s_xor_b64 s[20:21], exec, s[20:21]
	s_cbranch_execz .LBB198_204
; %bb.199:
	s_mov_b32 s28, 0x3c7fffff
	v_cmp_lt_u32_e32 vcc, s28, v3
                                        ; implicit-def: $vgpr4
	s_and_saveexec_b64 s[28:29], vcc
	s_xor_b64 s[28:29], exec, s[28:29]
; %bb.200:
	v_bfe_u32 v4, v3, 20, 1
	s_mov_b32 s34, 0x407ffff
	v_add3_u32 v3, v3, v4, s34
	v_lshrrev_b32_e32 v4, 20, v3
	v_and_b32_e32 v3, 0xff00000, v3
	s_mov_b32 s34, 0x7f00000
	v_mov_b32_e32 v5, 0x7e
	v_cmp_ne_u32_e32 vcc, s34, v3
	v_cndmask_b32_e32 v4, v5, v4, vcc
                                        ; implicit-def: $vgpr3
; %bb.201:
	s_andn2_saveexec_b64 s[28:29], s[28:29]
; %bb.202:
	v_add_f32_e32 v4, 0x46800000, v3
; %bb.203:
	s_or_b64 exec, exec, s[28:29]
                                        ; implicit-def: $vgpr3
.LBB198_204:
	s_andn2_saveexec_b64 s[20:21], s[20:21]
; %bb.205:
	s_mov_b32 s28, 0x7f800000
	v_mov_b32_e32 v4, 0x7e
	v_mov_b32_e32 v5, 0x7f
	v_cmp_lt_u32_e32 vcc, s28, v3
	v_cndmask_b32_e32 v4, v4, v5, vcc
; %bb.206:
	s_or_b64 exec, exec, s[20:21]
	global_store_byte v[0:1], v4, off
.LBB198_207:
	s_mov_b64 s[20:21], 0
.LBB198_208:
	s_andn2_b64 vcc, exec, s[20:21]
	s_cbranch_vccnz .LBB198_218
; %bb.209:
	v_cndmask_b32_e64 v3, 0, 1.0, s[2:3]
	s_mov_b32 s20, 0x47800000
	v_cmp_gt_u32_e32 vcc, s20, v3
                                        ; implicit-def: $vgpr4
	s_and_saveexec_b64 s[20:21], vcc
	s_xor_b64 s[20:21], exec, s[20:21]
	s_cbranch_execz .LBB198_215
; %bb.210:
	s_mov_b32 s28, 0x387fffff
	v_cmp_lt_u32_e32 vcc, s28, v3
                                        ; implicit-def: $vgpr4
	s_and_saveexec_b64 s[28:29], vcc
	s_xor_b64 s[28:29], exec, s[28:29]
; %bb.211:
	v_bfe_u32 v4, v3, 21, 1
	s_mov_b32 s34, 0x80fffff
	v_add3_u32 v3, v3, v4, s34
	v_lshrrev_b32_e32 v4, 21, v3
                                        ; implicit-def: $vgpr3
; %bb.212:
	s_andn2_saveexec_b64 s[28:29], s[28:29]
; %bb.213:
	v_add_f32_e32 v4, 0x43000000, v3
; %bb.214:
	s_or_b64 exec, exec, s[28:29]
                                        ; implicit-def: $vgpr3
.LBB198_215:
	s_andn2_saveexec_b64 s[20:21], s[20:21]
; %bb.216:
	s_mov_b32 s28, 0x7f800000
	v_mov_b32_e32 v4, 0x7c
	v_mov_b32_e32 v5, 0x7f
	v_cmp_lt_u32_e32 vcc, s28, v3
	v_cndmask_b32_e32 v4, v4, v5, vcc
; %bb.217:
	s_or_b64 exec, exec, s[20:21]
	global_store_byte v[0:1], v4, off
.LBB198_218:
	s_mov_b64 s[28:29], 0
	s_mov_b64 s[20:21], -1
.LBB198_219:
	s_andn2_b64 vcc, exec, s[28:29]
	s_cbranch_vccnz .LBB198_227
; %bb.220:
	s_cmp_gt_i32 s37, 14
	s_mov_b64 s[28:29], -1
	s_cbranch_scc0 .LBB198_224
; %bb.221:
	s_cmp_eq_u32 s37, 15
	s_mov_b64 s[4:5], -1
	s_cbranch_scc0 .LBB198_223
; %bb.222:
	v_cndmask_b32_e64 v3, 0, 1.0, s[2:3]
	v_bfe_u32 v4, v3, 16, 1
	s_movk_i32 s4, 0x7fff
	v_add3_u32 v3, v3, v4, s4
	global_store_short_d16_hi v[0:1], v3, off
	s_mov_b64 s[20:21], -1
	s_mov_b64 s[4:5], 0
.LBB198_223:
	s_mov_b64 s[28:29], 0
.LBB198_224:
	s_and_b64 vcc, exec, s[28:29]
	s_cbranch_vccz .LBB198_227
; %bb.225:
	s_cmp_eq_u32 s37, 11
	s_mov_b64 s[4:5], -1
	s_cbranch_scc0 .LBB198_227
; %bb.226:
	v_cndmask_b32_e64 v3, 0, 1, s[2:3]
	s_mov_b64 s[20:21], -1
	s_mov_b64 s[4:5], 0
	global_store_byte v[0:1], v3, off
.LBB198_227:
	s_mov_b64 s[28:29], 0
.LBB198_228:
	s_and_b64 vcc, exec, s[28:29]
	s_cbranch_vccz .LBB198_267
; %bb.229:
	s_and_b32 s28, 0xffff, s36
	s_cmp_lt_i32 s28, 5
	s_mov_b64 s[20:21], -1
	s_cbranch_scc1 .LBB198_250
; %bb.230:
	s_cmp_lt_i32 s28, 8
	s_cbranch_scc1 .LBB198_240
; %bb.231:
	s_cmp_lt_i32 s28, 9
	s_cbranch_scc1 .LBB198_237
; %bb.232:
	s_cmp_gt_i32 s28, 9
	s_cbranch_scc0 .LBB198_234
; %bb.233:
	v_cndmask_b32_e64 v3, 0, 1, s[2:3]
	v_cvt_f64_u32_e32 v[3:4], v3
	v_mov_b32_e32 v5, 0
	v_mov_b32_e32 v6, v5
	s_mov_b64 s[20:21], 0
	global_store_dwordx4 v[0:1], v[3:6], off
.LBB198_234:
	s_andn2_b64 vcc, exec, s[20:21]
	s_cbranch_vccnz .LBB198_236
; %bb.235:
	v_cndmask_b32_e64 v3, 0, 1.0, s[2:3]
	v_mov_b32_e32 v4, 0
	global_store_dwordx2 v[0:1], v[3:4], off
.LBB198_236:
	s_mov_b64 s[20:21], 0
.LBB198_237:
	s_andn2_b64 vcc, exec, s[20:21]
	s_cbranch_vccnz .LBB198_239
; %bb.238:
	v_cndmask_b32_e64 v3, 0, 1.0, s[2:3]
	v_cvt_f16_f32_e32 v3, v3
	global_store_dword v[0:1], v3, off
.LBB198_239:
	s_mov_b64 s[20:21], 0
.LBB198_240:
	s_andn2_b64 vcc, exec, s[20:21]
	s_cbranch_vccnz .LBB198_249
; %bb.241:
	s_cmp_lt_i32 s28, 6
	s_mov_b64 s[20:21], -1
	s_cbranch_scc1 .LBB198_247
; %bb.242:
	s_cmp_gt_i32 s28, 6
	s_cbranch_scc0 .LBB198_244
; %bb.243:
	v_cndmask_b32_e64 v3, 0, 1, s[2:3]
	v_cvt_f64_u32_e32 v[3:4], v3
	s_mov_b64 s[20:21], 0
	global_store_dwordx2 v[0:1], v[3:4], off
.LBB198_244:
	s_andn2_b64 vcc, exec, s[20:21]
	s_cbranch_vccnz .LBB198_246
; %bb.245:
	v_cndmask_b32_e64 v3, 0, 1.0, s[2:3]
	global_store_dword v[0:1], v3, off
.LBB198_246:
	s_mov_b64 s[20:21], 0
.LBB198_247:
	s_andn2_b64 vcc, exec, s[20:21]
	s_cbranch_vccnz .LBB198_249
; %bb.248:
	v_cndmask_b32_e64 v3, 0, 1.0, s[2:3]
	v_cvt_f16_f32_e32 v3, v3
	global_store_short v[0:1], v3, off
.LBB198_249:
	s_mov_b64 s[20:21], 0
.LBB198_250:
	s_andn2_b64 vcc, exec, s[20:21]
	s_cbranch_vccnz .LBB198_266
; %bb.251:
	s_cmp_lt_i32 s28, 2
	s_mov_b64 s[20:21], -1
	s_cbranch_scc1 .LBB198_261
; %bb.252:
	s_cmp_lt_i32 s28, 3
	s_cbranch_scc1 .LBB198_258
; %bb.253:
	s_cmp_gt_i32 s28, 3
	s_cbranch_scc0 .LBB198_255
; %bb.254:
	s_mov_b32 s20, 0
	v_cndmask_b32_e64 v3, 0, 1, s[2:3]
	v_mov_b32_e32 v4, s20
	global_store_dwordx2 v[0:1], v[3:4], off
	s_mov_b64 s[20:21], 0
.LBB198_255:
	s_andn2_b64 vcc, exec, s[20:21]
	s_cbranch_vccnz .LBB198_257
; %bb.256:
	v_cndmask_b32_e64 v3, 0, 1, s[2:3]
	global_store_dword v[0:1], v3, off
.LBB198_257:
	s_mov_b64 s[20:21], 0
.LBB198_258:
	s_andn2_b64 vcc, exec, s[20:21]
	s_cbranch_vccnz .LBB198_260
; %bb.259:
	v_cndmask_b32_e64 v3, 0, 1, s[2:3]
	global_store_short v[0:1], v3, off
.LBB198_260:
	s_mov_b64 s[20:21], 0
.LBB198_261:
	s_andn2_b64 vcc, exec, s[20:21]
	s_cbranch_vccnz .LBB198_266
; %bb.262:
	s_mov_b64 s[20:21], -1
	s_cmp_gt_i32 s28, 0
	v_cndmask_b32_e64 v3, 0, 1, s[2:3]
	s_cbranch_scc0 .LBB198_264
; %bb.263:
	global_store_byte v[0:1], v3, off
	s_mov_b64 s[20:21], 0
.LBB198_264:
	s_andn2_b64 vcc, exec, s[20:21]
	s_cbranch_vccnz .LBB198_266
; %bb.265:
	global_store_byte v[0:1], v3, off
.LBB198_266:
	s_mov_b64 s[20:21], -1
.LBB198_267:
	s_andn2_b64 vcc, exec, s[20:21]
	s_cbranch_vccnz .LBB198_269
; %bb.268:
	v_add_u32_e32 v2, 0x80, v2
	s_mov_b64 s[2:3], -1
	s_branch .LBB198_382
.LBB198_269:
	s_mov_b64 s[2:3], 0
                                        ; implicit-def: $vgpr2
	s_branch .LBB198_382
.LBB198_270:
	s_mov_b64 s[22:23], -1
                                        ; implicit-def: $vgpr4
.LBB198_271:
	s_mov_b64 s[4:5], 0
.LBB198_272:
	s_and_b64 vcc, exec, s[4:5]
	s_cbranch_vccz .LBB198_276
; %bb.273:
	s_cmp_eq_u32 s29, 29
	s_cbranch_scc0 .LBB198_275
; %bb.274:
	global_load_dwordx2 v[4:5], v[0:1], off
	s_movk_i32 s4, 0x7fff
	s_mov_b64 s[2:3], -1
	s_mov_b64 s[22:23], 0
	s_waitcnt vmcnt(0)
	v_ffbh_u32_e32 v6, v5
	v_min_u32_e32 v6, 32, v6
	v_lshlrev_b64 v[4:5], v6, v[4:5]
	v_min_u32_e32 v4, 1, v4
	v_or_b32_e32 v4, v5, v4
	v_cvt_f32_u32_e32 v4, v4
	v_sub_u32_e32 v5, 32, v6
	v_ldexp_f32 v4, v4, v5
	v_bfe_u32 v5, v4, 16, 1
	v_add3_u32 v4, v4, v5, s4
	v_lshrrev_b32_e32 v4, 16, v4
	s_branch .LBB198_276
.LBB198_275:
	s_mov_b64 s[22:23], -1
                                        ; implicit-def: $vgpr4
.LBB198_276:
	s_mov_b64 s[4:5], 0
.LBB198_277:
	s_and_b64 vcc, exec, s[4:5]
	s_cbranch_vccz .LBB198_295
; %bb.278:
	s_cmp_lt_i32 s29, 27
	s_cbranch_scc1 .LBB198_281
; %bb.279:
	s_cmp_gt_i32 s29, 27
	s_cbranch_scc0 .LBB198_282
; %bb.280:
	global_load_dword v4, v[0:1], off
	s_movk_i32 s2, 0x7fff
	s_waitcnt vmcnt(0)
	v_cvt_f32_u32_e32 v4, v4
	v_bfe_u32 v5, v4, 16, 1
	v_add3_u32 v4, v4, v5, s2
	v_lshrrev_b32_e32 v4, 16, v4
	s_mov_b64 s[2:3], 0
	s_branch .LBB198_283
.LBB198_281:
	s_mov_b64 s[2:3], -1
                                        ; implicit-def: $vgpr4
	s_branch .LBB198_286
.LBB198_282:
	s_mov_b64 s[2:3], -1
                                        ; implicit-def: $vgpr4
.LBB198_283:
	s_andn2_b64 vcc, exec, s[2:3]
	s_cbranch_vccnz .LBB198_285
; %bb.284:
	global_load_ushort v4, v[0:1], off
	s_movk_i32 s2, 0x7fff
	s_waitcnt vmcnt(0)
	v_cvt_f32_u32_e32 v4, v4
	v_bfe_u32 v5, v4, 16, 1
	v_add3_u32 v4, v4, v5, s2
	v_lshrrev_b32_e32 v4, 16, v4
.LBB198_285:
	s_mov_b64 s[2:3], 0
.LBB198_286:
	s_andn2_b64 vcc, exec, s[2:3]
	s_cbranch_vccnz .LBB198_294
; %bb.287:
	global_load_ubyte v4, v[0:1], off
	s_movk_i32 s2, 0x7f
	s_waitcnt vmcnt(0)
	v_cmp_lt_i16_e32 vcc, s2, v4
	s_mov_b64 s[2:3], 0
	s_and_saveexec_b64 s[4:5], vcc
	s_xor_b64 s[4:5], exec, s[4:5]
	s_cbranch_execz .LBB198_308
; %bb.288:
	s_movk_i32 s2, 0x80
	v_cmp_eq_u16_e32 vcc, s2, v4
	s_mov_b64 s[2:3], -1
	s_and_saveexec_b64 s[20:21], vcc
; %bb.289:
	s_xor_b64 s[2:3], exec, -1
; %bb.290:
	s_or_b64 exec, exec, s[20:21]
	s_and_b64 s[2:3], s[2:3], exec
	s_or_saveexec_b64 s[4:5], s[4:5]
	v_mov_b32_e32 v5, 0x7f800001
	s_xor_b64 exec, exec, s[4:5]
	s_cbranch_execnz .LBB198_309
.LBB198_291:
	s_or_b64 exec, exec, s[4:5]
	s_and_saveexec_b64 s[4:5], s[2:3]
	s_cbranch_execz .LBB198_293
.LBB198_292:
	v_lshlrev_b32_e32 v5, 24, v4
	v_and_b32_e32 v4, 0xffff, v4
	v_and_b32_e32 v6, 7, v4
	v_ffbh_u32_e32 v8, v6
	v_min_u32_e32 v8, 32, v8
	v_subrev_u32_e32 v9, 28, v8
	v_bfe_u32 v7, v4, 3, 4
	v_lshlrev_b32_e32 v4, v9, v4
	v_sub_u32_e32 v8, 29, v8
	v_and_b32_e32 v4, 7, v4
	v_cmp_eq_u32_e32 vcc, 0, v7
	v_cndmask_b32_e32 v7, v7, v8, vcc
	v_cndmask_b32_e32 v4, v6, v4, vcc
	v_mov_b32_e32 v6, 0x3b800000
	v_lshlrev_b32_e32 v4, 20, v4
	v_and_b32_e32 v5, 0x80000000, v5
	v_lshl_add_u32 v6, v7, 23, v6
	v_or3_b32 v5, v5, v6, v4
.LBB198_293:
	s_or_b64 exec, exec, s[4:5]
	v_bfe_u32 v4, v5, 16, 1
	s_movk_i32 s2, 0x7fff
	v_add3_u32 v4, v5, v4, s2
	v_cmp_o_f32_e32 vcc, v5, v5
	v_mov_b32_e32 v5, 0x7fc0
	v_cndmask_b32_sdwa v4, v5, v4, vcc dst_sel:DWORD dst_unused:UNUSED_PAD src0_sel:DWORD src1_sel:WORD_1
.LBB198_294:
	s_mov_b64 s[2:3], -1
.LBB198_295:
	s_mov_b64 s[4:5], 0
.LBB198_296:
	s_and_b64 vcc, exec, s[4:5]
	s_cbranch_vccz .LBB198_331
; %bb.297:
	s_cmp_gt_i32 s29, 22
	s_cbranch_scc0 .LBB198_307
; %bb.298:
	s_cmp_lt_i32 s29, 24
	s_cbranch_scc1 .LBB198_310
; %bb.299:
	s_cmp_gt_i32 s29, 24
	s_cbranch_scc0 .LBB198_311
; %bb.300:
	global_load_ubyte v4, v[0:1], off
	s_movk_i32 s2, 0x7f
	s_waitcnt vmcnt(0)
	v_cmp_lt_i16_e32 vcc, s2, v4
	s_mov_b64 s[2:3], 0
	s_and_saveexec_b64 s[4:5], vcc
	s_xor_b64 s[4:5], exec, s[4:5]
	s_cbranch_execz .LBB198_323
; %bb.301:
	s_movk_i32 s2, 0x80
	v_cmp_eq_u16_e32 vcc, s2, v4
	s_mov_b64 s[2:3], -1
	s_and_saveexec_b64 s[20:21], vcc
; %bb.302:
	s_xor_b64 s[2:3], exec, -1
; %bb.303:
	s_or_b64 exec, exec, s[20:21]
	s_and_b64 s[2:3], s[2:3], exec
	s_or_saveexec_b64 s[4:5], s[4:5]
	v_mov_b32_e32 v5, 0x7f800001
	s_xor_b64 exec, exec, s[4:5]
	s_cbranch_execnz .LBB198_324
.LBB198_304:
	s_or_b64 exec, exec, s[4:5]
	s_and_saveexec_b64 s[4:5], s[2:3]
	s_cbranch_execz .LBB198_306
.LBB198_305:
	v_lshlrev_b32_e32 v5, 24, v4
	v_and_b32_e32 v4, 0xffff, v4
	v_and_b32_e32 v6, 3, v4
	v_ffbh_u32_e32 v8, v6
	v_min_u32_e32 v8, 32, v8
	v_subrev_u32_e32 v9, 29, v8
	v_bfe_u32 v7, v4, 2, 5
	v_lshlrev_b32_e32 v4, v9, v4
	v_sub_u32_e32 v8, 30, v8
	v_and_b32_e32 v4, 3, v4
	v_cmp_eq_u32_e32 vcc, 0, v7
	v_cndmask_b32_e32 v7, v7, v8, vcc
	v_cndmask_b32_e32 v4, v6, v4, vcc
	v_mov_b32_e32 v6, 0x37800000
	v_lshlrev_b32_e32 v4, 21, v4
	v_and_b32_e32 v5, 0x80000000, v5
	v_lshl_add_u32 v6, v7, 23, v6
	v_or3_b32 v5, v5, v6, v4
.LBB198_306:
	s_or_b64 exec, exec, s[4:5]
	v_bfe_u32 v4, v5, 16, 1
	s_movk_i32 s2, 0x7fff
	v_add3_u32 v4, v5, v4, s2
	v_cmp_o_f32_e32 vcc, v5, v5
	v_mov_b32_e32 v5, 0x7fc0
	v_cndmask_b32_sdwa v4, v5, v4, vcc dst_sel:DWORD dst_unused:UNUSED_PAD src0_sel:DWORD src1_sel:WORD_1
	s_mov_b64 s[2:3], 0
	s_branch .LBB198_312
.LBB198_307:
	s_mov_b64 s[4:5], -1
                                        ; implicit-def: $vgpr4
	s_branch .LBB198_318
.LBB198_308:
	s_or_saveexec_b64 s[4:5], s[4:5]
	v_mov_b32_e32 v5, 0x7f800001
	s_xor_b64 exec, exec, s[4:5]
	s_cbranch_execz .LBB198_291
.LBB198_309:
	v_cmp_ne_u16_e32 vcc, 0, v4
	s_andn2_b64 s[2:3], s[2:3], exec
	s_and_b64 s[20:21], vcc, exec
	v_mov_b32_e32 v5, 0
	s_or_b64 s[2:3], s[2:3], s[20:21]
	s_or_b64 exec, exec, s[4:5]
	s_and_saveexec_b64 s[4:5], s[2:3]
	s_cbranch_execnz .LBB198_292
	s_branch .LBB198_293
.LBB198_310:
	s_mov_b64 s[2:3], -1
                                        ; implicit-def: $vgpr4
	s_branch .LBB198_315
.LBB198_311:
	s_mov_b64 s[2:3], -1
                                        ; implicit-def: $vgpr4
.LBB198_312:
	s_and_b64 vcc, exec, s[2:3]
	s_cbranch_vccz .LBB198_314
; %bb.313:
	global_load_ubyte v4, v[0:1], off
	s_mov_b32 s2, 0x7f800000
	s_brev_b32 s3, 1
	s_movk_i32 s4, 0x7fff
	s_waitcnt vmcnt(0)
	v_lshlrev_b32_e32 v4, 24, v4
	v_and_b32_e32 v5, 0x7f000000, v4
	v_ffbh_u32_e32 v6, v5
	v_min_u32_e32 v6, 32, v6
	v_sub_u32_e64 v6, v6, 4 clamp
	v_lshlrev_b32_e32 v8, v6, v5
	v_lshlrev_b32_e32 v6, 23, v6
	v_lshrrev_b32_e32 v8, 4, v8
	v_add_u32_e32 v7, 0x1000000, v5
	v_sub_u32_e32 v6, v8, v6
	v_ashrrev_i32_e32 v7, 8, v7
	v_add_u32_e32 v6, 0x3c000000, v6
	v_and_or_b32 v6, v7, s2, v6
	v_cmp_ne_u32_e32 vcc, 0, v5
	v_cndmask_b32_e32 v5, 0, v6, vcc
	v_and_or_b32 v4, v4, s3, v5
	v_bfe_u32 v5, v5, 16, 1
	v_add3_u32 v5, v4, v5, s4
	v_cmp_o_f32_e32 vcc, v4, v4
	v_mov_b32_e32 v4, 0x7fc0
	v_cndmask_b32_sdwa v4, v4, v5, vcc dst_sel:DWORD dst_unused:UNUSED_PAD src0_sel:DWORD src1_sel:WORD_1
.LBB198_314:
	s_mov_b64 s[2:3], 0
.LBB198_315:
	s_andn2_b64 vcc, exec, s[2:3]
	s_cbranch_vccnz .LBB198_317
; %bb.316:
	global_load_ubyte v4, v[0:1], off
	s_movk_i32 s2, 0x7f00
	s_brev_b32 s3, 16
	s_brev_b32 s4, 1
	s_movk_i32 s5, 0x7fff
	s_waitcnt vmcnt(0)
	v_lshlrev_b16_e32 v5, 8, v4
	v_lshlrev_b32_e32 v4, 25, v4
	v_lshrrev_b32_e32 v6, 4, v4
	v_and_or_b32 v7, v5, s2, 0.5
	v_or_b32_e32 v6, 0x70000000, v6
	v_add_f32_e32 v7, -0.5, v7
	v_mul_f32_e32 v6, 0x7800000, v6
	v_cmp_gt_u32_e32 vcc, s3, v4
	v_bfe_i32 v5, v5, 0, 16
	v_cndmask_b32_e32 v4, v6, v7, vcc
	v_and_or_b32 v5, v5, s4, v4
	v_bfe_u32 v4, v4, 16, 1
	v_add3_u32 v4, v5, v4, s5
	v_cmp_o_f32_e32 vcc, v5, v5
	v_mov_b32_e32 v5, 0x7fc0
	v_cndmask_b32_sdwa v4, v5, v4, vcc dst_sel:DWORD dst_unused:UNUSED_PAD src0_sel:DWORD src1_sel:WORD_1
.LBB198_317:
	s_mov_b64 s[4:5], 0
	s_mov_b64 s[2:3], -1
.LBB198_318:
	s_andn2_b64 vcc, exec, s[4:5]
	s_cbranch_vccnz .LBB198_331
; %bb.319:
	s_cmp_gt_i32 s29, 14
	s_cbranch_scc0 .LBB198_322
; %bb.320:
	s_cmp_eq_u32 s29, 15
	s_cbranch_scc0 .LBB198_325
; %bb.321:
	global_load_ushort v4, v[0:1], off
	s_mov_b64 s[2:3], -1
	s_mov_b64 s[22:23], 0
	s_branch .LBB198_326
.LBB198_322:
	s_mov_b64 s[4:5], -1
                                        ; implicit-def: $vgpr4
	s_branch .LBB198_327
.LBB198_323:
	s_or_saveexec_b64 s[4:5], s[4:5]
	v_mov_b32_e32 v5, 0x7f800001
	s_xor_b64 exec, exec, s[4:5]
	s_cbranch_execz .LBB198_304
.LBB198_324:
	v_cmp_ne_u16_e32 vcc, 0, v4
	s_andn2_b64 s[2:3], s[2:3], exec
	s_and_b64 s[20:21], vcc, exec
	v_mov_b32_e32 v5, 0
	s_or_b64 s[2:3], s[2:3], s[20:21]
	s_or_b64 exec, exec, s[4:5]
	s_and_saveexec_b64 s[4:5], s[2:3]
	s_cbranch_execnz .LBB198_305
	s_branch .LBB198_306
.LBB198_325:
	s_mov_b64 s[22:23], -1
                                        ; implicit-def: $vgpr4
.LBB198_326:
	s_mov_b64 s[4:5], 0
.LBB198_327:
	s_and_b64 vcc, exec, s[4:5]
	s_cbranch_vccz .LBB198_331
; %bb.328:
	s_cmp_eq_u32 s29, 11
	s_cbranch_scc0 .LBB198_330
; %bb.329:
	global_load_ubyte v4, v[0:1], off
	s_mov_b64 s[2:3], -1
	s_mov_b64 s[22:23], 0
	s_waitcnt vmcnt(0)
	v_cmp_ne_u16_e32 vcc, 0, v4
	v_cndmask_b32_e64 v4, 0, 1.0, vcc
	v_lshrrev_b32_e32 v4, 16, v4
	s_branch .LBB198_331
.LBB198_330:
	s_mov_b64 s[22:23], -1
                                        ; implicit-def: $vgpr4
.LBB198_331:
	s_branch .LBB198_20
.LBB198_332:
	s_and_b32 s4, 0xffff, s28
	s_cmp_lt_i32 s4, 5
	s_cbranch_scc1 .LBB198_337
; %bb.333:
	s_cmp_lt_i32 s4, 8
	s_cbranch_scc1 .LBB198_338
; %bb.334:
	;; [unrolled: 3-line block ×3, first 2 shown]
	s_cmp_gt_i32 s4, 9
	s_cbranch_scc0 .LBB198_340
; %bb.336:
	global_load_dwordx2 v[4:5], v[0:1], off
	s_movk_i32 s2, 0x7fff
	s_waitcnt vmcnt(0)
	v_cvt_f32_f64_e32 v4, v[4:5]
	v_mov_b32_e32 v5, 0x7fc0
	v_bfe_u32 v6, v4, 16, 1
	v_cmp_o_f32_e32 vcc, v4, v4
	v_add3_u32 v4, v4, v6, s2
	v_cndmask_b32_sdwa v4, v5, v4, vcc dst_sel:DWORD dst_unused:UNUSED_PAD src0_sel:DWORD src1_sel:WORD_1
	s_mov_b64 s[2:3], 0
	s_branch .LBB198_341
.LBB198_337:
	s_mov_b64 s[2:3], -1
                                        ; implicit-def: $vgpr4
	s_branch .LBB198_359
.LBB198_338:
	s_mov_b64 s[2:3], -1
                                        ; implicit-def: $vgpr4
	s_branch .LBB198_347
.LBB198_339:
	s_mov_b64 s[2:3], -1
                                        ; implicit-def: $vgpr4
	s_branch .LBB198_344
.LBB198_340:
	s_mov_b64 s[2:3], -1
                                        ; implicit-def: $vgpr4
.LBB198_341:
	s_andn2_b64 vcc, exec, s[2:3]
	s_cbranch_vccnz .LBB198_343
; %bb.342:
	global_load_dword v4, v[0:1], off
	s_movk_i32 s2, 0x7fff
	v_mov_b32_e32 v5, 0x7fc0
	s_waitcnt vmcnt(0)
	v_bfe_u32 v6, v4, 16, 1
	v_cmp_o_f32_e32 vcc, v4, v4
	v_add3_u32 v4, v4, v6, s2
	v_cndmask_b32_sdwa v4, v5, v4, vcc dst_sel:DWORD dst_unused:UNUSED_PAD src0_sel:DWORD src1_sel:WORD_1
.LBB198_343:
	s_mov_b64 s[2:3], 0
.LBB198_344:
	s_andn2_b64 vcc, exec, s[2:3]
	s_cbranch_vccnz .LBB198_346
; %bb.345:
	global_load_dword v4, v[0:1], off
	s_movk_i32 s2, 0x7fff
	v_mov_b32_e32 v6, 0x7fc0
	s_waitcnt vmcnt(0)
	v_cvt_f32_f16_e32 v5, v4
	v_cmp_o_f16_e32 vcc, v4, v4
	v_bfe_u32 v4, v5, 16, 1
	v_add3_u32 v4, v5, v4, s2
	v_cndmask_b32_sdwa v4, v6, v4, vcc dst_sel:DWORD dst_unused:UNUSED_PAD src0_sel:DWORD src1_sel:WORD_1
.LBB198_346:
	s_mov_b64 s[2:3], 0
.LBB198_347:
	s_andn2_b64 vcc, exec, s[2:3]
	s_cbranch_vccnz .LBB198_358
; %bb.348:
	s_cmp_lt_i32 s4, 6
	s_cbranch_scc1 .LBB198_351
; %bb.349:
	s_cmp_gt_i32 s4, 6
	s_cbranch_scc0 .LBB198_352
; %bb.350:
	global_load_dwordx2 v[4:5], v[0:1], off
	s_movk_i32 s2, 0x7fff
	s_waitcnt vmcnt(0)
	v_cvt_f32_f64_e32 v4, v[4:5]
	v_mov_b32_e32 v5, 0x7fc0
	v_bfe_u32 v6, v4, 16, 1
	v_cmp_o_f32_e32 vcc, v4, v4
	v_add3_u32 v4, v4, v6, s2
	v_cndmask_b32_sdwa v4, v5, v4, vcc dst_sel:DWORD dst_unused:UNUSED_PAD src0_sel:DWORD src1_sel:WORD_1
	s_mov_b64 s[2:3], 0
	s_branch .LBB198_353
.LBB198_351:
	s_mov_b64 s[2:3], -1
                                        ; implicit-def: $vgpr4
	s_branch .LBB198_356
.LBB198_352:
	s_mov_b64 s[2:3], -1
                                        ; implicit-def: $vgpr4
.LBB198_353:
	s_andn2_b64 vcc, exec, s[2:3]
	s_cbranch_vccnz .LBB198_355
; %bb.354:
	global_load_dword v4, v[0:1], off
	s_movk_i32 s2, 0x7fff
	v_mov_b32_e32 v5, 0x7fc0
	s_waitcnt vmcnt(0)
	v_bfe_u32 v6, v4, 16, 1
	v_cmp_o_f32_e32 vcc, v4, v4
	v_add3_u32 v4, v4, v6, s2
	v_cndmask_b32_sdwa v4, v5, v4, vcc dst_sel:DWORD dst_unused:UNUSED_PAD src0_sel:DWORD src1_sel:WORD_1
.LBB198_355:
	s_mov_b64 s[2:3], 0
.LBB198_356:
	s_andn2_b64 vcc, exec, s[2:3]
	s_cbranch_vccnz .LBB198_358
; %bb.357:
	global_load_ushort v4, v[0:1], off
	s_movk_i32 s2, 0x7fff
	v_mov_b32_e32 v6, 0x7fc0
	s_waitcnt vmcnt(0)
	v_cvt_f32_f16_e32 v5, v4
	v_cmp_o_f16_e32 vcc, v4, v4
	v_bfe_u32 v4, v5, 16, 1
	v_add3_u32 v4, v5, v4, s2
	v_cndmask_b32_sdwa v4, v6, v4, vcc dst_sel:DWORD dst_unused:UNUSED_PAD src0_sel:DWORD src1_sel:WORD_1
.LBB198_358:
	s_mov_b64 s[2:3], 0
.LBB198_359:
	s_andn2_b64 vcc, exec, s[2:3]
	s_cbranch_vccnz .LBB198_379
; %bb.360:
	s_cmp_lt_i32 s4, 2
	s_cbranch_scc1 .LBB198_364
; %bb.361:
	s_cmp_lt_i32 s4, 3
	s_cbranch_scc1 .LBB198_365
; %bb.362:
	s_cmp_gt_i32 s4, 3
	s_cbranch_scc0 .LBB198_366
; %bb.363:
	global_load_dwordx2 v[4:5], v[0:1], off
	s_movk_i32 s2, 0x7fff
	s_waitcnt vmcnt(0)
	v_xor_b32_e32 v7, v4, v5
	v_ffbh_i32_e32 v6, v5
	v_ashrrev_i32_e32 v7, 31, v7
	v_add_u32_e32 v6, -1, v6
	v_add_u32_e32 v7, 32, v7
	v_min_u32_e32 v6, v6, v7
	v_lshlrev_b64 v[4:5], v6, v[4:5]
	v_min_u32_e32 v4, 1, v4
	v_or_b32_e32 v4, v5, v4
	v_cvt_f32_i32_e32 v4, v4
	v_sub_u32_e32 v5, 32, v6
	v_ldexp_f32 v4, v4, v5
	v_bfe_u32 v5, v4, 16, 1
	v_add3_u32 v4, v4, v5, s2
	v_lshrrev_b32_e32 v4, 16, v4
	s_mov_b64 s[2:3], 0
	s_branch .LBB198_367
.LBB198_364:
	s_mov_b64 s[2:3], -1
                                        ; implicit-def: $vgpr4
	s_branch .LBB198_373
.LBB198_365:
	s_mov_b64 s[2:3], -1
                                        ; implicit-def: $vgpr4
	s_branch .LBB198_370
.LBB198_366:
	s_mov_b64 s[2:3], -1
                                        ; implicit-def: $vgpr4
.LBB198_367:
	s_andn2_b64 vcc, exec, s[2:3]
	s_cbranch_vccnz .LBB198_369
; %bb.368:
	global_load_dword v4, v[0:1], off
	s_movk_i32 s2, 0x7fff
	s_waitcnt vmcnt(0)
	v_cvt_f32_i32_e32 v4, v4
	v_bfe_u32 v5, v4, 16, 1
	v_add3_u32 v4, v4, v5, s2
	v_lshrrev_b32_e32 v4, 16, v4
.LBB198_369:
	s_mov_b64 s[2:3], 0
.LBB198_370:
	s_andn2_b64 vcc, exec, s[2:3]
	s_cbranch_vccnz .LBB198_372
; %bb.371:
	global_load_sshort v4, v[0:1], off
	s_movk_i32 s2, 0x7fff
	s_waitcnt vmcnt(0)
	v_cvt_f32_i32_e32 v4, v4
	v_bfe_u32 v5, v4, 16, 1
	v_add3_u32 v4, v4, v5, s2
	v_lshrrev_b32_e32 v4, 16, v4
.LBB198_372:
	s_mov_b64 s[2:3], 0
.LBB198_373:
	s_andn2_b64 vcc, exec, s[2:3]
	s_cbranch_vccnz .LBB198_379
; %bb.374:
	s_cmp_gt_i32 s4, 0
	s_cbranch_scc0 .LBB198_376
; %bb.375:
	global_load_sbyte v4, v[0:1], off
	s_movk_i32 s2, 0x7fff
	s_waitcnt vmcnt(0)
	v_cvt_f32_i32_e32 v4, v4
	v_bfe_u32 v5, v4, 16, 1
	v_add3_u32 v4, v4, v5, s2
	v_lshrrev_b32_e32 v4, 16, v4
	s_mov_b64 s[2:3], 0
	s_branch .LBB198_377
.LBB198_376:
	s_mov_b64 s[2:3], -1
                                        ; implicit-def: $vgpr4
.LBB198_377:
	s_andn2_b64 vcc, exec, s[2:3]
	s_cbranch_vccnz .LBB198_379
; %bb.378:
	global_load_ubyte v0, v[0:1], off
	s_movk_i32 s2, 0x7fff
	s_waitcnt vmcnt(0)
	v_cvt_f32_ubyte0_e32 v0, v0
	v_bfe_u32 v1, v0, 16, 1
	v_add3_u32 v0, v0, v1, s2
	v_lshrrev_b32_e32 v4, 16, v0
.LBB198_379:
	s_branch .LBB198_21
.LBB198_380:
	s_mov_b64 s[4:5], 0
.LBB198_381:
                                        ; implicit-def: $vgpr2
	s_mov_b64 s[2:3], 0
.LBB198_382:
	s_and_b64 s[20:21], s[4:5], exec
	s_and_b64 s[22:23], s[22:23], exec
	;; [unrolled: 1-line block ×3, first 2 shown]
	s_orn2_b64 s[2:3], s[2:3], exec
.LBB198_383:
	s_or_b64 exec, exec, s[26:27]
	s_mov_b64 s[36:37], 0
	s_mov_b64 s[34:35], 0
                                        ; implicit-def: $sgpr58
                                        ; implicit-def: $vgpr0_vgpr1
                                        ; implicit-def: $vgpr3
	s_and_saveexec_b64 s[26:27], s[2:3]
	s_cbranch_execz .LBB198_392
; %bb.384:
	v_cmp_gt_i32_e32 vcc, s50, v2
	s_mov_b64 s[2:3], -1
	s_mov_b64 s[28:29], s[24:25]
	s_mov_b64 s[30:31], s[22:23]
	;; [unrolled: 1-line block ×3, first 2 shown]
	s_and_saveexec_b64 s[36:37], vcc
	s_cbranch_execz .LBB198_773
; %bb.385:
	v_mul_lo_u32 v0, v2, s13
	v_mov_b32_e32 v1, s11
	s_and_b32 s34, s57, 0xff
	s_cmp_lt_i32 s34, 11
	s_waitcnt vmcnt(0)
	v_ashrrev_i32_e32 v3, 31, v0
	v_add_co_u32_e32 v0, vcc, s10, v0
	v_addc_co_u32_e32 v1, vcc, v1, v3, vcc
	s_cbranch_scc1 .LBB198_395
; %bb.386:
	s_and_b32 s35, 0xffff, s34
	s_cmp_gt_i32 s35, 25
	s_cbranch_scc0 .LBB198_404
; %bb.387:
	s_cmp_gt_i32 s35, 28
	s_cbranch_scc0 .LBB198_406
; %bb.388:
	;; [unrolled: 3-line block ×4, first 2 shown]
	s_cmp_eq_u32 s35, 46
	s_mov_b64 s[4:5], 0
	s_cbranch_scc0 .LBB198_414
; %bb.391:
	global_load_dword v3, v[0:1], off
	s_mov_b64 s[28:29], 0
	s_branch .LBB198_415
.LBB198_392:
	s_or_b64 exec, exec, s[26:27]
	s_mov_b64 s[2:3], 0
	s_and_saveexec_b64 s[4:5], s[24:25]
	s_cbranch_execnz .LBB198_1248
.LBB198_393:
	s_or_b64 exec, exec, s[4:5]
	s_and_saveexec_b64 s[4:5], s[30:31]
	s_xor_b64 s[4:5], exec, s[4:5]
	s_cbranch_execz .LBB198_1249
.LBB198_394:
	global_load_ubyte v3, v[0:1], off
	s_or_b64 s[34:35], s[34:35], exec
	s_waitcnt vmcnt(0)
	v_cmp_ne_u16_e32 vcc, 0, v3
	v_cndmask_b32_e64 v3, 0, 1.0, vcc
	v_lshrrev_b32_e32 v3, 16, v3
	s_or_b64 exec, exec, s[4:5]
	s_and_saveexec_b64 s[4:5], s[36:37]
	s_cbranch_execz .LBB198_1295
	s_branch .LBB198_1250
.LBB198_395:
	s_mov_b64 s[2:3], 0
                                        ; implicit-def: $vgpr3
	s_mov_b64 s[28:29], s[24:25]
	s_cbranch_execnz .LBB198_481
.LBB198_396:
	s_andn2_b64 vcc, exec, s[2:3]
	s_cbranch_vccnz .LBB198_529
.LBB198_397:
	v_mul_lo_u32 v0, v2, s14
	v_mov_b32_e32 v1, s17
	s_and_b32 s38, s56, 0xff
	s_cmp_lt_i32 s38, 11
	v_ashrrev_i32_e32 v4, 31, v0
	v_add_co_u32_e32 v0, vcc, s16, v0
	v_addc_co_u32_e32 v1, vcc, v1, v4, vcc
	s_cbranch_scc1 .LBB198_405
; %bb.398:
	s_and_b32 s39, 0xffff, s38
	s_cmp_gt_i32 s39, 25
	s_cbranch_scc0 .LBB198_407
; %bb.399:
	s_cmp_gt_i32 s39, 28
	s_cbranch_scc0 .LBB198_409
; %bb.400:
	;; [unrolled: 3-line block ×4, first 2 shown]
	s_cmp_eq_u32 s39, 46
	s_mov_b64 s[4:5], 0
	s_cbranch_scc0 .LBB198_533
; %bb.403:
	global_load_dword v4, v[0:1], off
	s_mov_b64 s[2:3], -1
	s_mov_b64 s[30:31], 0
	s_branch .LBB198_534
.LBB198_404:
	s_mov_b64 s[4:5], -1
	s_mov_b64 s[2:3], 0
	s_mov_b64 s[28:29], s[24:25]
                                        ; implicit-def: $vgpr3
	s_branch .LBB198_445
.LBB198_405:
	s_mov_b64 s[4:5], -1
	s_mov_b64 s[2:3], 0
                                        ; implicit-def: $vgpr4
	s_mov_b64 s[30:31], s[22:23]
	s_branch .LBB198_599
.LBB198_406:
	s_mov_b64 s[4:5], -1
	s_mov_b64 s[2:3], 0
	s_mov_b64 s[28:29], s[24:25]
                                        ; implicit-def: $vgpr3
	s_branch .LBB198_426
.LBB198_407:
	s_mov_b64 s[4:5], -1
	s_mov_b64 s[2:3], 0
	s_mov_b64 s[30:31], s[22:23]
                                        ; implicit-def: $vgpr4
	s_branch .LBB198_563
.LBB198_408:
	s_mov_b64 s[4:5], -1
	s_mov_b64 s[2:3], 0
	s_mov_b64 s[28:29], s[24:25]
                                        ; implicit-def: $vgpr3
	s_branch .LBB198_421
.LBB198_409:
	s_mov_b64 s[4:5], -1
	s_mov_b64 s[2:3], 0
	s_mov_b64 s[30:31], s[22:23]
                                        ; implicit-def: $vgpr4
	s_branch .LBB198_544
.LBB198_410:
	s_mov_b64 s[4:5], -1
	s_mov_b64 s[2:3], 0
	s_mov_b64 s[28:29], s[24:25]
                                        ; implicit-def: $vgpr3
	s_branch .LBB198_415
.LBB198_411:
	s_mov_b64 s[4:5], -1
	s_mov_b64 s[2:3], 0
	s_mov_b64 s[30:31], s[22:23]
                                        ; implicit-def: $vgpr4
	s_branch .LBB198_539
.LBB198_412:
	s_andn2_saveexec_b64 s[34:35], s[34:35]
	s_cbranch_execz .LBB198_180
.LBB198_413:
	v_add_f32_e32 v3, 0x46000000, v4
	v_and_b32_e32 v3, 0xff, v3
	v_cmp_ne_u32_e32 vcc, 0, v3
	s_andn2_b64 s[28:29], s[28:29], exec
	s_and_b64 s[38:39], vcc, exec
	s_or_b64 s[28:29], s[28:29], s[38:39]
	s_or_b64 exec, exec, s[34:35]
	v_mov_b32_e32 v5, 0
	s_and_saveexec_b64 s[34:35], s[28:29]
	s_cbranch_execnz .LBB198_181
	s_branch .LBB198_182
.LBB198_414:
	s_mov_b64 s[28:29], -1
                                        ; implicit-def: $vgpr3
	s_mov_b64 s[2:3], 0
.LBB198_415:
	s_and_b64 vcc, exec, s[4:5]
	s_cbranch_vccz .LBB198_420
; %bb.416:
	s_cmp_eq_u32 s35, 44
	s_cbranch_scc0 .LBB198_419
; %bb.417:
	global_load_ubyte v3, v[0:1], off
	s_movk_i32 s4, 0xff
	v_mov_b32_e32 v4, 0x7f800001
	v_mov_b32_e32 v5, 0x400000
	;; [unrolled: 1-line block ×3, first 2 shown]
	s_mov_b64 s[2:3], -1
	s_mov_b64 s[28:29], 0
	s_waitcnt vmcnt(0)
	v_lshlrev_b32_e32 v7, 23, v3
	v_cmp_ne_u32_e32 vcc, s4, v3
	v_cndmask_b32_e32 v4, v4, v7, vcc
	v_cmp_ne_u32_e32 vcc, 0, v3
	v_cndmask_b32_e32 v3, v5, v4, vcc
	v_add_u32_e32 v4, 0x7fff, v3
	v_cmp_o_f32_e32 vcc, v3, v3
	v_cndmask_b32_sdwa v3, v6, v4, vcc dst_sel:DWORD dst_unused:UNUSED_PAD src0_sel:DWORD src1_sel:WORD_1
	s_branch .LBB198_420
.LBB198_418:
	s_mov_b64 s[4:5], -1
	s_mov_b64 s[2:3], 0
	s_mov_b64 s[30:31], s[22:23]
                                        ; implicit-def: $vgpr4
	s_branch .LBB198_534
.LBB198_419:
	s_mov_b64 s[28:29], -1
                                        ; implicit-def: $vgpr3
.LBB198_420:
	s_mov_b64 s[4:5], 0
.LBB198_421:
	s_and_b64 vcc, exec, s[4:5]
	s_cbranch_vccz .LBB198_425
; %bb.422:
	s_cmp_eq_u32 s35, 29
	s_cbranch_scc0 .LBB198_424
; %bb.423:
	global_load_dwordx2 v[3:4], v[0:1], off
	s_movk_i32 s4, 0x7fff
	s_mov_b64 s[2:3], -1
	s_mov_b64 s[28:29], 0
	s_waitcnt vmcnt(0)
	v_ffbh_u32_e32 v5, v4
	v_min_u32_e32 v5, 32, v5
	v_lshlrev_b64 v[3:4], v5, v[3:4]
	v_min_u32_e32 v3, 1, v3
	v_or_b32_e32 v3, v4, v3
	v_cvt_f32_u32_e32 v3, v3
	v_sub_u32_e32 v4, 32, v5
	v_ldexp_f32 v3, v3, v4
	v_bfe_u32 v4, v3, 16, 1
	v_add3_u32 v3, v3, v4, s4
	v_lshrrev_b32_e32 v3, 16, v3
	s_branch .LBB198_425
.LBB198_424:
	s_mov_b64 s[28:29], -1
                                        ; implicit-def: $vgpr3
.LBB198_425:
	s_mov_b64 s[4:5], 0
.LBB198_426:
	s_and_b64 vcc, exec, s[4:5]
	s_cbranch_vccz .LBB198_444
; %bb.427:
	s_cmp_lt_i32 s35, 27
	s_cbranch_scc1 .LBB198_430
; %bb.428:
	s_cmp_gt_i32 s35, 27
	s_cbranch_scc0 .LBB198_431
; %bb.429:
	global_load_dword v3, v[0:1], off
	s_movk_i32 s2, 0x7fff
	s_waitcnt vmcnt(0)
	v_cvt_f32_u32_e32 v3, v3
	v_bfe_u32 v4, v3, 16, 1
	v_add3_u32 v3, v3, v4, s2
	v_lshrrev_b32_e32 v3, 16, v3
	s_mov_b64 s[2:3], 0
	s_branch .LBB198_432
.LBB198_430:
	s_mov_b64 s[2:3], -1
                                        ; implicit-def: $vgpr3
	s_branch .LBB198_435
.LBB198_431:
	s_mov_b64 s[2:3], -1
                                        ; implicit-def: $vgpr3
.LBB198_432:
	s_andn2_b64 vcc, exec, s[2:3]
	s_cbranch_vccnz .LBB198_434
; %bb.433:
	global_load_ushort v3, v[0:1], off
	s_movk_i32 s2, 0x7fff
	s_waitcnt vmcnt(0)
	v_cvt_f32_u32_e32 v3, v3
	v_bfe_u32 v4, v3, 16, 1
	v_add3_u32 v3, v3, v4, s2
	v_lshrrev_b32_e32 v3, 16, v3
.LBB198_434:
	s_mov_b64 s[2:3], 0
.LBB198_435:
	s_andn2_b64 vcc, exec, s[2:3]
	s_cbranch_vccnz .LBB198_443
; %bb.436:
	global_load_ubyte v3, v[0:1], off
	s_movk_i32 s2, 0x7f
	s_waitcnt vmcnt(0)
	v_cmp_lt_i16_e32 vcc, s2, v3
	s_mov_b64 s[2:3], 0
	s_and_saveexec_b64 s[4:5], vcc
	s_xor_b64 s[4:5], exec, s[4:5]
	s_cbranch_execz .LBB198_457
; %bb.437:
	s_movk_i32 s2, 0x80
	v_cmp_eq_u16_e32 vcc, s2, v3
	s_mov_b64 s[2:3], -1
	s_and_saveexec_b64 s[30:31], vcc
; %bb.438:
	s_xor_b64 s[2:3], exec, -1
; %bb.439:
	s_or_b64 exec, exec, s[30:31]
	s_and_b64 s[2:3], s[2:3], exec
	s_or_saveexec_b64 s[4:5], s[4:5]
	v_mov_b32_e32 v4, 0x7f800001
	s_xor_b64 exec, exec, s[4:5]
	s_cbranch_execnz .LBB198_458
.LBB198_440:
	s_or_b64 exec, exec, s[4:5]
	s_and_saveexec_b64 s[4:5], s[2:3]
	s_cbranch_execz .LBB198_442
.LBB198_441:
	v_lshlrev_b32_e32 v4, 24, v3
	v_and_b32_e32 v3, 0xffff, v3
	v_and_b32_e32 v5, 7, v3
	v_ffbh_u32_e32 v7, v5
	v_min_u32_e32 v7, 32, v7
	v_subrev_u32_e32 v8, 28, v7
	v_bfe_u32 v6, v3, 3, 4
	v_lshlrev_b32_e32 v3, v8, v3
	v_sub_u32_e32 v7, 29, v7
	v_and_b32_e32 v3, 7, v3
	v_cmp_eq_u32_e32 vcc, 0, v6
	v_cndmask_b32_e32 v6, v6, v7, vcc
	v_cndmask_b32_e32 v3, v5, v3, vcc
	v_mov_b32_e32 v5, 0x3b800000
	v_lshlrev_b32_e32 v3, 20, v3
	v_and_b32_e32 v4, 0x80000000, v4
	v_lshl_add_u32 v5, v6, 23, v5
	v_or3_b32 v4, v4, v5, v3
.LBB198_442:
	s_or_b64 exec, exec, s[4:5]
	v_bfe_u32 v3, v4, 16, 1
	s_movk_i32 s2, 0x7fff
	v_add3_u32 v3, v4, v3, s2
	v_cmp_o_f32_e32 vcc, v4, v4
	v_mov_b32_e32 v4, 0x7fc0
	v_cndmask_b32_sdwa v3, v4, v3, vcc dst_sel:DWORD dst_unused:UNUSED_PAD src0_sel:DWORD src1_sel:WORD_1
.LBB198_443:
	s_mov_b64 s[2:3], -1
.LBB198_444:
	s_mov_b64 s[4:5], 0
.LBB198_445:
	s_and_b64 vcc, exec, s[4:5]
	s_cbranch_vccz .LBB198_480
; %bb.446:
	s_cmp_gt_i32 s35, 22
	s_cbranch_scc0 .LBB198_456
; %bb.447:
	s_cmp_lt_i32 s35, 24
	s_cbranch_scc1 .LBB198_459
; %bb.448:
	s_cmp_gt_i32 s35, 24
	s_cbranch_scc0 .LBB198_460
; %bb.449:
	global_load_ubyte v3, v[0:1], off
	s_movk_i32 s2, 0x7f
	s_waitcnt vmcnt(0)
	v_cmp_lt_i16_e32 vcc, s2, v3
	s_mov_b64 s[2:3], 0
	s_and_saveexec_b64 s[4:5], vcc
	s_xor_b64 s[4:5], exec, s[4:5]
	s_cbranch_execz .LBB198_472
; %bb.450:
	s_movk_i32 s2, 0x80
	v_cmp_eq_u16_e32 vcc, s2, v3
	s_mov_b64 s[2:3], -1
	s_and_saveexec_b64 s[30:31], vcc
; %bb.451:
	s_xor_b64 s[2:3], exec, -1
; %bb.452:
	s_or_b64 exec, exec, s[30:31]
	s_and_b64 s[2:3], s[2:3], exec
	s_or_saveexec_b64 s[4:5], s[4:5]
	v_mov_b32_e32 v4, 0x7f800001
	s_xor_b64 exec, exec, s[4:5]
	s_cbranch_execnz .LBB198_473
.LBB198_453:
	s_or_b64 exec, exec, s[4:5]
	s_and_saveexec_b64 s[4:5], s[2:3]
	s_cbranch_execz .LBB198_455
.LBB198_454:
	v_lshlrev_b32_e32 v4, 24, v3
	v_and_b32_e32 v3, 0xffff, v3
	v_and_b32_e32 v5, 3, v3
	v_ffbh_u32_e32 v7, v5
	v_min_u32_e32 v7, 32, v7
	v_subrev_u32_e32 v8, 29, v7
	v_bfe_u32 v6, v3, 2, 5
	v_lshlrev_b32_e32 v3, v8, v3
	v_sub_u32_e32 v7, 30, v7
	v_and_b32_e32 v3, 3, v3
	v_cmp_eq_u32_e32 vcc, 0, v6
	v_cndmask_b32_e32 v6, v6, v7, vcc
	v_cndmask_b32_e32 v3, v5, v3, vcc
	v_mov_b32_e32 v5, 0x37800000
	v_lshlrev_b32_e32 v3, 21, v3
	v_and_b32_e32 v4, 0x80000000, v4
	v_lshl_add_u32 v5, v6, 23, v5
	v_or3_b32 v4, v4, v5, v3
.LBB198_455:
	s_or_b64 exec, exec, s[4:5]
	v_bfe_u32 v3, v4, 16, 1
	s_movk_i32 s2, 0x7fff
	v_add3_u32 v3, v4, v3, s2
	v_cmp_o_f32_e32 vcc, v4, v4
	v_mov_b32_e32 v4, 0x7fc0
	v_cndmask_b32_sdwa v3, v4, v3, vcc dst_sel:DWORD dst_unused:UNUSED_PAD src0_sel:DWORD src1_sel:WORD_1
	s_mov_b64 s[2:3], 0
	s_branch .LBB198_461
.LBB198_456:
	s_mov_b64 s[4:5], -1
                                        ; implicit-def: $vgpr3
	s_branch .LBB198_467
.LBB198_457:
	s_or_saveexec_b64 s[4:5], s[4:5]
	v_mov_b32_e32 v4, 0x7f800001
	s_xor_b64 exec, exec, s[4:5]
	s_cbranch_execz .LBB198_440
.LBB198_458:
	v_cmp_ne_u16_e32 vcc, 0, v3
	s_andn2_b64 s[2:3], s[2:3], exec
	s_and_b64 s[30:31], vcc, exec
	v_mov_b32_e32 v4, 0
	s_or_b64 s[2:3], s[2:3], s[30:31]
	s_or_b64 exec, exec, s[4:5]
	s_and_saveexec_b64 s[4:5], s[2:3]
	s_cbranch_execnz .LBB198_441
	s_branch .LBB198_442
.LBB198_459:
	s_mov_b64 s[2:3], -1
                                        ; implicit-def: $vgpr3
	s_branch .LBB198_464
.LBB198_460:
	s_mov_b64 s[2:3], -1
                                        ; implicit-def: $vgpr3
.LBB198_461:
	s_and_b64 vcc, exec, s[2:3]
	s_cbranch_vccz .LBB198_463
; %bb.462:
	global_load_ubyte v3, v[0:1], off
	s_mov_b32 s2, 0x7f800000
	s_brev_b32 s3, 1
	s_movk_i32 s4, 0x7fff
	s_waitcnt vmcnt(0)
	v_lshlrev_b32_e32 v3, 24, v3
	v_and_b32_e32 v4, 0x7f000000, v3
	v_ffbh_u32_e32 v5, v4
	v_min_u32_e32 v5, 32, v5
	v_sub_u32_e64 v5, v5, 4 clamp
	v_lshlrev_b32_e32 v7, v5, v4
	v_lshlrev_b32_e32 v5, 23, v5
	v_lshrrev_b32_e32 v7, 4, v7
	v_add_u32_e32 v6, 0x1000000, v4
	v_sub_u32_e32 v5, v7, v5
	v_ashrrev_i32_e32 v6, 8, v6
	v_add_u32_e32 v5, 0x3c000000, v5
	v_and_or_b32 v5, v6, s2, v5
	v_cmp_ne_u32_e32 vcc, 0, v4
	v_cndmask_b32_e32 v4, 0, v5, vcc
	v_and_or_b32 v3, v3, s3, v4
	v_bfe_u32 v4, v4, 16, 1
	v_add3_u32 v4, v3, v4, s4
	v_cmp_o_f32_e32 vcc, v3, v3
	v_mov_b32_e32 v3, 0x7fc0
	v_cndmask_b32_sdwa v3, v3, v4, vcc dst_sel:DWORD dst_unused:UNUSED_PAD src0_sel:DWORD src1_sel:WORD_1
.LBB198_463:
	s_mov_b64 s[2:3], 0
.LBB198_464:
	s_andn2_b64 vcc, exec, s[2:3]
	s_cbranch_vccnz .LBB198_466
; %bb.465:
	global_load_ubyte v3, v[0:1], off
	s_movk_i32 s2, 0x7f00
	s_brev_b32 s3, 16
	s_brev_b32 s4, 1
	s_movk_i32 s5, 0x7fff
	s_waitcnt vmcnt(0)
	v_lshlrev_b16_e32 v4, 8, v3
	v_lshlrev_b32_e32 v3, 25, v3
	v_lshrrev_b32_e32 v5, 4, v3
	v_and_or_b32 v6, v4, s2, 0.5
	v_or_b32_e32 v5, 0x70000000, v5
	v_add_f32_e32 v6, -0.5, v6
	v_mul_f32_e32 v5, 0x7800000, v5
	v_cmp_gt_u32_e32 vcc, s3, v3
	v_bfe_i32 v4, v4, 0, 16
	v_cndmask_b32_e32 v3, v5, v6, vcc
	v_and_or_b32 v4, v4, s4, v3
	v_bfe_u32 v3, v3, 16, 1
	v_add3_u32 v3, v4, v3, s5
	v_cmp_o_f32_e32 vcc, v4, v4
	v_mov_b32_e32 v4, 0x7fc0
	v_cndmask_b32_sdwa v3, v4, v3, vcc dst_sel:DWORD dst_unused:UNUSED_PAD src0_sel:DWORD src1_sel:WORD_1
.LBB198_466:
	s_mov_b64 s[4:5], 0
	s_mov_b64 s[2:3], -1
.LBB198_467:
	s_andn2_b64 vcc, exec, s[4:5]
	s_cbranch_vccnz .LBB198_480
; %bb.468:
	s_cmp_gt_i32 s35, 14
	s_cbranch_scc0 .LBB198_471
; %bb.469:
	s_cmp_eq_u32 s35, 15
	s_cbranch_scc0 .LBB198_474
; %bb.470:
	global_load_ushort v3, v[0:1], off
	s_mov_b64 s[2:3], -1
	s_mov_b64 s[28:29], 0
	s_branch .LBB198_475
.LBB198_471:
	s_mov_b64 s[4:5], -1
                                        ; implicit-def: $vgpr3
	s_branch .LBB198_476
.LBB198_472:
	s_or_saveexec_b64 s[4:5], s[4:5]
	v_mov_b32_e32 v4, 0x7f800001
	s_xor_b64 exec, exec, s[4:5]
	s_cbranch_execz .LBB198_453
.LBB198_473:
	v_cmp_ne_u16_e32 vcc, 0, v3
	s_andn2_b64 s[2:3], s[2:3], exec
	s_and_b64 s[30:31], vcc, exec
	v_mov_b32_e32 v4, 0
	s_or_b64 s[2:3], s[2:3], s[30:31]
	s_or_b64 exec, exec, s[4:5]
	s_and_saveexec_b64 s[4:5], s[2:3]
	s_cbranch_execnz .LBB198_454
	s_branch .LBB198_455
.LBB198_474:
	s_mov_b64 s[28:29], -1
                                        ; implicit-def: $vgpr3
.LBB198_475:
	s_mov_b64 s[4:5], 0
.LBB198_476:
	s_and_b64 vcc, exec, s[4:5]
	s_cbranch_vccz .LBB198_480
; %bb.477:
	s_cmp_eq_u32 s35, 11
	s_cbranch_scc0 .LBB198_479
; %bb.478:
	global_load_ubyte v3, v[0:1], off
	s_mov_b64 s[2:3], -1
	s_mov_b64 s[28:29], 0
	s_waitcnt vmcnt(0)
	v_cmp_ne_u16_e32 vcc, 0, v3
	v_cndmask_b32_e64 v3, 0, 1.0, vcc
	v_lshrrev_b32_e32 v3, 16, v3
	s_branch .LBB198_480
.LBB198_479:
	s_mov_b64 s[28:29], -1
                                        ; implicit-def: $vgpr3
.LBB198_480:
	s_branch .LBB198_396
.LBB198_481:
	s_and_b32 s4, 0xffff, s34
	s_cmp_lt_i32 s4, 5
	s_cbranch_scc1 .LBB198_486
; %bb.482:
	s_cmp_lt_i32 s4, 8
	s_cbranch_scc1 .LBB198_487
; %bb.483:
	;; [unrolled: 3-line block ×3, first 2 shown]
	s_cmp_gt_i32 s4, 9
	s_cbranch_scc0 .LBB198_489
; %bb.485:
	global_load_dwordx2 v[3:4], v[0:1], off
	s_movk_i32 s2, 0x7fff
	s_waitcnt vmcnt(0)
	v_cvt_f32_f64_e32 v3, v[3:4]
	v_mov_b32_e32 v4, 0x7fc0
	v_bfe_u32 v5, v3, 16, 1
	v_cmp_o_f32_e32 vcc, v3, v3
	v_add3_u32 v3, v3, v5, s2
	v_cndmask_b32_sdwa v3, v4, v3, vcc dst_sel:DWORD dst_unused:UNUSED_PAD src0_sel:DWORD src1_sel:WORD_1
	s_mov_b64 s[2:3], 0
	s_branch .LBB198_490
.LBB198_486:
	s_mov_b64 s[2:3], -1
                                        ; implicit-def: $vgpr3
	s_branch .LBB198_508
.LBB198_487:
	s_mov_b64 s[2:3], -1
                                        ; implicit-def: $vgpr3
	s_branch .LBB198_496
.LBB198_488:
	s_mov_b64 s[2:3], -1
                                        ; implicit-def: $vgpr3
	s_branch .LBB198_493
.LBB198_489:
	s_mov_b64 s[2:3], -1
                                        ; implicit-def: $vgpr3
.LBB198_490:
	s_andn2_b64 vcc, exec, s[2:3]
	s_cbranch_vccnz .LBB198_492
; %bb.491:
	global_load_dword v3, v[0:1], off
	s_movk_i32 s2, 0x7fff
	v_mov_b32_e32 v4, 0x7fc0
	s_waitcnt vmcnt(0)
	v_bfe_u32 v5, v3, 16, 1
	v_cmp_o_f32_e32 vcc, v3, v3
	v_add3_u32 v3, v3, v5, s2
	v_cndmask_b32_sdwa v3, v4, v3, vcc dst_sel:DWORD dst_unused:UNUSED_PAD src0_sel:DWORD src1_sel:WORD_1
.LBB198_492:
	s_mov_b64 s[2:3], 0
.LBB198_493:
	s_andn2_b64 vcc, exec, s[2:3]
	s_cbranch_vccnz .LBB198_495
; %bb.494:
	global_load_dword v3, v[0:1], off
	s_movk_i32 s2, 0x7fff
	v_mov_b32_e32 v5, 0x7fc0
	s_waitcnt vmcnt(0)
	v_cvt_f32_f16_e32 v4, v3
	v_cmp_o_f16_e32 vcc, v3, v3
	v_bfe_u32 v3, v4, 16, 1
	v_add3_u32 v3, v4, v3, s2
	v_cndmask_b32_sdwa v3, v5, v3, vcc dst_sel:DWORD dst_unused:UNUSED_PAD src0_sel:DWORD src1_sel:WORD_1
.LBB198_495:
	s_mov_b64 s[2:3], 0
.LBB198_496:
	s_andn2_b64 vcc, exec, s[2:3]
	s_cbranch_vccnz .LBB198_507
; %bb.497:
	s_cmp_lt_i32 s4, 6
	s_cbranch_scc1 .LBB198_500
; %bb.498:
	s_cmp_gt_i32 s4, 6
	s_cbranch_scc0 .LBB198_501
; %bb.499:
	global_load_dwordx2 v[3:4], v[0:1], off
	s_movk_i32 s2, 0x7fff
	s_waitcnt vmcnt(0)
	v_cvt_f32_f64_e32 v3, v[3:4]
	v_mov_b32_e32 v4, 0x7fc0
	v_bfe_u32 v5, v3, 16, 1
	v_cmp_o_f32_e32 vcc, v3, v3
	v_add3_u32 v3, v3, v5, s2
	v_cndmask_b32_sdwa v3, v4, v3, vcc dst_sel:DWORD dst_unused:UNUSED_PAD src0_sel:DWORD src1_sel:WORD_1
	s_mov_b64 s[2:3], 0
	s_branch .LBB198_502
.LBB198_500:
	s_mov_b64 s[2:3], -1
                                        ; implicit-def: $vgpr3
	s_branch .LBB198_505
.LBB198_501:
	s_mov_b64 s[2:3], -1
                                        ; implicit-def: $vgpr3
.LBB198_502:
	s_andn2_b64 vcc, exec, s[2:3]
	s_cbranch_vccnz .LBB198_504
; %bb.503:
	global_load_dword v3, v[0:1], off
	s_movk_i32 s2, 0x7fff
	v_mov_b32_e32 v4, 0x7fc0
	s_waitcnt vmcnt(0)
	v_bfe_u32 v5, v3, 16, 1
	v_cmp_o_f32_e32 vcc, v3, v3
	v_add3_u32 v3, v3, v5, s2
	v_cndmask_b32_sdwa v3, v4, v3, vcc dst_sel:DWORD dst_unused:UNUSED_PAD src0_sel:DWORD src1_sel:WORD_1
.LBB198_504:
	s_mov_b64 s[2:3], 0
.LBB198_505:
	s_andn2_b64 vcc, exec, s[2:3]
	s_cbranch_vccnz .LBB198_507
; %bb.506:
	global_load_ushort v3, v[0:1], off
	s_movk_i32 s2, 0x7fff
	v_mov_b32_e32 v5, 0x7fc0
	s_waitcnt vmcnt(0)
	v_cvt_f32_f16_e32 v4, v3
	v_cmp_o_f16_e32 vcc, v3, v3
	v_bfe_u32 v3, v4, 16, 1
	v_add3_u32 v3, v4, v3, s2
	v_cndmask_b32_sdwa v3, v5, v3, vcc dst_sel:DWORD dst_unused:UNUSED_PAD src0_sel:DWORD src1_sel:WORD_1
.LBB198_507:
	s_mov_b64 s[2:3], 0
.LBB198_508:
	s_andn2_b64 vcc, exec, s[2:3]
	s_cbranch_vccnz .LBB198_528
; %bb.509:
	s_cmp_lt_i32 s4, 2
	s_cbranch_scc1 .LBB198_513
; %bb.510:
	s_cmp_lt_i32 s4, 3
	s_cbranch_scc1 .LBB198_514
; %bb.511:
	s_cmp_gt_i32 s4, 3
	s_cbranch_scc0 .LBB198_515
; %bb.512:
	global_load_dwordx2 v[3:4], v[0:1], off
	s_movk_i32 s2, 0x7fff
	s_waitcnt vmcnt(0)
	v_xor_b32_e32 v6, v3, v4
	v_ffbh_i32_e32 v5, v4
	v_ashrrev_i32_e32 v6, 31, v6
	v_add_u32_e32 v5, -1, v5
	v_add_u32_e32 v6, 32, v6
	v_min_u32_e32 v5, v5, v6
	v_lshlrev_b64 v[3:4], v5, v[3:4]
	v_min_u32_e32 v3, 1, v3
	v_or_b32_e32 v3, v4, v3
	v_cvt_f32_i32_e32 v3, v3
	v_sub_u32_e32 v4, 32, v5
	v_ldexp_f32 v3, v3, v4
	v_bfe_u32 v4, v3, 16, 1
	v_add3_u32 v3, v3, v4, s2
	v_lshrrev_b32_e32 v3, 16, v3
	s_mov_b64 s[2:3], 0
	s_branch .LBB198_516
.LBB198_513:
	s_mov_b64 s[2:3], -1
                                        ; implicit-def: $vgpr3
	s_branch .LBB198_522
.LBB198_514:
	s_mov_b64 s[2:3], -1
                                        ; implicit-def: $vgpr3
	s_branch .LBB198_519
.LBB198_515:
	s_mov_b64 s[2:3], -1
                                        ; implicit-def: $vgpr3
.LBB198_516:
	s_andn2_b64 vcc, exec, s[2:3]
	s_cbranch_vccnz .LBB198_518
; %bb.517:
	global_load_dword v3, v[0:1], off
	s_movk_i32 s2, 0x7fff
	s_waitcnt vmcnt(0)
	v_cvt_f32_i32_e32 v3, v3
	v_bfe_u32 v4, v3, 16, 1
	v_add3_u32 v3, v3, v4, s2
	v_lshrrev_b32_e32 v3, 16, v3
.LBB198_518:
	s_mov_b64 s[2:3], 0
.LBB198_519:
	s_andn2_b64 vcc, exec, s[2:3]
	s_cbranch_vccnz .LBB198_521
; %bb.520:
	global_load_sshort v3, v[0:1], off
	s_movk_i32 s2, 0x7fff
	s_waitcnt vmcnt(0)
	v_cvt_f32_i32_e32 v3, v3
	v_bfe_u32 v4, v3, 16, 1
	v_add3_u32 v3, v3, v4, s2
	v_lshrrev_b32_e32 v3, 16, v3
.LBB198_521:
	s_mov_b64 s[2:3], 0
.LBB198_522:
	s_andn2_b64 vcc, exec, s[2:3]
	s_cbranch_vccnz .LBB198_528
; %bb.523:
	s_cmp_gt_i32 s4, 0
	s_cbranch_scc0 .LBB198_525
; %bb.524:
	global_load_sbyte v3, v[0:1], off
	s_movk_i32 s2, 0x7fff
	s_waitcnt vmcnt(0)
	v_cvt_f32_i32_e32 v3, v3
	v_bfe_u32 v4, v3, 16, 1
	v_add3_u32 v3, v3, v4, s2
	v_lshrrev_b32_e32 v3, 16, v3
	s_mov_b64 s[2:3], 0
	s_branch .LBB198_526
.LBB198_525:
	s_mov_b64 s[2:3], -1
                                        ; implicit-def: $vgpr3
.LBB198_526:
	s_andn2_b64 vcc, exec, s[2:3]
	s_cbranch_vccnz .LBB198_528
; %bb.527:
	global_load_ubyte v0, v[0:1], off
	s_movk_i32 s2, 0x7fff
	s_waitcnt vmcnt(0)
	v_cvt_f32_ubyte0_e32 v0, v0
	v_bfe_u32 v1, v0, 16, 1
	v_add3_u32 v0, v0, v1, s2
	v_lshrrev_b32_e32 v3, 16, v0
.LBB198_528:
	s_branch .LBB198_397
.LBB198_529:
	s_mov_b64 s[2:3], 0
	s_mov_b64 s[4:5], s[20:21]
	;; [unrolled: 1-line block ×3, first 2 shown]
.LBB198_530:
                                        ; implicit-def: $vgpr2
	s_branch .LBB198_772
.LBB198_531:
	s_andn2_saveexec_b64 s[34:35], s[34:35]
	s_cbranch_execz .LBB198_193
.LBB198_532:
	v_add_f32_e32 v3, 0x42800000, v4
	v_and_b32_e32 v3, 0xff, v3
	v_cmp_ne_u32_e32 vcc, 0, v3
	s_andn2_b64 s[28:29], s[28:29], exec
	s_and_b64 s[38:39], vcc, exec
	s_or_b64 s[28:29], s[28:29], s[38:39]
	s_or_b64 exec, exec, s[34:35]
	v_mov_b32_e32 v5, 0
	s_and_saveexec_b64 s[34:35], s[28:29]
	s_cbranch_execnz .LBB198_194
	s_branch .LBB198_195
.LBB198_533:
	s_mov_b64 s[30:31], -1
                                        ; implicit-def: $vgpr4
	s_mov_b64 s[2:3], 0
.LBB198_534:
	s_and_b64 vcc, exec, s[4:5]
	s_cbranch_vccz .LBB198_538
; %bb.535:
	s_cmp_eq_u32 s39, 44
	s_cbranch_scc0 .LBB198_537
; %bb.536:
	global_load_ubyte v4, v[0:1], off
	s_movk_i32 s4, 0xff
	v_mov_b32_e32 v5, 0x7f800001
	v_mov_b32_e32 v6, 0x400000
	;; [unrolled: 1-line block ×3, first 2 shown]
	s_mov_b64 s[2:3], -1
	s_mov_b64 s[30:31], 0
	s_waitcnt vmcnt(0)
	v_lshlrev_b32_e32 v8, 23, v4
	v_cmp_ne_u32_e32 vcc, s4, v4
	v_cndmask_b32_e32 v5, v5, v8, vcc
	v_cmp_ne_u32_e32 vcc, 0, v4
	v_cndmask_b32_e32 v4, v6, v5, vcc
	v_add_u32_e32 v5, 0x7fff, v4
	v_cmp_o_f32_e32 vcc, v4, v4
	v_cndmask_b32_sdwa v4, v7, v5, vcc dst_sel:DWORD dst_unused:UNUSED_PAD src0_sel:DWORD src1_sel:WORD_1
	s_branch .LBB198_538
.LBB198_537:
	s_mov_b64 s[30:31], -1
                                        ; implicit-def: $vgpr4
.LBB198_538:
	s_mov_b64 s[4:5], 0
.LBB198_539:
	s_and_b64 vcc, exec, s[4:5]
	s_cbranch_vccz .LBB198_543
; %bb.540:
	s_cmp_eq_u32 s39, 29
	s_cbranch_scc0 .LBB198_542
; %bb.541:
	global_load_dwordx2 v[4:5], v[0:1], off
	s_movk_i32 s4, 0x7fff
	s_mov_b64 s[2:3], -1
	s_mov_b64 s[30:31], 0
	s_waitcnt vmcnt(0)
	v_ffbh_u32_e32 v6, v5
	v_min_u32_e32 v6, 32, v6
	v_lshlrev_b64 v[4:5], v6, v[4:5]
	v_min_u32_e32 v4, 1, v4
	v_or_b32_e32 v4, v5, v4
	v_cvt_f32_u32_e32 v4, v4
	v_sub_u32_e32 v5, 32, v6
	v_ldexp_f32 v4, v4, v5
	v_bfe_u32 v5, v4, 16, 1
	v_add3_u32 v4, v4, v5, s4
	v_lshrrev_b32_e32 v4, 16, v4
	s_branch .LBB198_543
.LBB198_542:
	s_mov_b64 s[30:31], -1
                                        ; implicit-def: $vgpr4
.LBB198_543:
	s_mov_b64 s[4:5], 0
.LBB198_544:
	s_and_b64 vcc, exec, s[4:5]
	s_cbranch_vccz .LBB198_562
; %bb.545:
	s_cmp_lt_i32 s39, 27
	s_cbranch_scc1 .LBB198_548
; %bb.546:
	s_cmp_gt_i32 s39, 27
	s_cbranch_scc0 .LBB198_549
; %bb.547:
	global_load_dword v4, v[0:1], off
	s_movk_i32 s2, 0x7fff
	s_waitcnt vmcnt(0)
	v_cvt_f32_u32_e32 v4, v4
	v_bfe_u32 v5, v4, 16, 1
	v_add3_u32 v4, v4, v5, s2
	v_lshrrev_b32_e32 v4, 16, v4
	s_mov_b64 s[2:3], 0
	s_branch .LBB198_550
.LBB198_548:
	s_mov_b64 s[2:3], -1
                                        ; implicit-def: $vgpr4
	s_branch .LBB198_553
.LBB198_549:
	s_mov_b64 s[2:3], -1
                                        ; implicit-def: $vgpr4
.LBB198_550:
	s_andn2_b64 vcc, exec, s[2:3]
	s_cbranch_vccnz .LBB198_552
; %bb.551:
	global_load_ushort v4, v[0:1], off
	s_movk_i32 s2, 0x7fff
	s_waitcnt vmcnt(0)
	v_cvt_f32_u32_e32 v4, v4
	v_bfe_u32 v5, v4, 16, 1
	v_add3_u32 v4, v4, v5, s2
	v_lshrrev_b32_e32 v4, 16, v4
.LBB198_552:
	s_mov_b64 s[2:3], 0
.LBB198_553:
	s_andn2_b64 vcc, exec, s[2:3]
	s_cbranch_vccnz .LBB198_561
; %bb.554:
	global_load_ubyte v4, v[0:1], off
	s_movk_i32 s2, 0x7f
	s_waitcnt vmcnt(0)
	v_cmp_lt_i16_e32 vcc, s2, v4
	s_mov_b64 s[2:3], 0
	s_and_saveexec_b64 s[4:5], vcc
	s_xor_b64 s[4:5], exec, s[4:5]
	s_cbranch_execz .LBB198_575
; %bb.555:
	s_movk_i32 s2, 0x80
	v_cmp_eq_u16_e32 vcc, s2, v4
	s_mov_b64 s[2:3], -1
	s_and_saveexec_b64 s[34:35], vcc
; %bb.556:
	s_xor_b64 s[2:3], exec, -1
; %bb.557:
	s_or_b64 exec, exec, s[34:35]
	s_and_b64 s[2:3], s[2:3], exec
	s_or_saveexec_b64 s[4:5], s[4:5]
	v_mov_b32_e32 v5, 0x7f800001
	s_xor_b64 exec, exec, s[4:5]
	s_cbranch_execnz .LBB198_576
.LBB198_558:
	s_or_b64 exec, exec, s[4:5]
	s_and_saveexec_b64 s[4:5], s[2:3]
	s_cbranch_execz .LBB198_560
.LBB198_559:
	v_lshlrev_b32_e32 v5, 24, v4
	v_and_b32_e32 v4, 0xffff, v4
	v_and_b32_e32 v6, 7, v4
	v_ffbh_u32_e32 v8, v6
	v_min_u32_e32 v8, 32, v8
	v_subrev_u32_e32 v9, 28, v8
	v_bfe_u32 v7, v4, 3, 4
	v_lshlrev_b32_e32 v4, v9, v4
	v_sub_u32_e32 v8, 29, v8
	v_and_b32_e32 v4, 7, v4
	v_cmp_eq_u32_e32 vcc, 0, v7
	v_cndmask_b32_e32 v7, v7, v8, vcc
	v_cndmask_b32_e32 v4, v6, v4, vcc
	v_mov_b32_e32 v6, 0x3b800000
	v_lshlrev_b32_e32 v4, 20, v4
	v_and_b32_e32 v5, 0x80000000, v5
	v_lshl_add_u32 v6, v7, 23, v6
	v_or3_b32 v5, v5, v6, v4
.LBB198_560:
	s_or_b64 exec, exec, s[4:5]
	v_bfe_u32 v4, v5, 16, 1
	s_movk_i32 s2, 0x7fff
	v_add3_u32 v4, v5, v4, s2
	v_cmp_o_f32_e32 vcc, v5, v5
	v_mov_b32_e32 v5, 0x7fc0
	v_cndmask_b32_sdwa v4, v5, v4, vcc dst_sel:DWORD dst_unused:UNUSED_PAD src0_sel:DWORD src1_sel:WORD_1
.LBB198_561:
	s_mov_b64 s[2:3], -1
.LBB198_562:
	s_mov_b64 s[4:5], 0
.LBB198_563:
	s_and_b64 vcc, exec, s[4:5]
	s_cbranch_vccz .LBB198_598
; %bb.564:
	s_cmp_gt_i32 s39, 22
	s_cbranch_scc0 .LBB198_574
; %bb.565:
	s_cmp_lt_i32 s39, 24
	s_cbranch_scc1 .LBB198_577
; %bb.566:
	s_cmp_gt_i32 s39, 24
	s_cbranch_scc0 .LBB198_578
; %bb.567:
	global_load_ubyte v4, v[0:1], off
	s_movk_i32 s2, 0x7f
	s_waitcnt vmcnt(0)
	v_cmp_lt_i16_e32 vcc, s2, v4
	s_mov_b64 s[2:3], 0
	s_and_saveexec_b64 s[4:5], vcc
	s_xor_b64 s[4:5], exec, s[4:5]
	s_cbranch_execz .LBB198_590
; %bb.568:
	s_movk_i32 s2, 0x80
	v_cmp_eq_u16_e32 vcc, s2, v4
	s_mov_b64 s[2:3], -1
	s_and_saveexec_b64 s[34:35], vcc
; %bb.569:
	s_xor_b64 s[2:3], exec, -1
; %bb.570:
	s_or_b64 exec, exec, s[34:35]
	s_and_b64 s[2:3], s[2:3], exec
	s_or_saveexec_b64 s[4:5], s[4:5]
	v_mov_b32_e32 v5, 0x7f800001
	s_xor_b64 exec, exec, s[4:5]
	s_cbranch_execnz .LBB198_591
.LBB198_571:
	s_or_b64 exec, exec, s[4:5]
	s_and_saveexec_b64 s[4:5], s[2:3]
	s_cbranch_execz .LBB198_573
.LBB198_572:
	v_lshlrev_b32_e32 v5, 24, v4
	v_and_b32_e32 v4, 0xffff, v4
	v_and_b32_e32 v6, 3, v4
	v_ffbh_u32_e32 v8, v6
	v_min_u32_e32 v8, 32, v8
	v_subrev_u32_e32 v9, 29, v8
	v_bfe_u32 v7, v4, 2, 5
	v_lshlrev_b32_e32 v4, v9, v4
	v_sub_u32_e32 v8, 30, v8
	v_and_b32_e32 v4, 3, v4
	v_cmp_eq_u32_e32 vcc, 0, v7
	v_cndmask_b32_e32 v7, v7, v8, vcc
	v_cndmask_b32_e32 v4, v6, v4, vcc
	v_mov_b32_e32 v6, 0x37800000
	v_lshlrev_b32_e32 v4, 21, v4
	v_and_b32_e32 v5, 0x80000000, v5
	v_lshl_add_u32 v6, v7, 23, v6
	v_or3_b32 v5, v5, v6, v4
.LBB198_573:
	s_or_b64 exec, exec, s[4:5]
	v_bfe_u32 v4, v5, 16, 1
	s_movk_i32 s2, 0x7fff
	v_add3_u32 v4, v5, v4, s2
	v_cmp_o_f32_e32 vcc, v5, v5
	v_mov_b32_e32 v5, 0x7fc0
	v_cndmask_b32_sdwa v4, v5, v4, vcc dst_sel:DWORD dst_unused:UNUSED_PAD src0_sel:DWORD src1_sel:WORD_1
	s_mov_b64 s[2:3], 0
	s_branch .LBB198_579
.LBB198_574:
	s_mov_b64 s[4:5], -1
                                        ; implicit-def: $vgpr4
	s_branch .LBB198_585
.LBB198_575:
	s_or_saveexec_b64 s[4:5], s[4:5]
	v_mov_b32_e32 v5, 0x7f800001
	s_xor_b64 exec, exec, s[4:5]
	s_cbranch_execz .LBB198_558
.LBB198_576:
	v_cmp_ne_u16_e32 vcc, 0, v4
	s_andn2_b64 s[2:3], s[2:3], exec
	s_and_b64 s[34:35], vcc, exec
	v_mov_b32_e32 v5, 0
	s_or_b64 s[2:3], s[2:3], s[34:35]
	s_or_b64 exec, exec, s[4:5]
	s_and_saveexec_b64 s[4:5], s[2:3]
	s_cbranch_execnz .LBB198_559
	s_branch .LBB198_560
.LBB198_577:
	s_mov_b64 s[2:3], -1
                                        ; implicit-def: $vgpr4
	s_branch .LBB198_582
.LBB198_578:
	s_mov_b64 s[2:3], -1
                                        ; implicit-def: $vgpr4
.LBB198_579:
	s_and_b64 vcc, exec, s[2:3]
	s_cbranch_vccz .LBB198_581
; %bb.580:
	global_load_ubyte v4, v[0:1], off
	s_mov_b32 s2, 0x7f800000
	s_brev_b32 s3, 1
	s_movk_i32 s4, 0x7fff
	s_waitcnt vmcnt(0)
	v_lshlrev_b32_e32 v4, 24, v4
	v_and_b32_e32 v5, 0x7f000000, v4
	v_ffbh_u32_e32 v6, v5
	v_min_u32_e32 v6, 32, v6
	v_sub_u32_e64 v6, v6, 4 clamp
	v_lshlrev_b32_e32 v8, v6, v5
	v_lshlrev_b32_e32 v6, 23, v6
	v_lshrrev_b32_e32 v8, 4, v8
	v_add_u32_e32 v7, 0x1000000, v5
	v_sub_u32_e32 v6, v8, v6
	v_ashrrev_i32_e32 v7, 8, v7
	v_add_u32_e32 v6, 0x3c000000, v6
	v_and_or_b32 v6, v7, s2, v6
	v_cmp_ne_u32_e32 vcc, 0, v5
	v_cndmask_b32_e32 v5, 0, v6, vcc
	v_and_or_b32 v4, v4, s3, v5
	v_bfe_u32 v5, v5, 16, 1
	v_add3_u32 v5, v4, v5, s4
	v_cmp_o_f32_e32 vcc, v4, v4
	v_mov_b32_e32 v4, 0x7fc0
	v_cndmask_b32_sdwa v4, v4, v5, vcc dst_sel:DWORD dst_unused:UNUSED_PAD src0_sel:DWORD src1_sel:WORD_1
.LBB198_581:
	s_mov_b64 s[2:3], 0
.LBB198_582:
	s_andn2_b64 vcc, exec, s[2:3]
	s_cbranch_vccnz .LBB198_584
; %bb.583:
	global_load_ubyte v4, v[0:1], off
	s_movk_i32 s2, 0x7f00
	s_brev_b32 s3, 16
	s_brev_b32 s4, 1
	s_movk_i32 s5, 0x7fff
	s_waitcnt vmcnt(0)
	v_lshlrev_b16_e32 v5, 8, v4
	v_lshlrev_b32_e32 v4, 25, v4
	v_lshrrev_b32_e32 v6, 4, v4
	v_and_or_b32 v7, v5, s2, 0.5
	v_or_b32_e32 v6, 0x70000000, v6
	v_add_f32_e32 v7, -0.5, v7
	v_mul_f32_e32 v6, 0x7800000, v6
	v_cmp_gt_u32_e32 vcc, s3, v4
	v_bfe_i32 v5, v5, 0, 16
	v_cndmask_b32_e32 v4, v6, v7, vcc
	v_and_or_b32 v5, v5, s4, v4
	v_bfe_u32 v4, v4, 16, 1
	v_add3_u32 v4, v5, v4, s5
	v_cmp_o_f32_e32 vcc, v5, v5
	v_mov_b32_e32 v5, 0x7fc0
	v_cndmask_b32_sdwa v4, v5, v4, vcc dst_sel:DWORD dst_unused:UNUSED_PAD src0_sel:DWORD src1_sel:WORD_1
.LBB198_584:
	s_mov_b64 s[4:5], 0
	s_mov_b64 s[2:3], -1
.LBB198_585:
	s_andn2_b64 vcc, exec, s[4:5]
	s_cbranch_vccnz .LBB198_598
; %bb.586:
	s_cmp_gt_i32 s39, 14
	s_cbranch_scc0 .LBB198_589
; %bb.587:
	s_cmp_eq_u32 s39, 15
	s_cbranch_scc0 .LBB198_592
; %bb.588:
	global_load_ushort v4, v[0:1], off
	s_mov_b64 s[2:3], -1
	s_mov_b64 s[30:31], 0
	s_branch .LBB198_593
.LBB198_589:
	s_mov_b64 s[4:5], -1
                                        ; implicit-def: $vgpr4
	s_branch .LBB198_594
.LBB198_590:
	s_or_saveexec_b64 s[4:5], s[4:5]
	v_mov_b32_e32 v5, 0x7f800001
	s_xor_b64 exec, exec, s[4:5]
	s_cbranch_execz .LBB198_571
.LBB198_591:
	v_cmp_ne_u16_e32 vcc, 0, v4
	s_andn2_b64 s[2:3], s[2:3], exec
	s_and_b64 s[34:35], vcc, exec
	v_mov_b32_e32 v5, 0
	s_or_b64 s[2:3], s[2:3], s[34:35]
	s_or_b64 exec, exec, s[4:5]
	s_and_saveexec_b64 s[4:5], s[2:3]
	s_cbranch_execnz .LBB198_572
	s_branch .LBB198_573
.LBB198_592:
	s_mov_b64 s[30:31], -1
                                        ; implicit-def: $vgpr4
.LBB198_593:
	s_mov_b64 s[4:5], 0
.LBB198_594:
	s_and_b64 vcc, exec, s[4:5]
	s_cbranch_vccz .LBB198_598
; %bb.595:
	s_cmp_eq_u32 s39, 11
	s_cbranch_scc0 .LBB198_597
; %bb.596:
	global_load_ubyte v4, v[0:1], off
	s_mov_b64 s[2:3], -1
	s_mov_b64 s[30:31], 0
	s_waitcnt vmcnt(0)
	v_cmp_ne_u16_e32 vcc, 0, v4
	v_cndmask_b32_e64 v4, 0, 1.0, vcc
	v_lshrrev_b32_e32 v4, 16, v4
	s_branch .LBB198_598
.LBB198_597:
	s_mov_b64 s[30:31], -1
                                        ; implicit-def: $vgpr4
.LBB198_598:
	s_mov_b64 s[4:5], 0
.LBB198_599:
	s_and_b64 vcc, exec, s[4:5]
	s_cbranch_vccz .LBB198_648
; %bb.600:
	s_and_b32 s4, 0xffff, s38
	s_cmp_lt_i32 s4, 5
	s_cbranch_scc1 .LBB198_605
; %bb.601:
	s_cmp_lt_i32 s4, 8
	s_cbranch_scc1 .LBB198_606
; %bb.602:
	;; [unrolled: 3-line block ×3, first 2 shown]
	s_cmp_gt_i32 s4, 9
	s_cbranch_scc0 .LBB198_608
; %bb.604:
	global_load_dwordx2 v[4:5], v[0:1], off
	s_movk_i32 s2, 0x7fff
	s_waitcnt vmcnt(0)
	v_cvt_f32_f64_e32 v4, v[4:5]
	v_mov_b32_e32 v5, 0x7fc0
	v_bfe_u32 v6, v4, 16, 1
	v_cmp_o_f32_e32 vcc, v4, v4
	v_add3_u32 v4, v4, v6, s2
	v_cndmask_b32_sdwa v4, v5, v4, vcc dst_sel:DWORD dst_unused:UNUSED_PAD src0_sel:DWORD src1_sel:WORD_1
	s_mov_b64 s[2:3], 0
	s_branch .LBB198_609
.LBB198_605:
	s_mov_b64 s[2:3], -1
                                        ; implicit-def: $vgpr4
	s_branch .LBB198_627
.LBB198_606:
	s_mov_b64 s[2:3], -1
                                        ; implicit-def: $vgpr4
	s_branch .LBB198_615
.LBB198_607:
	s_mov_b64 s[2:3], -1
                                        ; implicit-def: $vgpr4
	s_branch .LBB198_612
.LBB198_608:
	s_mov_b64 s[2:3], -1
                                        ; implicit-def: $vgpr4
.LBB198_609:
	s_andn2_b64 vcc, exec, s[2:3]
	s_cbranch_vccnz .LBB198_611
; %bb.610:
	global_load_dword v4, v[0:1], off
	s_movk_i32 s2, 0x7fff
	v_mov_b32_e32 v5, 0x7fc0
	s_waitcnt vmcnt(0)
	v_bfe_u32 v6, v4, 16, 1
	v_cmp_o_f32_e32 vcc, v4, v4
	v_add3_u32 v4, v4, v6, s2
	v_cndmask_b32_sdwa v4, v5, v4, vcc dst_sel:DWORD dst_unused:UNUSED_PAD src0_sel:DWORD src1_sel:WORD_1
.LBB198_611:
	s_mov_b64 s[2:3], 0
.LBB198_612:
	s_andn2_b64 vcc, exec, s[2:3]
	s_cbranch_vccnz .LBB198_614
; %bb.613:
	global_load_dword v4, v[0:1], off
	s_movk_i32 s2, 0x7fff
	v_mov_b32_e32 v6, 0x7fc0
	s_waitcnt vmcnt(0)
	v_cvt_f32_f16_e32 v5, v4
	v_cmp_o_f16_e32 vcc, v4, v4
	v_bfe_u32 v4, v5, 16, 1
	v_add3_u32 v4, v5, v4, s2
	v_cndmask_b32_sdwa v4, v6, v4, vcc dst_sel:DWORD dst_unused:UNUSED_PAD src0_sel:DWORD src1_sel:WORD_1
.LBB198_614:
	s_mov_b64 s[2:3], 0
.LBB198_615:
	s_andn2_b64 vcc, exec, s[2:3]
	s_cbranch_vccnz .LBB198_626
; %bb.616:
	s_cmp_lt_i32 s4, 6
	s_cbranch_scc1 .LBB198_619
; %bb.617:
	s_cmp_gt_i32 s4, 6
	s_cbranch_scc0 .LBB198_620
; %bb.618:
	global_load_dwordx2 v[4:5], v[0:1], off
	s_movk_i32 s2, 0x7fff
	s_waitcnt vmcnt(0)
	v_cvt_f32_f64_e32 v4, v[4:5]
	v_mov_b32_e32 v5, 0x7fc0
	v_bfe_u32 v6, v4, 16, 1
	v_cmp_o_f32_e32 vcc, v4, v4
	v_add3_u32 v4, v4, v6, s2
	v_cndmask_b32_sdwa v4, v5, v4, vcc dst_sel:DWORD dst_unused:UNUSED_PAD src0_sel:DWORD src1_sel:WORD_1
	s_mov_b64 s[2:3], 0
	s_branch .LBB198_621
.LBB198_619:
	s_mov_b64 s[2:3], -1
                                        ; implicit-def: $vgpr4
	s_branch .LBB198_624
.LBB198_620:
	s_mov_b64 s[2:3], -1
                                        ; implicit-def: $vgpr4
.LBB198_621:
	s_andn2_b64 vcc, exec, s[2:3]
	s_cbranch_vccnz .LBB198_623
; %bb.622:
	global_load_dword v4, v[0:1], off
	s_movk_i32 s2, 0x7fff
	v_mov_b32_e32 v5, 0x7fc0
	s_waitcnt vmcnt(0)
	v_bfe_u32 v6, v4, 16, 1
	v_cmp_o_f32_e32 vcc, v4, v4
	v_add3_u32 v4, v4, v6, s2
	v_cndmask_b32_sdwa v4, v5, v4, vcc dst_sel:DWORD dst_unused:UNUSED_PAD src0_sel:DWORD src1_sel:WORD_1
.LBB198_623:
	s_mov_b64 s[2:3], 0
.LBB198_624:
	s_andn2_b64 vcc, exec, s[2:3]
	s_cbranch_vccnz .LBB198_626
; %bb.625:
	global_load_ushort v4, v[0:1], off
	s_movk_i32 s2, 0x7fff
	v_mov_b32_e32 v6, 0x7fc0
	s_waitcnt vmcnt(0)
	v_cvt_f32_f16_e32 v5, v4
	v_cmp_o_f16_e32 vcc, v4, v4
	v_bfe_u32 v4, v5, 16, 1
	v_add3_u32 v4, v5, v4, s2
	v_cndmask_b32_sdwa v4, v6, v4, vcc dst_sel:DWORD dst_unused:UNUSED_PAD src0_sel:DWORD src1_sel:WORD_1
.LBB198_626:
	s_mov_b64 s[2:3], 0
.LBB198_627:
	s_andn2_b64 vcc, exec, s[2:3]
	s_cbranch_vccnz .LBB198_647
; %bb.628:
	s_cmp_lt_i32 s4, 2
	s_cbranch_scc1 .LBB198_632
; %bb.629:
	s_cmp_lt_i32 s4, 3
	s_cbranch_scc1 .LBB198_633
; %bb.630:
	s_cmp_gt_i32 s4, 3
	s_cbranch_scc0 .LBB198_634
; %bb.631:
	global_load_dwordx2 v[4:5], v[0:1], off
	s_movk_i32 s2, 0x7fff
	s_waitcnt vmcnt(0)
	v_xor_b32_e32 v7, v4, v5
	v_ffbh_i32_e32 v6, v5
	v_ashrrev_i32_e32 v7, 31, v7
	v_add_u32_e32 v6, -1, v6
	v_add_u32_e32 v7, 32, v7
	v_min_u32_e32 v6, v6, v7
	v_lshlrev_b64 v[4:5], v6, v[4:5]
	v_min_u32_e32 v4, 1, v4
	v_or_b32_e32 v4, v5, v4
	v_cvt_f32_i32_e32 v4, v4
	v_sub_u32_e32 v5, 32, v6
	v_ldexp_f32 v4, v4, v5
	v_bfe_u32 v5, v4, 16, 1
	v_add3_u32 v4, v4, v5, s2
	v_lshrrev_b32_e32 v4, 16, v4
	s_mov_b64 s[2:3], 0
	s_branch .LBB198_635
.LBB198_632:
	s_mov_b64 s[2:3], -1
                                        ; implicit-def: $vgpr4
	s_branch .LBB198_641
.LBB198_633:
	s_mov_b64 s[2:3], -1
                                        ; implicit-def: $vgpr4
	s_branch .LBB198_638
.LBB198_634:
	s_mov_b64 s[2:3], -1
                                        ; implicit-def: $vgpr4
.LBB198_635:
	s_andn2_b64 vcc, exec, s[2:3]
	s_cbranch_vccnz .LBB198_637
; %bb.636:
	global_load_dword v4, v[0:1], off
	s_movk_i32 s2, 0x7fff
	s_waitcnt vmcnt(0)
	v_cvt_f32_i32_e32 v4, v4
	v_bfe_u32 v5, v4, 16, 1
	v_add3_u32 v4, v4, v5, s2
	v_lshrrev_b32_e32 v4, 16, v4
.LBB198_637:
	s_mov_b64 s[2:3], 0
.LBB198_638:
	s_andn2_b64 vcc, exec, s[2:3]
	s_cbranch_vccnz .LBB198_640
; %bb.639:
	global_load_sshort v4, v[0:1], off
	s_movk_i32 s2, 0x7fff
	s_waitcnt vmcnt(0)
	v_cvt_f32_i32_e32 v4, v4
	v_bfe_u32 v5, v4, 16, 1
	v_add3_u32 v4, v4, v5, s2
	v_lshrrev_b32_e32 v4, 16, v4
.LBB198_640:
	s_mov_b64 s[2:3], 0
.LBB198_641:
	s_andn2_b64 vcc, exec, s[2:3]
	s_cbranch_vccnz .LBB198_647
; %bb.642:
	s_cmp_gt_i32 s4, 0
	s_cbranch_scc0 .LBB198_644
; %bb.643:
	global_load_sbyte v4, v[0:1], off
	s_movk_i32 s2, 0x7fff
	s_waitcnt vmcnt(0)
	v_cvt_f32_i32_e32 v4, v4
	v_bfe_u32 v5, v4, 16, 1
	v_add3_u32 v4, v4, v5, s2
	v_lshrrev_b32_e32 v4, 16, v4
	s_mov_b64 s[2:3], 0
	s_branch .LBB198_645
.LBB198_644:
	s_mov_b64 s[2:3], -1
                                        ; implicit-def: $vgpr4
.LBB198_645:
	s_andn2_b64 vcc, exec, s[2:3]
	s_cbranch_vccnz .LBB198_647
; %bb.646:
	global_load_ubyte v0, v[0:1], off
	s_movk_i32 s2, 0x7fff
	s_waitcnt vmcnt(0)
	v_cvt_f32_ubyte0_e32 v0, v0
	v_bfe_u32 v1, v0, 16, 1
	v_add3_u32 v0, v0, v1, s2
	v_lshrrev_b32_e32 v4, 16, v0
.LBB198_647:
	s_mov_b64 s[2:3], -1
.LBB198_648:
	s_andn2_b64 vcc, exec, s[2:3]
	s_cbranch_vccnz .LBB198_656
; %bb.649:
	s_waitcnt vmcnt(0)
	v_lshlrev_b32_e32 v0, 16, v3
	v_lshlrev_b32_e32 v1, 16, v4
	v_cmp_eq_f32_e32 vcc, v0, v1
	v_cndmask_b32_e64 v3, 0, 1, vcc
	v_cmp_neq_f32_e32 vcc, v0, v1
	v_mul_lo_u32 v1, v2, s12
	v_cndmask_b32_e64 v0, 0, 1, vcc
	v_cndmask_b32_e64 v0, v0, v3, s[0:1]
	v_and_b32_e32 v0, 1, v0
	v_cmp_eq_u32_e64 s[2:3], 1, v0
	v_ashrrev_i32_e32 v3, 31, v1
	v_mov_b32_e32 v4, s9
	s_and_b32 s42, s33, 0xff
	v_add_co_u32_e32 v0, vcc, s8, v1
	s_cmp_lt_i32 s42, 11
	v_addc_co_u32_e32 v1, vcc, v4, v3, vcc
	s_cbranch_scc1 .LBB198_657
; %bb.650:
	s_and_b32 s43, 0xffff, s42
	s_cmp_gt_i32 s43, 25
	s_cbranch_scc0 .LBB198_658
; %bb.651:
	s_cmp_gt_i32 s43, 28
	s_cbranch_scc0 .LBB198_659
; %bb.652:
	;; [unrolled: 3-line block ×4, first 2 shown]
	s_mov_b64 s[38:39], 0
	s_mov_b64 s[4:5], -1
	s_cmp_eq_u32 s43, 46
	s_mov_b64 s[34:35], 0
	s_cbranch_scc0 .LBB198_662
; %bb.655:
	v_cndmask_b32_e64 v3, 0, 1.0, s[2:3]
	v_bfe_u32 v4, v3, 16, 1
	s_movk_i32 s4, 0x7fff
	v_add3_u32 v3, v3, v4, s4
	v_lshrrev_b32_e32 v3, 16, v3
	global_store_dword v[0:1], v3, off
	s_mov_b64 s[34:35], -1
	s_mov_b64 s[4:5], 0
	s_branch .LBB198_662
.LBB198_656:
	s_mov_b64 s[2:3], 0
                                        ; implicit-def: $vgpr2
	s_mov_b64 s[4:5], s[20:21]
	s_branch .LBB198_772
.LBB198_657:
	s_mov_b64 s[38:39], -1
	s_mov_b64 s[34:35], 0
	s_mov_b64 s[4:5], s[20:21]
	s_branch .LBB198_731
.LBB198_658:
	s_mov_b64 s[38:39], -1
	s_mov_b64 s[34:35], 0
	s_mov_b64 s[4:5], s[20:21]
	s_branch .LBB198_689
.LBB198_659:
	s_mov_b64 s[38:39], -1
	s_mov_b64 s[34:35], 0
	s_mov_b64 s[4:5], s[20:21]
	s_branch .LBB198_672
.LBB198_660:
	s_mov_b64 s[38:39], -1
	s_mov_b64 s[34:35], 0
	s_mov_b64 s[4:5], s[20:21]
	s_branch .LBB198_668
.LBB198_661:
	s_mov_b64 s[38:39], -1
	s_mov_b64 s[34:35], 0
	s_mov_b64 s[4:5], s[20:21]
.LBB198_662:
	s_and_b64 vcc, exec, s[38:39]
	s_cbranch_vccz .LBB198_667
; %bb.663:
	s_cmp_eq_u32 s43, 44
	s_mov_b64 s[4:5], -1
	s_cbranch_scc0 .LBB198_667
; %bb.664:
	v_cndmask_b32_e64 v4, 0, 1.0, s[2:3]
	v_lshrrev_b32_e32 v3, 23, v4
	s_movk_i32 s4, 0xff
	v_cmp_ne_u32_e32 vcc, s4, v3
	v_mov_b32_e32 v5, 0xff
	s_and_saveexec_b64 s[34:35], vcc
; %bb.665:
	s_mov_b32 s4, 0x3fffff
	v_and_b32_e32 v5, 0x400000, v4
	v_and_or_b32 v4, v4, s4, v3
	v_cmp_ne_u32_e32 vcc, 0, v5
	v_cmp_ne_u32_e64 s[4:5], 0, v4
	s_and_b64 s[4:5], vcc, s[4:5]
	v_cndmask_b32_e64 v4, 0, 1, s[4:5]
	v_add_u32_e32 v5, v3, v4
; %bb.666:
	s_or_b64 exec, exec, s[34:35]
	s_mov_b64 s[34:35], -1
	s_mov_b64 s[4:5], 0
	global_store_byte v[0:1], v5, off
.LBB198_667:
	s_mov_b64 s[38:39], 0
.LBB198_668:
	s_and_b64 vcc, exec, s[38:39]
	s_cbranch_vccz .LBB198_671
; %bb.669:
	s_cmp_eq_u32 s43, 29
	s_mov_b64 s[4:5], -1
	s_cbranch_scc0 .LBB198_671
; %bb.670:
	s_mov_b32 s4, 0
	v_cndmask_b32_e64 v3, 0, 1, s[2:3]
	v_mov_b32_e32 v4, s4
	global_store_dwordx2 v[0:1], v[3:4], off
	s_mov_b64 s[34:35], -1
	s_mov_b64 s[4:5], 0
.LBB198_671:
	s_mov_b64 s[38:39], 0
.LBB198_672:
	s_and_b64 vcc, exec, s[38:39]
	s_cbranch_vccz .LBB198_688
; %bb.673:
	s_cmp_lt_i32 s43, 27
	s_mov_b64 s[34:35], -1
	s_cbranch_scc1 .LBB198_679
; %bb.674:
	s_cmp_gt_i32 s43, 27
	s_cbranch_scc0 .LBB198_676
; %bb.675:
	v_cndmask_b32_e64 v3, 0, 1, s[2:3]
	s_mov_b64 s[34:35], 0
	global_store_dword v[0:1], v3, off
.LBB198_676:
	s_andn2_b64 vcc, exec, s[34:35]
	s_cbranch_vccnz .LBB198_678
; %bb.677:
	v_cndmask_b32_e64 v3, 0, 1, s[2:3]
	global_store_short v[0:1], v3, off
.LBB198_678:
	s_mov_b64 s[34:35], 0
.LBB198_679:
	s_andn2_b64 vcc, exec, s[34:35]
	s_cbranch_vccnz .LBB198_687
; %bb.680:
	v_cndmask_b32_e64 v4, 0, 1.0, s[2:3]
	s_mov_b32 s34, 0x43800000
	v_cmp_gt_u32_e32 vcc, s34, v4
	v_mov_b32_e32 v5, 0x80
	s_and_saveexec_b64 s[34:35], vcc
	s_cbranch_execz .LBB198_686
; %bb.681:
	s_mov_b32 s38, 0x3bffffff
	v_cmp_lt_u32_e32 vcc, s38, v4
	s_mov_b64 s[38:39], 0
                                        ; implicit-def: $vgpr3
	s_and_saveexec_b64 s[40:41], vcc
	s_xor_b64 s[40:41], exec, s[40:41]
	s_cbranch_execz .LBB198_788
; %bb.682:
	v_bfe_u32 v3, v4, 20, 1
	s_mov_b32 s44, 0x487ffff
	v_add3_u32 v3, v4, v3, s44
	s_mov_b64 s[38:39], exec
	v_lshrrev_b32_e32 v3, 20, v3
                                        ; implicit-def: $vgpr4
	s_andn2_saveexec_b64 s[40:41], s[40:41]
	s_cbranch_execnz .LBB198_789
.LBB198_683:
	s_or_b64 exec, exec, s[40:41]
	v_mov_b32_e32 v5, 0
	s_and_saveexec_b64 s[40:41], s[38:39]
.LBB198_684:
	v_mov_b32_e32 v5, v3
.LBB198_685:
	s_or_b64 exec, exec, s[40:41]
.LBB198_686:
	s_or_b64 exec, exec, s[34:35]
	global_store_byte v[0:1], v5, off
.LBB198_687:
	s_mov_b64 s[34:35], -1
.LBB198_688:
	s_mov_b64 s[38:39], 0
.LBB198_689:
	s_and_b64 vcc, exec, s[38:39]
	s_cbranch_vccz .LBB198_730
; %bb.690:
	s_cmp_gt_i32 s43, 22
	s_mov_b64 s[38:39], -1
	s_cbranch_scc0 .LBB198_722
; %bb.691:
	s_cmp_lt_i32 s43, 24
	s_mov_b64 s[34:35], -1
	s_cbranch_scc1 .LBB198_711
; %bb.692:
	s_cmp_gt_i32 s43, 24
	s_cbranch_scc0 .LBB198_700
; %bb.693:
	v_cndmask_b32_e64 v4, 0, 1.0, s[2:3]
	s_mov_b32 s34, 0x47800000
	v_cmp_gt_u32_e32 vcc, s34, v4
	v_mov_b32_e32 v5, 0x80
	s_and_saveexec_b64 s[34:35], vcc
	s_cbranch_execz .LBB198_699
; %bb.694:
	s_mov_b32 s38, 0x37ffffff
	v_cmp_lt_u32_e32 vcc, s38, v4
	s_mov_b64 s[38:39], 0
                                        ; implicit-def: $vgpr3
	s_and_saveexec_b64 s[40:41], vcc
	s_xor_b64 s[40:41], exec, s[40:41]
	s_cbranch_execz .LBB198_920
; %bb.695:
	v_bfe_u32 v3, v4, 21, 1
	s_mov_b32 s44, 0x88fffff
	v_add3_u32 v3, v4, v3, s44
	s_mov_b64 s[38:39], exec
	v_lshrrev_b32_e32 v3, 21, v3
                                        ; implicit-def: $vgpr4
	s_andn2_saveexec_b64 s[40:41], s[40:41]
	s_cbranch_execnz .LBB198_921
.LBB198_696:
	s_or_b64 exec, exec, s[40:41]
	v_mov_b32_e32 v5, 0
	s_and_saveexec_b64 s[40:41], s[38:39]
.LBB198_697:
	v_mov_b32_e32 v5, v3
.LBB198_698:
	s_or_b64 exec, exec, s[40:41]
.LBB198_699:
	s_or_b64 exec, exec, s[34:35]
	s_mov_b64 s[34:35], 0
	global_store_byte v[0:1], v5, off
.LBB198_700:
	s_and_b64 vcc, exec, s[34:35]
	s_cbranch_vccz .LBB198_710
; %bb.701:
	v_cndmask_b32_e64 v3, 0, 1.0, s[2:3]
	s_mov_b32 s34, 0x43f00000
	v_cmp_gt_u32_e32 vcc, s34, v3
                                        ; implicit-def: $vgpr4
	s_and_saveexec_b64 s[34:35], vcc
	s_xor_b64 s[34:35], exec, s[34:35]
	s_cbranch_execz .LBB198_707
; %bb.702:
	s_mov_b32 s38, 0x3c7fffff
	v_cmp_lt_u32_e32 vcc, s38, v3
                                        ; implicit-def: $vgpr4
	s_and_saveexec_b64 s[38:39], vcc
	s_xor_b64 s[38:39], exec, s[38:39]
; %bb.703:
	v_bfe_u32 v4, v3, 20, 1
	s_mov_b32 s40, 0x407ffff
	v_add3_u32 v3, v3, v4, s40
	v_lshrrev_b32_e32 v4, 20, v3
	v_and_b32_e32 v3, 0xff00000, v3
	s_mov_b32 s40, 0x7f00000
	v_mov_b32_e32 v5, 0x7e
	v_cmp_ne_u32_e32 vcc, s40, v3
	v_cndmask_b32_e32 v4, v5, v4, vcc
                                        ; implicit-def: $vgpr3
; %bb.704:
	s_andn2_saveexec_b64 s[38:39], s[38:39]
; %bb.705:
	v_add_f32_e32 v4, 0x46800000, v3
; %bb.706:
	s_or_b64 exec, exec, s[38:39]
                                        ; implicit-def: $vgpr3
.LBB198_707:
	s_andn2_saveexec_b64 s[34:35], s[34:35]
; %bb.708:
	s_mov_b32 s38, 0x7f800000
	v_mov_b32_e32 v4, 0x7e
	v_mov_b32_e32 v5, 0x7f
	v_cmp_lt_u32_e32 vcc, s38, v3
	v_cndmask_b32_e32 v4, v4, v5, vcc
; %bb.709:
	s_or_b64 exec, exec, s[34:35]
	global_store_byte v[0:1], v4, off
.LBB198_710:
	s_mov_b64 s[34:35], 0
.LBB198_711:
	s_andn2_b64 vcc, exec, s[34:35]
	s_cbranch_vccnz .LBB198_721
; %bb.712:
	v_cndmask_b32_e64 v3, 0, 1.0, s[2:3]
	s_mov_b32 s34, 0x47800000
	v_cmp_gt_u32_e32 vcc, s34, v3
                                        ; implicit-def: $vgpr4
	s_and_saveexec_b64 s[34:35], vcc
	s_xor_b64 s[34:35], exec, s[34:35]
	s_cbranch_execz .LBB198_718
; %bb.713:
	s_mov_b32 s38, 0x387fffff
	v_cmp_lt_u32_e32 vcc, s38, v3
                                        ; implicit-def: $vgpr4
	s_and_saveexec_b64 s[38:39], vcc
	s_xor_b64 s[38:39], exec, s[38:39]
; %bb.714:
	v_bfe_u32 v4, v3, 21, 1
	s_mov_b32 s40, 0x80fffff
	v_add3_u32 v3, v3, v4, s40
	v_lshrrev_b32_e32 v4, 21, v3
                                        ; implicit-def: $vgpr3
; %bb.715:
	s_andn2_saveexec_b64 s[38:39], s[38:39]
; %bb.716:
	v_add_f32_e32 v4, 0x43000000, v3
; %bb.717:
	s_or_b64 exec, exec, s[38:39]
                                        ; implicit-def: $vgpr3
.LBB198_718:
	s_andn2_saveexec_b64 s[34:35], s[34:35]
; %bb.719:
	s_mov_b32 s38, 0x7f800000
	v_mov_b32_e32 v4, 0x7c
	v_mov_b32_e32 v5, 0x7f
	v_cmp_lt_u32_e32 vcc, s38, v3
	v_cndmask_b32_e32 v4, v4, v5, vcc
; %bb.720:
	s_or_b64 exec, exec, s[34:35]
	global_store_byte v[0:1], v4, off
.LBB198_721:
	s_mov_b64 s[38:39], 0
	s_mov_b64 s[34:35], -1
.LBB198_722:
	s_andn2_b64 vcc, exec, s[38:39]
	s_cbranch_vccnz .LBB198_730
; %bb.723:
	s_cmp_gt_i32 s43, 14
	s_mov_b64 s[38:39], -1
	s_cbranch_scc0 .LBB198_727
; %bb.724:
	s_cmp_eq_u32 s43, 15
	s_mov_b64 s[4:5], -1
	s_cbranch_scc0 .LBB198_726
; %bb.725:
	v_cndmask_b32_e64 v3, 0, 1.0, s[2:3]
	v_bfe_u32 v4, v3, 16, 1
	s_movk_i32 s4, 0x7fff
	v_add3_u32 v3, v3, v4, s4
	global_store_short_d16_hi v[0:1], v3, off
	s_mov_b64 s[34:35], -1
	s_mov_b64 s[4:5], 0
.LBB198_726:
	s_mov_b64 s[38:39], 0
.LBB198_727:
	s_and_b64 vcc, exec, s[38:39]
	s_cbranch_vccz .LBB198_730
; %bb.728:
	s_cmp_eq_u32 s43, 11
	s_mov_b64 s[4:5], -1
	s_cbranch_scc0 .LBB198_730
; %bb.729:
	v_cndmask_b32_e64 v3, 0, 1, s[2:3]
	s_mov_b64 s[34:35], -1
	s_mov_b64 s[4:5], 0
	global_store_byte v[0:1], v3, off
.LBB198_730:
	s_mov_b64 s[38:39], 0
.LBB198_731:
	s_and_b64 vcc, exec, s[38:39]
	s_cbranch_vccz .LBB198_770
; %bb.732:
	s_and_b32 s38, 0xffff, s42
	s_cmp_lt_i32 s38, 5
	s_mov_b64 s[34:35], -1
	s_cbranch_scc1 .LBB198_753
; %bb.733:
	s_cmp_lt_i32 s38, 8
	s_cbranch_scc1 .LBB198_743
; %bb.734:
	s_cmp_lt_i32 s38, 9
	s_cbranch_scc1 .LBB198_740
; %bb.735:
	s_cmp_gt_i32 s38, 9
	s_cbranch_scc0 .LBB198_737
; %bb.736:
	v_cndmask_b32_e64 v3, 0, 1, s[2:3]
	v_cvt_f64_u32_e32 v[3:4], v3
	v_mov_b32_e32 v5, 0
	v_mov_b32_e32 v6, v5
	s_mov_b64 s[34:35], 0
	global_store_dwordx4 v[0:1], v[3:6], off
.LBB198_737:
	s_andn2_b64 vcc, exec, s[34:35]
	s_cbranch_vccnz .LBB198_739
; %bb.738:
	v_cndmask_b32_e64 v3, 0, 1.0, s[2:3]
	v_mov_b32_e32 v4, 0
	global_store_dwordx2 v[0:1], v[3:4], off
.LBB198_739:
	s_mov_b64 s[34:35], 0
.LBB198_740:
	s_andn2_b64 vcc, exec, s[34:35]
	s_cbranch_vccnz .LBB198_742
; %bb.741:
	v_cndmask_b32_e64 v3, 0, 1.0, s[2:3]
	v_cvt_f16_f32_e32 v3, v3
	global_store_dword v[0:1], v3, off
.LBB198_742:
	s_mov_b64 s[34:35], 0
.LBB198_743:
	s_andn2_b64 vcc, exec, s[34:35]
	s_cbranch_vccnz .LBB198_752
; %bb.744:
	s_cmp_lt_i32 s38, 6
	s_mov_b64 s[34:35], -1
	s_cbranch_scc1 .LBB198_750
; %bb.745:
	s_cmp_gt_i32 s38, 6
	s_cbranch_scc0 .LBB198_747
; %bb.746:
	v_cndmask_b32_e64 v3, 0, 1, s[2:3]
	v_cvt_f64_u32_e32 v[3:4], v3
	s_mov_b64 s[34:35], 0
	global_store_dwordx2 v[0:1], v[3:4], off
.LBB198_747:
	s_andn2_b64 vcc, exec, s[34:35]
	s_cbranch_vccnz .LBB198_749
; %bb.748:
	v_cndmask_b32_e64 v3, 0, 1.0, s[2:3]
	global_store_dword v[0:1], v3, off
.LBB198_749:
	s_mov_b64 s[34:35], 0
.LBB198_750:
	s_andn2_b64 vcc, exec, s[34:35]
	s_cbranch_vccnz .LBB198_752
; %bb.751:
	v_cndmask_b32_e64 v3, 0, 1.0, s[2:3]
	v_cvt_f16_f32_e32 v3, v3
	global_store_short v[0:1], v3, off
.LBB198_752:
	s_mov_b64 s[34:35], 0
.LBB198_753:
	s_andn2_b64 vcc, exec, s[34:35]
	s_cbranch_vccnz .LBB198_769
; %bb.754:
	s_cmp_lt_i32 s38, 2
	s_mov_b64 s[34:35], -1
	s_cbranch_scc1 .LBB198_764
; %bb.755:
	s_cmp_lt_i32 s38, 3
	s_cbranch_scc1 .LBB198_761
; %bb.756:
	s_cmp_gt_i32 s38, 3
	s_cbranch_scc0 .LBB198_758
; %bb.757:
	s_mov_b32 s34, 0
	v_cndmask_b32_e64 v3, 0, 1, s[2:3]
	v_mov_b32_e32 v4, s34
	s_mov_b64 s[34:35], 0
	global_store_dwordx2 v[0:1], v[3:4], off
.LBB198_758:
	s_andn2_b64 vcc, exec, s[34:35]
	s_cbranch_vccnz .LBB198_760
; %bb.759:
	v_cndmask_b32_e64 v3, 0, 1, s[2:3]
	global_store_dword v[0:1], v3, off
.LBB198_760:
	s_mov_b64 s[34:35], 0
.LBB198_761:
	s_andn2_b64 vcc, exec, s[34:35]
	s_cbranch_vccnz .LBB198_763
; %bb.762:
	v_cndmask_b32_e64 v3, 0, 1, s[2:3]
	global_store_short v[0:1], v3, off
.LBB198_763:
	s_mov_b64 s[34:35], 0
.LBB198_764:
	s_andn2_b64 vcc, exec, s[34:35]
	s_cbranch_vccnz .LBB198_769
; %bb.765:
	s_mov_b64 s[34:35], -1
	s_cmp_gt_i32 s38, 0
	v_cndmask_b32_e64 v3, 0, 1, s[2:3]
	s_cbranch_scc0 .LBB198_767
; %bb.766:
	s_mov_b64 s[34:35], 0
	global_store_byte v[0:1], v3, off
.LBB198_767:
	s_andn2_b64 vcc, exec, s[34:35]
	s_cbranch_vccnz .LBB198_769
; %bb.768:
	global_store_byte v[0:1], v3, off
.LBB198_769:
	s_mov_b64 s[34:35], -1
.LBB198_770:
	s_andn2_b64 vcc, exec, s[34:35]
	s_cbranch_vccnz .LBB198_783
; %bb.771:
	v_add_u32_e32 v2, 0x80, v2
	s_mov_b64 s[2:3], -1
.LBB198_772:
	s_andn2_b64 s[34:35], s[20:21], exec
	s_and_b64 s[4:5], s[4:5], exec
	s_or_b64 s[34:35], s[34:35], s[4:5]
	s_andn2_b64 s[4:5], s[22:23], exec
	s_and_b64 s[30:31], s[30:31], exec
	s_or_b64 s[30:31], s[4:5], s[30:31]
	;; [unrolled: 3-line block ×3, first 2 shown]
	s_orn2_b64 s[2:3], s[2:3], exec
.LBB198_773:
	s_or_b64 exec, exec, s[36:37]
	s_mov_b64 s[4:5], 0
	s_mov_b64 s[38:39], 0
	s_mov_b64 s[40:41], 0
                                        ; implicit-def: $sgpr58
                                        ; implicit-def: $vgpr0_vgpr1
                                        ; implicit-def: $vgpr3
	s_and_saveexec_b64 s[36:37], s[2:3]
	s_cbranch_execz .LBB198_1247
; %bb.774:
	v_cmp_gt_i32_e32 vcc, s50, v2
	s_mov_b64 s[48:49], -1
	s_mov_b64 s[2:3], s[28:29]
	s_mov_b64 s[4:5], s[30:31]
	;; [unrolled: 1-line block ×3, first 2 shown]
	s_and_saveexec_b64 s[38:39], vcc
	s_cbranch_execz .LBB198_1162
; %bb.775:
	v_mul_lo_u32 v0, v2, s13
	v_mov_b32_e32 v1, s11
	s_and_b32 s44, s57, 0xff
	s_cmp_lt_i32 s44, 11
	s_waitcnt vmcnt(0)
	v_ashrrev_i32_e32 v3, 31, v0
	v_add_co_u32_e32 v0, vcc, s10, v0
	v_addc_co_u32_e32 v1, vcc, v1, v3, vcc
	s_cbranch_scc1 .LBB198_782
; %bb.776:
	s_and_b32 s45, 0xffff, s44
	s_cmp_gt_i32 s45, 25
	s_cbranch_scc0 .LBB198_784
; %bb.777:
	s_cmp_gt_i32 s45, 28
	s_cbranch_scc0 .LBB198_785
; %bb.778:
	;; [unrolled: 3-line block ×4, first 2 shown]
	s_cmp_eq_u32 s45, 46
	s_mov_b64 s[4:5], 0
	s_cbranch_scc0 .LBB198_790
; %bb.781:
	global_load_dword v3, v[0:1], off
	s_mov_b64 s[2:3], -1
	s_branch .LBB198_791
.LBB198_782:
	s_mov_b64 s[4:5], -1
	s_mov_b64 s[2:3], 0
                                        ; implicit-def: $vgpr3
	s_mov_b64 s[40:41], s[28:29]
	s_branch .LBB198_856
.LBB198_783:
	s_mov_b64 s[2:3], 0
	s_branch .LBB198_530
.LBB198_784:
	s_mov_b64 s[4:5], -1
	s_mov_b64 s[2:3], 0
	s_mov_b64 s[40:41], s[28:29]
                                        ; implicit-def: $vgpr3
	s_branch .LBB198_820
.LBB198_785:
	s_mov_b64 s[4:5], -1
	s_mov_b64 s[2:3], 0
	s_mov_b64 s[40:41], s[28:29]
                                        ; implicit-def: $vgpr3
	s_branch .LBB198_801
.LBB198_786:
	s_mov_b64 s[4:5], -1
	s_mov_b64 s[2:3], 0
	s_mov_b64 s[40:41], s[28:29]
                                        ; implicit-def: $vgpr3
	s_branch .LBB198_796
.LBB198_787:
	s_mov_b64 s[4:5], -1
	s_mov_b64 s[2:3], 0
	s_mov_b64 s[40:41], s[28:29]
                                        ; implicit-def: $vgpr3
	s_branch .LBB198_791
.LBB198_788:
	s_andn2_saveexec_b64 s[40:41], s[40:41]
	s_cbranch_execz .LBB198_683
.LBB198_789:
	v_add_f32_e32 v3, 0x46000000, v4
	v_and_b32_e32 v3, 0xff, v3
	v_cmp_ne_u32_e32 vcc, 0, v3
	s_andn2_b64 s[38:39], s[38:39], exec
	s_and_b64 s[44:45], vcc, exec
	s_or_b64 s[38:39], s[38:39], s[44:45]
	s_or_b64 exec, exec, s[40:41]
	v_mov_b32_e32 v5, 0
	s_and_saveexec_b64 s[40:41], s[38:39]
	s_cbranch_execnz .LBB198_684
	s_branch .LBB198_685
.LBB198_790:
	s_mov_b64 s[40:41], -1
                                        ; implicit-def: $vgpr3
	s_mov_b64 s[2:3], 0
.LBB198_791:
	s_and_b64 vcc, exec, s[4:5]
	s_cbranch_vccz .LBB198_795
; %bb.792:
	s_cmp_eq_u32 s45, 44
	s_cbranch_scc0 .LBB198_794
; %bb.793:
	global_load_ubyte v3, v[0:1], off
	s_movk_i32 s4, 0xff
	v_mov_b32_e32 v4, 0x7f800001
	v_mov_b32_e32 v5, 0x400000
	;; [unrolled: 1-line block ×3, first 2 shown]
	s_mov_b64 s[2:3], -1
	s_mov_b64 s[40:41], 0
	s_waitcnt vmcnt(0)
	v_lshlrev_b32_e32 v7, 23, v3
	v_cmp_ne_u32_e32 vcc, s4, v3
	v_cndmask_b32_e32 v4, v4, v7, vcc
	v_cmp_ne_u32_e32 vcc, 0, v3
	v_cndmask_b32_e32 v3, v5, v4, vcc
	v_add_u32_e32 v4, 0x7fff, v3
	v_cmp_o_f32_e32 vcc, v3, v3
	v_cndmask_b32_sdwa v3, v6, v4, vcc dst_sel:DWORD dst_unused:UNUSED_PAD src0_sel:DWORD src1_sel:WORD_1
	s_branch .LBB198_795
.LBB198_794:
	s_mov_b64 s[40:41], -1
                                        ; implicit-def: $vgpr3
.LBB198_795:
	s_mov_b64 s[4:5], 0
.LBB198_796:
	s_and_b64 vcc, exec, s[4:5]
	s_cbranch_vccz .LBB198_800
; %bb.797:
	s_cmp_eq_u32 s45, 29
	s_cbranch_scc0 .LBB198_799
; %bb.798:
	global_load_dwordx2 v[3:4], v[0:1], off
	s_movk_i32 s4, 0x7fff
	s_mov_b64 s[2:3], -1
	s_mov_b64 s[40:41], 0
	s_waitcnt vmcnt(0)
	v_ffbh_u32_e32 v5, v4
	v_min_u32_e32 v5, 32, v5
	v_lshlrev_b64 v[3:4], v5, v[3:4]
	v_min_u32_e32 v3, 1, v3
	v_or_b32_e32 v3, v4, v3
	v_cvt_f32_u32_e32 v3, v3
	v_sub_u32_e32 v4, 32, v5
	v_ldexp_f32 v3, v3, v4
	v_bfe_u32 v4, v3, 16, 1
	v_add3_u32 v3, v3, v4, s4
	v_lshrrev_b32_e32 v3, 16, v3
	s_branch .LBB198_800
.LBB198_799:
	s_mov_b64 s[40:41], -1
                                        ; implicit-def: $vgpr3
.LBB198_800:
	s_mov_b64 s[4:5], 0
.LBB198_801:
	s_and_b64 vcc, exec, s[4:5]
	s_cbranch_vccz .LBB198_819
; %bb.802:
	s_cmp_lt_i32 s45, 27
	s_cbranch_scc1 .LBB198_805
; %bb.803:
	s_cmp_gt_i32 s45, 27
	s_cbranch_scc0 .LBB198_806
; %bb.804:
	global_load_dword v3, v[0:1], off
	s_movk_i32 s2, 0x7fff
	s_waitcnt vmcnt(0)
	v_cvt_f32_u32_e32 v3, v3
	v_bfe_u32 v4, v3, 16, 1
	v_add3_u32 v3, v3, v4, s2
	v_lshrrev_b32_e32 v3, 16, v3
	s_mov_b64 s[2:3], 0
	s_branch .LBB198_807
.LBB198_805:
	s_mov_b64 s[2:3], -1
                                        ; implicit-def: $vgpr3
	s_branch .LBB198_810
.LBB198_806:
	s_mov_b64 s[2:3], -1
                                        ; implicit-def: $vgpr3
.LBB198_807:
	s_andn2_b64 vcc, exec, s[2:3]
	s_cbranch_vccnz .LBB198_809
; %bb.808:
	global_load_ushort v3, v[0:1], off
	s_movk_i32 s2, 0x7fff
	s_waitcnt vmcnt(0)
	v_cvt_f32_u32_e32 v3, v3
	v_bfe_u32 v4, v3, 16, 1
	v_add3_u32 v3, v3, v4, s2
	v_lshrrev_b32_e32 v3, 16, v3
.LBB198_809:
	s_mov_b64 s[2:3], 0
.LBB198_810:
	s_andn2_b64 vcc, exec, s[2:3]
	s_cbranch_vccnz .LBB198_818
; %bb.811:
	global_load_ubyte v3, v[0:1], off
	s_movk_i32 s2, 0x7f
	s_waitcnt vmcnt(0)
	v_cmp_lt_i16_e32 vcc, s2, v3
	s_mov_b64 s[2:3], 0
	s_and_saveexec_b64 s[4:5], vcc
	s_xor_b64 s[4:5], exec, s[4:5]
	s_cbranch_execz .LBB198_832
; %bb.812:
	s_movk_i32 s2, 0x80
	v_cmp_eq_u16_e32 vcc, s2, v3
	s_mov_b64 s[2:3], -1
	s_and_saveexec_b64 s[42:43], vcc
; %bb.813:
	s_xor_b64 s[2:3], exec, -1
; %bb.814:
	s_or_b64 exec, exec, s[42:43]
	s_and_b64 s[2:3], s[2:3], exec
	s_or_saveexec_b64 s[4:5], s[4:5]
	v_mov_b32_e32 v4, 0x7f800001
	s_xor_b64 exec, exec, s[4:5]
	s_cbranch_execnz .LBB198_833
.LBB198_815:
	s_or_b64 exec, exec, s[4:5]
	s_and_saveexec_b64 s[4:5], s[2:3]
	s_cbranch_execz .LBB198_817
.LBB198_816:
	v_lshlrev_b32_e32 v4, 24, v3
	v_and_b32_e32 v3, 0xffff, v3
	v_and_b32_e32 v5, 7, v3
	v_ffbh_u32_e32 v7, v5
	v_min_u32_e32 v7, 32, v7
	v_subrev_u32_e32 v8, 28, v7
	v_bfe_u32 v6, v3, 3, 4
	v_lshlrev_b32_e32 v3, v8, v3
	v_sub_u32_e32 v7, 29, v7
	v_and_b32_e32 v3, 7, v3
	v_cmp_eq_u32_e32 vcc, 0, v6
	v_cndmask_b32_e32 v6, v6, v7, vcc
	v_cndmask_b32_e32 v3, v5, v3, vcc
	v_mov_b32_e32 v5, 0x3b800000
	v_lshlrev_b32_e32 v3, 20, v3
	v_and_b32_e32 v4, 0x80000000, v4
	v_lshl_add_u32 v5, v6, 23, v5
	v_or3_b32 v4, v4, v5, v3
.LBB198_817:
	s_or_b64 exec, exec, s[4:5]
	v_bfe_u32 v3, v4, 16, 1
	s_movk_i32 s2, 0x7fff
	v_add3_u32 v3, v4, v3, s2
	v_cmp_o_f32_e32 vcc, v4, v4
	v_mov_b32_e32 v4, 0x7fc0
	v_cndmask_b32_sdwa v3, v4, v3, vcc dst_sel:DWORD dst_unused:UNUSED_PAD src0_sel:DWORD src1_sel:WORD_1
.LBB198_818:
	s_mov_b64 s[2:3], -1
.LBB198_819:
	s_mov_b64 s[4:5], 0
.LBB198_820:
	s_and_b64 vcc, exec, s[4:5]
	s_cbranch_vccz .LBB198_855
; %bb.821:
	s_cmp_gt_i32 s45, 22
	s_cbranch_scc0 .LBB198_831
; %bb.822:
	s_cmp_lt_i32 s45, 24
	s_cbranch_scc1 .LBB198_834
; %bb.823:
	s_cmp_gt_i32 s45, 24
	s_cbranch_scc0 .LBB198_835
; %bb.824:
	global_load_ubyte v3, v[0:1], off
	s_movk_i32 s2, 0x7f
	s_waitcnt vmcnt(0)
	v_cmp_lt_i16_e32 vcc, s2, v3
	s_mov_b64 s[2:3], 0
	s_and_saveexec_b64 s[4:5], vcc
	s_xor_b64 s[4:5], exec, s[4:5]
	s_cbranch_execz .LBB198_847
; %bb.825:
	s_movk_i32 s2, 0x80
	v_cmp_eq_u16_e32 vcc, s2, v3
	s_mov_b64 s[2:3], -1
	s_and_saveexec_b64 s[42:43], vcc
; %bb.826:
	s_xor_b64 s[2:3], exec, -1
; %bb.827:
	s_or_b64 exec, exec, s[42:43]
	s_and_b64 s[2:3], s[2:3], exec
	s_or_saveexec_b64 s[4:5], s[4:5]
	v_mov_b32_e32 v4, 0x7f800001
	s_xor_b64 exec, exec, s[4:5]
	s_cbranch_execnz .LBB198_848
.LBB198_828:
	s_or_b64 exec, exec, s[4:5]
	s_and_saveexec_b64 s[4:5], s[2:3]
	s_cbranch_execz .LBB198_830
.LBB198_829:
	v_lshlrev_b32_e32 v4, 24, v3
	v_and_b32_e32 v3, 0xffff, v3
	v_and_b32_e32 v5, 3, v3
	v_ffbh_u32_e32 v7, v5
	v_min_u32_e32 v7, 32, v7
	v_subrev_u32_e32 v8, 29, v7
	v_bfe_u32 v6, v3, 2, 5
	v_lshlrev_b32_e32 v3, v8, v3
	v_sub_u32_e32 v7, 30, v7
	v_and_b32_e32 v3, 3, v3
	v_cmp_eq_u32_e32 vcc, 0, v6
	v_cndmask_b32_e32 v6, v6, v7, vcc
	v_cndmask_b32_e32 v3, v5, v3, vcc
	v_mov_b32_e32 v5, 0x37800000
	v_lshlrev_b32_e32 v3, 21, v3
	v_and_b32_e32 v4, 0x80000000, v4
	v_lshl_add_u32 v5, v6, 23, v5
	v_or3_b32 v4, v4, v5, v3
.LBB198_830:
	s_or_b64 exec, exec, s[4:5]
	v_bfe_u32 v3, v4, 16, 1
	s_movk_i32 s2, 0x7fff
	v_add3_u32 v3, v4, v3, s2
	v_cmp_o_f32_e32 vcc, v4, v4
	v_mov_b32_e32 v4, 0x7fc0
	v_cndmask_b32_sdwa v3, v4, v3, vcc dst_sel:DWORD dst_unused:UNUSED_PAD src0_sel:DWORD src1_sel:WORD_1
	s_mov_b64 s[2:3], 0
	s_branch .LBB198_836
.LBB198_831:
	s_mov_b64 s[4:5], -1
                                        ; implicit-def: $vgpr3
	s_branch .LBB198_842
.LBB198_832:
	s_or_saveexec_b64 s[4:5], s[4:5]
	v_mov_b32_e32 v4, 0x7f800001
	s_xor_b64 exec, exec, s[4:5]
	s_cbranch_execz .LBB198_815
.LBB198_833:
	v_cmp_ne_u16_e32 vcc, 0, v3
	s_andn2_b64 s[2:3], s[2:3], exec
	s_and_b64 s[42:43], vcc, exec
	v_mov_b32_e32 v4, 0
	s_or_b64 s[2:3], s[2:3], s[42:43]
	s_or_b64 exec, exec, s[4:5]
	s_and_saveexec_b64 s[4:5], s[2:3]
	s_cbranch_execnz .LBB198_816
	s_branch .LBB198_817
.LBB198_834:
	s_mov_b64 s[2:3], -1
                                        ; implicit-def: $vgpr3
	s_branch .LBB198_839
.LBB198_835:
	s_mov_b64 s[2:3], -1
                                        ; implicit-def: $vgpr3
.LBB198_836:
	s_and_b64 vcc, exec, s[2:3]
	s_cbranch_vccz .LBB198_838
; %bb.837:
	global_load_ubyte v3, v[0:1], off
	s_mov_b32 s2, 0x7f800000
	s_brev_b32 s3, 1
	s_movk_i32 s4, 0x7fff
	s_waitcnt vmcnt(0)
	v_lshlrev_b32_e32 v3, 24, v3
	v_and_b32_e32 v4, 0x7f000000, v3
	v_ffbh_u32_e32 v5, v4
	v_min_u32_e32 v5, 32, v5
	v_sub_u32_e64 v5, v5, 4 clamp
	v_lshlrev_b32_e32 v7, v5, v4
	v_lshlrev_b32_e32 v5, 23, v5
	v_lshrrev_b32_e32 v7, 4, v7
	v_add_u32_e32 v6, 0x1000000, v4
	v_sub_u32_e32 v5, v7, v5
	v_ashrrev_i32_e32 v6, 8, v6
	v_add_u32_e32 v5, 0x3c000000, v5
	v_and_or_b32 v5, v6, s2, v5
	v_cmp_ne_u32_e32 vcc, 0, v4
	v_cndmask_b32_e32 v4, 0, v5, vcc
	v_and_or_b32 v3, v3, s3, v4
	v_bfe_u32 v4, v4, 16, 1
	v_add3_u32 v4, v3, v4, s4
	v_cmp_o_f32_e32 vcc, v3, v3
	v_mov_b32_e32 v3, 0x7fc0
	v_cndmask_b32_sdwa v3, v3, v4, vcc dst_sel:DWORD dst_unused:UNUSED_PAD src0_sel:DWORD src1_sel:WORD_1
.LBB198_838:
	s_mov_b64 s[2:3], 0
.LBB198_839:
	s_andn2_b64 vcc, exec, s[2:3]
	s_cbranch_vccnz .LBB198_841
; %bb.840:
	global_load_ubyte v3, v[0:1], off
	s_movk_i32 s2, 0x7f00
	s_brev_b32 s3, 16
	s_brev_b32 s4, 1
	s_movk_i32 s5, 0x7fff
	s_waitcnt vmcnt(0)
	v_lshlrev_b16_e32 v4, 8, v3
	v_lshlrev_b32_e32 v3, 25, v3
	v_lshrrev_b32_e32 v5, 4, v3
	v_and_or_b32 v6, v4, s2, 0.5
	v_or_b32_e32 v5, 0x70000000, v5
	v_add_f32_e32 v6, -0.5, v6
	v_mul_f32_e32 v5, 0x7800000, v5
	v_cmp_gt_u32_e32 vcc, s3, v3
	v_bfe_i32 v4, v4, 0, 16
	v_cndmask_b32_e32 v3, v5, v6, vcc
	v_and_or_b32 v4, v4, s4, v3
	v_bfe_u32 v3, v3, 16, 1
	v_add3_u32 v3, v4, v3, s5
	v_cmp_o_f32_e32 vcc, v4, v4
	v_mov_b32_e32 v4, 0x7fc0
	v_cndmask_b32_sdwa v3, v4, v3, vcc dst_sel:DWORD dst_unused:UNUSED_PAD src0_sel:DWORD src1_sel:WORD_1
.LBB198_841:
	s_mov_b64 s[4:5], 0
	s_mov_b64 s[2:3], -1
.LBB198_842:
	s_andn2_b64 vcc, exec, s[4:5]
	s_cbranch_vccnz .LBB198_855
; %bb.843:
	s_cmp_gt_i32 s45, 14
	s_cbranch_scc0 .LBB198_846
; %bb.844:
	s_cmp_eq_u32 s45, 15
	s_cbranch_scc0 .LBB198_849
; %bb.845:
	global_load_ushort v3, v[0:1], off
	s_mov_b64 s[2:3], -1
	s_mov_b64 s[40:41], 0
	s_branch .LBB198_850
.LBB198_846:
	s_mov_b64 s[4:5], -1
                                        ; implicit-def: $vgpr3
	s_branch .LBB198_851
.LBB198_847:
	s_or_saveexec_b64 s[4:5], s[4:5]
	v_mov_b32_e32 v4, 0x7f800001
	s_xor_b64 exec, exec, s[4:5]
	s_cbranch_execz .LBB198_828
.LBB198_848:
	v_cmp_ne_u16_e32 vcc, 0, v3
	s_andn2_b64 s[2:3], s[2:3], exec
	s_and_b64 s[42:43], vcc, exec
	v_mov_b32_e32 v4, 0
	s_or_b64 s[2:3], s[2:3], s[42:43]
	s_or_b64 exec, exec, s[4:5]
	s_and_saveexec_b64 s[4:5], s[2:3]
	s_cbranch_execnz .LBB198_829
	s_branch .LBB198_830
.LBB198_849:
	s_mov_b64 s[40:41], -1
                                        ; implicit-def: $vgpr3
.LBB198_850:
	s_mov_b64 s[4:5], 0
.LBB198_851:
	s_and_b64 vcc, exec, s[4:5]
	s_cbranch_vccz .LBB198_855
; %bb.852:
	s_cmp_eq_u32 s45, 11
	s_cbranch_scc0 .LBB198_854
; %bb.853:
	global_load_ubyte v3, v[0:1], off
	s_mov_b64 s[2:3], -1
	s_mov_b64 s[40:41], 0
	s_waitcnt vmcnt(0)
	v_cmp_ne_u16_e32 vcc, 0, v3
	v_cndmask_b32_e64 v3, 0, 1.0, vcc
	v_lshrrev_b32_e32 v3, 16, v3
	s_branch .LBB198_855
.LBB198_854:
	s_mov_b64 s[40:41], -1
                                        ; implicit-def: $vgpr3
.LBB198_855:
	s_mov_b64 s[4:5], 0
.LBB198_856:
	s_and_b64 vcc, exec, s[4:5]
	s_cbranch_vccz .LBB198_905
; %bb.857:
	s_and_b32 s4, 0xffff, s44
	s_cmp_lt_i32 s4, 5
	s_cbranch_scc1 .LBB198_862
; %bb.858:
	s_cmp_lt_i32 s4, 8
	s_cbranch_scc1 .LBB198_863
; %bb.859:
	;; [unrolled: 3-line block ×3, first 2 shown]
	s_cmp_gt_i32 s4, 9
	s_cbranch_scc0 .LBB198_865
; %bb.861:
	global_load_dwordx2 v[3:4], v[0:1], off
	s_movk_i32 s2, 0x7fff
	s_waitcnt vmcnt(0)
	v_cvt_f32_f64_e32 v3, v[3:4]
	v_mov_b32_e32 v4, 0x7fc0
	v_bfe_u32 v5, v3, 16, 1
	v_cmp_o_f32_e32 vcc, v3, v3
	v_add3_u32 v3, v3, v5, s2
	v_cndmask_b32_sdwa v3, v4, v3, vcc dst_sel:DWORD dst_unused:UNUSED_PAD src0_sel:DWORD src1_sel:WORD_1
	s_mov_b64 s[2:3], 0
	s_branch .LBB198_866
.LBB198_862:
	s_mov_b64 s[2:3], -1
                                        ; implicit-def: $vgpr3
	s_branch .LBB198_884
.LBB198_863:
	s_mov_b64 s[2:3], -1
                                        ; implicit-def: $vgpr3
	s_branch .LBB198_872
.LBB198_864:
	s_mov_b64 s[2:3], -1
                                        ; implicit-def: $vgpr3
	s_branch .LBB198_869
.LBB198_865:
	s_mov_b64 s[2:3], -1
                                        ; implicit-def: $vgpr3
.LBB198_866:
	s_andn2_b64 vcc, exec, s[2:3]
	s_cbranch_vccnz .LBB198_868
; %bb.867:
	global_load_dword v3, v[0:1], off
	s_movk_i32 s2, 0x7fff
	v_mov_b32_e32 v4, 0x7fc0
	s_waitcnt vmcnt(0)
	v_bfe_u32 v5, v3, 16, 1
	v_cmp_o_f32_e32 vcc, v3, v3
	v_add3_u32 v3, v3, v5, s2
	v_cndmask_b32_sdwa v3, v4, v3, vcc dst_sel:DWORD dst_unused:UNUSED_PAD src0_sel:DWORD src1_sel:WORD_1
.LBB198_868:
	s_mov_b64 s[2:3], 0
.LBB198_869:
	s_andn2_b64 vcc, exec, s[2:3]
	s_cbranch_vccnz .LBB198_871
; %bb.870:
	global_load_dword v3, v[0:1], off
	s_movk_i32 s2, 0x7fff
	v_mov_b32_e32 v5, 0x7fc0
	s_waitcnt vmcnt(0)
	v_cvt_f32_f16_e32 v4, v3
	v_cmp_o_f16_e32 vcc, v3, v3
	v_bfe_u32 v3, v4, 16, 1
	v_add3_u32 v3, v4, v3, s2
	v_cndmask_b32_sdwa v3, v5, v3, vcc dst_sel:DWORD dst_unused:UNUSED_PAD src0_sel:DWORD src1_sel:WORD_1
.LBB198_871:
	s_mov_b64 s[2:3], 0
.LBB198_872:
	s_andn2_b64 vcc, exec, s[2:3]
	s_cbranch_vccnz .LBB198_883
; %bb.873:
	s_cmp_lt_i32 s4, 6
	s_cbranch_scc1 .LBB198_876
; %bb.874:
	s_cmp_gt_i32 s4, 6
	s_cbranch_scc0 .LBB198_877
; %bb.875:
	global_load_dwordx2 v[3:4], v[0:1], off
	s_movk_i32 s2, 0x7fff
	s_waitcnt vmcnt(0)
	v_cvt_f32_f64_e32 v3, v[3:4]
	v_mov_b32_e32 v4, 0x7fc0
	v_bfe_u32 v5, v3, 16, 1
	v_cmp_o_f32_e32 vcc, v3, v3
	v_add3_u32 v3, v3, v5, s2
	v_cndmask_b32_sdwa v3, v4, v3, vcc dst_sel:DWORD dst_unused:UNUSED_PAD src0_sel:DWORD src1_sel:WORD_1
	s_mov_b64 s[2:3], 0
	s_branch .LBB198_878
.LBB198_876:
	s_mov_b64 s[2:3], -1
                                        ; implicit-def: $vgpr3
	s_branch .LBB198_881
.LBB198_877:
	s_mov_b64 s[2:3], -1
                                        ; implicit-def: $vgpr3
.LBB198_878:
	s_andn2_b64 vcc, exec, s[2:3]
	s_cbranch_vccnz .LBB198_880
; %bb.879:
	global_load_dword v3, v[0:1], off
	s_movk_i32 s2, 0x7fff
	v_mov_b32_e32 v4, 0x7fc0
	s_waitcnt vmcnt(0)
	v_bfe_u32 v5, v3, 16, 1
	v_cmp_o_f32_e32 vcc, v3, v3
	v_add3_u32 v3, v3, v5, s2
	v_cndmask_b32_sdwa v3, v4, v3, vcc dst_sel:DWORD dst_unused:UNUSED_PAD src0_sel:DWORD src1_sel:WORD_1
.LBB198_880:
	s_mov_b64 s[2:3], 0
.LBB198_881:
	s_andn2_b64 vcc, exec, s[2:3]
	s_cbranch_vccnz .LBB198_883
; %bb.882:
	global_load_ushort v3, v[0:1], off
	s_movk_i32 s2, 0x7fff
	v_mov_b32_e32 v5, 0x7fc0
	s_waitcnt vmcnt(0)
	v_cvt_f32_f16_e32 v4, v3
	v_cmp_o_f16_e32 vcc, v3, v3
	v_bfe_u32 v3, v4, 16, 1
	v_add3_u32 v3, v4, v3, s2
	v_cndmask_b32_sdwa v3, v5, v3, vcc dst_sel:DWORD dst_unused:UNUSED_PAD src0_sel:DWORD src1_sel:WORD_1
.LBB198_883:
	s_mov_b64 s[2:3], 0
.LBB198_884:
	s_andn2_b64 vcc, exec, s[2:3]
	s_cbranch_vccnz .LBB198_904
; %bb.885:
	s_cmp_lt_i32 s4, 2
	s_cbranch_scc1 .LBB198_889
; %bb.886:
	s_cmp_lt_i32 s4, 3
	s_cbranch_scc1 .LBB198_890
; %bb.887:
	s_cmp_gt_i32 s4, 3
	s_cbranch_scc0 .LBB198_891
; %bb.888:
	global_load_dwordx2 v[3:4], v[0:1], off
	s_movk_i32 s2, 0x7fff
	s_waitcnt vmcnt(0)
	v_xor_b32_e32 v6, v3, v4
	v_ffbh_i32_e32 v5, v4
	v_ashrrev_i32_e32 v6, 31, v6
	v_add_u32_e32 v5, -1, v5
	v_add_u32_e32 v6, 32, v6
	v_min_u32_e32 v5, v5, v6
	v_lshlrev_b64 v[3:4], v5, v[3:4]
	v_min_u32_e32 v3, 1, v3
	v_or_b32_e32 v3, v4, v3
	v_cvt_f32_i32_e32 v3, v3
	v_sub_u32_e32 v4, 32, v5
	v_ldexp_f32 v3, v3, v4
	v_bfe_u32 v4, v3, 16, 1
	v_add3_u32 v3, v3, v4, s2
	v_lshrrev_b32_e32 v3, 16, v3
	s_mov_b64 s[2:3], 0
	s_branch .LBB198_892
.LBB198_889:
	s_mov_b64 s[2:3], -1
                                        ; implicit-def: $vgpr3
	s_branch .LBB198_898
.LBB198_890:
	s_mov_b64 s[2:3], -1
                                        ; implicit-def: $vgpr3
	s_branch .LBB198_895
.LBB198_891:
	s_mov_b64 s[2:3], -1
                                        ; implicit-def: $vgpr3
.LBB198_892:
	s_andn2_b64 vcc, exec, s[2:3]
	s_cbranch_vccnz .LBB198_894
; %bb.893:
	global_load_dword v3, v[0:1], off
	s_movk_i32 s2, 0x7fff
	s_waitcnt vmcnt(0)
	v_cvt_f32_i32_e32 v3, v3
	v_bfe_u32 v4, v3, 16, 1
	v_add3_u32 v3, v3, v4, s2
	v_lshrrev_b32_e32 v3, 16, v3
.LBB198_894:
	s_mov_b64 s[2:3], 0
.LBB198_895:
	s_andn2_b64 vcc, exec, s[2:3]
	s_cbranch_vccnz .LBB198_897
; %bb.896:
	global_load_sshort v3, v[0:1], off
	s_movk_i32 s2, 0x7fff
	s_waitcnt vmcnt(0)
	v_cvt_f32_i32_e32 v3, v3
	v_bfe_u32 v4, v3, 16, 1
	v_add3_u32 v3, v3, v4, s2
	v_lshrrev_b32_e32 v3, 16, v3
.LBB198_897:
	s_mov_b64 s[2:3], 0
.LBB198_898:
	s_andn2_b64 vcc, exec, s[2:3]
	s_cbranch_vccnz .LBB198_904
; %bb.899:
	s_cmp_gt_i32 s4, 0
	s_cbranch_scc0 .LBB198_901
; %bb.900:
	global_load_sbyte v3, v[0:1], off
	s_movk_i32 s2, 0x7fff
	s_waitcnt vmcnt(0)
	v_cvt_f32_i32_e32 v3, v3
	v_bfe_u32 v4, v3, 16, 1
	v_add3_u32 v3, v3, v4, s2
	v_lshrrev_b32_e32 v3, 16, v3
	s_mov_b64 s[2:3], 0
	s_branch .LBB198_902
.LBB198_901:
	s_mov_b64 s[2:3], -1
                                        ; implicit-def: $vgpr3
.LBB198_902:
	s_andn2_b64 vcc, exec, s[2:3]
	s_cbranch_vccnz .LBB198_904
; %bb.903:
	global_load_ubyte v0, v[0:1], off
	s_movk_i32 s2, 0x7fff
	s_waitcnt vmcnt(0)
	v_cvt_f32_ubyte0_e32 v0, v0
	v_bfe_u32 v1, v0, 16, 1
	v_add3_u32 v0, v0, v1, s2
	v_lshrrev_b32_e32 v3, 16, v0
.LBB198_904:
	s_mov_b64 s[2:3], -1
.LBB198_905:
	s_andn2_b64 vcc, exec, s[2:3]
	s_cbranch_vccnz .LBB198_913
; %bb.906:
	v_mul_lo_u32 v0, v2, s14
	v_mov_b32_e32 v1, s17
	s_and_b32 s46, s56, 0xff
	s_cmp_lt_i32 s46, 11
	v_ashrrev_i32_e32 v4, 31, v0
	v_add_co_u32_e32 v0, vcc, s16, v0
	v_addc_co_u32_e32 v1, vcc, v1, v4, vcc
	s_cbranch_scc1 .LBB198_915
; %bb.907:
	s_and_b32 s47, 0xffff, s46
	s_cmp_gt_i32 s47, 25
	s_cbranch_scc0 .LBB198_916
; %bb.908:
	s_cmp_gt_i32 s47, 28
	s_cbranch_scc0 .LBB198_917
; %bb.909:
	;; [unrolled: 3-line block ×4, first 2 shown]
	s_cmp_eq_u32 s47, 46
	s_mov_b64 s[4:5], 0
	s_cbranch_scc0 .LBB198_922
; %bb.912:
	global_load_dword v4, v[0:1], off
	s_mov_b64 s[2:3], -1
	s_mov_b64 s[42:43], 0
	s_branch .LBB198_923
.LBB198_913:
	s_mov_b64 s[46:47], 0
	s_mov_b64 s[4:5], s[34:35]
	;; [unrolled: 1-line block ×3, first 2 shown]
.LBB198_914:
                                        ; implicit-def: $vgpr2
	s_branch .LBB198_1161
.LBB198_915:
	s_mov_b64 s[4:5], -1
	s_mov_b64 s[2:3], 0
                                        ; implicit-def: $vgpr4
	s_mov_b64 s[42:43], s[30:31]
	s_branch .LBB198_988
.LBB198_916:
	s_mov_b64 s[4:5], -1
	s_mov_b64 s[2:3], 0
	s_mov_b64 s[42:43], s[30:31]
                                        ; implicit-def: $vgpr4
	s_branch .LBB198_952
.LBB198_917:
	s_mov_b64 s[4:5], -1
	s_mov_b64 s[2:3], 0
	s_mov_b64 s[42:43], s[30:31]
                                        ; implicit-def: $vgpr4
	s_branch .LBB198_933
.LBB198_918:
	s_mov_b64 s[4:5], -1
	s_mov_b64 s[2:3], 0
	s_mov_b64 s[42:43], s[30:31]
                                        ; implicit-def: $vgpr4
	s_branch .LBB198_928
.LBB198_919:
	s_mov_b64 s[4:5], -1
	s_mov_b64 s[2:3], 0
	s_mov_b64 s[42:43], s[30:31]
                                        ; implicit-def: $vgpr4
	s_branch .LBB198_923
.LBB198_920:
	s_andn2_saveexec_b64 s[40:41], s[40:41]
	s_cbranch_execz .LBB198_696
.LBB198_921:
	v_add_f32_e32 v3, 0x42800000, v4
	v_and_b32_e32 v3, 0xff, v3
	v_cmp_ne_u32_e32 vcc, 0, v3
	s_andn2_b64 s[38:39], s[38:39], exec
	s_and_b64 s[44:45], vcc, exec
	s_or_b64 s[38:39], s[38:39], s[44:45]
	s_or_b64 exec, exec, s[40:41]
	v_mov_b32_e32 v5, 0
	s_and_saveexec_b64 s[40:41], s[38:39]
	s_cbranch_execnz .LBB198_697
	s_branch .LBB198_698
.LBB198_922:
	s_mov_b64 s[42:43], -1
                                        ; implicit-def: $vgpr4
	s_mov_b64 s[2:3], 0
.LBB198_923:
	s_and_b64 vcc, exec, s[4:5]
	s_cbranch_vccz .LBB198_927
; %bb.924:
	s_cmp_eq_u32 s47, 44
	s_cbranch_scc0 .LBB198_926
; %bb.925:
	global_load_ubyte v4, v[0:1], off
	s_movk_i32 s4, 0xff
	v_mov_b32_e32 v5, 0x7f800001
	v_mov_b32_e32 v6, 0x400000
	;; [unrolled: 1-line block ×3, first 2 shown]
	s_mov_b64 s[2:3], -1
	s_mov_b64 s[42:43], 0
	s_waitcnt vmcnt(0)
	v_lshlrev_b32_e32 v8, 23, v4
	v_cmp_ne_u32_e32 vcc, s4, v4
	v_cndmask_b32_e32 v5, v5, v8, vcc
	v_cmp_ne_u32_e32 vcc, 0, v4
	v_cndmask_b32_e32 v4, v6, v5, vcc
	v_add_u32_e32 v5, 0x7fff, v4
	v_cmp_o_f32_e32 vcc, v4, v4
	v_cndmask_b32_sdwa v4, v7, v5, vcc dst_sel:DWORD dst_unused:UNUSED_PAD src0_sel:DWORD src1_sel:WORD_1
	s_branch .LBB198_927
.LBB198_926:
	s_mov_b64 s[42:43], -1
                                        ; implicit-def: $vgpr4
.LBB198_927:
	s_mov_b64 s[4:5], 0
.LBB198_928:
	s_and_b64 vcc, exec, s[4:5]
	s_cbranch_vccz .LBB198_932
; %bb.929:
	s_cmp_eq_u32 s47, 29
	s_cbranch_scc0 .LBB198_931
; %bb.930:
	global_load_dwordx2 v[4:5], v[0:1], off
	s_movk_i32 s4, 0x7fff
	s_mov_b64 s[2:3], -1
	s_mov_b64 s[42:43], 0
	s_waitcnt vmcnt(0)
	v_ffbh_u32_e32 v6, v5
	v_min_u32_e32 v6, 32, v6
	v_lshlrev_b64 v[4:5], v6, v[4:5]
	v_min_u32_e32 v4, 1, v4
	v_or_b32_e32 v4, v5, v4
	v_cvt_f32_u32_e32 v4, v4
	v_sub_u32_e32 v5, 32, v6
	v_ldexp_f32 v4, v4, v5
	v_bfe_u32 v5, v4, 16, 1
	v_add3_u32 v4, v4, v5, s4
	v_lshrrev_b32_e32 v4, 16, v4
	s_branch .LBB198_932
.LBB198_931:
	s_mov_b64 s[42:43], -1
                                        ; implicit-def: $vgpr4
.LBB198_932:
	s_mov_b64 s[4:5], 0
.LBB198_933:
	s_and_b64 vcc, exec, s[4:5]
	s_cbranch_vccz .LBB198_951
; %bb.934:
	s_cmp_lt_i32 s47, 27
	s_cbranch_scc1 .LBB198_937
; %bb.935:
	s_cmp_gt_i32 s47, 27
	s_cbranch_scc0 .LBB198_938
; %bb.936:
	global_load_dword v4, v[0:1], off
	s_movk_i32 s2, 0x7fff
	s_waitcnt vmcnt(0)
	v_cvt_f32_u32_e32 v4, v4
	v_bfe_u32 v5, v4, 16, 1
	v_add3_u32 v4, v4, v5, s2
	v_lshrrev_b32_e32 v4, 16, v4
	s_mov_b64 s[2:3], 0
	s_branch .LBB198_939
.LBB198_937:
	s_mov_b64 s[2:3], -1
                                        ; implicit-def: $vgpr4
	s_branch .LBB198_942
.LBB198_938:
	s_mov_b64 s[2:3], -1
                                        ; implicit-def: $vgpr4
.LBB198_939:
	s_andn2_b64 vcc, exec, s[2:3]
	s_cbranch_vccnz .LBB198_941
; %bb.940:
	global_load_ushort v4, v[0:1], off
	s_movk_i32 s2, 0x7fff
	s_waitcnt vmcnt(0)
	v_cvt_f32_u32_e32 v4, v4
	v_bfe_u32 v5, v4, 16, 1
	v_add3_u32 v4, v4, v5, s2
	v_lshrrev_b32_e32 v4, 16, v4
.LBB198_941:
	s_mov_b64 s[2:3], 0
.LBB198_942:
	s_andn2_b64 vcc, exec, s[2:3]
	s_cbranch_vccnz .LBB198_950
; %bb.943:
	global_load_ubyte v4, v[0:1], off
	s_movk_i32 s2, 0x7f
	s_waitcnt vmcnt(0)
	v_cmp_lt_i16_e32 vcc, s2, v4
	s_mov_b64 s[2:3], 0
	s_and_saveexec_b64 s[4:5], vcc
	s_xor_b64 s[4:5], exec, s[4:5]
	s_cbranch_execz .LBB198_964
; %bb.944:
	s_movk_i32 s2, 0x80
	v_cmp_eq_u16_e32 vcc, s2, v4
	s_mov_b64 s[2:3], -1
	s_and_saveexec_b64 s[44:45], vcc
; %bb.945:
	s_xor_b64 s[2:3], exec, -1
; %bb.946:
	s_or_b64 exec, exec, s[44:45]
	s_and_b64 s[2:3], s[2:3], exec
	s_or_saveexec_b64 s[4:5], s[4:5]
	v_mov_b32_e32 v5, 0x7f800001
	s_xor_b64 exec, exec, s[4:5]
	s_cbranch_execnz .LBB198_965
.LBB198_947:
	s_or_b64 exec, exec, s[4:5]
	s_and_saveexec_b64 s[4:5], s[2:3]
	s_cbranch_execz .LBB198_949
.LBB198_948:
	v_lshlrev_b32_e32 v5, 24, v4
	v_and_b32_e32 v4, 0xffff, v4
	v_and_b32_e32 v6, 7, v4
	v_ffbh_u32_e32 v8, v6
	v_min_u32_e32 v8, 32, v8
	v_subrev_u32_e32 v9, 28, v8
	v_bfe_u32 v7, v4, 3, 4
	v_lshlrev_b32_e32 v4, v9, v4
	v_sub_u32_e32 v8, 29, v8
	v_and_b32_e32 v4, 7, v4
	v_cmp_eq_u32_e32 vcc, 0, v7
	v_cndmask_b32_e32 v7, v7, v8, vcc
	v_cndmask_b32_e32 v4, v6, v4, vcc
	v_mov_b32_e32 v6, 0x3b800000
	v_lshlrev_b32_e32 v4, 20, v4
	v_and_b32_e32 v5, 0x80000000, v5
	v_lshl_add_u32 v6, v7, 23, v6
	v_or3_b32 v5, v5, v6, v4
.LBB198_949:
	s_or_b64 exec, exec, s[4:5]
	v_bfe_u32 v4, v5, 16, 1
	s_movk_i32 s2, 0x7fff
	v_add3_u32 v4, v5, v4, s2
	v_cmp_o_f32_e32 vcc, v5, v5
	v_mov_b32_e32 v5, 0x7fc0
	v_cndmask_b32_sdwa v4, v5, v4, vcc dst_sel:DWORD dst_unused:UNUSED_PAD src0_sel:DWORD src1_sel:WORD_1
.LBB198_950:
	s_mov_b64 s[2:3], -1
.LBB198_951:
	s_mov_b64 s[4:5], 0
.LBB198_952:
	s_and_b64 vcc, exec, s[4:5]
	s_cbranch_vccz .LBB198_987
; %bb.953:
	s_cmp_gt_i32 s47, 22
	s_cbranch_scc0 .LBB198_963
; %bb.954:
	s_cmp_lt_i32 s47, 24
	s_cbranch_scc1 .LBB198_966
; %bb.955:
	s_cmp_gt_i32 s47, 24
	s_cbranch_scc0 .LBB198_967
; %bb.956:
	global_load_ubyte v4, v[0:1], off
	s_movk_i32 s2, 0x7f
	s_waitcnt vmcnt(0)
	v_cmp_lt_i16_e32 vcc, s2, v4
	s_mov_b64 s[2:3], 0
	s_and_saveexec_b64 s[4:5], vcc
	s_xor_b64 s[4:5], exec, s[4:5]
	s_cbranch_execz .LBB198_979
; %bb.957:
	s_movk_i32 s2, 0x80
	v_cmp_eq_u16_e32 vcc, s2, v4
	s_mov_b64 s[2:3], -1
	s_and_saveexec_b64 s[44:45], vcc
; %bb.958:
	s_xor_b64 s[2:3], exec, -1
; %bb.959:
	s_or_b64 exec, exec, s[44:45]
	s_and_b64 s[2:3], s[2:3], exec
	s_or_saveexec_b64 s[4:5], s[4:5]
	v_mov_b32_e32 v5, 0x7f800001
	s_xor_b64 exec, exec, s[4:5]
	s_cbranch_execnz .LBB198_980
.LBB198_960:
	s_or_b64 exec, exec, s[4:5]
	s_and_saveexec_b64 s[4:5], s[2:3]
	s_cbranch_execz .LBB198_962
.LBB198_961:
	v_lshlrev_b32_e32 v5, 24, v4
	v_and_b32_e32 v4, 0xffff, v4
	v_and_b32_e32 v6, 3, v4
	v_ffbh_u32_e32 v8, v6
	v_min_u32_e32 v8, 32, v8
	v_subrev_u32_e32 v9, 29, v8
	v_bfe_u32 v7, v4, 2, 5
	v_lshlrev_b32_e32 v4, v9, v4
	v_sub_u32_e32 v8, 30, v8
	v_and_b32_e32 v4, 3, v4
	v_cmp_eq_u32_e32 vcc, 0, v7
	v_cndmask_b32_e32 v7, v7, v8, vcc
	v_cndmask_b32_e32 v4, v6, v4, vcc
	v_mov_b32_e32 v6, 0x37800000
	v_lshlrev_b32_e32 v4, 21, v4
	v_and_b32_e32 v5, 0x80000000, v5
	v_lshl_add_u32 v6, v7, 23, v6
	v_or3_b32 v5, v5, v6, v4
.LBB198_962:
	s_or_b64 exec, exec, s[4:5]
	v_bfe_u32 v4, v5, 16, 1
	s_movk_i32 s2, 0x7fff
	v_add3_u32 v4, v5, v4, s2
	v_cmp_o_f32_e32 vcc, v5, v5
	v_mov_b32_e32 v5, 0x7fc0
	v_cndmask_b32_sdwa v4, v5, v4, vcc dst_sel:DWORD dst_unused:UNUSED_PAD src0_sel:DWORD src1_sel:WORD_1
	s_mov_b64 s[2:3], 0
	s_branch .LBB198_968
.LBB198_963:
	s_mov_b64 s[4:5], -1
                                        ; implicit-def: $vgpr4
	s_branch .LBB198_974
.LBB198_964:
	s_or_saveexec_b64 s[4:5], s[4:5]
	v_mov_b32_e32 v5, 0x7f800001
	s_xor_b64 exec, exec, s[4:5]
	s_cbranch_execz .LBB198_947
.LBB198_965:
	v_cmp_ne_u16_e32 vcc, 0, v4
	s_andn2_b64 s[2:3], s[2:3], exec
	s_and_b64 s[44:45], vcc, exec
	v_mov_b32_e32 v5, 0
	s_or_b64 s[2:3], s[2:3], s[44:45]
	s_or_b64 exec, exec, s[4:5]
	s_and_saveexec_b64 s[4:5], s[2:3]
	s_cbranch_execnz .LBB198_948
	s_branch .LBB198_949
.LBB198_966:
	s_mov_b64 s[2:3], -1
                                        ; implicit-def: $vgpr4
	s_branch .LBB198_971
.LBB198_967:
	s_mov_b64 s[2:3], -1
                                        ; implicit-def: $vgpr4
.LBB198_968:
	s_and_b64 vcc, exec, s[2:3]
	s_cbranch_vccz .LBB198_970
; %bb.969:
	global_load_ubyte v4, v[0:1], off
	s_mov_b32 s2, 0x7f800000
	s_brev_b32 s3, 1
	s_movk_i32 s4, 0x7fff
	s_waitcnt vmcnt(0)
	v_lshlrev_b32_e32 v4, 24, v4
	v_and_b32_e32 v5, 0x7f000000, v4
	v_ffbh_u32_e32 v6, v5
	v_min_u32_e32 v6, 32, v6
	v_sub_u32_e64 v6, v6, 4 clamp
	v_lshlrev_b32_e32 v8, v6, v5
	v_lshlrev_b32_e32 v6, 23, v6
	v_lshrrev_b32_e32 v8, 4, v8
	v_add_u32_e32 v7, 0x1000000, v5
	v_sub_u32_e32 v6, v8, v6
	v_ashrrev_i32_e32 v7, 8, v7
	v_add_u32_e32 v6, 0x3c000000, v6
	v_and_or_b32 v6, v7, s2, v6
	v_cmp_ne_u32_e32 vcc, 0, v5
	v_cndmask_b32_e32 v5, 0, v6, vcc
	v_and_or_b32 v4, v4, s3, v5
	v_bfe_u32 v5, v5, 16, 1
	v_add3_u32 v5, v4, v5, s4
	v_cmp_o_f32_e32 vcc, v4, v4
	v_mov_b32_e32 v4, 0x7fc0
	v_cndmask_b32_sdwa v4, v4, v5, vcc dst_sel:DWORD dst_unused:UNUSED_PAD src0_sel:DWORD src1_sel:WORD_1
.LBB198_970:
	s_mov_b64 s[2:3], 0
.LBB198_971:
	s_andn2_b64 vcc, exec, s[2:3]
	s_cbranch_vccnz .LBB198_973
; %bb.972:
	global_load_ubyte v4, v[0:1], off
	s_movk_i32 s2, 0x7f00
	s_brev_b32 s3, 16
	s_brev_b32 s4, 1
	s_movk_i32 s5, 0x7fff
	s_waitcnt vmcnt(0)
	v_lshlrev_b16_e32 v5, 8, v4
	v_lshlrev_b32_e32 v4, 25, v4
	v_lshrrev_b32_e32 v6, 4, v4
	v_and_or_b32 v7, v5, s2, 0.5
	v_or_b32_e32 v6, 0x70000000, v6
	v_add_f32_e32 v7, -0.5, v7
	v_mul_f32_e32 v6, 0x7800000, v6
	v_cmp_gt_u32_e32 vcc, s3, v4
	v_bfe_i32 v5, v5, 0, 16
	v_cndmask_b32_e32 v4, v6, v7, vcc
	v_and_or_b32 v5, v5, s4, v4
	v_bfe_u32 v4, v4, 16, 1
	v_add3_u32 v4, v5, v4, s5
	v_cmp_o_f32_e32 vcc, v5, v5
	v_mov_b32_e32 v5, 0x7fc0
	v_cndmask_b32_sdwa v4, v5, v4, vcc dst_sel:DWORD dst_unused:UNUSED_PAD src0_sel:DWORD src1_sel:WORD_1
.LBB198_973:
	s_mov_b64 s[4:5], 0
	s_mov_b64 s[2:3], -1
.LBB198_974:
	s_andn2_b64 vcc, exec, s[4:5]
	s_cbranch_vccnz .LBB198_987
; %bb.975:
	s_cmp_gt_i32 s47, 14
	s_cbranch_scc0 .LBB198_978
; %bb.976:
	s_cmp_eq_u32 s47, 15
	s_cbranch_scc0 .LBB198_981
; %bb.977:
	global_load_ushort v4, v[0:1], off
	s_mov_b64 s[2:3], -1
	s_mov_b64 s[42:43], 0
	s_branch .LBB198_982
.LBB198_978:
	s_mov_b64 s[4:5], -1
                                        ; implicit-def: $vgpr4
	s_branch .LBB198_983
.LBB198_979:
	s_or_saveexec_b64 s[4:5], s[4:5]
	v_mov_b32_e32 v5, 0x7f800001
	s_xor_b64 exec, exec, s[4:5]
	s_cbranch_execz .LBB198_960
.LBB198_980:
	v_cmp_ne_u16_e32 vcc, 0, v4
	s_andn2_b64 s[2:3], s[2:3], exec
	s_and_b64 s[44:45], vcc, exec
	v_mov_b32_e32 v5, 0
	s_or_b64 s[2:3], s[2:3], s[44:45]
	s_or_b64 exec, exec, s[4:5]
	s_and_saveexec_b64 s[4:5], s[2:3]
	s_cbranch_execnz .LBB198_961
	s_branch .LBB198_962
.LBB198_981:
	s_mov_b64 s[42:43], -1
                                        ; implicit-def: $vgpr4
.LBB198_982:
	s_mov_b64 s[4:5], 0
.LBB198_983:
	s_and_b64 vcc, exec, s[4:5]
	s_cbranch_vccz .LBB198_987
; %bb.984:
	s_cmp_eq_u32 s47, 11
	s_cbranch_scc0 .LBB198_986
; %bb.985:
	global_load_ubyte v4, v[0:1], off
	s_mov_b64 s[2:3], -1
	s_mov_b64 s[42:43], 0
	s_waitcnt vmcnt(0)
	v_cmp_ne_u16_e32 vcc, 0, v4
	v_cndmask_b32_e64 v4, 0, 1.0, vcc
	v_lshrrev_b32_e32 v4, 16, v4
	s_branch .LBB198_987
.LBB198_986:
	s_mov_b64 s[42:43], -1
                                        ; implicit-def: $vgpr4
.LBB198_987:
	s_mov_b64 s[4:5], 0
.LBB198_988:
	s_and_b64 vcc, exec, s[4:5]
	s_cbranch_vccz .LBB198_1037
; %bb.989:
	s_and_b32 s4, 0xffff, s46
	s_cmp_lt_i32 s4, 5
	s_cbranch_scc1 .LBB198_994
; %bb.990:
	s_cmp_lt_i32 s4, 8
	s_cbranch_scc1 .LBB198_995
; %bb.991:
	;; [unrolled: 3-line block ×3, first 2 shown]
	s_cmp_gt_i32 s4, 9
	s_cbranch_scc0 .LBB198_997
; %bb.993:
	global_load_dwordx2 v[4:5], v[0:1], off
	s_movk_i32 s2, 0x7fff
	s_waitcnt vmcnt(0)
	v_cvt_f32_f64_e32 v4, v[4:5]
	v_mov_b32_e32 v5, 0x7fc0
	v_bfe_u32 v6, v4, 16, 1
	v_cmp_o_f32_e32 vcc, v4, v4
	v_add3_u32 v4, v4, v6, s2
	v_cndmask_b32_sdwa v4, v5, v4, vcc dst_sel:DWORD dst_unused:UNUSED_PAD src0_sel:DWORD src1_sel:WORD_1
	s_mov_b64 s[2:3], 0
	s_branch .LBB198_998
.LBB198_994:
	s_mov_b64 s[2:3], -1
                                        ; implicit-def: $vgpr4
	s_branch .LBB198_1016
.LBB198_995:
	s_mov_b64 s[2:3], -1
                                        ; implicit-def: $vgpr4
	s_branch .LBB198_1004
.LBB198_996:
	s_mov_b64 s[2:3], -1
                                        ; implicit-def: $vgpr4
	s_branch .LBB198_1001
.LBB198_997:
	s_mov_b64 s[2:3], -1
                                        ; implicit-def: $vgpr4
.LBB198_998:
	s_andn2_b64 vcc, exec, s[2:3]
	s_cbranch_vccnz .LBB198_1000
; %bb.999:
	global_load_dword v4, v[0:1], off
	s_movk_i32 s2, 0x7fff
	v_mov_b32_e32 v5, 0x7fc0
	s_waitcnt vmcnt(0)
	v_bfe_u32 v6, v4, 16, 1
	v_cmp_o_f32_e32 vcc, v4, v4
	v_add3_u32 v4, v4, v6, s2
	v_cndmask_b32_sdwa v4, v5, v4, vcc dst_sel:DWORD dst_unused:UNUSED_PAD src0_sel:DWORD src1_sel:WORD_1
.LBB198_1000:
	s_mov_b64 s[2:3], 0
.LBB198_1001:
	s_andn2_b64 vcc, exec, s[2:3]
	s_cbranch_vccnz .LBB198_1003
; %bb.1002:
	global_load_dword v4, v[0:1], off
	s_movk_i32 s2, 0x7fff
	v_mov_b32_e32 v6, 0x7fc0
	s_waitcnt vmcnt(0)
	v_cvt_f32_f16_e32 v5, v4
	v_cmp_o_f16_e32 vcc, v4, v4
	v_bfe_u32 v4, v5, 16, 1
	v_add3_u32 v4, v5, v4, s2
	v_cndmask_b32_sdwa v4, v6, v4, vcc dst_sel:DWORD dst_unused:UNUSED_PAD src0_sel:DWORD src1_sel:WORD_1
.LBB198_1003:
	s_mov_b64 s[2:3], 0
.LBB198_1004:
	s_andn2_b64 vcc, exec, s[2:3]
	s_cbranch_vccnz .LBB198_1015
; %bb.1005:
	s_cmp_lt_i32 s4, 6
	s_cbranch_scc1 .LBB198_1008
; %bb.1006:
	s_cmp_gt_i32 s4, 6
	s_cbranch_scc0 .LBB198_1009
; %bb.1007:
	global_load_dwordx2 v[4:5], v[0:1], off
	s_movk_i32 s2, 0x7fff
	s_waitcnt vmcnt(0)
	v_cvt_f32_f64_e32 v4, v[4:5]
	v_mov_b32_e32 v5, 0x7fc0
	v_bfe_u32 v6, v4, 16, 1
	v_cmp_o_f32_e32 vcc, v4, v4
	v_add3_u32 v4, v4, v6, s2
	v_cndmask_b32_sdwa v4, v5, v4, vcc dst_sel:DWORD dst_unused:UNUSED_PAD src0_sel:DWORD src1_sel:WORD_1
	s_mov_b64 s[2:3], 0
	s_branch .LBB198_1010
.LBB198_1008:
	s_mov_b64 s[2:3], -1
                                        ; implicit-def: $vgpr4
	s_branch .LBB198_1013
.LBB198_1009:
	s_mov_b64 s[2:3], -1
                                        ; implicit-def: $vgpr4
.LBB198_1010:
	s_andn2_b64 vcc, exec, s[2:3]
	s_cbranch_vccnz .LBB198_1012
; %bb.1011:
	global_load_dword v4, v[0:1], off
	s_movk_i32 s2, 0x7fff
	v_mov_b32_e32 v5, 0x7fc0
	s_waitcnt vmcnt(0)
	v_bfe_u32 v6, v4, 16, 1
	v_cmp_o_f32_e32 vcc, v4, v4
	v_add3_u32 v4, v4, v6, s2
	v_cndmask_b32_sdwa v4, v5, v4, vcc dst_sel:DWORD dst_unused:UNUSED_PAD src0_sel:DWORD src1_sel:WORD_1
.LBB198_1012:
	s_mov_b64 s[2:3], 0
.LBB198_1013:
	s_andn2_b64 vcc, exec, s[2:3]
	s_cbranch_vccnz .LBB198_1015
; %bb.1014:
	global_load_ushort v4, v[0:1], off
	s_movk_i32 s2, 0x7fff
	v_mov_b32_e32 v6, 0x7fc0
	s_waitcnt vmcnt(0)
	v_cvt_f32_f16_e32 v5, v4
	v_cmp_o_f16_e32 vcc, v4, v4
	v_bfe_u32 v4, v5, 16, 1
	v_add3_u32 v4, v5, v4, s2
	v_cndmask_b32_sdwa v4, v6, v4, vcc dst_sel:DWORD dst_unused:UNUSED_PAD src0_sel:DWORD src1_sel:WORD_1
.LBB198_1015:
	s_mov_b64 s[2:3], 0
.LBB198_1016:
	s_andn2_b64 vcc, exec, s[2:3]
	s_cbranch_vccnz .LBB198_1036
; %bb.1017:
	s_cmp_lt_i32 s4, 2
	s_cbranch_scc1 .LBB198_1021
; %bb.1018:
	s_cmp_lt_i32 s4, 3
	s_cbranch_scc1 .LBB198_1022
; %bb.1019:
	s_cmp_gt_i32 s4, 3
	s_cbranch_scc0 .LBB198_1023
; %bb.1020:
	global_load_dwordx2 v[4:5], v[0:1], off
	s_movk_i32 s2, 0x7fff
	s_waitcnt vmcnt(0)
	v_xor_b32_e32 v7, v4, v5
	v_ffbh_i32_e32 v6, v5
	v_ashrrev_i32_e32 v7, 31, v7
	v_add_u32_e32 v6, -1, v6
	v_add_u32_e32 v7, 32, v7
	v_min_u32_e32 v6, v6, v7
	v_lshlrev_b64 v[4:5], v6, v[4:5]
	v_min_u32_e32 v4, 1, v4
	v_or_b32_e32 v4, v5, v4
	v_cvt_f32_i32_e32 v4, v4
	v_sub_u32_e32 v5, 32, v6
	v_ldexp_f32 v4, v4, v5
	v_bfe_u32 v5, v4, 16, 1
	v_add3_u32 v4, v4, v5, s2
	v_lshrrev_b32_e32 v4, 16, v4
	s_mov_b64 s[2:3], 0
	s_branch .LBB198_1024
.LBB198_1021:
	s_mov_b64 s[2:3], -1
                                        ; implicit-def: $vgpr4
	s_branch .LBB198_1030
.LBB198_1022:
	s_mov_b64 s[2:3], -1
                                        ; implicit-def: $vgpr4
	s_branch .LBB198_1027
.LBB198_1023:
	s_mov_b64 s[2:3], -1
                                        ; implicit-def: $vgpr4
.LBB198_1024:
	s_andn2_b64 vcc, exec, s[2:3]
	s_cbranch_vccnz .LBB198_1026
; %bb.1025:
	global_load_dword v4, v[0:1], off
	s_movk_i32 s2, 0x7fff
	s_waitcnt vmcnt(0)
	v_cvt_f32_i32_e32 v4, v4
	v_bfe_u32 v5, v4, 16, 1
	v_add3_u32 v4, v4, v5, s2
	v_lshrrev_b32_e32 v4, 16, v4
.LBB198_1026:
	s_mov_b64 s[2:3], 0
.LBB198_1027:
	s_andn2_b64 vcc, exec, s[2:3]
	s_cbranch_vccnz .LBB198_1029
; %bb.1028:
	global_load_sshort v4, v[0:1], off
	s_movk_i32 s2, 0x7fff
	s_waitcnt vmcnt(0)
	v_cvt_f32_i32_e32 v4, v4
	v_bfe_u32 v5, v4, 16, 1
	v_add3_u32 v4, v4, v5, s2
	v_lshrrev_b32_e32 v4, 16, v4
.LBB198_1029:
	s_mov_b64 s[2:3], 0
.LBB198_1030:
	s_andn2_b64 vcc, exec, s[2:3]
	s_cbranch_vccnz .LBB198_1036
; %bb.1031:
	s_cmp_gt_i32 s4, 0
	s_cbranch_scc0 .LBB198_1033
; %bb.1032:
	global_load_sbyte v4, v[0:1], off
	s_movk_i32 s2, 0x7fff
	s_waitcnt vmcnt(0)
	v_cvt_f32_i32_e32 v4, v4
	v_bfe_u32 v5, v4, 16, 1
	v_add3_u32 v4, v4, v5, s2
	v_lshrrev_b32_e32 v4, 16, v4
	s_mov_b64 s[2:3], 0
	s_branch .LBB198_1034
.LBB198_1033:
	s_mov_b64 s[2:3], -1
                                        ; implicit-def: $vgpr4
.LBB198_1034:
	s_andn2_b64 vcc, exec, s[2:3]
	s_cbranch_vccnz .LBB198_1036
; %bb.1035:
	global_load_ubyte v0, v[0:1], off
	s_movk_i32 s2, 0x7fff
	s_waitcnt vmcnt(0)
	v_cvt_f32_ubyte0_e32 v0, v0
	v_bfe_u32 v1, v0, 16, 1
	v_add3_u32 v0, v0, v1, s2
	v_lshrrev_b32_e32 v4, 16, v0
.LBB198_1036:
	s_mov_b64 s[2:3], -1
.LBB198_1037:
	s_andn2_b64 vcc, exec, s[2:3]
	s_cbranch_vccnz .LBB198_1045
; %bb.1038:
	s_waitcnt vmcnt(0)
	v_lshlrev_b32_e32 v0, 16, v3
	v_lshlrev_b32_e32 v1, 16, v4
	v_cmp_eq_f32_e32 vcc, v0, v1
	v_cndmask_b32_e64 v3, 0, 1, vcc
	v_cmp_neq_f32_e32 vcc, v0, v1
	v_mul_lo_u32 v1, v2, s12
	v_cndmask_b32_e64 v0, 0, 1, vcc
	v_cndmask_b32_e64 v0, v0, v3, s[0:1]
	v_and_b32_e32 v0, 1, v0
	v_cmp_eq_u32_e64 s[2:3], 1, v0
	v_ashrrev_i32_e32 v3, 31, v1
	v_mov_b32_e32 v4, s9
	s_and_b32 s51, s33, 0xff
	v_add_co_u32_e32 v0, vcc, s8, v1
	s_cmp_lt_i32 s51, 11
	v_addc_co_u32_e32 v1, vcc, v4, v3, vcc
	s_cbranch_scc1 .LBB198_1046
; %bb.1039:
	s_and_b32 s52, 0xffff, s51
	s_cmp_gt_i32 s52, 25
	s_cbranch_scc0 .LBB198_1047
; %bb.1040:
	s_cmp_gt_i32 s52, 28
	s_cbranch_scc0 .LBB198_1048
; %bb.1041:
	;; [unrolled: 3-line block ×4, first 2 shown]
	s_mov_b64 s[46:47], 0
	s_mov_b64 s[4:5], -1
	s_cmp_eq_u32 s52, 46
	s_mov_b64 s[44:45], 0
	s_cbranch_scc0 .LBB198_1051
; %bb.1044:
	v_cndmask_b32_e64 v3, 0, 1.0, s[2:3]
	v_bfe_u32 v4, v3, 16, 1
	s_movk_i32 s4, 0x7fff
	v_add3_u32 v3, v3, v4, s4
	v_lshrrev_b32_e32 v3, 16, v3
	global_store_dword v[0:1], v3, off
	s_mov_b64 s[44:45], -1
	s_mov_b64 s[4:5], 0
	s_branch .LBB198_1051
.LBB198_1045:
	s_mov_b64 s[46:47], 0
                                        ; implicit-def: $vgpr2
	s_mov_b64 s[4:5], s[34:35]
	s_branch .LBB198_1161
.LBB198_1046:
	s_mov_b64 s[46:47], -1
	s_mov_b64 s[44:45], 0
	s_mov_b64 s[4:5], s[34:35]
	s_branch .LBB198_1120
.LBB198_1047:
	s_mov_b64 s[46:47], -1
	s_mov_b64 s[44:45], 0
	s_mov_b64 s[4:5], s[34:35]
	s_branch .LBB198_1078
.LBB198_1048:
	s_mov_b64 s[46:47], -1
	s_mov_b64 s[44:45], 0
	s_mov_b64 s[4:5], s[34:35]
	s_branch .LBB198_1061
.LBB198_1049:
	s_mov_b64 s[46:47], -1
	s_mov_b64 s[44:45], 0
	s_mov_b64 s[4:5], s[34:35]
	s_branch .LBB198_1057
.LBB198_1050:
	s_mov_b64 s[46:47], -1
	s_mov_b64 s[44:45], 0
	s_mov_b64 s[4:5], s[34:35]
.LBB198_1051:
	s_and_b64 vcc, exec, s[46:47]
	s_cbranch_vccz .LBB198_1056
; %bb.1052:
	s_cmp_eq_u32 s52, 44
	s_mov_b64 s[4:5], -1
	s_cbranch_scc0 .LBB198_1056
; %bb.1053:
	v_cndmask_b32_e64 v4, 0, 1.0, s[2:3]
	v_lshrrev_b32_e32 v3, 23, v4
	s_movk_i32 s4, 0xff
	v_cmp_ne_u32_e32 vcc, s4, v3
	v_mov_b32_e32 v5, 0xff
	s_and_saveexec_b64 s[44:45], vcc
; %bb.1054:
	s_mov_b32 s4, 0x3fffff
	v_and_b32_e32 v5, 0x400000, v4
	v_and_or_b32 v4, v4, s4, v3
	v_cmp_ne_u32_e32 vcc, 0, v5
	v_cmp_ne_u32_e64 s[4:5], 0, v4
	s_and_b64 s[4:5], vcc, s[4:5]
	v_cndmask_b32_e64 v4, 0, 1, s[4:5]
	v_add_u32_e32 v5, v3, v4
; %bb.1055:
	s_or_b64 exec, exec, s[44:45]
	s_mov_b64 s[44:45], -1
	s_mov_b64 s[4:5], 0
	global_store_byte v[0:1], v5, off
.LBB198_1056:
	s_mov_b64 s[46:47], 0
.LBB198_1057:
	s_and_b64 vcc, exec, s[46:47]
	s_cbranch_vccz .LBB198_1060
; %bb.1058:
	s_cmp_eq_u32 s52, 29
	s_mov_b64 s[4:5], -1
	s_cbranch_scc0 .LBB198_1060
; %bb.1059:
	s_mov_b32 s4, 0
	v_cndmask_b32_e64 v3, 0, 1, s[2:3]
	v_mov_b32_e32 v4, s4
	global_store_dwordx2 v[0:1], v[3:4], off
	s_mov_b64 s[44:45], -1
	s_mov_b64 s[4:5], 0
.LBB198_1060:
	s_mov_b64 s[46:47], 0
.LBB198_1061:
	s_and_b64 vcc, exec, s[46:47]
	s_cbranch_vccz .LBB198_1077
; %bb.1062:
	s_cmp_lt_i32 s52, 27
	s_mov_b64 s[44:45], -1
	s_cbranch_scc1 .LBB198_1068
; %bb.1063:
	s_cmp_gt_i32 s52, 27
	s_cbranch_scc0 .LBB198_1065
; %bb.1064:
	v_cndmask_b32_e64 v3, 0, 1, s[2:3]
	s_mov_b64 s[44:45], 0
	global_store_dword v[0:1], v3, off
.LBB198_1065:
	s_andn2_b64 vcc, exec, s[44:45]
	s_cbranch_vccnz .LBB198_1067
; %bb.1066:
	v_cndmask_b32_e64 v3, 0, 1, s[2:3]
	global_store_short v[0:1], v3, off
.LBB198_1067:
	s_mov_b64 s[44:45], 0
.LBB198_1068:
	s_andn2_b64 vcc, exec, s[44:45]
	s_cbranch_vccnz .LBB198_1076
; %bb.1069:
	v_cndmask_b32_e64 v4, 0, 1.0, s[2:3]
	s_mov_b32 s44, 0x43800000
	v_cmp_gt_u32_e32 vcc, s44, v4
	v_mov_b32_e32 v5, 0x80
	s_and_saveexec_b64 s[44:45], vcc
	s_cbranch_execz .LBB198_1075
; %bb.1070:
	s_mov_b32 s46, 0x3bffffff
	v_cmp_lt_u32_e32 vcc, s46, v4
	s_mov_b64 s[46:47], 0
                                        ; implicit-def: $vgpr3
	s_and_saveexec_b64 s[48:49], vcc
	s_xor_b64 s[48:49], exec, s[48:49]
	s_cbranch_execz .LBB198_1177
; %bb.1071:
	v_bfe_u32 v3, v4, 20, 1
	s_mov_b32 s53, 0x487ffff
	v_add3_u32 v3, v4, v3, s53
	s_mov_b64 s[46:47], exec
	v_lshrrev_b32_e32 v3, 20, v3
                                        ; implicit-def: $vgpr4
	s_andn2_saveexec_b64 s[48:49], s[48:49]
	s_cbranch_execnz .LBB198_1178
.LBB198_1072:
	s_or_b64 exec, exec, s[48:49]
	v_mov_b32_e32 v5, 0
	s_and_saveexec_b64 s[48:49], s[46:47]
.LBB198_1073:
	v_mov_b32_e32 v5, v3
.LBB198_1074:
	s_or_b64 exec, exec, s[48:49]
.LBB198_1075:
	s_or_b64 exec, exec, s[44:45]
	global_store_byte v[0:1], v5, off
.LBB198_1076:
	s_mov_b64 s[44:45], -1
.LBB198_1077:
	s_mov_b64 s[46:47], 0
.LBB198_1078:
	s_and_b64 vcc, exec, s[46:47]
	s_cbranch_vccz .LBB198_1119
; %bb.1079:
	s_cmp_gt_i32 s52, 22
	s_mov_b64 s[46:47], -1
	s_cbranch_scc0 .LBB198_1111
; %bb.1080:
	s_cmp_lt_i32 s52, 24
	s_mov_b64 s[44:45], -1
	s_cbranch_scc1 .LBB198_1100
; %bb.1081:
	s_cmp_gt_i32 s52, 24
	s_cbranch_scc0 .LBB198_1089
; %bb.1082:
	v_cndmask_b32_e64 v4, 0, 1.0, s[2:3]
	s_mov_b32 s44, 0x47800000
	v_cmp_gt_u32_e32 vcc, s44, v4
	v_mov_b32_e32 v5, 0x80
	s_and_saveexec_b64 s[44:45], vcc
	s_cbranch_execz .LBB198_1088
; %bb.1083:
	s_mov_b32 s46, 0x37ffffff
	v_cmp_lt_u32_e32 vcc, s46, v4
	s_mov_b64 s[46:47], 0
                                        ; implicit-def: $vgpr3
	s_and_saveexec_b64 s[48:49], vcc
	s_xor_b64 s[48:49], exec, s[48:49]
	s_cbranch_execz .LBB198_2200
; %bb.1084:
	v_bfe_u32 v3, v4, 21, 1
	s_mov_b32 s53, 0x88fffff
	v_add3_u32 v3, v4, v3, s53
	s_mov_b64 s[46:47], exec
	v_lshrrev_b32_e32 v3, 21, v3
                                        ; implicit-def: $vgpr4
	s_andn2_saveexec_b64 s[48:49], s[48:49]
	s_cbranch_execnz .LBB198_2201
.LBB198_1085:
	s_or_b64 exec, exec, s[48:49]
	v_mov_b32_e32 v5, 0
	s_and_saveexec_b64 s[48:49], s[46:47]
.LBB198_1086:
	v_mov_b32_e32 v5, v3
.LBB198_1087:
	s_or_b64 exec, exec, s[48:49]
.LBB198_1088:
	s_or_b64 exec, exec, s[44:45]
	s_mov_b64 s[44:45], 0
	global_store_byte v[0:1], v5, off
.LBB198_1089:
	s_and_b64 vcc, exec, s[44:45]
	s_cbranch_vccz .LBB198_1099
; %bb.1090:
	v_cndmask_b32_e64 v3, 0, 1.0, s[2:3]
	s_mov_b32 s44, 0x43f00000
	v_cmp_gt_u32_e32 vcc, s44, v3
                                        ; implicit-def: $vgpr4
	s_and_saveexec_b64 s[44:45], vcc
	s_xor_b64 s[44:45], exec, s[44:45]
	s_cbranch_execz .LBB198_1096
; %bb.1091:
	s_mov_b32 s46, 0x3c7fffff
	v_cmp_lt_u32_e32 vcc, s46, v3
                                        ; implicit-def: $vgpr4
	s_and_saveexec_b64 s[46:47], vcc
	s_xor_b64 s[46:47], exec, s[46:47]
; %bb.1092:
	v_bfe_u32 v4, v3, 20, 1
	s_mov_b32 s48, 0x407ffff
	v_add3_u32 v3, v3, v4, s48
	v_lshrrev_b32_e32 v4, 20, v3
	v_and_b32_e32 v3, 0xff00000, v3
	s_mov_b32 s48, 0x7f00000
	v_mov_b32_e32 v5, 0x7e
	v_cmp_ne_u32_e32 vcc, s48, v3
	v_cndmask_b32_e32 v4, v5, v4, vcc
                                        ; implicit-def: $vgpr3
; %bb.1093:
	s_andn2_saveexec_b64 s[46:47], s[46:47]
; %bb.1094:
	v_add_f32_e32 v4, 0x46800000, v3
; %bb.1095:
	s_or_b64 exec, exec, s[46:47]
                                        ; implicit-def: $vgpr3
.LBB198_1096:
	s_andn2_saveexec_b64 s[44:45], s[44:45]
; %bb.1097:
	s_mov_b32 s46, 0x7f800000
	v_mov_b32_e32 v4, 0x7e
	v_mov_b32_e32 v5, 0x7f
	v_cmp_lt_u32_e32 vcc, s46, v3
	v_cndmask_b32_e32 v4, v4, v5, vcc
; %bb.1098:
	s_or_b64 exec, exec, s[44:45]
	global_store_byte v[0:1], v4, off
.LBB198_1099:
	s_mov_b64 s[44:45], 0
.LBB198_1100:
	s_andn2_b64 vcc, exec, s[44:45]
	s_cbranch_vccnz .LBB198_1110
; %bb.1101:
	v_cndmask_b32_e64 v3, 0, 1.0, s[2:3]
	s_mov_b32 s44, 0x47800000
	v_cmp_gt_u32_e32 vcc, s44, v3
                                        ; implicit-def: $vgpr4
	s_and_saveexec_b64 s[44:45], vcc
	s_xor_b64 s[44:45], exec, s[44:45]
	s_cbranch_execz .LBB198_1107
; %bb.1102:
	s_mov_b32 s46, 0x387fffff
	v_cmp_lt_u32_e32 vcc, s46, v3
                                        ; implicit-def: $vgpr4
	s_and_saveexec_b64 s[46:47], vcc
	s_xor_b64 s[46:47], exec, s[46:47]
; %bb.1103:
	v_bfe_u32 v4, v3, 21, 1
	s_mov_b32 s48, 0x80fffff
	v_add3_u32 v3, v3, v4, s48
	v_lshrrev_b32_e32 v4, 21, v3
                                        ; implicit-def: $vgpr3
; %bb.1104:
	s_andn2_saveexec_b64 s[46:47], s[46:47]
; %bb.1105:
	v_add_f32_e32 v4, 0x43000000, v3
; %bb.1106:
	s_or_b64 exec, exec, s[46:47]
                                        ; implicit-def: $vgpr3
.LBB198_1107:
	s_andn2_saveexec_b64 s[44:45], s[44:45]
; %bb.1108:
	s_mov_b32 s46, 0x7f800000
	v_mov_b32_e32 v4, 0x7c
	v_mov_b32_e32 v5, 0x7f
	v_cmp_lt_u32_e32 vcc, s46, v3
	v_cndmask_b32_e32 v4, v4, v5, vcc
; %bb.1109:
	s_or_b64 exec, exec, s[44:45]
	global_store_byte v[0:1], v4, off
.LBB198_1110:
	s_mov_b64 s[46:47], 0
	s_mov_b64 s[44:45], -1
.LBB198_1111:
	s_andn2_b64 vcc, exec, s[46:47]
	s_cbranch_vccnz .LBB198_1119
; %bb.1112:
	s_cmp_gt_i32 s52, 14
	s_mov_b64 s[46:47], -1
	s_cbranch_scc0 .LBB198_1116
; %bb.1113:
	s_cmp_eq_u32 s52, 15
	s_mov_b64 s[4:5], -1
	s_cbranch_scc0 .LBB198_1115
; %bb.1114:
	v_cndmask_b32_e64 v3, 0, 1.0, s[2:3]
	v_bfe_u32 v4, v3, 16, 1
	s_movk_i32 s4, 0x7fff
	v_add3_u32 v3, v3, v4, s4
	global_store_short_d16_hi v[0:1], v3, off
	s_mov_b64 s[44:45], -1
	s_mov_b64 s[4:5], 0
.LBB198_1115:
	s_mov_b64 s[46:47], 0
.LBB198_1116:
	s_and_b64 vcc, exec, s[46:47]
	s_cbranch_vccz .LBB198_1119
; %bb.1117:
	s_cmp_eq_u32 s52, 11
	s_mov_b64 s[4:5], -1
	s_cbranch_scc0 .LBB198_1119
; %bb.1118:
	v_cndmask_b32_e64 v3, 0, 1, s[2:3]
	s_mov_b64 s[44:45], -1
	s_mov_b64 s[4:5], 0
	global_store_byte v[0:1], v3, off
.LBB198_1119:
	s_mov_b64 s[46:47], 0
.LBB198_1120:
	s_and_b64 vcc, exec, s[46:47]
	s_cbranch_vccz .LBB198_1159
; %bb.1121:
	s_and_b32 s46, 0xffff, s51
	s_cmp_lt_i32 s46, 5
	s_mov_b64 s[44:45], -1
	s_cbranch_scc1 .LBB198_1142
; %bb.1122:
	s_cmp_lt_i32 s46, 8
	s_cbranch_scc1 .LBB198_1132
; %bb.1123:
	s_cmp_lt_i32 s46, 9
	s_cbranch_scc1 .LBB198_1129
; %bb.1124:
	s_cmp_gt_i32 s46, 9
	s_cbranch_scc0 .LBB198_1126
; %bb.1125:
	v_cndmask_b32_e64 v3, 0, 1, s[2:3]
	v_cvt_f64_u32_e32 v[3:4], v3
	v_mov_b32_e32 v5, 0
	v_mov_b32_e32 v6, v5
	s_mov_b64 s[44:45], 0
	global_store_dwordx4 v[0:1], v[3:6], off
.LBB198_1126:
	s_andn2_b64 vcc, exec, s[44:45]
	s_cbranch_vccnz .LBB198_1128
; %bb.1127:
	v_cndmask_b32_e64 v3, 0, 1.0, s[2:3]
	v_mov_b32_e32 v4, 0
	global_store_dwordx2 v[0:1], v[3:4], off
.LBB198_1128:
	s_mov_b64 s[44:45], 0
.LBB198_1129:
	s_andn2_b64 vcc, exec, s[44:45]
	s_cbranch_vccnz .LBB198_1131
; %bb.1130:
	v_cndmask_b32_e64 v3, 0, 1.0, s[2:3]
	v_cvt_f16_f32_e32 v3, v3
	global_store_dword v[0:1], v3, off
.LBB198_1131:
	s_mov_b64 s[44:45], 0
.LBB198_1132:
	s_andn2_b64 vcc, exec, s[44:45]
	s_cbranch_vccnz .LBB198_1141
; %bb.1133:
	s_cmp_lt_i32 s46, 6
	s_mov_b64 s[44:45], -1
	s_cbranch_scc1 .LBB198_1139
; %bb.1134:
	s_cmp_gt_i32 s46, 6
	s_cbranch_scc0 .LBB198_1136
; %bb.1135:
	v_cndmask_b32_e64 v3, 0, 1, s[2:3]
	v_cvt_f64_u32_e32 v[3:4], v3
	s_mov_b64 s[44:45], 0
	global_store_dwordx2 v[0:1], v[3:4], off
.LBB198_1136:
	s_andn2_b64 vcc, exec, s[44:45]
	s_cbranch_vccnz .LBB198_1138
; %bb.1137:
	v_cndmask_b32_e64 v3, 0, 1.0, s[2:3]
	global_store_dword v[0:1], v3, off
.LBB198_1138:
	s_mov_b64 s[44:45], 0
.LBB198_1139:
	s_andn2_b64 vcc, exec, s[44:45]
	s_cbranch_vccnz .LBB198_1141
; %bb.1140:
	v_cndmask_b32_e64 v3, 0, 1.0, s[2:3]
	v_cvt_f16_f32_e32 v3, v3
	global_store_short v[0:1], v3, off
.LBB198_1141:
	s_mov_b64 s[44:45], 0
.LBB198_1142:
	s_andn2_b64 vcc, exec, s[44:45]
	s_cbranch_vccnz .LBB198_1158
; %bb.1143:
	s_cmp_lt_i32 s46, 2
	s_mov_b64 s[44:45], -1
	s_cbranch_scc1 .LBB198_1153
; %bb.1144:
	s_cmp_lt_i32 s46, 3
	s_cbranch_scc1 .LBB198_1150
; %bb.1145:
	s_cmp_gt_i32 s46, 3
	s_cbranch_scc0 .LBB198_1147
; %bb.1146:
	s_mov_b32 s44, 0
	v_cndmask_b32_e64 v3, 0, 1, s[2:3]
	v_mov_b32_e32 v4, s44
	s_mov_b64 s[44:45], 0
	global_store_dwordx2 v[0:1], v[3:4], off
.LBB198_1147:
	s_andn2_b64 vcc, exec, s[44:45]
	s_cbranch_vccnz .LBB198_1149
; %bb.1148:
	v_cndmask_b32_e64 v3, 0, 1, s[2:3]
	global_store_dword v[0:1], v3, off
.LBB198_1149:
	s_mov_b64 s[44:45], 0
.LBB198_1150:
	s_andn2_b64 vcc, exec, s[44:45]
	s_cbranch_vccnz .LBB198_1152
; %bb.1151:
	v_cndmask_b32_e64 v3, 0, 1, s[2:3]
	global_store_short v[0:1], v3, off
.LBB198_1152:
	s_mov_b64 s[44:45], 0
.LBB198_1153:
	s_andn2_b64 vcc, exec, s[44:45]
	s_cbranch_vccnz .LBB198_1158
; %bb.1154:
	s_mov_b64 s[44:45], -1
	s_cmp_gt_i32 s46, 0
	v_cndmask_b32_e64 v3, 0, 1, s[2:3]
	s_cbranch_scc0 .LBB198_1156
; %bb.1155:
	s_mov_b64 s[44:45], 0
	global_store_byte v[0:1], v3, off
.LBB198_1156:
	s_andn2_b64 vcc, exec, s[44:45]
	s_cbranch_vccnz .LBB198_1158
; %bb.1157:
	global_store_byte v[0:1], v3, off
.LBB198_1158:
	s_mov_b64 s[44:45], -1
.LBB198_1159:
	s_andn2_b64 vcc, exec, s[44:45]
	s_cbranch_vccnz .LBB198_1172
; %bb.1160:
	v_add_u32_e32 v2, 0x80, v2
	s_mov_b64 s[46:47], -1
.LBB198_1161:
	s_andn2_b64 s[2:3], s[34:35], exec
	s_and_b64 s[4:5], s[4:5], exec
	s_or_b64 s[44:45], s[2:3], s[4:5]
	s_andn2_b64 s[2:3], s[30:31], exec
	s_and_b64 s[4:5], s[42:43], exec
	s_or_b64 s[4:5], s[2:3], s[4:5]
	;; [unrolled: 3-line block ×3, first 2 shown]
	s_orn2_b64 s[48:49], s[46:47], exec
.LBB198_1162:
	s_or_b64 exec, exec, s[38:39]
	s_mov_b64 s[42:43], 0
	s_mov_b64 s[46:47], 0
	s_mov_b64 s[40:41], 0
                                        ; implicit-def: $sgpr58
                                        ; implicit-def: $vgpr0_vgpr1
                                        ; implicit-def: $vgpr3
	s_and_saveexec_b64 s[38:39], s[48:49]
	s_cbranch_execz .LBB198_1246
; %bb.1163:
	v_cmp_gt_i32_e32 vcc, s50, v2
	s_mov_b64 s[48:49], 0
	s_mov_b64 s[50:51], s[2:3]
	;; [unrolled: 1-line block ×4, first 2 shown]
                                        ; implicit-def: $sgpr58
                                        ; implicit-def: $vgpr0_vgpr1
                                        ; implicit-def: $vgpr3
	s_and_saveexec_b64 s[40:41], vcc
	s_cbranch_execz .LBB198_1245
; %bb.1164:
	v_mul_lo_u32 v0, v2, s13
	v_mov_b32_e32 v1, s11
	s_and_b32 s58, s57, 0xff
	s_cmp_lt_i32 s58, 11
	s_waitcnt vmcnt(0)
	v_ashrrev_i32_e32 v3, 31, v0
	v_add_co_u32_e32 v0, vcc, s10, v0
	v_addc_co_u32_e32 v1, vcc, v1, v3, vcc
	s_cbranch_scc1 .LBB198_1171
; %bb.1165:
	s_and_b32 s54, 0xffff, s58
	s_cmp_gt_i32 s54, 25
	s_cbranch_scc0 .LBB198_1173
; %bb.1166:
	s_cmp_gt_i32 s54, 28
	s_cbranch_scc0 .LBB198_1174
; %bb.1167:
	;; [unrolled: 3-line block ×4, first 2 shown]
	s_cmp_eq_u32 s54, 46
	s_mov_b64 s[50:51], 0
	s_cbranch_scc0 .LBB198_1179
; %bb.1170:
	global_load_dword v3, v[0:1], off
	s_mov_b64 s[48:49], -1
	s_branch .LBB198_1181
.LBB198_1171:
	s_mov_b64 s[50:51], -1
                                        ; implicit-def: $vgpr3
	s_mov_b64 s[42:43], s[2:3]
	s_branch .LBB198_1244
.LBB198_1172:
	s_mov_b64 s[46:47], 0
	s_branch .LBB198_914
.LBB198_1173:
	s_mov_b64 s[50:51], -1
	s_mov_b64 s[42:43], s[2:3]
                                        ; implicit-def: $vgpr3
	s_branch .LBB198_1210
.LBB198_1174:
	s_mov_b64 s[50:51], -1
	s_mov_b64 s[42:43], s[2:3]
                                        ; implicit-def: $vgpr3
	s_branch .LBB198_1191
.LBB198_1175:
	s_mov_b64 s[50:51], -1
	s_mov_b64 s[42:43], s[2:3]
                                        ; implicit-def: $vgpr3
	s_branch .LBB198_1186
.LBB198_1176:
	s_mov_b64 s[50:51], -1
	s_mov_b64 s[42:43], s[2:3]
	s_branch .LBB198_1180
.LBB198_1177:
	s_andn2_saveexec_b64 s[48:49], s[48:49]
	s_cbranch_execz .LBB198_1072
.LBB198_1178:
	v_add_f32_e32 v3, 0x46000000, v4
	v_and_b32_e32 v3, 0xff, v3
	v_cmp_ne_u32_e32 vcc, 0, v3
	s_andn2_b64 s[46:47], s[46:47], exec
	s_and_b64 s[54:55], vcc, exec
	s_or_b64 s[46:47], s[46:47], s[54:55]
	s_or_b64 exec, exec, s[48:49]
	v_mov_b32_e32 v5, 0
	s_and_saveexec_b64 s[48:49], s[46:47]
	s_cbranch_execnz .LBB198_1073
	s_branch .LBB198_1074
.LBB198_1179:
	s_mov_b64 s[42:43], -1
.LBB198_1180:
                                        ; implicit-def: $vgpr3
.LBB198_1181:
	s_and_b64 vcc, exec, s[50:51]
	s_cbranch_vccz .LBB198_1185
; %bb.1182:
	s_cmp_eq_u32 s54, 44
	s_cbranch_scc0 .LBB198_1184
; %bb.1183:
	global_load_ubyte v3, v[0:1], off
	s_movk_i32 s48, 0xff
	v_mov_b32_e32 v4, 0x7f800001
	v_mov_b32_e32 v5, 0x400000
	;; [unrolled: 1-line block ×3, first 2 shown]
	s_mov_b64 s[42:43], 0
	s_waitcnt vmcnt(0)
	v_lshlrev_b32_e32 v7, 23, v3
	v_cmp_ne_u32_e32 vcc, s48, v3
	v_cndmask_b32_e32 v4, v4, v7, vcc
	v_cmp_ne_u32_e32 vcc, 0, v3
	v_cndmask_b32_e32 v3, v5, v4, vcc
	v_add_u32_e32 v4, 0x7fff, v3
	v_cmp_o_f32_e32 vcc, v3, v3
	v_cndmask_b32_sdwa v3, v6, v4, vcc dst_sel:DWORD dst_unused:UNUSED_PAD src0_sel:DWORD src1_sel:WORD_1
	s_mov_b64 s[48:49], -1
	s_branch .LBB198_1185
.LBB198_1184:
	s_mov_b64 s[42:43], -1
                                        ; implicit-def: $vgpr3
.LBB198_1185:
	s_mov_b64 s[50:51], 0
.LBB198_1186:
	s_and_b64 vcc, exec, s[50:51]
	s_cbranch_vccz .LBB198_1190
; %bb.1187:
	s_cmp_eq_u32 s54, 29
	s_cbranch_scc0 .LBB198_1189
; %bb.1188:
	global_load_dwordx2 v[3:4], v[0:1], off
	s_movk_i32 s48, 0x7fff
	s_mov_b64 s[42:43], 0
	s_mov_b64 s[50:51], 0
	s_waitcnt vmcnt(0)
	v_ffbh_u32_e32 v5, v4
	v_min_u32_e32 v5, 32, v5
	v_lshlrev_b64 v[3:4], v5, v[3:4]
	v_min_u32_e32 v3, 1, v3
	v_or_b32_e32 v3, v4, v3
	v_cvt_f32_u32_e32 v3, v3
	v_sub_u32_e32 v4, 32, v5
	v_ldexp_f32 v3, v3, v4
	v_bfe_u32 v4, v3, 16, 1
	v_add3_u32 v3, v3, v4, s48
	v_lshrrev_b32_e32 v3, 16, v3
	s_mov_b64 s[48:49], -1
	s_branch .LBB198_1191
.LBB198_1189:
	s_mov_b64 s[42:43], -1
                                        ; implicit-def: $vgpr3
.LBB198_1190:
	s_mov_b64 s[50:51], 0
.LBB198_1191:
	s_and_b64 vcc, exec, s[50:51]
	s_cbranch_vccz .LBB198_1209
; %bb.1192:
	s_cmp_lt_i32 s54, 27
	s_cbranch_scc1 .LBB198_1195
; %bb.1193:
	s_cmp_gt_i32 s54, 27
	s_cbranch_scc0 .LBB198_1196
; %bb.1194:
	global_load_dword v3, v[0:1], off
	s_movk_i32 s48, 0x7fff
	s_waitcnt vmcnt(0)
	v_cvt_f32_u32_e32 v3, v3
	v_bfe_u32 v4, v3, 16, 1
	v_add3_u32 v3, v3, v4, s48
	v_lshrrev_b32_e32 v3, 16, v3
	s_mov_b64 s[48:49], 0
	s_branch .LBB198_1197
.LBB198_1195:
	s_mov_b64 s[48:49], -1
                                        ; implicit-def: $vgpr3
	s_branch .LBB198_1200
.LBB198_1196:
	s_mov_b64 s[48:49], -1
                                        ; implicit-def: $vgpr3
.LBB198_1197:
	s_andn2_b64 vcc, exec, s[48:49]
	s_cbranch_vccnz .LBB198_1199
; %bb.1198:
	global_load_ushort v3, v[0:1], off
	s_movk_i32 s48, 0x7fff
	s_waitcnt vmcnt(0)
	v_cvt_f32_u32_e32 v3, v3
	v_bfe_u32 v4, v3, 16, 1
	v_add3_u32 v3, v3, v4, s48
	v_lshrrev_b32_e32 v3, 16, v3
.LBB198_1199:
	s_mov_b64 s[48:49], 0
.LBB198_1200:
	s_andn2_b64 vcc, exec, s[48:49]
	s_cbranch_vccnz .LBB198_1208
; %bb.1201:
	global_load_ubyte v3, v[0:1], off
	s_movk_i32 s48, 0x7f
	s_waitcnt vmcnt(0)
	v_cmp_lt_i16_e32 vcc, s48, v3
	s_mov_b64 s[48:49], 0
	s_and_saveexec_b64 s[50:51], vcc
	s_xor_b64 s[50:51], exec, s[50:51]
	s_cbranch_execz .LBB198_1222
; %bb.1202:
	s_movk_i32 s48, 0x80
	v_cmp_eq_u16_e32 vcc, s48, v3
	s_mov_b64 s[48:49], -1
	s_and_saveexec_b64 s[52:53], vcc
; %bb.1203:
	s_xor_b64 s[48:49], exec, -1
; %bb.1204:
	s_or_b64 exec, exec, s[52:53]
	s_and_b64 s[48:49], s[48:49], exec
	s_or_saveexec_b64 s[50:51], s[50:51]
	v_mov_b32_e32 v4, 0x7f800001
	s_xor_b64 exec, exec, s[50:51]
	s_cbranch_execnz .LBB198_1223
.LBB198_1205:
	s_or_b64 exec, exec, s[50:51]
	s_and_saveexec_b64 s[50:51], s[48:49]
	s_cbranch_execz .LBB198_1207
.LBB198_1206:
	v_lshlrev_b32_e32 v4, 24, v3
	v_and_b32_e32 v3, 0xffff, v3
	v_and_b32_e32 v5, 7, v3
	v_ffbh_u32_e32 v7, v5
	v_min_u32_e32 v7, 32, v7
	v_subrev_u32_e32 v8, 28, v7
	v_bfe_u32 v6, v3, 3, 4
	v_lshlrev_b32_e32 v3, v8, v3
	v_sub_u32_e32 v7, 29, v7
	v_and_b32_e32 v3, 7, v3
	v_cmp_eq_u32_e32 vcc, 0, v6
	v_cndmask_b32_e32 v6, v6, v7, vcc
	v_cndmask_b32_e32 v3, v5, v3, vcc
	v_mov_b32_e32 v5, 0x3b800000
	v_lshlrev_b32_e32 v3, 20, v3
	v_and_b32_e32 v4, 0x80000000, v4
	v_lshl_add_u32 v5, v6, 23, v5
	v_or3_b32 v4, v4, v5, v3
.LBB198_1207:
	s_or_b64 exec, exec, s[50:51]
	v_bfe_u32 v3, v4, 16, 1
	s_movk_i32 s48, 0x7fff
	v_add3_u32 v3, v4, v3, s48
	v_cmp_o_f32_e32 vcc, v4, v4
	v_mov_b32_e32 v4, 0x7fc0
	v_cndmask_b32_sdwa v3, v4, v3, vcc dst_sel:DWORD dst_unused:UNUSED_PAD src0_sel:DWORD src1_sel:WORD_1
.LBB198_1208:
	s_mov_b64 s[48:49], -1
.LBB198_1209:
	s_mov_b64 s[50:51], 0
.LBB198_1210:
	s_and_b64 vcc, exec, s[50:51]
	s_cbranch_vccz .LBB198_1243
; %bb.1211:
	s_cmp_gt_i32 s54, 22
	s_cbranch_scc0 .LBB198_1221
; %bb.1212:
	s_cmp_lt_i32 s54, 24
	s_cbranch_scc1 .LBB198_1224
; %bb.1213:
	s_cmp_gt_i32 s54, 24
	s_cbranch_scc0 .LBB198_1225
; %bb.1214:
	global_load_ubyte v3, v[0:1], off
	s_movk_i32 s46, 0x7f
	s_waitcnt vmcnt(0)
	v_cmp_lt_i16_e32 vcc, s46, v3
	s_mov_b64 s[46:47], 0
	s_and_saveexec_b64 s[48:49], vcc
	s_xor_b64 s[48:49], exec, s[48:49]
	s_cbranch_execz .LBB198_1237
; %bb.1215:
	s_movk_i32 s46, 0x80
	v_cmp_eq_u16_e32 vcc, s46, v3
	s_mov_b64 s[46:47], -1
	s_and_saveexec_b64 s[50:51], vcc
; %bb.1216:
	s_xor_b64 s[46:47], exec, -1
; %bb.1217:
	s_or_b64 exec, exec, s[50:51]
	s_and_b64 s[46:47], s[46:47], exec
	s_or_saveexec_b64 s[48:49], s[48:49]
	v_mov_b32_e32 v4, 0x7f800001
	s_xor_b64 exec, exec, s[48:49]
	s_cbranch_execnz .LBB198_1238
.LBB198_1218:
	s_or_b64 exec, exec, s[48:49]
	s_and_saveexec_b64 s[48:49], s[46:47]
	s_cbranch_execz .LBB198_1220
.LBB198_1219:
	v_lshlrev_b32_e32 v4, 24, v3
	v_and_b32_e32 v3, 0xffff, v3
	v_and_b32_e32 v5, 3, v3
	v_ffbh_u32_e32 v7, v5
	v_min_u32_e32 v7, 32, v7
	v_subrev_u32_e32 v8, 29, v7
	v_bfe_u32 v6, v3, 2, 5
	v_lshlrev_b32_e32 v3, v8, v3
	v_sub_u32_e32 v7, 30, v7
	v_and_b32_e32 v3, 3, v3
	v_cmp_eq_u32_e32 vcc, 0, v6
	v_cndmask_b32_e32 v6, v6, v7, vcc
	v_cndmask_b32_e32 v3, v5, v3, vcc
	v_mov_b32_e32 v5, 0x37800000
	v_lshlrev_b32_e32 v3, 21, v3
	v_and_b32_e32 v4, 0x80000000, v4
	v_lshl_add_u32 v5, v6, 23, v5
	v_or3_b32 v4, v4, v5, v3
.LBB198_1220:
	s_or_b64 exec, exec, s[48:49]
	v_bfe_u32 v3, v4, 16, 1
	s_movk_i32 s46, 0x7fff
	v_add3_u32 v3, v4, v3, s46
	v_cmp_o_f32_e32 vcc, v4, v4
	v_mov_b32_e32 v4, 0x7fc0
	v_cndmask_b32_sdwa v3, v4, v3, vcc dst_sel:DWORD dst_unused:UNUSED_PAD src0_sel:DWORD src1_sel:WORD_1
	s_mov_b64 s[46:47], 0
	s_branch .LBB198_1226
.LBB198_1221:
	s_mov_b64 s[46:47], -1
                                        ; implicit-def: $vgpr3
	s_branch .LBB198_1232
.LBB198_1222:
	s_or_saveexec_b64 s[50:51], s[50:51]
	v_mov_b32_e32 v4, 0x7f800001
	s_xor_b64 exec, exec, s[50:51]
	s_cbranch_execz .LBB198_1205
.LBB198_1223:
	v_cmp_ne_u16_e32 vcc, 0, v3
	s_andn2_b64 s[48:49], s[48:49], exec
	s_and_b64 s[52:53], vcc, exec
	v_mov_b32_e32 v4, 0
	s_or_b64 s[48:49], s[48:49], s[52:53]
	s_or_b64 exec, exec, s[50:51]
	s_and_saveexec_b64 s[50:51], s[48:49]
	s_cbranch_execnz .LBB198_1206
	s_branch .LBB198_1207
.LBB198_1224:
	s_mov_b64 s[46:47], -1
                                        ; implicit-def: $vgpr3
	s_branch .LBB198_1229
.LBB198_1225:
	s_mov_b64 s[46:47], -1
                                        ; implicit-def: $vgpr3
.LBB198_1226:
	s_and_b64 vcc, exec, s[46:47]
	s_cbranch_vccz .LBB198_1228
; %bb.1227:
	global_load_ubyte v3, v[0:1], off
	s_mov_b32 s46, 0x7f800000
	s_brev_b32 s47, 1
	s_movk_i32 s48, 0x7fff
	s_waitcnt vmcnt(0)
	v_lshlrev_b32_e32 v3, 24, v3
	v_and_b32_e32 v4, 0x7f000000, v3
	v_ffbh_u32_e32 v5, v4
	v_min_u32_e32 v5, 32, v5
	v_sub_u32_e64 v5, v5, 4 clamp
	v_lshlrev_b32_e32 v7, v5, v4
	v_lshlrev_b32_e32 v5, 23, v5
	v_lshrrev_b32_e32 v7, 4, v7
	v_add_u32_e32 v6, 0x1000000, v4
	v_sub_u32_e32 v5, v7, v5
	v_ashrrev_i32_e32 v6, 8, v6
	v_add_u32_e32 v5, 0x3c000000, v5
	v_and_or_b32 v5, v6, s46, v5
	v_cmp_ne_u32_e32 vcc, 0, v4
	v_cndmask_b32_e32 v4, 0, v5, vcc
	v_and_or_b32 v3, v3, s47, v4
	v_bfe_u32 v4, v4, 16, 1
	v_add3_u32 v4, v3, v4, s48
	v_cmp_o_f32_e32 vcc, v3, v3
	v_mov_b32_e32 v3, 0x7fc0
	v_cndmask_b32_sdwa v3, v3, v4, vcc dst_sel:DWORD dst_unused:UNUSED_PAD src0_sel:DWORD src1_sel:WORD_1
.LBB198_1228:
	s_mov_b64 s[46:47], 0
.LBB198_1229:
	s_andn2_b64 vcc, exec, s[46:47]
	s_cbranch_vccnz .LBB198_1231
; %bb.1230:
	global_load_ubyte v3, v[0:1], off
	s_movk_i32 s46, 0x7f00
	s_brev_b32 s47, 16
	s_brev_b32 s48, 1
	s_movk_i32 s49, 0x7fff
	s_waitcnt vmcnt(0)
	v_lshlrev_b16_e32 v4, 8, v3
	v_lshlrev_b32_e32 v3, 25, v3
	v_lshrrev_b32_e32 v5, 4, v3
	v_and_or_b32 v6, v4, s46, 0.5
	v_or_b32_e32 v5, 0x70000000, v5
	v_add_f32_e32 v6, -0.5, v6
	v_mul_f32_e32 v5, 0x7800000, v5
	v_cmp_gt_u32_e32 vcc, s47, v3
	v_bfe_i32 v4, v4, 0, 16
	v_cndmask_b32_e32 v3, v5, v6, vcc
	v_and_or_b32 v4, v4, s48, v3
	v_bfe_u32 v3, v3, 16, 1
	v_add3_u32 v3, v4, v3, s49
	v_cmp_o_f32_e32 vcc, v4, v4
	v_mov_b32_e32 v4, 0x7fc0
	v_cndmask_b32_sdwa v3, v4, v3, vcc dst_sel:DWORD dst_unused:UNUSED_PAD src0_sel:DWORD src1_sel:WORD_1
.LBB198_1231:
	s_mov_b64 s[46:47], 0
	s_mov_b64 s[48:49], -1
.LBB198_1232:
	s_andn2_b64 vcc, exec, s[46:47]
	s_mov_b64 s[46:47], 0
	s_cbranch_vccnz .LBB198_1243
; %bb.1233:
	s_cmp_gt_i32 s54, 14
	s_cbranch_scc0 .LBB198_1236
; %bb.1234:
	s_cmp_eq_u32 s54, 15
	s_cbranch_scc0 .LBB198_1239
; %bb.1235:
	global_load_ushort v3, v[0:1], off
	s_mov_b64 s[42:43], 0
	s_mov_b64 s[48:49], -1
	s_branch .LBB198_1240
.LBB198_1236:
	s_mov_b64 s[50:51], -1
                                        ; implicit-def: $vgpr3
	s_branch .LBB198_1241
.LBB198_1237:
	s_or_saveexec_b64 s[48:49], s[48:49]
	v_mov_b32_e32 v4, 0x7f800001
	s_xor_b64 exec, exec, s[48:49]
	s_cbranch_execz .LBB198_1218
.LBB198_1238:
	v_cmp_ne_u16_e32 vcc, 0, v3
	s_andn2_b64 s[46:47], s[46:47], exec
	s_and_b64 s[50:51], vcc, exec
	v_mov_b32_e32 v4, 0
	s_or_b64 s[46:47], s[46:47], s[50:51]
	s_or_b64 exec, exec, s[48:49]
	s_and_saveexec_b64 s[48:49], s[46:47]
	s_cbranch_execnz .LBB198_1219
	s_branch .LBB198_1220
.LBB198_1239:
	s_mov_b64 s[42:43], -1
                                        ; implicit-def: $vgpr3
.LBB198_1240:
	s_mov_b64 s[50:51], 0
.LBB198_1241:
	s_and_b64 vcc, exec, s[50:51]
	s_cbranch_vccz .LBB198_1243
; %bb.1242:
	s_cmp_lg_u32 s54, 11
	s_cselect_b64 s[50:51], -1, 0
	s_andn2_b64 s[42:43], s[42:43], exec
	s_and_b64 s[50:51], s[50:51], exec
	s_mov_b64 s[46:47], -1
	s_or_b64 s[42:43], s[42:43], s[50:51]
.LBB198_1243:
	s_mov_b64 s[50:51], 0
.LBB198_1244:
	s_and_b64 s[54:55], s[48:49], exec
	s_and_b64 s[48:49], s[46:47], exec
	s_andn2_b64 s[46:47], s[2:3], exec
	s_and_b64 s[42:43], s[42:43], exec
	s_and_b64 s[52:53], s[50:51], exec
	s_or_b64 s[50:51], s[46:47], s[42:43]
.LBB198_1245:
	s_or_b64 exec, exec, s[40:41]
	s_and_b64 s[42:43], s[48:49], exec
	s_andn2_b64 s[2:3], s[2:3], exec
	s_and_b64 s[48:49], s[50:51], exec
	s_and_b64 s[40:41], s[54:55], exec
	;; [unrolled: 1-line block ×3, first 2 shown]
	s_or_b64 s[2:3], s[2:3], s[48:49]
.LBB198_1246:
	s_or_b64 exec, exec, s[38:39]
	s_andn2_b64 s[34:35], s[34:35], exec
	s_and_b64 s[38:39], s[44:45], exec
	s_andn2_b64 s[30:31], s[30:31], exec
	s_and_b64 s[4:5], s[4:5], exec
	;; [unrolled: 2-line block ×3, first 2 shown]
	s_or_b64 s[34:35], s[34:35], s[38:39]
	s_or_b64 s[30:31], s[30:31], s[4:5]
	s_and_b64 s[40:41], s[40:41], exec
	s_and_b64 s[38:39], s[46:47], exec
	;; [unrolled: 1-line block ×3, first 2 shown]
	s_or_b64 s[28:29], s[28:29], s[2:3]
.LBB198_1247:
	s_or_b64 exec, exec, s[36:37]
	s_andn2_b64 s[2:3], s[20:21], exec
	s_and_b64 s[20:21], s[34:35], exec
	s_or_b64 s[20:21], s[2:3], s[20:21]
	s_andn2_b64 s[2:3], s[22:23], exec
	s_and_b64 s[22:23], s[30:31], exec
	s_or_b64 s[22:23], s[2:3], s[22:23]
	s_and_b64 s[30:31], s[4:5], exec
	s_andn2_b64 s[2:3], s[24:25], exec
	s_and_b64 s[4:5], s[28:29], exec
	s_and_b64 s[34:35], s[40:41], exec
	s_and_b64 s[36:37], s[38:39], exec
	s_or_b64 s[24:25], s[2:3], s[4:5]
	s_or_b64 exec, exec, s[26:27]
	s_mov_b64 s[2:3], 0
	s_and_saveexec_b64 s[4:5], s[24:25]
	s_cbranch_execz .LBB198_393
.LBB198_1248:
	s_mov_b64 s[2:3], exec
	s_andn2_b64 s[30:31], s[30:31], exec
	s_trap 2
	s_or_b64 exec, exec, s[4:5]
	s_and_saveexec_b64 s[4:5], s[30:31]
	s_xor_b64 s[4:5], exec, s[4:5]
	s_cbranch_execnz .LBB198_394
.LBB198_1249:
	s_or_b64 exec, exec, s[4:5]
	s_and_saveexec_b64 s[4:5], s[36:37]
	s_cbranch_execz .LBB198_1295
.LBB198_1250:
	s_sext_i32_i16 s24, s58
	s_cmp_lt_i32 s24, 5
	s_cbranch_scc1 .LBB198_1255
; %bb.1251:
	s_cmp_lt_i32 s24, 8
	s_cbranch_scc1 .LBB198_1256
; %bb.1252:
	;; [unrolled: 3-line block ×3, first 2 shown]
	s_cmp_gt_i32 s24, 9
	s_cbranch_scc0 .LBB198_1258
; %bb.1254:
	global_load_dwordx2 v[3:4], v[0:1], off
	s_movk_i32 s24, 0x7fff
	s_waitcnt vmcnt(0)
	v_cvt_f32_f64_e32 v3, v[3:4]
	v_mov_b32_e32 v4, 0x7fc0
	v_bfe_u32 v5, v3, 16, 1
	v_cmp_o_f32_e32 vcc, v3, v3
	v_add3_u32 v3, v3, v5, s24
	v_cndmask_b32_sdwa v3, v4, v3, vcc dst_sel:DWORD dst_unused:UNUSED_PAD src0_sel:DWORD src1_sel:WORD_1
	s_mov_b64 s[24:25], 0
	s_branch .LBB198_1259
.LBB198_1255:
                                        ; implicit-def: $vgpr3
	s_branch .LBB198_1276
.LBB198_1256:
                                        ; implicit-def: $vgpr3
	s_branch .LBB198_1265
.LBB198_1257:
	s_mov_b64 s[24:25], -1
                                        ; implicit-def: $vgpr3
	s_branch .LBB198_1262
.LBB198_1258:
	s_mov_b64 s[24:25], -1
                                        ; implicit-def: $vgpr3
.LBB198_1259:
	s_andn2_b64 vcc, exec, s[24:25]
	s_cbranch_vccnz .LBB198_1261
; %bb.1260:
	global_load_dword v3, v[0:1], off
	s_movk_i32 s24, 0x7fff
	s_waitcnt vmcnt(1)
	v_mov_b32_e32 v4, 0x7fc0
	s_waitcnt vmcnt(0)
	v_bfe_u32 v5, v3, 16, 1
	v_cmp_o_f32_e32 vcc, v3, v3
	v_add3_u32 v3, v3, v5, s24
	v_cndmask_b32_sdwa v3, v4, v3, vcc dst_sel:DWORD dst_unused:UNUSED_PAD src0_sel:DWORD src1_sel:WORD_1
.LBB198_1261:
	s_mov_b64 s[24:25], 0
.LBB198_1262:
	s_andn2_b64 vcc, exec, s[24:25]
	s_cbranch_vccnz .LBB198_1264
; %bb.1263:
	global_load_dword v3, v[0:1], off
	s_movk_i32 s24, 0x7fff
	v_mov_b32_e32 v5, 0x7fc0
	s_waitcnt vmcnt(0)
	v_cvt_f32_f16_e32 v4, v3
	v_cmp_o_f16_e32 vcc, v3, v3
	v_bfe_u32 v3, v4, 16, 1
	v_add3_u32 v3, v4, v3, s24
	v_cndmask_b32_sdwa v3, v5, v3, vcc dst_sel:DWORD dst_unused:UNUSED_PAD src0_sel:DWORD src1_sel:WORD_1
.LBB198_1264:
	s_cbranch_execnz .LBB198_1275
.LBB198_1265:
	s_sext_i32_i16 s24, s58
	s_cmp_lt_i32 s24, 6
	s_cbranch_scc1 .LBB198_1268
; %bb.1266:
	s_cmp_gt_i32 s24, 6
	s_cbranch_scc0 .LBB198_1269
; %bb.1267:
	global_load_dwordx2 v[3:4], v[0:1], off
	s_movk_i32 s24, 0x7fff
	s_waitcnt vmcnt(0)
	v_cvt_f32_f64_e32 v3, v[3:4]
	v_mov_b32_e32 v4, 0x7fc0
	v_bfe_u32 v5, v3, 16, 1
	v_cmp_o_f32_e32 vcc, v3, v3
	v_add3_u32 v3, v3, v5, s24
	v_cndmask_b32_sdwa v3, v4, v3, vcc dst_sel:DWORD dst_unused:UNUSED_PAD src0_sel:DWORD src1_sel:WORD_1
	s_mov_b64 s[24:25], 0
	s_branch .LBB198_1270
.LBB198_1268:
	s_mov_b64 s[24:25], -1
                                        ; implicit-def: $vgpr3
	s_branch .LBB198_1273
.LBB198_1269:
	s_mov_b64 s[24:25], -1
                                        ; implicit-def: $vgpr3
.LBB198_1270:
	s_andn2_b64 vcc, exec, s[24:25]
	s_cbranch_vccnz .LBB198_1272
; %bb.1271:
	global_load_dword v3, v[0:1], off
	s_movk_i32 s24, 0x7fff
	s_waitcnt vmcnt(1)
	v_mov_b32_e32 v4, 0x7fc0
	s_waitcnt vmcnt(0)
	v_bfe_u32 v5, v3, 16, 1
	v_cmp_o_f32_e32 vcc, v3, v3
	v_add3_u32 v3, v3, v5, s24
	v_cndmask_b32_sdwa v3, v4, v3, vcc dst_sel:DWORD dst_unused:UNUSED_PAD src0_sel:DWORD src1_sel:WORD_1
.LBB198_1272:
	s_mov_b64 s[24:25], 0
.LBB198_1273:
	s_andn2_b64 vcc, exec, s[24:25]
	s_cbranch_vccnz .LBB198_1275
; %bb.1274:
	global_load_ushort v3, v[0:1], off
	s_movk_i32 s24, 0x7fff
	v_mov_b32_e32 v5, 0x7fc0
	s_waitcnt vmcnt(0)
	v_cvt_f32_f16_e32 v4, v3
	v_cmp_o_f16_e32 vcc, v3, v3
	v_bfe_u32 v3, v4, 16, 1
	v_add3_u32 v3, v4, v3, s24
	v_cndmask_b32_sdwa v3, v5, v3, vcc dst_sel:DWORD dst_unused:UNUSED_PAD src0_sel:DWORD src1_sel:WORD_1
.LBB198_1275:
	s_cbranch_execnz .LBB198_1294
.LBB198_1276:
	s_sext_i32_i16 s24, s58
	s_cmp_lt_i32 s24, 2
	s_cbranch_scc1 .LBB198_1280
; %bb.1277:
	s_cmp_lt_i32 s24, 3
	s_cbranch_scc1 .LBB198_1281
; %bb.1278:
	s_cmp_gt_i32 s24, 3
	s_cbranch_scc0 .LBB198_1282
; %bb.1279:
	global_load_dwordx2 v[3:4], v[0:1], off
	s_movk_i32 s24, 0x7fff
	s_waitcnt vmcnt(0)
	v_xor_b32_e32 v6, v3, v4
	v_ffbh_i32_e32 v5, v4
	v_ashrrev_i32_e32 v6, 31, v6
	v_add_u32_e32 v5, -1, v5
	v_add_u32_e32 v6, 32, v6
	v_min_u32_e32 v5, v5, v6
	v_lshlrev_b64 v[3:4], v5, v[3:4]
	v_min_u32_e32 v3, 1, v3
	v_or_b32_e32 v3, v4, v3
	v_cvt_f32_i32_e32 v3, v3
	v_sub_u32_e32 v4, 32, v5
	v_ldexp_f32 v3, v3, v4
	v_bfe_u32 v4, v3, 16, 1
	v_add3_u32 v3, v3, v4, s24
	v_lshrrev_b32_e32 v3, 16, v3
	s_mov_b64 s[24:25], 0
	s_branch .LBB198_1283
.LBB198_1280:
                                        ; implicit-def: $vgpr3
	s_branch .LBB198_1289
.LBB198_1281:
	s_mov_b64 s[24:25], -1
                                        ; implicit-def: $vgpr3
	s_branch .LBB198_1286
.LBB198_1282:
	s_mov_b64 s[24:25], -1
                                        ; implicit-def: $vgpr3
.LBB198_1283:
	s_andn2_b64 vcc, exec, s[24:25]
	s_cbranch_vccnz .LBB198_1285
; %bb.1284:
	global_load_dword v3, v[0:1], off
	s_movk_i32 s24, 0x7fff
	s_waitcnt vmcnt(0)
	v_cvt_f32_i32_e32 v3, v3
	v_bfe_u32 v4, v3, 16, 1
	v_add3_u32 v3, v3, v4, s24
	v_lshrrev_b32_e32 v3, 16, v3
.LBB198_1285:
	s_mov_b64 s[24:25], 0
.LBB198_1286:
	s_andn2_b64 vcc, exec, s[24:25]
	s_cbranch_vccnz .LBB198_1288
; %bb.1287:
	global_load_sshort v3, v[0:1], off
	s_movk_i32 s24, 0x7fff
	s_waitcnt vmcnt(0)
	v_cvt_f32_i32_e32 v3, v3
	v_bfe_u32 v4, v3, 16, 1
	v_add3_u32 v3, v3, v4, s24
	v_lshrrev_b32_e32 v3, 16, v3
.LBB198_1288:
	s_cbranch_execnz .LBB198_1294
.LBB198_1289:
	s_sext_i32_i16 s24, s58
	s_cmp_gt_i32 s24, 0
	s_cbranch_scc0 .LBB198_1291
; %bb.1290:
	global_load_sbyte v3, v[0:1], off
	s_movk_i32 s24, 0x7fff
	s_waitcnt vmcnt(0)
	v_cvt_f32_i32_e32 v3, v3
	v_bfe_u32 v4, v3, 16, 1
	v_add3_u32 v3, v3, v4, s24
	v_lshrrev_b32_e32 v3, 16, v3
	s_mov_b64 s[24:25], 0
	s_branch .LBB198_1292
.LBB198_1291:
	s_mov_b64 s[24:25], -1
                                        ; implicit-def: $vgpr3
.LBB198_1292:
	s_andn2_b64 vcc, exec, s[24:25]
	s_cbranch_vccnz .LBB198_1294
; %bb.1293:
	global_load_ubyte v0, v[0:1], off
	s_movk_i32 s24, 0x7fff
	s_waitcnt vmcnt(0)
	v_cvt_f32_ubyte0_e32 v0, v0
	v_bfe_u32 v1, v0, 16, 1
	v_add3_u32 v0, v0, v1, s24
	v_lshrrev_b32_e32 v3, 16, v0
.LBB198_1294:
	s_or_b64 s[34:35], s[34:35], exec
.LBB198_1295:
	s_or_b64 exec, exec, s[4:5]
	s_mov_b64 s[28:29], 0
	s_mov_b64 s[30:31], 0
	;; [unrolled: 1-line block ×3, first 2 shown]
                                        ; implicit-def: $sgpr36
                                        ; implicit-def: $vgpr0_vgpr1
                                        ; implicit-def: $vgpr4
	s_and_saveexec_b64 s[4:5], s[34:35]
	s_cbranch_execz .LBB198_1303
; %bb.1296:
	v_mul_lo_u32 v0, v2, s14
	v_mov_b32_e32 v1, s17
	s_and_b32 s36, s56, 0xff
	s_cmp_lt_i32 s36, 11
	s_waitcnt vmcnt(0)
	v_ashrrev_i32_e32 v4, 31, v0
	v_add_co_u32_e32 v0, vcc, s16, v0
	v_addc_co_u32_e32 v1, vcc, v1, v4, vcc
	s_cbranch_scc1 .LBB198_1306
; %bb.1297:
	s_and_b32 s37, 0xffff, s36
	s_cmp_gt_i32 s37, 25
	s_cbranch_scc0 .LBB198_1307
; %bb.1298:
	s_cmp_gt_i32 s37, 28
	s_cbranch_scc0 .LBB198_1308
; %bb.1299:
	;; [unrolled: 3-line block ×4, first 2 shown]
	s_cmp_eq_u32 s37, 46
	s_cbranch_scc0 .LBB198_1311
; %bb.1302:
	global_load_dword v4, v[0:1], off
	s_mov_b64 s[24:25], 0
	s_mov_b64 s[26:27], -1
	s_branch .LBB198_1313
.LBB198_1303:
	s_or_b64 exec, exec, s[4:5]
	s_and_saveexec_b64 s[4:5], s[22:23]
	s_cbranch_execnz .LBB198_1376
.LBB198_1304:
	s_or_b64 exec, exec, s[4:5]
	s_and_saveexec_b64 s[4:5], s[28:29]
	s_xor_b64 s[4:5], exec, s[4:5]
	s_cbranch_execz .LBB198_1377
.LBB198_1305:
	global_load_ubyte v4, v[0:1], off
	s_or_b64 s[26:27], s[26:27], exec
	s_waitcnt vmcnt(0)
	v_cmp_ne_u16_e32 vcc, 0, v4
	v_cndmask_b32_e64 v4, 0, 1.0, vcc
	v_lshrrev_b32_e32 v4, 16, v4
	s_or_b64 exec, exec, s[4:5]
	s_and_saveexec_b64 s[4:5], s[30:31]
	s_cbranch_execz .LBB198_1423
	s_branch .LBB198_1378
.LBB198_1306:
	s_mov_b64 s[30:31], -1
                                        ; implicit-def: $vgpr4
	s_mov_b64 s[24:25], s[22:23]
	s_branch .LBB198_1375
.LBB198_1307:
	s_mov_b64 s[24:25], s[22:23]
                                        ; implicit-def: $vgpr4
	s_cbranch_execnz .LBB198_1342
	s_branch .LBB198_1374
.LBB198_1308:
	s_mov_b64 s[30:31], -1
	s_mov_b64 s[24:25], s[22:23]
                                        ; implicit-def: $vgpr4
	s_branch .LBB198_1323
.LBB198_1309:
	s_mov_b64 s[30:31], -1
	s_mov_b64 s[24:25], s[22:23]
                                        ; implicit-def: $vgpr4
	s_branch .LBB198_1318
.LBB198_1310:
	s_mov_b64 s[30:31], -1
	s_mov_b64 s[24:25], s[22:23]
	s_branch .LBB198_1312
.LBB198_1311:
	s_mov_b64 s[24:25], -1
.LBB198_1312:
                                        ; implicit-def: $vgpr4
.LBB198_1313:
	s_and_b64 vcc, exec, s[30:31]
	s_cbranch_vccz .LBB198_1317
; %bb.1314:
	s_cmp_eq_u32 s37, 44
	s_cbranch_scc0 .LBB198_1316
; %bb.1315:
	global_load_ubyte v4, v[0:1], off
	s_movk_i32 s26, 0xff
	v_mov_b32_e32 v5, 0x7f800001
	v_mov_b32_e32 v6, 0x400000
	;; [unrolled: 1-line block ×3, first 2 shown]
	s_mov_b64 s[24:25], 0
	s_waitcnt vmcnt(0)
	v_lshlrev_b32_e32 v8, 23, v4
	v_cmp_ne_u32_e32 vcc, s26, v4
	v_cndmask_b32_e32 v5, v5, v8, vcc
	v_cmp_ne_u32_e32 vcc, 0, v4
	v_cndmask_b32_e32 v4, v6, v5, vcc
	v_add_u32_e32 v5, 0x7fff, v4
	v_cmp_o_f32_e32 vcc, v4, v4
	v_cndmask_b32_sdwa v4, v7, v5, vcc dst_sel:DWORD dst_unused:UNUSED_PAD src0_sel:DWORD src1_sel:WORD_1
	s_mov_b64 s[26:27], -1
	s_branch .LBB198_1317
.LBB198_1316:
	s_mov_b64 s[24:25], -1
                                        ; implicit-def: $vgpr4
.LBB198_1317:
	s_mov_b64 s[30:31], 0
.LBB198_1318:
	s_and_b64 vcc, exec, s[30:31]
	s_cbranch_vccz .LBB198_1322
; %bb.1319:
	s_cmp_eq_u32 s37, 29
	s_cbranch_scc0 .LBB198_1321
; %bb.1320:
	global_load_dwordx2 v[4:5], v[0:1], off
	s_movk_i32 s26, 0x7fff
	s_mov_b64 s[24:25], 0
	s_mov_b64 s[30:31], 0
	s_waitcnt vmcnt(0)
	v_ffbh_u32_e32 v6, v5
	v_min_u32_e32 v6, 32, v6
	v_lshlrev_b64 v[4:5], v6, v[4:5]
	v_min_u32_e32 v4, 1, v4
	v_or_b32_e32 v4, v5, v4
	v_cvt_f32_u32_e32 v4, v4
	v_sub_u32_e32 v5, 32, v6
	v_ldexp_f32 v4, v4, v5
	v_bfe_u32 v5, v4, 16, 1
	v_add3_u32 v4, v4, v5, s26
	v_lshrrev_b32_e32 v4, 16, v4
	s_mov_b64 s[26:27], -1
	s_branch .LBB198_1323
.LBB198_1321:
	s_mov_b64 s[24:25], -1
                                        ; implicit-def: $vgpr4
.LBB198_1322:
	s_mov_b64 s[30:31], 0
.LBB198_1323:
	s_and_b64 vcc, exec, s[30:31]
	s_cbranch_vccz .LBB198_1341
; %bb.1324:
	s_cmp_lt_i32 s37, 27
	s_cbranch_scc1 .LBB198_1327
; %bb.1325:
	s_cmp_gt_i32 s37, 27
	s_cbranch_scc0 .LBB198_1328
; %bb.1326:
	global_load_dword v4, v[0:1], off
	s_movk_i32 s26, 0x7fff
	s_waitcnt vmcnt(0)
	v_cvt_f32_u32_e32 v4, v4
	v_bfe_u32 v5, v4, 16, 1
	v_add3_u32 v4, v4, v5, s26
	v_lshrrev_b32_e32 v4, 16, v4
	s_mov_b64 s[26:27], 0
	s_branch .LBB198_1329
.LBB198_1327:
	s_mov_b64 s[26:27], -1
                                        ; implicit-def: $vgpr4
	s_branch .LBB198_1332
.LBB198_1328:
	s_mov_b64 s[26:27], -1
                                        ; implicit-def: $vgpr4
.LBB198_1329:
	s_andn2_b64 vcc, exec, s[26:27]
	s_cbranch_vccnz .LBB198_1331
; %bb.1330:
	global_load_ushort v4, v[0:1], off
	s_movk_i32 s26, 0x7fff
	s_waitcnt vmcnt(0)
	v_cvt_f32_u32_e32 v4, v4
	v_bfe_u32 v5, v4, 16, 1
	v_add3_u32 v4, v4, v5, s26
	v_lshrrev_b32_e32 v4, 16, v4
.LBB198_1331:
	s_mov_b64 s[26:27], 0
.LBB198_1332:
	s_andn2_b64 vcc, exec, s[26:27]
	s_cbranch_vccnz .LBB198_1340
; %bb.1333:
	global_load_ubyte v4, v[0:1], off
	s_movk_i32 s26, 0x7f
	s_waitcnt vmcnt(0)
	v_cmp_lt_i16_e32 vcc, s26, v4
	s_mov_b64 s[26:27], 0
	s_and_saveexec_b64 s[30:31], vcc
	s_xor_b64 s[30:31], exec, s[30:31]
	s_cbranch_execz .LBB198_1353
; %bb.1334:
	s_movk_i32 s26, 0x80
	v_cmp_eq_u16_e32 vcc, s26, v4
	s_mov_b64 s[26:27], -1
	s_and_saveexec_b64 s[34:35], vcc
; %bb.1335:
	s_xor_b64 s[26:27], exec, -1
; %bb.1336:
	s_or_b64 exec, exec, s[34:35]
	s_and_b64 s[26:27], s[26:27], exec
	s_or_saveexec_b64 s[30:31], s[30:31]
	v_mov_b32_e32 v5, 0x7f800001
	s_xor_b64 exec, exec, s[30:31]
	s_cbranch_execnz .LBB198_1354
.LBB198_1337:
	s_or_b64 exec, exec, s[30:31]
	s_and_saveexec_b64 s[30:31], s[26:27]
	s_cbranch_execz .LBB198_1339
.LBB198_1338:
	v_lshlrev_b32_e32 v5, 24, v4
	v_and_b32_e32 v4, 0xffff, v4
	v_and_b32_e32 v6, 7, v4
	v_ffbh_u32_e32 v8, v6
	v_min_u32_e32 v8, 32, v8
	v_subrev_u32_e32 v9, 28, v8
	v_bfe_u32 v7, v4, 3, 4
	v_lshlrev_b32_e32 v4, v9, v4
	v_sub_u32_e32 v8, 29, v8
	v_and_b32_e32 v4, 7, v4
	v_cmp_eq_u32_e32 vcc, 0, v7
	v_cndmask_b32_e32 v7, v7, v8, vcc
	v_cndmask_b32_e32 v4, v6, v4, vcc
	v_mov_b32_e32 v6, 0x3b800000
	v_lshlrev_b32_e32 v4, 20, v4
	v_and_b32_e32 v5, 0x80000000, v5
	v_lshl_add_u32 v6, v7, 23, v6
	v_or3_b32 v5, v5, v6, v4
.LBB198_1339:
	s_or_b64 exec, exec, s[30:31]
	v_bfe_u32 v4, v5, 16, 1
	s_movk_i32 s26, 0x7fff
	v_add3_u32 v4, v5, v4, s26
	v_cmp_o_f32_e32 vcc, v5, v5
	v_mov_b32_e32 v5, 0x7fc0
	v_cndmask_b32_sdwa v4, v5, v4, vcc dst_sel:DWORD dst_unused:UNUSED_PAD src0_sel:DWORD src1_sel:WORD_1
.LBB198_1340:
	s_mov_b64 s[26:27], -1
.LBB198_1341:
	s_branch .LBB198_1374
.LBB198_1342:
	s_cmp_gt_i32 s37, 22
	s_cbranch_scc0 .LBB198_1352
; %bb.1343:
	s_cmp_lt_i32 s37, 24
	s_cbranch_scc1 .LBB198_1355
; %bb.1344:
	s_cmp_gt_i32 s37, 24
	s_cbranch_scc0 .LBB198_1356
; %bb.1345:
	global_load_ubyte v4, v[0:1], off
	s_movk_i32 s26, 0x7f
	s_waitcnt vmcnt(0)
	v_cmp_lt_i16_e32 vcc, s26, v4
	s_mov_b64 s[26:27], 0
	s_and_saveexec_b64 s[28:29], vcc
	s_xor_b64 s[28:29], exec, s[28:29]
	s_cbranch_execz .LBB198_1368
; %bb.1346:
	s_movk_i32 s26, 0x80
	v_cmp_eq_u16_e32 vcc, s26, v4
	s_mov_b64 s[26:27], -1
	s_and_saveexec_b64 s[30:31], vcc
; %bb.1347:
	s_xor_b64 s[26:27], exec, -1
; %bb.1348:
	s_or_b64 exec, exec, s[30:31]
	s_and_b64 s[26:27], s[26:27], exec
	s_or_saveexec_b64 s[28:29], s[28:29]
	v_mov_b32_e32 v5, 0x7f800001
	s_xor_b64 exec, exec, s[28:29]
	s_cbranch_execnz .LBB198_1369
.LBB198_1349:
	s_or_b64 exec, exec, s[28:29]
	s_and_saveexec_b64 s[28:29], s[26:27]
	s_cbranch_execz .LBB198_1351
.LBB198_1350:
	v_lshlrev_b32_e32 v5, 24, v4
	v_and_b32_e32 v4, 0xffff, v4
	v_and_b32_e32 v6, 3, v4
	v_ffbh_u32_e32 v8, v6
	v_min_u32_e32 v8, 32, v8
	v_subrev_u32_e32 v9, 29, v8
	v_bfe_u32 v7, v4, 2, 5
	v_lshlrev_b32_e32 v4, v9, v4
	v_sub_u32_e32 v8, 30, v8
	v_and_b32_e32 v4, 3, v4
	v_cmp_eq_u32_e32 vcc, 0, v7
	v_cndmask_b32_e32 v7, v7, v8, vcc
	v_cndmask_b32_e32 v4, v6, v4, vcc
	v_mov_b32_e32 v6, 0x37800000
	v_lshlrev_b32_e32 v4, 21, v4
	v_and_b32_e32 v5, 0x80000000, v5
	v_lshl_add_u32 v6, v7, 23, v6
	v_or3_b32 v5, v5, v6, v4
.LBB198_1351:
	s_or_b64 exec, exec, s[28:29]
	v_bfe_u32 v4, v5, 16, 1
	s_movk_i32 s26, 0x7fff
	v_add3_u32 v4, v5, v4, s26
	v_cmp_o_f32_e32 vcc, v5, v5
	v_mov_b32_e32 v5, 0x7fc0
	v_cndmask_b32_sdwa v4, v5, v4, vcc dst_sel:DWORD dst_unused:UNUSED_PAD src0_sel:DWORD src1_sel:WORD_1
	s_mov_b64 s[26:27], 0
	s_branch .LBB198_1357
.LBB198_1352:
	s_mov_b64 s[28:29], -1
                                        ; implicit-def: $vgpr4
	s_branch .LBB198_1363
.LBB198_1353:
	s_or_saveexec_b64 s[30:31], s[30:31]
	v_mov_b32_e32 v5, 0x7f800001
	s_xor_b64 exec, exec, s[30:31]
	s_cbranch_execz .LBB198_1337
.LBB198_1354:
	v_cmp_ne_u16_e32 vcc, 0, v4
	s_andn2_b64 s[26:27], s[26:27], exec
	s_and_b64 s[34:35], vcc, exec
	v_mov_b32_e32 v5, 0
	s_or_b64 s[26:27], s[26:27], s[34:35]
	s_or_b64 exec, exec, s[30:31]
	s_and_saveexec_b64 s[30:31], s[26:27]
	s_cbranch_execnz .LBB198_1338
	s_branch .LBB198_1339
.LBB198_1355:
	s_mov_b64 s[26:27], -1
                                        ; implicit-def: $vgpr4
	s_branch .LBB198_1360
.LBB198_1356:
	s_mov_b64 s[26:27], -1
                                        ; implicit-def: $vgpr4
.LBB198_1357:
	s_and_b64 vcc, exec, s[26:27]
	s_cbranch_vccz .LBB198_1359
; %bb.1358:
	global_load_ubyte v4, v[0:1], off
	s_mov_b32 s26, 0x7f800000
	s_brev_b32 s27, 1
	s_movk_i32 s28, 0x7fff
	s_waitcnt vmcnt(0)
	v_lshlrev_b32_e32 v4, 24, v4
	v_and_b32_e32 v5, 0x7f000000, v4
	v_ffbh_u32_e32 v6, v5
	v_min_u32_e32 v6, 32, v6
	v_sub_u32_e64 v6, v6, 4 clamp
	v_lshlrev_b32_e32 v8, v6, v5
	v_lshlrev_b32_e32 v6, 23, v6
	v_lshrrev_b32_e32 v8, 4, v8
	v_add_u32_e32 v7, 0x1000000, v5
	v_sub_u32_e32 v6, v8, v6
	v_ashrrev_i32_e32 v7, 8, v7
	v_add_u32_e32 v6, 0x3c000000, v6
	v_and_or_b32 v6, v7, s26, v6
	v_cmp_ne_u32_e32 vcc, 0, v5
	v_cndmask_b32_e32 v5, 0, v6, vcc
	v_and_or_b32 v4, v4, s27, v5
	v_bfe_u32 v5, v5, 16, 1
	v_add3_u32 v5, v4, v5, s28
	v_cmp_o_f32_e32 vcc, v4, v4
	v_mov_b32_e32 v4, 0x7fc0
	v_cndmask_b32_sdwa v4, v4, v5, vcc dst_sel:DWORD dst_unused:UNUSED_PAD src0_sel:DWORD src1_sel:WORD_1
.LBB198_1359:
	s_mov_b64 s[26:27], 0
.LBB198_1360:
	s_andn2_b64 vcc, exec, s[26:27]
	s_cbranch_vccnz .LBB198_1362
; %bb.1361:
	global_load_ubyte v4, v[0:1], off
	s_movk_i32 s26, 0x7f00
	s_brev_b32 s27, 16
	s_brev_b32 s28, 1
	s_movk_i32 s29, 0x7fff
	s_waitcnt vmcnt(0)
	v_lshlrev_b16_e32 v5, 8, v4
	v_lshlrev_b32_e32 v4, 25, v4
	v_lshrrev_b32_e32 v6, 4, v4
	v_and_or_b32 v7, v5, s26, 0.5
	v_or_b32_e32 v6, 0x70000000, v6
	v_add_f32_e32 v7, -0.5, v7
	v_mul_f32_e32 v6, 0x7800000, v6
	v_cmp_gt_u32_e32 vcc, s27, v4
	v_bfe_i32 v5, v5, 0, 16
	v_cndmask_b32_e32 v4, v6, v7, vcc
	v_and_or_b32 v5, v5, s28, v4
	v_bfe_u32 v4, v4, 16, 1
	v_add3_u32 v4, v5, v4, s29
	v_cmp_o_f32_e32 vcc, v5, v5
	v_mov_b32_e32 v5, 0x7fc0
	v_cndmask_b32_sdwa v4, v5, v4, vcc dst_sel:DWORD dst_unused:UNUSED_PAD src0_sel:DWORD src1_sel:WORD_1
.LBB198_1362:
	s_mov_b64 s[28:29], 0
	s_mov_b64 s[26:27], -1
.LBB198_1363:
	s_andn2_b64 vcc, exec, s[28:29]
	s_mov_b64 s[28:29], 0
	s_cbranch_vccnz .LBB198_1374
; %bb.1364:
	s_cmp_gt_i32 s37, 14
	s_cbranch_scc0 .LBB198_1367
; %bb.1365:
	s_cmp_eq_u32 s37, 15
	s_cbranch_scc0 .LBB198_1370
; %bb.1366:
	global_load_ushort v4, v[0:1], off
	s_mov_b64 s[24:25], 0
	s_mov_b64 s[26:27], -1
	s_branch .LBB198_1371
.LBB198_1367:
	s_mov_b64 s[30:31], -1
                                        ; implicit-def: $vgpr4
	s_branch .LBB198_1372
.LBB198_1368:
	s_or_saveexec_b64 s[28:29], s[28:29]
	v_mov_b32_e32 v5, 0x7f800001
	s_xor_b64 exec, exec, s[28:29]
	s_cbranch_execz .LBB198_1349
.LBB198_1369:
	v_cmp_ne_u16_e32 vcc, 0, v4
	s_andn2_b64 s[26:27], s[26:27], exec
	s_and_b64 s[30:31], vcc, exec
	v_mov_b32_e32 v5, 0
	s_or_b64 s[26:27], s[26:27], s[30:31]
	s_or_b64 exec, exec, s[28:29]
	s_and_saveexec_b64 s[28:29], s[26:27]
	s_cbranch_execnz .LBB198_1350
	s_branch .LBB198_1351
.LBB198_1370:
	s_mov_b64 s[24:25], -1
                                        ; implicit-def: $vgpr4
.LBB198_1371:
	s_mov_b64 s[30:31], 0
.LBB198_1372:
	s_and_b64 vcc, exec, s[30:31]
	s_cbranch_vccz .LBB198_1374
; %bb.1373:
	s_cmp_lg_u32 s37, 11
	s_cselect_b64 s[30:31], -1, 0
	s_andn2_b64 s[24:25], s[24:25], exec
	s_and_b64 s[30:31], s[30:31], exec
	s_mov_b64 s[28:29], -1
	s_or_b64 s[24:25], s[24:25], s[30:31]
.LBB198_1374:
	s_mov_b64 s[30:31], 0
.LBB198_1375:
	s_andn2_b64 s[22:23], s[22:23], exec
	s_and_b64 s[24:25], s[24:25], exec
	s_and_b64 s[26:27], s[26:27], exec
	;; [unrolled: 1-line block ×4, first 2 shown]
	s_or_b64 s[22:23], s[22:23], s[24:25]
	s_or_b64 exec, exec, s[4:5]
	s_and_saveexec_b64 s[4:5], s[22:23]
	s_cbranch_execz .LBB198_1304
.LBB198_1376:
	s_or_b64 s[2:3], s[2:3], exec
	s_andn2_b64 s[28:29], s[28:29], exec
	s_trap 2
	s_or_b64 exec, exec, s[4:5]
	s_and_saveexec_b64 s[4:5], s[28:29]
	s_xor_b64 s[4:5], exec, s[4:5]
	s_cbranch_execnz .LBB198_1305
.LBB198_1377:
	s_or_b64 exec, exec, s[4:5]
	s_and_saveexec_b64 s[4:5], s[30:31]
	s_cbranch_execz .LBB198_1423
.LBB198_1378:
	s_sext_i32_i16 s22, s36
	s_cmp_lt_i32 s22, 5
	s_cbranch_scc1 .LBB198_1383
; %bb.1379:
	s_cmp_lt_i32 s22, 8
	s_cbranch_scc1 .LBB198_1384
; %bb.1380:
	;; [unrolled: 3-line block ×3, first 2 shown]
	s_cmp_gt_i32 s22, 9
	s_cbranch_scc0 .LBB198_1386
; %bb.1382:
	global_load_dwordx2 v[4:5], v[0:1], off
	s_movk_i32 s22, 0x7fff
	s_waitcnt vmcnt(0)
	v_cvt_f32_f64_e32 v4, v[4:5]
	v_mov_b32_e32 v5, 0x7fc0
	v_bfe_u32 v6, v4, 16, 1
	v_cmp_o_f32_e32 vcc, v4, v4
	v_add3_u32 v4, v4, v6, s22
	v_cndmask_b32_sdwa v4, v5, v4, vcc dst_sel:DWORD dst_unused:UNUSED_PAD src0_sel:DWORD src1_sel:WORD_1
	s_mov_b64 s[22:23], 0
	s_branch .LBB198_1387
.LBB198_1383:
                                        ; implicit-def: $vgpr4
	s_branch .LBB198_1404
.LBB198_1384:
                                        ; implicit-def: $vgpr4
	s_branch .LBB198_1393
.LBB198_1385:
	s_mov_b64 s[22:23], -1
                                        ; implicit-def: $vgpr4
	s_branch .LBB198_1390
.LBB198_1386:
	s_mov_b64 s[22:23], -1
                                        ; implicit-def: $vgpr4
.LBB198_1387:
	s_andn2_b64 vcc, exec, s[22:23]
	s_cbranch_vccnz .LBB198_1389
; %bb.1388:
	global_load_dword v4, v[0:1], off
	s_movk_i32 s22, 0x7fff
	v_mov_b32_e32 v5, 0x7fc0
	s_waitcnt vmcnt(0)
	v_bfe_u32 v6, v4, 16, 1
	v_cmp_o_f32_e32 vcc, v4, v4
	v_add3_u32 v4, v4, v6, s22
	v_cndmask_b32_sdwa v4, v5, v4, vcc dst_sel:DWORD dst_unused:UNUSED_PAD src0_sel:DWORD src1_sel:WORD_1
.LBB198_1389:
	s_mov_b64 s[22:23], 0
.LBB198_1390:
	s_andn2_b64 vcc, exec, s[22:23]
	s_cbranch_vccnz .LBB198_1392
; %bb.1391:
	global_load_dword v4, v[0:1], off
	s_movk_i32 s22, 0x7fff
	v_mov_b32_e32 v6, 0x7fc0
	s_waitcnt vmcnt(0)
	v_cvt_f32_f16_e32 v5, v4
	v_cmp_o_f16_e32 vcc, v4, v4
	v_bfe_u32 v4, v5, 16, 1
	v_add3_u32 v4, v5, v4, s22
	v_cndmask_b32_sdwa v4, v6, v4, vcc dst_sel:DWORD dst_unused:UNUSED_PAD src0_sel:DWORD src1_sel:WORD_1
.LBB198_1392:
	s_cbranch_execnz .LBB198_1403
.LBB198_1393:
	s_sext_i32_i16 s22, s36
	s_cmp_lt_i32 s22, 6
	s_cbranch_scc1 .LBB198_1396
; %bb.1394:
	s_cmp_gt_i32 s22, 6
	s_cbranch_scc0 .LBB198_1397
; %bb.1395:
	global_load_dwordx2 v[4:5], v[0:1], off
	s_movk_i32 s22, 0x7fff
	s_waitcnt vmcnt(0)
	v_cvt_f32_f64_e32 v4, v[4:5]
	v_mov_b32_e32 v5, 0x7fc0
	v_bfe_u32 v6, v4, 16, 1
	v_cmp_o_f32_e32 vcc, v4, v4
	v_add3_u32 v4, v4, v6, s22
	v_cndmask_b32_sdwa v4, v5, v4, vcc dst_sel:DWORD dst_unused:UNUSED_PAD src0_sel:DWORD src1_sel:WORD_1
	s_mov_b64 s[22:23], 0
	s_branch .LBB198_1398
.LBB198_1396:
	s_mov_b64 s[22:23], -1
                                        ; implicit-def: $vgpr4
	s_branch .LBB198_1401
.LBB198_1397:
	s_mov_b64 s[22:23], -1
                                        ; implicit-def: $vgpr4
.LBB198_1398:
	s_andn2_b64 vcc, exec, s[22:23]
	s_cbranch_vccnz .LBB198_1400
; %bb.1399:
	global_load_dword v4, v[0:1], off
	s_movk_i32 s22, 0x7fff
	v_mov_b32_e32 v5, 0x7fc0
	s_waitcnt vmcnt(0)
	v_bfe_u32 v6, v4, 16, 1
	v_cmp_o_f32_e32 vcc, v4, v4
	v_add3_u32 v4, v4, v6, s22
	v_cndmask_b32_sdwa v4, v5, v4, vcc dst_sel:DWORD dst_unused:UNUSED_PAD src0_sel:DWORD src1_sel:WORD_1
.LBB198_1400:
	s_mov_b64 s[22:23], 0
.LBB198_1401:
	s_andn2_b64 vcc, exec, s[22:23]
	s_cbranch_vccnz .LBB198_1403
; %bb.1402:
	global_load_ushort v4, v[0:1], off
	s_movk_i32 s22, 0x7fff
	v_mov_b32_e32 v6, 0x7fc0
	s_waitcnt vmcnt(0)
	v_cvt_f32_f16_e32 v5, v4
	v_cmp_o_f16_e32 vcc, v4, v4
	v_bfe_u32 v4, v5, 16, 1
	v_add3_u32 v4, v5, v4, s22
	v_cndmask_b32_sdwa v4, v6, v4, vcc dst_sel:DWORD dst_unused:UNUSED_PAD src0_sel:DWORD src1_sel:WORD_1
.LBB198_1403:
	s_cbranch_execnz .LBB198_1422
.LBB198_1404:
	s_sext_i32_i16 s22, s36
	s_cmp_lt_i32 s22, 2
	s_cbranch_scc1 .LBB198_1408
; %bb.1405:
	s_cmp_lt_i32 s22, 3
	s_cbranch_scc1 .LBB198_1409
; %bb.1406:
	s_cmp_gt_i32 s22, 3
	s_cbranch_scc0 .LBB198_1410
; %bb.1407:
	global_load_dwordx2 v[4:5], v[0:1], off
	s_movk_i32 s22, 0x7fff
	s_waitcnt vmcnt(0)
	v_xor_b32_e32 v7, v4, v5
	v_ffbh_i32_e32 v6, v5
	v_ashrrev_i32_e32 v7, 31, v7
	v_add_u32_e32 v6, -1, v6
	v_add_u32_e32 v7, 32, v7
	v_min_u32_e32 v6, v6, v7
	v_lshlrev_b64 v[4:5], v6, v[4:5]
	v_min_u32_e32 v4, 1, v4
	v_or_b32_e32 v4, v5, v4
	v_cvt_f32_i32_e32 v4, v4
	v_sub_u32_e32 v5, 32, v6
	v_ldexp_f32 v4, v4, v5
	v_bfe_u32 v5, v4, 16, 1
	v_add3_u32 v4, v4, v5, s22
	v_lshrrev_b32_e32 v4, 16, v4
	s_mov_b64 s[22:23], 0
	s_branch .LBB198_1411
.LBB198_1408:
                                        ; implicit-def: $vgpr4
	s_branch .LBB198_1417
.LBB198_1409:
	s_mov_b64 s[22:23], -1
                                        ; implicit-def: $vgpr4
	s_branch .LBB198_1414
.LBB198_1410:
	s_mov_b64 s[22:23], -1
                                        ; implicit-def: $vgpr4
.LBB198_1411:
	s_andn2_b64 vcc, exec, s[22:23]
	s_cbranch_vccnz .LBB198_1413
; %bb.1412:
	global_load_dword v4, v[0:1], off
	s_movk_i32 s22, 0x7fff
	s_waitcnt vmcnt(0)
	v_cvt_f32_i32_e32 v4, v4
	v_bfe_u32 v5, v4, 16, 1
	v_add3_u32 v4, v4, v5, s22
	v_lshrrev_b32_e32 v4, 16, v4
.LBB198_1413:
	s_mov_b64 s[22:23], 0
.LBB198_1414:
	s_andn2_b64 vcc, exec, s[22:23]
	s_cbranch_vccnz .LBB198_1416
; %bb.1415:
	global_load_sshort v4, v[0:1], off
	s_movk_i32 s22, 0x7fff
	s_waitcnt vmcnt(0)
	v_cvt_f32_i32_e32 v4, v4
	v_bfe_u32 v5, v4, 16, 1
	v_add3_u32 v4, v4, v5, s22
	v_lshrrev_b32_e32 v4, 16, v4
.LBB198_1416:
	s_cbranch_execnz .LBB198_1422
.LBB198_1417:
	s_sext_i32_i16 s22, s36
	s_cmp_gt_i32 s22, 0
	s_cbranch_scc0 .LBB198_1419
; %bb.1418:
	global_load_sbyte v4, v[0:1], off
	s_movk_i32 s22, 0x7fff
	s_waitcnt vmcnt(0)
	v_cvt_f32_i32_e32 v4, v4
	v_bfe_u32 v5, v4, 16, 1
	v_add3_u32 v4, v4, v5, s22
	v_lshrrev_b32_e32 v4, 16, v4
	s_mov_b64 s[22:23], 0
	s_branch .LBB198_1420
.LBB198_1419:
	s_mov_b64 s[22:23], -1
                                        ; implicit-def: $vgpr4
.LBB198_1420:
	s_andn2_b64 vcc, exec, s[22:23]
	s_cbranch_vccnz .LBB198_1422
; %bb.1421:
	global_load_ubyte v0, v[0:1], off
	s_movk_i32 s22, 0x7fff
	s_waitcnt vmcnt(0)
	v_cvt_f32_ubyte0_e32 v0, v0
	v_bfe_u32 v1, v0, 16, 1
	v_add3_u32 v0, v0, v1, s22
	v_lshrrev_b32_e32 v4, 16, v0
.LBB198_1422:
	s_or_b64 s[26:27], s[26:27], exec
.LBB198_1423:
	s_or_b64 exec, exec, s[4:5]
	s_mov_b64 s[28:29], 0
	s_mov_b64 s[24:25], 0
                                        ; implicit-def: $sgpr4_sgpr5
                                        ; implicit-def: $sgpr34
                                        ; implicit-def: $vgpr0_vgpr1
	s_and_saveexec_b64 s[22:23], s[26:27]
	s_cbranch_execz .LBB198_1498
; %bb.1424:
	s_waitcnt vmcnt(0)
	v_lshlrev_b32_e32 v0, 16, v3
	v_lshlrev_b32_e32 v1, 16, v4
	v_cmp_eq_f32_e32 vcc, v0, v1
	v_cndmask_b32_e64 v3, 0, 1, vcc
	v_cmp_neq_f32_e32 vcc, v0, v1
	v_mul_lo_u32 v1, v2, s12
	v_cndmask_b32_e64 v0, 0, 1, vcc
	v_cndmask_b32_e64 v0, v0, v3, s[0:1]
	v_and_b32_e32 v0, 1, v0
	v_cmp_eq_u32_e64 s[4:5], 1, v0
	v_ashrrev_i32_e32 v2, 31, v1
	v_mov_b32_e32 v3, s9
	s_and_b32 s34, s33, 0xff
	v_add_co_u32_e32 v0, vcc, s8, v1
	s_cmp_lt_i32 s34, 11
	v_addc_co_u32_e32 v1, vcc, v3, v2, vcc
	s_cbranch_scc1 .LBB198_1501
; %bb.1425:
	s_and_b32 s35, 0xffff, s34
	s_mov_b64 s[26:27], -1
	s_cmp_gt_i32 s35, 25
	s_mov_b64 s[0:1], s[20:21]
	s_cbranch_scc0 .LBB198_1458
; %bb.1426:
	s_mov_b64 s[24:25], -1
	s_cmp_gt_i32 s35, 28
	s_mov_b64 s[0:1], s[20:21]
	s_cbranch_scc0 .LBB198_1442
; %bb.1427:
	s_cmp_gt_i32 s35, 43
	s_mov_b64 s[0:1], s[20:21]
	s_cbranch_scc0 .LBB198_1438
; %bb.1428:
	;; [unrolled: 4-line block ×3, first 2 shown]
	s_cmp_eq_u32 s35, 46
	s_mov_b64 s[0:1], -1
	s_cbranch_scc0 .LBB198_1431
; %bb.1430:
	v_cndmask_b32_e64 v2, 0, 1.0, s[4:5]
	v_bfe_u32 v3, v2, 16, 1
	s_movk_i32 s0, 0x7fff
	v_add3_u32 v2, v2, v3, s0
	v_lshrrev_b32_e32 v2, 16, v2
	global_store_dword v[0:1], v2, off
	s_mov_b64 s[0:1], 0
.LBB198_1431:
	s_mov_b64 s[24:25], 0
.LBB198_1432:
	s_and_b64 vcc, exec, s[24:25]
	s_cbranch_vccz .LBB198_1437
; %bb.1433:
	s_cmp_eq_u32 s35, 44
	s_mov_b64 s[0:1], -1
	s_cbranch_scc0 .LBB198_1437
; %bb.1434:
	v_cndmask_b32_e64 v3, 0, 1.0, s[4:5]
	v_lshrrev_b32_e32 v2, 23, v3
	s_movk_i32 s0, 0xff
	v_cmp_ne_u32_e32 vcc, s0, v2
	v_mov_b32_e32 v4, 0xff
	s_and_saveexec_b64 s[24:25], vcc
; %bb.1435:
	s_mov_b32 s0, 0x3fffff
	v_and_b32_e32 v4, 0x400000, v3
	v_and_or_b32 v3, v3, s0, v2
	v_cmp_ne_u32_e32 vcc, 0, v4
	v_cmp_ne_u32_e64 s[0:1], 0, v3
	s_and_b64 s[0:1], vcc, s[0:1]
	v_cndmask_b32_e64 v3, 0, 1, s[0:1]
	v_add_u32_e32 v4, v2, v3
; %bb.1436:
	s_or_b64 exec, exec, s[24:25]
	s_mov_b64 s[0:1], 0
	global_store_byte v[0:1], v4, off
.LBB198_1437:
	s_mov_b64 s[24:25], 0
.LBB198_1438:
	s_and_b64 vcc, exec, s[24:25]
	s_cbranch_vccz .LBB198_1441
; %bb.1439:
	s_cmp_eq_u32 s35, 29
	s_mov_b64 s[0:1], -1
	s_cbranch_scc0 .LBB198_1441
; %bb.1440:
	s_mov_b32 s0, 0
	v_cndmask_b32_e64 v2, 0, 1, s[4:5]
	v_mov_b32_e32 v3, s0
	global_store_dwordx2 v[0:1], v[2:3], off
	s_mov_b64 s[0:1], 0
.LBB198_1441:
	s_mov_b64 s[24:25], 0
.LBB198_1442:
	s_and_b64 vcc, exec, s[24:25]
	s_cbranch_vccz .LBB198_1457
; %bb.1443:
	s_cmp_lt_i32 s35, 27
	s_mov_b64 s[24:25], -1
	s_cbranch_scc1 .LBB198_1449
; %bb.1444:
	s_cmp_gt_i32 s35, 27
	v_cndmask_b32_e64 v2, 0, 1, s[4:5]
	s_cbranch_scc0 .LBB198_1446
; %bb.1445:
	s_mov_b64 s[24:25], 0
	global_store_dword v[0:1], v2, off
.LBB198_1446:
	s_andn2_b64 vcc, exec, s[24:25]
	s_cbranch_vccnz .LBB198_1448
; %bb.1447:
	global_store_short v[0:1], v2, off
.LBB198_1448:
	s_mov_b64 s[24:25], 0
.LBB198_1449:
	s_andn2_b64 vcc, exec, s[24:25]
	s_cbranch_vccnz .LBB198_1457
; %bb.1450:
	v_cndmask_b32_e64 v3, 0, 1.0, s[4:5]
	s_mov_b32 s24, 0x43800000
	v_cmp_gt_u32_e32 vcc, s24, v3
	v_mov_b32_e32 v4, 0x80
	s_and_saveexec_b64 s[24:25], vcc
	s_cbranch_execz .LBB198_1456
; %bb.1451:
	s_mov_b32 s26, 0x3bffffff
	v_cmp_lt_u32_e32 vcc, s26, v3
	s_mov_b64 s[26:27], 0
                                        ; implicit-def: $vgpr2
	s_and_saveexec_b64 s[28:29], vcc
	s_xor_b64 s[28:29], exec, s[28:29]
	s_cbranch_execz .LBB198_1558
; %bb.1452:
	v_bfe_u32 v2, v3, 20, 1
	s_mov_b32 s30, 0x487ffff
	v_add3_u32 v2, v3, v2, s30
	s_mov_b64 s[26:27], exec
	v_lshrrev_b32_e32 v2, 20, v2
                                        ; implicit-def: $vgpr3
	s_andn2_saveexec_b64 s[28:29], s[28:29]
	s_cbranch_execnz .LBB198_1559
.LBB198_1453:
	s_or_b64 exec, exec, s[28:29]
	v_mov_b32_e32 v4, 0
	s_and_saveexec_b64 s[28:29], s[26:27]
.LBB198_1454:
	v_mov_b32_e32 v4, v2
.LBB198_1455:
	s_or_b64 exec, exec, s[28:29]
.LBB198_1456:
	s_or_b64 exec, exec, s[24:25]
	global_store_byte v[0:1], v4, off
.LBB198_1457:
	s_mov_b64 s[26:27], 0
.LBB198_1458:
	s_mov_b64 s[24:25], 0
	s_and_b64 vcc, exec, s[26:27]
	s_cbranch_vccz .LBB198_1502
; %bb.1459:
	s_cmp_gt_i32 s35, 22
	s_mov_b64 s[26:27], -1
	s_cbranch_scc0 .LBB198_1491
; %bb.1460:
	s_cmp_lt_i32 s35, 24
	s_cbranch_scc1 .LBB198_1480
; %bb.1461:
	s_cmp_gt_i32 s35, 24
	s_cbranch_scc0 .LBB198_1469
; %bb.1462:
	v_cndmask_b32_e64 v3, 0, 1.0, s[4:5]
	s_mov_b32 s26, 0x47800000
	v_cmp_gt_u32_e32 vcc, s26, v3
	v_mov_b32_e32 v4, 0x80
	s_and_saveexec_b64 s[26:27], vcc
	s_cbranch_execz .LBB198_1468
; %bb.1463:
	s_mov_b32 s28, 0x37ffffff
	v_cmp_lt_u32_e32 vcc, s28, v3
	s_mov_b64 s[28:29], 0
                                        ; implicit-def: $vgpr2
	s_and_saveexec_b64 s[30:31], vcc
	s_xor_b64 s[30:31], exec, s[30:31]
	s_cbranch_execz .LBB198_1683
; %bb.1464:
	v_bfe_u32 v2, v3, 21, 1
	s_mov_b32 s36, 0x88fffff
	v_add3_u32 v2, v3, v2, s36
	s_mov_b64 s[28:29], exec
	v_lshrrev_b32_e32 v2, 21, v2
                                        ; implicit-def: $vgpr3
	s_andn2_saveexec_b64 s[30:31], s[30:31]
	s_cbranch_execnz .LBB198_1684
.LBB198_1465:
	s_or_b64 exec, exec, s[30:31]
	v_mov_b32_e32 v4, 0
	s_and_saveexec_b64 s[30:31], s[28:29]
.LBB198_1466:
	v_mov_b32_e32 v4, v2
.LBB198_1467:
	s_or_b64 exec, exec, s[30:31]
.LBB198_1468:
	s_or_b64 exec, exec, s[26:27]
	s_mov_b64 s[26:27], 0
	global_store_byte v[0:1], v4, off
.LBB198_1469:
	s_and_b64 vcc, exec, s[26:27]
	s_cbranch_vccz .LBB198_1479
; %bb.1470:
	v_cndmask_b32_e64 v2, 0, 1.0, s[4:5]
	s_mov_b32 s26, 0x43f00000
	v_cmp_gt_u32_e32 vcc, s26, v2
                                        ; implicit-def: $vgpr3
	s_and_saveexec_b64 s[26:27], vcc
	s_xor_b64 s[26:27], exec, s[26:27]
	s_cbranch_execz .LBB198_1476
; %bb.1471:
	s_mov_b32 s28, 0x3c7fffff
	v_cmp_lt_u32_e32 vcc, s28, v2
                                        ; implicit-def: $vgpr3
	s_and_saveexec_b64 s[28:29], vcc
	s_xor_b64 s[28:29], exec, s[28:29]
; %bb.1472:
	v_bfe_u32 v3, v2, 20, 1
	s_mov_b32 s30, 0x407ffff
	v_add3_u32 v2, v2, v3, s30
	v_lshrrev_b32_e32 v3, 20, v2
	v_and_b32_e32 v2, 0xff00000, v2
	s_mov_b32 s30, 0x7f00000
	v_mov_b32_e32 v4, 0x7e
	v_cmp_ne_u32_e32 vcc, s30, v2
	v_cndmask_b32_e32 v3, v4, v3, vcc
                                        ; implicit-def: $vgpr2
; %bb.1473:
	s_andn2_saveexec_b64 s[28:29], s[28:29]
; %bb.1474:
	v_add_f32_e32 v3, 0x46800000, v2
; %bb.1475:
	s_or_b64 exec, exec, s[28:29]
                                        ; implicit-def: $vgpr2
.LBB198_1476:
	s_andn2_saveexec_b64 s[26:27], s[26:27]
; %bb.1477:
	s_mov_b32 s28, 0x7f800000
	v_mov_b32_e32 v3, 0x7e
	v_mov_b32_e32 v4, 0x7f
	v_cmp_lt_u32_e32 vcc, s28, v2
	v_cndmask_b32_e32 v3, v3, v4, vcc
; %bb.1478:
	s_or_b64 exec, exec, s[26:27]
	global_store_byte v[0:1], v3, off
.LBB198_1479:
	s_mov_b64 s[26:27], 0
.LBB198_1480:
	s_andn2_b64 vcc, exec, s[26:27]
	s_cbranch_vccnz .LBB198_1490
; %bb.1481:
	v_cndmask_b32_e64 v2, 0, 1.0, s[4:5]
	s_mov_b32 s26, 0x47800000
	v_cmp_gt_u32_e32 vcc, s26, v2
                                        ; implicit-def: $vgpr3
	s_and_saveexec_b64 s[26:27], vcc
	s_xor_b64 s[26:27], exec, s[26:27]
	s_cbranch_execz .LBB198_1487
; %bb.1482:
	s_mov_b32 s28, 0x387fffff
	v_cmp_lt_u32_e32 vcc, s28, v2
                                        ; implicit-def: $vgpr3
	s_and_saveexec_b64 s[28:29], vcc
	s_xor_b64 s[28:29], exec, s[28:29]
; %bb.1483:
	v_bfe_u32 v3, v2, 21, 1
	s_mov_b32 s30, 0x80fffff
	v_add3_u32 v2, v2, v3, s30
	v_lshrrev_b32_e32 v3, 21, v2
                                        ; implicit-def: $vgpr2
; %bb.1484:
	s_andn2_saveexec_b64 s[28:29], s[28:29]
; %bb.1485:
	v_add_f32_e32 v3, 0x43000000, v2
; %bb.1486:
	s_or_b64 exec, exec, s[28:29]
                                        ; implicit-def: $vgpr2
.LBB198_1487:
	s_andn2_saveexec_b64 s[26:27], s[26:27]
; %bb.1488:
	s_mov_b32 s28, 0x7f800000
	v_mov_b32_e32 v3, 0x7c
	v_mov_b32_e32 v4, 0x7f
	v_cmp_lt_u32_e32 vcc, s28, v2
	v_cndmask_b32_e32 v3, v3, v4, vcc
; %bb.1489:
	s_or_b64 exec, exec, s[26:27]
	global_store_byte v[0:1], v3, off
.LBB198_1490:
	s_mov_b64 s[26:27], 0
.LBB198_1491:
	s_andn2_b64 vcc, exec, s[26:27]
	s_mov_b64 s[26:27], 0
	s_cbranch_vccnz .LBB198_1503
; %bb.1492:
	s_cmp_gt_i32 s35, 14
	s_mov_b64 s[28:29], -1
	s_cbranch_scc0 .LBB198_1496
; %bb.1493:
	s_cmp_eq_u32 s35, 15
	s_mov_b64 s[0:1], -1
	s_cbranch_scc0 .LBB198_1495
; %bb.1494:
	v_cndmask_b32_e64 v2, 0, 1.0, s[4:5]
	v_bfe_u32 v3, v2, 16, 1
	s_movk_i32 s0, 0x7fff
	v_add3_u32 v2, v2, v3, s0
	global_store_short_d16_hi v[0:1], v2, off
	s_mov_b64 s[0:1], 0
.LBB198_1495:
	s_mov_b64 s[28:29], 0
.LBB198_1496:
	s_and_b64 vcc, exec, s[28:29]
	s_cbranch_vccz .LBB198_1503
; %bb.1497:
	s_cmp_lg_u32 s35, 11
	s_cselect_b64 s[28:29], -1, 0
	s_andn2_b64 s[0:1], s[0:1], exec
	s_and_b64 s[28:29], s[28:29], exec
	s_mov_b64 s[26:27], -1
	s_or_b64 s[0:1], s[0:1], s[28:29]
	s_branch .LBB198_1503
.LBB198_1498:
	s_or_b64 exec, exec, s[22:23]
	s_and_saveexec_b64 s[0:1], s[20:21]
	s_cbranch_execnz .LBB198_1504
.LBB198_1499:
	s_or_b64 exec, exec, s[0:1]
	s_and_saveexec_b64 s[0:1], s[28:29]
	s_xor_b64 s[0:1], exec, s[0:1]
	s_cbranch_execz .LBB198_1505
.LBB198_1500:
	v_cndmask_b32_e64 v2, 0, 1, s[4:5]
	global_store_byte v[0:1], v2, off
	s_or_b64 exec, exec, s[0:1]
	s_and_saveexec_b64 s[0:1], s[24:25]
	s_xor_b64 s[0:1], exec, s[0:1]
	s_cbranch_execz .LBB198_1543
	s_branch .LBB198_1506
.LBB198_1501:
	s_mov_b64 s[26:27], 0
	s_mov_b64 s[24:25], -1
	s_mov_b64 s[0:1], s[20:21]
	s_branch .LBB198_1503
.LBB198_1502:
	s_mov_b64 s[26:27], 0
.LBB198_1503:
	s_andn2_b64 s[20:21], s[20:21], exec
	s_and_b64 s[0:1], s[0:1], exec
	s_and_b64 s[24:25], s[24:25], exec
	;; [unrolled: 1-line block ×3, first 2 shown]
	s_or_b64 s[20:21], s[20:21], s[0:1]
	s_or_b64 exec, exec, s[22:23]
	s_and_saveexec_b64 s[0:1], s[20:21]
	s_cbranch_execz .LBB198_1499
.LBB198_1504:
	s_or_b64 s[2:3], s[2:3], exec
	s_andn2_b64 s[28:29], s[28:29], exec
	s_trap 2
	s_or_b64 exec, exec, s[0:1]
	s_and_saveexec_b64 s[0:1], s[28:29]
	s_xor_b64 s[0:1], exec, s[0:1]
	s_cbranch_execnz .LBB198_1500
.LBB198_1505:
	s_or_b64 exec, exec, s[0:1]
	s_and_saveexec_b64 s[0:1], s[24:25]
	s_xor_b64 s[0:1], exec, s[0:1]
	s_cbranch_execz .LBB198_1543
.LBB198_1506:
	s_sext_i32_i16 s22, s34
	s_cmp_lt_i32 s22, 5
	s_mov_b64 s[20:21], -1
	s_cbranch_scc1 .LBB198_1527
; %bb.1507:
	s_cmp_lt_i32 s22, 8
	s_cbranch_scc1 .LBB198_1517
; %bb.1508:
	s_cmp_lt_i32 s22, 9
	s_cbranch_scc1 .LBB198_1514
; %bb.1509:
	s_cmp_gt_i32 s22, 9
	s_cbranch_scc0 .LBB198_1511
; %bb.1510:
	v_cndmask_b32_e64 v2, 0, 1, s[4:5]
	s_waitcnt vmcnt(0)
	v_cvt_f64_u32_e32 v[2:3], v2
	v_mov_b32_e32 v4, 0
	v_mov_b32_e32 v5, v4
	s_mov_b64 s[20:21], 0
	global_store_dwordx4 v[0:1], v[2:5], off
.LBB198_1511:
	s_andn2_b64 vcc, exec, s[20:21]
	s_cbranch_vccnz .LBB198_1513
; %bb.1512:
	v_cndmask_b32_e64 v2, 0, 1.0, s[4:5]
	s_waitcnt vmcnt(0)
	v_mov_b32_e32 v3, 0
	global_store_dwordx2 v[0:1], v[2:3], off
.LBB198_1513:
	s_mov_b64 s[20:21], 0
.LBB198_1514:
	s_andn2_b64 vcc, exec, s[20:21]
	s_cbranch_vccnz .LBB198_1516
; %bb.1515:
	v_cndmask_b32_e64 v2, 0, 1.0, s[4:5]
	v_cvt_f16_f32_e32 v2, v2
	global_store_dword v[0:1], v2, off
.LBB198_1516:
	s_mov_b64 s[20:21], 0
.LBB198_1517:
	s_andn2_b64 vcc, exec, s[20:21]
	s_cbranch_vccnz .LBB198_1526
; %bb.1518:
	s_sext_i32_i16 s22, s34
	s_cmp_lt_i32 s22, 6
	s_mov_b64 s[20:21], -1
	s_cbranch_scc1 .LBB198_1524
; %bb.1519:
	s_cmp_gt_i32 s22, 6
	s_cbranch_scc0 .LBB198_1521
; %bb.1520:
	v_cndmask_b32_e64 v2, 0, 1, s[4:5]
	s_waitcnt vmcnt(0)
	v_cvt_f64_u32_e32 v[2:3], v2
	s_mov_b64 s[20:21], 0
	global_store_dwordx2 v[0:1], v[2:3], off
.LBB198_1521:
	s_andn2_b64 vcc, exec, s[20:21]
	s_cbranch_vccnz .LBB198_1523
; %bb.1522:
	v_cndmask_b32_e64 v2, 0, 1.0, s[4:5]
	global_store_dword v[0:1], v2, off
.LBB198_1523:
	s_mov_b64 s[20:21], 0
.LBB198_1524:
	s_andn2_b64 vcc, exec, s[20:21]
	s_cbranch_vccnz .LBB198_1526
; %bb.1525:
	v_cndmask_b32_e64 v2, 0, 1.0, s[4:5]
	v_cvt_f16_f32_e32 v2, v2
	global_store_short v[0:1], v2, off
.LBB198_1526:
	s_mov_b64 s[20:21], 0
.LBB198_1527:
	s_andn2_b64 vcc, exec, s[20:21]
	s_cbranch_vccnz .LBB198_1543
; %bb.1528:
	s_sext_i32_i16 s22, s34
	s_cmp_lt_i32 s22, 2
	s_mov_b64 s[20:21], -1
	s_cbranch_scc1 .LBB198_1538
; %bb.1529:
	s_cmp_lt_i32 s22, 3
	s_cbranch_scc1 .LBB198_1535
; %bb.1530:
	s_cmp_gt_i32 s22, 3
	s_cbranch_scc0 .LBB198_1532
; %bb.1531:
	s_mov_b32 s20, 0
	v_cndmask_b32_e64 v2, 0, 1, s[4:5]
	s_waitcnt vmcnt(0)
	v_mov_b32_e32 v3, s20
	s_mov_b64 s[20:21], 0
	global_store_dwordx2 v[0:1], v[2:3], off
.LBB198_1532:
	s_andn2_b64 vcc, exec, s[20:21]
	s_cbranch_vccnz .LBB198_1534
; %bb.1533:
	v_cndmask_b32_e64 v2, 0, 1, s[4:5]
	global_store_dword v[0:1], v2, off
.LBB198_1534:
	s_mov_b64 s[20:21], 0
.LBB198_1535:
	s_andn2_b64 vcc, exec, s[20:21]
	s_cbranch_vccnz .LBB198_1537
; %bb.1536:
	v_cndmask_b32_e64 v2, 0, 1, s[4:5]
	global_store_short v[0:1], v2, off
.LBB198_1537:
	s_mov_b64 s[20:21], 0
.LBB198_1538:
	s_andn2_b64 vcc, exec, s[20:21]
	s_cbranch_vccnz .LBB198_1543
; %bb.1539:
	s_sext_i32_i16 s22, s34
	s_mov_b64 s[20:21], -1
	s_cmp_gt_i32 s22, 0
	v_cndmask_b32_e64 v2, 0, 1, s[4:5]
	s_cbranch_scc0 .LBB198_1541
; %bb.1540:
	s_mov_b64 s[20:21], 0
	global_store_byte v[0:1], v2, off
.LBB198_1541:
	s_andn2_b64 vcc, exec, s[20:21]
	s_cbranch_vccnz .LBB198_1543
; %bb.1542:
	global_store_byte v[0:1], v2, off
.LBB198_1543:
	s_or_b64 exec, exec, s[0:1]
	s_and_b64 s[20:21], s[2:3], exec
                                        ; implicit-def: $vgpr2
.LBB198_1544:
	s_or_saveexec_b64 s[18:19], s[18:19]
	s_mov_b64 s[0:1], 0
                                        ; implicit-def: $sgpr2_sgpr3
                                        ; implicit-def: $sgpr24
                                        ; implicit-def: $vgpr0_vgpr1
	s_xor_b64 exec, exec, s[18:19]
	s_cbranch_execz .LBB198_3014
; %bb.1545:
	v_mul_lo_u32 v5, s13, v2
	v_mov_b32_e32 v1, s11
	s_and_b32 s26, s57, 0xff
	s_cmp_lt_i32 s26, 11
	s_waitcnt vmcnt(0)
	v_ashrrev_i32_e32 v3, 31, v5
	v_add_co_u32_e32 v0, vcc, s10, v5
	v_addc_co_u32_e32 v1, vcc, v1, v3, vcc
	s_cbranch_scc1 .LBB198_1552
; %bb.1546:
	s_and_b32 s24, 0xffff, s26
	s_cmp_gt_i32 s24, 25
	s_mov_b64 s[2:3], 0
	s_cbranch_scc0 .LBB198_1554
; %bb.1547:
	s_cmp_gt_i32 s24, 28
	s_cbranch_scc0 .LBB198_1555
; %bb.1548:
	s_cmp_gt_i32 s24, 43
	;; [unrolled: 3-line block ×3, first 2 shown]
	s_cbranch_scc0 .LBB198_1557
; %bb.1550:
	s_cmp_eq_u32 s24, 46
	s_cbranch_scc0 .LBB198_1560
; %bb.1551:
	global_load_dword v3, v[0:1], off
	s_mov_b64 s[4:5], -1
	s_branch .LBB198_1561
.LBB198_1552:
	s_mov_b64 s[4:5], 0
                                        ; implicit-def: $vgpr3
	s_mov_b64 s[22:23], s[20:21]
	s_cbranch_execnz .LBB198_1624
.LBB198_1553:
	s_andn2_b64 vcc, exec, s[4:5]
	s_cbranch_vccz .LBB198_1669
	s_branch .LBB198_3012
.LBB198_1554:
	s_mov_b64 s[4:5], 0
                                        ; implicit-def: $vgpr3
	s_cbranch_execnz .LBB198_1589
	s_branch .LBB198_1620
.LBB198_1555:
	s_mov_b64 s[6:7], -1
	s_mov_b64 s[4:5], 0
                                        ; implicit-def: $vgpr3
	s_branch .LBB198_1570
.LBB198_1556:
	s_mov_b64 s[4:5], 0
                                        ; implicit-def: $vgpr3
	s_cbranch_execnz .LBB198_1566
	s_branch .LBB198_1569
.LBB198_1557:
	s_mov_b64 s[6:7], -1
	s_mov_b64 s[4:5], 0
                                        ; implicit-def: $vgpr3
	s_branch .LBB198_1561
.LBB198_1558:
	s_andn2_saveexec_b64 s[28:29], s[28:29]
	s_cbranch_execz .LBB198_1453
.LBB198_1559:
	v_add_f32_e32 v2, 0x46000000, v3
	v_and_b32_e32 v2, 0xff, v2
	v_cmp_ne_u32_e32 vcc, 0, v2
	s_andn2_b64 s[26:27], s[26:27], exec
	s_and_b64 s[30:31], vcc, exec
	s_or_b64 s[26:27], s[26:27], s[30:31]
	s_or_b64 exec, exec, s[28:29]
	v_mov_b32_e32 v4, 0
	s_and_saveexec_b64 s[28:29], s[26:27]
	s_cbranch_execnz .LBB198_1454
	s_branch .LBB198_1455
.LBB198_1560:
	s_mov_b64 s[0:1], -1
                                        ; implicit-def: $vgpr3
	s_mov_b64 s[4:5], 0
.LBB198_1561:
	s_and_b64 vcc, exec, s[6:7]
	s_cbranch_vccz .LBB198_1564
; %bb.1562:
	s_cmp_eq_u32 s24, 44
	s_cbranch_scc0 .LBB198_1565
; %bb.1563:
	global_load_ubyte v3, v[0:1], off
	s_movk_i32 s4, 0xff
	v_mov_b32_e32 v4, 0x7f800001
	v_mov_b32_e32 v6, 0x400000
	;; [unrolled: 1-line block ×3, first 2 shown]
	s_mov_b64 s[0:1], 0
	s_waitcnt vmcnt(0)
	v_lshlrev_b32_e32 v8, 23, v3
	v_cmp_ne_u32_e32 vcc, s4, v3
	v_cndmask_b32_e32 v4, v4, v8, vcc
	v_cmp_ne_u32_e32 vcc, 0, v3
	v_cndmask_b32_e32 v3, v6, v4, vcc
	v_add_u32_e32 v4, 0x7fff, v3
	v_cmp_o_f32_e32 vcc, v3, v3
	v_cndmask_b32_sdwa v3, v7, v4, vcc dst_sel:DWORD dst_unused:UNUSED_PAD src0_sel:DWORD src1_sel:WORD_1
	s_mov_b64 s[4:5], -1
.LBB198_1564:
	s_branch .LBB198_1569
.LBB198_1565:
	s_mov_b64 s[0:1], -1
                                        ; implicit-def: $vgpr3
	s_branch .LBB198_1569
.LBB198_1566:
	s_cmp_eq_u32 s24, 29
	s_cbranch_scc0 .LBB198_1568
; %bb.1567:
	global_load_dwordx2 v[3:4], v[0:1], off
	s_movk_i32 s4, 0x7fff
	s_mov_b64 s[0:1], 0
	s_mov_b64 s[6:7], 0
	s_waitcnt vmcnt(0)
	v_ffbh_u32_e32 v6, v4
	v_min_u32_e32 v6, 32, v6
	v_lshlrev_b64 v[3:4], v6, v[3:4]
	v_min_u32_e32 v3, 1, v3
	v_or_b32_e32 v3, v4, v3
	v_cvt_f32_u32_e32 v3, v3
	v_sub_u32_e32 v4, 32, v6
	v_ldexp_f32 v3, v3, v4
	v_bfe_u32 v4, v3, 16, 1
	v_add3_u32 v3, v3, v4, s4
	v_lshrrev_b32_e32 v3, 16, v3
	s_mov_b64 s[4:5], -1
	s_branch .LBB198_1570
.LBB198_1568:
	s_mov_b64 s[0:1], -1
                                        ; implicit-def: $vgpr3
.LBB198_1569:
	s_mov_b64 s[6:7], 0
.LBB198_1570:
	s_and_b64 vcc, exec, s[6:7]
	s_cbranch_vccz .LBB198_1588
; %bb.1571:
	s_cmp_lt_i32 s24, 27
	s_cbranch_scc1 .LBB198_1574
; %bb.1572:
	s_cmp_gt_i32 s24, 27
	s_cbranch_scc0 .LBB198_1575
; %bb.1573:
	global_load_dword v3, v[0:1], off
	s_movk_i32 s4, 0x7fff
	s_waitcnt vmcnt(0)
	v_cvt_f32_u32_e32 v3, v3
	v_bfe_u32 v4, v3, 16, 1
	v_add3_u32 v3, v3, v4, s4
	v_lshrrev_b32_e32 v3, 16, v3
	s_mov_b64 s[4:5], 0
	s_branch .LBB198_1576
.LBB198_1574:
	s_mov_b64 s[4:5], -1
                                        ; implicit-def: $vgpr3
	s_branch .LBB198_1579
.LBB198_1575:
	s_mov_b64 s[4:5], -1
                                        ; implicit-def: $vgpr3
.LBB198_1576:
	s_andn2_b64 vcc, exec, s[4:5]
	s_cbranch_vccnz .LBB198_1578
; %bb.1577:
	global_load_ushort v3, v[0:1], off
	s_movk_i32 s4, 0x7fff
	s_waitcnt vmcnt(0)
	v_cvt_f32_u32_e32 v3, v3
	v_bfe_u32 v4, v3, 16, 1
	v_add3_u32 v3, v3, v4, s4
	v_lshrrev_b32_e32 v3, 16, v3
.LBB198_1578:
	s_mov_b64 s[4:5], 0
.LBB198_1579:
	s_andn2_b64 vcc, exec, s[4:5]
	s_cbranch_vccnz .LBB198_1587
; %bb.1580:
	global_load_ubyte v3, v[0:1], off
	s_movk_i32 s4, 0x7f
	s_waitcnt vmcnt(0)
	v_cmp_lt_i16_e32 vcc, s4, v3
	s_mov_b64 s[4:5], 0
	s_and_saveexec_b64 s[6:7], vcc
	s_xor_b64 s[6:7], exec, s[6:7]
	s_cbranch_execz .LBB198_1600
; %bb.1581:
	s_movk_i32 s4, 0x80
	v_cmp_eq_u16_e32 vcc, s4, v3
	s_mov_b64 s[4:5], -1
	s_and_saveexec_b64 s[22:23], vcc
; %bb.1582:
	s_xor_b64 s[4:5], exec, -1
; %bb.1583:
	s_or_b64 exec, exec, s[22:23]
	s_and_b64 s[4:5], s[4:5], exec
	s_or_saveexec_b64 s[6:7], s[6:7]
	v_mov_b32_e32 v4, 0x7f800001
	s_xor_b64 exec, exec, s[6:7]
	s_cbranch_execnz .LBB198_1601
.LBB198_1584:
	s_or_b64 exec, exec, s[6:7]
	s_and_saveexec_b64 s[6:7], s[4:5]
	s_cbranch_execz .LBB198_1586
.LBB198_1585:
	v_lshlrev_b32_e32 v4, 24, v3
	v_and_b32_e32 v3, 0xffff, v3
	v_and_b32_e32 v6, 7, v3
	v_ffbh_u32_e32 v8, v6
	v_min_u32_e32 v8, 32, v8
	v_subrev_u32_e32 v9, 28, v8
	v_bfe_u32 v7, v3, 3, 4
	v_lshlrev_b32_e32 v3, v9, v3
	v_sub_u32_e32 v8, 29, v8
	v_and_b32_e32 v3, 7, v3
	v_cmp_eq_u32_e32 vcc, 0, v7
	v_cndmask_b32_e32 v7, v7, v8, vcc
	v_cndmask_b32_e32 v3, v6, v3, vcc
	v_mov_b32_e32 v6, 0x3b800000
	v_lshlrev_b32_e32 v3, 20, v3
	v_and_b32_e32 v4, 0x80000000, v4
	v_lshl_add_u32 v6, v7, 23, v6
	v_or3_b32 v4, v4, v6, v3
.LBB198_1586:
	s_or_b64 exec, exec, s[6:7]
	v_bfe_u32 v3, v4, 16, 1
	s_movk_i32 s4, 0x7fff
	v_add3_u32 v3, v4, v3, s4
	v_cmp_o_f32_e32 vcc, v4, v4
	v_mov_b32_e32 v4, 0x7fc0
	v_cndmask_b32_sdwa v3, v4, v3, vcc dst_sel:DWORD dst_unused:UNUSED_PAD src0_sel:DWORD src1_sel:WORD_1
.LBB198_1587:
	s_mov_b64 s[4:5], -1
.LBB198_1588:
	s_branch .LBB198_1620
.LBB198_1589:
	s_cmp_gt_i32 s24, 22
	s_cbranch_scc0 .LBB198_1599
; %bb.1590:
	s_cmp_lt_i32 s24, 24
	s_cbranch_scc1 .LBB198_1602
; %bb.1591:
	s_cmp_gt_i32 s24, 24
	s_cbranch_scc0 .LBB198_1603
; %bb.1592:
	global_load_ubyte v3, v[0:1], off
	s_movk_i32 s2, 0x7f
	s_waitcnt vmcnt(0)
	v_cmp_lt_i16_e32 vcc, s2, v3
	s_mov_b64 s[2:3], 0
	s_and_saveexec_b64 s[4:5], vcc
	s_xor_b64 s[4:5], exec, s[4:5]
	s_cbranch_execz .LBB198_1614
; %bb.1593:
	s_movk_i32 s2, 0x80
	v_cmp_eq_u16_e32 vcc, s2, v3
	s_mov_b64 s[2:3], -1
	s_and_saveexec_b64 s[6:7], vcc
; %bb.1594:
	s_xor_b64 s[2:3], exec, -1
; %bb.1595:
	s_or_b64 exec, exec, s[6:7]
	s_and_b64 s[2:3], s[2:3], exec
	s_or_saveexec_b64 s[4:5], s[4:5]
	v_mov_b32_e32 v4, 0x7f800001
	s_xor_b64 exec, exec, s[4:5]
	s_cbranch_execnz .LBB198_1615
.LBB198_1596:
	s_or_b64 exec, exec, s[4:5]
	s_and_saveexec_b64 s[4:5], s[2:3]
	s_cbranch_execz .LBB198_1598
.LBB198_1597:
	v_lshlrev_b32_e32 v4, 24, v3
	v_and_b32_e32 v3, 0xffff, v3
	v_and_b32_e32 v6, 3, v3
	v_ffbh_u32_e32 v8, v6
	v_min_u32_e32 v8, 32, v8
	v_subrev_u32_e32 v9, 29, v8
	v_bfe_u32 v7, v3, 2, 5
	v_lshlrev_b32_e32 v3, v9, v3
	v_sub_u32_e32 v8, 30, v8
	v_and_b32_e32 v3, 3, v3
	v_cmp_eq_u32_e32 vcc, 0, v7
	v_cndmask_b32_e32 v7, v7, v8, vcc
	v_cndmask_b32_e32 v3, v6, v3, vcc
	v_mov_b32_e32 v6, 0x37800000
	v_lshlrev_b32_e32 v3, 21, v3
	v_and_b32_e32 v4, 0x80000000, v4
	v_lshl_add_u32 v6, v7, 23, v6
	v_or3_b32 v4, v4, v6, v3
.LBB198_1598:
	s_or_b64 exec, exec, s[4:5]
	v_bfe_u32 v3, v4, 16, 1
	s_movk_i32 s2, 0x7fff
	v_add3_u32 v3, v4, v3, s2
	v_cmp_o_f32_e32 vcc, v4, v4
	v_mov_b32_e32 v4, 0x7fc0
	v_cndmask_b32_sdwa v3, v4, v3, vcc dst_sel:DWORD dst_unused:UNUSED_PAD src0_sel:DWORD src1_sel:WORD_1
	s_mov_b64 s[2:3], 0
	s_branch .LBB198_1604
.LBB198_1599:
                                        ; implicit-def: $vgpr3
	s_mov_b64 s[2:3], 0
	s_branch .LBB198_1610
.LBB198_1600:
	s_or_saveexec_b64 s[6:7], s[6:7]
	v_mov_b32_e32 v4, 0x7f800001
	s_xor_b64 exec, exec, s[6:7]
	s_cbranch_execz .LBB198_1584
.LBB198_1601:
	v_cmp_ne_u16_e32 vcc, 0, v3
	s_andn2_b64 s[4:5], s[4:5], exec
	s_and_b64 s[22:23], vcc, exec
	v_mov_b32_e32 v4, 0
	s_or_b64 s[4:5], s[4:5], s[22:23]
	s_or_b64 exec, exec, s[6:7]
	s_and_saveexec_b64 s[6:7], s[4:5]
	s_cbranch_execnz .LBB198_1585
	s_branch .LBB198_1586
.LBB198_1602:
	s_mov_b64 s[2:3], -1
                                        ; implicit-def: $vgpr3
	s_branch .LBB198_1607
.LBB198_1603:
	s_mov_b64 s[2:3], -1
                                        ; implicit-def: $vgpr3
.LBB198_1604:
	s_and_b64 vcc, exec, s[2:3]
	s_cbranch_vccz .LBB198_1606
; %bb.1605:
	global_load_ubyte v3, v[0:1], off
	s_mov_b32 s2, 0x7f800000
	s_brev_b32 s3, 1
	s_movk_i32 s4, 0x7fff
	s_waitcnt vmcnt(0)
	v_lshlrev_b32_e32 v3, 24, v3
	v_and_b32_e32 v4, 0x7f000000, v3
	v_ffbh_u32_e32 v6, v4
	v_min_u32_e32 v6, 32, v6
	v_sub_u32_e64 v6, v6, 4 clamp
	v_lshlrev_b32_e32 v8, v6, v4
	v_lshlrev_b32_e32 v6, 23, v6
	v_lshrrev_b32_e32 v8, 4, v8
	v_add_u32_e32 v7, 0x1000000, v4
	v_sub_u32_e32 v6, v8, v6
	v_ashrrev_i32_e32 v7, 8, v7
	v_add_u32_e32 v6, 0x3c000000, v6
	v_and_or_b32 v6, v7, s2, v6
	v_cmp_ne_u32_e32 vcc, 0, v4
	v_cndmask_b32_e32 v4, 0, v6, vcc
	v_and_or_b32 v3, v3, s3, v4
	v_bfe_u32 v4, v4, 16, 1
	v_add3_u32 v4, v3, v4, s4
	v_cmp_o_f32_e32 vcc, v3, v3
	v_mov_b32_e32 v3, 0x7fc0
	v_cndmask_b32_sdwa v3, v3, v4, vcc dst_sel:DWORD dst_unused:UNUSED_PAD src0_sel:DWORD src1_sel:WORD_1
.LBB198_1606:
	s_mov_b64 s[2:3], 0
.LBB198_1607:
	s_andn2_b64 vcc, exec, s[2:3]
	s_cbranch_vccnz .LBB198_1609
; %bb.1608:
	global_load_ubyte v3, v[0:1], off
	s_movk_i32 s2, 0x7f00
	s_brev_b32 s3, 16
	s_brev_b32 s4, 1
	s_movk_i32 s5, 0x7fff
	s_waitcnt vmcnt(0)
	v_lshlrev_b16_e32 v4, 8, v3
	v_lshlrev_b32_e32 v3, 25, v3
	v_lshrrev_b32_e32 v6, 4, v3
	v_and_or_b32 v7, v4, s2, 0.5
	v_or_b32_e32 v6, 0x70000000, v6
	v_add_f32_e32 v7, -0.5, v7
	v_mul_f32_e32 v6, 0x7800000, v6
	v_cmp_gt_u32_e32 vcc, s3, v3
	v_bfe_i32 v4, v4, 0, 16
	v_cndmask_b32_e32 v3, v6, v7, vcc
	v_and_or_b32 v4, v4, s4, v3
	v_bfe_u32 v3, v3, 16, 1
	v_add3_u32 v3, v4, v3, s5
	v_cmp_o_f32_e32 vcc, v4, v4
	v_mov_b32_e32 v4, 0x7fc0
	v_cndmask_b32_sdwa v3, v4, v3, vcc dst_sel:DWORD dst_unused:UNUSED_PAD src0_sel:DWORD src1_sel:WORD_1
.LBB198_1609:
	s_mov_b64 s[4:5], -1
	s_mov_b64 s[2:3], 0
	s_cbranch_execnz .LBB198_1620
.LBB198_1610:
	s_cmp_gt_i32 s24, 14
	s_cbranch_scc0 .LBB198_1613
; %bb.1611:
	s_cmp_eq_u32 s24, 15
	s_cbranch_scc0 .LBB198_1616
; %bb.1612:
	global_load_ushort v3, v[0:1], off
	s_mov_b64 s[0:1], 0
	s_mov_b64 s[4:5], -1
	s_branch .LBB198_1617
.LBB198_1613:
	s_mov_b64 s[6:7], -1
                                        ; implicit-def: $vgpr3
	s_branch .LBB198_1618
.LBB198_1614:
	s_or_saveexec_b64 s[4:5], s[4:5]
	v_mov_b32_e32 v4, 0x7f800001
	s_xor_b64 exec, exec, s[4:5]
	s_cbranch_execz .LBB198_1596
.LBB198_1615:
	v_cmp_ne_u16_e32 vcc, 0, v3
	s_andn2_b64 s[2:3], s[2:3], exec
	s_and_b64 s[6:7], vcc, exec
	v_mov_b32_e32 v4, 0
	s_or_b64 s[2:3], s[2:3], s[6:7]
	s_or_b64 exec, exec, s[4:5]
	s_and_saveexec_b64 s[4:5], s[2:3]
	s_cbranch_execnz .LBB198_1597
	s_branch .LBB198_1598
.LBB198_1616:
	s_mov_b64 s[0:1], -1
                                        ; implicit-def: $vgpr3
.LBB198_1617:
	s_mov_b64 s[6:7], 0
.LBB198_1618:
	s_and_b64 vcc, exec, s[6:7]
	s_cbranch_vccz .LBB198_1620
; %bb.1619:
	s_cmp_lg_u32 s24, 11
	s_mov_b64 s[2:3], -1
	s_cselect_b64 s[0:1], -1, 0
.LBB198_1620:
	s_and_b64 vcc, exec, s[0:1]
	s_mov_b64 s[22:23], s[20:21]
	s_cbranch_vccnz .LBB198_1681
; %bb.1621:
	s_andn2_b64 vcc, exec, s[2:3]
	s_cbranch_vccnz .LBB198_1623
.LBB198_1622:
	global_load_ubyte v3, v[0:1], off
	s_mov_b64 s[4:5], -1
	s_waitcnt vmcnt(0)
	v_cmp_ne_u16_e32 vcc, 0, v3
	v_cndmask_b32_e64 v3, 0, 1.0, vcc
	v_lshrrev_b32_e32 v3, 16, v3
.LBB198_1623:
	s_branch .LBB198_1553
.LBB198_1624:
	s_and_b32 s2, 0xffff, s26
	s_cmp_lt_i32 s2, 5
	s_cbranch_scc1 .LBB198_1629
; %bb.1625:
	s_cmp_lt_i32 s2, 8
	s_cbranch_scc1 .LBB198_1630
; %bb.1626:
	;; [unrolled: 3-line block ×3, first 2 shown]
	s_cmp_gt_i32 s2, 9
	s_cbranch_scc0 .LBB198_1632
; %bb.1628:
	global_load_dwordx2 v[3:4], v[0:1], off
	s_movk_i32 s0, 0x7fff
	s_waitcnt vmcnt(0)
	v_cvt_f32_f64_e32 v3, v[3:4]
	v_mov_b32_e32 v4, 0x7fc0
	v_bfe_u32 v6, v3, 16, 1
	v_cmp_o_f32_e32 vcc, v3, v3
	v_add3_u32 v3, v3, v6, s0
	v_cndmask_b32_sdwa v3, v4, v3, vcc dst_sel:DWORD dst_unused:UNUSED_PAD src0_sel:DWORD src1_sel:WORD_1
	s_mov_b64 s[0:1], 0
	s_branch .LBB198_1633
.LBB198_1629:
                                        ; implicit-def: $vgpr3
	s_branch .LBB198_1650
.LBB198_1630:
                                        ; implicit-def: $vgpr3
	s_branch .LBB198_1639
.LBB198_1631:
	s_mov_b64 s[0:1], -1
                                        ; implicit-def: $vgpr3
	s_branch .LBB198_1636
.LBB198_1632:
	s_mov_b64 s[0:1], -1
                                        ; implicit-def: $vgpr3
.LBB198_1633:
	s_andn2_b64 vcc, exec, s[0:1]
	s_cbranch_vccnz .LBB198_1635
; %bb.1634:
	global_load_dword v3, v[0:1], off
	s_movk_i32 s0, 0x7fff
	v_mov_b32_e32 v4, 0x7fc0
	s_waitcnt vmcnt(0)
	v_bfe_u32 v6, v3, 16, 1
	v_cmp_o_f32_e32 vcc, v3, v3
	v_add3_u32 v3, v3, v6, s0
	v_cndmask_b32_sdwa v3, v4, v3, vcc dst_sel:DWORD dst_unused:UNUSED_PAD src0_sel:DWORD src1_sel:WORD_1
.LBB198_1635:
	s_mov_b64 s[0:1], 0
.LBB198_1636:
	s_andn2_b64 vcc, exec, s[0:1]
	s_cbranch_vccnz .LBB198_1638
; %bb.1637:
	global_load_dword v3, v[0:1], off
	s_movk_i32 s0, 0x7fff
	v_mov_b32_e32 v6, 0x7fc0
	s_waitcnt vmcnt(0)
	v_cvt_f32_f16_e32 v4, v3
	v_cmp_o_f16_e32 vcc, v3, v3
	v_bfe_u32 v3, v4, 16, 1
	v_add3_u32 v3, v4, v3, s0
	v_cndmask_b32_sdwa v3, v6, v3, vcc dst_sel:DWORD dst_unused:UNUSED_PAD src0_sel:DWORD src1_sel:WORD_1
.LBB198_1638:
	s_cbranch_execnz .LBB198_1649
.LBB198_1639:
	s_cmp_lt_i32 s2, 6
	s_cbranch_scc1 .LBB198_1642
; %bb.1640:
	s_cmp_gt_i32 s2, 6
	s_cbranch_scc0 .LBB198_1643
; %bb.1641:
	global_load_dwordx2 v[3:4], v[0:1], off
	s_movk_i32 s0, 0x7fff
	s_waitcnt vmcnt(0)
	v_cvt_f32_f64_e32 v3, v[3:4]
	v_mov_b32_e32 v4, 0x7fc0
	v_bfe_u32 v6, v3, 16, 1
	v_cmp_o_f32_e32 vcc, v3, v3
	v_add3_u32 v3, v3, v6, s0
	v_cndmask_b32_sdwa v3, v4, v3, vcc dst_sel:DWORD dst_unused:UNUSED_PAD src0_sel:DWORD src1_sel:WORD_1
	s_mov_b64 s[0:1], 0
	s_branch .LBB198_1644
.LBB198_1642:
	s_mov_b64 s[0:1], -1
                                        ; implicit-def: $vgpr3
	s_branch .LBB198_1647
.LBB198_1643:
	s_mov_b64 s[0:1], -1
                                        ; implicit-def: $vgpr3
.LBB198_1644:
	s_andn2_b64 vcc, exec, s[0:1]
	s_cbranch_vccnz .LBB198_1646
; %bb.1645:
	global_load_dword v3, v[0:1], off
	s_movk_i32 s0, 0x7fff
	v_mov_b32_e32 v4, 0x7fc0
	s_waitcnt vmcnt(0)
	v_bfe_u32 v6, v3, 16, 1
	v_cmp_o_f32_e32 vcc, v3, v3
	v_add3_u32 v3, v3, v6, s0
	v_cndmask_b32_sdwa v3, v4, v3, vcc dst_sel:DWORD dst_unused:UNUSED_PAD src0_sel:DWORD src1_sel:WORD_1
.LBB198_1646:
	s_mov_b64 s[0:1], 0
.LBB198_1647:
	s_andn2_b64 vcc, exec, s[0:1]
	s_cbranch_vccnz .LBB198_1649
; %bb.1648:
	global_load_ushort v3, v[0:1], off
	s_movk_i32 s0, 0x7fff
	v_mov_b32_e32 v6, 0x7fc0
	s_waitcnt vmcnt(0)
	v_cvt_f32_f16_e32 v4, v3
	v_cmp_o_f16_e32 vcc, v3, v3
	v_bfe_u32 v3, v4, 16, 1
	v_add3_u32 v3, v4, v3, s0
	v_cndmask_b32_sdwa v3, v6, v3, vcc dst_sel:DWORD dst_unused:UNUSED_PAD src0_sel:DWORD src1_sel:WORD_1
.LBB198_1649:
	s_cbranch_execnz .LBB198_1668
.LBB198_1650:
	s_cmp_lt_i32 s2, 2
	s_cbranch_scc1 .LBB198_1654
; %bb.1651:
	s_cmp_lt_i32 s2, 3
	s_cbranch_scc1 .LBB198_1655
; %bb.1652:
	s_cmp_gt_i32 s2, 3
	s_cbranch_scc0 .LBB198_1656
; %bb.1653:
	global_load_dwordx2 v[3:4], v[0:1], off
	s_movk_i32 s0, 0x7fff
	s_waitcnt vmcnt(0)
	v_xor_b32_e32 v7, v3, v4
	v_ffbh_i32_e32 v6, v4
	v_ashrrev_i32_e32 v7, 31, v7
	v_add_u32_e32 v6, -1, v6
	v_add_u32_e32 v7, 32, v7
	v_min_u32_e32 v6, v6, v7
	v_lshlrev_b64 v[3:4], v6, v[3:4]
	v_min_u32_e32 v3, 1, v3
	v_or_b32_e32 v3, v4, v3
	v_cvt_f32_i32_e32 v3, v3
	v_sub_u32_e32 v4, 32, v6
	v_ldexp_f32 v3, v3, v4
	v_bfe_u32 v4, v3, 16, 1
	v_add3_u32 v3, v3, v4, s0
	v_lshrrev_b32_e32 v3, 16, v3
	s_mov_b64 s[0:1], 0
	s_branch .LBB198_1657
.LBB198_1654:
                                        ; implicit-def: $vgpr3
	s_branch .LBB198_1663
.LBB198_1655:
	s_mov_b64 s[0:1], -1
                                        ; implicit-def: $vgpr3
	s_branch .LBB198_1660
.LBB198_1656:
	s_mov_b64 s[0:1], -1
                                        ; implicit-def: $vgpr3
.LBB198_1657:
	s_andn2_b64 vcc, exec, s[0:1]
	s_cbranch_vccnz .LBB198_1659
; %bb.1658:
	global_load_dword v3, v[0:1], off
	s_movk_i32 s0, 0x7fff
	s_waitcnt vmcnt(0)
	v_cvt_f32_i32_e32 v3, v3
	v_bfe_u32 v4, v3, 16, 1
	v_add3_u32 v3, v3, v4, s0
	v_lshrrev_b32_e32 v3, 16, v3
.LBB198_1659:
	s_mov_b64 s[0:1], 0
.LBB198_1660:
	s_andn2_b64 vcc, exec, s[0:1]
	s_cbranch_vccnz .LBB198_1662
; %bb.1661:
	global_load_sshort v3, v[0:1], off
	s_movk_i32 s0, 0x7fff
	s_waitcnt vmcnt(0)
	v_cvt_f32_i32_e32 v3, v3
	v_bfe_u32 v4, v3, 16, 1
	v_add3_u32 v3, v3, v4, s0
	v_lshrrev_b32_e32 v3, 16, v3
.LBB198_1662:
	s_cbranch_execnz .LBB198_1668
.LBB198_1663:
	s_cmp_gt_i32 s2, 0
	s_cbranch_scc0 .LBB198_1665
; %bb.1664:
	global_load_sbyte v3, v[0:1], off
	s_movk_i32 s0, 0x7fff
	s_waitcnt vmcnt(0)
	v_cvt_f32_i32_e32 v3, v3
	v_bfe_u32 v4, v3, 16, 1
	v_add3_u32 v3, v3, v4, s0
	v_lshrrev_b32_e32 v3, 16, v3
	s_mov_b64 s[0:1], 0
	s_branch .LBB198_1666
.LBB198_1665:
	s_mov_b64 s[0:1], -1
                                        ; implicit-def: $vgpr3
.LBB198_1666:
	s_andn2_b64 vcc, exec, s[0:1]
	s_cbranch_vccnz .LBB198_1668
; %bb.1667:
	global_load_ubyte v0, v[0:1], off
	s_movk_i32 s0, 0x7fff
	s_waitcnt vmcnt(0)
	v_cvt_f32_ubyte0_e32 v0, v0
	v_bfe_u32 v1, v0, 16, 1
	v_add3_u32 v0, v0, v1, s0
	v_lshrrev_b32_e32 v3, 16, v0
.LBB198_1668:
.LBB198_1669:
	v_mul_lo_u32 v6, s14, v2
	v_mov_b32_e32 v1, s17
	s_and_b32 s27, s56, 0xff
	s_cmp_lt_i32 s27, 11
	v_ashrrev_i32_e32 v4, 31, v6
	v_add_co_u32_e32 v0, vcc, s16, v6
	v_addc_co_u32_e32 v1, vcc, v1, v4, vcc
	s_cbranch_scc1 .LBB198_1676
; %bb.1670:
	s_and_b32 s28, 0xffff, s27
	s_cmp_gt_i32 s28, 25
	s_mov_b64 s[2:3], 0
	s_cbranch_scc0 .LBB198_1678
; %bb.1671:
	s_cmp_gt_i32 s28, 28
	s_cbranch_scc0 .LBB198_1679
; %bb.1672:
	s_cmp_gt_i32 s28, 43
	;; [unrolled: 3-line block ×3, first 2 shown]
	s_cbranch_scc0 .LBB198_1682
; %bb.1674:
	s_cmp_eq_u32 s28, 46
	s_mov_b64 s[6:7], 0
	s_cbranch_scc0 .LBB198_1685
; %bb.1675:
	global_load_dword v4, v[0:1], off
	s_mov_b64 s[0:1], 0
	s_mov_b64 s[4:5], -1
	s_branch .LBB198_1686
.LBB198_1676:
	s_mov_b64 s[4:5], 0
                                        ; implicit-def: $vgpr4
	s_cbranch_execnz .LBB198_1751
.LBB198_1677:
	s_andn2_b64 vcc, exec, s[4:5]
	s_cbranch_vccnz .LBB198_3012
	s_branch .LBB198_1798
.LBB198_1678:
	s_mov_b64 s[4:5], 0
	s_mov_b64 s[0:1], 0
                                        ; implicit-def: $vgpr4
	s_cbranch_execnz .LBB198_1715
	s_branch .LBB198_1747
.LBB198_1679:
	s_mov_b64 s[6:7], -1
	s_mov_b64 s[4:5], 0
	s_mov_b64 s[0:1], 0
                                        ; implicit-def: $vgpr4
	s_branch .LBB198_1696
.LBB198_1680:
	s_mov_b64 s[6:7], -1
	s_mov_b64 s[4:5], 0
	s_mov_b64 s[0:1], 0
                                        ; implicit-def: $vgpr4
	s_branch .LBB198_1691
.LBB198_1681:
	s_or_b64 s[22:23], s[20:21], exec
	s_trap 2
	s_cbranch_execz .LBB198_1622
	s_branch .LBB198_1623
.LBB198_1682:
	s_mov_b64 s[6:7], -1
	s_mov_b64 s[4:5], 0
	s_mov_b64 s[0:1], 0
                                        ; implicit-def: $vgpr4
	s_branch .LBB198_1686
.LBB198_1683:
	s_andn2_saveexec_b64 s[30:31], s[30:31]
	s_cbranch_execz .LBB198_1465
.LBB198_1684:
	v_add_f32_e32 v2, 0x42800000, v3
	v_and_b32_e32 v2, 0xff, v2
	v_cmp_ne_u32_e32 vcc, 0, v2
	s_andn2_b64 s[28:29], s[28:29], exec
	s_and_b64 s[36:37], vcc, exec
	s_or_b64 s[28:29], s[28:29], s[36:37]
	s_or_b64 exec, exec, s[30:31]
	v_mov_b32_e32 v4, 0
	s_and_saveexec_b64 s[30:31], s[28:29]
	s_cbranch_execnz .LBB198_1466
	s_branch .LBB198_1467
.LBB198_1685:
	s_mov_b64 s[0:1], -1
                                        ; implicit-def: $vgpr4
	s_mov_b64 s[4:5], 0
.LBB198_1686:
	s_and_b64 vcc, exec, s[6:7]
	s_cbranch_vccz .LBB198_1690
; %bb.1687:
	s_cmp_eq_u32 s28, 44
	s_cbranch_scc0 .LBB198_1689
; %bb.1688:
	global_load_ubyte v4, v[0:1], off
	s_movk_i32 s4, 0xff
	v_mov_b32_e32 v7, 0x7f800001
	v_mov_b32_e32 v8, 0x400000
	;; [unrolled: 1-line block ×3, first 2 shown]
	s_mov_b64 s[0:1], 0
	s_waitcnt vmcnt(0)
	v_lshlrev_b32_e32 v10, 23, v4
	v_cmp_ne_u32_e32 vcc, s4, v4
	v_cndmask_b32_e32 v7, v7, v10, vcc
	v_cmp_ne_u32_e32 vcc, 0, v4
	v_cndmask_b32_e32 v4, v8, v7, vcc
	v_add_u32_e32 v7, 0x7fff, v4
	v_cmp_o_f32_e32 vcc, v4, v4
	v_cndmask_b32_sdwa v4, v9, v7, vcc dst_sel:DWORD dst_unused:UNUSED_PAD src0_sel:DWORD src1_sel:WORD_1
	s_mov_b64 s[4:5], -1
	s_branch .LBB198_1690
.LBB198_1689:
	s_mov_b64 s[0:1], -1
                                        ; implicit-def: $vgpr4
.LBB198_1690:
	s_mov_b64 s[6:7], 0
.LBB198_1691:
	s_and_b64 vcc, exec, s[6:7]
	s_cbranch_vccz .LBB198_1695
; %bb.1692:
	s_cmp_eq_u32 s28, 29
	s_cbranch_scc0 .LBB198_1694
; %bb.1693:
	global_load_dwordx2 v[7:8], v[0:1], off
	s_movk_i32 s4, 0x7fff
	s_mov_b64 s[0:1], 0
	s_mov_b64 s[6:7], 0
	s_waitcnt vmcnt(0)
	v_ffbh_u32_e32 v4, v8
	v_min_u32_e32 v4, 32, v4
	v_lshlrev_b64 v[7:8], v4, v[7:8]
	v_sub_u32_e32 v4, 32, v4
	v_min_u32_e32 v7, 1, v7
	v_or_b32_e32 v7, v8, v7
	v_cvt_f32_u32_e32 v7, v7
	v_ldexp_f32 v4, v7, v4
	v_bfe_u32 v7, v4, 16, 1
	v_add3_u32 v4, v4, v7, s4
	v_lshrrev_b32_e32 v4, 16, v4
	s_mov_b64 s[4:5], -1
	s_branch .LBB198_1696
.LBB198_1694:
	s_mov_b64 s[0:1], -1
                                        ; implicit-def: $vgpr4
.LBB198_1695:
	s_mov_b64 s[6:7], 0
.LBB198_1696:
	s_and_b64 vcc, exec, s[6:7]
	s_cbranch_vccz .LBB198_1714
; %bb.1697:
	s_cmp_lt_i32 s28, 27
	s_cbranch_scc1 .LBB198_1700
; %bb.1698:
	s_cmp_gt_i32 s28, 27
	s_cbranch_scc0 .LBB198_1701
; %bb.1699:
	global_load_dword v4, v[0:1], off
	s_movk_i32 s4, 0x7fff
	s_waitcnt vmcnt(0)
	v_cvt_f32_u32_e32 v4, v4
	v_bfe_u32 v7, v4, 16, 1
	v_add3_u32 v4, v4, v7, s4
	v_lshrrev_b32_e32 v4, 16, v4
	s_mov_b64 s[4:5], 0
	s_branch .LBB198_1702
.LBB198_1700:
	s_mov_b64 s[4:5], -1
                                        ; implicit-def: $vgpr4
	s_branch .LBB198_1705
.LBB198_1701:
	s_mov_b64 s[4:5], -1
                                        ; implicit-def: $vgpr4
.LBB198_1702:
	s_andn2_b64 vcc, exec, s[4:5]
	s_cbranch_vccnz .LBB198_1704
; %bb.1703:
	global_load_ushort v4, v[0:1], off
	s_movk_i32 s4, 0x7fff
	s_waitcnt vmcnt(0)
	v_cvt_f32_u32_e32 v4, v4
	v_bfe_u32 v7, v4, 16, 1
	v_add3_u32 v4, v4, v7, s4
	v_lshrrev_b32_e32 v4, 16, v4
.LBB198_1704:
	s_mov_b64 s[4:5], 0
.LBB198_1705:
	s_andn2_b64 vcc, exec, s[4:5]
	s_cbranch_vccnz .LBB198_1713
; %bb.1706:
	global_load_ubyte v4, v[0:1], off
	s_movk_i32 s4, 0x7f
	s_waitcnt vmcnt(0)
	v_cmp_lt_i16_e32 vcc, s4, v4
	s_mov_b64 s[4:5], 0
	s_and_saveexec_b64 s[6:7], vcc
	s_xor_b64 s[6:7], exec, s[6:7]
	s_cbranch_execz .LBB198_1726
; %bb.1707:
	s_movk_i32 s4, 0x80
	v_cmp_eq_u16_e32 vcc, s4, v4
	s_mov_b64 s[4:5], -1
	s_and_saveexec_b64 s[24:25], vcc
; %bb.1708:
	s_xor_b64 s[4:5], exec, -1
; %bb.1709:
	s_or_b64 exec, exec, s[24:25]
	s_and_b64 s[4:5], s[4:5], exec
	s_or_saveexec_b64 s[6:7], s[6:7]
	v_mov_b32_e32 v7, 0x7f800001
	s_xor_b64 exec, exec, s[6:7]
	s_cbranch_execnz .LBB198_1727
.LBB198_1710:
	s_or_b64 exec, exec, s[6:7]
	s_and_saveexec_b64 s[6:7], s[4:5]
	s_cbranch_execz .LBB198_1712
.LBB198_1711:
	v_lshlrev_b32_e32 v7, 24, v4
	v_and_b32_e32 v4, 0xffff, v4
	v_and_b32_e32 v8, 7, v4
	v_ffbh_u32_e32 v10, v8
	v_min_u32_e32 v10, 32, v10
	v_subrev_u32_e32 v11, 28, v10
	v_bfe_u32 v9, v4, 3, 4
	v_lshlrev_b32_e32 v4, v11, v4
	v_sub_u32_e32 v10, 29, v10
	v_and_b32_e32 v4, 7, v4
	v_cmp_eq_u32_e32 vcc, 0, v9
	v_cndmask_b32_e32 v9, v9, v10, vcc
	v_cndmask_b32_e32 v4, v8, v4, vcc
	v_mov_b32_e32 v8, 0x3b800000
	v_lshlrev_b32_e32 v4, 20, v4
	v_and_b32_e32 v7, 0x80000000, v7
	v_lshl_add_u32 v8, v9, 23, v8
	v_or3_b32 v7, v7, v8, v4
.LBB198_1712:
	s_or_b64 exec, exec, s[6:7]
	v_bfe_u32 v4, v7, 16, 1
	s_movk_i32 s4, 0x7fff
	v_add3_u32 v4, v7, v4, s4
	v_cmp_o_f32_e32 vcc, v7, v7
	v_mov_b32_e32 v7, 0x7fc0
	v_cndmask_b32_sdwa v4, v7, v4, vcc dst_sel:DWORD dst_unused:UNUSED_PAD src0_sel:DWORD src1_sel:WORD_1
.LBB198_1713:
	s_mov_b64 s[4:5], -1
.LBB198_1714:
	s_branch .LBB198_1747
.LBB198_1715:
	s_cmp_gt_i32 s28, 22
	s_cbranch_scc0 .LBB198_1725
; %bb.1716:
	s_cmp_lt_i32 s28, 24
	s_cbranch_scc1 .LBB198_1728
; %bb.1717:
	s_cmp_gt_i32 s28, 24
	s_cbranch_scc0 .LBB198_1729
; %bb.1718:
	global_load_ubyte v4, v[0:1], off
	s_movk_i32 s2, 0x7f
	s_waitcnt vmcnt(0)
	v_cmp_lt_i16_e32 vcc, s2, v4
	s_mov_b64 s[2:3], 0
	s_and_saveexec_b64 s[4:5], vcc
	s_xor_b64 s[4:5], exec, s[4:5]
	s_cbranch_execz .LBB198_1741
; %bb.1719:
	s_movk_i32 s2, 0x80
	v_cmp_eq_u16_e32 vcc, s2, v4
	s_mov_b64 s[2:3], -1
	s_and_saveexec_b64 s[6:7], vcc
; %bb.1720:
	s_xor_b64 s[2:3], exec, -1
; %bb.1721:
	s_or_b64 exec, exec, s[6:7]
	s_and_b64 s[2:3], s[2:3], exec
	s_or_saveexec_b64 s[4:5], s[4:5]
	v_mov_b32_e32 v7, 0x7f800001
	s_xor_b64 exec, exec, s[4:5]
	s_cbranch_execnz .LBB198_1742
.LBB198_1722:
	s_or_b64 exec, exec, s[4:5]
	s_and_saveexec_b64 s[4:5], s[2:3]
	s_cbranch_execz .LBB198_1724
.LBB198_1723:
	v_lshlrev_b32_e32 v7, 24, v4
	v_and_b32_e32 v4, 0xffff, v4
	v_and_b32_e32 v8, 3, v4
	v_ffbh_u32_e32 v10, v8
	v_min_u32_e32 v10, 32, v10
	v_subrev_u32_e32 v11, 29, v10
	v_bfe_u32 v9, v4, 2, 5
	v_lshlrev_b32_e32 v4, v11, v4
	v_sub_u32_e32 v10, 30, v10
	v_and_b32_e32 v4, 3, v4
	v_cmp_eq_u32_e32 vcc, 0, v9
	v_cndmask_b32_e32 v9, v9, v10, vcc
	v_cndmask_b32_e32 v4, v8, v4, vcc
	v_mov_b32_e32 v8, 0x37800000
	v_lshlrev_b32_e32 v4, 21, v4
	v_and_b32_e32 v7, 0x80000000, v7
	v_lshl_add_u32 v8, v9, 23, v8
	v_or3_b32 v7, v7, v8, v4
.LBB198_1724:
	s_or_b64 exec, exec, s[4:5]
	v_bfe_u32 v4, v7, 16, 1
	s_movk_i32 s2, 0x7fff
	v_add3_u32 v4, v7, v4, s2
	v_cmp_o_f32_e32 vcc, v7, v7
	v_mov_b32_e32 v7, 0x7fc0
	v_cndmask_b32_sdwa v4, v7, v4, vcc dst_sel:DWORD dst_unused:UNUSED_PAD src0_sel:DWORD src1_sel:WORD_1
	s_mov_b64 s[2:3], 0
	s_branch .LBB198_1730
.LBB198_1725:
	s_mov_b64 s[2:3], -1
                                        ; implicit-def: $vgpr4
	s_branch .LBB198_1736
.LBB198_1726:
	s_or_saveexec_b64 s[6:7], s[6:7]
	v_mov_b32_e32 v7, 0x7f800001
	s_xor_b64 exec, exec, s[6:7]
	s_cbranch_execz .LBB198_1710
.LBB198_1727:
	v_cmp_ne_u16_e32 vcc, 0, v4
	s_andn2_b64 s[4:5], s[4:5], exec
	s_and_b64 s[24:25], vcc, exec
	v_mov_b32_e32 v7, 0
	s_or_b64 s[4:5], s[4:5], s[24:25]
	s_or_b64 exec, exec, s[6:7]
	s_and_saveexec_b64 s[6:7], s[4:5]
	s_cbranch_execnz .LBB198_1711
	s_branch .LBB198_1712
.LBB198_1728:
	s_mov_b64 s[2:3], -1
                                        ; implicit-def: $vgpr4
	s_branch .LBB198_1733
.LBB198_1729:
	s_mov_b64 s[2:3], -1
                                        ; implicit-def: $vgpr4
.LBB198_1730:
	s_and_b64 vcc, exec, s[2:3]
	s_cbranch_vccz .LBB198_1732
; %bb.1731:
	global_load_ubyte v4, v[0:1], off
	s_mov_b32 s2, 0x7f800000
	s_brev_b32 s3, 1
	s_movk_i32 s4, 0x7fff
	s_waitcnt vmcnt(0)
	v_lshlrev_b32_e32 v4, 24, v4
	v_and_b32_e32 v7, 0x7f000000, v4
	v_ffbh_u32_e32 v8, v7
	v_min_u32_e32 v8, 32, v8
	v_sub_u32_e64 v8, v8, 4 clamp
	v_lshlrev_b32_e32 v10, v8, v7
	v_lshlrev_b32_e32 v8, 23, v8
	v_lshrrev_b32_e32 v10, 4, v10
	v_add_u32_e32 v9, 0x1000000, v7
	v_sub_u32_e32 v8, v10, v8
	v_ashrrev_i32_e32 v9, 8, v9
	v_add_u32_e32 v8, 0x3c000000, v8
	v_and_or_b32 v8, v9, s2, v8
	v_cmp_ne_u32_e32 vcc, 0, v7
	v_cndmask_b32_e32 v7, 0, v8, vcc
	v_and_or_b32 v4, v4, s3, v7
	v_bfe_u32 v7, v7, 16, 1
	v_add3_u32 v7, v4, v7, s4
	v_cmp_o_f32_e32 vcc, v4, v4
	v_mov_b32_e32 v4, 0x7fc0
	v_cndmask_b32_sdwa v4, v4, v7, vcc dst_sel:DWORD dst_unused:UNUSED_PAD src0_sel:DWORD src1_sel:WORD_1
.LBB198_1732:
	s_mov_b64 s[2:3], 0
.LBB198_1733:
	s_andn2_b64 vcc, exec, s[2:3]
	s_cbranch_vccnz .LBB198_1735
; %bb.1734:
	global_load_ubyte v4, v[0:1], off
	s_movk_i32 s2, 0x7f00
	s_brev_b32 s3, 16
	s_brev_b32 s4, 1
	s_movk_i32 s5, 0x7fff
	s_waitcnt vmcnt(0)
	v_lshlrev_b16_e32 v7, 8, v4
	v_lshlrev_b32_e32 v4, 25, v4
	v_lshrrev_b32_e32 v8, 4, v4
	v_and_or_b32 v9, v7, s2, 0.5
	v_or_b32_e32 v8, 0x70000000, v8
	v_add_f32_e32 v9, -0.5, v9
	v_mul_f32_e32 v8, 0x7800000, v8
	v_cmp_gt_u32_e32 vcc, s3, v4
	v_bfe_i32 v7, v7, 0, 16
	v_cndmask_b32_e32 v4, v8, v9, vcc
	v_and_or_b32 v7, v7, s4, v4
	v_bfe_u32 v4, v4, 16, 1
	v_add3_u32 v4, v7, v4, s5
	v_cmp_o_f32_e32 vcc, v7, v7
	v_mov_b32_e32 v7, 0x7fc0
	v_cndmask_b32_sdwa v4, v7, v4, vcc dst_sel:DWORD dst_unused:UNUSED_PAD src0_sel:DWORD src1_sel:WORD_1
.LBB198_1735:
	s_mov_b64 s[2:3], 0
	s_mov_b64 s[4:5], -1
.LBB198_1736:
	s_andn2_b64 vcc, exec, s[2:3]
	s_mov_b64 s[2:3], 0
	s_cbranch_vccnz .LBB198_1747
; %bb.1737:
	s_cmp_gt_i32 s28, 14
	s_cbranch_scc0 .LBB198_1740
; %bb.1738:
	s_cmp_eq_u32 s28, 15
	s_cbranch_scc0 .LBB198_1743
; %bb.1739:
	global_load_ushort v4, v[0:1], off
	s_mov_b64 s[0:1], 0
	s_mov_b64 s[4:5], -1
	s_branch .LBB198_1744
.LBB198_1740:
	s_mov_b64 s[6:7], -1
                                        ; implicit-def: $vgpr4
	s_branch .LBB198_1745
.LBB198_1741:
	s_or_saveexec_b64 s[4:5], s[4:5]
	v_mov_b32_e32 v7, 0x7f800001
	s_xor_b64 exec, exec, s[4:5]
	s_cbranch_execz .LBB198_1722
.LBB198_1742:
	v_cmp_ne_u16_e32 vcc, 0, v4
	s_andn2_b64 s[2:3], s[2:3], exec
	s_and_b64 s[6:7], vcc, exec
	v_mov_b32_e32 v7, 0
	s_or_b64 s[2:3], s[2:3], s[6:7]
	s_or_b64 exec, exec, s[4:5]
	s_and_saveexec_b64 s[4:5], s[2:3]
	s_cbranch_execnz .LBB198_1723
	s_branch .LBB198_1724
.LBB198_1743:
	s_mov_b64 s[0:1], -1
                                        ; implicit-def: $vgpr4
.LBB198_1744:
	s_mov_b64 s[6:7], 0
.LBB198_1745:
	s_and_b64 vcc, exec, s[6:7]
	s_cbranch_vccz .LBB198_1747
; %bb.1746:
	s_cmp_lg_u32 s28, 11
	s_mov_b64 s[2:3], -1
	s_cselect_b64 s[0:1], -1, 0
.LBB198_1747:
	s_and_b64 vcc, exec, s[0:1]
	s_cbranch_vccnz .LBB198_1810
; %bb.1748:
	s_andn2_b64 vcc, exec, s[2:3]
	s_cbranch_vccnz .LBB198_1750
.LBB198_1749:
	global_load_ubyte v4, v[0:1], off
	s_mov_b64 s[4:5], -1
	s_waitcnt vmcnt(0)
	v_cmp_ne_u16_e32 vcc, 0, v4
	v_cndmask_b32_e64 v4, 0, 1.0, vcc
	v_lshrrev_b32_e32 v4, 16, v4
.LBB198_1750:
	s_branch .LBB198_1677
.LBB198_1751:
	s_and_b32 s2, 0xffff, s27
	s_cmp_lt_i32 s2, 5
	s_cbranch_scc1 .LBB198_1756
; %bb.1752:
	s_cmp_lt_i32 s2, 8
	s_cbranch_scc1 .LBB198_1757
; %bb.1753:
	;; [unrolled: 3-line block ×3, first 2 shown]
	s_cmp_gt_i32 s2, 9
	s_cbranch_scc0 .LBB198_1759
; %bb.1755:
	global_load_dwordx2 v[7:8], v[0:1], off
	s_movk_i32 s0, 0x7fff
	s_waitcnt vmcnt(0)
	v_cvt_f32_f64_e32 v4, v[7:8]
	v_mov_b32_e32 v7, 0x7fc0
	v_bfe_u32 v8, v4, 16, 1
	v_cmp_o_f32_e32 vcc, v4, v4
	v_add3_u32 v4, v4, v8, s0
	v_cndmask_b32_sdwa v4, v7, v4, vcc dst_sel:DWORD dst_unused:UNUSED_PAD src0_sel:DWORD src1_sel:WORD_1
	s_mov_b64 s[0:1], 0
	s_branch .LBB198_1760
.LBB198_1756:
                                        ; implicit-def: $vgpr4
	s_branch .LBB198_1778
.LBB198_1757:
	s_mov_b64 s[0:1], -1
                                        ; implicit-def: $vgpr4
	s_branch .LBB198_1766
.LBB198_1758:
	s_mov_b64 s[0:1], -1
                                        ; implicit-def: $vgpr4
	s_branch .LBB198_1763
.LBB198_1759:
	s_mov_b64 s[0:1], -1
                                        ; implicit-def: $vgpr4
.LBB198_1760:
	s_andn2_b64 vcc, exec, s[0:1]
	s_cbranch_vccnz .LBB198_1762
; %bb.1761:
	global_load_dword v4, v[0:1], off
	s_movk_i32 s0, 0x7fff
	v_mov_b32_e32 v7, 0x7fc0
	s_waitcnt vmcnt(0)
	v_bfe_u32 v8, v4, 16, 1
	v_cmp_o_f32_e32 vcc, v4, v4
	v_add3_u32 v4, v4, v8, s0
	v_cndmask_b32_sdwa v4, v7, v4, vcc dst_sel:DWORD dst_unused:UNUSED_PAD src0_sel:DWORD src1_sel:WORD_1
.LBB198_1762:
	s_mov_b64 s[0:1], 0
.LBB198_1763:
	s_andn2_b64 vcc, exec, s[0:1]
	s_cbranch_vccnz .LBB198_1765
; %bb.1764:
	global_load_dword v4, v[0:1], off
	s_movk_i32 s0, 0x7fff
	v_mov_b32_e32 v8, 0x7fc0
	s_waitcnt vmcnt(0)
	v_cvt_f32_f16_e32 v7, v4
	v_cmp_o_f16_e32 vcc, v4, v4
	v_bfe_u32 v4, v7, 16, 1
	v_add3_u32 v4, v7, v4, s0
	v_cndmask_b32_sdwa v4, v8, v4, vcc dst_sel:DWORD dst_unused:UNUSED_PAD src0_sel:DWORD src1_sel:WORD_1
.LBB198_1765:
	s_mov_b64 s[0:1], 0
.LBB198_1766:
	s_andn2_b64 vcc, exec, s[0:1]
	s_cbranch_vccnz .LBB198_1777
; %bb.1767:
	s_cmp_lt_i32 s2, 6
	s_cbranch_scc1 .LBB198_1770
; %bb.1768:
	s_cmp_gt_i32 s2, 6
	s_cbranch_scc0 .LBB198_1771
; %bb.1769:
	global_load_dwordx2 v[7:8], v[0:1], off
	s_movk_i32 s0, 0x7fff
	s_waitcnt vmcnt(0)
	v_cvt_f32_f64_e32 v4, v[7:8]
	v_mov_b32_e32 v7, 0x7fc0
	v_bfe_u32 v8, v4, 16, 1
	v_cmp_o_f32_e32 vcc, v4, v4
	v_add3_u32 v4, v4, v8, s0
	v_cndmask_b32_sdwa v4, v7, v4, vcc dst_sel:DWORD dst_unused:UNUSED_PAD src0_sel:DWORD src1_sel:WORD_1
	s_mov_b64 s[0:1], 0
	s_branch .LBB198_1772
.LBB198_1770:
	s_mov_b64 s[0:1], -1
                                        ; implicit-def: $vgpr4
	s_branch .LBB198_1775
.LBB198_1771:
	s_mov_b64 s[0:1], -1
                                        ; implicit-def: $vgpr4
.LBB198_1772:
	s_andn2_b64 vcc, exec, s[0:1]
	s_cbranch_vccnz .LBB198_1774
; %bb.1773:
	global_load_dword v4, v[0:1], off
	s_movk_i32 s0, 0x7fff
	v_mov_b32_e32 v7, 0x7fc0
	s_waitcnt vmcnt(0)
	v_bfe_u32 v8, v4, 16, 1
	v_cmp_o_f32_e32 vcc, v4, v4
	v_add3_u32 v4, v4, v8, s0
	v_cndmask_b32_sdwa v4, v7, v4, vcc dst_sel:DWORD dst_unused:UNUSED_PAD src0_sel:DWORD src1_sel:WORD_1
.LBB198_1774:
	s_mov_b64 s[0:1], 0
.LBB198_1775:
	s_andn2_b64 vcc, exec, s[0:1]
	s_cbranch_vccnz .LBB198_1777
; %bb.1776:
	global_load_ushort v4, v[0:1], off
	s_movk_i32 s0, 0x7fff
	v_mov_b32_e32 v8, 0x7fc0
	s_waitcnt vmcnt(0)
	v_cvt_f32_f16_e32 v7, v4
	v_cmp_o_f16_e32 vcc, v4, v4
	v_bfe_u32 v4, v7, 16, 1
	v_add3_u32 v4, v7, v4, s0
	v_cndmask_b32_sdwa v4, v8, v4, vcc dst_sel:DWORD dst_unused:UNUSED_PAD src0_sel:DWORD src1_sel:WORD_1
.LBB198_1777:
	s_cbranch_execnz .LBB198_1797
.LBB198_1778:
	s_cmp_lt_i32 s2, 2
	s_cbranch_scc1 .LBB198_1782
; %bb.1779:
	s_cmp_lt_i32 s2, 3
	s_cbranch_scc1 .LBB198_1783
; %bb.1780:
	s_cmp_gt_i32 s2, 3
	s_cbranch_scc0 .LBB198_1784
; %bb.1781:
	global_load_dwordx2 v[7:8], v[0:1], off
	s_movk_i32 s0, 0x7fff
	s_waitcnt vmcnt(0)
	v_xor_b32_e32 v9, v7, v8
	v_ffbh_i32_e32 v4, v8
	v_ashrrev_i32_e32 v9, 31, v9
	v_add_u32_e32 v4, -1, v4
	v_add_u32_e32 v9, 32, v9
	v_min_u32_e32 v4, v4, v9
	v_lshlrev_b64 v[7:8], v4, v[7:8]
	v_sub_u32_e32 v4, 32, v4
	v_min_u32_e32 v7, 1, v7
	v_or_b32_e32 v7, v8, v7
	v_cvt_f32_i32_e32 v7, v7
	v_ldexp_f32 v4, v7, v4
	v_bfe_u32 v7, v4, 16, 1
	v_add3_u32 v4, v4, v7, s0
	v_lshrrev_b32_e32 v4, 16, v4
	s_mov_b64 s[0:1], 0
	s_branch .LBB198_1785
.LBB198_1782:
	s_mov_b64 s[0:1], -1
                                        ; implicit-def: $vgpr4
	s_branch .LBB198_1791
.LBB198_1783:
	s_mov_b64 s[0:1], -1
                                        ; implicit-def: $vgpr4
	s_branch .LBB198_1788
.LBB198_1784:
	s_mov_b64 s[0:1], -1
                                        ; implicit-def: $vgpr4
.LBB198_1785:
	s_andn2_b64 vcc, exec, s[0:1]
	s_cbranch_vccnz .LBB198_1787
; %bb.1786:
	global_load_dword v4, v[0:1], off
	s_movk_i32 s0, 0x7fff
	s_waitcnt vmcnt(0)
	v_cvt_f32_i32_e32 v4, v4
	v_bfe_u32 v7, v4, 16, 1
	v_add3_u32 v4, v4, v7, s0
	v_lshrrev_b32_e32 v4, 16, v4
.LBB198_1787:
	s_mov_b64 s[0:1], 0
.LBB198_1788:
	s_andn2_b64 vcc, exec, s[0:1]
	s_cbranch_vccnz .LBB198_1790
; %bb.1789:
	global_load_sshort v4, v[0:1], off
	s_movk_i32 s0, 0x7fff
	s_waitcnt vmcnt(0)
	v_cvt_f32_i32_e32 v4, v4
	v_bfe_u32 v7, v4, 16, 1
	v_add3_u32 v4, v4, v7, s0
	v_lshrrev_b32_e32 v4, 16, v4
.LBB198_1790:
	s_mov_b64 s[0:1], 0
.LBB198_1791:
	s_andn2_b64 vcc, exec, s[0:1]
	s_cbranch_vccnz .LBB198_1797
; %bb.1792:
	s_cmp_gt_i32 s2, 0
	s_cbranch_scc0 .LBB198_1794
; %bb.1793:
	global_load_sbyte v4, v[0:1], off
	s_movk_i32 s0, 0x7fff
	s_waitcnt vmcnt(0)
	v_cvt_f32_i32_e32 v4, v4
	v_bfe_u32 v7, v4, 16, 1
	v_add3_u32 v4, v4, v7, s0
	v_lshrrev_b32_e32 v4, 16, v4
	s_mov_b64 s[0:1], 0
	s_branch .LBB198_1795
.LBB198_1794:
	s_mov_b64 s[0:1], -1
                                        ; implicit-def: $vgpr4
.LBB198_1795:
	s_andn2_b64 vcc, exec, s[0:1]
	s_cbranch_vccnz .LBB198_1797
; %bb.1796:
	global_load_ubyte v0, v[0:1], off
	s_movk_i32 s0, 0x7fff
	s_waitcnt vmcnt(0)
	v_cvt_f32_ubyte0_e32 v0, v0
	v_bfe_u32 v1, v0, 16, 1
	v_add3_u32 v0, v0, v1, s0
	v_lshrrev_b32_e32 v4, 16, v0
.LBB198_1797:
.LBB198_1798:
	s_lshl_b32 s13, s13, 7
	v_add_u32_e32 v7, s13, v5
	v_ashrrev_i32_e32 v1, 31, v7
	v_mov_b32_e32 v5, s11
	v_add_co_u32_e32 v0, vcc, s10, v7
	s_cmp_lt_i32 s26, 11
	v_addc_co_u32_e32 v1, vcc, v5, v1, vcc
	s_cbranch_scc1 .LBB198_1805
; %bb.1799:
	s_and_b32 s28, 0xffff, s26
	s_cmp_gt_i32 s28, 25
	s_mov_b64 s[2:3], 0
	s_cbranch_scc0 .LBB198_1807
; %bb.1800:
	s_cmp_gt_i32 s28, 28
	s_cbranch_scc0 .LBB198_1808
; %bb.1801:
	s_cmp_gt_i32 s28, 43
	;; [unrolled: 3-line block ×3, first 2 shown]
	s_cbranch_scc0 .LBB198_1811
; %bb.1803:
	s_cmp_eq_u32 s28, 46
	s_mov_b64 s[6:7], 0
	s_cbranch_scc0 .LBB198_1812
; %bb.1804:
	global_load_dword v5, v[0:1], off
	s_mov_b64 s[0:1], 0
	s_mov_b64 s[4:5], -1
	s_branch .LBB198_1813
.LBB198_1805:
	s_mov_b64 s[4:5], 0
                                        ; implicit-def: $vgpr5
	s_cbranch_execnz .LBB198_1879
.LBB198_1806:
	s_andn2_b64 vcc, exec, s[4:5]
	s_cbranch_vccnz .LBB198_3012
	s_branch .LBB198_1927
.LBB198_1807:
	s_mov_b64 s[6:7], -1
	s_mov_b64 s[4:5], 0
	s_mov_b64 s[0:1], 0
                                        ; implicit-def: $vgpr5
	s_branch .LBB198_1842
.LBB198_1808:
	s_mov_b64 s[6:7], -1
	s_mov_b64 s[4:5], 0
	s_mov_b64 s[0:1], 0
                                        ; implicit-def: $vgpr5
	s_branch .LBB198_1823
.LBB198_1809:
	s_mov_b64 s[6:7], -1
	s_mov_b64 s[4:5], 0
	s_mov_b64 s[0:1], 0
                                        ; implicit-def: $vgpr5
	s_branch .LBB198_1818
.LBB198_1810:
	s_trap 2
	s_or_b64 s[22:23], s[22:23], exec
	s_cbranch_execz .LBB198_1749
	s_branch .LBB198_1750
.LBB198_1811:
	s_mov_b64 s[6:7], -1
	s_mov_b64 s[4:5], 0
	s_mov_b64 s[0:1], 0
                                        ; implicit-def: $vgpr5
	s_branch .LBB198_1813
.LBB198_1812:
	s_mov_b64 s[0:1], -1
                                        ; implicit-def: $vgpr5
	s_mov_b64 s[4:5], 0
.LBB198_1813:
	s_and_b64 vcc, exec, s[6:7]
	s_cbranch_vccz .LBB198_1817
; %bb.1814:
	s_cmp_eq_u32 s28, 44
	s_cbranch_scc0 .LBB198_1816
; %bb.1815:
	global_load_ubyte v5, v[0:1], off
	s_movk_i32 s4, 0xff
	v_mov_b32_e32 v8, 0x7f800001
	v_mov_b32_e32 v9, 0x400000
	;; [unrolled: 1-line block ×3, first 2 shown]
	s_mov_b64 s[0:1], 0
	s_waitcnt vmcnt(0)
	v_lshlrev_b32_e32 v11, 23, v5
	v_cmp_ne_u32_e32 vcc, s4, v5
	v_cndmask_b32_e32 v8, v8, v11, vcc
	v_cmp_ne_u32_e32 vcc, 0, v5
	v_cndmask_b32_e32 v5, v9, v8, vcc
	v_add_u32_e32 v8, 0x7fff, v5
	v_cmp_o_f32_e32 vcc, v5, v5
	v_cndmask_b32_sdwa v5, v10, v8, vcc dst_sel:DWORD dst_unused:UNUSED_PAD src0_sel:DWORD src1_sel:WORD_1
	s_mov_b64 s[4:5], -1
	s_branch .LBB198_1817
.LBB198_1816:
	s_mov_b64 s[0:1], -1
                                        ; implicit-def: $vgpr5
.LBB198_1817:
	s_mov_b64 s[6:7], 0
.LBB198_1818:
	s_and_b64 vcc, exec, s[6:7]
	s_cbranch_vccz .LBB198_1822
; %bb.1819:
	s_cmp_eq_u32 s28, 29
	s_cbranch_scc0 .LBB198_1821
; %bb.1820:
	global_load_dwordx2 v[8:9], v[0:1], off
	s_movk_i32 s4, 0x7fff
	s_mov_b64 s[0:1], 0
	s_mov_b64 s[6:7], 0
	s_waitcnt vmcnt(0)
	v_ffbh_u32_e32 v5, v9
	v_min_u32_e32 v5, 32, v5
	v_lshlrev_b64 v[8:9], v5, v[8:9]
	v_sub_u32_e32 v5, 32, v5
	v_min_u32_e32 v8, 1, v8
	v_or_b32_e32 v8, v9, v8
	v_cvt_f32_u32_e32 v8, v8
	v_ldexp_f32 v5, v8, v5
	v_bfe_u32 v8, v5, 16, 1
	v_add3_u32 v5, v5, v8, s4
	v_lshrrev_b32_e32 v5, 16, v5
	s_mov_b64 s[4:5], -1
	s_branch .LBB198_1823
.LBB198_1821:
	s_mov_b64 s[0:1], -1
                                        ; implicit-def: $vgpr5
.LBB198_1822:
	s_mov_b64 s[6:7], 0
.LBB198_1823:
	s_and_b64 vcc, exec, s[6:7]
	s_cbranch_vccz .LBB198_1841
; %bb.1824:
	s_cmp_lt_i32 s28, 27
	s_cbranch_scc1 .LBB198_1827
; %bb.1825:
	s_cmp_gt_i32 s28, 27
	s_cbranch_scc0 .LBB198_1828
; %bb.1826:
	global_load_dword v5, v[0:1], off
	s_movk_i32 s4, 0x7fff
	s_waitcnt vmcnt(0)
	v_cvt_f32_u32_e32 v5, v5
	v_bfe_u32 v8, v5, 16, 1
	v_add3_u32 v5, v5, v8, s4
	v_lshrrev_b32_e32 v5, 16, v5
	s_mov_b64 s[4:5], 0
	s_branch .LBB198_1829
.LBB198_1827:
	s_mov_b64 s[4:5], -1
                                        ; implicit-def: $vgpr5
	s_branch .LBB198_1832
.LBB198_1828:
	s_mov_b64 s[4:5], -1
                                        ; implicit-def: $vgpr5
.LBB198_1829:
	s_andn2_b64 vcc, exec, s[4:5]
	s_cbranch_vccnz .LBB198_1831
; %bb.1830:
	global_load_ushort v5, v[0:1], off
	s_movk_i32 s4, 0x7fff
	s_waitcnt vmcnt(0)
	v_cvt_f32_u32_e32 v5, v5
	v_bfe_u32 v8, v5, 16, 1
	v_add3_u32 v5, v5, v8, s4
	v_lshrrev_b32_e32 v5, 16, v5
.LBB198_1831:
	s_mov_b64 s[4:5], 0
.LBB198_1832:
	s_andn2_b64 vcc, exec, s[4:5]
	s_cbranch_vccnz .LBB198_1840
; %bb.1833:
	global_load_ubyte v5, v[0:1], off
	s_movk_i32 s4, 0x7f
	s_waitcnt vmcnt(0)
	v_cmp_lt_i16_e32 vcc, s4, v5
	s_mov_b64 s[4:5], 0
	s_and_saveexec_b64 s[6:7], vcc
	s_xor_b64 s[6:7], exec, s[6:7]
	s_cbranch_execz .LBB198_1854
; %bb.1834:
	s_movk_i32 s4, 0x80
	v_cmp_eq_u16_e32 vcc, s4, v5
	s_mov_b64 s[4:5], -1
	s_and_saveexec_b64 s[24:25], vcc
; %bb.1835:
	s_xor_b64 s[4:5], exec, -1
; %bb.1836:
	s_or_b64 exec, exec, s[24:25]
	s_and_b64 s[4:5], s[4:5], exec
	s_or_saveexec_b64 s[6:7], s[6:7]
	v_mov_b32_e32 v8, 0x7f800001
	s_xor_b64 exec, exec, s[6:7]
	s_cbranch_execnz .LBB198_1855
.LBB198_1837:
	s_or_b64 exec, exec, s[6:7]
	s_and_saveexec_b64 s[6:7], s[4:5]
	s_cbranch_execz .LBB198_1839
.LBB198_1838:
	v_lshlrev_b32_e32 v8, 24, v5
	v_and_b32_e32 v5, 0xffff, v5
	v_and_b32_e32 v9, 7, v5
	v_ffbh_u32_e32 v11, v9
	v_min_u32_e32 v11, 32, v11
	v_subrev_u32_e32 v12, 28, v11
	v_bfe_u32 v10, v5, 3, 4
	v_lshlrev_b32_e32 v5, v12, v5
	v_sub_u32_e32 v11, 29, v11
	v_and_b32_e32 v5, 7, v5
	v_cmp_eq_u32_e32 vcc, 0, v10
	v_cndmask_b32_e32 v10, v10, v11, vcc
	v_cndmask_b32_e32 v5, v9, v5, vcc
	v_mov_b32_e32 v9, 0x3b800000
	v_lshlrev_b32_e32 v5, 20, v5
	v_and_b32_e32 v8, 0x80000000, v8
	v_lshl_add_u32 v9, v10, 23, v9
	v_or3_b32 v8, v8, v9, v5
.LBB198_1839:
	s_or_b64 exec, exec, s[6:7]
	v_bfe_u32 v5, v8, 16, 1
	s_movk_i32 s4, 0x7fff
	v_add3_u32 v5, v8, v5, s4
	v_cmp_o_f32_e32 vcc, v8, v8
	v_mov_b32_e32 v8, 0x7fc0
	v_cndmask_b32_sdwa v5, v8, v5, vcc dst_sel:DWORD dst_unused:UNUSED_PAD src0_sel:DWORD src1_sel:WORD_1
.LBB198_1840:
	s_mov_b64 s[4:5], -1
.LBB198_1841:
	s_mov_b64 s[6:7], 0
.LBB198_1842:
	s_and_b64 vcc, exec, s[6:7]
	s_cbranch_vccz .LBB198_1875
; %bb.1843:
	s_cmp_gt_i32 s28, 22
	s_cbranch_scc0 .LBB198_1853
; %bb.1844:
	s_cmp_lt_i32 s28, 24
	s_cbranch_scc1 .LBB198_1856
; %bb.1845:
	s_cmp_gt_i32 s28, 24
	s_cbranch_scc0 .LBB198_1857
; %bb.1846:
	global_load_ubyte v5, v[0:1], off
	s_movk_i32 s2, 0x7f
	s_waitcnt vmcnt(0)
	v_cmp_lt_i16_e32 vcc, s2, v5
	s_mov_b64 s[2:3], 0
	s_and_saveexec_b64 s[4:5], vcc
	s_xor_b64 s[4:5], exec, s[4:5]
	s_cbranch_execz .LBB198_1869
; %bb.1847:
	s_movk_i32 s2, 0x80
	v_cmp_eq_u16_e32 vcc, s2, v5
	s_mov_b64 s[2:3], -1
	s_and_saveexec_b64 s[6:7], vcc
; %bb.1848:
	s_xor_b64 s[2:3], exec, -1
; %bb.1849:
	s_or_b64 exec, exec, s[6:7]
	s_and_b64 s[2:3], s[2:3], exec
	s_or_saveexec_b64 s[4:5], s[4:5]
	v_mov_b32_e32 v8, 0x7f800001
	s_xor_b64 exec, exec, s[4:5]
	s_cbranch_execnz .LBB198_1870
.LBB198_1850:
	s_or_b64 exec, exec, s[4:5]
	s_and_saveexec_b64 s[4:5], s[2:3]
	s_cbranch_execz .LBB198_1852
.LBB198_1851:
	v_lshlrev_b32_e32 v8, 24, v5
	v_and_b32_e32 v5, 0xffff, v5
	v_and_b32_e32 v9, 3, v5
	v_ffbh_u32_e32 v11, v9
	v_min_u32_e32 v11, 32, v11
	v_subrev_u32_e32 v12, 29, v11
	v_bfe_u32 v10, v5, 2, 5
	v_lshlrev_b32_e32 v5, v12, v5
	v_sub_u32_e32 v11, 30, v11
	v_and_b32_e32 v5, 3, v5
	v_cmp_eq_u32_e32 vcc, 0, v10
	v_cndmask_b32_e32 v10, v10, v11, vcc
	v_cndmask_b32_e32 v5, v9, v5, vcc
	v_mov_b32_e32 v9, 0x37800000
	v_lshlrev_b32_e32 v5, 21, v5
	v_and_b32_e32 v8, 0x80000000, v8
	v_lshl_add_u32 v9, v10, 23, v9
	v_or3_b32 v8, v8, v9, v5
.LBB198_1852:
	s_or_b64 exec, exec, s[4:5]
	v_bfe_u32 v5, v8, 16, 1
	s_movk_i32 s2, 0x7fff
	v_add3_u32 v5, v8, v5, s2
	v_cmp_o_f32_e32 vcc, v8, v8
	v_mov_b32_e32 v8, 0x7fc0
	v_cndmask_b32_sdwa v5, v8, v5, vcc dst_sel:DWORD dst_unused:UNUSED_PAD src0_sel:DWORD src1_sel:WORD_1
	s_mov_b64 s[2:3], 0
	s_branch .LBB198_1858
.LBB198_1853:
	s_mov_b64 s[2:3], -1
                                        ; implicit-def: $vgpr5
	s_branch .LBB198_1864
.LBB198_1854:
	s_or_saveexec_b64 s[6:7], s[6:7]
	v_mov_b32_e32 v8, 0x7f800001
	s_xor_b64 exec, exec, s[6:7]
	s_cbranch_execz .LBB198_1837
.LBB198_1855:
	v_cmp_ne_u16_e32 vcc, 0, v5
	s_andn2_b64 s[4:5], s[4:5], exec
	s_and_b64 s[24:25], vcc, exec
	v_mov_b32_e32 v8, 0
	s_or_b64 s[4:5], s[4:5], s[24:25]
	s_or_b64 exec, exec, s[6:7]
	s_and_saveexec_b64 s[6:7], s[4:5]
	s_cbranch_execnz .LBB198_1838
	s_branch .LBB198_1839
.LBB198_1856:
	s_mov_b64 s[2:3], -1
                                        ; implicit-def: $vgpr5
	s_branch .LBB198_1861
.LBB198_1857:
	s_mov_b64 s[2:3], -1
                                        ; implicit-def: $vgpr5
.LBB198_1858:
	s_and_b64 vcc, exec, s[2:3]
	s_cbranch_vccz .LBB198_1860
; %bb.1859:
	global_load_ubyte v5, v[0:1], off
	s_mov_b32 s2, 0x7f800000
	s_brev_b32 s3, 1
	s_movk_i32 s4, 0x7fff
	s_waitcnt vmcnt(0)
	v_lshlrev_b32_e32 v5, 24, v5
	v_and_b32_e32 v8, 0x7f000000, v5
	v_ffbh_u32_e32 v9, v8
	v_min_u32_e32 v9, 32, v9
	v_sub_u32_e64 v9, v9, 4 clamp
	v_lshlrev_b32_e32 v11, v9, v8
	v_lshlrev_b32_e32 v9, 23, v9
	v_lshrrev_b32_e32 v11, 4, v11
	v_add_u32_e32 v10, 0x1000000, v8
	v_sub_u32_e32 v9, v11, v9
	v_ashrrev_i32_e32 v10, 8, v10
	v_add_u32_e32 v9, 0x3c000000, v9
	v_and_or_b32 v9, v10, s2, v9
	v_cmp_ne_u32_e32 vcc, 0, v8
	v_cndmask_b32_e32 v8, 0, v9, vcc
	v_and_or_b32 v5, v5, s3, v8
	v_bfe_u32 v8, v8, 16, 1
	v_add3_u32 v8, v5, v8, s4
	v_cmp_o_f32_e32 vcc, v5, v5
	v_mov_b32_e32 v5, 0x7fc0
	v_cndmask_b32_sdwa v5, v5, v8, vcc dst_sel:DWORD dst_unused:UNUSED_PAD src0_sel:DWORD src1_sel:WORD_1
.LBB198_1860:
	s_mov_b64 s[2:3], 0
.LBB198_1861:
	s_andn2_b64 vcc, exec, s[2:3]
	s_cbranch_vccnz .LBB198_1863
; %bb.1862:
	global_load_ubyte v5, v[0:1], off
	s_movk_i32 s2, 0x7f00
	s_brev_b32 s3, 16
	s_brev_b32 s4, 1
	s_movk_i32 s5, 0x7fff
	s_waitcnt vmcnt(0)
	v_lshlrev_b16_e32 v8, 8, v5
	v_lshlrev_b32_e32 v5, 25, v5
	v_lshrrev_b32_e32 v9, 4, v5
	v_and_or_b32 v10, v8, s2, 0.5
	v_or_b32_e32 v9, 0x70000000, v9
	v_add_f32_e32 v10, -0.5, v10
	v_mul_f32_e32 v9, 0x7800000, v9
	v_cmp_gt_u32_e32 vcc, s3, v5
	v_bfe_i32 v8, v8, 0, 16
	v_cndmask_b32_e32 v5, v9, v10, vcc
	v_and_or_b32 v8, v8, s4, v5
	v_bfe_u32 v5, v5, 16, 1
	v_add3_u32 v5, v8, v5, s5
	v_cmp_o_f32_e32 vcc, v8, v8
	v_mov_b32_e32 v8, 0x7fc0
	v_cndmask_b32_sdwa v5, v8, v5, vcc dst_sel:DWORD dst_unused:UNUSED_PAD src0_sel:DWORD src1_sel:WORD_1
.LBB198_1863:
	s_mov_b64 s[2:3], 0
	s_mov_b64 s[4:5], -1
.LBB198_1864:
	s_andn2_b64 vcc, exec, s[2:3]
	s_mov_b64 s[2:3], 0
	s_cbranch_vccnz .LBB198_1875
; %bb.1865:
	s_cmp_gt_i32 s28, 14
	s_cbranch_scc0 .LBB198_1868
; %bb.1866:
	s_cmp_eq_u32 s28, 15
	s_cbranch_scc0 .LBB198_1871
; %bb.1867:
	global_load_ushort v5, v[0:1], off
	s_mov_b64 s[0:1], 0
	s_mov_b64 s[4:5], -1
	s_branch .LBB198_1872
.LBB198_1868:
	s_mov_b64 s[6:7], -1
                                        ; implicit-def: $vgpr5
	s_branch .LBB198_1873
.LBB198_1869:
	s_or_saveexec_b64 s[4:5], s[4:5]
	v_mov_b32_e32 v8, 0x7f800001
	s_xor_b64 exec, exec, s[4:5]
	s_cbranch_execz .LBB198_1850
.LBB198_1870:
	v_cmp_ne_u16_e32 vcc, 0, v5
	s_andn2_b64 s[2:3], s[2:3], exec
	s_and_b64 s[6:7], vcc, exec
	v_mov_b32_e32 v8, 0
	s_or_b64 s[2:3], s[2:3], s[6:7]
	s_or_b64 exec, exec, s[4:5]
	s_and_saveexec_b64 s[4:5], s[2:3]
	s_cbranch_execnz .LBB198_1851
	s_branch .LBB198_1852
.LBB198_1871:
	s_mov_b64 s[0:1], -1
                                        ; implicit-def: $vgpr5
.LBB198_1872:
	s_mov_b64 s[6:7], 0
.LBB198_1873:
	s_and_b64 vcc, exec, s[6:7]
	s_cbranch_vccz .LBB198_1875
; %bb.1874:
	s_cmp_lg_u32 s28, 11
	s_mov_b64 s[2:3], -1
	s_cselect_b64 s[0:1], -1, 0
.LBB198_1875:
	s_and_b64 vcc, exec, s[0:1]
	s_cbranch_vccnz .LBB198_1938
; %bb.1876:
	s_andn2_b64 vcc, exec, s[2:3]
	s_cbranch_vccnz .LBB198_1878
.LBB198_1877:
	global_load_ubyte v5, v[0:1], off
	s_mov_b64 s[4:5], -1
	s_waitcnt vmcnt(0)
	v_cmp_ne_u16_e32 vcc, 0, v5
	v_cndmask_b32_e64 v5, 0, 1.0, vcc
	v_lshrrev_b32_e32 v5, 16, v5
.LBB198_1878:
	s_branch .LBB198_1806
.LBB198_1879:
	s_and_b32 s2, 0xffff, s26
	s_cmp_lt_i32 s2, 5
	s_cbranch_scc1 .LBB198_1884
; %bb.1880:
	s_cmp_lt_i32 s2, 8
	s_cbranch_scc1 .LBB198_1885
; %bb.1881:
	;; [unrolled: 3-line block ×3, first 2 shown]
	s_cmp_gt_i32 s2, 9
	s_cbranch_scc0 .LBB198_1887
; %bb.1883:
	global_load_dwordx2 v[8:9], v[0:1], off
	s_movk_i32 s0, 0x7fff
	s_waitcnt vmcnt(0)
	v_cvt_f32_f64_e32 v5, v[8:9]
	v_mov_b32_e32 v8, 0x7fc0
	v_bfe_u32 v9, v5, 16, 1
	v_cmp_o_f32_e32 vcc, v5, v5
	v_add3_u32 v5, v5, v9, s0
	v_cndmask_b32_sdwa v5, v8, v5, vcc dst_sel:DWORD dst_unused:UNUSED_PAD src0_sel:DWORD src1_sel:WORD_1
	s_mov_b64 s[0:1], 0
	s_branch .LBB198_1888
.LBB198_1884:
	s_mov_b64 s[0:1], -1
                                        ; implicit-def: $vgpr5
	s_branch .LBB198_1906
.LBB198_1885:
	s_mov_b64 s[0:1], -1
                                        ; implicit-def: $vgpr5
	s_branch .LBB198_1894
.LBB198_1886:
	s_mov_b64 s[0:1], -1
                                        ; implicit-def: $vgpr5
	s_branch .LBB198_1891
.LBB198_1887:
	s_mov_b64 s[0:1], -1
                                        ; implicit-def: $vgpr5
.LBB198_1888:
	s_andn2_b64 vcc, exec, s[0:1]
	s_cbranch_vccnz .LBB198_1890
; %bb.1889:
	global_load_dword v5, v[0:1], off
	s_movk_i32 s0, 0x7fff
	v_mov_b32_e32 v8, 0x7fc0
	s_waitcnt vmcnt(0)
	v_bfe_u32 v9, v5, 16, 1
	v_cmp_o_f32_e32 vcc, v5, v5
	v_add3_u32 v5, v5, v9, s0
	v_cndmask_b32_sdwa v5, v8, v5, vcc dst_sel:DWORD dst_unused:UNUSED_PAD src0_sel:DWORD src1_sel:WORD_1
.LBB198_1890:
	s_mov_b64 s[0:1], 0
.LBB198_1891:
	s_andn2_b64 vcc, exec, s[0:1]
	s_cbranch_vccnz .LBB198_1893
; %bb.1892:
	global_load_dword v5, v[0:1], off
	s_movk_i32 s0, 0x7fff
	v_mov_b32_e32 v9, 0x7fc0
	s_waitcnt vmcnt(0)
	v_cvt_f32_f16_e32 v8, v5
	v_cmp_o_f16_e32 vcc, v5, v5
	v_bfe_u32 v5, v8, 16, 1
	v_add3_u32 v5, v8, v5, s0
	v_cndmask_b32_sdwa v5, v9, v5, vcc dst_sel:DWORD dst_unused:UNUSED_PAD src0_sel:DWORD src1_sel:WORD_1
.LBB198_1893:
	s_mov_b64 s[0:1], 0
.LBB198_1894:
	s_andn2_b64 vcc, exec, s[0:1]
	s_cbranch_vccnz .LBB198_1905
; %bb.1895:
	s_cmp_lt_i32 s2, 6
	s_cbranch_scc1 .LBB198_1898
; %bb.1896:
	s_cmp_gt_i32 s2, 6
	s_cbranch_scc0 .LBB198_1899
; %bb.1897:
	global_load_dwordx2 v[8:9], v[0:1], off
	s_movk_i32 s0, 0x7fff
	s_waitcnt vmcnt(0)
	v_cvt_f32_f64_e32 v5, v[8:9]
	v_mov_b32_e32 v8, 0x7fc0
	v_bfe_u32 v9, v5, 16, 1
	v_cmp_o_f32_e32 vcc, v5, v5
	v_add3_u32 v5, v5, v9, s0
	v_cndmask_b32_sdwa v5, v8, v5, vcc dst_sel:DWORD dst_unused:UNUSED_PAD src0_sel:DWORD src1_sel:WORD_1
	s_mov_b64 s[0:1], 0
	s_branch .LBB198_1900
.LBB198_1898:
	s_mov_b64 s[0:1], -1
                                        ; implicit-def: $vgpr5
	s_branch .LBB198_1903
.LBB198_1899:
	s_mov_b64 s[0:1], -1
                                        ; implicit-def: $vgpr5
.LBB198_1900:
	s_andn2_b64 vcc, exec, s[0:1]
	s_cbranch_vccnz .LBB198_1902
; %bb.1901:
	global_load_dword v5, v[0:1], off
	s_movk_i32 s0, 0x7fff
	v_mov_b32_e32 v8, 0x7fc0
	s_waitcnt vmcnt(0)
	v_bfe_u32 v9, v5, 16, 1
	v_cmp_o_f32_e32 vcc, v5, v5
	v_add3_u32 v5, v5, v9, s0
	v_cndmask_b32_sdwa v5, v8, v5, vcc dst_sel:DWORD dst_unused:UNUSED_PAD src0_sel:DWORD src1_sel:WORD_1
.LBB198_1902:
	s_mov_b64 s[0:1], 0
.LBB198_1903:
	s_andn2_b64 vcc, exec, s[0:1]
	s_cbranch_vccnz .LBB198_1905
; %bb.1904:
	global_load_ushort v5, v[0:1], off
	s_movk_i32 s0, 0x7fff
	v_mov_b32_e32 v9, 0x7fc0
	s_waitcnt vmcnt(0)
	v_cvt_f32_f16_e32 v8, v5
	v_cmp_o_f16_e32 vcc, v5, v5
	v_bfe_u32 v5, v8, 16, 1
	v_add3_u32 v5, v8, v5, s0
	v_cndmask_b32_sdwa v5, v9, v5, vcc dst_sel:DWORD dst_unused:UNUSED_PAD src0_sel:DWORD src1_sel:WORD_1
.LBB198_1905:
	s_mov_b64 s[0:1], 0
.LBB198_1906:
	s_andn2_b64 vcc, exec, s[0:1]
	s_cbranch_vccnz .LBB198_1926
; %bb.1907:
	s_cmp_lt_i32 s2, 2
	s_cbranch_scc1 .LBB198_1911
; %bb.1908:
	s_cmp_lt_i32 s2, 3
	s_cbranch_scc1 .LBB198_1912
; %bb.1909:
	s_cmp_gt_i32 s2, 3
	s_cbranch_scc0 .LBB198_1913
; %bb.1910:
	global_load_dwordx2 v[8:9], v[0:1], off
	s_movk_i32 s0, 0x7fff
	s_waitcnt vmcnt(0)
	v_xor_b32_e32 v10, v8, v9
	v_ffbh_i32_e32 v5, v9
	v_ashrrev_i32_e32 v10, 31, v10
	v_add_u32_e32 v5, -1, v5
	v_add_u32_e32 v10, 32, v10
	v_min_u32_e32 v5, v5, v10
	v_lshlrev_b64 v[8:9], v5, v[8:9]
	v_sub_u32_e32 v5, 32, v5
	v_min_u32_e32 v8, 1, v8
	v_or_b32_e32 v8, v9, v8
	v_cvt_f32_i32_e32 v8, v8
	v_ldexp_f32 v5, v8, v5
	v_bfe_u32 v8, v5, 16, 1
	v_add3_u32 v5, v5, v8, s0
	v_lshrrev_b32_e32 v5, 16, v5
	s_mov_b64 s[0:1], 0
	s_branch .LBB198_1914
.LBB198_1911:
	s_mov_b64 s[0:1], -1
                                        ; implicit-def: $vgpr5
	s_branch .LBB198_1920
.LBB198_1912:
	s_mov_b64 s[0:1], -1
                                        ; implicit-def: $vgpr5
	s_branch .LBB198_1917
.LBB198_1913:
	s_mov_b64 s[0:1], -1
                                        ; implicit-def: $vgpr5
.LBB198_1914:
	s_andn2_b64 vcc, exec, s[0:1]
	s_cbranch_vccnz .LBB198_1916
; %bb.1915:
	global_load_dword v5, v[0:1], off
	s_movk_i32 s0, 0x7fff
	s_waitcnt vmcnt(0)
	v_cvt_f32_i32_e32 v5, v5
	v_bfe_u32 v8, v5, 16, 1
	v_add3_u32 v5, v5, v8, s0
	v_lshrrev_b32_e32 v5, 16, v5
.LBB198_1916:
	s_mov_b64 s[0:1], 0
.LBB198_1917:
	s_andn2_b64 vcc, exec, s[0:1]
	s_cbranch_vccnz .LBB198_1919
; %bb.1918:
	global_load_sshort v5, v[0:1], off
	s_movk_i32 s0, 0x7fff
	s_waitcnt vmcnt(0)
	v_cvt_f32_i32_e32 v5, v5
	v_bfe_u32 v8, v5, 16, 1
	v_add3_u32 v5, v5, v8, s0
	v_lshrrev_b32_e32 v5, 16, v5
.LBB198_1919:
	s_mov_b64 s[0:1], 0
.LBB198_1920:
	s_andn2_b64 vcc, exec, s[0:1]
	s_cbranch_vccnz .LBB198_1926
; %bb.1921:
	s_cmp_gt_i32 s2, 0
	s_cbranch_scc0 .LBB198_1923
; %bb.1922:
	global_load_sbyte v5, v[0:1], off
	s_movk_i32 s0, 0x7fff
	s_waitcnt vmcnt(0)
	v_cvt_f32_i32_e32 v5, v5
	v_bfe_u32 v8, v5, 16, 1
	v_add3_u32 v5, v5, v8, s0
	v_lshrrev_b32_e32 v5, 16, v5
	s_mov_b64 s[0:1], 0
	s_branch .LBB198_1924
.LBB198_1923:
	s_mov_b64 s[0:1], -1
                                        ; implicit-def: $vgpr5
.LBB198_1924:
	s_andn2_b64 vcc, exec, s[0:1]
	s_cbranch_vccnz .LBB198_1926
; %bb.1925:
	global_load_ubyte v0, v[0:1], off
	s_movk_i32 s0, 0x7fff
	s_waitcnt vmcnt(0)
	v_cvt_f32_ubyte0_e32 v0, v0
	v_bfe_u32 v1, v0, 16, 1
	v_add3_u32 v0, v0, v1, s0
	v_lshrrev_b32_e32 v5, 16, v0
.LBB198_1926:
.LBB198_1927:
	s_lshl_b32 s14, s14, 7
	v_add_u32_e32 v8, s14, v6
	v_ashrrev_i32_e32 v1, 31, v8
	v_mov_b32_e32 v6, s17
	v_add_co_u32_e32 v0, vcc, s16, v8
	s_cmp_lt_i32 s27, 11
	v_addc_co_u32_e32 v1, vcc, v6, v1, vcc
	s_cbranch_scc1 .LBB198_1934
; %bb.1928:
	s_and_b32 s28, 0xffff, s27
	s_cmp_gt_i32 s28, 25
	s_mov_b64 s[2:3], 0
	s_cbranch_scc0 .LBB198_1935
; %bb.1929:
	s_cmp_gt_i32 s28, 28
	s_cbranch_scc0 .LBB198_1936
; %bb.1930:
	s_cmp_gt_i32 s28, 43
	;; [unrolled: 3-line block ×3, first 2 shown]
	s_cbranch_scc0 .LBB198_1939
; %bb.1932:
	s_cmp_eq_u32 s28, 46
	s_mov_b64 s[6:7], 0
	s_cbranch_scc0 .LBB198_1940
; %bb.1933:
	global_load_dword v6, v[0:1], off
	s_mov_b64 s[0:1], 0
	s_mov_b64 s[4:5], -1
	s_branch .LBB198_1941
.LBB198_1934:
	s_mov_b64 s[0:1], -1
	s_mov_b64 s[4:5], 0
                                        ; implicit-def: $vgpr6
	s_branch .LBB198_2007
.LBB198_1935:
	s_mov_b64 s[6:7], -1
	s_mov_b64 s[4:5], 0
	s_mov_b64 s[0:1], 0
                                        ; implicit-def: $vgpr6
	s_branch .LBB198_1970
.LBB198_1936:
	s_mov_b64 s[6:7], -1
	s_mov_b64 s[4:5], 0
	s_mov_b64 s[0:1], 0
                                        ; implicit-def: $vgpr6
	s_branch .LBB198_1951
.LBB198_1937:
	s_mov_b64 s[6:7], -1
	s_mov_b64 s[4:5], 0
	s_mov_b64 s[0:1], 0
                                        ; implicit-def: $vgpr6
	s_branch .LBB198_1946
.LBB198_1938:
	s_trap 2
	s_or_b64 s[22:23], s[22:23], exec
	s_cbranch_execz .LBB198_1877
	s_branch .LBB198_1878
.LBB198_1939:
	s_mov_b64 s[6:7], -1
	s_mov_b64 s[4:5], 0
	s_mov_b64 s[0:1], 0
                                        ; implicit-def: $vgpr6
	s_branch .LBB198_1941
.LBB198_1940:
	s_mov_b64 s[0:1], -1
                                        ; implicit-def: $vgpr6
	s_mov_b64 s[4:5], 0
.LBB198_1941:
	s_and_b64 vcc, exec, s[6:7]
	s_cbranch_vccz .LBB198_1945
; %bb.1942:
	s_cmp_eq_u32 s28, 44
	s_cbranch_scc0 .LBB198_1944
; %bb.1943:
	global_load_ubyte v6, v[0:1], off
	s_movk_i32 s4, 0xff
	v_mov_b32_e32 v9, 0x7f800001
	v_mov_b32_e32 v10, 0x400000
	;; [unrolled: 1-line block ×3, first 2 shown]
	s_mov_b64 s[0:1], 0
	s_waitcnt vmcnt(0)
	v_lshlrev_b32_e32 v12, 23, v6
	v_cmp_ne_u32_e32 vcc, s4, v6
	v_cndmask_b32_e32 v9, v9, v12, vcc
	v_cmp_ne_u32_e32 vcc, 0, v6
	v_cndmask_b32_e32 v6, v10, v9, vcc
	v_add_u32_e32 v9, 0x7fff, v6
	v_cmp_o_f32_e32 vcc, v6, v6
	v_cndmask_b32_sdwa v6, v11, v9, vcc dst_sel:DWORD dst_unused:UNUSED_PAD src0_sel:DWORD src1_sel:WORD_1
	s_mov_b64 s[4:5], -1
	s_branch .LBB198_1945
.LBB198_1944:
	s_mov_b64 s[0:1], -1
                                        ; implicit-def: $vgpr6
.LBB198_1945:
	s_mov_b64 s[6:7], 0
.LBB198_1946:
	s_and_b64 vcc, exec, s[6:7]
	s_cbranch_vccz .LBB198_1950
; %bb.1947:
	s_cmp_eq_u32 s28, 29
	s_cbranch_scc0 .LBB198_1949
; %bb.1948:
	global_load_dwordx2 v[9:10], v[0:1], off
	s_movk_i32 s4, 0x7fff
	s_mov_b64 s[0:1], 0
	s_mov_b64 s[6:7], 0
	s_waitcnt vmcnt(0)
	v_ffbh_u32_e32 v6, v10
	v_min_u32_e32 v6, 32, v6
	v_lshlrev_b64 v[9:10], v6, v[9:10]
	v_sub_u32_e32 v6, 32, v6
	v_min_u32_e32 v9, 1, v9
	v_or_b32_e32 v9, v10, v9
	v_cvt_f32_u32_e32 v9, v9
	v_ldexp_f32 v6, v9, v6
	v_bfe_u32 v9, v6, 16, 1
	v_add3_u32 v6, v6, v9, s4
	v_lshrrev_b32_e32 v6, 16, v6
	s_mov_b64 s[4:5], -1
	s_branch .LBB198_1951
.LBB198_1949:
	s_mov_b64 s[0:1], -1
                                        ; implicit-def: $vgpr6
.LBB198_1950:
	s_mov_b64 s[6:7], 0
.LBB198_1951:
	s_and_b64 vcc, exec, s[6:7]
	s_cbranch_vccz .LBB198_1969
; %bb.1952:
	s_cmp_lt_i32 s28, 27
	s_cbranch_scc1 .LBB198_1955
; %bb.1953:
	s_cmp_gt_i32 s28, 27
	s_cbranch_scc0 .LBB198_1956
; %bb.1954:
	global_load_dword v6, v[0:1], off
	s_movk_i32 s4, 0x7fff
	s_waitcnt vmcnt(0)
	v_cvt_f32_u32_e32 v6, v6
	v_bfe_u32 v9, v6, 16, 1
	v_add3_u32 v6, v6, v9, s4
	v_lshrrev_b32_e32 v6, 16, v6
	s_mov_b64 s[4:5], 0
	s_branch .LBB198_1957
.LBB198_1955:
	s_mov_b64 s[4:5], -1
                                        ; implicit-def: $vgpr6
	s_branch .LBB198_1960
.LBB198_1956:
	s_mov_b64 s[4:5], -1
                                        ; implicit-def: $vgpr6
.LBB198_1957:
	s_andn2_b64 vcc, exec, s[4:5]
	s_cbranch_vccnz .LBB198_1959
; %bb.1958:
	global_load_ushort v6, v[0:1], off
	s_movk_i32 s4, 0x7fff
	s_waitcnt vmcnt(0)
	v_cvt_f32_u32_e32 v6, v6
	v_bfe_u32 v9, v6, 16, 1
	v_add3_u32 v6, v6, v9, s4
	v_lshrrev_b32_e32 v6, 16, v6
.LBB198_1959:
	s_mov_b64 s[4:5], 0
.LBB198_1960:
	s_andn2_b64 vcc, exec, s[4:5]
	s_cbranch_vccnz .LBB198_1968
; %bb.1961:
	global_load_ubyte v6, v[0:1], off
	s_movk_i32 s4, 0x7f
	s_waitcnt vmcnt(0)
	v_cmp_lt_i16_e32 vcc, s4, v6
	s_mov_b64 s[4:5], 0
	s_and_saveexec_b64 s[6:7], vcc
	s_xor_b64 s[6:7], exec, s[6:7]
	s_cbranch_execz .LBB198_1982
; %bb.1962:
	s_movk_i32 s4, 0x80
	v_cmp_eq_u16_e32 vcc, s4, v6
	s_mov_b64 s[4:5], -1
	s_and_saveexec_b64 s[24:25], vcc
; %bb.1963:
	s_xor_b64 s[4:5], exec, -1
; %bb.1964:
	s_or_b64 exec, exec, s[24:25]
	s_and_b64 s[4:5], s[4:5], exec
	s_or_saveexec_b64 s[6:7], s[6:7]
	v_mov_b32_e32 v9, 0x7f800001
	s_xor_b64 exec, exec, s[6:7]
	s_cbranch_execnz .LBB198_1983
.LBB198_1965:
	s_or_b64 exec, exec, s[6:7]
	s_and_saveexec_b64 s[6:7], s[4:5]
	s_cbranch_execz .LBB198_1967
.LBB198_1966:
	v_lshlrev_b32_e32 v9, 24, v6
	v_and_b32_e32 v6, 0xffff, v6
	v_and_b32_e32 v10, 7, v6
	v_ffbh_u32_e32 v12, v10
	v_min_u32_e32 v12, 32, v12
	v_subrev_u32_e32 v13, 28, v12
	v_bfe_u32 v11, v6, 3, 4
	v_lshlrev_b32_e32 v6, v13, v6
	v_sub_u32_e32 v12, 29, v12
	v_and_b32_e32 v6, 7, v6
	v_cmp_eq_u32_e32 vcc, 0, v11
	v_cndmask_b32_e32 v11, v11, v12, vcc
	v_cndmask_b32_e32 v6, v10, v6, vcc
	v_mov_b32_e32 v10, 0x3b800000
	v_lshlrev_b32_e32 v6, 20, v6
	v_and_b32_e32 v9, 0x80000000, v9
	v_lshl_add_u32 v10, v11, 23, v10
	v_or3_b32 v9, v9, v10, v6
.LBB198_1967:
	s_or_b64 exec, exec, s[6:7]
	v_bfe_u32 v6, v9, 16, 1
	s_movk_i32 s4, 0x7fff
	v_add3_u32 v6, v9, v6, s4
	v_cmp_o_f32_e32 vcc, v9, v9
	v_mov_b32_e32 v9, 0x7fc0
	v_cndmask_b32_sdwa v6, v9, v6, vcc dst_sel:DWORD dst_unused:UNUSED_PAD src0_sel:DWORD src1_sel:WORD_1
.LBB198_1968:
	s_mov_b64 s[4:5], -1
.LBB198_1969:
	s_mov_b64 s[6:7], 0
.LBB198_1970:
	s_and_b64 vcc, exec, s[6:7]
	s_cbranch_vccz .LBB198_2003
; %bb.1971:
	s_cmp_gt_i32 s28, 22
	s_cbranch_scc0 .LBB198_1981
; %bb.1972:
	s_cmp_lt_i32 s28, 24
	s_cbranch_scc1 .LBB198_1984
; %bb.1973:
	s_cmp_gt_i32 s28, 24
	s_cbranch_scc0 .LBB198_1985
; %bb.1974:
	global_load_ubyte v6, v[0:1], off
	s_movk_i32 s2, 0x7f
	s_waitcnt vmcnt(0)
	v_cmp_lt_i16_e32 vcc, s2, v6
	s_mov_b64 s[2:3], 0
	s_and_saveexec_b64 s[4:5], vcc
	s_xor_b64 s[4:5], exec, s[4:5]
	s_cbranch_execz .LBB198_1997
; %bb.1975:
	s_movk_i32 s2, 0x80
	v_cmp_eq_u16_e32 vcc, s2, v6
	s_mov_b64 s[2:3], -1
	s_and_saveexec_b64 s[6:7], vcc
; %bb.1976:
	s_xor_b64 s[2:3], exec, -1
; %bb.1977:
	s_or_b64 exec, exec, s[6:7]
	s_and_b64 s[2:3], s[2:3], exec
	s_or_saveexec_b64 s[4:5], s[4:5]
	v_mov_b32_e32 v9, 0x7f800001
	s_xor_b64 exec, exec, s[4:5]
	s_cbranch_execnz .LBB198_1998
.LBB198_1978:
	s_or_b64 exec, exec, s[4:5]
	s_and_saveexec_b64 s[4:5], s[2:3]
	s_cbranch_execz .LBB198_1980
.LBB198_1979:
	v_lshlrev_b32_e32 v9, 24, v6
	v_and_b32_e32 v6, 0xffff, v6
	v_and_b32_e32 v10, 3, v6
	v_ffbh_u32_e32 v12, v10
	v_min_u32_e32 v12, 32, v12
	v_subrev_u32_e32 v13, 29, v12
	v_bfe_u32 v11, v6, 2, 5
	v_lshlrev_b32_e32 v6, v13, v6
	v_sub_u32_e32 v12, 30, v12
	v_and_b32_e32 v6, 3, v6
	v_cmp_eq_u32_e32 vcc, 0, v11
	v_cndmask_b32_e32 v11, v11, v12, vcc
	v_cndmask_b32_e32 v6, v10, v6, vcc
	v_mov_b32_e32 v10, 0x37800000
	v_lshlrev_b32_e32 v6, 21, v6
	v_and_b32_e32 v9, 0x80000000, v9
	v_lshl_add_u32 v10, v11, 23, v10
	v_or3_b32 v9, v9, v10, v6
.LBB198_1980:
	s_or_b64 exec, exec, s[4:5]
	v_bfe_u32 v6, v9, 16, 1
	s_movk_i32 s2, 0x7fff
	v_add3_u32 v6, v9, v6, s2
	v_cmp_o_f32_e32 vcc, v9, v9
	v_mov_b32_e32 v9, 0x7fc0
	v_cndmask_b32_sdwa v6, v9, v6, vcc dst_sel:DWORD dst_unused:UNUSED_PAD src0_sel:DWORD src1_sel:WORD_1
	s_mov_b64 s[2:3], 0
	s_branch .LBB198_1986
.LBB198_1981:
	s_mov_b64 s[2:3], -1
                                        ; implicit-def: $vgpr6
	s_branch .LBB198_1992
.LBB198_1982:
	s_or_saveexec_b64 s[6:7], s[6:7]
	v_mov_b32_e32 v9, 0x7f800001
	s_xor_b64 exec, exec, s[6:7]
	s_cbranch_execz .LBB198_1965
.LBB198_1983:
	v_cmp_ne_u16_e32 vcc, 0, v6
	s_andn2_b64 s[4:5], s[4:5], exec
	s_and_b64 s[24:25], vcc, exec
	v_mov_b32_e32 v9, 0
	s_or_b64 s[4:5], s[4:5], s[24:25]
	s_or_b64 exec, exec, s[6:7]
	s_and_saveexec_b64 s[6:7], s[4:5]
	s_cbranch_execnz .LBB198_1966
	s_branch .LBB198_1967
.LBB198_1984:
	s_mov_b64 s[2:3], -1
                                        ; implicit-def: $vgpr6
	s_branch .LBB198_1989
.LBB198_1985:
	s_mov_b64 s[2:3], -1
                                        ; implicit-def: $vgpr6
.LBB198_1986:
	s_and_b64 vcc, exec, s[2:3]
	s_cbranch_vccz .LBB198_1988
; %bb.1987:
	global_load_ubyte v6, v[0:1], off
	s_mov_b32 s2, 0x7f800000
	s_brev_b32 s3, 1
	s_movk_i32 s4, 0x7fff
	s_waitcnt vmcnt(0)
	v_lshlrev_b32_e32 v6, 24, v6
	v_and_b32_e32 v9, 0x7f000000, v6
	v_ffbh_u32_e32 v10, v9
	v_min_u32_e32 v10, 32, v10
	v_sub_u32_e64 v10, v10, 4 clamp
	v_lshlrev_b32_e32 v12, v10, v9
	v_lshlrev_b32_e32 v10, 23, v10
	v_lshrrev_b32_e32 v12, 4, v12
	v_add_u32_e32 v11, 0x1000000, v9
	v_sub_u32_e32 v10, v12, v10
	v_ashrrev_i32_e32 v11, 8, v11
	v_add_u32_e32 v10, 0x3c000000, v10
	v_and_or_b32 v10, v11, s2, v10
	v_cmp_ne_u32_e32 vcc, 0, v9
	v_cndmask_b32_e32 v9, 0, v10, vcc
	v_and_or_b32 v6, v6, s3, v9
	v_bfe_u32 v9, v9, 16, 1
	v_add3_u32 v9, v6, v9, s4
	v_cmp_o_f32_e32 vcc, v6, v6
	v_mov_b32_e32 v6, 0x7fc0
	v_cndmask_b32_sdwa v6, v6, v9, vcc dst_sel:DWORD dst_unused:UNUSED_PAD src0_sel:DWORD src1_sel:WORD_1
.LBB198_1988:
	s_mov_b64 s[2:3], 0
.LBB198_1989:
	s_andn2_b64 vcc, exec, s[2:3]
	s_cbranch_vccnz .LBB198_1991
; %bb.1990:
	global_load_ubyte v6, v[0:1], off
	s_movk_i32 s2, 0x7f00
	s_brev_b32 s3, 16
	s_brev_b32 s4, 1
	s_movk_i32 s5, 0x7fff
	s_waitcnt vmcnt(0)
	v_lshlrev_b16_e32 v9, 8, v6
	v_lshlrev_b32_e32 v6, 25, v6
	v_lshrrev_b32_e32 v10, 4, v6
	v_and_or_b32 v11, v9, s2, 0.5
	v_or_b32_e32 v10, 0x70000000, v10
	v_add_f32_e32 v11, -0.5, v11
	v_mul_f32_e32 v10, 0x7800000, v10
	v_cmp_gt_u32_e32 vcc, s3, v6
	v_bfe_i32 v9, v9, 0, 16
	v_cndmask_b32_e32 v6, v10, v11, vcc
	v_and_or_b32 v9, v9, s4, v6
	v_bfe_u32 v6, v6, 16, 1
	v_add3_u32 v6, v9, v6, s5
	v_cmp_o_f32_e32 vcc, v9, v9
	v_mov_b32_e32 v9, 0x7fc0
	v_cndmask_b32_sdwa v6, v9, v6, vcc dst_sel:DWORD dst_unused:UNUSED_PAD src0_sel:DWORD src1_sel:WORD_1
.LBB198_1991:
	s_mov_b64 s[2:3], 0
	s_mov_b64 s[4:5], -1
.LBB198_1992:
	s_andn2_b64 vcc, exec, s[2:3]
	s_mov_b64 s[2:3], 0
	s_cbranch_vccnz .LBB198_2003
; %bb.1993:
	s_cmp_gt_i32 s28, 14
	s_cbranch_scc0 .LBB198_1996
; %bb.1994:
	s_cmp_eq_u32 s28, 15
	s_cbranch_scc0 .LBB198_1999
; %bb.1995:
	global_load_ushort v6, v[0:1], off
	s_mov_b64 s[0:1], 0
	s_mov_b64 s[4:5], -1
	s_branch .LBB198_2000
.LBB198_1996:
	s_mov_b64 s[6:7], -1
                                        ; implicit-def: $vgpr6
	s_branch .LBB198_2001
.LBB198_1997:
	s_or_saveexec_b64 s[4:5], s[4:5]
	v_mov_b32_e32 v9, 0x7f800001
	s_xor_b64 exec, exec, s[4:5]
	s_cbranch_execz .LBB198_1978
.LBB198_1998:
	v_cmp_ne_u16_e32 vcc, 0, v6
	s_andn2_b64 s[2:3], s[2:3], exec
	s_and_b64 s[6:7], vcc, exec
	v_mov_b32_e32 v9, 0
	s_or_b64 s[2:3], s[2:3], s[6:7]
	s_or_b64 exec, exec, s[4:5]
	s_and_saveexec_b64 s[4:5], s[2:3]
	s_cbranch_execnz .LBB198_1979
	s_branch .LBB198_1980
.LBB198_1999:
	s_mov_b64 s[0:1], -1
                                        ; implicit-def: $vgpr6
.LBB198_2000:
	s_mov_b64 s[6:7], 0
.LBB198_2001:
	s_and_b64 vcc, exec, s[6:7]
	s_cbranch_vccz .LBB198_2003
; %bb.2002:
	s_cmp_lg_u32 s28, 11
	s_mov_b64 s[2:3], -1
	s_cselect_b64 s[0:1], -1, 0
.LBB198_2003:
	s_and_b64 vcc, exec, s[0:1]
	s_cbranch_vccnz .LBB198_2068
; %bb.2004:
	s_andn2_b64 vcc, exec, s[2:3]
	s_cbranch_vccnz .LBB198_2006
.LBB198_2005:
	global_load_ubyte v6, v[0:1], off
	s_mov_b64 s[4:5], -1
	s_waitcnt vmcnt(0)
	v_cmp_ne_u16_e32 vcc, 0, v6
	v_cndmask_b32_e64 v6, 0, 1.0, vcc
	v_lshrrev_b32_e32 v6, 16, v6
.LBB198_2006:
	s_mov_b64 s[0:1], 0
.LBB198_2007:
	s_and_b64 vcc, exec, s[0:1]
	s_cbranch_vccz .LBB198_2056
; %bb.2008:
	s_and_b32 s2, 0xffff, s27
	s_cmp_lt_i32 s2, 5
	s_cbranch_scc1 .LBB198_2013
; %bb.2009:
	s_cmp_lt_i32 s2, 8
	s_cbranch_scc1 .LBB198_2014
; %bb.2010:
	;; [unrolled: 3-line block ×3, first 2 shown]
	s_cmp_gt_i32 s2, 9
	s_cbranch_scc0 .LBB198_2016
; %bb.2012:
	global_load_dwordx2 v[9:10], v[0:1], off
	s_movk_i32 s0, 0x7fff
	s_waitcnt vmcnt(0)
	v_cvt_f32_f64_e32 v6, v[9:10]
	v_mov_b32_e32 v9, 0x7fc0
	v_bfe_u32 v10, v6, 16, 1
	v_cmp_o_f32_e32 vcc, v6, v6
	v_add3_u32 v6, v6, v10, s0
	v_cndmask_b32_sdwa v6, v9, v6, vcc dst_sel:DWORD dst_unused:UNUSED_PAD src0_sel:DWORD src1_sel:WORD_1
	s_mov_b64 s[0:1], 0
	s_branch .LBB198_2017
.LBB198_2013:
	s_mov_b64 s[0:1], -1
                                        ; implicit-def: $vgpr6
	s_branch .LBB198_2035
.LBB198_2014:
	s_mov_b64 s[0:1], -1
                                        ; implicit-def: $vgpr6
	s_branch .LBB198_2023
.LBB198_2015:
	s_mov_b64 s[0:1], -1
                                        ; implicit-def: $vgpr6
	s_branch .LBB198_2020
.LBB198_2016:
	s_mov_b64 s[0:1], -1
                                        ; implicit-def: $vgpr6
.LBB198_2017:
	s_andn2_b64 vcc, exec, s[0:1]
	s_cbranch_vccnz .LBB198_2019
; %bb.2018:
	global_load_dword v6, v[0:1], off
	s_movk_i32 s0, 0x7fff
	v_mov_b32_e32 v9, 0x7fc0
	s_waitcnt vmcnt(0)
	v_bfe_u32 v10, v6, 16, 1
	v_cmp_o_f32_e32 vcc, v6, v6
	v_add3_u32 v6, v6, v10, s0
	v_cndmask_b32_sdwa v6, v9, v6, vcc dst_sel:DWORD dst_unused:UNUSED_PAD src0_sel:DWORD src1_sel:WORD_1
.LBB198_2019:
	s_mov_b64 s[0:1], 0
.LBB198_2020:
	s_andn2_b64 vcc, exec, s[0:1]
	s_cbranch_vccnz .LBB198_2022
; %bb.2021:
	global_load_dword v6, v[0:1], off
	s_movk_i32 s0, 0x7fff
	v_mov_b32_e32 v10, 0x7fc0
	s_waitcnt vmcnt(0)
	v_cvt_f32_f16_e32 v9, v6
	v_cmp_o_f16_e32 vcc, v6, v6
	v_bfe_u32 v6, v9, 16, 1
	v_add3_u32 v6, v9, v6, s0
	v_cndmask_b32_sdwa v6, v10, v6, vcc dst_sel:DWORD dst_unused:UNUSED_PAD src0_sel:DWORD src1_sel:WORD_1
.LBB198_2022:
	s_mov_b64 s[0:1], 0
.LBB198_2023:
	s_andn2_b64 vcc, exec, s[0:1]
	s_cbranch_vccnz .LBB198_2034
; %bb.2024:
	s_cmp_lt_i32 s2, 6
	s_cbranch_scc1 .LBB198_2027
; %bb.2025:
	s_cmp_gt_i32 s2, 6
	s_cbranch_scc0 .LBB198_2028
; %bb.2026:
	global_load_dwordx2 v[9:10], v[0:1], off
	s_movk_i32 s0, 0x7fff
	s_waitcnt vmcnt(0)
	v_cvt_f32_f64_e32 v6, v[9:10]
	v_mov_b32_e32 v9, 0x7fc0
	v_bfe_u32 v10, v6, 16, 1
	v_cmp_o_f32_e32 vcc, v6, v6
	v_add3_u32 v6, v6, v10, s0
	v_cndmask_b32_sdwa v6, v9, v6, vcc dst_sel:DWORD dst_unused:UNUSED_PAD src0_sel:DWORD src1_sel:WORD_1
	s_mov_b64 s[0:1], 0
	s_branch .LBB198_2029
.LBB198_2027:
	s_mov_b64 s[0:1], -1
                                        ; implicit-def: $vgpr6
	s_branch .LBB198_2032
.LBB198_2028:
	s_mov_b64 s[0:1], -1
                                        ; implicit-def: $vgpr6
.LBB198_2029:
	s_andn2_b64 vcc, exec, s[0:1]
	s_cbranch_vccnz .LBB198_2031
; %bb.2030:
	global_load_dword v6, v[0:1], off
	s_movk_i32 s0, 0x7fff
	v_mov_b32_e32 v9, 0x7fc0
	s_waitcnt vmcnt(0)
	v_bfe_u32 v10, v6, 16, 1
	v_cmp_o_f32_e32 vcc, v6, v6
	v_add3_u32 v6, v6, v10, s0
	v_cndmask_b32_sdwa v6, v9, v6, vcc dst_sel:DWORD dst_unused:UNUSED_PAD src0_sel:DWORD src1_sel:WORD_1
.LBB198_2031:
	s_mov_b64 s[0:1], 0
.LBB198_2032:
	s_andn2_b64 vcc, exec, s[0:1]
	s_cbranch_vccnz .LBB198_2034
; %bb.2033:
	global_load_ushort v6, v[0:1], off
	s_movk_i32 s0, 0x7fff
	v_mov_b32_e32 v10, 0x7fc0
	s_waitcnt vmcnt(0)
	v_cvt_f32_f16_e32 v9, v6
	v_cmp_o_f16_e32 vcc, v6, v6
	v_bfe_u32 v6, v9, 16, 1
	v_add3_u32 v6, v9, v6, s0
	v_cndmask_b32_sdwa v6, v10, v6, vcc dst_sel:DWORD dst_unused:UNUSED_PAD src0_sel:DWORD src1_sel:WORD_1
.LBB198_2034:
	s_mov_b64 s[0:1], 0
.LBB198_2035:
	s_andn2_b64 vcc, exec, s[0:1]
	s_cbranch_vccnz .LBB198_2055
; %bb.2036:
	s_cmp_lt_i32 s2, 2
	s_cbranch_scc1 .LBB198_2040
; %bb.2037:
	s_cmp_lt_i32 s2, 3
	s_cbranch_scc1 .LBB198_2041
; %bb.2038:
	s_cmp_gt_i32 s2, 3
	s_cbranch_scc0 .LBB198_2042
; %bb.2039:
	global_load_dwordx2 v[9:10], v[0:1], off
	s_movk_i32 s0, 0x7fff
	s_waitcnt vmcnt(0)
	v_xor_b32_e32 v11, v9, v10
	v_ffbh_i32_e32 v6, v10
	v_ashrrev_i32_e32 v11, 31, v11
	v_add_u32_e32 v6, -1, v6
	v_add_u32_e32 v11, 32, v11
	v_min_u32_e32 v6, v6, v11
	v_lshlrev_b64 v[9:10], v6, v[9:10]
	v_sub_u32_e32 v6, 32, v6
	v_min_u32_e32 v9, 1, v9
	v_or_b32_e32 v9, v10, v9
	v_cvt_f32_i32_e32 v9, v9
	v_ldexp_f32 v6, v9, v6
	v_bfe_u32 v9, v6, 16, 1
	v_add3_u32 v6, v6, v9, s0
	v_lshrrev_b32_e32 v6, 16, v6
	s_mov_b64 s[0:1], 0
	s_branch .LBB198_2043
.LBB198_2040:
	s_mov_b64 s[0:1], -1
                                        ; implicit-def: $vgpr6
	s_branch .LBB198_2049
.LBB198_2041:
	s_mov_b64 s[0:1], -1
                                        ; implicit-def: $vgpr6
	s_branch .LBB198_2046
.LBB198_2042:
	s_mov_b64 s[0:1], -1
                                        ; implicit-def: $vgpr6
.LBB198_2043:
	s_andn2_b64 vcc, exec, s[0:1]
	s_cbranch_vccnz .LBB198_2045
; %bb.2044:
	global_load_dword v6, v[0:1], off
	s_movk_i32 s0, 0x7fff
	s_waitcnt vmcnt(0)
	v_cvt_f32_i32_e32 v6, v6
	v_bfe_u32 v9, v6, 16, 1
	v_add3_u32 v6, v6, v9, s0
	v_lshrrev_b32_e32 v6, 16, v6
.LBB198_2045:
	s_mov_b64 s[0:1], 0
.LBB198_2046:
	s_andn2_b64 vcc, exec, s[0:1]
	s_cbranch_vccnz .LBB198_2048
; %bb.2047:
	global_load_sshort v6, v[0:1], off
	s_movk_i32 s0, 0x7fff
	s_waitcnt vmcnt(0)
	v_cvt_f32_i32_e32 v6, v6
	v_bfe_u32 v9, v6, 16, 1
	v_add3_u32 v6, v6, v9, s0
	v_lshrrev_b32_e32 v6, 16, v6
.LBB198_2048:
	s_mov_b64 s[0:1], 0
.LBB198_2049:
	s_andn2_b64 vcc, exec, s[0:1]
	s_cbranch_vccnz .LBB198_2055
; %bb.2050:
	s_cmp_gt_i32 s2, 0
	s_cbranch_scc0 .LBB198_2052
; %bb.2051:
	global_load_sbyte v6, v[0:1], off
	s_movk_i32 s0, 0x7fff
	s_waitcnt vmcnt(0)
	v_cvt_f32_i32_e32 v6, v6
	v_bfe_u32 v9, v6, 16, 1
	v_add3_u32 v6, v6, v9, s0
	v_lshrrev_b32_e32 v6, 16, v6
	s_mov_b64 s[0:1], 0
	s_branch .LBB198_2053
.LBB198_2052:
	s_mov_b64 s[0:1], -1
                                        ; implicit-def: $vgpr6
.LBB198_2053:
	s_andn2_b64 vcc, exec, s[0:1]
	s_cbranch_vccnz .LBB198_2055
; %bb.2054:
	global_load_ubyte v0, v[0:1], off
	s_movk_i32 s0, 0x7fff
	s_waitcnt vmcnt(0)
	v_cvt_f32_ubyte0_e32 v0, v0
	v_bfe_u32 v1, v0, 16, 1
	v_add3_u32 v0, v0, v1, s0
	v_lshrrev_b32_e32 v6, 16, v0
.LBB198_2055:
	s_mov_b64 s[4:5], -1
.LBB198_2056:
	s_andn2_b64 vcc, exec, s[4:5]
	s_cbranch_vccnz .LBB198_3012
; %bb.2057:
	v_add_u32_e32 v9, s13, v7
	v_ashrrev_i32_e32 v1, 31, v9
	v_mov_b32_e32 v7, s11
	v_add_co_u32_e32 v0, vcc, s10, v9
	s_cmp_lt_i32 s26, 11
	v_addc_co_u32_e32 v1, vcc, v7, v1, vcc
	s_cbranch_scc1 .LBB198_2064
; %bb.2058:
	s_and_b32 s28, 0xffff, s26
	s_cmp_gt_i32 s28, 25
	s_mov_b64 s[2:3], 0
	s_cbranch_scc0 .LBB198_2065
; %bb.2059:
	s_cmp_gt_i32 s28, 28
	s_cbranch_scc0 .LBB198_2066
; %bb.2060:
	s_cmp_gt_i32 s28, 43
	;; [unrolled: 3-line block ×3, first 2 shown]
	s_cbranch_scc0 .LBB198_2069
; %bb.2062:
	s_cmp_eq_u32 s28, 46
	s_mov_b64 s[6:7], 0
	s_cbranch_scc0 .LBB198_2070
; %bb.2063:
	global_load_dword v7, v[0:1], off
	s_mov_b64 s[0:1], 0
	s_mov_b64 s[4:5], -1
	s_branch .LBB198_2071
.LBB198_2064:
	s_mov_b64 s[0:1], -1
	s_mov_b64 s[4:5], 0
                                        ; implicit-def: $vgpr7
	s_branch .LBB198_2137
.LBB198_2065:
	s_mov_b64 s[6:7], -1
	s_mov_b64 s[4:5], 0
	s_mov_b64 s[0:1], 0
                                        ; implicit-def: $vgpr7
	s_branch .LBB198_2100
.LBB198_2066:
	s_mov_b64 s[6:7], -1
	s_mov_b64 s[4:5], 0
	s_mov_b64 s[0:1], 0
                                        ; implicit-def: $vgpr7
	s_branch .LBB198_2081
.LBB198_2067:
	s_mov_b64 s[6:7], -1
	s_mov_b64 s[4:5], 0
	s_mov_b64 s[0:1], 0
                                        ; implicit-def: $vgpr7
	s_branch .LBB198_2076
.LBB198_2068:
	s_trap 2
	s_or_b64 s[22:23], s[22:23], exec
	s_cbranch_execz .LBB198_2005
	s_branch .LBB198_2006
.LBB198_2069:
	s_mov_b64 s[6:7], -1
	s_mov_b64 s[4:5], 0
	s_mov_b64 s[0:1], 0
                                        ; implicit-def: $vgpr7
	s_branch .LBB198_2071
.LBB198_2070:
	s_mov_b64 s[0:1], -1
                                        ; implicit-def: $vgpr7
	s_mov_b64 s[4:5], 0
.LBB198_2071:
	s_and_b64 vcc, exec, s[6:7]
	s_cbranch_vccz .LBB198_2075
; %bb.2072:
	s_cmp_eq_u32 s28, 44
	s_cbranch_scc0 .LBB198_2074
; %bb.2073:
	global_load_ubyte v7, v[0:1], off
	s_movk_i32 s4, 0xff
	v_mov_b32_e32 v10, 0x7f800001
	v_mov_b32_e32 v11, 0x400000
	;; [unrolled: 1-line block ×3, first 2 shown]
	s_mov_b64 s[0:1], 0
	s_waitcnt vmcnt(0)
	v_lshlrev_b32_e32 v13, 23, v7
	v_cmp_ne_u32_e32 vcc, s4, v7
	v_cndmask_b32_e32 v10, v10, v13, vcc
	v_cmp_ne_u32_e32 vcc, 0, v7
	v_cndmask_b32_e32 v7, v11, v10, vcc
	v_add_u32_e32 v10, 0x7fff, v7
	v_cmp_o_f32_e32 vcc, v7, v7
	v_cndmask_b32_sdwa v7, v12, v10, vcc dst_sel:DWORD dst_unused:UNUSED_PAD src0_sel:DWORD src1_sel:WORD_1
	s_mov_b64 s[4:5], -1
	s_branch .LBB198_2075
.LBB198_2074:
	s_mov_b64 s[0:1], -1
                                        ; implicit-def: $vgpr7
.LBB198_2075:
	s_mov_b64 s[6:7], 0
.LBB198_2076:
	s_and_b64 vcc, exec, s[6:7]
	s_cbranch_vccz .LBB198_2080
; %bb.2077:
	s_cmp_eq_u32 s28, 29
	s_cbranch_scc0 .LBB198_2079
; %bb.2078:
	global_load_dwordx2 v[10:11], v[0:1], off
	s_movk_i32 s4, 0x7fff
	s_mov_b64 s[0:1], 0
	s_mov_b64 s[6:7], 0
	s_waitcnt vmcnt(0)
	v_ffbh_u32_e32 v7, v11
	v_min_u32_e32 v7, 32, v7
	v_lshlrev_b64 v[10:11], v7, v[10:11]
	v_sub_u32_e32 v7, 32, v7
	v_min_u32_e32 v10, 1, v10
	v_or_b32_e32 v10, v11, v10
	v_cvt_f32_u32_e32 v10, v10
	v_ldexp_f32 v7, v10, v7
	v_bfe_u32 v10, v7, 16, 1
	v_add3_u32 v7, v7, v10, s4
	v_lshrrev_b32_e32 v7, 16, v7
	s_mov_b64 s[4:5], -1
	s_branch .LBB198_2081
.LBB198_2079:
	s_mov_b64 s[0:1], -1
                                        ; implicit-def: $vgpr7
.LBB198_2080:
	s_mov_b64 s[6:7], 0
.LBB198_2081:
	s_and_b64 vcc, exec, s[6:7]
	s_cbranch_vccz .LBB198_2099
; %bb.2082:
	s_cmp_lt_i32 s28, 27
	s_cbranch_scc1 .LBB198_2085
; %bb.2083:
	s_cmp_gt_i32 s28, 27
	s_cbranch_scc0 .LBB198_2086
; %bb.2084:
	global_load_dword v7, v[0:1], off
	s_movk_i32 s4, 0x7fff
	s_waitcnt vmcnt(0)
	v_cvt_f32_u32_e32 v7, v7
	v_bfe_u32 v10, v7, 16, 1
	v_add3_u32 v7, v7, v10, s4
	v_lshrrev_b32_e32 v7, 16, v7
	s_mov_b64 s[4:5], 0
	s_branch .LBB198_2087
.LBB198_2085:
	s_mov_b64 s[4:5], -1
                                        ; implicit-def: $vgpr7
	s_branch .LBB198_2090
.LBB198_2086:
	s_mov_b64 s[4:5], -1
                                        ; implicit-def: $vgpr7
.LBB198_2087:
	s_andn2_b64 vcc, exec, s[4:5]
	s_cbranch_vccnz .LBB198_2089
; %bb.2088:
	global_load_ushort v7, v[0:1], off
	s_movk_i32 s4, 0x7fff
	s_waitcnt vmcnt(0)
	v_cvt_f32_u32_e32 v7, v7
	v_bfe_u32 v10, v7, 16, 1
	v_add3_u32 v7, v7, v10, s4
	v_lshrrev_b32_e32 v7, 16, v7
.LBB198_2089:
	s_mov_b64 s[4:5], 0
.LBB198_2090:
	s_andn2_b64 vcc, exec, s[4:5]
	s_cbranch_vccnz .LBB198_2098
; %bb.2091:
	global_load_ubyte v7, v[0:1], off
	s_movk_i32 s4, 0x7f
	s_waitcnt vmcnt(0)
	v_cmp_lt_i16_e32 vcc, s4, v7
	s_mov_b64 s[4:5], 0
	s_and_saveexec_b64 s[6:7], vcc
	s_xor_b64 s[6:7], exec, s[6:7]
	s_cbranch_execz .LBB198_2112
; %bb.2092:
	s_movk_i32 s4, 0x80
	v_cmp_eq_u16_e32 vcc, s4, v7
	s_mov_b64 s[4:5], -1
	s_and_saveexec_b64 s[24:25], vcc
; %bb.2093:
	s_xor_b64 s[4:5], exec, -1
; %bb.2094:
	s_or_b64 exec, exec, s[24:25]
	s_and_b64 s[4:5], s[4:5], exec
	s_or_saveexec_b64 s[6:7], s[6:7]
	v_mov_b32_e32 v10, 0x7f800001
	s_xor_b64 exec, exec, s[6:7]
	s_cbranch_execnz .LBB198_2113
.LBB198_2095:
	s_or_b64 exec, exec, s[6:7]
	s_and_saveexec_b64 s[6:7], s[4:5]
	s_cbranch_execz .LBB198_2097
.LBB198_2096:
	v_lshlrev_b32_e32 v10, 24, v7
	v_and_b32_e32 v7, 0xffff, v7
	v_and_b32_e32 v11, 7, v7
	v_ffbh_u32_e32 v13, v11
	v_min_u32_e32 v13, 32, v13
	v_subrev_u32_e32 v14, 28, v13
	v_bfe_u32 v12, v7, 3, 4
	v_lshlrev_b32_e32 v7, v14, v7
	v_sub_u32_e32 v13, 29, v13
	v_and_b32_e32 v7, 7, v7
	v_cmp_eq_u32_e32 vcc, 0, v12
	v_cndmask_b32_e32 v12, v12, v13, vcc
	v_cndmask_b32_e32 v7, v11, v7, vcc
	v_mov_b32_e32 v11, 0x3b800000
	v_lshlrev_b32_e32 v7, 20, v7
	v_and_b32_e32 v10, 0x80000000, v10
	v_lshl_add_u32 v11, v12, 23, v11
	v_or3_b32 v10, v10, v11, v7
.LBB198_2097:
	s_or_b64 exec, exec, s[6:7]
	v_bfe_u32 v7, v10, 16, 1
	s_movk_i32 s4, 0x7fff
	v_add3_u32 v7, v10, v7, s4
	v_cmp_o_f32_e32 vcc, v10, v10
	v_mov_b32_e32 v10, 0x7fc0
	v_cndmask_b32_sdwa v7, v10, v7, vcc dst_sel:DWORD dst_unused:UNUSED_PAD src0_sel:DWORD src1_sel:WORD_1
.LBB198_2098:
	s_mov_b64 s[4:5], -1
.LBB198_2099:
	s_mov_b64 s[6:7], 0
.LBB198_2100:
	s_and_b64 vcc, exec, s[6:7]
	s_cbranch_vccz .LBB198_2133
; %bb.2101:
	s_cmp_gt_i32 s28, 22
	s_cbranch_scc0 .LBB198_2111
; %bb.2102:
	s_cmp_lt_i32 s28, 24
	s_cbranch_scc1 .LBB198_2114
; %bb.2103:
	s_cmp_gt_i32 s28, 24
	s_cbranch_scc0 .LBB198_2115
; %bb.2104:
	global_load_ubyte v7, v[0:1], off
	s_movk_i32 s2, 0x7f
	s_waitcnt vmcnt(0)
	v_cmp_lt_i16_e32 vcc, s2, v7
	s_mov_b64 s[2:3], 0
	s_and_saveexec_b64 s[4:5], vcc
	s_xor_b64 s[4:5], exec, s[4:5]
	s_cbranch_execz .LBB198_2127
; %bb.2105:
	s_movk_i32 s2, 0x80
	v_cmp_eq_u16_e32 vcc, s2, v7
	s_mov_b64 s[2:3], -1
	s_and_saveexec_b64 s[6:7], vcc
; %bb.2106:
	s_xor_b64 s[2:3], exec, -1
; %bb.2107:
	s_or_b64 exec, exec, s[6:7]
	s_and_b64 s[2:3], s[2:3], exec
	s_or_saveexec_b64 s[4:5], s[4:5]
	v_mov_b32_e32 v10, 0x7f800001
	s_xor_b64 exec, exec, s[4:5]
	s_cbranch_execnz .LBB198_2128
.LBB198_2108:
	s_or_b64 exec, exec, s[4:5]
	s_and_saveexec_b64 s[4:5], s[2:3]
	s_cbranch_execz .LBB198_2110
.LBB198_2109:
	v_lshlrev_b32_e32 v10, 24, v7
	v_and_b32_e32 v7, 0xffff, v7
	v_and_b32_e32 v11, 3, v7
	v_ffbh_u32_e32 v13, v11
	v_min_u32_e32 v13, 32, v13
	v_subrev_u32_e32 v14, 29, v13
	v_bfe_u32 v12, v7, 2, 5
	v_lshlrev_b32_e32 v7, v14, v7
	v_sub_u32_e32 v13, 30, v13
	v_and_b32_e32 v7, 3, v7
	v_cmp_eq_u32_e32 vcc, 0, v12
	v_cndmask_b32_e32 v12, v12, v13, vcc
	v_cndmask_b32_e32 v7, v11, v7, vcc
	v_mov_b32_e32 v11, 0x37800000
	v_lshlrev_b32_e32 v7, 21, v7
	v_and_b32_e32 v10, 0x80000000, v10
	v_lshl_add_u32 v11, v12, 23, v11
	v_or3_b32 v10, v10, v11, v7
.LBB198_2110:
	s_or_b64 exec, exec, s[4:5]
	v_bfe_u32 v7, v10, 16, 1
	s_movk_i32 s2, 0x7fff
	v_add3_u32 v7, v10, v7, s2
	v_cmp_o_f32_e32 vcc, v10, v10
	v_mov_b32_e32 v10, 0x7fc0
	v_cndmask_b32_sdwa v7, v10, v7, vcc dst_sel:DWORD dst_unused:UNUSED_PAD src0_sel:DWORD src1_sel:WORD_1
	s_mov_b64 s[2:3], 0
	s_branch .LBB198_2116
.LBB198_2111:
	s_mov_b64 s[2:3], -1
                                        ; implicit-def: $vgpr7
	s_branch .LBB198_2122
.LBB198_2112:
	s_or_saveexec_b64 s[6:7], s[6:7]
	v_mov_b32_e32 v10, 0x7f800001
	s_xor_b64 exec, exec, s[6:7]
	s_cbranch_execz .LBB198_2095
.LBB198_2113:
	v_cmp_ne_u16_e32 vcc, 0, v7
	s_andn2_b64 s[4:5], s[4:5], exec
	s_and_b64 s[24:25], vcc, exec
	v_mov_b32_e32 v10, 0
	s_or_b64 s[4:5], s[4:5], s[24:25]
	s_or_b64 exec, exec, s[6:7]
	s_and_saveexec_b64 s[6:7], s[4:5]
	s_cbranch_execnz .LBB198_2096
	s_branch .LBB198_2097
.LBB198_2114:
	s_mov_b64 s[2:3], -1
                                        ; implicit-def: $vgpr7
	s_branch .LBB198_2119
.LBB198_2115:
	s_mov_b64 s[2:3], -1
                                        ; implicit-def: $vgpr7
.LBB198_2116:
	s_and_b64 vcc, exec, s[2:3]
	s_cbranch_vccz .LBB198_2118
; %bb.2117:
	global_load_ubyte v7, v[0:1], off
	s_mov_b32 s2, 0x7f800000
	s_brev_b32 s3, 1
	s_movk_i32 s4, 0x7fff
	s_waitcnt vmcnt(0)
	v_lshlrev_b32_e32 v7, 24, v7
	v_and_b32_e32 v10, 0x7f000000, v7
	v_ffbh_u32_e32 v11, v10
	v_min_u32_e32 v11, 32, v11
	v_sub_u32_e64 v11, v11, 4 clamp
	v_lshlrev_b32_e32 v13, v11, v10
	v_lshlrev_b32_e32 v11, 23, v11
	v_lshrrev_b32_e32 v13, 4, v13
	v_add_u32_e32 v12, 0x1000000, v10
	v_sub_u32_e32 v11, v13, v11
	v_ashrrev_i32_e32 v12, 8, v12
	v_add_u32_e32 v11, 0x3c000000, v11
	v_and_or_b32 v11, v12, s2, v11
	v_cmp_ne_u32_e32 vcc, 0, v10
	v_cndmask_b32_e32 v10, 0, v11, vcc
	v_and_or_b32 v7, v7, s3, v10
	v_bfe_u32 v10, v10, 16, 1
	v_add3_u32 v10, v7, v10, s4
	v_cmp_o_f32_e32 vcc, v7, v7
	v_mov_b32_e32 v7, 0x7fc0
	v_cndmask_b32_sdwa v7, v7, v10, vcc dst_sel:DWORD dst_unused:UNUSED_PAD src0_sel:DWORD src1_sel:WORD_1
.LBB198_2118:
	s_mov_b64 s[2:3], 0
.LBB198_2119:
	s_andn2_b64 vcc, exec, s[2:3]
	s_cbranch_vccnz .LBB198_2121
; %bb.2120:
	global_load_ubyte v7, v[0:1], off
	s_movk_i32 s2, 0x7f00
	s_brev_b32 s3, 16
	s_brev_b32 s4, 1
	s_movk_i32 s5, 0x7fff
	s_waitcnt vmcnt(0)
	v_lshlrev_b16_e32 v10, 8, v7
	v_lshlrev_b32_e32 v7, 25, v7
	v_lshrrev_b32_e32 v11, 4, v7
	v_and_or_b32 v12, v10, s2, 0.5
	v_or_b32_e32 v11, 0x70000000, v11
	v_add_f32_e32 v12, -0.5, v12
	v_mul_f32_e32 v11, 0x7800000, v11
	v_cmp_gt_u32_e32 vcc, s3, v7
	v_bfe_i32 v10, v10, 0, 16
	v_cndmask_b32_e32 v7, v11, v12, vcc
	v_and_or_b32 v10, v10, s4, v7
	v_bfe_u32 v7, v7, 16, 1
	v_add3_u32 v7, v10, v7, s5
	v_cmp_o_f32_e32 vcc, v10, v10
	v_mov_b32_e32 v10, 0x7fc0
	v_cndmask_b32_sdwa v7, v10, v7, vcc dst_sel:DWORD dst_unused:UNUSED_PAD src0_sel:DWORD src1_sel:WORD_1
.LBB198_2121:
	s_mov_b64 s[2:3], 0
	s_mov_b64 s[4:5], -1
.LBB198_2122:
	s_andn2_b64 vcc, exec, s[2:3]
	s_mov_b64 s[2:3], 0
	s_cbranch_vccnz .LBB198_2133
; %bb.2123:
	s_cmp_gt_i32 s28, 14
	s_cbranch_scc0 .LBB198_2126
; %bb.2124:
	s_cmp_eq_u32 s28, 15
	s_cbranch_scc0 .LBB198_2129
; %bb.2125:
	global_load_ushort v7, v[0:1], off
	s_mov_b64 s[0:1], 0
	s_mov_b64 s[4:5], -1
	s_branch .LBB198_2130
.LBB198_2126:
	s_mov_b64 s[6:7], -1
                                        ; implicit-def: $vgpr7
	s_branch .LBB198_2131
.LBB198_2127:
	s_or_saveexec_b64 s[4:5], s[4:5]
	v_mov_b32_e32 v10, 0x7f800001
	s_xor_b64 exec, exec, s[4:5]
	s_cbranch_execz .LBB198_2108
.LBB198_2128:
	v_cmp_ne_u16_e32 vcc, 0, v7
	s_andn2_b64 s[2:3], s[2:3], exec
	s_and_b64 s[6:7], vcc, exec
	v_mov_b32_e32 v10, 0
	s_or_b64 s[2:3], s[2:3], s[6:7]
	s_or_b64 exec, exec, s[4:5]
	s_and_saveexec_b64 s[4:5], s[2:3]
	s_cbranch_execnz .LBB198_2109
	s_branch .LBB198_2110
.LBB198_2129:
	s_mov_b64 s[0:1], -1
                                        ; implicit-def: $vgpr7
.LBB198_2130:
	s_mov_b64 s[6:7], 0
.LBB198_2131:
	s_and_b64 vcc, exec, s[6:7]
	s_cbranch_vccz .LBB198_2133
; %bb.2132:
	s_cmp_lg_u32 s28, 11
	s_mov_b64 s[2:3], -1
	s_cselect_b64 s[0:1], -1, 0
.LBB198_2133:
	s_and_b64 vcc, exec, s[0:1]
	s_cbranch_vccnz .LBB198_2198
; %bb.2134:
	s_andn2_b64 vcc, exec, s[2:3]
	s_cbranch_vccnz .LBB198_2136
.LBB198_2135:
	global_load_ubyte v7, v[0:1], off
	s_mov_b64 s[4:5], -1
	s_waitcnt vmcnt(0)
	v_cmp_ne_u16_e32 vcc, 0, v7
	v_cndmask_b32_e64 v7, 0, 1.0, vcc
	v_lshrrev_b32_e32 v7, 16, v7
.LBB198_2136:
	s_mov_b64 s[0:1], 0
.LBB198_2137:
	s_and_b64 vcc, exec, s[0:1]
	s_cbranch_vccz .LBB198_2186
; %bb.2138:
	s_and_b32 s2, 0xffff, s26
	s_cmp_lt_i32 s2, 5
	s_cbranch_scc1 .LBB198_2143
; %bb.2139:
	s_cmp_lt_i32 s2, 8
	s_cbranch_scc1 .LBB198_2144
; %bb.2140:
	;; [unrolled: 3-line block ×3, first 2 shown]
	s_cmp_gt_i32 s2, 9
	s_cbranch_scc0 .LBB198_2146
; %bb.2142:
	global_load_dwordx2 v[10:11], v[0:1], off
	s_movk_i32 s0, 0x7fff
	s_waitcnt vmcnt(0)
	v_cvt_f32_f64_e32 v7, v[10:11]
	v_mov_b32_e32 v10, 0x7fc0
	v_bfe_u32 v11, v7, 16, 1
	v_cmp_o_f32_e32 vcc, v7, v7
	v_add3_u32 v7, v7, v11, s0
	v_cndmask_b32_sdwa v7, v10, v7, vcc dst_sel:DWORD dst_unused:UNUSED_PAD src0_sel:DWORD src1_sel:WORD_1
	s_mov_b64 s[0:1], 0
	s_branch .LBB198_2147
.LBB198_2143:
	s_mov_b64 s[0:1], -1
                                        ; implicit-def: $vgpr7
	s_branch .LBB198_2165
.LBB198_2144:
	s_mov_b64 s[0:1], -1
                                        ; implicit-def: $vgpr7
	s_branch .LBB198_2153
.LBB198_2145:
	s_mov_b64 s[0:1], -1
                                        ; implicit-def: $vgpr7
	s_branch .LBB198_2150
.LBB198_2146:
	s_mov_b64 s[0:1], -1
                                        ; implicit-def: $vgpr7
.LBB198_2147:
	s_andn2_b64 vcc, exec, s[0:1]
	s_cbranch_vccnz .LBB198_2149
; %bb.2148:
	global_load_dword v7, v[0:1], off
	s_movk_i32 s0, 0x7fff
	v_mov_b32_e32 v10, 0x7fc0
	s_waitcnt vmcnt(0)
	v_bfe_u32 v11, v7, 16, 1
	v_cmp_o_f32_e32 vcc, v7, v7
	v_add3_u32 v7, v7, v11, s0
	v_cndmask_b32_sdwa v7, v10, v7, vcc dst_sel:DWORD dst_unused:UNUSED_PAD src0_sel:DWORD src1_sel:WORD_1
.LBB198_2149:
	s_mov_b64 s[0:1], 0
.LBB198_2150:
	s_andn2_b64 vcc, exec, s[0:1]
	s_cbranch_vccnz .LBB198_2152
; %bb.2151:
	global_load_dword v7, v[0:1], off
	s_movk_i32 s0, 0x7fff
	v_mov_b32_e32 v11, 0x7fc0
	s_waitcnt vmcnt(0)
	v_cvt_f32_f16_e32 v10, v7
	v_cmp_o_f16_e32 vcc, v7, v7
	v_bfe_u32 v7, v10, 16, 1
	v_add3_u32 v7, v10, v7, s0
	v_cndmask_b32_sdwa v7, v11, v7, vcc dst_sel:DWORD dst_unused:UNUSED_PAD src0_sel:DWORD src1_sel:WORD_1
.LBB198_2152:
	s_mov_b64 s[0:1], 0
.LBB198_2153:
	s_andn2_b64 vcc, exec, s[0:1]
	s_cbranch_vccnz .LBB198_2164
; %bb.2154:
	s_cmp_lt_i32 s2, 6
	s_cbranch_scc1 .LBB198_2157
; %bb.2155:
	s_cmp_gt_i32 s2, 6
	s_cbranch_scc0 .LBB198_2158
; %bb.2156:
	global_load_dwordx2 v[10:11], v[0:1], off
	s_movk_i32 s0, 0x7fff
	s_waitcnt vmcnt(0)
	v_cvt_f32_f64_e32 v7, v[10:11]
	v_mov_b32_e32 v10, 0x7fc0
	v_bfe_u32 v11, v7, 16, 1
	v_cmp_o_f32_e32 vcc, v7, v7
	v_add3_u32 v7, v7, v11, s0
	v_cndmask_b32_sdwa v7, v10, v7, vcc dst_sel:DWORD dst_unused:UNUSED_PAD src0_sel:DWORD src1_sel:WORD_1
	s_mov_b64 s[0:1], 0
	s_branch .LBB198_2159
.LBB198_2157:
	s_mov_b64 s[0:1], -1
                                        ; implicit-def: $vgpr7
	s_branch .LBB198_2162
.LBB198_2158:
	s_mov_b64 s[0:1], -1
                                        ; implicit-def: $vgpr7
.LBB198_2159:
	s_andn2_b64 vcc, exec, s[0:1]
	s_cbranch_vccnz .LBB198_2161
; %bb.2160:
	global_load_dword v7, v[0:1], off
	s_movk_i32 s0, 0x7fff
	v_mov_b32_e32 v10, 0x7fc0
	s_waitcnt vmcnt(0)
	v_bfe_u32 v11, v7, 16, 1
	v_cmp_o_f32_e32 vcc, v7, v7
	v_add3_u32 v7, v7, v11, s0
	v_cndmask_b32_sdwa v7, v10, v7, vcc dst_sel:DWORD dst_unused:UNUSED_PAD src0_sel:DWORD src1_sel:WORD_1
.LBB198_2161:
	s_mov_b64 s[0:1], 0
.LBB198_2162:
	s_andn2_b64 vcc, exec, s[0:1]
	s_cbranch_vccnz .LBB198_2164
; %bb.2163:
	global_load_ushort v7, v[0:1], off
	s_movk_i32 s0, 0x7fff
	v_mov_b32_e32 v11, 0x7fc0
	s_waitcnt vmcnt(0)
	v_cvt_f32_f16_e32 v10, v7
	v_cmp_o_f16_e32 vcc, v7, v7
	v_bfe_u32 v7, v10, 16, 1
	v_add3_u32 v7, v10, v7, s0
	v_cndmask_b32_sdwa v7, v11, v7, vcc dst_sel:DWORD dst_unused:UNUSED_PAD src0_sel:DWORD src1_sel:WORD_1
.LBB198_2164:
	s_mov_b64 s[0:1], 0
.LBB198_2165:
	s_andn2_b64 vcc, exec, s[0:1]
	s_cbranch_vccnz .LBB198_2185
; %bb.2166:
	s_cmp_lt_i32 s2, 2
	s_cbranch_scc1 .LBB198_2170
; %bb.2167:
	s_cmp_lt_i32 s2, 3
	s_cbranch_scc1 .LBB198_2171
; %bb.2168:
	s_cmp_gt_i32 s2, 3
	s_cbranch_scc0 .LBB198_2172
; %bb.2169:
	global_load_dwordx2 v[10:11], v[0:1], off
	s_movk_i32 s0, 0x7fff
	s_waitcnt vmcnt(0)
	v_xor_b32_e32 v12, v10, v11
	v_ffbh_i32_e32 v7, v11
	v_ashrrev_i32_e32 v12, 31, v12
	v_add_u32_e32 v7, -1, v7
	v_add_u32_e32 v12, 32, v12
	v_min_u32_e32 v7, v7, v12
	v_lshlrev_b64 v[10:11], v7, v[10:11]
	v_sub_u32_e32 v7, 32, v7
	v_min_u32_e32 v10, 1, v10
	v_or_b32_e32 v10, v11, v10
	v_cvt_f32_i32_e32 v10, v10
	v_ldexp_f32 v7, v10, v7
	v_bfe_u32 v10, v7, 16, 1
	v_add3_u32 v7, v7, v10, s0
	v_lshrrev_b32_e32 v7, 16, v7
	s_mov_b64 s[0:1], 0
	s_branch .LBB198_2173
.LBB198_2170:
	s_mov_b64 s[0:1], -1
                                        ; implicit-def: $vgpr7
	s_branch .LBB198_2179
.LBB198_2171:
	s_mov_b64 s[0:1], -1
                                        ; implicit-def: $vgpr7
	s_branch .LBB198_2176
.LBB198_2172:
	s_mov_b64 s[0:1], -1
                                        ; implicit-def: $vgpr7
.LBB198_2173:
	s_andn2_b64 vcc, exec, s[0:1]
	s_cbranch_vccnz .LBB198_2175
; %bb.2174:
	global_load_dword v7, v[0:1], off
	s_movk_i32 s0, 0x7fff
	s_waitcnt vmcnt(0)
	v_cvt_f32_i32_e32 v7, v7
	v_bfe_u32 v10, v7, 16, 1
	v_add3_u32 v7, v7, v10, s0
	v_lshrrev_b32_e32 v7, 16, v7
.LBB198_2175:
	s_mov_b64 s[0:1], 0
.LBB198_2176:
	s_andn2_b64 vcc, exec, s[0:1]
	s_cbranch_vccnz .LBB198_2178
; %bb.2177:
	global_load_sshort v7, v[0:1], off
	s_movk_i32 s0, 0x7fff
	s_waitcnt vmcnt(0)
	v_cvt_f32_i32_e32 v7, v7
	v_bfe_u32 v10, v7, 16, 1
	v_add3_u32 v7, v7, v10, s0
	v_lshrrev_b32_e32 v7, 16, v7
.LBB198_2178:
	s_mov_b64 s[0:1], 0
.LBB198_2179:
	s_andn2_b64 vcc, exec, s[0:1]
	s_cbranch_vccnz .LBB198_2185
; %bb.2180:
	s_cmp_gt_i32 s2, 0
	s_cbranch_scc0 .LBB198_2182
; %bb.2181:
	global_load_sbyte v7, v[0:1], off
	s_movk_i32 s0, 0x7fff
	s_waitcnt vmcnt(0)
	v_cvt_f32_i32_e32 v7, v7
	v_bfe_u32 v10, v7, 16, 1
	v_add3_u32 v7, v7, v10, s0
	v_lshrrev_b32_e32 v7, 16, v7
	s_mov_b64 s[0:1], 0
	s_branch .LBB198_2183
.LBB198_2182:
	s_mov_b64 s[0:1], -1
                                        ; implicit-def: $vgpr7
.LBB198_2183:
	s_andn2_b64 vcc, exec, s[0:1]
	s_cbranch_vccnz .LBB198_2185
; %bb.2184:
	global_load_ubyte v0, v[0:1], off
	s_movk_i32 s0, 0x7fff
	s_waitcnt vmcnt(0)
	v_cvt_f32_ubyte0_e32 v0, v0
	v_bfe_u32 v1, v0, 16, 1
	v_add3_u32 v0, v0, v1, s0
	v_lshrrev_b32_e32 v7, 16, v0
.LBB198_2185:
	s_mov_b64 s[4:5], -1
.LBB198_2186:
	s_andn2_b64 vcc, exec, s[4:5]
	s_cbranch_vccnz .LBB198_3012
; %bb.2187:
	v_add_u32_e32 v10, s14, v8
	v_ashrrev_i32_e32 v1, 31, v10
	v_mov_b32_e32 v8, s17
	v_add_co_u32_e32 v0, vcc, s16, v10
	s_cmp_lt_i32 s27, 11
	v_addc_co_u32_e32 v1, vcc, v8, v1, vcc
	s_cbranch_scc1 .LBB198_2194
; %bb.2188:
	s_and_b32 s28, 0xffff, s27
	s_cmp_gt_i32 s28, 25
	s_mov_b64 s[2:3], 0
	s_cbranch_scc0 .LBB198_2195
; %bb.2189:
	s_cmp_gt_i32 s28, 28
	s_cbranch_scc0 .LBB198_2196
; %bb.2190:
	s_cmp_gt_i32 s28, 43
	;; [unrolled: 3-line block ×3, first 2 shown]
	s_cbranch_scc0 .LBB198_2199
; %bb.2192:
	s_cmp_eq_u32 s28, 46
	s_mov_b64 s[6:7], 0
	s_cbranch_scc0 .LBB198_2202
; %bb.2193:
	global_load_dword v8, v[0:1], off
	s_mov_b64 s[0:1], 0
	s_mov_b64 s[4:5], -1
	s_branch .LBB198_2203
.LBB198_2194:
	s_mov_b64 s[0:1], -1
	s_mov_b64 s[4:5], 0
                                        ; implicit-def: $vgpr8
	s_branch .LBB198_2269
.LBB198_2195:
	s_mov_b64 s[6:7], -1
	s_mov_b64 s[4:5], 0
	s_mov_b64 s[0:1], 0
                                        ; implicit-def: $vgpr8
	s_branch .LBB198_2232
.LBB198_2196:
	s_mov_b64 s[6:7], -1
	s_mov_b64 s[4:5], 0
	s_mov_b64 s[0:1], 0
                                        ; implicit-def: $vgpr8
	s_branch .LBB198_2213
.LBB198_2197:
	s_mov_b64 s[6:7], -1
	s_mov_b64 s[4:5], 0
	s_mov_b64 s[0:1], 0
                                        ; implicit-def: $vgpr8
	s_branch .LBB198_2208
.LBB198_2198:
	s_trap 2
	s_or_b64 s[22:23], s[22:23], exec
	s_cbranch_execz .LBB198_2135
	s_branch .LBB198_2136
.LBB198_2199:
	s_mov_b64 s[6:7], -1
	s_mov_b64 s[4:5], 0
	s_mov_b64 s[0:1], 0
                                        ; implicit-def: $vgpr8
	s_branch .LBB198_2203
.LBB198_2200:
	s_andn2_saveexec_b64 s[48:49], s[48:49]
	s_cbranch_execz .LBB198_1085
.LBB198_2201:
	v_add_f32_e32 v3, 0x42800000, v4
	v_and_b32_e32 v3, 0xff, v3
	v_cmp_ne_u32_e32 vcc, 0, v3
	s_andn2_b64 s[46:47], s[46:47], exec
	s_and_b64 s[54:55], vcc, exec
	s_or_b64 s[46:47], s[46:47], s[54:55]
	s_or_b64 exec, exec, s[48:49]
	v_mov_b32_e32 v5, 0
	s_and_saveexec_b64 s[48:49], s[46:47]
	s_cbranch_execnz .LBB198_1086
	s_branch .LBB198_1087
.LBB198_2202:
	s_mov_b64 s[0:1], -1
                                        ; implicit-def: $vgpr8
	s_mov_b64 s[4:5], 0
.LBB198_2203:
	s_and_b64 vcc, exec, s[6:7]
	s_cbranch_vccz .LBB198_2207
; %bb.2204:
	s_cmp_eq_u32 s28, 44
	s_cbranch_scc0 .LBB198_2206
; %bb.2205:
	global_load_ubyte v8, v[0:1], off
	s_movk_i32 s4, 0xff
	v_mov_b32_e32 v11, 0x7f800001
	v_mov_b32_e32 v12, 0x400000
	;; [unrolled: 1-line block ×3, first 2 shown]
	s_mov_b64 s[0:1], 0
	s_waitcnt vmcnt(0)
	v_lshlrev_b32_e32 v14, 23, v8
	v_cmp_ne_u32_e32 vcc, s4, v8
	v_cndmask_b32_e32 v11, v11, v14, vcc
	v_cmp_ne_u32_e32 vcc, 0, v8
	v_cndmask_b32_e32 v8, v12, v11, vcc
	v_add_u32_e32 v11, 0x7fff, v8
	v_cmp_o_f32_e32 vcc, v8, v8
	v_cndmask_b32_sdwa v8, v13, v11, vcc dst_sel:DWORD dst_unused:UNUSED_PAD src0_sel:DWORD src1_sel:WORD_1
	s_mov_b64 s[4:5], -1
	s_branch .LBB198_2207
.LBB198_2206:
	s_mov_b64 s[0:1], -1
                                        ; implicit-def: $vgpr8
.LBB198_2207:
	s_mov_b64 s[6:7], 0
.LBB198_2208:
	s_and_b64 vcc, exec, s[6:7]
	s_cbranch_vccz .LBB198_2212
; %bb.2209:
	s_cmp_eq_u32 s28, 29
	s_cbranch_scc0 .LBB198_2211
; %bb.2210:
	global_load_dwordx2 v[11:12], v[0:1], off
	s_movk_i32 s4, 0x7fff
	s_mov_b64 s[0:1], 0
	s_mov_b64 s[6:7], 0
	s_waitcnt vmcnt(0)
	v_ffbh_u32_e32 v8, v12
	v_min_u32_e32 v8, 32, v8
	v_lshlrev_b64 v[11:12], v8, v[11:12]
	v_sub_u32_e32 v8, 32, v8
	v_min_u32_e32 v11, 1, v11
	v_or_b32_e32 v11, v12, v11
	v_cvt_f32_u32_e32 v11, v11
	v_ldexp_f32 v8, v11, v8
	v_bfe_u32 v11, v8, 16, 1
	v_add3_u32 v8, v8, v11, s4
	v_lshrrev_b32_e32 v8, 16, v8
	s_mov_b64 s[4:5], -1
	s_branch .LBB198_2213
.LBB198_2211:
	s_mov_b64 s[0:1], -1
                                        ; implicit-def: $vgpr8
.LBB198_2212:
	s_mov_b64 s[6:7], 0
.LBB198_2213:
	s_and_b64 vcc, exec, s[6:7]
	s_cbranch_vccz .LBB198_2231
; %bb.2214:
	s_cmp_lt_i32 s28, 27
	s_cbranch_scc1 .LBB198_2217
; %bb.2215:
	s_cmp_gt_i32 s28, 27
	s_cbranch_scc0 .LBB198_2218
; %bb.2216:
	global_load_dword v8, v[0:1], off
	s_movk_i32 s4, 0x7fff
	s_waitcnt vmcnt(0)
	v_cvt_f32_u32_e32 v8, v8
	v_bfe_u32 v11, v8, 16, 1
	v_add3_u32 v8, v8, v11, s4
	v_lshrrev_b32_e32 v8, 16, v8
	s_mov_b64 s[4:5], 0
	s_branch .LBB198_2219
.LBB198_2217:
	s_mov_b64 s[4:5], -1
                                        ; implicit-def: $vgpr8
	s_branch .LBB198_2222
.LBB198_2218:
	s_mov_b64 s[4:5], -1
                                        ; implicit-def: $vgpr8
.LBB198_2219:
	s_andn2_b64 vcc, exec, s[4:5]
	s_cbranch_vccnz .LBB198_2221
; %bb.2220:
	global_load_ushort v8, v[0:1], off
	s_movk_i32 s4, 0x7fff
	s_waitcnt vmcnt(0)
	v_cvt_f32_u32_e32 v8, v8
	v_bfe_u32 v11, v8, 16, 1
	v_add3_u32 v8, v8, v11, s4
	v_lshrrev_b32_e32 v8, 16, v8
.LBB198_2221:
	s_mov_b64 s[4:5], 0
.LBB198_2222:
	s_andn2_b64 vcc, exec, s[4:5]
	s_cbranch_vccnz .LBB198_2230
; %bb.2223:
	global_load_ubyte v8, v[0:1], off
	s_movk_i32 s4, 0x7f
	s_waitcnt vmcnt(0)
	v_cmp_lt_i16_e32 vcc, s4, v8
	s_mov_b64 s[4:5], 0
	s_and_saveexec_b64 s[6:7], vcc
	s_xor_b64 s[6:7], exec, s[6:7]
	s_cbranch_execz .LBB198_2244
; %bb.2224:
	s_movk_i32 s4, 0x80
	v_cmp_eq_u16_e32 vcc, s4, v8
	s_mov_b64 s[4:5], -1
	s_and_saveexec_b64 s[24:25], vcc
; %bb.2225:
	s_xor_b64 s[4:5], exec, -1
; %bb.2226:
	s_or_b64 exec, exec, s[24:25]
	s_and_b64 s[4:5], s[4:5], exec
	s_or_saveexec_b64 s[6:7], s[6:7]
	v_mov_b32_e32 v11, 0x7f800001
	s_xor_b64 exec, exec, s[6:7]
	s_cbranch_execnz .LBB198_2245
.LBB198_2227:
	s_or_b64 exec, exec, s[6:7]
	s_and_saveexec_b64 s[6:7], s[4:5]
	s_cbranch_execz .LBB198_2229
.LBB198_2228:
	v_lshlrev_b32_e32 v11, 24, v8
	v_and_b32_e32 v8, 0xffff, v8
	v_and_b32_e32 v12, 7, v8
	v_ffbh_u32_e32 v14, v12
	v_min_u32_e32 v14, 32, v14
	v_subrev_u32_e32 v15, 28, v14
	v_bfe_u32 v13, v8, 3, 4
	v_lshlrev_b32_e32 v8, v15, v8
	v_sub_u32_e32 v14, 29, v14
	v_and_b32_e32 v8, 7, v8
	v_cmp_eq_u32_e32 vcc, 0, v13
	v_cndmask_b32_e32 v13, v13, v14, vcc
	v_cndmask_b32_e32 v8, v12, v8, vcc
	v_mov_b32_e32 v12, 0x3b800000
	v_lshlrev_b32_e32 v8, 20, v8
	v_and_b32_e32 v11, 0x80000000, v11
	v_lshl_add_u32 v12, v13, 23, v12
	v_or3_b32 v11, v11, v12, v8
.LBB198_2229:
	s_or_b64 exec, exec, s[6:7]
	v_bfe_u32 v8, v11, 16, 1
	s_movk_i32 s4, 0x7fff
	v_add3_u32 v8, v11, v8, s4
	v_cmp_o_f32_e32 vcc, v11, v11
	v_mov_b32_e32 v11, 0x7fc0
	v_cndmask_b32_sdwa v8, v11, v8, vcc dst_sel:DWORD dst_unused:UNUSED_PAD src0_sel:DWORD src1_sel:WORD_1
.LBB198_2230:
	s_mov_b64 s[4:5], -1
.LBB198_2231:
	s_mov_b64 s[6:7], 0
.LBB198_2232:
	s_and_b64 vcc, exec, s[6:7]
	s_cbranch_vccz .LBB198_2265
; %bb.2233:
	s_cmp_gt_i32 s28, 22
	s_cbranch_scc0 .LBB198_2243
; %bb.2234:
	s_cmp_lt_i32 s28, 24
	s_cbranch_scc1 .LBB198_2246
; %bb.2235:
	s_cmp_gt_i32 s28, 24
	s_cbranch_scc0 .LBB198_2247
; %bb.2236:
	global_load_ubyte v8, v[0:1], off
	s_movk_i32 s2, 0x7f
	s_waitcnt vmcnt(0)
	v_cmp_lt_i16_e32 vcc, s2, v8
	s_mov_b64 s[2:3], 0
	s_and_saveexec_b64 s[4:5], vcc
	s_xor_b64 s[4:5], exec, s[4:5]
	s_cbranch_execz .LBB198_2259
; %bb.2237:
	s_movk_i32 s2, 0x80
	v_cmp_eq_u16_e32 vcc, s2, v8
	s_mov_b64 s[2:3], -1
	s_and_saveexec_b64 s[6:7], vcc
; %bb.2238:
	s_xor_b64 s[2:3], exec, -1
; %bb.2239:
	s_or_b64 exec, exec, s[6:7]
	s_and_b64 s[2:3], s[2:3], exec
	s_or_saveexec_b64 s[4:5], s[4:5]
	v_mov_b32_e32 v11, 0x7f800001
	s_xor_b64 exec, exec, s[4:5]
	s_cbranch_execnz .LBB198_2260
.LBB198_2240:
	s_or_b64 exec, exec, s[4:5]
	s_and_saveexec_b64 s[4:5], s[2:3]
	s_cbranch_execz .LBB198_2242
.LBB198_2241:
	v_lshlrev_b32_e32 v11, 24, v8
	v_and_b32_e32 v8, 0xffff, v8
	v_and_b32_e32 v12, 3, v8
	v_ffbh_u32_e32 v14, v12
	v_min_u32_e32 v14, 32, v14
	v_subrev_u32_e32 v15, 29, v14
	v_bfe_u32 v13, v8, 2, 5
	v_lshlrev_b32_e32 v8, v15, v8
	v_sub_u32_e32 v14, 30, v14
	v_and_b32_e32 v8, 3, v8
	v_cmp_eq_u32_e32 vcc, 0, v13
	v_cndmask_b32_e32 v13, v13, v14, vcc
	v_cndmask_b32_e32 v8, v12, v8, vcc
	v_mov_b32_e32 v12, 0x37800000
	v_lshlrev_b32_e32 v8, 21, v8
	v_and_b32_e32 v11, 0x80000000, v11
	v_lshl_add_u32 v12, v13, 23, v12
	v_or3_b32 v11, v11, v12, v8
.LBB198_2242:
	s_or_b64 exec, exec, s[4:5]
	v_bfe_u32 v8, v11, 16, 1
	s_movk_i32 s2, 0x7fff
	v_add3_u32 v8, v11, v8, s2
	v_cmp_o_f32_e32 vcc, v11, v11
	v_mov_b32_e32 v11, 0x7fc0
	v_cndmask_b32_sdwa v8, v11, v8, vcc dst_sel:DWORD dst_unused:UNUSED_PAD src0_sel:DWORD src1_sel:WORD_1
	s_mov_b64 s[2:3], 0
	s_branch .LBB198_2248
.LBB198_2243:
	s_mov_b64 s[2:3], -1
                                        ; implicit-def: $vgpr8
	s_branch .LBB198_2254
.LBB198_2244:
	s_or_saveexec_b64 s[6:7], s[6:7]
	v_mov_b32_e32 v11, 0x7f800001
	s_xor_b64 exec, exec, s[6:7]
	s_cbranch_execz .LBB198_2227
.LBB198_2245:
	v_cmp_ne_u16_e32 vcc, 0, v8
	s_andn2_b64 s[4:5], s[4:5], exec
	s_and_b64 s[24:25], vcc, exec
	v_mov_b32_e32 v11, 0
	s_or_b64 s[4:5], s[4:5], s[24:25]
	s_or_b64 exec, exec, s[6:7]
	s_and_saveexec_b64 s[6:7], s[4:5]
	s_cbranch_execnz .LBB198_2228
	s_branch .LBB198_2229
.LBB198_2246:
	s_mov_b64 s[2:3], -1
                                        ; implicit-def: $vgpr8
	s_branch .LBB198_2251
.LBB198_2247:
	s_mov_b64 s[2:3], -1
                                        ; implicit-def: $vgpr8
.LBB198_2248:
	s_and_b64 vcc, exec, s[2:3]
	s_cbranch_vccz .LBB198_2250
; %bb.2249:
	global_load_ubyte v8, v[0:1], off
	s_mov_b32 s2, 0x7f800000
	s_brev_b32 s3, 1
	s_movk_i32 s4, 0x7fff
	s_waitcnt vmcnt(0)
	v_lshlrev_b32_e32 v8, 24, v8
	v_and_b32_e32 v11, 0x7f000000, v8
	v_ffbh_u32_e32 v12, v11
	v_min_u32_e32 v12, 32, v12
	v_sub_u32_e64 v12, v12, 4 clamp
	v_lshlrev_b32_e32 v14, v12, v11
	v_lshlrev_b32_e32 v12, 23, v12
	v_lshrrev_b32_e32 v14, 4, v14
	v_add_u32_e32 v13, 0x1000000, v11
	v_sub_u32_e32 v12, v14, v12
	v_ashrrev_i32_e32 v13, 8, v13
	v_add_u32_e32 v12, 0x3c000000, v12
	v_and_or_b32 v12, v13, s2, v12
	v_cmp_ne_u32_e32 vcc, 0, v11
	v_cndmask_b32_e32 v11, 0, v12, vcc
	v_and_or_b32 v8, v8, s3, v11
	v_bfe_u32 v11, v11, 16, 1
	v_add3_u32 v11, v8, v11, s4
	v_cmp_o_f32_e32 vcc, v8, v8
	v_mov_b32_e32 v8, 0x7fc0
	v_cndmask_b32_sdwa v8, v8, v11, vcc dst_sel:DWORD dst_unused:UNUSED_PAD src0_sel:DWORD src1_sel:WORD_1
.LBB198_2250:
	s_mov_b64 s[2:3], 0
.LBB198_2251:
	s_andn2_b64 vcc, exec, s[2:3]
	s_cbranch_vccnz .LBB198_2253
; %bb.2252:
	global_load_ubyte v8, v[0:1], off
	s_movk_i32 s2, 0x7f00
	s_brev_b32 s3, 16
	s_brev_b32 s4, 1
	s_movk_i32 s5, 0x7fff
	s_waitcnt vmcnt(0)
	v_lshlrev_b16_e32 v11, 8, v8
	v_lshlrev_b32_e32 v8, 25, v8
	v_lshrrev_b32_e32 v12, 4, v8
	v_and_or_b32 v13, v11, s2, 0.5
	v_or_b32_e32 v12, 0x70000000, v12
	v_add_f32_e32 v13, -0.5, v13
	v_mul_f32_e32 v12, 0x7800000, v12
	v_cmp_gt_u32_e32 vcc, s3, v8
	v_bfe_i32 v11, v11, 0, 16
	v_cndmask_b32_e32 v8, v12, v13, vcc
	v_and_or_b32 v11, v11, s4, v8
	v_bfe_u32 v8, v8, 16, 1
	v_add3_u32 v8, v11, v8, s5
	v_cmp_o_f32_e32 vcc, v11, v11
	v_mov_b32_e32 v11, 0x7fc0
	v_cndmask_b32_sdwa v8, v11, v8, vcc dst_sel:DWORD dst_unused:UNUSED_PAD src0_sel:DWORD src1_sel:WORD_1
.LBB198_2253:
	s_mov_b64 s[2:3], 0
	s_mov_b64 s[4:5], -1
.LBB198_2254:
	s_andn2_b64 vcc, exec, s[2:3]
	s_mov_b64 s[2:3], 0
	s_cbranch_vccnz .LBB198_2265
; %bb.2255:
	s_cmp_gt_i32 s28, 14
	s_cbranch_scc0 .LBB198_2258
; %bb.2256:
	s_cmp_eq_u32 s28, 15
	s_cbranch_scc0 .LBB198_2261
; %bb.2257:
	global_load_ushort v8, v[0:1], off
	s_mov_b64 s[0:1], 0
	s_mov_b64 s[4:5], -1
	s_branch .LBB198_2262
.LBB198_2258:
	s_mov_b64 s[6:7], -1
                                        ; implicit-def: $vgpr8
	s_branch .LBB198_2263
.LBB198_2259:
	s_or_saveexec_b64 s[4:5], s[4:5]
	v_mov_b32_e32 v11, 0x7f800001
	s_xor_b64 exec, exec, s[4:5]
	s_cbranch_execz .LBB198_2240
.LBB198_2260:
	v_cmp_ne_u16_e32 vcc, 0, v8
	s_andn2_b64 s[2:3], s[2:3], exec
	s_and_b64 s[6:7], vcc, exec
	v_mov_b32_e32 v11, 0
	s_or_b64 s[2:3], s[2:3], s[6:7]
	s_or_b64 exec, exec, s[4:5]
	s_and_saveexec_b64 s[4:5], s[2:3]
	s_cbranch_execnz .LBB198_2241
	s_branch .LBB198_2242
.LBB198_2261:
	s_mov_b64 s[0:1], -1
                                        ; implicit-def: $vgpr8
.LBB198_2262:
	s_mov_b64 s[6:7], 0
.LBB198_2263:
	s_and_b64 vcc, exec, s[6:7]
	s_cbranch_vccz .LBB198_2265
; %bb.2264:
	s_cmp_lg_u32 s28, 11
	s_mov_b64 s[2:3], -1
	s_cselect_b64 s[0:1], -1, 0
.LBB198_2265:
	s_and_b64 vcc, exec, s[0:1]
	s_cbranch_vccnz .LBB198_2330
; %bb.2266:
	s_andn2_b64 vcc, exec, s[2:3]
	s_cbranch_vccnz .LBB198_2268
.LBB198_2267:
	global_load_ubyte v8, v[0:1], off
	s_mov_b64 s[4:5], -1
	s_waitcnt vmcnt(0)
	v_cmp_ne_u16_e32 vcc, 0, v8
	v_cndmask_b32_e64 v8, 0, 1.0, vcc
	v_lshrrev_b32_e32 v8, 16, v8
.LBB198_2268:
	s_mov_b64 s[0:1], 0
.LBB198_2269:
	s_and_b64 vcc, exec, s[0:1]
	s_cbranch_vccz .LBB198_2318
; %bb.2270:
	s_and_b32 s2, 0xffff, s27
	s_cmp_lt_i32 s2, 5
	s_cbranch_scc1 .LBB198_2275
; %bb.2271:
	s_cmp_lt_i32 s2, 8
	s_cbranch_scc1 .LBB198_2276
; %bb.2272:
	s_cmp_lt_i32 s2, 9
	s_cbranch_scc1 .LBB198_2277
; %bb.2273:
	s_cmp_gt_i32 s2, 9
	s_cbranch_scc0 .LBB198_2278
; %bb.2274:
	global_load_dwordx2 v[11:12], v[0:1], off
	s_movk_i32 s0, 0x7fff
	s_waitcnt vmcnt(0)
	v_cvt_f32_f64_e32 v8, v[11:12]
	v_mov_b32_e32 v11, 0x7fc0
	v_bfe_u32 v12, v8, 16, 1
	v_cmp_o_f32_e32 vcc, v8, v8
	v_add3_u32 v8, v8, v12, s0
	v_cndmask_b32_sdwa v8, v11, v8, vcc dst_sel:DWORD dst_unused:UNUSED_PAD src0_sel:DWORD src1_sel:WORD_1
	s_mov_b64 s[0:1], 0
	s_branch .LBB198_2279
.LBB198_2275:
	s_mov_b64 s[0:1], -1
                                        ; implicit-def: $vgpr8
	s_branch .LBB198_2297
.LBB198_2276:
	s_mov_b64 s[0:1], -1
                                        ; implicit-def: $vgpr8
	s_branch .LBB198_2285
.LBB198_2277:
	s_mov_b64 s[0:1], -1
                                        ; implicit-def: $vgpr8
	s_branch .LBB198_2282
.LBB198_2278:
	s_mov_b64 s[0:1], -1
                                        ; implicit-def: $vgpr8
.LBB198_2279:
	s_andn2_b64 vcc, exec, s[0:1]
	s_cbranch_vccnz .LBB198_2281
; %bb.2280:
	global_load_dword v8, v[0:1], off
	s_movk_i32 s0, 0x7fff
	v_mov_b32_e32 v11, 0x7fc0
	s_waitcnt vmcnt(0)
	v_bfe_u32 v12, v8, 16, 1
	v_cmp_o_f32_e32 vcc, v8, v8
	v_add3_u32 v8, v8, v12, s0
	v_cndmask_b32_sdwa v8, v11, v8, vcc dst_sel:DWORD dst_unused:UNUSED_PAD src0_sel:DWORD src1_sel:WORD_1
.LBB198_2281:
	s_mov_b64 s[0:1], 0
.LBB198_2282:
	s_andn2_b64 vcc, exec, s[0:1]
	s_cbranch_vccnz .LBB198_2284
; %bb.2283:
	global_load_dword v8, v[0:1], off
	s_movk_i32 s0, 0x7fff
	v_mov_b32_e32 v12, 0x7fc0
	s_waitcnt vmcnt(0)
	v_cvt_f32_f16_e32 v11, v8
	v_cmp_o_f16_e32 vcc, v8, v8
	v_bfe_u32 v8, v11, 16, 1
	v_add3_u32 v8, v11, v8, s0
	v_cndmask_b32_sdwa v8, v12, v8, vcc dst_sel:DWORD dst_unused:UNUSED_PAD src0_sel:DWORD src1_sel:WORD_1
.LBB198_2284:
	s_mov_b64 s[0:1], 0
.LBB198_2285:
	s_andn2_b64 vcc, exec, s[0:1]
	s_cbranch_vccnz .LBB198_2296
; %bb.2286:
	s_cmp_lt_i32 s2, 6
	s_cbranch_scc1 .LBB198_2289
; %bb.2287:
	s_cmp_gt_i32 s2, 6
	s_cbranch_scc0 .LBB198_2290
; %bb.2288:
	global_load_dwordx2 v[11:12], v[0:1], off
	s_movk_i32 s0, 0x7fff
	s_waitcnt vmcnt(0)
	v_cvt_f32_f64_e32 v8, v[11:12]
	v_mov_b32_e32 v11, 0x7fc0
	v_bfe_u32 v12, v8, 16, 1
	v_cmp_o_f32_e32 vcc, v8, v8
	v_add3_u32 v8, v8, v12, s0
	v_cndmask_b32_sdwa v8, v11, v8, vcc dst_sel:DWORD dst_unused:UNUSED_PAD src0_sel:DWORD src1_sel:WORD_1
	s_mov_b64 s[0:1], 0
	s_branch .LBB198_2291
.LBB198_2289:
	s_mov_b64 s[0:1], -1
                                        ; implicit-def: $vgpr8
	s_branch .LBB198_2294
.LBB198_2290:
	s_mov_b64 s[0:1], -1
                                        ; implicit-def: $vgpr8
.LBB198_2291:
	s_andn2_b64 vcc, exec, s[0:1]
	s_cbranch_vccnz .LBB198_2293
; %bb.2292:
	global_load_dword v8, v[0:1], off
	s_movk_i32 s0, 0x7fff
	v_mov_b32_e32 v11, 0x7fc0
	s_waitcnt vmcnt(0)
	v_bfe_u32 v12, v8, 16, 1
	v_cmp_o_f32_e32 vcc, v8, v8
	v_add3_u32 v8, v8, v12, s0
	v_cndmask_b32_sdwa v8, v11, v8, vcc dst_sel:DWORD dst_unused:UNUSED_PAD src0_sel:DWORD src1_sel:WORD_1
.LBB198_2293:
	s_mov_b64 s[0:1], 0
.LBB198_2294:
	s_andn2_b64 vcc, exec, s[0:1]
	s_cbranch_vccnz .LBB198_2296
; %bb.2295:
	global_load_ushort v8, v[0:1], off
	s_movk_i32 s0, 0x7fff
	v_mov_b32_e32 v12, 0x7fc0
	s_waitcnt vmcnt(0)
	v_cvt_f32_f16_e32 v11, v8
	v_cmp_o_f16_e32 vcc, v8, v8
	v_bfe_u32 v8, v11, 16, 1
	v_add3_u32 v8, v11, v8, s0
	v_cndmask_b32_sdwa v8, v12, v8, vcc dst_sel:DWORD dst_unused:UNUSED_PAD src0_sel:DWORD src1_sel:WORD_1
.LBB198_2296:
	s_mov_b64 s[0:1], 0
.LBB198_2297:
	s_andn2_b64 vcc, exec, s[0:1]
	s_cbranch_vccnz .LBB198_2317
; %bb.2298:
	s_cmp_lt_i32 s2, 2
	s_cbranch_scc1 .LBB198_2302
; %bb.2299:
	s_cmp_lt_i32 s2, 3
	s_cbranch_scc1 .LBB198_2303
; %bb.2300:
	s_cmp_gt_i32 s2, 3
	s_cbranch_scc0 .LBB198_2304
; %bb.2301:
	global_load_dwordx2 v[11:12], v[0:1], off
	s_movk_i32 s0, 0x7fff
	s_waitcnt vmcnt(0)
	v_xor_b32_e32 v13, v11, v12
	v_ffbh_i32_e32 v8, v12
	v_ashrrev_i32_e32 v13, 31, v13
	v_add_u32_e32 v8, -1, v8
	v_add_u32_e32 v13, 32, v13
	v_min_u32_e32 v8, v8, v13
	v_lshlrev_b64 v[11:12], v8, v[11:12]
	v_sub_u32_e32 v8, 32, v8
	v_min_u32_e32 v11, 1, v11
	v_or_b32_e32 v11, v12, v11
	v_cvt_f32_i32_e32 v11, v11
	v_ldexp_f32 v8, v11, v8
	v_bfe_u32 v11, v8, 16, 1
	v_add3_u32 v8, v8, v11, s0
	v_lshrrev_b32_e32 v8, 16, v8
	s_mov_b64 s[0:1], 0
	s_branch .LBB198_2305
.LBB198_2302:
	s_mov_b64 s[0:1], -1
                                        ; implicit-def: $vgpr8
	s_branch .LBB198_2311
.LBB198_2303:
	s_mov_b64 s[0:1], -1
                                        ; implicit-def: $vgpr8
	s_branch .LBB198_2308
.LBB198_2304:
	s_mov_b64 s[0:1], -1
                                        ; implicit-def: $vgpr8
.LBB198_2305:
	s_andn2_b64 vcc, exec, s[0:1]
	s_cbranch_vccnz .LBB198_2307
; %bb.2306:
	global_load_dword v8, v[0:1], off
	s_movk_i32 s0, 0x7fff
	s_waitcnt vmcnt(0)
	v_cvt_f32_i32_e32 v8, v8
	v_bfe_u32 v11, v8, 16, 1
	v_add3_u32 v8, v8, v11, s0
	v_lshrrev_b32_e32 v8, 16, v8
.LBB198_2307:
	s_mov_b64 s[0:1], 0
.LBB198_2308:
	s_andn2_b64 vcc, exec, s[0:1]
	s_cbranch_vccnz .LBB198_2310
; %bb.2309:
	global_load_sshort v8, v[0:1], off
	s_movk_i32 s0, 0x7fff
	s_waitcnt vmcnt(0)
	v_cvt_f32_i32_e32 v8, v8
	v_bfe_u32 v11, v8, 16, 1
	v_add3_u32 v8, v8, v11, s0
	v_lshrrev_b32_e32 v8, 16, v8
.LBB198_2310:
	s_mov_b64 s[0:1], 0
.LBB198_2311:
	s_andn2_b64 vcc, exec, s[0:1]
	s_cbranch_vccnz .LBB198_2317
; %bb.2312:
	s_cmp_gt_i32 s2, 0
	s_cbranch_scc0 .LBB198_2314
; %bb.2313:
	global_load_sbyte v8, v[0:1], off
	s_movk_i32 s0, 0x7fff
	s_waitcnt vmcnt(0)
	v_cvt_f32_i32_e32 v8, v8
	v_bfe_u32 v11, v8, 16, 1
	v_add3_u32 v8, v8, v11, s0
	v_lshrrev_b32_e32 v8, 16, v8
	s_mov_b64 s[0:1], 0
	s_branch .LBB198_2315
.LBB198_2314:
	s_mov_b64 s[0:1], -1
                                        ; implicit-def: $vgpr8
.LBB198_2315:
	s_andn2_b64 vcc, exec, s[0:1]
	s_cbranch_vccnz .LBB198_2317
; %bb.2316:
	global_load_ubyte v0, v[0:1], off
	s_movk_i32 s0, 0x7fff
	s_waitcnt vmcnt(0)
	v_cvt_f32_ubyte0_e32 v0, v0
	v_bfe_u32 v1, v0, 16, 1
	v_add3_u32 v0, v0, v1, s0
	v_lshrrev_b32_e32 v8, 16, v0
.LBB198_2317:
	s_mov_b64 s[4:5], -1
.LBB198_2318:
	s_andn2_b64 vcc, exec, s[4:5]
	s_cbranch_vccnz .LBB198_3012
; %bb.2319:
	v_add_u32_e32 v0, s13, v9
	v_ashrrev_i32_e32 v1, 31, v0
	v_mov_b32_e32 v9, s11
	v_add_co_u32_e32 v0, vcc, s10, v0
	s_cmp_lt_i32 s26, 11
	v_addc_co_u32_e32 v1, vcc, v9, v1, vcc
	s_cbranch_scc1 .LBB198_2326
; %bb.2320:
	s_and_b32 s13, 0xffff, s26
	s_cmp_gt_i32 s13, 25
	s_mov_b64 s[2:3], 0
	s_cbranch_scc0 .LBB198_2327
; %bb.2321:
	s_cmp_gt_i32 s13, 28
	s_cbranch_scc0 .LBB198_2328
; %bb.2322:
	s_cmp_gt_i32 s13, 43
	;; [unrolled: 3-line block ×3, first 2 shown]
	s_cbranch_scc0 .LBB198_2331
; %bb.2324:
	s_cmp_eq_u32 s13, 46
	s_mov_b64 s[6:7], 0
	s_cbranch_scc0 .LBB198_2332
; %bb.2325:
	global_load_dword v9, v[0:1], off
	s_mov_b64 s[0:1], 0
	s_mov_b64 s[4:5], -1
	s_branch .LBB198_2333
.LBB198_2326:
	s_mov_b64 s[0:1], -1
	s_mov_b64 s[4:5], 0
                                        ; implicit-def: $vgpr9
	s_branch .LBB198_2399
.LBB198_2327:
	s_mov_b64 s[6:7], -1
	s_mov_b64 s[4:5], 0
	s_mov_b64 s[0:1], 0
                                        ; implicit-def: $vgpr9
	s_branch .LBB198_2362
.LBB198_2328:
	s_mov_b64 s[6:7], -1
	s_mov_b64 s[4:5], 0
	s_mov_b64 s[0:1], 0
                                        ; implicit-def: $vgpr9
	s_branch .LBB198_2343
.LBB198_2329:
	s_mov_b64 s[6:7], -1
	s_mov_b64 s[4:5], 0
	s_mov_b64 s[0:1], 0
                                        ; implicit-def: $vgpr9
	s_branch .LBB198_2338
.LBB198_2330:
	s_trap 2
	s_or_b64 s[22:23], s[22:23], exec
	s_cbranch_execz .LBB198_2267
	s_branch .LBB198_2268
.LBB198_2331:
	s_mov_b64 s[6:7], -1
	s_mov_b64 s[4:5], 0
	s_mov_b64 s[0:1], 0
                                        ; implicit-def: $vgpr9
	s_branch .LBB198_2333
.LBB198_2332:
	s_mov_b64 s[0:1], -1
                                        ; implicit-def: $vgpr9
	s_mov_b64 s[4:5], 0
.LBB198_2333:
	s_and_b64 vcc, exec, s[6:7]
	s_cbranch_vccz .LBB198_2337
; %bb.2334:
	s_cmp_eq_u32 s13, 44
	s_cbranch_scc0 .LBB198_2336
; %bb.2335:
	global_load_ubyte v9, v[0:1], off
	s_movk_i32 s4, 0xff
	v_mov_b32_e32 v11, 0x7f800001
	v_mov_b32_e32 v12, 0x400000
	;; [unrolled: 1-line block ×3, first 2 shown]
	s_mov_b64 s[0:1], 0
	s_waitcnt vmcnt(0)
	v_lshlrev_b32_e32 v14, 23, v9
	v_cmp_ne_u32_e32 vcc, s4, v9
	v_cndmask_b32_e32 v11, v11, v14, vcc
	v_cmp_ne_u32_e32 vcc, 0, v9
	v_cndmask_b32_e32 v9, v12, v11, vcc
	v_add_u32_e32 v11, 0x7fff, v9
	v_cmp_o_f32_e32 vcc, v9, v9
	v_cndmask_b32_sdwa v9, v13, v11, vcc dst_sel:DWORD dst_unused:UNUSED_PAD src0_sel:DWORD src1_sel:WORD_1
	s_mov_b64 s[4:5], -1
	s_branch .LBB198_2337
.LBB198_2336:
	s_mov_b64 s[0:1], -1
                                        ; implicit-def: $vgpr9
.LBB198_2337:
	s_mov_b64 s[6:7], 0
.LBB198_2338:
	s_and_b64 vcc, exec, s[6:7]
	s_cbranch_vccz .LBB198_2342
; %bb.2339:
	s_cmp_eq_u32 s13, 29
	s_cbranch_scc0 .LBB198_2341
; %bb.2340:
	global_load_dwordx2 v[11:12], v[0:1], off
	s_movk_i32 s4, 0x7fff
	s_mov_b64 s[0:1], 0
	s_mov_b64 s[6:7], 0
	s_waitcnt vmcnt(0)
	v_ffbh_u32_e32 v9, v12
	v_min_u32_e32 v9, 32, v9
	v_lshlrev_b64 v[11:12], v9, v[11:12]
	v_sub_u32_e32 v9, 32, v9
	v_min_u32_e32 v11, 1, v11
	v_or_b32_e32 v11, v12, v11
	v_cvt_f32_u32_e32 v11, v11
	v_ldexp_f32 v9, v11, v9
	v_bfe_u32 v11, v9, 16, 1
	v_add3_u32 v9, v9, v11, s4
	v_lshrrev_b32_e32 v9, 16, v9
	s_mov_b64 s[4:5], -1
	s_branch .LBB198_2343
.LBB198_2341:
	s_mov_b64 s[0:1], -1
                                        ; implicit-def: $vgpr9
.LBB198_2342:
	s_mov_b64 s[6:7], 0
.LBB198_2343:
	s_and_b64 vcc, exec, s[6:7]
	s_cbranch_vccz .LBB198_2361
; %bb.2344:
	s_cmp_lt_i32 s13, 27
	s_cbranch_scc1 .LBB198_2347
; %bb.2345:
	s_cmp_gt_i32 s13, 27
	s_cbranch_scc0 .LBB198_2348
; %bb.2346:
	global_load_dword v9, v[0:1], off
	s_movk_i32 s4, 0x7fff
	s_waitcnt vmcnt(0)
	v_cvt_f32_u32_e32 v9, v9
	v_bfe_u32 v11, v9, 16, 1
	v_add3_u32 v9, v9, v11, s4
	v_lshrrev_b32_e32 v9, 16, v9
	s_mov_b64 s[4:5], 0
	s_branch .LBB198_2349
.LBB198_2347:
	s_mov_b64 s[4:5], -1
                                        ; implicit-def: $vgpr9
	s_branch .LBB198_2352
.LBB198_2348:
	s_mov_b64 s[4:5], -1
                                        ; implicit-def: $vgpr9
.LBB198_2349:
	s_andn2_b64 vcc, exec, s[4:5]
	s_cbranch_vccnz .LBB198_2351
; %bb.2350:
	global_load_ushort v9, v[0:1], off
	s_movk_i32 s4, 0x7fff
	s_waitcnt vmcnt(0)
	v_cvt_f32_u32_e32 v9, v9
	v_bfe_u32 v11, v9, 16, 1
	v_add3_u32 v9, v9, v11, s4
	v_lshrrev_b32_e32 v9, 16, v9
.LBB198_2351:
	s_mov_b64 s[4:5], 0
.LBB198_2352:
	s_andn2_b64 vcc, exec, s[4:5]
	s_cbranch_vccnz .LBB198_2360
; %bb.2353:
	global_load_ubyte v9, v[0:1], off
	s_movk_i32 s4, 0x7f
	s_waitcnt vmcnt(0)
	v_cmp_lt_i16_e32 vcc, s4, v9
	s_mov_b64 s[4:5], 0
	s_and_saveexec_b64 s[6:7], vcc
	s_xor_b64 s[6:7], exec, s[6:7]
	s_cbranch_execz .LBB198_2374
; %bb.2354:
	s_movk_i32 s4, 0x80
	v_cmp_eq_u16_e32 vcc, s4, v9
	s_mov_b64 s[4:5], -1
	s_and_saveexec_b64 s[10:11], vcc
; %bb.2355:
	s_xor_b64 s[4:5], exec, -1
; %bb.2356:
	s_or_b64 exec, exec, s[10:11]
	s_and_b64 s[4:5], s[4:5], exec
	s_or_saveexec_b64 s[6:7], s[6:7]
	v_mov_b32_e32 v11, 0x7f800001
	s_xor_b64 exec, exec, s[6:7]
	s_cbranch_execnz .LBB198_2375
.LBB198_2357:
	s_or_b64 exec, exec, s[6:7]
	s_and_saveexec_b64 s[6:7], s[4:5]
	s_cbranch_execz .LBB198_2359
.LBB198_2358:
	v_lshlrev_b32_e32 v11, 24, v9
	v_and_b32_e32 v9, 0xffff, v9
	v_and_b32_e32 v12, 7, v9
	v_ffbh_u32_e32 v14, v12
	v_min_u32_e32 v14, 32, v14
	v_subrev_u32_e32 v15, 28, v14
	v_bfe_u32 v13, v9, 3, 4
	v_lshlrev_b32_e32 v9, v15, v9
	v_sub_u32_e32 v14, 29, v14
	v_and_b32_e32 v9, 7, v9
	v_cmp_eq_u32_e32 vcc, 0, v13
	v_cndmask_b32_e32 v13, v13, v14, vcc
	v_cndmask_b32_e32 v9, v12, v9, vcc
	v_mov_b32_e32 v12, 0x3b800000
	v_lshlrev_b32_e32 v9, 20, v9
	v_and_b32_e32 v11, 0x80000000, v11
	v_lshl_add_u32 v12, v13, 23, v12
	v_or3_b32 v11, v11, v12, v9
.LBB198_2359:
	s_or_b64 exec, exec, s[6:7]
	v_bfe_u32 v9, v11, 16, 1
	s_movk_i32 s4, 0x7fff
	v_add3_u32 v9, v11, v9, s4
	v_cmp_o_f32_e32 vcc, v11, v11
	v_mov_b32_e32 v11, 0x7fc0
	v_cndmask_b32_sdwa v9, v11, v9, vcc dst_sel:DWORD dst_unused:UNUSED_PAD src0_sel:DWORD src1_sel:WORD_1
.LBB198_2360:
	s_mov_b64 s[4:5], -1
.LBB198_2361:
	s_mov_b64 s[6:7], 0
.LBB198_2362:
	s_and_b64 vcc, exec, s[6:7]
	s_cbranch_vccz .LBB198_2395
; %bb.2363:
	s_cmp_gt_i32 s13, 22
	s_cbranch_scc0 .LBB198_2373
; %bb.2364:
	s_cmp_lt_i32 s13, 24
	s_cbranch_scc1 .LBB198_2376
; %bb.2365:
	s_cmp_gt_i32 s13, 24
	s_cbranch_scc0 .LBB198_2377
; %bb.2366:
	global_load_ubyte v9, v[0:1], off
	s_movk_i32 s2, 0x7f
	s_waitcnt vmcnt(0)
	v_cmp_lt_i16_e32 vcc, s2, v9
	s_mov_b64 s[2:3], 0
	s_and_saveexec_b64 s[4:5], vcc
	s_xor_b64 s[4:5], exec, s[4:5]
	s_cbranch_execz .LBB198_2389
; %bb.2367:
	s_movk_i32 s2, 0x80
	v_cmp_eq_u16_e32 vcc, s2, v9
	s_mov_b64 s[2:3], -1
	s_and_saveexec_b64 s[6:7], vcc
; %bb.2368:
	s_xor_b64 s[2:3], exec, -1
; %bb.2369:
	s_or_b64 exec, exec, s[6:7]
	s_and_b64 s[2:3], s[2:3], exec
	s_or_saveexec_b64 s[4:5], s[4:5]
	v_mov_b32_e32 v11, 0x7f800001
	s_xor_b64 exec, exec, s[4:5]
	s_cbranch_execnz .LBB198_2390
.LBB198_2370:
	s_or_b64 exec, exec, s[4:5]
	s_and_saveexec_b64 s[4:5], s[2:3]
	s_cbranch_execz .LBB198_2372
.LBB198_2371:
	v_lshlrev_b32_e32 v11, 24, v9
	v_and_b32_e32 v9, 0xffff, v9
	v_and_b32_e32 v12, 3, v9
	v_ffbh_u32_e32 v14, v12
	v_min_u32_e32 v14, 32, v14
	v_subrev_u32_e32 v15, 29, v14
	v_bfe_u32 v13, v9, 2, 5
	v_lshlrev_b32_e32 v9, v15, v9
	v_sub_u32_e32 v14, 30, v14
	v_and_b32_e32 v9, 3, v9
	v_cmp_eq_u32_e32 vcc, 0, v13
	v_cndmask_b32_e32 v13, v13, v14, vcc
	v_cndmask_b32_e32 v9, v12, v9, vcc
	v_mov_b32_e32 v12, 0x37800000
	v_lshlrev_b32_e32 v9, 21, v9
	v_and_b32_e32 v11, 0x80000000, v11
	v_lshl_add_u32 v12, v13, 23, v12
	v_or3_b32 v11, v11, v12, v9
.LBB198_2372:
	s_or_b64 exec, exec, s[4:5]
	v_bfe_u32 v9, v11, 16, 1
	s_movk_i32 s2, 0x7fff
	v_add3_u32 v9, v11, v9, s2
	v_cmp_o_f32_e32 vcc, v11, v11
	v_mov_b32_e32 v11, 0x7fc0
	v_cndmask_b32_sdwa v9, v11, v9, vcc dst_sel:DWORD dst_unused:UNUSED_PAD src0_sel:DWORD src1_sel:WORD_1
	s_mov_b64 s[2:3], 0
	s_branch .LBB198_2378
.LBB198_2373:
	s_mov_b64 s[2:3], -1
                                        ; implicit-def: $vgpr9
	s_branch .LBB198_2384
.LBB198_2374:
	s_or_saveexec_b64 s[6:7], s[6:7]
	v_mov_b32_e32 v11, 0x7f800001
	s_xor_b64 exec, exec, s[6:7]
	s_cbranch_execz .LBB198_2357
.LBB198_2375:
	v_cmp_ne_u16_e32 vcc, 0, v9
	s_andn2_b64 s[4:5], s[4:5], exec
	s_and_b64 s[10:11], vcc, exec
	v_mov_b32_e32 v11, 0
	s_or_b64 s[4:5], s[4:5], s[10:11]
	s_or_b64 exec, exec, s[6:7]
	s_and_saveexec_b64 s[6:7], s[4:5]
	s_cbranch_execnz .LBB198_2358
	s_branch .LBB198_2359
.LBB198_2376:
	s_mov_b64 s[2:3], -1
                                        ; implicit-def: $vgpr9
	s_branch .LBB198_2381
.LBB198_2377:
	s_mov_b64 s[2:3], -1
                                        ; implicit-def: $vgpr9
.LBB198_2378:
	s_and_b64 vcc, exec, s[2:3]
	s_cbranch_vccz .LBB198_2380
; %bb.2379:
	global_load_ubyte v9, v[0:1], off
	s_mov_b32 s2, 0x7f800000
	s_brev_b32 s3, 1
	s_movk_i32 s4, 0x7fff
	s_waitcnt vmcnt(0)
	v_lshlrev_b32_e32 v9, 24, v9
	v_and_b32_e32 v11, 0x7f000000, v9
	v_ffbh_u32_e32 v12, v11
	v_min_u32_e32 v12, 32, v12
	v_sub_u32_e64 v12, v12, 4 clamp
	v_lshlrev_b32_e32 v14, v12, v11
	v_lshlrev_b32_e32 v12, 23, v12
	v_lshrrev_b32_e32 v14, 4, v14
	v_add_u32_e32 v13, 0x1000000, v11
	v_sub_u32_e32 v12, v14, v12
	v_ashrrev_i32_e32 v13, 8, v13
	v_add_u32_e32 v12, 0x3c000000, v12
	v_and_or_b32 v12, v13, s2, v12
	v_cmp_ne_u32_e32 vcc, 0, v11
	v_cndmask_b32_e32 v11, 0, v12, vcc
	v_and_or_b32 v9, v9, s3, v11
	v_bfe_u32 v11, v11, 16, 1
	v_add3_u32 v11, v9, v11, s4
	v_cmp_o_f32_e32 vcc, v9, v9
	v_mov_b32_e32 v9, 0x7fc0
	v_cndmask_b32_sdwa v9, v9, v11, vcc dst_sel:DWORD dst_unused:UNUSED_PAD src0_sel:DWORD src1_sel:WORD_1
.LBB198_2380:
	s_mov_b64 s[2:3], 0
.LBB198_2381:
	s_andn2_b64 vcc, exec, s[2:3]
	s_cbranch_vccnz .LBB198_2383
; %bb.2382:
	global_load_ubyte v9, v[0:1], off
	s_movk_i32 s2, 0x7f00
	s_brev_b32 s3, 16
	s_brev_b32 s4, 1
	s_movk_i32 s5, 0x7fff
	s_waitcnt vmcnt(0)
	v_lshlrev_b16_e32 v11, 8, v9
	v_lshlrev_b32_e32 v9, 25, v9
	v_lshrrev_b32_e32 v12, 4, v9
	v_and_or_b32 v13, v11, s2, 0.5
	v_or_b32_e32 v12, 0x70000000, v12
	v_add_f32_e32 v13, -0.5, v13
	v_mul_f32_e32 v12, 0x7800000, v12
	v_cmp_gt_u32_e32 vcc, s3, v9
	v_bfe_i32 v11, v11, 0, 16
	v_cndmask_b32_e32 v9, v12, v13, vcc
	v_and_or_b32 v11, v11, s4, v9
	v_bfe_u32 v9, v9, 16, 1
	v_add3_u32 v9, v11, v9, s5
	v_cmp_o_f32_e32 vcc, v11, v11
	v_mov_b32_e32 v11, 0x7fc0
	v_cndmask_b32_sdwa v9, v11, v9, vcc dst_sel:DWORD dst_unused:UNUSED_PAD src0_sel:DWORD src1_sel:WORD_1
.LBB198_2383:
	s_mov_b64 s[2:3], 0
	s_mov_b64 s[4:5], -1
.LBB198_2384:
	s_andn2_b64 vcc, exec, s[2:3]
	s_mov_b64 s[2:3], 0
	s_cbranch_vccnz .LBB198_2395
; %bb.2385:
	s_cmp_gt_i32 s13, 14
	s_cbranch_scc0 .LBB198_2388
; %bb.2386:
	s_cmp_eq_u32 s13, 15
	s_cbranch_scc0 .LBB198_2391
; %bb.2387:
	global_load_ushort v9, v[0:1], off
	s_mov_b64 s[0:1], 0
	s_mov_b64 s[4:5], -1
	s_branch .LBB198_2392
.LBB198_2388:
	s_mov_b64 s[6:7], -1
                                        ; implicit-def: $vgpr9
	s_branch .LBB198_2393
.LBB198_2389:
	s_or_saveexec_b64 s[4:5], s[4:5]
	v_mov_b32_e32 v11, 0x7f800001
	s_xor_b64 exec, exec, s[4:5]
	s_cbranch_execz .LBB198_2370
.LBB198_2390:
	v_cmp_ne_u16_e32 vcc, 0, v9
	s_andn2_b64 s[2:3], s[2:3], exec
	s_and_b64 s[6:7], vcc, exec
	v_mov_b32_e32 v11, 0
	s_or_b64 s[2:3], s[2:3], s[6:7]
	s_or_b64 exec, exec, s[4:5]
	s_and_saveexec_b64 s[4:5], s[2:3]
	s_cbranch_execnz .LBB198_2371
	s_branch .LBB198_2372
.LBB198_2391:
	s_mov_b64 s[0:1], -1
                                        ; implicit-def: $vgpr9
.LBB198_2392:
	s_mov_b64 s[6:7], 0
.LBB198_2393:
	s_and_b64 vcc, exec, s[6:7]
	s_cbranch_vccz .LBB198_2395
; %bb.2394:
	s_cmp_lg_u32 s13, 11
	s_mov_b64 s[2:3], -1
	s_cselect_b64 s[0:1], -1, 0
.LBB198_2395:
	s_and_b64 vcc, exec, s[0:1]
	s_cbranch_vccnz .LBB198_2460
; %bb.2396:
	s_andn2_b64 vcc, exec, s[2:3]
	s_cbranch_vccnz .LBB198_2398
.LBB198_2397:
	global_load_ubyte v9, v[0:1], off
	s_mov_b64 s[4:5], -1
	s_waitcnt vmcnt(0)
	v_cmp_ne_u16_e32 vcc, 0, v9
	v_cndmask_b32_e64 v9, 0, 1.0, vcc
	v_lshrrev_b32_e32 v9, 16, v9
.LBB198_2398:
	s_mov_b64 s[0:1], 0
.LBB198_2399:
	s_and_b64 vcc, exec, s[0:1]
	s_cbranch_vccz .LBB198_2448
; %bb.2400:
	s_and_b32 s2, 0xffff, s26
	s_cmp_lt_i32 s2, 5
	s_cbranch_scc1 .LBB198_2405
; %bb.2401:
	s_cmp_lt_i32 s2, 8
	s_cbranch_scc1 .LBB198_2406
; %bb.2402:
	;; [unrolled: 3-line block ×3, first 2 shown]
	s_cmp_gt_i32 s2, 9
	s_cbranch_scc0 .LBB198_2408
; %bb.2404:
	global_load_dwordx2 v[11:12], v[0:1], off
	s_movk_i32 s0, 0x7fff
	s_waitcnt vmcnt(0)
	v_cvt_f32_f64_e32 v9, v[11:12]
	v_mov_b32_e32 v11, 0x7fc0
	v_bfe_u32 v12, v9, 16, 1
	v_cmp_o_f32_e32 vcc, v9, v9
	v_add3_u32 v9, v9, v12, s0
	v_cndmask_b32_sdwa v9, v11, v9, vcc dst_sel:DWORD dst_unused:UNUSED_PAD src0_sel:DWORD src1_sel:WORD_1
	s_mov_b64 s[0:1], 0
	s_branch .LBB198_2409
.LBB198_2405:
	s_mov_b64 s[0:1], -1
                                        ; implicit-def: $vgpr9
	s_branch .LBB198_2427
.LBB198_2406:
	s_mov_b64 s[0:1], -1
                                        ; implicit-def: $vgpr9
	s_branch .LBB198_2415
.LBB198_2407:
	s_mov_b64 s[0:1], -1
                                        ; implicit-def: $vgpr9
	s_branch .LBB198_2412
.LBB198_2408:
	s_mov_b64 s[0:1], -1
                                        ; implicit-def: $vgpr9
.LBB198_2409:
	s_andn2_b64 vcc, exec, s[0:1]
	s_cbranch_vccnz .LBB198_2411
; %bb.2410:
	global_load_dword v9, v[0:1], off
	s_movk_i32 s0, 0x7fff
	v_mov_b32_e32 v11, 0x7fc0
	s_waitcnt vmcnt(0)
	v_bfe_u32 v12, v9, 16, 1
	v_cmp_o_f32_e32 vcc, v9, v9
	v_add3_u32 v9, v9, v12, s0
	v_cndmask_b32_sdwa v9, v11, v9, vcc dst_sel:DWORD dst_unused:UNUSED_PAD src0_sel:DWORD src1_sel:WORD_1
.LBB198_2411:
	s_mov_b64 s[0:1], 0
.LBB198_2412:
	s_andn2_b64 vcc, exec, s[0:1]
	s_cbranch_vccnz .LBB198_2414
; %bb.2413:
	global_load_dword v9, v[0:1], off
	s_movk_i32 s0, 0x7fff
	v_mov_b32_e32 v12, 0x7fc0
	s_waitcnt vmcnt(0)
	v_cvt_f32_f16_e32 v11, v9
	v_cmp_o_f16_e32 vcc, v9, v9
	v_bfe_u32 v9, v11, 16, 1
	v_add3_u32 v9, v11, v9, s0
	v_cndmask_b32_sdwa v9, v12, v9, vcc dst_sel:DWORD dst_unused:UNUSED_PAD src0_sel:DWORD src1_sel:WORD_1
.LBB198_2414:
	s_mov_b64 s[0:1], 0
.LBB198_2415:
	s_andn2_b64 vcc, exec, s[0:1]
	s_cbranch_vccnz .LBB198_2426
; %bb.2416:
	s_cmp_lt_i32 s2, 6
	s_cbranch_scc1 .LBB198_2419
; %bb.2417:
	s_cmp_gt_i32 s2, 6
	s_cbranch_scc0 .LBB198_2420
; %bb.2418:
	global_load_dwordx2 v[11:12], v[0:1], off
	s_movk_i32 s0, 0x7fff
	s_waitcnt vmcnt(0)
	v_cvt_f32_f64_e32 v9, v[11:12]
	v_mov_b32_e32 v11, 0x7fc0
	v_bfe_u32 v12, v9, 16, 1
	v_cmp_o_f32_e32 vcc, v9, v9
	v_add3_u32 v9, v9, v12, s0
	v_cndmask_b32_sdwa v9, v11, v9, vcc dst_sel:DWORD dst_unused:UNUSED_PAD src0_sel:DWORD src1_sel:WORD_1
	s_mov_b64 s[0:1], 0
	s_branch .LBB198_2421
.LBB198_2419:
	s_mov_b64 s[0:1], -1
                                        ; implicit-def: $vgpr9
	s_branch .LBB198_2424
.LBB198_2420:
	s_mov_b64 s[0:1], -1
                                        ; implicit-def: $vgpr9
.LBB198_2421:
	s_andn2_b64 vcc, exec, s[0:1]
	s_cbranch_vccnz .LBB198_2423
; %bb.2422:
	global_load_dword v9, v[0:1], off
	s_movk_i32 s0, 0x7fff
	v_mov_b32_e32 v11, 0x7fc0
	s_waitcnt vmcnt(0)
	v_bfe_u32 v12, v9, 16, 1
	v_cmp_o_f32_e32 vcc, v9, v9
	v_add3_u32 v9, v9, v12, s0
	v_cndmask_b32_sdwa v9, v11, v9, vcc dst_sel:DWORD dst_unused:UNUSED_PAD src0_sel:DWORD src1_sel:WORD_1
.LBB198_2423:
	s_mov_b64 s[0:1], 0
.LBB198_2424:
	s_andn2_b64 vcc, exec, s[0:1]
	s_cbranch_vccnz .LBB198_2426
; %bb.2425:
	global_load_ushort v9, v[0:1], off
	s_movk_i32 s0, 0x7fff
	v_mov_b32_e32 v12, 0x7fc0
	s_waitcnt vmcnt(0)
	v_cvt_f32_f16_e32 v11, v9
	v_cmp_o_f16_e32 vcc, v9, v9
	v_bfe_u32 v9, v11, 16, 1
	v_add3_u32 v9, v11, v9, s0
	v_cndmask_b32_sdwa v9, v12, v9, vcc dst_sel:DWORD dst_unused:UNUSED_PAD src0_sel:DWORD src1_sel:WORD_1
.LBB198_2426:
	s_mov_b64 s[0:1], 0
.LBB198_2427:
	s_andn2_b64 vcc, exec, s[0:1]
	s_cbranch_vccnz .LBB198_2447
; %bb.2428:
	s_cmp_lt_i32 s2, 2
	s_cbranch_scc1 .LBB198_2432
; %bb.2429:
	s_cmp_lt_i32 s2, 3
	s_cbranch_scc1 .LBB198_2433
; %bb.2430:
	s_cmp_gt_i32 s2, 3
	s_cbranch_scc0 .LBB198_2434
; %bb.2431:
	global_load_dwordx2 v[11:12], v[0:1], off
	s_movk_i32 s0, 0x7fff
	s_waitcnt vmcnt(0)
	v_xor_b32_e32 v13, v11, v12
	v_ffbh_i32_e32 v9, v12
	v_ashrrev_i32_e32 v13, 31, v13
	v_add_u32_e32 v9, -1, v9
	v_add_u32_e32 v13, 32, v13
	v_min_u32_e32 v9, v9, v13
	v_lshlrev_b64 v[11:12], v9, v[11:12]
	v_sub_u32_e32 v9, 32, v9
	v_min_u32_e32 v11, 1, v11
	v_or_b32_e32 v11, v12, v11
	v_cvt_f32_i32_e32 v11, v11
	v_ldexp_f32 v9, v11, v9
	v_bfe_u32 v11, v9, 16, 1
	v_add3_u32 v9, v9, v11, s0
	v_lshrrev_b32_e32 v9, 16, v9
	s_mov_b64 s[0:1], 0
	s_branch .LBB198_2435
.LBB198_2432:
	s_mov_b64 s[0:1], -1
                                        ; implicit-def: $vgpr9
	s_branch .LBB198_2441
.LBB198_2433:
	s_mov_b64 s[0:1], -1
                                        ; implicit-def: $vgpr9
	s_branch .LBB198_2438
.LBB198_2434:
	s_mov_b64 s[0:1], -1
                                        ; implicit-def: $vgpr9
.LBB198_2435:
	s_andn2_b64 vcc, exec, s[0:1]
	s_cbranch_vccnz .LBB198_2437
; %bb.2436:
	global_load_dword v9, v[0:1], off
	s_movk_i32 s0, 0x7fff
	s_waitcnt vmcnt(0)
	v_cvt_f32_i32_e32 v9, v9
	v_bfe_u32 v11, v9, 16, 1
	v_add3_u32 v9, v9, v11, s0
	v_lshrrev_b32_e32 v9, 16, v9
.LBB198_2437:
	s_mov_b64 s[0:1], 0
.LBB198_2438:
	s_andn2_b64 vcc, exec, s[0:1]
	s_cbranch_vccnz .LBB198_2440
; %bb.2439:
	global_load_sshort v9, v[0:1], off
	s_movk_i32 s0, 0x7fff
	s_waitcnt vmcnt(0)
	v_cvt_f32_i32_e32 v9, v9
	v_bfe_u32 v11, v9, 16, 1
	v_add3_u32 v9, v9, v11, s0
	v_lshrrev_b32_e32 v9, 16, v9
.LBB198_2440:
	s_mov_b64 s[0:1], 0
.LBB198_2441:
	s_andn2_b64 vcc, exec, s[0:1]
	s_cbranch_vccnz .LBB198_2447
; %bb.2442:
	s_cmp_gt_i32 s2, 0
	s_cbranch_scc0 .LBB198_2444
; %bb.2443:
	global_load_sbyte v9, v[0:1], off
	s_movk_i32 s0, 0x7fff
	s_waitcnt vmcnt(0)
	v_cvt_f32_i32_e32 v9, v9
	v_bfe_u32 v11, v9, 16, 1
	v_add3_u32 v9, v9, v11, s0
	v_lshrrev_b32_e32 v9, 16, v9
	s_mov_b64 s[0:1], 0
	s_branch .LBB198_2445
.LBB198_2444:
	s_mov_b64 s[0:1], -1
                                        ; implicit-def: $vgpr9
.LBB198_2445:
	s_andn2_b64 vcc, exec, s[0:1]
	s_cbranch_vccnz .LBB198_2447
; %bb.2446:
	global_load_ubyte v0, v[0:1], off
	s_movk_i32 s0, 0x7fff
	s_waitcnt vmcnt(0)
	v_cvt_f32_ubyte0_e32 v0, v0
	v_bfe_u32 v1, v0, 16, 1
	v_add3_u32 v0, v0, v1, s0
	v_lshrrev_b32_e32 v9, 16, v0
.LBB198_2447:
	s_mov_b64 s[4:5], -1
.LBB198_2448:
	s_andn2_b64 vcc, exec, s[4:5]
	s_cbranch_vccnz .LBB198_3012
; %bb.2449:
	v_add_u32_e32 v0, s14, v10
	v_ashrrev_i32_e32 v1, 31, v0
	v_mov_b32_e32 v10, s17
	v_add_co_u32_e32 v0, vcc, s16, v0
	s_cmp_lt_i32 s27, 11
	v_addc_co_u32_e32 v1, vcc, v10, v1, vcc
	s_cbranch_scc1 .LBB198_2456
; %bb.2450:
	s_and_b32 s13, 0xffff, s27
	s_cmp_gt_i32 s13, 25
	s_mov_b64 s[2:3], 0
	s_cbranch_scc0 .LBB198_2457
; %bb.2451:
	s_cmp_gt_i32 s13, 28
	s_cbranch_scc0 .LBB198_2458
; %bb.2452:
	s_cmp_gt_i32 s13, 43
	;; [unrolled: 3-line block ×3, first 2 shown]
	s_cbranch_scc0 .LBB198_2461
; %bb.2454:
	s_cmp_eq_u32 s13, 46
	s_mov_b64 s[6:7], 0
	s_cbranch_scc0 .LBB198_2462
; %bb.2455:
	global_load_dword v10, v[0:1], off
	s_mov_b64 s[0:1], 0
	s_mov_b64 s[4:5], -1
	s_branch .LBB198_2463
.LBB198_2456:
	s_mov_b64 s[0:1], -1
	s_mov_b64 s[4:5], 0
                                        ; implicit-def: $vgpr10
	s_branch .LBB198_2529
.LBB198_2457:
	s_mov_b64 s[6:7], -1
	s_mov_b64 s[4:5], 0
	s_mov_b64 s[0:1], 0
                                        ; implicit-def: $vgpr10
	s_branch .LBB198_2492
.LBB198_2458:
	s_mov_b64 s[6:7], -1
	s_mov_b64 s[4:5], 0
	s_mov_b64 s[0:1], 0
                                        ; implicit-def: $vgpr10
	s_branch .LBB198_2473
.LBB198_2459:
	s_mov_b64 s[6:7], -1
	s_mov_b64 s[4:5], 0
	s_mov_b64 s[0:1], 0
                                        ; implicit-def: $vgpr10
	s_branch .LBB198_2468
.LBB198_2460:
	s_trap 2
	s_or_b64 s[22:23], s[22:23], exec
	s_cbranch_execz .LBB198_2397
	s_branch .LBB198_2398
.LBB198_2461:
	s_mov_b64 s[6:7], -1
	s_mov_b64 s[4:5], 0
	s_mov_b64 s[0:1], 0
                                        ; implicit-def: $vgpr10
	s_branch .LBB198_2463
.LBB198_2462:
	s_mov_b64 s[0:1], -1
                                        ; implicit-def: $vgpr10
	s_mov_b64 s[4:5], 0
.LBB198_2463:
	s_and_b64 vcc, exec, s[6:7]
	s_cbranch_vccz .LBB198_2467
; %bb.2464:
	s_cmp_eq_u32 s13, 44
	s_cbranch_scc0 .LBB198_2466
; %bb.2465:
	global_load_ubyte v10, v[0:1], off
	s_movk_i32 s4, 0xff
	v_mov_b32_e32 v11, 0x7f800001
	v_mov_b32_e32 v12, 0x400000
	;; [unrolled: 1-line block ×3, first 2 shown]
	s_mov_b64 s[0:1], 0
	s_waitcnt vmcnt(0)
	v_lshlrev_b32_e32 v14, 23, v10
	v_cmp_ne_u32_e32 vcc, s4, v10
	v_cndmask_b32_e32 v11, v11, v14, vcc
	v_cmp_ne_u32_e32 vcc, 0, v10
	v_cndmask_b32_e32 v10, v12, v11, vcc
	v_add_u32_e32 v11, 0x7fff, v10
	v_cmp_o_f32_e32 vcc, v10, v10
	v_cndmask_b32_sdwa v10, v13, v11, vcc dst_sel:DWORD dst_unused:UNUSED_PAD src0_sel:DWORD src1_sel:WORD_1
	s_mov_b64 s[4:5], -1
	s_branch .LBB198_2467
.LBB198_2466:
	s_mov_b64 s[0:1], -1
                                        ; implicit-def: $vgpr10
.LBB198_2467:
	s_mov_b64 s[6:7], 0
.LBB198_2468:
	s_and_b64 vcc, exec, s[6:7]
	s_cbranch_vccz .LBB198_2472
; %bb.2469:
	s_cmp_eq_u32 s13, 29
	s_cbranch_scc0 .LBB198_2471
; %bb.2470:
	global_load_dwordx2 v[10:11], v[0:1], off
	s_movk_i32 s4, 0x7fff
	s_mov_b64 s[0:1], 0
	s_mov_b64 s[6:7], 0
	s_waitcnt vmcnt(0)
	v_ffbh_u32_e32 v12, v11
	v_min_u32_e32 v12, 32, v12
	v_lshlrev_b64 v[10:11], v12, v[10:11]
	v_min_u32_e32 v10, 1, v10
	v_or_b32_e32 v10, v11, v10
	v_cvt_f32_u32_e32 v10, v10
	v_sub_u32_e32 v11, 32, v12
	v_ldexp_f32 v10, v10, v11
	v_bfe_u32 v11, v10, 16, 1
	v_add3_u32 v10, v10, v11, s4
	v_lshrrev_b32_e32 v10, 16, v10
	s_mov_b64 s[4:5], -1
	s_branch .LBB198_2473
.LBB198_2471:
	s_mov_b64 s[0:1], -1
                                        ; implicit-def: $vgpr10
.LBB198_2472:
	s_mov_b64 s[6:7], 0
.LBB198_2473:
	s_and_b64 vcc, exec, s[6:7]
	s_cbranch_vccz .LBB198_2491
; %bb.2474:
	s_cmp_lt_i32 s13, 27
	s_cbranch_scc1 .LBB198_2477
; %bb.2475:
	s_cmp_gt_i32 s13, 27
	s_cbranch_scc0 .LBB198_2478
; %bb.2476:
	global_load_dword v10, v[0:1], off
	s_movk_i32 s4, 0x7fff
	s_waitcnt vmcnt(0)
	v_cvt_f32_u32_e32 v10, v10
	v_bfe_u32 v11, v10, 16, 1
	v_add3_u32 v10, v10, v11, s4
	v_lshrrev_b32_e32 v10, 16, v10
	s_mov_b64 s[4:5], 0
	s_branch .LBB198_2479
.LBB198_2477:
	s_mov_b64 s[4:5], -1
                                        ; implicit-def: $vgpr10
	s_branch .LBB198_2482
.LBB198_2478:
	s_mov_b64 s[4:5], -1
                                        ; implicit-def: $vgpr10
.LBB198_2479:
	s_andn2_b64 vcc, exec, s[4:5]
	s_cbranch_vccnz .LBB198_2481
; %bb.2480:
	global_load_ushort v10, v[0:1], off
	s_movk_i32 s4, 0x7fff
	s_waitcnt vmcnt(0)
	v_cvt_f32_u32_e32 v10, v10
	v_bfe_u32 v11, v10, 16, 1
	v_add3_u32 v10, v10, v11, s4
	v_lshrrev_b32_e32 v10, 16, v10
.LBB198_2481:
	s_mov_b64 s[4:5], 0
.LBB198_2482:
	s_andn2_b64 vcc, exec, s[4:5]
	s_cbranch_vccnz .LBB198_2490
; %bb.2483:
	global_load_ubyte v10, v[0:1], off
	s_movk_i32 s4, 0x7f
	s_waitcnt vmcnt(0)
	v_cmp_lt_i16_e32 vcc, s4, v10
	s_mov_b64 s[4:5], 0
	s_and_saveexec_b64 s[6:7], vcc
	s_xor_b64 s[6:7], exec, s[6:7]
	s_cbranch_execz .LBB198_2504
; %bb.2484:
	s_movk_i32 s4, 0x80
	v_cmp_eq_u16_e32 vcc, s4, v10
	s_mov_b64 s[4:5], -1
	s_and_saveexec_b64 s[10:11], vcc
; %bb.2485:
	s_xor_b64 s[4:5], exec, -1
; %bb.2486:
	s_or_b64 exec, exec, s[10:11]
	s_and_b64 s[4:5], s[4:5], exec
	s_or_saveexec_b64 s[6:7], s[6:7]
	v_mov_b32_e32 v11, 0x7f800001
	s_xor_b64 exec, exec, s[6:7]
	s_cbranch_execnz .LBB198_2505
.LBB198_2487:
	s_or_b64 exec, exec, s[6:7]
	s_and_saveexec_b64 s[6:7], s[4:5]
	s_cbranch_execz .LBB198_2489
.LBB198_2488:
	v_lshlrev_b32_e32 v11, 24, v10
	v_and_b32_e32 v10, 0xffff, v10
	v_and_b32_e32 v12, 7, v10
	v_ffbh_u32_e32 v14, v12
	v_min_u32_e32 v14, 32, v14
	v_subrev_u32_e32 v15, 28, v14
	v_bfe_u32 v13, v10, 3, 4
	v_lshlrev_b32_e32 v10, v15, v10
	v_sub_u32_e32 v14, 29, v14
	v_and_b32_e32 v10, 7, v10
	v_cmp_eq_u32_e32 vcc, 0, v13
	v_cndmask_b32_e32 v13, v13, v14, vcc
	v_cndmask_b32_e32 v10, v12, v10, vcc
	v_mov_b32_e32 v12, 0x3b800000
	v_lshlrev_b32_e32 v10, 20, v10
	v_and_b32_e32 v11, 0x80000000, v11
	v_lshl_add_u32 v12, v13, 23, v12
	v_or3_b32 v11, v11, v12, v10
.LBB198_2489:
	s_or_b64 exec, exec, s[6:7]
	v_bfe_u32 v10, v11, 16, 1
	s_movk_i32 s4, 0x7fff
	v_add3_u32 v10, v11, v10, s4
	v_cmp_o_f32_e32 vcc, v11, v11
	v_mov_b32_e32 v11, 0x7fc0
	v_cndmask_b32_sdwa v10, v11, v10, vcc dst_sel:DWORD dst_unused:UNUSED_PAD src0_sel:DWORD src1_sel:WORD_1
.LBB198_2490:
	s_mov_b64 s[4:5], -1
.LBB198_2491:
	s_mov_b64 s[6:7], 0
.LBB198_2492:
	s_and_b64 vcc, exec, s[6:7]
	s_cbranch_vccz .LBB198_2525
; %bb.2493:
	s_cmp_gt_i32 s13, 22
	s_cbranch_scc0 .LBB198_2503
; %bb.2494:
	s_cmp_lt_i32 s13, 24
	s_cbranch_scc1 .LBB198_2506
; %bb.2495:
	s_cmp_gt_i32 s13, 24
	s_cbranch_scc0 .LBB198_2507
; %bb.2496:
	global_load_ubyte v10, v[0:1], off
	s_movk_i32 s2, 0x7f
	s_waitcnt vmcnt(0)
	v_cmp_lt_i16_e32 vcc, s2, v10
	s_mov_b64 s[2:3], 0
	s_and_saveexec_b64 s[4:5], vcc
	s_xor_b64 s[4:5], exec, s[4:5]
	s_cbranch_execz .LBB198_2519
; %bb.2497:
	s_movk_i32 s2, 0x80
	v_cmp_eq_u16_e32 vcc, s2, v10
	s_mov_b64 s[2:3], -1
	s_and_saveexec_b64 s[6:7], vcc
; %bb.2498:
	s_xor_b64 s[2:3], exec, -1
; %bb.2499:
	s_or_b64 exec, exec, s[6:7]
	s_and_b64 s[2:3], s[2:3], exec
	s_or_saveexec_b64 s[4:5], s[4:5]
	v_mov_b32_e32 v11, 0x7f800001
	s_xor_b64 exec, exec, s[4:5]
	s_cbranch_execnz .LBB198_2520
.LBB198_2500:
	s_or_b64 exec, exec, s[4:5]
	s_and_saveexec_b64 s[4:5], s[2:3]
	s_cbranch_execz .LBB198_2502
.LBB198_2501:
	v_lshlrev_b32_e32 v11, 24, v10
	v_and_b32_e32 v10, 0xffff, v10
	v_and_b32_e32 v12, 3, v10
	v_ffbh_u32_e32 v14, v12
	v_min_u32_e32 v14, 32, v14
	v_subrev_u32_e32 v15, 29, v14
	v_bfe_u32 v13, v10, 2, 5
	v_lshlrev_b32_e32 v10, v15, v10
	v_sub_u32_e32 v14, 30, v14
	v_and_b32_e32 v10, 3, v10
	v_cmp_eq_u32_e32 vcc, 0, v13
	v_cndmask_b32_e32 v13, v13, v14, vcc
	v_cndmask_b32_e32 v10, v12, v10, vcc
	v_mov_b32_e32 v12, 0x37800000
	v_lshlrev_b32_e32 v10, 21, v10
	v_and_b32_e32 v11, 0x80000000, v11
	v_lshl_add_u32 v12, v13, 23, v12
	v_or3_b32 v11, v11, v12, v10
.LBB198_2502:
	s_or_b64 exec, exec, s[4:5]
	v_bfe_u32 v10, v11, 16, 1
	s_movk_i32 s2, 0x7fff
	v_add3_u32 v10, v11, v10, s2
	v_cmp_o_f32_e32 vcc, v11, v11
	v_mov_b32_e32 v11, 0x7fc0
	v_cndmask_b32_sdwa v10, v11, v10, vcc dst_sel:DWORD dst_unused:UNUSED_PAD src0_sel:DWORD src1_sel:WORD_1
	s_mov_b64 s[2:3], 0
	s_branch .LBB198_2508
.LBB198_2503:
	s_mov_b64 s[2:3], -1
                                        ; implicit-def: $vgpr10
	s_branch .LBB198_2514
.LBB198_2504:
	s_or_saveexec_b64 s[6:7], s[6:7]
	v_mov_b32_e32 v11, 0x7f800001
	s_xor_b64 exec, exec, s[6:7]
	s_cbranch_execz .LBB198_2487
.LBB198_2505:
	v_cmp_ne_u16_e32 vcc, 0, v10
	s_andn2_b64 s[4:5], s[4:5], exec
	s_and_b64 s[10:11], vcc, exec
	v_mov_b32_e32 v11, 0
	s_or_b64 s[4:5], s[4:5], s[10:11]
	s_or_b64 exec, exec, s[6:7]
	s_and_saveexec_b64 s[6:7], s[4:5]
	s_cbranch_execnz .LBB198_2488
	s_branch .LBB198_2489
.LBB198_2506:
	s_mov_b64 s[2:3], -1
                                        ; implicit-def: $vgpr10
	s_branch .LBB198_2511
.LBB198_2507:
	s_mov_b64 s[2:3], -1
                                        ; implicit-def: $vgpr10
.LBB198_2508:
	s_and_b64 vcc, exec, s[2:3]
	s_cbranch_vccz .LBB198_2510
; %bb.2509:
	global_load_ubyte v10, v[0:1], off
	s_mov_b32 s2, 0x7f800000
	s_brev_b32 s3, 1
	s_movk_i32 s4, 0x7fff
	s_waitcnt vmcnt(0)
	v_lshlrev_b32_e32 v10, 24, v10
	v_and_b32_e32 v11, 0x7f000000, v10
	v_ffbh_u32_e32 v12, v11
	v_min_u32_e32 v12, 32, v12
	v_sub_u32_e64 v12, v12, 4 clamp
	v_lshlrev_b32_e32 v14, v12, v11
	v_lshlrev_b32_e32 v12, 23, v12
	v_lshrrev_b32_e32 v14, 4, v14
	v_add_u32_e32 v13, 0x1000000, v11
	v_sub_u32_e32 v12, v14, v12
	v_ashrrev_i32_e32 v13, 8, v13
	v_add_u32_e32 v12, 0x3c000000, v12
	v_and_or_b32 v12, v13, s2, v12
	v_cmp_ne_u32_e32 vcc, 0, v11
	v_cndmask_b32_e32 v11, 0, v12, vcc
	v_and_or_b32 v10, v10, s3, v11
	v_bfe_u32 v11, v11, 16, 1
	v_add3_u32 v11, v10, v11, s4
	v_cmp_o_f32_e32 vcc, v10, v10
	v_mov_b32_e32 v10, 0x7fc0
	v_cndmask_b32_sdwa v10, v10, v11, vcc dst_sel:DWORD dst_unused:UNUSED_PAD src0_sel:DWORD src1_sel:WORD_1
.LBB198_2510:
	s_mov_b64 s[2:3], 0
.LBB198_2511:
	s_andn2_b64 vcc, exec, s[2:3]
	s_cbranch_vccnz .LBB198_2513
; %bb.2512:
	global_load_ubyte v10, v[0:1], off
	s_movk_i32 s2, 0x7f00
	s_brev_b32 s3, 16
	s_brev_b32 s4, 1
	s_movk_i32 s5, 0x7fff
	s_waitcnt vmcnt(0)
	v_lshlrev_b16_e32 v11, 8, v10
	v_lshlrev_b32_e32 v10, 25, v10
	v_lshrrev_b32_e32 v12, 4, v10
	v_and_or_b32 v13, v11, s2, 0.5
	v_or_b32_e32 v12, 0x70000000, v12
	v_add_f32_e32 v13, -0.5, v13
	v_mul_f32_e32 v12, 0x7800000, v12
	v_cmp_gt_u32_e32 vcc, s3, v10
	v_bfe_i32 v11, v11, 0, 16
	v_cndmask_b32_e32 v10, v12, v13, vcc
	v_and_or_b32 v11, v11, s4, v10
	v_bfe_u32 v10, v10, 16, 1
	v_add3_u32 v10, v11, v10, s5
	v_cmp_o_f32_e32 vcc, v11, v11
	v_mov_b32_e32 v11, 0x7fc0
	v_cndmask_b32_sdwa v10, v11, v10, vcc dst_sel:DWORD dst_unused:UNUSED_PAD src0_sel:DWORD src1_sel:WORD_1
.LBB198_2513:
	s_mov_b64 s[2:3], 0
	s_mov_b64 s[4:5], -1
.LBB198_2514:
	s_andn2_b64 vcc, exec, s[2:3]
	s_mov_b64 s[2:3], 0
	s_cbranch_vccnz .LBB198_2525
; %bb.2515:
	s_cmp_gt_i32 s13, 14
	s_cbranch_scc0 .LBB198_2518
; %bb.2516:
	s_cmp_eq_u32 s13, 15
	s_cbranch_scc0 .LBB198_2521
; %bb.2517:
	global_load_ushort v10, v[0:1], off
	s_mov_b64 s[0:1], 0
	s_mov_b64 s[4:5], -1
	s_branch .LBB198_2522
.LBB198_2518:
	s_mov_b64 s[6:7], -1
                                        ; implicit-def: $vgpr10
	s_branch .LBB198_2523
.LBB198_2519:
	s_or_saveexec_b64 s[4:5], s[4:5]
	v_mov_b32_e32 v11, 0x7f800001
	s_xor_b64 exec, exec, s[4:5]
	s_cbranch_execz .LBB198_2500
.LBB198_2520:
	v_cmp_ne_u16_e32 vcc, 0, v10
	s_andn2_b64 s[2:3], s[2:3], exec
	s_and_b64 s[6:7], vcc, exec
	v_mov_b32_e32 v11, 0
	s_or_b64 s[2:3], s[2:3], s[6:7]
	s_or_b64 exec, exec, s[4:5]
	s_and_saveexec_b64 s[4:5], s[2:3]
	s_cbranch_execnz .LBB198_2501
	s_branch .LBB198_2502
.LBB198_2521:
	s_mov_b64 s[0:1], -1
                                        ; implicit-def: $vgpr10
.LBB198_2522:
	s_mov_b64 s[6:7], 0
.LBB198_2523:
	s_and_b64 vcc, exec, s[6:7]
	s_cbranch_vccz .LBB198_2525
; %bb.2524:
	s_cmp_lg_u32 s13, 11
	s_mov_b64 s[2:3], -1
	s_cselect_b64 s[0:1], -1, 0
.LBB198_2525:
	s_and_b64 vcc, exec, s[0:1]
	s_cbranch_vccnz .LBB198_3058
; %bb.2526:
	s_andn2_b64 vcc, exec, s[2:3]
	s_cbranch_vccnz .LBB198_2528
.LBB198_2527:
	global_load_ubyte v10, v[0:1], off
	s_mov_b64 s[4:5], -1
	s_waitcnt vmcnt(0)
	v_cmp_ne_u16_e32 vcc, 0, v10
	v_cndmask_b32_e64 v10, 0, 1.0, vcc
	v_lshrrev_b32_e32 v10, 16, v10
.LBB198_2528:
	s_mov_b64 s[0:1], 0
.LBB198_2529:
	s_and_b64 vcc, exec, s[0:1]
	s_cbranch_vccz .LBB198_2578
; %bb.2530:
	s_and_b32 s2, 0xffff, s27
	s_cmp_lt_i32 s2, 5
	s_cbranch_scc1 .LBB198_2535
; %bb.2531:
	s_cmp_lt_i32 s2, 8
	s_cbranch_scc1 .LBB198_2536
; %bb.2532:
	;; [unrolled: 3-line block ×3, first 2 shown]
	s_cmp_gt_i32 s2, 9
	s_cbranch_scc0 .LBB198_2538
; %bb.2534:
	global_load_dwordx2 v[10:11], v[0:1], off
	s_movk_i32 s0, 0x7fff
	s_waitcnt vmcnt(0)
	v_cvt_f32_f64_e32 v10, v[10:11]
	v_mov_b32_e32 v11, 0x7fc0
	v_bfe_u32 v12, v10, 16, 1
	v_cmp_o_f32_e32 vcc, v10, v10
	v_add3_u32 v10, v10, v12, s0
	v_cndmask_b32_sdwa v10, v11, v10, vcc dst_sel:DWORD dst_unused:UNUSED_PAD src0_sel:DWORD src1_sel:WORD_1
	s_mov_b64 s[0:1], 0
	s_branch .LBB198_2539
.LBB198_2535:
	s_mov_b64 s[0:1], -1
                                        ; implicit-def: $vgpr10
	s_branch .LBB198_2557
.LBB198_2536:
	s_mov_b64 s[0:1], -1
                                        ; implicit-def: $vgpr10
	s_branch .LBB198_2545
.LBB198_2537:
	s_mov_b64 s[0:1], -1
                                        ; implicit-def: $vgpr10
	s_branch .LBB198_2542
.LBB198_2538:
	s_mov_b64 s[0:1], -1
                                        ; implicit-def: $vgpr10
.LBB198_2539:
	s_andn2_b64 vcc, exec, s[0:1]
	s_cbranch_vccnz .LBB198_2541
; %bb.2540:
	global_load_dword v10, v[0:1], off
	s_movk_i32 s0, 0x7fff
	v_mov_b32_e32 v11, 0x7fc0
	s_waitcnt vmcnt(0)
	v_bfe_u32 v12, v10, 16, 1
	v_cmp_o_f32_e32 vcc, v10, v10
	v_add3_u32 v10, v10, v12, s0
	v_cndmask_b32_sdwa v10, v11, v10, vcc dst_sel:DWORD dst_unused:UNUSED_PAD src0_sel:DWORD src1_sel:WORD_1
.LBB198_2541:
	s_mov_b64 s[0:1], 0
.LBB198_2542:
	s_andn2_b64 vcc, exec, s[0:1]
	s_cbranch_vccnz .LBB198_2544
; %bb.2543:
	global_load_dword v10, v[0:1], off
	s_movk_i32 s0, 0x7fff
	v_mov_b32_e32 v12, 0x7fc0
	s_waitcnt vmcnt(0)
	v_cvt_f32_f16_e32 v11, v10
	v_cmp_o_f16_e32 vcc, v10, v10
	v_bfe_u32 v10, v11, 16, 1
	v_add3_u32 v10, v11, v10, s0
	v_cndmask_b32_sdwa v10, v12, v10, vcc dst_sel:DWORD dst_unused:UNUSED_PAD src0_sel:DWORD src1_sel:WORD_1
.LBB198_2544:
	s_mov_b64 s[0:1], 0
.LBB198_2545:
	s_andn2_b64 vcc, exec, s[0:1]
	s_cbranch_vccnz .LBB198_2556
; %bb.2546:
	s_cmp_lt_i32 s2, 6
	s_cbranch_scc1 .LBB198_2549
; %bb.2547:
	s_cmp_gt_i32 s2, 6
	s_cbranch_scc0 .LBB198_2550
; %bb.2548:
	global_load_dwordx2 v[10:11], v[0:1], off
	s_movk_i32 s0, 0x7fff
	s_waitcnt vmcnt(0)
	v_cvt_f32_f64_e32 v10, v[10:11]
	v_mov_b32_e32 v11, 0x7fc0
	v_bfe_u32 v12, v10, 16, 1
	v_cmp_o_f32_e32 vcc, v10, v10
	v_add3_u32 v10, v10, v12, s0
	v_cndmask_b32_sdwa v10, v11, v10, vcc dst_sel:DWORD dst_unused:UNUSED_PAD src0_sel:DWORD src1_sel:WORD_1
	s_mov_b64 s[0:1], 0
	s_branch .LBB198_2551
.LBB198_2549:
	s_mov_b64 s[0:1], -1
                                        ; implicit-def: $vgpr10
	s_branch .LBB198_2554
.LBB198_2550:
	s_mov_b64 s[0:1], -1
                                        ; implicit-def: $vgpr10
.LBB198_2551:
	s_andn2_b64 vcc, exec, s[0:1]
	s_cbranch_vccnz .LBB198_2553
; %bb.2552:
	global_load_dword v10, v[0:1], off
	s_movk_i32 s0, 0x7fff
	v_mov_b32_e32 v11, 0x7fc0
	s_waitcnt vmcnt(0)
	v_bfe_u32 v12, v10, 16, 1
	v_cmp_o_f32_e32 vcc, v10, v10
	v_add3_u32 v10, v10, v12, s0
	v_cndmask_b32_sdwa v10, v11, v10, vcc dst_sel:DWORD dst_unused:UNUSED_PAD src0_sel:DWORD src1_sel:WORD_1
.LBB198_2553:
	s_mov_b64 s[0:1], 0
.LBB198_2554:
	s_andn2_b64 vcc, exec, s[0:1]
	s_cbranch_vccnz .LBB198_2556
; %bb.2555:
	global_load_ushort v10, v[0:1], off
	s_movk_i32 s0, 0x7fff
	v_mov_b32_e32 v12, 0x7fc0
	s_waitcnt vmcnt(0)
	v_cvt_f32_f16_e32 v11, v10
	v_cmp_o_f16_e32 vcc, v10, v10
	v_bfe_u32 v10, v11, 16, 1
	v_add3_u32 v10, v11, v10, s0
	v_cndmask_b32_sdwa v10, v12, v10, vcc dst_sel:DWORD dst_unused:UNUSED_PAD src0_sel:DWORD src1_sel:WORD_1
.LBB198_2556:
	s_mov_b64 s[0:1], 0
.LBB198_2557:
	s_andn2_b64 vcc, exec, s[0:1]
	s_cbranch_vccnz .LBB198_2577
; %bb.2558:
	s_cmp_lt_i32 s2, 2
	s_cbranch_scc1 .LBB198_2562
; %bb.2559:
	s_cmp_lt_i32 s2, 3
	s_cbranch_scc1 .LBB198_2563
; %bb.2560:
	s_cmp_gt_i32 s2, 3
	s_cbranch_scc0 .LBB198_2564
; %bb.2561:
	global_load_dwordx2 v[10:11], v[0:1], off
	s_movk_i32 s0, 0x7fff
	s_waitcnt vmcnt(0)
	v_xor_b32_e32 v13, v10, v11
	v_ffbh_i32_e32 v12, v11
	v_ashrrev_i32_e32 v13, 31, v13
	v_add_u32_e32 v12, -1, v12
	v_add_u32_e32 v13, 32, v13
	v_min_u32_e32 v12, v12, v13
	v_lshlrev_b64 v[10:11], v12, v[10:11]
	v_min_u32_e32 v10, 1, v10
	v_or_b32_e32 v10, v11, v10
	v_cvt_f32_i32_e32 v10, v10
	v_sub_u32_e32 v11, 32, v12
	v_ldexp_f32 v10, v10, v11
	v_bfe_u32 v11, v10, 16, 1
	v_add3_u32 v10, v10, v11, s0
	v_lshrrev_b32_e32 v10, 16, v10
	s_mov_b64 s[0:1], 0
	s_branch .LBB198_2565
.LBB198_2562:
	s_mov_b64 s[0:1], -1
                                        ; implicit-def: $vgpr10
	s_branch .LBB198_2571
.LBB198_2563:
	s_mov_b64 s[0:1], -1
                                        ; implicit-def: $vgpr10
	s_branch .LBB198_2568
.LBB198_2564:
	s_mov_b64 s[0:1], -1
                                        ; implicit-def: $vgpr10
.LBB198_2565:
	s_andn2_b64 vcc, exec, s[0:1]
	s_cbranch_vccnz .LBB198_2567
; %bb.2566:
	global_load_dword v10, v[0:1], off
	s_movk_i32 s0, 0x7fff
	s_waitcnt vmcnt(0)
	v_cvt_f32_i32_e32 v10, v10
	v_bfe_u32 v11, v10, 16, 1
	v_add3_u32 v10, v10, v11, s0
	v_lshrrev_b32_e32 v10, 16, v10
.LBB198_2567:
	s_mov_b64 s[0:1], 0
.LBB198_2568:
	s_andn2_b64 vcc, exec, s[0:1]
	s_cbranch_vccnz .LBB198_2570
; %bb.2569:
	global_load_sshort v10, v[0:1], off
	s_movk_i32 s0, 0x7fff
	s_waitcnt vmcnt(0)
	v_cvt_f32_i32_e32 v10, v10
	v_bfe_u32 v11, v10, 16, 1
	v_add3_u32 v10, v10, v11, s0
	v_lshrrev_b32_e32 v10, 16, v10
.LBB198_2570:
	s_mov_b64 s[0:1], 0
.LBB198_2571:
	s_andn2_b64 vcc, exec, s[0:1]
	s_cbranch_vccnz .LBB198_2577
; %bb.2572:
	s_cmp_gt_i32 s2, 0
	s_cbranch_scc0 .LBB198_2574
; %bb.2573:
	global_load_sbyte v10, v[0:1], off
	s_movk_i32 s0, 0x7fff
	s_waitcnt vmcnt(0)
	v_cvt_f32_i32_e32 v10, v10
	v_bfe_u32 v11, v10, 16, 1
	v_add3_u32 v10, v10, v11, s0
	v_lshrrev_b32_e32 v10, 16, v10
	s_mov_b64 s[0:1], 0
	s_branch .LBB198_2575
.LBB198_2574:
	s_mov_b64 s[0:1], -1
                                        ; implicit-def: $vgpr10
.LBB198_2575:
	s_andn2_b64 vcc, exec, s[0:1]
	s_cbranch_vccnz .LBB198_2577
; %bb.2576:
	global_load_ubyte v0, v[0:1], off
	s_movk_i32 s0, 0x7fff
	s_waitcnt vmcnt(0)
	v_cvt_f32_ubyte0_e32 v0, v0
	v_bfe_u32 v1, v0, 16, 1
	v_add3_u32 v0, v0, v1, s0
	v_lshrrev_b32_e32 v10, 16, v0
.LBB198_2577:
	s_mov_b64 s[4:5], -1
.LBB198_2578:
	s_andn2_b64 vcc, exec, s[4:5]
	s_cbranch_vccnz .LBB198_3012
; %bb.2579:
	s_waitcnt vmcnt(0)
	v_lshlrev_b32_e32 v0, 16, v3
	v_lshlrev_b32_e32 v1, 16, v4
	v_cmp_eq_f32_e32 vcc, v0, v1
	s_cmp_eq_u32 s15, 0
	v_cndmask_b32_e64 v3, 0, 1, vcc
	v_cmp_neq_f32_e32 vcc, v0, v1
	v_mul_lo_u32 v2, s12, v2
	v_cndmask_b32_e64 v0, 0, 1, vcc
	s_cselect_b64 s[0:1], -1, 0
	v_cndmask_b32_e64 v0, v0, v3, s[0:1]
	v_and_b32_e32 v0, 1, v0
	v_cmp_eq_u32_e64 s[2:3], 1, v0
	v_ashrrev_i32_e32 v1, 31, v2
	v_mov_b32_e32 v3, s9
	s_and_b32 s24, s33, 0xff
	v_add_co_u32_e32 v0, vcc, s8, v2
	s_cmp_lt_i32 s24, 11
	v_addc_co_u32_e32 v1, vcc, v3, v1, vcc
	s_cbranch_scc1 .LBB198_2657
; %bb.2580:
	s_and_b32 s13, 0xffff, s24
	s_mov_b64 s[14:15], -1
	s_mov_b64 s[6:7], 0
	s_cmp_gt_i32 s13, 25
	s_mov_b64 s[10:11], 0
	s_mov_b64 s[4:5], 0
	s_cbranch_scc0 .LBB198_2613
; %bb.2581:
	s_cmp_gt_i32 s13, 28
	s_cbranch_scc0 .LBB198_2596
; %bb.2582:
	s_cmp_gt_i32 s13, 43
	s_cbranch_scc0 .LBB198_2592
; %bb.2583:
	s_cmp_gt_i32 s13, 45
	s_cbranch_scc0 .LBB198_2586
; %bb.2584:
	s_mov_b64 s[4:5], -1
	s_mov_b64 s[14:15], 0
	s_cmp_eq_u32 s13, 46
	s_cbranch_scc0 .LBB198_2586
; %bb.2585:
	v_cndmask_b32_e64 v3, 0, 1.0, s[2:3]
	v_bfe_u32 v4, v3, 16, 1
	s_movk_i32 s4, 0x7fff
	v_add3_u32 v3, v3, v4, s4
	v_lshrrev_b32_e32 v3, 16, v3
	global_store_dword v[0:1], v3, off
	s_mov_b64 s[4:5], 0
	s_mov_b64 s[10:11], -1
.LBB198_2586:
	s_and_b64 vcc, exec, s[14:15]
	s_cbranch_vccz .LBB198_2591
; %bb.2587:
	s_cmp_eq_u32 s13, 44
	s_mov_b64 s[4:5], -1
	s_cbranch_scc0 .LBB198_2591
; %bb.2588:
	v_cndmask_b32_e64 v4, 0, 1.0, s[2:3]
	v_lshrrev_b32_e32 v3, 23, v4
	s_movk_i32 s4, 0xff
	v_cmp_ne_u32_e32 vcc, s4, v3
	v_mov_b32_e32 v11, 0xff
	s_and_saveexec_b64 s[10:11], vcc
; %bb.2589:
	s_mov_b32 s4, 0x3fffff
	v_and_b32_e32 v11, 0x400000, v4
	v_and_or_b32 v4, v4, s4, v3
	v_cmp_ne_u32_e32 vcc, 0, v11
	v_cmp_ne_u32_e64 s[4:5], 0, v4
	s_and_b64 s[4:5], vcc, s[4:5]
	v_cndmask_b32_e64 v4, 0, 1, s[4:5]
	v_add_u32_e32 v11, v3, v4
; %bb.2590:
	s_or_b64 exec, exec, s[10:11]
	s_mov_b64 s[4:5], 0
	s_mov_b64 s[10:11], -1
	global_store_byte v[0:1], v11, off
.LBB198_2591:
	s_mov_b64 s[14:15], 0
.LBB198_2592:
	s_and_b64 vcc, exec, s[14:15]
	s_cbranch_vccz .LBB198_2595
; %bb.2593:
	s_cmp_eq_u32 s13, 29
	s_mov_b64 s[4:5], -1
	s_cbranch_scc0 .LBB198_2595
; %bb.2594:
	s_mov_b32 s4, 0
	v_cndmask_b32_e64 v3, 0, 1, s[2:3]
	v_mov_b32_e32 v4, s4
	global_store_dwordx2 v[0:1], v[3:4], off
	s_mov_b64 s[4:5], 0
	s_mov_b64 s[10:11], -1
.LBB198_2595:
	s_mov_b64 s[14:15], 0
.LBB198_2596:
	s_and_b64 vcc, exec, s[14:15]
	s_cbranch_vccz .LBB198_2612
; %bb.2597:
	s_cmp_lt_i32 s13, 27
	s_mov_b64 s[10:11], -1
	s_cbranch_scc1 .LBB198_2603
; %bb.2598:
	s_cmp_gt_i32 s13, 27
	s_cbranch_scc0 .LBB198_2600
; %bb.2599:
	v_cndmask_b32_e64 v3, 0, 1, s[2:3]
	s_mov_b64 s[10:11], 0
	global_store_dword v[0:1], v3, off
.LBB198_2600:
	s_andn2_b64 vcc, exec, s[10:11]
	s_cbranch_vccnz .LBB198_2602
; %bb.2601:
	v_cndmask_b32_e64 v3, 0, 1, s[2:3]
	global_store_short v[0:1], v3, off
.LBB198_2602:
	s_mov_b64 s[10:11], 0
.LBB198_2603:
	s_andn2_b64 vcc, exec, s[10:11]
	s_cbranch_vccnz .LBB198_2611
; %bb.2604:
	v_cndmask_b32_e64 v4, 0, 1.0, s[2:3]
	s_mov_b32 s10, 0x43800000
	v_cmp_gt_u32_e32 vcc, s10, v4
	v_mov_b32_e32 v11, 0x80
	s_and_saveexec_b64 s[10:11], vcc
	s_cbranch_execz .LBB198_2610
; %bb.2605:
	s_mov_b32 s14, 0x3bffffff
	v_cmp_lt_u32_e32 vcc, s14, v4
	s_mov_b64 s[14:15], 0
                                        ; implicit-def: $vgpr3
	s_and_saveexec_b64 s[16:17], vcc
	s_xor_b64 s[16:17], exec, s[16:17]
	s_cbranch_execz .LBB198_3059
; %bb.2606:
	v_bfe_u32 v3, v4, 20, 1
	s_mov_b32 s25, 0x487ffff
	v_add3_u32 v3, v4, v3, s25
	s_mov_b64 s[14:15], exec
	v_lshrrev_b32_e32 v3, 20, v3
                                        ; implicit-def: $vgpr4
	s_andn2_saveexec_b64 s[16:17], s[16:17]
	s_cbranch_execnz .LBB198_3060
.LBB198_2607:
	s_or_b64 exec, exec, s[16:17]
	v_mov_b32_e32 v11, 0
	s_and_saveexec_b64 s[16:17], s[14:15]
.LBB198_2608:
	v_mov_b32_e32 v11, v3
.LBB198_2609:
	s_or_b64 exec, exec, s[16:17]
.LBB198_2610:
	s_or_b64 exec, exec, s[10:11]
	global_store_byte v[0:1], v11, off
.LBB198_2611:
	s_mov_b64 s[10:11], -1
.LBB198_2612:
	s_mov_b64 s[14:15], 0
.LBB198_2613:
	s_and_b64 vcc, exec, s[14:15]
	s_cbranch_vccz .LBB198_2653
; %bb.2614:
	s_cmp_gt_i32 s13, 22
	s_mov_b64 s[6:7], -1
	s_cbranch_scc0 .LBB198_2646
; %bb.2615:
	s_cmp_lt_i32 s13, 24
	s_cbranch_scc1 .LBB198_2635
; %bb.2616:
	s_cmp_gt_i32 s13, 24
	s_cbranch_scc0 .LBB198_2624
; %bb.2617:
	v_cndmask_b32_e64 v4, 0, 1.0, s[2:3]
	s_mov_b32 s6, 0x47800000
	v_cmp_gt_u32_e32 vcc, s6, v4
	v_mov_b32_e32 v11, 0x80
	s_and_saveexec_b64 s[6:7], vcc
	s_cbranch_execz .LBB198_2623
; %bb.2618:
	s_mov_b32 s10, 0x37ffffff
	v_cmp_lt_u32_e32 vcc, s10, v4
	s_mov_b64 s[10:11], 0
                                        ; implicit-def: $vgpr3
	s_and_saveexec_b64 s[14:15], vcc
	s_xor_b64 s[14:15], exec, s[14:15]
	s_cbranch_execz .LBB198_3062
; %bb.2619:
	v_bfe_u32 v3, v4, 21, 1
	s_mov_b32 s16, 0x88fffff
	v_add3_u32 v3, v4, v3, s16
	s_mov_b64 s[10:11], exec
	v_lshrrev_b32_e32 v3, 21, v3
                                        ; implicit-def: $vgpr4
	s_andn2_saveexec_b64 s[14:15], s[14:15]
	s_cbranch_execnz .LBB198_3063
.LBB198_2620:
	s_or_b64 exec, exec, s[14:15]
	v_mov_b32_e32 v11, 0
	s_and_saveexec_b64 s[14:15], s[10:11]
.LBB198_2621:
	v_mov_b32_e32 v11, v3
.LBB198_2622:
	s_or_b64 exec, exec, s[14:15]
.LBB198_2623:
	s_or_b64 exec, exec, s[6:7]
	s_mov_b64 s[6:7], 0
	global_store_byte v[0:1], v11, off
.LBB198_2624:
	s_and_b64 vcc, exec, s[6:7]
	s_cbranch_vccz .LBB198_2634
; %bb.2625:
	v_cndmask_b32_e64 v3, 0, 1.0, s[2:3]
	s_mov_b32 s6, 0x43f00000
	v_cmp_gt_u32_e32 vcc, s6, v3
                                        ; implicit-def: $vgpr4
	s_and_saveexec_b64 s[6:7], vcc
	s_xor_b64 s[6:7], exec, s[6:7]
	s_cbranch_execz .LBB198_2631
; %bb.2626:
	s_mov_b32 s10, 0x3c7fffff
	v_cmp_lt_u32_e32 vcc, s10, v3
                                        ; implicit-def: $vgpr4
	s_and_saveexec_b64 s[10:11], vcc
	s_xor_b64 s[10:11], exec, s[10:11]
; %bb.2627:
	v_bfe_u32 v4, v3, 20, 1
	s_mov_b32 s14, 0x407ffff
	v_add3_u32 v3, v3, v4, s14
	v_lshrrev_b32_e32 v4, 20, v3
	v_and_b32_e32 v3, 0xff00000, v3
	s_mov_b32 s14, 0x7f00000
	v_mov_b32_e32 v11, 0x7e
	v_cmp_ne_u32_e32 vcc, s14, v3
	v_cndmask_b32_e32 v4, v11, v4, vcc
                                        ; implicit-def: $vgpr3
; %bb.2628:
	s_andn2_saveexec_b64 s[10:11], s[10:11]
; %bb.2629:
	v_add_f32_e32 v4, 0x46800000, v3
; %bb.2630:
	s_or_b64 exec, exec, s[10:11]
                                        ; implicit-def: $vgpr3
.LBB198_2631:
	s_andn2_saveexec_b64 s[6:7], s[6:7]
; %bb.2632:
	s_mov_b32 s10, 0x7f800000
	v_mov_b32_e32 v4, 0x7e
	v_mov_b32_e32 v11, 0x7f
	v_cmp_lt_u32_e32 vcc, s10, v3
	v_cndmask_b32_e32 v4, v4, v11, vcc
; %bb.2633:
	s_or_b64 exec, exec, s[6:7]
	global_store_byte v[0:1], v4, off
.LBB198_2634:
	s_mov_b64 s[6:7], 0
.LBB198_2635:
	s_andn2_b64 vcc, exec, s[6:7]
	s_cbranch_vccnz .LBB198_2645
; %bb.2636:
	v_cndmask_b32_e64 v3, 0, 1.0, s[2:3]
	s_mov_b32 s6, 0x47800000
	v_cmp_gt_u32_e32 vcc, s6, v3
                                        ; implicit-def: $vgpr4
	s_and_saveexec_b64 s[6:7], vcc
	s_xor_b64 s[6:7], exec, s[6:7]
	s_cbranch_execz .LBB198_2642
; %bb.2637:
	s_mov_b32 s10, 0x387fffff
	v_cmp_lt_u32_e32 vcc, s10, v3
                                        ; implicit-def: $vgpr4
	s_and_saveexec_b64 s[10:11], vcc
	s_xor_b64 s[10:11], exec, s[10:11]
; %bb.2638:
	v_bfe_u32 v4, v3, 21, 1
	s_mov_b32 s14, 0x80fffff
	v_add3_u32 v3, v3, v4, s14
	v_lshrrev_b32_e32 v4, 21, v3
                                        ; implicit-def: $vgpr3
; %bb.2639:
	s_andn2_saveexec_b64 s[10:11], s[10:11]
; %bb.2640:
	v_add_f32_e32 v4, 0x43000000, v3
; %bb.2641:
	s_or_b64 exec, exec, s[10:11]
                                        ; implicit-def: $vgpr3
.LBB198_2642:
	s_andn2_saveexec_b64 s[6:7], s[6:7]
; %bb.2643:
	s_mov_b32 s10, 0x7f800000
	v_mov_b32_e32 v4, 0x7c
	v_mov_b32_e32 v11, 0x7f
	v_cmp_lt_u32_e32 vcc, s10, v3
	v_cndmask_b32_e32 v4, v4, v11, vcc
; %bb.2644:
	s_or_b64 exec, exec, s[6:7]
	global_store_byte v[0:1], v4, off
.LBB198_2645:
	s_mov_b64 s[6:7], 0
	s_mov_b64 s[10:11], -1
.LBB198_2646:
	s_andn2_b64 vcc, exec, s[6:7]
	s_mov_b64 s[6:7], 0
	s_cbranch_vccnz .LBB198_2653
; %bb.2647:
	s_cmp_gt_i32 s13, 14
	s_mov_b64 s[14:15], -1
	s_cbranch_scc0 .LBB198_2651
; %bb.2648:
	s_cmp_eq_u32 s13, 15
	s_mov_b64 s[4:5], -1
	s_cbranch_scc0 .LBB198_2650
; %bb.2649:
	v_cndmask_b32_e64 v3, 0, 1.0, s[2:3]
	v_bfe_u32 v4, v3, 16, 1
	s_movk_i32 s4, 0x7fff
	v_add3_u32 v3, v3, v4, s4
	global_store_short_d16_hi v[0:1], v3, off
	s_mov_b64 s[4:5], 0
	s_mov_b64 s[10:11], -1
.LBB198_2650:
	s_mov_b64 s[14:15], 0
.LBB198_2651:
	s_and_b64 vcc, exec, s[14:15]
	s_cbranch_vccz .LBB198_2653
; %bb.2652:
	s_cmp_lg_u32 s13, 11
	s_mov_b64 s[6:7], -1
	s_cselect_b64 s[4:5], -1, 0
.LBB198_2653:
	s_and_b64 vcc, exec, s[4:5]
	s_cbranch_vccnz .LBB198_3061
; %bb.2654:
	s_andn2_b64 vcc, exec, s[6:7]
	s_cbranch_vccnz .LBB198_2656
.LBB198_2655:
	v_cndmask_b32_e64 v3, 0, 1, s[2:3]
	s_mov_b64 s[10:11], -1
	global_store_byte v[0:1], v3, off
.LBB198_2656:
	s_mov_b64 s[4:5], 0
	s_branch .LBB198_2658
.LBB198_2657:
	s_mov_b64 s[4:5], -1
	s_mov_b64 s[10:11], 0
.LBB198_2658:
	s_and_b64 vcc, exec, s[4:5]
	s_cbranch_vccz .LBB198_2697
; %bb.2659:
	s_and_b32 s6, 0xffff, s24
	s_cmp_lt_i32 s6, 5
	s_mov_b64 s[4:5], -1
	s_cbranch_scc1 .LBB198_2680
; %bb.2660:
	s_cmp_lt_i32 s6, 8
	s_cbranch_scc1 .LBB198_2670
; %bb.2661:
	s_cmp_lt_i32 s6, 9
	s_cbranch_scc1 .LBB198_2667
; %bb.2662:
	s_cmp_gt_i32 s6, 9
	s_cbranch_scc0 .LBB198_2664
; %bb.2663:
	v_cndmask_b32_e64 v3, 0, 1, s[2:3]
	v_cvt_f64_u32_e32 v[11:12], v3
	v_mov_b32_e32 v13, 0
	v_mov_b32_e32 v14, v13
	s_mov_b64 s[4:5], 0
	global_store_dwordx4 v[0:1], v[11:14], off
.LBB198_2664:
	s_andn2_b64 vcc, exec, s[4:5]
	s_cbranch_vccnz .LBB198_2666
; %bb.2665:
	v_cndmask_b32_e64 v3, 0, 1.0, s[2:3]
	v_mov_b32_e32 v4, 0
	global_store_dwordx2 v[0:1], v[3:4], off
.LBB198_2666:
	s_mov_b64 s[4:5], 0
.LBB198_2667:
	s_andn2_b64 vcc, exec, s[4:5]
	s_cbranch_vccnz .LBB198_2669
; %bb.2668:
	v_cndmask_b32_e64 v3, 0, 1.0, s[2:3]
	v_cvt_f16_f32_e32 v3, v3
	global_store_dword v[0:1], v3, off
.LBB198_2669:
	s_mov_b64 s[4:5], 0
.LBB198_2670:
	s_andn2_b64 vcc, exec, s[4:5]
	s_cbranch_vccnz .LBB198_2679
; %bb.2671:
	s_cmp_lt_i32 s6, 6
	s_mov_b64 s[4:5], -1
	s_cbranch_scc1 .LBB198_2677
; %bb.2672:
	s_cmp_gt_i32 s6, 6
	s_cbranch_scc0 .LBB198_2674
; %bb.2673:
	v_cndmask_b32_e64 v3, 0, 1, s[2:3]
	v_cvt_f64_u32_e32 v[3:4], v3
	s_mov_b64 s[4:5], 0
	global_store_dwordx2 v[0:1], v[3:4], off
.LBB198_2674:
	s_andn2_b64 vcc, exec, s[4:5]
	s_cbranch_vccnz .LBB198_2676
; %bb.2675:
	v_cndmask_b32_e64 v3, 0, 1.0, s[2:3]
	global_store_dword v[0:1], v3, off
.LBB198_2676:
	s_mov_b64 s[4:5], 0
.LBB198_2677:
	s_andn2_b64 vcc, exec, s[4:5]
	s_cbranch_vccnz .LBB198_2679
; %bb.2678:
	v_cndmask_b32_e64 v3, 0, 1.0, s[2:3]
	v_cvt_f16_f32_e32 v3, v3
	global_store_short v[0:1], v3, off
.LBB198_2679:
	s_mov_b64 s[4:5], 0
.LBB198_2680:
	s_andn2_b64 vcc, exec, s[4:5]
	s_cbranch_vccnz .LBB198_2696
; %bb.2681:
	s_cmp_lt_i32 s6, 2
	s_mov_b64 s[4:5], -1
	s_cbranch_scc1 .LBB198_2691
; %bb.2682:
	s_cmp_lt_i32 s6, 3
	s_cbranch_scc1 .LBB198_2688
; %bb.2683:
	s_cmp_gt_i32 s6, 3
	s_cbranch_scc0 .LBB198_2685
; %bb.2684:
	s_mov_b32 s4, 0
	v_cndmask_b32_e64 v3, 0, 1, s[2:3]
	v_mov_b32_e32 v4, s4
	global_store_dwordx2 v[0:1], v[3:4], off
	s_mov_b64 s[4:5], 0
.LBB198_2685:
	s_andn2_b64 vcc, exec, s[4:5]
	s_cbranch_vccnz .LBB198_2687
; %bb.2686:
	v_cndmask_b32_e64 v3, 0, 1, s[2:3]
	global_store_dword v[0:1], v3, off
.LBB198_2687:
	s_mov_b64 s[4:5], 0
.LBB198_2688:
	s_andn2_b64 vcc, exec, s[4:5]
	s_cbranch_vccnz .LBB198_2690
; %bb.2689:
	v_cndmask_b32_e64 v3, 0, 1, s[2:3]
	global_store_short v[0:1], v3, off
.LBB198_2690:
	s_mov_b64 s[4:5], 0
.LBB198_2691:
	s_andn2_b64 vcc, exec, s[4:5]
	s_cbranch_vccnz .LBB198_2696
; %bb.2692:
	s_mov_b64 s[4:5], -1
	s_cmp_gt_i32 s6, 0
	v_cndmask_b32_e64 v3, 0, 1, s[2:3]
	s_cbranch_scc0 .LBB198_2694
; %bb.2693:
	global_store_byte v[0:1], v3, off
	s_mov_b64 s[4:5], 0
.LBB198_2694:
	s_andn2_b64 vcc, exec, s[4:5]
	s_cbranch_vccnz .LBB198_2696
; %bb.2695:
	global_store_byte v[0:1], v3, off
.LBB198_2696:
	s_mov_b64 s[10:11], -1
.LBB198_2697:
	s_andn2_b64 vcc, exec, s[10:11]
	s_cbranch_vccnz .LBB198_3012
; %bb.2698:
	v_lshlrev_b32_e32 v0, 16, v5
	v_lshlrev_b32_e32 v1, 16, v6
	v_cmp_eq_f32_e32 vcc, v0, v1
	v_cndmask_b32_e64 v3, 0, 1, vcc
	v_cmp_neq_f32_e32 vcc, v0, v1
	v_cndmask_b32_e64 v0, 0, 1, vcc
	v_cndmask_b32_e64 v0, v0, v3, s[0:1]
	s_lshl_b32 s16, s12, 7
	v_and_b32_e32 v0, 1, v0
	v_add_u32_e32 v2, s16, v2
	v_cmp_eq_u32_e64 s[2:3], 1, v0
	v_ashrrev_i32_e32 v1, 31, v2
	v_mov_b32_e32 v3, s9
	v_add_co_u32_e32 v0, vcc, s8, v2
	s_cmp_lt_i32 s24, 11
	v_addc_co_u32_e32 v1, vcc, v3, v1, vcc
	s_cbranch_scc1 .LBB198_2776
; %bb.2699:
	s_and_b32 s17, 0xffff, s24
	s_mov_b64 s[12:13], -1
	s_mov_b64 s[6:7], 0
	s_cmp_gt_i32 s17, 25
	s_mov_b64 s[10:11], 0
	s_mov_b64 s[4:5], 0
	s_cbranch_scc0 .LBB198_2732
; %bb.2700:
	s_cmp_gt_i32 s17, 28
	s_cbranch_scc0 .LBB198_2715
; %bb.2701:
	s_cmp_gt_i32 s17, 43
	;; [unrolled: 3-line block ×3, first 2 shown]
	s_cbranch_scc0 .LBB198_2705
; %bb.2703:
	s_mov_b64 s[4:5], -1
	s_mov_b64 s[12:13], 0
	s_cmp_eq_u32 s17, 46
	s_cbranch_scc0 .LBB198_2705
; %bb.2704:
	v_cndmask_b32_e64 v3, 0, 1.0, s[2:3]
	v_bfe_u32 v4, v3, 16, 1
	s_movk_i32 s4, 0x7fff
	v_add3_u32 v3, v3, v4, s4
	v_lshrrev_b32_e32 v3, 16, v3
	global_store_dword v[0:1], v3, off
	s_mov_b64 s[4:5], 0
	s_mov_b64 s[10:11], -1
.LBB198_2705:
	s_and_b64 vcc, exec, s[12:13]
	s_cbranch_vccz .LBB198_2710
; %bb.2706:
	s_cmp_eq_u32 s17, 44
	s_mov_b64 s[4:5], -1
	s_cbranch_scc0 .LBB198_2710
; %bb.2707:
	v_cndmask_b32_e64 v4, 0, 1.0, s[2:3]
	v_lshrrev_b32_e32 v3, 23, v4
	s_movk_i32 s4, 0xff
	v_cmp_ne_u32_e32 vcc, s4, v3
	v_mov_b32_e32 v5, 0xff
	s_and_saveexec_b64 s[10:11], vcc
; %bb.2708:
	s_mov_b32 s4, 0x3fffff
	v_and_b32_e32 v5, 0x400000, v4
	v_and_or_b32 v4, v4, s4, v3
	v_cmp_ne_u32_e32 vcc, 0, v5
	v_cmp_ne_u32_e64 s[4:5], 0, v4
	s_and_b64 s[4:5], vcc, s[4:5]
	v_cndmask_b32_e64 v4, 0, 1, s[4:5]
	v_add_u32_e32 v5, v3, v4
; %bb.2709:
	s_or_b64 exec, exec, s[10:11]
	s_mov_b64 s[4:5], 0
	s_mov_b64 s[10:11], -1
	global_store_byte v[0:1], v5, off
.LBB198_2710:
	s_mov_b64 s[12:13], 0
.LBB198_2711:
	s_and_b64 vcc, exec, s[12:13]
	s_cbranch_vccz .LBB198_2714
; %bb.2712:
	s_cmp_eq_u32 s17, 29
	s_mov_b64 s[4:5], -1
	s_cbranch_scc0 .LBB198_2714
; %bb.2713:
	s_mov_b32 s4, 0
	v_cndmask_b32_e64 v3, 0, 1, s[2:3]
	v_mov_b32_e32 v4, s4
	global_store_dwordx2 v[0:1], v[3:4], off
	s_mov_b64 s[4:5], 0
	s_mov_b64 s[10:11], -1
.LBB198_2714:
	s_mov_b64 s[12:13], 0
.LBB198_2715:
	s_and_b64 vcc, exec, s[12:13]
	s_cbranch_vccz .LBB198_2731
; %bb.2716:
	s_cmp_lt_i32 s17, 27
	s_mov_b64 s[10:11], -1
	s_cbranch_scc1 .LBB198_2722
; %bb.2717:
	s_cmp_gt_i32 s17, 27
	s_cbranch_scc0 .LBB198_2719
; %bb.2718:
	v_cndmask_b32_e64 v3, 0, 1, s[2:3]
	s_mov_b64 s[10:11], 0
	global_store_dword v[0:1], v3, off
.LBB198_2719:
	s_andn2_b64 vcc, exec, s[10:11]
	s_cbranch_vccnz .LBB198_2721
; %bb.2720:
	v_cndmask_b32_e64 v3, 0, 1, s[2:3]
	global_store_short v[0:1], v3, off
.LBB198_2721:
	s_mov_b64 s[10:11], 0
.LBB198_2722:
	s_andn2_b64 vcc, exec, s[10:11]
	s_cbranch_vccnz .LBB198_2730
; %bb.2723:
	v_cndmask_b32_e64 v4, 0, 1.0, s[2:3]
	s_mov_b32 s10, 0x43800000
	v_cmp_gt_u32_e32 vcc, s10, v4
	v_mov_b32_e32 v5, 0x80
	s_and_saveexec_b64 s[10:11], vcc
	s_cbranch_execz .LBB198_2729
; %bb.2724:
	s_mov_b32 s12, 0x3bffffff
	v_cmp_lt_u32_e32 vcc, s12, v4
	s_mov_b64 s[12:13], 0
                                        ; implicit-def: $vgpr3
	s_and_saveexec_b64 s[14:15], vcc
	s_xor_b64 s[14:15], exec, s[14:15]
	s_cbranch_execz .LBB198_3064
; %bb.2725:
	v_bfe_u32 v3, v4, 20, 1
	s_mov_b32 s25, 0x487ffff
	v_add3_u32 v3, v4, v3, s25
	s_mov_b64 s[12:13], exec
	v_lshrrev_b32_e32 v3, 20, v3
                                        ; implicit-def: $vgpr4
	s_andn2_saveexec_b64 s[14:15], s[14:15]
	s_cbranch_execnz .LBB198_3065
.LBB198_2726:
	s_or_b64 exec, exec, s[14:15]
	v_mov_b32_e32 v5, 0
	s_and_saveexec_b64 s[14:15], s[12:13]
.LBB198_2727:
	v_mov_b32_e32 v5, v3
.LBB198_2728:
	s_or_b64 exec, exec, s[14:15]
.LBB198_2729:
	s_or_b64 exec, exec, s[10:11]
	global_store_byte v[0:1], v5, off
.LBB198_2730:
	s_mov_b64 s[10:11], -1
.LBB198_2731:
	s_mov_b64 s[12:13], 0
.LBB198_2732:
	s_and_b64 vcc, exec, s[12:13]
	s_cbranch_vccz .LBB198_2772
; %bb.2733:
	s_cmp_gt_i32 s17, 22
	s_mov_b64 s[6:7], -1
	s_cbranch_scc0 .LBB198_2765
; %bb.2734:
	s_cmp_lt_i32 s17, 24
	s_cbranch_scc1 .LBB198_2754
; %bb.2735:
	s_cmp_gt_i32 s17, 24
	s_cbranch_scc0 .LBB198_2743
; %bb.2736:
	v_cndmask_b32_e64 v4, 0, 1.0, s[2:3]
	s_mov_b32 s6, 0x47800000
	v_cmp_gt_u32_e32 vcc, s6, v4
	v_mov_b32_e32 v5, 0x80
	s_and_saveexec_b64 s[6:7], vcc
	s_cbranch_execz .LBB198_2742
; %bb.2737:
	s_mov_b32 s10, 0x37ffffff
	v_cmp_lt_u32_e32 vcc, s10, v4
	s_mov_b64 s[10:11], 0
                                        ; implicit-def: $vgpr3
	s_and_saveexec_b64 s[12:13], vcc
	s_xor_b64 s[12:13], exec, s[12:13]
	s_cbranch_execz .LBB198_3067
; %bb.2738:
	v_bfe_u32 v3, v4, 21, 1
	s_mov_b32 s14, 0x88fffff
	v_add3_u32 v3, v4, v3, s14
	s_mov_b64 s[10:11], exec
	v_lshrrev_b32_e32 v3, 21, v3
                                        ; implicit-def: $vgpr4
	s_andn2_saveexec_b64 s[12:13], s[12:13]
	s_cbranch_execnz .LBB198_3068
.LBB198_2739:
	s_or_b64 exec, exec, s[12:13]
	v_mov_b32_e32 v5, 0
	s_and_saveexec_b64 s[12:13], s[10:11]
.LBB198_2740:
	v_mov_b32_e32 v5, v3
.LBB198_2741:
	s_or_b64 exec, exec, s[12:13]
.LBB198_2742:
	s_or_b64 exec, exec, s[6:7]
	s_mov_b64 s[6:7], 0
	global_store_byte v[0:1], v5, off
.LBB198_2743:
	s_and_b64 vcc, exec, s[6:7]
	s_cbranch_vccz .LBB198_2753
; %bb.2744:
	v_cndmask_b32_e64 v3, 0, 1.0, s[2:3]
	s_mov_b32 s6, 0x43f00000
	v_cmp_gt_u32_e32 vcc, s6, v3
                                        ; implicit-def: $vgpr4
	s_and_saveexec_b64 s[6:7], vcc
	s_xor_b64 s[6:7], exec, s[6:7]
	s_cbranch_execz .LBB198_2750
; %bb.2745:
	s_mov_b32 s10, 0x3c7fffff
	v_cmp_lt_u32_e32 vcc, s10, v3
                                        ; implicit-def: $vgpr4
	s_and_saveexec_b64 s[10:11], vcc
	s_xor_b64 s[10:11], exec, s[10:11]
; %bb.2746:
	v_bfe_u32 v4, v3, 20, 1
	s_mov_b32 s12, 0x407ffff
	v_add3_u32 v3, v3, v4, s12
	v_lshrrev_b32_e32 v4, 20, v3
	v_and_b32_e32 v3, 0xff00000, v3
	s_mov_b32 s12, 0x7f00000
	v_mov_b32_e32 v5, 0x7e
	v_cmp_ne_u32_e32 vcc, s12, v3
	v_cndmask_b32_e32 v4, v5, v4, vcc
                                        ; implicit-def: $vgpr3
; %bb.2747:
	s_andn2_saveexec_b64 s[10:11], s[10:11]
; %bb.2748:
	v_add_f32_e32 v4, 0x46800000, v3
; %bb.2749:
	s_or_b64 exec, exec, s[10:11]
                                        ; implicit-def: $vgpr3
.LBB198_2750:
	s_andn2_saveexec_b64 s[6:7], s[6:7]
; %bb.2751:
	s_mov_b32 s10, 0x7f800000
	v_mov_b32_e32 v4, 0x7e
	v_mov_b32_e32 v5, 0x7f
	v_cmp_lt_u32_e32 vcc, s10, v3
	v_cndmask_b32_e32 v4, v4, v5, vcc
; %bb.2752:
	s_or_b64 exec, exec, s[6:7]
	global_store_byte v[0:1], v4, off
.LBB198_2753:
	s_mov_b64 s[6:7], 0
.LBB198_2754:
	s_andn2_b64 vcc, exec, s[6:7]
	s_cbranch_vccnz .LBB198_2764
; %bb.2755:
	v_cndmask_b32_e64 v3, 0, 1.0, s[2:3]
	s_mov_b32 s6, 0x47800000
	v_cmp_gt_u32_e32 vcc, s6, v3
                                        ; implicit-def: $vgpr4
	s_and_saveexec_b64 s[6:7], vcc
	s_xor_b64 s[6:7], exec, s[6:7]
	s_cbranch_execz .LBB198_2761
; %bb.2756:
	s_mov_b32 s10, 0x387fffff
	v_cmp_lt_u32_e32 vcc, s10, v3
                                        ; implicit-def: $vgpr4
	s_and_saveexec_b64 s[10:11], vcc
	s_xor_b64 s[10:11], exec, s[10:11]
; %bb.2757:
	v_bfe_u32 v4, v3, 21, 1
	s_mov_b32 s12, 0x80fffff
	v_add3_u32 v3, v3, v4, s12
	v_lshrrev_b32_e32 v4, 21, v3
                                        ; implicit-def: $vgpr3
; %bb.2758:
	s_andn2_saveexec_b64 s[10:11], s[10:11]
; %bb.2759:
	v_add_f32_e32 v4, 0x43000000, v3
; %bb.2760:
	s_or_b64 exec, exec, s[10:11]
                                        ; implicit-def: $vgpr3
.LBB198_2761:
	s_andn2_saveexec_b64 s[6:7], s[6:7]
; %bb.2762:
	s_mov_b32 s10, 0x7f800000
	v_mov_b32_e32 v4, 0x7c
	v_mov_b32_e32 v5, 0x7f
	v_cmp_lt_u32_e32 vcc, s10, v3
	v_cndmask_b32_e32 v4, v4, v5, vcc
; %bb.2763:
	s_or_b64 exec, exec, s[6:7]
	global_store_byte v[0:1], v4, off
.LBB198_2764:
	s_mov_b64 s[6:7], 0
	s_mov_b64 s[10:11], -1
.LBB198_2765:
	s_andn2_b64 vcc, exec, s[6:7]
	s_mov_b64 s[6:7], 0
	s_cbranch_vccnz .LBB198_2772
; %bb.2766:
	s_cmp_gt_i32 s17, 14
	s_mov_b64 s[12:13], -1
	s_cbranch_scc0 .LBB198_2770
; %bb.2767:
	s_cmp_eq_u32 s17, 15
	s_mov_b64 s[4:5], -1
	s_cbranch_scc0 .LBB198_2769
; %bb.2768:
	v_cndmask_b32_e64 v3, 0, 1.0, s[2:3]
	v_bfe_u32 v4, v3, 16, 1
	s_movk_i32 s4, 0x7fff
	v_add3_u32 v3, v3, v4, s4
	global_store_short_d16_hi v[0:1], v3, off
	s_mov_b64 s[4:5], 0
	s_mov_b64 s[10:11], -1
.LBB198_2769:
	s_mov_b64 s[12:13], 0
.LBB198_2770:
	s_and_b64 vcc, exec, s[12:13]
	s_cbranch_vccz .LBB198_2772
; %bb.2771:
	s_cmp_lg_u32 s17, 11
	s_mov_b64 s[6:7], -1
	s_cselect_b64 s[4:5], -1, 0
.LBB198_2772:
	s_and_b64 vcc, exec, s[4:5]
	s_cbranch_vccnz .LBB198_3066
; %bb.2773:
	s_andn2_b64 vcc, exec, s[6:7]
	s_cbranch_vccnz .LBB198_2775
.LBB198_2774:
	v_cndmask_b32_e64 v3, 0, 1, s[2:3]
	s_mov_b64 s[10:11], -1
	global_store_byte v[0:1], v3, off
.LBB198_2775:
	s_mov_b64 s[4:5], 0
	s_branch .LBB198_2777
.LBB198_2776:
	s_mov_b64 s[4:5], -1
	s_mov_b64 s[10:11], 0
.LBB198_2777:
	s_and_b64 vcc, exec, s[4:5]
	s_cbranch_vccz .LBB198_2816
; %bb.2778:
	s_and_b32 s6, 0xffff, s24
	s_cmp_lt_i32 s6, 5
	s_mov_b64 s[4:5], -1
	s_cbranch_scc1 .LBB198_2799
; %bb.2779:
	s_cmp_lt_i32 s6, 8
	s_cbranch_scc1 .LBB198_2789
; %bb.2780:
	s_cmp_lt_i32 s6, 9
	s_cbranch_scc1 .LBB198_2786
; %bb.2781:
	s_cmp_gt_i32 s6, 9
	s_cbranch_scc0 .LBB198_2783
; %bb.2782:
	v_cndmask_b32_e64 v3, 0, 1, s[2:3]
	v_cvt_f64_u32_e32 v[3:4], v3
	v_mov_b32_e32 v5, 0
	v_mov_b32_e32 v6, v5
	s_mov_b64 s[4:5], 0
	global_store_dwordx4 v[0:1], v[3:6], off
.LBB198_2783:
	s_andn2_b64 vcc, exec, s[4:5]
	s_cbranch_vccnz .LBB198_2785
; %bb.2784:
	v_cndmask_b32_e64 v3, 0, 1.0, s[2:3]
	v_mov_b32_e32 v4, 0
	global_store_dwordx2 v[0:1], v[3:4], off
.LBB198_2785:
	s_mov_b64 s[4:5], 0
.LBB198_2786:
	s_andn2_b64 vcc, exec, s[4:5]
	s_cbranch_vccnz .LBB198_2788
; %bb.2787:
	v_cndmask_b32_e64 v3, 0, 1.0, s[2:3]
	v_cvt_f16_f32_e32 v3, v3
	global_store_dword v[0:1], v3, off
.LBB198_2788:
	s_mov_b64 s[4:5], 0
.LBB198_2789:
	s_andn2_b64 vcc, exec, s[4:5]
	s_cbranch_vccnz .LBB198_2798
; %bb.2790:
	s_cmp_lt_i32 s6, 6
	s_mov_b64 s[4:5], -1
	s_cbranch_scc1 .LBB198_2796
; %bb.2791:
	s_cmp_gt_i32 s6, 6
	s_cbranch_scc0 .LBB198_2793
; %bb.2792:
	v_cndmask_b32_e64 v3, 0, 1, s[2:3]
	v_cvt_f64_u32_e32 v[3:4], v3
	s_mov_b64 s[4:5], 0
	global_store_dwordx2 v[0:1], v[3:4], off
.LBB198_2793:
	s_andn2_b64 vcc, exec, s[4:5]
	s_cbranch_vccnz .LBB198_2795
; %bb.2794:
	v_cndmask_b32_e64 v3, 0, 1.0, s[2:3]
	global_store_dword v[0:1], v3, off
.LBB198_2795:
	s_mov_b64 s[4:5], 0
.LBB198_2796:
	s_andn2_b64 vcc, exec, s[4:5]
	s_cbranch_vccnz .LBB198_2798
; %bb.2797:
	v_cndmask_b32_e64 v3, 0, 1.0, s[2:3]
	v_cvt_f16_f32_e32 v3, v3
	global_store_short v[0:1], v3, off
.LBB198_2798:
	s_mov_b64 s[4:5], 0
.LBB198_2799:
	s_andn2_b64 vcc, exec, s[4:5]
	s_cbranch_vccnz .LBB198_2815
; %bb.2800:
	s_cmp_lt_i32 s6, 2
	s_mov_b64 s[4:5], -1
	s_cbranch_scc1 .LBB198_2810
; %bb.2801:
	s_cmp_lt_i32 s6, 3
	s_cbranch_scc1 .LBB198_2807
; %bb.2802:
	s_cmp_gt_i32 s6, 3
	s_cbranch_scc0 .LBB198_2804
; %bb.2803:
	s_mov_b32 s4, 0
	v_cndmask_b32_e64 v3, 0, 1, s[2:3]
	v_mov_b32_e32 v4, s4
	global_store_dwordx2 v[0:1], v[3:4], off
	s_mov_b64 s[4:5], 0
.LBB198_2804:
	s_andn2_b64 vcc, exec, s[4:5]
	s_cbranch_vccnz .LBB198_2806
; %bb.2805:
	v_cndmask_b32_e64 v3, 0, 1, s[2:3]
	global_store_dword v[0:1], v3, off
.LBB198_2806:
	s_mov_b64 s[4:5], 0
.LBB198_2807:
	s_andn2_b64 vcc, exec, s[4:5]
	s_cbranch_vccnz .LBB198_2809
; %bb.2808:
	v_cndmask_b32_e64 v3, 0, 1, s[2:3]
	global_store_short v[0:1], v3, off
.LBB198_2809:
	s_mov_b64 s[4:5], 0
.LBB198_2810:
	s_andn2_b64 vcc, exec, s[4:5]
	s_cbranch_vccnz .LBB198_2815
; %bb.2811:
	s_mov_b64 s[4:5], -1
	s_cmp_gt_i32 s6, 0
	v_cndmask_b32_e64 v3, 0, 1, s[2:3]
	s_cbranch_scc0 .LBB198_2813
; %bb.2812:
	global_store_byte v[0:1], v3, off
	s_mov_b64 s[4:5], 0
.LBB198_2813:
	s_andn2_b64 vcc, exec, s[4:5]
	s_cbranch_vccnz .LBB198_2815
; %bb.2814:
	global_store_byte v[0:1], v3, off
.LBB198_2815:
	s_mov_b64 s[10:11], -1
.LBB198_2816:
	s_andn2_b64 vcc, exec, s[10:11]
	s_cbranch_vccnz .LBB198_3012
; %bb.2817:
	v_lshlrev_b32_e32 v0, 16, v7
	v_lshlrev_b32_e32 v1, 16, v8
	v_cmp_eq_f32_e32 vcc, v0, v1
	v_cndmask_b32_e64 v3, 0, 1, vcc
	v_cmp_neq_f32_e32 vcc, v0, v1
	v_cndmask_b32_e64 v0, 0, 1, vcc
	v_cndmask_b32_e64 v0, v0, v3, s[0:1]
	v_and_b32_e32 v0, 1, v0
	v_add_u32_e32 v2, s16, v2
	v_cmp_eq_u32_e64 s[2:3], 1, v0
	v_ashrrev_i32_e32 v1, 31, v2
	v_mov_b32_e32 v3, s9
	v_add_co_u32_e32 v0, vcc, s8, v2
	s_cmp_lt_i32 s24, 11
	v_addc_co_u32_e32 v1, vcc, v3, v1, vcc
	s_cbranch_scc1 .LBB198_2895
; %bb.2818:
	s_and_b32 s17, 0xffff, s24
	s_mov_b64 s[12:13], -1
	s_mov_b64 s[6:7], 0
	s_cmp_gt_i32 s17, 25
	s_mov_b64 s[10:11], 0
	s_mov_b64 s[4:5], 0
	s_cbranch_scc0 .LBB198_2851
; %bb.2819:
	s_cmp_gt_i32 s17, 28
	s_cbranch_scc0 .LBB198_2834
; %bb.2820:
	s_cmp_gt_i32 s17, 43
	;; [unrolled: 3-line block ×3, first 2 shown]
	s_cbranch_scc0 .LBB198_2824
; %bb.2822:
	s_mov_b64 s[4:5], -1
	s_mov_b64 s[12:13], 0
	s_cmp_eq_u32 s17, 46
	s_cbranch_scc0 .LBB198_2824
; %bb.2823:
	v_cndmask_b32_e64 v3, 0, 1.0, s[2:3]
	v_bfe_u32 v4, v3, 16, 1
	s_movk_i32 s4, 0x7fff
	v_add3_u32 v3, v3, v4, s4
	v_lshrrev_b32_e32 v3, 16, v3
	global_store_dword v[0:1], v3, off
	s_mov_b64 s[4:5], 0
	s_mov_b64 s[10:11], -1
.LBB198_2824:
	s_and_b64 vcc, exec, s[12:13]
	s_cbranch_vccz .LBB198_2829
; %bb.2825:
	s_cmp_eq_u32 s17, 44
	s_mov_b64 s[4:5], -1
	s_cbranch_scc0 .LBB198_2829
; %bb.2826:
	v_cndmask_b32_e64 v4, 0, 1.0, s[2:3]
	v_lshrrev_b32_e32 v3, 23, v4
	s_movk_i32 s4, 0xff
	v_cmp_ne_u32_e32 vcc, s4, v3
	v_mov_b32_e32 v5, 0xff
	s_and_saveexec_b64 s[10:11], vcc
; %bb.2827:
	s_mov_b32 s4, 0x3fffff
	v_and_b32_e32 v5, 0x400000, v4
	v_and_or_b32 v4, v4, s4, v3
	v_cmp_ne_u32_e32 vcc, 0, v5
	v_cmp_ne_u32_e64 s[4:5], 0, v4
	s_and_b64 s[4:5], vcc, s[4:5]
	v_cndmask_b32_e64 v4, 0, 1, s[4:5]
	v_add_u32_e32 v5, v3, v4
; %bb.2828:
	s_or_b64 exec, exec, s[10:11]
	s_mov_b64 s[4:5], 0
	s_mov_b64 s[10:11], -1
	global_store_byte v[0:1], v5, off
.LBB198_2829:
	s_mov_b64 s[12:13], 0
.LBB198_2830:
	s_and_b64 vcc, exec, s[12:13]
	s_cbranch_vccz .LBB198_2833
; %bb.2831:
	s_cmp_eq_u32 s17, 29
	s_mov_b64 s[4:5], -1
	s_cbranch_scc0 .LBB198_2833
; %bb.2832:
	s_mov_b32 s4, 0
	v_cndmask_b32_e64 v3, 0, 1, s[2:3]
	v_mov_b32_e32 v4, s4
	global_store_dwordx2 v[0:1], v[3:4], off
	s_mov_b64 s[4:5], 0
	s_mov_b64 s[10:11], -1
.LBB198_2833:
	s_mov_b64 s[12:13], 0
.LBB198_2834:
	s_and_b64 vcc, exec, s[12:13]
	s_cbranch_vccz .LBB198_2850
; %bb.2835:
	s_cmp_lt_i32 s17, 27
	s_mov_b64 s[10:11], -1
	s_cbranch_scc1 .LBB198_2841
; %bb.2836:
	s_cmp_gt_i32 s17, 27
	s_cbranch_scc0 .LBB198_2838
; %bb.2837:
	v_cndmask_b32_e64 v3, 0, 1, s[2:3]
	s_mov_b64 s[10:11], 0
	global_store_dword v[0:1], v3, off
.LBB198_2838:
	s_andn2_b64 vcc, exec, s[10:11]
	s_cbranch_vccnz .LBB198_2840
; %bb.2839:
	v_cndmask_b32_e64 v3, 0, 1, s[2:3]
	global_store_short v[0:1], v3, off
.LBB198_2840:
	s_mov_b64 s[10:11], 0
.LBB198_2841:
	s_andn2_b64 vcc, exec, s[10:11]
	s_cbranch_vccnz .LBB198_2849
; %bb.2842:
	v_cndmask_b32_e64 v4, 0, 1.0, s[2:3]
	s_mov_b32 s10, 0x43800000
	v_cmp_gt_u32_e32 vcc, s10, v4
	v_mov_b32_e32 v5, 0x80
	s_and_saveexec_b64 s[10:11], vcc
	s_cbranch_execz .LBB198_2848
; %bb.2843:
	s_mov_b32 s12, 0x3bffffff
	v_cmp_lt_u32_e32 vcc, s12, v4
	s_mov_b64 s[12:13], 0
                                        ; implicit-def: $vgpr3
	s_and_saveexec_b64 s[14:15], vcc
	s_xor_b64 s[14:15], exec, s[14:15]
	s_cbranch_execz .LBB198_3069
; %bb.2844:
	v_bfe_u32 v3, v4, 20, 1
	s_mov_b32 s25, 0x487ffff
	v_add3_u32 v3, v4, v3, s25
	s_mov_b64 s[12:13], exec
	v_lshrrev_b32_e32 v3, 20, v3
                                        ; implicit-def: $vgpr4
	s_andn2_saveexec_b64 s[14:15], s[14:15]
	s_cbranch_execnz .LBB198_3070
.LBB198_2845:
	s_or_b64 exec, exec, s[14:15]
	v_mov_b32_e32 v5, 0
	s_and_saveexec_b64 s[14:15], s[12:13]
.LBB198_2846:
	v_mov_b32_e32 v5, v3
.LBB198_2847:
	s_or_b64 exec, exec, s[14:15]
.LBB198_2848:
	s_or_b64 exec, exec, s[10:11]
	global_store_byte v[0:1], v5, off
.LBB198_2849:
	s_mov_b64 s[10:11], -1
.LBB198_2850:
	s_mov_b64 s[12:13], 0
.LBB198_2851:
	s_and_b64 vcc, exec, s[12:13]
	s_cbranch_vccz .LBB198_2891
; %bb.2852:
	s_cmp_gt_i32 s17, 22
	s_mov_b64 s[6:7], -1
	s_cbranch_scc0 .LBB198_2884
; %bb.2853:
	s_cmp_lt_i32 s17, 24
	s_cbranch_scc1 .LBB198_2873
; %bb.2854:
	s_cmp_gt_i32 s17, 24
	s_cbranch_scc0 .LBB198_2862
; %bb.2855:
	v_cndmask_b32_e64 v4, 0, 1.0, s[2:3]
	s_mov_b32 s6, 0x47800000
	v_cmp_gt_u32_e32 vcc, s6, v4
	v_mov_b32_e32 v5, 0x80
	s_and_saveexec_b64 s[6:7], vcc
	s_cbranch_execz .LBB198_2861
; %bb.2856:
	s_mov_b32 s10, 0x37ffffff
	v_cmp_lt_u32_e32 vcc, s10, v4
	s_mov_b64 s[10:11], 0
                                        ; implicit-def: $vgpr3
	s_and_saveexec_b64 s[12:13], vcc
	s_xor_b64 s[12:13], exec, s[12:13]
	s_cbranch_execz .LBB198_3072
; %bb.2857:
	v_bfe_u32 v3, v4, 21, 1
	s_mov_b32 s14, 0x88fffff
	v_add3_u32 v3, v4, v3, s14
	s_mov_b64 s[10:11], exec
	v_lshrrev_b32_e32 v3, 21, v3
                                        ; implicit-def: $vgpr4
	s_andn2_saveexec_b64 s[12:13], s[12:13]
	s_cbranch_execnz .LBB198_3073
.LBB198_2858:
	s_or_b64 exec, exec, s[12:13]
	v_mov_b32_e32 v5, 0
	s_and_saveexec_b64 s[12:13], s[10:11]
.LBB198_2859:
	v_mov_b32_e32 v5, v3
.LBB198_2860:
	s_or_b64 exec, exec, s[12:13]
.LBB198_2861:
	s_or_b64 exec, exec, s[6:7]
	s_mov_b64 s[6:7], 0
	global_store_byte v[0:1], v5, off
.LBB198_2862:
	s_and_b64 vcc, exec, s[6:7]
	s_cbranch_vccz .LBB198_2872
; %bb.2863:
	v_cndmask_b32_e64 v3, 0, 1.0, s[2:3]
	s_mov_b32 s6, 0x43f00000
	v_cmp_gt_u32_e32 vcc, s6, v3
                                        ; implicit-def: $vgpr4
	s_and_saveexec_b64 s[6:7], vcc
	s_xor_b64 s[6:7], exec, s[6:7]
	s_cbranch_execz .LBB198_2869
; %bb.2864:
	s_mov_b32 s10, 0x3c7fffff
	v_cmp_lt_u32_e32 vcc, s10, v3
                                        ; implicit-def: $vgpr4
	s_and_saveexec_b64 s[10:11], vcc
	s_xor_b64 s[10:11], exec, s[10:11]
; %bb.2865:
	v_bfe_u32 v4, v3, 20, 1
	s_mov_b32 s12, 0x407ffff
	v_add3_u32 v3, v3, v4, s12
	v_lshrrev_b32_e32 v4, 20, v3
	v_and_b32_e32 v3, 0xff00000, v3
	s_mov_b32 s12, 0x7f00000
	v_mov_b32_e32 v5, 0x7e
	v_cmp_ne_u32_e32 vcc, s12, v3
	v_cndmask_b32_e32 v4, v5, v4, vcc
                                        ; implicit-def: $vgpr3
; %bb.2866:
	s_andn2_saveexec_b64 s[10:11], s[10:11]
; %bb.2867:
	v_add_f32_e32 v4, 0x46800000, v3
; %bb.2868:
	s_or_b64 exec, exec, s[10:11]
                                        ; implicit-def: $vgpr3
.LBB198_2869:
	s_andn2_saveexec_b64 s[6:7], s[6:7]
; %bb.2870:
	s_mov_b32 s10, 0x7f800000
	v_mov_b32_e32 v4, 0x7e
	v_mov_b32_e32 v5, 0x7f
	v_cmp_lt_u32_e32 vcc, s10, v3
	v_cndmask_b32_e32 v4, v4, v5, vcc
; %bb.2871:
	s_or_b64 exec, exec, s[6:7]
	global_store_byte v[0:1], v4, off
.LBB198_2872:
	s_mov_b64 s[6:7], 0
.LBB198_2873:
	s_andn2_b64 vcc, exec, s[6:7]
	s_cbranch_vccnz .LBB198_2883
; %bb.2874:
	v_cndmask_b32_e64 v3, 0, 1.0, s[2:3]
	s_mov_b32 s6, 0x47800000
	v_cmp_gt_u32_e32 vcc, s6, v3
                                        ; implicit-def: $vgpr4
	s_and_saveexec_b64 s[6:7], vcc
	s_xor_b64 s[6:7], exec, s[6:7]
	s_cbranch_execz .LBB198_2880
; %bb.2875:
	s_mov_b32 s10, 0x387fffff
	v_cmp_lt_u32_e32 vcc, s10, v3
                                        ; implicit-def: $vgpr4
	s_and_saveexec_b64 s[10:11], vcc
	s_xor_b64 s[10:11], exec, s[10:11]
; %bb.2876:
	v_bfe_u32 v4, v3, 21, 1
	s_mov_b32 s12, 0x80fffff
	v_add3_u32 v3, v3, v4, s12
	v_lshrrev_b32_e32 v4, 21, v3
                                        ; implicit-def: $vgpr3
; %bb.2877:
	s_andn2_saveexec_b64 s[10:11], s[10:11]
; %bb.2878:
	v_add_f32_e32 v4, 0x43000000, v3
; %bb.2879:
	s_or_b64 exec, exec, s[10:11]
                                        ; implicit-def: $vgpr3
.LBB198_2880:
	s_andn2_saveexec_b64 s[6:7], s[6:7]
; %bb.2881:
	s_mov_b32 s10, 0x7f800000
	v_mov_b32_e32 v4, 0x7c
	v_mov_b32_e32 v5, 0x7f
	v_cmp_lt_u32_e32 vcc, s10, v3
	v_cndmask_b32_e32 v4, v4, v5, vcc
; %bb.2882:
	s_or_b64 exec, exec, s[6:7]
	global_store_byte v[0:1], v4, off
.LBB198_2883:
	s_mov_b64 s[6:7], 0
	s_mov_b64 s[10:11], -1
.LBB198_2884:
	s_andn2_b64 vcc, exec, s[6:7]
	s_mov_b64 s[6:7], 0
	s_cbranch_vccnz .LBB198_2891
; %bb.2885:
	s_cmp_gt_i32 s17, 14
	s_mov_b64 s[12:13], -1
	s_cbranch_scc0 .LBB198_2889
; %bb.2886:
	s_cmp_eq_u32 s17, 15
	s_mov_b64 s[4:5], -1
	s_cbranch_scc0 .LBB198_2888
; %bb.2887:
	v_cndmask_b32_e64 v3, 0, 1.0, s[2:3]
	v_bfe_u32 v4, v3, 16, 1
	s_movk_i32 s4, 0x7fff
	v_add3_u32 v3, v3, v4, s4
	global_store_short_d16_hi v[0:1], v3, off
	s_mov_b64 s[4:5], 0
	s_mov_b64 s[10:11], -1
.LBB198_2888:
	s_mov_b64 s[12:13], 0
.LBB198_2889:
	s_and_b64 vcc, exec, s[12:13]
	s_cbranch_vccz .LBB198_2891
; %bb.2890:
	s_cmp_lg_u32 s17, 11
	s_mov_b64 s[6:7], -1
	s_cselect_b64 s[4:5], -1, 0
.LBB198_2891:
	s_and_b64 vcc, exec, s[4:5]
	s_cbranch_vccnz .LBB198_3071
; %bb.2892:
	s_andn2_b64 vcc, exec, s[6:7]
	s_cbranch_vccnz .LBB198_2894
.LBB198_2893:
	v_cndmask_b32_e64 v3, 0, 1, s[2:3]
	s_mov_b64 s[10:11], -1
	global_store_byte v[0:1], v3, off
.LBB198_2894:
	s_mov_b64 s[4:5], 0
	s_branch .LBB198_2896
.LBB198_2895:
	s_mov_b64 s[4:5], -1
	s_mov_b64 s[10:11], 0
.LBB198_2896:
	s_and_b64 vcc, exec, s[4:5]
	s_cbranch_vccz .LBB198_2935
; %bb.2897:
	s_and_b32 s6, 0xffff, s24
	s_cmp_lt_i32 s6, 5
	s_mov_b64 s[4:5], -1
	s_cbranch_scc1 .LBB198_2918
; %bb.2898:
	s_cmp_lt_i32 s6, 8
	s_cbranch_scc1 .LBB198_2908
; %bb.2899:
	s_cmp_lt_i32 s6, 9
	s_cbranch_scc1 .LBB198_2905
; %bb.2900:
	s_cmp_gt_i32 s6, 9
	s_cbranch_scc0 .LBB198_2902
; %bb.2901:
	v_cndmask_b32_e64 v3, 0, 1, s[2:3]
	v_cvt_f64_u32_e32 v[3:4], v3
	v_mov_b32_e32 v5, 0
	v_mov_b32_e32 v6, v5
	s_mov_b64 s[4:5], 0
	global_store_dwordx4 v[0:1], v[3:6], off
.LBB198_2902:
	s_andn2_b64 vcc, exec, s[4:5]
	s_cbranch_vccnz .LBB198_2904
; %bb.2903:
	v_cndmask_b32_e64 v3, 0, 1.0, s[2:3]
	v_mov_b32_e32 v4, 0
	global_store_dwordx2 v[0:1], v[3:4], off
.LBB198_2904:
	s_mov_b64 s[4:5], 0
.LBB198_2905:
	s_andn2_b64 vcc, exec, s[4:5]
	s_cbranch_vccnz .LBB198_2907
; %bb.2906:
	v_cndmask_b32_e64 v3, 0, 1.0, s[2:3]
	v_cvt_f16_f32_e32 v3, v3
	global_store_dword v[0:1], v3, off
.LBB198_2907:
	s_mov_b64 s[4:5], 0
.LBB198_2908:
	s_andn2_b64 vcc, exec, s[4:5]
	s_cbranch_vccnz .LBB198_2917
; %bb.2909:
	s_cmp_lt_i32 s6, 6
	s_mov_b64 s[4:5], -1
	s_cbranch_scc1 .LBB198_2915
; %bb.2910:
	s_cmp_gt_i32 s6, 6
	s_cbranch_scc0 .LBB198_2912
; %bb.2911:
	v_cndmask_b32_e64 v3, 0, 1, s[2:3]
	v_cvt_f64_u32_e32 v[3:4], v3
	s_mov_b64 s[4:5], 0
	global_store_dwordx2 v[0:1], v[3:4], off
.LBB198_2912:
	s_andn2_b64 vcc, exec, s[4:5]
	s_cbranch_vccnz .LBB198_2914
; %bb.2913:
	v_cndmask_b32_e64 v3, 0, 1.0, s[2:3]
	global_store_dword v[0:1], v3, off
.LBB198_2914:
	s_mov_b64 s[4:5], 0
.LBB198_2915:
	s_andn2_b64 vcc, exec, s[4:5]
	s_cbranch_vccnz .LBB198_2917
; %bb.2916:
	v_cndmask_b32_e64 v3, 0, 1.0, s[2:3]
	v_cvt_f16_f32_e32 v3, v3
	global_store_short v[0:1], v3, off
.LBB198_2917:
	s_mov_b64 s[4:5], 0
.LBB198_2918:
	s_andn2_b64 vcc, exec, s[4:5]
	s_cbranch_vccnz .LBB198_2934
; %bb.2919:
	s_cmp_lt_i32 s6, 2
	s_mov_b64 s[4:5], -1
	s_cbranch_scc1 .LBB198_2929
; %bb.2920:
	s_cmp_lt_i32 s6, 3
	s_cbranch_scc1 .LBB198_2926
; %bb.2921:
	s_cmp_gt_i32 s6, 3
	s_cbranch_scc0 .LBB198_2923
; %bb.2922:
	s_mov_b32 s4, 0
	v_cndmask_b32_e64 v3, 0, 1, s[2:3]
	v_mov_b32_e32 v4, s4
	global_store_dwordx2 v[0:1], v[3:4], off
	s_mov_b64 s[4:5], 0
.LBB198_2923:
	s_andn2_b64 vcc, exec, s[4:5]
	s_cbranch_vccnz .LBB198_2925
; %bb.2924:
	v_cndmask_b32_e64 v3, 0, 1, s[2:3]
	global_store_dword v[0:1], v3, off
.LBB198_2925:
	s_mov_b64 s[4:5], 0
.LBB198_2926:
	s_andn2_b64 vcc, exec, s[4:5]
	s_cbranch_vccnz .LBB198_2928
; %bb.2927:
	v_cndmask_b32_e64 v3, 0, 1, s[2:3]
	global_store_short v[0:1], v3, off
.LBB198_2928:
	s_mov_b64 s[4:5], 0
.LBB198_2929:
	s_andn2_b64 vcc, exec, s[4:5]
	s_cbranch_vccnz .LBB198_2934
; %bb.2930:
	s_mov_b64 s[4:5], -1
	s_cmp_gt_i32 s6, 0
	v_cndmask_b32_e64 v3, 0, 1, s[2:3]
	s_cbranch_scc0 .LBB198_2932
; %bb.2931:
	global_store_byte v[0:1], v3, off
	s_mov_b64 s[4:5], 0
.LBB198_2932:
	s_andn2_b64 vcc, exec, s[4:5]
	s_cbranch_vccnz .LBB198_2934
; %bb.2933:
	global_store_byte v[0:1], v3, off
.LBB198_2934:
	s_mov_b64 s[10:11], -1
.LBB198_2935:
	s_andn2_b64 vcc, exec, s[10:11]
	s_cbranch_vccnz .LBB198_3012
; %bb.2936:
	v_lshlrev_b32_e32 v0, 16, v9
	v_lshlrev_b32_e32 v1, 16, v10
	v_cmp_eq_f32_e32 vcc, v0, v1
	v_cndmask_b32_e64 v3, 0, 1, vcc
	v_cmp_neq_f32_e32 vcc, v0, v1
	v_cndmask_b32_e64 v0, 0, 1, vcc
	v_cndmask_b32_e64 v0, v0, v3, s[0:1]
	v_and_b32_e32 v0, 1, v0
	v_cmp_eq_u32_e64 s[2:3], 1, v0
	v_add_u32_e32 v0, s16, v2
	v_ashrrev_i32_e32 v1, 31, v0
	v_mov_b32_e32 v2, s9
	v_add_co_u32_e32 v0, vcc, s8, v0
	s_cmp_lt_i32 s24, 11
	v_addc_co_u32_e32 v1, vcc, v2, v1, vcc
	s_cbranch_scc1 .LBB198_3057
; %bb.2937:
	s_and_b32 s12, 0xffff, s24
	s_mov_b64 s[6:7], -1
	s_mov_b64 s[4:5], 0
	s_cmp_gt_i32 s12, 25
	s_mov_b64 s[0:1], 0
	s_cbranch_scc0 .LBB198_2970
; %bb.2938:
	s_cmp_gt_i32 s12, 28
	s_cbranch_scc0 .LBB198_2954
; %bb.2939:
	s_cmp_gt_i32 s12, 43
	;; [unrolled: 3-line block ×3, first 2 shown]
	s_cbranch_scc0 .LBB198_2944
; %bb.2941:
	s_cmp_eq_u32 s12, 46
	s_mov_b64 s[0:1], -1
	s_cbranch_scc0 .LBB198_2943
; %bb.2942:
	v_cndmask_b32_e64 v2, 0, 1.0, s[2:3]
	v_bfe_u32 v3, v2, 16, 1
	s_movk_i32 s0, 0x7fff
	v_add3_u32 v2, v2, v3, s0
	v_lshrrev_b32_e32 v2, 16, v2
	global_store_dword v[0:1], v2, off
	s_mov_b64 s[0:1], 0
.LBB198_2943:
	s_mov_b64 s[6:7], 0
.LBB198_2944:
	s_and_b64 vcc, exec, s[6:7]
	s_cbranch_vccz .LBB198_2949
; %bb.2945:
	s_cmp_eq_u32 s12, 44
	s_mov_b64 s[0:1], -1
	s_cbranch_scc0 .LBB198_2949
; %bb.2946:
	v_cndmask_b32_e64 v3, 0, 1.0, s[2:3]
	v_lshrrev_b32_e32 v2, 23, v3
	s_movk_i32 s0, 0xff
	v_cmp_ne_u32_e32 vcc, s0, v2
	v_mov_b32_e32 v4, 0xff
	s_and_saveexec_b64 s[6:7], vcc
; %bb.2947:
	s_mov_b32 s0, 0x3fffff
	v_and_b32_e32 v4, 0x400000, v3
	v_and_or_b32 v3, v3, s0, v2
	v_cmp_ne_u32_e32 vcc, 0, v4
	v_cmp_ne_u32_e64 s[0:1], 0, v3
	s_and_b64 s[0:1], vcc, s[0:1]
	v_cndmask_b32_e64 v3, 0, 1, s[0:1]
	v_add_u32_e32 v4, v2, v3
; %bb.2948:
	s_or_b64 exec, exec, s[6:7]
	s_mov_b64 s[0:1], 0
	global_store_byte v[0:1], v4, off
.LBB198_2949:
	s_mov_b64 s[6:7], 0
.LBB198_2950:
	s_and_b64 vcc, exec, s[6:7]
	s_cbranch_vccz .LBB198_2953
; %bb.2951:
	s_cmp_eq_u32 s12, 29
	s_mov_b64 s[0:1], -1
	s_cbranch_scc0 .LBB198_2953
; %bb.2952:
	s_mov_b32 s0, 0
	v_cndmask_b32_e64 v2, 0, 1, s[2:3]
	v_mov_b32_e32 v3, s0
	global_store_dwordx2 v[0:1], v[2:3], off
	s_mov_b64 s[0:1], 0
.LBB198_2953:
	s_mov_b64 s[6:7], 0
.LBB198_2954:
	s_and_b64 vcc, exec, s[6:7]
	s_cbranch_vccz .LBB198_2969
; %bb.2955:
	s_cmp_lt_i32 s12, 27
	s_mov_b64 s[6:7], -1
	s_cbranch_scc1 .LBB198_2961
; %bb.2956:
	s_cmp_gt_i32 s12, 27
	v_cndmask_b32_e64 v2, 0, 1, s[2:3]
	s_cbranch_scc0 .LBB198_2958
; %bb.2957:
	global_store_dword v[0:1], v2, off
	s_mov_b64 s[6:7], 0
.LBB198_2958:
	s_andn2_b64 vcc, exec, s[6:7]
	s_cbranch_vccnz .LBB198_2960
; %bb.2959:
	global_store_short v[0:1], v2, off
.LBB198_2960:
	s_mov_b64 s[6:7], 0
.LBB198_2961:
	s_andn2_b64 vcc, exec, s[6:7]
	s_cbranch_vccnz .LBB198_2969
; %bb.2962:
	v_cndmask_b32_e64 v3, 0, 1.0, s[2:3]
	s_mov_b32 s6, 0x43800000
	v_cmp_gt_u32_e32 vcc, s6, v3
	v_mov_b32_e32 v4, 0x80
	s_and_saveexec_b64 s[6:7], vcc
	s_cbranch_execz .LBB198_2968
; %bb.2963:
	s_mov_b32 s8, 0x3bffffff
	v_cmp_lt_u32_e32 vcc, s8, v3
	s_mov_b64 s[8:9], 0
                                        ; implicit-def: $vgpr2
	s_and_saveexec_b64 s[10:11], vcc
	s_xor_b64 s[10:11], exec, s[10:11]
	s_cbranch_execz .LBB198_3074
; %bb.2964:
	v_bfe_u32 v2, v3, 20, 1
	s_mov_b32 s13, 0x487ffff
	v_add3_u32 v2, v3, v2, s13
	s_mov_b64 s[8:9], exec
	v_lshrrev_b32_e32 v2, 20, v2
                                        ; implicit-def: $vgpr3
	s_andn2_saveexec_b64 s[10:11], s[10:11]
	s_cbranch_execnz .LBB198_3075
.LBB198_2965:
	s_or_b64 exec, exec, s[10:11]
	v_mov_b32_e32 v4, 0
	s_and_saveexec_b64 s[10:11], s[8:9]
.LBB198_2966:
	v_mov_b32_e32 v4, v2
.LBB198_2967:
	s_or_b64 exec, exec, s[10:11]
.LBB198_2968:
	s_or_b64 exec, exec, s[6:7]
	global_store_byte v[0:1], v4, off
.LBB198_2969:
	s_mov_b64 s[6:7], 0
.LBB198_2970:
	s_and_b64 vcc, exec, s[6:7]
	s_cbranch_vccz .LBB198_3010
; %bb.2971:
	s_cmp_gt_i32 s12, 22
	s_mov_b64 s[4:5], -1
	s_cbranch_scc0 .LBB198_3003
; %bb.2972:
	s_cmp_lt_i32 s12, 24
	s_cbranch_scc1 .LBB198_2992
; %bb.2973:
	s_cmp_gt_i32 s12, 24
	s_cbranch_scc0 .LBB198_2981
; %bb.2974:
	v_cndmask_b32_e64 v3, 0, 1.0, s[2:3]
	s_mov_b32 s4, 0x47800000
	v_cmp_gt_u32_e32 vcc, s4, v3
	v_mov_b32_e32 v4, 0x80
	s_and_saveexec_b64 s[4:5], vcc
	s_cbranch_execz .LBB198_2980
; %bb.2975:
	s_mov_b32 s6, 0x37ffffff
	v_cmp_lt_u32_e32 vcc, s6, v3
	s_mov_b64 s[6:7], 0
                                        ; implicit-def: $vgpr2
	s_and_saveexec_b64 s[8:9], vcc
	s_xor_b64 s[8:9], exec, s[8:9]
	s_cbranch_execz .LBB198_3077
; %bb.2976:
	v_bfe_u32 v2, v3, 21, 1
	s_mov_b32 s10, 0x88fffff
	v_add3_u32 v2, v3, v2, s10
	s_mov_b64 s[6:7], exec
	v_lshrrev_b32_e32 v2, 21, v2
                                        ; implicit-def: $vgpr3
	s_andn2_saveexec_b64 s[8:9], s[8:9]
	s_cbranch_execnz .LBB198_3078
.LBB198_2977:
	s_or_b64 exec, exec, s[8:9]
	v_mov_b32_e32 v4, 0
	s_and_saveexec_b64 s[8:9], s[6:7]
.LBB198_2978:
	v_mov_b32_e32 v4, v2
.LBB198_2979:
	s_or_b64 exec, exec, s[8:9]
.LBB198_2980:
	s_or_b64 exec, exec, s[4:5]
	s_mov_b64 s[4:5], 0
	global_store_byte v[0:1], v4, off
.LBB198_2981:
	s_and_b64 vcc, exec, s[4:5]
	s_cbranch_vccz .LBB198_2991
; %bb.2982:
	v_cndmask_b32_e64 v2, 0, 1.0, s[2:3]
	s_mov_b32 s4, 0x43f00000
	v_cmp_gt_u32_e32 vcc, s4, v2
                                        ; implicit-def: $vgpr3
	s_and_saveexec_b64 s[4:5], vcc
	s_xor_b64 s[4:5], exec, s[4:5]
	s_cbranch_execz .LBB198_2988
; %bb.2983:
	s_mov_b32 s6, 0x3c7fffff
	v_cmp_lt_u32_e32 vcc, s6, v2
                                        ; implicit-def: $vgpr3
	s_and_saveexec_b64 s[6:7], vcc
	s_xor_b64 s[6:7], exec, s[6:7]
; %bb.2984:
	v_bfe_u32 v3, v2, 20, 1
	s_mov_b32 s8, 0x407ffff
	v_add3_u32 v2, v2, v3, s8
	v_lshrrev_b32_e32 v3, 20, v2
	v_and_b32_e32 v2, 0xff00000, v2
	s_mov_b32 s8, 0x7f00000
	v_mov_b32_e32 v4, 0x7e
	v_cmp_ne_u32_e32 vcc, s8, v2
	v_cndmask_b32_e32 v3, v4, v3, vcc
                                        ; implicit-def: $vgpr2
; %bb.2985:
	s_andn2_saveexec_b64 s[6:7], s[6:7]
; %bb.2986:
	v_add_f32_e32 v3, 0x46800000, v2
; %bb.2987:
	s_or_b64 exec, exec, s[6:7]
                                        ; implicit-def: $vgpr2
.LBB198_2988:
	s_andn2_saveexec_b64 s[4:5], s[4:5]
; %bb.2989:
	s_mov_b32 s6, 0x7f800000
	v_mov_b32_e32 v3, 0x7e
	v_mov_b32_e32 v4, 0x7f
	v_cmp_lt_u32_e32 vcc, s6, v2
	v_cndmask_b32_e32 v3, v3, v4, vcc
; %bb.2990:
	s_or_b64 exec, exec, s[4:5]
	global_store_byte v[0:1], v3, off
.LBB198_2991:
	s_mov_b64 s[4:5], 0
.LBB198_2992:
	s_andn2_b64 vcc, exec, s[4:5]
	s_cbranch_vccnz .LBB198_3002
; %bb.2993:
	v_cndmask_b32_e64 v2, 0, 1.0, s[2:3]
	s_mov_b32 s4, 0x47800000
	v_cmp_gt_u32_e32 vcc, s4, v2
                                        ; implicit-def: $vgpr3
	s_and_saveexec_b64 s[4:5], vcc
	s_xor_b64 s[4:5], exec, s[4:5]
	s_cbranch_execz .LBB198_2999
; %bb.2994:
	s_mov_b32 s6, 0x387fffff
	v_cmp_lt_u32_e32 vcc, s6, v2
                                        ; implicit-def: $vgpr3
	s_and_saveexec_b64 s[6:7], vcc
	s_xor_b64 s[6:7], exec, s[6:7]
; %bb.2995:
	v_bfe_u32 v3, v2, 21, 1
	s_mov_b32 s8, 0x80fffff
	v_add3_u32 v2, v2, v3, s8
	v_lshrrev_b32_e32 v3, 21, v2
                                        ; implicit-def: $vgpr2
; %bb.2996:
	s_andn2_saveexec_b64 s[6:7], s[6:7]
; %bb.2997:
	v_add_f32_e32 v3, 0x43000000, v2
; %bb.2998:
	s_or_b64 exec, exec, s[6:7]
                                        ; implicit-def: $vgpr2
.LBB198_2999:
	s_andn2_saveexec_b64 s[4:5], s[4:5]
; %bb.3000:
	s_mov_b32 s6, 0x7f800000
	v_mov_b32_e32 v3, 0x7c
	v_mov_b32_e32 v4, 0x7f
	v_cmp_lt_u32_e32 vcc, s6, v2
	v_cndmask_b32_e32 v3, v3, v4, vcc
; %bb.3001:
	s_or_b64 exec, exec, s[4:5]
	global_store_byte v[0:1], v3, off
.LBB198_3002:
	s_mov_b64 s[4:5], 0
.LBB198_3003:
	s_andn2_b64 vcc, exec, s[4:5]
	s_mov_b64 s[4:5], 0
	s_cbranch_vccnz .LBB198_3010
; %bb.3004:
	s_cmp_gt_i32 s12, 14
	s_mov_b64 s[6:7], -1
	s_cbranch_scc0 .LBB198_3008
; %bb.3005:
	s_cmp_eq_u32 s12, 15
	s_mov_b64 s[0:1], -1
	s_cbranch_scc0 .LBB198_3007
; %bb.3006:
	v_cndmask_b32_e64 v2, 0, 1.0, s[2:3]
	v_bfe_u32 v3, v2, 16, 1
	s_movk_i32 s0, 0x7fff
	v_add3_u32 v2, v2, v3, s0
	global_store_short_d16_hi v[0:1], v2, off
	s_mov_b64 s[0:1], 0
.LBB198_3007:
	s_mov_b64 s[6:7], 0
.LBB198_3008:
	s_and_b64 vcc, exec, s[6:7]
	s_cbranch_vccz .LBB198_3010
; %bb.3009:
	s_cmp_lg_u32 s12, 11
	s_mov_b64 s[4:5], -1
	s_cselect_b64 s[0:1], -1, 0
.LBB198_3010:
	s_and_b64 vcc, exec, s[0:1]
	s_cbranch_vccnz .LBB198_3076
.LBB198_3011:
	s_mov_b64 s[0:1], 0
	s_branch .LBB198_3013
.LBB198_3012:
	s_mov_b64 s[0:1], 0
	s_mov_b64 s[4:5], 0
                                        ; implicit-def: $sgpr2_sgpr3
                                        ; implicit-def: $sgpr24
                                        ; implicit-def: $vgpr0_vgpr1
.LBB198_3013:
	s_and_b64 s[6:7], s[4:5], exec
	s_andn2_b64 s[4:5], s[20:21], exec
	s_and_b64 s[8:9], s[22:23], exec
	s_and_b64 s[0:1], s[0:1], exec
	s_or_b64 s[20:21], s[4:5], s[8:9]
.LBB198_3014:
	s_or_b64 exec, exec, s[18:19]
	s_and_saveexec_b64 s[4:5], s[20:21]
	s_cbranch_execz .LBB198_3017
; %bb.3015:
	; divergent unreachable
	s_or_b64 exec, exec, s[4:5]
	s_and_saveexec_b64 s[4:5], s[6:7]
	s_xor_b64 s[4:5], exec, s[4:5]
	s_cbranch_execnz .LBB198_3018
.LBB198_3016:
	s_or_b64 exec, exec, s[4:5]
	s_and_saveexec_b64 s[4:5], s[0:1]
	s_cbranch_execnz .LBB198_3019
	s_branch .LBB198_3056
.LBB198_3017:
	s_or_b64 exec, exec, s[4:5]
	s_and_saveexec_b64 s[4:5], s[6:7]
	s_xor_b64 s[4:5], exec, s[4:5]
	s_cbranch_execz .LBB198_3016
.LBB198_3018:
	v_cndmask_b32_e64 v2, 0, 1, s[2:3]
	global_store_byte v[0:1], v2, off
	s_or_b64 exec, exec, s[4:5]
	s_and_saveexec_b64 s[4:5], s[0:1]
	s_cbranch_execz .LBB198_3056
.LBB198_3019:
	s_sext_i32_i16 s4, s24
	s_cmp_lt_i32 s4, 5
	s_mov_b64 s[0:1], -1
	s_cbranch_scc1 .LBB198_3040
; %bb.3020:
	s_cmp_lt_i32 s4, 8
	s_cbranch_scc1 .LBB198_3030
; %bb.3021:
	s_cmp_lt_i32 s4, 9
	s_cbranch_scc1 .LBB198_3027
; %bb.3022:
	s_cmp_gt_i32 s4, 9
	s_cbranch_scc0 .LBB198_3024
; %bb.3023:
	v_cndmask_b32_e64 v2, 0, 1, s[2:3]
	s_waitcnt vmcnt(0)
	v_cvt_f64_u32_e32 v[2:3], v2
	v_mov_b32_e32 v4, 0
	v_mov_b32_e32 v5, v4
	s_mov_b64 s[0:1], 0
	global_store_dwordx4 v[0:1], v[2:5], off
.LBB198_3024:
	s_andn2_b64 vcc, exec, s[0:1]
	s_cbranch_vccnz .LBB198_3026
; %bb.3025:
	v_cndmask_b32_e64 v2, 0, 1.0, s[2:3]
	s_waitcnt vmcnt(0)
	v_mov_b32_e32 v3, 0
	global_store_dwordx2 v[0:1], v[2:3], off
.LBB198_3026:
	s_mov_b64 s[0:1], 0
.LBB198_3027:
	s_andn2_b64 vcc, exec, s[0:1]
	s_cbranch_vccnz .LBB198_3029
; %bb.3028:
	v_cndmask_b32_e64 v2, 0, 1.0, s[2:3]
	v_cvt_f16_f32_e32 v2, v2
	global_store_dword v[0:1], v2, off
.LBB198_3029:
	s_mov_b64 s[0:1], 0
.LBB198_3030:
	s_andn2_b64 vcc, exec, s[0:1]
	s_cbranch_vccnz .LBB198_3039
; %bb.3031:
	s_sext_i32_i16 s4, s24
	s_cmp_lt_i32 s4, 6
	s_mov_b64 s[0:1], -1
	s_cbranch_scc1 .LBB198_3037
; %bb.3032:
	s_cmp_gt_i32 s4, 6
	s_cbranch_scc0 .LBB198_3034
; %bb.3033:
	v_cndmask_b32_e64 v2, 0, 1, s[2:3]
	s_waitcnt vmcnt(0)
	v_cvt_f64_u32_e32 v[2:3], v2
	s_mov_b64 s[0:1], 0
	global_store_dwordx2 v[0:1], v[2:3], off
.LBB198_3034:
	s_andn2_b64 vcc, exec, s[0:1]
	s_cbranch_vccnz .LBB198_3036
; %bb.3035:
	v_cndmask_b32_e64 v2, 0, 1.0, s[2:3]
	global_store_dword v[0:1], v2, off
.LBB198_3036:
	s_mov_b64 s[0:1], 0
.LBB198_3037:
	s_andn2_b64 vcc, exec, s[0:1]
	s_cbranch_vccnz .LBB198_3039
; %bb.3038:
	v_cndmask_b32_e64 v2, 0, 1.0, s[2:3]
	v_cvt_f16_f32_e32 v2, v2
	global_store_short v[0:1], v2, off
.LBB198_3039:
	s_mov_b64 s[0:1], 0
.LBB198_3040:
	s_andn2_b64 vcc, exec, s[0:1]
	s_cbranch_vccnz .LBB198_3056
; %bb.3041:
	s_sext_i32_i16 s4, s24
	s_cmp_lt_i32 s4, 2
	s_mov_b64 s[0:1], -1
	s_cbranch_scc1 .LBB198_3051
; %bb.3042:
	s_cmp_lt_i32 s4, 3
	s_cbranch_scc1 .LBB198_3048
; %bb.3043:
	s_cmp_gt_i32 s4, 3
	s_cbranch_scc0 .LBB198_3045
; %bb.3044:
	s_mov_b32 s0, 0
	v_cndmask_b32_e64 v2, 0, 1, s[2:3]
	s_waitcnt vmcnt(0)
	v_mov_b32_e32 v3, s0
	global_store_dwordx2 v[0:1], v[2:3], off
	s_mov_b64 s[0:1], 0
.LBB198_3045:
	s_andn2_b64 vcc, exec, s[0:1]
	s_cbranch_vccnz .LBB198_3047
; %bb.3046:
	v_cndmask_b32_e64 v2, 0, 1, s[2:3]
	global_store_dword v[0:1], v2, off
.LBB198_3047:
	s_mov_b64 s[0:1], 0
.LBB198_3048:
	s_andn2_b64 vcc, exec, s[0:1]
	s_cbranch_vccnz .LBB198_3050
; %bb.3049:
	v_cndmask_b32_e64 v2, 0, 1, s[2:3]
	global_store_short v[0:1], v2, off
.LBB198_3050:
	s_mov_b64 s[0:1], 0
.LBB198_3051:
	s_andn2_b64 vcc, exec, s[0:1]
	s_cbranch_vccnz .LBB198_3056
; %bb.3052:
	s_sext_i32_i16 s4, s24
	s_mov_b64 s[0:1], -1
	s_cmp_gt_i32 s4, 0
	v_cndmask_b32_e64 v2, 0, 1, s[2:3]
	s_cbranch_scc0 .LBB198_3054
; %bb.3053:
	global_store_byte v[0:1], v2, off
	s_mov_b64 s[0:1], 0
.LBB198_3054:
	s_andn2_b64 vcc, exec, s[0:1]
	s_cbranch_vccnz .LBB198_3056
; %bb.3055:
	global_store_byte v[0:1], v2, off
	s_endpgm
.LBB198_3056:
	s_endpgm
.LBB198_3057:
	s_mov_b64 s[4:5], 0
	s_mov_b64 s[0:1], -1
	s_branch .LBB198_3013
.LBB198_3058:
	s_trap 2
	s_or_b64 s[22:23], s[22:23], exec
	s_cbranch_execz .LBB198_2527
	s_branch .LBB198_2528
.LBB198_3059:
	s_andn2_saveexec_b64 s[16:17], s[16:17]
	s_cbranch_execz .LBB198_2607
.LBB198_3060:
	v_add_f32_e32 v3, 0x46000000, v4
	v_and_b32_e32 v3, 0xff, v3
	v_cmp_ne_u32_e32 vcc, 0, v3
	s_andn2_b64 s[14:15], s[14:15], exec
	s_and_b64 s[26:27], vcc, exec
	s_or_b64 s[14:15], s[14:15], s[26:27]
	s_or_b64 exec, exec, s[16:17]
	v_mov_b32_e32 v11, 0
	s_and_saveexec_b64 s[16:17], s[14:15]
	s_cbranch_execnz .LBB198_2608
	s_branch .LBB198_2609
.LBB198_3061:
	s_trap 2
	s_or_b64 s[22:23], s[22:23], exec
	s_cbranch_execz .LBB198_2655
	s_branch .LBB198_2656
.LBB198_3062:
	s_andn2_saveexec_b64 s[14:15], s[14:15]
	s_cbranch_execz .LBB198_2620
.LBB198_3063:
	v_add_f32_e32 v3, 0x42800000, v4
	v_and_b32_e32 v3, 0xff, v3
	v_cmp_ne_u32_e32 vcc, 0, v3
	s_andn2_b64 s[10:11], s[10:11], exec
	s_and_b64 s[16:17], vcc, exec
	s_or_b64 s[10:11], s[10:11], s[16:17]
	s_or_b64 exec, exec, s[14:15]
	v_mov_b32_e32 v11, 0
	s_and_saveexec_b64 s[14:15], s[10:11]
	s_cbranch_execnz .LBB198_2621
	s_branch .LBB198_2622
.LBB198_3064:
	s_andn2_saveexec_b64 s[14:15], s[14:15]
	s_cbranch_execz .LBB198_2726
.LBB198_3065:
	v_add_f32_e32 v3, 0x46000000, v4
	v_and_b32_e32 v3, 0xff, v3
	v_cmp_ne_u32_e32 vcc, 0, v3
	s_andn2_b64 s[12:13], s[12:13], exec
	s_and_b64 s[26:27], vcc, exec
	s_or_b64 s[12:13], s[12:13], s[26:27]
	s_or_b64 exec, exec, s[14:15]
	v_mov_b32_e32 v5, 0
	s_and_saveexec_b64 s[14:15], s[12:13]
	s_cbranch_execnz .LBB198_2727
	s_branch .LBB198_2728
.LBB198_3066:
	s_trap 2
	s_or_b64 s[22:23], s[22:23], exec
	s_cbranch_execz .LBB198_2774
	s_branch .LBB198_2775
.LBB198_3067:
	s_andn2_saveexec_b64 s[12:13], s[12:13]
	s_cbranch_execz .LBB198_2739
.LBB198_3068:
	v_add_f32_e32 v3, 0x42800000, v4
	v_and_b32_e32 v3, 0xff, v3
	v_cmp_ne_u32_e32 vcc, 0, v3
	s_andn2_b64 s[10:11], s[10:11], exec
	s_and_b64 s[14:15], vcc, exec
	s_or_b64 s[10:11], s[10:11], s[14:15]
	s_or_b64 exec, exec, s[12:13]
	v_mov_b32_e32 v5, 0
	s_and_saveexec_b64 s[12:13], s[10:11]
	s_cbranch_execnz .LBB198_2740
	s_branch .LBB198_2741
.LBB198_3069:
	s_andn2_saveexec_b64 s[14:15], s[14:15]
	s_cbranch_execz .LBB198_2845
.LBB198_3070:
	v_add_f32_e32 v3, 0x46000000, v4
	v_and_b32_e32 v3, 0xff, v3
	v_cmp_ne_u32_e32 vcc, 0, v3
	s_andn2_b64 s[12:13], s[12:13], exec
	s_and_b64 s[26:27], vcc, exec
	s_or_b64 s[12:13], s[12:13], s[26:27]
	s_or_b64 exec, exec, s[14:15]
	v_mov_b32_e32 v5, 0
	s_and_saveexec_b64 s[14:15], s[12:13]
	s_cbranch_execnz .LBB198_2846
	s_branch .LBB198_2847
.LBB198_3071:
	s_trap 2
	s_or_b64 s[22:23], s[22:23], exec
	s_cbranch_execz .LBB198_2893
	s_branch .LBB198_2894
.LBB198_3072:
	s_andn2_saveexec_b64 s[12:13], s[12:13]
	s_cbranch_execz .LBB198_2858
.LBB198_3073:
	v_add_f32_e32 v3, 0x42800000, v4
	v_and_b32_e32 v3, 0xff, v3
	v_cmp_ne_u32_e32 vcc, 0, v3
	s_andn2_b64 s[10:11], s[10:11], exec
	s_and_b64 s[14:15], vcc, exec
	s_or_b64 s[10:11], s[10:11], s[14:15]
	s_or_b64 exec, exec, s[12:13]
	v_mov_b32_e32 v5, 0
	s_and_saveexec_b64 s[12:13], s[10:11]
	s_cbranch_execnz .LBB198_2859
	s_branch .LBB198_2860
.LBB198_3074:
	s_andn2_saveexec_b64 s[10:11], s[10:11]
	s_cbranch_execz .LBB198_2965
.LBB198_3075:
	v_add_f32_e32 v2, 0x46000000, v3
	v_and_b32_e32 v2, 0xff, v2
	v_cmp_ne_u32_e32 vcc, 0, v2
	s_andn2_b64 s[8:9], s[8:9], exec
	s_and_b64 s[14:15], vcc, exec
	s_or_b64 s[8:9], s[8:9], s[14:15]
	s_or_b64 exec, exec, s[10:11]
	v_mov_b32_e32 v4, 0
	s_and_saveexec_b64 s[10:11], s[8:9]
	s_cbranch_execnz .LBB198_2966
	s_branch .LBB198_2967
.LBB198_3076:
	s_mov_b64 s[4:5], 0
	s_or_b64 s[22:23], s[22:23], exec
	s_trap 2
	s_branch .LBB198_3011
.LBB198_3077:
	s_andn2_saveexec_b64 s[8:9], s[8:9]
	s_cbranch_execz .LBB198_2977
.LBB198_3078:
	v_add_f32_e32 v2, 0x42800000, v3
	v_and_b32_e32 v2, 0xff, v2
	v_cmp_ne_u32_e32 vcc, 0, v2
	s_andn2_b64 s[6:7], s[6:7], exec
	s_and_b64 s[10:11], vcc, exec
	s_or_b64 s[6:7], s[6:7], s[10:11]
	s_or_b64 exec, exec, s[8:9]
	v_mov_b32_e32 v4, 0
	s_and_saveexec_b64 s[8:9], s[6:7]
	s_cbranch_execnz .LBB198_2978
	s_branch .LBB198_2979
	.section	.rodata,"a",@progbits
	.p2align	6, 0x0
	.amdhsa_kernel _ZN2at6native32elementwise_kernel_manual_unrollILi128ELi4EZNS0_15gpu_kernel_implINS0_13BinaryFunctorIN3c108BFloat16ES5_bNS0_12_GLOBAL__N_116CompareEqFunctorIS5_EEEEEEvRNS_18TensorIteratorBaseERKT_EUlibE_EEviT1_
		.amdhsa_group_segment_fixed_size 0
		.amdhsa_private_segment_fixed_size 0
		.amdhsa_kernarg_size 56
		.amdhsa_user_sgpr_count 6
		.amdhsa_user_sgpr_private_segment_buffer 1
		.amdhsa_user_sgpr_dispatch_ptr 0
		.amdhsa_user_sgpr_queue_ptr 0
		.amdhsa_user_sgpr_kernarg_segment_ptr 1
		.amdhsa_user_sgpr_dispatch_id 0
		.amdhsa_user_sgpr_flat_scratch_init 0
		.amdhsa_user_sgpr_private_segment_size 0
		.amdhsa_uses_dynamic_stack 0
		.amdhsa_system_sgpr_private_segment_wavefront_offset 0
		.amdhsa_system_sgpr_workgroup_id_x 1
		.amdhsa_system_sgpr_workgroup_id_y 0
		.amdhsa_system_sgpr_workgroup_id_z 0
		.amdhsa_system_sgpr_workgroup_info 0
		.amdhsa_system_vgpr_workitem_id 0
		.amdhsa_next_free_vgpr 16
		.amdhsa_next_free_sgpr 59
		.amdhsa_reserve_vcc 1
		.amdhsa_reserve_flat_scratch 0
		.amdhsa_float_round_mode_32 0
		.amdhsa_float_round_mode_16_64 0
		.amdhsa_float_denorm_mode_32 3
		.amdhsa_float_denorm_mode_16_64 3
		.amdhsa_dx10_clamp 1
		.amdhsa_ieee_mode 1
		.amdhsa_fp16_overflow 0
		.amdhsa_exception_fp_ieee_invalid_op 0
		.amdhsa_exception_fp_denorm_src 0
		.amdhsa_exception_fp_ieee_div_zero 0
		.amdhsa_exception_fp_ieee_overflow 0
		.amdhsa_exception_fp_ieee_underflow 0
		.amdhsa_exception_fp_ieee_inexact 0
		.amdhsa_exception_int_div_zero 0
	.end_amdhsa_kernel
	.section	.text._ZN2at6native32elementwise_kernel_manual_unrollILi128ELi4EZNS0_15gpu_kernel_implINS0_13BinaryFunctorIN3c108BFloat16ES5_bNS0_12_GLOBAL__N_116CompareEqFunctorIS5_EEEEEEvRNS_18TensorIteratorBaseERKT_EUlibE_EEviT1_,"axG",@progbits,_ZN2at6native32elementwise_kernel_manual_unrollILi128ELi4EZNS0_15gpu_kernel_implINS0_13BinaryFunctorIN3c108BFloat16ES5_bNS0_12_GLOBAL__N_116CompareEqFunctorIS5_EEEEEEvRNS_18TensorIteratorBaseERKT_EUlibE_EEviT1_,comdat
.Lfunc_end198:
	.size	_ZN2at6native32elementwise_kernel_manual_unrollILi128ELi4EZNS0_15gpu_kernel_implINS0_13BinaryFunctorIN3c108BFloat16ES5_bNS0_12_GLOBAL__N_116CompareEqFunctorIS5_EEEEEEvRNS_18TensorIteratorBaseERKT_EUlibE_EEviT1_, .Lfunc_end198-_ZN2at6native32elementwise_kernel_manual_unrollILi128ELi4EZNS0_15gpu_kernel_implINS0_13BinaryFunctorIN3c108BFloat16ES5_bNS0_12_GLOBAL__N_116CompareEqFunctorIS5_EEEEEEvRNS_18TensorIteratorBaseERKT_EUlibE_EEviT1_
                                        ; -- End function
	.set _ZN2at6native32elementwise_kernel_manual_unrollILi128ELi4EZNS0_15gpu_kernel_implINS0_13BinaryFunctorIN3c108BFloat16ES5_bNS0_12_GLOBAL__N_116CompareEqFunctorIS5_EEEEEEvRNS_18TensorIteratorBaseERKT_EUlibE_EEviT1_.num_vgpr, 16
	.set _ZN2at6native32elementwise_kernel_manual_unrollILi128ELi4EZNS0_15gpu_kernel_implINS0_13BinaryFunctorIN3c108BFloat16ES5_bNS0_12_GLOBAL__N_116CompareEqFunctorIS5_EEEEEEvRNS_18TensorIteratorBaseERKT_EUlibE_EEviT1_.num_agpr, 0
	.set _ZN2at6native32elementwise_kernel_manual_unrollILi128ELi4EZNS0_15gpu_kernel_implINS0_13BinaryFunctorIN3c108BFloat16ES5_bNS0_12_GLOBAL__N_116CompareEqFunctorIS5_EEEEEEvRNS_18TensorIteratorBaseERKT_EUlibE_EEviT1_.numbered_sgpr, 59
	.set _ZN2at6native32elementwise_kernel_manual_unrollILi128ELi4EZNS0_15gpu_kernel_implINS0_13BinaryFunctorIN3c108BFloat16ES5_bNS0_12_GLOBAL__N_116CompareEqFunctorIS5_EEEEEEvRNS_18TensorIteratorBaseERKT_EUlibE_EEviT1_.num_named_barrier, 0
	.set _ZN2at6native32elementwise_kernel_manual_unrollILi128ELi4EZNS0_15gpu_kernel_implINS0_13BinaryFunctorIN3c108BFloat16ES5_bNS0_12_GLOBAL__N_116CompareEqFunctorIS5_EEEEEEvRNS_18TensorIteratorBaseERKT_EUlibE_EEviT1_.private_seg_size, 0
	.set _ZN2at6native32elementwise_kernel_manual_unrollILi128ELi4EZNS0_15gpu_kernel_implINS0_13BinaryFunctorIN3c108BFloat16ES5_bNS0_12_GLOBAL__N_116CompareEqFunctorIS5_EEEEEEvRNS_18TensorIteratorBaseERKT_EUlibE_EEviT1_.uses_vcc, 1
	.set _ZN2at6native32elementwise_kernel_manual_unrollILi128ELi4EZNS0_15gpu_kernel_implINS0_13BinaryFunctorIN3c108BFloat16ES5_bNS0_12_GLOBAL__N_116CompareEqFunctorIS5_EEEEEEvRNS_18TensorIteratorBaseERKT_EUlibE_EEviT1_.uses_flat_scratch, 0
	.set _ZN2at6native32elementwise_kernel_manual_unrollILi128ELi4EZNS0_15gpu_kernel_implINS0_13BinaryFunctorIN3c108BFloat16ES5_bNS0_12_GLOBAL__N_116CompareEqFunctorIS5_EEEEEEvRNS_18TensorIteratorBaseERKT_EUlibE_EEviT1_.has_dyn_sized_stack, 0
	.set _ZN2at6native32elementwise_kernel_manual_unrollILi128ELi4EZNS0_15gpu_kernel_implINS0_13BinaryFunctorIN3c108BFloat16ES5_bNS0_12_GLOBAL__N_116CompareEqFunctorIS5_EEEEEEvRNS_18TensorIteratorBaseERKT_EUlibE_EEviT1_.has_recursion, 0
	.set _ZN2at6native32elementwise_kernel_manual_unrollILi128ELi4EZNS0_15gpu_kernel_implINS0_13BinaryFunctorIN3c108BFloat16ES5_bNS0_12_GLOBAL__N_116CompareEqFunctorIS5_EEEEEEvRNS_18TensorIteratorBaseERKT_EUlibE_EEviT1_.has_indirect_call, 0
	.section	.AMDGPU.csdata,"",@progbits
; Kernel info:
; codeLenInByte = 56872
; TotalNumSgprs: 63
; NumVgprs: 16
; ScratchSize: 0
; MemoryBound: 0
; FloatMode: 240
; IeeeMode: 1
; LDSByteSize: 0 bytes/workgroup (compile time only)
; SGPRBlocks: 7
; VGPRBlocks: 3
; NumSGPRsForWavesPerEU: 63
; NumVGPRsForWavesPerEU: 16
; Occupancy: 10
; WaveLimiterHint : 0
; COMPUTE_PGM_RSRC2:SCRATCH_EN: 0
; COMPUTE_PGM_RSRC2:USER_SGPR: 6
; COMPUTE_PGM_RSRC2:TRAP_HANDLER: 0
; COMPUTE_PGM_RSRC2:TGID_X_EN: 1
; COMPUTE_PGM_RSRC2:TGID_Y_EN: 0
; COMPUTE_PGM_RSRC2:TGID_Z_EN: 0
; COMPUTE_PGM_RSRC2:TIDIG_COMP_CNT: 0
	.section	.text._ZN2at6native32elementwise_kernel_manual_unrollILi128ELi4EZNS0_15gpu_kernel_implINS0_13BinaryFunctorIN3c108BFloat16ES5_bNS0_12_GLOBAL__N_116CompareEqFunctorIS5_EEEEEEvRNS_18TensorIteratorBaseERKT_EUlibE0_EEviT1_,"axG",@progbits,_ZN2at6native32elementwise_kernel_manual_unrollILi128ELi4EZNS0_15gpu_kernel_implINS0_13BinaryFunctorIN3c108BFloat16ES5_bNS0_12_GLOBAL__N_116CompareEqFunctorIS5_EEEEEEvRNS_18TensorIteratorBaseERKT_EUlibE0_EEviT1_,comdat
	.globl	_ZN2at6native32elementwise_kernel_manual_unrollILi128ELi4EZNS0_15gpu_kernel_implINS0_13BinaryFunctorIN3c108BFloat16ES5_bNS0_12_GLOBAL__N_116CompareEqFunctorIS5_EEEEEEvRNS_18TensorIteratorBaseERKT_EUlibE0_EEviT1_ ; -- Begin function _ZN2at6native32elementwise_kernel_manual_unrollILi128ELi4EZNS0_15gpu_kernel_implINS0_13BinaryFunctorIN3c108BFloat16ES5_bNS0_12_GLOBAL__N_116CompareEqFunctorIS5_EEEEEEvRNS_18TensorIteratorBaseERKT_EUlibE0_EEviT1_
	.p2align	8
	.type	_ZN2at6native32elementwise_kernel_manual_unrollILi128ELi4EZNS0_15gpu_kernel_implINS0_13BinaryFunctorIN3c108BFloat16ES5_bNS0_12_GLOBAL__N_116CompareEqFunctorIS5_EEEEEEvRNS_18TensorIteratorBaseERKT_EUlibE0_EEviT1_,@function
_ZN2at6native32elementwise_kernel_manual_unrollILi128ELi4EZNS0_15gpu_kernel_implINS0_13BinaryFunctorIN3c108BFloat16ES5_bNS0_12_GLOBAL__N_116CompareEqFunctorIS5_EEEEEEvRNS_18TensorIteratorBaseERKT_EUlibE0_EEviT1_: ; @_ZN2at6native32elementwise_kernel_manual_unrollILi128ELi4EZNS0_15gpu_kernel_implINS0_13BinaryFunctorIN3c108BFloat16ES5_bNS0_12_GLOBAL__N_116CompareEqFunctorIS5_EEEEEEvRNS_18TensorIteratorBaseERKT_EUlibE0_EEviT1_
; %bb.0:
	s_load_dword s70, s[4:5], 0x0
	s_load_dword s33, s[4:5], 0x8
	s_add_u32 s24, s4, 8
	s_addc_u32 s25, s5, 0
	v_lshl_or_b32 v8, s6, 9, v0
	v_or_b32_e32 v23, 0x180, v8
	s_waitcnt lgkmcnt(0)
	s_add_i32 s72, s33, -1
	s_cmp_gt_u32 s72, 1
	v_cmp_le_i32_e32 vcc, s70, v23
	s_cselect_b64 s[28:29], -1, 0
	s_mov_b64 s[26:27], 0
	s_mov_b64 s[6:7], 0
	s_and_saveexec_b64 s[0:1], vcc
	s_xor_b64 s[30:31], exec, s[0:1]
	s_cbranch_execz .LBB199_1589
; %bb.1:
	s_cmp_lg_u32 s33, 0
	s_load_dwordx4 s[16:19], s[24:25], 0x4
	s_load_dwordx2 s[36:37], s[24:25], 0x14
	s_load_dwordx8 s[8:15], s[24:25], 0x188
	s_load_dwordx4 s[20:23], s[24:25], 0xc4
	s_load_dwordx2 s[34:35], s[24:25], 0xd4
	s_cselect_b64 s[40:41], -1, 0
	s_min_u32 s75, s72, 15
	s_cmp_gt_u32 s33, 1
	s_cselect_b64 s[38:39], -1, 0
	s_waitcnt lgkmcnt(0)
	s_lshr_b32 s74, s15, 8
	s_lshr_b32 s73, s15, 16
	s_cmp_eq_u32 s14, 0
	s_cselect_b64 s[0:1], -1, 0
	v_cmp_gt_i32_e32 vcc, s70, v8
	s_mov_b64 s[2:3], -1
	s_mov_b64 s[52:53], 0
	s_mov_b64 s[46:47], 0
	;; [unrolled: 1-line block ×4, first 2 shown]
	s_and_saveexec_b64 s[48:49], vcc
	s_cbranch_execz .LBB199_394
; %bb.2:
	s_andn2_b64 vcc, exec, s[28:29]
	s_cbranch_vccnz .LBB199_8
; %bb.3:
	s_andn2_b64 vcc, exec, s[40:41]
	s_cbranch_vccnz .LBB199_9
; %bb.4:
	s_add_i32 s2, s75, 1
	s_and_b32 s6, s2, 30
	s_add_u32 s2, s24, 0xffffffe8
	s_addc_u32 s3, s25, -1
	v_mov_b32_e32 v2, 0
	v_mov_b32_e32 v4, 0
	;; [unrolled: 1-line block ×4, first 2 shown]
.LBB199_5:                              ; =>This Inner Loop Header: Depth=1
	s_load_dwordx4 s[44:47], s[2:3], 0x1c
	s_load_dwordx2 s[42:43], s[2:3], 0x2c
	s_load_dwordx2 s[50:51], s[2:3], 0xec
	s_load_dwordx4 s[56:59], s[2:3], 0xdc
	s_add_u32 s2, s2, 24
	s_waitcnt lgkmcnt(0)
	v_mul_hi_u32 v3, s45, v1
	s_addc_u32 s3, s3, 0
	s_add_i32 s6, s6, -2
	s_cmp_lg_u32 s6, 0
	v_add_u32_e32 v3, v1, v3
	v_lshrrev_b32_e32 v3, s46, v3
	v_mul_lo_u32 v5, v3, s44
	v_mul_hi_u32 v6, s42, v3
	v_sub_u32_e32 v5, v1, v5
	v_add_u32_e32 v1, v3, v6
	v_lshrrev_b32_e32 v1, s43, v1
	v_mul_lo_u32 v9, v1, s47
	v_mul_lo_u32 v6, v5, s56
	;; [unrolled: 1-line block ×4, first 2 shown]
	v_sub_u32_e32 v3, v3, v9
	v_mul_lo_u32 v9, v3, s59
	v_mul_lo_u32 v10, v3, s50
	;; [unrolled: 1-line block ×3, first 2 shown]
	v_add3_u32 v0, v6, v0, v9
	v_add3_u32 v4, v7, v4, v10
	;; [unrolled: 1-line block ×3, first 2 shown]
	s_cbranch_scc1 .LBB199_5
; %bb.6:
	s_bitcmp1_b32 s75, 0
	s_cselect_b64 s[6:7], -1, 0
	s_and_b64 vcc, exec, s[6:7]
	s_cbranch_vccnz .LBB199_10
; %bb.7:
	s_load_dwordx2 s[6:7], s[2:3], 0x1c
	s_load_dword s14, s[2:3], 0x24
	s_load_dwordx2 s[42:43], s[2:3], 0xdc
	s_waitcnt lgkmcnt(0)
	v_mul_hi_u32 v3, s7, v1
	v_add_u32_e32 v3, v1, v3
	v_lshrrev_b32_e32 v3, s14, v3
	v_mul_lo_u32 v3, v3, s6
	s_load_dword s6, s[2:3], 0xe4
	v_sub_u32_e32 v3, v1, v3
	v_mad_u64_u32 v[0:1], s[2:3], v3, s42, v[0:1]
	v_mad_u64_u32 v[4:5], s[2:3], v3, s43, v[4:5]
	s_waitcnt lgkmcnt(0)
	v_mad_u64_u32 v[2:3], s[2:3], v3, s6, v[2:3]
	s_cbranch_execz .LBB199_11
	s_branch .LBB199_13
.LBB199_8:
                                        ; implicit-def: $vgpr0
                                        ; implicit-def: $vgpr4
                                        ; implicit-def: $vgpr2
	s_andn2_b64 vcc, exec, s[2:3]
	s_cbranch_vccz .LBB199_11
	s_branch .LBB199_13
.LBB199_9:
	v_mov_b32_e32 v0, 0
	v_mov_b32_e32 v4, 0
	;; [unrolled: 1-line block ×3, first 2 shown]
.LBB199_10:
	s_cbranch_execnz .LBB199_13
.LBB199_11:
	v_mul_hi_u32 v0, s17, v8
	s_andn2_b64 vcc, exec, s[38:39]
	v_add_u32_e32 v0, v8, v0
	v_lshrrev_b32_e32 v1, s18, v0
	v_mul_lo_u32 v0, v1, s16
	v_sub_u32_e32 v2, v8, v0
	v_mul_lo_u32 v0, v2, s20
	v_mul_lo_u32 v4, v2, s21
	;; [unrolled: 1-line block ×3, first 2 shown]
	s_cbranch_vccnz .LBB199_13
; %bb.12:
	v_mul_hi_u32 v3, s36, v1
	v_add_u32_e32 v3, v1, v3
	v_lshrrev_b32_e32 v3, s37, v3
	v_mul_lo_u32 v3, v3, s19
	v_sub_u32_e32 v3, v1, v3
	v_mad_u64_u32 v[0:1], s[2:3], v3, s23, v[0:1]
	v_mad_u64_u32 v[4:5], s[2:3], v3, s34, v[4:5]
	v_mad_u64_u32 v[2:3], s[2:3], v3, s35, v[2:3]
.LBB199_13:
	v_mov_b32_e32 v1, s11
	s_and_b32 s14, s74, 0xff
	v_add_co_u32_e32 v3, vcc, s10, v4
	s_cmp_lt_i32 s14, 11
	v_addc_co_u32_e32 v4, vcc, 0, v1, vcc
	s_cbranch_scc1 .LBB199_20
; %bb.14:
	s_and_b32 s44, 0xffff, s14
	s_cmp_gt_i32 s44, 25
	s_cbranch_scc0 .LBB199_29
; %bb.15:
	s_cmp_gt_i32 s44, 28
	s_cbranch_scc0 .LBB199_39
; %bb.16:
	;; [unrolled: 3-line block ×4, first 2 shown]
	s_cmp_eq_u32 s44, 46
	s_mov_b64 s[6:7], 0
	s_cbranch_scc0 .LBB199_48
; %bb.19:
	global_load_dword v5, v[3:4], off
	s_mov_b64 s[2:3], -1
	s_mov_b64 s[46:47], 0
	s_branch .LBB199_50
.LBB199_20:
	s_mov_b64 s[46:47], 0
                                        ; implicit-def: $vgpr5
	s_mov_b64 s[2:3], 0
	s_cbranch_execnz .LBB199_116
.LBB199_21:
	s_andn2_b64 vcc, exec, s[2:3]
	s_cbranch_vccnz .LBB199_163
.LBB199_22:
	v_mov_b32_e32 v3, s13
	s_and_b32 s14, s73, 0xff
	v_add_co_u32_e32 v1, vcc, s12, v2
	s_cmp_lt_i32 s14, 11
	v_addc_co_u32_e32 v2, vcc, 0, v3, vcc
	s_cbranch_scc1 .LBB199_30
; %bb.23:
	s_and_b32 s50, 0xffff, s14
	s_cmp_gt_i32 s50, 25
	s_cbranch_scc0 .LBB199_40
; %bb.24:
	s_cmp_gt_i32 s50, 28
	s_cbranch_scc0 .LBB199_43
; %bb.25:
	;; [unrolled: 3-line block ×4, first 2 shown]
	s_cmp_eq_u32 s50, 46
	s_mov_b64 s[6:7], 0
	s_cbranch_scc0 .LBB199_164
; %bb.28:
	global_load_dword v3, v[1:2], off
	s_mov_b64 s[2:3], -1
	s_mov_b64 s[44:45], 0
	s_branch .LBB199_166
.LBB199_29:
	s_mov_b64 s[46:47], 0
	s_mov_b64 s[2:3], 0
                                        ; implicit-def: $vgpr5
	s_cbranch_execnz .LBB199_81
	s_branch .LBB199_115
.LBB199_30:
	s_mov_b64 s[44:45], 0
                                        ; implicit-def: $vgpr3
	s_mov_b64 s[2:3], 0
	s_cbranch_execnz .LBB199_343
.LBB199_31:
	s_andn2_b64 vcc, exec, s[2:3]
	s_cbranch_vccnz .LBB199_391
.LBB199_32:
	s_waitcnt vmcnt(0)
	v_lshlrev_b32_e32 v1, 16, v5
	v_lshlrev_b32_e32 v2, 16, v3
	v_cmp_eq_f32_e32 vcc, v1, v2
	v_cndmask_b32_e64 v3, 0, 1, vcc
	v_cmp_neq_f32_e32 vcc, v1, v2
	v_cndmask_b32_e64 v1, 0, 1, vcc
	v_cndmask_b32_e64 v1, v1, v3, s[0:1]
	v_and_b32_e32 v1, 1, v1
	v_cmp_eq_u32_e64 s[2:3], 1, v1
	v_mov_b32_e32 v1, s9
	s_and_b32 s14, s15, 0xff
	v_add_co_u32_e32 v0, vcc, s8, v0
	s_cmp_lt_i32 s14, 11
	v_addc_co_u32_e32 v1, vcc, 0, v1, vcc
	s_cbranch_scc1 .LBB199_41
; %bb.33:
	s_and_b32 s56, 0xffff, s14
	s_cmp_gt_i32 s56, 25
	s_cbranch_scc0 .LBB199_44
; %bb.34:
	s_cmp_gt_i32 s56, 28
	s_cbranch_scc0 .LBB199_47
; %bb.35:
	;; [unrolled: 3-line block ×4, first 2 shown]
	s_mov_b64 s[50:51], 0
	s_mov_b64 s[6:7], -1
	s_cmp_eq_u32 s56, 46
	s_mov_b64 s[42:43], 0
	s_cbranch_scc0 .LBB199_170
; %bb.38:
	v_cndmask_b32_e64 v2, 0, 1.0, s[2:3]
	v_bfe_u32 v3, v2, 16, 1
	s_movk_i32 s6, 0x7fff
	v_add3_u32 v2, v2, v3, s6
	v_lshrrev_b32_e32 v2, 16, v2
	global_store_dword v[0:1], v2, off
	s_mov_b64 s[42:43], -1
	s_mov_b64 s[6:7], 0
	s_branch .LBB199_170
.LBB199_39:
	s_mov_b64 s[6:7], -1
	s_mov_b64 s[46:47], 0
	s_mov_b64 s[2:3], 0
                                        ; implicit-def: $vgpr5
	s_branch .LBB199_62
.LBB199_40:
	s_mov_b64 s[6:7], -1
	s_mov_b64 s[44:45], 0
	s_mov_b64 s[2:3], 0
                                        ; implicit-def: $vgpr3
	s_branch .LBB199_307
.LBB199_41:
	s_mov_b64 s[50:51], -1
	s_mov_b64 s[6:7], 0
	s_mov_b64 s[42:43], 0
	s_branch .LBB199_239
.LBB199_42:
	s_mov_b64 s[6:7], -1
	s_mov_b64 s[46:47], 0
	s_mov_b64 s[2:3], 0
                                        ; implicit-def: $vgpr5
	s_branch .LBB199_57
.LBB199_43:
	s_mov_b64 s[6:7], -1
	s_mov_b64 s[44:45], 0
	s_mov_b64 s[2:3], 0
                                        ; implicit-def: $vgpr3
	s_branch .LBB199_288
.LBB199_44:
	s_mov_b64 s[50:51], -1
	s_mov_b64 s[6:7], 0
	s_mov_b64 s[42:43], 0
	s_branch .LBB199_197
.LBB199_45:
	s_mov_b64 s[6:7], -1
	s_mov_b64 s[46:47], 0
	s_branch .LBB199_49
.LBB199_46:
	s_mov_b64 s[6:7], -1
	s_mov_b64 s[44:45], 0
	s_mov_b64 s[2:3], 0
                                        ; implicit-def: $vgpr3
	s_branch .LBB199_283
.LBB199_47:
	s_mov_b64 s[50:51], -1
	s_mov_b64 s[6:7], 0
	s_mov_b64 s[42:43], 0
	s_branch .LBB199_180
.LBB199_48:
	s_mov_b64 s[46:47], -1
.LBB199_49:
	s_mov_b64 s[2:3], 0
                                        ; implicit-def: $vgpr5
.LBB199_50:
	s_and_b64 vcc, exec, s[6:7]
	s_cbranch_vccz .LBB199_56
; %bb.51:
	s_cmp_eq_u32 s44, 44
	s_cbranch_scc0 .LBB199_55
; %bb.52:
	global_load_ubyte v1, v[3:4], off
	s_movk_i32 s6, 0xff
	s_waitcnt vmcnt(1)
	v_mov_b32_e32 v5, 0x7f800001
	v_mov_b32_e32 v6, 0x400000
	v_mov_b32_e32 v7, 0x7fc0
	s_mov_b64 s[2:3], -1
	s_mov_b64 s[46:47], 0
	s_waitcnt vmcnt(0)
	v_lshlrev_b32_e32 v9, 23, v1
	v_cmp_ne_u32_e32 vcc, s6, v1
	v_cndmask_b32_e32 v5, v5, v9, vcc
	v_cmp_ne_u32_e32 vcc, 0, v1
	v_cndmask_b32_e32 v1, v6, v5, vcc
	v_add_u32_e32 v5, 0x7fff, v1
	v_cmp_o_f32_e32 vcc, v1, v1
	v_cndmask_b32_sdwa v5, v7, v5, vcc dst_sel:DWORD dst_unused:UNUSED_PAD src0_sel:DWORD src1_sel:WORD_1
	s_branch .LBB199_56
.LBB199_53:
	s_mov_b64 s[6:7], -1
	s_mov_b64 s[44:45], 0
	s_branch .LBB199_165
.LBB199_54:
	s_mov_b64 s[50:51], -1
	s_mov_b64 s[6:7], 0
	s_mov_b64 s[42:43], 0
	s_branch .LBB199_176
.LBB199_55:
	s_mov_b64 s[46:47], -1
                                        ; implicit-def: $vgpr5
.LBB199_56:
	s_mov_b64 s[6:7], 0
.LBB199_57:
	s_and_b64 vcc, exec, s[6:7]
	s_cbranch_vccz .LBB199_61
; %bb.58:
	s_cmp_eq_u32 s44, 29
	s_cbranch_scc0 .LBB199_60
; %bb.59:
	global_load_dwordx2 v[5:6], v[3:4], off
	s_movk_i32 s6, 0x7fff
	s_mov_b64 s[2:3], -1
	s_mov_b64 s[46:47], 0
	s_waitcnt vmcnt(0)
	v_ffbh_u32_e32 v1, v6
	v_min_u32_e32 v1, 32, v1
	v_lshlrev_b64 v[5:6], v1, v[5:6]
	v_sub_u32_e32 v1, 32, v1
	v_min_u32_e32 v5, 1, v5
	v_or_b32_e32 v5, v6, v5
	v_cvt_f32_u32_e32 v5, v5
	v_ldexp_f32 v1, v5, v1
	v_bfe_u32 v5, v1, 16, 1
	v_add3_u32 v1, v1, v5, s6
	v_lshrrev_b32_e32 v5, 16, v1
	s_branch .LBB199_61
.LBB199_60:
	s_mov_b64 s[46:47], -1
                                        ; implicit-def: $vgpr5
.LBB199_61:
	s_mov_b64 s[6:7], 0
.LBB199_62:
	s_and_b64 vcc, exec, s[6:7]
	s_cbranch_vccz .LBB199_80
; %bb.63:
	s_cmp_lt_i32 s44, 27
	s_cbranch_scc1 .LBB199_66
; %bb.64:
	s_cmp_gt_i32 s44, 27
	s_cbranch_scc0 .LBB199_67
; %bb.65:
	global_load_dword v1, v[3:4], off
	s_movk_i32 s2, 0x7fff
	s_waitcnt vmcnt(0)
	v_cvt_f32_u32_e32 v1, v1
	v_bfe_u32 v5, v1, 16, 1
	v_add3_u32 v1, v1, v5, s2
	v_lshrrev_b32_e32 v5, 16, v1
	s_mov_b64 s[2:3], 0
	s_branch .LBB199_68
.LBB199_66:
	s_mov_b64 s[2:3], -1
                                        ; implicit-def: $vgpr5
	s_branch .LBB199_71
.LBB199_67:
	s_mov_b64 s[2:3], -1
                                        ; implicit-def: $vgpr5
.LBB199_68:
	s_andn2_b64 vcc, exec, s[2:3]
	s_cbranch_vccnz .LBB199_70
; %bb.69:
	global_load_ushort v1, v[3:4], off
	s_movk_i32 s2, 0x7fff
	s_waitcnt vmcnt(0)
	v_cvt_f32_u32_e32 v1, v1
	v_bfe_u32 v5, v1, 16, 1
	v_add3_u32 v1, v1, v5, s2
	v_lshrrev_b32_e32 v5, 16, v1
.LBB199_70:
	s_mov_b64 s[2:3], 0
.LBB199_71:
	s_andn2_b64 vcc, exec, s[2:3]
	s_cbranch_vccnz .LBB199_79
; %bb.72:
	global_load_ubyte v1, v[3:4], off
	s_movk_i32 s2, 0x7f
	s_waitcnt vmcnt(0)
	v_cmp_lt_i16_e32 vcc, s2, v1
	s_mov_b64 s[2:3], 0
	s_and_saveexec_b64 s[6:7], vcc
	s_xor_b64 s[6:7], exec, s[6:7]
	s_cbranch_execz .LBB199_92
; %bb.73:
	s_movk_i32 s2, 0x80
	v_cmp_eq_u16_e32 vcc, s2, v1
	s_mov_b64 s[2:3], -1
	s_and_saveexec_b64 s[42:43], vcc
; %bb.74:
	s_xor_b64 s[2:3], exec, -1
; %bb.75:
	s_or_b64 exec, exec, s[42:43]
	s_and_b64 s[2:3], s[2:3], exec
	s_or_saveexec_b64 s[6:7], s[6:7]
	v_mov_b32_e32 v5, 0x7f800001
	s_xor_b64 exec, exec, s[6:7]
	s_cbranch_execnz .LBB199_93
.LBB199_76:
	s_or_b64 exec, exec, s[6:7]
	s_and_saveexec_b64 s[6:7], s[2:3]
	s_cbranch_execz .LBB199_78
.LBB199_77:
	v_lshlrev_b32_e32 v5, 24, v1
	v_and_b32_e32 v1, 0xffff, v1
	v_and_b32_e32 v6, 7, v1
	v_ffbh_u32_e32 v9, v6
	v_min_u32_e32 v9, 32, v9
	v_subrev_u32_e32 v10, 28, v9
	v_bfe_u32 v7, v1, 3, 4
	v_lshlrev_b32_e32 v1, v10, v1
	v_sub_u32_e32 v9, 29, v9
	v_and_b32_e32 v1, 7, v1
	v_cmp_eq_u32_e32 vcc, 0, v7
	v_cndmask_b32_e32 v7, v7, v9, vcc
	v_cndmask_b32_e32 v1, v6, v1, vcc
	v_mov_b32_e32 v6, 0x3b800000
	v_lshlrev_b32_e32 v1, 20, v1
	v_and_b32_e32 v5, 0x80000000, v5
	v_lshl_add_u32 v6, v7, 23, v6
	v_or3_b32 v5, v5, v6, v1
.LBB199_78:
	s_or_b64 exec, exec, s[6:7]
	v_bfe_u32 v1, v5, 16, 1
	s_movk_i32 s2, 0x7fff
	v_add3_u32 v1, v5, v1, s2
	v_cmp_o_f32_e32 vcc, v5, v5
	v_mov_b32_e32 v5, 0x7fc0
	v_cndmask_b32_sdwa v5, v5, v1, vcc dst_sel:DWORD dst_unused:UNUSED_PAD src0_sel:DWORD src1_sel:WORD_1
.LBB199_79:
	s_mov_b64 s[2:3], -1
.LBB199_80:
	s_branch .LBB199_115
.LBB199_81:
	s_cmp_gt_i32 s44, 22
	s_cbranch_scc0 .LBB199_91
; %bb.82:
	s_cmp_lt_i32 s44, 24
	s_cbranch_scc1 .LBB199_94
; %bb.83:
	s_cmp_gt_i32 s44, 24
	s_cbranch_scc0 .LBB199_95
; %bb.84:
	global_load_ubyte v1, v[3:4], off
	s_movk_i32 s2, 0x7f
	s_waitcnt vmcnt(0)
	v_cmp_lt_i16_e32 vcc, s2, v1
	s_mov_b64 s[2:3], 0
	s_and_saveexec_b64 s[6:7], vcc
	s_xor_b64 s[6:7], exec, s[6:7]
	s_cbranch_execz .LBB199_107
; %bb.85:
	s_movk_i32 s2, 0x80
	v_cmp_eq_u16_e32 vcc, s2, v1
	s_mov_b64 s[2:3], -1
	s_and_saveexec_b64 s[42:43], vcc
; %bb.86:
	s_xor_b64 s[2:3], exec, -1
; %bb.87:
	s_or_b64 exec, exec, s[42:43]
	s_and_b64 s[2:3], s[2:3], exec
	s_or_saveexec_b64 s[6:7], s[6:7]
	v_mov_b32_e32 v5, 0x7f800001
	s_xor_b64 exec, exec, s[6:7]
	s_cbranch_execnz .LBB199_108
.LBB199_88:
	s_or_b64 exec, exec, s[6:7]
	s_and_saveexec_b64 s[6:7], s[2:3]
	s_cbranch_execz .LBB199_90
.LBB199_89:
	v_lshlrev_b32_e32 v5, 24, v1
	v_and_b32_e32 v1, 0xffff, v1
	v_and_b32_e32 v6, 3, v1
	v_ffbh_u32_e32 v9, v6
	v_min_u32_e32 v9, 32, v9
	v_subrev_u32_e32 v10, 29, v9
	v_bfe_u32 v7, v1, 2, 5
	v_lshlrev_b32_e32 v1, v10, v1
	v_sub_u32_e32 v9, 30, v9
	v_and_b32_e32 v1, 3, v1
	v_cmp_eq_u32_e32 vcc, 0, v7
	v_cndmask_b32_e32 v7, v7, v9, vcc
	v_cndmask_b32_e32 v1, v6, v1, vcc
	v_mov_b32_e32 v6, 0x37800000
	v_lshlrev_b32_e32 v1, 21, v1
	v_and_b32_e32 v5, 0x80000000, v5
	v_lshl_add_u32 v6, v7, 23, v6
	v_or3_b32 v5, v5, v6, v1
.LBB199_90:
	s_or_b64 exec, exec, s[6:7]
	v_bfe_u32 v1, v5, 16, 1
	s_movk_i32 s2, 0x7fff
	v_add3_u32 v1, v5, v1, s2
	v_cmp_o_f32_e32 vcc, v5, v5
	v_mov_b32_e32 v5, 0x7fc0
	v_cndmask_b32_sdwa v5, v5, v1, vcc dst_sel:DWORD dst_unused:UNUSED_PAD src0_sel:DWORD src1_sel:WORD_1
	s_mov_b64 s[2:3], 0
	s_branch .LBB199_96
.LBB199_91:
	s_mov_b64 s[6:7], -1
                                        ; implicit-def: $vgpr5
	s_branch .LBB199_102
.LBB199_92:
	s_or_saveexec_b64 s[6:7], s[6:7]
	v_mov_b32_e32 v5, 0x7f800001
	s_xor_b64 exec, exec, s[6:7]
	s_cbranch_execz .LBB199_76
.LBB199_93:
	v_cmp_ne_u16_e32 vcc, 0, v1
	s_andn2_b64 s[2:3], s[2:3], exec
	s_and_b64 s[42:43], vcc, exec
	v_mov_b32_e32 v5, 0
	s_or_b64 s[2:3], s[2:3], s[42:43]
	s_or_b64 exec, exec, s[6:7]
	s_and_saveexec_b64 s[6:7], s[2:3]
	s_cbranch_execnz .LBB199_77
	s_branch .LBB199_78
.LBB199_94:
	s_mov_b64 s[2:3], -1
                                        ; implicit-def: $vgpr5
	s_branch .LBB199_99
.LBB199_95:
	s_mov_b64 s[2:3], -1
                                        ; implicit-def: $vgpr5
.LBB199_96:
	s_and_b64 vcc, exec, s[2:3]
	s_cbranch_vccz .LBB199_98
; %bb.97:
	global_load_ubyte v1, v[3:4], off
	s_mov_b32 s2, 0x7f800000
	s_brev_b32 s3, 1
	s_movk_i32 s6, 0x7fff
	s_waitcnt vmcnt(0)
	v_lshlrev_b32_e32 v1, 24, v1
	v_and_b32_e32 v5, 0x7f000000, v1
	v_ffbh_u32_e32 v6, v5
	v_min_u32_e32 v6, 32, v6
	v_sub_u32_e64 v6, v6, 4 clamp
	v_lshlrev_b32_e32 v9, v6, v5
	v_lshlrev_b32_e32 v6, 23, v6
	v_lshrrev_b32_e32 v9, 4, v9
	v_add_u32_e32 v7, 0x1000000, v5
	v_sub_u32_e32 v6, v9, v6
	v_ashrrev_i32_e32 v7, 8, v7
	v_add_u32_e32 v6, 0x3c000000, v6
	v_and_or_b32 v6, v7, s2, v6
	v_cmp_ne_u32_e32 vcc, 0, v5
	v_cndmask_b32_e32 v5, 0, v6, vcc
	v_and_or_b32 v1, v1, s3, v5
	v_bfe_u32 v5, v5, 16, 1
	v_add3_u32 v5, v1, v5, s6
	v_cmp_o_f32_e32 vcc, v1, v1
	v_mov_b32_e32 v1, 0x7fc0
	v_cndmask_b32_sdwa v5, v1, v5, vcc dst_sel:DWORD dst_unused:UNUSED_PAD src0_sel:DWORD src1_sel:WORD_1
.LBB199_98:
	s_mov_b64 s[2:3], 0
.LBB199_99:
	s_andn2_b64 vcc, exec, s[2:3]
	s_cbranch_vccnz .LBB199_101
; %bb.100:
	global_load_ubyte v1, v[3:4], off
	s_movk_i32 s2, 0x7f00
	s_brev_b32 s3, 16
	s_brev_b32 s6, 1
	s_movk_i32 s7, 0x7fff
	s_waitcnt vmcnt(0)
	v_lshlrev_b16_e32 v5, 8, v1
	v_lshlrev_b32_e32 v1, 25, v1
	v_lshrrev_b32_e32 v6, 4, v1
	v_and_or_b32 v7, v5, s2, 0.5
	v_or_b32_e32 v6, 0x70000000, v6
	v_add_f32_e32 v7, -0.5, v7
	v_mul_f32_e32 v6, 0x7800000, v6
	v_cmp_gt_u32_e32 vcc, s3, v1
	v_bfe_i32 v5, v5, 0, 16
	v_cndmask_b32_e32 v1, v6, v7, vcc
	v_and_or_b32 v5, v5, s6, v1
	v_bfe_u32 v1, v1, 16, 1
	v_add3_u32 v1, v5, v1, s7
	v_cmp_o_f32_e32 vcc, v5, v5
	v_mov_b32_e32 v5, 0x7fc0
	v_cndmask_b32_sdwa v5, v5, v1, vcc dst_sel:DWORD dst_unused:UNUSED_PAD src0_sel:DWORD src1_sel:WORD_1
.LBB199_101:
	s_mov_b64 s[6:7], 0
	s_mov_b64 s[2:3], -1
.LBB199_102:
	s_andn2_b64 vcc, exec, s[6:7]
	s_cbranch_vccnz .LBB199_115
; %bb.103:
	s_cmp_gt_i32 s44, 14
	s_cbranch_scc0 .LBB199_106
; %bb.104:
	s_cmp_eq_u32 s44, 15
	s_cbranch_scc0 .LBB199_109
; %bb.105:
	global_load_ushort v5, v[3:4], off
	s_mov_b64 s[2:3], -1
	s_mov_b64 s[46:47], 0
	s_branch .LBB199_110
.LBB199_106:
	s_mov_b64 s[6:7], -1
                                        ; implicit-def: $vgpr5
	s_branch .LBB199_111
.LBB199_107:
	s_or_saveexec_b64 s[6:7], s[6:7]
	v_mov_b32_e32 v5, 0x7f800001
	s_xor_b64 exec, exec, s[6:7]
	s_cbranch_execz .LBB199_88
.LBB199_108:
	v_cmp_ne_u16_e32 vcc, 0, v1
	s_andn2_b64 s[2:3], s[2:3], exec
	s_and_b64 s[42:43], vcc, exec
	v_mov_b32_e32 v5, 0
	s_or_b64 s[2:3], s[2:3], s[42:43]
	s_or_b64 exec, exec, s[6:7]
	s_and_saveexec_b64 s[6:7], s[2:3]
	s_cbranch_execnz .LBB199_89
	s_branch .LBB199_90
.LBB199_109:
	s_mov_b64 s[46:47], -1
                                        ; implicit-def: $vgpr5
.LBB199_110:
	s_mov_b64 s[6:7], 0
.LBB199_111:
	s_and_b64 vcc, exec, s[6:7]
	s_cbranch_vccz .LBB199_115
; %bb.112:
	s_cmp_eq_u32 s44, 11
	s_cbranch_scc0 .LBB199_114
; %bb.113:
	global_load_ubyte v1, v[3:4], off
	s_mov_b64 s[2:3], -1
	s_mov_b64 s[46:47], 0
	s_waitcnt vmcnt(0)
	v_cmp_ne_u16_e32 vcc, 0, v1
	v_cndmask_b32_e64 v1, 0, 1.0, vcc
	v_lshrrev_b32_e32 v5, 16, v1
	s_branch .LBB199_115
.LBB199_114:
	s_mov_b64 s[46:47], -1
                                        ; implicit-def: $vgpr5
.LBB199_115:
	s_branch .LBB199_21
.LBB199_116:
	s_and_b32 s6, 0xffff, s14
	s_cmp_lt_i32 s6, 5
	s_cbranch_scc1 .LBB199_121
; %bb.117:
	s_cmp_lt_i32 s6, 8
	s_cbranch_scc1 .LBB199_122
; %bb.118:
	;; [unrolled: 3-line block ×3, first 2 shown]
	s_cmp_gt_i32 s6, 9
	s_cbranch_scc0 .LBB199_124
; %bb.120:
	global_load_dwordx2 v[5:6], v[3:4], off
	s_movk_i32 s2, 0x7fff
	s_waitcnt vmcnt(0)
	v_cvt_f32_f64_e32 v1, v[5:6]
	v_mov_b32_e32 v5, 0x7fc0
	v_bfe_u32 v6, v1, 16, 1
	v_cmp_o_f32_e32 vcc, v1, v1
	v_add3_u32 v1, v1, v6, s2
	v_cndmask_b32_sdwa v5, v5, v1, vcc dst_sel:DWORD dst_unused:UNUSED_PAD src0_sel:DWORD src1_sel:WORD_1
	s_mov_b64 s[2:3], 0
	s_branch .LBB199_125
.LBB199_121:
                                        ; implicit-def: $vgpr5
	s_branch .LBB199_143
.LBB199_122:
	s_mov_b64 s[2:3], -1
                                        ; implicit-def: $vgpr5
	s_branch .LBB199_131
.LBB199_123:
	s_mov_b64 s[2:3], -1
                                        ; implicit-def: $vgpr5
	s_branch .LBB199_128
.LBB199_124:
	s_mov_b64 s[2:3], -1
                                        ; implicit-def: $vgpr5
.LBB199_125:
	s_andn2_b64 vcc, exec, s[2:3]
	s_cbranch_vccnz .LBB199_127
; %bb.126:
	global_load_dword v1, v[3:4], off
	s_movk_i32 s2, 0x7fff
	s_waitcnt vmcnt(1)
	v_mov_b32_e32 v5, 0x7fc0
	s_waitcnt vmcnt(0)
	v_bfe_u32 v6, v1, 16, 1
	v_cmp_o_f32_e32 vcc, v1, v1
	v_add3_u32 v1, v1, v6, s2
	v_cndmask_b32_sdwa v5, v5, v1, vcc dst_sel:DWORD dst_unused:UNUSED_PAD src0_sel:DWORD src1_sel:WORD_1
.LBB199_127:
	s_mov_b64 s[2:3], 0
.LBB199_128:
	s_andn2_b64 vcc, exec, s[2:3]
	s_cbranch_vccnz .LBB199_130
; %bb.129:
	global_load_dword v1, v[3:4], off
	s_movk_i32 s2, 0x7fff
	v_mov_b32_e32 v6, 0x7fc0
	s_waitcnt vmcnt(0)
	v_cvt_f32_f16_e32 v5, v1
	v_cmp_o_f16_e32 vcc, v1, v1
	v_bfe_u32 v1, v5, 16, 1
	v_add3_u32 v1, v5, v1, s2
	v_cndmask_b32_sdwa v5, v6, v1, vcc dst_sel:DWORD dst_unused:UNUSED_PAD src0_sel:DWORD src1_sel:WORD_1
.LBB199_130:
	s_mov_b64 s[2:3], 0
.LBB199_131:
	s_andn2_b64 vcc, exec, s[2:3]
	s_cbranch_vccnz .LBB199_142
; %bb.132:
	s_cmp_lt_i32 s6, 6
	s_cbranch_scc1 .LBB199_135
; %bb.133:
	s_cmp_gt_i32 s6, 6
	s_cbranch_scc0 .LBB199_136
; %bb.134:
	global_load_dwordx2 v[5:6], v[3:4], off
	s_movk_i32 s2, 0x7fff
	s_waitcnt vmcnt(0)
	v_cvt_f32_f64_e32 v1, v[5:6]
	v_mov_b32_e32 v5, 0x7fc0
	v_bfe_u32 v6, v1, 16, 1
	v_cmp_o_f32_e32 vcc, v1, v1
	v_add3_u32 v1, v1, v6, s2
	v_cndmask_b32_sdwa v5, v5, v1, vcc dst_sel:DWORD dst_unused:UNUSED_PAD src0_sel:DWORD src1_sel:WORD_1
	s_mov_b64 s[2:3], 0
	s_branch .LBB199_137
.LBB199_135:
	s_mov_b64 s[2:3], -1
                                        ; implicit-def: $vgpr5
	s_branch .LBB199_140
.LBB199_136:
	s_mov_b64 s[2:3], -1
                                        ; implicit-def: $vgpr5
.LBB199_137:
	s_andn2_b64 vcc, exec, s[2:3]
	s_cbranch_vccnz .LBB199_139
; %bb.138:
	global_load_dword v1, v[3:4], off
	s_movk_i32 s2, 0x7fff
	s_waitcnt vmcnt(1)
	v_mov_b32_e32 v5, 0x7fc0
	s_waitcnt vmcnt(0)
	v_bfe_u32 v6, v1, 16, 1
	v_cmp_o_f32_e32 vcc, v1, v1
	v_add3_u32 v1, v1, v6, s2
	v_cndmask_b32_sdwa v5, v5, v1, vcc dst_sel:DWORD dst_unused:UNUSED_PAD src0_sel:DWORD src1_sel:WORD_1
.LBB199_139:
	s_mov_b64 s[2:3], 0
.LBB199_140:
	s_andn2_b64 vcc, exec, s[2:3]
	s_cbranch_vccnz .LBB199_142
; %bb.141:
	global_load_ushort v1, v[3:4], off
	s_movk_i32 s2, 0x7fff
	v_mov_b32_e32 v6, 0x7fc0
	s_waitcnt vmcnt(0)
	v_cvt_f32_f16_e32 v5, v1
	v_cmp_o_f16_e32 vcc, v1, v1
	v_bfe_u32 v1, v5, 16, 1
	v_add3_u32 v1, v5, v1, s2
	v_cndmask_b32_sdwa v5, v6, v1, vcc dst_sel:DWORD dst_unused:UNUSED_PAD src0_sel:DWORD src1_sel:WORD_1
.LBB199_142:
	s_cbranch_execnz .LBB199_162
.LBB199_143:
	s_cmp_lt_i32 s6, 2
	s_cbranch_scc1 .LBB199_147
; %bb.144:
	s_cmp_lt_i32 s6, 3
	s_cbranch_scc1 .LBB199_148
; %bb.145:
	s_cmp_gt_i32 s6, 3
	s_cbranch_scc0 .LBB199_149
; %bb.146:
	global_load_dwordx2 v[5:6], v[3:4], off
	s_movk_i32 s2, 0x7fff
	s_waitcnt vmcnt(0)
	v_xor_b32_e32 v7, v5, v6
	v_ffbh_i32_e32 v1, v6
	v_ashrrev_i32_e32 v7, 31, v7
	v_add_u32_e32 v1, -1, v1
	v_add_u32_e32 v7, 32, v7
	v_min_u32_e32 v1, v1, v7
	v_lshlrev_b64 v[5:6], v1, v[5:6]
	v_sub_u32_e32 v1, 32, v1
	v_min_u32_e32 v5, 1, v5
	v_or_b32_e32 v5, v6, v5
	v_cvt_f32_i32_e32 v5, v5
	v_ldexp_f32 v1, v5, v1
	v_bfe_u32 v5, v1, 16, 1
	v_add3_u32 v1, v1, v5, s2
	v_lshrrev_b32_e32 v5, 16, v1
	s_mov_b64 s[2:3], 0
	s_branch .LBB199_150
.LBB199_147:
	s_mov_b64 s[2:3], -1
                                        ; implicit-def: $vgpr5
	s_branch .LBB199_156
.LBB199_148:
	s_mov_b64 s[2:3], -1
                                        ; implicit-def: $vgpr5
	s_branch .LBB199_153
.LBB199_149:
	s_mov_b64 s[2:3], -1
                                        ; implicit-def: $vgpr5
.LBB199_150:
	s_andn2_b64 vcc, exec, s[2:3]
	s_cbranch_vccnz .LBB199_152
; %bb.151:
	global_load_dword v1, v[3:4], off
	s_movk_i32 s2, 0x7fff
	s_waitcnt vmcnt(0)
	v_cvt_f32_i32_e32 v1, v1
	v_bfe_u32 v5, v1, 16, 1
	v_add3_u32 v1, v1, v5, s2
	v_lshrrev_b32_e32 v5, 16, v1
.LBB199_152:
	s_mov_b64 s[2:3], 0
.LBB199_153:
	s_andn2_b64 vcc, exec, s[2:3]
	s_cbranch_vccnz .LBB199_155
; %bb.154:
	global_load_sshort v1, v[3:4], off
	s_movk_i32 s2, 0x7fff
	s_waitcnt vmcnt(0)
	v_cvt_f32_i32_e32 v1, v1
	v_bfe_u32 v5, v1, 16, 1
	v_add3_u32 v1, v1, v5, s2
	v_lshrrev_b32_e32 v5, 16, v1
.LBB199_155:
	s_mov_b64 s[2:3], 0
.LBB199_156:
	s_andn2_b64 vcc, exec, s[2:3]
	s_cbranch_vccnz .LBB199_162
; %bb.157:
	s_cmp_gt_i32 s6, 0
	s_cbranch_scc0 .LBB199_159
; %bb.158:
	global_load_sbyte v1, v[3:4], off
	s_movk_i32 s2, 0x7fff
	s_waitcnt vmcnt(0)
	v_cvt_f32_i32_e32 v1, v1
	v_bfe_u32 v5, v1, 16, 1
	v_add3_u32 v1, v1, v5, s2
	v_lshrrev_b32_e32 v5, 16, v1
	s_mov_b64 s[2:3], 0
	s_branch .LBB199_160
.LBB199_159:
	s_mov_b64 s[2:3], -1
                                        ; implicit-def: $vgpr5
.LBB199_160:
	s_andn2_b64 vcc, exec, s[2:3]
	s_cbranch_vccnz .LBB199_162
; %bb.161:
	global_load_ubyte v1, v[3:4], off
	s_movk_i32 s2, 0x7fff
	s_waitcnt vmcnt(0)
	v_cvt_f32_ubyte0_e32 v1, v1
	v_bfe_u32 v3, v1, 16, 1
	v_add3_u32 v1, v1, v3, s2
	v_lshrrev_b32_e32 v5, 16, v1
.LBB199_162:
	s_branch .LBB199_22
.LBB199_163:
	s_mov_b64 s[6:7], 0
	s_mov_b64 s[44:45], 0
	s_branch .LBB199_392
.LBB199_164:
	s_mov_b64 s[44:45], -1
.LBB199_165:
	s_mov_b64 s[2:3], 0
                                        ; implicit-def: $vgpr3
.LBB199_166:
	s_and_b64 vcc, exec, s[6:7]
	s_cbranch_vccz .LBB199_282
; %bb.167:
	s_cmp_eq_u32 s50, 44
	s_cbranch_scc0 .LBB199_281
; %bb.168:
	global_load_ubyte v3, v[1:2], off
	s_movk_i32 s6, 0xff
	v_mov_b32_e32 v4, 0x7f800001
	v_mov_b32_e32 v6, 0x400000
	v_mov_b32_e32 v7, 0x7fc0
	s_mov_b64 s[2:3], -1
	s_mov_b64 s[44:45], 0
	s_waitcnt vmcnt(0)
	v_lshlrev_b32_e32 v9, 23, v3
	v_cmp_ne_u32_e32 vcc, s6, v3
	v_cndmask_b32_e32 v4, v4, v9, vcc
	v_cmp_ne_u32_e32 vcc, 0, v3
	v_cndmask_b32_e32 v3, v6, v4, vcc
	v_add_u32_e32 v4, 0x7fff, v3
	v_cmp_o_f32_e32 vcc, v3, v3
	v_cndmask_b32_sdwa v3, v7, v4, vcc dst_sel:DWORD dst_unused:UNUSED_PAD src0_sel:DWORD src1_sel:WORD_1
	s_branch .LBB199_282
.LBB199_169:
	s_mov_b64 s[50:51], -1
	s_mov_b64 s[6:7], 0
	s_mov_b64 s[42:43], 0
.LBB199_170:
	s_and_b64 vcc, exec, s[50:51]
	s_cbranch_vccz .LBB199_175
; %bb.171:
	s_cmp_eq_u32 s56, 44
	s_mov_b64 s[6:7], -1
	s_cbranch_scc0 .LBB199_175
; %bb.172:
	v_cndmask_b32_e64 v3, 0, 1.0, s[2:3]
	v_lshrrev_b32_e32 v2, 23, v3
	s_movk_i32 s6, 0xff
	v_cmp_ne_u32_e32 vcc, s6, v2
	v_mov_b32_e32 v4, 0xff
	s_and_saveexec_b64 s[42:43], vcc
; %bb.173:
	s_mov_b32 s6, 0x3fffff
	v_and_b32_e32 v4, 0x400000, v3
	v_and_or_b32 v3, v3, s6, v2
	v_cmp_ne_u32_e32 vcc, 0, v4
	v_cmp_ne_u32_e64 s[6:7], 0, v3
	s_and_b64 s[6:7], vcc, s[6:7]
	v_cndmask_b32_e64 v3, 0, 1, s[6:7]
	v_add_u32_e32 v4, v2, v3
; %bb.174:
	s_or_b64 exec, exec, s[42:43]
	s_mov_b64 s[42:43], -1
	s_mov_b64 s[6:7], 0
	global_store_byte v[0:1], v4, off
.LBB199_175:
	s_mov_b64 s[50:51], 0
.LBB199_176:
	s_and_b64 vcc, exec, s[50:51]
	s_cbranch_vccz .LBB199_179
; %bb.177:
	s_cmp_eq_u32 s56, 29
	s_mov_b64 s[6:7], -1
	s_cbranch_scc0 .LBB199_179
; %bb.178:
	s_mov_b32 s6, 0
	v_cndmask_b32_e64 v2, 0, 1, s[2:3]
	v_mov_b32_e32 v3, s6
	global_store_dwordx2 v[0:1], v[2:3], off
	s_mov_b64 s[42:43], -1
	s_mov_b64 s[6:7], 0
.LBB199_179:
	s_mov_b64 s[50:51], 0
.LBB199_180:
	s_and_b64 vcc, exec, s[50:51]
	s_cbranch_vccz .LBB199_196
; %bb.181:
	s_cmp_lt_i32 s56, 27
	s_mov_b64 s[42:43], -1
	s_cbranch_scc1 .LBB199_187
; %bb.182:
	s_cmp_gt_i32 s56, 27
	s_cbranch_scc0 .LBB199_184
; %bb.183:
	v_cndmask_b32_e64 v2, 0, 1, s[2:3]
	s_mov_b64 s[42:43], 0
	global_store_dword v[0:1], v2, off
.LBB199_184:
	s_andn2_b64 vcc, exec, s[42:43]
	s_cbranch_vccnz .LBB199_186
; %bb.185:
	v_cndmask_b32_e64 v2, 0, 1, s[2:3]
	global_store_short v[0:1], v2, off
.LBB199_186:
	s_mov_b64 s[42:43], 0
.LBB199_187:
	s_andn2_b64 vcc, exec, s[42:43]
	s_cbranch_vccnz .LBB199_195
; %bb.188:
	v_cndmask_b32_e64 v3, 0, 1.0, s[2:3]
	s_mov_b32 s42, 0x43800000
	v_cmp_gt_u32_e32 vcc, s42, v3
	v_mov_b32_e32 v4, 0x80
	s_and_saveexec_b64 s[42:43], vcc
	s_cbranch_execz .LBB199_194
; %bb.189:
	s_mov_b32 s50, 0x3bffffff
	v_cmp_lt_u32_e32 vcc, s50, v3
	s_mov_b64 s[50:51], 0
                                        ; implicit-def: $vgpr2
	s_and_saveexec_b64 s[54:55], vcc
	s_xor_b64 s[54:55], exec, s[54:55]
	s_cbranch_execz .LBB199_434
; %bb.190:
	v_bfe_u32 v2, v3, 20, 1
	s_mov_b32 s57, 0x487ffff
	v_add3_u32 v2, v3, v2, s57
	s_mov_b64 s[50:51], exec
	v_lshrrev_b32_e32 v2, 20, v2
                                        ; implicit-def: $vgpr3
	s_andn2_saveexec_b64 s[54:55], s[54:55]
	s_cbranch_execnz .LBB199_435
.LBB199_191:
	s_or_b64 exec, exec, s[54:55]
	v_mov_b32_e32 v4, 0
	s_and_saveexec_b64 s[54:55], s[50:51]
.LBB199_192:
	v_mov_b32_e32 v4, v2
.LBB199_193:
	s_or_b64 exec, exec, s[54:55]
.LBB199_194:
	s_or_b64 exec, exec, s[42:43]
	global_store_byte v[0:1], v4, off
.LBB199_195:
	s_mov_b64 s[42:43], -1
.LBB199_196:
	s_mov_b64 s[50:51], 0
.LBB199_197:
	s_and_b64 vcc, exec, s[50:51]
	s_cbranch_vccz .LBB199_238
; %bb.198:
	s_cmp_gt_i32 s56, 22
	s_mov_b64 s[50:51], -1
	s_cbranch_scc0 .LBB199_230
; %bb.199:
	s_cmp_lt_i32 s56, 24
	s_mov_b64 s[42:43], -1
	s_cbranch_scc1 .LBB199_219
; %bb.200:
	s_cmp_gt_i32 s56, 24
	s_cbranch_scc0 .LBB199_208
; %bb.201:
	v_cndmask_b32_e64 v3, 0, 1.0, s[2:3]
	s_mov_b32 s42, 0x47800000
	v_cmp_gt_u32_e32 vcc, s42, v3
	v_mov_b32_e32 v4, 0x80
	s_and_saveexec_b64 s[42:43], vcc
	s_cbranch_execz .LBB199_207
; %bb.202:
	s_mov_b32 s50, 0x37ffffff
	v_cmp_lt_u32_e32 vcc, s50, v3
	s_mov_b64 s[50:51], 0
                                        ; implicit-def: $vgpr2
	s_and_saveexec_b64 s[54:55], vcc
	s_xor_b64 s[54:55], exec, s[54:55]
	s_cbranch_execz .LBB199_553
; %bb.203:
	v_bfe_u32 v2, v3, 21, 1
	s_mov_b32 s57, 0x88fffff
	v_add3_u32 v2, v3, v2, s57
	s_mov_b64 s[50:51], exec
	v_lshrrev_b32_e32 v2, 21, v2
                                        ; implicit-def: $vgpr3
	s_andn2_saveexec_b64 s[54:55], s[54:55]
	s_cbranch_execnz .LBB199_554
.LBB199_204:
	s_or_b64 exec, exec, s[54:55]
	v_mov_b32_e32 v4, 0
	s_and_saveexec_b64 s[54:55], s[50:51]
.LBB199_205:
	v_mov_b32_e32 v4, v2
.LBB199_206:
	s_or_b64 exec, exec, s[54:55]
.LBB199_207:
	s_or_b64 exec, exec, s[42:43]
	s_mov_b64 s[42:43], 0
	global_store_byte v[0:1], v4, off
.LBB199_208:
	s_and_b64 vcc, exec, s[42:43]
	s_cbranch_vccz .LBB199_218
; %bb.209:
	v_cndmask_b32_e64 v2, 0, 1.0, s[2:3]
	s_mov_b32 s42, 0x43f00000
	v_cmp_gt_u32_e32 vcc, s42, v2
                                        ; implicit-def: $vgpr3
	s_and_saveexec_b64 s[42:43], vcc
	s_xor_b64 s[42:43], exec, s[42:43]
	s_cbranch_execz .LBB199_215
; %bb.210:
	s_mov_b32 s50, 0x3c7fffff
	v_cmp_lt_u32_e32 vcc, s50, v2
                                        ; implicit-def: $vgpr3
	s_and_saveexec_b64 s[50:51], vcc
	s_xor_b64 s[50:51], exec, s[50:51]
; %bb.211:
	v_bfe_u32 v3, v2, 20, 1
	s_mov_b32 s54, 0x407ffff
	v_add3_u32 v2, v2, v3, s54
	v_lshrrev_b32_e32 v3, 20, v2
	v_and_b32_e32 v2, 0xff00000, v2
	s_mov_b32 s54, 0x7f00000
	v_mov_b32_e32 v4, 0x7e
	v_cmp_ne_u32_e32 vcc, s54, v2
	v_cndmask_b32_e32 v3, v4, v3, vcc
                                        ; implicit-def: $vgpr2
; %bb.212:
	s_andn2_saveexec_b64 s[50:51], s[50:51]
; %bb.213:
	v_add_f32_e32 v3, 0x46800000, v2
; %bb.214:
	s_or_b64 exec, exec, s[50:51]
                                        ; implicit-def: $vgpr2
.LBB199_215:
	s_andn2_saveexec_b64 s[42:43], s[42:43]
; %bb.216:
	s_mov_b32 s50, 0x7f800000
	v_mov_b32_e32 v3, 0x7e
	v_mov_b32_e32 v4, 0x7f
	v_cmp_lt_u32_e32 vcc, s50, v2
	v_cndmask_b32_e32 v3, v3, v4, vcc
; %bb.217:
	s_or_b64 exec, exec, s[42:43]
	global_store_byte v[0:1], v3, off
.LBB199_218:
	s_mov_b64 s[42:43], 0
.LBB199_219:
	s_andn2_b64 vcc, exec, s[42:43]
	s_cbranch_vccnz .LBB199_229
; %bb.220:
	v_cndmask_b32_e64 v2, 0, 1.0, s[2:3]
	s_mov_b32 s42, 0x47800000
	v_cmp_gt_u32_e32 vcc, s42, v2
                                        ; implicit-def: $vgpr3
	s_and_saveexec_b64 s[42:43], vcc
	s_xor_b64 s[42:43], exec, s[42:43]
	s_cbranch_execz .LBB199_226
; %bb.221:
	s_mov_b32 s50, 0x387fffff
	v_cmp_lt_u32_e32 vcc, s50, v2
                                        ; implicit-def: $vgpr3
	s_and_saveexec_b64 s[50:51], vcc
	s_xor_b64 s[50:51], exec, s[50:51]
; %bb.222:
	v_bfe_u32 v3, v2, 21, 1
	s_mov_b32 s54, 0x80fffff
	v_add3_u32 v2, v2, v3, s54
	v_lshrrev_b32_e32 v3, 21, v2
                                        ; implicit-def: $vgpr2
; %bb.223:
	s_andn2_saveexec_b64 s[50:51], s[50:51]
; %bb.224:
	v_add_f32_e32 v3, 0x43000000, v2
; %bb.225:
	s_or_b64 exec, exec, s[50:51]
                                        ; implicit-def: $vgpr2
.LBB199_226:
	s_andn2_saveexec_b64 s[42:43], s[42:43]
; %bb.227:
	s_mov_b32 s50, 0x7f800000
	v_mov_b32_e32 v3, 0x7c
	v_mov_b32_e32 v4, 0x7f
	v_cmp_lt_u32_e32 vcc, s50, v2
	v_cndmask_b32_e32 v3, v3, v4, vcc
; %bb.228:
	s_or_b64 exec, exec, s[42:43]
	global_store_byte v[0:1], v3, off
.LBB199_229:
	s_mov_b64 s[50:51], 0
	s_mov_b64 s[42:43], -1
.LBB199_230:
	s_andn2_b64 vcc, exec, s[50:51]
	s_cbranch_vccnz .LBB199_238
; %bb.231:
	s_cmp_gt_i32 s56, 14
	s_mov_b64 s[50:51], -1
	s_cbranch_scc0 .LBB199_235
; %bb.232:
	s_cmp_eq_u32 s56, 15
	s_mov_b64 s[6:7], -1
	s_cbranch_scc0 .LBB199_234
; %bb.233:
	v_cndmask_b32_e64 v2, 0, 1.0, s[2:3]
	v_bfe_u32 v3, v2, 16, 1
	s_movk_i32 s6, 0x7fff
	v_add3_u32 v2, v2, v3, s6
	global_store_short_d16_hi v[0:1], v2, off
	s_mov_b64 s[42:43], -1
	s_mov_b64 s[6:7], 0
.LBB199_234:
	s_mov_b64 s[50:51], 0
.LBB199_235:
	s_and_b64 vcc, exec, s[50:51]
	s_cbranch_vccz .LBB199_238
; %bb.236:
	s_cmp_eq_u32 s56, 11
	s_mov_b64 s[6:7], -1
	s_cbranch_scc0 .LBB199_238
; %bb.237:
	v_cndmask_b32_e64 v2, 0, 1, s[2:3]
	s_mov_b64 s[42:43], -1
	s_mov_b64 s[6:7], 0
	global_store_byte v[0:1], v2, off
.LBB199_238:
	s_mov_b64 s[50:51], 0
.LBB199_239:
	s_and_b64 vcc, exec, s[50:51]
	s_cbranch_vccz .LBB199_278
; %bb.240:
	s_and_b32 s14, 0xffff, s14
	s_cmp_lt_i32 s14, 5
	s_mov_b64 s[42:43], -1
	s_cbranch_scc1 .LBB199_261
; %bb.241:
	s_cmp_lt_i32 s14, 8
	s_cbranch_scc1 .LBB199_251
; %bb.242:
	s_cmp_lt_i32 s14, 9
	s_cbranch_scc1 .LBB199_248
; %bb.243:
	s_cmp_gt_i32 s14, 9
	s_cbranch_scc0 .LBB199_245
; %bb.244:
	v_cndmask_b32_e64 v2, 0, 1, s[2:3]
	v_cvt_f64_u32_e32 v[2:3], v2
	v_mov_b32_e32 v4, 0
	v_mov_b32_e32 v5, v4
	s_mov_b64 s[42:43], 0
	global_store_dwordx4 v[0:1], v[2:5], off
.LBB199_245:
	s_andn2_b64 vcc, exec, s[42:43]
	s_cbranch_vccnz .LBB199_247
; %bb.246:
	v_cndmask_b32_e64 v2, 0, 1.0, s[2:3]
	v_mov_b32_e32 v3, 0
	global_store_dwordx2 v[0:1], v[2:3], off
.LBB199_247:
	s_mov_b64 s[42:43], 0
.LBB199_248:
	s_andn2_b64 vcc, exec, s[42:43]
	s_cbranch_vccnz .LBB199_250
; %bb.249:
	v_cndmask_b32_e64 v2, 0, 1.0, s[2:3]
	v_cvt_f16_f32_e32 v2, v2
	global_store_dword v[0:1], v2, off
.LBB199_250:
	s_mov_b64 s[42:43], 0
.LBB199_251:
	s_andn2_b64 vcc, exec, s[42:43]
	s_cbranch_vccnz .LBB199_260
; %bb.252:
	s_cmp_lt_i32 s14, 6
	s_mov_b64 s[42:43], -1
	s_cbranch_scc1 .LBB199_258
; %bb.253:
	s_cmp_gt_i32 s14, 6
	s_cbranch_scc0 .LBB199_255
; %bb.254:
	v_cndmask_b32_e64 v2, 0, 1, s[2:3]
	v_cvt_f64_u32_e32 v[2:3], v2
	s_mov_b64 s[42:43], 0
	global_store_dwordx2 v[0:1], v[2:3], off
.LBB199_255:
	s_andn2_b64 vcc, exec, s[42:43]
	s_cbranch_vccnz .LBB199_257
; %bb.256:
	v_cndmask_b32_e64 v2, 0, 1.0, s[2:3]
	global_store_dword v[0:1], v2, off
.LBB199_257:
	s_mov_b64 s[42:43], 0
.LBB199_258:
	s_andn2_b64 vcc, exec, s[42:43]
	s_cbranch_vccnz .LBB199_260
; %bb.259:
	v_cndmask_b32_e64 v2, 0, 1.0, s[2:3]
	v_cvt_f16_f32_e32 v2, v2
	global_store_short v[0:1], v2, off
.LBB199_260:
	s_mov_b64 s[42:43], 0
.LBB199_261:
	s_andn2_b64 vcc, exec, s[42:43]
	s_cbranch_vccnz .LBB199_277
; %bb.262:
	s_cmp_lt_i32 s14, 2
	s_mov_b64 s[42:43], -1
	s_cbranch_scc1 .LBB199_272
; %bb.263:
	s_cmp_lt_i32 s14, 3
	s_cbranch_scc1 .LBB199_269
; %bb.264:
	s_cmp_gt_i32 s14, 3
	s_cbranch_scc0 .LBB199_266
; %bb.265:
	s_mov_b32 s42, 0
	v_cndmask_b32_e64 v2, 0, 1, s[2:3]
	v_mov_b32_e32 v3, s42
	global_store_dwordx2 v[0:1], v[2:3], off
	s_mov_b64 s[42:43], 0
.LBB199_266:
	s_andn2_b64 vcc, exec, s[42:43]
	s_cbranch_vccnz .LBB199_268
; %bb.267:
	v_cndmask_b32_e64 v2, 0, 1, s[2:3]
	global_store_dword v[0:1], v2, off
.LBB199_268:
	s_mov_b64 s[42:43], 0
.LBB199_269:
	s_andn2_b64 vcc, exec, s[42:43]
	s_cbranch_vccnz .LBB199_271
; %bb.270:
	v_cndmask_b32_e64 v2, 0, 1, s[2:3]
	global_store_short v[0:1], v2, off
.LBB199_271:
	s_mov_b64 s[42:43], 0
.LBB199_272:
	s_andn2_b64 vcc, exec, s[42:43]
	s_cbranch_vccnz .LBB199_277
; %bb.273:
	s_cmp_gt_i32 s14, 0
	s_mov_b64 s[42:43], -1
	s_cbranch_scc0 .LBB199_275
; %bb.274:
	v_cndmask_b32_e64 v2, 0, 1, s[2:3]
	global_store_byte v[0:1], v2, off
	s_mov_b64 s[42:43], 0
.LBB199_275:
	s_andn2_b64 vcc, exec, s[42:43]
	s_cbranch_vccnz .LBB199_277
; %bb.276:
	v_cndmask_b32_e64 v2, 0, 1, s[2:3]
	global_store_byte v[0:1], v2, off
.LBB199_277:
	s_mov_b64 s[42:43], -1
.LBB199_278:
	s_andn2_b64 vcc, exec, s[42:43]
	s_cbranch_vccnz .LBB199_280
; %bb.279:
	v_add_u32_e32 v8, 0x80, v8
	s_mov_b64 s[2:3], -1
	s_branch .LBB199_393
.LBB199_280:
	s_mov_b64 s[2:3], 0
                                        ; implicit-def: $vgpr8
	s_branch .LBB199_393
.LBB199_281:
	s_mov_b64 s[44:45], -1
                                        ; implicit-def: $vgpr3
.LBB199_282:
	s_mov_b64 s[6:7], 0
.LBB199_283:
	s_and_b64 vcc, exec, s[6:7]
	s_cbranch_vccz .LBB199_287
; %bb.284:
	s_cmp_eq_u32 s50, 29
	s_cbranch_scc0 .LBB199_286
; %bb.285:
	global_load_dwordx2 v[3:4], v[1:2], off
	s_movk_i32 s6, 0x7fff
	s_mov_b64 s[2:3], -1
	s_mov_b64 s[44:45], 0
	s_waitcnt vmcnt(0)
	v_ffbh_u32_e32 v6, v4
	v_min_u32_e32 v6, 32, v6
	v_lshlrev_b64 v[3:4], v6, v[3:4]
	v_min_u32_e32 v3, 1, v3
	v_or_b32_e32 v3, v4, v3
	v_cvt_f32_u32_e32 v3, v3
	v_sub_u32_e32 v4, 32, v6
	v_ldexp_f32 v3, v3, v4
	v_bfe_u32 v4, v3, 16, 1
	v_add3_u32 v3, v3, v4, s6
	v_lshrrev_b32_e32 v3, 16, v3
	s_branch .LBB199_287
.LBB199_286:
	s_mov_b64 s[44:45], -1
                                        ; implicit-def: $vgpr3
.LBB199_287:
	s_mov_b64 s[6:7], 0
.LBB199_288:
	s_and_b64 vcc, exec, s[6:7]
	s_cbranch_vccz .LBB199_306
; %bb.289:
	s_cmp_lt_i32 s50, 27
	s_cbranch_scc1 .LBB199_292
; %bb.290:
	s_cmp_gt_i32 s50, 27
	s_cbranch_scc0 .LBB199_293
; %bb.291:
	global_load_dword v3, v[1:2], off
	s_movk_i32 s2, 0x7fff
	s_waitcnt vmcnt(0)
	v_cvt_f32_u32_e32 v3, v3
	v_bfe_u32 v4, v3, 16, 1
	v_add3_u32 v3, v3, v4, s2
	v_lshrrev_b32_e32 v3, 16, v3
	s_mov_b64 s[2:3], 0
	s_branch .LBB199_294
.LBB199_292:
	s_mov_b64 s[2:3], -1
                                        ; implicit-def: $vgpr3
	s_branch .LBB199_297
.LBB199_293:
	s_mov_b64 s[2:3], -1
                                        ; implicit-def: $vgpr3
.LBB199_294:
	s_andn2_b64 vcc, exec, s[2:3]
	s_cbranch_vccnz .LBB199_296
; %bb.295:
	global_load_ushort v3, v[1:2], off
	s_movk_i32 s2, 0x7fff
	s_waitcnt vmcnt(0)
	v_cvt_f32_u32_e32 v3, v3
	v_bfe_u32 v4, v3, 16, 1
	v_add3_u32 v3, v3, v4, s2
	v_lshrrev_b32_e32 v3, 16, v3
.LBB199_296:
	s_mov_b64 s[2:3], 0
.LBB199_297:
	s_andn2_b64 vcc, exec, s[2:3]
	s_cbranch_vccnz .LBB199_305
; %bb.298:
	global_load_ubyte v3, v[1:2], off
	s_movk_i32 s2, 0x7f
	s_waitcnt vmcnt(0)
	v_cmp_lt_i16_e32 vcc, s2, v3
	s_mov_b64 s[2:3], 0
	s_and_saveexec_b64 s[6:7], vcc
	s_xor_b64 s[6:7], exec, s[6:7]
	s_cbranch_execz .LBB199_319
; %bb.299:
	s_movk_i32 s2, 0x80
	v_cmp_eq_u16_e32 vcc, s2, v3
	s_mov_b64 s[2:3], -1
	s_and_saveexec_b64 s[42:43], vcc
; %bb.300:
	s_xor_b64 s[2:3], exec, -1
; %bb.301:
	s_or_b64 exec, exec, s[42:43]
	s_and_b64 s[2:3], s[2:3], exec
	s_or_saveexec_b64 s[6:7], s[6:7]
	v_mov_b32_e32 v4, 0x7f800001
	s_xor_b64 exec, exec, s[6:7]
	s_cbranch_execnz .LBB199_320
.LBB199_302:
	s_or_b64 exec, exec, s[6:7]
	s_and_saveexec_b64 s[6:7], s[2:3]
	s_cbranch_execz .LBB199_304
.LBB199_303:
	v_lshlrev_b32_e32 v4, 24, v3
	v_and_b32_e32 v3, 0xffff, v3
	v_and_b32_e32 v6, 7, v3
	v_ffbh_u32_e32 v9, v6
	v_min_u32_e32 v9, 32, v9
	v_subrev_u32_e32 v10, 28, v9
	v_bfe_u32 v7, v3, 3, 4
	v_lshlrev_b32_e32 v3, v10, v3
	v_sub_u32_e32 v9, 29, v9
	v_and_b32_e32 v3, 7, v3
	v_cmp_eq_u32_e32 vcc, 0, v7
	v_cndmask_b32_e32 v7, v7, v9, vcc
	v_cndmask_b32_e32 v3, v6, v3, vcc
	v_mov_b32_e32 v6, 0x3b800000
	v_lshlrev_b32_e32 v3, 20, v3
	v_and_b32_e32 v4, 0x80000000, v4
	v_lshl_add_u32 v6, v7, 23, v6
	v_or3_b32 v4, v4, v6, v3
.LBB199_304:
	s_or_b64 exec, exec, s[6:7]
	v_bfe_u32 v3, v4, 16, 1
	s_movk_i32 s2, 0x7fff
	v_add3_u32 v3, v4, v3, s2
	v_cmp_o_f32_e32 vcc, v4, v4
	v_mov_b32_e32 v4, 0x7fc0
	v_cndmask_b32_sdwa v3, v4, v3, vcc dst_sel:DWORD dst_unused:UNUSED_PAD src0_sel:DWORD src1_sel:WORD_1
.LBB199_305:
	s_mov_b64 s[2:3], -1
.LBB199_306:
	s_mov_b64 s[6:7], 0
.LBB199_307:
	s_and_b64 vcc, exec, s[6:7]
	s_cbranch_vccz .LBB199_342
; %bb.308:
	s_cmp_gt_i32 s50, 22
	s_cbranch_scc0 .LBB199_318
; %bb.309:
	s_cmp_lt_i32 s50, 24
	s_cbranch_scc1 .LBB199_321
; %bb.310:
	s_cmp_gt_i32 s50, 24
	s_cbranch_scc0 .LBB199_322
; %bb.311:
	global_load_ubyte v3, v[1:2], off
	s_movk_i32 s2, 0x7f
	s_waitcnt vmcnt(0)
	v_cmp_lt_i16_e32 vcc, s2, v3
	s_mov_b64 s[2:3], 0
	s_and_saveexec_b64 s[6:7], vcc
	s_xor_b64 s[6:7], exec, s[6:7]
	s_cbranch_execz .LBB199_334
; %bb.312:
	s_movk_i32 s2, 0x80
	v_cmp_eq_u16_e32 vcc, s2, v3
	s_mov_b64 s[2:3], -1
	s_and_saveexec_b64 s[42:43], vcc
; %bb.313:
	s_xor_b64 s[2:3], exec, -1
; %bb.314:
	s_or_b64 exec, exec, s[42:43]
	s_and_b64 s[2:3], s[2:3], exec
	s_or_saveexec_b64 s[6:7], s[6:7]
	v_mov_b32_e32 v4, 0x7f800001
	s_xor_b64 exec, exec, s[6:7]
	s_cbranch_execnz .LBB199_335
.LBB199_315:
	s_or_b64 exec, exec, s[6:7]
	s_and_saveexec_b64 s[6:7], s[2:3]
	s_cbranch_execz .LBB199_317
.LBB199_316:
	v_lshlrev_b32_e32 v4, 24, v3
	v_and_b32_e32 v3, 0xffff, v3
	v_and_b32_e32 v6, 3, v3
	v_ffbh_u32_e32 v9, v6
	v_min_u32_e32 v9, 32, v9
	v_subrev_u32_e32 v10, 29, v9
	v_bfe_u32 v7, v3, 2, 5
	v_lshlrev_b32_e32 v3, v10, v3
	v_sub_u32_e32 v9, 30, v9
	v_and_b32_e32 v3, 3, v3
	v_cmp_eq_u32_e32 vcc, 0, v7
	v_cndmask_b32_e32 v7, v7, v9, vcc
	v_cndmask_b32_e32 v3, v6, v3, vcc
	v_mov_b32_e32 v6, 0x37800000
	v_lshlrev_b32_e32 v3, 21, v3
	v_and_b32_e32 v4, 0x80000000, v4
	v_lshl_add_u32 v6, v7, 23, v6
	v_or3_b32 v4, v4, v6, v3
.LBB199_317:
	s_or_b64 exec, exec, s[6:7]
	v_bfe_u32 v3, v4, 16, 1
	s_movk_i32 s2, 0x7fff
	v_add3_u32 v3, v4, v3, s2
	v_cmp_o_f32_e32 vcc, v4, v4
	v_mov_b32_e32 v4, 0x7fc0
	v_cndmask_b32_sdwa v3, v4, v3, vcc dst_sel:DWORD dst_unused:UNUSED_PAD src0_sel:DWORD src1_sel:WORD_1
	s_mov_b64 s[2:3], 0
	s_branch .LBB199_323
.LBB199_318:
	s_mov_b64 s[6:7], -1
                                        ; implicit-def: $vgpr3
	s_branch .LBB199_329
.LBB199_319:
	s_or_saveexec_b64 s[6:7], s[6:7]
	v_mov_b32_e32 v4, 0x7f800001
	s_xor_b64 exec, exec, s[6:7]
	s_cbranch_execz .LBB199_302
.LBB199_320:
	v_cmp_ne_u16_e32 vcc, 0, v3
	s_andn2_b64 s[2:3], s[2:3], exec
	s_and_b64 s[42:43], vcc, exec
	v_mov_b32_e32 v4, 0
	s_or_b64 s[2:3], s[2:3], s[42:43]
	s_or_b64 exec, exec, s[6:7]
	s_and_saveexec_b64 s[6:7], s[2:3]
	s_cbranch_execnz .LBB199_303
	s_branch .LBB199_304
.LBB199_321:
	s_mov_b64 s[2:3], -1
                                        ; implicit-def: $vgpr3
	s_branch .LBB199_326
.LBB199_322:
	s_mov_b64 s[2:3], -1
                                        ; implicit-def: $vgpr3
.LBB199_323:
	s_and_b64 vcc, exec, s[2:3]
	s_cbranch_vccz .LBB199_325
; %bb.324:
	global_load_ubyte v3, v[1:2], off
	s_mov_b32 s2, 0x7f800000
	s_brev_b32 s3, 1
	s_movk_i32 s6, 0x7fff
	s_waitcnt vmcnt(0)
	v_lshlrev_b32_e32 v3, 24, v3
	v_and_b32_e32 v4, 0x7f000000, v3
	v_ffbh_u32_e32 v6, v4
	v_min_u32_e32 v6, 32, v6
	v_sub_u32_e64 v6, v6, 4 clamp
	v_lshlrev_b32_e32 v9, v6, v4
	v_lshlrev_b32_e32 v6, 23, v6
	v_lshrrev_b32_e32 v9, 4, v9
	v_add_u32_e32 v7, 0x1000000, v4
	v_sub_u32_e32 v6, v9, v6
	v_ashrrev_i32_e32 v7, 8, v7
	v_add_u32_e32 v6, 0x3c000000, v6
	v_and_or_b32 v6, v7, s2, v6
	v_cmp_ne_u32_e32 vcc, 0, v4
	v_cndmask_b32_e32 v4, 0, v6, vcc
	v_and_or_b32 v3, v3, s3, v4
	v_bfe_u32 v4, v4, 16, 1
	v_add3_u32 v4, v3, v4, s6
	v_cmp_o_f32_e32 vcc, v3, v3
	v_mov_b32_e32 v3, 0x7fc0
	v_cndmask_b32_sdwa v3, v3, v4, vcc dst_sel:DWORD dst_unused:UNUSED_PAD src0_sel:DWORD src1_sel:WORD_1
.LBB199_325:
	s_mov_b64 s[2:3], 0
.LBB199_326:
	s_andn2_b64 vcc, exec, s[2:3]
	s_cbranch_vccnz .LBB199_328
; %bb.327:
	global_load_ubyte v3, v[1:2], off
	s_movk_i32 s2, 0x7f00
	s_brev_b32 s3, 16
	s_brev_b32 s6, 1
	s_movk_i32 s7, 0x7fff
	s_waitcnt vmcnt(0)
	v_lshlrev_b16_e32 v4, 8, v3
	v_lshlrev_b32_e32 v3, 25, v3
	v_lshrrev_b32_e32 v6, 4, v3
	v_and_or_b32 v7, v4, s2, 0.5
	v_or_b32_e32 v6, 0x70000000, v6
	v_add_f32_e32 v7, -0.5, v7
	v_mul_f32_e32 v6, 0x7800000, v6
	v_cmp_gt_u32_e32 vcc, s3, v3
	v_bfe_i32 v4, v4, 0, 16
	v_cndmask_b32_e32 v3, v6, v7, vcc
	v_and_or_b32 v4, v4, s6, v3
	v_bfe_u32 v3, v3, 16, 1
	v_add3_u32 v3, v4, v3, s7
	v_cmp_o_f32_e32 vcc, v4, v4
	v_mov_b32_e32 v4, 0x7fc0
	v_cndmask_b32_sdwa v3, v4, v3, vcc dst_sel:DWORD dst_unused:UNUSED_PAD src0_sel:DWORD src1_sel:WORD_1
.LBB199_328:
	s_mov_b64 s[6:7], 0
	s_mov_b64 s[2:3], -1
.LBB199_329:
	s_andn2_b64 vcc, exec, s[6:7]
	s_cbranch_vccnz .LBB199_342
; %bb.330:
	s_cmp_gt_i32 s50, 14
	s_cbranch_scc0 .LBB199_333
; %bb.331:
	s_cmp_eq_u32 s50, 15
	s_cbranch_scc0 .LBB199_336
; %bb.332:
	global_load_ushort v3, v[1:2], off
	s_mov_b64 s[2:3], -1
	s_mov_b64 s[44:45], 0
	s_branch .LBB199_337
.LBB199_333:
	s_mov_b64 s[6:7], -1
                                        ; implicit-def: $vgpr3
	s_branch .LBB199_338
.LBB199_334:
	s_or_saveexec_b64 s[6:7], s[6:7]
	v_mov_b32_e32 v4, 0x7f800001
	s_xor_b64 exec, exec, s[6:7]
	s_cbranch_execz .LBB199_315
.LBB199_335:
	v_cmp_ne_u16_e32 vcc, 0, v3
	s_andn2_b64 s[2:3], s[2:3], exec
	s_and_b64 s[42:43], vcc, exec
	v_mov_b32_e32 v4, 0
	s_or_b64 s[2:3], s[2:3], s[42:43]
	s_or_b64 exec, exec, s[6:7]
	s_and_saveexec_b64 s[6:7], s[2:3]
	s_cbranch_execnz .LBB199_316
	s_branch .LBB199_317
.LBB199_336:
	s_mov_b64 s[44:45], -1
                                        ; implicit-def: $vgpr3
.LBB199_337:
	s_mov_b64 s[6:7], 0
.LBB199_338:
	s_and_b64 vcc, exec, s[6:7]
	s_cbranch_vccz .LBB199_342
; %bb.339:
	s_cmp_eq_u32 s50, 11
	s_cbranch_scc0 .LBB199_341
; %bb.340:
	global_load_ubyte v3, v[1:2], off
	s_mov_b64 s[2:3], -1
	s_mov_b64 s[44:45], 0
	s_waitcnt vmcnt(0)
	v_cmp_ne_u16_e32 vcc, 0, v3
	v_cndmask_b32_e64 v3, 0, 1.0, vcc
	v_lshrrev_b32_e32 v3, 16, v3
	s_branch .LBB199_342
.LBB199_341:
	s_mov_b64 s[44:45], -1
                                        ; implicit-def: $vgpr3
.LBB199_342:
	s_branch .LBB199_31
.LBB199_343:
	s_and_b32 s6, 0xffff, s14
	s_cmp_lt_i32 s6, 5
	s_cbranch_scc1 .LBB199_348
; %bb.344:
	s_cmp_lt_i32 s6, 8
	s_cbranch_scc1 .LBB199_349
; %bb.345:
	;; [unrolled: 3-line block ×3, first 2 shown]
	s_cmp_gt_i32 s6, 9
	s_cbranch_scc0 .LBB199_351
; %bb.347:
	global_load_dwordx2 v[3:4], v[1:2], off
	s_movk_i32 s2, 0x7fff
	s_waitcnt vmcnt(0)
	v_cvt_f32_f64_e32 v3, v[3:4]
	v_mov_b32_e32 v4, 0x7fc0
	v_bfe_u32 v6, v3, 16, 1
	v_cmp_o_f32_e32 vcc, v3, v3
	v_add3_u32 v3, v3, v6, s2
	v_cndmask_b32_sdwa v3, v4, v3, vcc dst_sel:DWORD dst_unused:UNUSED_PAD src0_sel:DWORD src1_sel:WORD_1
	s_mov_b64 s[2:3], 0
	s_branch .LBB199_352
.LBB199_348:
	s_mov_b64 s[2:3], -1
                                        ; implicit-def: $vgpr3
	s_branch .LBB199_370
.LBB199_349:
	s_mov_b64 s[2:3], -1
                                        ; implicit-def: $vgpr3
	s_branch .LBB199_358
.LBB199_350:
	s_mov_b64 s[2:3], -1
                                        ; implicit-def: $vgpr3
	s_branch .LBB199_355
.LBB199_351:
	s_mov_b64 s[2:3], -1
                                        ; implicit-def: $vgpr3
.LBB199_352:
	s_andn2_b64 vcc, exec, s[2:3]
	s_cbranch_vccnz .LBB199_354
; %bb.353:
	global_load_dword v3, v[1:2], off
	s_movk_i32 s2, 0x7fff
	v_mov_b32_e32 v4, 0x7fc0
	s_waitcnt vmcnt(0)
	v_bfe_u32 v6, v3, 16, 1
	v_cmp_o_f32_e32 vcc, v3, v3
	v_add3_u32 v3, v3, v6, s2
	v_cndmask_b32_sdwa v3, v4, v3, vcc dst_sel:DWORD dst_unused:UNUSED_PAD src0_sel:DWORD src1_sel:WORD_1
.LBB199_354:
	s_mov_b64 s[2:3], 0
.LBB199_355:
	s_andn2_b64 vcc, exec, s[2:3]
	s_cbranch_vccnz .LBB199_357
; %bb.356:
	global_load_dword v3, v[1:2], off
	s_movk_i32 s2, 0x7fff
	v_mov_b32_e32 v6, 0x7fc0
	s_waitcnt vmcnt(0)
	v_cvt_f32_f16_e32 v4, v3
	v_cmp_o_f16_e32 vcc, v3, v3
	v_bfe_u32 v3, v4, 16, 1
	v_add3_u32 v3, v4, v3, s2
	v_cndmask_b32_sdwa v3, v6, v3, vcc dst_sel:DWORD dst_unused:UNUSED_PAD src0_sel:DWORD src1_sel:WORD_1
.LBB199_357:
	s_mov_b64 s[2:3], 0
.LBB199_358:
	s_andn2_b64 vcc, exec, s[2:3]
	s_cbranch_vccnz .LBB199_369
; %bb.359:
	s_cmp_lt_i32 s6, 6
	s_cbranch_scc1 .LBB199_362
; %bb.360:
	s_cmp_gt_i32 s6, 6
	s_cbranch_scc0 .LBB199_363
; %bb.361:
	global_load_dwordx2 v[3:4], v[1:2], off
	s_movk_i32 s2, 0x7fff
	s_waitcnt vmcnt(0)
	v_cvt_f32_f64_e32 v3, v[3:4]
	v_mov_b32_e32 v4, 0x7fc0
	v_bfe_u32 v6, v3, 16, 1
	v_cmp_o_f32_e32 vcc, v3, v3
	v_add3_u32 v3, v3, v6, s2
	v_cndmask_b32_sdwa v3, v4, v3, vcc dst_sel:DWORD dst_unused:UNUSED_PAD src0_sel:DWORD src1_sel:WORD_1
	s_mov_b64 s[2:3], 0
	s_branch .LBB199_364
.LBB199_362:
	s_mov_b64 s[2:3], -1
                                        ; implicit-def: $vgpr3
	s_branch .LBB199_367
.LBB199_363:
	s_mov_b64 s[2:3], -1
                                        ; implicit-def: $vgpr3
.LBB199_364:
	s_andn2_b64 vcc, exec, s[2:3]
	s_cbranch_vccnz .LBB199_366
; %bb.365:
	global_load_dword v3, v[1:2], off
	s_movk_i32 s2, 0x7fff
	v_mov_b32_e32 v4, 0x7fc0
	s_waitcnt vmcnt(0)
	v_bfe_u32 v6, v3, 16, 1
	v_cmp_o_f32_e32 vcc, v3, v3
	v_add3_u32 v3, v3, v6, s2
	v_cndmask_b32_sdwa v3, v4, v3, vcc dst_sel:DWORD dst_unused:UNUSED_PAD src0_sel:DWORD src1_sel:WORD_1
.LBB199_366:
	s_mov_b64 s[2:3], 0
.LBB199_367:
	s_andn2_b64 vcc, exec, s[2:3]
	s_cbranch_vccnz .LBB199_369
; %bb.368:
	global_load_ushort v3, v[1:2], off
	s_movk_i32 s2, 0x7fff
	v_mov_b32_e32 v6, 0x7fc0
	s_waitcnt vmcnt(0)
	v_cvt_f32_f16_e32 v4, v3
	v_cmp_o_f16_e32 vcc, v3, v3
	v_bfe_u32 v3, v4, 16, 1
	v_add3_u32 v3, v4, v3, s2
	v_cndmask_b32_sdwa v3, v6, v3, vcc dst_sel:DWORD dst_unused:UNUSED_PAD src0_sel:DWORD src1_sel:WORD_1
.LBB199_369:
	s_mov_b64 s[2:3], 0
.LBB199_370:
	s_andn2_b64 vcc, exec, s[2:3]
	s_cbranch_vccnz .LBB199_390
; %bb.371:
	s_cmp_lt_i32 s6, 2
	s_cbranch_scc1 .LBB199_375
; %bb.372:
	s_cmp_lt_i32 s6, 3
	s_cbranch_scc1 .LBB199_376
; %bb.373:
	s_cmp_gt_i32 s6, 3
	s_cbranch_scc0 .LBB199_377
; %bb.374:
	global_load_dwordx2 v[3:4], v[1:2], off
	s_movk_i32 s2, 0x7fff
	s_waitcnt vmcnt(0)
	v_xor_b32_e32 v7, v3, v4
	v_ffbh_i32_e32 v6, v4
	v_ashrrev_i32_e32 v7, 31, v7
	v_add_u32_e32 v6, -1, v6
	v_add_u32_e32 v7, 32, v7
	v_min_u32_e32 v6, v6, v7
	v_lshlrev_b64 v[3:4], v6, v[3:4]
	v_min_u32_e32 v3, 1, v3
	v_or_b32_e32 v3, v4, v3
	v_cvt_f32_i32_e32 v3, v3
	v_sub_u32_e32 v4, 32, v6
	v_ldexp_f32 v3, v3, v4
	v_bfe_u32 v4, v3, 16, 1
	v_add3_u32 v3, v3, v4, s2
	v_lshrrev_b32_e32 v3, 16, v3
	s_mov_b64 s[2:3], 0
	s_branch .LBB199_378
.LBB199_375:
	s_mov_b64 s[2:3], -1
                                        ; implicit-def: $vgpr3
	s_branch .LBB199_384
.LBB199_376:
	s_mov_b64 s[2:3], -1
                                        ; implicit-def: $vgpr3
	s_branch .LBB199_381
.LBB199_377:
	s_mov_b64 s[2:3], -1
                                        ; implicit-def: $vgpr3
.LBB199_378:
	s_andn2_b64 vcc, exec, s[2:3]
	s_cbranch_vccnz .LBB199_380
; %bb.379:
	global_load_dword v3, v[1:2], off
	s_movk_i32 s2, 0x7fff
	s_waitcnt vmcnt(0)
	v_cvt_f32_i32_e32 v3, v3
	v_bfe_u32 v4, v3, 16, 1
	v_add3_u32 v3, v3, v4, s2
	v_lshrrev_b32_e32 v3, 16, v3
.LBB199_380:
	s_mov_b64 s[2:3], 0
.LBB199_381:
	s_andn2_b64 vcc, exec, s[2:3]
	s_cbranch_vccnz .LBB199_383
; %bb.382:
	global_load_sshort v3, v[1:2], off
	s_movk_i32 s2, 0x7fff
	s_waitcnt vmcnt(0)
	v_cvt_f32_i32_e32 v3, v3
	v_bfe_u32 v4, v3, 16, 1
	v_add3_u32 v3, v3, v4, s2
	v_lshrrev_b32_e32 v3, 16, v3
.LBB199_383:
	s_mov_b64 s[2:3], 0
.LBB199_384:
	s_andn2_b64 vcc, exec, s[2:3]
	s_cbranch_vccnz .LBB199_390
; %bb.385:
	s_cmp_gt_i32 s6, 0
	s_cbranch_scc0 .LBB199_387
; %bb.386:
	global_load_sbyte v3, v[1:2], off
	s_movk_i32 s2, 0x7fff
	s_waitcnt vmcnt(0)
	v_cvt_f32_i32_e32 v3, v3
	v_bfe_u32 v4, v3, 16, 1
	v_add3_u32 v3, v3, v4, s2
	v_lshrrev_b32_e32 v3, 16, v3
	s_mov_b64 s[2:3], 0
	s_branch .LBB199_388
.LBB199_387:
	s_mov_b64 s[2:3], -1
                                        ; implicit-def: $vgpr3
.LBB199_388:
	s_andn2_b64 vcc, exec, s[2:3]
	s_cbranch_vccnz .LBB199_390
; %bb.389:
	global_load_ubyte v1, v[1:2], off
	s_movk_i32 s2, 0x7fff
	s_waitcnt vmcnt(0)
	v_cvt_f32_ubyte0_e32 v1, v1
	v_bfe_u32 v2, v1, 16, 1
	v_add3_u32 v1, v1, v2, s2
	v_lshrrev_b32_e32 v3, 16, v1
.LBB199_390:
	s_branch .LBB199_32
.LBB199_391:
	s_mov_b64 s[6:7], 0
.LBB199_392:
                                        ; implicit-def: $vgpr8
	s_mov_b64 s[2:3], 0
.LBB199_393:
	s_and_b64 s[42:43], s[6:7], exec
	s_and_b64 s[44:45], s[44:45], exec
	;; [unrolled: 1-line block ×3, first 2 shown]
	s_orn2_b64 s[2:3], s[2:3], exec
.LBB199_394:
	s_or_b64 exec, exec, s[48:49]
	s_mov_b64 s[56:57], 0
	s_mov_b64 s[54:55], 0
                                        ; implicit-def: $sgpr14
                                        ; implicit-def: $vgpr3_vgpr4
                                        ; implicit-def: $vgpr0
                                        ; implicit-def: $vgpr2
                                        ; implicit-def: $vgpr5
	s_and_saveexec_b64 s[48:49], s[2:3]
	s_cbranch_execz .LBB199_402
; %bb.395:
	v_cmp_gt_i32_e32 vcc, s70, v8
	s_mov_b64 s[2:3], -1
	s_mov_b64 s[50:51], s[46:47]
	s_mov_b64 s[52:53], s[44:45]
	;; [unrolled: 1-line block ×3, first 2 shown]
	s_and_saveexec_b64 s[56:57], vcc
	s_cbranch_execz .LBB199_795
; %bb.396:
	s_andn2_b64 vcc, exec, s[28:29]
	s_cbranch_vccnz .LBB199_405
; %bb.397:
	s_andn2_b64 vcc, exec, s[40:41]
	s_cbranch_vccnz .LBB199_406
; %bb.398:
	s_add_i32 s2, s75, 1
	s_and_b32 s6, s2, 30
	s_add_u32 s2, s24, 0xffffffe8
	s_addc_u32 s3, s25, -1
	v_mov_b32_e32 v2, 0
	v_mov_b32_e32 v4, 0
	;; [unrolled: 1-line block ×4, first 2 shown]
.LBB199_399:                            ; =>This Inner Loop Header: Depth=1
	s_load_dwordx4 s[52:55], s[2:3], 0x1c
	s_load_dwordx2 s[50:51], s[2:3], 0x2c
	s_load_dwordx2 s[58:59], s[2:3], 0xec
	s_load_dwordx4 s[60:63], s[2:3], 0xdc
	s_add_u32 s2, s2, 24
	s_waitcnt vmcnt(0) lgkmcnt(0)
	v_mul_hi_u32 v3, s53, v1
	s_addc_u32 s3, s3, 0
	s_add_i32 s6, s6, -2
	s_cmp_eq_u32 s6, 0
	v_add_u32_e32 v3, v1, v3
	v_lshrrev_b32_e32 v3, s54, v3
	v_mul_lo_u32 v5, v3, s52
	v_mul_hi_u32 v6, s50, v3
	v_sub_u32_e32 v5, v1, v5
	v_add_u32_e32 v1, v3, v6
	v_lshrrev_b32_e32 v1, s51, v1
	v_mul_lo_u32 v9, v1, s55
	v_mul_lo_u32 v6, v5, s60
	;; [unrolled: 1-line block ×4, first 2 shown]
	v_sub_u32_e32 v3, v3, v9
	v_mul_lo_u32 v9, v3, s63
	v_mul_lo_u32 v10, v3, s58
	;; [unrolled: 1-line block ×3, first 2 shown]
	v_add3_u32 v0, v6, v0, v9
	v_add3_u32 v4, v7, v4, v10
	;; [unrolled: 1-line block ×3, first 2 shown]
	s_cbranch_scc0 .LBB199_399
; %bb.400:
	s_bitcmp1_b32 s75, 0
	s_cselect_b64 s[6:7], -1, 0
	s_and_b64 vcc, exec, s[6:7]
	s_cbranch_vccnz .LBB199_407
; %bb.401:
	s_load_dwordx2 s[6:7], s[2:3], 0x1c
	s_load_dword s14, s[2:3], 0x24
	s_load_dwordx2 s[50:51], s[2:3], 0xdc
	s_waitcnt lgkmcnt(0)
	v_mul_hi_u32 v3, s7, v1
	v_add_u32_e32 v3, v1, v3
	v_lshrrev_b32_e32 v3, s14, v3
	v_mul_lo_u32 v3, v3, s6
	s_load_dword s6, s[2:3], 0xe4
	v_sub_u32_e32 v3, v1, v3
	v_mad_u64_u32 v[0:1], s[2:3], v3, s50, v[0:1]
	v_mad_u64_u32 v[4:5], s[2:3], v3, s51, v[4:5]
	s_waitcnt lgkmcnt(0)
	v_mad_u64_u32 v[2:3], s[2:3], v3, s6, v[2:3]
	s_branch .LBB199_407
.LBB199_402:
	s_or_b64 exec, exec, s[48:49]
	s_mov_b64 s[2:3], 0
	s_and_saveexec_b64 s[6:7], s[46:47]
	s_cbranch_execnz .LBB199_1293
.LBB199_403:
	s_or_b64 exec, exec, s[6:7]
	s_and_saveexec_b64 s[6:7], s[52:53]
	s_xor_b64 s[6:7], exec, s[6:7]
	s_cbranch_execz .LBB199_1294
.LBB199_404:
	s_waitcnt vmcnt(0)
	global_load_ubyte v1, v[3:4], off
	s_or_b64 s[54:55], s[54:55], exec
	s_waitcnt vmcnt(0)
	v_cmp_ne_u16_e32 vcc, 0, v1
	v_cndmask_b32_e64 v1, 0, 1.0, vcc
	v_lshrrev_b32_e32 v5, 16, v1
	s_or_b64 exec, exec, s[6:7]
	s_and_saveexec_b64 s[6:7], s[56:57]
	s_cbranch_execz .LBB199_1340
	s_branch .LBB199_1295
.LBB199_405:
                                        ; implicit-def: $vgpr0
                                        ; implicit-def: $vgpr4
                                        ; implicit-def: $vgpr2
	s_andn2_b64 vcc, exec, s[2:3]
	s_cbranch_vccz .LBB199_408
	s_branch .LBB199_410
.LBB199_406:
	v_mov_b32_e32 v0, 0
	v_mov_b32_e32 v4, 0
	;; [unrolled: 1-line block ×3, first 2 shown]
.LBB199_407:
	s_cbranch_execnz .LBB199_410
.LBB199_408:
	v_mul_hi_u32 v0, s17, v8
	s_andn2_b64 vcc, exec, s[38:39]
	v_add_u32_e32 v0, v8, v0
	v_lshrrev_b32_e32 v1, s18, v0
	v_mul_lo_u32 v0, v1, s16
	v_sub_u32_e32 v2, v8, v0
	v_mul_lo_u32 v0, v2, s20
	v_mul_lo_u32 v4, v2, s21
	;; [unrolled: 1-line block ×3, first 2 shown]
	s_cbranch_vccnz .LBB199_410
; %bb.409:
	s_waitcnt vmcnt(0)
	v_mul_hi_u32 v3, s36, v1
	v_add_u32_e32 v3, v1, v3
	v_lshrrev_b32_e32 v3, s37, v3
	v_mul_lo_u32 v3, v3, s19
	v_sub_u32_e32 v3, v1, v3
	v_mad_u64_u32 v[0:1], s[2:3], v3, s23, v[0:1]
	v_mad_u64_u32 v[4:5], s[2:3], v3, s34, v[4:5]
	;; [unrolled: 1-line block ×3, first 2 shown]
.LBB199_410:
	v_mov_b32_e32 v1, s11
	s_and_b32 s14, s74, 0xff
	s_waitcnt vmcnt(0)
	v_add_co_u32_e32 v3, vcc, s10, v4
	s_cmp_lt_i32 s14, 11
	v_addc_co_u32_e32 v4, vcc, 0, v1, vcc
	s_cbranch_scc1 .LBB199_417
; %bb.411:
	s_and_b32 s54, 0xffff, s14
	s_cmp_gt_i32 s54, 25
	s_cbranch_scc0 .LBB199_426
; %bb.412:
	s_cmp_gt_i32 s54, 28
	s_cbranch_scc0 .LBB199_428
; %bb.413:
	;; [unrolled: 3-line block ×4, first 2 shown]
	s_cmp_eq_u32 s54, 46
	s_mov_b64 s[6:7], 0
	s_cbranch_scc0 .LBB199_436
; %bb.416:
	global_load_dword v5, v[3:4], off
	s_mov_b64 s[2:3], -1
	s_mov_b64 s[50:51], 0
	s_branch .LBB199_437
.LBB199_417:
	s_mov_b64 s[2:3], 0
                                        ; implicit-def: $vgpr5
	s_mov_b64 s[50:51], s[46:47]
	s_cbranch_execnz .LBB199_503
.LBB199_418:
	s_andn2_b64 vcc, exec, s[2:3]
	s_cbranch_vccnz .LBB199_551
.LBB199_419:
	v_mov_b32_e32 v3, s13
	s_and_b32 s14, s73, 0xff
	v_add_co_u32_e32 v1, vcc, s12, v2
	s_cmp_lt_i32 s14, 11
	v_addc_co_u32_e32 v2, vcc, 0, v3, vcc
	s_cbranch_scc1 .LBB199_427
; %bb.420:
	s_and_b32 s58, 0xffff, s14
	s_cmp_gt_i32 s58, 25
	s_cbranch_scc0 .LBB199_429
; %bb.421:
	s_cmp_gt_i32 s58, 28
	s_cbranch_scc0 .LBB199_431
; %bb.422:
	;; [unrolled: 3-line block ×4, first 2 shown]
	s_cmp_eq_u32 s58, 46
	s_mov_b64 s[6:7], 0
	s_cbranch_scc0 .LBB199_555
; %bb.425:
	global_load_dword v3, v[1:2], off
	s_mov_b64 s[2:3], -1
	s_mov_b64 s[52:53], 0
	s_branch .LBB199_556
.LBB199_426:
	s_mov_b64 s[6:7], -1
	s_mov_b64 s[2:3], 0
	s_mov_b64 s[50:51], s[46:47]
                                        ; implicit-def: $vgpr5
	s_branch .LBB199_467
.LBB199_427:
	s_mov_b64 s[6:7], -1
	s_mov_b64 s[2:3], 0
                                        ; implicit-def: $vgpr3
	s_mov_b64 s[52:53], s[44:45]
	s_branch .LBB199_621
.LBB199_428:
	s_mov_b64 s[6:7], -1
	s_mov_b64 s[2:3], 0
	s_mov_b64 s[50:51], s[46:47]
                                        ; implicit-def: $vgpr5
	s_branch .LBB199_448
.LBB199_429:
	s_mov_b64 s[6:7], -1
	s_mov_b64 s[2:3], 0
	s_mov_b64 s[52:53], s[44:45]
                                        ; implicit-def: $vgpr3
	s_branch .LBB199_585
.LBB199_430:
	s_mov_b64 s[6:7], -1
	s_mov_b64 s[2:3], 0
	s_mov_b64 s[50:51], s[46:47]
                                        ; implicit-def: $vgpr5
	s_branch .LBB199_443
.LBB199_431:
	s_mov_b64 s[6:7], -1
	s_mov_b64 s[2:3], 0
	s_mov_b64 s[52:53], s[44:45]
                                        ; implicit-def: $vgpr3
	s_branch .LBB199_566
.LBB199_432:
	s_mov_b64 s[6:7], -1
	s_mov_b64 s[2:3], 0
	s_mov_b64 s[50:51], s[46:47]
                                        ; implicit-def: $vgpr5
	s_branch .LBB199_437
.LBB199_433:
	s_mov_b64 s[6:7], -1
	s_mov_b64 s[2:3], 0
	s_mov_b64 s[52:53], s[44:45]
                                        ; implicit-def: $vgpr3
	s_branch .LBB199_561
.LBB199_434:
	s_andn2_saveexec_b64 s[54:55], s[54:55]
	s_cbranch_execz .LBB199_191
.LBB199_435:
	v_add_f32_e32 v2, 0x46000000, v3
	v_and_b32_e32 v2, 0xff, v2
	v_cmp_ne_u32_e32 vcc, 0, v2
	s_andn2_b64 s[50:51], s[50:51], exec
	s_and_b64 s[58:59], vcc, exec
	s_or_b64 s[50:51], s[50:51], s[58:59]
	s_or_b64 exec, exec, s[54:55]
	v_mov_b32_e32 v4, 0
	s_and_saveexec_b64 s[54:55], s[50:51]
	s_cbranch_execnz .LBB199_192
	s_branch .LBB199_193
.LBB199_436:
	s_mov_b64 s[50:51], -1
                                        ; implicit-def: $vgpr5
	s_mov_b64 s[2:3], 0
.LBB199_437:
	s_and_b64 vcc, exec, s[6:7]
	s_cbranch_vccz .LBB199_442
; %bb.438:
	s_cmp_eq_u32 s54, 44
	s_cbranch_scc0 .LBB199_441
; %bb.439:
	global_load_ubyte v1, v[3:4], off
	s_movk_i32 s6, 0xff
	s_waitcnt vmcnt(1)
	v_mov_b32_e32 v5, 0x7f800001
	v_mov_b32_e32 v6, 0x400000
	;; [unrolled: 1-line block ×3, first 2 shown]
	s_mov_b64 s[2:3], -1
	s_mov_b64 s[50:51], 0
	s_waitcnt vmcnt(0)
	v_lshlrev_b32_e32 v9, 23, v1
	v_cmp_ne_u32_e32 vcc, s6, v1
	v_cndmask_b32_e32 v5, v5, v9, vcc
	v_cmp_ne_u32_e32 vcc, 0, v1
	v_cndmask_b32_e32 v1, v6, v5, vcc
	v_add_u32_e32 v5, 0x7fff, v1
	v_cmp_o_f32_e32 vcc, v1, v1
	v_cndmask_b32_sdwa v5, v7, v5, vcc dst_sel:DWORD dst_unused:UNUSED_PAD src0_sel:DWORD src1_sel:WORD_1
	s_branch .LBB199_442
.LBB199_440:
	s_mov_b64 s[6:7], -1
	s_mov_b64 s[2:3], 0
	s_mov_b64 s[52:53], s[44:45]
                                        ; implicit-def: $vgpr3
	s_branch .LBB199_556
.LBB199_441:
	s_mov_b64 s[50:51], -1
                                        ; implicit-def: $vgpr5
.LBB199_442:
	s_mov_b64 s[6:7], 0
.LBB199_443:
	s_and_b64 vcc, exec, s[6:7]
	s_cbranch_vccz .LBB199_447
; %bb.444:
	s_cmp_eq_u32 s54, 29
	s_cbranch_scc0 .LBB199_446
; %bb.445:
	global_load_dwordx2 v[5:6], v[3:4], off
	s_movk_i32 s6, 0x7fff
	s_mov_b64 s[2:3], -1
	s_mov_b64 s[50:51], 0
	s_waitcnt vmcnt(0)
	v_ffbh_u32_e32 v1, v6
	v_min_u32_e32 v1, 32, v1
	v_lshlrev_b64 v[5:6], v1, v[5:6]
	v_sub_u32_e32 v1, 32, v1
	v_min_u32_e32 v5, 1, v5
	v_or_b32_e32 v5, v6, v5
	v_cvt_f32_u32_e32 v5, v5
	v_ldexp_f32 v1, v5, v1
	v_bfe_u32 v5, v1, 16, 1
	v_add3_u32 v1, v1, v5, s6
	v_lshrrev_b32_e32 v5, 16, v1
	s_branch .LBB199_447
.LBB199_446:
	s_mov_b64 s[50:51], -1
                                        ; implicit-def: $vgpr5
.LBB199_447:
	s_mov_b64 s[6:7], 0
.LBB199_448:
	s_and_b64 vcc, exec, s[6:7]
	s_cbranch_vccz .LBB199_466
; %bb.449:
	s_cmp_lt_i32 s54, 27
	s_cbranch_scc1 .LBB199_452
; %bb.450:
	s_cmp_gt_i32 s54, 27
	s_cbranch_scc0 .LBB199_453
; %bb.451:
	global_load_dword v1, v[3:4], off
	s_movk_i32 s2, 0x7fff
	s_waitcnt vmcnt(0)
	v_cvt_f32_u32_e32 v1, v1
	v_bfe_u32 v5, v1, 16, 1
	v_add3_u32 v1, v1, v5, s2
	v_lshrrev_b32_e32 v5, 16, v1
	s_mov_b64 s[2:3], 0
	s_branch .LBB199_454
.LBB199_452:
	s_mov_b64 s[2:3], -1
                                        ; implicit-def: $vgpr5
	s_branch .LBB199_457
.LBB199_453:
	s_mov_b64 s[2:3], -1
                                        ; implicit-def: $vgpr5
.LBB199_454:
	s_andn2_b64 vcc, exec, s[2:3]
	s_cbranch_vccnz .LBB199_456
; %bb.455:
	global_load_ushort v1, v[3:4], off
	s_movk_i32 s2, 0x7fff
	s_waitcnt vmcnt(0)
	v_cvt_f32_u32_e32 v1, v1
	v_bfe_u32 v5, v1, 16, 1
	v_add3_u32 v1, v1, v5, s2
	v_lshrrev_b32_e32 v5, 16, v1
.LBB199_456:
	s_mov_b64 s[2:3], 0
.LBB199_457:
	s_andn2_b64 vcc, exec, s[2:3]
	s_cbranch_vccnz .LBB199_465
; %bb.458:
	global_load_ubyte v1, v[3:4], off
	s_movk_i32 s2, 0x7f
	s_waitcnt vmcnt(0)
	v_cmp_lt_i16_e32 vcc, s2, v1
	s_mov_b64 s[2:3], 0
	s_and_saveexec_b64 s[6:7], vcc
	s_xor_b64 s[6:7], exec, s[6:7]
	s_cbranch_execz .LBB199_479
; %bb.459:
	s_movk_i32 s2, 0x80
	v_cmp_eq_u16_e32 vcc, s2, v1
	s_mov_b64 s[2:3], -1
	s_and_saveexec_b64 s[52:53], vcc
; %bb.460:
	s_xor_b64 s[2:3], exec, -1
; %bb.461:
	s_or_b64 exec, exec, s[52:53]
	s_and_b64 s[2:3], s[2:3], exec
	s_or_saveexec_b64 s[6:7], s[6:7]
	v_mov_b32_e32 v5, 0x7f800001
	s_xor_b64 exec, exec, s[6:7]
	s_cbranch_execnz .LBB199_480
.LBB199_462:
	s_or_b64 exec, exec, s[6:7]
	s_and_saveexec_b64 s[6:7], s[2:3]
	s_cbranch_execz .LBB199_464
.LBB199_463:
	v_lshlrev_b32_e32 v5, 24, v1
	v_and_b32_e32 v1, 0xffff, v1
	v_and_b32_e32 v6, 7, v1
	v_ffbh_u32_e32 v9, v6
	v_min_u32_e32 v9, 32, v9
	v_subrev_u32_e32 v10, 28, v9
	v_bfe_u32 v7, v1, 3, 4
	v_lshlrev_b32_e32 v1, v10, v1
	v_sub_u32_e32 v9, 29, v9
	v_and_b32_e32 v1, 7, v1
	v_cmp_eq_u32_e32 vcc, 0, v7
	v_cndmask_b32_e32 v7, v7, v9, vcc
	v_cndmask_b32_e32 v1, v6, v1, vcc
	v_mov_b32_e32 v6, 0x3b800000
	v_lshlrev_b32_e32 v1, 20, v1
	v_and_b32_e32 v5, 0x80000000, v5
	v_lshl_add_u32 v6, v7, 23, v6
	v_or3_b32 v5, v5, v6, v1
.LBB199_464:
	s_or_b64 exec, exec, s[6:7]
	v_bfe_u32 v1, v5, 16, 1
	s_movk_i32 s2, 0x7fff
	v_add3_u32 v1, v5, v1, s2
	v_cmp_o_f32_e32 vcc, v5, v5
	v_mov_b32_e32 v5, 0x7fc0
	v_cndmask_b32_sdwa v5, v5, v1, vcc dst_sel:DWORD dst_unused:UNUSED_PAD src0_sel:DWORD src1_sel:WORD_1
.LBB199_465:
	s_mov_b64 s[2:3], -1
.LBB199_466:
	s_mov_b64 s[6:7], 0
.LBB199_467:
	s_and_b64 vcc, exec, s[6:7]
	s_cbranch_vccz .LBB199_502
; %bb.468:
	s_cmp_gt_i32 s54, 22
	s_cbranch_scc0 .LBB199_478
; %bb.469:
	s_cmp_lt_i32 s54, 24
	s_cbranch_scc1 .LBB199_481
; %bb.470:
	s_cmp_gt_i32 s54, 24
	s_cbranch_scc0 .LBB199_482
; %bb.471:
	global_load_ubyte v1, v[3:4], off
	s_movk_i32 s2, 0x7f
	s_waitcnt vmcnt(0)
	v_cmp_lt_i16_e32 vcc, s2, v1
	s_mov_b64 s[2:3], 0
	s_and_saveexec_b64 s[6:7], vcc
	s_xor_b64 s[6:7], exec, s[6:7]
	s_cbranch_execz .LBB199_494
; %bb.472:
	s_movk_i32 s2, 0x80
	v_cmp_eq_u16_e32 vcc, s2, v1
	s_mov_b64 s[2:3], -1
	s_and_saveexec_b64 s[52:53], vcc
; %bb.473:
	s_xor_b64 s[2:3], exec, -1
; %bb.474:
	s_or_b64 exec, exec, s[52:53]
	s_and_b64 s[2:3], s[2:3], exec
	s_or_saveexec_b64 s[6:7], s[6:7]
	v_mov_b32_e32 v5, 0x7f800001
	s_xor_b64 exec, exec, s[6:7]
	s_cbranch_execnz .LBB199_495
.LBB199_475:
	s_or_b64 exec, exec, s[6:7]
	s_and_saveexec_b64 s[6:7], s[2:3]
	s_cbranch_execz .LBB199_477
.LBB199_476:
	v_lshlrev_b32_e32 v5, 24, v1
	v_and_b32_e32 v1, 0xffff, v1
	v_and_b32_e32 v6, 3, v1
	v_ffbh_u32_e32 v9, v6
	v_min_u32_e32 v9, 32, v9
	v_subrev_u32_e32 v10, 29, v9
	v_bfe_u32 v7, v1, 2, 5
	v_lshlrev_b32_e32 v1, v10, v1
	v_sub_u32_e32 v9, 30, v9
	v_and_b32_e32 v1, 3, v1
	v_cmp_eq_u32_e32 vcc, 0, v7
	v_cndmask_b32_e32 v7, v7, v9, vcc
	v_cndmask_b32_e32 v1, v6, v1, vcc
	v_mov_b32_e32 v6, 0x37800000
	v_lshlrev_b32_e32 v1, 21, v1
	v_and_b32_e32 v5, 0x80000000, v5
	v_lshl_add_u32 v6, v7, 23, v6
	v_or3_b32 v5, v5, v6, v1
.LBB199_477:
	s_or_b64 exec, exec, s[6:7]
	v_bfe_u32 v1, v5, 16, 1
	s_movk_i32 s2, 0x7fff
	v_add3_u32 v1, v5, v1, s2
	v_cmp_o_f32_e32 vcc, v5, v5
	v_mov_b32_e32 v5, 0x7fc0
	v_cndmask_b32_sdwa v5, v5, v1, vcc dst_sel:DWORD dst_unused:UNUSED_PAD src0_sel:DWORD src1_sel:WORD_1
	s_mov_b64 s[2:3], 0
	s_branch .LBB199_483
.LBB199_478:
	s_mov_b64 s[6:7], -1
                                        ; implicit-def: $vgpr5
	s_branch .LBB199_489
.LBB199_479:
	s_or_saveexec_b64 s[6:7], s[6:7]
	v_mov_b32_e32 v5, 0x7f800001
	s_xor_b64 exec, exec, s[6:7]
	s_cbranch_execz .LBB199_462
.LBB199_480:
	v_cmp_ne_u16_e32 vcc, 0, v1
	s_andn2_b64 s[2:3], s[2:3], exec
	s_and_b64 s[52:53], vcc, exec
	v_mov_b32_e32 v5, 0
	s_or_b64 s[2:3], s[2:3], s[52:53]
	s_or_b64 exec, exec, s[6:7]
	s_and_saveexec_b64 s[6:7], s[2:3]
	s_cbranch_execnz .LBB199_463
	s_branch .LBB199_464
.LBB199_481:
	s_mov_b64 s[2:3], -1
                                        ; implicit-def: $vgpr5
	s_branch .LBB199_486
.LBB199_482:
	s_mov_b64 s[2:3], -1
                                        ; implicit-def: $vgpr5
.LBB199_483:
	s_and_b64 vcc, exec, s[2:3]
	s_cbranch_vccz .LBB199_485
; %bb.484:
	global_load_ubyte v1, v[3:4], off
	s_mov_b32 s2, 0x7f800000
	s_brev_b32 s3, 1
	s_movk_i32 s6, 0x7fff
	s_waitcnt vmcnt(0)
	v_lshlrev_b32_e32 v1, 24, v1
	v_and_b32_e32 v5, 0x7f000000, v1
	v_ffbh_u32_e32 v6, v5
	v_min_u32_e32 v6, 32, v6
	v_sub_u32_e64 v6, v6, 4 clamp
	v_lshlrev_b32_e32 v9, v6, v5
	v_lshlrev_b32_e32 v6, 23, v6
	v_lshrrev_b32_e32 v9, 4, v9
	v_add_u32_e32 v7, 0x1000000, v5
	v_sub_u32_e32 v6, v9, v6
	v_ashrrev_i32_e32 v7, 8, v7
	v_add_u32_e32 v6, 0x3c000000, v6
	v_and_or_b32 v6, v7, s2, v6
	v_cmp_ne_u32_e32 vcc, 0, v5
	v_cndmask_b32_e32 v5, 0, v6, vcc
	v_and_or_b32 v1, v1, s3, v5
	v_bfe_u32 v5, v5, 16, 1
	v_add3_u32 v5, v1, v5, s6
	v_cmp_o_f32_e32 vcc, v1, v1
	v_mov_b32_e32 v1, 0x7fc0
	v_cndmask_b32_sdwa v5, v1, v5, vcc dst_sel:DWORD dst_unused:UNUSED_PAD src0_sel:DWORD src1_sel:WORD_1
.LBB199_485:
	s_mov_b64 s[2:3], 0
.LBB199_486:
	s_andn2_b64 vcc, exec, s[2:3]
	s_cbranch_vccnz .LBB199_488
; %bb.487:
	global_load_ubyte v1, v[3:4], off
	s_movk_i32 s2, 0x7f00
	s_brev_b32 s3, 16
	s_brev_b32 s6, 1
	s_movk_i32 s7, 0x7fff
	s_waitcnt vmcnt(0)
	v_lshlrev_b16_e32 v5, 8, v1
	v_lshlrev_b32_e32 v1, 25, v1
	v_lshrrev_b32_e32 v6, 4, v1
	v_and_or_b32 v7, v5, s2, 0.5
	v_or_b32_e32 v6, 0x70000000, v6
	v_add_f32_e32 v7, -0.5, v7
	v_mul_f32_e32 v6, 0x7800000, v6
	v_cmp_gt_u32_e32 vcc, s3, v1
	v_bfe_i32 v5, v5, 0, 16
	v_cndmask_b32_e32 v1, v6, v7, vcc
	v_and_or_b32 v5, v5, s6, v1
	v_bfe_u32 v1, v1, 16, 1
	v_add3_u32 v1, v5, v1, s7
	v_cmp_o_f32_e32 vcc, v5, v5
	v_mov_b32_e32 v5, 0x7fc0
	v_cndmask_b32_sdwa v5, v5, v1, vcc dst_sel:DWORD dst_unused:UNUSED_PAD src0_sel:DWORD src1_sel:WORD_1
.LBB199_488:
	s_mov_b64 s[6:7], 0
	s_mov_b64 s[2:3], -1
.LBB199_489:
	s_andn2_b64 vcc, exec, s[6:7]
	s_cbranch_vccnz .LBB199_502
; %bb.490:
	s_cmp_gt_i32 s54, 14
	s_cbranch_scc0 .LBB199_493
; %bb.491:
	s_cmp_eq_u32 s54, 15
	s_cbranch_scc0 .LBB199_496
; %bb.492:
	global_load_ushort v5, v[3:4], off
	s_mov_b64 s[2:3], -1
	s_mov_b64 s[50:51], 0
	s_branch .LBB199_497
.LBB199_493:
	s_mov_b64 s[6:7], -1
                                        ; implicit-def: $vgpr5
	s_branch .LBB199_498
.LBB199_494:
	s_or_saveexec_b64 s[6:7], s[6:7]
	v_mov_b32_e32 v5, 0x7f800001
	s_xor_b64 exec, exec, s[6:7]
	s_cbranch_execz .LBB199_475
.LBB199_495:
	v_cmp_ne_u16_e32 vcc, 0, v1
	s_andn2_b64 s[2:3], s[2:3], exec
	s_and_b64 s[52:53], vcc, exec
	v_mov_b32_e32 v5, 0
	s_or_b64 s[2:3], s[2:3], s[52:53]
	s_or_b64 exec, exec, s[6:7]
	s_and_saveexec_b64 s[6:7], s[2:3]
	s_cbranch_execnz .LBB199_476
	s_branch .LBB199_477
.LBB199_496:
	s_mov_b64 s[50:51], -1
                                        ; implicit-def: $vgpr5
.LBB199_497:
	s_mov_b64 s[6:7], 0
.LBB199_498:
	s_and_b64 vcc, exec, s[6:7]
	s_cbranch_vccz .LBB199_502
; %bb.499:
	s_cmp_eq_u32 s54, 11
	s_cbranch_scc0 .LBB199_501
; %bb.500:
	global_load_ubyte v1, v[3:4], off
	s_mov_b64 s[2:3], -1
	s_mov_b64 s[50:51], 0
	s_waitcnt vmcnt(0)
	v_cmp_ne_u16_e32 vcc, 0, v1
	v_cndmask_b32_e64 v1, 0, 1.0, vcc
	v_lshrrev_b32_e32 v5, 16, v1
	s_branch .LBB199_502
.LBB199_501:
	s_mov_b64 s[50:51], -1
                                        ; implicit-def: $vgpr5
.LBB199_502:
	s_branch .LBB199_418
.LBB199_503:
	s_and_b32 s6, 0xffff, s14
	s_cmp_lt_i32 s6, 5
	s_cbranch_scc1 .LBB199_508
; %bb.504:
	s_cmp_lt_i32 s6, 8
	s_cbranch_scc1 .LBB199_509
; %bb.505:
	;; [unrolled: 3-line block ×3, first 2 shown]
	s_cmp_gt_i32 s6, 9
	s_cbranch_scc0 .LBB199_511
; %bb.507:
	global_load_dwordx2 v[5:6], v[3:4], off
	s_movk_i32 s2, 0x7fff
	s_waitcnt vmcnt(0)
	v_cvt_f32_f64_e32 v1, v[5:6]
	v_mov_b32_e32 v5, 0x7fc0
	v_bfe_u32 v6, v1, 16, 1
	v_cmp_o_f32_e32 vcc, v1, v1
	v_add3_u32 v1, v1, v6, s2
	v_cndmask_b32_sdwa v5, v5, v1, vcc dst_sel:DWORD dst_unused:UNUSED_PAD src0_sel:DWORD src1_sel:WORD_1
	s_mov_b64 s[2:3], 0
	s_branch .LBB199_512
.LBB199_508:
	s_mov_b64 s[2:3], -1
                                        ; implicit-def: $vgpr5
	s_branch .LBB199_530
.LBB199_509:
	s_mov_b64 s[2:3], -1
                                        ; implicit-def: $vgpr5
	s_branch .LBB199_518
.LBB199_510:
	s_mov_b64 s[2:3], -1
                                        ; implicit-def: $vgpr5
	s_branch .LBB199_515
.LBB199_511:
	s_mov_b64 s[2:3], -1
                                        ; implicit-def: $vgpr5
.LBB199_512:
	s_andn2_b64 vcc, exec, s[2:3]
	s_cbranch_vccnz .LBB199_514
; %bb.513:
	global_load_dword v1, v[3:4], off
	s_movk_i32 s2, 0x7fff
	s_waitcnt vmcnt(1)
	v_mov_b32_e32 v5, 0x7fc0
	s_waitcnt vmcnt(0)
	v_bfe_u32 v6, v1, 16, 1
	v_cmp_o_f32_e32 vcc, v1, v1
	v_add3_u32 v1, v1, v6, s2
	v_cndmask_b32_sdwa v5, v5, v1, vcc dst_sel:DWORD dst_unused:UNUSED_PAD src0_sel:DWORD src1_sel:WORD_1
.LBB199_514:
	s_mov_b64 s[2:3], 0
.LBB199_515:
	s_andn2_b64 vcc, exec, s[2:3]
	s_cbranch_vccnz .LBB199_517
; %bb.516:
	global_load_dword v1, v[3:4], off
	s_movk_i32 s2, 0x7fff
	v_mov_b32_e32 v6, 0x7fc0
	s_waitcnt vmcnt(0)
	v_cvt_f32_f16_e32 v5, v1
	v_cmp_o_f16_e32 vcc, v1, v1
	v_bfe_u32 v1, v5, 16, 1
	v_add3_u32 v1, v5, v1, s2
	v_cndmask_b32_sdwa v5, v6, v1, vcc dst_sel:DWORD dst_unused:UNUSED_PAD src0_sel:DWORD src1_sel:WORD_1
.LBB199_517:
	s_mov_b64 s[2:3], 0
.LBB199_518:
	s_andn2_b64 vcc, exec, s[2:3]
	s_cbranch_vccnz .LBB199_529
; %bb.519:
	s_cmp_lt_i32 s6, 6
	s_cbranch_scc1 .LBB199_522
; %bb.520:
	s_cmp_gt_i32 s6, 6
	s_cbranch_scc0 .LBB199_523
; %bb.521:
	global_load_dwordx2 v[5:6], v[3:4], off
	s_movk_i32 s2, 0x7fff
	s_waitcnt vmcnt(0)
	v_cvt_f32_f64_e32 v1, v[5:6]
	v_mov_b32_e32 v5, 0x7fc0
	v_bfe_u32 v6, v1, 16, 1
	v_cmp_o_f32_e32 vcc, v1, v1
	v_add3_u32 v1, v1, v6, s2
	v_cndmask_b32_sdwa v5, v5, v1, vcc dst_sel:DWORD dst_unused:UNUSED_PAD src0_sel:DWORD src1_sel:WORD_1
	s_mov_b64 s[2:3], 0
	s_branch .LBB199_524
.LBB199_522:
	s_mov_b64 s[2:3], -1
                                        ; implicit-def: $vgpr5
	s_branch .LBB199_527
.LBB199_523:
	s_mov_b64 s[2:3], -1
                                        ; implicit-def: $vgpr5
.LBB199_524:
	s_andn2_b64 vcc, exec, s[2:3]
	s_cbranch_vccnz .LBB199_526
; %bb.525:
	global_load_dword v1, v[3:4], off
	s_movk_i32 s2, 0x7fff
	s_waitcnt vmcnt(1)
	v_mov_b32_e32 v5, 0x7fc0
	s_waitcnt vmcnt(0)
	v_bfe_u32 v6, v1, 16, 1
	v_cmp_o_f32_e32 vcc, v1, v1
	v_add3_u32 v1, v1, v6, s2
	v_cndmask_b32_sdwa v5, v5, v1, vcc dst_sel:DWORD dst_unused:UNUSED_PAD src0_sel:DWORD src1_sel:WORD_1
.LBB199_526:
	s_mov_b64 s[2:3], 0
.LBB199_527:
	s_andn2_b64 vcc, exec, s[2:3]
	s_cbranch_vccnz .LBB199_529
; %bb.528:
	global_load_ushort v1, v[3:4], off
	s_movk_i32 s2, 0x7fff
	v_mov_b32_e32 v6, 0x7fc0
	s_waitcnt vmcnt(0)
	v_cvt_f32_f16_e32 v5, v1
	v_cmp_o_f16_e32 vcc, v1, v1
	v_bfe_u32 v1, v5, 16, 1
	v_add3_u32 v1, v5, v1, s2
	v_cndmask_b32_sdwa v5, v6, v1, vcc dst_sel:DWORD dst_unused:UNUSED_PAD src0_sel:DWORD src1_sel:WORD_1
.LBB199_529:
	s_mov_b64 s[2:3], 0
.LBB199_530:
	s_andn2_b64 vcc, exec, s[2:3]
	s_cbranch_vccnz .LBB199_550
; %bb.531:
	s_cmp_lt_i32 s6, 2
	s_cbranch_scc1 .LBB199_535
; %bb.532:
	s_cmp_lt_i32 s6, 3
	s_cbranch_scc1 .LBB199_536
; %bb.533:
	s_cmp_gt_i32 s6, 3
	s_cbranch_scc0 .LBB199_537
; %bb.534:
	global_load_dwordx2 v[5:6], v[3:4], off
	s_movk_i32 s2, 0x7fff
	s_waitcnt vmcnt(0)
	v_xor_b32_e32 v7, v5, v6
	v_ffbh_i32_e32 v1, v6
	v_ashrrev_i32_e32 v7, 31, v7
	v_add_u32_e32 v1, -1, v1
	v_add_u32_e32 v7, 32, v7
	v_min_u32_e32 v1, v1, v7
	v_lshlrev_b64 v[5:6], v1, v[5:6]
	v_sub_u32_e32 v1, 32, v1
	v_min_u32_e32 v5, 1, v5
	v_or_b32_e32 v5, v6, v5
	v_cvt_f32_i32_e32 v5, v5
	v_ldexp_f32 v1, v5, v1
	v_bfe_u32 v5, v1, 16, 1
	v_add3_u32 v1, v1, v5, s2
	v_lshrrev_b32_e32 v5, 16, v1
	s_mov_b64 s[2:3], 0
	s_branch .LBB199_538
.LBB199_535:
	s_mov_b64 s[2:3], -1
                                        ; implicit-def: $vgpr5
	s_branch .LBB199_544
.LBB199_536:
	s_mov_b64 s[2:3], -1
                                        ; implicit-def: $vgpr5
	s_branch .LBB199_541
.LBB199_537:
	s_mov_b64 s[2:3], -1
                                        ; implicit-def: $vgpr5
.LBB199_538:
	s_andn2_b64 vcc, exec, s[2:3]
	s_cbranch_vccnz .LBB199_540
; %bb.539:
	global_load_dword v1, v[3:4], off
	s_movk_i32 s2, 0x7fff
	s_waitcnt vmcnt(0)
	v_cvt_f32_i32_e32 v1, v1
	v_bfe_u32 v5, v1, 16, 1
	v_add3_u32 v1, v1, v5, s2
	v_lshrrev_b32_e32 v5, 16, v1
.LBB199_540:
	s_mov_b64 s[2:3], 0
.LBB199_541:
	s_andn2_b64 vcc, exec, s[2:3]
	s_cbranch_vccnz .LBB199_543
; %bb.542:
	global_load_sshort v1, v[3:4], off
	s_movk_i32 s2, 0x7fff
	s_waitcnt vmcnt(0)
	v_cvt_f32_i32_e32 v1, v1
	v_bfe_u32 v5, v1, 16, 1
	v_add3_u32 v1, v1, v5, s2
	v_lshrrev_b32_e32 v5, 16, v1
.LBB199_543:
	s_mov_b64 s[2:3], 0
.LBB199_544:
	s_andn2_b64 vcc, exec, s[2:3]
	s_cbranch_vccnz .LBB199_550
; %bb.545:
	s_cmp_gt_i32 s6, 0
	s_cbranch_scc0 .LBB199_547
; %bb.546:
	global_load_sbyte v1, v[3:4], off
	s_movk_i32 s2, 0x7fff
	s_waitcnt vmcnt(0)
	v_cvt_f32_i32_e32 v1, v1
	v_bfe_u32 v5, v1, 16, 1
	v_add3_u32 v1, v1, v5, s2
	v_lshrrev_b32_e32 v5, 16, v1
	s_mov_b64 s[2:3], 0
	s_branch .LBB199_548
.LBB199_547:
	s_mov_b64 s[2:3], -1
                                        ; implicit-def: $vgpr5
.LBB199_548:
	s_andn2_b64 vcc, exec, s[2:3]
	s_cbranch_vccnz .LBB199_550
; %bb.549:
	global_load_ubyte v1, v[3:4], off
	s_movk_i32 s2, 0x7fff
	s_waitcnt vmcnt(0)
	v_cvt_f32_ubyte0_e32 v1, v1
	v_bfe_u32 v3, v1, 16, 1
	v_add3_u32 v1, v1, v3, s2
	v_lshrrev_b32_e32 v5, 16, v1
.LBB199_550:
	s_branch .LBB199_419
.LBB199_551:
	s_mov_b64 s[2:3], 0
	s_mov_b64 s[6:7], s[42:43]
	s_mov_b64 s[52:53], s[44:45]
.LBB199_552:
                                        ; implicit-def: $vgpr8
	s_branch .LBB199_794
.LBB199_553:
	s_andn2_saveexec_b64 s[54:55], s[54:55]
	s_cbranch_execz .LBB199_204
.LBB199_554:
	v_add_f32_e32 v2, 0x42800000, v3
	v_and_b32_e32 v2, 0xff, v2
	v_cmp_ne_u32_e32 vcc, 0, v2
	s_andn2_b64 s[50:51], s[50:51], exec
	s_and_b64 s[58:59], vcc, exec
	s_or_b64 s[50:51], s[50:51], s[58:59]
	s_or_b64 exec, exec, s[54:55]
	v_mov_b32_e32 v4, 0
	s_and_saveexec_b64 s[54:55], s[50:51]
	s_cbranch_execnz .LBB199_205
	s_branch .LBB199_206
.LBB199_555:
	s_mov_b64 s[52:53], -1
                                        ; implicit-def: $vgpr3
	s_mov_b64 s[2:3], 0
.LBB199_556:
	s_and_b64 vcc, exec, s[6:7]
	s_cbranch_vccz .LBB199_560
; %bb.557:
	s_cmp_eq_u32 s58, 44
	s_cbranch_scc0 .LBB199_559
; %bb.558:
	global_load_ubyte v3, v[1:2], off
	s_movk_i32 s6, 0xff
	v_mov_b32_e32 v4, 0x7f800001
	v_mov_b32_e32 v6, 0x400000
	;; [unrolled: 1-line block ×3, first 2 shown]
	s_mov_b64 s[2:3], -1
	s_mov_b64 s[52:53], 0
	s_waitcnt vmcnt(0)
	v_lshlrev_b32_e32 v9, 23, v3
	v_cmp_ne_u32_e32 vcc, s6, v3
	v_cndmask_b32_e32 v4, v4, v9, vcc
	v_cmp_ne_u32_e32 vcc, 0, v3
	v_cndmask_b32_e32 v3, v6, v4, vcc
	v_add_u32_e32 v4, 0x7fff, v3
	v_cmp_o_f32_e32 vcc, v3, v3
	v_cndmask_b32_sdwa v3, v7, v4, vcc dst_sel:DWORD dst_unused:UNUSED_PAD src0_sel:DWORD src1_sel:WORD_1
	s_branch .LBB199_560
.LBB199_559:
	s_mov_b64 s[52:53], -1
                                        ; implicit-def: $vgpr3
.LBB199_560:
	s_mov_b64 s[6:7], 0
.LBB199_561:
	s_and_b64 vcc, exec, s[6:7]
	s_cbranch_vccz .LBB199_565
; %bb.562:
	s_cmp_eq_u32 s58, 29
	s_cbranch_scc0 .LBB199_564
; %bb.563:
	global_load_dwordx2 v[3:4], v[1:2], off
	s_movk_i32 s6, 0x7fff
	s_mov_b64 s[2:3], -1
	s_mov_b64 s[52:53], 0
	s_waitcnt vmcnt(0)
	v_ffbh_u32_e32 v6, v4
	v_min_u32_e32 v6, 32, v6
	v_lshlrev_b64 v[3:4], v6, v[3:4]
	v_min_u32_e32 v3, 1, v3
	v_or_b32_e32 v3, v4, v3
	v_cvt_f32_u32_e32 v3, v3
	v_sub_u32_e32 v4, 32, v6
	v_ldexp_f32 v3, v3, v4
	v_bfe_u32 v4, v3, 16, 1
	v_add3_u32 v3, v3, v4, s6
	v_lshrrev_b32_e32 v3, 16, v3
	s_branch .LBB199_565
.LBB199_564:
	s_mov_b64 s[52:53], -1
                                        ; implicit-def: $vgpr3
.LBB199_565:
	s_mov_b64 s[6:7], 0
.LBB199_566:
	s_and_b64 vcc, exec, s[6:7]
	s_cbranch_vccz .LBB199_584
; %bb.567:
	s_cmp_lt_i32 s58, 27
	s_cbranch_scc1 .LBB199_570
; %bb.568:
	s_cmp_gt_i32 s58, 27
	s_cbranch_scc0 .LBB199_571
; %bb.569:
	global_load_dword v3, v[1:2], off
	s_movk_i32 s2, 0x7fff
	s_waitcnt vmcnt(0)
	v_cvt_f32_u32_e32 v3, v3
	v_bfe_u32 v4, v3, 16, 1
	v_add3_u32 v3, v3, v4, s2
	v_lshrrev_b32_e32 v3, 16, v3
	s_mov_b64 s[2:3], 0
	s_branch .LBB199_572
.LBB199_570:
	s_mov_b64 s[2:3], -1
                                        ; implicit-def: $vgpr3
	s_branch .LBB199_575
.LBB199_571:
	s_mov_b64 s[2:3], -1
                                        ; implicit-def: $vgpr3
.LBB199_572:
	s_andn2_b64 vcc, exec, s[2:3]
	s_cbranch_vccnz .LBB199_574
; %bb.573:
	global_load_ushort v3, v[1:2], off
	s_movk_i32 s2, 0x7fff
	s_waitcnt vmcnt(0)
	v_cvt_f32_u32_e32 v3, v3
	v_bfe_u32 v4, v3, 16, 1
	v_add3_u32 v3, v3, v4, s2
	v_lshrrev_b32_e32 v3, 16, v3
.LBB199_574:
	s_mov_b64 s[2:3], 0
.LBB199_575:
	s_andn2_b64 vcc, exec, s[2:3]
	s_cbranch_vccnz .LBB199_583
; %bb.576:
	global_load_ubyte v3, v[1:2], off
	s_movk_i32 s2, 0x7f
	s_waitcnt vmcnt(0)
	v_cmp_lt_i16_e32 vcc, s2, v3
	s_mov_b64 s[2:3], 0
	s_and_saveexec_b64 s[6:7], vcc
	s_xor_b64 s[6:7], exec, s[6:7]
	s_cbranch_execz .LBB199_597
; %bb.577:
	s_movk_i32 s2, 0x80
	v_cmp_eq_u16_e32 vcc, s2, v3
	s_mov_b64 s[2:3], -1
	s_and_saveexec_b64 s[54:55], vcc
; %bb.578:
	s_xor_b64 s[2:3], exec, -1
; %bb.579:
	s_or_b64 exec, exec, s[54:55]
	s_and_b64 s[2:3], s[2:3], exec
	s_or_saveexec_b64 s[6:7], s[6:7]
	v_mov_b32_e32 v4, 0x7f800001
	s_xor_b64 exec, exec, s[6:7]
	s_cbranch_execnz .LBB199_598
.LBB199_580:
	s_or_b64 exec, exec, s[6:7]
	s_and_saveexec_b64 s[6:7], s[2:3]
	s_cbranch_execz .LBB199_582
.LBB199_581:
	v_lshlrev_b32_e32 v4, 24, v3
	v_and_b32_e32 v3, 0xffff, v3
	v_and_b32_e32 v6, 7, v3
	v_ffbh_u32_e32 v9, v6
	v_min_u32_e32 v9, 32, v9
	v_subrev_u32_e32 v10, 28, v9
	v_bfe_u32 v7, v3, 3, 4
	v_lshlrev_b32_e32 v3, v10, v3
	v_sub_u32_e32 v9, 29, v9
	v_and_b32_e32 v3, 7, v3
	v_cmp_eq_u32_e32 vcc, 0, v7
	v_cndmask_b32_e32 v7, v7, v9, vcc
	v_cndmask_b32_e32 v3, v6, v3, vcc
	v_mov_b32_e32 v6, 0x3b800000
	v_lshlrev_b32_e32 v3, 20, v3
	v_and_b32_e32 v4, 0x80000000, v4
	v_lshl_add_u32 v6, v7, 23, v6
	v_or3_b32 v4, v4, v6, v3
.LBB199_582:
	s_or_b64 exec, exec, s[6:7]
	v_bfe_u32 v3, v4, 16, 1
	s_movk_i32 s2, 0x7fff
	v_add3_u32 v3, v4, v3, s2
	v_cmp_o_f32_e32 vcc, v4, v4
	v_mov_b32_e32 v4, 0x7fc0
	v_cndmask_b32_sdwa v3, v4, v3, vcc dst_sel:DWORD dst_unused:UNUSED_PAD src0_sel:DWORD src1_sel:WORD_1
.LBB199_583:
	s_mov_b64 s[2:3], -1
.LBB199_584:
	s_mov_b64 s[6:7], 0
.LBB199_585:
	s_and_b64 vcc, exec, s[6:7]
	s_cbranch_vccz .LBB199_620
; %bb.586:
	s_cmp_gt_i32 s58, 22
	s_cbranch_scc0 .LBB199_596
; %bb.587:
	s_cmp_lt_i32 s58, 24
	s_cbranch_scc1 .LBB199_599
; %bb.588:
	s_cmp_gt_i32 s58, 24
	s_cbranch_scc0 .LBB199_600
; %bb.589:
	global_load_ubyte v3, v[1:2], off
	s_movk_i32 s2, 0x7f
	s_waitcnt vmcnt(0)
	v_cmp_lt_i16_e32 vcc, s2, v3
	s_mov_b64 s[2:3], 0
	s_and_saveexec_b64 s[6:7], vcc
	s_xor_b64 s[6:7], exec, s[6:7]
	s_cbranch_execz .LBB199_612
; %bb.590:
	s_movk_i32 s2, 0x80
	v_cmp_eq_u16_e32 vcc, s2, v3
	s_mov_b64 s[2:3], -1
	s_and_saveexec_b64 s[54:55], vcc
; %bb.591:
	s_xor_b64 s[2:3], exec, -1
; %bb.592:
	s_or_b64 exec, exec, s[54:55]
	s_and_b64 s[2:3], s[2:3], exec
	s_or_saveexec_b64 s[6:7], s[6:7]
	v_mov_b32_e32 v4, 0x7f800001
	s_xor_b64 exec, exec, s[6:7]
	s_cbranch_execnz .LBB199_613
.LBB199_593:
	s_or_b64 exec, exec, s[6:7]
	s_and_saveexec_b64 s[6:7], s[2:3]
	s_cbranch_execz .LBB199_595
.LBB199_594:
	v_lshlrev_b32_e32 v4, 24, v3
	v_and_b32_e32 v3, 0xffff, v3
	v_and_b32_e32 v6, 3, v3
	v_ffbh_u32_e32 v9, v6
	v_min_u32_e32 v9, 32, v9
	v_subrev_u32_e32 v10, 29, v9
	v_bfe_u32 v7, v3, 2, 5
	v_lshlrev_b32_e32 v3, v10, v3
	v_sub_u32_e32 v9, 30, v9
	v_and_b32_e32 v3, 3, v3
	v_cmp_eq_u32_e32 vcc, 0, v7
	v_cndmask_b32_e32 v7, v7, v9, vcc
	v_cndmask_b32_e32 v3, v6, v3, vcc
	v_mov_b32_e32 v6, 0x37800000
	v_lshlrev_b32_e32 v3, 21, v3
	v_and_b32_e32 v4, 0x80000000, v4
	v_lshl_add_u32 v6, v7, 23, v6
	v_or3_b32 v4, v4, v6, v3
.LBB199_595:
	s_or_b64 exec, exec, s[6:7]
	v_bfe_u32 v3, v4, 16, 1
	s_movk_i32 s2, 0x7fff
	v_add3_u32 v3, v4, v3, s2
	v_cmp_o_f32_e32 vcc, v4, v4
	v_mov_b32_e32 v4, 0x7fc0
	v_cndmask_b32_sdwa v3, v4, v3, vcc dst_sel:DWORD dst_unused:UNUSED_PAD src0_sel:DWORD src1_sel:WORD_1
	s_mov_b64 s[2:3], 0
	s_branch .LBB199_601
.LBB199_596:
	s_mov_b64 s[6:7], -1
                                        ; implicit-def: $vgpr3
	s_branch .LBB199_607
.LBB199_597:
	s_or_saveexec_b64 s[6:7], s[6:7]
	v_mov_b32_e32 v4, 0x7f800001
	s_xor_b64 exec, exec, s[6:7]
	s_cbranch_execz .LBB199_580
.LBB199_598:
	v_cmp_ne_u16_e32 vcc, 0, v3
	s_andn2_b64 s[2:3], s[2:3], exec
	s_and_b64 s[54:55], vcc, exec
	v_mov_b32_e32 v4, 0
	s_or_b64 s[2:3], s[2:3], s[54:55]
	s_or_b64 exec, exec, s[6:7]
	s_and_saveexec_b64 s[6:7], s[2:3]
	s_cbranch_execnz .LBB199_581
	s_branch .LBB199_582
.LBB199_599:
	s_mov_b64 s[2:3], -1
                                        ; implicit-def: $vgpr3
	s_branch .LBB199_604
.LBB199_600:
	s_mov_b64 s[2:3], -1
                                        ; implicit-def: $vgpr3
.LBB199_601:
	s_and_b64 vcc, exec, s[2:3]
	s_cbranch_vccz .LBB199_603
; %bb.602:
	global_load_ubyte v3, v[1:2], off
	s_mov_b32 s2, 0x7f800000
	s_brev_b32 s3, 1
	s_movk_i32 s6, 0x7fff
	s_waitcnt vmcnt(0)
	v_lshlrev_b32_e32 v3, 24, v3
	v_and_b32_e32 v4, 0x7f000000, v3
	v_ffbh_u32_e32 v6, v4
	v_min_u32_e32 v6, 32, v6
	v_sub_u32_e64 v6, v6, 4 clamp
	v_lshlrev_b32_e32 v9, v6, v4
	v_lshlrev_b32_e32 v6, 23, v6
	v_lshrrev_b32_e32 v9, 4, v9
	v_add_u32_e32 v7, 0x1000000, v4
	v_sub_u32_e32 v6, v9, v6
	v_ashrrev_i32_e32 v7, 8, v7
	v_add_u32_e32 v6, 0x3c000000, v6
	v_and_or_b32 v6, v7, s2, v6
	v_cmp_ne_u32_e32 vcc, 0, v4
	v_cndmask_b32_e32 v4, 0, v6, vcc
	v_and_or_b32 v3, v3, s3, v4
	v_bfe_u32 v4, v4, 16, 1
	v_add3_u32 v4, v3, v4, s6
	v_cmp_o_f32_e32 vcc, v3, v3
	v_mov_b32_e32 v3, 0x7fc0
	v_cndmask_b32_sdwa v3, v3, v4, vcc dst_sel:DWORD dst_unused:UNUSED_PAD src0_sel:DWORD src1_sel:WORD_1
.LBB199_603:
	s_mov_b64 s[2:3], 0
.LBB199_604:
	s_andn2_b64 vcc, exec, s[2:3]
	s_cbranch_vccnz .LBB199_606
; %bb.605:
	global_load_ubyte v3, v[1:2], off
	s_movk_i32 s2, 0x7f00
	s_brev_b32 s3, 16
	s_brev_b32 s6, 1
	s_movk_i32 s7, 0x7fff
	s_waitcnt vmcnt(0)
	v_lshlrev_b16_e32 v4, 8, v3
	v_lshlrev_b32_e32 v3, 25, v3
	v_lshrrev_b32_e32 v6, 4, v3
	v_and_or_b32 v7, v4, s2, 0.5
	v_or_b32_e32 v6, 0x70000000, v6
	v_add_f32_e32 v7, -0.5, v7
	v_mul_f32_e32 v6, 0x7800000, v6
	v_cmp_gt_u32_e32 vcc, s3, v3
	v_bfe_i32 v4, v4, 0, 16
	v_cndmask_b32_e32 v3, v6, v7, vcc
	v_and_or_b32 v4, v4, s6, v3
	v_bfe_u32 v3, v3, 16, 1
	v_add3_u32 v3, v4, v3, s7
	v_cmp_o_f32_e32 vcc, v4, v4
	v_mov_b32_e32 v4, 0x7fc0
	v_cndmask_b32_sdwa v3, v4, v3, vcc dst_sel:DWORD dst_unused:UNUSED_PAD src0_sel:DWORD src1_sel:WORD_1
.LBB199_606:
	s_mov_b64 s[6:7], 0
	s_mov_b64 s[2:3], -1
.LBB199_607:
	s_andn2_b64 vcc, exec, s[6:7]
	s_cbranch_vccnz .LBB199_620
; %bb.608:
	s_cmp_gt_i32 s58, 14
	s_cbranch_scc0 .LBB199_611
; %bb.609:
	s_cmp_eq_u32 s58, 15
	s_cbranch_scc0 .LBB199_614
; %bb.610:
	global_load_ushort v3, v[1:2], off
	s_mov_b64 s[2:3], -1
	s_mov_b64 s[52:53], 0
	s_branch .LBB199_615
.LBB199_611:
	s_mov_b64 s[6:7], -1
                                        ; implicit-def: $vgpr3
	s_branch .LBB199_616
.LBB199_612:
	s_or_saveexec_b64 s[6:7], s[6:7]
	v_mov_b32_e32 v4, 0x7f800001
	s_xor_b64 exec, exec, s[6:7]
	s_cbranch_execz .LBB199_593
.LBB199_613:
	v_cmp_ne_u16_e32 vcc, 0, v3
	s_andn2_b64 s[2:3], s[2:3], exec
	s_and_b64 s[54:55], vcc, exec
	v_mov_b32_e32 v4, 0
	s_or_b64 s[2:3], s[2:3], s[54:55]
	s_or_b64 exec, exec, s[6:7]
	s_and_saveexec_b64 s[6:7], s[2:3]
	s_cbranch_execnz .LBB199_594
	s_branch .LBB199_595
.LBB199_614:
	s_mov_b64 s[52:53], -1
                                        ; implicit-def: $vgpr3
.LBB199_615:
	s_mov_b64 s[6:7], 0
.LBB199_616:
	s_and_b64 vcc, exec, s[6:7]
	s_cbranch_vccz .LBB199_620
; %bb.617:
	s_cmp_eq_u32 s58, 11
	s_cbranch_scc0 .LBB199_619
; %bb.618:
	global_load_ubyte v3, v[1:2], off
	s_mov_b64 s[2:3], -1
	s_mov_b64 s[52:53], 0
	s_waitcnt vmcnt(0)
	v_cmp_ne_u16_e32 vcc, 0, v3
	v_cndmask_b32_e64 v3, 0, 1.0, vcc
	v_lshrrev_b32_e32 v3, 16, v3
	s_branch .LBB199_620
.LBB199_619:
	s_mov_b64 s[52:53], -1
                                        ; implicit-def: $vgpr3
.LBB199_620:
	s_mov_b64 s[6:7], 0
.LBB199_621:
	s_and_b64 vcc, exec, s[6:7]
	s_cbranch_vccz .LBB199_670
; %bb.622:
	s_and_b32 s6, 0xffff, s14
	s_cmp_lt_i32 s6, 5
	s_cbranch_scc1 .LBB199_627
; %bb.623:
	s_cmp_lt_i32 s6, 8
	s_cbranch_scc1 .LBB199_628
; %bb.624:
	;; [unrolled: 3-line block ×3, first 2 shown]
	s_cmp_gt_i32 s6, 9
	s_cbranch_scc0 .LBB199_630
; %bb.626:
	global_load_dwordx2 v[3:4], v[1:2], off
	s_movk_i32 s2, 0x7fff
	s_waitcnt vmcnt(0)
	v_cvt_f32_f64_e32 v3, v[3:4]
	v_mov_b32_e32 v4, 0x7fc0
	v_bfe_u32 v6, v3, 16, 1
	v_cmp_o_f32_e32 vcc, v3, v3
	v_add3_u32 v3, v3, v6, s2
	v_cndmask_b32_sdwa v3, v4, v3, vcc dst_sel:DWORD dst_unused:UNUSED_PAD src0_sel:DWORD src1_sel:WORD_1
	s_mov_b64 s[2:3], 0
	s_branch .LBB199_631
.LBB199_627:
	s_mov_b64 s[2:3], -1
                                        ; implicit-def: $vgpr3
	s_branch .LBB199_649
.LBB199_628:
	s_mov_b64 s[2:3], -1
                                        ; implicit-def: $vgpr3
	s_branch .LBB199_637
.LBB199_629:
	s_mov_b64 s[2:3], -1
                                        ; implicit-def: $vgpr3
	s_branch .LBB199_634
.LBB199_630:
	s_mov_b64 s[2:3], -1
                                        ; implicit-def: $vgpr3
.LBB199_631:
	s_andn2_b64 vcc, exec, s[2:3]
	s_cbranch_vccnz .LBB199_633
; %bb.632:
	global_load_dword v3, v[1:2], off
	s_movk_i32 s2, 0x7fff
	v_mov_b32_e32 v4, 0x7fc0
	s_waitcnt vmcnt(0)
	v_bfe_u32 v6, v3, 16, 1
	v_cmp_o_f32_e32 vcc, v3, v3
	v_add3_u32 v3, v3, v6, s2
	v_cndmask_b32_sdwa v3, v4, v3, vcc dst_sel:DWORD dst_unused:UNUSED_PAD src0_sel:DWORD src1_sel:WORD_1
.LBB199_633:
	s_mov_b64 s[2:3], 0
.LBB199_634:
	s_andn2_b64 vcc, exec, s[2:3]
	s_cbranch_vccnz .LBB199_636
; %bb.635:
	global_load_dword v3, v[1:2], off
	s_movk_i32 s2, 0x7fff
	v_mov_b32_e32 v6, 0x7fc0
	s_waitcnt vmcnt(0)
	v_cvt_f32_f16_e32 v4, v3
	v_cmp_o_f16_e32 vcc, v3, v3
	v_bfe_u32 v3, v4, 16, 1
	v_add3_u32 v3, v4, v3, s2
	v_cndmask_b32_sdwa v3, v6, v3, vcc dst_sel:DWORD dst_unused:UNUSED_PAD src0_sel:DWORD src1_sel:WORD_1
.LBB199_636:
	s_mov_b64 s[2:3], 0
.LBB199_637:
	s_andn2_b64 vcc, exec, s[2:3]
	s_cbranch_vccnz .LBB199_648
; %bb.638:
	s_cmp_lt_i32 s6, 6
	s_cbranch_scc1 .LBB199_641
; %bb.639:
	s_cmp_gt_i32 s6, 6
	s_cbranch_scc0 .LBB199_642
; %bb.640:
	global_load_dwordx2 v[3:4], v[1:2], off
	s_movk_i32 s2, 0x7fff
	s_waitcnt vmcnt(0)
	v_cvt_f32_f64_e32 v3, v[3:4]
	v_mov_b32_e32 v4, 0x7fc0
	v_bfe_u32 v6, v3, 16, 1
	v_cmp_o_f32_e32 vcc, v3, v3
	v_add3_u32 v3, v3, v6, s2
	v_cndmask_b32_sdwa v3, v4, v3, vcc dst_sel:DWORD dst_unused:UNUSED_PAD src0_sel:DWORD src1_sel:WORD_1
	s_mov_b64 s[2:3], 0
	s_branch .LBB199_643
.LBB199_641:
	s_mov_b64 s[2:3], -1
                                        ; implicit-def: $vgpr3
	s_branch .LBB199_646
.LBB199_642:
	s_mov_b64 s[2:3], -1
                                        ; implicit-def: $vgpr3
.LBB199_643:
	s_andn2_b64 vcc, exec, s[2:3]
	s_cbranch_vccnz .LBB199_645
; %bb.644:
	global_load_dword v3, v[1:2], off
	s_movk_i32 s2, 0x7fff
	v_mov_b32_e32 v4, 0x7fc0
	s_waitcnt vmcnt(0)
	v_bfe_u32 v6, v3, 16, 1
	v_cmp_o_f32_e32 vcc, v3, v3
	v_add3_u32 v3, v3, v6, s2
	v_cndmask_b32_sdwa v3, v4, v3, vcc dst_sel:DWORD dst_unused:UNUSED_PAD src0_sel:DWORD src1_sel:WORD_1
.LBB199_645:
	s_mov_b64 s[2:3], 0
.LBB199_646:
	s_andn2_b64 vcc, exec, s[2:3]
	s_cbranch_vccnz .LBB199_648
; %bb.647:
	global_load_ushort v3, v[1:2], off
	s_movk_i32 s2, 0x7fff
	v_mov_b32_e32 v6, 0x7fc0
	s_waitcnt vmcnt(0)
	v_cvt_f32_f16_e32 v4, v3
	v_cmp_o_f16_e32 vcc, v3, v3
	v_bfe_u32 v3, v4, 16, 1
	v_add3_u32 v3, v4, v3, s2
	v_cndmask_b32_sdwa v3, v6, v3, vcc dst_sel:DWORD dst_unused:UNUSED_PAD src0_sel:DWORD src1_sel:WORD_1
.LBB199_648:
	s_mov_b64 s[2:3], 0
.LBB199_649:
	s_andn2_b64 vcc, exec, s[2:3]
	s_cbranch_vccnz .LBB199_669
; %bb.650:
	s_cmp_lt_i32 s6, 2
	s_cbranch_scc1 .LBB199_654
; %bb.651:
	s_cmp_lt_i32 s6, 3
	s_cbranch_scc1 .LBB199_655
; %bb.652:
	s_cmp_gt_i32 s6, 3
	s_cbranch_scc0 .LBB199_656
; %bb.653:
	global_load_dwordx2 v[3:4], v[1:2], off
	s_movk_i32 s2, 0x7fff
	s_waitcnt vmcnt(0)
	v_xor_b32_e32 v7, v3, v4
	v_ffbh_i32_e32 v6, v4
	v_ashrrev_i32_e32 v7, 31, v7
	v_add_u32_e32 v6, -1, v6
	v_add_u32_e32 v7, 32, v7
	v_min_u32_e32 v6, v6, v7
	v_lshlrev_b64 v[3:4], v6, v[3:4]
	v_min_u32_e32 v3, 1, v3
	v_or_b32_e32 v3, v4, v3
	v_cvt_f32_i32_e32 v3, v3
	v_sub_u32_e32 v4, 32, v6
	v_ldexp_f32 v3, v3, v4
	v_bfe_u32 v4, v3, 16, 1
	v_add3_u32 v3, v3, v4, s2
	v_lshrrev_b32_e32 v3, 16, v3
	s_mov_b64 s[2:3], 0
	s_branch .LBB199_657
.LBB199_654:
	s_mov_b64 s[2:3], -1
                                        ; implicit-def: $vgpr3
	s_branch .LBB199_663
.LBB199_655:
	s_mov_b64 s[2:3], -1
                                        ; implicit-def: $vgpr3
	s_branch .LBB199_660
.LBB199_656:
	s_mov_b64 s[2:3], -1
                                        ; implicit-def: $vgpr3
.LBB199_657:
	s_andn2_b64 vcc, exec, s[2:3]
	s_cbranch_vccnz .LBB199_659
; %bb.658:
	global_load_dword v3, v[1:2], off
	s_movk_i32 s2, 0x7fff
	s_waitcnt vmcnt(0)
	v_cvt_f32_i32_e32 v3, v3
	v_bfe_u32 v4, v3, 16, 1
	v_add3_u32 v3, v3, v4, s2
	v_lshrrev_b32_e32 v3, 16, v3
.LBB199_659:
	s_mov_b64 s[2:3], 0
.LBB199_660:
	s_andn2_b64 vcc, exec, s[2:3]
	s_cbranch_vccnz .LBB199_662
; %bb.661:
	global_load_sshort v3, v[1:2], off
	s_movk_i32 s2, 0x7fff
	s_waitcnt vmcnt(0)
	v_cvt_f32_i32_e32 v3, v3
	v_bfe_u32 v4, v3, 16, 1
	v_add3_u32 v3, v3, v4, s2
	v_lshrrev_b32_e32 v3, 16, v3
.LBB199_662:
	s_mov_b64 s[2:3], 0
.LBB199_663:
	s_andn2_b64 vcc, exec, s[2:3]
	s_cbranch_vccnz .LBB199_669
; %bb.664:
	s_cmp_gt_i32 s6, 0
	s_cbranch_scc0 .LBB199_666
; %bb.665:
	global_load_sbyte v3, v[1:2], off
	s_movk_i32 s2, 0x7fff
	s_waitcnt vmcnt(0)
	v_cvt_f32_i32_e32 v3, v3
	v_bfe_u32 v4, v3, 16, 1
	v_add3_u32 v3, v3, v4, s2
	v_lshrrev_b32_e32 v3, 16, v3
	s_mov_b64 s[2:3], 0
	s_branch .LBB199_667
.LBB199_666:
	s_mov_b64 s[2:3], -1
                                        ; implicit-def: $vgpr3
.LBB199_667:
	s_andn2_b64 vcc, exec, s[2:3]
	s_cbranch_vccnz .LBB199_669
; %bb.668:
	global_load_ubyte v1, v[1:2], off
	s_movk_i32 s2, 0x7fff
	s_waitcnt vmcnt(0)
	v_cvt_f32_ubyte0_e32 v1, v1
	v_bfe_u32 v2, v1, 16, 1
	v_add3_u32 v1, v1, v2, s2
	v_lshrrev_b32_e32 v3, 16, v1
.LBB199_669:
	s_mov_b64 s[2:3], -1
.LBB199_670:
	s_andn2_b64 vcc, exec, s[2:3]
	s_cbranch_vccnz .LBB199_678
; %bb.671:
	s_waitcnt vmcnt(0)
	v_lshlrev_b32_e32 v1, 16, v5
	v_lshlrev_b32_e32 v2, 16, v3
	v_cmp_eq_f32_e32 vcc, v1, v2
	v_cndmask_b32_e64 v3, 0, 1, vcc
	v_cmp_neq_f32_e32 vcc, v1, v2
	v_cndmask_b32_e64 v1, 0, 1, vcc
	v_cndmask_b32_e64 v1, v1, v3, s[0:1]
	v_and_b32_e32 v1, 1, v1
	v_cmp_eq_u32_e64 s[2:3], 1, v1
	v_mov_b32_e32 v1, s9
	s_and_b32 s14, s15, 0xff
	v_add_co_u32_e32 v0, vcc, s8, v0
	s_cmp_lt_i32 s14, 11
	v_addc_co_u32_e32 v1, vcc, 0, v1, vcc
	s_cbranch_scc1 .LBB199_679
; %bb.672:
	s_and_b32 s62, 0xffff, s14
	s_cmp_gt_i32 s62, 25
	s_cbranch_scc0 .LBB199_680
; %bb.673:
	s_cmp_gt_i32 s62, 28
	s_cbranch_scc0 .LBB199_681
; %bb.674:
	s_cmp_gt_i32 s62, 43
	s_cbranch_scc0 .LBB199_682
; %bb.675:
	s_cmp_gt_i32 s62, 45
	s_cbranch_scc0 .LBB199_683
; %bb.676:
	s_mov_b64 s[58:59], 0
	s_mov_b64 s[6:7], -1
	s_cmp_eq_u32 s62, 46
	s_mov_b64 s[54:55], 0
	s_cbranch_scc0 .LBB199_684
; %bb.677:
	v_cndmask_b32_e64 v2, 0, 1.0, s[2:3]
	v_bfe_u32 v3, v2, 16, 1
	s_movk_i32 s6, 0x7fff
	v_add3_u32 v2, v2, v3, s6
	v_lshrrev_b32_e32 v2, 16, v2
	global_store_dword v[0:1], v2, off
	s_mov_b64 s[54:55], -1
	s_mov_b64 s[6:7], 0
	s_branch .LBB199_684
.LBB199_678:
	s_mov_b64 s[2:3], 0
                                        ; implicit-def: $vgpr8
	s_mov_b64 s[6:7], s[42:43]
	s_branch .LBB199_794
.LBB199_679:
	s_mov_b64 s[58:59], -1
	s_mov_b64 s[54:55], 0
	s_mov_b64 s[6:7], s[42:43]
	s_branch .LBB199_753
.LBB199_680:
	s_mov_b64 s[58:59], -1
	s_mov_b64 s[54:55], 0
	s_mov_b64 s[6:7], s[42:43]
	s_branch .LBB199_711
.LBB199_681:
	s_mov_b64 s[58:59], -1
	s_mov_b64 s[54:55], 0
	s_mov_b64 s[6:7], s[42:43]
	s_branch .LBB199_694
.LBB199_682:
	s_mov_b64 s[58:59], -1
	s_mov_b64 s[54:55], 0
	s_mov_b64 s[6:7], s[42:43]
	s_branch .LBB199_690
.LBB199_683:
	s_mov_b64 s[58:59], -1
	s_mov_b64 s[54:55], 0
	s_mov_b64 s[6:7], s[42:43]
.LBB199_684:
	s_and_b64 vcc, exec, s[58:59]
	s_cbranch_vccz .LBB199_689
; %bb.685:
	s_cmp_eq_u32 s62, 44
	s_mov_b64 s[6:7], -1
	s_cbranch_scc0 .LBB199_689
; %bb.686:
	v_cndmask_b32_e64 v3, 0, 1.0, s[2:3]
	v_lshrrev_b32_e32 v2, 23, v3
	s_movk_i32 s6, 0xff
	v_cmp_ne_u32_e32 vcc, s6, v2
	v_mov_b32_e32 v4, 0xff
	s_and_saveexec_b64 s[54:55], vcc
; %bb.687:
	s_mov_b32 s6, 0x3fffff
	v_and_b32_e32 v4, 0x400000, v3
	v_and_or_b32 v3, v3, s6, v2
	v_cmp_ne_u32_e32 vcc, 0, v4
	v_cmp_ne_u32_e64 s[6:7], 0, v3
	s_and_b64 s[6:7], vcc, s[6:7]
	v_cndmask_b32_e64 v3, 0, 1, s[6:7]
	v_add_u32_e32 v4, v2, v3
; %bb.688:
	s_or_b64 exec, exec, s[54:55]
	s_mov_b64 s[54:55], -1
	s_mov_b64 s[6:7], 0
	global_store_byte v[0:1], v4, off
.LBB199_689:
	s_mov_b64 s[58:59], 0
.LBB199_690:
	s_and_b64 vcc, exec, s[58:59]
	s_cbranch_vccz .LBB199_693
; %bb.691:
	s_cmp_eq_u32 s62, 29
	s_mov_b64 s[6:7], -1
	s_cbranch_scc0 .LBB199_693
; %bb.692:
	s_mov_b32 s6, 0
	v_cndmask_b32_e64 v2, 0, 1, s[2:3]
	v_mov_b32_e32 v3, s6
	global_store_dwordx2 v[0:1], v[2:3], off
	s_mov_b64 s[54:55], -1
	s_mov_b64 s[6:7], 0
.LBB199_693:
	s_mov_b64 s[58:59], 0
.LBB199_694:
	s_and_b64 vcc, exec, s[58:59]
	s_cbranch_vccz .LBB199_710
; %bb.695:
	s_cmp_lt_i32 s62, 27
	s_mov_b64 s[54:55], -1
	s_cbranch_scc1 .LBB199_701
; %bb.696:
	s_cmp_gt_i32 s62, 27
	s_cbranch_scc0 .LBB199_698
; %bb.697:
	v_cndmask_b32_e64 v2, 0, 1, s[2:3]
	s_mov_b64 s[54:55], 0
	global_store_dword v[0:1], v2, off
.LBB199_698:
	s_andn2_b64 vcc, exec, s[54:55]
	s_cbranch_vccnz .LBB199_700
; %bb.699:
	v_cndmask_b32_e64 v2, 0, 1, s[2:3]
	global_store_short v[0:1], v2, off
.LBB199_700:
	s_mov_b64 s[54:55], 0
.LBB199_701:
	s_andn2_b64 vcc, exec, s[54:55]
	s_cbranch_vccnz .LBB199_709
; %bb.702:
	v_cndmask_b32_e64 v3, 0, 1.0, s[2:3]
	s_mov_b32 s54, 0x43800000
	v_cmp_gt_u32_e32 vcc, s54, v3
	v_mov_b32_e32 v4, 0x80
	s_and_saveexec_b64 s[54:55], vcc
	s_cbranch_execz .LBB199_708
; %bb.703:
	s_mov_b32 s58, 0x3bffffff
	v_cmp_lt_u32_e32 vcc, s58, v3
	s_mov_b64 s[58:59], 0
                                        ; implicit-def: $vgpr2
	s_and_saveexec_b64 s[60:61], vcc
	s_xor_b64 s[60:61], exec, s[60:61]
	s_cbranch_execz .LBB199_822
; %bb.704:
	v_bfe_u32 v2, v3, 20, 1
	s_mov_b32 s63, 0x487ffff
	v_add3_u32 v2, v3, v2, s63
	s_mov_b64 s[58:59], exec
	v_lshrrev_b32_e32 v2, 20, v2
                                        ; implicit-def: $vgpr3
	s_andn2_saveexec_b64 s[60:61], s[60:61]
	s_cbranch_execnz .LBB199_823
.LBB199_705:
	s_or_b64 exec, exec, s[60:61]
	v_mov_b32_e32 v4, 0
	s_and_saveexec_b64 s[60:61], s[58:59]
.LBB199_706:
	v_mov_b32_e32 v4, v2
.LBB199_707:
	s_or_b64 exec, exec, s[60:61]
.LBB199_708:
	s_or_b64 exec, exec, s[54:55]
	global_store_byte v[0:1], v4, off
.LBB199_709:
	s_mov_b64 s[54:55], -1
.LBB199_710:
	s_mov_b64 s[58:59], 0
.LBB199_711:
	s_and_b64 vcc, exec, s[58:59]
	s_cbranch_vccz .LBB199_752
; %bb.712:
	s_cmp_gt_i32 s62, 22
	s_mov_b64 s[58:59], -1
	s_cbranch_scc0 .LBB199_744
; %bb.713:
	s_cmp_lt_i32 s62, 24
	s_mov_b64 s[54:55], -1
	s_cbranch_scc1 .LBB199_733
; %bb.714:
	s_cmp_gt_i32 s62, 24
	s_cbranch_scc0 .LBB199_722
; %bb.715:
	v_cndmask_b32_e64 v3, 0, 1.0, s[2:3]
	s_mov_b32 s54, 0x47800000
	v_cmp_gt_u32_e32 vcc, s54, v3
	v_mov_b32_e32 v4, 0x80
	s_and_saveexec_b64 s[54:55], vcc
	s_cbranch_execz .LBB199_721
; %bb.716:
	s_mov_b32 s58, 0x37ffffff
	v_cmp_lt_u32_e32 vcc, s58, v3
	s_mov_b64 s[58:59], 0
                                        ; implicit-def: $vgpr2
	s_and_saveexec_b64 s[60:61], vcc
	s_xor_b64 s[60:61], exec, s[60:61]
	s_cbranch_execz .LBB199_954
; %bb.717:
	v_bfe_u32 v2, v3, 21, 1
	s_mov_b32 s63, 0x88fffff
	v_add3_u32 v2, v3, v2, s63
	s_mov_b64 s[58:59], exec
	v_lshrrev_b32_e32 v2, 21, v2
                                        ; implicit-def: $vgpr3
	s_andn2_saveexec_b64 s[60:61], s[60:61]
	s_cbranch_execnz .LBB199_955
.LBB199_718:
	s_or_b64 exec, exec, s[60:61]
	v_mov_b32_e32 v4, 0
	s_and_saveexec_b64 s[60:61], s[58:59]
.LBB199_719:
	v_mov_b32_e32 v4, v2
.LBB199_720:
	s_or_b64 exec, exec, s[60:61]
.LBB199_721:
	s_or_b64 exec, exec, s[54:55]
	s_mov_b64 s[54:55], 0
	global_store_byte v[0:1], v4, off
.LBB199_722:
	s_and_b64 vcc, exec, s[54:55]
	s_cbranch_vccz .LBB199_732
; %bb.723:
	v_cndmask_b32_e64 v2, 0, 1.0, s[2:3]
	s_mov_b32 s54, 0x43f00000
	v_cmp_gt_u32_e32 vcc, s54, v2
                                        ; implicit-def: $vgpr3
	s_and_saveexec_b64 s[54:55], vcc
	s_xor_b64 s[54:55], exec, s[54:55]
	s_cbranch_execz .LBB199_729
; %bb.724:
	s_mov_b32 s58, 0x3c7fffff
	v_cmp_lt_u32_e32 vcc, s58, v2
                                        ; implicit-def: $vgpr3
	s_and_saveexec_b64 s[58:59], vcc
	s_xor_b64 s[58:59], exec, s[58:59]
; %bb.725:
	v_bfe_u32 v3, v2, 20, 1
	s_mov_b32 s60, 0x407ffff
	v_add3_u32 v2, v2, v3, s60
	v_lshrrev_b32_e32 v3, 20, v2
	v_and_b32_e32 v2, 0xff00000, v2
	s_mov_b32 s60, 0x7f00000
	v_mov_b32_e32 v4, 0x7e
	v_cmp_ne_u32_e32 vcc, s60, v2
	v_cndmask_b32_e32 v3, v4, v3, vcc
                                        ; implicit-def: $vgpr2
; %bb.726:
	s_andn2_saveexec_b64 s[58:59], s[58:59]
; %bb.727:
	v_add_f32_e32 v3, 0x46800000, v2
; %bb.728:
	s_or_b64 exec, exec, s[58:59]
                                        ; implicit-def: $vgpr2
.LBB199_729:
	s_andn2_saveexec_b64 s[54:55], s[54:55]
; %bb.730:
	s_mov_b32 s58, 0x7f800000
	v_mov_b32_e32 v3, 0x7e
	v_mov_b32_e32 v4, 0x7f
	v_cmp_lt_u32_e32 vcc, s58, v2
	v_cndmask_b32_e32 v3, v3, v4, vcc
; %bb.731:
	s_or_b64 exec, exec, s[54:55]
	global_store_byte v[0:1], v3, off
.LBB199_732:
	s_mov_b64 s[54:55], 0
.LBB199_733:
	s_andn2_b64 vcc, exec, s[54:55]
	s_cbranch_vccnz .LBB199_743
; %bb.734:
	v_cndmask_b32_e64 v2, 0, 1.0, s[2:3]
	s_mov_b32 s54, 0x47800000
	v_cmp_gt_u32_e32 vcc, s54, v2
                                        ; implicit-def: $vgpr3
	s_and_saveexec_b64 s[54:55], vcc
	s_xor_b64 s[54:55], exec, s[54:55]
	s_cbranch_execz .LBB199_740
; %bb.735:
	s_mov_b32 s58, 0x387fffff
	v_cmp_lt_u32_e32 vcc, s58, v2
                                        ; implicit-def: $vgpr3
	s_and_saveexec_b64 s[58:59], vcc
	s_xor_b64 s[58:59], exec, s[58:59]
; %bb.736:
	v_bfe_u32 v3, v2, 21, 1
	s_mov_b32 s60, 0x80fffff
	v_add3_u32 v2, v2, v3, s60
	v_lshrrev_b32_e32 v3, 21, v2
                                        ; implicit-def: $vgpr2
; %bb.737:
	s_andn2_saveexec_b64 s[58:59], s[58:59]
; %bb.738:
	v_add_f32_e32 v3, 0x43000000, v2
; %bb.739:
	s_or_b64 exec, exec, s[58:59]
                                        ; implicit-def: $vgpr2
.LBB199_740:
	s_andn2_saveexec_b64 s[54:55], s[54:55]
; %bb.741:
	s_mov_b32 s58, 0x7f800000
	v_mov_b32_e32 v3, 0x7c
	v_mov_b32_e32 v4, 0x7f
	v_cmp_lt_u32_e32 vcc, s58, v2
	v_cndmask_b32_e32 v3, v3, v4, vcc
; %bb.742:
	s_or_b64 exec, exec, s[54:55]
	global_store_byte v[0:1], v3, off
.LBB199_743:
	s_mov_b64 s[58:59], 0
	s_mov_b64 s[54:55], -1
.LBB199_744:
	s_andn2_b64 vcc, exec, s[58:59]
	s_cbranch_vccnz .LBB199_752
; %bb.745:
	s_cmp_gt_i32 s62, 14
	s_mov_b64 s[58:59], -1
	s_cbranch_scc0 .LBB199_749
; %bb.746:
	s_cmp_eq_u32 s62, 15
	s_mov_b64 s[6:7], -1
	s_cbranch_scc0 .LBB199_748
; %bb.747:
	v_cndmask_b32_e64 v2, 0, 1.0, s[2:3]
	v_bfe_u32 v3, v2, 16, 1
	s_movk_i32 s6, 0x7fff
	v_add3_u32 v2, v2, v3, s6
	global_store_short_d16_hi v[0:1], v2, off
	s_mov_b64 s[54:55], -1
	s_mov_b64 s[6:7], 0
.LBB199_748:
	s_mov_b64 s[58:59], 0
.LBB199_749:
	s_and_b64 vcc, exec, s[58:59]
	s_cbranch_vccz .LBB199_752
; %bb.750:
	s_cmp_eq_u32 s62, 11
	s_mov_b64 s[6:7], -1
	s_cbranch_scc0 .LBB199_752
; %bb.751:
	v_cndmask_b32_e64 v2, 0, 1, s[2:3]
	s_mov_b64 s[54:55], -1
	s_mov_b64 s[6:7], 0
	global_store_byte v[0:1], v2, off
.LBB199_752:
	s_mov_b64 s[58:59], 0
.LBB199_753:
	s_and_b64 vcc, exec, s[58:59]
	s_cbranch_vccz .LBB199_792
; %bb.754:
	s_and_b32 s14, 0xffff, s14
	s_cmp_lt_i32 s14, 5
	s_mov_b64 s[54:55], -1
	s_cbranch_scc1 .LBB199_775
; %bb.755:
	s_cmp_lt_i32 s14, 8
	s_cbranch_scc1 .LBB199_765
; %bb.756:
	s_cmp_lt_i32 s14, 9
	s_cbranch_scc1 .LBB199_762
; %bb.757:
	s_cmp_gt_i32 s14, 9
	s_cbranch_scc0 .LBB199_759
; %bb.758:
	v_cndmask_b32_e64 v2, 0, 1, s[2:3]
	v_cvt_f64_u32_e32 v[2:3], v2
	v_mov_b32_e32 v4, 0
	v_mov_b32_e32 v5, v4
	s_mov_b64 s[54:55], 0
	global_store_dwordx4 v[0:1], v[2:5], off
.LBB199_759:
	s_andn2_b64 vcc, exec, s[54:55]
	s_cbranch_vccnz .LBB199_761
; %bb.760:
	v_cndmask_b32_e64 v2, 0, 1.0, s[2:3]
	v_mov_b32_e32 v3, 0
	global_store_dwordx2 v[0:1], v[2:3], off
.LBB199_761:
	s_mov_b64 s[54:55], 0
.LBB199_762:
	s_andn2_b64 vcc, exec, s[54:55]
	s_cbranch_vccnz .LBB199_764
; %bb.763:
	v_cndmask_b32_e64 v2, 0, 1.0, s[2:3]
	v_cvt_f16_f32_e32 v2, v2
	global_store_dword v[0:1], v2, off
.LBB199_764:
	s_mov_b64 s[54:55], 0
.LBB199_765:
	s_andn2_b64 vcc, exec, s[54:55]
	s_cbranch_vccnz .LBB199_774
; %bb.766:
	s_cmp_lt_i32 s14, 6
	s_mov_b64 s[54:55], -1
	s_cbranch_scc1 .LBB199_772
; %bb.767:
	s_cmp_gt_i32 s14, 6
	s_cbranch_scc0 .LBB199_769
; %bb.768:
	v_cndmask_b32_e64 v2, 0, 1, s[2:3]
	v_cvt_f64_u32_e32 v[2:3], v2
	s_mov_b64 s[54:55], 0
	global_store_dwordx2 v[0:1], v[2:3], off
.LBB199_769:
	s_andn2_b64 vcc, exec, s[54:55]
	s_cbranch_vccnz .LBB199_771
; %bb.770:
	v_cndmask_b32_e64 v2, 0, 1.0, s[2:3]
	global_store_dword v[0:1], v2, off
.LBB199_771:
	s_mov_b64 s[54:55], 0
.LBB199_772:
	s_andn2_b64 vcc, exec, s[54:55]
	s_cbranch_vccnz .LBB199_774
; %bb.773:
	v_cndmask_b32_e64 v2, 0, 1.0, s[2:3]
	v_cvt_f16_f32_e32 v2, v2
	global_store_short v[0:1], v2, off
.LBB199_774:
	s_mov_b64 s[54:55], 0
.LBB199_775:
	s_andn2_b64 vcc, exec, s[54:55]
	s_cbranch_vccnz .LBB199_791
; %bb.776:
	s_cmp_lt_i32 s14, 2
	s_mov_b64 s[54:55], -1
	s_cbranch_scc1 .LBB199_786
; %bb.777:
	s_cmp_lt_i32 s14, 3
	s_cbranch_scc1 .LBB199_783
; %bb.778:
	s_cmp_gt_i32 s14, 3
	s_cbranch_scc0 .LBB199_780
; %bb.779:
	s_mov_b32 s54, 0
	v_cndmask_b32_e64 v2, 0, 1, s[2:3]
	v_mov_b32_e32 v3, s54
	s_mov_b64 s[54:55], 0
	global_store_dwordx2 v[0:1], v[2:3], off
.LBB199_780:
	s_andn2_b64 vcc, exec, s[54:55]
	s_cbranch_vccnz .LBB199_782
; %bb.781:
	v_cndmask_b32_e64 v2, 0, 1, s[2:3]
	global_store_dword v[0:1], v2, off
.LBB199_782:
	s_mov_b64 s[54:55], 0
.LBB199_783:
	s_andn2_b64 vcc, exec, s[54:55]
	s_cbranch_vccnz .LBB199_785
; %bb.784:
	v_cndmask_b32_e64 v2, 0, 1, s[2:3]
	global_store_short v[0:1], v2, off
.LBB199_785:
	s_mov_b64 s[54:55], 0
.LBB199_786:
	s_andn2_b64 vcc, exec, s[54:55]
	s_cbranch_vccnz .LBB199_791
; %bb.787:
	s_mov_b64 s[54:55], -1
	s_cmp_gt_i32 s14, 0
	v_cndmask_b32_e64 v2, 0, 1, s[2:3]
	s_cbranch_scc0 .LBB199_789
; %bb.788:
	s_mov_b64 s[54:55], 0
	global_store_byte v[0:1], v2, off
.LBB199_789:
	s_andn2_b64 vcc, exec, s[54:55]
	s_cbranch_vccnz .LBB199_791
; %bb.790:
	global_store_byte v[0:1], v2, off
.LBB199_791:
	s_mov_b64 s[54:55], -1
.LBB199_792:
	s_andn2_b64 vcc, exec, s[54:55]
	s_cbranch_vccnz .LBB199_804
; %bb.793:
	v_add_u32_e32 v8, 0x80, v8
	s_mov_b64 s[2:3], -1
.LBB199_794:
	s_andn2_b64 s[54:55], s[42:43], exec
	s_and_b64 s[6:7], s[6:7], exec
	s_or_b64 s[54:55], s[54:55], s[6:7]
	s_andn2_b64 s[6:7], s[44:45], exec
	s_and_b64 s[52:53], s[52:53], exec
	s_or_b64 s[52:53], s[6:7], s[52:53]
	;; [unrolled: 3-line block ×3, first 2 shown]
	s_orn2_b64 s[2:3], s[2:3], exec
.LBB199_795:
	s_or_b64 exec, exec, s[56:57]
	s_mov_b64 s[6:7], 0
	s_mov_b64 s[58:59], 0
	;; [unrolled: 1-line block ×3, first 2 shown]
                                        ; implicit-def: $sgpr14
                                        ; implicit-def: $vgpr3_vgpr4
                                        ; implicit-def: $vgpr0
                                        ; implicit-def: $vgpr2
                                        ; implicit-def: $vgpr5
	s_and_saveexec_b64 s[56:57], s[2:3]
	s_cbranch_execz .LBB199_1292
; %bb.796:
	v_cmp_gt_i32_e32 vcc, s70, v8
	s_mov_b64 s[68:69], -1
	s_mov_b64 s[2:3], s[50:51]
	s_mov_b64 s[6:7], s[52:53]
	s_mov_b64 s[64:65], s[54:55]
	s_and_saveexec_b64 s[58:59], vcc
	s_cbranch_execz .LBB199_1196
; %bb.797:
	s_andn2_b64 vcc, exec, s[28:29]
	s_cbranch_vccnz .LBB199_803
; %bb.798:
	s_andn2_b64 vcc, exec, s[40:41]
	s_cbranch_vccnz .LBB199_805
; %bb.799:
	s_add_i32 s2, s75, 1
	s_and_b32 s6, s2, 30
	s_add_u32 s2, s24, 0xffffffe8
	s_addc_u32 s3, s25, -1
	v_mov_b32_e32 v2, 0
	v_mov_b32_e32 v4, 0
	;; [unrolled: 1-line block ×4, first 2 shown]
.LBB199_800:                            ; =>This Inner Loop Header: Depth=1
	s_load_dwordx4 s[60:63], s[2:3], 0x1c
	s_load_dwordx2 s[68:69], s[2:3], 0x2c
	s_load_dwordx2 s[76:77], s[2:3], 0xec
	s_load_dwordx4 s[64:67], s[2:3], 0xdc
	s_add_u32 s2, s2, 24
	s_waitcnt vmcnt(0) lgkmcnt(0)
	v_mul_hi_u32 v3, s61, v1
	s_addc_u32 s3, s3, 0
	s_add_i32 s6, s6, -2
	s_cmp_eq_u32 s6, 0
	v_add_u32_e32 v3, v1, v3
	v_lshrrev_b32_e32 v3, s62, v3
	v_mul_lo_u32 v5, v3, s60
	v_mul_hi_u32 v6, s68, v3
	v_sub_u32_e32 v5, v1, v5
	v_add_u32_e32 v1, v3, v6
	v_lshrrev_b32_e32 v1, s69, v1
	v_mul_lo_u32 v9, v1, s63
	v_mul_lo_u32 v6, v5, s64
	;; [unrolled: 1-line block ×4, first 2 shown]
	v_sub_u32_e32 v3, v3, v9
	v_mul_lo_u32 v9, v3, s67
	v_mul_lo_u32 v10, v3, s76
	;; [unrolled: 1-line block ×3, first 2 shown]
	v_add3_u32 v0, v6, v0, v9
	v_add3_u32 v4, v7, v4, v10
	;; [unrolled: 1-line block ×3, first 2 shown]
	s_cbranch_scc0 .LBB199_800
; %bb.801:
	s_bitcmp1_b32 s75, 0
	s_cselect_b64 s[6:7], -1, 0
	s_and_b64 vcc, exec, s[6:7]
	s_cbranch_vccnz .LBB199_806
; %bb.802:
	s_load_dwordx2 s[6:7], s[2:3], 0x1c
	s_load_dword s14, s[2:3], 0x24
	s_load_dwordx2 s[60:61], s[2:3], 0xdc
	s_waitcnt lgkmcnt(0)
	v_mul_hi_u32 v3, s7, v1
	v_add_u32_e32 v3, v1, v3
	v_lshrrev_b32_e32 v3, s14, v3
	v_mul_lo_u32 v3, v3, s6
	s_load_dword s6, s[2:3], 0xe4
	v_sub_u32_e32 v3, v1, v3
	v_mad_u64_u32 v[0:1], s[2:3], v3, s60, v[0:1]
	v_mad_u64_u32 v[4:5], s[2:3], v3, s61, v[4:5]
	s_waitcnt lgkmcnt(0)
	v_mad_u64_u32 v[2:3], s[2:3], v3, s6, v[2:3]
	s_branch .LBB199_806
.LBB199_803:
	s_mov_b64 s[2:3], -1
                                        ; implicit-def: $vgpr0
                                        ; implicit-def: $vgpr4
                                        ; implicit-def: $vgpr2
	s_branch .LBB199_807
.LBB199_804:
	s_mov_b64 s[2:3], 0
	s_branch .LBB199_552
.LBB199_805:
	v_mov_b32_e32 v0, 0
	v_mov_b32_e32 v4, 0
	;; [unrolled: 1-line block ×3, first 2 shown]
.LBB199_806:
	s_mov_b64 s[2:3], 0
.LBB199_807:
	s_andn2_b64 vcc, exec, s[2:3]
	s_cbranch_vccnz .LBB199_810
; %bb.808:
	v_mul_hi_u32 v0, s17, v8
	s_andn2_b64 vcc, exec, s[38:39]
	v_add_u32_e32 v0, v8, v0
	v_lshrrev_b32_e32 v1, s18, v0
	v_mul_lo_u32 v0, v1, s16
	v_sub_u32_e32 v2, v8, v0
	v_mul_lo_u32 v0, v2, s20
	v_mul_lo_u32 v4, v2, s21
	;; [unrolled: 1-line block ×3, first 2 shown]
	s_cbranch_vccnz .LBB199_810
; %bb.809:
	s_waitcnt vmcnt(0)
	v_mul_hi_u32 v3, s36, v1
	v_add_u32_e32 v3, v1, v3
	v_lshrrev_b32_e32 v3, s37, v3
	v_mul_lo_u32 v3, v3, s19
	v_sub_u32_e32 v3, v1, v3
	v_mad_u64_u32 v[0:1], s[2:3], v3, s23, v[0:1]
	v_mad_u64_u32 v[4:5], s[2:3], v3, s34, v[4:5]
	;; [unrolled: 1-line block ×3, first 2 shown]
.LBB199_810:
	v_mov_b32_e32 v1, s11
	s_and_b32 s14, s74, 0xff
	s_waitcnt vmcnt(0)
	v_add_co_u32_e32 v3, vcc, s10, v4
	s_cmp_lt_i32 s14, 11
	v_addc_co_u32_e32 v4, vcc, 0, v1, vcc
	s_cbranch_scc1 .LBB199_817
; %bb.811:
	s_and_b32 s64, 0xffff, s14
	s_cmp_gt_i32 s64, 25
	s_cbranch_scc0 .LBB199_818
; %bb.812:
	s_cmp_gt_i32 s64, 28
	s_cbranch_scc0 .LBB199_819
; %bb.813:
	;; [unrolled: 3-line block ×4, first 2 shown]
	s_cmp_eq_u32 s64, 46
	s_mov_b64 s[6:7], 0
	s_cbranch_scc0 .LBB199_824
; %bb.816:
	global_load_dword v5, v[3:4], off
	s_mov_b64 s[2:3], -1
	s_mov_b64 s[60:61], 0
	s_branch .LBB199_825
.LBB199_817:
	s_mov_b64 s[6:7], -1
	s_mov_b64 s[2:3], 0
                                        ; implicit-def: $vgpr5
	s_mov_b64 s[60:61], s[50:51]
	s_branch .LBB199_890
.LBB199_818:
	s_mov_b64 s[6:7], -1
	s_mov_b64 s[2:3], 0
	s_mov_b64 s[60:61], s[50:51]
                                        ; implicit-def: $vgpr5
	s_branch .LBB199_854
.LBB199_819:
	s_mov_b64 s[6:7], -1
	s_mov_b64 s[2:3], 0
	s_mov_b64 s[60:61], s[50:51]
                                        ; implicit-def: $vgpr5
	s_branch .LBB199_835
.LBB199_820:
	s_mov_b64 s[6:7], -1
	s_mov_b64 s[2:3], 0
	s_mov_b64 s[60:61], s[50:51]
                                        ; implicit-def: $vgpr5
	s_branch .LBB199_830
.LBB199_821:
	s_mov_b64 s[6:7], -1
	s_mov_b64 s[2:3], 0
	s_mov_b64 s[60:61], s[50:51]
                                        ; implicit-def: $vgpr5
	s_branch .LBB199_825
.LBB199_822:
	s_andn2_saveexec_b64 s[60:61], s[60:61]
	s_cbranch_execz .LBB199_705
.LBB199_823:
	v_add_f32_e32 v2, 0x46000000, v3
	v_and_b32_e32 v2, 0xff, v2
	v_cmp_ne_u32_e32 vcc, 0, v2
	s_andn2_b64 s[58:59], s[58:59], exec
	s_and_b64 s[64:65], vcc, exec
	s_or_b64 s[58:59], s[58:59], s[64:65]
	s_or_b64 exec, exec, s[60:61]
	v_mov_b32_e32 v4, 0
	s_and_saveexec_b64 s[60:61], s[58:59]
	s_cbranch_execnz .LBB199_706
	s_branch .LBB199_707
.LBB199_824:
	s_mov_b64 s[60:61], -1
                                        ; implicit-def: $vgpr5
	s_mov_b64 s[2:3], 0
.LBB199_825:
	s_and_b64 vcc, exec, s[6:7]
	s_cbranch_vccz .LBB199_829
; %bb.826:
	s_cmp_eq_u32 s64, 44
	s_cbranch_scc0 .LBB199_828
; %bb.827:
	global_load_ubyte v1, v[3:4], off
	s_movk_i32 s6, 0xff
	s_waitcnt vmcnt(1)
	v_mov_b32_e32 v5, 0x7f800001
	v_mov_b32_e32 v6, 0x400000
	;; [unrolled: 1-line block ×3, first 2 shown]
	s_mov_b64 s[2:3], -1
	s_mov_b64 s[60:61], 0
	s_waitcnt vmcnt(0)
	v_lshlrev_b32_e32 v9, 23, v1
	v_cmp_ne_u32_e32 vcc, s6, v1
	v_cndmask_b32_e32 v5, v5, v9, vcc
	v_cmp_ne_u32_e32 vcc, 0, v1
	v_cndmask_b32_e32 v1, v6, v5, vcc
	v_add_u32_e32 v5, 0x7fff, v1
	v_cmp_o_f32_e32 vcc, v1, v1
	v_cndmask_b32_sdwa v5, v7, v5, vcc dst_sel:DWORD dst_unused:UNUSED_PAD src0_sel:DWORD src1_sel:WORD_1
	s_branch .LBB199_829
.LBB199_828:
	s_mov_b64 s[60:61], -1
                                        ; implicit-def: $vgpr5
.LBB199_829:
	s_mov_b64 s[6:7], 0
.LBB199_830:
	s_and_b64 vcc, exec, s[6:7]
	s_cbranch_vccz .LBB199_834
; %bb.831:
	s_cmp_eq_u32 s64, 29
	s_cbranch_scc0 .LBB199_833
; %bb.832:
	global_load_dwordx2 v[5:6], v[3:4], off
	s_movk_i32 s6, 0x7fff
	s_mov_b64 s[2:3], -1
	s_mov_b64 s[60:61], 0
	s_waitcnt vmcnt(0)
	v_ffbh_u32_e32 v1, v6
	v_min_u32_e32 v1, 32, v1
	v_lshlrev_b64 v[5:6], v1, v[5:6]
	v_sub_u32_e32 v1, 32, v1
	v_min_u32_e32 v5, 1, v5
	v_or_b32_e32 v5, v6, v5
	v_cvt_f32_u32_e32 v5, v5
	v_ldexp_f32 v1, v5, v1
	v_bfe_u32 v5, v1, 16, 1
	v_add3_u32 v1, v1, v5, s6
	v_lshrrev_b32_e32 v5, 16, v1
	s_branch .LBB199_834
.LBB199_833:
	s_mov_b64 s[60:61], -1
                                        ; implicit-def: $vgpr5
.LBB199_834:
	s_mov_b64 s[6:7], 0
.LBB199_835:
	s_and_b64 vcc, exec, s[6:7]
	s_cbranch_vccz .LBB199_853
; %bb.836:
	s_cmp_lt_i32 s64, 27
	s_cbranch_scc1 .LBB199_839
; %bb.837:
	s_cmp_gt_i32 s64, 27
	s_cbranch_scc0 .LBB199_840
; %bb.838:
	global_load_dword v1, v[3:4], off
	s_movk_i32 s2, 0x7fff
	s_waitcnt vmcnt(0)
	v_cvt_f32_u32_e32 v1, v1
	v_bfe_u32 v5, v1, 16, 1
	v_add3_u32 v1, v1, v5, s2
	v_lshrrev_b32_e32 v5, 16, v1
	s_mov_b64 s[2:3], 0
	s_branch .LBB199_841
.LBB199_839:
	s_mov_b64 s[2:3], -1
                                        ; implicit-def: $vgpr5
	s_branch .LBB199_844
.LBB199_840:
	s_mov_b64 s[2:3], -1
                                        ; implicit-def: $vgpr5
.LBB199_841:
	s_andn2_b64 vcc, exec, s[2:3]
	s_cbranch_vccnz .LBB199_843
; %bb.842:
	global_load_ushort v1, v[3:4], off
	s_movk_i32 s2, 0x7fff
	s_waitcnt vmcnt(0)
	v_cvt_f32_u32_e32 v1, v1
	v_bfe_u32 v5, v1, 16, 1
	v_add3_u32 v1, v1, v5, s2
	v_lshrrev_b32_e32 v5, 16, v1
.LBB199_843:
	s_mov_b64 s[2:3], 0
.LBB199_844:
	s_andn2_b64 vcc, exec, s[2:3]
	s_cbranch_vccnz .LBB199_852
; %bb.845:
	global_load_ubyte v1, v[3:4], off
	s_movk_i32 s2, 0x7f
	s_waitcnt vmcnt(0)
	v_cmp_lt_i16_e32 vcc, s2, v1
	s_mov_b64 s[2:3], 0
	s_and_saveexec_b64 s[6:7], vcc
	s_xor_b64 s[6:7], exec, s[6:7]
	s_cbranch_execz .LBB199_866
; %bb.846:
	s_movk_i32 s2, 0x80
	v_cmp_eq_u16_e32 vcc, s2, v1
	s_mov_b64 s[2:3], -1
	s_and_saveexec_b64 s[62:63], vcc
; %bb.847:
	s_xor_b64 s[2:3], exec, -1
; %bb.848:
	s_or_b64 exec, exec, s[62:63]
	s_and_b64 s[2:3], s[2:3], exec
	s_or_saveexec_b64 s[6:7], s[6:7]
	v_mov_b32_e32 v5, 0x7f800001
	s_xor_b64 exec, exec, s[6:7]
	s_cbranch_execnz .LBB199_867
.LBB199_849:
	s_or_b64 exec, exec, s[6:7]
	s_and_saveexec_b64 s[6:7], s[2:3]
	s_cbranch_execz .LBB199_851
.LBB199_850:
	v_lshlrev_b32_e32 v5, 24, v1
	v_and_b32_e32 v1, 0xffff, v1
	v_and_b32_e32 v6, 7, v1
	v_ffbh_u32_e32 v9, v6
	v_min_u32_e32 v9, 32, v9
	v_subrev_u32_e32 v10, 28, v9
	v_bfe_u32 v7, v1, 3, 4
	v_lshlrev_b32_e32 v1, v10, v1
	v_sub_u32_e32 v9, 29, v9
	v_and_b32_e32 v1, 7, v1
	v_cmp_eq_u32_e32 vcc, 0, v7
	v_cndmask_b32_e32 v7, v7, v9, vcc
	v_cndmask_b32_e32 v1, v6, v1, vcc
	v_mov_b32_e32 v6, 0x3b800000
	v_lshlrev_b32_e32 v1, 20, v1
	v_and_b32_e32 v5, 0x80000000, v5
	v_lshl_add_u32 v6, v7, 23, v6
	v_or3_b32 v5, v5, v6, v1
.LBB199_851:
	s_or_b64 exec, exec, s[6:7]
	v_bfe_u32 v1, v5, 16, 1
	s_movk_i32 s2, 0x7fff
	v_add3_u32 v1, v5, v1, s2
	v_cmp_o_f32_e32 vcc, v5, v5
	v_mov_b32_e32 v5, 0x7fc0
	v_cndmask_b32_sdwa v5, v5, v1, vcc dst_sel:DWORD dst_unused:UNUSED_PAD src0_sel:DWORD src1_sel:WORD_1
.LBB199_852:
	s_mov_b64 s[2:3], -1
.LBB199_853:
	s_mov_b64 s[6:7], 0
.LBB199_854:
	s_and_b64 vcc, exec, s[6:7]
	s_cbranch_vccz .LBB199_889
; %bb.855:
	s_cmp_gt_i32 s64, 22
	s_cbranch_scc0 .LBB199_865
; %bb.856:
	s_cmp_lt_i32 s64, 24
	s_cbranch_scc1 .LBB199_868
; %bb.857:
	s_cmp_gt_i32 s64, 24
	s_cbranch_scc0 .LBB199_869
; %bb.858:
	global_load_ubyte v1, v[3:4], off
	s_movk_i32 s2, 0x7f
	s_waitcnt vmcnt(0)
	v_cmp_lt_i16_e32 vcc, s2, v1
	s_mov_b64 s[2:3], 0
	s_and_saveexec_b64 s[6:7], vcc
	s_xor_b64 s[6:7], exec, s[6:7]
	s_cbranch_execz .LBB199_881
; %bb.859:
	s_movk_i32 s2, 0x80
	v_cmp_eq_u16_e32 vcc, s2, v1
	s_mov_b64 s[2:3], -1
	s_and_saveexec_b64 s[62:63], vcc
; %bb.860:
	s_xor_b64 s[2:3], exec, -1
; %bb.861:
	s_or_b64 exec, exec, s[62:63]
	s_and_b64 s[2:3], s[2:3], exec
	s_or_saveexec_b64 s[6:7], s[6:7]
	v_mov_b32_e32 v5, 0x7f800001
	s_xor_b64 exec, exec, s[6:7]
	s_cbranch_execnz .LBB199_882
.LBB199_862:
	s_or_b64 exec, exec, s[6:7]
	s_and_saveexec_b64 s[6:7], s[2:3]
	s_cbranch_execz .LBB199_864
.LBB199_863:
	v_lshlrev_b32_e32 v5, 24, v1
	v_and_b32_e32 v1, 0xffff, v1
	v_and_b32_e32 v6, 3, v1
	v_ffbh_u32_e32 v9, v6
	v_min_u32_e32 v9, 32, v9
	v_subrev_u32_e32 v10, 29, v9
	v_bfe_u32 v7, v1, 2, 5
	v_lshlrev_b32_e32 v1, v10, v1
	v_sub_u32_e32 v9, 30, v9
	v_and_b32_e32 v1, 3, v1
	v_cmp_eq_u32_e32 vcc, 0, v7
	v_cndmask_b32_e32 v7, v7, v9, vcc
	v_cndmask_b32_e32 v1, v6, v1, vcc
	v_mov_b32_e32 v6, 0x37800000
	v_lshlrev_b32_e32 v1, 21, v1
	v_and_b32_e32 v5, 0x80000000, v5
	v_lshl_add_u32 v6, v7, 23, v6
	v_or3_b32 v5, v5, v6, v1
.LBB199_864:
	s_or_b64 exec, exec, s[6:7]
	v_bfe_u32 v1, v5, 16, 1
	s_movk_i32 s2, 0x7fff
	v_add3_u32 v1, v5, v1, s2
	v_cmp_o_f32_e32 vcc, v5, v5
	v_mov_b32_e32 v5, 0x7fc0
	v_cndmask_b32_sdwa v5, v5, v1, vcc dst_sel:DWORD dst_unused:UNUSED_PAD src0_sel:DWORD src1_sel:WORD_1
	s_mov_b64 s[2:3], 0
	s_branch .LBB199_870
.LBB199_865:
	s_mov_b64 s[6:7], -1
                                        ; implicit-def: $vgpr5
	s_branch .LBB199_876
.LBB199_866:
	s_or_saveexec_b64 s[6:7], s[6:7]
	v_mov_b32_e32 v5, 0x7f800001
	s_xor_b64 exec, exec, s[6:7]
	s_cbranch_execz .LBB199_849
.LBB199_867:
	v_cmp_ne_u16_e32 vcc, 0, v1
	s_andn2_b64 s[2:3], s[2:3], exec
	s_and_b64 s[62:63], vcc, exec
	v_mov_b32_e32 v5, 0
	s_or_b64 s[2:3], s[2:3], s[62:63]
	s_or_b64 exec, exec, s[6:7]
	s_and_saveexec_b64 s[6:7], s[2:3]
	s_cbranch_execnz .LBB199_850
	s_branch .LBB199_851
.LBB199_868:
	s_mov_b64 s[2:3], -1
                                        ; implicit-def: $vgpr5
	s_branch .LBB199_873
.LBB199_869:
	s_mov_b64 s[2:3], -1
                                        ; implicit-def: $vgpr5
.LBB199_870:
	s_and_b64 vcc, exec, s[2:3]
	s_cbranch_vccz .LBB199_872
; %bb.871:
	global_load_ubyte v1, v[3:4], off
	s_mov_b32 s2, 0x7f800000
	s_brev_b32 s3, 1
	s_movk_i32 s6, 0x7fff
	s_waitcnt vmcnt(0)
	v_lshlrev_b32_e32 v1, 24, v1
	v_and_b32_e32 v5, 0x7f000000, v1
	v_ffbh_u32_e32 v6, v5
	v_min_u32_e32 v6, 32, v6
	v_sub_u32_e64 v6, v6, 4 clamp
	v_lshlrev_b32_e32 v9, v6, v5
	v_lshlrev_b32_e32 v6, 23, v6
	v_lshrrev_b32_e32 v9, 4, v9
	v_add_u32_e32 v7, 0x1000000, v5
	v_sub_u32_e32 v6, v9, v6
	v_ashrrev_i32_e32 v7, 8, v7
	v_add_u32_e32 v6, 0x3c000000, v6
	v_and_or_b32 v6, v7, s2, v6
	v_cmp_ne_u32_e32 vcc, 0, v5
	v_cndmask_b32_e32 v5, 0, v6, vcc
	v_and_or_b32 v1, v1, s3, v5
	v_bfe_u32 v5, v5, 16, 1
	v_add3_u32 v5, v1, v5, s6
	v_cmp_o_f32_e32 vcc, v1, v1
	v_mov_b32_e32 v1, 0x7fc0
	v_cndmask_b32_sdwa v5, v1, v5, vcc dst_sel:DWORD dst_unused:UNUSED_PAD src0_sel:DWORD src1_sel:WORD_1
.LBB199_872:
	s_mov_b64 s[2:3], 0
.LBB199_873:
	s_andn2_b64 vcc, exec, s[2:3]
	s_cbranch_vccnz .LBB199_875
; %bb.874:
	global_load_ubyte v1, v[3:4], off
	s_movk_i32 s2, 0x7f00
	s_brev_b32 s3, 16
	s_brev_b32 s6, 1
	s_movk_i32 s7, 0x7fff
	s_waitcnt vmcnt(0)
	v_lshlrev_b16_e32 v5, 8, v1
	v_lshlrev_b32_e32 v1, 25, v1
	v_lshrrev_b32_e32 v6, 4, v1
	v_and_or_b32 v7, v5, s2, 0.5
	v_or_b32_e32 v6, 0x70000000, v6
	v_add_f32_e32 v7, -0.5, v7
	v_mul_f32_e32 v6, 0x7800000, v6
	v_cmp_gt_u32_e32 vcc, s3, v1
	v_bfe_i32 v5, v5, 0, 16
	v_cndmask_b32_e32 v1, v6, v7, vcc
	v_and_or_b32 v5, v5, s6, v1
	v_bfe_u32 v1, v1, 16, 1
	v_add3_u32 v1, v5, v1, s7
	v_cmp_o_f32_e32 vcc, v5, v5
	v_mov_b32_e32 v5, 0x7fc0
	v_cndmask_b32_sdwa v5, v5, v1, vcc dst_sel:DWORD dst_unused:UNUSED_PAD src0_sel:DWORD src1_sel:WORD_1
.LBB199_875:
	s_mov_b64 s[6:7], 0
	s_mov_b64 s[2:3], -1
.LBB199_876:
	s_andn2_b64 vcc, exec, s[6:7]
	s_cbranch_vccnz .LBB199_889
; %bb.877:
	s_cmp_gt_i32 s64, 14
	s_cbranch_scc0 .LBB199_880
; %bb.878:
	s_cmp_eq_u32 s64, 15
	s_cbranch_scc0 .LBB199_883
; %bb.879:
	global_load_ushort v5, v[3:4], off
	s_mov_b64 s[2:3], -1
	s_mov_b64 s[60:61], 0
	s_branch .LBB199_884
.LBB199_880:
	s_mov_b64 s[6:7], -1
                                        ; implicit-def: $vgpr5
	s_branch .LBB199_885
.LBB199_881:
	s_or_saveexec_b64 s[6:7], s[6:7]
	v_mov_b32_e32 v5, 0x7f800001
	s_xor_b64 exec, exec, s[6:7]
	s_cbranch_execz .LBB199_862
.LBB199_882:
	v_cmp_ne_u16_e32 vcc, 0, v1
	s_andn2_b64 s[2:3], s[2:3], exec
	s_and_b64 s[62:63], vcc, exec
	v_mov_b32_e32 v5, 0
	s_or_b64 s[2:3], s[2:3], s[62:63]
	s_or_b64 exec, exec, s[6:7]
	s_and_saveexec_b64 s[6:7], s[2:3]
	s_cbranch_execnz .LBB199_863
	s_branch .LBB199_864
.LBB199_883:
	s_mov_b64 s[60:61], -1
                                        ; implicit-def: $vgpr5
.LBB199_884:
	s_mov_b64 s[6:7], 0
.LBB199_885:
	s_and_b64 vcc, exec, s[6:7]
	s_cbranch_vccz .LBB199_889
; %bb.886:
	s_cmp_eq_u32 s64, 11
	s_cbranch_scc0 .LBB199_888
; %bb.887:
	global_load_ubyte v1, v[3:4], off
	s_mov_b64 s[2:3], -1
	s_mov_b64 s[60:61], 0
	s_waitcnt vmcnt(0)
	v_cmp_ne_u16_e32 vcc, 0, v1
	v_cndmask_b32_e64 v1, 0, 1.0, vcc
	v_lshrrev_b32_e32 v5, 16, v1
	s_branch .LBB199_889
.LBB199_888:
	s_mov_b64 s[60:61], -1
                                        ; implicit-def: $vgpr5
.LBB199_889:
	s_mov_b64 s[6:7], 0
.LBB199_890:
	s_and_b64 vcc, exec, s[6:7]
	s_cbranch_vccz .LBB199_939
; %bb.891:
	s_and_b32 s6, 0xffff, s14
	s_cmp_lt_i32 s6, 5
	s_cbranch_scc1 .LBB199_896
; %bb.892:
	s_cmp_lt_i32 s6, 8
	s_cbranch_scc1 .LBB199_897
; %bb.893:
	;; [unrolled: 3-line block ×3, first 2 shown]
	s_cmp_gt_i32 s6, 9
	s_cbranch_scc0 .LBB199_899
; %bb.895:
	global_load_dwordx2 v[5:6], v[3:4], off
	s_movk_i32 s2, 0x7fff
	s_waitcnt vmcnt(0)
	v_cvt_f32_f64_e32 v1, v[5:6]
	v_mov_b32_e32 v5, 0x7fc0
	v_bfe_u32 v6, v1, 16, 1
	v_cmp_o_f32_e32 vcc, v1, v1
	v_add3_u32 v1, v1, v6, s2
	v_cndmask_b32_sdwa v5, v5, v1, vcc dst_sel:DWORD dst_unused:UNUSED_PAD src0_sel:DWORD src1_sel:WORD_1
	s_mov_b64 s[2:3], 0
	s_branch .LBB199_900
.LBB199_896:
	s_mov_b64 s[2:3], -1
                                        ; implicit-def: $vgpr5
	s_branch .LBB199_918
.LBB199_897:
	s_mov_b64 s[2:3], -1
                                        ; implicit-def: $vgpr5
	s_branch .LBB199_906
.LBB199_898:
	s_mov_b64 s[2:3], -1
                                        ; implicit-def: $vgpr5
	s_branch .LBB199_903
.LBB199_899:
	s_mov_b64 s[2:3], -1
                                        ; implicit-def: $vgpr5
.LBB199_900:
	s_andn2_b64 vcc, exec, s[2:3]
	s_cbranch_vccnz .LBB199_902
; %bb.901:
	global_load_dword v1, v[3:4], off
	s_movk_i32 s2, 0x7fff
	s_waitcnt vmcnt(1)
	v_mov_b32_e32 v5, 0x7fc0
	s_waitcnt vmcnt(0)
	v_bfe_u32 v6, v1, 16, 1
	v_cmp_o_f32_e32 vcc, v1, v1
	v_add3_u32 v1, v1, v6, s2
	v_cndmask_b32_sdwa v5, v5, v1, vcc dst_sel:DWORD dst_unused:UNUSED_PAD src0_sel:DWORD src1_sel:WORD_1
.LBB199_902:
	s_mov_b64 s[2:3], 0
.LBB199_903:
	s_andn2_b64 vcc, exec, s[2:3]
	s_cbranch_vccnz .LBB199_905
; %bb.904:
	global_load_dword v1, v[3:4], off
	s_movk_i32 s2, 0x7fff
	v_mov_b32_e32 v6, 0x7fc0
	s_waitcnt vmcnt(0)
	v_cvt_f32_f16_e32 v5, v1
	v_cmp_o_f16_e32 vcc, v1, v1
	v_bfe_u32 v1, v5, 16, 1
	v_add3_u32 v1, v5, v1, s2
	v_cndmask_b32_sdwa v5, v6, v1, vcc dst_sel:DWORD dst_unused:UNUSED_PAD src0_sel:DWORD src1_sel:WORD_1
.LBB199_905:
	s_mov_b64 s[2:3], 0
.LBB199_906:
	s_andn2_b64 vcc, exec, s[2:3]
	s_cbranch_vccnz .LBB199_917
; %bb.907:
	s_cmp_lt_i32 s6, 6
	s_cbranch_scc1 .LBB199_910
; %bb.908:
	s_cmp_gt_i32 s6, 6
	s_cbranch_scc0 .LBB199_911
; %bb.909:
	global_load_dwordx2 v[5:6], v[3:4], off
	s_movk_i32 s2, 0x7fff
	s_waitcnt vmcnt(0)
	v_cvt_f32_f64_e32 v1, v[5:6]
	v_mov_b32_e32 v5, 0x7fc0
	v_bfe_u32 v6, v1, 16, 1
	v_cmp_o_f32_e32 vcc, v1, v1
	v_add3_u32 v1, v1, v6, s2
	v_cndmask_b32_sdwa v5, v5, v1, vcc dst_sel:DWORD dst_unused:UNUSED_PAD src0_sel:DWORD src1_sel:WORD_1
	s_mov_b64 s[2:3], 0
	s_branch .LBB199_912
.LBB199_910:
	s_mov_b64 s[2:3], -1
                                        ; implicit-def: $vgpr5
	s_branch .LBB199_915
.LBB199_911:
	s_mov_b64 s[2:3], -1
                                        ; implicit-def: $vgpr5
.LBB199_912:
	s_andn2_b64 vcc, exec, s[2:3]
	s_cbranch_vccnz .LBB199_914
; %bb.913:
	global_load_dword v1, v[3:4], off
	s_movk_i32 s2, 0x7fff
	s_waitcnt vmcnt(1)
	v_mov_b32_e32 v5, 0x7fc0
	s_waitcnt vmcnt(0)
	v_bfe_u32 v6, v1, 16, 1
	v_cmp_o_f32_e32 vcc, v1, v1
	v_add3_u32 v1, v1, v6, s2
	v_cndmask_b32_sdwa v5, v5, v1, vcc dst_sel:DWORD dst_unused:UNUSED_PAD src0_sel:DWORD src1_sel:WORD_1
.LBB199_914:
	s_mov_b64 s[2:3], 0
.LBB199_915:
	s_andn2_b64 vcc, exec, s[2:3]
	s_cbranch_vccnz .LBB199_917
; %bb.916:
	global_load_ushort v1, v[3:4], off
	s_movk_i32 s2, 0x7fff
	v_mov_b32_e32 v6, 0x7fc0
	s_waitcnt vmcnt(0)
	v_cvt_f32_f16_e32 v5, v1
	v_cmp_o_f16_e32 vcc, v1, v1
	v_bfe_u32 v1, v5, 16, 1
	v_add3_u32 v1, v5, v1, s2
	v_cndmask_b32_sdwa v5, v6, v1, vcc dst_sel:DWORD dst_unused:UNUSED_PAD src0_sel:DWORD src1_sel:WORD_1
.LBB199_917:
	s_mov_b64 s[2:3], 0
.LBB199_918:
	s_andn2_b64 vcc, exec, s[2:3]
	s_cbranch_vccnz .LBB199_938
; %bb.919:
	s_cmp_lt_i32 s6, 2
	s_cbranch_scc1 .LBB199_923
; %bb.920:
	s_cmp_lt_i32 s6, 3
	s_cbranch_scc1 .LBB199_924
; %bb.921:
	s_cmp_gt_i32 s6, 3
	s_cbranch_scc0 .LBB199_925
; %bb.922:
	global_load_dwordx2 v[5:6], v[3:4], off
	s_movk_i32 s2, 0x7fff
	s_waitcnt vmcnt(0)
	v_xor_b32_e32 v7, v5, v6
	v_ffbh_i32_e32 v1, v6
	v_ashrrev_i32_e32 v7, 31, v7
	v_add_u32_e32 v1, -1, v1
	v_add_u32_e32 v7, 32, v7
	v_min_u32_e32 v1, v1, v7
	v_lshlrev_b64 v[5:6], v1, v[5:6]
	v_sub_u32_e32 v1, 32, v1
	v_min_u32_e32 v5, 1, v5
	v_or_b32_e32 v5, v6, v5
	v_cvt_f32_i32_e32 v5, v5
	v_ldexp_f32 v1, v5, v1
	v_bfe_u32 v5, v1, 16, 1
	v_add3_u32 v1, v1, v5, s2
	v_lshrrev_b32_e32 v5, 16, v1
	s_mov_b64 s[2:3], 0
	s_branch .LBB199_926
.LBB199_923:
	s_mov_b64 s[2:3], -1
                                        ; implicit-def: $vgpr5
	s_branch .LBB199_932
.LBB199_924:
	s_mov_b64 s[2:3], -1
                                        ; implicit-def: $vgpr5
	s_branch .LBB199_929
.LBB199_925:
	s_mov_b64 s[2:3], -1
                                        ; implicit-def: $vgpr5
.LBB199_926:
	s_andn2_b64 vcc, exec, s[2:3]
	s_cbranch_vccnz .LBB199_928
; %bb.927:
	global_load_dword v1, v[3:4], off
	s_movk_i32 s2, 0x7fff
	s_waitcnt vmcnt(0)
	v_cvt_f32_i32_e32 v1, v1
	v_bfe_u32 v5, v1, 16, 1
	v_add3_u32 v1, v1, v5, s2
	v_lshrrev_b32_e32 v5, 16, v1
.LBB199_928:
	s_mov_b64 s[2:3], 0
.LBB199_929:
	s_andn2_b64 vcc, exec, s[2:3]
	s_cbranch_vccnz .LBB199_931
; %bb.930:
	global_load_sshort v1, v[3:4], off
	s_movk_i32 s2, 0x7fff
	s_waitcnt vmcnt(0)
	v_cvt_f32_i32_e32 v1, v1
	v_bfe_u32 v5, v1, 16, 1
	v_add3_u32 v1, v1, v5, s2
	v_lshrrev_b32_e32 v5, 16, v1
.LBB199_931:
	s_mov_b64 s[2:3], 0
.LBB199_932:
	s_andn2_b64 vcc, exec, s[2:3]
	s_cbranch_vccnz .LBB199_938
; %bb.933:
	s_cmp_gt_i32 s6, 0
	s_cbranch_scc0 .LBB199_935
; %bb.934:
	global_load_sbyte v1, v[3:4], off
	s_movk_i32 s2, 0x7fff
	s_waitcnt vmcnt(0)
	v_cvt_f32_i32_e32 v1, v1
	v_bfe_u32 v5, v1, 16, 1
	v_add3_u32 v1, v1, v5, s2
	v_lshrrev_b32_e32 v5, 16, v1
	s_mov_b64 s[2:3], 0
	s_branch .LBB199_936
.LBB199_935:
	s_mov_b64 s[2:3], -1
                                        ; implicit-def: $vgpr5
.LBB199_936:
	s_andn2_b64 vcc, exec, s[2:3]
	s_cbranch_vccnz .LBB199_938
; %bb.937:
	global_load_ubyte v1, v[3:4], off
	s_movk_i32 s2, 0x7fff
	s_waitcnt vmcnt(0)
	v_cvt_f32_ubyte0_e32 v1, v1
	v_bfe_u32 v3, v1, 16, 1
	v_add3_u32 v1, v1, v3, s2
	v_lshrrev_b32_e32 v5, 16, v1
.LBB199_938:
	s_mov_b64 s[2:3], -1
.LBB199_939:
	s_andn2_b64 vcc, exec, s[2:3]
	s_cbranch_vccnz .LBB199_947
; %bb.940:
	v_mov_b32_e32 v3, s13
	s_and_b32 s14, s73, 0xff
	v_add_co_u32_e32 v1, vcc, s12, v2
	s_cmp_lt_i32 s14, 11
	v_addc_co_u32_e32 v2, vcc, 0, v3, vcc
	s_cbranch_scc1 .LBB199_949
; %bb.941:
	s_and_b32 s66, 0xffff, s14
	s_cmp_gt_i32 s66, 25
	s_cbranch_scc0 .LBB199_950
; %bb.942:
	s_cmp_gt_i32 s66, 28
	s_cbranch_scc0 .LBB199_951
; %bb.943:
	;; [unrolled: 3-line block ×4, first 2 shown]
	s_cmp_eq_u32 s66, 46
	s_mov_b64 s[6:7], 0
	s_cbranch_scc0 .LBB199_956
; %bb.946:
	global_load_dword v3, v[1:2], off
	s_mov_b64 s[2:3], -1
	s_mov_b64 s[62:63], 0
	s_branch .LBB199_957
.LBB199_947:
	s_mov_b64 s[66:67], 0
	s_mov_b64 s[6:7], s[54:55]
	;; [unrolled: 1-line block ×3, first 2 shown]
.LBB199_948:
                                        ; implicit-def: $vgpr8
	s_branch .LBB199_1195
.LBB199_949:
	s_mov_b64 s[6:7], -1
	s_mov_b64 s[2:3], 0
                                        ; implicit-def: $vgpr3
	s_mov_b64 s[62:63], s[52:53]
	s_branch .LBB199_1022
.LBB199_950:
	s_mov_b64 s[6:7], -1
	s_mov_b64 s[2:3], 0
	s_mov_b64 s[62:63], s[52:53]
                                        ; implicit-def: $vgpr3
	s_branch .LBB199_986
.LBB199_951:
	s_mov_b64 s[6:7], -1
	s_mov_b64 s[2:3], 0
	s_mov_b64 s[62:63], s[52:53]
                                        ; implicit-def: $vgpr3
	s_branch .LBB199_967
.LBB199_952:
	s_mov_b64 s[6:7], -1
	s_mov_b64 s[2:3], 0
	s_mov_b64 s[62:63], s[52:53]
                                        ; implicit-def: $vgpr3
	s_branch .LBB199_962
.LBB199_953:
	s_mov_b64 s[6:7], -1
	s_mov_b64 s[2:3], 0
	s_mov_b64 s[62:63], s[52:53]
                                        ; implicit-def: $vgpr3
	s_branch .LBB199_957
.LBB199_954:
	s_andn2_saveexec_b64 s[60:61], s[60:61]
	s_cbranch_execz .LBB199_718
.LBB199_955:
	v_add_f32_e32 v2, 0x42800000, v3
	v_and_b32_e32 v2, 0xff, v2
	v_cmp_ne_u32_e32 vcc, 0, v2
	s_andn2_b64 s[58:59], s[58:59], exec
	s_and_b64 s[64:65], vcc, exec
	s_or_b64 s[58:59], s[58:59], s[64:65]
	s_or_b64 exec, exec, s[60:61]
	v_mov_b32_e32 v4, 0
	s_and_saveexec_b64 s[60:61], s[58:59]
	s_cbranch_execnz .LBB199_719
	s_branch .LBB199_720
.LBB199_956:
	s_mov_b64 s[62:63], -1
                                        ; implicit-def: $vgpr3
	s_mov_b64 s[2:3], 0
.LBB199_957:
	s_and_b64 vcc, exec, s[6:7]
	s_cbranch_vccz .LBB199_961
; %bb.958:
	s_cmp_eq_u32 s66, 44
	s_cbranch_scc0 .LBB199_960
; %bb.959:
	global_load_ubyte v3, v[1:2], off
	s_movk_i32 s6, 0xff
	v_mov_b32_e32 v4, 0x7f800001
	v_mov_b32_e32 v6, 0x400000
	;; [unrolled: 1-line block ×3, first 2 shown]
	s_mov_b64 s[2:3], -1
	s_mov_b64 s[62:63], 0
	s_waitcnt vmcnt(0)
	v_lshlrev_b32_e32 v9, 23, v3
	v_cmp_ne_u32_e32 vcc, s6, v3
	v_cndmask_b32_e32 v4, v4, v9, vcc
	v_cmp_ne_u32_e32 vcc, 0, v3
	v_cndmask_b32_e32 v3, v6, v4, vcc
	v_add_u32_e32 v4, 0x7fff, v3
	v_cmp_o_f32_e32 vcc, v3, v3
	v_cndmask_b32_sdwa v3, v7, v4, vcc dst_sel:DWORD dst_unused:UNUSED_PAD src0_sel:DWORD src1_sel:WORD_1
	s_branch .LBB199_961
.LBB199_960:
	s_mov_b64 s[62:63], -1
                                        ; implicit-def: $vgpr3
.LBB199_961:
	s_mov_b64 s[6:7], 0
.LBB199_962:
	s_and_b64 vcc, exec, s[6:7]
	s_cbranch_vccz .LBB199_966
; %bb.963:
	s_cmp_eq_u32 s66, 29
	s_cbranch_scc0 .LBB199_965
; %bb.964:
	global_load_dwordx2 v[3:4], v[1:2], off
	s_movk_i32 s6, 0x7fff
	s_mov_b64 s[2:3], -1
	s_mov_b64 s[62:63], 0
	s_waitcnt vmcnt(0)
	v_ffbh_u32_e32 v6, v4
	v_min_u32_e32 v6, 32, v6
	v_lshlrev_b64 v[3:4], v6, v[3:4]
	v_min_u32_e32 v3, 1, v3
	v_or_b32_e32 v3, v4, v3
	v_cvt_f32_u32_e32 v3, v3
	v_sub_u32_e32 v4, 32, v6
	v_ldexp_f32 v3, v3, v4
	v_bfe_u32 v4, v3, 16, 1
	v_add3_u32 v3, v3, v4, s6
	v_lshrrev_b32_e32 v3, 16, v3
	s_branch .LBB199_966
.LBB199_965:
	s_mov_b64 s[62:63], -1
                                        ; implicit-def: $vgpr3
.LBB199_966:
	s_mov_b64 s[6:7], 0
.LBB199_967:
	s_and_b64 vcc, exec, s[6:7]
	s_cbranch_vccz .LBB199_985
; %bb.968:
	s_cmp_lt_i32 s66, 27
	s_cbranch_scc1 .LBB199_971
; %bb.969:
	s_cmp_gt_i32 s66, 27
	s_cbranch_scc0 .LBB199_972
; %bb.970:
	global_load_dword v3, v[1:2], off
	s_movk_i32 s2, 0x7fff
	s_waitcnt vmcnt(0)
	v_cvt_f32_u32_e32 v3, v3
	v_bfe_u32 v4, v3, 16, 1
	v_add3_u32 v3, v3, v4, s2
	v_lshrrev_b32_e32 v3, 16, v3
	s_mov_b64 s[2:3], 0
	s_branch .LBB199_973
.LBB199_971:
	s_mov_b64 s[2:3], -1
                                        ; implicit-def: $vgpr3
	s_branch .LBB199_976
.LBB199_972:
	s_mov_b64 s[2:3], -1
                                        ; implicit-def: $vgpr3
.LBB199_973:
	s_andn2_b64 vcc, exec, s[2:3]
	s_cbranch_vccnz .LBB199_975
; %bb.974:
	global_load_ushort v3, v[1:2], off
	s_movk_i32 s2, 0x7fff
	s_waitcnt vmcnt(0)
	v_cvt_f32_u32_e32 v3, v3
	v_bfe_u32 v4, v3, 16, 1
	v_add3_u32 v3, v3, v4, s2
	v_lshrrev_b32_e32 v3, 16, v3
.LBB199_975:
	s_mov_b64 s[2:3], 0
.LBB199_976:
	s_andn2_b64 vcc, exec, s[2:3]
	s_cbranch_vccnz .LBB199_984
; %bb.977:
	global_load_ubyte v3, v[1:2], off
	s_movk_i32 s2, 0x7f
	s_waitcnt vmcnt(0)
	v_cmp_lt_i16_e32 vcc, s2, v3
	s_mov_b64 s[2:3], 0
	s_and_saveexec_b64 s[6:7], vcc
	s_xor_b64 s[6:7], exec, s[6:7]
	s_cbranch_execz .LBB199_998
; %bb.978:
	s_movk_i32 s2, 0x80
	v_cmp_eq_u16_e32 vcc, s2, v3
	s_mov_b64 s[2:3], -1
	s_and_saveexec_b64 s[64:65], vcc
; %bb.979:
	s_xor_b64 s[2:3], exec, -1
; %bb.980:
	s_or_b64 exec, exec, s[64:65]
	s_and_b64 s[2:3], s[2:3], exec
	s_or_saveexec_b64 s[6:7], s[6:7]
	v_mov_b32_e32 v4, 0x7f800001
	s_xor_b64 exec, exec, s[6:7]
	s_cbranch_execnz .LBB199_999
.LBB199_981:
	s_or_b64 exec, exec, s[6:7]
	s_and_saveexec_b64 s[6:7], s[2:3]
	s_cbranch_execz .LBB199_983
.LBB199_982:
	v_lshlrev_b32_e32 v4, 24, v3
	v_and_b32_e32 v3, 0xffff, v3
	v_and_b32_e32 v6, 7, v3
	v_ffbh_u32_e32 v9, v6
	v_min_u32_e32 v9, 32, v9
	v_subrev_u32_e32 v10, 28, v9
	v_bfe_u32 v7, v3, 3, 4
	v_lshlrev_b32_e32 v3, v10, v3
	v_sub_u32_e32 v9, 29, v9
	v_and_b32_e32 v3, 7, v3
	v_cmp_eq_u32_e32 vcc, 0, v7
	v_cndmask_b32_e32 v7, v7, v9, vcc
	v_cndmask_b32_e32 v3, v6, v3, vcc
	v_mov_b32_e32 v6, 0x3b800000
	v_lshlrev_b32_e32 v3, 20, v3
	v_and_b32_e32 v4, 0x80000000, v4
	v_lshl_add_u32 v6, v7, 23, v6
	v_or3_b32 v4, v4, v6, v3
.LBB199_983:
	s_or_b64 exec, exec, s[6:7]
	v_bfe_u32 v3, v4, 16, 1
	s_movk_i32 s2, 0x7fff
	v_add3_u32 v3, v4, v3, s2
	v_cmp_o_f32_e32 vcc, v4, v4
	v_mov_b32_e32 v4, 0x7fc0
	v_cndmask_b32_sdwa v3, v4, v3, vcc dst_sel:DWORD dst_unused:UNUSED_PAD src0_sel:DWORD src1_sel:WORD_1
.LBB199_984:
	s_mov_b64 s[2:3], -1
.LBB199_985:
	s_mov_b64 s[6:7], 0
.LBB199_986:
	s_and_b64 vcc, exec, s[6:7]
	s_cbranch_vccz .LBB199_1021
; %bb.987:
	s_cmp_gt_i32 s66, 22
	s_cbranch_scc0 .LBB199_997
; %bb.988:
	s_cmp_lt_i32 s66, 24
	s_cbranch_scc1 .LBB199_1000
; %bb.989:
	s_cmp_gt_i32 s66, 24
	s_cbranch_scc0 .LBB199_1001
; %bb.990:
	global_load_ubyte v3, v[1:2], off
	s_movk_i32 s2, 0x7f
	s_waitcnt vmcnt(0)
	v_cmp_lt_i16_e32 vcc, s2, v3
	s_mov_b64 s[2:3], 0
	s_and_saveexec_b64 s[6:7], vcc
	s_xor_b64 s[6:7], exec, s[6:7]
	s_cbranch_execz .LBB199_1013
; %bb.991:
	s_movk_i32 s2, 0x80
	v_cmp_eq_u16_e32 vcc, s2, v3
	s_mov_b64 s[2:3], -1
	s_and_saveexec_b64 s[64:65], vcc
; %bb.992:
	s_xor_b64 s[2:3], exec, -1
; %bb.993:
	s_or_b64 exec, exec, s[64:65]
	s_and_b64 s[2:3], s[2:3], exec
	s_or_saveexec_b64 s[6:7], s[6:7]
	v_mov_b32_e32 v4, 0x7f800001
	s_xor_b64 exec, exec, s[6:7]
	s_cbranch_execnz .LBB199_1014
.LBB199_994:
	s_or_b64 exec, exec, s[6:7]
	s_and_saveexec_b64 s[6:7], s[2:3]
	s_cbranch_execz .LBB199_996
.LBB199_995:
	v_lshlrev_b32_e32 v4, 24, v3
	v_and_b32_e32 v3, 0xffff, v3
	v_and_b32_e32 v6, 3, v3
	v_ffbh_u32_e32 v9, v6
	v_min_u32_e32 v9, 32, v9
	v_subrev_u32_e32 v10, 29, v9
	v_bfe_u32 v7, v3, 2, 5
	v_lshlrev_b32_e32 v3, v10, v3
	v_sub_u32_e32 v9, 30, v9
	v_and_b32_e32 v3, 3, v3
	v_cmp_eq_u32_e32 vcc, 0, v7
	v_cndmask_b32_e32 v7, v7, v9, vcc
	v_cndmask_b32_e32 v3, v6, v3, vcc
	v_mov_b32_e32 v6, 0x37800000
	v_lshlrev_b32_e32 v3, 21, v3
	v_and_b32_e32 v4, 0x80000000, v4
	v_lshl_add_u32 v6, v7, 23, v6
	v_or3_b32 v4, v4, v6, v3
.LBB199_996:
	s_or_b64 exec, exec, s[6:7]
	v_bfe_u32 v3, v4, 16, 1
	s_movk_i32 s2, 0x7fff
	v_add3_u32 v3, v4, v3, s2
	v_cmp_o_f32_e32 vcc, v4, v4
	v_mov_b32_e32 v4, 0x7fc0
	v_cndmask_b32_sdwa v3, v4, v3, vcc dst_sel:DWORD dst_unused:UNUSED_PAD src0_sel:DWORD src1_sel:WORD_1
	s_mov_b64 s[2:3], 0
	s_branch .LBB199_1002
.LBB199_997:
	s_mov_b64 s[6:7], -1
                                        ; implicit-def: $vgpr3
	s_branch .LBB199_1008
.LBB199_998:
	s_or_saveexec_b64 s[6:7], s[6:7]
	v_mov_b32_e32 v4, 0x7f800001
	s_xor_b64 exec, exec, s[6:7]
	s_cbranch_execz .LBB199_981
.LBB199_999:
	v_cmp_ne_u16_e32 vcc, 0, v3
	s_andn2_b64 s[2:3], s[2:3], exec
	s_and_b64 s[64:65], vcc, exec
	v_mov_b32_e32 v4, 0
	s_or_b64 s[2:3], s[2:3], s[64:65]
	s_or_b64 exec, exec, s[6:7]
	s_and_saveexec_b64 s[6:7], s[2:3]
	s_cbranch_execnz .LBB199_982
	s_branch .LBB199_983
.LBB199_1000:
	s_mov_b64 s[2:3], -1
                                        ; implicit-def: $vgpr3
	s_branch .LBB199_1005
.LBB199_1001:
	s_mov_b64 s[2:3], -1
                                        ; implicit-def: $vgpr3
.LBB199_1002:
	s_and_b64 vcc, exec, s[2:3]
	s_cbranch_vccz .LBB199_1004
; %bb.1003:
	global_load_ubyte v3, v[1:2], off
	s_mov_b32 s2, 0x7f800000
	s_brev_b32 s3, 1
	s_movk_i32 s6, 0x7fff
	s_waitcnt vmcnt(0)
	v_lshlrev_b32_e32 v3, 24, v3
	v_and_b32_e32 v4, 0x7f000000, v3
	v_ffbh_u32_e32 v6, v4
	v_min_u32_e32 v6, 32, v6
	v_sub_u32_e64 v6, v6, 4 clamp
	v_lshlrev_b32_e32 v9, v6, v4
	v_lshlrev_b32_e32 v6, 23, v6
	v_lshrrev_b32_e32 v9, 4, v9
	v_add_u32_e32 v7, 0x1000000, v4
	v_sub_u32_e32 v6, v9, v6
	v_ashrrev_i32_e32 v7, 8, v7
	v_add_u32_e32 v6, 0x3c000000, v6
	v_and_or_b32 v6, v7, s2, v6
	v_cmp_ne_u32_e32 vcc, 0, v4
	v_cndmask_b32_e32 v4, 0, v6, vcc
	v_and_or_b32 v3, v3, s3, v4
	v_bfe_u32 v4, v4, 16, 1
	v_add3_u32 v4, v3, v4, s6
	v_cmp_o_f32_e32 vcc, v3, v3
	v_mov_b32_e32 v3, 0x7fc0
	v_cndmask_b32_sdwa v3, v3, v4, vcc dst_sel:DWORD dst_unused:UNUSED_PAD src0_sel:DWORD src1_sel:WORD_1
.LBB199_1004:
	s_mov_b64 s[2:3], 0
.LBB199_1005:
	s_andn2_b64 vcc, exec, s[2:3]
	s_cbranch_vccnz .LBB199_1007
; %bb.1006:
	global_load_ubyte v3, v[1:2], off
	s_movk_i32 s2, 0x7f00
	s_brev_b32 s3, 16
	s_brev_b32 s6, 1
	s_movk_i32 s7, 0x7fff
	s_waitcnt vmcnt(0)
	v_lshlrev_b16_e32 v4, 8, v3
	v_lshlrev_b32_e32 v3, 25, v3
	v_lshrrev_b32_e32 v6, 4, v3
	v_and_or_b32 v7, v4, s2, 0.5
	v_or_b32_e32 v6, 0x70000000, v6
	v_add_f32_e32 v7, -0.5, v7
	v_mul_f32_e32 v6, 0x7800000, v6
	v_cmp_gt_u32_e32 vcc, s3, v3
	v_bfe_i32 v4, v4, 0, 16
	v_cndmask_b32_e32 v3, v6, v7, vcc
	v_and_or_b32 v4, v4, s6, v3
	v_bfe_u32 v3, v3, 16, 1
	v_add3_u32 v3, v4, v3, s7
	v_cmp_o_f32_e32 vcc, v4, v4
	v_mov_b32_e32 v4, 0x7fc0
	v_cndmask_b32_sdwa v3, v4, v3, vcc dst_sel:DWORD dst_unused:UNUSED_PAD src0_sel:DWORD src1_sel:WORD_1
.LBB199_1007:
	s_mov_b64 s[6:7], 0
	s_mov_b64 s[2:3], -1
.LBB199_1008:
	s_andn2_b64 vcc, exec, s[6:7]
	s_cbranch_vccnz .LBB199_1021
; %bb.1009:
	s_cmp_gt_i32 s66, 14
	s_cbranch_scc0 .LBB199_1012
; %bb.1010:
	s_cmp_eq_u32 s66, 15
	s_cbranch_scc0 .LBB199_1015
; %bb.1011:
	global_load_ushort v3, v[1:2], off
	s_mov_b64 s[2:3], -1
	s_mov_b64 s[62:63], 0
	s_branch .LBB199_1016
.LBB199_1012:
	s_mov_b64 s[6:7], -1
                                        ; implicit-def: $vgpr3
	s_branch .LBB199_1017
.LBB199_1013:
	s_or_saveexec_b64 s[6:7], s[6:7]
	v_mov_b32_e32 v4, 0x7f800001
	s_xor_b64 exec, exec, s[6:7]
	s_cbranch_execz .LBB199_994
.LBB199_1014:
	v_cmp_ne_u16_e32 vcc, 0, v3
	s_andn2_b64 s[2:3], s[2:3], exec
	s_and_b64 s[64:65], vcc, exec
	v_mov_b32_e32 v4, 0
	s_or_b64 s[2:3], s[2:3], s[64:65]
	s_or_b64 exec, exec, s[6:7]
	s_and_saveexec_b64 s[6:7], s[2:3]
	s_cbranch_execnz .LBB199_995
	s_branch .LBB199_996
.LBB199_1015:
	s_mov_b64 s[62:63], -1
                                        ; implicit-def: $vgpr3
.LBB199_1016:
	s_mov_b64 s[6:7], 0
.LBB199_1017:
	s_and_b64 vcc, exec, s[6:7]
	s_cbranch_vccz .LBB199_1021
; %bb.1018:
	s_cmp_eq_u32 s66, 11
	s_cbranch_scc0 .LBB199_1020
; %bb.1019:
	global_load_ubyte v3, v[1:2], off
	s_mov_b64 s[2:3], -1
	s_mov_b64 s[62:63], 0
	s_waitcnt vmcnt(0)
	v_cmp_ne_u16_e32 vcc, 0, v3
	v_cndmask_b32_e64 v3, 0, 1.0, vcc
	v_lshrrev_b32_e32 v3, 16, v3
	s_branch .LBB199_1021
.LBB199_1020:
	s_mov_b64 s[62:63], -1
                                        ; implicit-def: $vgpr3
.LBB199_1021:
	s_mov_b64 s[6:7], 0
.LBB199_1022:
	s_and_b64 vcc, exec, s[6:7]
	s_cbranch_vccz .LBB199_1071
; %bb.1023:
	s_and_b32 s6, 0xffff, s14
	s_cmp_lt_i32 s6, 5
	s_cbranch_scc1 .LBB199_1028
; %bb.1024:
	s_cmp_lt_i32 s6, 8
	s_cbranch_scc1 .LBB199_1029
; %bb.1025:
	;; [unrolled: 3-line block ×3, first 2 shown]
	s_cmp_gt_i32 s6, 9
	s_cbranch_scc0 .LBB199_1031
; %bb.1027:
	global_load_dwordx2 v[3:4], v[1:2], off
	s_movk_i32 s2, 0x7fff
	s_waitcnt vmcnt(0)
	v_cvt_f32_f64_e32 v3, v[3:4]
	v_mov_b32_e32 v4, 0x7fc0
	v_bfe_u32 v6, v3, 16, 1
	v_cmp_o_f32_e32 vcc, v3, v3
	v_add3_u32 v3, v3, v6, s2
	v_cndmask_b32_sdwa v3, v4, v3, vcc dst_sel:DWORD dst_unused:UNUSED_PAD src0_sel:DWORD src1_sel:WORD_1
	s_mov_b64 s[2:3], 0
	s_branch .LBB199_1032
.LBB199_1028:
	s_mov_b64 s[2:3], -1
                                        ; implicit-def: $vgpr3
	s_branch .LBB199_1050
.LBB199_1029:
	s_mov_b64 s[2:3], -1
                                        ; implicit-def: $vgpr3
	s_branch .LBB199_1038
.LBB199_1030:
	s_mov_b64 s[2:3], -1
                                        ; implicit-def: $vgpr3
	s_branch .LBB199_1035
.LBB199_1031:
	s_mov_b64 s[2:3], -1
                                        ; implicit-def: $vgpr3
.LBB199_1032:
	s_andn2_b64 vcc, exec, s[2:3]
	s_cbranch_vccnz .LBB199_1034
; %bb.1033:
	global_load_dword v3, v[1:2], off
	s_movk_i32 s2, 0x7fff
	v_mov_b32_e32 v4, 0x7fc0
	s_waitcnt vmcnt(0)
	v_bfe_u32 v6, v3, 16, 1
	v_cmp_o_f32_e32 vcc, v3, v3
	v_add3_u32 v3, v3, v6, s2
	v_cndmask_b32_sdwa v3, v4, v3, vcc dst_sel:DWORD dst_unused:UNUSED_PAD src0_sel:DWORD src1_sel:WORD_1
.LBB199_1034:
	s_mov_b64 s[2:3], 0
.LBB199_1035:
	s_andn2_b64 vcc, exec, s[2:3]
	s_cbranch_vccnz .LBB199_1037
; %bb.1036:
	global_load_dword v3, v[1:2], off
	s_movk_i32 s2, 0x7fff
	v_mov_b32_e32 v6, 0x7fc0
	s_waitcnt vmcnt(0)
	v_cvt_f32_f16_e32 v4, v3
	v_cmp_o_f16_e32 vcc, v3, v3
	v_bfe_u32 v3, v4, 16, 1
	v_add3_u32 v3, v4, v3, s2
	v_cndmask_b32_sdwa v3, v6, v3, vcc dst_sel:DWORD dst_unused:UNUSED_PAD src0_sel:DWORD src1_sel:WORD_1
.LBB199_1037:
	s_mov_b64 s[2:3], 0
.LBB199_1038:
	s_andn2_b64 vcc, exec, s[2:3]
	s_cbranch_vccnz .LBB199_1049
; %bb.1039:
	s_cmp_lt_i32 s6, 6
	s_cbranch_scc1 .LBB199_1042
; %bb.1040:
	s_cmp_gt_i32 s6, 6
	s_cbranch_scc0 .LBB199_1043
; %bb.1041:
	global_load_dwordx2 v[3:4], v[1:2], off
	s_movk_i32 s2, 0x7fff
	s_waitcnt vmcnt(0)
	v_cvt_f32_f64_e32 v3, v[3:4]
	v_mov_b32_e32 v4, 0x7fc0
	v_bfe_u32 v6, v3, 16, 1
	v_cmp_o_f32_e32 vcc, v3, v3
	v_add3_u32 v3, v3, v6, s2
	v_cndmask_b32_sdwa v3, v4, v3, vcc dst_sel:DWORD dst_unused:UNUSED_PAD src0_sel:DWORD src1_sel:WORD_1
	s_mov_b64 s[2:3], 0
	s_branch .LBB199_1044
.LBB199_1042:
	s_mov_b64 s[2:3], -1
                                        ; implicit-def: $vgpr3
	s_branch .LBB199_1047
.LBB199_1043:
	s_mov_b64 s[2:3], -1
                                        ; implicit-def: $vgpr3
.LBB199_1044:
	s_andn2_b64 vcc, exec, s[2:3]
	s_cbranch_vccnz .LBB199_1046
; %bb.1045:
	global_load_dword v3, v[1:2], off
	s_movk_i32 s2, 0x7fff
	v_mov_b32_e32 v4, 0x7fc0
	s_waitcnt vmcnt(0)
	v_bfe_u32 v6, v3, 16, 1
	v_cmp_o_f32_e32 vcc, v3, v3
	v_add3_u32 v3, v3, v6, s2
	v_cndmask_b32_sdwa v3, v4, v3, vcc dst_sel:DWORD dst_unused:UNUSED_PAD src0_sel:DWORD src1_sel:WORD_1
.LBB199_1046:
	s_mov_b64 s[2:3], 0
.LBB199_1047:
	s_andn2_b64 vcc, exec, s[2:3]
	s_cbranch_vccnz .LBB199_1049
; %bb.1048:
	global_load_ushort v3, v[1:2], off
	s_movk_i32 s2, 0x7fff
	v_mov_b32_e32 v6, 0x7fc0
	s_waitcnt vmcnt(0)
	v_cvt_f32_f16_e32 v4, v3
	v_cmp_o_f16_e32 vcc, v3, v3
	v_bfe_u32 v3, v4, 16, 1
	v_add3_u32 v3, v4, v3, s2
	v_cndmask_b32_sdwa v3, v6, v3, vcc dst_sel:DWORD dst_unused:UNUSED_PAD src0_sel:DWORD src1_sel:WORD_1
.LBB199_1049:
	s_mov_b64 s[2:3], 0
.LBB199_1050:
	s_andn2_b64 vcc, exec, s[2:3]
	s_cbranch_vccnz .LBB199_1070
; %bb.1051:
	s_cmp_lt_i32 s6, 2
	s_cbranch_scc1 .LBB199_1055
; %bb.1052:
	s_cmp_lt_i32 s6, 3
	s_cbranch_scc1 .LBB199_1056
; %bb.1053:
	s_cmp_gt_i32 s6, 3
	s_cbranch_scc0 .LBB199_1057
; %bb.1054:
	global_load_dwordx2 v[3:4], v[1:2], off
	s_movk_i32 s2, 0x7fff
	s_waitcnt vmcnt(0)
	v_xor_b32_e32 v7, v3, v4
	v_ffbh_i32_e32 v6, v4
	v_ashrrev_i32_e32 v7, 31, v7
	v_add_u32_e32 v6, -1, v6
	v_add_u32_e32 v7, 32, v7
	v_min_u32_e32 v6, v6, v7
	v_lshlrev_b64 v[3:4], v6, v[3:4]
	v_min_u32_e32 v3, 1, v3
	v_or_b32_e32 v3, v4, v3
	v_cvt_f32_i32_e32 v3, v3
	v_sub_u32_e32 v4, 32, v6
	v_ldexp_f32 v3, v3, v4
	v_bfe_u32 v4, v3, 16, 1
	v_add3_u32 v3, v3, v4, s2
	v_lshrrev_b32_e32 v3, 16, v3
	s_mov_b64 s[2:3], 0
	s_branch .LBB199_1058
.LBB199_1055:
	s_mov_b64 s[2:3], -1
                                        ; implicit-def: $vgpr3
	s_branch .LBB199_1064
.LBB199_1056:
	s_mov_b64 s[2:3], -1
                                        ; implicit-def: $vgpr3
	s_branch .LBB199_1061
.LBB199_1057:
	s_mov_b64 s[2:3], -1
                                        ; implicit-def: $vgpr3
.LBB199_1058:
	s_andn2_b64 vcc, exec, s[2:3]
	s_cbranch_vccnz .LBB199_1060
; %bb.1059:
	global_load_dword v3, v[1:2], off
	s_movk_i32 s2, 0x7fff
	s_waitcnt vmcnt(0)
	v_cvt_f32_i32_e32 v3, v3
	v_bfe_u32 v4, v3, 16, 1
	v_add3_u32 v3, v3, v4, s2
	v_lshrrev_b32_e32 v3, 16, v3
.LBB199_1060:
	s_mov_b64 s[2:3], 0
.LBB199_1061:
	s_andn2_b64 vcc, exec, s[2:3]
	s_cbranch_vccnz .LBB199_1063
; %bb.1062:
	global_load_sshort v3, v[1:2], off
	s_movk_i32 s2, 0x7fff
	s_waitcnt vmcnt(0)
	v_cvt_f32_i32_e32 v3, v3
	v_bfe_u32 v4, v3, 16, 1
	v_add3_u32 v3, v3, v4, s2
	v_lshrrev_b32_e32 v3, 16, v3
.LBB199_1063:
	s_mov_b64 s[2:3], 0
.LBB199_1064:
	s_andn2_b64 vcc, exec, s[2:3]
	s_cbranch_vccnz .LBB199_1070
; %bb.1065:
	s_cmp_gt_i32 s6, 0
	s_cbranch_scc0 .LBB199_1067
; %bb.1066:
	global_load_sbyte v3, v[1:2], off
	s_movk_i32 s2, 0x7fff
	s_waitcnt vmcnt(0)
	v_cvt_f32_i32_e32 v3, v3
	v_bfe_u32 v4, v3, 16, 1
	v_add3_u32 v3, v3, v4, s2
	v_lshrrev_b32_e32 v3, 16, v3
	s_mov_b64 s[2:3], 0
	s_branch .LBB199_1068
.LBB199_1067:
	s_mov_b64 s[2:3], -1
                                        ; implicit-def: $vgpr3
.LBB199_1068:
	s_andn2_b64 vcc, exec, s[2:3]
	s_cbranch_vccnz .LBB199_1070
; %bb.1069:
	global_load_ubyte v1, v[1:2], off
	s_movk_i32 s2, 0x7fff
	s_waitcnt vmcnt(0)
	v_cvt_f32_ubyte0_e32 v1, v1
	v_bfe_u32 v2, v1, 16, 1
	v_add3_u32 v1, v1, v2, s2
	v_lshrrev_b32_e32 v3, 16, v1
.LBB199_1070:
	s_mov_b64 s[2:3], -1
.LBB199_1071:
	s_andn2_b64 vcc, exec, s[2:3]
	s_cbranch_vccnz .LBB199_1079
; %bb.1072:
	s_waitcnt vmcnt(0)
	v_lshlrev_b32_e32 v1, 16, v5
	v_lshlrev_b32_e32 v2, 16, v3
	v_cmp_eq_f32_e32 vcc, v1, v2
	v_cndmask_b32_e64 v3, 0, 1, vcc
	v_cmp_neq_f32_e32 vcc, v1, v2
	v_cndmask_b32_e64 v1, 0, 1, vcc
	v_cndmask_b32_e64 v1, v1, v3, s[0:1]
	v_and_b32_e32 v1, 1, v1
	v_cmp_eq_u32_e64 s[2:3], 1, v1
	v_mov_b32_e32 v1, s9
	s_and_b32 s14, s15, 0xff
	v_add_co_u32_e32 v0, vcc, s8, v0
	s_cmp_lt_i32 s14, 11
	v_addc_co_u32_e32 v1, vcc, 0, v1, vcc
	s_cbranch_scc1 .LBB199_1080
; %bb.1073:
	s_and_b32 s71, 0xffff, s14
	s_cmp_gt_i32 s71, 25
	s_cbranch_scc0 .LBB199_1081
; %bb.1074:
	s_cmp_gt_i32 s71, 28
	s_cbranch_scc0 .LBB199_1082
; %bb.1075:
	;; [unrolled: 3-line block ×4, first 2 shown]
	s_mov_b64 s[66:67], 0
	s_mov_b64 s[6:7], -1
	s_cmp_eq_u32 s71, 46
	s_mov_b64 s[64:65], 0
	s_cbranch_scc0 .LBB199_1085
; %bb.1078:
	v_cndmask_b32_e64 v2, 0, 1.0, s[2:3]
	v_bfe_u32 v3, v2, 16, 1
	s_movk_i32 s6, 0x7fff
	v_add3_u32 v2, v2, v3, s6
	v_lshrrev_b32_e32 v2, 16, v2
	global_store_dword v[0:1], v2, off
	s_mov_b64 s[64:65], -1
	s_mov_b64 s[6:7], 0
	s_branch .LBB199_1085
.LBB199_1079:
	s_mov_b64 s[66:67], 0
                                        ; implicit-def: $vgpr8
	s_mov_b64 s[6:7], s[54:55]
	s_branch .LBB199_1195
.LBB199_1080:
	s_mov_b64 s[66:67], -1
	s_mov_b64 s[64:65], 0
	s_mov_b64 s[6:7], s[54:55]
	s_branch .LBB199_1154
.LBB199_1081:
	s_mov_b64 s[66:67], -1
	s_mov_b64 s[64:65], 0
	s_mov_b64 s[6:7], s[54:55]
	s_branch .LBB199_1112
.LBB199_1082:
	s_mov_b64 s[66:67], -1
	s_mov_b64 s[64:65], 0
	s_mov_b64 s[6:7], s[54:55]
	s_branch .LBB199_1095
.LBB199_1083:
	s_mov_b64 s[66:67], -1
	s_mov_b64 s[64:65], 0
	s_mov_b64 s[6:7], s[54:55]
	s_branch .LBB199_1091
.LBB199_1084:
	s_mov_b64 s[66:67], -1
	s_mov_b64 s[64:65], 0
	s_mov_b64 s[6:7], s[54:55]
.LBB199_1085:
	s_and_b64 vcc, exec, s[66:67]
	s_cbranch_vccz .LBB199_1090
; %bb.1086:
	s_cmp_eq_u32 s71, 44
	s_mov_b64 s[6:7], -1
	s_cbranch_scc0 .LBB199_1090
; %bb.1087:
	v_cndmask_b32_e64 v3, 0, 1.0, s[2:3]
	v_lshrrev_b32_e32 v2, 23, v3
	s_movk_i32 s6, 0xff
	v_cmp_ne_u32_e32 vcc, s6, v2
	v_mov_b32_e32 v4, 0xff
	s_and_saveexec_b64 s[64:65], vcc
; %bb.1088:
	s_mov_b32 s6, 0x3fffff
	v_and_b32_e32 v4, 0x400000, v3
	v_and_or_b32 v3, v3, s6, v2
	v_cmp_ne_u32_e32 vcc, 0, v4
	v_cmp_ne_u32_e64 s[6:7], 0, v3
	s_and_b64 s[6:7], vcc, s[6:7]
	v_cndmask_b32_e64 v3, 0, 1, s[6:7]
	v_add_u32_e32 v4, v2, v3
; %bb.1089:
	s_or_b64 exec, exec, s[64:65]
	s_mov_b64 s[64:65], -1
	s_mov_b64 s[6:7], 0
	global_store_byte v[0:1], v4, off
.LBB199_1090:
	s_mov_b64 s[66:67], 0
.LBB199_1091:
	s_and_b64 vcc, exec, s[66:67]
	s_cbranch_vccz .LBB199_1094
; %bb.1092:
	s_cmp_eq_u32 s71, 29
	s_mov_b64 s[6:7], -1
	s_cbranch_scc0 .LBB199_1094
; %bb.1093:
	s_mov_b32 s6, 0
	v_cndmask_b32_e64 v2, 0, 1, s[2:3]
	v_mov_b32_e32 v3, s6
	global_store_dwordx2 v[0:1], v[2:3], off
	s_mov_b64 s[64:65], -1
	s_mov_b64 s[6:7], 0
.LBB199_1094:
	s_mov_b64 s[66:67], 0
.LBB199_1095:
	s_and_b64 vcc, exec, s[66:67]
	s_cbranch_vccz .LBB199_1111
; %bb.1096:
	s_cmp_lt_i32 s71, 27
	s_mov_b64 s[64:65], -1
	s_cbranch_scc1 .LBB199_1102
; %bb.1097:
	s_cmp_gt_i32 s71, 27
	s_cbranch_scc0 .LBB199_1099
; %bb.1098:
	v_cndmask_b32_e64 v2, 0, 1, s[2:3]
	s_mov_b64 s[64:65], 0
	global_store_dword v[0:1], v2, off
.LBB199_1099:
	s_andn2_b64 vcc, exec, s[64:65]
	s_cbranch_vccnz .LBB199_1101
; %bb.1100:
	v_cndmask_b32_e64 v2, 0, 1, s[2:3]
	global_store_short v[0:1], v2, off
.LBB199_1101:
	s_mov_b64 s[64:65], 0
.LBB199_1102:
	s_andn2_b64 vcc, exec, s[64:65]
	s_cbranch_vccnz .LBB199_1110
; %bb.1103:
	v_cndmask_b32_e64 v3, 0, 1.0, s[2:3]
	s_mov_b32 s64, 0x43800000
	v_cmp_gt_u32_e32 vcc, s64, v3
	v_mov_b32_e32 v4, 0x80
	s_and_saveexec_b64 s[64:65], vcc
	s_cbranch_execz .LBB199_1109
; %bb.1104:
	s_mov_b32 s66, 0x3bffffff
	v_cmp_lt_u32_e32 vcc, s66, v3
	s_mov_b64 s[66:67], 0
                                        ; implicit-def: $vgpr2
	s_and_saveexec_b64 s[68:69], vcc
	s_xor_b64 s[68:69], exec, s[68:69]
	s_cbranch_execz .LBB199_1223
; %bb.1105:
	v_bfe_u32 v2, v3, 20, 1
	s_mov_b32 s76, 0x487ffff
	v_add3_u32 v2, v3, v2, s76
	s_mov_b64 s[66:67], exec
	v_lshrrev_b32_e32 v2, 20, v2
                                        ; implicit-def: $vgpr3
	s_andn2_saveexec_b64 s[68:69], s[68:69]
	s_cbranch_execnz .LBB199_1224
.LBB199_1106:
	s_or_b64 exec, exec, s[68:69]
	v_mov_b32_e32 v4, 0
	s_and_saveexec_b64 s[68:69], s[66:67]
.LBB199_1107:
	v_mov_b32_e32 v4, v2
.LBB199_1108:
	s_or_b64 exec, exec, s[68:69]
.LBB199_1109:
	s_or_b64 exec, exec, s[64:65]
	global_store_byte v[0:1], v4, off
.LBB199_1110:
	s_mov_b64 s[64:65], -1
.LBB199_1111:
	s_mov_b64 s[66:67], 0
.LBB199_1112:
	s_and_b64 vcc, exec, s[66:67]
	s_cbranch_vccz .LBB199_1153
; %bb.1113:
	s_cmp_gt_i32 s71, 22
	s_mov_b64 s[66:67], -1
	s_cbranch_scc0 .LBB199_1145
; %bb.1114:
	s_cmp_lt_i32 s71, 24
	s_mov_b64 s[64:65], -1
	s_cbranch_scc1 .LBB199_1134
; %bb.1115:
	s_cmp_gt_i32 s71, 24
	s_cbranch_scc0 .LBB199_1123
; %bb.1116:
	v_cndmask_b32_e64 v3, 0, 1.0, s[2:3]
	s_mov_b32 s64, 0x47800000
	v_cmp_gt_u32_e32 vcc, s64, v3
	v_mov_b32_e32 v4, 0x80
	s_and_saveexec_b64 s[64:65], vcc
	s_cbranch_execz .LBB199_1122
; %bb.1117:
	s_mov_b32 s66, 0x37ffffff
	v_cmp_lt_u32_e32 vcc, s66, v3
	s_mov_b64 s[66:67], 0
                                        ; implicit-def: $vgpr2
	s_and_saveexec_b64 s[68:69], vcc
	s_xor_b64 s[68:69], exec, s[68:69]
	s_cbranch_execz .LBB199_2289
; %bb.1118:
	v_bfe_u32 v2, v3, 21, 1
	s_mov_b32 s76, 0x88fffff
	v_add3_u32 v2, v3, v2, s76
	s_mov_b64 s[66:67], exec
	v_lshrrev_b32_e32 v2, 21, v2
                                        ; implicit-def: $vgpr3
	s_andn2_saveexec_b64 s[68:69], s[68:69]
	s_cbranch_execnz .LBB199_2290
.LBB199_1119:
	s_or_b64 exec, exec, s[68:69]
	v_mov_b32_e32 v4, 0
	s_and_saveexec_b64 s[68:69], s[66:67]
.LBB199_1120:
	v_mov_b32_e32 v4, v2
.LBB199_1121:
	s_or_b64 exec, exec, s[68:69]
.LBB199_1122:
	s_or_b64 exec, exec, s[64:65]
	s_mov_b64 s[64:65], 0
	global_store_byte v[0:1], v4, off
.LBB199_1123:
	s_and_b64 vcc, exec, s[64:65]
	s_cbranch_vccz .LBB199_1133
; %bb.1124:
	v_cndmask_b32_e64 v2, 0, 1.0, s[2:3]
	s_mov_b32 s64, 0x43f00000
	v_cmp_gt_u32_e32 vcc, s64, v2
                                        ; implicit-def: $vgpr3
	s_and_saveexec_b64 s[64:65], vcc
	s_xor_b64 s[64:65], exec, s[64:65]
	s_cbranch_execz .LBB199_1130
; %bb.1125:
	s_mov_b32 s66, 0x3c7fffff
	v_cmp_lt_u32_e32 vcc, s66, v2
                                        ; implicit-def: $vgpr3
	s_and_saveexec_b64 s[66:67], vcc
	s_xor_b64 s[66:67], exec, s[66:67]
; %bb.1126:
	v_bfe_u32 v3, v2, 20, 1
	s_mov_b32 s68, 0x407ffff
	v_add3_u32 v2, v2, v3, s68
	v_lshrrev_b32_e32 v3, 20, v2
	v_and_b32_e32 v2, 0xff00000, v2
	s_mov_b32 s68, 0x7f00000
	v_mov_b32_e32 v4, 0x7e
	v_cmp_ne_u32_e32 vcc, s68, v2
	v_cndmask_b32_e32 v3, v4, v3, vcc
                                        ; implicit-def: $vgpr2
; %bb.1127:
	s_andn2_saveexec_b64 s[66:67], s[66:67]
; %bb.1128:
	v_add_f32_e32 v3, 0x46800000, v2
; %bb.1129:
	s_or_b64 exec, exec, s[66:67]
                                        ; implicit-def: $vgpr2
.LBB199_1130:
	s_andn2_saveexec_b64 s[64:65], s[64:65]
; %bb.1131:
	s_mov_b32 s66, 0x7f800000
	v_mov_b32_e32 v3, 0x7e
	v_mov_b32_e32 v4, 0x7f
	v_cmp_lt_u32_e32 vcc, s66, v2
	v_cndmask_b32_e32 v3, v3, v4, vcc
; %bb.1132:
	s_or_b64 exec, exec, s[64:65]
	global_store_byte v[0:1], v3, off
.LBB199_1133:
	s_mov_b64 s[64:65], 0
.LBB199_1134:
	s_andn2_b64 vcc, exec, s[64:65]
	s_cbranch_vccnz .LBB199_1144
; %bb.1135:
	v_cndmask_b32_e64 v2, 0, 1.0, s[2:3]
	s_mov_b32 s64, 0x47800000
	v_cmp_gt_u32_e32 vcc, s64, v2
                                        ; implicit-def: $vgpr3
	s_and_saveexec_b64 s[64:65], vcc
	s_xor_b64 s[64:65], exec, s[64:65]
	s_cbranch_execz .LBB199_1141
; %bb.1136:
	s_mov_b32 s66, 0x387fffff
	v_cmp_lt_u32_e32 vcc, s66, v2
                                        ; implicit-def: $vgpr3
	s_and_saveexec_b64 s[66:67], vcc
	s_xor_b64 s[66:67], exec, s[66:67]
; %bb.1137:
	v_bfe_u32 v3, v2, 21, 1
	s_mov_b32 s68, 0x80fffff
	v_add3_u32 v2, v2, v3, s68
	v_lshrrev_b32_e32 v3, 21, v2
                                        ; implicit-def: $vgpr2
; %bb.1138:
	s_andn2_saveexec_b64 s[66:67], s[66:67]
; %bb.1139:
	v_add_f32_e32 v3, 0x43000000, v2
; %bb.1140:
	s_or_b64 exec, exec, s[66:67]
                                        ; implicit-def: $vgpr2
.LBB199_1141:
	s_andn2_saveexec_b64 s[64:65], s[64:65]
; %bb.1142:
	s_mov_b32 s66, 0x7f800000
	v_mov_b32_e32 v3, 0x7c
	v_mov_b32_e32 v4, 0x7f
	v_cmp_lt_u32_e32 vcc, s66, v2
	v_cndmask_b32_e32 v3, v3, v4, vcc
; %bb.1143:
	s_or_b64 exec, exec, s[64:65]
	global_store_byte v[0:1], v3, off
.LBB199_1144:
	s_mov_b64 s[66:67], 0
	s_mov_b64 s[64:65], -1
.LBB199_1145:
	s_andn2_b64 vcc, exec, s[66:67]
	s_cbranch_vccnz .LBB199_1153
; %bb.1146:
	s_cmp_gt_i32 s71, 14
	s_mov_b64 s[66:67], -1
	s_cbranch_scc0 .LBB199_1150
; %bb.1147:
	s_cmp_eq_u32 s71, 15
	s_mov_b64 s[6:7], -1
	s_cbranch_scc0 .LBB199_1149
; %bb.1148:
	v_cndmask_b32_e64 v2, 0, 1.0, s[2:3]
	v_bfe_u32 v3, v2, 16, 1
	s_movk_i32 s6, 0x7fff
	v_add3_u32 v2, v2, v3, s6
	global_store_short_d16_hi v[0:1], v2, off
	s_mov_b64 s[64:65], -1
	s_mov_b64 s[6:7], 0
.LBB199_1149:
	s_mov_b64 s[66:67], 0
.LBB199_1150:
	s_and_b64 vcc, exec, s[66:67]
	s_cbranch_vccz .LBB199_1153
; %bb.1151:
	s_cmp_eq_u32 s71, 11
	s_mov_b64 s[6:7], -1
	s_cbranch_scc0 .LBB199_1153
; %bb.1152:
	v_cndmask_b32_e64 v2, 0, 1, s[2:3]
	s_mov_b64 s[64:65], -1
	s_mov_b64 s[6:7], 0
	global_store_byte v[0:1], v2, off
.LBB199_1153:
	s_mov_b64 s[66:67], 0
.LBB199_1154:
	s_and_b64 vcc, exec, s[66:67]
	s_cbranch_vccz .LBB199_1193
; %bb.1155:
	s_and_b32 s14, 0xffff, s14
	s_cmp_lt_i32 s14, 5
	s_mov_b64 s[64:65], -1
	s_cbranch_scc1 .LBB199_1176
; %bb.1156:
	s_cmp_lt_i32 s14, 8
	s_cbranch_scc1 .LBB199_1166
; %bb.1157:
	s_cmp_lt_i32 s14, 9
	s_cbranch_scc1 .LBB199_1163
; %bb.1158:
	s_cmp_gt_i32 s14, 9
	s_cbranch_scc0 .LBB199_1160
; %bb.1159:
	v_cndmask_b32_e64 v2, 0, 1, s[2:3]
	v_cvt_f64_u32_e32 v[2:3], v2
	v_mov_b32_e32 v4, 0
	v_mov_b32_e32 v5, v4
	s_mov_b64 s[64:65], 0
	global_store_dwordx4 v[0:1], v[2:5], off
.LBB199_1160:
	s_andn2_b64 vcc, exec, s[64:65]
	s_cbranch_vccnz .LBB199_1162
; %bb.1161:
	v_cndmask_b32_e64 v2, 0, 1.0, s[2:3]
	v_mov_b32_e32 v3, 0
	global_store_dwordx2 v[0:1], v[2:3], off
.LBB199_1162:
	s_mov_b64 s[64:65], 0
.LBB199_1163:
	s_andn2_b64 vcc, exec, s[64:65]
	s_cbranch_vccnz .LBB199_1165
; %bb.1164:
	v_cndmask_b32_e64 v2, 0, 1.0, s[2:3]
	v_cvt_f16_f32_e32 v2, v2
	global_store_dword v[0:1], v2, off
.LBB199_1165:
	s_mov_b64 s[64:65], 0
.LBB199_1166:
	s_andn2_b64 vcc, exec, s[64:65]
	s_cbranch_vccnz .LBB199_1175
; %bb.1167:
	s_cmp_lt_i32 s14, 6
	s_mov_b64 s[64:65], -1
	s_cbranch_scc1 .LBB199_1173
; %bb.1168:
	s_cmp_gt_i32 s14, 6
	s_cbranch_scc0 .LBB199_1170
; %bb.1169:
	v_cndmask_b32_e64 v2, 0, 1, s[2:3]
	v_cvt_f64_u32_e32 v[2:3], v2
	s_mov_b64 s[64:65], 0
	global_store_dwordx2 v[0:1], v[2:3], off
.LBB199_1170:
	s_andn2_b64 vcc, exec, s[64:65]
	s_cbranch_vccnz .LBB199_1172
; %bb.1171:
	v_cndmask_b32_e64 v2, 0, 1.0, s[2:3]
	global_store_dword v[0:1], v2, off
.LBB199_1172:
	s_mov_b64 s[64:65], 0
.LBB199_1173:
	s_andn2_b64 vcc, exec, s[64:65]
	s_cbranch_vccnz .LBB199_1175
; %bb.1174:
	v_cndmask_b32_e64 v2, 0, 1.0, s[2:3]
	v_cvt_f16_f32_e32 v2, v2
	global_store_short v[0:1], v2, off
.LBB199_1175:
	s_mov_b64 s[64:65], 0
.LBB199_1176:
	s_andn2_b64 vcc, exec, s[64:65]
	s_cbranch_vccnz .LBB199_1192
; %bb.1177:
	s_cmp_lt_i32 s14, 2
	s_mov_b64 s[64:65], -1
	s_cbranch_scc1 .LBB199_1187
; %bb.1178:
	s_cmp_lt_i32 s14, 3
	s_cbranch_scc1 .LBB199_1184
; %bb.1179:
	s_cmp_gt_i32 s14, 3
	s_cbranch_scc0 .LBB199_1181
; %bb.1180:
	s_mov_b32 s64, 0
	v_cndmask_b32_e64 v2, 0, 1, s[2:3]
	v_mov_b32_e32 v3, s64
	s_mov_b64 s[64:65], 0
	global_store_dwordx2 v[0:1], v[2:3], off
.LBB199_1181:
	s_andn2_b64 vcc, exec, s[64:65]
	s_cbranch_vccnz .LBB199_1183
; %bb.1182:
	v_cndmask_b32_e64 v2, 0, 1, s[2:3]
	global_store_dword v[0:1], v2, off
.LBB199_1183:
	s_mov_b64 s[64:65], 0
.LBB199_1184:
	s_andn2_b64 vcc, exec, s[64:65]
	s_cbranch_vccnz .LBB199_1186
; %bb.1185:
	v_cndmask_b32_e64 v2, 0, 1, s[2:3]
	global_store_short v[0:1], v2, off
.LBB199_1186:
	s_mov_b64 s[64:65], 0
.LBB199_1187:
	s_andn2_b64 vcc, exec, s[64:65]
	s_cbranch_vccnz .LBB199_1192
; %bb.1188:
	s_mov_b64 s[64:65], -1
	s_cmp_gt_i32 s14, 0
	v_cndmask_b32_e64 v2, 0, 1, s[2:3]
	s_cbranch_scc0 .LBB199_1190
; %bb.1189:
	s_mov_b64 s[64:65], 0
	global_store_byte v[0:1], v2, off
.LBB199_1190:
	s_andn2_b64 vcc, exec, s[64:65]
	s_cbranch_vccnz .LBB199_1192
; %bb.1191:
	global_store_byte v[0:1], v2, off
.LBB199_1192:
	s_mov_b64 s[64:65], -1
.LBB199_1193:
	s_andn2_b64 vcc, exec, s[64:65]
	s_cbranch_vccnz .LBB199_1205
; %bb.1194:
	v_add_u32_e32 v8, 0x80, v8
	s_mov_b64 s[66:67], -1
.LBB199_1195:
	s_andn2_b64 s[2:3], s[54:55], exec
	s_and_b64 s[6:7], s[6:7], exec
	s_or_b64 s[64:65], s[2:3], s[6:7]
	s_andn2_b64 s[2:3], s[52:53], exec
	s_and_b64 s[6:7], s[62:63], exec
	s_or_b64 s[6:7], s[2:3], s[6:7]
	;; [unrolled: 3-line block ×3, first 2 shown]
	s_orn2_b64 s[68:69], s[66:67], exec
.LBB199_1196:
	s_or_b64 exec, exec, s[58:59]
	s_mov_b64 s[62:63], 0
	s_mov_b64 s[66:67], 0
	;; [unrolled: 1-line block ×3, first 2 shown]
                                        ; implicit-def: $sgpr14
                                        ; implicit-def: $vgpr3_vgpr4
                                        ; implicit-def: $vgpr0
                                        ; implicit-def: $vgpr2
                                        ; implicit-def: $vgpr5
	s_and_saveexec_b64 s[58:59], s[68:69]
	s_cbranch_execz .LBB199_1291
; %bb.1197:
	v_cmp_gt_i32_e32 vcc, s70, v8
	s_mov_b64 s[68:69], s[2:3]
	s_mov_b64 s[70:71], 0
                                        ; implicit-def: $sgpr14
                                        ; implicit-def: $vgpr3_vgpr4
                                        ; implicit-def: $vgpr0
                                        ; implicit-def: $vgpr2
                                        ; implicit-def: $vgpr5
	s_and_saveexec_b64 s[60:61], vcc
	s_cbranch_execz .LBB199_1290
; %bb.1198:
	s_andn2_b64 vcc, exec, s[28:29]
	s_cbranch_vccnz .LBB199_1204
; %bb.1199:
	s_andn2_b64 vcc, exec, s[40:41]
	s_cbranch_vccnz .LBB199_1206
; %bb.1200:
	s_add_i32 s14, s75, 1
	s_and_b32 s14, s14, 30
	s_add_u32 s40, s24, 0xffffffe8
	s_addc_u32 s41, s25, -1
	v_mov_b32_e32 v2, 0
	v_mov_b32_e32 v4, 0
	;; [unrolled: 1-line block ×4, first 2 shown]
.LBB199_1201:                           ; =>This Inner Loop Header: Depth=1
	s_load_dwordx4 s[68:71], s[40:41], 0x1c
	s_load_dwordx2 s[62:63], s[40:41], 0x2c
	s_load_dwordx2 s[66:67], s[40:41], 0xec
	s_load_dwordx4 s[76:79], s[40:41], 0xdc
	s_add_u32 s40, s40, 24
	s_waitcnt vmcnt(0) lgkmcnt(0)
	v_mul_hi_u32 v3, s69, v1
	s_addc_u32 s41, s41, 0
	s_add_i32 s14, s14, -2
	s_cmp_eq_u32 s14, 0
	v_add_u32_e32 v3, v1, v3
	v_lshrrev_b32_e32 v3, s70, v3
	v_mul_lo_u32 v5, v3, s68
	v_mul_hi_u32 v6, s62, v3
	v_sub_u32_e32 v5, v1, v5
	v_add_u32_e32 v1, v3, v6
	v_lshrrev_b32_e32 v1, s63, v1
	v_mul_lo_u32 v9, v1, s71
	v_mul_lo_u32 v6, v5, s76
	;; [unrolled: 1-line block ×4, first 2 shown]
	v_sub_u32_e32 v3, v3, v9
	v_mul_lo_u32 v9, v3, s79
	v_mul_lo_u32 v10, v3, s66
	;; [unrolled: 1-line block ×3, first 2 shown]
	v_add3_u32 v0, v6, v0, v9
	v_add3_u32 v4, v7, v4, v10
	;; [unrolled: 1-line block ×3, first 2 shown]
	s_cbranch_scc0 .LBB199_1201
; %bb.1202:
	s_bitcmp1_b32 s75, 0
	s_cselect_b64 s[62:63], -1, 0
	s_and_b64 vcc, exec, s[62:63]
	s_cbranch_vccnz .LBB199_1207
; %bb.1203:
	s_load_dwordx2 s[62:63], s[40:41], 0x1c
	s_load_dword s14, s[40:41], 0x24
	s_load_dwordx2 s[66:67], s[40:41], 0xdc
	s_waitcnt lgkmcnt(0)
	v_mul_hi_u32 v3, s63, v1
	v_add_u32_e32 v3, v1, v3
	v_lshrrev_b32_e32 v3, s14, v3
	v_mul_lo_u32 v3, v3, s62
	s_load_dword s14, s[40:41], 0xe4
	v_sub_u32_e32 v3, v1, v3
	v_mad_u64_u32 v[0:1], s[40:41], v3, s66, v[0:1]
	v_mad_u64_u32 v[4:5], s[40:41], v3, s67, v[4:5]
	s_waitcnt lgkmcnt(0)
	v_mad_u64_u32 v[2:3], s[40:41], v3, s14, v[2:3]
	s_branch .LBB199_1207
.LBB199_1204:
	s_mov_b64 s[40:41], -1
                                        ; implicit-def: $vgpr0
                                        ; implicit-def: $vgpr4
                                        ; implicit-def: $vgpr2
	s_branch .LBB199_1208
.LBB199_1205:
	s_mov_b64 s[66:67], 0
	s_branch .LBB199_948
.LBB199_1206:
	v_mov_b32_e32 v0, 0
	v_mov_b32_e32 v4, 0
	v_mov_b32_e32 v2, 0
.LBB199_1207:
	s_mov_b64 s[40:41], 0
.LBB199_1208:
	s_andn2_b64 vcc, exec, s[40:41]
	s_cbranch_vccnz .LBB199_1211
; %bb.1209:
	v_mul_hi_u32 v0, s17, v8
	s_andn2_b64 vcc, exec, s[38:39]
	v_add_u32_e32 v0, v8, v0
	v_lshrrev_b32_e32 v1, s18, v0
	v_mul_lo_u32 v0, v1, s16
	v_sub_u32_e32 v2, v8, v0
	v_mul_lo_u32 v0, v2, s20
	v_mul_lo_u32 v4, v2, s21
	;; [unrolled: 1-line block ×3, first 2 shown]
	s_cbranch_vccnz .LBB199_1211
; %bb.1210:
	s_waitcnt vmcnt(0)
	v_mul_hi_u32 v3, s36, v1
	v_add_u32_e32 v3, v1, v3
	v_lshrrev_b32_e32 v3, s37, v3
	v_mul_lo_u32 v3, v3, s19
	v_sub_u32_e32 v3, v1, v3
	v_mad_u64_u32 v[0:1], s[16:17], v3, s23, v[0:1]
	v_mad_u64_u32 v[4:5], s[16:17], v3, s34, v[4:5]
	;; [unrolled: 1-line block ×3, first 2 shown]
.LBB199_1211:
	v_mov_b32_e32 v1, s11
	s_and_b32 s14, s74, 0xff
	s_waitcnt vmcnt(0)
	v_add_co_u32_e32 v3, vcc, s10, v4
	s_cmp_lt_i32 s14, 11
	v_addc_co_u32_e32 v4, vcc, 0, v1, vcc
	s_cbranch_scc1 .LBB199_1218
; %bb.1212:
	s_and_b32 s34, 0xffff, s14
	s_cmp_gt_i32 s34, 25
	s_mov_b64 s[16:17], 0
	s_cbranch_scc0 .LBB199_1219
; %bb.1213:
	s_cmp_gt_i32 s34, 28
	s_cbranch_scc0 .LBB199_1220
; %bb.1214:
	s_cmp_gt_i32 s34, 43
	s_cbranch_scc0 .LBB199_1221
; %bb.1215:
	s_cmp_gt_i32 s34, 45
	s_cbranch_scc0 .LBB199_1222
; %bb.1216:
	s_cmp_eq_u32 s34, 46
	s_mov_b64 s[20:21], 0
	s_cbranch_scc0 .LBB199_1225
; %bb.1217:
	global_load_dword v5, v[3:4], off
	s_mov_b64 s[10:11], 0
	s_mov_b64 s[18:19], -1
	s_branch .LBB199_1226
.LBB199_1218:
	s_mov_b64 s[20:21], -1
	s_mov_b64 s[18:19], 0
	s_mov_b64 s[16:17], 0
	;; [unrolled: 1-line block ×3, first 2 shown]
                                        ; implicit-def: $vgpr5
	s_branch .LBB199_1289
.LBB199_1219:
	s_mov_b64 s[20:21], -1
	s_mov_b64 s[18:19], 0
	s_mov_b64 s[10:11], s[2:3]
                                        ; implicit-def: $vgpr5
	s_branch .LBB199_1255
.LBB199_1220:
	s_mov_b64 s[20:21], -1
	s_mov_b64 s[18:19], 0
	s_mov_b64 s[10:11], s[2:3]
                                        ; implicit-def: $vgpr5
	s_branch .LBB199_1236
.LBB199_1221:
	s_mov_b64 s[20:21], -1
	s_mov_b64 s[18:19], 0
	s_mov_b64 s[10:11], s[2:3]
                                        ; implicit-def: $vgpr5
	s_branch .LBB199_1231
.LBB199_1222:
	s_mov_b64 s[20:21], -1
	s_mov_b64 s[18:19], 0
	s_mov_b64 s[10:11], s[2:3]
                                        ; implicit-def: $vgpr5
	s_branch .LBB199_1226
.LBB199_1223:
	s_andn2_saveexec_b64 s[68:69], s[68:69]
	s_cbranch_execz .LBB199_1106
.LBB199_1224:
	v_add_f32_e32 v2, 0x46000000, v3
	v_and_b32_e32 v2, 0xff, v2
	v_cmp_ne_u32_e32 vcc, 0, v2
	s_andn2_b64 s[66:67], s[66:67], exec
	s_and_b64 s[76:77], vcc, exec
	s_or_b64 s[66:67], s[66:67], s[76:77]
	s_or_b64 exec, exec, s[68:69]
	v_mov_b32_e32 v4, 0
	s_and_saveexec_b64 s[68:69], s[66:67]
	s_cbranch_execnz .LBB199_1107
	s_branch .LBB199_1108
.LBB199_1225:
	s_mov_b64 s[10:11], -1
                                        ; implicit-def: $vgpr5
	s_mov_b64 s[18:19], 0
.LBB199_1226:
	s_and_b64 vcc, exec, s[20:21]
	s_cbranch_vccz .LBB199_1230
; %bb.1227:
	s_cmp_eq_u32 s34, 44
	s_cbranch_scc0 .LBB199_1229
; %bb.1228:
	global_load_ubyte v1, v[3:4], off
	s_movk_i32 s18, 0xff
	s_waitcnt vmcnt(1)
	v_mov_b32_e32 v5, 0x7f800001
	v_mov_b32_e32 v6, 0x400000
	;; [unrolled: 1-line block ×3, first 2 shown]
	s_mov_b64 s[10:11], 0
	s_waitcnt vmcnt(0)
	v_lshlrev_b32_e32 v8, 23, v1
	v_cmp_ne_u32_e32 vcc, s18, v1
	v_cndmask_b32_e32 v5, v5, v8, vcc
	v_cmp_ne_u32_e32 vcc, 0, v1
	v_cndmask_b32_e32 v1, v6, v5, vcc
	v_add_u32_e32 v5, 0x7fff, v1
	v_cmp_o_f32_e32 vcc, v1, v1
	v_cndmask_b32_sdwa v5, v7, v5, vcc dst_sel:DWORD dst_unused:UNUSED_PAD src0_sel:DWORD src1_sel:WORD_1
	s_mov_b64 s[18:19], -1
	s_branch .LBB199_1230
.LBB199_1229:
	s_mov_b64 s[10:11], -1
                                        ; implicit-def: $vgpr5
.LBB199_1230:
	s_mov_b64 s[20:21], 0
.LBB199_1231:
	s_and_b64 vcc, exec, s[20:21]
	s_cbranch_vccz .LBB199_1235
; %bb.1232:
	s_cmp_eq_u32 s34, 29
	s_cbranch_scc0 .LBB199_1234
; %bb.1233:
	global_load_dwordx2 v[5:6], v[3:4], off
	s_movk_i32 s18, 0x7fff
	s_mov_b64 s[10:11], 0
	s_mov_b64 s[20:21], 0
	s_waitcnt vmcnt(0)
	v_ffbh_u32_e32 v1, v6
	v_min_u32_e32 v1, 32, v1
	v_lshlrev_b64 v[5:6], v1, v[5:6]
	v_sub_u32_e32 v1, 32, v1
	v_min_u32_e32 v5, 1, v5
	v_or_b32_e32 v5, v6, v5
	v_cvt_f32_u32_e32 v5, v5
	v_ldexp_f32 v1, v5, v1
	v_bfe_u32 v5, v1, 16, 1
	v_add3_u32 v1, v1, v5, s18
	v_lshrrev_b32_e32 v5, 16, v1
	s_mov_b64 s[18:19], -1
	s_branch .LBB199_1236
.LBB199_1234:
	s_mov_b64 s[10:11], -1
                                        ; implicit-def: $vgpr5
.LBB199_1235:
	s_mov_b64 s[20:21], 0
.LBB199_1236:
	s_and_b64 vcc, exec, s[20:21]
	s_cbranch_vccz .LBB199_1254
; %bb.1237:
	s_cmp_lt_i32 s34, 27
	s_cbranch_scc1 .LBB199_1240
; %bb.1238:
	s_cmp_gt_i32 s34, 27
	s_cbranch_scc0 .LBB199_1241
; %bb.1239:
	global_load_dword v1, v[3:4], off
	s_movk_i32 s18, 0x7fff
	s_waitcnt vmcnt(0)
	v_cvt_f32_u32_e32 v1, v1
	v_bfe_u32 v5, v1, 16, 1
	v_add3_u32 v1, v1, v5, s18
	v_lshrrev_b32_e32 v5, 16, v1
	s_mov_b64 s[18:19], 0
	s_branch .LBB199_1242
.LBB199_1240:
	s_mov_b64 s[18:19], -1
                                        ; implicit-def: $vgpr5
	s_branch .LBB199_1245
.LBB199_1241:
	s_mov_b64 s[18:19], -1
                                        ; implicit-def: $vgpr5
.LBB199_1242:
	s_andn2_b64 vcc, exec, s[18:19]
	s_cbranch_vccnz .LBB199_1244
; %bb.1243:
	global_load_ushort v1, v[3:4], off
	s_movk_i32 s18, 0x7fff
	s_waitcnt vmcnt(0)
	v_cvt_f32_u32_e32 v1, v1
	v_bfe_u32 v5, v1, 16, 1
	v_add3_u32 v1, v1, v5, s18
	v_lshrrev_b32_e32 v5, 16, v1
.LBB199_1244:
	s_mov_b64 s[18:19], 0
.LBB199_1245:
	s_andn2_b64 vcc, exec, s[18:19]
	s_cbranch_vccnz .LBB199_1253
; %bb.1246:
	global_load_ubyte v1, v[3:4], off
	s_movk_i32 s18, 0x7f
	s_waitcnt vmcnt(0)
	v_cmp_lt_i16_e32 vcc, s18, v1
	s_mov_b64 s[18:19], 0
	s_and_saveexec_b64 s[20:21], vcc
	s_xor_b64 s[20:21], exec, s[20:21]
	s_cbranch_execz .LBB199_1267
; %bb.1247:
	s_movk_i32 s18, 0x80
	v_cmp_eq_u16_e32 vcc, s18, v1
	s_mov_b64 s[18:19], -1
	s_and_saveexec_b64 s[22:23], vcc
; %bb.1248:
	s_xor_b64 s[18:19], exec, -1
; %bb.1249:
	s_or_b64 exec, exec, s[22:23]
	s_and_b64 s[18:19], s[18:19], exec
	s_or_saveexec_b64 s[20:21], s[20:21]
	v_mov_b32_e32 v5, 0x7f800001
	s_xor_b64 exec, exec, s[20:21]
	s_cbranch_execnz .LBB199_1268
.LBB199_1250:
	s_or_b64 exec, exec, s[20:21]
	s_and_saveexec_b64 s[20:21], s[18:19]
	s_cbranch_execz .LBB199_1252
.LBB199_1251:
	v_lshlrev_b32_e32 v5, 24, v1
	v_and_b32_e32 v1, 0xffff, v1
	v_and_b32_e32 v6, 7, v1
	v_ffbh_u32_e32 v8, v6
	v_min_u32_e32 v8, 32, v8
	v_subrev_u32_e32 v9, 28, v8
	v_bfe_u32 v7, v1, 3, 4
	v_lshlrev_b32_e32 v1, v9, v1
	v_sub_u32_e32 v8, 29, v8
	v_and_b32_e32 v1, 7, v1
	v_cmp_eq_u32_e32 vcc, 0, v7
	v_cndmask_b32_e32 v7, v7, v8, vcc
	v_cndmask_b32_e32 v1, v6, v1, vcc
	v_mov_b32_e32 v6, 0x3b800000
	v_lshlrev_b32_e32 v1, 20, v1
	v_and_b32_e32 v5, 0x80000000, v5
	v_lshl_add_u32 v6, v7, 23, v6
	v_or3_b32 v5, v5, v6, v1
.LBB199_1252:
	s_or_b64 exec, exec, s[20:21]
	v_bfe_u32 v1, v5, 16, 1
	s_movk_i32 s18, 0x7fff
	v_add3_u32 v1, v5, v1, s18
	v_cmp_o_f32_e32 vcc, v5, v5
	v_mov_b32_e32 v5, 0x7fc0
	v_cndmask_b32_sdwa v5, v5, v1, vcc dst_sel:DWORD dst_unused:UNUSED_PAD src0_sel:DWORD src1_sel:WORD_1
.LBB199_1253:
	s_mov_b64 s[18:19], -1
.LBB199_1254:
	s_mov_b64 s[20:21], 0
.LBB199_1255:
	s_and_b64 vcc, exec, s[20:21]
	s_cbranch_vccz .LBB199_1288
; %bb.1256:
	s_cmp_gt_i32 s34, 22
	s_cbranch_scc0 .LBB199_1266
; %bb.1257:
	s_cmp_lt_i32 s34, 24
	s_cbranch_scc1 .LBB199_1269
; %bb.1258:
	s_cmp_gt_i32 s34, 24
	s_cbranch_scc0 .LBB199_1270
; %bb.1259:
	global_load_ubyte v1, v[3:4], off
	s_movk_i32 s16, 0x7f
	s_waitcnt vmcnt(0)
	v_cmp_lt_i16_e32 vcc, s16, v1
	s_mov_b64 s[16:17], 0
	s_and_saveexec_b64 s[18:19], vcc
	s_xor_b64 s[18:19], exec, s[18:19]
	s_cbranch_execz .LBB199_1282
; %bb.1260:
	s_movk_i32 s16, 0x80
	v_cmp_eq_u16_e32 vcc, s16, v1
	s_mov_b64 s[16:17], -1
	s_and_saveexec_b64 s[20:21], vcc
; %bb.1261:
	s_xor_b64 s[16:17], exec, -1
; %bb.1262:
	s_or_b64 exec, exec, s[20:21]
	s_and_b64 s[16:17], s[16:17], exec
	s_or_saveexec_b64 s[18:19], s[18:19]
	v_mov_b32_e32 v5, 0x7f800001
	s_xor_b64 exec, exec, s[18:19]
	s_cbranch_execnz .LBB199_1283
.LBB199_1263:
	s_or_b64 exec, exec, s[18:19]
	s_and_saveexec_b64 s[18:19], s[16:17]
	s_cbranch_execz .LBB199_1265
.LBB199_1264:
	v_lshlrev_b32_e32 v5, 24, v1
	v_and_b32_e32 v1, 0xffff, v1
	v_and_b32_e32 v6, 3, v1
	v_ffbh_u32_e32 v8, v6
	v_min_u32_e32 v8, 32, v8
	v_subrev_u32_e32 v9, 29, v8
	v_bfe_u32 v7, v1, 2, 5
	v_lshlrev_b32_e32 v1, v9, v1
	v_sub_u32_e32 v8, 30, v8
	v_and_b32_e32 v1, 3, v1
	v_cmp_eq_u32_e32 vcc, 0, v7
	v_cndmask_b32_e32 v7, v7, v8, vcc
	v_cndmask_b32_e32 v1, v6, v1, vcc
	v_mov_b32_e32 v6, 0x37800000
	v_lshlrev_b32_e32 v1, 21, v1
	v_and_b32_e32 v5, 0x80000000, v5
	v_lshl_add_u32 v6, v7, 23, v6
	v_or3_b32 v5, v5, v6, v1
.LBB199_1265:
	s_or_b64 exec, exec, s[18:19]
	v_bfe_u32 v1, v5, 16, 1
	s_movk_i32 s16, 0x7fff
	v_add3_u32 v1, v5, v1, s16
	v_cmp_o_f32_e32 vcc, v5, v5
	v_mov_b32_e32 v5, 0x7fc0
	v_cndmask_b32_sdwa v5, v5, v1, vcc dst_sel:DWORD dst_unused:UNUSED_PAD src0_sel:DWORD src1_sel:WORD_1
	s_mov_b64 s[16:17], 0
	s_branch .LBB199_1271
.LBB199_1266:
	s_mov_b64 s[16:17], -1
                                        ; implicit-def: $vgpr5
	s_branch .LBB199_1277
.LBB199_1267:
	s_or_saveexec_b64 s[20:21], s[20:21]
	v_mov_b32_e32 v5, 0x7f800001
	s_xor_b64 exec, exec, s[20:21]
	s_cbranch_execz .LBB199_1250
.LBB199_1268:
	v_cmp_ne_u16_e32 vcc, 0, v1
	s_andn2_b64 s[18:19], s[18:19], exec
	s_and_b64 s[22:23], vcc, exec
	v_mov_b32_e32 v5, 0
	s_or_b64 s[18:19], s[18:19], s[22:23]
	s_or_b64 exec, exec, s[20:21]
	s_and_saveexec_b64 s[20:21], s[18:19]
	s_cbranch_execnz .LBB199_1251
	s_branch .LBB199_1252
.LBB199_1269:
	s_mov_b64 s[16:17], -1
                                        ; implicit-def: $vgpr5
	s_branch .LBB199_1274
.LBB199_1270:
	s_mov_b64 s[16:17], -1
                                        ; implicit-def: $vgpr5
.LBB199_1271:
	s_and_b64 vcc, exec, s[16:17]
	s_cbranch_vccz .LBB199_1273
; %bb.1272:
	global_load_ubyte v1, v[3:4], off
	s_mov_b32 s16, 0x7f800000
	s_brev_b32 s17, 1
	s_movk_i32 s18, 0x7fff
	s_waitcnt vmcnt(0)
	v_lshlrev_b32_e32 v1, 24, v1
	v_and_b32_e32 v5, 0x7f000000, v1
	v_ffbh_u32_e32 v6, v5
	v_min_u32_e32 v6, 32, v6
	v_sub_u32_e64 v6, v6, 4 clamp
	v_lshlrev_b32_e32 v8, v6, v5
	v_lshlrev_b32_e32 v6, 23, v6
	v_lshrrev_b32_e32 v8, 4, v8
	v_add_u32_e32 v7, 0x1000000, v5
	v_sub_u32_e32 v6, v8, v6
	v_ashrrev_i32_e32 v7, 8, v7
	v_add_u32_e32 v6, 0x3c000000, v6
	v_and_or_b32 v6, v7, s16, v6
	v_cmp_ne_u32_e32 vcc, 0, v5
	v_cndmask_b32_e32 v5, 0, v6, vcc
	v_and_or_b32 v1, v1, s17, v5
	v_bfe_u32 v5, v5, 16, 1
	v_add3_u32 v5, v1, v5, s18
	v_cmp_o_f32_e32 vcc, v1, v1
	v_mov_b32_e32 v1, 0x7fc0
	v_cndmask_b32_sdwa v5, v1, v5, vcc dst_sel:DWORD dst_unused:UNUSED_PAD src0_sel:DWORD src1_sel:WORD_1
.LBB199_1273:
	s_mov_b64 s[16:17], 0
.LBB199_1274:
	s_andn2_b64 vcc, exec, s[16:17]
	s_cbranch_vccnz .LBB199_1276
; %bb.1275:
	global_load_ubyte v1, v[3:4], off
	s_movk_i32 s16, 0x7f00
	s_brev_b32 s17, 16
	s_brev_b32 s18, 1
	s_movk_i32 s19, 0x7fff
	s_waitcnt vmcnt(0)
	v_lshlrev_b16_e32 v5, 8, v1
	v_lshlrev_b32_e32 v1, 25, v1
	v_lshrrev_b32_e32 v6, 4, v1
	v_and_or_b32 v7, v5, s16, 0.5
	v_or_b32_e32 v6, 0x70000000, v6
	v_add_f32_e32 v7, -0.5, v7
	v_mul_f32_e32 v6, 0x7800000, v6
	v_cmp_gt_u32_e32 vcc, s17, v1
	v_bfe_i32 v5, v5, 0, 16
	v_cndmask_b32_e32 v1, v6, v7, vcc
	v_and_or_b32 v5, v5, s18, v1
	v_bfe_u32 v1, v1, 16, 1
	v_add3_u32 v1, v5, v1, s19
	v_cmp_o_f32_e32 vcc, v5, v5
	v_mov_b32_e32 v5, 0x7fc0
	v_cndmask_b32_sdwa v5, v5, v1, vcc dst_sel:DWORD dst_unused:UNUSED_PAD src0_sel:DWORD src1_sel:WORD_1
.LBB199_1276:
	s_mov_b64 s[16:17], 0
	s_mov_b64 s[18:19], -1
.LBB199_1277:
	s_andn2_b64 vcc, exec, s[16:17]
	s_mov_b64 s[16:17], 0
	s_cbranch_vccnz .LBB199_1288
; %bb.1278:
	s_cmp_gt_i32 s34, 14
	s_cbranch_scc0 .LBB199_1281
; %bb.1279:
	s_cmp_eq_u32 s34, 15
	s_cbranch_scc0 .LBB199_1284
; %bb.1280:
	global_load_ushort v5, v[3:4], off
	s_mov_b64 s[10:11], 0
	s_mov_b64 s[18:19], -1
	s_branch .LBB199_1285
.LBB199_1281:
	s_mov_b64 s[20:21], -1
                                        ; implicit-def: $vgpr5
	s_branch .LBB199_1286
.LBB199_1282:
	s_or_saveexec_b64 s[18:19], s[18:19]
	v_mov_b32_e32 v5, 0x7f800001
	s_xor_b64 exec, exec, s[18:19]
	s_cbranch_execz .LBB199_1263
.LBB199_1283:
	v_cmp_ne_u16_e32 vcc, 0, v1
	s_andn2_b64 s[16:17], s[16:17], exec
	s_and_b64 s[20:21], vcc, exec
	v_mov_b32_e32 v5, 0
	s_or_b64 s[16:17], s[16:17], s[20:21]
	s_or_b64 exec, exec, s[18:19]
	s_and_saveexec_b64 s[18:19], s[16:17]
	s_cbranch_execnz .LBB199_1264
	s_branch .LBB199_1265
.LBB199_1284:
	s_mov_b64 s[10:11], -1
                                        ; implicit-def: $vgpr5
.LBB199_1285:
	s_mov_b64 s[20:21], 0
.LBB199_1286:
	s_and_b64 vcc, exec, s[20:21]
	s_cbranch_vccz .LBB199_1288
; %bb.1287:
	s_cmp_lg_u32 s34, 11
	s_cselect_b64 s[20:21], -1, 0
	s_andn2_b64 s[10:11], s[10:11], exec
	s_and_b64 s[20:21], s[20:21], exec
	s_mov_b64 s[16:17], -1
	s_or_b64 s[10:11], s[10:11], s[20:21]
.LBB199_1288:
	s_mov_b64 s[20:21], 0
.LBB199_1289:
	s_and_b64 s[62:63], s[16:17], exec
	s_andn2_b64 s[16:17], s[2:3], exec
	s_and_b64 s[10:11], s[10:11], exec
	s_and_b64 s[70:71], s[18:19], exec
	;; [unrolled: 1-line block ×3, first 2 shown]
	s_or_b64 s[68:69], s[16:17], s[10:11]
.LBB199_1290:
	s_or_b64 exec, exec, s[60:61]
	s_andn2_b64 s[2:3], s[2:3], exec
	s_and_b64 s[10:11], s[68:69], exec
	s_and_b64 s[60:61], s[70:71], exec
	s_and_b64 s[66:67], s[66:67], exec
	s_and_b64 s[62:63], s[62:63], exec
	s_or_b64 s[2:3], s[2:3], s[10:11]
.LBB199_1291:
	s_or_b64 exec, exec, s[58:59]
	s_andn2_b64 s[10:11], s[54:55], exec
	s_and_b64 s[16:17], s[64:65], exec
	s_or_b64 s[54:55], s[10:11], s[16:17]
	s_andn2_b64 s[10:11], s[52:53], exec
	s_and_b64 s[6:7], s[6:7], exec
	s_or_b64 s[52:53], s[10:11], s[6:7]
	s_andn2_b64 s[10:11], s[50:51], exec
	s_and_b64 s[2:3], s[2:3], exec
	s_and_b64 s[60:61], s[60:61], exec
	;; [unrolled: 1-line block ×4, first 2 shown]
	s_or_b64 s[50:51], s[10:11], s[2:3]
.LBB199_1292:
	s_or_b64 exec, exec, s[56:57]
	s_andn2_b64 s[2:3], s[42:43], exec
	s_and_b64 s[10:11], s[54:55], exec
	s_or_b64 s[42:43], s[2:3], s[10:11]
	s_andn2_b64 s[2:3], s[44:45], exec
	s_and_b64 s[10:11], s[52:53], exec
	s_or_b64 s[44:45], s[2:3], s[10:11]
	s_and_b64 s[52:53], s[6:7], exec
	s_andn2_b64 s[2:3], s[46:47], exec
	s_and_b64 s[6:7], s[50:51], exec
	s_and_b64 s[54:55], s[60:61], exec
	;; [unrolled: 1-line block ×3, first 2 shown]
	s_or_b64 s[46:47], s[2:3], s[6:7]
	s_or_b64 exec, exec, s[48:49]
	s_mov_b64 s[2:3], 0
	s_and_saveexec_b64 s[6:7], s[46:47]
	s_cbranch_execz .LBB199_403
.LBB199_1293:
	s_mov_b64 s[2:3], exec
	s_andn2_b64 s[52:53], s[52:53], exec
	s_trap 2
	s_or_b64 exec, exec, s[6:7]
	s_and_saveexec_b64 s[6:7], s[52:53]
	s_xor_b64 s[6:7], exec, s[6:7]
	s_cbranch_execnz .LBB199_404
.LBB199_1294:
	s_or_b64 exec, exec, s[6:7]
	s_and_saveexec_b64 s[6:7], s[56:57]
	s_cbranch_execz .LBB199_1340
.LBB199_1295:
	s_sext_i32_i16 s10, s14
	s_cmp_lt_i32 s10, 5
	s_cbranch_scc1 .LBB199_1300
; %bb.1296:
	s_cmp_lt_i32 s10, 8
	s_cbranch_scc1 .LBB199_1301
; %bb.1297:
	;; [unrolled: 3-line block ×3, first 2 shown]
	s_cmp_gt_i32 s10, 9
	s_cbranch_scc0 .LBB199_1303
; %bb.1299:
	s_waitcnt vmcnt(0)
	global_load_dwordx2 v[5:6], v[3:4], off
	s_movk_i32 s10, 0x7fff
	s_waitcnt vmcnt(0)
	v_cvt_f32_f64_e32 v1, v[5:6]
	v_mov_b32_e32 v5, 0x7fc0
	v_bfe_u32 v6, v1, 16, 1
	v_cmp_o_f32_e32 vcc, v1, v1
	v_add3_u32 v1, v1, v6, s10
	v_cndmask_b32_sdwa v5, v5, v1, vcc dst_sel:DWORD dst_unused:UNUSED_PAD src0_sel:DWORD src1_sel:WORD_1
	s_mov_b64 s[10:11], 0
	s_branch .LBB199_1304
.LBB199_1300:
                                        ; implicit-def: $vgpr5
	s_branch .LBB199_1321
.LBB199_1301:
                                        ; implicit-def: $vgpr5
	s_branch .LBB199_1310
.LBB199_1302:
	s_mov_b64 s[10:11], -1
                                        ; implicit-def: $vgpr5
	s_branch .LBB199_1307
.LBB199_1303:
	s_mov_b64 s[10:11], -1
                                        ; implicit-def: $vgpr5
.LBB199_1304:
	s_andn2_b64 vcc, exec, s[10:11]
	s_cbranch_vccnz .LBB199_1306
; %bb.1305:
	s_waitcnt vmcnt(0)
	global_load_dword v1, v[3:4], off
	s_movk_i32 s10, 0x7fff
	v_mov_b32_e32 v5, 0x7fc0
	s_waitcnt vmcnt(0)
	v_bfe_u32 v6, v1, 16, 1
	v_cmp_o_f32_e32 vcc, v1, v1
	v_add3_u32 v1, v1, v6, s10
	v_cndmask_b32_sdwa v5, v5, v1, vcc dst_sel:DWORD dst_unused:UNUSED_PAD src0_sel:DWORD src1_sel:WORD_1
.LBB199_1306:
	s_mov_b64 s[10:11], 0
.LBB199_1307:
	s_andn2_b64 vcc, exec, s[10:11]
	s_cbranch_vccnz .LBB199_1309
; %bb.1308:
	s_waitcnt vmcnt(0)
	global_load_dword v1, v[3:4], off
	s_movk_i32 s10, 0x7fff
	v_mov_b32_e32 v6, 0x7fc0
	s_waitcnt vmcnt(0)
	v_cvt_f32_f16_e32 v5, v1
	v_cmp_o_f16_e32 vcc, v1, v1
	v_bfe_u32 v1, v5, 16, 1
	v_add3_u32 v1, v5, v1, s10
	v_cndmask_b32_sdwa v5, v6, v1, vcc dst_sel:DWORD dst_unused:UNUSED_PAD src0_sel:DWORD src1_sel:WORD_1
.LBB199_1309:
	s_cbranch_execnz .LBB199_1320
.LBB199_1310:
	s_sext_i32_i16 s10, s14
	s_cmp_lt_i32 s10, 6
	s_cbranch_scc1 .LBB199_1313
; %bb.1311:
	s_cmp_gt_i32 s10, 6
	s_cbranch_scc0 .LBB199_1314
; %bb.1312:
	s_waitcnt vmcnt(0)
	global_load_dwordx2 v[5:6], v[3:4], off
	s_movk_i32 s10, 0x7fff
	s_waitcnt vmcnt(0)
	v_cvt_f32_f64_e32 v1, v[5:6]
	v_mov_b32_e32 v5, 0x7fc0
	v_bfe_u32 v6, v1, 16, 1
	v_cmp_o_f32_e32 vcc, v1, v1
	v_add3_u32 v1, v1, v6, s10
	v_cndmask_b32_sdwa v5, v5, v1, vcc dst_sel:DWORD dst_unused:UNUSED_PAD src0_sel:DWORD src1_sel:WORD_1
	s_mov_b64 s[10:11], 0
	s_branch .LBB199_1315
.LBB199_1313:
	s_mov_b64 s[10:11], -1
                                        ; implicit-def: $vgpr5
	s_branch .LBB199_1318
.LBB199_1314:
	s_mov_b64 s[10:11], -1
                                        ; implicit-def: $vgpr5
.LBB199_1315:
	s_andn2_b64 vcc, exec, s[10:11]
	s_cbranch_vccnz .LBB199_1317
; %bb.1316:
	s_waitcnt vmcnt(0)
	global_load_dword v1, v[3:4], off
	s_movk_i32 s10, 0x7fff
	v_mov_b32_e32 v5, 0x7fc0
	s_waitcnt vmcnt(0)
	v_bfe_u32 v6, v1, 16, 1
	v_cmp_o_f32_e32 vcc, v1, v1
	v_add3_u32 v1, v1, v6, s10
	v_cndmask_b32_sdwa v5, v5, v1, vcc dst_sel:DWORD dst_unused:UNUSED_PAD src0_sel:DWORD src1_sel:WORD_1
.LBB199_1317:
	s_mov_b64 s[10:11], 0
.LBB199_1318:
	s_andn2_b64 vcc, exec, s[10:11]
	s_cbranch_vccnz .LBB199_1320
; %bb.1319:
	s_waitcnt vmcnt(0)
	global_load_ushort v1, v[3:4], off
	s_movk_i32 s10, 0x7fff
	v_mov_b32_e32 v6, 0x7fc0
	s_waitcnt vmcnt(0)
	v_cvt_f32_f16_e32 v5, v1
	v_cmp_o_f16_e32 vcc, v1, v1
	v_bfe_u32 v1, v5, 16, 1
	v_add3_u32 v1, v5, v1, s10
	v_cndmask_b32_sdwa v5, v6, v1, vcc dst_sel:DWORD dst_unused:UNUSED_PAD src0_sel:DWORD src1_sel:WORD_1
.LBB199_1320:
	s_cbranch_execnz .LBB199_1339
.LBB199_1321:
	s_sext_i32_i16 s10, s14
	s_cmp_lt_i32 s10, 2
	s_cbranch_scc1 .LBB199_1325
; %bb.1322:
	s_cmp_lt_i32 s10, 3
	s_cbranch_scc1 .LBB199_1326
; %bb.1323:
	s_cmp_gt_i32 s10, 3
	s_cbranch_scc0 .LBB199_1327
; %bb.1324:
	s_waitcnt vmcnt(0)
	global_load_dwordx2 v[5:6], v[3:4], off
	s_movk_i32 s10, 0x7fff
	s_waitcnt vmcnt(0)
	v_xor_b32_e32 v7, v5, v6
	v_ffbh_i32_e32 v1, v6
	v_ashrrev_i32_e32 v7, 31, v7
	v_add_u32_e32 v1, -1, v1
	v_add_u32_e32 v7, 32, v7
	v_min_u32_e32 v1, v1, v7
	v_lshlrev_b64 v[5:6], v1, v[5:6]
	v_sub_u32_e32 v1, 32, v1
	v_min_u32_e32 v5, 1, v5
	v_or_b32_e32 v5, v6, v5
	v_cvt_f32_i32_e32 v5, v5
	v_ldexp_f32 v1, v5, v1
	v_bfe_u32 v5, v1, 16, 1
	v_add3_u32 v1, v1, v5, s10
	v_lshrrev_b32_e32 v5, 16, v1
	s_mov_b64 s[10:11], 0
	s_branch .LBB199_1328
.LBB199_1325:
                                        ; implicit-def: $vgpr5
	s_branch .LBB199_1334
.LBB199_1326:
	s_mov_b64 s[10:11], -1
                                        ; implicit-def: $vgpr5
	s_branch .LBB199_1331
.LBB199_1327:
	s_mov_b64 s[10:11], -1
                                        ; implicit-def: $vgpr5
.LBB199_1328:
	s_andn2_b64 vcc, exec, s[10:11]
	s_cbranch_vccnz .LBB199_1330
; %bb.1329:
	s_waitcnt vmcnt(0)
	global_load_dword v1, v[3:4], off
	s_movk_i32 s10, 0x7fff
	s_waitcnt vmcnt(0)
	v_cvt_f32_i32_e32 v1, v1
	v_bfe_u32 v5, v1, 16, 1
	v_add3_u32 v1, v1, v5, s10
	v_lshrrev_b32_e32 v5, 16, v1
.LBB199_1330:
	s_mov_b64 s[10:11], 0
.LBB199_1331:
	s_andn2_b64 vcc, exec, s[10:11]
	s_cbranch_vccnz .LBB199_1333
; %bb.1332:
	s_waitcnt vmcnt(0)
	global_load_sshort v1, v[3:4], off
	s_movk_i32 s10, 0x7fff
	s_waitcnt vmcnt(0)
	v_cvt_f32_i32_e32 v1, v1
	v_bfe_u32 v5, v1, 16, 1
	v_add3_u32 v1, v1, v5, s10
	v_lshrrev_b32_e32 v5, 16, v1
.LBB199_1333:
	s_cbranch_execnz .LBB199_1339
.LBB199_1334:
	s_sext_i32_i16 s10, s14
	s_cmp_gt_i32 s10, 0
	s_cbranch_scc0 .LBB199_1336
; %bb.1335:
	s_waitcnt vmcnt(0)
	global_load_sbyte v1, v[3:4], off
	s_movk_i32 s10, 0x7fff
	s_waitcnt vmcnt(0)
	v_cvt_f32_i32_e32 v1, v1
	v_bfe_u32 v5, v1, 16, 1
	v_add3_u32 v1, v1, v5, s10
	v_lshrrev_b32_e32 v5, 16, v1
	s_mov_b64 s[10:11], 0
	s_branch .LBB199_1337
.LBB199_1336:
	s_mov_b64 s[10:11], -1
                                        ; implicit-def: $vgpr5
.LBB199_1337:
	s_andn2_b64 vcc, exec, s[10:11]
	s_cbranch_vccnz .LBB199_1339
; %bb.1338:
	s_waitcnt vmcnt(0)
	global_load_ubyte v1, v[3:4], off
	s_movk_i32 s10, 0x7fff
	s_waitcnt vmcnt(0)
	v_cvt_f32_ubyte0_e32 v1, v1
	v_bfe_u32 v3, v1, 16, 1
	v_add3_u32 v1, v1, v3, s10
	v_lshrrev_b32_e32 v5, 16, v1
.LBB199_1339:
	s_or_b64 s[54:55], s[54:55], exec
.LBB199_1340:
	s_or_b64 exec, exec, s[6:7]
	s_mov_b64 s[20:21], 0
	s_mov_b64 s[18:19], 0
	s_mov_b64 s[16:17], 0
                                        ; implicit-def: $sgpr14
                                        ; implicit-def: $vgpr3_vgpr4
                                        ; implicit-def: $vgpr6
	s_and_saveexec_b64 s[6:7], s[54:55]
	s_cbranch_execz .LBB199_1348
; %bb.1341:
	v_mov_b32_e32 v1, s13
	s_and_b32 s14, s73, 0xff
	s_waitcnt vmcnt(0)
	v_add_co_u32_e32 v3, vcc, s12, v2
	s_cmp_lt_i32 s14, 11
	v_addc_co_u32_e32 v4, vcc, 0, v1, vcc
	s_cbranch_scc1 .LBB199_1351
; %bb.1342:
	s_and_b32 s22, 0xffff, s14
	s_cmp_gt_i32 s22, 25
	s_mov_b64 s[12:13], 0
	s_cbranch_scc0 .LBB199_1352
; %bb.1343:
	s_cmp_gt_i32 s22, 28
	s_cbranch_scc0 .LBB199_1353
; %bb.1344:
	s_cmp_gt_i32 s22, 43
	;; [unrolled: 3-line block ×3, first 2 shown]
	s_cbranch_scc0 .LBB199_1355
; %bb.1346:
	s_cmp_eq_u32 s22, 46
	s_cbranch_scc0 .LBB199_1356
; %bb.1347:
	global_load_dword v6, v[3:4], off
	s_mov_b64 s[10:11], 0
	s_mov_b64 s[16:17], -1
	s_branch .LBB199_1358
.LBB199_1348:
	s_or_b64 exec, exec, s[6:7]
	s_and_saveexec_b64 s[6:7], s[44:45]
	s_cbranch_execnz .LBB199_1421
.LBB199_1349:
	s_or_b64 exec, exec, s[6:7]
	s_and_saveexec_b64 s[6:7], s[20:21]
	s_xor_b64 s[6:7], exec, s[6:7]
	s_cbranch_execz .LBB199_1422
.LBB199_1350:
	s_waitcnt vmcnt(0)
	global_load_ubyte v1, v[3:4], off
	s_or_b64 s[16:17], s[16:17], exec
	s_waitcnt vmcnt(0)
	v_cmp_ne_u16_e32 vcc, 0, v1
	v_cndmask_b32_e64 v1, 0, 1.0, vcc
	v_lshrrev_b32_e32 v6, 16, v1
	s_or_b64 exec, exec, s[6:7]
	s_and_saveexec_b64 s[6:7], s[18:19]
	s_cbranch_execz .LBB199_1468
	s_branch .LBB199_1423
.LBB199_1351:
	s_mov_b64 s[18:19], -1
                                        ; implicit-def: $vgpr6
	s_mov_b64 s[12:13], 0
	s_mov_b64 s[10:11], s[44:45]
	s_branch .LBB199_1420
.LBB199_1352:
	s_mov_b64 s[10:11], s[44:45]
                                        ; implicit-def: $vgpr6
	s_cbranch_execnz .LBB199_1387
	s_branch .LBB199_1419
.LBB199_1353:
	s_mov_b64 s[18:19], -1
	s_mov_b64 s[10:11], s[44:45]
                                        ; implicit-def: $vgpr6
	s_branch .LBB199_1368
.LBB199_1354:
	s_mov_b64 s[18:19], -1
	s_mov_b64 s[10:11], s[44:45]
                                        ; implicit-def: $vgpr6
	s_branch .LBB199_1363
.LBB199_1355:
	s_mov_b64 s[18:19], -1
	s_mov_b64 s[10:11], s[44:45]
	s_branch .LBB199_1357
.LBB199_1356:
	s_mov_b64 s[10:11], -1
.LBB199_1357:
                                        ; implicit-def: $vgpr6
.LBB199_1358:
	s_and_b64 vcc, exec, s[18:19]
	s_cbranch_vccz .LBB199_1362
; %bb.1359:
	s_cmp_eq_u32 s22, 44
	s_cbranch_scc0 .LBB199_1361
; %bb.1360:
	global_load_ubyte v1, v[3:4], off
	s_movk_i32 s16, 0xff
	v_mov_b32_e32 v2, 0x7f800001
	s_waitcnt vmcnt(1)
	v_mov_b32_e32 v6, 0x400000
	v_mov_b32_e32 v7, 0x7fc0
	s_mov_b64 s[10:11], 0
	s_waitcnt vmcnt(0)
	v_lshlrev_b32_e32 v8, 23, v1
	v_cmp_ne_u32_e32 vcc, s16, v1
	v_cndmask_b32_e32 v2, v2, v8, vcc
	v_cmp_ne_u32_e32 vcc, 0, v1
	v_cndmask_b32_e32 v1, v6, v2, vcc
	v_add_u32_e32 v2, 0x7fff, v1
	v_cmp_o_f32_e32 vcc, v1, v1
	v_cndmask_b32_sdwa v6, v7, v2, vcc dst_sel:DWORD dst_unused:UNUSED_PAD src0_sel:DWORD src1_sel:WORD_1
	s_mov_b64 s[16:17], -1
	s_branch .LBB199_1362
.LBB199_1361:
	s_mov_b64 s[10:11], -1
                                        ; implicit-def: $vgpr6
.LBB199_1362:
	s_mov_b64 s[18:19], 0
.LBB199_1363:
	s_and_b64 vcc, exec, s[18:19]
	s_cbranch_vccz .LBB199_1367
; %bb.1364:
	s_cmp_eq_u32 s22, 29
	s_cbranch_scc0 .LBB199_1366
; %bb.1365:
	global_load_dwordx2 v[1:2], v[3:4], off
	s_movk_i32 s16, 0x7fff
	s_mov_b64 s[10:11], 0
	s_mov_b64 s[18:19], 0
	s_waitcnt vmcnt(0)
	v_ffbh_u32_e32 v6, v2
	v_min_u32_e32 v6, 32, v6
	v_lshlrev_b64 v[1:2], v6, v[1:2]
	v_min_u32_e32 v1, 1, v1
	v_or_b32_e32 v1, v2, v1
	v_cvt_f32_u32_e32 v1, v1
	v_sub_u32_e32 v2, 32, v6
	v_ldexp_f32 v1, v1, v2
	v_bfe_u32 v2, v1, 16, 1
	v_add3_u32 v1, v1, v2, s16
	v_lshrrev_b32_e32 v6, 16, v1
	s_mov_b64 s[16:17], -1
	s_branch .LBB199_1368
.LBB199_1366:
	s_mov_b64 s[10:11], -1
                                        ; implicit-def: $vgpr6
.LBB199_1367:
	s_mov_b64 s[18:19], 0
.LBB199_1368:
	s_and_b64 vcc, exec, s[18:19]
	s_cbranch_vccz .LBB199_1386
; %bb.1369:
	s_cmp_lt_i32 s22, 27
	s_cbranch_scc1 .LBB199_1372
; %bb.1370:
	s_cmp_gt_i32 s22, 27
	s_cbranch_scc0 .LBB199_1373
; %bb.1371:
	global_load_dword v1, v[3:4], off
	s_movk_i32 s16, 0x7fff
	s_waitcnt vmcnt(0)
	v_cvt_f32_u32_e32 v1, v1
	v_bfe_u32 v2, v1, 16, 1
	v_add3_u32 v1, v1, v2, s16
	v_lshrrev_b32_e32 v6, 16, v1
	s_mov_b64 s[16:17], 0
	s_branch .LBB199_1374
.LBB199_1372:
	s_mov_b64 s[16:17], -1
                                        ; implicit-def: $vgpr6
	s_branch .LBB199_1377
.LBB199_1373:
	s_mov_b64 s[16:17], -1
                                        ; implicit-def: $vgpr6
.LBB199_1374:
	s_andn2_b64 vcc, exec, s[16:17]
	s_cbranch_vccnz .LBB199_1376
; %bb.1375:
	global_load_ushort v1, v[3:4], off
	s_movk_i32 s16, 0x7fff
	s_waitcnt vmcnt(0)
	v_cvt_f32_u32_e32 v1, v1
	v_bfe_u32 v2, v1, 16, 1
	v_add3_u32 v1, v1, v2, s16
	v_lshrrev_b32_e32 v6, 16, v1
.LBB199_1376:
	s_mov_b64 s[16:17], 0
.LBB199_1377:
	s_andn2_b64 vcc, exec, s[16:17]
	s_cbranch_vccnz .LBB199_1385
; %bb.1378:
	global_load_ubyte v1, v[3:4], off
	s_movk_i32 s16, 0x7f
	s_waitcnt vmcnt(0)
	v_cmp_lt_i16_e32 vcc, s16, v1
	s_mov_b64 s[16:17], 0
	s_and_saveexec_b64 s[18:19], vcc
	s_xor_b64 s[18:19], exec, s[18:19]
	s_cbranch_execz .LBB199_1398
; %bb.1379:
	s_movk_i32 s16, 0x80
	v_cmp_eq_u16_e32 vcc, s16, v1
	s_mov_b64 s[16:17], -1
	s_and_saveexec_b64 s[20:21], vcc
; %bb.1380:
	s_xor_b64 s[16:17], exec, -1
; %bb.1381:
	s_or_b64 exec, exec, s[20:21]
	s_and_b64 s[16:17], s[16:17], exec
	s_or_saveexec_b64 s[18:19], s[18:19]
	v_mov_b32_e32 v2, 0x7f800001
	s_xor_b64 exec, exec, s[18:19]
	s_cbranch_execnz .LBB199_1399
.LBB199_1382:
	s_or_b64 exec, exec, s[18:19]
	s_and_saveexec_b64 s[18:19], s[16:17]
	s_cbranch_execz .LBB199_1384
.LBB199_1383:
	v_lshlrev_b32_e32 v2, 24, v1
	v_and_b32_e32 v1, 0xffff, v1
	v_and_b32_e32 v6, 7, v1
	v_ffbh_u32_e32 v8, v6
	v_min_u32_e32 v8, 32, v8
	v_subrev_u32_e32 v9, 28, v8
	v_bfe_u32 v7, v1, 3, 4
	v_lshlrev_b32_e32 v1, v9, v1
	v_sub_u32_e32 v8, 29, v8
	v_and_b32_e32 v1, 7, v1
	v_cmp_eq_u32_e32 vcc, 0, v7
	v_cndmask_b32_e32 v7, v7, v8, vcc
	v_cndmask_b32_e32 v1, v6, v1, vcc
	v_mov_b32_e32 v6, 0x3b800000
	v_lshlrev_b32_e32 v1, 20, v1
	v_and_b32_e32 v2, 0x80000000, v2
	v_lshl_add_u32 v6, v7, 23, v6
	v_or3_b32 v2, v2, v6, v1
.LBB199_1384:
	s_or_b64 exec, exec, s[18:19]
	v_bfe_u32 v1, v2, 16, 1
	s_movk_i32 s16, 0x7fff
	v_add3_u32 v1, v2, v1, s16
	v_cmp_o_f32_e32 vcc, v2, v2
	v_mov_b32_e32 v2, 0x7fc0
	v_cndmask_b32_sdwa v6, v2, v1, vcc dst_sel:DWORD dst_unused:UNUSED_PAD src0_sel:DWORD src1_sel:WORD_1
.LBB199_1385:
	s_mov_b64 s[16:17], -1
.LBB199_1386:
	s_branch .LBB199_1419
.LBB199_1387:
	s_cmp_gt_i32 s22, 22
	s_cbranch_scc0 .LBB199_1397
; %bb.1388:
	s_cmp_lt_i32 s22, 24
	s_cbranch_scc1 .LBB199_1400
; %bb.1389:
	s_cmp_gt_i32 s22, 24
	s_cbranch_scc0 .LBB199_1401
; %bb.1390:
	global_load_ubyte v1, v[3:4], off
	s_movk_i32 s12, 0x7f
	s_waitcnt vmcnt(0)
	v_cmp_lt_i16_e32 vcc, s12, v1
	s_mov_b64 s[12:13], 0
	s_and_saveexec_b64 s[16:17], vcc
	s_xor_b64 s[16:17], exec, s[16:17]
	s_cbranch_execz .LBB199_1413
; %bb.1391:
	s_movk_i32 s12, 0x80
	v_cmp_eq_u16_e32 vcc, s12, v1
	s_mov_b64 s[12:13], -1
	s_and_saveexec_b64 s[18:19], vcc
; %bb.1392:
	s_xor_b64 s[12:13], exec, -1
; %bb.1393:
	s_or_b64 exec, exec, s[18:19]
	s_and_b64 s[12:13], s[12:13], exec
	s_or_saveexec_b64 s[16:17], s[16:17]
	v_mov_b32_e32 v2, 0x7f800001
	s_xor_b64 exec, exec, s[16:17]
	s_cbranch_execnz .LBB199_1414
.LBB199_1394:
	s_or_b64 exec, exec, s[16:17]
	s_and_saveexec_b64 s[16:17], s[12:13]
	s_cbranch_execz .LBB199_1396
.LBB199_1395:
	v_lshlrev_b32_e32 v2, 24, v1
	v_and_b32_e32 v1, 0xffff, v1
	v_and_b32_e32 v6, 3, v1
	v_ffbh_u32_e32 v8, v6
	v_min_u32_e32 v8, 32, v8
	v_subrev_u32_e32 v9, 29, v8
	v_bfe_u32 v7, v1, 2, 5
	v_lshlrev_b32_e32 v1, v9, v1
	v_sub_u32_e32 v8, 30, v8
	v_and_b32_e32 v1, 3, v1
	v_cmp_eq_u32_e32 vcc, 0, v7
	v_cndmask_b32_e32 v7, v7, v8, vcc
	v_cndmask_b32_e32 v1, v6, v1, vcc
	v_mov_b32_e32 v6, 0x37800000
	v_lshlrev_b32_e32 v1, 21, v1
	v_and_b32_e32 v2, 0x80000000, v2
	v_lshl_add_u32 v6, v7, 23, v6
	v_or3_b32 v2, v2, v6, v1
.LBB199_1396:
	s_or_b64 exec, exec, s[16:17]
	v_bfe_u32 v1, v2, 16, 1
	s_movk_i32 s12, 0x7fff
	v_add3_u32 v1, v2, v1, s12
	v_cmp_o_f32_e32 vcc, v2, v2
	v_mov_b32_e32 v2, 0x7fc0
	v_cndmask_b32_sdwa v6, v2, v1, vcc dst_sel:DWORD dst_unused:UNUSED_PAD src0_sel:DWORD src1_sel:WORD_1
	s_mov_b64 s[12:13], 0
	s_branch .LBB199_1402
.LBB199_1397:
	s_mov_b64 s[12:13], -1
                                        ; implicit-def: $vgpr6
	s_branch .LBB199_1408
.LBB199_1398:
	s_or_saveexec_b64 s[18:19], s[18:19]
	v_mov_b32_e32 v2, 0x7f800001
	s_xor_b64 exec, exec, s[18:19]
	s_cbranch_execz .LBB199_1382
.LBB199_1399:
	v_cmp_ne_u16_e32 vcc, 0, v1
	s_andn2_b64 s[16:17], s[16:17], exec
	s_and_b64 s[20:21], vcc, exec
	v_mov_b32_e32 v2, 0
	s_or_b64 s[16:17], s[16:17], s[20:21]
	s_or_b64 exec, exec, s[18:19]
	s_and_saveexec_b64 s[18:19], s[16:17]
	s_cbranch_execnz .LBB199_1383
	s_branch .LBB199_1384
.LBB199_1400:
	s_mov_b64 s[12:13], -1
                                        ; implicit-def: $vgpr6
	s_branch .LBB199_1405
.LBB199_1401:
	s_mov_b64 s[12:13], -1
                                        ; implicit-def: $vgpr6
.LBB199_1402:
	s_and_b64 vcc, exec, s[12:13]
	s_cbranch_vccz .LBB199_1404
; %bb.1403:
	global_load_ubyte v1, v[3:4], off
	s_mov_b32 s12, 0x7f800000
	s_brev_b32 s13, 1
	s_movk_i32 s16, 0x7fff
	s_waitcnt vmcnt(0)
	v_lshlrev_b32_e32 v1, 24, v1
	v_and_b32_e32 v2, 0x7f000000, v1
	v_ffbh_u32_e32 v6, v2
	v_min_u32_e32 v6, 32, v6
	v_sub_u32_e64 v6, v6, 4 clamp
	v_lshlrev_b32_e32 v8, v6, v2
	v_lshlrev_b32_e32 v6, 23, v6
	v_lshrrev_b32_e32 v8, 4, v8
	v_add_u32_e32 v7, 0x1000000, v2
	v_sub_u32_e32 v6, v8, v6
	v_ashrrev_i32_e32 v7, 8, v7
	v_add_u32_e32 v6, 0x3c000000, v6
	v_and_or_b32 v6, v7, s12, v6
	v_cmp_ne_u32_e32 vcc, 0, v2
	v_cndmask_b32_e32 v2, 0, v6, vcc
	v_and_or_b32 v1, v1, s13, v2
	v_bfe_u32 v2, v2, 16, 1
	v_add3_u32 v2, v1, v2, s16
	v_cmp_o_f32_e32 vcc, v1, v1
	v_mov_b32_e32 v1, 0x7fc0
	v_cndmask_b32_sdwa v6, v1, v2, vcc dst_sel:DWORD dst_unused:UNUSED_PAD src0_sel:DWORD src1_sel:WORD_1
.LBB199_1404:
	s_mov_b64 s[12:13], 0
.LBB199_1405:
	s_andn2_b64 vcc, exec, s[12:13]
	s_cbranch_vccnz .LBB199_1407
; %bb.1406:
	global_load_ubyte v1, v[3:4], off
	s_movk_i32 s12, 0x7f00
	s_brev_b32 s13, 16
	s_brev_b32 s16, 1
	s_movk_i32 s17, 0x7fff
	s_waitcnt vmcnt(0)
	v_lshlrev_b16_e32 v2, 8, v1
	v_lshlrev_b32_e32 v1, 25, v1
	v_lshrrev_b32_e32 v6, 4, v1
	v_and_or_b32 v7, v2, s12, 0.5
	v_or_b32_e32 v6, 0x70000000, v6
	v_add_f32_e32 v7, -0.5, v7
	v_mul_f32_e32 v6, 0x7800000, v6
	v_cmp_gt_u32_e32 vcc, s13, v1
	v_bfe_i32 v2, v2, 0, 16
	v_cndmask_b32_e32 v1, v6, v7, vcc
	v_and_or_b32 v2, v2, s16, v1
	v_bfe_u32 v1, v1, 16, 1
	v_add3_u32 v1, v2, v1, s17
	v_cmp_o_f32_e32 vcc, v2, v2
	v_mov_b32_e32 v2, 0x7fc0
	v_cndmask_b32_sdwa v6, v2, v1, vcc dst_sel:DWORD dst_unused:UNUSED_PAD src0_sel:DWORD src1_sel:WORD_1
.LBB199_1407:
	s_mov_b64 s[12:13], 0
	s_mov_b64 s[16:17], -1
.LBB199_1408:
	s_andn2_b64 vcc, exec, s[12:13]
	s_mov_b64 s[12:13], 0
	s_cbranch_vccnz .LBB199_1419
; %bb.1409:
	s_cmp_gt_i32 s22, 14
	s_cbranch_scc0 .LBB199_1412
; %bb.1410:
	s_cmp_eq_u32 s22, 15
	s_cbranch_scc0 .LBB199_1415
; %bb.1411:
	global_load_ushort v6, v[3:4], off
	s_mov_b64 s[10:11], 0
	s_mov_b64 s[16:17], -1
	s_branch .LBB199_1416
.LBB199_1412:
	s_mov_b64 s[18:19], -1
                                        ; implicit-def: $vgpr6
	s_branch .LBB199_1417
.LBB199_1413:
	s_or_saveexec_b64 s[16:17], s[16:17]
	v_mov_b32_e32 v2, 0x7f800001
	s_xor_b64 exec, exec, s[16:17]
	s_cbranch_execz .LBB199_1394
.LBB199_1414:
	v_cmp_ne_u16_e32 vcc, 0, v1
	s_andn2_b64 s[12:13], s[12:13], exec
	s_and_b64 s[18:19], vcc, exec
	v_mov_b32_e32 v2, 0
	s_or_b64 s[12:13], s[12:13], s[18:19]
	s_or_b64 exec, exec, s[16:17]
	s_and_saveexec_b64 s[16:17], s[12:13]
	s_cbranch_execnz .LBB199_1395
	s_branch .LBB199_1396
.LBB199_1415:
	s_mov_b64 s[10:11], -1
                                        ; implicit-def: $vgpr6
.LBB199_1416:
	s_mov_b64 s[18:19], 0
.LBB199_1417:
	s_and_b64 vcc, exec, s[18:19]
	s_cbranch_vccz .LBB199_1419
; %bb.1418:
	s_cmp_lg_u32 s22, 11
	s_cselect_b64 s[18:19], -1, 0
	s_andn2_b64 s[10:11], s[10:11], exec
	s_and_b64 s[18:19], s[18:19], exec
	s_mov_b64 s[12:13], -1
	s_or_b64 s[10:11], s[10:11], s[18:19]
.LBB199_1419:
	s_mov_b64 s[18:19], 0
.LBB199_1420:
	s_and_b64 s[20:21], s[12:13], exec
	s_andn2_b64 s[12:13], s[44:45], exec
	s_and_b64 s[10:11], s[10:11], exec
	s_and_b64 s[16:17], s[16:17], exec
	;; [unrolled: 1-line block ×3, first 2 shown]
	s_or_b64 s[44:45], s[12:13], s[10:11]
	s_or_b64 exec, exec, s[6:7]
	s_and_saveexec_b64 s[6:7], s[44:45]
	s_cbranch_execz .LBB199_1349
.LBB199_1421:
	s_or_b64 s[2:3], s[2:3], exec
	s_andn2_b64 s[20:21], s[20:21], exec
	s_trap 2
	s_or_b64 exec, exec, s[6:7]
	s_and_saveexec_b64 s[6:7], s[20:21]
	s_xor_b64 s[6:7], exec, s[6:7]
	s_cbranch_execnz .LBB199_1350
.LBB199_1422:
	s_or_b64 exec, exec, s[6:7]
	s_and_saveexec_b64 s[6:7], s[18:19]
	s_cbranch_execz .LBB199_1468
.LBB199_1423:
	s_sext_i32_i16 s10, s14
	s_cmp_lt_i32 s10, 5
	s_cbranch_scc1 .LBB199_1428
; %bb.1424:
	s_cmp_lt_i32 s10, 8
	s_cbranch_scc1 .LBB199_1429
; %bb.1425:
	;; [unrolled: 3-line block ×3, first 2 shown]
	s_cmp_gt_i32 s10, 9
	s_cbranch_scc0 .LBB199_1431
; %bb.1427:
	s_waitcnt vmcnt(0)
	global_load_dwordx2 v[1:2], v[3:4], off
	s_movk_i32 s10, 0x7fff
	s_waitcnt vmcnt(0)
	v_cvt_f32_f64_e32 v1, v[1:2]
	v_mov_b32_e32 v2, 0x7fc0
	v_bfe_u32 v6, v1, 16, 1
	v_cmp_o_f32_e32 vcc, v1, v1
	v_add3_u32 v1, v1, v6, s10
	v_cndmask_b32_sdwa v6, v2, v1, vcc dst_sel:DWORD dst_unused:UNUSED_PAD src0_sel:DWORD src1_sel:WORD_1
	s_mov_b64 s[10:11], 0
	s_branch .LBB199_1432
.LBB199_1428:
                                        ; implicit-def: $vgpr6
	s_branch .LBB199_1449
.LBB199_1429:
                                        ; implicit-def: $vgpr6
	s_branch .LBB199_1438
.LBB199_1430:
	s_mov_b64 s[10:11], -1
                                        ; implicit-def: $vgpr6
	s_branch .LBB199_1435
.LBB199_1431:
	s_mov_b64 s[10:11], -1
                                        ; implicit-def: $vgpr6
.LBB199_1432:
	s_andn2_b64 vcc, exec, s[10:11]
	s_cbranch_vccnz .LBB199_1434
; %bb.1433:
	s_waitcnt vmcnt(0)
	global_load_dword v1, v[3:4], off
	s_movk_i32 s10, 0x7fff
	v_mov_b32_e32 v2, 0x7fc0
	s_waitcnt vmcnt(0)
	v_bfe_u32 v6, v1, 16, 1
	v_cmp_o_f32_e32 vcc, v1, v1
	v_add3_u32 v1, v1, v6, s10
	v_cndmask_b32_sdwa v6, v2, v1, vcc dst_sel:DWORD dst_unused:UNUSED_PAD src0_sel:DWORD src1_sel:WORD_1
.LBB199_1434:
	s_mov_b64 s[10:11], 0
.LBB199_1435:
	s_andn2_b64 vcc, exec, s[10:11]
	s_cbranch_vccnz .LBB199_1437
; %bb.1436:
	s_waitcnt vmcnt(0)
	global_load_dword v1, v[3:4], off
	s_movk_i32 s10, 0x7fff
	v_mov_b32_e32 v6, 0x7fc0
	s_waitcnt vmcnt(0)
	v_cvt_f32_f16_e32 v2, v1
	v_cmp_o_f16_e32 vcc, v1, v1
	v_bfe_u32 v1, v2, 16, 1
	v_add3_u32 v1, v2, v1, s10
	v_cndmask_b32_sdwa v6, v6, v1, vcc dst_sel:DWORD dst_unused:UNUSED_PAD src0_sel:DWORD src1_sel:WORD_1
.LBB199_1437:
	s_cbranch_execnz .LBB199_1448
.LBB199_1438:
	s_sext_i32_i16 s10, s14
	s_cmp_lt_i32 s10, 6
	s_cbranch_scc1 .LBB199_1441
; %bb.1439:
	s_cmp_gt_i32 s10, 6
	s_cbranch_scc0 .LBB199_1442
; %bb.1440:
	s_waitcnt vmcnt(0)
	global_load_dwordx2 v[1:2], v[3:4], off
	s_movk_i32 s10, 0x7fff
	s_waitcnt vmcnt(0)
	v_cvt_f32_f64_e32 v1, v[1:2]
	v_mov_b32_e32 v2, 0x7fc0
	v_bfe_u32 v6, v1, 16, 1
	v_cmp_o_f32_e32 vcc, v1, v1
	v_add3_u32 v1, v1, v6, s10
	v_cndmask_b32_sdwa v6, v2, v1, vcc dst_sel:DWORD dst_unused:UNUSED_PAD src0_sel:DWORD src1_sel:WORD_1
	s_mov_b64 s[10:11], 0
	s_branch .LBB199_1443
.LBB199_1441:
	s_mov_b64 s[10:11], -1
                                        ; implicit-def: $vgpr6
	s_branch .LBB199_1446
.LBB199_1442:
	s_mov_b64 s[10:11], -1
                                        ; implicit-def: $vgpr6
.LBB199_1443:
	s_andn2_b64 vcc, exec, s[10:11]
	s_cbranch_vccnz .LBB199_1445
; %bb.1444:
	s_waitcnt vmcnt(0)
	global_load_dword v1, v[3:4], off
	s_movk_i32 s10, 0x7fff
	v_mov_b32_e32 v2, 0x7fc0
	s_waitcnt vmcnt(0)
	v_bfe_u32 v6, v1, 16, 1
	v_cmp_o_f32_e32 vcc, v1, v1
	v_add3_u32 v1, v1, v6, s10
	v_cndmask_b32_sdwa v6, v2, v1, vcc dst_sel:DWORD dst_unused:UNUSED_PAD src0_sel:DWORD src1_sel:WORD_1
.LBB199_1445:
	s_mov_b64 s[10:11], 0
.LBB199_1446:
	s_andn2_b64 vcc, exec, s[10:11]
	s_cbranch_vccnz .LBB199_1448
; %bb.1447:
	s_waitcnt vmcnt(0)
	global_load_ushort v1, v[3:4], off
	s_movk_i32 s10, 0x7fff
	v_mov_b32_e32 v6, 0x7fc0
	s_waitcnt vmcnt(0)
	v_cvt_f32_f16_e32 v2, v1
	v_cmp_o_f16_e32 vcc, v1, v1
	v_bfe_u32 v1, v2, 16, 1
	v_add3_u32 v1, v2, v1, s10
	v_cndmask_b32_sdwa v6, v6, v1, vcc dst_sel:DWORD dst_unused:UNUSED_PAD src0_sel:DWORD src1_sel:WORD_1
.LBB199_1448:
	s_cbranch_execnz .LBB199_1467
.LBB199_1449:
	s_sext_i32_i16 s10, s14
	s_cmp_lt_i32 s10, 2
	s_cbranch_scc1 .LBB199_1453
; %bb.1450:
	s_cmp_lt_i32 s10, 3
	s_cbranch_scc1 .LBB199_1454
; %bb.1451:
	s_cmp_gt_i32 s10, 3
	s_cbranch_scc0 .LBB199_1455
; %bb.1452:
	s_waitcnt vmcnt(0)
	global_load_dwordx2 v[1:2], v[3:4], off
	s_movk_i32 s10, 0x7fff
	s_waitcnt vmcnt(0)
	v_xor_b32_e32 v7, v1, v2
	v_ffbh_i32_e32 v6, v2
	v_ashrrev_i32_e32 v7, 31, v7
	v_add_u32_e32 v6, -1, v6
	v_add_u32_e32 v7, 32, v7
	v_min_u32_e32 v6, v6, v7
	v_lshlrev_b64 v[1:2], v6, v[1:2]
	v_min_u32_e32 v1, 1, v1
	v_or_b32_e32 v1, v2, v1
	v_cvt_f32_i32_e32 v1, v1
	v_sub_u32_e32 v2, 32, v6
	v_ldexp_f32 v1, v1, v2
	v_bfe_u32 v2, v1, 16, 1
	v_add3_u32 v1, v1, v2, s10
	v_lshrrev_b32_e32 v6, 16, v1
	s_mov_b64 s[10:11], 0
	s_branch .LBB199_1456
.LBB199_1453:
                                        ; implicit-def: $vgpr6
	s_branch .LBB199_1462
.LBB199_1454:
	s_mov_b64 s[10:11], -1
                                        ; implicit-def: $vgpr6
	s_branch .LBB199_1459
.LBB199_1455:
	s_mov_b64 s[10:11], -1
                                        ; implicit-def: $vgpr6
.LBB199_1456:
	s_andn2_b64 vcc, exec, s[10:11]
	s_cbranch_vccnz .LBB199_1458
; %bb.1457:
	s_waitcnt vmcnt(0)
	global_load_dword v1, v[3:4], off
	s_movk_i32 s10, 0x7fff
	s_waitcnt vmcnt(0)
	v_cvt_f32_i32_e32 v1, v1
	v_bfe_u32 v2, v1, 16, 1
	v_add3_u32 v1, v1, v2, s10
	v_lshrrev_b32_e32 v6, 16, v1
.LBB199_1458:
	s_mov_b64 s[10:11], 0
.LBB199_1459:
	s_andn2_b64 vcc, exec, s[10:11]
	s_cbranch_vccnz .LBB199_1461
; %bb.1460:
	s_waitcnt vmcnt(0)
	global_load_sshort v1, v[3:4], off
	s_movk_i32 s10, 0x7fff
	s_waitcnt vmcnt(0)
	v_cvt_f32_i32_e32 v1, v1
	v_bfe_u32 v2, v1, 16, 1
	v_add3_u32 v1, v1, v2, s10
	v_lshrrev_b32_e32 v6, 16, v1
.LBB199_1461:
	s_cbranch_execnz .LBB199_1467
.LBB199_1462:
	s_sext_i32_i16 s10, s14
	s_cmp_gt_i32 s10, 0
	s_cbranch_scc0 .LBB199_1464
; %bb.1463:
	s_waitcnt vmcnt(0)
	global_load_sbyte v1, v[3:4], off
	s_movk_i32 s10, 0x7fff
	s_waitcnt vmcnt(0)
	v_cvt_f32_i32_e32 v1, v1
	v_bfe_u32 v2, v1, 16, 1
	v_add3_u32 v1, v1, v2, s10
	v_lshrrev_b32_e32 v6, 16, v1
	s_mov_b64 s[10:11], 0
	s_branch .LBB199_1465
.LBB199_1464:
	s_mov_b64 s[10:11], -1
                                        ; implicit-def: $vgpr6
.LBB199_1465:
	s_andn2_b64 vcc, exec, s[10:11]
	s_cbranch_vccnz .LBB199_1467
; %bb.1466:
	s_waitcnt vmcnt(0)
	global_load_ubyte v1, v[3:4], off
	s_movk_i32 s10, 0x7fff
	s_waitcnt vmcnt(0)
	v_cvt_f32_ubyte0_e32 v1, v1
	v_bfe_u32 v2, v1, 16, 1
	v_add3_u32 v1, v1, v2, s10
	v_lshrrev_b32_e32 v6, 16, v1
.LBB199_1467:
	s_or_b64 s[16:17], s[16:17], exec
.LBB199_1468:
	s_or_b64 exec, exec, s[6:7]
	s_mov_b64 s[18:19], 0
	s_mov_b64 s[12:13], 0
                                        ; implicit-def: $sgpr6_sgpr7
                                        ; implicit-def: $sgpr20
                                        ; implicit-def: $vgpr1_vgpr2
	s_and_saveexec_b64 s[10:11], s[16:17]
	s_cbranch_execz .LBB199_1543
; %bb.1469:
	s_waitcnt vmcnt(0)
	v_lshlrev_b32_e32 v1, 16, v5
	v_lshlrev_b32_e32 v2, 16, v6
	v_cmp_eq_f32_e32 vcc, v1, v2
	v_cndmask_b32_e64 v3, 0, 1, vcc
	v_cmp_neq_f32_e32 vcc, v1, v2
	v_cndmask_b32_e64 v1, 0, 1, vcc
	v_cndmask_b32_e64 v1, v1, v3, s[0:1]
	v_and_b32_e32 v1, 1, v1
	v_cmp_eq_u32_e64 s[6:7], 1, v1
	v_mov_b32_e32 v2, s9
	s_and_b32 s20, s15, 0xff
	v_add_co_u32_e32 v1, vcc, s8, v0
	s_cmp_lt_i32 s20, 11
	v_addc_co_u32_e32 v2, vcc, 0, v2, vcc
	s_cbranch_scc1 .LBB199_1546
; %bb.1470:
	s_and_b32 s18, 0xffff, s20
	s_mov_b64 s[12:13], -1
	s_cmp_gt_i32 s18, 25
	s_mov_b64 s[0:1], s[42:43]
	s_cbranch_scc0 .LBB199_1503
; %bb.1471:
	s_mov_b64 s[8:9], -1
	s_cmp_gt_i32 s18, 28
	s_mov_b64 s[0:1], s[42:43]
	s_cbranch_scc0 .LBB199_1487
; %bb.1472:
	s_cmp_gt_i32 s18, 43
	s_mov_b64 s[0:1], s[42:43]
	s_cbranch_scc0 .LBB199_1483
; %bb.1473:
	;; [unrolled: 4-line block ×3, first 2 shown]
	s_cmp_eq_u32 s18, 46
	s_mov_b64 s[0:1], -1
	s_cbranch_scc0 .LBB199_1476
; %bb.1475:
	v_cndmask_b32_e64 v0, 0, 1.0, s[6:7]
	v_bfe_u32 v3, v0, 16, 1
	s_movk_i32 s0, 0x7fff
	v_add3_u32 v0, v0, v3, s0
	v_lshrrev_b32_e32 v0, 16, v0
	global_store_dword v[1:2], v0, off
	s_mov_b64 s[0:1], 0
.LBB199_1476:
	s_mov_b64 s[8:9], 0
.LBB199_1477:
	s_and_b64 vcc, exec, s[8:9]
	s_cbranch_vccz .LBB199_1482
; %bb.1478:
	s_cmp_eq_u32 s18, 44
	s_mov_b64 s[0:1], -1
	s_cbranch_scc0 .LBB199_1482
; %bb.1479:
	v_cndmask_b32_e64 v3, 0, 1.0, s[6:7]
	v_lshrrev_b32_e32 v0, 23, v3
	s_movk_i32 s0, 0xff
	v_cmp_ne_u32_e32 vcc, s0, v0
	v_mov_b32_e32 v4, 0xff
	s_and_saveexec_b64 s[8:9], vcc
; %bb.1480:
	s_mov_b32 s0, 0x3fffff
	v_and_b32_e32 v4, 0x400000, v3
	v_and_or_b32 v3, v3, s0, v0
	v_cmp_ne_u32_e32 vcc, 0, v4
	v_cmp_ne_u32_e64 s[0:1], 0, v3
	s_and_b64 s[0:1], vcc, s[0:1]
	v_cndmask_b32_e64 v3, 0, 1, s[0:1]
	v_add_u32_e32 v4, v0, v3
; %bb.1481:
	s_or_b64 exec, exec, s[8:9]
	s_mov_b64 s[0:1], 0
	global_store_byte v[1:2], v4, off
.LBB199_1482:
	s_mov_b64 s[8:9], 0
.LBB199_1483:
	s_and_b64 vcc, exec, s[8:9]
	s_cbranch_vccz .LBB199_1486
; %bb.1484:
	s_cmp_eq_u32 s18, 29
	s_mov_b64 s[0:1], -1
	s_cbranch_scc0 .LBB199_1486
; %bb.1485:
	s_mov_b32 s0, 0
	v_cndmask_b32_e64 v3, 0, 1, s[6:7]
	v_mov_b32_e32 v4, s0
	global_store_dwordx2 v[1:2], v[3:4], off
	s_mov_b64 s[0:1], 0
.LBB199_1486:
	s_mov_b64 s[8:9], 0
.LBB199_1487:
	s_and_b64 vcc, exec, s[8:9]
	s_cbranch_vccz .LBB199_1502
; %bb.1488:
	s_cmp_lt_i32 s18, 27
	s_mov_b64 s[8:9], -1
	s_cbranch_scc1 .LBB199_1494
; %bb.1489:
	s_cmp_gt_i32 s18, 27
	s_cbranch_scc0 .LBB199_1491
; %bb.1490:
	v_cndmask_b32_e64 v0, 0, 1, s[6:7]
	s_mov_b64 s[8:9], 0
	global_store_dword v[1:2], v0, off
.LBB199_1491:
	s_andn2_b64 vcc, exec, s[8:9]
	s_cbranch_vccnz .LBB199_1493
; %bb.1492:
	v_cndmask_b32_e64 v0, 0, 1, s[6:7]
	global_store_short v[1:2], v0, off
.LBB199_1493:
	s_mov_b64 s[8:9], 0
.LBB199_1494:
	s_andn2_b64 vcc, exec, s[8:9]
	s_cbranch_vccnz .LBB199_1502
; %bb.1495:
	v_cndmask_b32_e64 v3, 0, 1.0, s[6:7]
	s_mov_b32 s8, 0x43800000
	v_cmp_gt_u32_e32 vcc, s8, v3
	v_mov_b32_e32 v4, 0x80
	s_and_saveexec_b64 s[8:9], vcc
	s_cbranch_execz .LBB199_1501
; %bb.1496:
	s_mov_b32 s12, 0x3bffffff
	v_cmp_lt_u32_e32 vcc, s12, v3
	s_mov_b64 s[12:13], 0
                                        ; implicit-def: $vgpr0
	s_and_saveexec_b64 s[14:15], vcc
	s_xor_b64 s[14:15], exec, s[14:15]
	s_cbranch_execz .LBB199_1647
; %bb.1497:
	v_bfe_u32 v0, v3, 20, 1
	s_mov_b32 s16, 0x487ffff
	v_add3_u32 v0, v3, v0, s16
	s_mov_b64 s[12:13], exec
	v_lshrrev_b32_e32 v0, 20, v0
                                        ; implicit-def: $vgpr3
	s_andn2_saveexec_b64 s[14:15], s[14:15]
	s_cbranch_execnz .LBB199_1648
.LBB199_1498:
	s_or_b64 exec, exec, s[14:15]
	v_mov_b32_e32 v4, 0
	s_and_saveexec_b64 s[14:15], s[12:13]
.LBB199_1499:
	v_mov_b32_e32 v4, v0
.LBB199_1500:
	s_or_b64 exec, exec, s[14:15]
.LBB199_1501:
	s_or_b64 exec, exec, s[8:9]
	global_store_byte v[1:2], v4, off
.LBB199_1502:
	s_mov_b64 s[12:13], 0
.LBB199_1503:
	s_mov_b64 s[8:9], 0
	s_and_b64 vcc, exec, s[12:13]
	s_cbranch_vccz .LBB199_1547
; %bb.1504:
	s_cmp_gt_i32 s18, 22
	s_mov_b64 s[12:13], -1
	s_cbranch_scc0 .LBB199_1536
; %bb.1505:
	s_cmp_lt_i32 s18, 24
	s_cbranch_scc1 .LBB199_1525
; %bb.1506:
	s_cmp_gt_i32 s18, 24
	s_cbranch_scc0 .LBB199_1514
; %bb.1507:
	v_cndmask_b32_e64 v3, 0, 1.0, s[6:7]
	s_mov_b32 s12, 0x47800000
	v_cmp_gt_u32_e32 vcc, s12, v3
	v_mov_b32_e32 v4, 0x80
	s_and_saveexec_b64 s[12:13], vcc
	s_cbranch_execz .LBB199_1513
; %bb.1508:
	s_mov_b32 s14, 0x37ffffff
	v_cmp_lt_u32_e32 vcc, s14, v3
	s_mov_b64 s[14:15], 0
                                        ; implicit-def: $vgpr0
	s_and_saveexec_b64 s[16:17], vcc
	s_xor_b64 s[16:17], exec, s[16:17]
	s_cbranch_execz .LBB199_1772
; %bb.1509:
	v_bfe_u32 v0, v3, 21, 1
	s_mov_b32 s19, 0x88fffff
	v_add3_u32 v0, v3, v0, s19
	s_mov_b64 s[14:15], exec
	v_lshrrev_b32_e32 v0, 21, v0
                                        ; implicit-def: $vgpr3
	s_andn2_saveexec_b64 s[16:17], s[16:17]
	s_cbranch_execnz .LBB199_1773
.LBB199_1510:
	s_or_b64 exec, exec, s[16:17]
	v_mov_b32_e32 v4, 0
	s_and_saveexec_b64 s[16:17], s[14:15]
.LBB199_1511:
	v_mov_b32_e32 v4, v0
.LBB199_1512:
	s_or_b64 exec, exec, s[16:17]
.LBB199_1513:
	s_or_b64 exec, exec, s[12:13]
	s_mov_b64 s[12:13], 0
	global_store_byte v[1:2], v4, off
.LBB199_1514:
	s_and_b64 vcc, exec, s[12:13]
	s_cbranch_vccz .LBB199_1524
; %bb.1515:
	v_cndmask_b32_e64 v0, 0, 1.0, s[6:7]
	s_mov_b32 s12, 0x43f00000
	v_cmp_gt_u32_e32 vcc, s12, v0
                                        ; implicit-def: $vgpr3
	s_and_saveexec_b64 s[12:13], vcc
	s_xor_b64 s[12:13], exec, s[12:13]
	s_cbranch_execz .LBB199_1521
; %bb.1516:
	s_mov_b32 s14, 0x3c7fffff
	v_cmp_lt_u32_e32 vcc, s14, v0
                                        ; implicit-def: $vgpr3
	s_and_saveexec_b64 s[14:15], vcc
	s_xor_b64 s[14:15], exec, s[14:15]
; %bb.1517:
	v_bfe_u32 v3, v0, 20, 1
	s_mov_b32 s16, 0x407ffff
	v_add3_u32 v0, v0, v3, s16
	v_lshrrev_b32_e32 v3, 20, v0
	v_and_b32_e32 v0, 0xff00000, v0
	s_mov_b32 s16, 0x7f00000
	v_mov_b32_e32 v4, 0x7e
	v_cmp_ne_u32_e32 vcc, s16, v0
	v_cndmask_b32_e32 v3, v4, v3, vcc
                                        ; implicit-def: $vgpr0
; %bb.1518:
	s_andn2_saveexec_b64 s[14:15], s[14:15]
; %bb.1519:
	v_add_f32_e32 v3, 0x46800000, v0
; %bb.1520:
	s_or_b64 exec, exec, s[14:15]
                                        ; implicit-def: $vgpr0
.LBB199_1521:
	s_andn2_saveexec_b64 s[12:13], s[12:13]
; %bb.1522:
	s_mov_b32 s14, 0x7f800000
	v_mov_b32_e32 v3, 0x7e
	v_mov_b32_e32 v4, 0x7f
	v_cmp_lt_u32_e32 vcc, s14, v0
	v_cndmask_b32_e32 v3, v3, v4, vcc
; %bb.1523:
	s_or_b64 exec, exec, s[12:13]
	global_store_byte v[1:2], v3, off
.LBB199_1524:
	s_mov_b64 s[12:13], 0
.LBB199_1525:
	s_andn2_b64 vcc, exec, s[12:13]
	s_cbranch_vccnz .LBB199_1535
; %bb.1526:
	v_cndmask_b32_e64 v0, 0, 1.0, s[6:7]
	s_mov_b32 s12, 0x47800000
	v_cmp_gt_u32_e32 vcc, s12, v0
                                        ; implicit-def: $vgpr3
	s_and_saveexec_b64 s[12:13], vcc
	s_xor_b64 s[12:13], exec, s[12:13]
	s_cbranch_execz .LBB199_1532
; %bb.1527:
	s_mov_b32 s14, 0x387fffff
	v_cmp_lt_u32_e32 vcc, s14, v0
                                        ; implicit-def: $vgpr3
	s_and_saveexec_b64 s[14:15], vcc
	s_xor_b64 s[14:15], exec, s[14:15]
; %bb.1528:
	v_bfe_u32 v3, v0, 21, 1
	s_mov_b32 s16, 0x80fffff
	v_add3_u32 v0, v0, v3, s16
	v_lshrrev_b32_e32 v3, 21, v0
                                        ; implicit-def: $vgpr0
; %bb.1529:
	s_andn2_saveexec_b64 s[14:15], s[14:15]
; %bb.1530:
	v_add_f32_e32 v3, 0x43000000, v0
; %bb.1531:
	s_or_b64 exec, exec, s[14:15]
                                        ; implicit-def: $vgpr0
.LBB199_1532:
	s_andn2_saveexec_b64 s[12:13], s[12:13]
; %bb.1533:
	s_mov_b32 s14, 0x7f800000
	v_mov_b32_e32 v3, 0x7c
	v_mov_b32_e32 v4, 0x7f
	v_cmp_lt_u32_e32 vcc, s14, v0
	v_cndmask_b32_e32 v3, v3, v4, vcc
; %bb.1534:
	s_or_b64 exec, exec, s[12:13]
	global_store_byte v[1:2], v3, off
.LBB199_1535:
	s_mov_b64 s[12:13], 0
.LBB199_1536:
	s_andn2_b64 vcc, exec, s[12:13]
	s_mov_b64 s[14:15], 0
	s_cbranch_vccnz .LBB199_1548
; %bb.1537:
	s_cmp_gt_i32 s18, 14
	s_mov_b64 s[12:13], -1
	s_cbranch_scc0 .LBB199_1541
; %bb.1538:
	s_cmp_eq_u32 s18, 15
	s_mov_b64 s[0:1], -1
	s_cbranch_scc0 .LBB199_1540
; %bb.1539:
	v_cndmask_b32_e64 v0, 0, 1.0, s[6:7]
	v_bfe_u32 v3, v0, 16, 1
	s_movk_i32 s0, 0x7fff
	v_add3_u32 v0, v0, v3, s0
	global_store_short_d16_hi v[1:2], v0, off
	s_mov_b64 s[0:1], 0
.LBB199_1540:
	s_mov_b64 s[12:13], 0
.LBB199_1541:
	s_and_b64 vcc, exec, s[12:13]
	s_cbranch_vccz .LBB199_1548
; %bb.1542:
	s_cmp_lg_u32 s18, 11
	s_cselect_b64 s[12:13], -1, 0
	s_andn2_b64 s[0:1], s[0:1], exec
	s_and_b64 s[12:13], s[12:13], exec
	s_mov_b64 s[14:15], -1
	s_or_b64 s[0:1], s[0:1], s[12:13]
	s_branch .LBB199_1548
.LBB199_1543:
	s_or_b64 exec, exec, s[10:11]
	s_and_saveexec_b64 s[0:1], s[42:43]
	s_cbranch_execnz .LBB199_1549
.LBB199_1544:
	s_or_b64 exec, exec, s[0:1]
	s_and_saveexec_b64 s[0:1], s[18:19]
	s_xor_b64 s[0:1], exec, s[0:1]
	s_cbranch_execz .LBB199_1550
.LBB199_1545:
	v_cndmask_b32_e64 v0, 0, 1, s[6:7]
	global_store_byte v[1:2], v0, off
	s_or_b64 exec, exec, s[0:1]
	s_and_saveexec_b64 s[0:1], s[12:13]
	s_xor_b64 s[0:1], exec, s[0:1]
	s_cbranch_execz .LBB199_1588
	s_branch .LBB199_1551
.LBB199_1546:
	s_mov_b64 s[14:15], 0
	s_mov_b64 s[8:9], -1
	s_mov_b64 s[0:1], s[42:43]
	s_branch .LBB199_1548
.LBB199_1547:
	s_mov_b64 s[14:15], 0
.LBB199_1548:
	s_and_b64 s[12:13], s[8:9], exec
	s_andn2_b64 s[8:9], s[42:43], exec
	s_and_b64 s[0:1], s[0:1], exec
	s_and_b64 s[18:19], s[14:15], exec
	s_or_b64 s[42:43], s[8:9], s[0:1]
	s_or_b64 exec, exec, s[10:11]
	s_and_saveexec_b64 s[0:1], s[42:43]
	s_cbranch_execz .LBB199_1544
.LBB199_1549:
	s_or_b64 s[2:3], s[2:3], exec
	s_andn2_b64 s[18:19], s[18:19], exec
	s_trap 2
	s_or_b64 exec, exec, s[0:1]
	s_and_saveexec_b64 s[0:1], s[18:19]
	s_xor_b64 s[0:1], exec, s[0:1]
	s_cbranch_execnz .LBB199_1545
.LBB199_1550:
	s_or_b64 exec, exec, s[0:1]
	s_and_saveexec_b64 s[0:1], s[12:13]
	s_xor_b64 s[0:1], exec, s[0:1]
	s_cbranch_execz .LBB199_1588
.LBB199_1551:
	s_sext_i32_i16 s10, s20
	s_cmp_lt_i32 s10, 5
	s_mov_b64 s[8:9], -1
	s_cbranch_scc1 .LBB199_1572
; %bb.1552:
	s_cmp_lt_i32 s10, 8
	s_cbranch_scc1 .LBB199_1562
; %bb.1553:
	s_cmp_lt_i32 s10, 9
	s_cbranch_scc1 .LBB199_1559
; %bb.1554:
	s_cmp_gt_i32 s10, 9
	s_cbranch_scc0 .LBB199_1556
; %bb.1555:
	v_cndmask_b32_e64 v0, 0, 1, s[6:7]
	s_waitcnt vmcnt(0)
	v_cvt_f64_u32_e32 v[3:4], v0
	v_mov_b32_e32 v5, 0
	v_mov_b32_e32 v6, v5
	s_mov_b64 s[8:9], 0
	global_store_dwordx4 v[1:2], v[3:6], off
.LBB199_1556:
	s_andn2_b64 vcc, exec, s[8:9]
	s_cbranch_vccnz .LBB199_1558
; %bb.1557:
	s_waitcnt vmcnt(0)
	v_cndmask_b32_e64 v3, 0, 1.0, s[6:7]
	v_mov_b32_e32 v4, 0
	global_store_dwordx2 v[1:2], v[3:4], off
.LBB199_1558:
	s_mov_b64 s[8:9], 0
.LBB199_1559:
	s_andn2_b64 vcc, exec, s[8:9]
	s_cbranch_vccnz .LBB199_1561
; %bb.1560:
	v_cndmask_b32_e64 v0, 0, 1.0, s[6:7]
	v_cvt_f16_f32_e32 v0, v0
	global_store_dword v[1:2], v0, off
.LBB199_1561:
	s_mov_b64 s[8:9], 0
.LBB199_1562:
	s_andn2_b64 vcc, exec, s[8:9]
	s_cbranch_vccnz .LBB199_1571
; %bb.1563:
	s_sext_i32_i16 s10, s20
	s_cmp_lt_i32 s10, 6
	s_mov_b64 s[8:9], -1
	s_cbranch_scc1 .LBB199_1569
; %bb.1564:
	s_cmp_gt_i32 s10, 6
	s_cbranch_scc0 .LBB199_1566
; %bb.1565:
	v_cndmask_b32_e64 v0, 0, 1, s[6:7]
	s_waitcnt vmcnt(0)
	v_cvt_f64_u32_e32 v[3:4], v0
	s_mov_b64 s[8:9], 0
	global_store_dwordx2 v[1:2], v[3:4], off
.LBB199_1566:
	s_andn2_b64 vcc, exec, s[8:9]
	s_cbranch_vccnz .LBB199_1568
; %bb.1567:
	v_cndmask_b32_e64 v0, 0, 1.0, s[6:7]
	global_store_dword v[1:2], v0, off
.LBB199_1568:
	s_mov_b64 s[8:9], 0
.LBB199_1569:
	s_andn2_b64 vcc, exec, s[8:9]
	s_cbranch_vccnz .LBB199_1571
; %bb.1570:
	v_cndmask_b32_e64 v0, 0, 1.0, s[6:7]
	v_cvt_f16_f32_e32 v0, v0
	global_store_short v[1:2], v0, off
.LBB199_1571:
	s_mov_b64 s[8:9], 0
.LBB199_1572:
	s_andn2_b64 vcc, exec, s[8:9]
	s_cbranch_vccnz .LBB199_1588
; %bb.1573:
	s_sext_i32_i16 s10, s20
	s_cmp_lt_i32 s10, 2
	s_mov_b64 s[8:9], -1
	s_cbranch_scc1 .LBB199_1583
; %bb.1574:
	s_cmp_lt_i32 s10, 3
	s_cbranch_scc1 .LBB199_1580
; %bb.1575:
	s_cmp_gt_i32 s10, 3
	s_cbranch_scc0 .LBB199_1577
; %bb.1576:
	s_mov_b32 s8, 0
	s_waitcnt vmcnt(0)
	v_cndmask_b32_e64 v3, 0, 1, s[6:7]
	v_mov_b32_e32 v4, s8
	s_mov_b64 s[8:9], 0
	global_store_dwordx2 v[1:2], v[3:4], off
.LBB199_1577:
	s_andn2_b64 vcc, exec, s[8:9]
	s_cbranch_vccnz .LBB199_1579
; %bb.1578:
	v_cndmask_b32_e64 v0, 0, 1, s[6:7]
	global_store_dword v[1:2], v0, off
.LBB199_1579:
	s_mov_b64 s[8:9], 0
.LBB199_1580:
	s_andn2_b64 vcc, exec, s[8:9]
	s_cbranch_vccnz .LBB199_1582
; %bb.1581:
	v_cndmask_b32_e64 v0, 0, 1, s[6:7]
	global_store_short v[1:2], v0, off
.LBB199_1582:
	s_mov_b64 s[8:9], 0
.LBB199_1583:
	s_andn2_b64 vcc, exec, s[8:9]
	s_cbranch_vccnz .LBB199_1588
; %bb.1584:
	s_sext_i32_i16 s10, s20
	s_mov_b64 s[8:9], -1
	s_cmp_gt_i32 s10, 0
	v_cndmask_b32_e64 v0, 0, 1, s[6:7]
	s_cbranch_scc0 .LBB199_1586
; %bb.1585:
	s_mov_b64 s[8:9], 0
	global_store_byte v[1:2], v0, off
.LBB199_1586:
	s_andn2_b64 vcc, exec, s[8:9]
	s_cbranch_vccnz .LBB199_1588
; %bb.1587:
	global_store_byte v[1:2], v0, off
.LBB199_1588:
	s_or_b64 exec, exec, s[0:1]
	s_and_b64 s[6:7], s[2:3], exec
                                        ; implicit-def: $vgpr23
                                        ; implicit-def: $vgpr8
.LBB199_1589:
	s_or_saveexec_b64 s[12:13], s[30:31]
	s_mov_b64 s[0:1], 0
                                        ; implicit-def: $sgpr2_sgpr3
                                        ; implicit-def: $vgpr0_vgpr1
                                        ; implicit-def: $sgpr22
	s_xor_b64 exec, exec, s[12:13]
	s_cbranch_execz .LBB199_3103
; %bb.1590:
	v_cndmask_b32_e64 v0, 0, 1, s[28:29]
	v_cmp_ne_u32_e64 s[0:1], 1, v0
	s_andn2_b64 vcc, exec, s[28:29]
	s_cbranch_vccnz .LBB199_1596
; %bb.1591:
	s_cmp_lg_u32 s33, 0
	s_cbranch_scc0 .LBB199_1597
; %bb.1592:
	s_min_u32 s8, s72, 15
	s_add_i32 s2, s8, 1
	s_and_b32 s9, s2, 30
	s_add_u32 s2, s24, 0xffffffe8
	s_addc_u32 s3, s25, -1
	v_mov_b32_e32 v19, 0
	v_mov_b32_e32 v21, 0
	s_waitcnt vmcnt(0)
	v_mov_b32_e32 v6, 0
	v_mov_b32_e32 v0, v8
.LBB199_1593:                           ; =>This Inner Loop Header: Depth=1
	s_load_dwordx4 s[16:19], s[2:3], 0x1c
	s_load_dwordx2 s[10:11], s[2:3], 0x2c
	s_load_dwordx2 s[14:15], s[2:3], 0xec
	s_load_dwordx4 s[20:23], s[2:3], 0xdc
	s_add_u32 s2, s2, 24
	s_waitcnt lgkmcnt(0)
	v_mul_hi_u32 v1, s17, v0
	s_addc_u32 s3, s3, 0
	s_add_i32 s9, s9, -2
	s_cmp_lg_u32 s9, 0
	v_add_u32_e32 v1, v0, v1
	v_lshrrev_b32_e32 v1, s18, v1
	v_mul_lo_u32 v2, v1, s16
	v_mul_hi_u32 v3, s10, v1
	v_sub_u32_e32 v2, v0, v2
	v_add_u32_e32 v0, v1, v3
	v_lshrrev_b32_e32 v0, s11, v0
	v_mul_lo_u32 v5, v0, s19
	v_mul_lo_u32 v3, v2, s20
	;; [unrolled: 1-line block ×4, first 2 shown]
	v_sub_u32_e32 v1, v1, v5
	v_mul_lo_u32 v5, v1, s23
	v_mul_lo_u32 v7, v1, s14
	v_mul_lo_u32 v1, v1, s15
	v_add3_u32 v6, v3, v6, v5
	v_add3_u32 v21, v4, v21, v7
	;; [unrolled: 1-line block ×3, first 2 shown]
	s_cbranch_scc1 .LBB199_1593
; %bb.1594:
	s_bitcmp1_b32 s8, 0
	s_cselect_b64 s[8:9], -1, 0
	s_and_b64 vcc, exec, s[8:9]
	s_cbranch_vccnz .LBB199_1598
; %bb.1595:
	s_load_dwordx2 s[8:9], s[2:3], 0x1c
	s_load_dword s14, s[2:3], 0x24
	s_load_dwordx2 s[10:11], s[2:3], 0xdc
	s_waitcnt lgkmcnt(0)
	v_mul_hi_u32 v1, s9, v0
	v_add_u32_e32 v1, v0, v1
	v_lshrrev_b32_e32 v1, s14, v1
	v_mul_lo_u32 v1, v1, s8
	s_load_dword s8, s[2:3], 0xe4
	v_sub_u32_e32 v0, v0, v1
	v_mad_u64_u32 v[6:7], s[2:3], v0, s10, v[6:7]
	v_mad_u64_u32 v[21:22], s[2:3], v0, s11, v[21:22]
	s_waitcnt lgkmcnt(0)
	v_mad_u64_u32 v[19:20], s[2:3], v0, s8, v[19:20]
	s_cbranch_execz .LBB199_1599
	s_branch .LBB199_1601
.LBB199_1596:
                                        ; implicit-def: $vgpr6
                                        ; implicit-def: $vgpr21
                                        ; implicit-def: $vgpr19
	s_branch .LBB199_1599
.LBB199_1597:
	s_waitcnt vmcnt(0)
	v_mov_b32_e32 v6, 0
	v_mov_b32_e32 v21, 0
	;; [unrolled: 1-line block ×3, first 2 shown]
.LBB199_1598:
	s_cbranch_execnz .LBB199_1601
.LBB199_1599:
	s_load_dwordx4 s[8:11], s[24:25], 0x4
	s_load_dwordx4 s[16:19], s[24:25], 0xc4
	s_cmp_lt_u32 s33, 2
	s_waitcnt lgkmcnt(0)
	v_mul_hi_u32 v0, s9, v8
	v_add_u32_e32 v0, v8, v0
	v_lshrrev_b32_e32 v0, s10, v0
	v_mul_lo_u32 v1, v0, s8
	v_sub_u32_e32 v1, v8, v1
	s_waitcnt vmcnt(0)
	v_mul_lo_u32 v6, v1, s16
	v_mul_lo_u32 v21, v1, s17
	;; [unrolled: 1-line block ×3, first 2 shown]
	s_cbranch_scc1 .LBB199_1601
; %bb.1600:
	s_load_dwordx4 s[8:11], s[24:25], 0x10
	s_load_dwordx4 s[16:19], s[24:25], 0xd0
	s_waitcnt lgkmcnt(0)
	v_mul_hi_u32 v1, s9, v0
	v_add_u32_e32 v1, v0, v1
	v_lshrrev_b32_e32 v1, s10, v1
	v_mul_lo_u32 v1, v1, s8
	v_sub_u32_e32 v0, v0, v1
	v_mad_u64_u32 v[6:7], s[2:3], v0, s16, v[6:7]
	v_mad_u64_u32 v[21:22], s[2:3], v0, s17, v[21:22]
	;; [unrolled: 1-line block ×3, first 2 shown]
.LBB199_1601:
	s_and_b64 vcc, exec, s[0:1]
	v_add_u32_e32 v0, 0x80, v8
	s_cbranch_vccnz .LBB199_1607
; %bb.1602:
	s_cmp_lg_u32 s33, 0
	s_cbranch_scc0 .LBB199_1608
; %bb.1603:
	s_min_u32 s8, s72, 15
	s_add_i32 s2, s8, 1
	s_and_b32 s9, s2, 30
	s_add_u32 s2, s24, 0xffffffe8
	s_addc_u32 s3, s25, -1
	v_mov_b32_e32 v15, 0
	v_mov_b32_e32 v17, 0
	;; [unrolled: 1-line block ×4, first 2 shown]
.LBB199_1604:                           ; =>This Inner Loop Header: Depth=1
	s_load_dwordx4 s[16:19], s[2:3], 0x1c
	s_load_dwordx2 s[10:11], s[2:3], 0x2c
	s_load_dwordx2 s[14:15], s[2:3], 0xec
	s_load_dwordx4 s[20:23], s[2:3], 0xdc
	s_add_u32 s2, s2, 24
	s_waitcnt lgkmcnt(0)
	v_mul_hi_u32 v2, s17, v1
	s_addc_u32 s3, s3, 0
	s_add_i32 s9, s9, -2
	s_cmp_lg_u32 s9, 0
	v_add_u32_e32 v2, v1, v2
	v_lshrrev_b32_e32 v2, s18, v2
	s_waitcnt vmcnt(0)
	v_mul_lo_u32 v3, v2, s16
	v_mul_hi_u32 v5, s10, v2
	v_sub_u32_e32 v3, v1, v3
	v_add_u32_e32 v1, v2, v5
	v_lshrrev_b32_e32 v1, s11, v1
	v_mul_lo_u32 v9, v1, s19
	v_mul_lo_u32 v5, v3, s20
	;; [unrolled: 1-line block ×4, first 2 shown]
	v_sub_u32_e32 v2, v2, v9
	v_mul_lo_u32 v9, v2, s23
	v_mul_lo_u32 v10, v2, s14
	;; [unrolled: 1-line block ×3, first 2 shown]
	v_add3_u32 v4, v5, v4, v9
	v_add3_u32 v17, v7, v17, v10
	;; [unrolled: 1-line block ×3, first 2 shown]
	s_cbranch_scc1 .LBB199_1604
; %bb.1605:
	s_bitcmp1_b32 s8, 0
	s_cselect_b64 s[8:9], -1, 0
	s_and_b64 vcc, exec, s[8:9]
	s_cbranch_vccnz .LBB199_1609
; %bb.1606:
	s_load_dwordx2 s[8:9], s[2:3], 0x1c
	s_load_dword s14, s[2:3], 0x24
	s_load_dwordx2 s[10:11], s[2:3], 0xdc
	s_waitcnt lgkmcnt(0)
	v_mul_hi_u32 v2, s9, v1
	v_add_u32_e32 v2, v1, v2
	v_lshrrev_b32_e32 v2, s14, v2
	v_mul_lo_u32 v2, v2, s8
	s_load_dword s8, s[2:3], 0xe4
	v_sub_u32_e32 v1, v1, v2
	v_mad_u64_u32 v[4:5], s[2:3], v1, s10, v[4:5]
	v_mad_u64_u32 v[17:18], s[2:3], v1, s11, v[17:18]
	s_waitcnt lgkmcnt(0)
	v_mad_u64_u32 v[15:16], s[2:3], v1, s8, v[15:16]
	s_cbranch_execz .LBB199_1610
	s_branch .LBB199_1612
.LBB199_1607:
                                        ; implicit-def: $vgpr4
                                        ; implicit-def: $vgpr17
                                        ; implicit-def: $vgpr15
	s_branch .LBB199_1610
.LBB199_1608:
	v_mov_b32_e32 v4, 0
	v_mov_b32_e32 v17, 0
	;; [unrolled: 1-line block ×3, first 2 shown]
.LBB199_1609:
	s_cbranch_execnz .LBB199_1612
.LBB199_1610:
	s_load_dwordx4 s[8:11], s[24:25], 0x4
	s_load_dwordx4 s[16:19], s[24:25], 0xc4
	s_cmp_lt_u32 s33, 2
	s_waitcnt lgkmcnt(0)
	v_mul_hi_u32 v1, s9, v0
	v_add_u32_e32 v1, v0, v1
	v_lshrrev_b32_e32 v1, s10, v1
	v_mul_lo_u32 v2, v1, s8
	v_sub_u32_e32 v0, v0, v2
	v_mul_lo_u32 v4, v0, s16
	v_mul_lo_u32 v17, v0, s17
	;; [unrolled: 1-line block ×3, first 2 shown]
	s_cbranch_scc1 .LBB199_1612
; %bb.1611:
	s_load_dwordx4 s[8:11], s[24:25], 0x10
	s_load_dwordx4 s[16:19], s[24:25], 0xd0
	s_waitcnt lgkmcnt(0)
	v_mul_hi_u32 v0, s9, v1
	v_add_u32_e32 v0, v1, v0
	v_lshrrev_b32_e32 v0, s10, v0
	v_mul_lo_u32 v0, v0, s8
	v_sub_u32_e32 v0, v1, v0
	s_waitcnt vmcnt(0)
	v_mad_u64_u32 v[4:5], s[2:3], v0, s16, v[4:5]
	v_mad_u64_u32 v[17:18], s[2:3], v0, s17, v[17:18]
	;; [unrolled: 1-line block ×3, first 2 shown]
.LBB199_1612:
	s_and_b64 vcc, exec, s[0:1]
	v_add_u32_e32 v0, 0x100, v8
	s_cbranch_vccnz .LBB199_1618
; %bb.1613:
	s_cmp_lg_u32 s33, 0
	s_cbranch_scc0 .LBB199_1619
; %bb.1614:
	s_min_u32 s8, s72, 15
	s_add_i32 s2, s8, 1
	s_and_b32 s9, s2, 30
	s_add_u32 s2, s24, 0xffffffe8
	s_addc_u32 s3, s25, -1
	v_mov_b32_e32 v11, 0
	v_mov_b32_e32 v13, 0
	;; [unrolled: 1-line block ×4, first 2 shown]
.LBB199_1615:                           ; =>This Inner Loop Header: Depth=1
	s_load_dwordx4 s[16:19], s[2:3], 0x1c
	s_load_dwordx2 s[10:11], s[2:3], 0x2c
	s_load_dwordx2 s[14:15], s[2:3], 0xec
	s_load_dwordx4 s[20:23], s[2:3], 0xdc
	s_add_u32 s2, s2, 24
	s_waitcnt vmcnt(0) lgkmcnt(0)
	v_mul_hi_u32 v3, s17, v1
	s_addc_u32 s3, s3, 0
	s_add_i32 s9, s9, -2
	s_cmp_lg_u32 s9, 0
	v_add_u32_e32 v3, v1, v3
	v_lshrrev_b32_e32 v3, s18, v3
	v_mul_lo_u32 v5, v3, s16
	v_mul_hi_u32 v7, s10, v3
	v_sub_u32_e32 v5, v1, v5
	v_add_u32_e32 v1, v3, v7
	v_lshrrev_b32_e32 v1, s11, v1
	v_mul_lo_u32 v9, v1, s19
	v_mul_lo_u32 v7, v5, s20
	v_mul_lo_u32 v8, v5, s21
	v_mul_lo_u32 v5, v5, s22
	v_sub_u32_e32 v3, v3, v9
	v_mul_lo_u32 v9, v3, s23
	v_mul_lo_u32 v10, v3, s14
	;; [unrolled: 1-line block ×3, first 2 shown]
	v_add3_u32 v2, v7, v2, v9
	v_add3_u32 v13, v8, v13, v10
	;; [unrolled: 1-line block ×3, first 2 shown]
	s_cbranch_scc1 .LBB199_1615
; %bb.1616:
	s_bitcmp1_b32 s8, 0
	s_cselect_b64 s[8:9], -1, 0
	s_and_b64 vcc, exec, s[8:9]
	s_cbranch_vccnz .LBB199_1620
; %bb.1617:
	s_load_dwordx2 s[8:9], s[2:3], 0x1c
	s_load_dword s14, s[2:3], 0x24
	s_load_dwordx2 s[10:11], s[2:3], 0xdc
	s_waitcnt lgkmcnt(0)
	v_mul_hi_u32 v3, s9, v1
	v_add_u32_e32 v3, v1, v3
	v_lshrrev_b32_e32 v3, s14, v3
	v_mul_lo_u32 v3, v3, s8
	s_load_dword s8, s[2:3], 0xe4
	v_sub_u32_e32 v1, v1, v3
	v_mad_u64_u32 v[2:3], s[2:3], v1, s10, v[2:3]
	v_mad_u64_u32 v[13:14], s[2:3], v1, s11, v[13:14]
	s_waitcnt lgkmcnt(0)
	v_mad_u64_u32 v[11:12], s[2:3], v1, s8, v[11:12]
	s_cbranch_execz .LBB199_1621
	s_branch .LBB199_1623
.LBB199_1618:
                                        ; implicit-def: $vgpr2
                                        ; implicit-def: $vgpr13
                                        ; implicit-def: $vgpr11
	s_branch .LBB199_1621
.LBB199_1619:
	v_mov_b32_e32 v2, 0
	v_mov_b32_e32 v13, 0
	;; [unrolled: 1-line block ×3, first 2 shown]
.LBB199_1620:
	s_cbranch_execnz .LBB199_1623
.LBB199_1621:
	s_load_dwordx4 s[8:11], s[24:25], 0x4
	s_load_dwordx4 s[16:19], s[24:25], 0xc4
	s_cmp_lt_u32 s33, 2
	s_waitcnt lgkmcnt(0)
	v_mul_hi_u32 v1, s9, v0
	v_add_u32_e32 v1, v0, v1
	v_lshrrev_b32_e32 v1, s10, v1
	v_mul_lo_u32 v2, v1, s8
	v_sub_u32_e32 v0, v0, v2
	v_mul_lo_u32 v2, v0, s16
	v_mul_lo_u32 v13, v0, s17
	v_mul_lo_u32 v11, v0, s18
	s_cbranch_scc1 .LBB199_1623
; %bb.1622:
	s_load_dwordx4 s[8:11], s[24:25], 0x10
	s_load_dwordx4 s[16:19], s[24:25], 0xd0
	s_waitcnt lgkmcnt(0)
	v_mul_hi_u32 v0, s9, v1
	v_add_u32_e32 v0, v1, v0
	v_lshrrev_b32_e32 v0, s10, v0
	v_mul_lo_u32 v0, v0, s8
	v_sub_u32_e32 v0, v1, v0
	s_waitcnt vmcnt(0)
	v_mad_u64_u32 v[2:3], s[2:3], v0, s16, v[2:3]
	v_mad_u64_u32 v[13:14], s[2:3], v0, s17, v[13:14]
	;; [unrolled: 1-line block ×3, first 2 shown]
.LBB199_1623:
	s_and_b64 vcc, exec, s[0:1]
	s_cbranch_vccnz .LBB199_1629
; %bb.1624:
	s_cmp_lg_u32 s33, 0
	s_cbranch_scc0 .LBB199_1630
; %bb.1625:
	s_min_u32 s2, s72, 15
	s_add_i32 s0, s2, 1
	s_and_b32 s3, s0, 30
	s_add_u32 s0, s24, 0xffffffe8
	s_addc_u32 s1, s25, -1
	v_mov_b32_e32 v7, 0
	v_mov_b32_e32 v9, 0
	;; [unrolled: 1-line block ×4, first 2 shown]
.LBB199_1626:                           ; =>This Inner Loop Header: Depth=1
	s_load_dwordx4 s[8:11], s[0:1], 0x1c
	s_load_dwordx2 s[14:15], s[0:1], 0x2c
	s_load_dwordx2 s[20:21], s[0:1], 0xec
	s_load_dwordx4 s[16:19], s[0:1], 0xdc
	s_add_u32 s0, s0, 24
	s_waitcnt vmcnt(0) lgkmcnt(0)
	v_mul_hi_u32 v3, s9, v1
	s_addc_u32 s1, s1, 0
	s_add_i32 s3, s3, -2
	s_cmp_lg_u32 s3, 0
	v_add_u32_e32 v3, v1, v3
	v_lshrrev_b32_e32 v3, s10, v3
	v_mul_lo_u32 v5, v3, s8
	v_mul_hi_u32 v8, s14, v3
	v_sub_u32_e32 v5, v1, v5
	v_add_u32_e32 v1, v3, v8
	v_lshrrev_b32_e32 v1, s15, v1
	v_mul_lo_u32 v12, v1, s11
	v_mul_lo_u32 v8, v5, s16
	;; [unrolled: 1-line block ×4, first 2 shown]
	v_sub_u32_e32 v3, v3, v12
	v_mul_lo_u32 v12, v3, s19
	v_mul_lo_u32 v14, v3, s20
	;; [unrolled: 1-line block ×3, first 2 shown]
	v_add3_u32 v0, v8, v0, v12
	v_add3_u32 v9, v10, v9, v14
	;; [unrolled: 1-line block ×3, first 2 shown]
	s_cbranch_scc1 .LBB199_1626
; %bb.1627:
	s_bitcmp1_b32 s2, 0
	s_cselect_b64 s[2:3], -1, 0
	s_and_b64 vcc, exec, s[2:3]
	s_cbranch_vccnz .LBB199_1631
; %bb.1628:
	s_load_dwordx2 s[2:3], s[0:1], 0x1c
	s_load_dword s10, s[0:1], 0x24
	s_load_dwordx2 s[8:9], s[0:1], 0xdc
	s_waitcnt lgkmcnt(0)
	v_mul_hi_u32 v3, s3, v1
	v_add_u32_e32 v3, v1, v3
	v_lshrrev_b32_e32 v3, s10, v3
	v_mul_lo_u32 v3, v3, s2
	s_load_dword s2, s[0:1], 0xe4
	v_sub_u32_e32 v3, v1, v3
	v_mad_u64_u32 v[0:1], s[0:1], v3, s8, v[0:1]
	v_mad_u64_u32 v[9:10], s[0:1], v3, s9, v[9:10]
	s_waitcnt lgkmcnt(0)
	v_mad_u64_u32 v[7:8], s[0:1], v3, s2, v[7:8]
	s_cbranch_execz .LBB199_1632
	s_branch .LBB199_1634
.LBB199_1629:
                                        ; implicit-def: $vgpr0
                                        ; implicit-def: $vgpr9
                                        ; implicit-def: $vgpr7
	s_branch .LBB199_1632
.LBB199_1630:
	v_mov_b32_e32 v0, 0
	v_mov_b32_e32 v9, 0
	;; [unrolled: 1-line block ×3, first 2 shown]
.LBB199_1631:
	s_cbranch_execnz .LBB199_1634
.LBB199_1632:
	s_load_dwordx4 s[0:3], s[24:25], 0x4
	s_load_dwordx4 s[8:11], s[24:25], 0xc4
	s_cmp_lt_u32 s33, 2
	s_waitcnt lgkmcnt(0)
	v_mul_hi_u32 v0, s1, v23
	v_add_u32_e32 v0, v23, v0
	v_lshrrev_b32_e32 v1, s2, v0
	v_mul_lo_u32 v0, v1, s0
	s_waitcnt vmcnt(0)
	v_sub_u32_e32 v3, v23, v0
	v_mul_lo_u32 v0, v3, s8
	v_mul_lo_u32 v9, v3, s9
	;; [unrolled: 1-line block ×3, first 2 shown]
	s_cbranch_scc1 .LBB199_1634
; %bb.1633:
	s_load_dwordx4 s[0:3], s[24:25], 0x10
	s_load_dwordx4 s[8:11], s[24:25], 0xd0
	s_waitcnt lgkmcnt(0)
	v_mul_hi_u32 v3, s1, v1
	v_add_u32_e32 v3, v1, v3
	v_lshrrev_b32_e32 v3, s2, v3
	v_mul_lo_u32 v3, v3, s0
	v_sub_u32_e32 v3, v1, v3
	v_mad_u64_u32 v[0:1], s[0:1], v3, s8, v[0:1]
	v_mad_u64_u32 v[9:10], s[0:1], v3, s9, v[9:10]
	;; [unrolled: 1-line block ×3, first 2 shown]
.LBB199_1634:
	s_load_dwordx4 s[8:11], s[24:25], 0x188
	s_load_dword s23, s[4:5], 0x1ac
	s_waitcnt lgkmcnt(0)
	v_mov_b32_e32 v1, s11
	s_bfe_u32 s18, s23, 0x80008
	v_add_co_u32_e32 v20, vcc, s10, v21
	s_cmp_lt_i32 s18, 11
	v_addc_co_u32_e32 v21, vcc, 0, v1, vcc
	s_cbranch_scc1 .LBB199_1641
; %bb.1635:
	s_and_b32 s19, 0xffff, s18
	s_cmp_gt_i32 s19, 25
	s_mov_b64 s[2:3], 0
	s_cbranch_scc0 .LBB199_1643
; %bb.1636:
	s_cmp_gt_i32 s19, 28
	s_cbranch_scc0 .LBB199_1644
; %bb.1637:
	s_cmp_gt_i32 s19, 43
	;; [unrolled: 3-line block ×3, first 2 shown]
	s_cbranch_scc0 .LBB199_1646
; %bb.1639:
	s_cmp_eq_u32 s19, 46
	s_mov_b64 s[14:15], 0
	s_cbranch_scc0 .LBB199_1649
; %bb.1640:
	global_load_dword v1, v[20:21], off
	s_mov_b64 s[0:1], 0
	s_mov_b64 s[4:5], -1
	s_branch .LBB199_1650
.LBB199_1641:
	s_mov_b64 s[4:5], 0
                                        ; implicit-def: $vgpr1
	s_mov_b64 s[14:15], s[6:7]
	s_cbranch_execnz .LBB199_1713
.LBB199_1642:
	s_andn2_b64 vcc, exec, s[4:5]
	s_cbranch_vccz .LBB199_1758
	s_branch .LBB199_3101
.LBB199_1643:
	s_mov_b64 s[4:5], 0
	s_mov_b64 s[0:1], 0
                                        ; implicit-def: $vgpr1
	s_cbranch_execnz .LBB199_1678
	s_branch .LBB199_1709
.LBB199_1644:
	s_mov_b64 s[14:15], -1
	s_mov_b64 s[4:5], 0
	s_mov_b64 s[0:1], 0
                                        ; implicit-def: $vgpr1
	s_branch .LBB199_1659
.LBB199_1645:
	s_mov_b64 s[4:5], 0
	s_mov_b64 s[0:1], 0
                                        ; implicit-def: $vgpr1
	s_cbranch_execnz .LBB199_1655
	s_branch .LBB199_1658
.LBB199_1646:
	s_mov_b64 s[14:15], -1
	s_mov_b64 s[4:5], 0
	s_mov_b64 s[0:1], 0
                                        ; implicit-def: $vgpr1
	s_branch .LBB199_1650
.LBB199_1647:
	s_andn2_saveexec_b64 s[14:15], s[14:15]
	s_cbranch_execz .LBB199_1498
.LBB199_1648:
	v_add_f32_e32 v0, 0x46000000, v3
	v_and_b32_e32 v0, 0xff, v0
	v_cmp_ne_u32_e32 vcc, 0, v0
	s_andn2_b64 s[12:13], s[12:13], exec
	s_and_b64 s[16:17], vcc, exec
	s_or_b64 s[12:13], s[12:13], s[16:17]
	s_or_b64 exec, exec, s[14:15]
	v_mov_b32_e32 v4, 0
	s_and_saveexec_b64 s[14:15], s[12:13]
	s_cbranch_execnz .LBB199_1499
	s_branch .LBB199_1500
.LBB199_1649:
	s_mov_b64 s[0:1], -1
                                        ; implicit-def: $vgpr1
	s_mov_b64 s[4:5], 0
.LBB199_1650:
	s_and_b64 vcc, exec, s[14:15]
	s_cbranch_vccz .LBB199_1653
; %bb.1651:
	s_cmp_eq_u32 s19, 44
	s_cbranch_scc0 .LBB199_1654
; %bb.1652:
	global_load_ubyte v1, v[20:21], off
	s_movk_i32 s4, 0xff
	s_waitcnt vmcnt(1)
	v_mov_b32_e32 v3, 0x7f800001
	v_mov_b32_e32 v5, 0x400000
	;; [unrolled: 1-line block ×3, first 2 shown]
	s_mov_b64 s[0:1], 0
	s_waitcnt vmcnt(0)
	v_lshlrev_b32_e32 v10, 23, v1
	v_cmp_ne_u32_e32 vcc, s4, v1
	v_cndmask_b32_e32 v3, v3, v10, vcc
	v_cmp_ne_u32_e32 vcc, 0, v1
	v_cndmask_b32_e32 v1, v5, v3, vcc
	v_add_u32_e32 v3, 0x7fff, v1
	v_cmp_o_f32_e32 vcc, v1, v1
	v_cndmask_b32_sdwa v1, v8, v3, vcc dst_sel:DWORD dst_unused:UNUSED_PAD src0_sel:DWORD src1_sel:WORD_1
	s_mov_b64 s[4:5], -1
.LBB199_1653:
	s_branch .LBB199_1658
.LBB199_1654:
	s_mov_b64 s[0:1], -1
                                        ; implicit-def: $vgpr1
	s_branch .LBB199_1658
.LBB199_1655:
	s_cmp_eq_u32 s19, 29
	s_cbranch_scc0 .LBB199_1657
; %bb.1656:
	global_load_dwordx2 v[22:23], v[20:21], off
	s_movk_i32 s4, 0x7fff
	s_mov_b64 s[0:1], 0
	s_mov_b64 s[14:15], 0
	s_waitcnt vmcnt(0)
	v_ffbh_u32_e32 v1, v23
	v_min_u32_e32 v1, 32, v1
	v_lshlrev_b64 v[22:23], v1, v[22:23]
	v_sub_u32_e32 v1, 32, v1
	v_min_u32_e32 v3, 1, v22
	v_or_b32_e32 v3, v23, v3
	v_cvt_f32_u32_e32 v3, v3
	v_ldexp_f32 v1, v3, v1
	v_bfe_u32 v3, v1, 16, 1
	v_add3_u32 v1, v1, v3, s4
	v_lshrrev_b32_e32 v1, 16, v1
	s_mov_b64 s[4:5], -1
	s_branch .LBB199_1659
.LBB199_1657:
	s_mov_b64 s[0:1], -1
                                        ; implicit-def: $vgpr1
.LBB199_1658:
	s_mov_b64 s[14:15], 0
.LBB199_1659:
	s_and_b64 vcc, exec, s[14:15]
	s_cbranch_vccz .LBB199_1677
; %bb.1660:
	s_cmp_lt_i32 s19, 27
	s_cbranch_scc1 .LBB199_1663
; %bb.1661:
	s_cmp_gt_i32 s19, 27
	s_cbranch_scc0 .LBB199_1664
; %bb.1662:
	global_load_dword v1, v[20:21], off
	s_movk_i32 s4, 0x7fff
	s_waitcnt vmcnt(0)
	v_cvt_f32_u32_e32 v1, v1
	v_bfe_u32 v3, v1, 16, 1
	v_add3_u32 v1, v1, v3, s4
	v_lshrrev_b32_e32 v1, 16, v1
	s_mov_b64 s[4:5], 0
	s_branch .LBB199_1665
.LBB199_1663:
	s_mov_b64 s[4:5], -1
                                        ; implicit-def: $vgpr1
	s_branch .LBB199_1668
.LBB199_1664:
	s_mov_b64 s[4:5], -1
                                        ; implicit-def: $vgpr1
.LBB199_1665:
	s_andn2_b64 vcc, exec, s[4:5]
	s_cbranch_vccnz .LBB199_1667
; %bb.1666:
	global_load_ushort v1, v[20:21], off
	s_movk_i32 s4, 0x7fff
	s_waitcnt vmcnt(0)
	v_cvt_f32_u32_e32 v1, v1
	v_bfe_u32 v3, v1, 16, 1
	v_add3_u32 v1, v1, v3, s4
	v_lshrrev_b32_e32 v1, 16, v1
.LBB199_1667:
	s_mov_b64 s[4:5], 0
.LBB199_1668:
	s_andn2_b64 vcc, exec, s[4:5]
	s_cbranch_vccnz .LBB199_1676
; %bb.1669:
	global_load_ubyte v1, v[20:21], off
	s_movk_i32 s4, 0x7f
	s_waitcnt vmcnt(0)
	v_cmp_lt_i16_e32 vcc, s4, v1
	s_mov_b64 s[4:5], 0
	s_and_saveexec_b64 s[14:15], vcc
	s_xor_b64 s[14:15], exec, s[14:15]
	s_cbranch_execz .LBB199_1689
; %bb.1670:
	s_movk_i32 s4, 0x80
	v_cmp_eq_u16_e32 vcc, s4, v1
	s_mov_b64 s[4:5], -1
	s_and_saveexec_b64 s[16:17], vcc
; %bb.1671:
	s_xor_b64 s[4:5], exec, -1
; %bb.1672:
	s_or_b64 exec, exec, s[16:17]
	s_and_b64 s[4:5], s[4:5], exec
	s_or_saveexec_b64 s[14:15], s[14:15]
	v_mov_b32_e32 v3, 0x7f800001
	s_xor_b64 exec, exec, s[14:15]
	s_cbranch_execnz .LBB199_1690
.LBB199_1673:
	s_or_b64 exec, exec, s[14:15]
	s_and_saveexec_b64 s[14:15], s[4:5]
	s_cbranch_execz .LBB199_1675
.LBB199_1674:
	v_lshlrev_b32_e32 v3, 24, v1
	v_and_b32_e32 v1, 0xffff, v1
	v_and_b32_e32 v5, 7, v1
	v_ffbh_u32_e32 v10, v5
	v_min_u32_e32 v10, 32, v10
	v_subrev_u32_e32 v12, 28, v10
	v_bfe_u32 v8, v1, 3, 4
	v_lshlrev_b32_e32 v1, v12, v1
	v_sub_u32_e32 v10, 29, v10
	v_and_b32_e32 v1, 7, v1
	v_cmp_eq_u32_e32 vcc, 0, v8
	v_cndmask_b32_e32 v8, v8, v10, vcc
	v_cndmask_b32_e32 v1, v5, v1, vcc
	v_mov_b32_e32 v5, 0x3b800000
	v_lshlrev_b32_e32 v1, 20, v1
	v_and_b32_e32 v3, 0x80000000, v3
	v_lshl_add_u32 v5, v8, 23, v5
	v_or3_b32 v3, v3, v5, v1
.LBB199_1675:
	s_or_b64 exec, exec, s[14:15]
	v_bfe_u32 v1, v3, 16, 1
	s_movk_i32 s4, 0x7fff
	v_add3_u32 v1, v3, v1, s4
	v_cmp_o_f32_e32 vcc, v3, v3
	v_mov_b32_e32 v3, 0x7fc0
	v_cndmask_b32_sdwa v1, v3, v1, vcc dst_sel:DWORD dst_unused:UNUSED_PAD src0_sel:DWORD src1_sel:WORD_1
.LBB199_1676:
	s_mov_b64 s[4:5], -1
.LBB199_1677:
	s_branch .LBB199_1709
.LBB199_1678:
	s_cmp_gt_i32 s19, 22
	s_cbranch_scc0 .LBB199_1688
; %bb.1679:
	s_cmp_lt_i32 s19, 24
	s_cbranch_scc1 .LBB199_1691
; %bb.1680:
	s_cmp_gt_i32 s19, 24
	s_cbranch_scc0 .LBB199_1692
; %bb.1681:
	global_load_ubyte v1, v[20:21], off
	s_movk_i32 s2, 0x7f
	s_waitcnt vmcnt(0)
	v_cmp_lt_i16_e32 vcc, s2, v1
	s_mov_b64 s[2:3], 0
	s_and_saveexec_b64 s[4:5], vcc
	s_xor_b64 s[4:5], exec, s[4:5]
	s_cbranch_execz .LBB199_1703
; %bb.1682:
	s_movk_i32 s2, 0x80
	v_cmp_eq_u16_e32 vcc, s2, v1
	s_mov_b64 s[2:3], -1
	s_and_saveexec_b64 s[14:15], vcc
; %bb.1683:
	s_xor_b64 s[2:3], exec, -1
; %bb.1684:
	s_or_b64 exec, exec, s[14:15]
	s_and_b64 s[2:3], s[2:3], exec
	s_or_saveexec_b64 s[4:5], s[4:5]
	v_mov_b32_e32 v3, 0x7f800001
	s_xor_b64 exec, exec, s[4:5]
	s_cbranch_execnz .LBB199_1704
.LBB199_1685:
	s_or_b64 exec, exec, s[4:5]
	s_and_saveexec_b64 s[4:5], s[2:3]
	s_cbranch_execz .LBB199_1687
.LBB199_1686:
	v_lshlrev_b32_e32 v3, 24, v1
	v_and_b32_e32 v1, 0xffff, v1
	v_and_b32_e32 v5, 3, v1
	v_ffbh_u32_e32 v10, v5
	v_min_u32_e32 v10, 32, v10
	v_subrev_u32_e32 v12, 29, v10
	v_bfe_u32 v8, v1, 2, 5
	v_lshlrev_b32_e32 v1, v12, v1
	v_sub_u32_e32 v10, 30, v10
	v_and_b32_e32 v1, 3, v1
	v_cmp_eq_u32_e32 vcc, 0, v8
	v_cndmask_b32_e32 v8, v8, v10, vcc
	v_cndmask_b32_e32 v1, v5, v1, vcc
	v_mov_b32_e32 v5, 0x37800000
	v_lshlrev_b32_e32 v1, 21, v1
	v_and_b32_e32 v3, 0x80000000, v3
	v_lshl_add_u32 v5, v8, 23, v5
	v_or3_b32 v3, v3, v5, v1
.LBB199_1687:
	s_or_b64 exec, exec, s[4:5]
	v_bfe_u32 v1, v3, 16, 1
	s_movk_i32 s2, 0x7fff
	v_add3_u32 v1, v3, v1, s2
	v_cmp_o_f32_e32 vcc, v3, v3
	v_mov_b32_e32 v3, 0x7fc0
	v_cndmask_b32_sdwa v1, v3, v1, vcc dst_sel:DWORD dst_unused:UNUSED_PAD src0_sel:DWORD src1_sel:WORD_1
	s_mov_b64 s[2:3], 0
	s_branch .LBB199_1693
.LBB199_1688:
                                        ; implicit-def: $vgpr1
	s_mov_b64 s[2:3], 0
	s_branch .LBB199_1699
.LBB199_1689:
	s_or_saveexec_b64 s[14:15], s[14:15]
	v_mov_b32_e32 v3, 0x7f800001
	s_xor_b64 exec, exec, s[14:15]
	s_cbranch_execz .LBB199_1673
.LBB199_1690:
	v_cmp_ne_u16_e32 vcc, 0, v1
	s_andn2_b64 s[4:5], s[4:5], exec
	s_and_b64 s[16:17], vcc, exec
	v_mov_b32_e32 v3, 0
	s_or_b64 s[4:5], s[4:5], s[16:17]
	s_or_b64 exec, exec, s[14:15]
	s_and_saveexec_b64 s[14:15], s[4:5]
	s_cbranch_execnz .LBB199_1674
	s_branch .LBB199_1675
.LBB199_1691:
	s_mov_b64 s[2:3], -1
                                        ; implicit-def: $vgpr1
	s_branch .LBB199_1696
.LBB199_1692:
	s_mov_b64 s[2:3], -1
                                        ; implicit-def: $vgpr1
.LBB199_1693:
	s_and_b64 vcc, exec, s[2:3]
	s_cbranch_vccz .LBB199_1695
; %bb.1694:
	global_load_ubyte v1, v[20:21], off
	s_mov_b32 s2, 0x7f800000
	s_brev_b32 s3, 1
	s_movk_i32 s4, 0x7fff
	s_waitcnt vmcnt(0)
	v_lshlrev_b32_e32 v1, 24, v1
	v_and_b32_e32 v3, 0x7f000000, v1
	v_ffbh_u32_e32 v5, v3
	v_min_u32_e32 v5, 32, v5
	v_sub_u32_e64 v5, v5, 4 clamp
	v_lshlrev_b32_e32 v10, v5, v3
	v_lshlrev_b32_e32 v5, 23, v5
	v_lshrrev_b32_e32 v10, 4, v10
	v_add_u32_e32 v8, 0x1000000, v3
	v_sub_u32_e32 v5, v10, v5
	v_ashrrev_i32_e32 v8, 8, v8
	v_add_u32_e32 v5, 0x3c000000, v5
	v_and_or_b32 v5, v8, s2, v5
	v_cmp_ne_u32_e32 vcc, 0, v3
	v_cndmask_b32_e32 v3, 0, v5, vcc
	v_and_or_b32 v1, v1, s3, v3
	v_bfe_u32 v3, v3, 16, 1
	v_add3_u32 v3, v1, v3, s4
	v_cmp_o_f32_e32 vcc, v1, v1
	v_mov_b32_e32 v1, 0x7fc0
	v_cndmask_b32_sdwa v1, v1, v3, vcc dst_sel:DWORD dst_unused:UNUSED_PAD src0_sel:DWORD src1_sel:WORD_1
.LBB199_1695:
	s_mov_b64 s[2:3], 0
.LBB199_1696:
	s_andn2_b64 vcc, exec, s[2:3]
	s_cbranch_vccnz .LBB199_1698
; %bb.1697:
	global_load_ubyte v1, v[20:21], off
	s_movk_i32 s2, 0x7f00
	s_brev_b32 s3, 16
	s_brev_b32 s4, 1
	s_movk_i32 s5, 0x7fff
	s_waitcnt vmcnt(0)
	v_lshlrev_b16_e32 v3, 8, v1
	v_lshlrev_b32_e32 v1, 25, v1
	v_lshrrev_b32_e32 v5, 4, v1
	v_and_or_b32 v8, v3, s2, 0.5
	v_or_b32_e32 v5, 0x70000000, v5
	v_add_f32_e32 v8, -0.5, v8
	v_mul_f32_e32 v5, 0x7800000, v5
	v_cmp_gt_u32_e32 vcc, s3, v1
	v_bfe_i32 v3, v3, 0, 16
	v_cndmask_b32_e32 v1, v5, v8, vcc
	v_and_or_b32 v3, v3, s4, v1
	v_bfe_u32 v1, v1, 16, 1
	v_add3_u32 v1, v3, v1, s5
	v_cmp_o_f32_e32 vcc, v3, v3
	v_mov_b32_e32 v3, 0x7fc0
	v_cndmask_b32_sdwa v1, v3, v1, vcc dst_sel:DWORD dst_unused:UNUSED_PAD src0_sel:DWORD src1_sel:WORD_1
.LBB199_1698:
	s_mov_b64 s[4:5], -1
	s_mov_b64 s[2:3], 0
	s_cbranch_execnz .LBB199_1709
.LBB199_1699:
	s_cmp_gt_i32 s19, 14
	s_cbranch_scc0 .LBB199_1702
; %bb.1700:
	s_cmp_eq_u32 s19, 15
	s_cbranch_scc0 .LBB199_1705
; %bb.1701:
	global_load_ushort v1, v[20:21], off
	s_mov_b64 s[0:1], 0
	s_mov_b64 s[4:5], -1
	s_branch .LBB199_1706
.LBB199_1702:
	s_mov_b64 s[14:15], -1
                                        ; implicit-def: $vgpr1
	s_branch .LBB199_1707
.LBB199_1703:
	s_or_saveexec_b64 s[4:5], s[4:5]
	v_mov_b32_e32 v3, 0x7f800001
	s_xor_b64 exec, exec, s[4:5]
	s_cbranch_execz .LBB199_1685
.LBB199_1704:
	v_cmp_ne_u16_e32 vcc, 0, v1
	s_andn2_b64 s[2:3], s[2:3], exec
	s_and_b64 s[14:15], vcc, exec
	v_mov_b32_e32 v3, 0
	s_or_b64 s[2:3], s[2:3], s[14:15]
	s_or_b64 exec, exec, s[4:5]
	s_and_saveexec_b64 s[4:5], s[2:3]
	s_cbranch_execnz .LBB199_1686
	s_branch .LBB199_1687
.LBB199_1705:
	s_mov_b64 s[0:1], -1
                                        ; implicit-def: $vgpr1
.LBB199_1706:
	s_mov_b64 s[14:15], 0
.LBB199_1707:
	s_and_b64 vcc, exec, s[14:15]
	s_cbranch_vccz .LBB199_1709
; %bb.1708:
	s_cmp_lg_u32 s19, 11
	s_mov_b64 s[2:3], -1
	s_cselect_b64 s[0:1], -1, 0
.LBB199_1709:
	s_and_b64 vcc, exec, s[0:1]
	s_mov_b64 s[14:15], s[6:7]
	s_cbranch_vccnz .LBB199_1770
; %bb.1710:
	s_andn2_b64 vcc, exec, s[2:3]
	s_cbranch_vccnz .LBB199_1712
.LBB199_1711:
	global_load_ubyte v1, v[20:21], off
	s_mov_b64 s[4:5], -1
	s_waitcnt vmcnt(0)
	v_cmp_ne_u16_e32 vcc, 0, v1
	v_cndmask_b32_e64 v1, 0, 1.0, vcc
	v_lshrrev_b32_e32 v1, 16, v1
.LBB199_1712:
	s_branch .LBB199_1642
.LBB199_1713:
	s_and_b32 s2, 0xffff, s18
	s_cmp_lt_i32 s2, 5
	s_cbranch_scc1 .LBB199_1718
; %bb.1714:
	s_cmp_lt_i32 s2, 8
	s_cbranch_scc1 .LBB199_1719
; %bb.1715:
	;; [unrolled: 3-line block ×3, first 2 shown]
	s_cmp_gt_i32 s2, 9
	s_cbranch_scc0 .LBB199_1721
; %bb.1717:
	global_load_dwordx2 v[22:23], v[20:21], off
	s_movk_i32 s0, 0x7fff
	s_waitcnt vmcnt(1)
	v_mov_b32_e32 v3, 0x7fc0
	s_waitcnt vmcnt(0)
	v_cvt_f32_f64_e32 v1, v[22:23]
	v_bfe_u32 v5, v1, 16, 1
	v_cmp_o_f32_e32 vcc, v1, v1
	v_add3_u32 v1, v1, v5, s0
	v_cndmask_b32_sdwa v1, v3, v1, vcc dst_sel:DWORD dst_unused:UNUSED_PAD src0_sel:DWORD src1_sel:WORD_1
	s_mov_b64 s[0:1], 0
	s_branch .LBB199_1722
.LBB199_1718:
                                        ; implicit-def: $vgpr1
	s_branch .LBB199_1739
.LBB199_1719:
                                        ; implicit-def: $vgpr1
	s_branch .LBB199_1728
.LBB199_1720:
	s_mov_b64 s[0:1], -1
                                        ; implicit-def: $vgpr1
	s_branch .LBB199_1725
.LBB199_1721:
	s_mov_b64 s[0:1], -1
                                        ; implicit-def: $vgpr1
.LBB199_1722:
	s_andn2_b64 vcc, exec, s[0:1]
	s_cbranch_vccnz .LBB199_1724
; %bb.1723:
	global_load_dword v1, v[20:21], off
	s_movk_i32 s0, 0x7fff
	s_waitcnt vmcnt(1)
	v_mov_b32_e32 v3, 0x7fc0
	s_waitcnt vmcnt(0)
	v_bfe_u32 v5, v1, 16, 1
	v_cmp_o_f32_e32 vcc, v1, v1
	v_add3_u32 v1, v1, v5, s0
	v_cndmask_b32_sdwa v1, v3, v1, vcc dst_sel:DWORD dst_unused:UNUSED_PAD src0_sel:DWORD src1_sel:WORD_1
.LBB199_1724:
	s_mov_b64 s[0:1], 0
.LBB199_1725:
	s_andn2_b64 vcc, exec, s[0:1]
	s_cbranch_vccnz .LBB199_1727
; %bb.1726:
	global_load_dword v1, v[20:21], off
	s_movk_i32 s0, 0x7fff
	s_waitcnt vmcnt(1)
	v_mov_b32_e32 v5, 0x7fc0
	s_waitcnt vmcnt(0)
	v_cvt_f32_f16_e32 v3, v1
	v_cmp_o_f16_e32 vcc, v1, v1
	v_bfe_u32 v1, v3, 16, 1
	v_add3_u32 v1, v3, v1, s0
	v_cndmask_b32_sdwa v1, v5, v1, vcc dst_sel:DWORD dst_unused:UNUSED_PAD src0_sel:DWORD src1_sel:WORD_1
.LBB199_1727:
	s_cbranch_execnz .LBB199_1738
.LBB199_1728:
	s_cmp_lt_i32 s2, 6
	s_cbranch_scc1 .LBB199_1731
; %bb.1729:
	s_cmp_gt_i32 s2, 6
	s_cbranch_scc0 .LBB199_1732
; %bb.1730:
	global_load_dwordx2 v[22:23], v[20:21], off
	s_movk_i32 s0, 0x7fff
	s_waitcnt vmcnt(1)
	v_mov_b32_e32 v3, 0x7fc0
	s_waitcnt vmcnt(0)
	v_cvt_f32_f64_e32 v1, v[22:23]
	v_bfe_u32 v5, v1, 16, 1
	v_cmp_o_f32_e32 vcc, v1, v1
	v_add3_u32 v1, v1, v5, s0
	v_cndmask_b32_sdwa v1, v3, v1, vcc dst_sel:DWORD dst_unused:UNUSED_PAD src0_sel:DWORD src1_sel:WORD_1
	s_mov_b64 s[0:1], 0
	s_branch .LBB199_1733
.LBB199_1731:
	s_mov_b64 s[0:1], -1
                                        ; implicit-def: $vgpr1
	s_branch .LBB199_1736
.LBB199_1732:
	s_mov_b64 s[0:1], -1
                                        ; implicit-def: $vgpr1
.LBB199_1733:
	s_andn2_b64 vcc, exec, s[0:1]
	s_cbranch_vccnz .LBB199_1735
; %bb.1734:
	global_load_dword v1, v[20:21], off
	s_movk_i32 s0, 0x7fff
	s_waitcnt vmcnt(1)
	v_mov_b32_e32 v3, 0x7fc0
	s_waitcnt vmcnt(0)
	v_bfe_u32 v5, v1, 16, 1
	v_cmp_o_f32_e32 vcc, v1, v1
	v_add3_u32 v1, v1, v5, s0
	v_cndmask_b32_sdwa v1, v3, v1, vcc dst_sel:DWORD dst_unused:UNUSED_PAD src0_sel:DWORD src1_sel:WORD_1
.LBB199_1735:
	s_mov_b64 s[0:1], 0
.LBB199_1736:
	s_andn2_b64 vcc, exec, s[0:1]
	s_cbranch_vccnz .LBB199_1738
; %bb.1737:
	global_load_ushort v1, v[20:21], off
	s_movk_i32 s0, 0x7fff
	s_waitcnt vmcnt(1)
	v_mov_b32_e32 v5, 0x7fc0
	s_waitcnt vmcnt(0)
	v_cvt_f32_f16_e32 v3, v1
	v_cmp_o_f16_e32 vcc, v1, v1
	v_bfe_u32 v1, v3, 16, 1
	v_add3_u32 v1, v3, v1, s0
	v_cndmask_b32_sdwa v1, v5, v1, vcc dst_sel:DWORD dst_unused:UNUSED_PAD src0_sel:DWORD src1_sel:WORD_1
.LBB199_1738:
	s_cbranch_execnz .LBB199_1757
.LBB199_1739:
	s_cmp_lt_i32 s2, 2
	s_cbranch_scc1 .LBB199_1743
; %bb.1740:
	s_cmp_lt_i32 s2, 3
	s_cbranch_scc1 .LBB199_1744
; %bb.1741:
	s_cmp_gt_i32 s2, 3
	s_cbranch_scc0 .LBB199_1745
; %bb.1742:
	global_load_dwordx2 v[22:23], v[20:21], off
	s_movk_i32 s0, 0x7fff
	s_waitcnt vmcnt(0)
	v_xor_b32_e32 v3, v22, v23
	v_ffbh_i32_e32 v1, v23
	v_ashrrev_i32_e32 v3, 31, v3
	v_add_u32_e32 v1, -1, v1
	v_add_u32_e32 v3, 32, v3
	v_min_u32_e32 v1, v1, v3
	v_lshlrev_b64 v[22:23], v1, v[22:23]
	v_sub_u32_e32 v1, 32, v1
	v_min_u32_e32 v3, 1, v22
	v_or_b32_e32 v3, v23, v3
	v_cvt_f32_i32_e32 v3, v3
	v_ldexp_f32 v1, v3, v1
	v_bfe_u32 v3, v1, 16, 1
	v_add3_u32 v1, v1, v3, s0
	v_lshrrev_b32_e32 v1, 16, v1
	s_mov_b64 s[0:1], 0
	s_branch .LBB199_1746
.LBB199_1743:
                                        ; implicit-def: $vgpr1
	s_branch .LBB199_1752
.LBB199_1744:
	s_mov_b64 s[0:1], -1
                                        ; implicit-def: $vgpr1
	s_branch .LBB199_1749
.LBB199_1745:
	s_mov_b64 s[0:1], -1
                                        ; implicit-def: $vgpr1
.LBB199_1746:
	s_andn2_b64 vcc, exec, s[0:1]
	s_cbranch_vccnz .LBB199_1748
; %bb.1747:
	global_load_dword v1, v[20:21], off
	s_movk_i32 s0, 0x7fff
	s_waitcnt vmcnt(0)
	v_cvt_f32_i32_e32 v1, v1
	v_bfe_u32 v3, v1, 16, 1
	v_add3_u32 v1, v1, v3, s0
	v_lshrrev_b32_e32 v1, 16, v1
.LBB199_1748:
	s_mov_b64 s[0:1], 0
.LBB199_1749:
	s_andn2_b64 vcc, exec, s[0:1]
	s_cbranch_vccnz .LBB199_1751
; %bb.1750:
	global_load_sshort v1, v[20:21], off
	s_movk_i32 s0, 0x7fff
	s_waitcnt vmcnt(0)
	v_cvt_f32_i32_e32 v1, v1
	v_bfe_u32 v3, v1, 16, 1
	v_add3_u32 v1, v1, v3, s0
	v_lshrrev_b32_e32 v1, 16, v1
.LBB199_1751:
	s_cbranch_execnz .LBB199_1757
.LBB199_1752:
	s_cmp_gt_i32 s2, 0
	s_cbranch_scc0 .LBB199_1754
; %bb.1753:
	global_load_sbyte v1, v[20:21], off
	s_movk_i32 s0, 0x7fff
	s_waitcnt vmcnt(0)
	v_cvt_f32_i32_e32 v1, v1
	v_bfe_u32 v3, v1, 16, 1
	v_add3_u32 v1, v1, v3, s0
	v_lshrrev_b32_e32 v1, 16, v1
	s_mov_b64 s[0:1], 0
	s_branch .LBB199_1755
.LBB199_1754:
	s_mov_b64 s[0:1], -1
                                        ; implicit-def: $vgpr1
.LBB199_1755:
	s_andn2_b64 vcc, exec, s[0:1]
	s_cbranch_vccnz .LBB199_1757
; %bb.1756:
	global_load_ubyte v1, v[20:21], off
	s_movk_i32 s0, 0x7fff
	s_waitcnt vmcnt(0)
	v_cvt_f32_ubyte0_e32 v1, v1
	v_bfe_u32 v3, v1, 16, 1
	v_add3_u32 v1, v1, v3, s0
	v_lshrrev_b32_e32 v1, 16, v1
.LBB199_1757:
.LBB199_1758:
	s_load_dwordx2 s[0:1], s[24:25], 0x198
	s_bfe_u32 s22, s23, 0x80010
	s_cmp_lt_i32 s22, 11
	s_waitcnt vmcnt(0) lgkmcnt(0)
	v_mov_b32_e32 v3, s1
	v_add_co_u32_e32 v18, vcc, s0, v19
	v_addc_co_u32_e32 v19, vcc, 0, v3, vcc
	s_cbranch_scc1 .LBB199_1765
; %bb.1759:
	s_and_b32 s26, 0xffff, s22
	s_cmp_gt_i32 s26, 25
	s_mov_b64 s[4:5], 0
	s_cbranch_scc0 .LBB199_1767
; %bb.1760:
	s_cmp_gt_i32 s26, 28
	s_cbranch_scc0 .LBB199_1768
; %bb.1761:
	s_cmp_gt_i32 s26, 43
	;; [unrolled: 3-line block ×3, first 2 shown]
	s_cbranch_scc0 .LBB199_1771
; %bb.1763:
	s_cmp_eq_u32 s26, 46
	s_mov_b64 s[18:19], 0
	s_cbranch_scc0 .LBB199_1774
; %bb.1764:
	global_load_dword v3, v[18:19], off
	s_mov_b64 s[2:3], 0
	s_mov_b64 s[16:17], -1
	s_branch .LBB199_1775
.LBB199_1765:
	s_mov_b64 s[16:17], 0
                                        ; implicit-def: $vgpr3
	s_cbranch_execnz .LBB199_1840
.LBB199_1766:
	s_andn2_b64 vcc, exec, s[16:17]
	s_cbranch_vccnz .LBB199_3101
	s_branch .LBB199_1887
.LBB199_1767:
	s_mov_b64 s[16:17], 0
	s_mov_b64 s[2:3], 0
                                        ; implicit-def: $vgpr3
	s_cbranch_execnz .LBB199_1804
	s_branch .LBB199_1836
.LBB199_1768:
	s_mov_b64 s[18:19], -1
	s_mov_b64 s[16:17], 0
	s_mov_b64 s[2:3], 0
                                        ; implicit-def: $vgpr3
	s_branch .LBB199_1785
.LBB199_1769:
	s_mov_b64 s[18:19], -1
	s_mov_b64 s[16:17], 0
	s_mov_b64 s[2:3], 0
                                        ; implicit-def: $vgpr3
	s_branch .LBB199_1780
.LBB199_1770:
	s_or_b64 s[14:15], s[6:7], exec
	s_trap 2
	s_cbranch_execz .LBB199_1711
	s_branch .LBB199_1712
.LBB199_1771:
	s_mov_b64 s[18:19], -1
	s_mov_b64 s[16:17], 0
	s_mov_b64 s[2:3], 0
                                        ; implicit-def: $vgpr3
	s_branch .LBB199_1775
.LBB199_1772:
	s_andn2_saveexec_b64 s[16:17], s[16:17]
	s_cbranch_execz .LBB199_1510
.LBB199_1773:
	v_add_f32_e32 v0, 0x42800000, v3
	v_and_b32_e32 v0, 0xff, v0
	v_cmp_ne_u32_e32 vcc, 0, v0
	s_andn2_b64 s[14:15], s[14:15], exec
	s_and_b64 s[22:23], vcc, exec
	s_or_b64 s[14:15], s[14:15], s[22:23]
	s_or_b64 exec, exec, s[16:17]
	v_mov_b32_e32 v4, 0
	s_and_saveexec_b64 s[16:17], s[14:15]
	s_cbranch_execnz .LBB199_1511
	s_branch .LBB199_1512
.LBB199_1774:
	s_mov_b64 s[2:3], -1
                                        ; implicit-def: $vgpr3
	s_mov_b64 s[16:17], 0
.LBB199_1775:
	s_and_b64 vcc, exec, s[18:19]
	s_cbranch_vccz .LBB199_1779
; %bb.1776:
	s_cmp_eq_u32 s26, 44
	s_cbranch_scc0 .LBB199_1778
; %bb.1777:
	global_load_ubyte v3, v[18:19], off
	s_movk_i32 s16, 0xff
	v_mov_b32_e32 v5, 0x7f800001
	v_mov_b32_e32 v8, 0x400000
	;; [unrolled: 1-line block ×3, first 2 shown]
	s_mov_b64 s[2:3], 0
	s_waitcnt vmcnt(0)
	v_lshlrev_b32_e32 v12, 23, v3
	v_cmp_ne_u32_e32 vcc, s16, v3
	v_cndmask_b32_e32 v5, v5, v12, vcc
	v_cmp_ne_u32_e32 vcc, 0, v3
	v_cndmask_b32_e32 v3, v8, v5, vcc
	v_add_u32_e32 v5, 0x7fff, v3
	v_cmp_o_f32_e32 vcc, v3, v3
	v_cndmask_b32_sdwa v3, v10, v5, vcc dst_sel:DWORD dst_unused:UNUSED_PAD src0_sel:DWORD src1_sel:WORD_1
	s_mov_b64 s[16:17], -1
	s_branch .LBB199_1779
.LBB199_1778:
	s_mov_b64 s[2:3], -1
                                        ; implicit-def: $vgpr3
.LBB199_1779:
	s_mov_b64 s[18:19], 0
.LBB199_1780:
	s_and_b64 vcc, exec, s[18:19]
	s_cbranch_vccz .LBB199_1784
; %bb.1781:
	s_cmp_eq_u32 s26, 29
	s_cbranch_scc0 .LBB199_1783
; %bb.1782:
	global_load_dwordx2 v[20:21], v[18:19], off
	s_movk_i32 s16, 0x7fff
	s_mov_b64 s[2:3], 0
	s_mov_b64 s[18:19], 0
	s_waitcnt vmcnt(0)
	v_ffbh_u32_e32 v3, v21
	v_min_u32_e32 v3, 32, v3
	v_lshlrev_b64 v[20:21], v3, v[20:21]
	v_sub_u32_e32 v3, 32, v3
	v_min_u32_e32 v5, 1, v20
	v_or_b32_e32 v5, v21, v5
	v_cvt_f32_u32_e32 v5, v5
	v_ldexp_f32 v3, v5, v3
	v_bfe_u32 v5, v3, 16, 1
	v_add3_u32 v3, v3, v5, s16
	v_lshrrev_b32_e32 v3, 16, v3
	s_mov_b64 s[16:17], -1
	s_branch .LBB199_1785
.LBB199_1783:
	s_mov_b64 s[2:3], -1
                                        ; implicit-def: $vgpr3
.LBB199_1784:
	s_mov_b64 s[18:19], 0
.LBB199_1785:
	s_and_b64 vcc, exec, s[18:19]
	s_cbranch_vccz .LBB199_1803
; %bb.1786:
	s_cmp_lt_i32 s26, 27
	s_cbranch_scc1 .LBB199_1789
; %bb.1787:
	s_cmp_gt_i32 s26, 27
	s_cbranch_scc0 .LBB199_1790
; %bb.1788:
	global_load_dword v3, v[18:19], off
	s_movk_i32 s16, 0x7fff
	s_waitcnt vmcnt(0)
	v_cvt_f32_u32_e32 v3, v3
	v_bfe_u32 v5, v3, 16, 1
	v_add3_u32 v3, v3, v5, s16
	v_lshrrev_b32_e32 v3, 16, v3
	s_mov_b64 s[16:17], 0
	s_branch .LBB199_1791
.LBB199_1789:
	s_mov_b64 s[16:17], -1
                                        ; implicit-def: $vgpr3
	s_branch .LBB199_1794
.LBB199_1790:
	s_mov_b64 s[16:17], -1
                                        ; implicit-def: $vgpr3
.LBB199_1791:
	s_andn2_b64 vcc, exec, s[16:17]
	s_cbranch_vccnz .LBB199_1793
; %bb.1792:
	global_load_ushort v3, v[18:19], off
	s_movk_i32 s16, 0x7fff
	s_waitcnt vmcnt(0)
	v_cvt_f32_u32_e32 v3, v3
	v_bfe_u32 v5, v3, 16, 1
	v_add3_u32 v3, v3, v5, s16
	v_lshrrev_b32_e32 v3, 16, v3
.LBB199_1793:
	s_mov_b64 s[16:17], 0
.LBB199_1794:
	s_andn2_b64 vcc, exec, s[16:17]
	s_cbranch_vccnz .LBB199_1802
; %bb.1795:
	global_load_ubyte v3, v[18:19], off
	s_movk_i32 s16, 0x7f
	s_waitcnt vmcnt(0)
	v_cmp_lt_i16_e32 vcc, s16, v3
	s_mov_b64 s[16:17], 0
	s_and_saveexec_b64 s[18:19], vcc
	s_xor_b64 s[18:19], exec, s[18:19]
	s_cbranch_execz .LBB199_1815
; %bb.1796:
	s_movk_i32 s16, 0x80
	v_cmp_eq_u16_e32 vcc, s16, v3
	s_mov_b64 s[16:17], -1
	s_and_saveexec_b64 s[20:21], vcc
; %bb.1797:
	s_xor_b64 s[16:17], exec, -1
; %bb.1798:
	s_or_b64 exec, exec, s[20:21]
	s_and_b64 s[16:17], s[16:17], exec
	s_or_saveexec_b64 s[18:19], s[18:19]
	v_mov_b32_e32 v5, 0x7f800001
	s_xor_b64 exec, exec, s[18:19]
	s_cbranch_execnz .LBB199_1816
.LBB199_1799:
	s_or_b64 exec, exec, s[18:19]
	s_and_saveexec_b64 s[18:19], s[16:17]
	s_cbranch_execz .LBB199_1801
.LBB199_1800:
	v_lshlrev_b32_e32 v5, 24, v3
	v_and_b32_e32 v3, 0xffff, v3
	v_and_b32_e32 v8, 7, v3
	v_ffbh_u32_e32 v12, v8
	v_min_u32_e32 v12, 32, v12
	v_subrev_u32_e32 v14, 28, v12
	v_bfe_u32 v10, v3, 3, 4
	v_lshlrev_b32_e32 v3, v14, v3
	v_sub_u32_e32 v12, 29, v12
	v_and_b32_e32 v3, 7, v3
	v_cmp_eq_u32_e32 vcc, 0, v10
	v_cndmask_b32_e32 v10, v10, v12, vcc
	v_cndmask_b32_e32 v3, v8, v3, vcc
	v_mov_b32_e32 v8, 0x3b800000
	v_lshlrev_b32_e32 v3, 20, v3
	v_and_b32_e32 v5, 0x80000000, v5
	v_lshl_add_u32 v8, v10, 23, v8
	v_or3_b32 v5, v5, v8, v3
.LBB199_1801:
	s_or_b64 exec, exec, s[18:19]
	v_bfe_u32 v3, v5, 16, 1
	s_movk_i32 s16, 0x7fff
	v_add3_u32 v3, v5, v3, s16
	v_cmp_o_f32_e32 vcc, v5, v5
	v_mov_b32_e32 v5, 0x7fc0
	v_cndmask_b32_sdwa v3, v5, v3, vcc dst_sel:DWORD dst_unused:UNUSED_PAD src0_sel:DWORD src1_sel:WORD_1
.LBB199_1802:
	s_mov_b64 s[16:17], -1
.LBB199_1803:
	s_branch .LBB199_1836
.LBB199_1804:
	s_cmp_gt_i32 s26, 22
	s_cbranch_scc0 .LBB199_1814
; %bb.1805:
	s_cmp_lt_i32 s26, 24
	s_cbranch_scc1 .LBB199_1817
; %bb.1806:
	s_cmp_gt_i32 s26, 24
	s_cbranch_scc0 .LBB199_1818
; %bb.1807:
	global_load_ubyte v3, v[18:19], off
	s_movk_i32 s4, 0x7f
	s_waitcnt vmcnt(0)
	v_cmp_lt_i16_e32 vcc, s4, v3
	s_mov_b64 s[4:5], 0
	s_and_saveexec_b64 s[16:17], vcc
	s_xor_b64 s[16:17], exec, s[16:17]
	s_cbranch_execz .LBB199_1830
; %bb.1808:
	s_movk_i32 s4, 0x80
	v_cmp_eq_u16_e32 vcc, s4, v3
	s_mov_b64 s[4:5], -1
	s_and_saveexec_b64 s[18:19], vcc
; %bb.1809:
	s_xor_b64 s[4:5], exec, -1
; %bb.1810:
	s_or_b64 exec, exec, s[18:19]
	s_and_b64 s[4:5], s[4:5], exec
	s_or_saveexec_b64 s[16:17], s[16:17]
	v_mov_b32_e32 v5, 0x7f800001
	s_xor_b64 exec, exec, s[16:17]
	s_cbranch_execnz .LBB199_1831
.LBB199_1811:
	s_or_b64 exec, exec, s[16:17]
	s_and_saveexec_b64 s[16:17], s[4:5]
	s_cbranch_execz .LBB199_1813
.LBB199_1812:
	v_lshlrev_b32_e32 v5, 24, v3
	v_and_b32_e32 v3, 0xffff, v3
	v_and_b32_e32 v8, 3, v3
	v_ffbh_u32_e32 v12, v8
	v_min_u32_e32 v12, 32, v12
	v_subrev_u32_e32 v14, 29, v12
	v_bfe_u32 v10, v3, 2, 5
	v_lshlrev_b32_e32 v3, v14, v3
	v_sub_u32_e32 v12, 30, v12
	v_and_b32_e32 v3, 3, v3
	v_cmp_eq_u32_e32 vcc, 0, v10
	v_cndmask_b32_e32 v10, v10, v12, vcc
	v_cndmask_b32_e32 v3, v8, v3, vcc
	v_mov_b32_e32 v8, 0x37800000
	v_lshlrev_b32_e32 v3, 21, v3
	v_and_b32_e32 v5, 0x80000000, v5
	v_lshl_add_u32 v8, v10, 23, v8
	v_or3_b32 v5, v5, v8, v3
.LBB199_1813:
	s_or_b64 exec, exec, s[16:17]
	v_bfe_u32 v3, v5, 16, 1
	s_movk_i32 s4, 0x7fff
	v_add3_u32 v3, v5, v3, s4
	v_cmp_o_f32_e32 vcc, v5, v5
	v_mov_b32_e32 v5, 0x7fc0
	v_cndmask_b32_sdwa v3, v5, v3, vcc dst_sel:DWORD dst_unused:UNUSED_PAD src0_sel:DWORD src1_sel:WORD_1
	s_mov_b64 s[4:5], 0
	s_branch .LBB199_1819
.LBB199_1814:
	s_mov_b64 s[4:5], -1
                                        ; implicit-def: $vgpr3
	s_branch .LBB199_1825
.LBB199_1815:
	s_or_saveexec_b64 s[18:19], s[18:19]
	v_mov_b32_e32 v5, 0x7f800001
	s_xor_b64 exec, exec, s[18:19]
	s_cbranch_execz .LBB199_1799
.LBB199_1816:
	v_cmp_ne_u16_e32 vcc, 0, v3
	s_andn2_b64 s[16:17], s[16:17], exec
	s_and_b64 s[20:21], vcc, exec
	v_mov_b32_e32 v5, 0
	s_or_b64 s[16:17], s[16:17], s[20:21]
	s_or_b64 exec, exec, s[18:19]
	s_and_saveexec_b64 s[18:19], s[16:17]
	s_cbranch_execnz .LBB199_1800
	s_branch .LBB199_1801
.LBB199_1817:
	s_mov_b64 s[4:5], -1
                                        ; implicit-def: $vgpr3
	s_branch .LBB199_1822
.LBB199_1818:
	s_mov_b64 s[4:5], -1
                                        ; implicit-def: $vgpr3
.LBB199_1819:
	s_and_b64 vcc, exec, s[4:5]
	s_cbranch_vccz .LBB199_1821
; %bb.1820:
	global_load_ubyte v3, v[18:19], off
	s_mov_b32 s4, 0x7f800000
	s_brev_b32 s5, 1
	s_movk_i32 s16, 0x7fff
	s_waitcnt vmcnt(0)
	v_lshlrev_b32_e32 v3, 24, v3
	v_and_b32_e32 v5, 0x7f000000, v3
	v_ffbh_u32_e32 v8, v5
	v_min_u32_e32 v8, 32, v8
	v_sub_u32_e64 v8, v8, 4 clamp
	v_lshlrev_b32_e32 v12, v8, v5
	v_lshlrev_b32_e32 v8, 23, v8
	v_lshrrev_b32_e32 v12, 4, v12
	v_add_u32_e32 v10, 0x1000000, v5
	v_sub_u32_e32 v8, v12, v8
	v_ashrrev_i32_e32 v10, 8, v10
	v_add_u32_e32 v8, 0x3c000000, v8
	v_and_or_b32 v8, v10, s4, v8
	v_cmp_ne_u32_e32 vcc, 0, v5
	v_cndmask_b32_e32 v5, 0, v8, vcc
	v_and_or_b32 v3, v3, s5, v5
	v_bfe_u32 v5, v5, 16, 1
	v_add3_u32 v5, v3, v5, s16
	v_cmp_o_f32_e32 vcc, v3, v3
	v_mov_b32_e32 v3, 0x7fc0
	v_cndmask_b32_sdwa v3, v3, v5, vcc dst_sel:DWORD dst_unused:UNUSED_PAD src0_sel:DWORD src1_sel:WORD_1
.LBB199_1821:
	s_mov_b64 s[4:5], 0
.LBB199_1822:
	s_andn2_b64 vcc, exec, s[4:5]
	s_cbranch_vccnz .LBB199_1824
; %bb.1823:
	global_load_ubyte v3, v[18:19], off
	s_movk_i32 s4, 0x7f00
	s_brev_b32 s5, 16
	s_brev_b32 s16, 1
	s_movk_i32 s17, 0x7fff
	s_waitcnt vmcnt(0)
	v_lshlrev_b16_e32 v5, 8, v3
	v_lshlrev_b32_e32 v3, 25, v3
	v_lshrrev_b32_e32 v8, 4, v3
	v_and_or_b32 v10, v5, s4, 0.5
	v_or_b32_e32 v8, 0x70000000, v8
	v_add_f32_e32 v10, -0.5, v10
	v_mul_f32_e32 v8, 0x7800000, v8
	v_cmp_gt_u32_e32 vcc, s5, v3
	v_bfe_i32 v5, v5, 0, 16
	v_cndmask_b32_e32 v3, v8, v10, vcc
	v_and_or_b32 v5, v5, s16, v3
	v_bfe_u32 v3, v3, 16, 1
	v_add3_u32 v3, v5, v3, s17
	v_cmp_o_f32_e32 vcc, v5, v5
	v_mov_b32_e32 v5, 0x7fc0
	v_cndmask_b32_sdwa v3, v5, v3, vcc dst_sel:DWORD dst_unused:UNUSED_PAD src0_sel:DWORD src1_sel:WORD_1
.LBB199_1824:
	s_mov_b64 s[4:5], 0
	s_mov_b64 s[16:17], -1
.LBB199_1825:
	s_andn2_b64 vcc, exec, s[4:5]
	s_mov_b64 s[4:5], 0
	s_cbranch_vccnz .LBB199_1836
; %bb.1826:
	s_cmp_gt_i32 s26, 14
	s_cbranch_scc0 .LBB199_1829
; %bb.1827:
	s_cmp_eq_u32 s26, 15
	s_cbranch_scc0 .LBB199_1832
; %bb.1828:
	global_load_ushort v3, v[18:19], off
	s_mov_b64 s[2:3], 0
	s_mov_b64 s[16:17], -1
	s_branch .LBB199_1833
.LBB199_1829:
	s_mov_b64 s[18:19], -1
                                        ; implicit-def: $vgpr3
	s_branch .LBB199_1834
.LBB199_1830:
	s_or_saveexec_b64 s[16:17], s[16:17]
	v_mov_b32_e32 v5, 0x7f800001
	s_xor_b64 exec, exec, s[16:17]
	s_cbranch_execz .LBB199_1811
.LBB199_1831:
	v_cmp_ne_u16_e32 vcc, 0, v3
	s_andn2_b64 s[4:5], s[4:5], exec
	s_and_b64 s[18:19], vcc, exec
	v_mov_b32_e32 v5, 0
	s_or_b64 s[4:5], s[4:5], s[18:19]
	s_or_b64 exec, exec, s[16:17]
	s_and_saveexec_b64 s[16:17], s[4:5]
	s_cbranch_execnz .LBB199_1812
	s_branch .LBB199_1813
.LBB199_1832:
	s_mov_b64 s[2:3], -1
                                        ; implicit-def: $vgpr3
.LBB199_1833:
	s_mov_b64 s[18:19], 0
.LBB199_1834:
	s_and_b64 vcc, exec, s[18:19]
	s_cbranch_vccz .LBB199_1836
; %bb.1835:
	s_cmp_lg_u32 s26, 11
	s_mov_b64 s[4:5], -1
	s_cselect_b64 s[2:3], -1, 0
.LBB199_1836:
	s_and_b64 vcc, exec, s[2:3]
	s_cbranch_vccnz .LBB199_1899
; %bb.1837:
	s_andn2_b64 vcc, exec, s[4:5]
	s_cbranch_vccnz .LBB199_1839
.LBB199_1838:
	global_load_ubyte v3, v[18:19], off
	s_mov_b64 s[16:17], -1
	s_waitcnt vmcnt(0)
	v_cmp_ne_u16_e32 vcc, 0, v3
	v_cndmask_b32_e64 v3, 0, 1.0, vcc
	v_lshrrev_b32_e32 v3, 16, v3
.LBB199_1839:
	s_branch .LBB199_1766
.LBB199_1840:
	s_and_b32 s4, 0xffff, s22
	s_cmp_lt_i32 s4, 5
	s_cbranch_scc1 .LBB199_1845
; %bb.1841:
	s_cmp_lt_i32 s4, 8
	s_cbranch_scc1 .LBB199_1846
; %bb.1842:
	;; [unrolled: 3-line block ×3, first 2 shown]
	s_cmp_gt_i32 s4, 9
	s_cbranch_scc0 .LBB199_1848
; %bb.1844:
	global_load_dwordx2 v[20:21], v[18:19], off
	s_movk_i32 s2, 0x7fff
	v_mov_b32_e32 v5, 0x7fc0
	s_waitcnt vmcnt(0)
	v_cvt_f32_f64_e32 v3, v[20:21]
	v_bfe_u32 v8, v3, 16, 1
	v_cmp_o_f32_e32 vcc, v3, v3
	v_add3_u32 v3, v3, v8, s2
	v_cndmask_b32_sdwa v3, v5, v3, vcc dst_sel:DWORD dst_unused:UNUSED_PAD src0_sel:DWORD src1_sel:WORD_1
	s_mov_b64 s[2:3], 0
	s_branch .LBB199_1849
.LBB199_1845:
                                        ; implicit-def: $vgpr3
	s_branch .LBB199_1867
.LBB199_1846:
	s_mov_b64 s[2:3], -1
                                        ; implicit-def: $vgpr3
	s_branch .LBB199_1855
.LBB199_1847:
	s_mov_b64 s[2:3], -1
                                        ; implicit-def: $vgpr3
	s_branch .LBB199_1852
.LBB199_1848:
	s_mov_b64 s[2:3], -1
                                        ; implicit-def: $vgpr3
.LBB199_1849:
	s_andn2_b64 vcc, exec, s[2:3]
	s_cbranch_vccnz .LBB199_1851
; %bb.1850:
	global_load_dword v3, v[18:19], off
	s_movk_i32 s2, 0x7fff
	v_mov_b32_e32 v5, 0x7fc0
	s_waitcnt vmcnt(0)
	v_bfe_u32 v8, v3, 16, 1
	v_cmp_o_f32_e32 vcc, v3, v3
	v_add3_u32 v3, v3, v8, s2
	v_cndmask_b32_sdwa v3, v5, v3, vcc dst_sel:DWORD dst_unused:UNUSED_PAD src0_sel:DWORD src1_sel:WORD_1
.LBB199_1851:
	s_mov_b64 s[2:3], 0
.LBB199_1852:
	s_andn2_b64 vcc, exec, s[2:3]
	s_cbranch_vccnz .LBB199_1854
; %bb.1853:
	global_load_dword v3, v[18:19], off
	s_movk_i32 s2, 0x7fff
	v_mov_b32_e32 v8, 0x7fc0
	s_waitcnt vmcnt(0)
	v_cvt_f32_f16_e32 v5, v3
	v_cmp_o_f16_e32 vcc, v3, v3
	v_bfe_u32 v3, v5, 16, 1
	v_add3_u32 v3, v5, v3, s2
	v_cndmask_b32_sdwa v3, v8, v3, vcc dst_sel:DWORD dst_unused:UNUSED_PAD src0_sel:DWORD src1_sel:WORD_1
.LBB199_1854:
	s_mov_b64 s[2:3], 0
.LBB199_1855:
	s_andn2_b64 vcc, exec, s[2:3]
	s_cbranch_vccnz .LBB199_1866
; %bb.1856:
	s_cmp_lt_i32 s4, 6
	s_cbranch_scc1 .LBB199_1859
; %bb.1857:
	s_cmp_gt_i32 s4, 6
	s_cbranch_scc0 .LBB199_1860
; %bb.1858:
	global_load_dwordx2 v[20:21], v[18:19], off
	s_movk_i32 s2, 0x7fff
	v_mov_b32_e32 v5, 0x7fc0
	s_waitcnt vmcnt(0)
	v_cvt_f32_f64_e32 v3, v[20:21]
	v_bfe_u32 v8, v3, 16, 1
	v_cmp_o_f32_e32 vcc, v3, v3
	v_add3_u32 v3, v3, v8, s2
	v_cndmask_b32_sdwa v3, v5, v3, vcc dst_sel:DWORD dst_unused:UNUSED_PAD src0_sel:DWORD src1_sel:WORD_1
	s_mov_b64 s[2:3], 0
	s_branch .LBB199_1861
.LBB199_1859:
	s_mov_b64 s[2:3], -1
                                        ; implicit-def: $vgpr3
	s_branch .LBB199_1864
.LBB199_1860:
	s_mov_b64 s[2:3], -1
                                        ; implicit-def: $vgpr3
.LBB199_1861:
	s_andn2_b64 vcc, exec, s[2:3]
	s_cbranch_vccnz .LBB199_1863
; %bb.1862:
	global_load_dword v3, v[18:19], off
	s_movk_i32 s2, 0x7fff
	v_mov_b32_e32 v5, 0x7fc0
	s_waitcnt vmcnt(0)
	v_bfe_u32 v8, v3, 16, 1
	v_cmp_o_f32_e32 vcc, v3, v3
	v_add3_u32 v3, v3, v8, s2
	v_cndmask_b32_sdwa v3, v5, v3, vcc dst_sel:DWORD dst_unused:UNUSED_PAD src0_sel:DWORD src1_sel:WORD_1
.LBB199_1863:
	s_mov_b64 s[2:3], 0
.LBB199_1864:
	s_andn2_b64 vcc, exec, s[2:3]
	s_cbranch_vccnz .LBB199_1866
; %bb.1865:
	global_load_ushort v3, v[18:19], off
	s_movk_i32 s2, 0x7fff
	v_mov_b32_e32 v8, 0x7fc0
	s_waitcnt vmcnt(0)
	v_cvt_f32_f16_e32 v5, v3
	v_cmp_o_f16_e32 vcc, v3, v3
	v_bfe_u32 v3, v5, 16, 1
	v_add3_u32 v3, v5, v3, s2
	v_cndmask_b32_sdwa v3, v8, v3, vcc dst_sel:DWORD dst_unused:UNUSED_PAD src0_sel:DWORD src1_sel:WORD_1
.LBB199_1866:
	s_cbranch_execnz .LBB199_1886
.LBB199_1867:
	s_cmp_lt_i32 s4, 2
	s_cbranch_scc1 .LBB199_1871
; %bb.1868:
	s_cmp_lt_i32 s4, 3
	s_cbranch_scc1 .LBB199_1872
; %bb.1869:
	s_cmp_gt_i32 s4, 3
	s_cbranch_scc0 .LBB199_1873
; %bb.1870:
	global_load_dwordx2 v[20:21], v[18:19], off
	s_movk_i32 s2, 0x7fff
	s_waitcnt vmcnt(0)
	v_xor_b32_e32 v5, v20, v21
	v_ffbh_i32_e32 v3, v21
	v_ashrrev_i32_e32 v5, 31, v5
	v_add_u32_e32 v3, -1, v3
	v_add_u32_e32 v5, 32, v5
	v_min_u32_e32 v3, v3, v5
	v_lshlrev_b64 v[20:21], v3, v[20:21]
	v_sub_u32_e32 v3, 32, v3
	v_min_u32_e32 v5, 1, v20
	v_or_b32_e32 v5, v21, v5
	v_cvt_f32_i32_e32 v5, v5
	v_ldexp_f32 v3, v5, v3
	v_bfe_u32 v5, v3, 16, 1
	v_add3_u32 v3, v3, v5, s2
	v_lshrrev_b32_e32 v3, 16, v3
	s_mov_b64 s[2:3], 0
	s_branch .LBB199_1874
.LBB199_1871:
	s_mov_b64 s[2:3], -1
                                        ; implicit-def: $vgpr3
	s_branch .LBB199_1880
.LBB199_1872:
	s_mov_b64 s[2:3], -1
                                        ; implicit-def: $vgpr3
	s_branch .LBB199_1877
.LBB199_1873:
	s_mov_b64 s[2:3], -1
                                        ; implicit-def: $vgpr3
.LBB199_1874:
	s_andn2_b64 vcc, exec, s[2:3]
	s_cbranch_vccnz .LBB199_1876
; %bb.1875:
	global_load_dword v3, v[18:19], off
	s_movk_i32 s2, 0x7fff
	s_waitcnt vmcnt(0)
	v_cvt_f32_i32_e32 v3, v3
	v_bfe_u32 v5, v3, 16, 1
	v_add3_u32 v3, v3, v5, s2
	v_lshrrev_b32_e32 v3, 16, v3
.LBB199_1876:
	s_mov_b64 s[2:3], 0
.LBB199_1877:
	s_andn2_b64 vcc, exec, s[2:3]
	s_cbranch_vccnz .LBB199_1879
; %bb.1878:
	global_load_sshort v3, v[18:19], off
	s_movk_i32 s2, 0x7fff
	s_waitcnt vmcnt(0)
	v_cvt_f32_i32_e32 v3, v3
	v_bfe_u32 v5, v3, 16, 1
	v_add3_u32 v3, v3, v5, s2
	v_lshrrev_b32_e32 v3, 16, v3
.LBB199_1879:
	s_mov_b64 s[2:3], 0
.LBB199_1880:
	s_andn2_b64 vcc, exec, s[2:3]
	s_cbranch_vccnz .LBB199_1886
; %bb.1881:
	s_cmp_gt_i32 s4, 0
	s_cbranch_scc0 .LBB199_1883
; %bb.1882:
	global_load_sbyte v3, v[18:19], off
	s_movk_i32 s2, 0x7fff
	s_waitcnt vmcnt(0)
	v_cvt_f32_i32_e32 v3, v3
	v_bfe_u32 v5, v3, 16, 1
	v_add3_u32 v3, v3, v5, s2
	v_lshrrev_b32_e32 v3, 16, v3
	s_mov_b64 s[2:3], 0
	s_branch .LBB199_1884
.LBB199_1883:
	s_mov_b64 s[2:3], -1
                                        ; implicit-def: $vgpr3
.LBB199_1884:
	s_andn2_b64 vcc, exec, s[2:3]
	s_cbranch_vccnz .LBB199_1886
; %bb.1885:
	global_load_ubyte v3, v[18:19], off
	s_movk_i32 s2, 0x7fff
	s_waitcnt vmcnt(0)
	v_cvt_f32_ubyte0_e32 v3, v3
	v_bfe_u32 v5, v3, 16, 1
	v_add3_u32 v3, v3, v5, s2
	v_lshrrev_b32_e32 v3, 16, v3
.LBB199_1886:
.LBB199_1887:
	s_lshr_b32 s2, s23, 8
	v_mov_b32_e32 v5, s11
	s_and_b32 s22, s2, 0xff
	v_add_co_u32_e32 v16, vcc, s10, v17
	s_cmp_lt_i32 s22, 11
	v_addc_co_u32_e32 v17, vcc, 0, v5, vcc
	s_cbranch_scc1 .LBB199_1894
; %bb.1888:
	s_and_b32 s26, 0xffff, s22
	s_cmp_gt_i32 s26, 25
	s_mov_b64 s[4:5], 0
	s_cbranch_scc0 .LBB199_1896
; %bb.1889:
	s_cmp_gt_i32 s26, 28
	s_cbranch_scc0 .LBB199_1897
; %bb.1890:
	s_cmp_gt_i32 s26, 43
	;; [unrolled: 3-line block ×3, first 2 shown]
	s_cbranch_scc0 .LBB199_1900
; %bb.1892:
	s_cmp_eq_u32 s26, 46
	s_mov_b64 s[18:19], 0
	s_cbranch_scc0 .LBB199_1901
; %bb.1893:
	global_load_dword v18, v[16:17], off
	s_mov_b64 s[2:3], 0
	s_mov_b64 s[16:17], -1
	s_branch .LBB199_1902
.LBB199_1894:
	s_mov_b64 s[16:17], 0
                                        ; implicit-def: $vgpr18
	s_cbranch_execnz .LBB199_1968
.LBB199_1895:
	s_andn2_b64 vcc, exec, s[16:17]
	s_cbranch_vccnz .LBB199_3101
	s_branch .LBB199_2016
.LBB199_1896:
	s_mov_b64 s[18:19], -1
	s_mov_b64 s[16:17], 0
	s_mov_b64 s[2:3], 0
                                        ; implicit-def: $vgpr18
	s_branch .LBB199_1931
.LBB199_1897:
	s_mov_b64 s[18:19], -1
	s_mov_b64 s[16:17], 0
	s_mov_b64 s[2:3], 0
                                        ; implicit-def: $vgpr18
	s_branch .LBB199_1912
.LBB199_1898:
	s_mov_b64 s[18:19], -1
	s_mov_b64 s[16:17], 0
	s_mov_b64 s[2:3], 0
                                        ; implicit-def: $vgpr18
	s_branch .LBB199_1907
.LBB199_1899:
	s_trap 2
	s_or_b64 s[14:15], s[14:15], exec
	s_cbranch_execz .LBB199_1838
	s_branch .LBB199_1839
.LBB199_1900:
	s_mov_b64 s[18:19], -1
	s_mov_b64 s[16:17], 0
	s_mov_b64 s[2:3], 0
                                        ; implicit-def: $vgpr18
	s_branch .LBB199_1902
.LBB199_1901:
	s_mov_b64 s[2:3], -1
                                        ; implicit-def: $vgpr18
	s_mov_b64 s[16:17], 0
.LBB199_1902:
	s_and_b64 vcc, exec, s[18:19]
	s_cbranch_vccz .LBB199_1906
; %bb.1903:
	s_cmp_eq_u32 s26, 44
	s_cbranch_scc0 .LBB199_1905
; %bb.1904:
	global_load_ubyte v5, v[16:17], off
	s_movk_i32 s16, 0xff
	v_mov_b32_e32 v8, 0x7f800001
	v_mov_b32_e32 v10, 0x400000
	;; [unrolled: 1-line block ×3, first 2 shown]
	s_mov_b64 s[2:3], 0
	s_waitcnt vmcnt(0)
	v_lshlrev_b32_e32 v14, 23, v5
	v_cmp_ne_u32_e32 vcc, s16, v5
	v_cndmask_b32_e32 v8, v8, v14, vcc
	v_cmp_ne_u32_e32 vcc, 0, v5
	v_cndmask_b32_e32 v5, v10, v8, vcc
	v_add_u32_e32 v8, 0x7fff, v5
	v_cmp_o_f32_e32 vcc, v5, v5
	v_cndmask_b32_sdwa v18, v12, v8, vcc dst_sel:DWORD dst_unused:UNUSED_PAD src0_sel:DWORD src1_sel:WORD_1
	s_mov_b64 s[16:17], -1
	s_branch .LBB199_1906
.LBB199_1905:
	s_mov_b64 s[2:3], -1
                                        ; implicit-def: $vgpr18
.LBB199_1906:
	s_mov_b64 s[18:19], 0
.LBB199_1907:
	s_and_b64 vcc, exec, s[18:19]
	s_cbranch_vccz .LBB199_1911
; %bb.1908:
	s_cmp_eq_u32 s26, 29
	s_cbranch_scc0 .LBB199_1910
; %bb.1909:
	global_load_dwordx2 v[18:19], v[16:17], off
	s_movk_i32 s16, 0x7fff
	s_mov_b64 s[2:3], 0
	s_mov_b64 s[18:19], 0
	s_waitcnt vmcnt(0)
	v_ffbh_u32_e32 v5, v19
	v_min_u32_e32 v5, 32, v5
	v_lshlrev_b64 v[18:19], v5, v[18:19]
	v_sub_u32_e32 v5, 32, v5
	v_min_u32_e32 v8, 1, v18
	v_or_b32_e32 v8, v19, v8
	v_cvt_f32_u32_e32 v8, v8
	v_ldexp_f32 v5, v8, v5
	v_bfe_u32 v8, v5, 16, 1
	v_add3_u32 v5, v5, v8, s16
	v_lshrrev_b32_e32 v18, 16, v5
	s_mov_b64 s[16:17], -1
	s_branch .LBB199_1912
.LBB199_1910:
	s_mov_b64 s[2:3], -1
                                        ; implicit-def: $vgpr18
.LBB199_1911:
	s_mov_b64 s[18:19], 0
.LBB199_1912:
	s_and_b64 vcc, exec, s[18:19]
	s_cbranch_vccz .LBB199_1930
; %bb.1913:
	s_cmp_lt_i32 s26, 27
	s_cbranch_scc1 .LBB199_1916
; %bb.1914:
	s_cmp_gt_i32 s26, 27
	s_cbranch_scc0 .LBB199_1917
; %bb.1915:
	global_load_dword v5, v[16:17], off
	s_movk_i32 s16, 0x7fff
	s_waitcnt vmcnt(0)
	v_cvt_f32_u32_e32 v5, v5
	v_bfe_u32 v8, v5, 16, 1
	v_add3_u32 v5, v5, v8, s16
	v_lshrrev_b32_e32 v18, 16, v5
	s_mov_b64 s[16:17], 0
	s_branch .LBB199_1918
.LBB199_1916:
	s_mov_b64 s[16:17], -1
                                        ; implicit-def: $vgpr18
	s_branch .LBB199_1921
.LBB199_1917:
	s_mov_b64 s[16:17], -1
                                        ; implicit-def: $vgpr18
.LBB199_1918:
	s_andn2_b64 vcc, exec, s[16:17]
	s_cbranch_vccnz .LBB199_1920
; %bb.1919:
	global_load_ushort v5, v[16:17], off
	s_movk_i32 s16, 0x7fff
	s_waitcnt vmcnt(0)
	v_cvt_f32_u32_e32 v5, v5
	v_bfe_u32 v8, v5, 16, 1
	v_add3_u32 v5, v5, v8, s16
	v_lshrrev_b32_e32 v18, 16, v5
.LBB199_1920:
	s_mov_b64 s[16:17], 0
.LBB199_1921:
	s_andn2_b64 vcc, exec, s[16:17]
	s_cbranch_vccnz .LBB199_1929
; %bb.1922:
	global_load_ubyte v5, v[16:17], off
	s_movk_i32 s16, 0x7f
	s_waitcnt vmcnt(0)
	v_cmp_lt_i16_e32 vcc, s16, v5
	s_mov_b64 s[16:17], 0
	s_and_saveexec_b64 s[18:19], vcc
	s_xor_b64 s[18:19], exec, s[18:19]
	s_cbranch_execz .LBB199_1943
; %bb.1923:
	s_movk_i32 s16, 0x80
	v_cmp_eq_u16_e32 vcc, s16, v5
	s_mov_b64 s[16:17], -1
	s_and_saveexec_b64 s[20:21], vcc
; %bb.1924:
	s_xor_b64 s[16:17], exec, -1
; %bb.1925:
	s_or_b64 exec, exec, s[20:21]
	s_and_b64 s[16:17], s[16:17], exec
	s_or_saveexec_b64 s[18:19], s[18:19]
	v_mov_b32_e32 v8, 0x7f800001
	s_xor_b64 exec, exec, s[18:19]
	s_cbranch_execnz .LBB199_1944
.LBB199_1926:
	s_or_b64 exec, exec, s[18:19]
	s_and_saveexec_b64 s[18:19], s[16:17]
	s_cbranch_execz .LBB199_1928
.LBB199_1927:
	v_lshlrev_b32_e32 v8, 24, v5
	v_and_b32_e32 v5, 0xffff, v5
	v_and_b32_e32 v10, 7, v5
	v_ffbh_u32_e32 v14, v10
	v_min_u32_e32 v14, 32, v14
	v_subrev_u32_e32 v18, 28, v14
	v_bfe_u32 v12, v5, 3, 4
	v_lshlrev_b32_e32 v5, v18, v5
	v_sub_u32_e32 v14, 29, v14
	v_and_b32_e32 v5, 7, v5
	v_cmp_eq_u32_e32 vcc, 0, v12
	v_cndmask_b32_e32 v12, v12, v14, vcc
	v_cndmask_b32_e32 v5, v10, v5, vcc
	v_mov_b32_e32 v10, 0x3b800000
	v_lshlrev_b32_e32 v5, 20, v5
	v_and_b32_e32 v8, 0x80000000, v8
	v_lshl_add_u32 v10, v12, 23, v10
	v_or3_b32 v8, v8, v10, v5
.LBB199_1928:
	s_or_b64 exec, exec, s[18:19]
	v_bfe_u32 v5, v8, 16, 1
	s_movk_i32 s16, 0x7fff
	v_add3_u32 v5, v8, v5, s16
	v_cmp_o_f32_e32 vcc, v8, v8
	v_mov_b32_e32 v8, 0x7fc0
	v_cndmask_b32_sdwa v18, v8, v5, vcc dst_sel:DWORD dst_unused:UNUSED_PAD src0_sel:DWORD src1_sel:WORD_1
.LBB199_1929:
	s_mov_b64 s[16:17], -1
.LBB199_1930:
	s_mov_b64 s[18:19], 0
.LBB199_1931:
	s_and_b64 vcc, exec, s[18:19]
	s_cbranch_vccz .LBB199_1964
; %bb.1932:
	s_cmp_gt_i32 s26, 22
	s_cbranch_scc0 .LBB199_1942
; %bb.1933:
	s_cmp_lt_i32 s26, 24
	s_cbranch_scc1 .LBB199_1945
; %bb.1934:
	s_cmp_gt_i32 s26, 24
	s_cbranch_scc0 .LBB199_1946
; %bb.1935:
	global_load_ubyte v5, v[16:17], off
	s_movk_i32 s4, 0x7f
	s_waitcnt vmcnt(0)
	v_cmp_lt_i16_e32 vcc, s4, v5
	s_mov_b64 s[4:5], 0
	s_and_saveexec_b64 s[16:17], vcc
	s_xor_b64 s[16:17], exec, s[16:17]
	s_cbranch_execz .LBB199_1958
; %bb.1936:
	s_movk_i32 s4, 0x80
	v_cmp_eq_u16_e32 vcc, s4, v5
	s_mov_b64 s[4:5], -1
	s_and_saveexec_b64 s[18:19], vcc
; %bb.1937:
	s_xor_b64 s[4:5], exec, -1
; %bb.1938:
	s_or_b64 exec, exec, s[18:19]
	s_and_b64 s[4:5], s[4:5], exec
	s_or_saveexec_b64 s[16:17], s[16:17]
	v_mov_b32_e32 v8, 0x7f800001
	s_xor_b64 exec, exec, s[16:17]
	s_cbranch_execnz .LBB199_1959
.LBB199_1939:
	s_or_b64 exec, exec, s[16:17]
	s_and_saveexec_b64 s[16:17], s[4:5]
	s_cbranch_execz .LBB199_1941
.LBB199_1940:
	v_lshlrev_b32_e32 v8, 24, v5
	v_and_b32_e32 v5, 0xffff, v5
	v_and_b32_e32 v10, 3, v5
	v_ffbh_u32_e32 v14, v10
	v_min_u32_e32 v14, 32, v14
	v_subrev_u32_e32 v18, 29, v14
	v_bfe_u32 v12, v5, 2, 5
	v_lshlrev_b32_e32 v5, v18, v5
	v_sub_u32_e32 v14, 30, v14
	v_and_b32_e32 v5, 3, v5
	v_cmp_eq_u32_e32 vcc, 0, v12
	v_cndmask_b32_e32 v12, v12, v14, vcc
	v_cndmask_b32_e32 v5, v10, v5, vcc
	v_mov_b32_e32 v10, 0x37800000
	v_lshlrev_b32_e32 v5, 21, v5
	v_and_b32_e32 v8, 0x80000000, v8
	v_lshl_add_u32 v10, v12, 23, v10
	v_or3_b32 v8, v8, v10, v5
.LBB199_1941:
	s_or_b64 exec, exec, s[16:17]
	v_bfe_u32 v5, v8, 16, 1
	s_movk_i32 s4, 0x7fff
	v_add3_u32 v5, v8, v5, s4
	v_cmp_o_f32_e32 vcc, v8, v8
	v_mov_b32_e32 v8, 0x7fc0
	v_cndmask_b32_sdwa v18, v8, v5, vcc dst_sel:DWORD dst_unused:UNUSED_PAD src0_sel:DWORD src1_sel:WORD_1
	s_mov_b64 s[4:5], 0
	s_branch .LBB199_1947
.LBB199_1942:
	s_mov_b64 s[4:5], -1
                                        ; implicit-def: $vgpr18
	s_branch .LBB199_1953
.LBB199_1943:
	s_or_saveexec_b64 s[18:19], s[18:19]
	v_mov_b32_e32 v8, 0x7f800001
	s_xor_b64 exec, exec, s[18:19]
	s_cbranch_execz .LBB199_1926
.LBB199_1944:
	v_cmp_ne_u16_e32 vcc, 0, v5
	s_andn2_b64 s[16:17], s[16:17], exec
	s_and_b64 s[20:21], vcc, exec
	v_mov_b32_e32 v8, 0
	s_or_b64 s[16:17], s[16:17], s[20:21]
	s_or_b64 exec, exec, s[18:19]
	s_and_saveexec_b64 s[18:19], s[16:17]
	s_cbranch_execnz .LBB199_1927
	s_branch .LBB199_1928
.LBB199_1945:
	s_mov_b64 s[4:5], -1
                                        ; implicit-def: $vgpr18
	s_branch .LBB199_1950
.LBB199_1946:
	s_mov_b64 s[4:5], -1
                                        ; implicit-def: $vgpr18
.LBB199_1947:
	s_and_b64 vcc, exec, s[4:5]
	s_cbranch_vccz .LBB199_1949
; %bb.1948:
	global_load_ubyte v5, v[16:17], off
	s_mov_b32 s4, 0x7f800000
	s_brev_b32 s5, 1
	s_movk_i32 s16, 0x7fff
	s_waitcnt vmcnt(0)
	v_lshlrev_b32_e32 v5, 24, v5
	v_and_b32_e32 v8, 0x7f000000, v5
	v_ffbh_u32_e32 v10, v8
	v_min_u32_e32 v10, 32, v10
	v_sub_u32_e64 v10, v10, 4 clamp
	v_lshlrev_b32_e32 v14, v10, v8
	v_lshlrev_b32_e32 v10, 23, v10
	v_lshrrev_b32_e32 v14, 4, v14
	v_add_u32_e32 v12, 0x1000000, v8
	v_sub_u32_e32 v10, v14, v10
	v_ashrrev_i32_e32 v12, 8, v12
	v_add_u32_e32 v10, 0x3c000000, v10
	v_and_or_b32 v10, v12, s4, v10
	v_cmp_ne_u32_e32 vcc, 0, v8
	v_cndmask_b32_e32 v8, 0, v10, vcc
	v_and_or_b32 v5, v5, s5, v8
	v_bfe_u32 v8, v8, 16, 1
	v_add3_u32 v8, v5, v8, s16
	v_cmp_o_f32_e32 vcc, v5, v5
	v_mov_b32_e32 v5, 0x7fc0
	v_cndmask_b32_sdwa v18, v5, v8, vcc dst_sel:DWORD dst_unused:UNUSED_PAD src0_sel:DWORD src1_sel:WORD_1
.LBB199_1949:
	s_mov_b64 s[4:5], 0
.LBB199_1950:
	s_andn2_b64 vcc, exec, s[4:5]
	s_cbranch_vccnz .LBB199_1952
; %bb.1951:
	global_load_ubyte v5, v[16:17], off
	s_movk_i32 s4, 0x7f00
	s_brev_b32 s5, 16
	s_brev_b32 s16, 1
	s_movk_i32 s17, 0x7fff
	s_waitcnt vmcnt(0)
	v_lshlrev_b16_e32 v8, 8, v5
	v_lshlrev_b32_e32 v5, 25, v5
	v_lshrrev_b32_e32 v10, 4, v5
	v_and_or_b32 v12, v8, s4, 0.5
	v_or_b32_e32 v10, 0x70000000, v10
	v_add_f32_e32 v12, -0.5, v12
	v_mul_f32_e32 v10, 0x7800000, v10
	v_cmp_gt_u32_e32 vcc, s5, v5
	v_bfe_i32 v8, v8, 0, 16
	v_cndmask_b32_e32 v5, v10, v12, vcc
	v_and_or_b32 v8, v8, s16, v5
	v_bfe_u32 v5, v5, 16, 1
	v_add3_u32 v5, v8, v5, s17
	v_cmp_o_f32_e32 vcc, v8, v8
	v_mov_b32_e32 v8, 0x7fc0
	v_cndmask_b32_sdwa v18, v8, v5, vcc dst_sel:DWORD dst_unused:UNUSED_PAD src0_sel:DWORD src1_sel:WORD_1
.LBB199_1952:
	s_mov_b64 s[4:5], 0
	s_mov_b64 s[16:17], -1
.LBB199_1953:
	s_andn2_b64 vcc, exec, s[4:5]
	s_mov_b64 s[4:5], 0
	s_cbranch_vccnz .LBB199_1964
; %bb.1954:
	s_cmp_gt_i32 s26, 14
	s_cbranch_scc0 .LBB199_1957
; %bb.1955:
	s_cmp_eq_u32 s26, 15
	s_cbranch_scc0 .LBB199_1960
; %bb.1956:
	global_load_ushort v18, v[16:17], off
	s_mov_b64 s[2:3], 0
	s_mov_b64 s[16:17], -1
	s_branch .LBB199_1961
.LBB199_1957:
	s_mov_b64 s[18:19], -1
                                        ; implicit-def: $vgpr18
	s_branch .LBB199_1962
.LBB199_1958:
	s_or_saveexec_b64 s[16:17], s[16:17]
	v_mov_b32_e32 v8, 0x7f800001
	s_xor_b64 exec, exec, s[16:17]
	s_cbranch_execz .LBB199_1939
.LBB199_1959:
	v_cmp_ne_u16_e32 vcc, 0, v5
	s_andn2_b64 s[4:5], s[4:5], exec
	s_and_b64 s[18:19], vcc, exec
	v_mov_b32_e32 v8, 0
	s_or_b64 s[4:5], s[4:5], s[18:19]
	s_or_b64 exec, exec, s[16:17]
	s_and_saveexec_b64 s[16:17], s[4:5]
	s_cbranch_execnz .LBB199_1940
	s_branch .LBB199_1941
.LBB199_1960:
	s_mov_b64 s[2:3], -1
                                        ; implicit-def: $vgpr18
.LBB199_1961:
	s_mov_b64 s[18:19], 0
.LBB199_1962:
	s_and_b64 vcc, exec, s[18:19]
	s_cbranch_vccz .LBB199_1964
; %bb.1963:
	s_cmp_lg_u32 s26, 11
	s_mov_b64 s[4:5], -1
	s_cselect_b64 s[2:3], -1, 0
.LBB199_1964:
	s_and_b64 vcc, exec, s[2:3]
	s_cbranch_vccnz .LBB199_2027
; %bb.1965:
	s_andn2_b64 vcc, exec, s[4:5]
	s_cbranch_vccnz .LBB199_1967
.LBB199_1966:
	global_load_ubyte v5, v[16:17], off
	s_mov_b64 s[16:17], -1
	s_waitcnt vmcnt(0)
	v_cmp_ne_u16_e32 vcc, 0, v5
	v_cndmask_b32_e64 v5, 0, 1.0, vcc
	v_lshrrev_b32_e32 v18, 16, v5
.LBB199_1967:
	s_branch .LBB199_1895
.LBB199_1968:
	s_and_b32 s4, 0xffff, s22
	s_cmp_lt_i32 s4, 5
	s_cbranch_scc1 .LBB199_1973
; %bb.1969:
	s_cmp_lt_i32 s4, 8
	s_cbranch_scc1 .LBB199_1974
; %bb.1970:
	;; [unrolled: 3-line block ×3, first 2 shown]
	s_cmp_gt_i32 s4, 9
	s_cbranch_scc0 .LBB199_1976
; %bb.1972:
	global_load_dwordx2 v[18:19], v[16:17], off
	s_movk_i32 s2, 0x7fff
	v_mov_b32_e32 v8, 0x7fc0
	s_waitcnt vmcnt(0)
	v_cvt_f32_f64_e32 v5, v[18:19]
	v_bfe_u32 v10, v5, 16, 1
	v_cmp_o_f32_e32 vcc, v5, v5
	v_add3_u32 v5, v5, v10, s2
	v_cndmask_b32_sdwa v18, v8, v5, vcc dst_sel:DWORD dst_unused:UNUSED_PAD src0_sel:DWORD src1_sel:WORD_1
	s_mov_b64 s[2:3], 0
	s_branch .LBB199_1977
.LBB199_1973:
	s_mov_b64 s[2:3], -1
                                        ; implicit-def: $vgpr18
	s_branch .LBB199_1995
.LBB199_1974:
	s_mov_b64 s[2:3], -1
                                        ; implicit-def: $vgpr18
	s_branch .LBB199_1983
.LBB199_1975:
	s_mov_b64 s[2:3], -1
                                        ; implicit-def: $vgpr18
	s_branch .LBB199_1980
.LBB199_1976:
	s_mov_b64 s[2:3], -1
                                        ; implicit-def: $vgpr18
.LBB199_1977:
	s_andn2_b64 vcc, exec, s[2:3]
	s_cbranch_vccnz .LBB199_1979
; %bb.1978:
	global_load_dword v5, v[16:17], off
	s_movk_i32 s2, 0x7fff
	v_mov_b32_e32 v8, 0x7fc0
	s_waitcnt vmcnt(0)
	v_bfe_u32 v10, v5, 16, 1
	v_cmp_o_f32_e32 vcc, v5, v5
	v_add3_u32 v5, v5, v10, s2
	v_cndmask_b32_sdwa v18, v8, v5, vcc dst_sel:DWORD dst_unused:UNUSED_PAD src0_sel:DWORD src1_sel:WORD_1
.LBB199_1979:
	s_mov_b64 s[2:3], 0
.LBB199_1980:
	s_andn2_b64 vcc, exec, s[2:3]
	s_cbranch_vccnz .LBB199_1982
; %bb.1981:
	global_load_dword v5, v[16:17], off
	s_movk_i32 s2, 0x7fff
	v_mov_b32_e32 v10, 0x7fc0
	s_waitcnt vmcnt(0)
	v_cvt_f32_f16_e32 v8, v5
	v_cmp_o_f16_e32 vcc, v5, v5
	v_bfe_u32 v5, v8, 16, 1
	v_add3_u32 v5, v8, v5, s2
	v_cndmask_b32_sdwa v18, v10, v5, vcc dst_sel:DWORD dst_unused:UNUSED_PAD src0_sel:DWORD src1_sel:WORD_1
.LBB199_1982:
	s_mov_b64 s[2:3], 0
.LBB199_1983:
	s_andn2_b64 vcc, exec, s[2:3]
	s_cbranch_vccnz .LBB199_1994
; %bb.1984:
	s_cmp_lt_i32 s4, 6
	s_cbranch_scc1 .LBB199_1987
; %bb.1985:
	s_cmp_gt_i32 s4, 6
	s_cbranch_scc0 .LBB199_1988
; %bb.1986:
	global_load_dwordx2 v[18:19], v[16:17], off
	s_movk_i32 s2, 0x7fff
	v_mov_b32_e32 v8, 0x7fc0
	s_waitcnt vmcnt(0)
	v_cvt_f32_f64_e32 v5, v[18:19]
	v_bfe_u32 v10, v5, 16, 1
	v_cmp_o_f32_e32 vcc, v5, v5
	v_add3_u32 v5, v5, v10, s2
	v_cndmask_b32_sdwa v18, v8, v5, vcc dst_sel:DWORD dst_unused:UNUSED_PAD src0_sel:DWORD src1_sel:WORD_1
	s_mov_b64 s[2:3], 0
	s_branch .LBB199_1989
.LBB199_1987:
	s_mov_b64 s[2:3], -1
                                        ; implicit-def: $vgpr18
	s_branch .LBB199_1992
.LBB199_1988:
	s_mov_b64 s[2:3], -1
                                        ; implicit-def: $vgpr18
.LBB199_1989:
	s_andn2_b64 vcc, exec, s[2:3]
	s_cbranch_vccnz .LBB199_1991
; %bb.1990:
	global_load_dword v5, v[16:17], off
	s_movk_i32 s2, 0x7fff
	v_mov_b32_e32 v8, 0x7fc0
	s_waitcnt vmcnt(0)
	v_bfe_u32 v10, v5, 16, 1
	v_cmp_o_f32_e32 vcc, v5, v5
	v_add3_u32 v5, v5, v10, s2
	v_cndmask_b32_sdwa v18, v8, v5, vcc dst_sel:DWORD dst_unused:UNUSED_PAD src0_sel:DWORD src1_sel:WORD_1
.LBB199_1991:
	s_mov_b64 s[2:3], 0
.LBB199_1992:
	s_andn2_b64 vcc, exec, s[2:3]
	s_cbranch_vccnz .LBB199_1994
; %bb.1993:
	global_load_ushort v5, v[16:17], off
	s_movk_i32 s2, 0x7fff
	v_mov_b32_e32 v10, 0x7fc0
	s_waitcnt vmcnt(0)
	v_cvt_f32_f16_e32 v8, v5
	v_cmp_o_f16_e32 vcc, v5, v5
	v_bfe_u32 v5, v8, 16, 1
	v_add3_u32 v5, v8, v5, s2
	v_cndmask_b32_sdwa v18, v10, v5, vcc dst_sel:DWORD dst_unused:UNUSED_PAD src0_sel:DWORD src1_sel:WORD_1
.LBB199_1994:
	s_mov_b64 s[2:3], 0
.LBB199_1995:
	s_andn2_b64 vcc, exec, s[2:3]
	s_cbranch_vccnz .LBB199_2015
; %bb.1996:
	s_cmp_lt_i32 s4, 2
	s_cbranch_scc1 .LBB199_2000
; %bb.1997:
	s_cmp_lt_i32 s4, 3
	s_cbranch_scc1 .LBB199_2001
; %bb.1998:
	s_cmp_gt_i32 s4, 3
	s_cbranch_scc0 .LBB199_2002
; %bb.1999:
	global_load_dwordx2 v[18:19], v[16:17], off
	s_movk_i32 s2, 0x7fff
	s_waitcnt vmcnt(0)
	v_xor_b32_e32 v8, v18, v19
	v_ffbh_i32_e32 v5, v19
	v_ashrrev_i32_e32 v8, 31, v8
	v_add_u32_e32 v5, -1, v5
	v_add_u32_e32 v8, 32, v8
	v_min_u32_e32 v5, v5, v8
	v_lshlrev_b64 v[18:19], v5, v[18:19]
	v_sub_u32_e32 v5, 32, v5
	v_min_u32_e32 v8, 1, v18
	v_or_b32_e32 v8, v19, v8
	v_cvt_f32_i32_e32 v8, v8
	v_ldexp_f32 v5, v8, v5
	v_bfe_u32 v8, v5, 16, 1
	v_add3_u32 v5, v5, v8, s2
	v_lshrrev_b32_e32 v18, 16, v5
	s_mov_b64 s[2:3], 0
	s_branch .LBB199_2003
.LBB199_2000:
	s_mov_b64 s[2:3], -1
                                        ; implicit-def: $vgpr18
	s_branch .LBB199_2009
.LBB199_2001:
	s_mov_b64 s[2:3], -1
                                        ; implicit-def: $vgpr18
	s_branch .LBB199_2006
.LBB199_2002:
	s_mov_b64 s[2:3], -1
                                        ; implicit-def: $vgpr18
.LBB199_2003:
	s_andn2_b64 vcc, exec, s[2:3]
	s_cbranch_vccnz .LBB199_2005
; %bb.2004:
	global_load_dword v5, v[16:17], off
	s_movk_i32 s2, 0x7fff
	s_waitcnt vmcnt(0)
	v_cvt_f32_i32_e32 v5, v5
	v_bfe_u32 v8, v5, 16, 1
	v_add3_u32 v5, v5, v8, s2
	v_lshrrev_b32_e32 v18, 16, v5
.LBB199_2005:
	s_mov_b64 s[2:3], 0
.LBB199_2006:
	s_andn2_b64 vcc, exec, s[2:3]
	s_cbranch_vccnz .LBB199_2008
; %bb.2007:
	global_load_sshort v5, v[16:17], off
	s_movk_i32 s2, 0x7fff
	s_waitcnt vmcnt(0)
	v_cvt_f32_i32_e32 v5, v5
	v_bfe_u32 v8, v5, 16, 1
	v_add3_u32 v5, v5, v8, s2
	v_lshrrev_b32_e32 v18, 16, v5
.LBB199_2008:
	s_mov_b64 s[2:3], 0
.LBB199_2009:
	s_andn2_b64 vcc, exec, s[2:3]
	s_cbranch_vccnz .LBB199_2015
; %bb.2010:
	s_cmp_gt_i32 s4, 0
	s_cbranch_scc0 .LBB199_2012
; %bb.2011:
	global_load_sbyte v5, v[16:17], off
	s_movk_i32 s2, 0x7fff
	s_waitcnt vmcnt(0)
	v_cvt_f32_i32_e32 v5, v5
	v_bfe_u32 v8, v5, 16, 1
	v_add3_u32 v5, v5, v8, s2
	v_lshrrev_b32_e32 v18, 16, v5
	s_mov_b64 s[2:3], 0
	s_branch .LBB199_2013
.LBB199_2012:
	s_mov_b64 s[2:3], -1
                                        ; implicit-def: $vgpr18
.LBB199_2013:
	s_andn2_b64 vcc, exec, s[2:3]
	s_cbranch_vccnz .LBB199_2015
; %bb.2014:
	global_load_ubyte v5, v[16:17], off
	s_movk_i32 s2, 0x7fff
	s_waitcnt vmcnt(0)
	v_cvt_f32_ubyte0_e32 v5, v5
	v_bfe_u32 v8, v5, 16, 1
	v_add3_u32 v5, v5, v8, s2
	v_lshrrev_b32_e32 v18, 16, v5
.LBB199_2015:
.LBB199_2016:
	s_lshr_b32 s2, s23, 16
	v_mov_b32_e32 v5, s1
	s_and_b32 s23, s2, 0xff
	v_add_co_u32_e32 v14, vcc, s0, v15
	s_cmp_lt_i32 s23, 11
	v_addc_co_u32_e32 v15, vcc, 0, v5, vcc
	s_cbranch_scc1 .LBB199_2023
; %bb.2017:
	s_and_b32 s26, 0xffff, s23
	s_cmp_gt_i32 s26, 25
	s_mov_b64 s[4:5], 0
	s_cbranch_scc0 .LBB199_2024
; %bb.2018:
	s_cmp_gt_i32 s26, 28
	s_cbranch_scc0 .LBB199_2025
; %bb.2019:
	s_cmp_gt_i32 s26, 43
	;; [unrolled: 3-line block ×3, first 2 shown]
	s_cbranch_scc0 .LBB199_2028
; %bb.2021:
	s_cmp_eq_u32 s26, 46
	s_mov_b64 s[18:19], 0
	s_cbranch_scc0 .LBB199_2029
; %bb.2022:
	global_load_dword v16, v[14:15], off
	s_mov_b64 s[2:3], 0
	s_mov_b64 s[16:17], -1
	s_branch .LBB199_2030
.LBB199_2023:
	s_mov_b64 s[2:3], -1
	s_mov_b64 s[16:17], 0
                                        ; implicit-def: $vgpr16
	s_branch .LBB199_2096
.LBB199_2024:
	s_mov_b64 s[18:19], -1
	s_mov_b64 s[16:17], 0
	s_mov_b64 s[2:3], 0
                                        ; implicit-def: $vgpr16
	s_branch .LBB199_2059
.LBB199_2025:
	s_mov_b64 s[18:19], -1
	s_mov_b64 s[16:17], 0
	s_mov_b64 s[2:3], 0
                                        ; implicit-def: $vgpr16
	s_branch .LBB199_2040
.LBB199_2026:
	s_mov_b64 s[18:19], -1
	s_mov_b64 s[16:17], 0
	s_mov_b64 s[2:3], 0
                                        ; implicit-def: $vgpr16
	s_branch .LBB199_2035
.LBB199_2027:
	s_trap 2
	s_or_b64 s[14:15], s[14:15], exec
	s_cbranch_execz .LBB199_1966
	s_branch .LBB199_1967
.LBB199_2028:
	s_mov_b64 s[18:19], -1
	s_mov_b64 s[16:17], 0
	s_mov_b64 s[2:3], 0
                                        ; implicit-def: $vgpr16
	s_branch .LBB199_2030
.LBB199_2029:
	s_mov_b64 s[2:3], -1
                                        ; implicit-def: $vgpr16
	s_mov_b64 s[16:17], 0
.LBB199_2030:
	s_and_b64 vcc, exec, s[18:19]
	s_cbranch_vccz .LBB199_2034
; %bb.2031:
	s_cmp_eq_u32 s26, 44
	s_cbranch_scc0 .LBB199_2033
; %bb.2032:
	global_load_ubyte v5, v[14:15], off
	s_movk_i32 s16, 0xff
	v_mov_b32_e32 v8, 0x7f800001
	v_mov_b32_e32 v10, 0x400000
	;; [unrolled: 1-line block ×3, first 2 shown]
	s_mov_b64 s[2:3], 0
	s_waitcnt vmcnt(0)
	v_lshlrev_b32_e32 v16, 23, v5
	v_cmp_ne_u32_e32 vcc, s16, v5
	v_cndmask_b32_e32 v8, v8, v16, vcc
	v_cmp_ne_u32_e32 vcc, 0, v5
	v_cndmask_b32_e32 v5, v10, v8, vcc
	v_add_u32_e32 v8, 0x7fff, v5
	v_cmp_o_f32_e32 vcc, v5, v5
	v_cndmask_b32_sdwa v16, v12, v8, vcc dst_sel:DWORD dst_unused:UNUSED_PAD src0_sel:DWORD src1_sel:WORD_1
	s_mov_b64 s[16:17], -1
	s_branch .LBB199_2034
.LBB199_2033:
	s_mov_b64 s[2:3], -1
                                        ; implicit-def: $vgpr16
.LBB199_2034:
	s_mov_b64 s[18:19], 0
.LBB199_2035:
	s_and_b64 vcc, exec, s[18:19]
	s_cbranch_vccz .LBB199_2039
; %bb.2036:
	s_cmp_eq_u32 s26, 29
	s_cbranch_scc0 .LBB199_2038
; %bb.2037:
	global_load_dwordx2 v[16:17], v[14:15], off
	s_movk_i32 s16, 0x7fff
	s_mov_b64 s[2:3], 0
	s_mov_b64 s[18:19], 0
	s_waitcnt vmcnt(0)
	v_ffbh_u32_e32 v5, v17
	v_min_u32_e32 v5, 32, v5
	v_lshlrev_b64 v[16:17], v5, v[16:17]
	v_sub_u32_e32 v5, 32, v5
	v_min_u32_e32 v8, 1, v16
	v_or_b32_e32 v8, v17, v8
	v_cvt_f32_u32_e32 v8, v8
	v_ldexp_f32 v5, v8, v5
	v_bfe_u32 v8, v5, 16, 1
	v_add3_u32 v5, v5, v8, s16
	v_lshrrev_b32_e32 v16, 16, v5
	s_mov_b64 s[16:17], -1
	s_branch .LBB199_2040
.LBB199_2038:
	s_mov_b64 s[2:3], -1
                                        ; implicit-def: $vgpr16
.LBB199_2039:
	s_mov_b64 s[18:19], 0
.LBB199_2040:
	s_and_b64 vcc, exec, s[18:19]
	s_cbranch_vccz .LBB199_2058
; %bb.2041:
	s_cmp_lt_i32 s26, 27
	s_cbranch_scc1 .LBB199_2044
; %bb.2042:
	s_cmp_gt_i32 s26, 27
	s_cbranch_scc0 .LBB199_2045
; %bb.2043:
	global_load_dword v5, v[14:15], off
	s_movk_i32 s16, 0x7fff
	s_waitcnt vmcnt(0)
	v_cvt_f32_u32_e32 v5, v5
	v_bfe_u32 v8, v5, 16, 1
	v_add3_u32 v5, v5, v8, s16
	v_lshrrev_b32_e32 v16, 16, v5
	s_mov_b64 s[16:17], 0
	s_branch .LBB199_2046
.LBB199_2044:
	s_mov_b64 s[16:17], -1
                                        ; implicit-def: $vgpr16
	s_branch .LBB199_2049
.LBB199_2045:
	s_mov_b64 s[16:17], -1
                                        ; implicit-def: $vgpr16
.LBB199_2046:
	s_andn2_b64 vcc, exec, s[16:17]
	s_cbranch_vccnz .LBB199_2048
; %bb.2047:
	global_load_ushort v5, v[14:15], off
	s_movk_i32 s16, 0x7fff
	s_waitcnt vmcnt(0)
	v_cvt_f32_u32_e32 v5, v5
	v_bfe_u32 v8, v5, 16, 1
	v_add3_u32 v5, v5, v8, s16
	v_lshrrev_b32_e32 v16, 16, v5
.LBB199_2048:
	s_mov_b64 s[16:17], 0
.LBB199_2049:
	s_andn2_b64 vcc, exec, s[16:17]
	s_cbranch_vccnz .LBB199_2057
; %bb.2050:
	global_load_ubyte v5, v[14:15], off
	s_movk_i32 s16, 0x7f
	s_waitcnt vmcnt(0)
	v_cmp_lt_i16_e32 vcc, s16, v5
	s_mov_b64 s[16:17], 0
	s_and_saveexec_b64 s[18:19], vcc
	s_xor_b64 s[18:19], exec, s[18:19]
	s_cbranch_execz .LBB199_2071
; %bb.2051:
	s_movk_i32 s16, 0x80
	v_cmp_eq_u16_e32 vcc, s16, v5
	s_mov_b64 s[16:17], -1
	s_and_saveexec_b64 s[20:21], vcc
; %bb.2052:
	s_xor_b64 s[16:17], exec, -1
; %bb.2053:
	s_or_b64 exec, exec, s[20:21]
	s_and_b64 s[16:17], s[16:17], exec
	s_or_saveexec_b64 s[18:19], s[18:19]
	v_mov_b32_e32 v8, 0x7f800001
	s_xor_b64 exec, exec, s[18:19]
	s_cbranch_execnz .LBB199_2072
.LBB199_2054:
	s_or_b64 exec, exec, s[18:19]
	s_and_saveexec_b64 s[18:19], s[16:17]
	s_cbranch_execz .LBB199_2056
.LBB199_2055:
	v_lshlrev_b32_e32 v8, 24, v5
	v_and_b32_e32 v5, 0xffff, v5
	v_and_b32_e32 v10, 7, v5
	v_ffbh_u32_e32 v16, v10
	v_min_u32_e32 v16, 32, v16
	v_subrev_u32_e32 v17, 28, v16
	v_bfe_u32 v12, v5, 3, 4
	v_lshlrev_b32_e32 v5, v17, v5
	v_sub_u32_e32 v16, 29, v16
	v_and_b32_e32 v5, 7, v5
	v_cmp_eq_u32_e32 vcc, 0, v12
	v_cndmask_b32_e32 v12, v12, v16, vcc
	v_cndmask_b32_e32 v5, v10, v5, vcc
	v_mov_b32_e32 v10, 0x3b800000
	v_lshlrev_b32_e32 v5, 20, v5
	v_and_b32_e32 v8, 0x80000000, v8
	v_lshl_add_u32 v10, v12, 23, v10
	v_or3_b32 v8, v8, v10, v5
.LBB199_2056:
	s_or_b64 exec, exec, s[18:19]
	v_bfe_u32 v5, v8, 16, 1
	s_movk_i32 s16, 0x7fff
	v_add3_u32 v5, v8, v5, s16
	v_cmp_o_f32_e32 vcc, v8, v8
	v_mov_b32_e32 v8, 0x7fc0
	v_cndmask_b32_sdwa v16, v8, v5, vcc dst_sel:DWORD dst_unused:UNUSED_PAD src0_sel:DWORD src1_sel:WORD_1
.LBB199_2057:
	s_mov_b64 s[16:17], -1
.LBB199_2058:
	s_mov_b64 s[18:19], 0
.LBB199_2059:
	s_and_b64 vcc, exec, s[18:19]
	s_cbranch_vccz .LBB199_2092
; %bb.2060:
	s_cmp_gt_i32 s26, 22
	s_cbranch_scc0 .LBB199_2070
; %bb.2061:
	s_cmp_lt_i32 s26, 24
	s_cbranch_scc1 .LBB199_2073
; %bb.2062:
	s_cmp_gt_i32 s26, 24
	s_cbranch_scc0 .LBB199_2074
; %bb.2063:
	global_load_ubyte v5, v[14:15], off
	s_movk_i32 s4, 0x7f
	s_waitcnt vmcnt(0)
	v_cmp_lt_i16_e32 vcc, s4, v5
	s_mov_b64 s[4:5], 0
	s_and_saveexec_b64 s[16:17], vcc
	s_xor_b64 s[16:17], exec, s[16:17]
	s_cbranch_execz .LBB199_2086
; %bb.2064:
	s_movk_i32 s4, 0x80
	v_cmp_eq_u16_e32 vcc, s4, v5
	s_mov_b64 s[4:5], -1
	s_and_saveexec_b64 s[18:19], vcc
; %bb.2065:
	s_xor_b64 s[4:5], exec, -1
; %bb.2066:
	s_or_b64 exec, exec, s[18:19]
	s_and_b64 s[4:5], s[4:5], exec
	s_or_saveexec_b64 s[16:17], s[16:17]
	v_mov_b32_e32 v8, 0x7f800001
	s_xor_b64 exec, exec, s[16:17]
	s_cbranch_execnz .LBB199_2087
.LBB199_2067:
	s_or_b64 exec, exec, s[16:17]
	s_and_saveexec_b64 s[16:17], s[4:5]
	s_cbranch_execz .LBB199_2069
.LBB199_2068:
	v_lshlrev_b32_e32 v8, 24, v5
	v_and_b32_e32 v5, 0xffff, v5
	v_and_b32_e32 v10, 3, v5
	v_ffbh_u32_e32 v16, v10
	v_min_u32_e32 v16, 32, v16
	v_subrev_u32_e32 v17, 29, v16
	v_bfe_u32 v12, v5, 2, 5
	v_lshlrev_b32_e32 v5, v17, v5
	v_sub_u32_e32 v16, 30, v16
	v_and_b32_e32 v5, 3, v5
	v_cmp_eq_u32_e32 vcc, 0, v12
	v_cndmask_b32_e32 v12, v12, v16, vcc
	v_cndmask_b32_e32 v5, v10, v5, vcc
	v_mov_b32_e32 v10, 0x37800000
	v_lshlrev_b32_e32 v5, 21, v5
	v_and_b32_e32 v8, 0x80000000, v8
	v_lshl_add_u32 v10, v12, 23, v10
	v_or3_b32 v8, v8, v10, v5
.LBB199_2069:
	s_or_b64 exec, exec, s[16:17]
	v_bfe_u32 v5, v8, 16, 1
	s_movk_i32 s4, 0x7fff
	v_add3_u32 v5, v8, v5, s4
	v_cmp_o_f32_e32 vcc, v8, v8
	v_mov_b32_e32 v8, 0x7fc0
	v_cndmask_b32_sdwa v16, v8, v5, vcc dst_sel:DWORD dst_unused:UNUSED_PAD src0_sel:DWORD src1_sel:WORD_1
	s_mov_b64 s[4:5], 0
	s_branch .LBB199_2075
.LBB199_2070:
	s_mov_b64 s[4:5], -1
                                        ; implicit-def: $vgpr16
	s_branch .LBB199_2081
.LBB199_2071:
	s_or_saveexec_b64 s[18:19], s[18:19]
	v_mov_b32_e32 v8, 0x7f800001
	s_xor_b64 exec, exec, s[18:19]
	s_cbranch_execz .LBB199_2054
.LBB199_2072:
	v_cmp_ne_u16_e32 vcc, 0, v5
	s_andn2_b64 s[16:17], s[16:17], exec
	s_and_b64 s[20:21], vcc, exec
	v_mov_b32_e32 v8, 0
	s_or_b64 s[16:17], s[16:17], s[20:21]
	s_or_b64 exec, exec, s[18:19]
	s_and_saveexec_b64 s[18:19], s[16:17]
	s_cbranch_execnz .LBB199_2055
	s_branch .LBB199_2056
.LBB199_2073:
	s_mov_b64 s[4:5], -1
                                        ; implicit-def: $vgpr16
	s_branch .LBB199_2078
.LBB199_2074:
	s_mov_b64 s[4:5], -1
                                        ; implicit-def: $vgpr16
.LBB199_2075:
	s_and_b64 vcc, exec, s[4:5]
	s_cbranch_vccz .LBB199_2077
; %bb.2076:
	global_load_ubyte v5, v[14:15], off
	s_mov_b32 s4, 0x7f800000
	s_brev_b32 s5, 1
	s_movk_i32 s16, 0x7fff
	s_waitcnt vmcnt(0)
	v_lshlrev_b32_e32 v5, 24, v5
	v_and_b32_e32 v8, 0x7f000000, v5
	v_ffbh_u32_e32 v10, v8
	v_min_u32_e32 v10, 32, v10
	v_sub_u32_e64 v10, v10, 4 clamp
	v_lshlrev_b32_e32 v16, v10, v8
	v_lshlrev_b32_e32 v10, 23, v10
	v_lshrrev_b32_e32 v16, 4, v16
	v_add_u32_e32 v12, 0x1000000, v8
	v_sub_u32_e32 v10, v16, v10
	v_ashrrev_i32_e32 v12, 8, v12
	v_add_u32_e32 v10, 0x3c000000, v10
	v_and_or_b32 v10, v12, s4, v10
	v_cmp_ne_u32_e32 vcc, 0, v8
	v_cndmask_b32_e32 v8, 0, v10, vcc
	v_and_or_b32 v5, v5, s5, v8
	v_bfe_u32 v8, v8, 16, 1
	v_add3_u32 v8, v5, v8, s16
	v_cmp_o_f32_e32 vcc, v5, v5
	v_mov_b32_e32 v5, 0x7fc0
	v_cndmask_b32_sdwa v16, v5, v8, vcc dst_sel:DWORD dst_unused:UNUSED_PAD src0_sel:DWORD src1_sel:WORD_1
.LBB199_2077:
	s_mov_b64 s[4:5], 0
.LBB199_2078:
	s_andn2_b64 vcc, exec, s[4:5]
	s_cbranch_vccnz .LBB199_2080
; %bb.2079:
	global_load_ubyte v5, v[14:15], off
	s_movk_i32 s4, 0x7f00
	s_brev_b32 s5, 16
	s_brev_b32 s16, 1
	s_movk_i32 s17, 0x7fff
	s_waitcnt vmcnt(0)
	v_lshlrev_b16_e32 v8, 8, v5
	v_lshlrev_b32_e32 v5, 25, v5
	v_lshrrev_b32_e32 v10, 4, v5
	v_and_or_b32 v12, v8, s4, 0.5
	v_or_b32_e32 v10, 0x70000000, v10
	v_add_f32_e32 v12, -0.5, v12
	v_mul_f32_e32 v10, 0x7800000, v10
	v_cmp_gt_u32_e32 vcc, s5, v5
	v_bfe_i32 v8, v8, 0, 16
	v_cndmask_b32_e32 v5, v10, v12, vcc
	v_and_or_b32 v8, v8, s16, v5
	v_bfe_u32 v5, v5, 16, 1
	v_add3_u32 v5, v8, v5, s17
	v_cmp_o_f32_e32 vcc, v8, v8
	v_mov_b32_e32 v8, 0x7fc0
	v_cndmask_b32_sdwa v16, v8, v5, vcc dst_sel:DWORD dst_unused:UNUSED_PAD src0_sel:DWORD src1_sel:WORD_1
.LBB199_2080:
	s_mov_b64 s[4:5], 0
	s_mov_b64 s[16:17], -1
.LBB199_2081:
	s_andn2_b64 vcc, exec, s[4:5]
	s_mov_b64 s[4:5], 0
	s_cbranch_vccnz .LBB199_2092
; %bb.2082:
	s_cmp_gt_i32 s26, 14
	s_cbranch_scc0 .LBB199_2085
; %bb.2083:
	s_cmp_eq_u32 s26, 15
	s_cbranch_scc0 .LBB199_2088
; %bb.2084:
	global_load_ushort v16, v[14:15], off
	s_mov_b64 s[2:3], 0
	s_mov_b64 s[16:17], -1
	s_branch .LBB199_2089
.LBB199_2085:
	s_mov_b64 s[18:19], -1
                                        ; implicit-def: $vgpr16
	s_branch .LBB199_2090
.LBB199_2086:
	s_or_saveexec_b64 s[16:17], s[16:17]
	v_mov_b32_e32 v8, 0x7f800001
	s_xor_b64 exec, exec, s[16:17]
	s_cbranch_execz .LBB199_2067
.LBB199_2087:
	v_cmp_ne_u16_e32 vcc, 0, v5
	s_andn2_b64 s[4:5], s[4:5], exec
	s_and_b64 s[18:19], vcc, exec
	v_mov_b32_e32 v8, 0
	s_or_b64 s[4:5], s[4:5], s[18:19]
	s_or_b64 exec, exec, s[16:17]
	s_and_saveexec_b64 s[16:17], s[4:5]
	s_cbranch_execnz .LBB199_2068
	s_branch .LBB199_2069
.LBB199_2088:
	s_mov_b64 s[2:3], -1
                                        ; implicit-def: $vgpr16
.LBB199_2089:
	s_mov_b64 s[18:19], 0
.LBB199_2090:
	s_and_b64 vcc, exec, s[18:19]
	s_cbranch_vccz .LBB199_2092
; %bb.2091:
	s_cmp_lg_u32 s26, 11
	s_mov_b64 s[4:5], -1
	s_cselect_b64 s[2:3], -1, 0
.LBB199_2092:
	s_and_b64 vcc, exec, s[2:3]
	s_cbranch_vccnz .LBB199_2157
; %bb.2093:
	s_andn2_b64 vcc, exec, s[4:5]
	s_cbranch_vccnz .LBB199_2095
.LBB199_2094:
	global_load_ubyte v5, v[14:15], off
	s_mov_b64 s[16:17], -1
	s_waitcnt vmcnt(0)
	v_cmp_ne_u16_e32 vcc, 0, v5
	v_cndmask_b32_e64 v5, 0, 1.0, vcc
	v_lshrrev_b32_e32 v16, 16, v5
.LBB199_2095:
	s_mov_b64 s[2:3], 0
.LBB199_2096:
	s_and_b64 vcc, exec, s[2:3]
	s_cbranch_vccz .LBB199_2145
; %bb.2097:
	s_and_b32 s4, 0xffff, s23
	s_cmp_lt_i32 s4, 5
	s_cbranch_scc1 .LBB199_2102
; %bb.2098:
	s_cmp_lt_i32 s4, 8
	s_cbranch_scc1 .LBB199_2103
; %bb.2099:
	;; [unrolled: 3-line block ×3, first 2 shown]
	s_cmp_gt_i32 s4, 9
	s_cbranch_scc0 .LBB199_2105
; %bb.2101:
	global_load_dwordx2 v[16:17], v[14:15], off
	s_movk_i32 s2, 0x7fff
	v_mov_b32_e32 v8, 0x7fc0
	s_waitcnt vmcnt(0)
	v_cvt_f32_f64_e32 v5, v[16:17]
	v_bfe_u32 v10, v5, 16, 1
	v_cmp_o_f32_e32 vcc, v5, v5
	v_add3_u32 v5, v5, v10, s2
	v_cndmask_b32_sdwa v16, v8, v5, vcc dst_sel:DWORD dst_unused:UNUSED_PAD src0_sel:DWORD src1_sel:WORD_1
	s_mov_b64 s[2:3], 0
	s_branch .LBB199_2106
.LBB199_2102:
	s_mov_b64 s[2:3], -1
                                        ; implicit-def: $vgpr16
	s_branch .LBB199_2124
.LBB199_2103:
	s_mov_b64 s[2:3], -1
                                        ; implicit-def: $vgpr16
	s_branch .LBB199_2112
.LBB199_2104:
	s_mov_b64 s[2:3], -1
                                        ; implicit-def: $vgpr16
	s_branch .LBB199_2109
.LBB199_2105:
	s_mov_b64 s[2:3], -1
                                        ; implicit-def: $vgpr16
.LBB199_2106:
	s_andn2_b64 vcc, exec, s[2:3]
	s_cbranch_vccnz .LBB199_2108
; %bb.2107:
	global_load_dword v5, v[14:15], off
	s_movk_i32 s2, 0x7fff
	v_mov_b32_e32 v8, 0x7fc0
	s_waitcnt vmcnt(0)
	v_bfe_u32 v10, v5, 16, 1
	v_cmp_o_f32_e32 vcc, v5, v5
	v_add3_u32 v5, v5, v10, s2
	v_cndmask_b32_sdwa v16, v8, v5, vcc dst_sel:DWORD dst_unused:UNUSED_PAD src0_sel:DWORD src1_sel:WORD_1
.LBB199_2108:
	s_mov_b64 s[2:3], 0
.LBB199_2109:
	s_andn2_b64 vcc, exec, s[2:3]
	s_cbranch_vccnz .LBB199_2111
; %bb.2110:
	global_load_dword v5, v[14:15], off
	s_movk_i32 s2, 0x7fff
	v_mov_b32_e32 v10, 0x7fc0
	s_waitcnt vmcnt(0)
	v_cvt_f32_f16_e32 v8, v5
	v_cmp_o_f16_e32 vcc, v5, v5
	v_bfe_u32 v5, v8, 16, 1
	v_add3_u32 v5, v8, v5, s2
	v_cndmask_b32_sdwa v16, v10, v5, vcc dst_sel:DWORD dst_unused:UNUSED_PAD src0_sel:DWORD src1_sel:WORD_1
.LBB199_2111:
	s_mov_b64 s[2:3], 0
.LBB199_2112:
	s_andn2_b64 vcc, exec, s[2:3]
	s_cbranch_vccnz .LBB199_2123
; %bb.2113:
	s_cmp_lt_i32 s4, 6
	s_cbranch_scc1 .LBB199_2116
; %bb.2114:
	s_cmp_gt_i32 s4, 6
	s_cbranch_scc0 .LBB199_2117
; %bb.2115:
	global_load_dwordx2 v[16:17], v[14:15], off
	s_movk_i32 s2, 0x7fff
	v_mov_b32_e32 v8, 0x7fc0
	s_waitcnt vmcnt(0)
	v_cvt_f32_f64_e32 v5, v[16:17]
	v_bfe_u32 v10, v5, 16, 1
	v_cmp_o_f32_e32 vcc, v5, v5
	v_add3_u32 v5, v5, v10, s2
	v_cndmask_b32_sdwa v16, v8, v5, vcc dst_sel:DWORD dst_unused:UNUSED_PAD src0_sel:DWORD src1_sel:WORD_1
	s_mov_b64 s[2:3], 0
	s_branch .LBB199_2118
.LBB199_2116:
	s_mov_b64 s[2:3], -1
                                        ; implicit-def: $vgpr16
	s_branch .LBB199_2121
.LBB199_2117:
	s_mov_b64 s[2:3], -1
                                        ; implicit-def: $vgpr16
.LBB199_2118:
	s_andn2_b64 vcc, exec, s[2:3]
	s_cbranch_vccnz .LBB199_2120
; %bb.2119:
	global_load_dword v5, v[14:15], off
	s_movk_i32 s2, 0x7fff
	v_mov_b32_e32 v8, 0x7fc0
	s_waitcnt vmcnt(0)
	v_bfe_u32 v10, v5, 16, 1
	v_cmp_o_f32_e32 vcc, v5, v5
	v_add3_u32 v5, v5, v10, s2
	v_cndmask_b32_sdwa v16, v8, v5, vcc dst_sel:DWORD dst_unused:UNUSED_PAD src0_sel:DWORD src1_sel:WORD_1
.LBB199_2120:
	s_mov_b64 s[2:3], 0
.LBB199_2121:
	s_andn2_b64 vcc, exec, s[2:3]
	s_cbranch_vccnz .LBB199_2123
; %bb.2122:
	global_load_ushort v5, v[14:15], off
	s_movk_i32 s2, 0x7fff
	v_mov_b32_e32 v10, 0x7fc0
	s_waitcnt vmcnt(0)
	v_cvt_f32_f16_e32 v8, v5
	v_cmp_o_f16_e32 vcc, v5, v5
	v_bfe_u32 v5, v8, 16, 1
	v_add3_u32 v5, v8, v5, s2
	v_cndmask_b32_sdwa v16, v10, v5, vcc dst_sel:DWORD dst_unused:UNUSED_PAD src0_sel:DWORD src1_sel:WORD_1
.LBB199_2123:
	s_mov_b64 s[2:3], 0
.LBB199_2124:
	s_andn2_b64 vcc, exec, s[2:3]
	s_cbranch_vccnz .LBB199_2144
; %bb.2125:
	s_cmp_lt_i32 s4, 2
	s_cbranch_scc1 .LBB199_2129
; %bb.2126:
	s_cmp_lt_i32 s4, 3
	s_cbranch_scc1 .LBB199_2130
; %bb.2127:
	s_cmp_gt_i32 s4, 3
	s_cbranch_scc0 .LBB199_2131
; %bb.2128:
	global_load_dwordx2 v[16:17], v[14:15], off
	s_movk_i32 s2, 0x7fff
	s_waitcnt vmcnt(0)
	v_xor_b32_e32 v8, v16, v17
	v_ffbh_i32_e32 v5, v17
	v_ashrrev_i32_e32 v8, 31, v8
	v_add_u32_e32 v5, -1, v5
	v_add_u32_e32 v8, 32, v8
	v_min_u32_e32 v5, v5, v8
	v_lshlrev_b64 v[16:17], v5, v[16:17]
	v_sub_u32_e32 v5, 32, v5
	v_min_u32_e32 v8, 1, v16
	v_or_b32_e32 v8, v17, v8
	v_cvt_f32_i32_e32 v8, v8
	v_ldexp_f32 v5, v8, v5
	v_bfe_u32 v8, v5, 16, 1
	v_add3_u32 v5, v5, v8, s2
	v_lshrrev_b32_e32 v16, 16, v5
	s_mov_b64 s[2:3], 0
	s_branch .LBB199_2132
.LBB199_2129:
	s_mov_b64 s[2:3], -1
                                        ; implicit-def: $vgpr16
	s_branch .LBB199_2138
.LBB199_2130:
	s_mov_b64 s[2:3], -1
                                        ; implicit-def: $vgpr16
	s_branch .LBB199_2135
.LBB199_2131:
	s_mov_b64 s[2:3], -1
                                        ; implicit-def: $vgpr16
.LBB199_2132:
	s_andn2_b64 vcc, exec, s[2:3]
	s_cbranch_vccnz .LBB199_2134
; %bb.2133:
	global_load_dword v5, v[14:15], off
	s_movk_i32 s2, 0x7fff
	s_waitcnt vmcnt(0)
	v_cvt_f32_i32_e32 v5, v5
	v_bfe_u32 v8, v5, 16, 1
	v_add3_u32 v5, v5, v8, s2
	v_lshrrev_b32_e32 v16, 16, v5
.LBB199_2134:
	s_mov_b64 s[2:3], 0
.LBB199_2135:
	s_andn2_b64 vcc, exec, s[2:3]
	s_cbranch_vccnz .LBB199_2137
; %bb.2136:
	global_load_sshort v5, v[14:15], off
	s_movk_i32 s2, 0x7fff
	s_waitcnt vmcnt(0)
	v_cvt_f32_i32_e32 v5, v5
	v_bfe_u32 v8, v5, 16, 1
	v_add3_u32 v5, v5, v8, s2
	v_lshrrev_b32_e32 v16, 16, v5
.LBB199_2137:
	s_mov_b64 s[2:3], 0
.LBB199_2138:
	s_andn2_b64 vcc, exec, s[2:3]
	s_cbranch_vccnz .LBB199_2144
; %bb.2139:
	s_cmp_gt_i32 s4, 0
	s_cbranch_scc0 .LBB199_2141
; %bb.2140:
	global_load_sbyte v5, v[14:15], off
	s_movk_i32 s2, 0x7fff
	s_waitcnt vmcnt(0)
	v_cvt_f32_i32_e32 v5, v5
	v_bfe_u32 v8, v5, 16, 1
	v_add3_u32 v5, v5, v8, s2
	v_lshrrev_b32_e32 v16, 16, v5
	s_mov_b64 s[2:3], 0
	s_branch .LBB199_2142
.LBB199_2141:
	s_mov_b64 s[2:3], -1
                                        ; implicit-def: $vgpr16
.LBB199_2142:
	s_andn2_b64 vcc, exec, s[2:3]
	s_cbranch_vccnz .LBB199_2144
; %bb.2143:
	global_load_ubyte v5, v[14:15], off
	s_movk_i32 s2, 0x7fff
	s_waitcnt vmcnt(0)
	v_cvt_f32_ubyte0_e32 v5, v5
	v_bfe_u32 v8, v5, 16, 1
	v_add3_u32 v5, v5, v8, s2
	v_lshrrev_b32_e32 v16, 16, v5
.LBB199_2144:
	s_mov_b64 s[16:17], -1
.LBB199_2145:
	s_andn2_b64 vcc, exec, s[16:17]
	s_cbranch_vccnz .LBB199_3101
; %bb.2146:
	v_mov_b32_e32 v5, s11
	v_add_co_u32_e32 v12, vcc, s10, v13
	s_cmp_lt_i32 s22, 11
	v_addc_co_u32_e32 v13, vcc, 0, v5, vcc
	s_cbranch_scc1 .LBB199_2153
; %bb.2147:
	s_and_b32 s26, 0xffff, s22
	s_cmp_gt_i32 s26, 25
	s_mov_b64 s[4:5], 0
	s_cbranch_scc0 .LBB199_2154
; %bb.2148:
	s_cmp_gt_i32 s26, 28
	s_cbranch_scc0 .LBB199_2155
; %bb.2149:
	s_cmp_gt_i32 s26, 43
	;; [unrolled: 3-line block ×3, first 2 shown]
	s_cbranch_scc0 .LBB199_2158
; %bb.2151:
	s_cmp_eq_u32 s26, 46
	s_mov_b64 s[18:19], 0
	s_cbranch_scc0 .LBB199_2159
; %bb.2152:
	global_load_dword v14, v[12:13], off
	s_mov_b64 s[2:3], 0
	s_mov_b64 s[16:17], -1
	s_branch .LBB199_2160
.LBB199_2153:
	s_mov_b64 s[2:3], -1
	s_mov_b64 s[16:17], 0
                                        ; implicit-def: $vgpr14
	s_branch .LBB199_2226
.LBB199_2154:
	s_mov_b64 s[18:19], -1
	s_mov_b64 s[16:17], 0
	s_mov_b64 s[2:3], 0
                                        ; implicit-def: $vgpr14
	s_branch .LBB199_2189
.LBB199_2155:
	s_mov_b64 s[18:19], -1
	s_mov_b64 s[16:17], 0
	s_mov_b64 s[2:3], 0
                                        ; implicit-def: $vgpr14
	s_branch .LBB199_2170
.LBB199_2156:
	s_mov_b64 s[18:19], -1
	s_mov_b64 s[16:17], 0
	s_mov_b64 s[2:3], 0
                                        ; implicit-def: $vgpr14
	s_branch .LBB199_2165
.LBB199_2157:
	s_trap 2
	s_or_b64 s[14:15], s[14:15], exec
	s_cbranch_execz .LBB199_2094
	s_branch .LBB199_2095
.LBB199_2158:
	s_mov_b64 s[18:19], -1
	s_mov_b64 s[16:17], 0
	s_mov_b64 s[2:3], 0
                                        ; implicit-def: $vgpr14
	s_branch .LBB199_2160
.LBB199_2159:
	s_mov_b64 s[2:3], -1
                                        ; implicit-def: $vgpr14
	s_mov_b64 s[16:17], 0
.LBB199_2160:
	s_and_b64 vcc, exec, s[18:19]
	s_cbranch_vccz .LBB199_2164
; %bb.2161:
	s_cmp_eq_u32 s26, 44
	s_cbranch_scc0 .LBB199_2163
; %bb.2162:
	global_load_ubyte v5, v[12:13], off
	s_movk_i32 s16, 0xff
	v_mov_b32_e32 v8, 0x7f800001
	v_mov_b32_e32 v10, 0x400000
	s_waitcnt vmcnt(1)
	v_mov_b32_e32 v14, 0x7fc0
	s_mov_b64 s[2:3], 0
	s_waitcnt vmcnt(0)
	v_lshlrev_b32_e32 v15, 23, v5
	v_cmp_ne_u32_e32 vcc, s16, v5
	v_cndmask_b32_e32 v8, v8, v15, vcc
	v_cmp_ne_u32_e32 vcc, 0, v5
	v_cndmask_b32_e32 v5, v10, v8, vcc
	v_add_u32_e32 v8, 0x7fff, v5
	v_cmp_o_f32_e32 vcc, v5, v5
	v_cndmask_b32_sdwa v14, v14, v8, vcc dst_sel:DWORD dst_unused:UNUSED_PAD src0_sel:DWORD src1_sel:WORD_1
	s_mov_b64 s[16:17], -1
	s_branch .LBB199_2164
.LBB199_2163:
	s_mov_b64 s[2:3], -1
                                        ; implicit-def: $vgpr14
.LBB199_2164:
	s_mov_b64 s[18:19], 0
.LBB199_2165:
	s_and_b64 vcc, exec, s[18:19]
	s_cbranch_vccz .LBB199_2169
; %bb.2166:
	s_cmp_eq_u32 s26, 29
	s_cbranch_scc0 .LBB199_2168
; %bb.2167:
	global_load_dwordx2 v[14:15], v[12:13], off
	s_movk_i32 s16, 0x7fff
	s_mov_b64 s[2:3], 0
	s_mov_b64 s[18:19], 0
	s_waitcnt vmcnt(0)
	v_ffbh_u32_e32 v5, v15
	v_min_u32_e32 v5, 32, v5
	v_lshlrev_b64 v[14:15], v5, v[14:15]
	v_sub_u32_e32 v5, 32, v5
	v_min_u32_e32 v8, 1, v14
	v_or_b32_e32 v8, v15, v8
	v_cvt_f32_u32_e32 v8, v8
	v_ldexp_f32 v5, v8, v5
	v_bfe_u32 v8, v5, 16, 1
	v_add3_u32 v5, v5, v8, s16
	v_lshrrev_b32_e32 v14, 16, v5
	s_mov_b64 s[16:17], -1
	s_branch .LBB199_2170
.LBB199_2168:
	s_mov_b64 s[2:3], -1
                                        ; implicit-def: $vgpr14
.LBB199_2169:
	s_mov_b64 s[18:19], 0
.LBB199_2170:
	s_and_b64 vcc, exec, s[18:19]
	s_cbranch_vccz .LBB199_2188
; %bb.2171:
	s_cmp_lt_i32 s26, 27
	s_cbranch_scc1 .LBB199_2174
; %bb.2172:
	s_cmp_gt_i32 s26, 27
	s_cbranch_scc0 .LBB199_2175
; %bb.2173:
	global_load_dword v5, v[12:13], off
	s_movk_i32 s16, 0x7fff
	s_waitcnt vmcnt(0)
	v_cvt_f32_u32_e32 v5, v5
	v_bfe_u32 v8, v5, 16, 1
	v_add3_u32 v5, v5, v8, s16
	v_lshrrev_b32_e32 v14, 16, v5
	s_mov_b64 s[16:17], 0
	s_branch .LBB199_2176
.LBB199_2174:
	s_mov_b64 s[16:17], -1
                                        ; implicit-def: $vgpr14
	s_branch .LBB199_2179
.LBB199_2175:
	s_mov_b64 s[16:17], -1
                                        ; implicit-def: $vgpr14
.LBB199_2176:
	s_andn2_b64 vcc, exec, s[16:17]
	s_cbranch_vccnz .LBB199_2178
; %bb.2177:
	global_load_ushort v5, v[12:13], off
	s_movk_i32 s16, 0x7fff
	s_waitcnt vmcnt(0)
	v_cvt_f32_u32_e32 v5, v5
	v_bfe_u32 v8, v5, 16, 1
	v_add3_u32 v5, v5, v8, s16
	v_lshrrev_b32_e32 v14, 16, v5
.LBB199_2178:
	s_mov_b64 s[16:17], 0
.LBB199_2179:
	s_andn2_b64 vcc, exec, s[16:17]
	s_cbranch_vccnz .LBB199_2187
; %bb.2180:
	global_load_ubyte v5, v[12:13], off
	s_movk_i32 s16, 0x7f
	s_waitcnt vmcnt(0)
	v_cmp_lt_i16_e32 vcc, s16, v5
	s_mov_b64 s[16:17], 0
	s_and_saveexec_b64 s[18:19], vcc
	s_xor_b64 s[18:19], exec, s[18:19]
	s_cbranch_execz .LBB199_2201
; %bb.2181:
	s_movk_i32 s16, 0x80
	v_cmp_eq_u16_e32 vcc, s16, v5
	s_mov_b64 s[16:17], -1
	s_and_saveexec_b64 s[20:21], vcc
; %bb.2182:
	s_xor_b64 s[16:17], exec, -1
; %bb.2183:
	s_or_b64 exec, exec, s[20:21]
	s_and_b64 s[16:17], s[16:17], exec
	s_or_saveexec_b64 s[18:19], s[18:19]
	v_mov_b32_e32 v8, 0x7f800001
	s_xor_b64 exec, exec, s[18:19]
	s_cbranch_execnz .LBB199_2202
.LBB199_2184:
	s_or_b64 exec, exec, s[18:19]
	s_and_saveexec_b64 s[18:19], s[16:17]
	s_cbranch_execz .LBB199_2186
.LBB199_2185:
	v_lshlrev_b32_e32 v8, 24, v5
	v_and_b32_e32 v5, 0xffff, v5
	v_and_b32_e32 v10, 7, v5
	v_ffbh_u32_e32 v15, v10
	v_min_u32_e32 v15, 32, v15
	v_subrev_u32_e32 v17, 28, v15
	v_bfe_u32 v14, v5, 3, 4
	v_lshlrev_b32_e32 v5, v17, v5
	v_sub_u32_e32 v15, 29, v15
	v_and_b32_e32 v5, 7, v5
	v_cmp_eq_u32_e32 vcc, 0, v14
	v_cndmask_b32_e32 v14, v14, v15, vcc
	v_cndmask_b32_e32 v5, v10, v5, vcc
	v_mov_b32_e32 v10, 0x3b800000
	v_lshlrev_b32_e32 v5, 20, v5
	v_and_b32_e32 v8, 0x80000000, v8
	v_lshl_add_u32 v10, v14, 23, v10
	v_or3_b32 v8, v8, v10, v5
.LBB199_2186:
	s_or_b64 exec, exec, s[18:19]
	v_bfe_u32 v5, v8, 16, 1
	s_movk_i32 s16, 0x7fff
	v_add3_u32 v5, v8, v5, s16
	v_cmp_o_f32_e32 vcc, v8, v8
	v_mov_b32_e32 v8, 0x7fc0
	v_cndmask_b32_sdwa v14, v8, v5, vcc dst_sel:DWORD dst_unused:UNUSED_PAD src0_sel:DWORD src1_sel:WORD_1
.LBB199_2187:
	s_mov_b64 s[16:17], -1
.LBB199_2188:
	s_mov_b64 s[18:19], 0
.LBB199_2189:
	s_and_b64 vcc, exec, s[18:19]
	s_cbranch_vccz .LBB199_2222
; %bb.2190:
	s_cmp_gt_i32 s26, 22
	s_cbranch_scc0 .LBB199_2200
; %bb.2191:
	s_cmp_lt_i32 s26, 24
	s_cbranch_scc1 .LBB199_2203
; %bb.2192:
	s_cmp_gt_i32 s26, 24
	s_cbranch_scc0 .LBB199_2204
; %bb.2193:
	global_load_ubyte v5, v[12:13], off
	s_movk_i32 s4, 0x7f
	s_waitcnt vmcnt(0)
	v_cmp_lt_i16_e32 vcc, s4, v5
	s_mov_b64 s[4:5], 0
	s_and_saveexec_b64 s[16:17], vcc
	s_xor_b64 s[16:17], exec, s[16:17]
	s_cbranch_execz .LBB199_2216
; %bb.2194:
	s_movk_i32 s4, 0x80
	v_cmp_eq_u16_e32 vcc, s4, v5
	s_mov_b64 s[4:5], -1
	s_and_saveexec_b64 s[18:19], vcc
; %bb.2195:
	s_xor_b64 s[4:5], exec, -1
; %bb.2196:
	s_or_b64 exec, exec, s[18:19]
	s_and_b64 s[4:5], s[4:5], exec
	s_or_saveexec_b64 s[16:17], s[16:17]
	v_mov_b32_e32 v8, 0x7f800001
	s_xor_b64 exec, exec, s[16:17]
	s_cbranch_execnz .LBB199_2217
.LBB199_2197:
	s_or_b64 exec, exec, s[16:17]
	s_and_saveexec_b64 s[16:17], s[4:5]
	s_cbranch_execz .LBB199_2199
.LBB199_2198:
	v_lshlrev_b32_e32 v8, 24, v5
	v_and_b32_e32 v5, 0xffff, v5
	v_and_b32_e32 v10, 3, v5
	v_ffbh_u32_e32 v15, v10
	v_min_u32_e32 v15, 32, v15
	v_subrev_u32_e32 v17, 29, v15
	v_bfe_u32 v14, v5, 2, 5
	v_lshlrev_b32_e32 v5, v17, v5
	v_sub_u32_e32 v15, 30, v15
	v_and_b32_e32 v5, 3, v5
	v_cmp_eq_u32_e32 vcc, 0, v14
	v_cndmask_b32_e32 v14, v14, v15, vcc
	v_cndmask_b32_e32 v5, v10, v5, vcc
	v_mov_b32_e32 v10, 0x37800000
	v_lshlrev_b32_e32 v5, 21, v5
	v_and_b32_e32 v8, 0x80000000, v8
	v_lshl_add_u32 v10, v14, 23, v10
	v_or3_b32 v8, v8, v10, v5
.LBB199_2199:
	s_or_b64 exec, exec, s[16:17]
	v_bfe_u32 v5, v8, 16, 1
	s_movk_i32 s4, 0x7fff
	v_add3_u32 v5, v8, v5, s4
	v_cmp_o_f32_e32 vcc, v8, v8
	v_mov_b32_e32 v8, 0x7fc0
	v_cndmask_b32_sdwa v14, v8, v5, vcc dst_sel:DWORD dst_unused:UNUSED_PAD src0_sel:DWORD src1_sel:WORD_1
	s_mov_b64 s[4:5], 0
	s_branch .LBB199_2205
.LBB199_2200:
	s_mov_b64 s[4:5], -1
                                        ; implicit-def: $vgpr14
	s_branch .LBB199_2211
.LBB199_2201:
	s_or_saveexec_b64 s[18:19], s[18:19]
	v_mov_b32_e32 v8, 0x7f800001
	s_xor_b64 exec, exec, s[18:19]
	s_cbranch_execz .LBB199_2184
.LBB199_2202:
	v_cmp_ne_u16_e32 vcc, 0, v5
	s_andn2_b64 s[16:17], s[16:17], exec
	s_and_b64 s[20:21], vcc, exec
	v_mov_b32_e32 v8, 0
	s_or_b64 s[16:17], s[16:17], s[20:21]
	s_or_b64 exec, exec, s[18:19]
	s_and_saveexec_b64 s[18:19], s[16:17]
	s_cbranch_execnz .LBB199_2185
	s_branch .LBB199_2186
.LBB199_2203:
	s_mov_b64 s[4:5], -1
                                        ; implicit-def: $vgpr14
	s_branch .LBB199_2208
.LBB199_2204:
	s_mov_b64 s[4:5], -1
                                        ; implicit-def: $vgpr14
.LBB199_2205:
	s_and_b64 vcc, exec, s[4:5]
	s_cbranch_vccz .LBB199_2207
; %bb.2206:
	global_load_ubyte v5, v[12:13], off
	s_mov_b32 s4, 0x7f800000
	s_brev_b32 s5, 1
	s_movk_i32 s16, 0x7fff
	s_waitcnt vmcnt(0)
	v_lshlrev_b32_e32 v5, 24, v5
	v_and_b32_e32 v8, 0x7f000000, v5
	v_ffbh_u32_e32 v10, v8
	v_min_u32_e32 v10, 32, v10
	v_sub_u32_e64 v10, v10, 4 clamp
	v_lshlrev_b32_e32 v15, v10, v8
	v_lshlrev_b32_e32 v10, 23, v10
	v_lshrrev_b32_e32 v15, 4, v15
	v_add_u32_e32 v14, 0x1000000, v8
	v_sub_u32_e32 v10, v15, v10
	v_ashrrev_i32_e32 v14, 8, v14
	v_add_u32_e32 v10, 0x3c000000, v10
	v_and_or_b32 v10, v14, s4, v10
	v_cmp_ne_u32_e32 vcc, 0, v8
	v_cndmask_b32_e32 v8, 0, v10, vcc
	v_and_or_b32 v5, v5, s5, v8
	v_bfe_u32 v8, v8, 16, 1
	v_add3_u32 v8, v5, v8, s16
	v_cmp_o_f32_e32 vcc, v5, v5
	v_mov_b32_e32 v5, 0x7fc0
	v_cndmask_b32_sdwa v14, v5, v8, vcc dst_sel:DWORD dst_unused:UNUSED_PAD src0_sel:DWORD src1_sel:WORD_1
.LBB199_2207:
	s_mov_b64 s[4:5], 0
.LBB199_2208:
	s_andn2_b64 vcc, exec, s[4:5]
	s_cbranch_vccnz .LBB199_2210
; %bb.2209:
	global_load_ubyte v5, v[12:13], off
	s_movk_i32 s4, 0x7f00
	s_brev_b32 s5, 16
	s_brev_b32 s16, 1
	s_movk_i32 s17, 0x7fff
	s_waitcnt vmcnt(0)
	v_lshlrev_b16_e32 v8, 8, v5
	v_lshlrev_b32_e32 v5, 25, v5
	v_lshrrev_b32_e32 v10, 4, v5
	v_and_or_b32 v14, v8, s4, 0.5
	v_or_b32_e32 v10, 0x70000000, v10
	v_add_f32_e32 v14, -0.5, v14
	v_mul_f32_e32 v10, 0x7800000, v10
	v_cmp_gt_u32_e32 vcc, s5, v5
	v_bfe_i32 v8, v8, 0, 16
	v_cndmask_b32_e32 v5, v10, v14, vcc
	v_and_or_b32 v8, v8, s16, v5
	v_bfe_u32 v5, v5, 16, 1
	v_add3_u32 v5, v8, v5, s17
	v_cmp_o_f32_e32 vcc, v8, v8
	v_mov_b32_e32 v8, 0x7fc0
	v_cndmask_b32_sdwa v14, v8, v5, vcc dst_sel:DWORD dst_unused:UNUSED_PAD src0_sel:DWORD src1_sel:WORD_1
.LBB199_2210:
	s_mov_b64 s[4:5], 0
	s_mov_b64 s[16:17], -1
.LBB199_2211:
	s_andn2_b64 vcc, exec, s[4:5]
	s_mov_b64 s[4:5], 0
	s_cbranch_vccnz .LBB199_2222
; %bb.2212:
	s_cmp_gt_i32 s26, 14
	s_cbranch_scc0 .LBB199_2215
; %bb.2213:
	s_cmp_eq_u32 s26, 15
	s_cbranch_scc0 .LBB199_2218
; %bb.2214:
	global_load_ushort v14, v[12:13], off
	s_mov_b64 s[2:3], 0
	s_mov_b64 s[16:17], -1
	s_branch .LBB199_2219
.LBB199_2215:
	s_mov_b64 s[18:19], -1
                                        ; implicit-def: $vgpr14
	s_branch .LBB199_2220
.LBB199_2216:
	s_or_saveexec_b64 s[16:17], s[16:17]
	v_mov_b32_e32 v8, 0x7f800001
	s_xor_b64 exec, exec, s[16:17]
	s_cbranch_execz .LBB199_2197
.LBB199_2217:
	v_cmp_ne_u16_e32 vcc, 0, v5
	s_andn2_b64 s[4:5], s[4:5], exec
	s_and_b64 s[18:19], vcc, exec
	v_mov_b32_e32 v8, 0
	s_or_b64 s[4:5], s[4:5], s[18:19]
	s_or_b64 exec, exec, s[16:17]
	s_and_saveexec_b64 s[16:17], s[4:5]
	s_cbranch_execnz .LBB199_2198
	s_branch .LBB199_2199
.LBB199_2218:
	s_mov_b64 s[2:3], -1
                                        ; implicit-def: $vgpr14
.LBB199_2219:
	s_mov_b64 s[18:19], 0
.LBB199_2220:
	s_and_b64 vcc, exec, s[18:19]
	s_cbranch_vccz .LBB199_2222
; %bb.2221:
	s_cmp_lg_u32 s26, 11
	s_mov_b64 s[4:5], -1
	s_cselect_b64 s[2:3], -1, 0
.LBB199_2222:
	s_and_b64 vcc, exec, s[2:3]
	s_cbranch_vccnz .LBB199_2287
; %bb.2223:
	s_andn2_b64 vcc, exec, s[4:5]
	s_cbranch_vccnz .LBB199_2225
.LBB199_2224:
	global_load_ubyte v5, v[12:13], off
	s_mov_b64 s[16:17], -1
	s_waitcnt vmcnt(0)
	v_cmp_ne_u16_e32 vcc, 0, v5
	v_cndmask_b32_e64 v5, 0, 1.0, vcc
	v_lshrrev_b32_e32 v14, 16, v5
.LBB199_2225:
	s_mov_b64 s[2:3], 0
.LBB199_2226:
	s_and_b64 vcc, exec, s[2:3]
	s_cbranch_vccz .LBB199_2275
; %bb.2227:
	s_and_b32 s4, 0xffff, s22
	s_cmp_lt_i32 s4, 5
	s_cbranch_scc1 .LBB199_2232
; %bb.2228:
	s_cmp_lt_i32 s4, 8
	s_cbranch_scc1 .LBB199_2233
; %bb.2229:
	;; [unrolled: 3-line block ×3, first 2 shown]
	s_cmp_gt_i32 s4, 9
	s_cbranch_scc0 .LBB199_2235
; %bb.2231:
	global_load_dwordx2 v[14:15], v[12:13], off
	s_movk_i32 s2, 0x7fff
	v_mov_b32_e32 v8, 0x7fc0
	s_waitcnt vmcnt(0)
	v_cvt_f32_f64_e32 v5, v[14:15]
	v_bfe_u32 v10, v5, 16, 1
	v_cmp_o_f32_e32 vcc, v5, v5
	v_add3_u32 v5, v5, v10, s2
	v_cndmask_b32_sdwa v14, v8, v5, vcc dst_sel:DWORD dst_unused:UNUSED_PAD src0_sel:DWORD src1_sel:WORD_1
	s_mov_b64 s[2:3], 0
	s_branch .LBB199_2236
.LBB199_2232:
	s_mov_b64 s[2:3], -1
                                        ; implicit-def: $vgpr14
	s_branch .LBB199_2254
.LBB199_2233:
	s_mov_b64 s[2:3], -1
                                        ; implicit-def: $vgpr14
	s_branch .LBB199_2242
.LBB199_2234:
	s_mov_b64 s[2:3], -1
                                        ; implicit-def: $vgpr14
	s_branch .LBB199_2239
.LBB199_2235:
	s_mov_b64 s[2:3], -1
                                        ; implicit-def: $vgpr14
.LBB199_2236:
	s_andn2_b64 vcc, exec, s[2:3]
	s_cbranch_vccnz .LBB199_2238
; %bb.2237:
	global_load_dword v5, v[12:13], off
	s_movk_i32 s2, 0x7fff
	v_mov_b32_e32 v8, 0x7fc0
	s_waitcnt vmcnt(0)
	v_bfe_u32 v10, v5, 16, 1
	v_cmp_o_f32_e32 vcc, v5, v5
	v_add3_u32 v5, v5, v10, s2
	v_cndmask_b32_sdwa v14, v8, v5, vcc dst_sel:DWORD dst_unused:UNUSED_PAD src0_sel:DWORD src1_sel:WORD_1
.LBB199_2238:
	s_mov_b64 s[2:3], 0
.LBB199_2239:
	s_andn2_b64 vcc, exec, s[2:3]
	s_cbranch_vccnz .LBB199_2241
; %bb.2240:
	global_load_dword v5, v[12:13], off
	s_movk_i32 s2, 0x7fff
	v_mov_b32_e32 v10, 0x7fc0
	s_waitcnt vmcnt(0)
	v_cvt_f32_f16_e32 v8, v5
	v_cmp_o_f16_e32 vcc, v5, v5
	v_bfe_u32 v5, v8, 16, 1
	v_add3_u32 v5, v8, v5, s2
	v_cndmask_b32_sdwa v14, v10, v5, vcc dst_sel:DWORD dst_unused:UNUSED_PAD src0_sel:DWORD src1_sel:WORD_1
.LBB199_2241:
	s_mov_b64 s[2:3], 0
.LBB199_2242:
	s_andn2_b64 vcc, exec, s[2:3]
	s_cbranch_vccnz .LBB199_2253
; %bb.2243:
	s_cmp_lt_i32 s4, 6
	s_cbranch_scc1 .LBB199_2246
; %bb.2244:
	s_cmp_gt_i32 s4, 6
	s_cbranch_scc0 .LBB199_2247
; %bb.2245:
	global_load_dwordx2 v[14:15], v[12:13], off
	s_movk_i32 s2, 0x7fff
	v_mov_b32_e32 v8, 0x7fc0
	s_waitcnt vmcnt(0)
	v_cvt_f32_f64_e32 v5, v[14:15]
	v_bfe_u32 v10, v5, 16, 1
	v_cmp_o_f32_e32 vcc, v5, v5
	v_add3_u32 v5, v5, v10, s2
	v_cndmask_b32_sdwa v14, v8, v5, vcc dst_sel:DWORD dst_unused:UNUSED_PAD src0_sel:DWORD src1_sel:WORD_1
	s_mov_b64 s[2:3], 0
	s_branch .LBB199_2248
.LBB199_2246:
	s_mov_b64 s[2:3], -1
                                        ; implicit-def: $vgpr14
	s_branch .LBB199_2251
.LBB199_2247:
	s_mov_b64 s[2:3], -1
                                        ; implicit-def: $vgpr14
.LBB199_2248:
	s_andn2_b64 vcc, exec, s[2:3]
	s_cbranch_vccnz .LBB199_2250
; %bb.2249:
	global_load_dword v5, v[12:13], off
	s_movk_i32 s2, 0x7fff
	v_mov_b32_e32 v8, 0x7fc0
	s_waitcnt vmcnt(0)
	v_bfe_u32 v10, v5, 16, 1
	v_cmp_o_f32_e32 vcc, v5, v5
	v_add3_u32 v5, v5, v10, s2
	v_cndmask_b32_sdwa v14, v8, v5, vcc dst_sel:DWORD dst_unused:UNUSED_PAD src0_sel:DWORD src1_sel:WORD_1
.LBB199_2250:
	s_mov_b64 s[2:3], 0
.LBB199_2251:
	s_andn2_b64 vcc, exec, s[2:3]
	s_cbranch_vccnz .LBB199_2253
; %bb.2252:
	global_load_ushort v5, v[12:13], off
	s_movk_i32 s2, 0x7fff
	v_mov_b32_e32 v10, 0x7fc0
	s_waitcnt vmcnt(0)
	v_cvt_f32_f16_e32 v8, v5
	v_cmp_o_f16_e32 vcc, v5, v5
	v_bfe_u32 v5, v8, 16, 1
	v_add3_u32 v5, v8, v5, s2
	v_cndmask_b32_sdwa v14, v10, v5, vcc dst_sel:DWORD dst_unused:UNUSED_PAD src0_sel:DWORD src1_sel:WORD_1
.LBB199_2253:
	s_mov_b64 s[2:3], 0
.LBB199_2254:
	s_andn2_b64 vcc, exec, s[2:3]
	s_cbranch_vccnz .LBB199_2274
; %bb.2255:
	s_cmp_lt_i32 s4, 2
	s_cbranch_scc1 .LBB199_2259
; %bb.2256:
	s_cmp_lt_i32 s4, 3
	s_cbranch_scc1 .LBB199_2260
; %bb.2257:
	s_cmp_gt_i32 s4, 3
	s_cbranch_scc0 .LBB199_2261
; %bb.2258:
	global_load_dwordx2 v[14:15], v[12:13], off
	s_movk_i32 s2, 0x7fff
	s_waitcnt vmcnt(0)
	v_xor_b32_e32 v8, v14, v15
	v_ffbh_i32_e32 v5, v15
	v_ashrrev_i32_e32 v8, 31, v8
	v_add_u32_e32 v5, -1, v5
	v_add_u32_e32 v8, 32, v8
	v_min_u32_e32 v5, v5, v8
	v_lshlrev_b64 v[14:15], v5, v[14:15]
	v_sub_u32_e32 v5, 32, v5
	v_min_u32_e32 v8, 1, v14
	v_or_b32_e32 v8, v15, v8
	v_cvt_f32_i32_e32 v8, v8
	v_ldexp_f32 v5, v8, v5
	v_bfe_u32 v8, v5, 16, 1
	v_add3_u32 v5, v5, v8, s2
	v_lshrrev_b32_e32 v14, 16, v5
	s_mov_b64 s[2:3], 0
	s_branch .LBB199_2262
.LBB199_2259:
	s_mov_b64 s[2:3], -1
                                        ; implicit-def: $vgpr14
	s_branch .LBB199_2268
.LBB199_2260:
	s_mov_b64 s[2:3], -1
                                        ; implicit-def: $vgpr14
	s_branch .LBB199_2265
.LBB199_2261:
	s_mov_b64 s[2:3], -1
                                        ; implicit-def: $vgpr14
.LBB199_2262:
	s_andn2_b64 vcc, exec, s[2:3]
	s_cbranch_vccnz .LBB199_2264
; %bb.2263:
	global_load_dword v5, v[12:13], off
	s_movk_i32 s2, 0x7fff
	s_waitcnt vmcnt(0)
	v_cvt_f32_i32_e32 v5, v5
	v_bfe_u32 v8, v5, 16, 1
	v_add3_u32 v5, v5, v8, s2
	v_lshrrev_b32_e32 v14, 16, v5
.LBB199_2264:
	s_mov_b64 s[2:3], 0
.LBB199_2265:
	s_andn2_b64 vcc, exec, s[2:3]
	s_cbranch_vccnz .LBB199_2267
; %bb.2266:
	global_load_sshort v5, v[12:13], off
	s_movk_i32 s2, 0x7fff
	s_waitcnt vmcnt(0)
	v_cvt_f32_i32_e32 v5, v5
	v_bfe_u32 v8, v5, 16, 1
	v_add3_u32 v5, v5, v8, s2
	v_lshrrev_b32_e32 v14, 16, v5
.LBB199_2267:
	s_mov_b64 s[2:3], 0
.LBB199_2268:
	s_andn2_b64 vcc, exec, s[2:3]
	s_cbranch_vccnz .LBB199_2274
; %bb.2269:
	s_cmp_gt_i32 s4, 0
	s_cbranch_scc0 .LBB199_2271
; %bb.2270:
	global_load_sbyte v5, v[12:13], off
	s_movk_i32 s2, 0x7fff
	s_waitcnt vmcnt(0)
	v_cvt_f32_i32_e32 v5, v5
	v_bfe_u32 v8, v5, 16, 1
	v_add3_u32 v5, v5, v8, s2
	v_lshrrev_b32_e32 v14, 16, v5
	s_mov_b64 s[2:3], 0
	s_branch .LBB199_2272
.LBB199_2271:
	s_mov_b64 s[2:3], -1
                                        ; implicit-def: $vgpr14
.LBB199_2272:
	s_andn2_b64 vcc, exec, s[2:3]
	s_cbranch_vccnz .LBB199_2274
; %bb.2273:
	global_load_ubyte v5, v[12:13], off
	s_movk_i32 s2, 0x7fff
	s_waitcnt vmcnt(0)
	v_cvt_f32_ubyte0_e32 v5, v5
	v_bfe_u32 v8, v5, 16, 1
	v_add3_u32 v5, v5, v8, s2
	v_lshrrev_b32_e32 v14, 16, v5
.LBB199_2274:
	s_mov_b64 s[16:17], -1
.LBB199_2275:
	s_andn2_b64 vcc, exec, s[16:17]
	s_cbranch_vccnz .LBB199_3101
; %bb.2276:
	v_mov_b32_e32 v5, s1
	v_add_co_u32_e32 v10, vcc, s0, v11
	s_cmp_lt_i32 s23, 11
	v_addc_co_u32_e32 v11, vcc, 0, v5, vcc
	s_cbranch_scc1 .LBB199_2283
; %bb.2277:
	s_and_b32 s26, 0xffff, s23
	s_cmp_gt_i32 s26, 25
	s_mov_b64 s[4:5], 0
	s_cbranch_scc0 .LBB199_2284
; %bb.2278:
	s_cmp_gt_i32 s26, 28
	s_cbranch_scc0 .LBB199_2285
; %bb.2279:
	s_cmp_gt_i32 s26, 43
	;; [unrolled: 3-line block ×3, first 2 shown]
	s_cbranch_scc0 .LBB199_2288
; %bb.2281:
	s_cmp_eq_u32 s26, 46
	s_mov_b64 s[18:19], 0
	s_cbranch_scc0 .LBB199_2291
; %bb.2282:
	global_load_dword v12, v[10:11], off
	s_mov_b64 s[2:3], 0
	s_mov_b64 s[16:17], -1
	s_branch .LBB199_2292
.LBB199_2283:
	s_mov_b64 s[2:3], -1
	s_mov_b64 s[16:17], 0
                                        ; implicit-def: $vgpr12
	s_branch .LBB199_2358
.LBB199_2284:
	s_mov_b64 s[18:19], -1
	s_mov_b64 s[16:17], 0
	s_mov_b64 s[2:3], 0
                                        ; implicit-def: $vgpr12
	s_branch .LBB199_2321
.LBB199_2285:
	s_mov_b64 s[18:19], -1
	s_mov_b64 s[16:17], 0
	s_mov_b64 s[2:3], 0
                                        ; implicit-def: $vgpr12
	s_branch .LBB199_2302
.LBB199_2286:
	s_mov_b64 s[18:19], -1
	s_mov_b64 s[16:17], 0
	s_mov_b64 s[2:3], 0
                                        ; implicit-def: $vgpr12
	s_branch .LBB199_2297
.LBB199_2287:
	s_trap 2
	s_or_b64 s[14:15], s[14:15], exec
	s_cbranch_execz .LBB199_2224
	s_branch .LBB199_2225
.LBB199_2288:
	s_mov_b64 s[18:19], -1
	s_mov_b64 s[16:17], 0
	s_mov_b64 s[2:3], 0
                                        ; implicit-def: $vgpr12
	s_branch .LBB199_2292
.LBB199_2289:
	s_andn2_saveexec_b64 s[68:69], s[68:69]
	s_cbranch_execz .LBB199_1119
.LBB199_2290:
	v_add_f32_e32 v2, 0x42800000, v3
	v_and_b32_e32 v2, 0xff, v2
	v_cmp_ne_u32_e32 vcc, 0, v2
	s_andn2_b64 s[66:67], s[66:67], exec
	s_and_b64 s[76:77], vcc, exec
	s_or_b64 s[66:67], s[66:67], s[76:77]
	s_or_b64 exec, exec, s[68:69]
	v_mov_b32_e32 v4, 0
	s_and_saveexec_b64 s[68:69], s[66:67]
	s_cbranch_execnz .LBB199_1120
	s_branch .LBB199_1121
.LBB199_2291:
	s_mov_b64 s[2:3], -1
                                        ; implicit-def: $vgpr12
	s_mov_b64 s[16:17], 0
.LBB199_2292:
	s_and_b64 vcc, exec, s[18:19]
	s_cbranch_vccz .LBB199_2296
; %bb.2293:
	s_cmp_eq_u32 s26, 44
	s_cbranch_scc0 .LBB199_2295
; %bb.2294:
	global_load_ubyte v5, v[10:11], off
	s_movk_i32 s16, 0xff
	v_mov_b32_e32 v8, 0x7f800001
	s_waitcnt vmcnt(1)
	v_mov_b32_e32 v12, 0x400000
	v_mov_b32_e32 v13, 0x7fc0
	s_mov_b64 s[2:3], 0
	s_waitcnt vmcnt(0)
	v_lshlrev_b32_e32 v15, 23, v5
	v_cmp_ne_u32_e32 vcc, s16, v5
	v_cndmask_b32_e32 v8, v8, v15, vcc
	v_cmp_ne_u32_e32 vcc, 0, v5
	v_cndmask_b32_e32 v5, v12, v8, vcc
	v_add_u32_e32 v8, 0x7fff, v5
	v_cmp_o_f32_e32 vcc, v5, v5
	v_cndmask_b32_sdwa v12, v13, v8, vcc dst_sel:DWORD dst_unused:UNUSED_PAD src0_sel:DWORD src1_sel:WORD_1
	s_mov_b64 s[16:17], -1
	s_branch .LBB199_2296
.LBB199_2295:
	s_mov_b64 s[2:3], -1
                                        ; implicit-def: $vgpr12
.LBB199_2296:
	s_mov_b64 s[18:19], 0
.LBB199_2297:
	s_and_b64 vcc, exec, s[18:19]
	s_cbranch_vccz .LBB199_2301
; %bb.2298:
	s_cmp_eq_u32 s26, 29
	s_cbranch_scc0 .LBB199_2300
; %bb.2299:
	global_load_dwordx2 v[12:13], v[10:11], off
	s_movk_i32 s16, 0x7fff
	s_mov_b64 s[2:3], 0
	s_mov_b64 s[18:19], 0
	s_waitcnt vmcnt(0)
	v_ffbh_u32_e32 v5, v13
	v_min_u32_e32 v5, 32, v5
	v_lshlrev_b64 v[12:13], v5, v[12:13]
	v_sub_u32_e32 v5, 32, v5
	v_min_u32_e32 v8, 1, v12
	v_or_b32_e32 v8, v13, v8
	v_cvt_f32_u32_e32 v8, v8
	v_ldexp_f32 v5, v8, v5
	v_bfe_u32 v8, v5, 16, 1
	v_add3_u32 v5, v5, v8, s16
	v_lshrrev_b32_e32 v12, 16, v5
	s_mov_b64 s[16:17], -1
	s_branch .LBB199_2302
.LBB199_2300:
	s_mov_b64 s[2:3], -1
                                        ; implicit-def: $vgpr12
.LBB199_2301:
	s_mov_b64 s[18:19], 0
.LBB199_2302:
	s_and_b64 vcc, exec, s[18:19]
	s_cbranch_vccz .LBB199_2320
; %bb.2303:
	s_cmp_lt_i32 s26, 27
	s_cbranch_scc1 .LBB199_2306
; %bb.2304:
	s_cmp_gt_i32 s26, 27
	s_cbranch_scc0 .LBB199_2307
; %bb.2305:
	global_load_dword v5, v[10:11], off
	s_movk_i32 s16, 0x7fff
	s_waitcnt vmcnt(0)
	v_cvt_f32_u32_e32 v5, v5
	v_bfe_u32 v8, v5, 16, 1
	v_add3_u32 v5, v5, v8, s16
	v_lshrrev_b32_e32 v12, 16, v5
	s_mov_b64 s[16:17], 0
	s_branch .LBB199_2308
.LBB199_2306:
	s_mov_b64 s[16:17], -1
                                        ; implicit-def: $vgpr12
	s_branch .LBB199_2311
.LBB199_2307:
	s_mov_b64 s[16:17], -1
                                        ; implicit-def: $vgpr12
.LBB199_2308:
	s_andn2_b64 vcc, exec, s[16:17]
	s_cbranch_vccnz .LBB199_2310
; %bb.2309:
	global_load_ushort v5, v[10:11], off
	s_movk_i32 s16, 0x7fff
	s_waitcnt vmcnt(0)
	v_cvt_f32_u32_e32 v5, v5
	v_bfe_u32 v8, v5, 16, 1
	v_add3_u32 v5, v5, v8, s16
	v_lshrrev_b32_e32 v12, 16, v5
.LBB199_2310:
	s_mov_b64 s[16:17], 0
.LBB199_2311:
	s_andn2_b64 vcc, exec, s[16:17]
	s_cbranch_vccnz .LBB199_2319
; %bb.2312:
	global_load_ubyte v5, v[10:11], off
	s_movk_i32 s16, 0x7f
	s_waitcnt vmcnt(0)
	v_cmp_lt_i16_e32 vcc, s16, v5
	s_mov_b64 s[16:17], 0
	s_and_saveexec_b64 s[18:19], vcc
	s_xor_b64 s[18:19], exec, s[18:19]
	s_cbranch_execz .LBB199_2333
; %bb.2313:
	s_movk_i32 s16, 0x80
	v_cmp_eq_u16_e32 vcc, s16, v5
	s_mov_b64 s[16:17], -1
	s_and_saveexec_b64 s[20:21], vcc
; %bb.2314:
	s_xor_b64 s[16:17], exec, -1
; %bb.2315:
	s_or_b64 exec, exec, s[20:21]
	s_and_b64 s[16:17], s[16:17], exec
	s_or_saveexec_b64 s[18:19], s[18:19]
	v_mov_b32_e32 v8, 0x7f800001
	s_xor_b64 exec, exec, s[18:19]
	s_cbranch_execnz .LBB199_2334
.LBB199_2316:
	s_or_b64 exec, exec, s[18:19]
	s_and_saveexec_b64 s[18:19], s[16:17]
	s_cbranch_execz .LBB199_2318
.LBB199_2317:
	v_lshlrev_b32_e32 v8, 24, v5
	v_and_b32_e32 v5, 0xffff, v5
	v_and_b32_e32 v12, 7, v5
	v_ffbh_u32_e32 v15, v12
	v_min_u32_e32 v15, 32, v15
	v_subrev_u32_e32 v17, 28, v15
	v_bfe_u32 v13, v5, 3, 4
	v_lshlrev_b32_e32 v5, v17, v5
	v_sub_u32_e32 v15, 29, v15
	v_and_b32_e32 v5, 7, v5
	v_cmp_eq_u32_e32 vcc, 0, v13
	v_cndmask_b32_e32 v13, v13, v15, vcc
	v_cndmask_b32_e32 v5, v12, v5, vcc
	v_mov_b32_e32 v12, 0x3b800000
	v_lshlrev_b32_e32 v5, 20, v5
	v_and_b32_e32 v8, 0x80000000, v8
	v_lshl_add_u32 v12, v13, 23, v12
	v_or3_b32 v8, v8, v12, v5
.LBB199_2318:
	s_or_b64 exec, exec, s[18:19]
	v_bfe_u32 v5, v8, 16, 1
	s_movk_i32 s16, 0x7fff
	v_add3_u32 v5, v8, v5, s16
	v_cmp_o_f32_e32 vcc, v8, v8
	v_mov_b32_e32 v8, 0x7fc0
	v_cndmask_b32_sdwa v12, v8, v5, vcc dst_sel:DWORD dst_unused:UNUSED_PAD src0_sel:DWORD src1_sel:WORD_1
.LBB199_2319:
	s_mov_b64 s[16:17], -1
.LBB199_2320:
	s_mov_b64 s[18:19], 0
.LBB199_2321:
	s_and_b64 vcc, exec, s[18:19]
	s_cbranch_vccz .LBB199_2354
; %bb.2322:
	s_cmp_gt_i32 s26, 22
	s_cbranch_scc0 .LBB199_2332
; %bb.2323:
	s_cmp_lt_i32 s26, 24
	s_cbranch_scc1 .LBB199_2335
; %bb.2324:
	s_cmp_gt_i32 s26, 24
	s_cbranch_scc0 .LBB199_2336
; %bb.2325:
	global_load_ubyte v5, v[10:11], off
	s_movk_i32 s4, 0x7f
	s_waitcnt vmcnt(0)
	v_cmp_lt_i16_e32 vcc, s4, v5
	s_mov_b64 s[4:5], 0
	s_and_saveexec_b64 s[16:17], vcc
	s_xor_b64 s[16:17], exec, s[16:17]
	s_cbranch_execz .LBB199_2348
; %bb.2326:
	s_movk_i32 s4, 0x80
	v_cmp_eq_u16_e32 vcc, s4, v5
	s_mov_b64 s[4:5], -1
	s_and_saveexec_b64 s[18:19], vcc
; %bb.2327:
	s_xor_b64 s[4:5], exec, -1
; %bb.2328:
	s_or_b64 exec, exec, s[18:19]
	s_and_b64 s[4:5], s[4:5], exec
	s_or_saveexec_b64 s[16:17], s[16:17]
	v_mov_b32_e32 v8, 0x7f800001
	s_xor_b64 exec, exec, s[16:17]
	s_cbranch_execnz .LBB199_2349
.LBB199_2329:
	s_or_b64 exec, exec, s[16:17]
	s_and_saveexec_b64 s[16:17], s[4:5]
	s_cbranch_execz .LBB199_2331
.LBB199_2330:
	v_lshlrev_b32_e32 v8, 24, v5
	v_and_b32_e32 v5, 0xffff, v5
	v_and_b32_e32 v12, 3, v5
	v_ffbh_u32_e32 v15, v12
	v_min_u32_e32 v15, 32, v15
	v_subrev_u32_e32 v17, 29, v15
	v_bfe_u32 v13, v5, 2, 5
	v_lshlrev_b32_e32 v5, v17, v5
	v_sub_u32_e32 v15, 30, v15
	v_and_b32_e32 v5, 3, v5
	v_cmp_eq_u32_e32 vcc, 0, v13
	v_cndmask_b32_e32 v13, v13, v15, vcc
	v_cndmask_b32_e32 v5, v12, v5, vcc
	v_mov_b32_e32 v12, 0x37800000
	v_lshlrev_b32_e32 v5, 21, v5
	v_and_b32_e32 v8, 0x80000000, v8
	v_lshl_add_u32 v12, v13, 23, v12
	v_or3_b32 v8, v8, v12, v5
.LBB199_2331:
	s_or_b64 exec, exec, s[16:17]
	v_bfe_u32 v5, v8, 16, 1
	s_movk_i32 s4, 0x7fff
	v_add3_u32 v5, v8, v5, s4
	v_cmp_o_f32_e32 vcc, v8, v8
	v_mov_b32_e32 v8, 0x7fc0
	v_cndmask_b32_sdwa v12, v8, v5, vcc dst_sel:DWORD dst_unused:UNUSED_PAD src0_sel:DWORD src1_sel:WORD_1
	s_mov_b64 s[4:5], 0
	s_branch .LBB199_2337
.LBB199_2332:
	s_mov_b64 s[4:5], -1
                                        ; implicit-def: $vgpr12
	s_branch .LBB199_2343
.LBB199_2333:
	s_or_saveexec_b64 s[18:19], s[18:19]
	v_mov_b32_e32 v8, 0x7f800001
	s_xor_b64 exec, exec, s[18:19]
	s_cbranch_execz .LBB199_2316
.LBB199_2334:
	v_cmp_ne_u16_e32 vcc, 0, v5
	s_andn2_b64 s[16:17], s[16:17], exec
	s_and_b64 s[20:21], vcc, exec
	v_mov_b32_e32 v8, 0
	s_or_b64 s[16:17], s[16:17], s[20:21]
	s_or_b64 exec, exec, s[18:19]
	s_and_saveexec_b64 s[18:19], s[16:17]
	s_cbranch_execnz .LBB199_2317
	s_branch .LBB199_2318
.LBB199_2335:
	s_mov_b64 s[4:5], -1
                                        ; implicit-def: $vgpr12
	s_branch .LBB199_2340
.LBB199_2336:
	s_mov_b64 s[4:5], -1
                                        ; implicit-def: $vgpr12
.LBB199_2337:
	s_and_b64 vcc, exec, s[4:5]
	s_cbranch_vccz .LBB199_2339
; %bb.2338:
	global_load_ubyte v5, v[10:11], off
	s_mov_b32 s4, 0x7f800000
	s_brev_b32 s5, 1
	s_movk_i32 s16, 0x7fff
	s_waitcnt vmcnt(0)
	v_lshlrev_b32_e32 v5, 24, v5
	v_and_b32_e32 v8, 0x7f000000, v5
	v_ffbh_u32_e32 v12, v8
	v_min_u32_e32 v12, 32, v12
	v_sub_u32_e64 v12, v12, 4 clamp
	v_lshlrev_b32_e32 v15, v12, v8
	v_lshlrev_b32_e32 v12, 23, v12
	v_lshrrev_b32_e32 v15, 4, v15
	v_add_u32_e32 v13, 0x1000000, v8
	v_sub_u32_e32 v12, v15, v12
	v_ashrrev_i32_e32 v13, 8, v13
	v_add_u32_e32 v12, 0x3c000000, v12
	v_and_or_b32 v12, v13, s4, v12
	v_cmp_ne_u32_e32 vcc, 0, v8
	v_cndmask_b32_e32 v8, 0, v12, vcc
	v_and_or_b32 v5, v5, s5, v8
	v_bfe_u32 v8, v8, 16, 1
	v_add3_u32 v8, v5, v8, s16
	v_cmp_o_f32_e32 vcc, v5, v5
	v_mov_b32_e32 v5, 0x7fc0
	v_cndmask_b32_sdwa v12, v5, v8, vcc dst_sel:DWORD dst_unused:UNUSED_PAD src0_sel:DWORD src1_sel:WORD_1
.LBB199_2339:
	s_mov_b64 s[4:5], 0
.LBB199_2340:
	s_andn2_b64 vcc, exec, s[4:5]
	s_cbranch_vccnz .LBB199_2342
; %bb.2341:
	global_load_ubyte v5, v[10:11], off
	s_movk_i32 s4, 0x7f00
	s_brev_b32 s5, 16
	s_brev_b32 s16, 1
	s_movk_i32 s17, 0x7fff
	s_waitcnt vmcnt(0)
	v_lshlrev_b16_e32 v8, 8, v5
	v_lshlrev_b32_e32 v5, 25, v5
	v_lshrrev_b32_e32 v12, 4, v5
	v_and_or_b32 v13, v8, s4, 0.5
	v_or_b32_e32 v12, 0x70000000, v12
	v_add_f32_e32 v13, -0.5, v13
	v_mul_f32_e32 v12, 0x7800000, v12
	v_cmp_gt_u32_e32 vcc, s5, v5
	v_bfe_i32 v8, v8, 0, 16
	v_cndmask_b32_e32 v5, v12, v13, vcc
	v_and_or_b32 v8, v8, s16, v5
	v_bfe_u32 v5, v5, 16, 1
	v_add3_u32 v5, v8, v5, s17
	v_cmp_o_f32_e32 vcc, v8, v8
	v_mov_b32_e32 v8, 0x7fc0
	v_cndmask_b32_sdwa v12, v8, v5, vcc dst_sel:DWORD dst_unused:UNUSED_PAD src0_sel:DWORD src1_sel:WORD_1
.LBB199_2342:
	s_mov_b64 s[4:5], 0
	s_mov_b64 s[16:17], -1
.LBB199_2343:
	s_andn2_b64 vcc, exec, s[4:5]
	s_mov_b64 s[4:5], 0
	s_cbranch_vccnz .LBB199_2354
; %bb.2344:
	s_cmp_gt_i32 s26, 14
	s_cbranch_scc0 .LBB199_2347
; %bb.2345:
	s_cmp_eq_u32 s26, 15
	s_cbranch_scc0 .LBB199_2350
; %bb.2346:
	global_load_ushort v12, v[10:11], off
	s_mov_b64 s[2:3], 0
	s_mov_b64 s[16:17], -1
	s_branch .LBB199_2351
.LBB199_2347:
	s_mov_b64 s[18:19], -1
                                        ; implicit-def: $vgpr12
	s_branch .LBB199_2352
.LBB199_2348:
	s_or_saveexec_b64 s[16:17], s[16:17]
	v_mov_b32_e32 v8, 0x7f800001
	s_xor_b64 exec, exec, s[16:17]
	s_cbranch_execz .LBB199_2329
.LBB199_2349:
	v_cmp_ne_u16_e32 vcc, 0, v5
	s_andn2_b64 s[4:5], s[4:5], exec
	s_and_b64 s[18:19], vcc, exec
	v_mov_b32_e32 v8, 0
	s_or_b64 s[4:5], s[4:5], s[18:19]
	s_or_b64 exec, exec, s[16:17]
	s_and_saveexec_b64 s[16:17], s[4:5]
	s_cbranch_execnz .LBB199_2330
	s_branch .LBB199_2331
.LBB199_2350:
	s_mov_b64 s[2:3], -1
                                        ; implicit-def: $vgpr12
.LBB199_2351:
	s_mov_b64 s[18:19], 0
.LBB199_2352:
	s_and_b64 vcc, exec, s[18:19]
	s_cbranch_vccz .LBB199_2354
; %bb.2353:
	s_cmp_lg_u32 s26, 11
	s_mov_b64 s[4:5], -1
	s_cselect_b64 s[2:3], -1, 0
.LBB199_2354:
	s_and_b64 vcc, exec, s[2:3]
	s_cbranch_vccnz .LBB199_2419
; %bb.2355:
	s_andn2_b64 vcc, exec, s[4:5]
	s_cbranch_vccnz .LBB199_2357
.LBB199_2356:
	global_load_ubyte v5, v[10:11], off
	s_mov_b64 s[16:17], -1
	s_waitcnt vmcnt(0)
	v_cmp_ne_u16_e32 vcc, 0, v5
	v_cndmask_b32_e64 v5, 0, 1.0, vcc
	v_lshrrev_b32_e32 v12, 16, v5
.LBB199_2357:
	s_mov_b64 s[2:3], 0
.LBB199_2358:
	s_and_b64 vcc, exec, s[2:3]
	s_cbranch_vccz .LBB199_2407
; %bb.2359:
	s_and_b32 s4, 0xffff, s23
	s_cmp_lt_i32 s4, 5
	s_cbranch_scc1 .LBB199_2364
; %bb.2360:
	s_cmp_lt_i32 s4, 8
	s_cbranch_scc1 .LBB199_2365
; %bb.2361:
	;; [unrolled: 3-line block ×3, first 2 shown]
	s_cmp_gt_i32 s4, 9
	s_cbranch_scc0 .LBB199_2367
; %bb.2363:
	global_load_dwordx2 v[12:13], v[10:11], off
	s_movk_i32 s2, 0x7fff
	v_mov_b32_e32 v8, 0x7fc0
	s_waitcnt vmcnt(0)
	v_cvt_f32_f64_e32 v5, v[12:13]
	v_bfe_u32 v12, v5, 16, 1
	v_cmp_o_f32_e32 vcc, v5, v5
	v_add3_u32 v5, v5, v12, s2
	v_cndmask_b32_sdwa v12, v8, v5, vcc dst_sel:DWORD dst_unused:UNUSED_PAD src0_sel:DWORD src1_sel:WORD_1
	s_mov_b64 s[2:3], 0
	s_branch .LBB199_2368
.LBB199_2364:
	s_mov_b64 s[2:3], -1
                                        ; implicit-def: $vgpr12
	s_branch .LBB199_2386
.LBB199_2365:
	s_mov_b64 s[2:3], -1
                                        ; implicit-def: $vgpr12
	s_branch .LBB199_2374
.LBB199_2366:
	s_mov_b64 s[2:3], -1
                                        ; implicit-def: $vgpr12
	s_branch .LBB199_2371
.LBB199_2367:
	s_mov_b64 s[2:3], -1
                                        ; implicit-def: $vgpr12
.LBB199_2368:
	s_andn2_b64 vcc, exec, s[2:3]
	s_cbranch_vccnz .LBB199_2370
; %bb.2369:
	global_load_dword v5, v[10:11], off
	s_movk_i32 s2, 0x7fff
	v_mov_b32_e32 v8, 0x7fc0
	s_waitcnt vmcnt(0)
	v_bfe_u32 v12, v5, 16, 1
	v_cmp_o_f32_e32 vcc, v5, v5
	v_add3_u32 v5, v5, v12, s2
	v_cndmask_b32_sdwa v12, v8, v5, vcc dst_sel:DWORD dst_unused:UNUSED_PAD src0_sel:DWORD src1_sel:WORD_1
.LBB199_2370:
	s_mov_b64 s[2:3], 0
.LBB199_2371:
	s_andn2_b64 vcc, exec, s[2:3]
	s_cbranch_vccnz .LBB199_2373
; %bb.2372:
	global_load_dword v5, v[10:11], off
	s_movk_i32 s2, 0x7fff
	s_waitcnt vmcnt(1)
	v_mov_b32_e32 v12, 0x7fc0
	s_waitcnt vmcnt(0)
	v_cvt_f32_f16_e32 v8, v5
	v_cmp_o_f16_e32 vcc, v5, v5
	v_bfe_u32 v5, v8, 16, 1
	v_add3_u32 v5, v8, v5, s2
	v_cndmask_b32_sdwa v12, v12, v5, vcc dst_sel:DWORD dst_unused:UNUSED_PAD src0_sel:DWORD src1_sel:WORD_1
.LBB199_2373:
	s_mov_b64 s[2:3], 0
.LBB199_2374:
	s_andn2_b64 vcc, exec, s[2:3]
	s_cbranch_vccnz .LBB199_2385
; %bb.2375:
	s_cmp_lt_i32 s4, 6
	s_cbranch_scc1 .LBB199_2378
; %bb.2376:
	s_cmp_gt_i32 s4, 6
	s_cbranch_scc0 .LBB199_2379
; %bb.2377:
	global_load_dwordx2 v[12:13], v[10:11], off
	s_movk_i32 s2, 0x7fff
	v_mov_b32_e32 v8, 0x7fc0
	s_waitcnt vmcnt(0)
	v_cvt_f32_f64_e32 v5, v[12:13]
	v_bfe_u32 v12, v5, 16, 1
	v_cmp_o_f32_e32 vcc, v5, v5
	v_add3_u32 v5, v5, v12, s2
	v_cndmask_b32_sdwa v12, v8, v5, vcc dst_sel:DWORD dst_unused:UNUSED_PAD src0_sel:DWORD src1_sel:WORD_1
	s_mov_b64 s[2:3], 0
	s_branch .LBB199_2380
.LBB199_2378:
	s_mov_b64 s[2:3], -1
                                        ; implicit-def: $vgpr12
	s_branch .LBB199_2383
.LBB199_2379:
	s_mov_b64 s[2:3], -1
                                        ; implicit-def: $vgpr12
.LBB199_2380:
	s_andn2_b64 vcc, exec, s[2:3]
	s_cbranch_vccnz .LBB199_2382
; %bb.2381:
	global_load_dword v5, v[10:11], off
	s_movk_i32 s2, 0x7fff
	v_mov_b32_e32 v8, 0x7fc0
	s_waitcnt vmcnt(0)
	v_bfe_u32 v12, v5, 16, 1
	v_cmp_o_f32_e32 vcc, v5, v5
	v_add3_u32 v5, v5, v12, s2
	v_cndmask_b32_sdwa v12, v8, v5, vcc dst_sel:DWORD dst_unused:UNUSED_PAD src0_sel:DWORD src1_sel:WORD_1
.LBB199_2382:
	s_mov_b64 s[2:3], 0
.LBB199_2383:
	s_andn2_b64 vcc, exec, s[2:3]
	s_cbranch_vccnz .LBB199_2385
; %bb.2384:
	global_load_ushort v5, v[10:11], off
	s_movk_i32 s2, 0x7fff
	s_waitcnt vmcnt(1)
	v_mov_b32_e32 v12, 0x7fc0
	s_waitcnt vmcnt(0)
	v_cvt_f32_f16_e32 v8, v5
	v_cmp_o_f16_e32 vcc, v5, v5
	v_bfe_u32 v5, v8, 16, 1
	v_add3_u32 v5, v8, v5, s2
	v_cndmask_b32_sdwa v12, v12, v5, vcc dst_sel:DWORD dst_unused:UNUSED_PAD src0_sel:DWORD src1_sel:WORD_1
.LBB199_2385:
	s_mov_b64 s[2:3], 0
.LBB199_2386:
	s_andn2_b64 vcc, exec, s[2:3]
	s_cbranch_vccnz .LBB199_2406
; %bb.2387:
	s_cmp_lt_i32 s4, 2
	s_cbranch_scc1 .LBB199_2391
; %bb.2388:
	s_cmp_lt_i32 s4, 3
	s_cbranch_scc1 .LBB199_2392
; %bb.2389:
	s_cmp_gt_i32 s4, 3
	s_cbranch_scc0 .LBB199_2393
; %bb.2390:
	global_load_dwordx2 v[12:13], v[10:11], off
	s_movk_i32 s2, 0x7fff
	s_waitcnt vmcnt(0)
	v_xor_b32_e32 v8, v12, v13
	v_ffbh_i32_e32 v5, v13
	v_ashrrev_i32_e32 v8, 31, v8
	v_add_u32_e32 v5, -1, v5
	v_add_u32_e32 v8, 32, v8
	v_min_u32_e32 v5, v5, v8
	v_lshlrev_b64 v[12:13], v5, v[12:13]
	v_sub_u32_e32 v5, 32, v5
	v_min_u32_e32 v8, 1, v12
	v_or_b32_e32 v8, v13, v8
	v_cvt_f32_i32_e32 v8, v8
	v_ldexp_f32 v5, v8, v5
	v_bfe_u32 v8, v5, 16, 1
	v_add3_u32 v5, v5, v8, s2
	v_lshrrev_b32_e32 v12, 16, v5
	s_mov_b64 s[2:3], 0
	s_branch .LBB199_2394
.LBB199_2391:
	s_mov_b64 s[2:3], -1
                                        ; implicit-def: $vgpr12
	s_branch .LBB199_2400
.LBB199_2392:
	s_mov_b64 s[2:3], -1
                                        ; implicit-def: $vgpr12
	s_branch .LBB199_2397
.LBB199_2393:
	s_mov_b64 s[2:3], -1
                                        ; implicit-def: $vgpr12
.LBB199_2394:
	s_andn2_b64 vcc, exec, s[2:3]
	s_cbranch_vccnz .LBB199_2396
; %bb.2395:
	global_load_dword v5, v[10:11], off
	s_movk_i32 s2, 0x7fff
	s_waitcnt vmcnt(0)
	v_cvt_f32_i32_e32 v5, v5
	v_bfe_u32 v8, v5, 16, 1
	v_add3_u32 v5, v5, v8, s2
	v_lshrrev_b32_e32 v12, 16, v5
.LBB199_2396:
	s_mov_b64 s[2:3], 0
.LBB199_2397:
	s_andn2_b64 vcc, exec, s[2:3]
	s_cbranch_vccnz .LBB199_2399
; %bb.2398:
	global_load_sshort v5, v[10:11], off
	s_movk_i32 s2, 0x7fff
	s_waitcnt vmcnt(0)
	v_cvt_f32_i32_e32 v5, v5
	v_bfe_u32 v8, v5, 16, 1
	v_add3_u32 v5, v5, v8, s2
	v_lshrrev_b32_e32 v12, 16, v5
.LBB199_2399:
	s_mov_b64 s[2:3], 0
.LBB199_2400:
	s_andn2_b64 vcc, exec, s[2:3]
	s_cbranch_vccnz .LBB199_2406
; %bb.2401:
	s_cmp_gt_i32 s4, 0
	s_cbranch_scc0 .LBB199_2403
; %bb.2402:
	global_load_sbyte v5, v[10:11], off
	s_movk_i32 s2, 0x7fff
	s_waitcnt vmcnt(0)
	v_cvt_f32_i32_e32 v5, v5
	v_bfe_u32 v8, v5, 16, 1
	v_add3_u32 v5, v5, v8, s2
	v_lshrrev_b32_e32 v12, 16, v5
	s_mov_b64 s[2:3], 0
	s_branch .LBB199_2404
.LBB199_2403:
	s_mov_b64 s[2:3], -1
                                        ; implicit-def: $vgpr12
.LBB199_2404:
	s_andn2_b64 vcc, exec, s[2:3]
	s_cbranch_vccnz .LBB199_2406
; %bb.2405:
	global_load_ubyte v5, v[10:11], off
	s_movk_i32 s2, 0x7fff
	s_waitcnt vmcnt(0)
	v_cvt_f32_ubyte0_e32 v5, v5
	v_bfe_u32 v8, v5, 16, 1
	v_add3_u32 v5, v5, v8, s2
	v_lshrrev_b32_e32 v12, 16, v5
.LBB199_2406:
	s_mov_b64 s[16:17], -1
.LBB199_2407:
	s_andn2_b64 vcc, exec, s[16:17]
	s_cbranch_vccnz .LBB199_3101
; %bb.2408:
	v_mov_b32_e32 v5, s11
	v_add_co_u32_e32 v8, vcc, s10, v9
	s_cmp_lt_i32 s22, 11
	v_addc_co_u32_e32 v9, vcc, 0, v5, vcc
	s_cbranch_scc1 .LBB199_2415
; %bb.2409:
	s_and_b32 s20, 0xffff, s22
	s_cmp_gt_i32 s20, 25
	s_mov_b64 s[4:5], 0
	s_cbranch_scc0 .LBB199_2416
; %bb.2410:
	s_cmp_gt_i32 s20, 28
	s_cbranch_scc0 .LBB199_2417
; %bb.2411:
	s_cmp_gt_i32 s20, 43
	;; [unrolled: 3-line block ×3, first 2 shown]
	s_cbranch_scc0 .LBB199_2420
; %bb.2413:
	s_cmp_eq_u32 s20, 46
	s_mov_b64 s[16:17], 0
	s_cbranch_scc0 .LBB199_2421
; %bb.2414:
	global_load_dword v10, v[8:9], off
	s_mov_b64 s[2:3], 0
	s_mov_b64 s[10:11], -1
	s_branch .LBB199_2422
.LBB199_2415:
	s_mov_b64 s[2:3], -1
	s_mov_b64 s[10:11], 0
                                        ; implicit-def: $vgpr10
	s_branch .LBB199_2488
.LBB199_2416:
	s_mov_b64 s[16:17], -1
	s_mov_b64 s[10:11], 0
	s_mov_b64 s[2:3], 0
                                        ; implicit-def: $vgpr10
	s_branch .LBB199_2451
.LBB199_2417:
	s_mov_b64 s[16:17], -1
	s_mov_b64 s[10:11], 0
	s_mov_b64 s[2:3], 0
                                        ; implicit-def: $vgpr10
	s_branch .LBB199_2432
.LBB199_2418:
	s_mov_b64 s[16:17], -1
	s_mov_b64 s[10:11], 0
	s_mov_b64 s[2:3], 0
                                        ; implicit-def: $vgpr10
	s_branch .LBB199_2427
.LBB199_2419:
	s_trap 2
	s_or_b64 s[14:15], s[14:15], exec
	s_cbranch_execz .LBB199_2356
	s_branch .LBB199_2357
.LBB199_2420:
	s_mov_b64 s[16:17], -1
	s_mov_b64 s[10:11], 0
	s_mov_b64 s[2:3], 0
                                        ; implicit-def: $vgpr10
	s_branch .LBB199_2422
.LBB199_2421:
	s_mov_b64 s[2:3], -1
                                        ; implicit-def: $vgpr10
	s_mov_b64 s[10:11], 0
.LBB199_2422:
	s_and_b64 vcc, exec, s[16:17]
	s_cbranch_vccz .LBB199_2426
; %bb.2423:
	s_cmp_eq_u32 s20, 44
	s_cbranch_scc0 .LBB199_2425
; %bb.2424:
	global_load_ubyte v5, v[8:9], off
	s_movk_i32 s10, 0xff
	s_waitcnt vmcnt(1)
	v_mov_b32_e32 v10, 0x7f800001
	v_mov_b32_e32 v11, 0x400000
	;; [unrolled: 1-line block ×3, first 2 shown]
	s_mov_b64 s[2:3], 0
	s_waitcnt vmcnt(0)
	v_lshlrev_b32_e32 v15, 23, v5
	v_cmp_ne_u32_e32 vcc, s10, v5
	v_cndmask_b32_e32 v10, v10, v15, vcc
	v_cmp_ne_u32_e32 vcc, 0, v5
	v_cndmask_b32_e32 v5, v11, v10, vcc
	v_add_u32_e32 v10, 0x7fff, v5
	v_cmp_o_f32_e32 vcc, v5, v5
	v_cndmask_b32_sdwa v10, v13, v10, vcc dst_sel:DWORD dst_unused:UNUSED_PAD src0_sel:DWORD src1_sel:WORD_1
	s_mov_b64 s[10:11], -1
	s_branch .LBB199_2426
.LBB199_2425:
	s_mov_b64 s[2:3], -1
                                        ; implicit-def: $vgpr10
.LBB199_2426:
	s_mov_b64 s[16:17], 0
.LBB199_2427:
	s_and_b64 vcc, exec, s[16:17]
	s_cbranch_vccz .LBB199_2431
; %bb.2428:
	s_cmp_eq_u32 s20, 29
	s_cbranch_scc0 .LBB199_2430
; %bb.2429:
	global_load_dwordx2 v[10:11], v[8:9], off
	s_movk_i32 s10, 0x7fff
	s_mov_b64 s[2:3], 0
	s_mov_b64 s[16:17], 0
	s_waitcnt vmcnt(0)
	v_ffbh_u32_e32 v5, v11
	v_min_u32_e32 v5, 32, v5
	v_lshlrev_b64 v[10:11], v5, v[10:11]
	v_sub_u32_e32 v5, 32, v5
	v_min_u32_e32 v10, 1, v10
	v_or_b32_e32 v10, v11, v10
	v_cvt_f32_u32_e32 v10, v10
	v_ldexp_f32 v5, v10, v5
	v_bfe_u32 v10, v5, 16, 1
	v_add3_u32 v5, v5, v10, s10
	v_lshrrev_b32_e32 v10, 16, v5
	s_mov_b64 s[10:11], -1
	s_branch .LBB199_2432
.LBB199_2430:
	s_mov_b64 s[2:3], -1
                                        ; implicit-def: $vgpr10
.LBB199_2431:
	s_mov_b64 s[16:17], 0
.LBB199_2432:
	s_and_b64 vcc, exec, s[16:17]
	s_cbranch_vccz .LBB199_2450
; %bb.2433:
	s_cmp_lt_i32 s20, 27
	s_cbranch_scc1 .LBB199_2436
; %bb.2434:
	s_cmp_gt_i32 s20, 27
	s_cbranch_scc0 .LBB199_2437
; %bb.2435:
	global_load_dword v5, v[8:9], off
	s_movk_i32 s10, 0x7fff
	s_waitcnt vmcnt(0)
	v_cvt_f32_u32_e32 v5, v5
	v_bfe_u32 v10, v5, 16, 1
	v_add3_u32 v5, v5, v10, s10
	v_lshrrev_b32_e32 v10, 16, v5
	s_mov_b64 s[10:11], 0
	s_branch .LBB199_2438
.LBB199_2436:
	s_mov_b64 s[10:11], -1
                                        ; implicit-def: $vgpr10
	s_branch .LBB199_2441
.LBB199_2437:
	s_mov_b64 s[10:11], -1
                                        ; implicit-def: $vgpr10
.LBB199_2438:
	s_andn2_b64 vcc, exec, s[10:11]
	s_cbranch_vccnz .LBB199_2440
; %bb.2439:
	global_load_ushort v5, v[8:9], off
	s_movk_i32 s10, 0x7fff
	s_waitcnt vmcnt(0)
	v_cvt_f32_u32_e32 v5, v5
	v_bfe_u32 v10, v5, 16, 1
	v_add3_u32 v5, v5, v10, s10
	v_lshrrev_b32_e32 v10, 16, v5
.LBB199_2440:
	s_mov_b64 s[10:11], 0
.LBB199_2441:
	s_andn2_b64 vcc, exec, s[10:11]
	s_cbranch_vccnz .LBB199_2449
; %bb.2442:
	global_load_ubyte v5, v[8:9], off
	s_movk_i32 s10, 0x7f
	s_waitcnt vmcnt(0)
	v_cmp_lt_i16_e32 vcc, s10, v5
	s_mov_b64 s[10:11], 0
	s_and_saveexec_b64 s[16:17], vcc
	s_xor_b64 s[16:17], exec, s[16:17]
	s_cbranch_execz .LBB199_2463
; %bb.2443:
	s_movk_i32 s10, 0x80
	v_cmp_eq_u16_e32 vcc, s10, v5
	s_mov_b64 s[10:11], -1
	s_and_saveexec_b64 s[18:19], vcc
; %bb.2444:
	s_xor_b64 s[10:11], exec, -1
; %bb.2445:
	s_or_b64 exec, exec, s[18:19]
	s_and_b64 s[10:11], s[10:11], exec
	s_or_saveexec_b64 s[16:17], s[16:17]
	v_mov_b32_e32 v10, 0x7f800001
	s_xor_b64 exec, exec, s[16:17]
	s_cbranch_execnz .LBB199_2464
.LBB199_2446:
	s_or_b64 exec, exec, s[16:17]
	s_and_saveexec_b64 s[16:17], s[10:11]
	s_cbranch_execz .LBB199_2448
.LBB199_2447:
	v_lshlrev_b32_e32 v10, 24, v5
	v_and_b32_e32 v5, 0xffff, v5
	v_and_b32_e32 v11, 7, v5
	v_ffbh_u32_e32 v15, v11
	v_min_u32_e32 v15, 32, v15
	v_subrev_u32_e32 v17, 28, v15
	v_bfe_u32 v13, v5, 3, 4
	v_lshlrev_b32_e32 v5, v17, v5
	v_sub_u32_e32 v15, 29, v15
	v_and_b32_e32 v5, 7, v5
	v_cmp_eq_u32_e32 vcc, 0, v13
	v_cndmask_b32_e32 v13, v13, v15, vcc
	v_cndmask_b32_e32 v5, v11, v5, vcc
	v_mov_b32_e32 v11, 0x3b800000
	v_lshlrev_b32_e32 v5, 20, v5
	v_and_b32_e32 v10, 0x80000000, v10
	v_lshl_add_u32 v11, v13, 23, v11
	v_or3_b32 v10, v10, v11, v5
.LBB199_2448:
	s_or_b64 exec, exec, s[16:17]
	v_bfe_u32 v5, v10, 16, 1
	s_movk_i32 s10, 0x7fff
	v_add3_u32 v5, v10, v5, s10
	v_cmp_o_f32_e32 vcc, v10, v10
	v_mov_b32_e32 v10, 0x7fc0
	v_cndmask_b32_sdwa v10, v10, v5, vcc dst_sel:DWORD dst_unused:UNUSED_PAD src0_sel:DWORD src1_sel:WORD_1
.LBB199_2449:
	s_mov_b64 s[10:11], -1
.LBB199_2450:
	s_mov_b64 s[16:17], 0
.LBB199_2451:
	s_and_b64 vcc, exec, s[16:17]
	s_cbranch_vccz .LBB199_2484
; %bb.2452:
	s_cmp_gt_i32 s20, 22
	s_cbranch_scc0 .LBB199_2462
; %bb.2453:
	s_cmp_lt_i32 s20, 24
	s_cbranch_scc1 .LBB199_2465
; %bb.2454:
	s_cmp_gt_i32 s20, 24
	s_cbranch_scc0 .LBB199_2466
; %bb.2455:
	global_load_ubyte v5, v[8:9], off
	s_movk_i32 s4, 0x7f
	s_waitcnt vmcnt(0)
	v_cmp_lt_i16_e32 vcc, s4, v5
	s_mov_b64 s[4:5], 0
	s_and_saveexec_b64 s[10:11], vcc
	s_xor_b64 s[10:11], exec, s[10:11]
	s_cbranch_execz .LBB199_2478
; %bb.2456:
	s_movk_i32 s4, 0x80
	v_cmp_eq_u16_e32 vcc, s4, v5
	s_mov_b64 s[4:5], -1
	s_and_saveexec_b64 s[16:17], vcc
; %bb.2457:
	s_xor_b64 s[4:5], exec, -1
; %bb.2458:
	s_or_b64 exec, exec, s[16:17]
	s_and_b64 s[4:5], s[4:5], exec
	s_or_saveexec_b64 s[10:11], s[10:11]
	v_mov_b32_e32 v10, 0x7f800001
	s_xor_b64 exec, exec, s[10:11]
	s_cbranch_execnz .LBB199_2479
.LBB199_2459:
	s_or_b64 exec, exec, s[10:11]
	s_and_saveexec_b64 s[10:11], s[4:5]
	s_cbranch_execz .LBB199_2461
.LBB199_2460:
	v_lshlrev_b32_e32 v10, 24, v5
	v_and_b32_e32 v5, 0xffff, v5
	v_and_b32_e32 v11, 3, v5
	v_ffbh_u32_e32 v15, v11
	v_min_u32_e32 v15, 32, v15
	v_subrev_u32_e32 v17, 29, v15
	v_bfe_u32 v13, v5, 2, 5
	v_lshlrev_b32_e32 v5, v17, v5
	v_sub_u32_e32 v15, 30, v15
	v_and_b32_e32 v5, 3, v5
	v_cmp_eq_u32_e32 vcc, 0, v13
	v_cndmask_b32_e32 v13, v13, v15, vcc
	v_cndmask_b32_e32 v5, v11, v5, vcc
	v_mov_b32_e32 v11, 0x37800000
	v_lshlrev_b32_e32 v5, 21, v5
	v_and_b32_e32 v10, 0x80000000, v10
	v_lshl_add_u32 v11, v13, 23, v11
	v_or3_b32 v10, v10, v11, v5
.LBB199_2461:
	s_or_b64 exec, exec, s[10:11]
	v_bfe_u32 v5, v10, 16, 1
	s_movk_i32 s4, 0x7fff
	v_add3_u32 v5, v10, v5, s4
	v_cmp_o_f32_e32 vcc, v10, v10
	v_mov_b32_e32 v10, 0x7fc0
	v_cndmask_b32_sdwa v10, v10, v5, vcc dst_sel:DWORD dst_unused:UNUSED_PAD src0_sel:DWORD src1_sel:WORD_1
	s_mov_b64 s[4:5], 0
	s_branch .LBB199_2467
.LBB199_2462:
	s_mov_b64 s[4:5], -1
                                        ; implicit-def: $vgpr10
	s_branch .LBB199_2473
.LBB199_2463:
	s_or_saveexec_b64 s[16:17], s[16:17]
	v_mov_b32_e32 v10, 0x7f800001
	s_xor_b64 exec, exec, s[16:17]
	s_cbranch_execz .LBB199_2446
.LBB199_2464:
	v_cmp_ne_u16_e32 vcc, 0, v5
	s_andn2_b64 s[10:11], s[10:11], exec
	s_and_b64 s[18:19], vcc, exec
	v_mov_b32_e32 v10, 0
	s_or_b64 s[10:11], s[10:11], s[18:19]
	s_or_b64 exec, exec, s[16:17]
	s_and_saveexec_b64 s[16:17], s[10:11]
	s_cbranch_execnz .LBB199_2447
	s_branch .LBB199_2448
.LBB199_2465:
	s_mov_b64 s[4:5], -1
                                        ; implicit-def: $vgpr10
	s_branch .LBB199_2470
.LBB199_2466:
	s_mov_b64 s[4:5], -1
                                        ; implicit-def: $vgpr10
.LBB199_2467:
	s_and_b64 vcc, exec, s[4:5]
	s_cbranch_vccz .LBB199_2469
; %bb.2468:
	global_load_ubyte v5, v[8:9], off
	s_mov_b32 s4, 0x7f800000
	s_brev_b32 s5, 1
	s_movk_i32 s10, 0x7fff
	s_waitcnt vmcnt(0)
	v_lshlrev_b32_e32 v5, 24, v5
	v_and_b32_e32 v10, 0x7f000000, v5
	v_ffbh_u32_e32 v11, v10
	v_min_u32_e32 v11, 32, v11
	v_sub_u32_e64 v11, v11, 4 clamp
	v_lshlrev_b32_e32 v15, v11, v10
	v_lshlrev_b32_e32 v11, 23, v11
	v_lshrrev_b32_e32 v15, 4, v15
	v_add_u32_e32 v13, 0x1000000, v10
	v_sub_u32_e32 v11, v15, v11
	v_ashrrev_i32_e32 v13, 8, v13
	v_add_u32_e32 v11, 0x3c000000, v11
	v_and_or_b32 v11, v13, s4, v11
	v_cmp_ne_u32_e32 vcc, 0, v10
	v_cndmask_b32_e32 v10, 0, v11, vcc
	v_and_or_b32 v5, v5, s5, v10
	v_bfe_u32 v10, v10, 16, 1
	v_add3_u32 v10, v5, v10, s10
	v_cmp_o_f32_e32 vcc, v5, v5
	v_mov_b32_e32 v5, 0x7fc0
	v_cndmask_b32_sdwa v10, v5, v10, vcc dst_sel:DWORD dst_unused:UNUSED_PAD src0_sel:DWORD src1_sel:WORD_1
.LBB199_2469:
	s_mov_b64 s[4:5], 0
.LBB199_2470:
	s_andn2_b64 vcc, exec, s[4:5]
	s_cbranch_vccnz .LBB199_2472
; %bb.2471:
	global_load_ubyte v5, v[8:9], off
	s_movk_i32 s4, 0x7f00
	s_brev_b32 s5, 16
	s_brev_b32 s10, 1
	s_movk_i32 s11, 0x7fff
	s_waitcnt vmcnt(0)
	v_lshlrev_b16_e32 v10, 8, v5
	v_lshlrev_b32_e32 v5, 25, v5
	v_lshrrev_b32_e32 v11, 4, v5
	v_and_or_b32 v13, v10, s4, 0.5
	v_or_b32_e32 v11, 0x70000000, v11
	v_add_f32_e32 v13, -0.5, v13
	v_mul_f32_e32 v11, 0x7800000, v11
	v_cmp_gt_u32_e32 vcc, s5, v5
	v_bfe_i32 v10, v10, 0, 16
	v_cndmask_b32_e32 v5, v11, v13, vcc
	v_and_or_b32 v10, v10, s10, v5
	v_bfe_u32 v5, v5, 16, 1
	v_add3_u32 v5, v10, v5, s11
	v_cmp_o_f32_e32 vcc, v10, v10
	v_mov_b32_e32 v10, 0x7fc0
	v_cndmask_b32_sdwa v10, v10, v5, vcc dst_sel:DWORD dst_unused:UNUSED_PAD src0_sel:DWORD src1_sel:WORD_1
.LBB199_2472:
	s_mov_b64 s[4:5], 0
	s_mov_b64 s[10:11], -1
.LBB199_2473:
	s_andn2_b64 vcc, exec, s[4:5]
	s_mov_b64 s[4:5], 0
	s_cbranch_vccnz .LBB199_2484
; %bb.2474:
	s_cmp_gt_i32 s20, 14
	s_cbranch_scc0 .LBB199_2477
; %bb.2475:
	s_cmp_eq_u32 s20, 15
	s_cbranch_scc0 .LBB199_2480
; %bb.2476:
	global_load_ushort v10, v[8:9], off
	s_mov_b64 s[2:3], 0
	s_mov_b64 s[10:11], -1
	s_branch .LBB199_2481
.LBB199_2477:
	s_mov_b64 s[16:17], -1
                                        ; implicit-def: $vgpr10
	s_branch .LBB199_2482
.LBB199_2478:
	s_or_saveexec_b64 s[10:11], s[10:11]
	v_mov_b32_e32 v10, 0x7f800001
	s_xor_b64 exec, exec, s[10:11]
	s_cbranch_execz .LBB199_2459
.LBB199_2479:
	v_cmp_ne_u16_e32 vcc, 0, v5
	s_andn2_b64 s[4:5], s[4:5], exec
	s_and_b64 s[16:17], vcc, exec
	v_mov_b32_e32 v10, 0
	s_or_b64 s[4:5], s[4:5], s[16:17]
	s_or_b64 exec, exec, s[10:11]
	s_and_saveexec_b64 s[10:11], s[4:5]
	s_cbranch_execnz .LBB199_2460
	s_branch .LBB199_2461
.LBB199_2480:
	s_mov_b64 s[2:3], -1
                                        ; implicit-def: $vgpr10
.LBB199_2481:
	s_mov_b64 s[16:17], 0
.LBB199_2482:
	s_and_b64 vcc, exec, s[16:17]
	s_cbranch_vccz .LBB199_2484
; %bb.2483:
	s_cmp_lg_u32 s20, 11
	s_mov_b64 s[4:5], -1
	s_cselect_b64 s[2:3], -1, 0
.LBB199_2484:
	s_and_b64 vcc, exec, s[2:3]
	s_cbranch_vccnz .LBB199_2549
; %bb.2485:
	s_andn2_b64 vcc, exec, s[4:5]
	s_cbranch_vccnz .LBB199_2487
.LBB199_2486:
	global_load_ubyte v5, v[8:9], off
	s_mov_b64 s[10:11], -1
	s_waitcnt vmcnt(0)
	v_cmp_ne_u16_e32 vcc, 0, v5
	v_cndmask_b32_e64 v5, 0, 1.0, vcc
	v_lshrrev_b32_e32 v10, 16, v5
.LBB199_2487:
	s_mov_b64 s[2:3], 0
.LBB199_2488:
	s_and_b64 vcc, exec, s[2:3]
	s_cbranch_vccz .LBB199_2537
; %bb.2489:
	s_and_b32 s4, 0xffff, s22
	s_cmp_lt_i32 s4, 5
	s_cbranch_scc1 .LBB199_2494
; %bb.2490:
	s_cmp_lt_i32 s4, 8
	s_cbranch_scc1 .LBB199_2495
; %bb.2491:
	s_cmp_lt_i32 s4, 9
	s_cbranch_scc1 .LBB199_2496
; %bb.2492:
	s_cmp_gt_i32 s4, 9
	s_cbranch_scc0 .LBB199_2497
; %bb.2493:
	global_load_dwordx2 v[10:11], v[8:9], off
	s_movk_i32 s2, 0x7fff
	s_waitcnt vmcnt(0)
	v_cvt_f32_f64_e32 v5, v[10:11]
	v_mov_b32_e32 v10, 0x7fc0
	v_bfe_u32 v11, v5, 16, 1
	v_cmp_o_f32_e32 vcc, v5, v5
	v_add3_u32 v5, v5, v11, s2
	v_cndmask_b32_sdwa v10, v10, v5, vcc dst_sel:DWORD dst_unused:UNUSED_PAD src0_sel:DWORD src1_sel:WORD_1
	s_mov_b64 s[2:3], 0
	s_branch .LBB199_2498
.LBB199_2494:
	s_mov_b64 s[2:3], -1
                                        ; implicit-def: $vgpr10
	s_branch .LBB199_2516
.LBB199_2495:
	s_mov_b64 s[2:3], -1
                                        ; implicit-def: $vgpr10
	s_branch .LBB199_2504
.LBB199_2496:
	s_mov_b64 s[2:3], -1
                                        ; implicit-def: $vgpr10
	s_branch .LBB199_2501
.LBB199_2497:
	s_mov_b64 s[2:3], -1
                                        ; implicit-def: $vgpr10
.LBB199_2498:
	s_andn2_b64 vcc, exec, s[2:3]
	s_cbranch_vccnz .LBB199_2500
; %bb.2499:
	global_load_dword v5, v[8:9], off
	s_movk_i32 s2, 0x7fff
	s_waitcnt vmcnt(1)
	v_mov_b32_e32 v10, 0x7fc0
	s_waitcnt vmcnt(0)
	v_bfe_u32 v11, v5, 16, 1
	v_cmp_o_f32_e32 vcc, v5, v5
	v_add3_u32 v5, v5, v11, s2
	v_cndmask_b32_sdwa v10, v10, v5, vcc dst_sel:DWORD dst_unused:UNUSED_PAD src0_sel:DWORD src1_sel:WORD_1
.LBB199_2500:
	s_mov_b64 s[2:3], 0
.LBB199_2501:
	s_andn2_b64 vcc, exec, s[2:3]
	s_cbranch_vccnz .LBB199_2503
; %bb.2502:
	global_load_dword v5, v[8:9], off
	s_movk_i32 s2, 0x7fff
	v_mov_b32_e32 v11, 0x7fc0
	s_waitcnt vmcnt(0)
	v_cvt_f32_f16_e32 v10, v5
	v_cmp_o_f16_e32 vcc, v5, v5
	v_bfe_u32 v5, v10, 16, 1
	v_add3_u32 v5, v10, v5, s2
	v_cndmask_b32_sdwa v10, v11, v5, vcc dst_sel:DWORD dst_unused:UNUSED_PAD src0_sel:DWORD src1_sel:WORD_1
.LBB199_2503:
	s_mov_b64 s[2:3], 0
.LBB199_2504:
	s_andn2_b64 vcc, exec, s[2:3]
	s_cbranch_vccnz .LBB199_2515
; %bb.2505:
	s_cmp_lt_i32 s4, 6
	s_cbranch_scc1 .LBB199_2508
; %bb.2506:
	s_cmp_gt_i32 s4, 6
	s_cbranch_scc0 .LBB199_2509
; %bb.2507:
	global_load_dwordx2 v[10:11], v[8:9], off
	s_movk_i32 s2, 0x7fff
	s_waitcnt vmcnt(0)
	v_cvt_f32_f64_e32 v5, v[10:11]
	v_mov_b32_e32 v10, 0x7fc0
	v_bfe_u32 v11, v5, 16, 1
	v_cmp_o_f32_e32 vcc, v5, v5
	v_add3_u32 v5, v5, v11, s2
	v_cndmask_b32_sdwa v10, v10, v5, vcc dst_sel:DWORD dst_unused:UNUSED_PAD src0_sel:DWORD src1_sel:WORD_1
	s_mov_b64 s[2:3], 0
	s_branch .LBB199_2510
.LBB199_2508:
	s_mov_b64 s[2:3], -1
                                        ; implicit-def: $vgpr10
	s_branch .LBB199_2513
.LBB199_2509:
	s_mov_b64 s[2:3], -1
                                        ; implicit-def: $vgpr10
.LBB199_2510:
	s_andn2_b64 vcc, exec, s[2:3]
	s_cbranch_vccnz .LBB199_2512
; %bb.2511:
	global_load_dword v5, v[8:9], off
	s_movk_i32 s2, 0x7fff
	s_waitcnt vmcnt(1)
	v_mov_b32_e32 v10, 0x7fc0
	s_waitcnt vmcnt(0)
	v_bfe_u32 v11, v5, 16, 1
	v_cmp_o_f32_e32 vcc, v5, v5
	v_add3_u32 v5, v5, v11, s2
	v_cndmask_b32_sdwa v10, v10, v5, vcc dst_sel:DWORD dst_unused:UNUSED_PAD src0_sel:DWORD src1_sel:WORD_1
.LBB199_2512:
	s_mov_b64 s[2:3], 0
.LBB199_2513:
	s_andn2_b64 vcc, exec, s[2:3]
	s_cbranch_vccnz .LBB199_2515
; %bb.2514:
	global_load_ushort v5, v[8:9], off
	s_movk_i32 s2, 0x7fff
	v_mov_b32_e32 v11, 0x7fc0
	s_waitcnt vmcnt(0)
	v_cvt_f32_f16_e32 v10, v5
	v_cmp_o_f16_e32 vcc, v5, v5
	v_bfe_u32 v5, v10, 16, 1
	v_add3_u32 v5, v10, v5, s2
	v_cndmask_b32_sdwa v10, v11, v5, vcc dst_sel:DWORD dst_unused:UNUSED_PAD src0_sel:DWORD src1_sel:WORD_1
.LBB199_2515:
	s_mov_b64 s[2:3], 0
.LBB199_2516:
	s_andn2_b64 vcc, exec, s[2:3]
	s_cbranch_vccnz .LBB199_2536
; %bb.2517:
	s_cmp_lt_i32 s4, 2
	s_cbranch_scc1 .LBB199_2521
; %bb.2518:
	s_cmp_lt_i32 s4, 3
	s_cbranch_scc1 .LBB199_2522
; %bb.2519:
	s_cmp_gt_i32 s4, 3
	s_cbranch_scc0 .LBB199_2523
; %bb.2520:
	global_load_dwordx2 v[10:11], v[8:9], off
	s_movk_i32 s2, 0x7fff
	s_waitcnt vmcnt(0)
	v_xor_b32_e32 v13, v10, v11
	v_ffbh_i32_e32 v5, v11
	v_ashrrev_i32_e32 v13, 31, v13
	v_add_u32_e32 v5, -1, v5
	v_add_u32_e32 v13, 32, v13
	v_min_u32_e32 v5, v5, v13
	v_lshlrev_b64 v[10:11], v5, v[10:11]
	v_sub_u32_e32 v5, 32, v5
	v_min_u32_e32 v10, 1, v10
	v_or_b32_e32 v10, v11, v10
	v_cvt_f32_i32_e32 v10, v10
	v_ldexp_f32 v5, v10, v5
	v_bfe_u32 v10, v5, 16, 1
	v_add3_u32 v5, v5, v10, s2
	v_lshrrev_b32_e32 v10, 16, v5
	s_mov_b64 s[2:3], 0
	s_branch .LBB199_2524
.LBB199_2521:
	s_mov_b64 s[2:3], -1
                                        ; implicit-def: $vgpr10
	s_branch .LBB199_2530
.LBB199_2522:
	s_mov_b64 s[2:3], -1
                                        ; implicit-def: $vgpr10
	s_branch .LBB199_2527
.LBB199_2523:
	s_mov_b64 s[2:3], -1
                                        ; implicit-def: $vgpr10
.LBB199_2524:
	s_andn2_b64 vcc, exec, s[2:3]
	s_cbranch_vccnz .LBB199_2526
; %bb.2525:
	global_load_dword v5, v[8:9], off
	s_movk_i32 s2, 0x7fff
	s_waitcnt vmcnt(0)
	v_cvt_f32_i32_e32 v5, v5
	v_bfe_u32 v10, v5, 16, 1
	v_add3_u32 v5, v5, v10, s2
	v_lshrrev_b32_e32 v10, 16, v5
.LBB199_2526:
	s_mov_b64 s[2:3], 0
.LBB199_2527:
	s_andn2_b64 vcc, exec, s[2:3]
	s_cbranch_vccnz .LBB199_2529
; %bb.2528:
	global_load_sshort v5, v[8:9], off
	s_movk_i32 s2, 0x7fff
	s_waitcnt vmcnt(0)
	v_cvt_f32_i32_e32 v5, v5
	v_bfe_u32 v10, v5, 16, 1
	v_add3_u32 v5, v5, v10, s2
	v_lshrrev_b32_e32 v10, 16, v5
.LBB199_2529:
	s_mov_b64 s[2:3], 0
.LBB199_2530:
	s_andn2_b64 vcc, exec, s[2:3]
	s_cbranch_vccnz .LBB199_2536
; %bb.2531:
	s_cmp_gt_i32 s4, 0
	s_cbranch_scc0 .LBB199_2533
; %bb.2532:
	global_load_sbyte v5, v[8:9], off
	s_movk_i32 s2, 0x7fff
	s_waitcnt vmcnt(0)
	v_cvt_f32_i32_e32 v5, v5
	v_bfe_u32 v10, v5, 16, 1
	v_add3_u32 v5, v5, v10, s2
	v_lshrrev_b32_e32 v10, 16, v5
	s_mov_b64 s[2:3], 0
	s_branch .LBB199_2534
.LBB199_2533:
	s_mov_b64 s[2:3], -1
                                        ; implicit-def: $vgpr10
.LBB199_2534:
	s_andn2_b64 vcc, exec, s[2:3]
	s_cbranch_vccnz .LBB199_2536
; %bb.2535:
	global_load_ubyte v5, v[8:9], off
	s_movk_i32 s2, 0x7fff
	s_waitcnt vmcnt(0)
	v_cvt_f32_ubyte0_e32 v5, v5
	v_bfe_u32 v8, v5, 16, 1
	v_add3_u32 v5, v5, v8, s2
	v_lshrrev_b32_e32 v10, 16, v5
.LBB199_2536:
	s_mov_b64 s[10:11], -1
.LBB199_2537:
	s_andn2_b64 vcc, exec, s[10:11]
	s_cbranch_vccnz .LBB199_3101
; %bb.2538:
	v_mov_b32_e32 v5, s1
	v_add_co_u32_e32 v7, vcc, s0, v7
	s_cmp_lt_i32 s23, 11
	v_addc_co_u32_e32 v8, vcc, 0, v5, vcc
	s_cbranch_scc1 .LBB199_2545
; %bb.2539:
	s_and_b32 s18, 0xffff, s23
	s_cmp_gt_i32 s18, 25
	s_mov_b64 s[2:3], 0
	s_cbranch_scc0 .LBB199_2546
; %bb.2540:
	s_cmp_gt_i32 s18, 28
	s_cbranch_scc0 .LBB199_2547
; %bb.2541:
	s_cmp_gt_i32 s18, 43
	;; [unrolled: 3-line block ×3, first 2 shown]
	s_cbranch_scc0 .LBB199_2550
; %bb.2543:
	s_cmp_eq_u32 s18, 46
	s_mov_b64 s[10:11], 0
	s_cbranch_scc0 .LBB199_2551
; %bb.2544:
	global_load_dword v9, v[7:8], off
	s_mov_b64 s[0:1], 0
	s_mov_b64 s[4:5], -1
	s_branch .LBB199_2552
.LBB199_2545:
	s_mov_b64 s[0:1], -1
	s_mov_b64 s[4:5], 0
                                        ; implicit-def: $vgpr9
	s_branch .LBB199_2618
.LBB199_2546:
	s_mov_b64 s[10:11], -1
	s_mov_b64 s[4:5], 0
	s_mov_b64 s[0:1], 0
                                        ; implicit-def: $vgpr9
	s_branch .LBB199_2581
.LBB199_2547:
	s_mov_b64 s[10:11], -1
	s_mov_b64 s[4:5], 0
	s_mov_b64 s[0:1], 0
                                        ; implicit-def: $vgpr9
	s_branch .LBB199_2562
.LBB199_2548:
	s_mov_b64 s[10:11], -1
	s_mov_b64 s[4:5], 0
	s_mov_b64 s[0:1], 0
                                        ; implicit-def: $vgpr9
	s_branch .LBB199_2557
.LBB199_2549:
	s_trap 2
	s_or_b64 s[14:15], s[14:15], exec
	s_cbranch_execz .LBB199_2486
	s_branch .LBB199_2487
.LBB199_2550:
	s_mov_b64 s[10:11], -1
	s_mov_b64 s[4:5], 0
	s_mov_b64 s[0:1], 0
                                        ; implicit-def: $vgpr9
	s_branch .LBB199_2552
.LBB199_2551:
	s_mov_b64 s[0:1], -1
                                        ; implicit-def: $vgpr9
	s_mov_b64 s[4:5], 0
.LBB199_2552:
	s_and_b64 vcc, exec, s[10:11]
	s_cbranch_vccz .LBB199_2556
; %bb.2553:
	s_cmp_eq_u32 s18, 44
	s_cbranch_scc0 .LBB199_2555
; %bb.2554:
	global_load_ubyte v5, v[7:8], off
	s_movk_i32 s4, 0xff
	s_waitcnt vmcnt(1)
	v_mov_b32_e32 v9, 0x7f800001
	v_mov_b32_e32 v11, 0x400000
	;; [unrolled: 1-line block ×3, first 2 shown]
	s_mov_b64 s[0:1], 0
	s_waitcnt vmcnt(0)
	v_lshlrev_b32_e32 v15, 23, v5
	v_cmp_ne_u32_e32 vcc, s4, v5
	v_cndmask_b32_e32 v9, v9, v15, vcc
	v_cmp_ne_u32_e32 vcc, 0, v5
	v_cndmask_b32_e32 v5, v11, v9, vcc
	v_add_u32_e32 v9, 0x7fff, v5
	v_cmp_o_f32_e32 vcc, v5, v5
	v_cndmask_b32_sdwa v9, v13, v9, vcc dst_sel:DWORD dst_unused:UNUSED_PAD src0_sel:DWORD src1_sel:WORD_1
	s_mov_b64 s[4:5], -1
	s_branch .LBB199_2556
.LBB199_2555:
	s_mov_b64 s[0:1], -1
                                        ; implicit-def: $vgpr9
.LBB199_2556:
	s_mov_b64 s[10:11], 0
.LBB199_2557:
	s_and_b64 vcc, exec, s[10:11]
	s_cbranch_vccz .LBB199_2561
; %bb.2558:
	s_cmp_eq_u32 s18, 29
	s_cbranch_scc0 .LBB199_2560
; %bb.2559:
	global_load_dwordx2 v[19:20], v[7:8], off
	s_movk_i32 s4, 0x7fff
	s_mov_b64 s[0:1], 0
	s_mov_b64 s[10:11], 0
	s_waitcnt vmcnt(0)
	v_ffbh_u32_e32 v5, v20
	v_min_u32_e32 v5, 32, v5
	v_lshlrev_b64 v[19:20], v5, v[19:20]
	v_sub_u32_e32 v5, 32, v5
	v_min_u32_e32 v9, 1, v19
	v_or_b32_e32 v9, v20, v9
	v_cvt_f32_u32_e32 v9, v9
	v_ldexp_f32 v5, v9, v5
	v_bfe_u32 v9, v5, 16, 1
	v_add3_u32 v5, v5, v9, s4
	v_lshrrev_b32_e32 v9, 16, v5
	s_mov_b64 s[4:5], -1
	s_branch .LBB199_2562
.LBB199_2560:
	s_mov_b64 s[0:1], -1
                                        ; implicit-def: $vgpr9
.LBB199_2561:
	s_mov_b64 s[10:11], 0
.LBB199_2562:
	s_and_b64 vcc, exec, s[10:11]
	s_cbranch_vccz .LBB199_2580
; %bb.2563:
	s_cmp_lt_i32 s18, 27
	s_cbranch_scc1 .LBB199_2566
; %bb.2564:
	s_cmp_gt_i32 s18, 27
	s_cbranch_scc0 .LBB199_2567
; %bb.2565:
	global_load_dword v5, v[7:8], off
	s_movk_i32 s4, 0x7fff
	s_waitcnt vmcnt(0)
	v_cvt_f32_u32_e32 v5, v5
	v_bfe_u32 v9, v5, 16, 1
	v_add3_u32 v5, v5, v9, s4
	v_lshrrev_b32_e32 v9, 16, v5
	s_mov_b64 s[4:5], 0
	s_branch .LBB199_2568
.LBB199_2566:
	s_mov_b64 s[4:5], -1
                                        ; implicit-def: $vgpr9
	s_branch .LBB199_2571
.LBB199_2567:
	s_mov_b64 s[4:5], -1
                                        ; implicit-def: $vgpr9
.LBB199_2568:
	s_andn2_b64 vcc, exec, s[4:5]
	s_cbranch_vccnz .LBB199_2570
; %bb.2569:
	global_load_ushort v5, v[7:8], off
	s_movk_i32 s4, 0x7fff
	s_waitcnt vmcnt(0)
	v_cvt_f32_u32_e32 v5, v5
	v_bfe_u32 v9, v5, 16, 1
	v_add3_u32 v5, v5, v9, s4
	v_lshrrev_b32_e32 v9, 16, v5
.LBB199_2570:
	s_mov_b64 s[4:5], 0
.LBB199_2571:
	s_andn2_b64 vcc, exec, s[4:5]
	s_cbranch_vccnz .LBB199_2579
; %bb.2572:
	global_load_ubyte v5, v[7:8], off
	s_movk_i32 s4, 0x7f
	s_waitcnt vmcnt(0)
	v_cmp_lt_i16_e32 vcc, s4, v5
	s_mov_b64 s[4:5], 0
	s_and_saveexec_b64 s[10:11], vcc
	s_xor_b64 s[10:11], exec, s[10:11]
	s_cbranch_execz .LBB199_2593
; %bb.2573:
	s_movk_i32 s4, 0x80
	v_cmp_eq_u16_e32 vcc, s4, v5
	s_mov_b64 s[4:5], -1
	s_and_saveexec_b64 s[16:17], vcc
; %bb.2574:
	s_xor_b64 s[4:5], exec, -1
; %bb.2575:
	s_or_b64 exec, exec, s[16:17]
	s_and_b64 s[4:5], s[4:5], exec
	s_or_saveexec_b64 s[10:11], s[10:11]
	v_mov_b32_e32 v9, 0x7f800001
	s_xor_b64 exec, exec, s[10:11]
	s_cbranch_execnz .LBB199_2594
.LBB199_2576:
	s_or_b64 exec, exec, s[10:11]
	s_and_saveexec_b64 s[10:11], s[4:5]
	s_cbranch_execz .LBB199_2578
.LBB199_2577:
	v_lshlrev_b32_e32 v9, 24, v5
	v_and_b32_e32 v5, 0xffff, v5
	v_and_b32_e32 v11, 7, v5
	v_ffbh_u32_e32 v15, v11
	v_min_u32_e32 v15, 32, v15
	v_subrev_u32_e32 v17, 28, v15
	v_bfe_u32 v13, v5, 3, 4
	v_lshlrev_b32_e32 v5, v17, v5
	v_sub_u32_e32 v15, 29, v15
	v_and_b32_e32 v5, 7, v5
	v_cmp_eq_u32_e32 vcc, 0, v13
	v_cndmask_b32_e32 v13, v13, v15, vcc
	v_cndmask_b32_e32 v5, v11, v5, vcc
	v_mov_b32_e32 v11, 0x3b800000
	v_lshlrev_b32_e32 v5, 20, v5
	v_and_b32_e32 v9, 0x80000000, v9
	v_lshl_add_u32 v11, v13, 23, v11
	v_or3_b32 v9, v9, v11, v5
.LBB199_2578:
	s_or_b64 exec, exec, s[10:11]
	v_bfe_u32 v5, v9, 16, 1
	s_movk_i32 s4, 0x7fff
	v_add3_u32 v5, v9, v5, s4
	v_cmp_o_f32_e32 vcc, v9, v9
	v_mov_b32_e32 v9, 0x7fc0
	v_cndmask_b32_sdwa v9, v9, v5, vcc dst_sel:DWORD dst_unused:UNUSED_PAD src0_sel:DWORD src1_sel:WORD_1
.LBB199_2579:
	s_mov_b64 s[4:5], -1
.LBB199_2580:
	s_mov_b64 s[10:11], 0
.LBB199_2581:
	s_and_b64 vcc, exec, s[10:11]
	s_cbranch_vccz .LBB199_2614
; %bb.2582:
	s_cmp_gt_i32 s18, 22
	s_cbranch_scc0 .LBB199_2592
; %bb.2583:
	s_cmp_lt_i32 s18, 24
	s_cbranch_scc1 .LBB199_2595
; %bb.2584:
	s_cmp_gt_i32 s18, 24
	s_cbranch_scc0 .LBB199_2596
; %bb.2585:
	global_load_ubyte v5, v[7:8], off
	s_movk_i32 s2, 0x7f
	s_waitcnt vmcnt(0)
	v_cmp_lt_i16_e32 vcc, s2, v5
	s_mov_b64 s[2:3], 0
	s_and_saveexec_b64 s[4:5], vcc
	s_xor_b64 s[4:5], exec, s[4:5]
	s_cbranch_execz .LBB199_2608
; %bb.2586:
	s_movk_i32 s2, 0x80
	v_cmp_eq_u16_e32 vcc, s2, v5
	s_mov_b64 s[2:3], -1
	s_and_saveexec_b64 s[10:11], vcc
; %bb.2587:
	s_xor_b64 s[2:3], exec, -1
; %bb.2588:
	s_or_b64 exec, exec, s[10:11]
	s_and_b64 s[2:3], s[2:3], exec
	s_or_saveexec_b64 s[4:5], s[4:5]
	v_mov_b32_e32 v9, 0x7f800001
	s_xor_b64 exec, exec, s[4:5]
	s_cbranch_execnz .LBB199_2609
.LBB199_2589:
	s_or_b64 exec, exec, s[4:5]
	s_and_saveexec_b64 s[4:5], s[2:3]
	s_cbranch_execz .LBB199_2591
.LBB199_2590:
	v_lshlrev_b32_e32 v9, 24, v5
	v_and_b32_e32 v5, 0xffff, v5
	v_and_b32_e32 v11, 3, v5
	v_ffbh_u32_e32 v15, v11
	v_min_u32_e32 v15, 32, v15
	v_subrev_u32_e32 v17, 29, v15
	v_bfe_u32 v13, v5, 2, 5
	v_lshlrev_b32_e32 v5, v17, v5
	v_sub_u32_e32 v15, 30, v15
	v_and_b32_e32 v5, 3, v5
	v_cmp_eq_u32_e32 vcc, 0, v13
	v_cndmask_b32_e32 v13, v13, v15, vcc
	v_cndmask_b32_e32 v5, v11, v5, vcc
	v_mov_b32_e32 v11, 0x37800000
	v_lshlrev_b32_e32 v5, 21, v5
	v_and_b32_e32 v9, 0x80000000, v9
	v_lshl_add_u32 v11, v13, 23, v11
	v_or3_b32 v9, v9, v11, v5
.LBB199_2591:
	s_or_b64 exec, exec, s[4:5]
	v_bfe_u32 v5, v9, 16, 1
	s_movk_i32 s2, 0x7fff
	v_add3_u32 v5, v9, v5, s2
	v_cmp_o_f32_e32 vcc, v9, v9
	v_mov_b32_e32 v9, 0x7fc0
	v_cndmask_b32_sdwa v9, v9, v5, vcc dst_sel:DWORD dst_unused:UNUSED_PAD src0_sel:DWORD src1_sel:WORD_1
	s_mov_b64 s[2:3], 0
	s_branch .LBB199_2597
.LBB199_2592:
	s_mov_b64 s[2:3], -1
                                        ; implicit-def: $vgpr9
	s_branch .LBB199_2603
.LBB199_2593:
	s_or_saveexec_b64 s[10:11], s[10:11]
	v_mov_b32_e32 v9, 0x7f800001
	s_xor_b64 exec, exec, s[10:11]
	s_cbranch_execz .LBB199_2576
.LBB199_2594:
	v_cmp_ne_u16_e32 vcc, 0, v5
	s_andn2_b64 s[4:5], s[4:5], exec
	s_and_b64 s[16:17], vcc, exec
	v_mov_b32_e32 v9, 0
	s_or_b64 s[4:5], s[4:5], s[16:17]
	s_or_b64 exec, exec, s[10:11]
	s_and_saveexec_b64 s[10:11], s[4:5]
	s_cbranch_execnz .LBB199_2577
	s_branch .LBB199_2578
.LBB199_2595:
	s_mov_b64 s[2:3], -1
                                        ; implicit-def: $vgpr9
	s_branch .LBB199_2600
.LBB199_2596:
	s_mov_b64 s[2:3], -1
                                        ; implicit-def: $vgpr9
.LBB199_2597:
	s_and_b64 vcc, exec, s[2:3]
	s_cbranch_vccz .LBB199_2599
; %bb.2598:
	global_load_ubyte v5, v[7:8], off
	s_mov_b32 s2, 0x7f800000
	s_brev_b32 s3, 1
	s_movk_i32 s4, 0x7fff
	s_waitcnt vmcnt(0)
	v_lshlrev_b32_e32 v5, 24, v5
	v_and_b32_e32 v9, 0x7f000000, v5
	v_ffbh_u32_e32 v11, v9
	v_min_u32_e32 v11, 32, v11
	v_sub_u32_e64 v11, v11, 4 clamp
	v_lshlrev_b32_e32 v15, v11, v9
	v_lshlrev_b32_e32 v11, 23, v11
	v_lshrrev_b32_e32 v15, 4, v15
	v_add_u32_e32 v13, 0x1000000, v9
	v_sub_u32_e32 v11, v15, v11
	v_ashrrev_i32_e32 v13, 8, v13
	v_add_u32_e32 v11, 0x3c000000, v11
	v_and_or_b32 v11, v13, s2, v11
	v_cmp_ne_u32_e32 vcc, 0, v9
	v_cndmask_b32_e32 v9, 0, v11, vcc
	v_and_or_b32 v5, v5, s3, v9
	v_bfe_u32 v9, v9, 16, 1
	v_add3_u32 v9, v5, v9, s4
	v_cmp_o_f32_e32 vcc, v5, v5
	v_mov_b32_e32 v5, 0x7fc0
	v_cndmask_b32_sdwa v9, v5, v9, vcc dst_sel:DWORD dst_unused:UNUSED_PAD src0_sel:DWORD src1_sel:WORD_1
.LBB199_2599:
	s_mov_b64 s[2:3], 0
.LBB199_2600:
	s_andn2_b64 vcc, exec, s[2:3]
	s_cbranch_vccnz .LBB199_2602
; %bb.2601:
	global_load_ubyte v5, v[7:8], off
	s_movk_i32 s2, 0x7f00
	s_brev_b32 s3, 16
	s_brev_b32 s4, 1
	s_movk_i32 s5, 0x7fff
	s_waitcnt vmcnt(0)
	v_lshlrev_b16_e32 v9, 8, v5
	v_lshlrev_b32_e32 v5, 25, v5
	v_lshrrev_b32_e32 v11, 4, v5
	v_and_or_b32 v13, v9, s2, 0.5
	v_or_b32_e32 v11, 0x70000000, v11
	v_add_f32_e32 v13, -0.5, v13
	v_mul_f32_e32 v11, 0x7800000, v11
	v_cmp_gt_u32_e32 vcc, s3, v5
	v_bfe_i32 v9, v9, 0, 16
	v_cndmask_b32_e32 v5, v11, v13, vcc
	v_and_or_b32 v9, v9, s4, v5
	v_bfe_u32 v5, v5, 16, 1
	v_add3_u32 v5, v9, v5, s5
	v_cmp_o_f32_e32 vcc, v9, v9
	v_mov_b32_e32 v9, 0x7fc0
	v_cndmask_b32_sdwa v9, v9, v5, vcc dst_sel:DWORD dst_unused:UNUSED_PAD src0_sel:DWORD src1_sel:WORD_1
.LBB199_2602:
	s_mov_b64 s[2:3], 0
	s_mov_b64 s[4:5], -1
.LBB199_2603:
	s_andn2_b64 vcc, exec, s[2:3]
	s_mov_b64 s[2:3], 0
	s_cbranch_vccnz .LBB199_2614
; %bb.2604:
	s_cmp_gt_i32 s18, 14
	s_cbranch_scc0 .LBB199_2607
; %bb.2605:
	s_cmp_eq_u32 s18, 15
	s_cbranch_scc0 .LBB199_2610
; %bb.2606:
	global_load_ushort v9, v[7:8], off
	s_mov_b64 s[0:1], 0
	s_mov_b64 s[4:5], -1
	s_branch .LBB199_2611
.LBB199_2607:
	s_mov_b64 s[10:11], -1
                                        ; implicit-def: $vgpr9
	s_branch .LBB199_2612
.LBB199_2608:
	s_or_saveexec_b64 s[4:5], s[4:5]
	v_mov_b32_e32 v9, 0x7f800001
	s_xor_b64 exec, exec, s[4:5]
	s_cbranch_execz .LBB199_2589
.LBB199_2609:
	v_cmp_ne_u16_e32 vcc, 0, v5
	s_andn2_b64 s[2:3], s[2:3], exec
	s_and_b64 s[10:11], vcc, exec
	v_mov_b32_e32 v9, 0
	s_or_b64 s[2:3], s[2:3], s[10:11]
	s_or_b64 exec, exec, s[4:5]
	s_and_saveexec_b64 s[4:5], s[2:3]
	s_cbranch_execnz .LBB199_2590
	s_branch .LBB199_2591
.LBB199_2610:
	s_mov_b64 s[0:1], -1
                                        ; implicit-def: $vgpr9
.LBB199_2611:
	s_mov_b64 s[10:11], 0
.LBB199_2612:
	s_and_b64 vcc, exec, s[10:11]
	s_cbranch_vccz .LBB199_2614
; %bb.2613:
	s_cmp_lg_u32 s18, 11
	s_mov_b64 s[2:3], -1
	s_cselect_b64 s[0:1], -1, 0
.LBB199_2614:
	s_and_b64 vcc, exec, s[0:1]
	s_cbranch_vccnz .LBB199_3147
; %bb.2615:
	s_andn2_b64 vcc, exec, s[2:3]
	s_cbranch_vccnz .LBB199_2617
.LBB199_2616:
	global_load_ubyte v5, v[7:8], off
	s_mov_b64 s[4:5], -1
	s_waitcnt vmcnt(0)
	v_cmp_ne_u16_e32 vcc, 0, v5
	v_cndmask_b32_e64 v5, 0, 1.0, vcc
	v_lshrrev_b32_e32 v9, 16, v5
.LBB199_2617:
	s_mov_b64 s[0:1], 0
.LBB199_2618:
	s_and_b64 vcc, exec, s[0:1]
	s_cbranch_vccz .LBB199_2667
; %bb.2619:
	s_and_b32 s2, 0xffff, s23
	s_cmp_lt_i32 s2, 5
	s_cbranch_scc1 .LBB199_2624
; %bb.2620:
	s_cmp_lt_i32 s2, 8
	s_cbranch_scc1 .LBB199_2625
; %bb.2621:
	;; [unrolled: 3-line block ×3, first 2 shown]
	s_cmp_gt_i32 s2, 9
	s_cbranch_scc0 .LBB199_2627
; %bb.2623:
	global_load_dwordx2 v[19:20], v[7:8], off
	s_movk_i32 s0, 0x7fff
	s_waitcnt vmcnt(1)
	v_mov_b32_e32 v9, 0x7fc0
	s_waitcnt vmcnt(0)
	v_cvt_f32_f64_e32 v5, v[19:20]
	v_bfe_u32 v11, v5, 16, 1
	v_cmp_o_f32_e32 vcc, v5, v5
	v_add3_u32 v5, v5, v11, s0
	v_cndmask_b32_sdwa v9, v9, v5, vcc dst_sel:DWORD dst_unused:UNUSED_PAD src0_sel:DWORD src1_sel:WORD_1
	s_mov_b64 s[0:1], 0
	s_branch .LBB199_2628
.LBB199_2624:
	s_mov_b64 s[0:1], -1
                                        ; implicit-def: $vgpr9
	s_branch .LBB199_2646
.LBB199_2625:
	s_mov_b64 s[0:1], -1
                                        ; implicit-def: $vgpr9
	s_branch .LBB199_2634
.LBB199_2626:
	s_mov_b64 s[0:1], -1
                                        ; implicit-def: $vgpr9
	s_branch .LBB199_2631
.LBB199_2627:
	s_mov_b64 s[0:1], -1
                                        ; implicit-def: $vgpr9
.LBB199_2628:
	s_andn2_b64 vcc, exec, s[0:1]
	s_cbranch_vccnz .LBB199_2630
; %bb.2629:
	global_load_dword v5, v[7:8], off
	s_movk_i32 s0, 0x7fff
	s_waitcnt vmcnt(1)
	v_mov_b32_e32 v9, 0x7fc0
	s_waitcnt vmcnt(0)
	v_bfe_u32 v11, v5, 16, 1
	v_cmp_o_f32_e32 vcc, v5, v5
	v_add3_u32 v5, v5, v11, s0
	v_cndmask_b32_sdwa v9, v9, v5, vcc dst_sel:DWORD dst_unused:UNUSED_PAD src0_sel:DWORD src1_sel:WORD_1
.LBB199_2630:
	s_mov_b64 s[0:1], 0
.LBB199_2631:
	s_andn2_b64 vcc, exec, s[0:1]
	s_cbranch_vccnz .LBB199_2633
; %bb.2632:
	global_load_dword v5, v[7:8], off
	s_movk_i32 s0, 0x7fff
	v_mov_b32_e32 v11, 0x7fc0
	s_waitcnt vmcnt(0)
	v_cvt_f32_f16_e32 v9, v5
	v_cmp_o_f16_e32 vcc, v5, v5
	v_bfe_u32 v5, v9, 16, 1
	v_add3_u32 v5, v9, v5, s0
	v_cndmask_b32_sdwa v9, v11, v5, vcc dst_sel:DWORD dst_unused:UNUSED_PAD src0_sel:DWORD src1_sel:WORD_1
.LBB199_2633:
	s_mov_b64 s[0:1], 0
.LBB199_2634:
	s_andn2_b64 vcc, exec, s[0:1]
	s_cbranch_vccnz .LBB199_2645
; %bb.2635:
	s_cmp_lt_i32 s2, 6
	s_cbranch_scc1 .LBB199_2638
; %bb.2636:
	s_cmp_gt_i32 s2, 6
	s_cbranch_scc0 .LBB199_2639
; %bb.2637:
	global_load_dwordx2 v[19:20], v[7:8], off
	s_movk_i32 s0, 0x7fff
	s_waitcnt vmcnt(1)
	v_mov_b32_e32 v9, 0x7fc0
	s_waitcnt vmcnt(0)
	v_cvt_f32_f64_e32 v5, v[19:20]
	v_bfe_u32 v11, v5, 16, 1
	v_cmp_o_f32_e32 vcc, v5, v5
	v_add3_u32 v5, v5, v11, s0
	v_cndmask_b32_sdwa v9, v9, v5, vcc dst_sel:DWORD dst_unused:UNUSED_PAD src0_sel:DWORD src1_sel:WORD_1
	s_mov_b64 s[0:1], 0
	s_branch .LBB199_2640
.LBB199_2638:
	s_mov_b64 s[0:1], -1
                                        ; implicit-def: $vgpr9
	s_branch .LBB199_2643
.LBB199_2639:
	s_mov_b64 s[0:1], -1
                                        ; implicit-def: $vgpr9
.LBB199_2640:
	s_andn2_b64 vcc, exec, s[0:1]
	s_cbranch_vccnz .LBB199_2642
; %bb.2641:
	global_load_dword v5, v[7:8], off
	s_movk_i32 s0, 0x7fff
	s_waitcnt vmcnt(1)
	v_mov_b32_e32 v9, 0x7fc0
	s_waitcnt vmcnt(0)
	v_bfe_u32 v11, v5, 16, 1
	v_cmp_o_f32_e32 vcc, v5, v5
	v_add3_u32 v5, v5, v11, s0
	v_cndmask_b32_sdwa v9, v9, v5, vcc dst_sel:DWORD dst_unused:UNUSED_PAD src0_sel:DWORD src1_sel:WORD_1
.LBB199_2642:
	s_mov_b64 s[0:1], 0
.LBB199_2643:
	s_andn2_b64 vcc, exec, s[0:1]
	s_cbranch_vccnz .LBB199_2645
; %bb.2644:
	global_load_ushort v5, v[7:8], off
	s_movk_i32 s0, 0x7fff
	v_mov_b32_e32 v11, 0x7fc0
	s_waitcnt vmcnt(0)
	v_cvt_f32_f16_e32 v9, v5
	v_cmp_o_f16_e32 vcc, v5, v5
	v_bfe_u32 v5, v9, 16, 1
	v_add3_u32 v5, v9, v5, s0
	v_cndmask_b32_sdwa v9, v11, v5, vcc dst_sel:DWORD dst_unused:UNUSED_PAD src0_sel:DWORD src1_sel:WORD_1
.LBB199_2645:
	s_mov_b64 s[0:1], 0
.LBB199_2646:
	s_andn2_b64 vcc, exec, s[0:1]
	s_cbranch_vccnz .LBB199_2666
; %bb.2647:
	s_cmp_lt_i32 s2, 2
	s_cbranch_scc1 .LBB199_2651
; %bb.2648:
	s_cmp_lt_i32 s2, 3
	s_cbranch_scc1 .LBB199_2652
; %bb.2649:
	s_cmp_gt_i32 s2, 3
	s_cbranch_scc0 .LBB199_2653
; %bb.2650:
	global_load_dwordx2 v[19:20], v[7:8], off
	s_movk_i32 s0, 0x7fff
	s_waitcnt vmcnt(0)
	v_xor_b32_e32 v9, v19, v20
	v_ffbh_i32_e32 v5, v20
	v_ashrrev_i32_e32 v9, 31, v9
	v_add_u32_e32 v5, -1, v5
	v_add_u32_e32 v9, 32, v9
	v_min_u32_e32 v5, v5, v9
	v_lshlrev_b64 v[19:20], v5, v[19:20]
	v_sub_u32_e32 v5, 32, v5
	v_min_u32_e32 v9, 1, v19
	v_or_b32_e32 v9, v20, v9
	v_cvt_f32_i32_e32 v9, v9
	v_ldexp_f32 v5, v9, v5
	v_bfe_u32 v9, v5, 16, 1
	v_add3_u32 v5, v5, v9, s0
	v_lshrrev_b32_e32 v9, 16, v5
	s_mov_b64 s[0:1], 0
	s_branch .LBB199_2654
.LBB199_2651:
	s_mov_b64 s[0:1], -1
                                        ; implicit-def: $vgpr9
	s_branch .LBB199_2660
.LBB199_2652:
	s_mov_b64 s[0:1], -1
                                        ; implicit-def: $vgpr9
	s_branch .LBB199_2657
.LBB199_2653:
	s_mov_b64 s[0:1], -1
                                        ; implicit-def: $vgpr9
.LBB199_2654:
	s_andn2_b64 vcc, exec, s[0:1]
	s_cbranch_vccnz .LBB199_2656
; %bb.2655:
	global_load_dword v5, v[7:8], off
	s_movk_i32 s0, 0x7fff
	s_waitcnt vmcnt(0)
	v_cvt_f32_i32_e32 v5, v5
	v_bfe_u32 v9, v5, 16, 1
	v_add3_u32 v5, v5, v9, s0
	v_lshrrev_b32_e32 v9, 16, v5
.LBB199_2656:
	s_mov_b64 s[0:1], 0
.LBB199_2657:
	s_andn2_b64 vcc, exec, s[0:1]
	s_cbranch_vccnz .LBB199_2659
; %bb.2658:
	global_load_sshort v5, v[7:8], off
	s_movk_i32 s0, 0x7fff
	s_waitcnt vmcnt(0)
	v_cvt_f32_i32_e32 v5, v5
	v_bfe_u32 v9, v5, 16, 1
	v_add3_u32 v5, v5, v9, s0
	v_lshrrev_b32_e32 v9, 16, v5
.LBB199_2659:
	s_mov_b64 s[0:1], 0
.LBB199_2660:
	s_andn2_b64 vcc, exec, s[0:1]
	s_cbranch_vccnz .LBB199_2666
; %bb.2661:
	s_cmp_gt_i32 s2, 0
	s_cbranch_scc0 .LBB199_2663
; %bb.2662:
	global_load_sbyte v5, v[7:8], off
	s_movk_i32 s0, 0x7fff
	s_waitcnt vmcnt(0)
	v_cvt_f32_i32_e32 v5, v5
	v_bfe_u32 v9, v5, 16, 1
	v_add3_u32 v5, v5, v9, s0
	v_lshrrev_b32_e32 v9, 16, v5
	s_mov_b64 s[0:1], 0
	s_branch .LBB199_2664
.LBB199_2663:
	s_mov_b64 s[0:1], -1
                                        ; implicit-def: $vgpr9
.LBB199_2664:
	s_andn2_b64 vcc, exec, s[0:1]
	s_cbranch_vccnz .LBB199_2666
; %bb.2665:
	global_load_ubyte v5, v[7:8], off
	s_movk_i32 s0, 0x7fff
	s_waitcnt vmcnt(0)
	v_cvt_f32_ubyte0_e32 v5, v5
	v_bfe_u32 v7, v5, 16, 1
	v_add3_u32 v5, v5, v7, s0
	v_lshrrev_b32_e32 v9, 16, v5
.LBB199_2666:
	s_mov_b64 s[4:5], -1
.LBB199_2667:
	s_andn2_b64 vcc, exec, s[4:5]
	s_cbranch_vccnz .LBB199_3101
; %bb.2668:
	s_load_dwordx2 s[2:3], s[24:25], 0x1a0
	v_lshlrev_b32_e32 v1, 16, v1
	s_waitcnt vmcnt(0)
	v_lshlrev_b32_e32 v3, 16, v3
	v_cmp_eq_f32_e32 vcc, v1, v3
	v_cndmask_b32_e64 v5, 0, 1, vcc
	s_waitcnt lgkmcnt(0)
	s_cmp_eq_u32 s2, 0
	v_cmp_neq_f32_e32 vcc, v1, v3
	v_cndmask_b32_e64 v1, 0, 1, vcc
	s_cselect_b64 s[0:1], -1, 0
	v_cndmask_b32_e64 v1, v1, v5, s[0:1]
	v_and_b32_e32 v1, 1, v1
	s_and_b32 s22, s3, 0xff
	v_cmp_eq_u32_e64 s[2:3], 1, v1
	v_mov_b32_e32 v1, s9
	v_add_co_u32_e32 v5, vcc, s8, v6
	s_cmp_lt_i32 s22, 11
	v_addc_co_u32_e32 v6, vcc, 0, v1, vcc
	s_cbranch_scc1 .LBB199_2746
; %bb.2669:
	s_and_b32 s23, 0xffff, s22
	s_mov_b64 s[18:19], -1
	s_mov_b64 s[10:11], 0
	s_cmp_gt_i32 s23, 25
	s_mov_b64 s[16:17], 0
	s_mov_b64 s[4:5], 0
	s_cbranch_scc0 .LBB199_2702
; %bb.2670:
	s_cmp_gt_i32 s23, 28
	s_cbranch_scc0 .LBB199_2685
; %bb.2671:
	s_cmp_gt_i32 s23, 43
	;; [unrolled: 3-line block ×3, first 2 shown]
	s_cbranch_scc0 .LBB199_2675
; %bb.2673:
	s_mov_b64 s[4:5], -1
	s_mov_b64 s[18:19], 0
	s_cmp_eq_u32 s23, 46
	s_cbranch_scc0 .LBB199_2675
; %bb.2674:
	v_cndmask_b32_e64 v1, 0, 1.0, s[2:3]
	v_bfe_u32 v3, v1, 16, 1
	s_movk_i32 s4, 0x7fff
	v_add3_u32 v1, v1, v3, s4
	v_lshrrev_b32_e32 v1, 16, v1
	global_store_dword v[5:6], v1, off
	s_mov_b64 s[4:5], 0
	s_mov_b64 s[16:17], -1
.LBB199_2675:
	s_and_b64 vcc, exec, s[18:19]
	s_cbranch_vccz .LBB199_2680
; %bb.2676:
	s_cmp_eq_u32 s23, 44
	s_mov_b64 s[4:5], -1
	s_cbranch_scc0 .LBB199_2680
; %bb.2677:
	v_cndmask_b32_e64 v3, 0, 1.0, s[2:3]
	v_lshrrev_b32_e32 v1, 23, v3
	s_movk_i32 s4, 0xff
	v_cmp_ne_u32_e32 vcc, s4, v1
	v_mov_b32_e32 v7, 0xff
	s_and_saveexec_b64 s[16:17], vcc
; %bb.2678:
	s_mov_b32 s4, 0x3fffff
	v_and_b32_e32 v7, 0x400000, v3
	v_and_or_b32 v3, v3, s4, v1
	v_cmp_ne_u32_e32 vcc, 0, v7
	v_cmp_ne_u32_e64 s[4:5], 0, v3
	s_and_b64 s[4:5], vcc, s[4:5]
	v_cndmask_b32_e64 v3, 0, 1, s[4:5]
	v_add_u32_e32 v7, v1, v3
; %bb.2679:
	s_or_b64 exec, exec, s[16:17]
	s_mov_b64 s[4:5], 0
	s_mov_b64 s[16:17], -1
	global_store_byte v[5:6], v7, off
.LBB199_2680:
	s_mov_b64 s[18:19], 0
.LBB199_2681:
	s_and_b64 vcc, exec, s[18:19]
	s_cbranch_vccz .LBB199_2684
; %bb.2682:
	s_cmp_eq_u32 s23, 29
	s_mov_b64 s[4:5], -1
	s_cbranch_scc0 .LBB199_2684
; %bb.2683:
	s_mov_b32 s4, 0
	v_cndmask_b32_e64 v7, 0, 1, s[2:3]
	v_mov_b32_e32 v8, s4
	global_store_dwordx2 v[5:6], v[7:8], off
	s_mov_b64 s[4:5], 0
	s_mov_b64 s[16:17], -1
.LBB199_2684:
	s_mov_b64 s[18:19], 0
.LBB199_2685:
	s_and_b64 vcc, exec, s[18:19]
	s_cbranch_vccz .LBB199_2701
; %bb.2686:
	s_cmp_lt_i32 s23, 27
	s_mov_b64 s[16:17], -1
	s_cbranch_scc1 .LBB199_2692
; %bb.2687:
	s_cmp_gt_i32 s23, 27
	s_cbranch_scc0 .LBB199_2689
; %bb.2688:
	v_cndmask_b32_e64 v1, 0, 1, s[2:3]
	s_mov_b64 s[16:17], 0
	global_store_dword v[5:6], v1, off
.LBB199_2689:
	s_andn2_b64 vcc, exec, s[16:17]
	s_cbranch_vccnz .LBB199_2691
; %bb.2690:
	v_cndmask_b32_e64 v1, 0, 1, s[2:3]
	global_store_short v[5:6], v1, off
.LBB199_2691:
	s_mov_b64 s[16:17], 0
.LBB199_2692:
	s_andn2_b64 vcc, exec, s[16:17]
	s_cbranch_vccnz .LBB199_2700
; %bb.2693:
	v_cndmask_b32_e64 v3, 0, 1.0, s[2:3]
	s_mov_b32 s16, 0x43800000
	v_cmp_gt_u32_e32 vcc, s16, v3
	v_mov_b32_e32 v7, 0x80
	s_and_saveexec_b64 s[16:17], vcc
	s_cbranch_execz .LBB199_2699
; %bb.2694:
	s_mov_b32 s18, 0x3bffffff
	v_cmp_lt_u32_e32 vcc, s18, v3
	s_mov_b64 s[18:19], 0
                                        ; implicit-def: $vgpr1
	s_and_saveexec_b64 s[20:21], vcc
	s_xor_b64 s[20:21], exec, s[20:21]
	s_cbranch_execz .LBB199_3148
; %bb.2695:
	v_bfe_u32 v1, v3, 20, 1
	s_mov_b32 s24, 0x487ffff
	v_add3_u32 v1, v3, v1, s24
	s_mov_b64 s[18:19], exec
	v_lshrrev_b32_e32 v1, 20, v1
                                        ; implicit-def: $vgpr3
	s_andn2_saveexec_b64 s[20:21], s[20:21]
	s_cbranch_execnz .LBB199_3149
.LBB199_2696:
	s_or_b64 exec, exec, s[20:21]
	v_mov_b32_e32 v7, 0
	s_and_saveexec_b64 s[20:21], s[18:19]
.LBB199_2697:
	v_mov_b32_e32 v7, v1
.LBB199_2698:
	s_or_b64 exec, exec, s[20:21]
.LBB199_2699:
	s_or_b64 exec, exec, s[16:17]
	global_store_byte v[5:6], v7, off
.LBB199_2700:
	s_mov_b64 s[16:17], -1
.LBB199_2701:
	s_mov_b64 s[18:19], 0
.LBB199_2702:
	s_and_b64 vcc, exec, s[18:19]
	s_cbranch_vccz .LBB199_2742
; %bb.2703:
	s_cmp_gt_i32 s23, 22
	s_mov_b64 s[10:11], -1
	s_cbranch_scc0 .LBB199_2735
; %bb.2704:
	s_cmp_lt_i32 s23, 24
	s_cbranch_scc1 .LBB199_2724
; %bb.2705:
	s_cmp_gt_i32 s23, 24
	s_cbranch_scc0 .LBB199_2713
; %bb.2706:
	v_cndmask_b32_e64 v3, 0, 1.0, s[2:3]
	s_mov_b32 s10, 0x47800000
	v_cmp_gt_u32_e32 vcc, s10, v3
	v_mov_b32_e32 v7, 0x80
	s_and_saveexec_b64 s[10:11], vcc
	s_cbranch_execz .LBB199_2712
; %bb.2707:
	s_mov_b32 s16, 0x37ffffff
	v_cmp_lt_u32_e32 vcc, s16, v3
	s_mov_b64 s[16:17], 0
                                        ; implicit-def: $vgpr1
	s_and_saveexec_b64 s[18:19], vcc
	s_xor_b64 s[18:19], exec, s[18:19]
	s_cbranch_execz .LBB199_3151
; %bb.2708:
	v_bfe_u32 v1, v3, 21, 1
	s_mov_b32 s20, 0x88fffff
	v_add3_u32 v1, v3, v1, s20
	s_mov_b64 s[16:17], exec
	v_lshrrev_b32_e32 v1, 21, v1
                                        ; implicit-def: $vgpr3
	s_andn2_saveexec_b64 s[18:19], s[18:19]
	s_cbranch_execnz .LBB199_3152
.LBB199_2709:
	s_or_b64 exec, exec, s[18:19]
	v_mov_b32_e32 v7, 0
	s_and_saveexec_b64 s[18:19], s[16:17]
.LBB199_2710:
	v_mov_b32_e32 v7, v1
.LBB199_2711:
	s_or_b64 exec, exec, s[18:19]
.LBB199_2712:
	s_or_b64 exec, exec, s[10:11]
	s_mov_b64 s[10:11], 0
	global_store_byte v[5:6], v7, off
.LBB199_2713:
	s_and_b64 vcc, exec, s[10:11]
	s_cbranch_vccz .LBB199_2723
; %bb.2714:
	v_cndmask_b32_e64 v1, 0, 1.0, s[2:3]
	s_mov_b32 s10, 0x43f00000
	v_cmp_gt_u32_e32 vcc, s10, v1
                                        ; implicit-def: $vgpr3
	s_and_saveexec_b64 s[10:11], vcc
	s_xor_b64 s[10:11], exec, s[10:11]
	s_cbranch_execz .LBB199_2720
; %bb.2715:
	s_mov_b32 s16, 0x3c7fffff
	v_cmp_lt_u32_e32 vcc, s16, v1
                                        ; implicit-def: $vgpr3
	s_and_saveexec_b64 s[16:17], vcc
	s_xor_b64 s[16:17], exec, s[16:17]
; %bb.2716:
	v_bfe_u32 v3, v1, 20, 1
	s_mov_b32 s18, 0x407ffff
	v_add3_u32 v1, v1, v3, s18
	v_lshrrev_b32_e32 v3, 20, v1
	v_and_b32_e32 v1, 0xff00000, v1
	s_mov_b32 s18, 0x7f00000
	v_mov_b32_e32 v7, 0x7e
	v_cmp_ne_u32_e32 vcc, s18, v1
	v_cndmask_b32_e32 v3, v7, v3, vcc
                                        ; implicit-def: $vgpr1
; %bb.2717:
	s_andn2_saveexec_b64 s[16:17], s[16:17]
; %bb.2718:
	v_add_f32_e32 v3, 0x46800000, v1
; %bb.2719:
	s_or_b64 exec, exec, s[16:17]
                                        ; implicit-def: $vgpr1
.LBB199_2720:
	s_andn2_saveexec_b64 s[10:11], s[10:11]
; %bb.2721:
	s_mov_b32 s16, 0x7f800000
	v_mov_b32_e32 v3, 0x7e
	v_mov_b32_e32 v7, 0x7f
	v_cmp_lt_u32_e32 vcc, s16, v1
	v_cndmask_b32_e32 v3, v3, v7, vcc
; %bb.2722:
	s_or_b64 exec, exec, s[10:11]
	global_store_byte v[5:6], v3, off
.LBB199_2723:
	s_mov_b64 s[10:11], 0
.LBB199_2724:
	s_andn2_b64 vcc, exec, s[10:11]
	s_cbranch_vccnz .LBB199_2734
; %bb.2725:
	v_cndmask_b32_e64 v1, 0, 1.0, s[2:3]
	s_mov_b32 s10, 0x47800000
	v_cmp_gt_u32_e32 vcc, s10, v1
                                        ; implicit-def: $vgpr3
	s_and_saveexec_b64 s[10:11], vcc
	s_xor_b64 s[10:11], exec, s[10:11]
	s_cbranch_execz .LBB199_2731
; %bb.2726:
	s_mov_b32 s16, 0x387fffff
	v_cmp_lt_u32_e32 vcc, s16, v1
                                        ; implicit-def: $vgpr3
	s_and_saveexec_b64 s[16:17], vcc
	s_xor_b64 s[16:17], exec, s[16:17]
; %bb.2727:
	v_bfe_u32 v3, v1, 21, 1
	s_mov_b32 s18, 0x80fffff
	v_add3_u32 v1, v1, v3, s18
	v_lshrrev_b32_e32 v3, 21, v1
                                        ; implicit-def: $vgpr1
; %bb.2728:
	s_andn2_saveexec_b64 s[16:17], s[16:17]
; %bb.2729:
	v_add_f32_e32 v3, 0x43000000, v1
; %bb.2730:
	s_or_b64 exec, exec, s[16:17]
                                        ; implicit-def: $vgpr1
.LBB199_2731:
	s_andn2_saveexec_b64 s[10:11], s[10:11]
; %bb.2732:
	s_mov_b32 s16, 0x7f800000
	v_mov_b32_e32 v3, 0x7c
	v_mov_b32_e32 v7, 0x7f
	v_cmp_lt_u32_e32 vcc, s16, v1
	v_cndmask_b32_e32 v3, v3, v7, vcc
; %bb.2733:
	s_or_b64 exec, exec, s[10:11]
	global_store_byte v[5:6], v3, off
.LBB199_2734:
	s_mov_b64 s[10:11], 0
	s_mov_b64 s[16:17], -1
.LBB199_2735:
	s_andn2_b64 vcc, exec, s[10:11]
	s_mov_b64 s[10:11], 0
	s_cbranch_vccnz .LBB199_2742
; %bb.2736:
	s_cmp_gt_i32 s23, 14
	s_mov_b64 s[18:19], -1
	s_cbranch_scc0 .LBB199_2740
; %bb.2737:
	s_cmp_eq_u32 s23, 15
	s_mov_b64 s[4:5], -1
	s_cbranch_scc0 .LBB199_2739
; %bb.2738:
	v_cndmask_b32_e64 v1, 0, 1.0, s[2:3]
	v_bfe_u32 v3, v1, 16, 1
	s_movk_i32 s4, 0x7fff
	v_add3_u32 v1, v1, v3, s4
	global_store_short_d16_hi v[5:6], v1, off
	s_mov_b64 s[4:5], 0
	s_mov_b64 s[16:17], -1
.LBB199_2739:
	s_mov_b64 s[18:19], 0
.LBB199_2740:
	s_and_b64 vcc, exec, s[18:19]
	s_cbranch_vccz .LBB199_2742
; %bb.2741:
	s_cmp_lg_u32 s23, 11
	s_mov_b64 s[10:11], -1
	s_cselect_b64 s[4:5], -1, 0
.LBB199_2742:
	s_and_b64 vcc, exec, s[4:5]
	s_cbranch_vccnz .LBB199_3150
; %bb.2743:
	s_andn2_b64 vcc, exec, s[10:11]
	s_cbranch_vccnz .LBB199_2745
.LBB199_2744:
	v_cndmask_b32_e64 v1, 0, 1, s[2:3]
	s_mov_b64 s[16:17], -1
	global_store_byte v[5:6], v1, off
.LBB199_2745:
	s_mov_b64 s[4:5], 0
	s_branch .LBB199_2747
.LBB199_2746:
	s_mov_b64 s[4:5], -1
	s_mov_b64 s[16:17], 0
.LBB199_2747:
	s_and_b64 vcc, exec, s[4:5]
	s_cbranch_vccz .LBB199_2786
; %bb.2748:
	s_and_b32 s10, 0xffff, s22
	s_cmp_lt_i32 s10, 5
	s_mov_b64 s[4:5], -1
	s_cbranch_scc1 .LBB199_2769
; %bb.2749:
	s_cmp_lt_i32 s10, 8
	s_cbranch_scc1 .LBB199_2759
; %bb.2750:
	s_cmp_lt_i32 s10, 9
	s_cbranch_scc1 .LBB199_2756
; %bb.2751:
	s_cmp_gt_i32 s10, 9
	s_cbranch_scc0 .LBB199_2753
; %bb.2752:
	v_cndmask_b32_e64 v1, 0, 1, s[2:3]
	v_cvt_f64_u32_e32 v[19:20], v1
	v_mov_b32_e32 v21, 0
	v_mov_b32_e32 v22, v21
	s_mov_b64 s[4:5], 0
	global_store_dwordx4 v[5:6], v[19:22], off
.LBB199_2753:
	s_andn2_b64 vcc, exec, s[4:5]
	s_cbranch_vccnz .LBB199_2755
; %bb.2754:
	v_cndmask_b32_e64 v7, 0, 1.0, s[2:3]
	v_mov_b32_e32 v8, 0
	global_store_dwordx2 v[5:6], v[7:8], off
.LBB199_2755:
	s_mov_b64 s[4:5], 0
.LBB199_2756:
	s_andn2_b64 vcc, exec, s[4:5]
	s_cbranch_vccnz .LBB199_2758
; %bb.2757:
	v_cndmask_b32_e64 v1, 0, 1.0, s[2:3]
	v_cvt_f16_f32_e32 v1, v1
	global_store_dword v[5:6], v1, off
.LBB199_2758:
	s_mov_b64 s[4:5], 0
.LBB199_2759:
	s_andn2_b64 vcc, exec, s[4:5]
	s_cbranch_vccnz .LBB199_2768
; %bb.2760:
	s_cmp_lt_i32 s10, 6
	s_mov_b64 s[4:5], -1
	s_cbranch_scc1 .LBB199_2766
; %bb.2761:
	s_cmp_gt_i32 s10, 6
	s_cbranch_scc0 .LBB199_2763
; %bb.2762:
	v_cndmask_b32_e64 v1, 0, 1, s[2:3]
	v_cvt_f64_u32_e32 v[7:8], v1
	s_mov_b64 s[4:5], 0
	global_store_dwordx2 v[5:6], v[7:8], off
.LBB199_2763:
	s_andn2_b64 vcc, exec, s[4:5]
	s_cbranch_vccnz .LBB199_2765
; %bb.2764:
	v_cndmask_b32_e64 v1, 0, 1.0, s[2:3]
	global_store_dword v[5:6], v1, off
.LBB199_2765:
	s_mov_b64 s[4:5], 0
.LBB199_2766:
	s_andn2_b64 vcc, exec, s[4:5]
	s_cbranch_vccnz .LBB199_2768
; %bb.2767:
	v_cndmask_b32_e64 v1, 0, 1.0, s[2:3]
	v_cvt_f16_f32_e32 v1, v1
	global_store_short v[5:6], v1, off
.LBB199_2768:
	s_mov_b64 s[4:5], 0
.LBB199_2769:
	s_andn2_b64 vcc, exec, s[4:5]
	s_cbranch_vccnz .LBB199_2785
; %bb.2770:
	s_cmp_lt_i32 s10, 2
	s_mov_b64 s[4:5], -1
	s_cbranch_scc1 .LBB199_2780
; %bb.2771:
	s_cmp_lt_i32 s10, 3
	s_cbranch_scc1 .LBB199_2777
; %bb.2772:
	s_cmp_gt_i32 s10, 3
	s_cbranch_scc0 .LBB199_2774
; %bb.2773:
	s_mov_b32 s4, 0
	v_cndmask_b32_e64 v7, 0, 1, s[2:3]
	v_mov_b32_e32 v8, s4
	global_store_dwordx2 v[5:6], v[7:8], off
	s_mov_b64 s[4:5], 0
.LBB199_2774:
	s_andn2_b64 vcc, exec, s[4:5]
	s_cbranch_vccnz .LBB199_2776
; %bb.2775:
	v_cndmask_b32_e64 v1, 0, 1, s[2:3]
	global_store_dword v[5:6], v1, off
.LBB199_2776:
	s_mov_b64 s[4:5], 0
.LBB199_2777:
	s_andn2_b64 vcc, exec, s[4:5]
	s_cbranch_vccnz .LBB199_2779
; %bb.2778:
	v_cndmask_b32_e64 v1, 0, 1, s[2:3]
	global_store_short v[5:6], v1, off
.LBB199_2779:
	s_mov_b64 s[4:5], 0
.LBB199_2780:
	s_andn2_b64 vcc, exec, s[4:5]
	s_cbranch_vccnz .LBB199_2785
; %bb.2781:
	s_mov_b64 s[4:5], -1
	s_cmp_gt_i32 s10, 0
	v_cndmask_b32_e64 v1, 0, 1, s[2:3]
	s_cbranch_scc0 .LBB199_2783
; %bb.2782:
	global_store_byte v[5:6], v1, off
	s_mov_b64 s[4:5], 0
.LBB199_2783:
	s_andn2_b64 vcc, exec, s[4:5]
	s_cbranch_vccnz .LBB199_2785
; %bb.2784:
	global_store_byte v[5:6], v1, off
.LBB199_2785:
	s_mov_b64 s[16:17], -1
.LBB199_2786:
	s_andn2_b64 vcc, exec, s[16:17]
	s_cbranch_vccnz .LBB199_3101
; %bb.2787:
	v_lshlrev_b32_e32 v1, 16, v18
	v_lshlrev_b32_e32 v3, 16, v16
	v_cmp_eq_f32_e32 vcc, v1, v3
	v_cndmask_b32_e64 v5, 0, 1, vcc
	v_cmp_neq_f32_e32 vcc, v1, v3
	v_cndmask_b32_e64 v1, 0, 1, vcc
	v_cndmask_b32_e64 v1, v1, v5, s[0:1]
	v_and_b32_e32 v1, 1, v1
	v_cmp_eq_u32_e64 s[2:3], 1, v1
	v_mov_b32_e32 v1, s9
	s_and_b32 s23, 0xffff, s22
	v_add_co_u32_e32 v3, vcc, s8, v4
	s_cmp_lt_i32 s23, 11
	v_addc_co_u32_e32 v4, vcc, 0, v1, vcc
	s_cbranch_scc1 .LBB199_2865
; %bb.2788:
	s_mov_b64 s[18:19], -1
	s_mov_b64 s[10:11], 0
	s_cmp_gt_i32 s23, 25
	s_mov_b64 s[16:17], 0
	s_mov_b64 s[4:5], 0
	s_cbranch_scc0 .LBB199_2821
; %bb.2789:
	s_cmp_gt_i32 s23, 28
	s_cbranch_scc0 .LBB199_2804
; %bb.2790:
	s_cmp_gt_i32 s23, 43
	;; [unrolled: 3-line block ×3, first 2 shown]
	s_cbranch_scc0 .LBB199_2794
; %bb.2792:
	s_mov_b64 s[4:5], -1
	s_mov_b64 s[18:19], 0
	s_cmp_eq_u32 s23, 46
	s_cbranch_scc0 .LBB199_2794
; %bb.2793:
	v_cndmask_b32_e64 v1, 0, 1.0, s[2:3]
	v_bfe_u32 v5, v1, 16, 1
	s_movk_i32 s4, 0x7fff
	v_add3_u32 v1, v1, v5, s4
	v_lshrrev_b32_e32 v1, 16, v1
	global_store_dword v[3:4], v1, off
	s_mov_b64 s[4:5], 0
	s_mov_b64 s[16:17], -1
.LBB199_2794:
	s_and_b64 vcc, exec, s[18:19]
	s_cbranch_vccz .LBB199_2799
; %bb.2795:
	s_cmp_eq_u32 s23, 44
	s_mov_b64 s[4:5], -1
	s_cbranch_scc0 .LBB199_2799
; %bb.2796:
	v_cndmask_b32_e64 v5, 0, 1.0, s[2:3]
	v_lshrrev_b32_e32 v1, 23, v5
	s_movk_i32 s4, 0xff
	v_cmp_ne_u32_e32 vcc, s4, v1
	v_mov_b32_e32 v6, 0xff
	s_and_saveexec_b64 s[16:17], vcc
; %bb.2797:
	s_mov_b32 s4, 0x3fffff
	v_and_b32_e32 v6, 0x400000, v5
	v_and_or_b32 v5, v5, s4, v1
	v_cmp_ne_u32_e32 vcc, 0, v6
	v_cmp_ne_u32_e64 s[4:5], 0, v5
	s_and_b64 s[4:5], vcc, s[4:5]
	v_cndmask_b32_e64 v5, 0, 1, s[4:5]
	v_add_u32_e32 v6, v1, v5
; %bb.2798:
	s_or_b64 exec, exec, s[16:17]
	s_mov_b64 s[4:5], 0
	s_mov_b64 s[16:17], -1
	global_store_byte v[3:4], v6, off
.LBB199_2799:
	s_mov_b64 s[18:19], 0
.LBB199_2800:
	s_and_b64 vcc, exec, s[18:19]
	s_cbranch_vccz .LBB199_2803
; %bb.2801:
	s_cmp_eq_u32 s23, 29
	s_mov_b64 s[4:5], -1
	s_cbranch_scc0 .LBB199_2803
; %bb.2802:
	s_mov_b32 s4, 0
	v_cndmask_b32_e64 v5, 0, 1, s[2:3]
	v_mov_b32_e32 v6, s4
	global_store_dwordx2 v[3:4], v[5:6], off
	s_mov_b64 s[4:5], 0
	s_mov_b64 s[16:17], -1
.LBB199_2803:
	s_mov_b64 s[18:19], 0
.LBB199_2804:
	s_and_b64 vcc, exec, s[18:19]
	s_cbranch_vccz .LBB199_2820
; %bb.2805:
	s_cmp_lt_i32 s23, 27
	s_mov_b64 s[16:17], -1
	s_cbranch_scc1 .LBB199_2811
; %bb.2806:
	s_cmp_gt_i32 s23, 27
	s_cbranch_scc0 .LBB199_2808
; %bb.2807:
	v_cndmask_b32_e64 v1, 0, 1, s[2:3]
	s_mov_b64 s[16:17], 0
	global_store_dword v[3:4], v1, off
.LBB199_2808:
	s_andn2_b64 vcc, exec, s[16:17]
	s_cbranch_vccnz .LBB199_2810
; %bb.2809:
	v_cndmask_b32_e64 v1, 0, 1, s[2:3]
	global_store_short v[3:4], v1, off
.LBB199_2810:
	s_mov_b64 s[16:17], 0
.LBB199_2811:
	s_andn2_b64 vcc, exec, s[16:17]
	s_cbranch_vccnz .LBB199_2819
; %bb.2812:
	v_cndmask_b32_e64 v5, 0, 1.0, s[2:3]
	s_mov_b32 s16, 0x43800000
	v_cmp_gt_u32_e32 vcc, s16, v5
	v_mov_b32_e32 v6, 0x80
	s_and_saveexec_b64 s[16:17], vcc
	s_cbranch_execz .LBB199_2818
; %bb.2813:
	s_mov_b32 s18, 0x3bffffff
	v_cmp_lt_u32_e32 vcc, s18, v5
	s_mov_b64 s[18:19], 0
                                        ; implicit-def: $vgpr1
	s_and_saveexec_b64 s[20:21], vcc
	s_xor_b64 s[20:21], exec, s[20:21]
	s_cbranch_execz .LBB199_3153
; %bb.2814:
	v_bfe_u32 v1, v5, 20, 1
	s_mov_b32 s24, 0x487ffff
	v_add3_u32 v1, v5, v1, s24
	s_mov_b64 s[18:19], exec
	v_lshrrev_b32_e32 v1, 20, v1
                                        ; implicit-def: $vgpr5
	s_andn2_saveexec_b64 s[20:21], s[20:21]
	s_cbranch_execnz .LBB199_3154
.LBB199_2815:
	s_or_b64 exec, exec, s[20:21]
	v_mov_b32_e32 v6, 0
	s_and_saveexec_b64 s[20:21], s[18:19]
.LBB199_2816:
	v_mov_b32_e32 v6, v1
.LBB199_2817:
	s_or_b64 exec, exec, s[20:21]
.LBB199_2818:
	s_or_b64 exec, exec, s[16:17]
	global_store_byte v[3:4], v6, off
.LBB199_2819:
	s_mov_b64 s[16:17], -1
.LBB199_2820:
	s_mov_b64 s[18:19], 0
.LBB199_2821:
	s_and_b64 vcc, exec, s[18:19]
	s_cbranch_vccz .LBB199_2861
; %bb.2822:
	s_cmp_gt_i32 s23, 22
	s_mov_b64 s[10:11], -1
	s_cbranch_scc0 .LBB199_2854
; %bb.2823:
	s_cmp_lt_i32 s23, 24
	s_cbranch_scc1 .LBB199_2843
; %bb.2824:
	s_cmp_gt_i32 s23, 24
	s_cbranch_scc0 .LBB199_2832
; %bb.2825:
	v_cndmask_b32_e64 v5, 0, 1.0, s[2:3]
	s_mov_b32 s10, 0x47800000
	v_cmp_gt_u32_e32 vcc, s10, v5
	v_mov_b32_e32 v6, 0x80
	s_and_saveexec_b64 s[10:11], vcc
	s_cbranch_execz .LBB199_2831
; %bb.2826:
	s_mov_b32 s16, 0x37ffffff
	v_cmp_lt_u32_e32 vcc, s16, v5
	s_mov_b64 s[16:17], 0
                                        ; implicit-def: $vgpr1
	s_and_saveexec_b64 s[18:19], vcc
	s_xor_b64 s[18:19], exec, s[18:19]
	s_cbranch_execz .LBB199_3156
; %bb.2827:
	v_bfe_u32 v1, v5, 21, 1
	s_mov_b32 s20, 0x88fffff
	v_add3_u32 v1, v5, v1, s20
	s_mov_b64 s[16:17], exec
	v_lshrrev_b32_e32 v1, 21, v1
                                        ; implicit-def: $vgpr5
	s_andn2_saveexec_b64 s[18:19], s[18:19]
	s_cbranch_execnz .LBB199_3157
.LBB199_2828:
	s_or_b64 exec, exec, s[18:19]
	v_mov_b32_e32 v6, 0
	s_and_saveexec_b64 s[18:19], s[16:17]
.LBB199_2829:
	v_mov_b32_e32 v6, v1
.LBB199_2830:
	s_or_b64 exec, exec, s[18:19]
.LBB199_2831:
	s_or_b64 exec, exec, s[10:11]
	s_mov_b64 s[10:11], 0
	global_store_byte v[3:4], v6, off
.LBB199_2832:
	s_and_b64 vcc, exec, s[10:11]
	s_cbranch_vccz .LBB199_2842
; %bb.2833:
	v_cndmask_b32_e64 v1, 0, 1.0, s[2:3]
	s_mov_b32 s10, 0x43f00000
	v_cmp_gt_u32_e32 vcc, s10, v1
                                        ; implicit-def: $vgpr5
	s_and_saveexec_b64 s[10:11], vcc
	s_xor_b64 s[10:11], exec, s[10:11]
	s_cbranch_execz .LBB199_2839
; %bb.2834:
	s_mov_b32 s16, 0x3c7fffff
	v_cmp_lt_u32_e32 vcc, s16, v1
                                        ; implicit-def: $vgpr5
	s_and_saveexec_b64 s[16:17], vcc
	s_xor_b64 s[16:17], exec, s[16:17]
; %bb.2835:
	v_bfe_u32 v5, v1, 20, 1
	s_mov_b32 s18, 0x407ffff
	v_add3_u32 v1, v1, v5, s18
	v_lshrrev_b32_e32 v5, 20, v1
	v_and_b32_e32 v1, 0xff00000, v1
	s_mov_b32 s18, 0x7f00000
	v_mov_b32_e32 v6, 0x7e
	v_cmp_ne_u32_e32 vcc, s18, v1
	v_cndmask_b32_e32 v5, v6, v5, vcc
                                        ; implicit-def: $vgpr1
; %bb.2836:
	s_andn2_saveexec_b64 s[16:17], s[16:17]
; %bb.2837:
	v_add_f32_e32 v5, 0x46800000, v1
; %bb.2838:
	s_or_b64 exec, exec, s[16:17]
                                        ; implicit-def: $vgpr1
.LBB199_2839:
	s_andn2_saveexec_b64 s[10:11], s[10:11]
; %bb.2840:
	s_mov_b32 s16, 0x7f800000
	v_mov_b32_e32 v5, 0x7e
	v_mov_b32_e32 v6, 0x7f
	v_cmp_lt_u32_e32 vcc, s16, v1
	v_cndmask_b32_e32 v5, v5, v6, vcc
; %bb.2841:
	s_or_b64 exec, exec, s[10:11]
	global_store_byte v[3:4], v5, off
.LBB199_2842:
	s_mov_b64 s[10:11], 0
.LBB199_2843:
	s_andn2_b64 vcc, exec, s[10:11]
	s_cbranch_vccnz .LBB199_2853
; %bb.2844:
	v_cndmask_b32_e64 v1, 0, 1.0, s[2:3]
	s_mov_b32 s10, 0x47800000
	v_cmp_gt_u32_e32 vcc, s10, v1
                                        ; implicit-def: $vgpr5
	s_and_saveexec_b64 s[10:11], vcc
	s_xor_b64 s[10:11], exec, s[10:11]
	s_cbranch_execz .LBB199_2850
; %bb.2845:
	s_mov_b32 s16, 0x387fffff
	v_cmp_lt_u32_e32 vcc, s16, v1
                                        ; implicit-def: $vgpr5
	s_and_saveexec_b64 s[16:17], vcc
	s_xor_b64 s[16:17], exec, s[16:17]
; %bb.2846:
	v_bfe_u32 v5, v1, 21, 1
	s_mov_b32 s18, 0x80fffff
	v_add3_u32 v1, v1, v5, s18
	v_lshrrev_b32_e32 v5, 21, v1
                                        ; implicit-def: $vgpr1
; %bb.2847:
	s_andn2_saveexec_b64 s[16:17], s[16:17]
; %bb.2848:
	v_add_f32_e32 v5, 0x43000000, v1
; %bb.2849:
	s_or_b64 exec, exec, s[16:17]
                                        ; implicit-def: $vgpr1
.LBB199_2850:
	s_andn2_saveexec_b64 s[10:11], s[10:11]
; %bb.2851:
	s_mov_b32 s16, 0x7f800000
	v_mov_b32_e32 v5, 0x7c
	v_mov_b32_e32 v6, 0x7f
	v_cmp_lt_u32_e32 vcc, s16, v1
	v_cndmask_b32_e32 v5, v5, v6, vcc
; %bb.2852:
	s_or_b64 exec, exec, s[10:11]
	global_store_byte v[3:4], v5, off
.LBB199_2853:
	s_mov_b64 s[10:11], 0
	s_mov_b64 s[16:17], -1
.LBB199_2854:
	s_andn2_b64 vcc, exec, s[10:11]
	s_mov_b64 s[10:11], 0
	s_cbranch_vccnz .LBB199_2861
; %bb.2855:
	s_cmp_gt_i32 s23, 14
	s_mov_b64 s[18:19], -1
	s_cbranch_scc0 .LBB199_2859
; %bb.2856:
	s_cmp_eq_u32 s23, 15
	s_mov_b64 s[4:5], -1
	s_cbranch_scc0 .LBB199_2858
; %bb.2857:
	v_cndmask_b32_e64 v1, 0, 1.0, s[2:3]
	v_bfe_u32 v5, v1, 16, 1
	s_movk_i32 s4, 0x7fff
	v_add3_u32 v1, v1, v5, s4
	global_store_short_d16_hi v[3:4], v1, off
	s_mov_b64 s[4:5], 0
	s_mov_b64 s[16:17], -1
.LBB199_2858:
	s_mov_b64 s[18:19], 0
.LBB199_2859:
	s_and_b64 vcc, exec, s[18:19]
	s_cbranch_vccz .LBB199_2861
; %bb.2860:
	s_cmp_lg_u32 s23, 11
	s_mov_b64 s[10:11], -1
	s_cselect_b64 s[4:5], -1, 0
.LBB199_2861:
	s_and_b64 vcc, exec, s[4:5]
	s_cbranch_vccnz .LBB199_3155
; %bb.2862:
	s_andn2_b64 vcc, exec, s[10:11]
	s_cbranch_vccnz .LBB199_2864
.LBB199_2863:
	v_cndmask_b32_e64 v1, 0, 1, s[2:3]
	s_mov_b64 s[16:17], -1
	global_store_byte v[3:4], v1, off
.LBB199_2864:
	s_mov_b64 s[4:5], 0
	s_branch .LBB199_2866
.LBB199_2865:
	s_mov_b64 s[4:5], -1
	s_mov_b64 s[16:17], 0
.LBB199_2866:
	s_and_b64 vcc, exec, s[4:5]
	s_cbranch_vccz .LBB199_2905
; %bb.2867:
	s_cmp_lt_i32 s23, 5
	s_mov_b64 s[4:5], -1
	s_cbranch_scc1 .LBB199_2888
; %bb.2868:
	s_cmp_lt_i32 s23, 8
	s_cbranch_scc1 .LBB199_2878
; %bb.2869:
	s_cmp_lt_i32 s23, 9
	s_cbranch_scc1 .LBB199_2875
; %bb.2870:
	s_cmp_gt_i32 s23, 9
	s_cbranch_scc0 .LBB199_2872
; %bb.2871:
	v_cndmask_b32_e64 v1, 0, 1, s[2:3]
	v_cvt_f64_u32_e32 v[5:6], v1
	v_mov_b32_e32 v7, 0
	v_mov_b32_e32 v8, v7
	s_mov_b64 s[4:5], 0
	global_store_dwordx4 v[3:4], v[5:8], off
.LBB199_2872:
	s_andn2_b64 vcc, exec, s[4:5]
	s_cbranch_vccnz .LBB199_2874
; %bb.2873:
	v_cndmask_b32_e64 v5, 0, 1.0, s[2:3]
	v_mov_b32_e32 v6, 0
	global_store_dwordx2 v[3:4], v[5:6], off
.LBB199_2874:
	s_mov_b64 s[4:5], 0
.LBB199_2875:
	s_andn2_b64 vcc, exec, s[4:5]
	s_cbranch_vccnz .LBB199_2877
; %bb.2876:
	v_cndmask_b32_e64 v1, 0, 1.0, s[2:3]
	v_cvt_f16_f32_e32 v1, v1
	global_store_dword v[3:4], v1, off
.LBB199_2877:
	s_mov_b64 s[4:5], 0
.LBB199_2878:
	s_andn2_b64 vcc, exec, s[4:5]
	s_cbranch_vccnz .LBB199_2887
; %bb.2879:
	s_cmp_lt_i32 s23, 6
	s_mov_b64 s[4:5], -1
	s_cbranch_scc1 .LBB199_2885
; %bb.2880:
	s_cmp_gt_i32 s23, 6
	s_cbranch_scc0 .LBB199_2882
; %bb.2881:
	v_cndmask_b32_e64 v1, 0, 1, s[2:3]
	v_cvt_f64_u32_e32 v[5:6], v1
	s_mov_b64 s[4:5], 0
	global_store_dwordx2 v[3:4], v[5:6], off
.LBB199_2882:
	s_andn2_b64 vcc, exec, s[4:5]
	s_cbranch_vccnz .LBB199_2884
; %bb.2883:
	v_cndmask_b32_e64 v1, 0, 1.0, s[2:3]
	global_store_dword v[3:4], v1, off
.LBB199_2884:
	s_mov_b64 s[4:5], 0
.LBB199_2885:
	s_andn2_b64 vcc, exec, s[4:5]
	s_cbranch_vccnz .LBB199_2887
; %bb.2886:
	v_cndmask_b32_e64 v1, 0, 1.0, s[2:3]
	v_cvt_f16_f32_e32 v1, v1
	global_store_short v[3:4], v1, off
.LBB199_2887:
	s_mov_b64 s[4:5], 0
.LBB199_2888:
	s_andn2_b64 vcc, exec, s[4:5]
	s_cbranch_vccnz .LBB199_2904
; %bb.2889:
	s_cmp_lt_i32 s23, 2
	s_mov_b64 s[4:5], -1
	s_cbranch_scc1 .LBB199_2899
; %bb.2890:
	s_cmp_lt_i32 s23, 3
	s_cbranch_scc1 .LBB199_2896
; %bb.2891:
	s_cmp_gt_i32 s23, 3
	s_cbranch_scc0 .LBB199_2893
; %bb.2892:
	s_mov_b32 s4, 0
	v_cndmask_b32_e64 v5, 0, 1, s[2:3]
	v_mov_b32_e32 v6, s4
	global_store_dwordx2 v[3:4], v[5:6], off
	s_mov_b64 s[4:5], 0
.LBB199_2893:
	s_andn2_b64 vcc, exec, s[4:5]
	s_cbranch_vccnz .LBB199_2895
; %bb.2894:
	v_cndmask_b32_e64 v1, 0, 1, s[2:3]
	global_store_dword v[3:4], v1, off
.LBB199_2895:
	s_mov_b64 s[4:5], 0
.LBB199_2896:
	s_andn2_b64 vcc, exec, s[4:5]
	s_cbranch_vccnz .LBB199_2898
; %bb.2897:
	v_cndmask_b32_e64 v1, 0, 1, s[2:3]
	global_store_short v[3:4], v1, off
.LBB199_2898:
	s_mov_b64 s[4:5], 0
.LBB199_2899:
	s_andn2_b64 vcc, exec, s[4:5]
	s_cbranch_vccnz .LBB199_2904
; %bb.2900:
	s_mov_b64 s[4:5], -1
	s_cmp_gt_i32 s23, 0
	v_cndmask_b32_e64 v1, 0, 1, s[2:3]
	s_cbranch_scc0 .LBB199_2902
; %bb.2901:
	global_store_byte v[3:4], v1, off
	s_mov_b64 s[4:5], 0
.LBB199_2902:
	s_andn2_b64 vcc, exec, s[4:5]
	s_cbranch_vccnz .LBB199_2904
; %bb.2903:
	global_store_byte v[3:4], v1, off
.LBB199_2904:
	s_mov_b64 s[16:17], -1
.LBB199_2905:
	s_andn2_b64 vcc, exec, s[16:17]
	s_cbranch_vccnz .LBB199_3101
; %bb.2906:
	v_lshlrev_b32_e32 v1, 16, v14
	v_lshlrev_b32_e32 v3, 16, v12
	v_cmp_eq_f32_e32 vcc, v1, v3
	v_cndmask_b32_e64 v4, 0, 1, vcc
	v_cmp_neq_f32_e32 vcc, v1, v3
	v_cndmask_b32_e64 v1, 0, 1, vcc
	v_cndmask_b32_e64 v1, v1, v4, s[0:1]
	v_and_b32_e32 v1, 1, v1
	v_cmp_eq_u32_e64 s[2:3], 1, v1
	v_mov_b32_e32 v3, s9
	v_add_co_u32_e32 v1, vcc, s8, v2
	s_cmp_lt_i32 s23, 11
	v_addc_co_u32_e32 v2, vcc, 0, v3, vcc
	s_cbranch_scc1 .LBB199_2984
; %bb.2907:
	s_mov_b64 s[18:19], -1
	s_mov_b64 s[10:11], 0
	s_cmp_gt_i32 s23, 25
	s_mov_b64 s[16:17], 0
	s_mov_b64 s[4:5], 0
	s_cbranch_scc0 .LBB199_2940
; %bb.2908:
	s_cmp_gt_i32 s23, 28
	s_cbranch_scc0 .LBB199_2923
; %bb.2909:
	s_cmp_gt_i32 s23, 43
	;; [unrolled: 3-line block ×3, first 2 shown]
	s_cbranch_scc0 .LBB199_2913
; %bb.2911:
	s_mov_b64 s[4:5], -1
	s_mov_b64 s[18:19], 0
	s_cmp_eq_u32 s23, 46
	s_cbranch_scc0 .LBB199_2913
; %bb.2912:
	v_cndmask_b32_e64 v3, 0, 1.0, s[2:3]
	v_bfe_u32 v4, v3, 16, 1
	s_movk_i32 s4, 0x7fff
	v_add3_u32 v3, v3, v4, s4
	v_lshrrev_b32_e32 v3, 16, v3
	global_store_dword v[1:2], v3, off
	s_mov_b64 s[4:5], 0
	s_mov_b64 s[16:17], -1
.LBB199_2913:
	s_and_b64 vcc, exec, s[18:19]
	s_cbranch_vccz .LBB199_2918
; %bb.2914:
	s_cmp_eq_u32 s23, 44
	s_mov_b64 s[4:5], -1
	s_cbranch_scc0 .LBB199_2918
; %bb.2915:
	v_cndmask_b32_e64 v4, 0, 1.0, s[2:3]
	v_lshrrev_b32_e32 v3, 23, v4
	s_movk_i32 s4, 0xff
	v_cmp_ne_u32_e32 vcc, s4, v3
	v_mov_b32_e32 v5, 0xff
	s_and_saveexec_b64 s[16:17], vcc
; %bb.2916:
	s_mov_b32 s4, 0x3fffff
	v_and_b32_e32 v5, 0x400000, v4
	v_and_or_b32 v4, v4, s4, v3
	v_cmp_ne_u32_e32 vcc, 0, v5
	v_cmp_ne_u32_e64 s[4:5], 0, v4
	s_and_b64 s[4:5], vcc, s[4:5]
	v_cndmask_b32_e64 v4, 0, 1, s[4:5]
	v_add_u32_e32 v5, v3, v4
; %bb.2917:
	s_or_b64 exec, exec, s[16:17]
	s_mov_b64 s[4:5], 0
	s_mov_b64 s[16:17], -1
	global_store_byte v[1:2], v5, off
.LBB199_2918:
	s_mov_b64 s[18:19], 0
.LBB199_2919:
	s_and_b64 vcc, exec, s[18:19]
	s_cbranch_vccz .LBB199_2922
; %bb.2920:
	s_cmp_eq_u32 s23, 29
	s_mov_b64 s[4:5], -1
	s_cbranch_scc0 .LBB199_2922
; %bb.2921:
	s_mov_b32 s4, 0
	v_cndmask_b32_e64 v3, 0, 1, s[2:3]
	v_mov_b32_e32 v4, s4
	global_store_dwordx2 v[1:2], v[3:4], off
	s_mov_b64 s[4:5], 0
	s_mov_b64 s[16:17], -1
.LBB199_2922:
	s_mov_b64 s[18:19], 0
.LBB199_2923:
	s_and_b64 vcc, exec, s[18:19]
	s_cbranch_vccz .LBB199_2939
; %bb.2924:
	s_cmp_lt_i32 s23, 27
	s_mov_b64 s[16:17], -1
	s_cbranch_scc1 .LBB199_2930
; %bb.2925:
	s_cmp_gt_i32 s23, 27
	s_cbranch_scc0 .LBB199_2927
; %bb.2926:
	v_cndmask_b32_e64 v3, 0, 1, s[2:3]
	s_mov_b64 s[16:17], 0
	global_store_dword v[1:2], v3, off
.LBB199_2927:
	s_andn2_b64 vcc, exec, s[16:17]
	s_cbranch_vccnz .LBB199_2929
; %bb.2928:
	v_cndmask_b32_e64 v3, 0, 1, s[2:3]
	global_store_short v[1:2], v3, off
.LBB199_2929:
	s_mov_b64 s[16:17], 0
.LBB199_2930:
	s_andn2_b64 vcc, exec, s[16:17]
	s_cbranch_vccnz .LBB199_2938
; %bb.2931:
	v_cndmask_b32_e64 v4, 0, 1.0, s[2:3]
	s_mov_b32 s16, 0x43800000
	v_cmp_gt_u32_e32 vcc, s16, v4
	v_mov_b32_e32 v5, 0x80
	s_and_saveexec_b64 s[16:17], vcc
	s_cbranch_execz .LBB199_2937
; %bb.2932:
	s_mov_b32 s18, 0x3bffffff
	v_cmp_lt_u32_e32 vcc, s18, v4
	s_mov_b64 s[18:19], 0
                                        ; implicit-def: $vgpr3
	s_and_saveexec_b64 s[20:21], vcc
	s_xor_b64 s[20:21], exec, s[20:21]
	s_cbranch_execz .LBB199_3158
; %bb.2933:
	v_bfe_u32 v3, v4, 20, 1
	s_mov_b32 s24, 0x487ffff
	v_add3_u32 v3, v4, v3, s24
	s_mov_b64 s[18:19], exec
	v_lshrrev_b32_e32 v3, 20, v3
                                        ; implicit-def: $vgpr4
	s_andn2_saveexec_b64 s[20:21], s[20:21]
	s_cbranch_execnz .LBB199_3159
.LBB199_2934:
	s_or_b64 exec, exec, s[20:21]
	v_mov_b32_e32 v5, 0
	s_and_saveexec_b64 s[20:21], s[18:19]
.LBB199_2935:
	v_mov_b32_e32 v5, v3
.LBB199_2936:
	s_or_b64 exec, exec, s[20:21]
.LBB199_2937:
	s_or_b64 exec, exec, s[16:17]
	global_store_byte v[1:2], v5, off
.LBB199_2938:
	s_mov_b64 s[16:17], -1
.LBB199_2939:
	s_mov_b64 s[18:19], 0
.LBB199_2940:
	s_and_b64 vcc, exec, s[18:19]
	s_cbranch_vccz .LBB199_2980
; %bb.2941:
	s_cmp_gt_i32 s23, 22
	s_mov_b64 s[10:11], -1
	s_cbranch_scc0 .LBB199_2973
; %bb.2942:
	s_cmp_lt_i32 s23, 24
	s_cbranch_scc1 .LBB199_2962
; %bb.2943:
	s_cmp_gt_i32 s23, 24
	s_cbranch_scc0 .LBB199_2951
; %bb.2944:
	v_cndmask_b32_e64 v4, 0, 1.0, s[2:3]
	s_mov_b32 s10, 0x47800000
	v_cmp_gt_u32_e32 vcc, s10, v4
	v_mov_b32_e32 v5, 0x80
	s_and_saveexec_b64 s[10:11], vcc
	s_cbranch_execz .LBB199_2950
; %bb.2945:
	s_mov_b32 s16, 0x37ffffff
	v_cmp_lt_u32_e32 vcc, s16, v4
	s_mov_b64 s[16:17], 0
                                        ; implicit-def: $vgpr3
	s_and_saveexec_b64 s[18:19], vcc
	s_xor_b64 s[18:19], exec, s[18:19]
	s_cbranch_execz .LBB199_3161
; %bb.2946:
	v_bfe_u32 v3, v4, 21, 1
	s_mov_b32 s20, 0x88fffff
	v_add3_u32 v3, v4, v3, s20
	s_mov_b64 s[16:17], exec
	v_lshrrev_b32_e32 v3, 21, v3
                                        ; implicit-def: $vgpr4
	s_andn2_saveexec_b64 s[18:19], s[18:19]
	s_cbranch_execnz .LBB199_3162
.LBB199_2947:
	s_or_b64 exec, exec, s[18:19]
	v_mov_b32_e32 v5, 0
	s_and_saveexec_b64 s[18:19], s[16:17]
.LBB199_2948:
	v_mov_b32_e32 v5, v3
.LBB199_2949:
	s_or_b64 exec, exec, s[18:19]
.LBB199_2950:
	s_or_b64 exec, exec, s[10:11]
	s_mov_b64 s[10:11], 0
	global_store_byte v[1:2], v5, off
.LBB199_2951:
	s_and_b64 vcc, exec, s[10:11]
	s_cbranch_vccz .LBB199_2961
; %bb.2952:
	v_cndmask_b32_e64 v3, 0, 1.0, s[2:3]
	s_mov_b32 s10, 0x43f00000
	v_cmp_gt_u32_e32 vcc, s10, v3
                                        ; implicit-def: $vgpr4
	s_and_saveexec_b64 s[10:11], vcc
	s_xor_b64 s[10:11], exec, s[10:11]
	s_cbranch_execz .LBB199_2958
; %bb.2953:
	s_mov_b32 s16, 0x3c7fffff
	v_cmp_lt_u32_e32 vcc, s16, v3
                                        ; implicit-def: $vgpr4
	s_and_saveexec_b64 s[16:17], vcc
	s_xor_b64 s[16:17], exec, s[16:17]
; %bb.2954:
	v_bfe_u32 v4, v3, 20, 1
	s_mov_b32 s18, 0x407ffff
	v_add3_u32 v3, v3, v4, s18
	v_lshrrev_b32_e32 v4, 20, v3
	v_and_b32_e32 v3, 0xff00000, v3
	s_mov_b32 s18, 0x7f00000
	v_mov_b32_e32 v5, 0x7e
	v_cmp_ne_u32_e32 vcc, s18, v3
	v_cndmask_b32_e32 v4, v5, v4, vcc
                                        ; implicit-def: $vgpr3
; %bb.2955:
	s_andn2_saveexec_b64 s[16:17], s[16:17]
; %bb.2956:
	v_add_f32_e32 v4, 0x46800000, v3
; %bb.2957:
	s_or_b64 exec, exec, s[16:17]
                                        ; implicit-def: $vgpr3
.LBB199_2958:
	s_andn2_saveexec_b64 s[10:11], s[10:11]
; %bb.2959:
	s_mov_b32 s16, 0x7f800000
	v_mov_b32_e32 v4, 0x7e
	v_mov_b32_e32 v5, 0x7f
	v_cmp_lt_u32_e32 vcc, s16, v3
	v_cndmask_b32_e32 v4, v4, v5, vcc
; %bb.2960:
	s_or_b64 exec, exec, s[10:11]
	global_store_byte v[1:2], v4, off
.LBB199_2961:
	s_mov_b64 s[10:11], 0
.LBB199_2962:
	s_andn2_b64 vcc, exec, s[10:11]
	s_cbranch_vccnz .LBB199_2972
; %bb.2963:
	v_cndmask_b32_e64 v3, 0, 1.0, s[2:3]
	s_mov_b32 s10, 0x47800000
	v_cmp_gt_u32_e32 vcc, s10, v3
                                        ; implicit-def: $vgpr4
	s_and_saveexec_b64 s[10:11], vcc
	s_xor_b64 s[10:11], exec, s[10:11]
	s_cbranch_execz .LBB199_2969
; %bb.2964:
	s_mov_b32 s16, 0x387fffff
	v_cmp_lt_u32_e32 vcc, s16, v3
                                        ; implicit-def: $vgpr4
	s_and_saveexec_b64 s[16:17], vcc
	s_xor_b64 s[16:17], exec, s[16:17]
; %bb.2965:
	v_bfe_u32 v4, v3, 21, 1
	s_mov_b32 s18, 0x80fffff
	v_add3_u32 v3, v3, v4, s18
	v_lshrrev_b32_e32 v4, 21, v3
                                        ; implicit-def: $vgpr3
; %bb.2966:
	s_andn2_saveexec_b64 s[16:17], s[16:17]
; %bb.2967:
	v_add_f32_e32 v4, 0x43000000, v3
; %bb.2968:
	s_or_b64 exec, exec, s[16:17]
                                        ; implicit-def: $vgpr3
.LBB199_2969:
	s_andn2_saveexec_b64 s[10:11], s[10:11]
; %bb.2970:
	s_mov_b32 s16, 0x7f800000
	v_mov_b32_e32 v4, 0x7c
	v_mov_b32_e32 v5, 0x7f
	v_cmp_lt_u32_e32 vcc, s16, v3
	v_cndmask_b32_e32 v4, v4, v5, vcc
; %bb.2971:
	s_or_b64 exec, exec, s[10:11]
	global_store_byte v[1:2], v4, off
.LBB199_2972:
	s_mov_b64 s[10:11], 0
	s_mov_b64 s[16:17], -1
.LBB199_2973:
	s_andn2_b64 vcc, exec, s[10:11]
	s_mov_b64 s[10:11], 0
	s_cbranch_vccnz .LBB199_2980
; %bb.2974:
	s_cmp_gt_i32 s23, 14
	s_mov_b64 s[18:19], -1
	s_cbranch_scc0 .LBB199_2978
; %bb.2975:
	s_cmp_eq_u32 s23, 15
	s_mov_b64 s[4:5], -1
	s_cbranch_scc0 .LBB199_2977
; %bb.2976:
	v_cndmask_b32_e64 v3, 0, 1.0, s[2:3]
	v_bfe_u32 v4, v3, 16, 1
	s_movk_i32 s4, 0x7fff
	v_add3_u32 v3, v3, v4, s4
	global_store_short_d16_hi v[1:2], v3, off
	s_mov_b64 s[4:5], 0
	s_mov_b64 s[16:17], -1
.LBB199_2977:
	s_mov_b64 s[18:19], 0
.LBB199_2978:
	s_and_b64 vcc, exec, s[18:19]
	s_cbranch_vccz .LBB199_2980
; %bb.2979:
	s_cmp_lg_u32 s23, 11
	s_mov_b64 s[10:11], -1
	s_cselect_b64 s[4:5], -1, 0
.LBB199_2980:
	s_and_b64 vcc, exec, s[4:5]
	s_cbranch_vccnz .LBB199_3160
; %bb.2981:
	s_andn2_b64 vcc, exec, s[10:11]
	s_cbranch_vccnz .LBB199_2983
.LBB199_2982:
	v_cndmask_b32_e64 v3, 0, 1, s[2:3]
	s_mov_b64 s[16:17], -1
	global_store_byte v[1:2], v3, off
.LBB199_2983:
	s_mov_b64 s[4:5], 0
	s_branch .LBB199_2985
.LBB199_2984:
	s_mov_b64 s[4:5], -1
	s_mov_b64 s[16:17], 0
.LBB199_2985:
	s_and_b64 vcc, exec, s[4:5]
	s_cbranch_vccz .LBB199_3024
; %bb.2986:
	s_cmp_lt_i32 s23, 5
	s_mov_b64 s[4:5], -1
	s_cbranch_scc1 .LBB199_3007
; %bb.2987:
	s_cmp_lt_i32 s23, 8
	s_cbranch_scc1 .LBB199_2997
; %bb.2988:
	s_cmp_lt_i32 s23, 9
	s_cbranch_scc1 .LBB199_2994
; %bb.2989:
	s_cmp_gt_i32 s23, 9
	s_cbranch_scc0 .LBB199_2991
; %bb.2990:
	v_cndmask_b32_e64 v3, 0, 1, s[2:3]
	v_cvt_f64_u32_e32 v[3:4], v3
	v_mov_b32_e32 v5, 0
	v_mov_b32_e32 v6, v5
	s_mov_b64 s[4:5], 0
	global_store_dwordx4 v[1:2], v[3:6], off
.LBB199_2991:
	s_andn2_b64 vcc, exec, s[4:5]
	s_cbranch_vccnz .LBB199_2993
; %bb.2992:
	v_cndmask_b32_e64 v3, 0, 1.0, s[2:3]
	v_mov_b32_e32 v4, 0
	global_store_dwordx2 v[1:2], v[3:4], off
.LBB199_2993:
	s_mov_b64 s[4:5], 0
.LBB199_2994:
	s_andn2_b64 vcc, exec, s[4:5]
	s_cbranch_vccnz .LBB199_2996
; %bb.2995:
	v_cndmask_b32_e64 v3, 0, 1.0, s[2:3]
	v_cvt_f16_f32_e32 v3, v3
	global_store_dword v[1:2], v3, off
.LBB199_2996:
	s_mov_b64 s[4:5], 0
.LBB199_2997:
	s_andn2_b64 vcc, exec, s[4:5]
	s_cbranch_vccnz .LBB199_3006
; %bb.2998:
	s_cmp_lt_i32 s23, 6
	s_mov_b64 s[4:5], -1
	s_cbranch_scc1 .LBB199_3004
; %bb.2999:
	s_cmp_gt_i32 s23, 6
	s_cbranch_scc0 .LBB199_3001
; %bb.3000:
	v_cndmask_b32_e64 v3, 0, 1, s[2:3]
	v_cvt_f64_u32_e32 v[3:4], v3
	s_mov_b64 s[4:5], 0
	global_store_dwordx2 v[1:2], v[3:4], off
.LBB199_3001:
	s_andn2_b64 vcc, exec, s[4:5]
	s_cbranch_vccnz .LBB199_3003
; %bb.3002:
	v_cndmask_b32_e64 v3, 0, 1.0, s[2:3]
	global_store_dword v[1:2], v3, off
.LBB199_3003:
	s_mov_b64 s[4:5], 0
.LBB199_3004:
	s_andn2_b64 vcc, exec, s[4:5]
	s_cbranch_vccnz .LBB199_3006
; %bb.3005:
	v_cndmask_b32_e64 v3, 0, 1.0, s[2:3]
	v_cvt_f16_f32_e32 v3, v3
	global_store_short v[1:2], v3, off
.LBB199_3006:
	s_mov_b64 s[4:5], 0
.LBB199_3007:
	s_andn2_b64 vcc, exec, s[4:5]
	s_cbranch_vccnz .LBB199_3023
; %bb.3008:
	s_cmp_lt_i32 s23, 2
	s_mov_b64 s[4:5], -1
	s_cbranch_scc1 .LBB199_3018
; %bb.3009:
	s_cmp_lt_i32 s23, 3
	s_cbranch_scc1 .LBB199_3015
; %bb.3010:
	s_cmp_gt_i32 s23, 3
	s_cbranch_scc0 .LBB199_3012
; %bb.3011:
	s_mov_b32 s4, 0
	v_cndmask_b32_e64 v3, 0, 1, s[2:3]
	v_mov_b32_e32 v4, s4
	global_store_dwordx2 v[1:2], v[3:4], off
	s_mov_b64 s[4:5], 0
.LBB199_3012:
	s_andn2_b64 vcc, exec, s[4:5]
	s_cbranch_vccnz .LBB199_3014
; %bb.3013:
	v_cndmask_b32_e64 v3, 0, 1, s[2:3]
	global_store_dword v[1:2], v3, off
.LBB199_3014:
	s_mov_b64 s[4:5], 0
.LBB199_3015:
	s_andn2_b64 vcc, exec, s[4:5]
	s_cbranch_vccnz .LBB199_3017
; %bb.3016:
	v_cndmask_b32_e64 v3, 0, 1, s[2:3]
	global_store_short v[1:2], v3, off
.LBB199_3017:
	s_mov_b64 s[4:5], 0
.LBB199_3018:
	s_andn2_b64 vcc, exec, s[4:5]
	s_cbranch_vccnz .LBB199_3023
; %bb.3019:
	s_cmp_gt_i32 s23, 0
	s_mov_b64 s[4:5], -1
	s_cbranch_scc0 .LBB199_3021
; %bb.3020:
	v_cndmask_b32_e64 v3, 0, 1, s[2:3]
	global_store_byte v[1:2], v3, off
	s_mov_b64 s[4:5], 0
.LBB199_3021:
	s_andn2_b64 vcc, exec, s[4:5]
	s_cbranch_vccnz .LBB199_3023
; %bb.3022:
	v_cndmask_b32_e64 v3, 0, 1, s[2:3]
	global_store_byte v[1:2], v3, off
.LBB199_3023:
	s_mov_b64 s[16:17], -1
.LBB199_3024:
	s_andn2_b64 vcc, exec, s[16:17]
	s_cbranch_vccnz .LBB199_3101
; %bb.3025:
	v_lshlrev_b32_e32 v1, 16, v10
	v_lshlrev_b32_e32 v2, 16, v9
	v_cmp_eq_f32_e32 vcc, v1, v2
	v_cndmask_b32_e64 v3, 0, 1, vcc
	v_cmp_neq_f32_e32 vcc, v1, v2
	v_cndmask_b32_e64 v1, 0, 1, vcc
	v_cndmask_b32_e64 v1, v1, v3, s[0:1]
	v_and_b32_e32 v1, 1, v1
	v_cmp_eq_u32_e64 s[2:3], 1, v1
	v_mov_b32_e32 v1, s9
	v_add_co_u32_e32 v0, vcc, s8, v0
	s_cmp_lt_i32 s23, 11
	v_addc_co_u32_e32 v1, vcc, 0, v1, vcc
	s_cbranch_scc1 .LBB199_3146
; %bb.3026:
	s_mov_b64 s[8:9], -1
	s_mov_b64 s[4:5], 0
	s_cmp_gt_i32 s23, 25
	s_mov_b64 s[0:1], 0
	s_cbranch_scc0 .LBB199_3059
; %bb.3027:
	s_cmp_gt_i32 s23, 28
	s_cbranch_scc0 .LBB199_3043
; %bb.3028:
	s_cmp_gt_i32 s23, 43
	;; [unrolled: 3-line block ×3, first 2 shown]
	s_cbranch_scc0 .LBB199_3033
; %bb.3030:
	s_cmp_eq_u32 s23, 46
	s_mov_b64 s[0:1], -1
	s_cbranch_scc0 .LBB199_3032
; %bb.3031:
	v_cndmask_b32_e64 v2, 0, 1.0, s[2:3]
	v_bfe_u32 v3, v2, 16, 1
	s_movk_i32 s0, 0x7fff
	v_add3_u32 v2, v2, v3, s0
	v_lshrrev_b32_e32 v2, 16, v2
	global_store_dword v[0:1], v2, off
	s_mov_b64 s[0:1], 0
.LBB199_3032:
	s_mov_b64 s[8:9], 0
.LBB199_3033:
	s_and_b64 vcc, exec, s[8:9]
	s_cbranch_vccz .LBB199_3038
; %bb.3034:
	s_cmp_eq_u32 s23, 44
	s_mov_b64 s[0:1], -1
	s_cbranch_scc0 .LBB199_3038
; %bb.3035:
	v_cndmask_b32_e64 v3, 0, 1.0, s[2:3]
	v_lshrrev_b32_e32 v2, 23, v3
	s_movk_i32 s0, 0xff
	v_cmp_ne_u32_e32 vcc, s0, v2
	v_mov_b32_e32 v4, 0xff
	s_and_saveexec_b64 s[8:9], vcc
; %bb.3036:
	s_mov_b32 s0, 0x3fffff
	v_and_b32_e32 v4, 0x400000, v3
	v_and_or_b32 v3, v3, s0, v2
	v_cmp_ne_u32_e32 vcc, 0, v4
	v_cmp_ne_u32_e64 s[0:1], 0, v3
	s_and_b64 s[0:1], vcc, s[0:1]
	v_cndmask_b32_e64 v3, 0, 1, s[0:1]
	v_add_u32_e32 v4, v2, v3
; %bb.3037:
	s_or_b64 exec, exec, s[8:9]
	s_mov_b64 s[0:1], 0
	global_store_byte v[0:1], v4, off
.LBB199_3038:
	s_mov_b64 s[8:9], 0
.LBB199_3039:
	s_and_b64 vcc, exec, s[8:9]
	s_cbranch_vccz .LBB199_3042
; %bb.3040:
	s_cmp_eq_u32 s23, 29
	s_mov_b64 s[0:1], -1
	s_cbranch_scc0 .LBB199_3042
; %bb.3041:
	s_mov_b32 s0, 0
	v_cndmask_b32_e64 v2, 0, 1, s[2:3]
	v_mov_b32_e32 v3, s0
	global_store_dwordx2 v[0:1], v[2:3], off
	s_mov_b64 s[0:1], 0
.LBB199_3042:
	s_mov_b64 s[8:9], 0
.LBB199_3043:
	s_and_b64 vcc, exec, s[8:9]
	s_cbranch_vccz .LBB199_3058
; %bb.3044:
	s_cmp_lt_i32 s23, 27
	s_mov_b64 s[8:9], -1
	s_cbranch_scc1 .LBB199_3050
; %bb.3045:
	s_cmp_gt_i32 s23, 27
	v_cndmask_b32_e64 v2, 0, 1, s[2:3]
	s_cbranch_scc0 .LBB199_3047
; %bb.3046:
	global_store_dword v[0:1], v2, off
	s_mov_b64 s[8:9], 0
.LBB199_3047:
	s_andn2_b64 vcc, exec, s[8:9]
	s_cbranch_vccnz .LBB199_3049
; %bb.3048:
	global_store_short v[0:1], v2, off
.LBB199_3049:
	s_mov_b64 s[8:9], 0
.LBB199_3050:
	s_andn2_b64 vcc, exec, s[8:9]
	s_cbranch_vccnz .LBB199_3058
; %bb.3051:
	v_cndmask_b32_e64 v3, 0, 1.0, s[2:3]
	s_mov_b32 s8, 0x43800000
	v_cmp_gt_u32_e32 vcc, s8, v3
	v_mov_b32_e32 v4, 0x80
	s_and_saveexec_b64 s[8:9], vcc
	s_cbranch_execz .LBB199_3057
; %bb.3052:
	s_mov_b32 s10, 0x3bffffff
	v_cmp_lt_u32_e32 vcc, s10, v3
	s_mov_b64 s[10:11], 0
                                        ; implicit-def: $vgpr2
	s_and_saveexec_b64 s[16:17], vcc
	s_xor_b64 s[16:17], exec, s[16:17]
	s_cbranch_execz .LBB199_3163
; %bb.3053:
	v_bfe_u32 v2, v3, 20, 1
	s_mov_b32 s18, 0x487ffff
	v_add3_u32 v2, v3, v2, s18
	s_mov_b64 s[10:11], exec
	v_lshrrev_b32_e32 v2, 20, v2
                                        ; implicit-def: $vgpr3
	s_andn2_saveexec_b64 s[16:17], s[16:17]
	s_cbranch_execnz .LBB199_3164
.LBB199_3054:
	s_or_b64 exec, exec, s[16:17]
	v_mov_b32_e32 v4, 0
	s_and_saveexec_b64 s[16:17], s[10:11]
.LBB199_3055:
	v_mov_b32_e32 v4, v2
.LBB199_3056:
	s_or_b64 exec, exec, s[16:17]
.LBB199_3057:
	s_or_b64 exec, exec, s[8:9]
	global_store_byte v[0:1], v4, off
.LBB199_3058:
	s_mov_b64 s[8:9], 0
.LBB199_3059:
	s_and_b64 vcc, exec, s[8:9]
	s_cbranch_vccz .LBB199_3099
; %bb.3060:
	s_cmp_gt_i32 s23, 22
	s_mov_b64 s[4:5], -1
	s_cbranch_scc0 .LBB199_3092
; %bb.3061:
	s_cmp_lt_i32 s23, 24
	s_cbranch_scc1 .LBB199_3081
; %bb.3062:
	s_cmp_gt_i32 s23, 24
	s_cbranch_scc0 .LBB199_3070
; %bb.3063:
	v_cndmask_b32_e64 v3, 0, 1.0, s[2:3]
	s_mov_b32 s4, 0x47800000
	v_cmp_gt_u32_e32 vcc, s4, v3
	v_mov_b32_e32 v4, 0x80
	s_and_saveexec_b64 s[4:5], vcc
	s_cbranch_execz .LBB199_3069
; %bb.3064:
	s_mov_b32 s8, 0x37ffffff
	v_cmp_lt_u32_e32 vcc, s8, v3
	s_mov_b64 s[8:9], 0
                                        ; implicit-def: $vgpr2
	s_and_saveexec_b64 s[10:11], vcc
	s_xor_b64 s[10:11], exec, s[10:11]
	s_cbranch_execz .LBB199_3166
; %bb.3065:
	v_bfe_u32 v2, v3, 21, 1
	s_mov_b32 s16, 0x88fffff
	v_add3_u32 v2, v3, v2, s16
	s_mov_b64 s[8:9], exec
	v_lshrrev_b32_e32 v2, 21, v2
                                        ; implicit-def: $vgpr3
	s_andn2_saveexec_b64 s[10:11], s[10:11]
	s_cbranch_execnz .LBB199_3167
.LBB199_3066:
	s_or_b64 exec, exec, s[10:11]
	v_mov_b32_e32 v4, 0
	s_and_saveexec_b64 s[10:11], s[8:9]
.LBB199_3067:
	v_mov_b32_e32 v4, v2
.LBB199_3068:
	s_or_b64 exec, exec, s[10:11]
.LBB199_3069:
	s_or_b64 exec, exec, s[4:5]
	s_mov_b64 s[4:5], 0
	global_store_byte v[0:1], v4, off
.LBB199_3070:
	s_and_b64 vcc, exec, s[4:5]
	s_cbranch_vccz .LBB199_3080
; %bb.3071:
	v_cndmask_b32_e64 v2, 0, 1.0, s[2:3]
	s_mov_b32 s4, 0x43f00000
	v_cmp_gt_u32_e32 vcc, s4, v2
                                        ; implicit-def: $vgpr3
	s_and_saveexec_b64 s[4:5], vcc
	s_xor_b64 s[4:5], exec, s[4:5]
	s_cbranch_execz .LBB199_3077
; %bb.3072:
	s_mov_b32 s8, 0x3c7fffff
	v_cmp_lt_u32_e32 vcc, s8, v2
                                        ; implicit-def: $vgpr3
	s_and_saveexec_b64 s[8:9], vcc
	s_xor_b64 s[8:9], exec, s[8:9]
; %bb.3073:
	v_bfe_u32 v3, v2, 20, 1
	s_mov_b32 s10, 0x407ffff
	v_add3_u32 v2, v2, v3, s10
	v_lshrrev_b32_e32 v3, 20, v2
	v_and_b32_e32 v2, 0xff00000, v2
	s_mov_b32 s10, 0x7f00000
	v_mov_b32_e32 v4, 0x7e
	v_cmp_ne_u32_e32 vcc, s10, v2
	v_cndmask_b32_e32 v3, v4, v3, vcc
                                        ; implicit-def: $vgpr2
; %bb.3074:
	s_andn2_saveexec_b64 s[8:9], s[8:9]
; %bb.3075:
	v_add_f32_e32 v3, 0x46800000, v2
; %bb.3076:
	s_or_b64 exec, exec, s[8:9]
                                        ; implicit-def: $vgpr2
.LBB199_3077:
	s_andn2_saveexec_b64 s[4:5], s[4:5]
; %bb.3078:
	s_mov_b32 s8, 0x7f800000
	v_mov_b32_e32 v3, 0x7e
	v_mov_b32_e32 v4, 0x7f
	v_cmp_lt_u32_e32 vcc, s8, v2
	v_cndmask_b32_e32 v3, v3, v4, vcc
; %bb.3079:
	s_or_b64 exec, exec, s[4:5]
	global_store_byte v[0:1], v3, off
.LBB199_3080:
	s_mov_b64 s[4:5], 0
.LBB199_3081:
	s_andn2_b64 vcc, exec, s[4:5]
	s_cbranch_vccnz .LBB199_3091
; %bb.3082:
	v_cndmask_b32_e64 v2, 0, 1.0, s[2:3]
	s_mov_b32 s4, 0x47800000
	v_cmp_gt_u32_e32 vcc, s4, v2
                                        ; implicit-def: $vgpr3
	s_and_saveexec_b64 s[4:5], vcc
	s_xor_b64 s[4:5], exec, s[4:5]
	s_cbranch_execz .LBB199_3088
; %bb.3083:
	s_mov_b32 s8, 0x387fffff
	v_cmp_lt_u32_e32 vcc, s8, v2
                                        ; implicit-def: $vgpr3
	s_and_saveexec_b64 s[8:9], vcc
	s_xor_b64 s[8:9], exec, s[8:9]
; %bb.3084:
	v_bfe_u32 v3, v2, 21, 1
	s_mov_b32 s10, 0x80fffff
	v_add3_u32 v2, v2, v3, s10
	v_lshrrev_b32_e32 v3, 21, v2
                                        ; implicit-def: $vgpr2
; %bb.3085:
	s_andn2_saveexec_b64 s[8:9], s[8:9]
; %bb.3086:
	v_add_f32_e32 v3, 0x43000000, v2
; %bb.3087:
	s_or_b64 exec, exec, s[8:9]
                                        ; implicit-def: $vgpr2
.LBB199_3088:
	s_andn2_saveexec_b64 s[4:5], s[4:5]
; %bb.3089:
	s_mov_b32 s8, 0x7f800000
	v_mov_b32_e32 v3, 0x7c
	v_mov_b32_e32 v4, 0x7f
	v_cmp_lt_u32_e32 vcc, s8, v2
	v_cndmask_b32_e32 v3, v3, v4, vcc
; %bb.3090:
	s_or_b64 exec, exec, s[4:5]
	global_store_byte v[0:1], v3, off
.LBB199_3091:
	s_mov_b64 s[4:5], 0
.LBB199_3092:
	s_andn2_b64 vcc, exec, s[4:5]
	s_mov_b64 s[4:5], 0
	s_cbranch_vccnz .LBB199_3099
; %bb.3093:
	s_cmp_gt_i32 s23, 14
	s_mov_b64 s[8:9], -1
	s_cbranch_scc0 .LBB199_3097
; %bb.3094:
	s_cmp_eq_u32 s23, 15
	s_mov_b64 s[0:1], -1
	s_cbranch_scc0 .LBB199_3096
; %bb.3095:
	v_cndmask_b32_e64 v2, 0, 1.0, s[2:3]
	v_bfe_u32 v3, v2, 16, 1
	s_movk_i32 s0, 0x7fff
	v_add3_u32 v2, v2, v3, s0
	global_store_short_d16_hi v[0:1], v2, off
	s_mov_b64 s[0:1], 0
.LBB199_3096:
	s_mov_b64 s[8:9], 0
.LBB199_3097:
	s_and_b64 vcc, exec, s[8:9]
	s_cbranch_vccz .LBB199_3099
; %bb.3098:
	s_cmp_lg_u32 s23, 11
	s_mov_b64 s[4:5], -1
	s_cselect_b64 s[0:1], -1, 0
.LBB199_3099:
	s_and_b64 vcc, exec, s[0:1]
	s_cbranch_vccnz .LBB199_3165
.LBB199_3100:
	s_mov_b64 s[0:1], 0
	s_branch .LBB199_3102
.LBB199_3101:
	s_mov_b64 s[0:1], 0
	s_mov_b64 s[4:5], 0
                                        ; implicit-def: $sgpr2_sgpr3
                                        ; implicit-def: $vgpr0_vgpr1
                                        ; implicit-def: $sgpr22
.LBB199_3102:
	s_and_b64 s[26:27], s[4:5], exec
	s_andn2_b64 s[4:5], s[6:7], exec
	s_and_b64 s[6:7], s[14:15], exec
	s_and_b64 s[0:1], s[0:1], exec
	s_or_b64 s[6:7], s[4:5], s[6:7]
.LBB199_3103:
	s_or_b64 exec, exec, s[12:13]
	s_and_saveexec_b64 s[4:5], s[6:7]
	s_cbranch_execz .LBB199_3106
; %bb.3104:
	; divergent unreachable
	s_or_b64 exec, exec, s[4:5]
	s_and_saveexec_b64 s[4:5], s[26:27]
	s_xor_b64 s[4:5], exec, s[4:5]
	s_cbranch_execnz .LBB199_3107
.LBB199_3105:
	s_or_b64 exec, exec, s[4:5]
	s_and_saveexec_b64 s[4:5], s[0:1]
	s_cbranch_execnz .LBB199_3108
	s_branch .LBB199_3145
.LBB199_3106:
	s_or_b64 exec, exec, s[4:5]
	s_and_saveexec_b64 s[4:5], s[26:27]
	s_xor_b64 s[4:5], exec, s[4:5]
	s_cbranch_execz .LBB199_3105
.LBB199_3107:
	v_cndmask_b32_e64 v2, 0, 1, s[2:3]
	s_waitcnt vmcnt(0)
	global_store_byte v[0:1], v2, off
	s_or_b64 exec, exec, s[4:5]
	s_and_saveexec_b64 s[4:5], s[0:1]
	s_cbranch_execz .LBB199_3145
.LBB199_3108:
	s_sext_i32_i16 s4, s22
	s_cmp_lt_i32 s4, 5
	s_mov_b64 s[0:1], -1
	s_cbranch_scc1 .LBB199_3129
; %bb.3109:
	s_cmp_lt_i32 s4, 8
	s_cbranch_scc1 .LBB199_3119
; %bb.3110:
	s_cmp_lt_i32 s4, 9
	s_cbranch_scc1 .LBB199_3116
; %bb.3111:
	s_cmp_gt_i32 s4, 9
	s_cbranch_scc0 .LBB199_3113
; %bb.3112:
	v_cndmask_b32_e64 v2, 0, 1, s[2:3]
	s_waitcnt vmcnt(0)
	v_cvt_f64_u32_e32 v[2:3], v2
	v_mov_b32_e32 v4, 0
	v_mov_b32_e32 v5, v4
	s_mov_b64 s[0:1], 0
	global_store_dwordx4 v[0:1], v[2:5], off
.LBB199_3113:
	s_andn2_b64 vcc, exec, s[0:1]
	s_cbranch_vccnz .LBB199_3115
; %bb.3114:
	v_cndmask_b32_e64 v2, 0, 1.0, s[2:3]
	s_waitcnt vmcnt(0)
	v_mov_b32_e32 v3, 0
	global_store_dwordx2 v[0:1], v[2:3], off
.LBB199_3115:
	s_mov_b64 s[0:1], 0
.LBB199_3116:
	s_andn2_b64 vcc, exec, s[0:1]
	s_cbranch_vccnz .LBB199_3118
; %bb.3117:
	v_cndmask_b32_e64 v2, 0, 1.0, s[2:3]
	v_cvt_f16_f32_e32 v2, v2
	s_waitcnt vmcnt(0)
	global_store_dword v[0:1], v2, off
.LBB199_3118:
	s_mov_b64 s[0:1], 0
.LBB199_3119:
	s_andn2_b64 vcc, exec, s[0:1]
	s_cbranch_vccnz .LBB199_3128
; %bb.3120:
	s_sext_i32_i16 s4, s22
	s_cmp_lt_i32 s4, 6
	s_mov_b64 s[0:1], -1
	s_cbranch_scc1 .LBB199_3126
; %bb.3121:
	s_cmp_gt_i32 s4, 6
	s_cbranch_scc0 .LBB199_3123
; %bb.3122:
	v_cndmask_b32_e64 v2, 0, 1, s[2:3]
	s_waitcnt vmcnt(0)
	v_cvt_f64_u32_e32 v[2:3], v2
	s_mov_b64 s[0:1], 0
	global_store_dwordx2 v[0:1], v[2:3], off
.LBB199_3123:
	s_andn2_b64 vcc, exec, s[0:1]
	s_cbranch_vccnz .LBB199_3125
; %bb.3124:
	v_cndmask_b32_e64 v2, 0, 1.0, s[2:3]
	s_waitcnt vmcnt(0)
	global_store_dword v[0:1], v2, off
.LBB199_3125:
	s_mov_b64 s[0:1], 0
.LBB199_3126:
	s_andn2_b64 vcc, exec, s[0:1]
	s_cbranch_vccnz .LBB199_3128
; %bb.3127:
	v_cndmask_b32_e64 v2, 0, 1.0, s[2:3]
	v_cvt_f16_f32_e32 v2, v2
	s_waitcnt vmcnt(0)
	global_store_short v[0:1], v2, off
.LBB199_3128:
	s_mov_b64 s[0:1], 0
.LBB199_3129:
	s_andn2_b64 vcc, exec, s[0:1]
	s_cbranch_vccnz .LBB199_3145
; %bb.3130:
	s_sext_i32_i16 s4, s22
	s_cmp_lt_i32 s4, 2
	s_mov_b64 s[0:1], -1
	s_cbranch_scc1 .LBB199_3140
; %bb.3131:
	s_cmp_lt_i32 s4, 3
	s_cbranch_scc1 .LBB199_3137
; %bb.3132:
	s_cmp_gt_i32 s4, 3
	s_cbranch_scc0 .LBB199_3134
; %bb.3133:
	s_mov_b32 s0, 0
	v_cndmask_b32_e64 v2, 0, 1, s[2:3]
	s_waitcnt vmcnt(0)
	v_mov_b32_e32 v3, s0
	global_store_dwordx2 v[0:1], v[2:3], off
	s_mov_b64 s[0:1], 0
.LBB199_3134:
	s_andn2_b64 vcc, exec, s[0:1]
	s_cbranch_vccnz .LBB199_3136
; %bb.3135:
	v_cndmask_b32_e64 v2, 0, 1, s[2:3]
	s_waitcnt vmcnt(0)
	global_store_dword v[0:1], v2, off
.LBB199_3136:
	s_mov_b64 s[0:1], 0
.LBB199_3137:
	s_andn2_b64 vcc, exec, s[0:1]
	s_cbranch_vccnz .LBB199_3139
; %bb.3138:
	v_cndmask_b32_e64 v2, 0, 1, s[2:3]
	s_waitcnt vmcnt(0)
	global_store_short v[0:1], v2, off
.LBB199_3139:
	s_mov_b64 s[0:1], 0
.LBB199_3140:
	s_andn2_b64 vcc, exec, s[0:1]
	s_cbranch_vccnz .LBB199_3145
; %bb.3141:
	s_sext_i32_i16 s0, s22
	s_cmp_gt_i32 s0, 0
	s_mov_b64 s[0:1], -1
	s_cbranch_scc0 .LBB199_3143
; %bb.3142:
	v_cndmask_b32_e64 v2, 0, 1, s[2:3]
	s_waitcnt vmcnt(0)
	global_store_byte v[0:1], v2, off
	s_mov_b64 s[0:1], 0
.LBB199_3143:
	s_andn2_b64 vcc, exec, s[0:1]
	s_cbranch_vccnz .LBB199_3145
; %bb.3144:
	v_cndmask_b32_e64 v2, 0, 1, s[2:3]
	s_waitcnt vmcnt(0)
	global_store_byte v[0:1], v2, off
	s_endpgm
.LBB199_3145:
	s_endpgm
.LBB199_3146:
	s_mov_b64 s[4:5], 0
	s_mov_b64 s[0:1], -1
	s_branch .LBB199_3102
.LBB199_3147:
	s_trap 2
	s_or_b64 s[14:15], s[14:15], exec
	s_cbranch_execz .LBB199_2616
	s_branch .LBB199_2617
.LBB199_3148:
	s_andn2_saveexec_b64 s[20:21], s[20:21]
	s_cbranch_execz .LBB199_2696
.LBB199_3149:
	v_add_f32_e32 v1, 0x46000000, v3
	v_and_b32_e32 v1, 0xff, v1
	v_cmp_ne_u32_e32 vcc, 0, v1
	s_andn2_b64 s[18:19], s[18:19], exec
	s_and_b64 s[24:25], vcc, exec
	s_or_b64 s[18:19], s[18:19], s[24:25]
	s_or_b64 exec, exec, s[20:21]
	v_mov_b32_e32 v7, 0
	s_and_saveexec_b64 s[20:21], s[18:19]
	s_cbranch_execnz .LBB199_2697
	s_branch .LBB199_2698
.LBB199_3150:
	s_trap 2
	s_or_b64 s[14:15], s[14:15], exec
	s_cbranch_execz .LBB199_2744
	s_branch .LBB199_2745
.LBB199_3151:
	s_andn2_saveexec_b64 s[18:19], s[18:19]
	s_cbranch_execz .LBB199_2709
.LBB199_3152:
	v_add_f32_e32 v1, 0x42800000, v3
	v_and_b32_e32 v1, 0xff, v1
	v_cmp_ne_u32_e32 vcc, 0, v1
	s_andn2_b64 s[16:17], s[16:17], exec
	s_and_b64 s[20:21], vcc, exec
	s_or_b64 s[16:17], s[16:17], s[20:21]
	s_or_b64 exec, exec, s[18:19]
	v_mov_b32_e32 v7, 0
	s_and_saveexec_b64 s[18:19], s[16:17]
	s_cbranch_execnz .LBB199_2710
	s_branch .LBB199_2711
.LBB199_3153:
	s_andn2_saveexec_b64 s[20:21], s[20:21]
	s_cbranch_execz .LBB199_2815
.LBB199_3154:
	v_add_f32_e32 v1, 0x46000000, v5
	v_and_b32_e32 v1, 0xff, v1
	v_cmp_ne_u32_e32 vcc, 0, v1
	s_andn2_b64 s[18:19], s[18:19], exec
	s_and_b64 s[24:25], vcc, exec
	s_or_b64 s[18:19], s[18:19], s[24:25]
	s_or_b64 exec, exec, s[20:21]
	v_mov_b32_e32 v6, 0
	s_and_saveexec_b64 s[20:21], s[18:19]
	s_cbranch_execnz .LBB199_2816
	s_branch .LBB199_2817
.LBB199_3155:
	s_trap 2
	s_or_b64 s[14:15], s[14:15], exec
	s_cbranch_execz .LBB199_2863
	s_branch .LBB199_2864
.LBB199_3156:
	s_andn2_saveexec_b64 s[18:19], s[18:19]
	s_cbranch_execz .LBB199_2828
.LBB199_3157:
	v_add_f32_e32 v1, 0x42800000, v5
	v_and_b32_e32 v1, 0xff, v1
	v_cmp_ne_u32_e32 vcc, 0, v1
	s_andn2_b64 s[16:17], s[16:17], exec
	s_and_b64 s[20:21], vcc, exec
	s_or_b64 s[16:17], s[16:17], s[20:21]
	s_or_b64 exec, exec, s[18:19]
	v_mov_b32_e32 v6, 0
	s_and_saveexec_b64 s[18:19], s[16:17]
	s_cbranch_execnz .LBB199_2829
	s_branch .LBB199_2830
.LBB199_3158:
	s_andn2_saveexec_b64 s[20:21], s[20:21]
	s_cbranch_execz .LBB199_2934
.LBB199_3159:
	v_add_f32_e32 v3, 0x46000000, v4
	v_and_b32_e32 v3, 0xff, v3
	v_cmp_ne_u32_e32 vcc, 0, v3
	s_andn2_b64 s[18:19], s[18:19], exec
	s_and_b64 s[24:25], vcc, exec
	s_or_b64 s[18:19], s[18:19], s[24:25]
	s_or_b64 exec, exec, s[20:21]
	v_mov_b32_e32 v5, 0
	s_and_saveexec_b64 s[20:21], s[18:19]
	s_cbranch_execnz .LBB199_2935
	s_branch .LBB199_2936
.LBB199_3160:
	s_trap 2
	s_or_b64 s[14:15], s[14:15], exec
	s_cbranch_execz .LBB199_2982
	s_branch .LBB199_2983
.LBB199_3161:
	s_andn2_saveexec_b64 s[18:19], s[18:19]
	s_cbranch_execz .LBB199_2947
.LBB199_3162:
	v_add_f32_e32 v3, 0x42800000, v4
	v_and_b32_e32 v3, 0xff, v3
	v_cmp_ne_u32_e32 vcc, 0, v3
	s_andn2_b64 s[16:17], s[16:17], exec
	s_and_b64 s[20:21], vcc, exec
	s_or_b64 s[16:17], s[16:17], s[20:21]
	s_or_b64 exec, exec, s[18:19]
	v_mov_b32_e32 v5, 0
	s_and_saveexec_b64 s[18:19], s[16:17]
	s_cbranch_execnz .LBB199_2948
	s_branch .LBB199_2949
.LBB199_3163:
	s_andn2_saveexec_b64 s[16:17], s[16:17]
	s_cbranch_execz .LBB199_3054
.LBB199_3164:
	v_add_f32_e32 v2, 0x46000000, v3
	v_and_b32_e32 v2, 0xff, v2
	v_cmp_ne_u32_e32 vcc, 0, v2
	s_andn2_b64 s[10:11], s[10:11], exec
	s_and_b64 s[18:19], vcc, exec
	s_or_b64 s[10:11], s[10:11], s[18:19]
	s_or_b64 exec, exec, s[16:17]
	v_mov_b32_e32 v4, 0
	s_and_saveexec_b64 s[16:17], s[10:11]
	s_cbranch_execnz .LBB199_3055
	s_branch .LBB199_3056
.LBB199_3165:
	s_mov_b64 s[4:5], 0
	s_or_b64 s[14:15], s[14:15], exec
	s_trap 2
	s_branch .LBB199_3100
.LBB199_3166:
	s_andn2_saveexec_b64 s[10:11], s[10:11]
	s_cbranch_execz .LBB199_3066
.LBB199_3167:
	v_add_f32_e32 v2, 0x42800000, v3
	v_and_b32_e32 v2, 0xff, v2
	v_cmp_ne_u32_e32 vcc, 0, v2
	s_andn2_b64 s[8:9], s[8:9], exec
	s_and_b64 s[16:17], vcc, exec
	s_or_b64 s[8:9], s[8:9], s[16:17]
	s_or_b64 exec, exec, s[10:11]
	v_mov_b32_e32 v4, 0
	s_and_saveexec_b64 s[10:11], s[8:9]
	s_cbranch_execnz .LBB199_3067
	s_branch .LBB199_3068
	.section	.rodata,"a",@progbits
	.p2align	6, 0x0
	.amdhsa_kernel _ZN2at6native32elementwise_kernel_manual_unrollILi128ELi4EZNS0_15gpu_kernel_implINS0_13BinaryFunctorIN3c108BFloat16ES5_bNS0_12_GLOBAL__N_116CompareEqFunctorIS5_EEEEEEvRNS_18TensorIteratorBaseERKT_EUlibE0_EEviT1_
		.amdhsa_group_segment_fixed_size 0
		.amdhsa_private_segment_fixed_size 0
		.amdhsa_kernarg_size 432
		.amdhsa_user_sgpr_count 6
		.amdhsa_user_sgpr_private_segment_buffer 1
		.amdhsa_user_sgpr_dispatch_ptr 0
		.amdhsa_user_sgpr_queue_ptr 0
		.amdhsa_user_sgpr_kernarg_segment_ptr 1
		.amdhsa_user_sgpr_dispatch_id 0
		.amdhsa_user_sgpr_flat_scratch_init 0
		.amdhsa_user_sgpr_private_segment_size 0
		.amdhsa_uses_dynamic_stack 0
		.amdhsa_system_sgpr_private_segment_wavefront_offset 0
		.amdhsa_system_sgpr_workgroup_id_x 1
		.amdhsa_system_sgpr_workgroup_id_y 0
		.amdhsa_system_sgpr_workgroup_id_z 0
		.amdhsa_system_sgpr_workgroup_info 0
		.amdhsa_system_vgpr_workitem_id 0
		.amdhsa_next_free_vgpr 24
		.amdhsa_next_free_sgpr 80
		.amdhsa_reserve_vcc 1
		.amdhsa_reserve_flat_scratch 0
		.amdhsa_float_round_mode_32 0
		.amdhsa_float_round_mode_16_64 0
		.amdhsa_float_denorm_mode_32 3
		.amdhsa_float_denorm_mode_16_64 3
		.amdhsa_dx10_clamp 1
		.amdhsa_ieee_mode 1
		.amdhsa_fp16_overflow 0
		.amdhsa_exception_fp_ieee_invalid_op 0
		.amdhsa_exception_fp_denorm_src 0
		.amdhsa_exception_fp_ieee_div_zero 0
		.amdhsa_exception_fp_ieee_overflow 0
		.amdhsa_exception_fp_ieee_underflow 0
		.amdhsa_exception_fp_ieee_inexact 0
		.amdhsa_exception_int_div_zero 0
	.end_amdhsa_kernel
	.section	.text._ZN2at6native32elementwise_kernel_manual_unrollILi128ELi4EZNS0_15gpu_kernel_implINS0_13BinaryFunctorIN3c108BFloat16ES5_bNS0_12_GLOBAL__N_116CompareEqFunctorIS5_EEEEEEvRNS_18TensorIteratorBaseERKT_EUlibE0_EEviT1_,"axG",@progbits,_ZN2at6native32elementwise_kernel_manual_unrollILi128ELi4EZNS0_15gpu_kernel_implINS0_13BinaryFunctorIN3c108BFloat16ES5_bNS0_12_GLOBAL__N_116CompareEqFunctorIS5_EEEEEEvRNS_18TensorIteratorBaseERKT_EUlibE0_EEviT1_,comdat
.Lfunc_end199:
	.size	_ZN2at6native32elementwise_kernel_manual_unrollILi128ELi4EZNS0_15gpu_kernel_implINS0_13BinaryFunctorIN3c108BFloat16ES5_bNS0_12_GLOBAL__N_116CompareEqFunctorIS5_EEEEEEvRNS_18TensorIteratorBaseERKT_EUlibE0_EEviT1_, .Lfunc_end199-_ZN2at6native32elementwise_kernel_manual_unrollILi128ELi4EZNS0_15gpu_kernel_implINS0_13BinaryFunctorIN3c108BFloat16ES5_bNS0_12_GLOBAL__N_116CompareEqFunctorIS5_EEEEEEvRNS_18TensorIteratorBaseERKT_EUlibE0_EEviT1_
                                        ; -- End function
	.set _ZN2at6native32elementwise_kernel_manual_unrollILi128ELi4EZNS0_15gpu_kernel_implINS0_13BinaryFunctorIN3c108BFloat16ES5_bNS0_12_GLOBAL__N_116CompareEqFunctorIS5_EEEEEEvRNS_18TensorIteratorBaseERKT_EUlibE0_EEviT1_.num_vgpr, 24
	.set _ZN2at6native32elementwise_kernel_manual_unrollILi128ELi4EZNS0_15gpu_kernel_implINS0_13BinaryFunctorIN3c108BFloat16ES5_bNS0_12_GLOBAL__N_116CompareEqFunctorIS5_EEEEEEvRNS_18TensorIteratorBaseERKT_EUlibE0_EEviT1_.num_agpr, 0
	.set _ZN2at6native32elementwise_kernel_manual_unrollILi128ELi4EZNS0_15gpu_kernel_implINS0_13BinaryFunctorIN3c108BFloat16ES5_bNS0_12_GLOBAL__N_116CompareEqFunctorIS5_EEEEEEvRNS_18TensorIteratorBaseERKT_EUlibE0_EEviT1_.numbered_sgpr, 80
	.set _ZN2at6native32elementwise_kernel_manual_unrollILi128ELi4EZNS0_15gpu_kernel_implINS0_13BinaryFunctorIN3c108BFloat16ES5_bNS0_12_GLOBAL__N_116CompareEqFunctorIS5_EEEEEEvRNS_18TensorIteratorBaseERKT_EUlibE0_EEviT1_.num_named_barrier, 0
	.set _ZN2at6native32elementwise_kernel_manual_unrollILi128ELi4EZNS0_15gpu_kernel_implINS0_13BinaryFunctorIN3c108BFloat16ES5_bNS0_12_GLOBAL__N_116CompareEqFunctorIS5_EEEEEEvRNS_18TensorIteratorBaseERKT_EUlibE0_EEviT1_.private_seg_size, 0
	.set _ZN2at6native32elementwise_kernel_manual_unrollILi128ELi4EZNS0_15gpu_kernel_implINS0_13BinaryFunctorIN3c108BFloat16ES5_bNS0_12_GLOBAL__N_116CompareEqFunctorIS5_EEEEEEvRNS_18TensorIteratorBaseERKT_EUlibE0_EEviT1_.uses_vcc, 1
	.set _ZN2at6native32elementwise_kernel_manual_unrollILi128ELi4EZNS0_15gpu_kernel_implINS0_13BinaryFunctorIN3c108BFloat16ES5_bNS0_12_GLOBAL__N_116CompareEqFunctorIS5_EEEEEEvRNS_18TensorIteratorBaseERKT_EUlibE0_EEviT1_.uses_flat_scratch, 0
	.set _ZN2at6native32elementwise_kernel_manual_unrollILi128ELi4EZNS0_15gpu_kernel_implINS0_13BinaryFunctorIN3c108BFloat16ES5_bNS0_12_GLOBAL__N_116CompareEqFunctorIS5_EEEEEEvRNS_18TensorIteratorBaseERKT_EUlibE0_EEviT1_.has_dyn_sized_stack, 0
	.set _ZN2at6native32elementwise_kernel_manual_unrollILi128ELi4EZNS0_15gpu_kernel_implINS0_13BinaryFunctorIN3c108BFloat16ES5_bNS0_12_GLOBAL__N_116CompareEqFunctorIS5_EEEEEEvRNS_18TensorIteratorBaseERKT_EUlibE0_EEviT1_.has_recursion, 0
	.set _ZN2at6native32elementwise_kernel_manual_unrollILi128ELi4EZNS0_15gpu_kernel_implINS0_13BinaryFunctorIN3c108BFloat16ES5_bNS0_12_GLOBAL__N_116CompareEqFunctorIS5_EEEEEEvRNS_18TensorIteratorBaseERKT_EUlibE0_EEviT1_.has_indirect_call, 0
	.section	.AMDGPU.csdata,"",@progbits
; Kernel info:
; codeLenInByte = 61220
; TotalNumSgprs: 84
; NumVgprs: 24
; ScratchSize: 0
; MemoryBound: 0
; FloatMode: 240
; IeeeMode: 1
; LDSByteSize: 0 bytes/workgroup (compile time only)
; SGPRBlocks: 10
; VGPRBlocks: 5
; NumSGPRsForWavesPerEU: 84
; NumVGPRsForWavesPerEU: 24
; Occupancy: 9
; WaveLimiterHint : 1
; COMPUTE_PGM_RSRC2:SCRATCH_EN: 0
; COMPUTE_PGM_RSRC2:USER_SGPR: 6
; COMPUTE_PGM_RSRC2:TRAP_HANDLER: 0
; COMPUTE_PGM_RSRC2:TGID_X_EN: 1
; COMPUTE_PGM_RSRC2:TGID_Y_EN: 0
; COMPUTE_PGM_RSRC2:TGID_Z_EN: 0
; COMPUTE_PGM_RSRC2:TIDIG_COMP_CNT: 0
	.section	.text._ZN2at6native29vectorized_elementwise_kernelILi16ENS0_13AUnaryFunctorIN3c108BFloat16ES4_bNS0_12_GLOBAL__N_116CompareEqFunctorIS4_EEEESt5arrayIPcLm2EEEEviT0_T1_,"axG",@progbits,_ZN2at6native29vectorized_elementwise_kernelILi16ENS0_13AUnaryFunctorIN3c108BFloat16ES4_bNS0_12_GLOBAL__N_116CompareEqFunctorIS4_EEEESt5arrayIPcLm2EEEEviT0_T1_,comdat
	.globl	_ZN2at6native29vectorized_elementwise_kernelILi16ENS0_13AUnaryFunctorIN3c108BFloat16ES4_bNS0_12_GLOBAL__N_116CompareEqFunctorIS4_EEEESt5arrayIPcLm2EEEEviT0_T1_ ; -- Begin function _ZN2at6native29vectorized_elementwise_kernelILi16ENS0_13AUnaryFunctorIN3c108BFloat16ES4_bNS0_12_GLOBAL__N_116CompareEqFunctorIS4_EEEESt5arrayIPcLm2EEEEviT0_T1_
	.p2align	8
	.type	_ZN2at6native29vectorized_elementwise_kernelILi16ENS0_13AUnaryFunctorIN3c108BFloat16ES4_bNS0_12_GLOBAL__N_116CompareEqFunctorIS4_EEEESt5arrayIPcLm2EEEEviT0_T1_,@function
_ZN2at6native29vectorized_elementwise_kernelILi16ENS0_13AUnaryFunctorIN3c108BFloat16ES4_bNS0_12_GLOBAL__N_116CompareEqFunctorIS4_EEEESt5arrayIPcLm2EEEEviT0_T1_: ; @_ZN2at6native29vectorized_elementwise_kernelILi16ENS0_13AUnaryFunctorIN3c108BFloat16ES4_bNS0_12_GLOBAL__N_116CompareEqFunctorIS4_EEEESt5arrayIPcLm2EEEEviT0_T1_
; %bb.0:
	s_load_dwordx8 s[8:15], s[4:5], 0x0
	s_lshl_b32 s4, s6, 12
	s_mov_b64 s[0:1], -1
	s_waitcnt lgkmcnt(0)
	s_sub_i32 s6, s8, s4
	s_cmpk_gt_i32 s6, 0xfff
	s_cbranch_scc0 .LBB200_2
; %bb.1:
	s_ashr_i32 s5, s4, 31
	s_lshl_b64 s[0:1], s[4:5], 1
	s_add_u32 s0, s14, s0
	s_addc_u32 s1, s15, s1
	v_lshlrev_b32_e32 v9, 5, v0
	global_load_dwordx4 v[1:4], v9, s[0:1]
	global_load_dwordx4 v[5:8], v9, s[0:1] offset:16
	s_cmp_eq_u32 s9, 0
	s_cselect_b64 vcc, -1, 0
	s_lshl_b32 s7, s10, 16
	v_mov_b32_e32 v10, 1
	s_add_u32 s2, s12, s4
	v_lshlrev_b32_e32 v9, 4, v0
	s_addc_u32 s3, s13, s5
	s_waitcnt vmcnt(1)
	v_lshlrev_b32_e32 v11, 16, v2
	v_cmp_eq_f32_e64 s[0:1], s7, v11
	v_and_b32_e32 v2, 0xffff0000, v2
	v_cndmask_b32_e64 v17, 0, 1, s[0:1]
	v_cmp_neq_f32_e64 s[0:1], s7, v11
	v_cndmask_b32_e64 v11, 0, 1, s[0:1]
	v_cmp_eq_f32_e64 s[0:1], s7, v2
	v_lshlrev_b32_e32 v12, 16, v1
	v_cndmask_b32_e32 v11, v11, v17, vcc
	v_cndmask_b32_e64 v17, 0, 1, s[0:1]
	v_cmp_neq_f32_e64 s[0:1], s7, v2
	v_cndmask_b32_e64 v2, 0, 1, s[0:1]
	v_cmp_eq_f32_e64 s[0:1], s7, v12
	v_and_b32_e32 v1, 0xffff0000, v1
	v_cndmask_b32_e32 v2, v2, v17, vcc
	v_cndmask_b32_e64 v17, 0, 1, s[0:1]
	v_cmp_neq_f32_e64 s[0:1], s7, v12
	v_cndmask_b32_e64 v12, 0, 1, s[0:1]
	v_cmp_eq_f32_e64 s[0:1], s7, v1
	v_lshlrev_b32_e32 v13, 16, v4
	v_cndmask_b32_e32 v12, v12, v17, vcc
	v_cndmask_b32_e64 v17, 0, 1, s[0:1]
	v_cmp_neq_f32_e64 s[0:1], s7, v1
	v_cndmask_b32_e64 v1, 0, 1, s[0:1]
	v_cmp_eq_f32_e64 s[0:1], s7, v13
	v_and_b32_e32 v4, 0xffff0000, v4
	v_cndmask_b32_e32 v1, v1, v17, vcc
	v_cndmask_b32_e64 v17, 0, 1, s[0:1]
	v_cmp_neq_f32_e64 s[0:1], s7, v13
	v_cndmask_b32_e64 v13, 0, 1, s[0:1]
	v_cmp_eq_f32_e64 s[0:1], s7, v4
	v_lshlrev_b32_e32 v14, 16, v3
	v_cndmask_b32_e32 v13, v13, v17, vcc
	v_cndmask_b32_e64 v17, 0, 1, s[0:1]
	v_cmp_neq_f32_e64 s[0:1], s7, v4
	v_cndmask_b32_e64 v4, 0, 1, s[0:1]
	v_cmp_eq_f32_e64 s[0:1], s7, v14
	v_and_b32_e32 v3, 0xffff0000, v3
	v_cndmask_b32_e32 v4, v4, v17, vcc
	v_cndmask_b32_e64 v17, 0, 1, s[0:1]
	v_cmp_neq_f32_e64 s[0:1], s7, v14
	v_cndmask_b32_e64 v14, 0, 1, s[0:1]
	v_cmp_eq_f32_e64 s[0:1], s7, v3
	s_waitcnt vmcnt(0)
	v_lshlrev_b32_e32 v15, 16, v6
	v_cndmask_b32_e32 v14, v14, v17, vcc
	v_cndmask_b32_e64 v17, 0, 1, s[0:1]
	v_cmp_neq_f32_e64 s[0:1], s7, v3
	v_cndmask_b32_e64 v3, 0, 1, s[0:1]
	v_cmp_eq_f32_e64 s[0:1], s7, v15
	v_and_b32_e32 v6, 0xffff0000, v6
	v_cndmask_b32_e32 v3, v3, v17, vcc
	v_cndmask_b32_e64 v17, 0, 1, s[0:1]
	v_cmp_neq_f32_e64 s[0:1], s7, v15
	v_cndmask_b32_e64 v15, 0, 1, s[0:1]
	v_cmp_eq_f32_e64 s[0:1], s7, v6
	v_lshlrev_b32_e32 v16, 16, v5
	v_cndmask_b32_e32 v15, v15, v17, vcc
	v_cndmask_b32_e64 v17, 0, 1, s[0:1]
	v_cmp_neq_f32_e64 s[0:1], s7, v6
	v_and_b32_sdwa v1, v1, v10 dst_sel:BYTE_1 dst_unused:UNUSED_PAD src0_sel:DWORD src1_sel:DWORD
	v_and_b32_e32 v12, 1, v12
	v_and_b32_sdwa v2, v2, v10 dst_sel:BYTE_1 dst_unused:UNUSED_PAD src0_sel:DWORD src1_sel:DWORD
	v_and_b32_e32 v11, 1, v11
	;; [unrolled: 2-line block ×4, first 2 shown]
	v_cndmask_b32_e64 v6, 0, 1, s[0:1]
	v_or_b32_e32 v1, v12, v1
	v_or_b32_sdwa v2, v11, v2 dst_sel:WORD_1 dst_unused:UNUSED_PAD src0_sel:DWORD src1_sel:DWORD
	v_or_b32_e32 v3, v14, v3
	v_or_b32_sdwa v4, v13, v4 dst_sel:WORD_1 dst_unused:UNUSED_PAD src0_sel:DWORD src1_sel:DWORD
	v_cmp_eq_f32_e64 s[0:1], s7, v16
	v_and_b32_e32 v5, 0xffff0000, v5
	v_or_b32_sdwa v1, v1, v2 dst_sel:DWORD dst_unused:UNUSED_PAD src0_sel:WORD_0 src1_sel:DWORD
	v_or_b32_sdwa v2, v3, v4 dst_sel:DWORD dst_unused:UNUSED_PAD src0_sel:WORD_0 src1_sel:DWORD
	v_cndmask_b32_e64 v3, 0, 1, s[0:1]
	v_cmp_neq_f32_e64 s[0:1], s7, v16
	v_cndmask_b32_e64 v4, 0, 1, s[0:1]
	v_cmp_eq_f32_e64 s[0:1], s7, v5
	v_cndmask_b32_e32 v3, v4, v3, vcc
	v_cndmask_b32_e64 v4, 0, 1, s[0:1]
	v_cmp_neq_f32_e64 s[0:1], s7, v5
	v_cndmask_b32_e64 v5, 0, 1, s[0:1]
	v_cndmask_b32_e32 v4, v5, v4, vcc
	v_cndmask_b32_e32 v6, v6, v17, vcc
	v_and_b32_sdwa v4, v4, v10 dst_sel:BYTE_1 dst_unused:UNUSED_PAD src0_sel:DWORD src1_sel:DWORD
	v_and_b32_e32 v3, 1, v3
	v_or_b32_e32 v3, v3, v4
	v_and_b32_sdwa v4, v6, v10 dst_sel:BYTE_1 dst_unused:UNUSED_PAD src0_sel:DWORD src1_sel:DWORD
	v_and_b32_e32 v5, 1, v15
	v_or_b32_sdwa v4, v5, v4 dst_sel:WORD_1 dst_unused:UNUSED_PAD src0_sel:DWORD src1_sel:DWORD
	v_or_b32_sdwa v3, v3, v4 dst_sel:DWORD dst_unused:UNUSED_PAD src0_sel:WORD_0 src1_sel:DWORD
	v_lshlrev_b32_e32 v4, 16, v8
	v_cmp_eq_f32_e64 s[0:1], s7, v4
	v_and_b32_e32 v5, 0xffff0000, v8
	v_cndmask_b32_e64 v8, 0, 1, s[0:1]
	v_cmp_neq_f32_e64 s[0:1], s7, v4
	v_cndmask_b32_e64 v4, 0, 1, s[0:1]
	v_cmp_eq_f32_e64 s[0:1], s7, v5
	v_lshlrev_b32_e32 v6, 16, v7
	v_cndmask_b32_e32 v4, v4, v8, vcc
	v_cndmask_b32_e64 v8, 0, 1, s[0:1]
	v_cmp_neq_f32_e64 s[0:1], s7, v5
	v_cndmask_b32_e64 v5, 0, 1, s[0:1]
	v_cmp_eq_f32_e64 s[0:1], s7, v6
	v_and_b32_e32 v7, 0xffff0000, v7
	v_cndmask_b32_e32 v5, v5, v8, vcc
	v_cndmask_b32_e64 v8, 0, 1, s[0:1]
	v_cmp_neq_f32_e64 s[0:1], s7, v6
	v_cndmask_b32_e64 v6, 0, 1, s[0:1]
	v_cmp_eq_f32_e64 s[0:1], s7, v7
	v_cndmask_b32_e32 v6, v6, v8, vcc
	v_cndmask_b32_e64 v8, 0, 1, s[0:1]
	v_cmp_neq_f32_e64 s[0:1], s7, v7
	v_cndmask_b32_e64 v7, 0, 1, s[0:1]
	v_cndmask_b32_e32 v7, v7, v8, vcc
	v_and_b32_sdwa v7, v7, v10 dst_sel:BYTE_1 dst_unused:UNUSED_PAD src0_sel:DWORD src1_sel:DWORD
	v_and_b32_e32 v6, 1, v6
	v_and_b32_sdwa v5, v5, v10 dst_sel:BYTE_1 dst_unused:UNUSED_PAD src0_sel:DWORD src1_sel:DWORD
	v_and_b32_e32 v4, 1, v4
	v_or_b32_e32 v6, v6, v7
	v_or_b32_sdwa v4, v4, v5 dst_sel:WORD_1 dst_unused:UNUSED_PAD src0_sel:DWORD src1_sel:DWORD
	v_or_b32_sdwa v4, v6, v4 dst_sel:DWORD dst_unused:UNUSED_PAD src0_sel:WORD_0 src1_sel:DWORD
	global_store_dwordx4 v9, v[1:4], s[2:3]
	s_mov_b64 s[0:1], 0
.LBB200_2:
	s_andn2_b64 vcc, exec, s[0:1]
	s_cbranch_vccnz .LBB200_52
; %bb.3:
	v_cmp_gt_i32_e32 vcc, s6, v0
	v_mov_b32_e32 v3, 0
	v_or_b32_e32 v1, s4, v0
	v_mov_b32_e32 v2, 0
	v_mov_b32_e32 v5, v0
	s_and_saveexec_b64 s[2:3], vcc
	s_cbranch_execz .LBB200_5
; %bb.4:
	v_mov_b32_e32 v2, 0
	v_lshlrev_b64 v[4:5], 1, v[1:2]
	v_mov_b32_e32 v2, s15
	v_add_co_u32_e64 v4, s[0:1], s14, v4
	v_addc_co_u32_e64 v5, s[0:1], v2, v5, s[0:1]
	global_load_ushort v2, v[4:5], off
	v_or_b32_e32 v5, 0x100, v0
	s_waitcnt vmcnt(0)
	v_lshlrev_b32_e32 v2, 16, v2
.LBB200_5:
	s_or_b64 exec, exec, s[2:3]
	v_cmp_gt_i32_e64 s[0:1], s6, v5
	s_and_saveexec_b64 s[2:3], s[0:1]
	s_cbranch_execz .LBB200_7
; %bb.6:
	v_add_u32_e32 v3, s4, v5
	v_mov_b32_e32 v4, 0
	v_lshlrev_b64 v[3:4], 1, v[3:4]
	v_mov_b32_e32 v6, s15
	v_add_co_u32_e64 v3, s[0:1], s14, v3
	v_addc_co_u32_e64 v4, s[0:1], v6, v4, s[0:1]
	global_load_ushort v3, v[3:4], off
	v_add_u32_e32 v5, 0x100, v5
	s_waitcnt vmcnt(0)
	v_lshlrev_b32_e32 v3, 16, v3
.LBB200_7:
	s_or_b64 exec, exec, s[2:3]
	v_cmp_gt_i32_e64 s[0:1], s6, v5
	v_mov_b32_e32 v4, 0
	v_mov_b32_e32 v6, 0
	s_and_saveexec_b64 s[2:3], s[0:1]
	s_cbranch_execz .LBB200_9
; %bb.8:
	v_add_u32_e32 v6, s4, v5
	v_mov_b32_e32 v7, 0
	v_lshlrev_b64 v[6:7], 1, v[6:7]
	v_mov_b32_e32 v8, s15
	v_add_co_u32_e64 v6, s[0:1], s14, v6
	v_addc_co_u32_e64 v7, s[0:1], v8, v7, s[0:1]
	global_load_ushort v6, v[6:7], off
	v_add_u32_e32 v5, 0x100, v5
	s_waitcnt vmcnt(0)
	v_lshlrev_b32_e32 v6, 16, v6
.LBB200_9:
	s_or_b64 exec, exec, s[2:3]
	v_cmp_gt_i32_e64 s[0:1], s6, v5
	s_and_saveexec_b64 s[2:3], s[0:1]
	s_cbranch_execz .LBB200_11
; %bb.10:
	v_add_u32_e32 v7, s4, v5
	v_mov_b32_e32 v8, 0
	v_lshlrev_b64 v[7:8], 1, v[7:8]
	v_mov_b32_e32 v4, s15
	v_add_co_u32_e64 v7, s[0:1], s14, v7
	v_addc_co_u32_e64 v8, s[0:1], v4, v8, s[0:1]
	global_load_ushort v4, v[7:8], off
	v_add_u32_e32 v5, 0x100, v5
	s_waitcnt vmcnt(0)
	v_lshlrev_b32_e32 v4, 16, v4
.LBB200_11:
	s_or_b64 exec, exec, s[2:3]
	v_cmp_gt_i32_e64 s[0:1], s6, v5
	v_mov_b32_e32 v7, 0
	v_mov_b32_e32 v8, 0
	s_and_saveexec_b64 s[2:3], s[0:1]
	s_cbranch_execz .LBB200_13
; %bb.12:
	v_add_u32_e32 v8, s4, v5
	v_mov_b32_e32 v9, 0
	v_lshlrev_b64 v[8:9], 1, v[8:9]
	v_mov_b32_e32 v10, s15
	v_add_co_u32_e64 v8, s[0:1], s14, v8
	v_addc_co_u32_e64 v9, s[0:1], v10, v9, s[0:1]
	global_load_ushort v8, v[8:9], off
	v_add_u32_e32 v5, 0x100, v5
	s_waitcnt vmcnt(0)
	v_lshlrev_b32_e32 v8, 16, v8
.LBB200_13:
	;; [unrolled: 34-line block ×7, first 2 shown]
	s_or_b64 exec, exec, s[2:3]
	v_cmp_gt_i32_e64 s[0:1], s6, v5
	s_and_saveexec_b64 s[2:3], s[0:1]
	s_cbranch_execz .LBB200_35
; %bb.34:
	v_add_u32_e32 v19, s4, v5
	v_mov_b32_e32 v20, 0
	v_lshlrev_b64 v[19:20], 1, v[19:20]
	v_mov_b32_e32 v5, s15
	v_add_co_u32_e64 v19, s[0:1], s14, v19
	v_addc_co_u32_e64 v20, s[0:1], v5, v20, s[0:1]
	global_load_ushort v5, v[19:20], off
	s_waitcnt vmcnt(0)
	v_lshlrev_b32_e32 v17, 16, v5
.LBB200_35:
	s_or_b64 exec, exec, s[2:3]
	s_cmp_eq_u32 s9, 0
	s_cselect_b64 s[0:1], -1, 0
	s_lshl_b32 s5, s10, 16
	v_cmp_eq_f32_e64 s[2:3], s5, v2
	v_cndmask_b32_e64 v5, 0, 1, s[2:3]
	v_cmp_neq_f32_e64 s[2:3], s5, v2
	v_cndmask_b32_e64 v2, 0, 1, s[2:3]
	v_cndmask_b32_e64 v2, v2, v5, s[0:1]
	v_cndmask_b32_e64 v5, 0, 1, vcc
	v_cmp_eq_f32_e64 s[2:3], s5, v3
	v_and_b32_e32 v2, v5, v2
	v_cndmask_b32_e64 v5, 0, 1, s[2:3]
	v_cmp_neq_f32_e64 s[2:3], s5, v3
	v_cndmask_b32_e64 v3, 0, 1, s[2:3]
	v_cndmask_b32_e64 v3, v3, v5, s[0:1]
	v_mov_b32_e32 v20, 1
	v_and_b32_sdwa v3, v3, v20 dst_sel:BYTE_1 dst_unused:UNUSED_PAD src0_sel:DWORD src1_sel:DWORD
	v_or_b32_e32 v19, 0x100, v0
	v_or_b32_e32 v3, v2, v3
	v_and_b32_e32 v3, 0xffff, v3
	v_cmp_gt_i32_e64 s[2:3], s6, v19
	v_cndmask_b32_e64 v2, v2, v3, s[2:3]
	v_cmp_eq_f32_e64 s[2:3], s5, v6
	v_cndmask_b32_e64 v5, 0, 1, s[2:3]
	v_cmp_neq_f32_e64 s[2:3], s5, v6
	v_cndmask_b32_e64 v6, 0, 1, s[2:3]
	v_cndmask_b32_e64 v5, v6, v5, s[0:1]
	v_or_b32_e32 v3, 0x200, v0
	v_and_b32_e32 v5, 1, v5
	v_lshl_or_b32 v5, v5, 16, v2
	v_cmp_gt_i32_e64 s[2:3], s6, v3
	v_cndmask_b32_e64 v2, v2, v5, s[2:3]
	v_cmp_eq_f32_e64 s[2:3], s5, v4
	v_cndmask_b32_e64 v6, 0, 1, s[2:3]
	v_cmp_neq_f32_e64 s[2:3], s5, v4
	v_cndmask_b32_e64 v4, 0, 1, s[2:3]
	s_movk_i32 s8, 0xff
	v_cndmask_b32_e64 v4, v4, v6, s[0:1]
	v_and_b32_sdwa v3, v2, s8 dst_sel:DWORD dst_unused:UNUSED_PAD src0_sel:WORD_1 src1_sel:DWORD
	v_and_b32_sdwa v4, v4, v20 dst_sel:BYTE_1 dst_unused:UNUSED_PAD src0_sel:DWORD src1_sel:DWORD
	s_mov_b32 s7, 0xffff
	v_or_b32_e32 v5, 0x300, v0
	v_or_b32_sdwa v3, v3, v4 dst_sel:WORD_1 dst_unused:UNUSED_PAD src0_sel:DWORD src1_sel:DWORD
	v_and_or_b32 v3, v2, s7, v3
	v_cmp_gt_i32_e64 s[2:3], s6, v5
	v_cndmask_b32_e64 v5, v2, v3, s[2:3]
	v_cmp_eq_f32_e64 s[2:3], s5, v8
	v_cndmask_b32_e64 v2, 0, 1, s[2:3]
	v_cmp_neq_f32_e64 s[2:3], s5, v8
	v_cndmask_b32_e64 v3, 0, 1, s[2:3]
	v_cndmask_b32_e64 v2, v3, v2, s[0:1]
	v_and_b32_e32 v2, 1, v2
	v_or_b32_e32 v3, 0x400, v0
	v_and_b32_e32 v2, 0xffff, v2
	v_cmp_gt_i32_e64 s[2:3], s6, v3
	v_cndmask_b32_e64 v2, 0, v2, s[2:3]
	v_cmp_eq_f32_e64 s[2:3], s5, v7
	v_cndmask_b32_e64 v4, 0, 1, s[2:3]
	v_cmp_neq_f32_e64 s[2:3], s5, v7
	v_cndmask_b32_e64 v6, 0, 1, s[2:3]
	v_cndmask_b32_e64 v4, v6, v4, s[0:1]
	v_and_b32_sdwa v4, v4, v20 dst_sel:BYTE_1 dst_unused:UNUSED_PAD src0_sel:DWORD src1_sel:DWORD
	v_or_b32_e32 v3, 0x500, v0
	v_or_b32_sdwa v4, v2, v4 dst_sel:DWORD dst_unused:UNUSED_PAD src0_sel:BYTE_0 src1_sel:DWORD
	v_and_b32_e32 v4, 0xffff, v4
	v_cmp_gt_i32_e64 s[2:3], s6, v3
	v_cndmask_b32_e64 v2, v2, v4, s[2:3]
	v_cmp_eq_f32_e64 s[2:3], s5, v10
	v_cndmask_b32_e64 v4, 0, 1, s[2:3]
	v_cmp_neq_f32_e64 s[2:3], s5, v10
	v_cndmask_b32_e64 v6, 0, 1, s[2:3]
	s_movk_i32 s9, 0xff00
	v_cndmask_b32_e64 v4, v6, v4, s[0:1]
	v_and_b32_sdwa v3, v2, s9 dst_sel:DWORD dst_unused:UNUSED_PAD src0_sel:WORD_1 src1_sel:DWORD
	v_and_b32_e32 v4, 1, v4
	v_or_b32_sdwa v3, v4, v3 dst_sel:WORD_1 dst_unused:UNUSED_PAD src0_sel:DWORD src1_sel:DWORD
	v_or_b32_e32 v4, 0x600, v0
	v_and_or_b32 v3, v2, s7, v3
	v_cmp_gt_i32_e64 s[2:3], s6, v4
	v_cndmask_b32_e64 v2, v2, v3, s[2:3]
	v_cmp_eq_f32_e64 s[2:3], s5, v9
	v_cndmask_b32_e64 v6, 0, 1, s[2:3]
	v_cmp_neq_f32_e64 s[2:3], s5, v9
	v_cndmask_b32_e64 v7, 0, 1, s[2:3]
	v_cndmask_b32_e64 v6, v7, v6, s[0:1]
	v_and_b32_sdwa v3, v2, s8 dst_sel:DWORD dst_unused:UNUSED_PAD src0_sel:WORD_1 src1_sel:DWORD
	v_and_b32_sdwa v6, v6, v20 dst_sel:BYTE_1 dst_unused:UNUSED_PAD src0_sel:DWORD src1_sel:DWORD
	v_or_b32_e32 v4, 0x700, v0
	v_or_b32_sdwa v3, v3, v6 dst_sel:WORD_1 dst_unused:UNUSED_PAD src0_sel:DWORD src1_sel:DWORD
	v_and_or_b32 v3, v2, s7, v3
	v_cmp_gt_i32_e64 s[2:3], s6, v4
	v_cndmask_b32_e64 v4, v2, v3, s[2:3]
	v_cmp_eq_f32_e64 s[2:3], s5, v12
	v_or_b32_e32 v2, 0x800, v0
	v_cndmask_b32_e64 v3, 0, 1, s[2:3]
	v_cmp_neq_f32_e64 s[2:3], s5, v12
	v_cndmask_b32_e64 v6, 0, 1, s[2:3]
	v_cmp_gt_i32_e64 s[2:3], s6, v2
	v_cndmask_b32_e64 v2, 0, 1, s[2:3]
	v_cmp_eq_f32_e64 s[2:3], s5, v11
	v_cndmask_b32_e64 v3, v6, v3, s[0:1]
	v_cndmask_b32_e64 v6, 0, 1, s[2:3]
	v_cmp_neq_f32_e64 s[2:3], s5, v11
	v_cndmask_b32_e64 v7, 0, 1, s[2:3]
	v_cndmask_b32_e64 v6, v7, v6, s[0:1]
	v_and_b32_e32 v2, v2, v3
	v_and_b32_sdwa v6, v6, v20 dst_sel:BYTE_1 dst_unused:UNUSED_PAD src0_sel:DWORD src1_sel:DWORD
	v_or_b32_e32 v3, 0x900, v0
	v_or_b32_e32 v6, v2, v6
	v_and_b32_e32 v6, 0xffff, v6
	v_cmp_gt_i32_e64 s[2:3], s6, v3
	v_cndmask_b32_e64 v2, v2, v6, s[2:3]
	v_cmp_eq_f32_e64 s[2:3], s5, v14
	v_cndmask_b32_e64 v6, 0, 1, s[2:3]
	v_cmp_neq_f32_e64 s[2:3], s5, v14
	v_cndmask_b32_e64 v7, 0, 1, s[2:3]
	v_cndmask_b32_e64 v6, v7, v6, s[0:1]
	v_or_b32_e32 v3, 0xa00, v0
	v_and_b32_sdwa v6, v6, v20 dst_sel:WORD_1 dst_unused:UNUSED_PAD src0_sel:DWORD src1_sel:DWORD
	s_movk_i32 s2, 0x1ff
	v_and_or_b32 v6, v2, s2, v6
	v_cmp_gt_i32_e64 s[2:3], s6, v3
	v_cndmask_b32_e64 v2, v2, v6, s[2:3]
	v_cmp_eq_f32_e64 s[2:3], s5, v13
	v_cndmask_b32_e64 v7, 0, 1, s[2:3]
	v_cmp_neq_f32_e64 s[2:3], s5, v13
	v_cndmask_b32_e64 v8, 0, 1, s[2:3]
	v_cndmask_b32_e64 v7, v8, v7, s[0:1]
	v_and_b32_sdwa v3, v2, s8 dst_sel:DWORD dst_unused:UNUSED_PAD src0_sel:WORD_1 src1_sel:DWORD
	v_and_b32_sdwa v7, v7, v20 dst_sel:BYTE_1 dst_unused:UNUSED_PAD src0_sel:DWORD src1_sel:DWORD
	v_or_b32_e32 v6, 0xb00, v0
	v_or_b32_sdwa v3, v3, v7 dst_sel:WORD_1 dst_unused:UNUSED_PAD src0_sel:DWORD src1_sel:DWORD
	v_and_or_b32 v3, v2, s7, v3
	v_cmp_gt_i32_e64 s[2:3], s6, v6
	v_cndmask_b32_e64 v3, v2, v3, s[2:3]
	v_cmp_eq_f32_e64 s[2:3], s5, v16
	v_cndmask_b32_e64 v6, 0, 1, s[2:3]
	v_cmp_neq_f32_e64 s[2:3], s5, v16
	v_cndmask_b32_e64 v7, 0, 1, s[2:3]
	v_or_b32_e32 v2, 0xc00, v0
	v_cndmask_b32_e64 v6, v7, v6, s[0:1]
	v_and_b32_e32 v6, 1, v6
	v_cmp_gt_i32_e64 s[2:3], s6, v2
	v_cndmask_b32_e64 v2, 0, v6, s[2:3]
	v_cmp_eq_f32_e64 s[2:3], s5, v15
	v_cndmask_b32_e64 v7, 0, 1, s[2:3]
	v_cmp_neq_f32_e64 s[2:3], s5, v15
	v_cndmask_b32_e64 v8, 0, 1, s[2:3]
	v_cndmask_b32_e64 v7, v8, v7, s[0:1]
	v_and_b32_sdwa v7, v7, v20 dst_sel:BYTE_1 dst_unused:UNUSED_PAD src0_sel:DWORD src1_sel:DWORD
	v_or_b32_e32 v6, 0xd00, v0
	v_or_b32_sdwa v7, v2, v7 dst_sel:DWORD dst_unused:UNUSED_PAD src0_sel:BYTE_0 src1_sel:DWORD
	v_and_b32_e32 v7, 0xffff, v7
	v_cmp_gt_i32_e64 s[2:3], s6, v6
	v_cndmask_b32_e64 v2, v2, v7, s[2:3]
	v_cmp_eq_f32_e64 s[2:3], s5, v18
	v_cndmask_b32_e64 v7, 0, 1, s[2:3]
	v_cmp_neq_f32_e64 s[2:3], s5, v18
	v_cndmask_b32_e64 v8, 0, 1, s[2:3]
	v_cndmask_b32_e64 v7, v8, v7, s[0:1]
	v_and_b32_sdwa v6, v2, s9 dst_sel:DWORD dst_unused:UNUSED_PAD src0_sel:WORD_1 src1_sel:DWORD
	v_and_b32_e32 v7, 1, v7
	v_or_b32_sdwa v6, v7, v6 dst_sel:WORD_1 dst_unused:UNUSED_PAD src0_sel:DWORD src1_sel:DWORD
	v_or_b32_e32 v7, 0xe00, v0
	v_and_or_b32 v6, v2, s7, v6
	v_cmp_gt_i32_e64 s[2:3], s6, v7
	v_cndmask_b32_e64 v2, v2, v6, s[2:3]
	v_cmp_eq_f32_e64 s[2:3], s5, v17
	v_cndmask_b32_e64 v8, 0, 1, s[2:3]
	v_cmp_neq_f32_e64 s[2:3], s5, v17
	v_cndmask_b32_e64 v9, 0, 1, s[2:3]
	v_cndmask_b32_e64 v8, v9, v8, s[0:1]
	v_and_b32_sdwa v6, v2, s8 dst_sel:DWORD dst_unused:UNUSED_PAD src0_sel:WORD_1 src1_sel:DWORD
	v_and_b32_sdwa v8, v8, v20 dst_sel:BYTE_1 dst_unused:UNUSED_PAD src0_sel:DWORD src1_sel:DWORD
	v_or_b32_e32 v7, 0xf00, v0
	v_or_b32_sdwa v6, v6, v8 dst_sel:WORD_1 dst_unused:UNUSED_PAD src0_sel:DWORD src1_sel:DWORD
	v_and_or_b32 v6, v2, s7, v6
	v_cmp_gt_i32_e64 s[0:1], s6, v7
	v_cndmask_b32_e64 v2, v2, v6, s[0:1]
	s_and_saveexec_b64 s[0:1], vcc
	s_cbranch_execnz .LBB200_53
; %bb.36:
	s_or_b64 exec, exec, s[0:1]
	v_cmp_gt_i32_e32 vcc, s6, v0
	s_and_saveexec_b64 s[0:1], vcc
	s_cbranch_execnz .LBB200_54
.LBB200_37:
	s_or_b64 exec, exec, s[0:1]
	v_cmp_gt_i32_e32 vcc, s6, v0
	s_and_saveexec_b64 s[0:1], vcc
	s_cbranch_execnz .LBB200_55
.LBB200_38:
	s_or_b64 exec, exec, s[0:1]
	v_cmp_gt_i32_e32 vcc, s6, v0
	s_and_saveexec_b64 s[0:1], vcc
	s_cbranch_execnz .LBB200_56
.LBB200_39:
	s_or_b64 exec, exec, s[0:1]
	v_cmp_gt_i32_e32 vcc, s6, v0
	s_and_saveexec_b64 s[0:1], vcc
	s_cbranch_execnz .LBB200_57
.LBB200_40:
	s_or_b64 exec, exec, s[0:1]
	v_cmp_gt_i32_e32 vcc, s6, v0
	s_and_saveexec_b64 s[0:1], vcc
	s_cbranch_execnz .LBB200_58
.LBB200_41:
	s_or_b64 exec, exec, s[0:1]
	v_cmp_gt_i32_e32 vcc, s6, v0
	s_and_saveexec_b64 s[0:1], vcc
	s_cbranch_execnz .LBB200_59
.LBB200_42:
	s_or_b64 exec, exec, s[0:1]
	v_cmp_gt_i32_e32 vcc, s6, v0
	s_and_saveexec_b64 s[0:1], vcc
	s_cbranch_execnz .LBB200_60
.LBB200_43:
	s_or_b64 exec, exec, s[0:1]
	v_cmp_gt_i32_e32 vcc, s6, v0
	s_and_saveexec_b64 s[0:1], vcc
	s_cbranch_execnz .LBB200_61
.LBB200_44:
	s_or_b64 exec, exec, s[0:1]
	v_cmp_gt_i32_e32 vcc, s6, v0
	s_and_saveexec_b64 s[0:1], vcc
	s_cbranch_execnz .LBB200_62
.LBB200_45:
	s_or_b64 exec, exec, s[0:1]
	v_cmp_gt_i32_e32 vcc, s6, v0
	s_and_saveexec_b64 s[0:1], vcc
	s_cbranch_execnz .LBB200_63
.LBB200_46:
	s_or_b64 exec, exec, s[0:1]
	v_cmp_gt_i32_e32 vcc, s6, v0
	s_and_saveexec_b64 s[0:1], vcc
	s_cbranch_execnz .LBB200_64
.LBB200_47:
	s_or_b64 exec, exec, s[0:1]
	v_cmp_gt_i32_e32 vcc, s6, v0
	s_and_saveexec_b64 s[0:1], vcc
	s_cbranch_execnz .LBB200_65
.LBB200_48:
	s_or_b64 exec, exec, s[0:1]
	v_cmp_gt_i32_e32 vcc, s6, v0
	s_and_saveexec_b64 s[0:1], vcc
	s_cbranch_execnz .LBB200_66
.LBB200_49:
	s_or_b64 exec, exec, s[0:1]
	v_cmp_gt_i32_e32 vcc, s6, v0
	s_and_saveexec_b64 s[0:1], vcc
	s_cbranch_execnz .LBB200_67
.LBB200_50:
	s_or_b64 exec, exec, s[0:1]
	v_cmp_gt_i32_e32 vcc, s6, v0
	s_and_saveexec_b64 s[0:1], vcc
	s_cbranch_execz .LBB200_52
.LBB200_51:
	v_lshrrev_b32_e32 v1, 24, v2
	v_add_u32_e32 v0, s4, v0
	global_store_byte v0, v1, s[12:13]
.LBB200_52:
	s_endpgm
.LBB200_53:
	v_mov_b32_e32 v0, v19
	global_store_byte v1, v5, s[12:13]
	s_or_b64 exec, exec, s[0:1]
	v_cmp_gt_i32_e32 vcc, s6, v0
	s_and_saveexec_b64 s[0:1], vcc
	s_cbranch_execz .LBB200_37
.LBB200_54:
	v_lshrrev_b32_e32 v1, 8, v5
	v_add_u32_e32 v6, s4, v0
	v_add_u32_e32 v0, 0x100, v0
	global_store_byte v6, v1, s[12:13]
	s_or_b64 exec, exec, s[0:1]
	v_cmp_gt_i32_e32 vcc, s6, v0
	s_and_saveexec_b64 s[0:1], vcc
	s_cbranch_execz .LBB200_38
.LBB200_55:
	v_add_u32_e32 v1, s4, v0
	v_add_u32_e32 v0, 0x100, v0
	global_store_byte_d16_hi v1, v5, s[12:13]
	s_or_b64 exec, exec, s[0:1]
	v_cmp_gt_i32_e32 vcc, s6, v0
	s_and_saveexec_b64 s[0:1], vcc
	s_cbranch_execz .LBB200_39
.LBB200_56:
	v_lshrrev_b32_e32 v1, 24, v5
	v_add_u32_e32 v5, s4, v0
	v_add_u32_e32 v0, 0x100, v0
	global_store_byte v5, v1, s[12:13]
	s_or_b64 exec, exec, s[0:1]
	v_cmp_gt_i32_e32 vcc, s6, v0
	s_and_saveexec_b64 s[0:1], vcc
	s_cbranch_execz .LBB200_40
.LBB200_57:
	v_add_u32_e32 v1, s4, v0
	v_add_u32_e32 v0, 0x100, v0
	global_store_byte v1, v4, s[12:13]
	s_or_b64 exec, exec, s[0:1]
	v_cmp_gt_i32_e32 vcc, s6, v0
	s_and_saveexec_b64 s[0:1], vcc
	s_cbranch_execz .LBB200_41
.LBB200_58:
	v_lshrrev_b32_e32 v1, 8, v4
	v_add_u32_e32 v5, s4, v0
	v_add_u32_e32 v0, 0x100, v0
	global_store_byte v5, v1, s[12:13]
	s_or_b64 exec, exec, s[0:1]
	v_cmp_gt_i32_e32 vcc, s6, v0
	s_and_saveexec_b64 s[0:1], vcc
	s_cbranch_execz .LBB200_42
.LBB200_59:
	v_add_u32_e32 v1, s4, v0
	v_add_u32_e32 v0, 0x100, v0
	global_store_byte_d16_hi v1, v4, s[12:13]
	s_or_b64 exec, exec, s[0:1]
	v_cmp_gt_i32_e32 vcc, s6, v0
	s_and_saveexec_b64 s[0:1], vcc
	s_cbranch_execz .LBB200_43
.LBB200_60:
	v_lshrrev_b32_e32 v1, 24, v4
	v_add_u32_e32 v4, s4, v0
	v_add_u32_e32 v0, 0x100, v0
	global_store_byte v4, v1, s[12:13]
	s_or_b64 exec, exec, s[0:1]
	v_cmp_gt_i32_e32 vcc, s6, v0
	s_and_saveexec_b64 s[0:1], vcc
	s_cbranch_execz .LBB200_44
.LBB200_61:
	v_add_u32_e32 v1, s4, v0
	v_add_u32_e32 v0, 0x100, v0
	global_store_byte v1, v3, s[12:13]
	s_or_b64 exec, exec, s[0:1]
	v_cmp_gt_i32_e32 vcc, s6, v0
	s_and_saveexec_b64 s[0:1], vcc
	s_cbranch_execz .LBB200_45
.LBB200_62:
	v_lshrrev_b32_e32 v1, 8, v3
	v_add_u32_e32 v4, s4, v0
	v_add_u32_e32 v0, 0x100, v0
	global_store_byte v4, v1, s[12:13]
	s_or_b64 exec, exec, s[0:1]
	v_cmp_gt_i32_e32 vcc, s6, v0
	s_and_saveexec_b64 s[0:1], vcc
	s_cbranch_execz .LBB200_46
.LBB200_63:
	v_add_u32_e32 v1, s4, v0
	v_add_u32_e32 v0, 0x100, v0
	global_store_byte_d16_hi v1, v3, s[12:13]
	s_or_b64 exec, exec, s[0:1]
	v_cmp_gt_i32_e32 vcc, s6, v0
	s_and_saveexec_b64 s[0:1], vcc
	s_cbranch_execz .LBB200_47
.LBB200_64:
	v_lshrrev_b32_e32 v1, 24, v3
	v_add_u32_e32 v3, s4, v0
	v_add_u32_e32 v0, 0x100, v0
	global_store_byte v3, v1, s[12:13]
	s_or_b64 exec, exec, s[0:1]
	v_cmp_gt_i32_e32 vcc, s6, v0
	s_and_saveexec_b64 s[0:1], vcc
	s_cbranch_execz .LBB200_48
.LBB200_65:
	v_add_u32_e32 v1, s4, v0
	v_add_u32_e32 v0, 0x100, v0
	global_store_byte v1, v2, s[12:13]
	s_or_b64 exec, exec, s[0:1]
	v_cmp_gt_i32_e32 vcc, s6, v0
	s_and_saveexec_b64 s[0:1], vcc
	s_cbranch_execz .LBB200_49
.LBB200_66:
	v_lshrrev_b32_e32 v1, 8, v2
	v_add_u32_e32 v3, s4, v0
	v_add_u32_e32 v0, 0x100, v0
	global_store_byte v3, v1, s[12:13]
	s_or_b64 exec, exec, s[0:1]
	v_cmp_gt_i32_e32 vcc, s6, v0
	s_and_saveexec_b64 s[0:1], vcc
	s_cbranch_execz .LBB200_50
.LBB200_67:
	v_add_u32_e32 v1, s4, v0
	v_add_u32_e32 v0, 0x100, v0
	global_store_byte_d16_hi v1, v2, s[12:13]
	s_or_b64 exec, exec, s[0:1]
	v_cmp_gt_i32_e32 vcc, s6, v0
	s_and_saveexec_b64 s[0:1], vcc
	s_cbranch_execnz .LBB200_51
	s_branch .LBB200_52
	.section	.rodata,"a",@progbits
	.p2align	6, 0x0
	.amdhsa_kernel _ZN2at6native29vectorized_elementwise_kernelILi16ENS0_13AUnaryFunctorIN3c108BFloat16ES4_bNS0_12_GLOBAL__N_116CompareEqFunctorIS4_EEEESt5arrayIPcLm2EEEEviT0_T1_
		.amdhsa_group_segment_fixed_size 0
		.amdhsa_private_segment_fixed_size 0
		.amdhsa_kernarg_size 32
		.amdhsa_user_sgpr_count 6
		.amdhsa_user_sgpr_private_segment_buffer 1
		.amdhsa_user_sgpr_dispatch_ptr 0
		.amdhsa_user_sgpr_queue_ptr 0
		.amdhsa_user_sgpr_kernarg_segment_ptr 1
		.amdhsa_user_sgpr_dispatch_id 0
		.amdhsa_user_sgpr_flat_scratch_init 0
		.amdhsa_user_sgpr_private_segment_size 0
		.amdhsa_uses_dynamic_stack 0
		.amdhsa_system_sgpr_private_segment_wavefront_offset 0
		.amdhsa_system_sgpr_workgroup_id_x 1
		.amdhsa_system_sgpr_workgroup_id_y 0
		.amdhsa_system_sgpr_workgroup_id_z 0
		.amdhsa_system_sgpr_workgroup_info 0
		.amdhsa_system_vgpr_workitem_id 0
		.amdhsa_next_free_vgpr 21
		.amdhsa_next_free_sgpr 16
		.amdhsa_reserve_vcc 1
		.amdhsa_reserve_flat_scratch 0
		.amdhsa_float_round_mode_32 0
		.amdhsa_float_round_mode_16_64 0
		.amdhsa_float_denorm_mode_32 3
		.amdhsa_float_denorm_mode_16_64 3
		.amdhsa_dx10_clamp 1
		.amdhsa_ieee_mode 1
		.amdhsa_fp16_overflow 0
		.amdhsa_exception_fp_ieee_invalid_op 0
		.amdhsa_exception_fp_denorm_src 0
		.amdhsa_exception_fp_ieee_div_zero 0
		.amdhsa_exception_fp_ieee_overflow 0
		.amdhsa_exception_fp_ieee_underflow 0
		.amdhsa_exception_fp_ieee_inexact 0
		.amdhsa_exception_int_div_zero 0
	.end_amdhsa_kernel
	.section	.text._ZN2at6native29vectorized_elementwise_kernelILi16ENS0_13AUnaryFunctorIN3c108BFloat16ES4_bNS0_12_GLOBAL__N_116CompareEqFunctorIS4_EEEESt5arrayIPcLm2EEEEviT0_T1_,"axG",@progbits,_ZN2at6native29vectorized_elementwise_kernelILi16ENS0_13AUnaryFunctorIN3c108BFloat16ES4_bNS0_12_GLOBAL__N_116CompareEqFunctorIS4_EEEESt5arrayIPcLm2EEEEviT0_T1_,comdat
.Lfunc_end200:
	.size	_ZN2at6native29vectorized_elementwise_kernelILi16ENS0_13AUnaryFunctorIN3c108BFloat16ES4_bNS0_12_GLOBAL__N_116CompareEqFunctorIS4_EEEESt5arrayIPcLm2EEEEviT0_T1_, .Lfunc_end200-_ZN2at6native29vectorized_elementwise_kernelILi16ENS0_13AUnaryFunctorIN3c108BFloat16ES4_bNS0_12_GLOBAL__N_116CompareEqFunctorIS4_EEEESt5arrayIPcLm2EEEEviT0_T1_
                                        ; -- End function
	.set _ZN2at6native29vectorized_elementwise_kernelILi16ENS0_13AUnaryFunctorIN3c108BFloat16ES4_bNS0_12_GLOBAL__N_116CompareEqFunctorIS4_EEEESt5arrayIPcLm2EEEEviT0_T1_.num_vgpr, 21
	.set _ZN2at6native29vectorized_elementwise_kernelILi16ENS0_13AUnaryFunctorIN3c108BFloat16ES4_bNS0_12_GLOBAL__N_116CompareEqFunctorIS4_EEEESt5arrayIPcLm2EEEEviT0_T1_.num_agpr, 0
	.set _ZN2at6native29vectorized_elementwise_kernelILi16ENS0_13AUnaryFunctorIN3c108BFloat16ES4_bNS0_12_GLOBAL__N_116CompareEqFunctorIS4_EEEESt5arrayIPcLm2EEEEviT0_T1_.numbered_sgpr, 16
	.set _ZN2at6native29vectorized_elementwise_kernelILi16ENS0_13AUnaryFunctorIN3c108BFloat16ES4_bNS0_12_GLOBAL__N_116CompareEqFunctorIS4_EEEESt5arrayIPcLm2EEEEviT0_T1_.num_named_barrier, 0
	.set _ZN2at6native29vectorized_elementwise_kernelILi16ENS0_13AUnaryFunctorIN3c108BFloat16ES4_bNS0_12_GLOBAL__N_116CompareEqFunctorIS4_EEEESt5arrayIPcLm2EEEEviT0_T1_.private_seg_size, 0
	.set _ZN2at6native29vectorized_elementwise_kernelILi16ENS0_13AUnaryFunctorIN3c108BFloat16ES4_bNS0_12_GLOBAL__N_116CompareEqFunctorIS4_EEEESt5arrayIPcLm2EEEEviT0_T1_.uses_vcc, 1
	.set _ZN2at6native29vectorized_elementwise_kernelILi16ENS0_13AUnaryFunctorIN3c108BFloat16ES4_bNS0_12_GLOBAL__N_116CompareEqFunctorIS4_EEEESt5arrayIPcLm2EEEEviT0_T1_.uses_flat_scratch, 0
	.set _ZN2at6native29vectorized_elementwise_kernelILi16ENS0_13AUnaryFunctorIN3c108BFloat16ES4_bNS0_12_GLOBAL__N_116CompareEqFunctorIS4_EEEESt5arrayIPcLm2EEEEviT0_T1_.has_dyn_sized_stack, 0
	.set _ZN2at6native29vectorized_elementwise_kernelILi16ENS0_13AUnaryFunctorIN3c108BFloat16ES4_bNS0_12_GLOBAL__N_116CompareEqFunctorIS4_EEEESt5arrayIPcLm2EEEEviT0_T1_.has_recursion, 0
	.set _ZN2at6native29vectorized_elementwise_kernelILi16ENS0_13AUnaryFunctorIN3c108BFloat16ES4_bNS0_12_GLOBAL__N_116CompareEqFunctorIS4_EEEESt5arrayIPcLm2EEEEviT0_T1_.has_indirect_call, 0
	.section	.AMDGPU.csdata,"",@progbits
; Kernel info:
; codeLenInByte = 4508
; TotalNumSgprs: 20
; NumVgprs: 21
; ScratchSize: 0
; MemoryBound: 0
; FloatMode: 240
; IeeeMode: 1
; LDSByteSize: 0 bytes/workgroup (compile time only)
; SGPRBlocks: 2
; VGPRBlocks: 5
; NumSGPRsForWavesPerEU: 20
; NumVGPRsForWavesPerEU: 21
; Occupancy: 10
; WaveLimiterHint : 0
; COMPUTE_PGM_RSRC2:SCRATCH_EN: 0
; COMPUTE_PGM_RSRC2:USER_SGPR: 6
; COMPUTE_PGM_RSRC2:TRAP_HANDLER: 0
; COMPUTE_PGM_RSRC2:TGID_X_EN: 1
; COMPUTE_PGM_RSRC2:TGID_Y_EN: 0
; COMPUTE_PGM_RSRC2:TGID_Z_EN: 0
; COMPUTE_PGM_RSRC2:TIDIG_COMP_CNT: 0
	.section	.text._ZN2at6native29vectorized_elementwise_kernelILi8ENS0_13AUnaryFunctorIN3c108BFloat16ES4_bNS0_12_GLOBAL__N_116CompareEqFunctorIS4_EEEESt5arrayIPcLm2EEEEviT0_T1_,"axG",@progbits,_ZN2at6native29vectorized_elementwise_kernelILi8ENS0_13AUnaryFunctorIN3c108BFloat16ES4_bNS0_12_GLOBAL__N_116CompareEqFunctorIS4_EEEESt5arrayIPcLm2EEEEviT0_T1_,comdat
	.globl	_ZN2at6native29vectorized_elementwise_kernelILi8ENS0_13AUnaryFunctorIN3c108BFloat16ES4_bNS0_12_GLOBAL__N_116CompareEqFunctorIS4_EEEESt5arrayIPcLm2EEEEviT0_T1_ ; -- Begin function _ZN2at6native29vectorized_elementwise_kernelILi8ENS0_13AUnaryFunctorIN3c108BFloat16ES4_bNS0_12_GLOBAL__N_116CompareEqFunctorIS4_EEEESt5arrayIPcLm2EEEEviT0_T1_
	.p2align	8
	.type	_ZN2at6native29vectorized_elementwise_kernelILi8ENS0_13AUnaryFunctorIN3c108BFloat16ES4_bNS0_12_GLOBAL__N_116CompareEqFunctorIS4_EEEESt5arrayIPcLm2EEEEviT0_T1_,@function
_ZN2at6native29vectorized_elementwise_kernelILi8ENS0_13AUnaryFunctorIN3c108BFloat16ES4_bNS0_12_GLOBAL__N_116CompareEqFunctorIS4_EEEESt5arrayIPcLm2EEEEviT0_T1_: ; @_ZN2at6native29vectorized_elementwise_kernelILi8ENS0_13AUnaryFunctorIN3c108BFloat16ES4_bNS0_12_GLOBAL__N_116CompareEqFunctorIS4_EEEESt5arrayIPcLm2EEEEviT0_T1_
; %bb.0:
	s_load_dwordx8 s[8:15], s[4:5], 0x0
	s_lshl_b32 s4, s6, 12
	s_mov_b64 s[0:1], -1
	s_waitcnt lgkmcnt(0)
	s_sub_i32 s6, s8, s4
	s_cmpk_gt_i32 s6, 0xfff
	s_cbranch_scc0 .LBB201_2
; %bb.1:
	s_ashr_i32 s5, s4, 31
	s_lshl_b64 s[0:1], s[4:5], 1
	s_add_u32 s0, s14, s0
	s_addc_u32 s1, s15, s1
	v_lshlrev_b32_e32 v5, 4, v0
	global_load_dwordx4 v[1:4], v5, s[0:1]
	v_mov_b32_e32 v6, s1
	v_add_co_u32_e32 v5, vcc, s0, v5
	s_movk_i32 s2, 0x1000
	v_addc_co_u32_e32 v6, vcc, 0, v6, vcc
	v_add_co_u32_e32 v5, vcc, s2, v5
	v_addc_co_u32_e32 v6, vcc, 0, v6, vcc
	global_load_dwordx4 v[5:8], v[5:6], off
	s_cmp_eq_u32 s9, 0
	s_cselect_b64 vcc, -1, 0
	s_lshl_b32 s2, s10, 16
	v_mov_b32_e32 v9, 1
	s_waitcnt vmcnt(1)
	v_lshlrev_b32_e32 v10, 16, v1
	v_cmp_eq_f32_e64 s[0:1], s2, v10
	v_and_b32_e32 v1, 0xffff0000, v1
	v_cndmask_b32_e64 v14, 0, 1, s[0:1]
	v_cmp_neq_f32_e64 s[0:1], s2, v10
	v_cndmask_b32_e64 v10, 0, 1, s[0:1]
	v_cmp_eq_f32_e64 s[0:1], s2, v1
	v_lshlrev_b32_e32 v11, 16, v2
	v_cndmask_b32_e64 v15, 0, 1, s[0:1]
	v_cmp_neq_f32_e64 s[0:1], s2, v1
	v_cndmask_b32_e64 v1, 0, 1, s[0:1]
	v_cmp_eq_f32_e64 s[0:1], s2, v11
	v_and_b32_e32 v2, 0xffff0000, v2
	v_cndmask_b32_e64 v16, 0, 1, s[0:1]
	v_cmp_neq_f32_e64 s[0:1], s2, v11
	v_cndmask_b32_e64 v11, 0, 1, s[0:1]
	v_cmp_eq_f32_e64 s[0:1], s2, v2
	v_lshlrev_b32_e32 v12, 16, v3
	v_cndmask_b32_e64 v17, 0, 1, s[0:1]
	v_cmp_neq_f32_e64 s[0:1], s2, v2
	v_cndmask_b32_e64 v2, 0, 1, s[0:1]
	v_cmp_eq_f32_e64 s[0:1], s2, v12
	v_and_b32_e32 v3, 0xffff0000, v3
	v_cndmask_b32_e64 v18, 0, 1, s[0:1]
	v_cmp_neq_f32_e64 s[0:1], s2, v12
	v_cndmask_b32_e64 v12, 0, 1, s[0:1]
	v_cmp_eq_f32_e64 s[0:1], s2, v3
	v_and_b32_e32 v13, 0xffff0000, v4
	v_lshlrev_b32_e32 v4, 16, v4
	v_cndmask_b32_e64 v19, 0, 1, s[0:1]
	v_cmp_neq_f32_e64 s[0:1], s2, v3
	v_cndmask_b32_e64 v3, 0, 1, s[0:1]
	v_cmp_eq_f32_e64 s[0:1], s2, v4
	v_cndmask_b32_e32 v10, v10, v14, vcc
	v_cndmask_b32_e64 v14, 0, 1, s[0:1]
	v_cmp_neq_f32_e64 s[0:1], s2, v4
	v_cndmask_b32_e64 v4, 0, 1, s[0:1]
	v_cmp_eq_f32_e64 s[0:1], s2, v13
	v_cndmask_b32_e32 v1, v1, v15, vcc
	v_cndmask_b32_e64 v15, 0, 1, s[0:1]
	v_cmp_neq_f32_e64 s[0:1], s2, v13
	v_cndmask_b32_e64 v13, 0, 1, s[0:1]
	v_cndmask_b32_e32 v4, v4, v14, vcc
	s_waitcnt vmcnt(0)
	v_lshlrev_b32_e32 v14, 16, v5
	v_cndmask_b32_e32 v11, v11, v16, vcc
	v_cndmask_b32_e32 v2, v2, v17, vcc
	;; [unrolled: 1-line block ×5, first 2 shown]
	v_and_b32_sdwa v1, v1, v9 dst_sel:BYTE_1 dst_unused:UNUSED_PAD src0_sel:DWORD src1_sel:DWORD
	v_and_b32_e32 v10, 1, v10
	v_cmp_eq_f32_e64 s[0:1], s2, v14
	v_and_b32_sdwa v2, v2, v9 dst_sel:BYTE_1 dst_unused:UNUSED_PAD src0_sel:DWORD src1_sel:DWORD
	v_and_b32_e32 v11, 1, v11
	v_and_b32_sdwa v3, v3, v9 dst_sel:BYTE_1 dst_unused:UNUSED_PAD src0_sel:DWORD src1_sel:DWORD
	v_and_b32_e32 v12, 1, v12
	v_and_b32_e32 v4, 1, v4
	v_and_b32_sdwa v13, v13, v9 dst_sel:BYTE_1 dst_unused:UNUSED_PAD src0_sel:DWORD src1_sel:DWORD
	v_and_b32_e32 v5, 0xffff0000, v5
	v_or_b32_e32 v1, v10, v1
	v_cndmask_b32_e64 v10, 0, 1, s[0:1]
	v_cmp_neq_f32_e64 s[0:1], s2, v14
	v_or_b32_sdwa v2, v11, v2 dst_sel:WORD_1 dst_unused:UNUSED_PAD src0_sel:DWORD src1_sel:DWORD
	v_or_b32_e32 v3, v12, v3
	v_or_b32_sdwa v4, v4, v13 dst_sel:WORD_1 dst_unused:UNUSED_PAD src0_sel:DWORD src1_sel:DWORD
	v_cndmask_b32_e64 v11, 0, 1, s[0:1]
	v_cmp_eq_f32_e64 s[0:1], s2, v5
	v_or_b32_sdwa v1, v1, v2 dst_sel:DWORD dst_unused:UNUSED_PAD src0_sel:WORD_0 src1_sel:DWORD
	v_or_b32_sdwa v2, v3, v4 dst_sel:DWORD dst_unused:UNUSED_PAD src0_sel:WORD_0 src1_sel:DWORD
	v_cndmask_b32_e64 v4, 0, 1, s[0:1]
	v_cmp_neq_f32_e64 s[0:1], s2, v5
	v_cndmask_b32_e64 v5, 0, 1, s[0:1]
	v_cndmask_b32_e32 v3, v11, v10, vcc
	v_cndmask_b32_e32 v4, v5, v4, vcc
	v_lshlrev_b32_e32 v5, 16, v6
	v_and_b32_sdwa v4, v4, v9 dst_sel:BYTE_1 dst_unused:UNUSED_PAD src0_sel:DWORD src1_sel:DWORD
	v_and_b32_e32 v3, 1, v3
	v_cmp_eq_f32_e64 s[0:1], s2, v5
	v_or_b32_e32 v3, v3, v4
	v_and_b32_e32 v4, 0xffff0000, v6
	v_cndmask_b32_e64 v6, 0, 1, s[0:1]
	v_cmp_neq_f32_e64 s[0:1], s2, v5
	v_cndmask_b32_e64 v5, 0, 1, s[0:1]
	v_cmp_eq_f32_e64 s[0:1], s2, v4
	v_cndmask_b32_e32 v5, v5, v6, vcc
	v_cndmask_b32_e64 v6, 0, 1, s[0:1]
	v_cmp_neq_f32_e64 s[0:1], s2, v4
	v_cndmask_b32_e64 v4, 0, 1, s[0:1]
	v_cndmask_b32_e32 v4, v4, v6, vcc
	v_and_b32_e32 v5, 1, v5
	v_and_b32_sdwa v4, v4, v9 dst_sel:BYTE_1 dst_unused:UNUSED_PAD src0_sel:DWORD src1_sel:DWORD
	v_or_b32_sdwa v4, v5, v4 dst_sel:WORD_1 dst_unused:UNUSED_PAD src0_sel:DWORD src1_sel:DWORD
	v_or_b32_sdwa v3, v3, v4 dst_sel:DWORD dst_unused:UNUSED_PAD src0_sel:WORD_0 src1_sel:DWORD
	v_lshlrev_b32_e32 v4, 16, v7
	v_cmp_eq_f32_e64 s[0:1], s2, v4
	v_and_b32_e32 v5, 0xffff0000, v7
	v_cndmask_b32_e64 v6, 0, 1, s[0:1]
	v_cmp_neq_f32_e64 s[0:1], s2, v4
	v_cndmask_b32_e64 v4, 0, 1, s[0:1]
	v_cmp_eq_f32_e64 s[0:1], s2, v5
	v_cndmask_b32_e32 v4, v4, v6, vcc
	v_cndmask_b32_e64 v6, 0, 1, s[0:1]
	v_cmp_neq_f32_e64 s[0:1], s2, v5
	v_cndmask_b32_e64 v5, 0, 1, s[0:1]
	v_cndmask_b32_e32 v5, v5, v6, vcc
	v_lshlrev_b32_e32 v6, 16, v8
	v_and_b32_sdwa v5, v5, v9 dst_sel:BYTE_1 dst_unused:UNUSED_PAD src0_sel:DWORD src1_sel:DWORD
	v_and_b32_e32 v4, 1, v4
	v_cmp_eq_f32_e64 s[0:1], s2, v6
	v_or_b32_e32 v4, v4, v5
	v_and_b32_e32 v5, 0xffff0000, v8
	v_cndmask_b32_e64 v7, 0, 1, s[0:1]
	v_cmp_neq_f32_e64 s[0:1], s2, v6
	v_cndmask_b32_e64 v6, 0, 1, s[0:1]
	v_cmp_eq_f32_e64 s[0:1], s2, v5
	v_cndmask_b32_e32 v6, v6, v7, vcc
	v_cndmask_b32_e64 v7, 0, 1, s[0:1]
	v_cmp_neq_f32_e64 s[0:1], s2, v5
	v_cndmask_b32_e64 v5, 0, 1, s[0:1]
	v_cndmask_b32_e32 v5, v5, v7, vcc
	v_and_b32_e32 v6, 1, v6
	v_and_b32_sdwa v5, v5, v9 dst_sel:BYTE_1 dst_unused:UNUSED_PAD src0_sel:DWORD src1_sel:DWORD
	v_or_b32_sdwa v5, v6, v5 dst_sel:WORD_1 dst_unused:UNUSED_PAD src0_sel:DWORD src1_sel:DWORD
	s_add_u32 s0, s12, s4
	v_or_b32_sdwa v4, v4, v5 dst_sel:DWORD dst_unused:UNUSED_PAD src0_sel:WORD_0 src1_sel:DWORD
	s_addc_u32 s1, s13, s5
	v_lshlrev_b32_e32 v5, 3, v0
	global_store_dwordx2 v5, v[1:2], s[0:1]
	global_store_dwordx2 v5, v[3:4], s[0:1] offset:2048
	s_mov_b64 s[0:1], 0
.LBB201_2:
	s_andn2_b64 vcc, exec, s[0:1]
	s_cbranch_vccnz .LBB201_52
; %bb.3:
	v_cmp_gt_i32_e32 vcc, s6, v0
	v_mov_b32_e32 v3, 0
	v_or_b32_e32 v1, s4, v0
	v_mov_b32_e32 v2, 0
	v_mov_b32_e32 v5, v0
	s_and_saveexec_b64 s[2:3], vcc
	s_cbranch_execz .LBB201_5
; %bb.4:
	v_mov_b32_e32 v2, 0
	v_lshlrev_b64 v[4:5], 1, v[1:2]
	v_mov_b32_e32 v2, s15
	v_add_co_u32_e64 v4, s[0:1], s14, v4
	v_addc_co_u32_e64 v5, s[0:1], v2, v5, s[0:1]
	global_load_ushort v2, v[4:5], off
	v_or_b32_e32 v5, 0x100, v0
	s_waitcnt vmcnt(0)
	v_lshlrev_b32_e32 v2, 16, v2
.LBB201_5:
	s_or_b64 exec, exec, s[2:3]
	v_cmp_gt_i32_e64 s[0:1], s6, v5
	s_and_saveexec_b64 s[2:3], s[0:1]
	s_cbranch_execz .LBB201_7
; %bb.6:
	v_add_u32_e32 v3, s4, v5
	v_mov_b32_e32 v4, 0
	v_lshlrev_b64 v[3:4], 1, v[3:4]
	v_mov_b32_e32 v6, s15
	v_add_co_u32_e64 v3, s[0:1], s14, v3
	v_addc_co_u32_e64 v4, s[0:1], v6, v4, s[0:1]
	global_load_ushort v3, v[3:4], off
	v_add_u32_e32 v5, 0x100, v5
	s_waitcnt vmcnt(0)
	v_lshlrev_b32_e32 v3, 16, v3
.LBB201_7:
	s_or_b64 exec, exec, s[2:3]
	v_cmp_gt_i32_e64 s[0:1], s6, v5
	v_mov_b32_e32 v4, 0
	v_mov_b32_e32 v6, 0
	s_and_saveexec_b64 s[2:3], s[0:1]
	s_cbranch_execz .LBB201_9
; %bb.8:
	v_add_u32_e32 v6, s4, v5
	v_mov_b32_e32 v7, 0
	v_lshlrev_b64 v[6:7], 1, v[6:7]
	v_mov_b32_e32 v8, s15
	v_add_co_u32_e64 v6, s[0:1], s14, v6
	v_addc_co_u32_e64 v7, s[0:1], v8, v7, s[0:1]
	global_load_ushort v6, v[6:7], off
	v_add_u32_e32 v5, 0x100, v5
	s_waitcnt vmcnt(0)
	v_lshlrev_b32_e32 v6, 16, v6
.LBB201_9:
	s_or_b64 exec, exec, s[2:3]
	v_cmp_gt_i32_e64 s[0:1], s6, v5
	s_and_saveexec_b64 s[2:3], s[0:1]
	s_cbranch_execz .LBB201_11
; %bb.10:
	v_add_u32_e32 v7, s4, v5
	v_mov_b32_e32 v8, 0
	v_lshlrev_b64 v[7:8], 1, v[7:8]
	v_mov_b32_e32 v4, s15
	v_add_co_u32_e64 v7, s[0:1], s14, v7
	v_addc_co_u32_e64 v8, s[0:1], v4, v8, s[0:1]
	global_load_ushort v4, v[7:8], off
	v_add_u32_e32 v5, 0x100, v5
	s_waitcnt vmcnt(0)
	v_lshlrev_b32_e32 v4, 16, v4
.LBB201_11:
	s_or_b64 exec, exec, s[2:3]
	v_cmp_gt_i32_e64 s[0:1], s6, v5
	v_mov_b32_e32 v7, 0
	v_mov_b32_e32 v8, 0
	s_and_saveexec_b64 s[2:3], s[0:1]
	s_cbranch_execz .LBB201_13
; %bb.12:
	v_add_u32_e32 v8, s4, v5
	v_mov_b32_e32 v9, 0
	v_lshlrev_b64 v[8:9], 1, v[8:9]
	v_mov_b32_e32 v10, s15
	v_add_co_u32_e64 v8, s[0:1], s14, v8
	v_addc_co_u32_e64 v9, s[0:1], v10, v9, s[0:1]
	global_load_ushort v8, v[8:9], off
	v_add_u32_e32 v5, 0x100, v5
	s_waitcnt vmcnt(0)
	v_lshlrev_b32_e32 v8, 16, v8
.LBB201_13:
	;; [unrolled: 34-line block ×7, first 2 shown]
	s_or_b64 exec, exec, s[2:3]
	v_cmp_gt_i32_e64 s[0:1], s6, v5
	s_and_saveexec_b64 s[2:3], s[0:1]
	s_cbranch_execz .LBB201_35
; %bb.34:
	v_add_u32_e32 v19, s4, v5
	v_mov_b32_e32 v20, 0
	v_lshlrev_b64 v[19:20], 1, v[19:20]
	v_mov_b32_e32 v5, s15
	v_add_co_u32_e64 v19, s[0:1], s14, v19
	v_addc_co_u32_e64 v20, s[0:1], v5, v20, s[0:1]
	global_load_ushort v5, v[19:20], off
	s_waitcnt vmcnt(0)
	v_lshlrev_b32_e32 v17, 16, v5
.LBB201_35:
	s_or_b64 exec, exec, s[2:3]
	s_cmp_eq_u32 s9, 0
	s_cselect_b64 s[0:1], -1, 0
	s_lshl_b32 s5, s10, 16
	v_cmp_eq_f32_e64 s[2:3], s5, v2
	v_cndmask_b32_e64 v5, 0, 1, s[2:3]
	v_cmp_neq_f32_e64 s[2:3], s5, v2
	v_cndmask_b32_e64 v2, 0, 1, s[2:3]
	v_cndmask_b32_e64 v2, v2, v5, s[0:1]
	v_cndmask_b32_e64 v5, 0, 1, vcc
	v_cmp_eq_f32_e64 s[2:3], s5, v3
	v_and_b32_e32 v2, v5, v2
	v_cndmask_b32_e64 v5, 0, 1, s[2:3]
	v_cmp_neq_f32_e64 s[2:3], s5, v3
	v_cndmask_b32_e64 v3, 0, 1, s[2:3]
	v_cndmask_b32_e64 v3, v3, v5, s[0:1]
	v_mov_b32_e32 v20, 1
	v_and_b32_sdwa v3, v3, v20 dst_sel:BYTE_1 dst_unused:UNUSED_PAD src0_sel:DWORD src1_sel:DWORD
	v_or_b32_e32 v19, 0x100, v0
	v_or_b32_e32 v3, v2, v3
	v_and_b32_e32 v3, 0xffff, v3
	v_cmp_gt_i32_e64 s[2:3], s6, v19
	v_cndmask_b32_e64 v2, v2, v3, s[2:3]
	v_cmp_eq_f32_e64 s[2:3], s5, v6
	v_cndmask_b32_e64 v5, 0, 1, s[2:3]
	v_cmp_neq_f32_e64 s[2:3], s5, v6
	v_cndmask_b32_e64 v6, 0, 1, s[2:3]
	v_cndmask_b32_e64 v5, v6, v5, s[0:1]
	v_or_b32_e32 v3, 0x200, v0
	v_and_b32_e32 v5, 1, v5
	v_lshl_or_b32 v5, v5, 16, v2
	v_cmp_gt_i32_e64 s[2:3], s6, v3
	v_cndmask_b32_e64 v2, v2, v5, s[2:3]
	v_cmp_eq_f32_e64 s[2:3], s5, v4
	v_cndmask_b32_e64 v6, 0, 1, s[2:3]
	v_cmp_neq_f32_e64 s[2:3], s5, v4
	v_cndmask_b32_e64 v4, 0, 1, s[2:3]
	s_movk_i32 s8, 0xff
	v_cndmask_b32_e64 v4, v4, v6, s[0:1]
	v_and_b32_sdwa v3, v2, s8 dst_sel:DWORD dst_unused:UNUSED_PAD src0_sel:WORD_1 src1_sel:DWORD
	v_and_b32_sdwa v4, v4, v20 dst_sel:BYTE_1 dst_unused:UNUSED_PAD src0_sel:DWORD src1_sel:DWORD
	s_mov_b32 s7, 0xffff
	v_or_b32_e32 v5, 0x300, v0
	v_or_b32_sdwa v3, v3, v4 dst_sel:WORD_1 dst_unused:UNUSED_PAD src0_sel:DWORD src1_sel:DWORD
	v_and_or_b32 v3, v2, s7, v3
	v_cmp_gt_i32_e64 s[2:3], s6, v5
	v_cndmask_b32_e64 v5, v2, v3, s[2:3]
	v_cmp_eq_f32_e64 s[2:3], s5, v8
	v_cndmask_b32_e64 v2, 0, 1, s[2:3]
	v_cmp_neq_f32_e64 s[2:3], s5, v8
	v_cndmask_b32_e64 v3, 0, 1, s[2:3]
	v_cndmask_b32_e64 v2, v3, v2, s[0:1]
	v_and_b32_e32 v2, 1, v2
	v_or_b32_e32 v3, 0x400, v0
	v_and_b32_e32 v2, 0xffff, v2
	v_cmp_gt_i32_e64 s[2:3], s6, v3
	v_cndmask_b32_e64 v2, 0, v2, s[2:3]
	v_cmp_eq_f32_e64 s[2:3], s5, v7
	v_cndmask_b32_e64 v4, 0, 1, s[2:3]
	v_cmp_neq_f32_e64 s[2:3], s5, v7
	v_cndmask_b32_e64 v6, 0, 1, s[2:3]
	v_cndmask_b32_e64 v4, v6, v4, s[0:1]
	v_and_b32_sdwa v4, v4, v20 dst_sel:BYTE_1 dst_unused:UNUSED_PAD src0_sel:DWORD src1_sel:DWORD
	v_or_b32_e32 v3, 0x500, v0
	v_or_b32_sdwa v4, v2, v4 dst_sel:DWORD dst_unused:UNUSED_PAD src0_sel:BYTE_0 src1_sel:DWORD
	v_and_b32_e32 v4, 0xffff, v4
	v_cmp_gt_i32_e64 s[2:3], s6, v3
	v_cndmask_b32_e64 v2, v2, v4, s[2:3]
	v_cmp_eq_f32_e64 s[2:3], s5, v10
	v_cndmask_b32_e64 v4, 0, 1, s[2:3]
	v_cmp_neq_f32_e64 s[2:3], s5, v10
	v_cndmask_b32_e64 v6, 0, 1, s[2:3]
	s_movk_i32 s9, 0xff00
	v_cndmask_b32_e64 v4, v6, v4, s[0:1]
	v_and_b32_sdwa v3, v2, s9 dst_sel:DWORD dst_unused:UNUSED_PAD src0_sel:WORD_1 src1_sel:DWORD
	v_and_b32_e32 v4, 1, v4
	v_or_b32_sdwa v3, v4, v3 dst_sel:WORD_1 dst_unused:UNUSED_PAD src0_sel:DWORD src1_sel:DWORD
	v_or_b32_e32 v4, 0x600, v0
	v_and_or_b32 v3, v2, s7, v3
	v_cmp_gt_i32_e64 s[2:3], s6, v4
	v_cndmask_b32_e64 v2, v2, v3, s[2:3]
	v_cmp_eq_f32_e64 s[2:3], s5, v9
	v_cndmask_b32_e64 v6, 0, 1, s[2:3]
	v_cmp_neq_f32_e64 s[2:3], s5, v9
	v_cndmask_b32_e64 v7, 0, 1, s[2:3]
	v_cndmask_b32_e64 v6, v7, v6, s[0:1]
	v_and_b32_sdwa v3, v2, s8 dst_sel:DWORD dst_unused:UNUSED_PAD src0_sel:WORD_1 src1_sel:DWORD
	v_and_b32_sdwa v6, v6, v20 dst_sel:BYTE_1 dst_unused:UNUSED_PAD src0_sel:DWORD src1_sel:DWORD
	v_or_b32_e32 v4, 0x700, v0
	v_or_b32_sdwa v3, v3, v6 dst_sel:WORD_1 dst_unused:UNUSED_PAD src0_sel:DWORD src1_sel:DWORD
	v_and_or_b32 v3, v2, s7, v3
	v_cmp_gt_i32_e64 s[2:3], s6, v4
	v_cndmask_b32_e64 v4, v2, v3, s[2:3]
	v_cmp_eq_f32_e64 s[2:3], s5, v12
	v_or_b32_e32 v2, 0x800, v0
	v_cndmask_b32_e64 v3, 0, 1, s[2:3]
	v_cmp_neq_f32_e64 s[2:3], s5, v12
	v_cndmask_b32_e64 v6, 0, 1, s[2:3]
	v_cmp_gt_i32_e64 s[2:3], s6, v2
	v_cndmask_b32_e64 v2, 0, 1, s[2:3]
	v_cmp_eq_f32_e64 s[2:3], s5, v11
	v_cndmask_b32_e64 v3, v6, v3, s[0:1]
	v_cndmask_b32_e64 v6, 0, 1, s[2:3]
	v_cmp_neq_f32_e64 s[2:3], s5, v11
	v_cndmask_b32_e64 v7, 0, 1, s[2:3]
	v_cndmask_b32_e64 v6, v7, v6, s[0:1]
	v_and_b32_e32 v2, v2, v3
	v_and_b32_sdwa v6, v6, v20 dst_sel:BYTE_1 dst_unused:UNUSED_PAD src0_sel:DWORD src1_sel:DWORD
	v_or_b32_e32 v3, 0x900, v0
	v_or_b32_e32 v6, v2, v6
	v_and_b32_e32 v6, 0xffff, v6
	v_cmp_gt_i32_e64 s[2:3], s6, v3
	v_cndmask_b32_e64 v2, v2, v6, s[2:3]
	v_cmp_eq_f32_e64 s[2:3], s5, v14
	v_cndmask_b32_e64 v6, 0, 1, s[2:3]
	v_cmp_neq_f32_e64 s[2:3], s5, v14
	v_cndmask_b32_e64 v7, 0, 1, s[2:3]
	v_cndmask_b32_e64 v6, v7, v6, s[0:1]
	v_or_b32_e32 v3, 0xa00, v0
	v_and_b32_sdwa v6, v6, v20 dst_sel:WORD_1 dst_unused:UNUSED_PAD src0_sel:DWORD src1_sel:DWORD
	s_movk_i32 s2, 0x1ff
	v_and_or_b32 v6, v2, s2, v6
	v_cmp_gt_i32_e64 s[2:3], s6, v3
	v_cndmask_b32_e64 v2, v2, v6, s[2:3]
	v_cmp_eq_f32_e64 s[2:3], s5, v13
	v_cndmask_b32_e64 v7, 0, 1, s[2:3]
	v_cmp_neq_f32_e64 s[2:3], s5, v13
	v_cndmask_b32_e64 v8, 0, 1, s[2:3]
	v_cndmask_b32_e64 v7, v8, v7, s[0:1]
	v_and_b32_sdwa v3, v2, s8 dst_sel:DWORD dst_unused:UNUSED_PAD src0_sel:WORD_1 src1_sel:DWORD
	v_and_b32_sdwa v7, v7, v20 dst_sel:BYTE_1 dst_unused:UNUSED_PAD src0_sel:DWORD src1_sel:DWORD
	v_or_b32_e32 v6, 0xb00, v0
	v_or_b32_sdwa v3, v3, v7 dst_sel:WORD_1 dst_unused:UNUSED_PAD src0_sel:DWORD src1_sel:DWORD
	v_and_or_b32 v3, v2, s7, v3
	v_cmp_gt_i32_e64 s[2:3], s6, v6
	v_cndmask_b32_e64 v3, v2, v3, s[2:3]
	v_cmp_eq_f32_e64 s[2:3], s5, v16
	v_cndmask_b32_e64 v6, 0, 1, s[2:3]
	v_cmp_neq_f32_e64 s[2:3], s5, v16
	v_cndmask_b32_e64 v7, 0, 1, s[2:3]
	v_or_b32_e32 v2, 0xc00, v0
	v_cndmask_b32_e64 v6, v7, v6, s[0:1]
	v_and_b32_e32 v6, 1, v6
	v_cmp_gt_i32_e64 s[2:3], s6, v2
	v_cndmask_b32_e64 v2, 0, v6, s[2:3]
	v_cmp_eq_f32_e64 s[2:3], s5, v15
	v_cndmask_b32_e64 v7, 0, 1, s[2:3]
	v_cmp_neq_f32_e64 s[2:3], s5, v15
	v_cndmask_b32_e64 v8, 0, 1, s[2:3]
	v_cndmask_b32_e64 v7, v8, v7, s[0:1]
	v_and_b32_sdwa v7, v7, v20 dst_sel:BYTE_1 dst_unused:UNUSED_PAD src0_sel:DWORD src1_sel:DWORD
	v_or_b32_e32 v6, 0xd00, v0
	v_or_b32_sdwa v7, v2, v7 dst_sel:DWORD dst_unused:UNUSED_PAD src0_sel:BYTE_0 src1_sel:DWORD
	v_and_b32_e32 v7, 0xffff, v7
	v_cmp_gt_i32_e64 s[2:3], s6, v6
	v_cndmask_b32_e64 v2, v2, v7, s[2:3]
	v_cmp_eq_f32_e64 s[2:3], s5, v18
	v_cndmask_b32_e64 v7, 0, 1, s[2:3]
	v_cmp_neq_f32_e64 s[2:3], s5, v18
	v_cndmask_b32_e64 v8, 0, 1, s[2:3]
	v_cndmask_b32_e64 v7, v8, v7, s[0:1]
	v_and_b32_sdwa v6, v2, s9 dst_sel:DWORD dst_unused:UNUSED_PAD src0_sel:WORD_1 src1_sel:DWORD
	v_and_b32_e32 v7, 1, v7
	v_or_b32_sdwa v6, v7, v6 dst_sel:WORD_1 dst_unused:UNUSED_PAD src0_sel:DWORD src1_sel:DWORD
	v_or_b32_e32 v7, 0xe00, v0
	v_and_or_b32 v6, v2, s7, v6
	v_cmp_gt_i32_e64 s[2:3], s6, v7
	v_cndmask_b32_e64 v2, v2, v6, s[2:3]
	v_cmp_eq_f32_e64 s[2:3], s5, v17
	v_cndmask_b32_e64 v8, 0, 1, s[2:3]
	v_cmp_neq_f32_e64 s[2:3], s5, v17
	v_cndmask_b32_e64 v9, 0, 1, s[2:3]
	v_cndmask_b32_e64 v8, v9, v8, s[0:1]
	v_and_b32_sdwa v6, v2, s8 dst_sel:DWORD dst_unused:UNUSED_PAD src0_sel:WORD_1 src1_sel:DWORD
	v_and_b32_sdwa v8, v8, v20 dst_sel:BYTE_1 dst_unused:UNUSED_PAD src0_sel:DWORD src1_sel:DWORD
	v_or_b32_e32 v7, 0xf00, v0
	v_or_b32_sdwa v6, v6, v8 dst_sel:WORD_1 dst_unused:UNUSED_PAD src0_sel:DWORD src1_sel:DWORD
	v_and_or_b32 v6, v2, s7, v6
	v_cmp_gt_i32_e64 s[0:1], s6, v7
	v_cndmask_b32_e64 v2, v2, v6, s[0:1]
	s_and_saveexec_b64 s[0:1], vcc
	s_cbranch_execnz .LBB201_53
; %bb.36:
	s_or_b64 exec, exec, s[0:1]
	v_cmp_gt_i32_e32 vcc, s6, v0
	s_and_saveexec_b64 s[0:1], vcc
	s_cbranch_execnz .LBB201_54
.LBB201_37:
	s_or_b64 exec, exec, s[0:1]
	v_cmp_gt_i32_e32 vcc, s6, v0
	s_and_saveexec_b64 s[0:1], vcc
	s_cbranch_execnz .LBB201_55
.LBB201_38:
	s_or_b64 exec, exec, s[0:1]
	v_cmp_gt_i32_e32 vcc, s6, v0
	s_and_saveexec_b64 s[0:1], vcc
	s_cbranch_execnz .LBB201_56
.LBB201_39:
	s_or_b64 exec, exec, s[0:1]
	v_cmp_gt_i32_e32 vcc, s6, v0
	s_and_saveexec_b64 s[0:1], vcc
	s_cbranch_execnz .LBB201_57
.LBB201_40:
	s_or_b64 exec, exec, s[0:1]
	v_cmp_gt_i32_e32 vcc, s6, v0
	s_and_saveexec_b64 s[0:1], vcc
	s_cbranch_execnz .LBB201_58
.LBB201_41:
	s_or_b64 exec, exec, s[0:1]
	v_cmp_gt_i32_e32 vcc, s6, v0
	s_and_saveexec_b64 s[0:1], vcc
	s_cbranch_execnz .LBB201_59
.LBB201_42:
	s_or_b64 exec, exec, s[0:1]
	v_cmp_gt_i32_e32 vcc, s6, v0
	s_and_saveexec_b64 s[0:1], vcc
	s_cbranch_execnz .LBB201_60
.LBB201_43:
	s_or_b64 exec, exec, s[0:1]
	v_cmp_gt_i32_e32 vcc, s6, v0
	s_and_saveexec_b64 s[0:1], vcc
	s_cbranch_execnz .LBB201_61
.LBB201_44:
	s_or_b64 exec, exec, s[0:1]
	v_cmp_gt_i32_e32 vcc, s6, v0
	s_and_saveexec_b64 s[0:1], vcc
	s_cbranch_execnz .LBB201_62
.LBB201_45:
	s_or_b64 exec, exec, s[0:1]
	v_cmp_gt_i32_e32 vcc, s6, v0
	s_and_saveexec_b64 s[0:1], vcc
	s_cbranch_execnz .LBB201_63
.LBB201_46:
	s_or_b64 exec, exec, s[0:1]
	v_cmp_gt_i32_e32 vcc, s6, v0
	s_and_saveexec_b64 s[0:1], vcc
	s_cbranch_execnz .LBB201_64
.LBB201_47:
	s_or_b64 exec, exec, s[0:1]
	v_cmp_gt_i32_e32 vcc, s6, v0
	s_and_saveexec_b64 s[0:1], vcc
	s_cbranch_execnz .LBB201_65
.LBB201_48:
	s_or_b64 exec, exec, s[0:1]
	v_cmp_gt_i32_e32 vcc, s6, v0
	s_and_saveexec_b64 s[0:1], vcc
	s_cbranch_execnz .LBB201_66
.LBB201_49:
	s_or_b64 exec, exec, s[0:1]
	v_cmp_gt_i32_e32 vcc, s6, v0
	s_and_saveexec_b64 s[0:1], vcc
	s_cbranch_execnz .LBB201_67
.LBB201_50:
	s_or_b64 exec, exec, s[0:1]
	v_cmp_gt_i32_e32 vcc, s6, v0
	s_and_saveexec_b64 s[0:1], vcc
	s_cbranch_execz .LBB201_52
.LBB201_51:
	v_lshrrev_b32_e32 v1, 24, v2
	v_add_u32_e32 v0, s4, v0
	global_store_byte v0, v1, s[12:13]
.LBB201_52:
	s_endpgm
.LBB201_53:
	v_mov_b32_e32 v0, v19
	global_store_byte v1, v5, s[12:13]
	s_or_b64 exec, exec, s[0:1]
	v_cmp_gt_i32_e32 vcc, s6, v0
	s_and_saveexec_b64 s[0:1], vcc
	s_cbranch_execz .LBB201_37
.LBB201_54:
	v_lshrrev_b32_e32 v1, 8, v5
	v_add_u32_e32 v6, s4, v0
	v_add_u32_e32 v0, 0x100, v0
	global_store_byte v6, v1, s[12:13]
	s_or_b64 exec, exec, s[0:1]
	v_cmp_gt_i32_e32 vcc, s6, v0
	s_and_saveexec_b64 s[0:1], vcc
	s_cbranch_execz .LBB201_38
.LBB201_55:
	v_add_u32_e32 v1, s4, v0
	v_add_u32_e32 v0, 0x100, v0
	global_store_byte_d16_hi v1, v5, s[12:13]
	s_or_b64 exec, exec, s[0:1]
	v_cmp_gt_i32_e32 vcc, s6, v0
	s_and_saveexec_b64 s[0:1], vcc
	s_cbranch_execz .LBB201_39
.LBB201_56:
	v_lshrrev_b32_e32 v1, 24, v5
	v_add_u32_e32 v5, s4, v0
	v_add_u32_e32 v0, 0x100, v0
	global_store_byte v5, v1, s[12:13]
	s_or_b64 exec, exec, s[0:1]
	v_cmp_gt_i32_e32 vcc, s6, v0
	s_and_saveexec_b64 s[0:1], vcc
	s_cbranch_execz .LBB201_40
.LBB201_57:
	v_add_u32_e32 v1, s4, v0
	v_add_u32_e32 v0, 0x100, v0
	global_store_byte v1, v4, s[12:13]
	s_or_b64 exec, exec, s[0:1]
	v_cmp_gt_i32_e32 vcc, s6, v0
	s_and_saveexec_b64 s[0:1], vcc
	s_cbranch_execz .LBB201_41
.LBB201_58:
	v_lshrrev_b32_e32 v1, 8, v4
	v_add_u32_e32 v5, s4, v0
	v_add_u32_e32 v0, 0x100, v0
	global_store_byte v5, v1, s[12:13]
	s_or_b64 exec, exec, s[0:1]
	v_cmp_gt_i32_e32 vcc, s6, v0
	s_and_saveexec_b64 s[0:1], vcc
	s_cbranch_execz .LBB201_42
.LBB201_59:
	v_add_u32_e32 v1, s4, v0
	v_add_u32_e32 v0, 0x100, v0
	global_store_byte_d16_hi v1, v4, s[12:13]
	s_or_b64 exec, exec, s[0:1]
	v_cmp_gt_i32_e32 vcc, s6, v0
	s_and_saveexec_b64 s[0:1], vcc
	s_cbranch_execz .LBB201_43
.LBB201_60:
	v_lshrrev_b32_e32 v1, 24, v4
	v_add_u32_e32 v4, s4, v0
	v_add_u32_e32 v0, 0x100, v0
	global_store_byte v4, v1, s[12:13]
	s_or_b64 exec, exec, s[0:1]
	v_cmp_gt_i32_e32 vcc, s6, v0
	s_and_saveexec_b64 s[0:1], vcc
	s_cbranch_execz .LBB201_44
.LBB201_61:
	v_add_u32_e32 v1, s4, v0
	v_add_u32_e32 v0, 0x100, v0
	global_store_byte v1, v3, s[12:13]
	s_or_b64 exec, exec, s[0:1]
	v_cmp_gt_i32_e32 vcc, s6, v0
	s_and_saveexec_b64 s[0:1], vcc
	s_cbranch_execz .LBB201_45
.LBB201_62:
	v_lshrrev_b32_e32 v1, 8, v3
	v_add_u32_e32 v4, s4, v0
	v_add_u32_e32 v0, 0x100, v0
	global_store_byte v4, v1, s[12:13]
	s_or_b64 exec, exec, s[0:1]
	v_cmp_gt_i32_e32 vcc, s6, v0
	s_and_saveexec_b64 s[0:1], vcc
	s_cbranch_execz .LBB201_46
.LBB201_63:
	v_add_u32_e32 v1, s4, v0
	v_add_u32_e32 v0, 0x100, v0
	global_store_byte_d16_hi v1, v3, s[12:13]
	s_or_b64 exec, exec, s[0:1]
	v_cmp_gt_i32_e32 vcc, s6, v0
	s_and_saveexec_b64 s[0:1], vcc
	s_cbranch_execz .LBB201_47
.LBB201_64:
	v_lshrrev_b32_e32 v1, 24, v3
	v_add_u32_e32 v3, s4, v0
	v_add_u32_e32 v0, 0x100, v0
	global_store_byte v3, v1, s[12:13]
	s_or_b64 exec, exec, s[0:1]
	v_cmp_gt_i32_e32 vcc, s6, v0
	s_and_saveexec_b64 s[0:1], vcc
	s_cbranch_execz .LBB201_48
.LBB201_65:
	v_add_u32_e32 v1, s4, v0
	v_add_u32_e32 v0, 0x100, v0
	global_store_byte v1, v2, s[12:13]
	s_or_b64 exec, exec, s[0:1]
	v_cmp_gt_i32_e32 vcc, s6, v0
	s_and_saveexec_b64 s[0:1], vcc
	s_cbranch_execz .LBB201_49
.LBB201_66:
	v_lshrrev_b32_e32 v1, 8, v2
	v_add_u32_e32 v3, s4, v0
	v_add_u32_e32 v0, 0x100, v0
	global_store_byte v3, v1, s[12:13]
	s_or_b64 exec, exec, s[0:1]
	v_cmp_gt_i32_e32 vcc, s6, v0
	s_and_saveexec_b64 s[0:1], vcc
	s_cbranch_execz .LBB201_50
.LBB201_67:
	v_add_u32_e32 v1, s4, v0
	v_add_u32_e32 v0, 0x100, v0
	global_store_byte_d16_hi v1, v2, s[12:13]
	s_or_b64 exec, exec, s[0:1]
	v_cmp_gt_i32_e32 vcc, s6, v0
	s_and_saveexec_b64 s[0:1], vcc
	s_cbranch_execnz .LBB201_51
	s_branch .LBB201_52
	.section	.rodata,"a",@progbits
	.p2align	6, 0x0
	.amdhsa_kernel _ZN2at6native29vectorized_elementwise_kernelILi8ENS0_13AUnaryFunctorIN3c108BFloat16ES4_bNS0_12_GLOBAL__N_116CompareEqFunctorIS4_EEEESt5arrayIPcLm2EEEEviT0_T1_
		.amdhsa_group_segment_fixed_size 0
		.amdhsa_private_segment_fixed_size 0
		.amdhsa_kernarg_size 32
		.amdhsa_user_sgpr_count 6
		.amdhsa_user_sgpr_private_segment_buffer 1
		.amdhsa_user_sgpr_dispatch_ptr 0
		.amdhsa_user_sgpr_queue_ptr 0
		.amdhsa_user_sgpr_kernarg_segment_ptr 1
		.amdhsa_user_sgpr_dispatch_id 0
		.amdhsa_user_sgpr_flat_scratch_init 0
		.amdhsa_user_sgpr_private_segment_size 0
		.amdhsa_uses_dynamic_stack 0
		.amdhsa_system_sgpr_private_segment_wavefront_offset 0
		.amdhsa_system_sgpr_workgroup_id_x 1
		.amdhsa_system_sgpr_workgroup_id_y 0
		.amdhsa_system_sgpr_workgroup_id_z 0
		.amdhsa_system_sgpr_workgroup_info 0
		.amdhsa_system_vgpr_workitem_id 0
		.amdhsa_next_free_vgpr 21
		.amdhsa_next_free_sgpr 16
		.amdhsa_reserve_vcc 1
		.amdhsa_reserve_flat_scratch 0
		.amdhsa_float_round_mode_32 0
		.amdhsa_float_round_mode_16_64 0
		.amdhsa_float_denorm_mode_32 3
		.amdhsa_float_denorm_mode_16_64 3
		.amdhsa_dx10_clamp 1
		.amdhsa_ieee_mode 1
		.amdhsa_fp16_overflow 0
		.amdhsa_exception_fp_ieee_invalid_op 0
		.amdhsa_exception_fp_denorm_src 0
		.amdhsa_exception_fp_ieee_div_zero 0
		.amdhsa_exception_fp_ieee_overflow 0
		.amdhsa_exception_fp_ieee_underflow 0
		.amdhsa_exception_fp_ieee_inexact 0
		.amdhsa_exception_int_div_zero 0
	.end_amdhsa_kernel
	.section	.text._ZN2at6native29vectorized_elementwise_kernelILi8ENS0_13AUnaryFunctorIN3c108BFloat16ES4_bNS0_12_GLOBAL__N_116CompareEqFunctorIS4_EEEESt5arrayIPcLm2EEEEviT0_T1_,"axG",@progbits,_ZN2at6native29vectorized_elementwise_kernelILi8ENS0_13AUnaryFunctorIN3c108BFloat16ES4_bNS0_12_GLOBAL__N_116CompareEqFunctorIS4_EEEESt5arrayIPcLm2EEEEviT0_T1_,comdat
.Lfunc_end201:
	.size	_ZN2at6native29vectorized_elementwise_kernelILi8ENS0_13AUnaryFunctorIN3c108BFloat16ES4_bNS0_12_GLOBAL__N_116CompareEqFunctorIS4_EEEESt5arrayIPcLm2EEEEviT0_T1_, .Lfunc_end201-_ZN2at6native29vectorized_elementwise_kernelILi8ENS0_13AUnaryFunctorIN3c108BFloat16ES4_bNS0_12_GLOBAL__N_116CompareEqFunctorIS4_EEEESt5arrayIPcLm2EEEEviT0_T1_
                                        ; -- End function
	.set _ZN2at6native29vectorized_elementwise_kernelILi8ENS0_13AUnaryFunctorIN3c108BFloat16ES4_bNS0_12_GLOBAL__N_116CompareEqFunctorIS4_EEEESt5arrayIPcLm2EEEEviT0_T1_.num_vgpr, 21
	.set _ZN2at6native29vectorized_elementwise_kernelILi8ENS0_13AUnaryFunctorIN3c108BFloat16ES4_bNS0_12_GLOBAL__N_116CompareEqFunctorIS4_EEEESt5arrayIPcLm2EEEEviT0_T1_.num_agpr, 0
	.set _ZN2at6native29vectorized_elementwise_kernelILi8ENS0_13AUnaryFunctorIN3c108BFloat16ES4_bNS0_12_GLOBAL__N_116CompareEqFunctorIS4_EEEESt5arrayIPcLm2EEEEviT0_T1_.numbered_sgpr, 16
	.set _ZN2at6native29vectorized_elementwise_kernelILi8ENS0_13AUnaryFunctorIN3c108BFloat16ES4_bNS0_12_GLOBAL__N_116CompareEqFunctorIS4_EEEESt5arrayIPcLm2EEEEviT0_T1_.num_named_barrier, 0
	.set _ZN2at6native29vectorized_elementwise_kernelILi8ENS0_13AUnaryFunctorIN3c108BFloat16ES4_bNS0_12_GLOBAL__N_116CompareEqFunctorIS4_EEEESt5arrayIPcLm2EEEEviT0_T1_.private_seg_size, 0
	.set _ZN2at6native29vectorized_elementwise_kernelILi8ENS0_13AUnaryFunctorIN3c108BFloat16ES4_bNS0_12_GLOBAL__N_116CompareEqFunctorIS4_EEEESt5arrayIPcLm2EEEEviT0_T1_.uses_vcc, 1
	.set _ZN2at6native29vectorized_elementwise_kernelILi8ENS0_13AUnaryFunctorIN3c108BFloat16ES4_bNS0_12_GLOBAL__N_116CompareEqFunctorIS4_EEEESt5arrayIPcLm2EEEEviT0_T1_.uses_flat_scratch, 0
	.set _ZN2at6native29vectorized_elementwise_kernelILi8ENS0_13AUnaryFunctorIN3c108BFloat16ES4_bNS0_12_GLOBAL__N_116CompareEqFunctorIS4_EEEESt5arrayIPcLm2EEEEviT0_T1_.has_dyn_sized_stack, 0
	.set _ZN2at6native29vectorized_elementwise_kernelILi8ENS0_13AUnaryFunctorIN3c108BFloat16ES4_bNS0_12_GLOBAL__N_116CompareEqFunctorIS4_EEEESt5arrayIPcLm2EEEEviT0_T1_.has_recursion, 0
	.set _ZN2at6native29vectorized_elementwise_kernelILi8ENS0_13AUnaryFunctorIN3c108BFloat16ES4_bNS0_12_GLOBAL__N_116CompareEqFunctorIS4_EEEESt5arrayIPcLm2EEEEviT0_T1_.has_indirect_call, 0
	.section	.AMDGPU.csdata,"",@progbits
; Kernel info:
; codeLenInByte = 4540
; TotalNumSgprs: 20
; NumVgprs: 21
; ScratchSize: 0
; MemoryBound: 0
; FloatMode: 240
; IeeeMode: 1
; LDSByteSize: 0 bytes/workgroup (compile time only)
; SGPRBlocks: 2
; VGPRBlocks: 5
; NumSGPRsForWavesPerEU: 20
; NumVGPRsForWavesPerEU: 21
; Occupancy: 10
; WaveLimiterHint : 1
; COMPUTE_PGM_RSRC2:SCRATCH_EN: 0
; COMPUTE_PGM_RSRC2:USER_SGPR: 6
; COMPUTE_PGM_RSRC2:TRAP_HANDLER: 0
; COMPUTE_PGM_RSRC2:TGID_X_EN: 1
; COMPUTE_PGM_RSRC2:TGID_Y_EN: 0
; COMPUTE_PGM_RSRC2:TGID_Z_EN: 0
; COMPUTE_PGM_RSRC2:TIDIG_COMP_CNT: 0
	.section	.text._ZN2at6native29vectorized_elementwise_kernelILi4ENS0_13AUnaryFunctorIN3c108BFloat16ES4_bNS0_12_GLOBAL__N_116CompareEqFunctorIS4_EEEESt5arrayIPcLm2EEEEviT0_T1_,"axG",@progbits,_ZN2at6native29vectorized_elementwise_kernelILi4ENS0_13AUnaryFunctorIN3c108BFloat16ES4_bNS0_12_GLOBAL__N_116CompareEqFunctorIS4_EEEESt5arrayIPcLm2EEEEviT0_T1_,comdat
	.globl	_ZN2at6native29vectorized_elementwise_kernelILi4ENS0_13AUnaryFunctorIN3c108BFloat16ES4_bNS0_12_GLOBAL__N_116CompareEqFunctorIS4_EEEESt5arrayIPcLm2EEEEviT0_T1_ ; -- Begin function _ZN2at6native29vectorized_elementwise_kernelILi4ENS0_13AUnaryFunctorIN3c108BFloat16ES4_bNS0_12_GLOBAL__N_116CompareEqFunctorIS4_EEEESt5arrayIPcLm2EEEEviT0_T1_
	.p2align	8
	.type	_ZN2at6native29vectorized_elementwise_kernelILi4ENS0_13AUnaryFunctorIN3c108BFloat16ES4_bNS0_12_GLOBAL__N_116CompareEqFunctorIS4_EEEESt5arrayIPcLm2EEEEviT0_T1_,@function
_ZN2at6native29vectorized_elementwise_kernelILi4ENS0_13AUnaryFunctorIN3c108BFloat16ES4_bNS0_12_GLOBAL__N_116CompareEqFunctorIS4_EEEESt5arrayIPcLm2EEEEviT0_T1_: ; @_ZN2at6native29vectorized_elementwise_kernelILi4ENS0_13AUnaryFunctorIN3c108BFloat16ES4_bNS0_12_GLOBAL__N_116CompareEqFunctorIS4_EEEESt5arrayIPcLm2EEEEviT0_T1_
; %bb.0:
	s_load_dwordx8 s[8:15], s[4:5], 0x0
	s_lshl_b32 s4, s6, 12
	s_mov_b64 s[0:1], -1
	s_waitcnt lgkmcnt(0)
	s_sub_i32 s6, s8, s4
	s_cmpk_gt_i32 s6, 0xfff
	s_cbranch_scc0 .LBB202_2
; %bb.1:
	s_ashr_i32 s5, s4, 31
	s_lshl_b64 s[0:1], s[4:5], 1
	s_add_u32 s0, s14, s0
	s_addc_u32 s1, s15, s1
	v_lshlrev_b32_e32 v5, 3, v0
	global_load_dwordx2 v[1:2], v5, s[0:1]
	global_load_dwordx2 v[3:4], v5, s[0:1] offset:2048
	v_mov_b32_e32 v6, s1
	v_add_co_u32_e32 v5, vcc, s0, v5
	v_addc_co_u32_e32 v6, vcc, 0, v6, vcc
	v_add_co_u32_e32 v5, vcc, 0x1000, v5
	v_addc_co_u32_e32 v6, vcc, 0, v6, vcc
	global_load_dwordx2 v[7:8], v[5:6], off
	s_cmp_eq_u32 s9, 0
	global_load_dwordx2 v[5:6], v[5:6], off offset:2048
	s_cselect_b64 vcc, -1, 0
	s_lshl_b32 s2, s10, 16
	v_mov_b32_e32 v9, 1
	s_waitcnt vmcnt(3)
	v_lshlrev_b32_e32 v10, 16, v1
	v_cmp_eq_f32_e64 s[0:1], s2, v10
	v_and_b32_e32 v1, 0xffff0000, v1
	v_cndmask_b32_e64 v14, 0, 1, s[0:1]
	v_cmp_neq_f32_e64 s[0:1], s2, v10
	v_cndmask_b32_e64 v10, 0, 1, s[0:1]
	v_cmp_eq_f32_e64 s[0:1], s2, v1
	v_lshlrev_b32_e32 v11, 16, v2
	v_cndmask_b32_e64 v15, 0, 1, s[0:1]
	v_cmp_neq_f32_e64 s[0:1], s2, v1
	v_cndmask_b32_e64 v1, 0, 1, s[0:1]
	v_cmp_eq_f32_e64 s[0:1], s2, v11
	v_and_b32_e32 v2, 0xffff0000, v2
	v_cndmask_b32_e64 v16, 0, 1, s[0:1]
	v_cmp_neq_f32_e64 s[0:1], s2, v11
	v_cndmask_b32_e64 v11, 0, 1, s[0:1]
	v_cmp_eq_f32_e64 s[0:1], s2, v2
	s_waitcnt vmcnt(2)
	v_lshlrev_b32_e32 v12, 16, v3
	v_cndmask_b32_e64 v17, 0, 1, s[0:1]
	v_cmp_neq_f32_e64 s[0:1], s2, v2
	v_cndmask_b32_e64 v2, 0, 1, s[0:1]
	v_cmp_eq_f32_e64 s[0:1], s2, v12
	v_and_b32_e32 v3, 0xffff0000, v3
	v_cndmask_b32_e64 v18, 0, 1, s[0:1]
	v_cmp_neq_f32_e64 s[0:1], s2, v12
	v_cndmask_b32_e64 v12, 0, 1, s[0:1]
	v_cmp_eq_f32_e64 s[0:1], s2, v3
	v_lshlrev_b32_e32 v13, 16, v4
	v_cndmask_b32_e64 v19, 0, 1, s[0:1]
	v_cmp_neq_f32_e64 s[0:1], s2, v3
	v_cndmask_b32_e64 v3, 0, 1, s[0:1]
	v_cmp_eq_f32_e64 s[0:1], s2, v13
	v_and_b32_e32 v4, 0xffff0000, v4
	v_cndmask_b32_e32 v10, v10, v14, vcc
	v_cndmask_b32_e64 v14, 0, 1, s[0:1]
	v_cmp_neq_f32_e64 s[0:1], s2, v13
	v_cndmask_b32_e64 v13, 0, 1, s[0:1]
	v_cmp_eq_f32_e64 s[0:1], s2, v4
	v_cndmask_b32_e32 v1, v1, v15, vcc
	v_cndmask_b32_e64 v15, 0, 1, s[0:1]
	v_cmp_neq_f32_e64 s[0:1], s2, v4
	v_cndmask_b32_e32 v13, v13, v14, vcc
	s_waitcnt vmcnt(1)
	v_lshlrev_b32_e32 v14, 16, v7
	v_cndmask_b32_e64 v4, 0, 1, s[0:1]
	v_cmp_eq_f32_e64 s[0:1], s2, v14
	v_cndmask_b32_e32 v4, v4, v15, vcc
	v_and_b32_e32 v7, 0xffff0000, v7
	v_cndmask_b32_e64 v15, 0, 1, s[0:1]
	v_cmp_neq_f32_e64 s[0:1], s2, v14
	v_cndmask_b32_e64 v14, 0, 1, s[0:1]
	v_cmp_eq_f32_e64 s[0:1], s2, v7
	v_cndmask_b32_e32 v11, v11, v16, vcc
	v_cndmask_b32_e64 v16, 0, 1, s[0:1]
	v_cmp_neq_f32_e64 s[0:1], s2, v7
	v_cndmask_b32_e32 v14, v14, v15, vcc
	v_lshlrev_b32_e32 v15, 16, v8
	v_cndmask_b32_e64 v7, 0, 1, s[0:1]
	v_cmp_eq_f32_e64 s[0:1], s2, v15
	v_cndmask_b32_e32 v7, v7, v16, vcc
	v_cndmask_b32_e64 v16, 0, 1, s[0:1]
	v_cmp_neq_f32_e64 s[0:1], s2, v15
	v_and_b32_e32 v8, 0xffff0000, v8
	v_cndmask_b32_e64 v15, 0, 1, s[0:1]
	v_cmp_eq_f32_e64 s[0:1], s2, v8
	v_cndmask_b32_e32 v15, v15, v16, vcc
	v_cndmask_b32_e64 v16, 0, 1, s[0:1]
	v_cmp_neq_f32_e64 s[0:1], s2, v8
	v_cndmask_b32_e64 v8, 0, 1, s[0:1]
	v_cndmask_b32_e32 v8, v8, v16, vcc
	s_waitcnt vmcnt(0)
	v_lshlrev_b32_e32 v16, 16, v5
	v_cmp_eq_f32_e64 s[0:1], s2, v16
	v_cndmask_b32_e32 v2, v2, v17, vcc
	v_cndmask_b32_e64 v17, 0, 1, s[0:1]
	v_cmp_neq_f32_e64 s[0:1], s2, v16
	v_and_b32_e32 v5, 0xffff0000, v5
	v_cndmask_b32_e64 v16, 0, 1, s[0:1]
	v_cmp_eq_f32_e64 s[0:1], s2, v5
	v_cndmask_b32_e32 v16, v16, v17, vcc
	v_cndmask_b32_e64 v17, 0, 1, s[0:1]
	v_cmp_neq_f32_e64 s[0:1], s2, v5
	v_cndmask_b32_e64 v5, 0, 1, s[0:1]
	v_cndmask_b32_e32 v5, v5, v17, vcc
	v_lshlrev_b32_e32 v17, 16, v6
	v_cmp_eq_f32_e64 s[0:1], s2, v17
	v_cndmask_b32_e32 v12, v12, v18, vcc
	v_cndmask_b32_e64 v18, 0, 1, s[0:1]
	v_cmp_neq_f32_e64 s[0:1], s2, v17
	v_and_b32_e32 v6, 0xffff0000, v6
	v_cndmask_b32_e64 v17, 0, 1, s[0:1]
	v_cmp_eq_f32_e64 s[0:1], s2, v6
	v_cndmask_b32_e32 v17, v17, v18, vcc
	v_cndmask_b32_e64 v18, 0, 1, s[0:1]
	v_cmp_neq_f32_e64 s[0:1], s2, v6
	v_cndmask_b32_e64 v6, 0, 1, s[0:1]
	v_cndmask_b32_e32 v6, v6, v18, vcc
	v_cndmask_b32_e32 v3, v3, v19, vcc
	v_and_b32_e32 v10, 1, v10
	v_and_b32_sdwa v1, v1, v9 dst_sel:BYTE_1 dst_unused:UNUSED_PAD src0_sel:DWORD src1_sel:DWORD
	v_and_b32_e32 v11, 1, v11
	v_and_b32_sdwa v2, v2, v9 dst_sel:BYTE_1 dst_unused:UNUSED_PAD src0_sel:DWORD src1_sel:DWORD
	;; [unrolled: 2-line block ×8, first 2 shown]
	v_or_b32_e32 v5, v16, v5
	v_or_b32_sdwa v6, v17, v6 dst_sel:WORD_1 dst_unused:UNUSED_PAD src0_sel:DWORD src1_sel:DWORD
	v_or_b32_e32 v1, v10, v1
	v_or_b32_sdwa v2, v11, v2 dst_sel:WORD_1 dst_unused:UNUSED_PAD src0_sel:DWORD src1_sel:DWORD
	s_add_u32 s0, s12, s4
	v_or_b32_sdwa v5, v5, v6 dst_sel:DWORD dst_unused:UNUSED_PAD src0_sel:WORD_0 src1_sel:DWORD
	v_or_b32_e32 v6, v14, v7
	v_or_b32_sdwa v7, v15, v8 dst_sel:WORD_1 dst_unused:UNUSED_PAD src0_sel:DWORD src1_sel:DWORD
	v_or_b32_e32 v3, v12, v3
	v_or_b32_sdwa v4, v13, v4 dst_sel:WORD_1 dst_unused:UNUSED_PAD src0_sel:DWORD src1_sel:DWORD
	v_or_b32_sdwa v1, v1, v2 dst_sel:DWORD dst_unused:UNUSED_PAD src0_sel:WORD_0 src1_sel:DWORD
	s_addc_u32 s1, s13, s5
	v_lshlrev_b32_e32 v2, 2, v0
	v_or_b32_sdwa v6, v6, v7 dst_sel:DWORD dst_unused:UNUSED_PAD src0_sel:WORD_0 src1_sel:DWORD
	v_or_b32_sdwa v3, v3, v4 dst_sel:DWORD dst_unused:UNUSED_PAD src0_sel:WORD_0 src1_sel:DWORD
	global_store_dword v2, v1, s[0:1]
	global_store_dword v2, v3, s[0:1] offset:1024
	global_store_dword v2, v6, s[0:1] offset:2048
	;; [unrolled: 1-line block ×3, first 2 shown]
	s_mov_b64 s[0:1], 0
.LBB202_2:
	s_andn2_b64 vcc, exec, s[0:1]
	s_cbranch_vccnz .LBB202_52
; %bb.3:
	v_cmp_gt_i32_e32 vcc, s6, v0
	v_mov_b32_e32 v3, 0
	v_or_b32_e32 v1, s4, v0
	v_mov_b32_e32 v2, 0
	v_mov_b32_e32 v5, v0
	s_and_saveexec_b64 s[2:3], vcc
	s_cbranch_execz .LBB202_5
; %bb.4:
	v_mov_b32_e32 v2, 0
	v_lshlrev_b64 v[4:5], 1, v[1:2]
	v_mov_b32_e32 v2, s15
	v_add_co_u32_e64 v4, s[0:1], s14, v4
	v_addc_co_u32_e64 v5, s[0:1], v2, v5, s[0:1]
	global_load_ushort v2, v[4:5], off
	v_or_b32_e32 v5, 0x100, v0
	s_waitcnt vmcnt(0)
	v_lshlrev_b32_e32 v2, 16, v2
.LBB202_5:
	s_or_b64 exec, exec, s[2:3]
	v_cmp_gt_i32_e64 s[0:1], s6, v5
	s_and_saveexec_b64 s[2:3], s[0:1]
	s_cbranch_execz .LBB202_7
; %bb.6:
	v_add_u32_e32 v3, s4, v5
	v_mov_b32_e32 v4, 0
	v_lshlrev_b64 v[3:4], 1, v[3:4]
	v_mov_b32_e32 v6, s15
	v_add_co_u32_e64 v3, s[0:1], s14, v3
	v_addc_co_u32_e64 v4, s[0:1], v6, v4, s[0:1]
	global_load_ushort v3, v[3:4], off
	v_add_u32_e32 v5, 0x100, v5
	s_waitcnt vmcnt(0)
	v_lshlrev_b32_e32 v3, 16, v3
.LBB202_7:
	s_or_b64 exec, exec, s[2:3]
	v_cmp_gt_i32_e64 s[0:1], s6, v5
	v_mov_b32_e32 v4, 0
	v_mov_b32_e32 v6, 0
	s_and_saveexec_b64 s[2:3], s[0:1]
	s_cbranch_execz .LBB202_9
; %bb.8:
	v_add_u32_e32 v6, s4, v5
	v_mov_b32_e32 v7, 0
	v_lshlrev_b64 v[6:7], 1, v[6:7]
	v_mov_b32_e32 v8, s15
	v_add_co_u32_e64 v6, s[0:1], s14, v6
	v_addc_co_u32_e64 v7, s[0:1], v8, v7, s[0:1]
	global_load_ushort v6, v[6:7], off
	v_add_u32_e32 v5, 0x100, v5
	s_waitcnt vmcnt(0)
	v_lshlrev_b32_e32 v6, 16, v6
.LBB202_9:
	s_or_b64 exec, exec, s[2:3]
	v_cmp_gt_i32_e64 s[0:1], s6, v5
	s_and_saveexec_b64 s[2:3], s[0:1]
	s_cbranch_execz .LBB202_11
; %bb.10:
	v_add_u32_e32 v7, s4, v5
	v_mov_b32_e32 v8, 0
	v_lshlrev_b64 v[7:8], 1, v[7:8]
	v_mov_b32_e32 v4, s15
	v_add_co_u32_e64 v7, s[0:1], s14, v7
	v_addc_co_u32_e64 v8, s[0:1], v4, v8, s[0:1]
	global_load_ushort v4, v[7:8], off
	v_add_u32_e32 v5, 0x100, v5
	s_waitcnt vmcnt(0)
	v_lshlrev_b32_e32 v4, 16, v4
.LBB202_11:
	s_or_b64 exec, exec, s[2:3]
	v_cmp_gt_i32_e64 s[0:1], s6, v5
	v_mov_b32_e32 v7, 0
	v_mov_b32_e32 v8, 0
	s_and_saveexec_b64 s[2:3], s[0:1]
	s_cbranch_execz .LBB202_13
; %bb.12:
	v_add_u32_e32 v8, s4, v5
	v_mov_b32_e32 v9, 0
	v_lshlrev_b64 v[8:9], 1, v[8:9]
	v_mov_b32_e32 v10, s15
	v_add_co_u32_e64 v8, s[0:1], s14, v8
	v_addc_co_u32_e64 v9, s[0:1], v10, v9, s[0:1]
	global_load_ushort v8, v[8:9], off
	v_add_u32_e32 v5, 0x100, v5
	s_waitcnt vmcnt(0)
	v_lshlrev_b32_e32 v8, 16, v8
.LBB202_13:
	;; [unrolled: 34-line block ×7, first 2 shown]
	s_or_b64 exec, exec, s[2:3]
	v_cmp_gt_i32_e64 s[0:1], s6, v5
	s_and_saveexec_b64 s[2:3], s[0:1]
	s_cbranch_execz .LBB202_35
; %bb.34:
	v_add_u32_e32 v19, s4, v5
	v_mov_b32_e32 v20, 0
	v_lshlrev_b64 v[19:20], 1, v[19:20]
	v_mov_b32_e32 v5, s15
	v_add_co_u32_e64 v19, s[0:1], s14, v19
	v_addc_co_u32_e64 v20, s[0:1], v5, v20, s[0:1]
	global_load_ushort v5, v[19:20], off
	s_waitcnt vmcnt(0)
	v_lshlrev_b32_e32 v17, 16, v5
.LBB202_35:
	s_or_b64 exec, exec, s[2:3]
	s_cmp_eq_u32 s9, 0
	s_cselect_b64 s[0:1], -1, 0
	s_lshl_b32 s5, s10, 16
	v_cmp_eq_f32_e64 s[2:3], s5, v2
	v_cndmask_b32_e64 v5, 0, 1, s[2:3]
	v_cmp_neq_f32_e64 s[2:3], s5, v2
	v_cndmask_b32_e64 v2, 0, 1, s[2:3]
	v_cndmask_b32_e64 v2, v2, v5, s[0:1]
	v_cndmask_b32_e64 v5, 0, 1, vcc
	v_cmp_eq_f32_e64 s[2:3], s5, v3
	v_and_b32_e32 v2, v5, v2
	v_cndmask_b32_e64 v5, 0, 1, s[2:3]
	v_cmp_neq_f32_e64 s[2:3], s5, v3
	v_cndmask_b32_e64 v3, 0, 1, s[2:3]
	v_cndmask_b32_e64 v3, v3, v5, s[0:1]
	v_mov_b32_e32 v20, 1
	v_and_b32_sdwa v3, v3, v20 dst_sel:BYTE_1 dst_unused:UNUSED_PAD src0_sel:DWORD src1_sel:DWORD
	v_or_b32_e32 v19, 0x100, v0
	v_or_b32_e32 v3, v2, v3
	v_and_b32_e32 v3, 0xffff, v3
	v_cmp_gt_i32_e64 s[2:3], s6, v19
	v_cndmask_b32_e64 v2, v2, v3, s[2:3]
	v_cmp_eq_f32_e64 s[2:3], s5, v6
	v_cndmask_b32_e64 v5, 0, 1, s[2:3]
	v_cmp_neq_f32_e64 s[2:3], s5, v6
	v_cndmask_b32_e64 v6, 0, 1, s[2:3]
	v_cndmask_b32_e64 v5, v6, v5, s[0:1]
	v_or_b32_e32 v3, 0x200, v0
	v_and_b32_e32 v5, 1, v5
	v_lshl_or_b32 v5, v5, 16, v2
	v_cmp_gt_i32_e64 s[2:3], s6, v3
	v_cndmask_b32_e64 v2, v2, v5, s[2:3]
	v_cmp_eq_f32_e64 s[2:3], s5, v4
	v_cndmask_b32_e64 v6, 0, 1, s[2:3]
	v_cmp_neq_f32_e64 s[2:3], s5, v4
	v_cndmask_b32_e64 v4, 0, 1, s[2:3]
	s_movk_i32 s8, 0xff
	v_cndmask_b32_e64 v4, v4, v6, s[0:1]
	v_and_b32_sdwa v3, v2, s8 dst_sel:DWORD dst_unused:UNUSED_PAD src0_sel:WORD_1 src1_sel:DWORD
	v_and_b32_sdwa v4, v4, v20 dst_sel:BYTE_1 dst_unused:UNUSED_PAD src0_sel:DWORD src1_sel:DWORD
	s_mov_b32 s7, 0xffff
	v_or_b32_e32 v5, 0x300, v0
	v_or_b32_sdwa v3, v3, v4 dst_sel:WORD_1 dst_unused:UNUSED_PAD src0_sel:DWORD src1_sel:DWORD
	v_and_or_b32 v3, v2, s7, v3
	v_cmp_gt_i32_e64 s[2:3], s6, v5
	v_cndmask_b32_e64 v5, v2, v3, s[2:3]
	v_cmp_eq_f32_e64 s[2:3], s5, v8
	v_cndmask_b32_e64 v2, 0, 1, s[2:3]
	v_cmp_neq_f32_e64 s[2:3], s5, v8
	v_cndmask_b32_e64 v3, 0, 1, s[2:3]
	v_cndmask_b32_e64 v2, v3, v2, s[0:1]
	v_and_b32_e32 v2, 1, v2
	v_or_b32_e32 v3, 0x400, v0
	v_and_b32_e32 v2, 0xffff, v2
	v_cmp_gt_i32_e64 s[2:3], s6, v3
	v_cndmask_b32_e64 v2, 0, v2, s[2:3]
	v_cmp_eq_f32_e64 s[2:3], s5, v7
	v_cndmask_b32_e64 v4, 0, 1, s[2:3]
	v_cmp_neq_f32_e64 s[2:3], s5, v7
	v_cndmask_b32_e64 v6, 0, 1, s[2:3]
	v_cndmask_b32_e64 v4, v6, v4, s[0:1]
	v_and_b32_sdwa v4, v4, v20 dst_sel:BYTE_1 dst_unused:UNUSED_PAD src0_sel:DWORD src1_sel:DWORD
	v_or_b32_e32 v3, 0x500, v0
	v_or_b32_sdwa v4, v2, v4 dst_sel:DWORD dst_unused:UNUSED_PAD src0_sel:BYTE_0 src1_sel:DWORD
	v_and_b32_e32 v4, 0xffff, v4
	v_cmp_gt_i32_e64 s[2:3], s6, v3
	v_cndmask_b32_e64 v2, v2, v4, s[2:3]
	v_cmp_eq_f32_e64 s[2:3], s5, v10
	v_cndmask_b32_e64 v4, 0, 1, s[2:3]
	v_cmp_neq_f32_e64 s[2:3], s5, v10
	v_cndmask_b32_e64 v6, 0, 1, s[2:3]
	s_movk_i32 s9, 0xff00
	v_cndmask_b32_e64 v4, v6, v4, s[0:1]
	v_and_b32_sdwa v3, v2, s9 dst_sel:DWORD dst_unused:UNUSED_PAD src0_sel:WORD_1 src1_sel:DWORD
	v_and_b32_e32 v4, 1, v4
	v_or_b32_sdwa v3, v4, v3 dst_sel:WORD_1 dst_unused:UNUSED_PAD src0_sel:DWORD src1_sel:DWORD
	v_or_b32_e32 v4, 0x600, v0
	v_and_or_b32 v3, v2, s7, v3
	v_cmp_gt_i32_e64 s[2:3], s6, v4
	v_cndmask_b32_e64 v2, v2, v3, s[2:3]
	v_cmp_eq_f32_e64 s[2:3], s5, v9
	v_cndmask_b32_e64 v6, 0, 1, s[2:3]
	v_cmp_neq_f32_e64 s[2:3], s5, v9
	v_cndmask_b32_e64 v7, 0, 1, s[2:3]
	v_cndmask_b32_e64 v6, v7, v6, s[0:1]
	v_and_b32_sdwa v3, v2, s8 dst_sel:DWORD dst_unused:UNUSED_PAD src0_sel:WORD_1 src1_sel:DWORD
	v_and_b32_sdwa v6, v6, v20 dst_sel:BYTE_1 dst_unused:UNUSED_PAD src0_sel:DWORD src1_sel:DWORD
	v_or_b32_e32 v4, 0x700, v0
	v_or_b32_sdwa v3, v3, v6 dst_sel:WORD_1 dst_unused:UNUSED_PAD src0_sel:DWORD src1_sel:DWORD
	v_and_or_b32 v3, v2, s7, v3
	v_cmp_gt_i32_e64 s[2:3], s6, v4
	v_cndmask_b32_e64 v4, v2, v3, s[2:3]
	v_cmp_eq_f32_e64 s[2:3], s5, v12
	v_or_b32_e32 v2, 0x800, v0
	v_cndmask_b32_e64 v3, 0, 1, s[2:3]
	v_cmp_neq_f32_e64 s[2:3], s5, v12
	v_cndmask_b32_e64 v6, 0, 1, s[2:3]
	v_cmp_gt_i32_e64 s[2:3], s6, v2
	v_cndmask_b32_e64 v2, 0, 1, s[2:3]
	v_cmp_eq_f32_e64 s[2:3], s5, v11
	v_cndmask_b32_e64 v3, v6, v3, s[0:1]
	v_cndmask_b32_e64 v6, 0, 1, s[2:3]
	v_cmp_neq_f32_e64 s[2:3], s5, v11
	v_cndmask_b32_e64 v7, 0, 1, s[2:3]
	v_cndmask_b32_e64 v6, v7, v6, s[0:1]
	v_and_b32_e32 v2, v2, v3
	v_and_b32_sdwa v6, v6, v20 dst_sel:BYTE_1 dst_unused:UNUSED_PAD src0_sel:DWORD src1_sel:DWORD
	v_or_b32_e32 v3, 0x900, v0
	v_or_b32_e32 v6, v2, v6
	v_and_b32_e32 v6, 0xffff, v6
	v_cmp_gt_i32_e64 s[2:3], s6, v3
	v_cndmask_b32_e64 v2, v2, v6, s[2:3]
	v_cmp_eq_f32_e64 s[2:3], s5, v14
	v_cndmask_b32_e64 v6, 0, 1, s[2:3]
	v_cmp_neq_f32_e64 s[2:3], s5, v14
	v_cndmask_b32_e64 v7, 0, 1, s[2:3]
	v_cndmask_b32_e64 v6, v7, v6, s[0:1]
	v_or_b32_e32 v3, 0xa00, v0
	v_and_b32_sdwa v6, v6, v20 dst_sel:WORD_1 dst_unused:UNUSED_PAD src0_sel:DWORD src1_sel:DWORD
	s_movk_i32 s2, 0x1ff
	v_and_or_b32 v6, v2, s2, v6
	v_cmp_gt_i32_e64 s[2:3], s6, v3
	v_cndmask_b32_e64 v2, v2, v6, s[2:3]
	v_cmp_eq_f32_e64 s[2:3], s5, v13
	v_cndmask_b32_e64 v7, 0, 1, s[2:3]
	v_cmp_neq_f32_e64 s[2:3], s5, v13
	v_cndmask_b32_e64 v8, 0, 1, s[2:3]
	v_cndmask_b32_e64 v7, v8, v7, s[0:1]
	v_and_b32_sdwa v3, v2, s8 dst_sel:DWORD dst_unused:UNUSED_PAD src0_sel:WORD_1 src1_sel:DWORD
	v_and_b32_sdwa v7, v7, v20 dst_sel:BYTE_1 dst_unused:UNUSED_PAD src0_sel:DWORD src1_sel:DWORD
	v_or_b32_e32 v6, 0xb00, v0
	v_or_b32_sdwa v3, v3, v7 dst_sel:WORD_1 dst_unused:UNUSED_PAD src0_sel:DWORD src1_sel:DWORD
	v_and_or_b32 v3, v2, s7, v3
	v_cmp_gt_i32_e64 s[2:3], s6, v6
	v_cndmask_b32_e64 v3, v2, v3, s[2:3]
	v_cmp_eq_f32_e64 s[2:3], s5, v16
	v_cndmask_b32_e64 v6, 0, 1, s[2:3]
	v_cmp_neq_f32_e64 s[2:3], s5, v16
	v_cndmask_b32_e64 v7, 0, 1, s[2:3]
	v_or_b32_e32 v2, 0xc00, v0
	v_cndmask_b32_e64 v6, v7, v6, s[0:1]
	v_and_b32_e32 v6, 1, v6
	v_cmp_gt_i32_e64 s[2:3], s6, v2
	v_cndmask_b32_e64 v2, 0, v6, s[2:3]
	v_cmp_eq_f32_e64 s[2:3], s5, v15
	v_cndmask_b32_e64 v7, 0, 1, s[2:3]
	v_cmp_neq_f32_e64 s[2:3], s5, v15
	v_cndmask_b32_e64 v8, 0, 1, s[2:3]
	v_cndmask_b32_e64 v7, v8, v7, s[0:1]
	v_and_b32_sdwa v7, v7, v20 dst_sel:BYTE_1 dst_unused:UNUSED_PAD src0_sel:DWORD src1_sel:DWORD
	v_or_b32_e32 v6, 0xd00, v0
	v_or_b32_sdwa v7, v2, v7 dst_sel:DWORD dst_unused:UNUSED_PAD src0_sel:BYTE_0 src1_sel:DWORD
	v_and_b32_e32 v7, 0xffff, v7
	v_cmp_gt_i32_e64 s[2:3], s6, v6
	v_cndmask_b32_e64 v2, v2, v7, s[2:3]
	v_cmp_eq_f32_e64 s[2:3], s5, v18
	v_cndmask_b32_e64 v7, 0, 1, s[2:3]
	v_cmp_neq_f32_e64 s[2:3], s5, v18
	v_cndmask_b32_e64 v8, 0, 1, s[2:3]
	v_cndmask_b32_e64 v7, v8, v7, s[0:1]
	v_and_b32_sdwa v6, v2, s9 dst_sel:DWORD dst_unused:UNUSED_PAD src0_sel:WORD_1 src1_sel:DWORD
	v_and_b32_e32 v7, 1, v7
	v_or_b32_sdwa v6, v7, v6 dst_sel:WORD_1 dst_unused:UNUSED_PAD src0_sel:DWORD src1_sel:DWORD
	v_or_b32_e32 v7, 0xe00, v0
	v_and_or_b32 v6, v2, s7, v6
	v_cmp_gt_i32_e64 s[2:3], s6, v7
	v_cndmask_b32_e64 v2, v2, v6, s[2:3]
	v_cmp_eq_f32_e64 s[2:3], s5, v17
	v_cndmask_b32_e64 v8, 0, 1, s[2:3]
	v_cmp_neq_f32_e64 s[2:3], s5, v17
	v_cndmask_b32_e64 v9, 0, 1, s[2:3]
	v_cndmask_b32_e64 v8, v9, v8, s[0:1]
	v_and_b32_sdwa v6, v2, s8 dst_sel:DWORD dst_unused:UNUSED_PAD src0_sel:WORD_1 src1_sel:DWORD
	v_and_b32_sdwa v8, v8, v20 dst_sel:BYTE_1 dst_unused:UNUSED_PAD src0_sel:DWORD src1_sel:DWORD
	v_or_b32_e32 v7, 0xf00, v0
	v_or_b32_sdwa v6, v6, v8 dst_sel:WORD_1 dst_unused:UNUSED_PAD src0_sel:DWORD src1_sel:DWORD
	v_and_or_b32 v6, v2, s7, v6
	v_cmp_gt_i32_e64 s[0:1], s6, v7
	v_cndmask_b32_e64 v2, v2, v6, s[0:1]
	s_and_saveexec_b64 s[0:1], vcc
	s_cbranch_execnz .LBB202_53
; %bb.36:
	s_or_b64 exec, exec, s[0:1]
	v_cmp_gt_i32_e32 vcc, s6, v0
	s_and_saveexec_b64 s[0:1], vcc
	s_cbranch_execnz .LBB202_54
.LBB202_37:
	s_or_b64 exec, exec, s[0:1]
	v_cmp_gt_i32_e32 vcc, s6, v0
	s_and_saveexec_b64 s[0:1], vcc
	s_cbranch_execnz .LBB202_55
.LBB202_38:
	s_or_b64 exec, exec, s[0:1]
	v_cmp_gt_i32_e32 vcc, s6, v0
	s_and_saveexec_b64 s[0:1], vcc
	s_cbranch_execnz .LBB202_56
.LBB202_39:
	s_or_b64 exec, exec, s[0:1]
	v_cmp_gt_i32_e32 vcc, s6, v0
	s_and_saveexec_b64 s[0:1], vcc
	s_cbranch_execnz .LBB202_57
.LBB202_40:
	s_or_b64 exec, exec, s[0:1]
	v_cmp_gt_i32_e32 vcc, s6, v0
	s_and_saveexec_b64 s[0:1], vcc
	s_cbranch_execnz .LBB202_58
.LBB202_41:
	s_or_b64 exec, exec, s[0:1]
	v_cmp_gt_i32_e32 vcc, s6, v0
	s_and_saveexec_b64 s[0:1], vcc
	s_cbranch_execnz .LBB202_59
.LBB202_42:
	s_or_b64 exec, exec, s[0:1]
	v_cmp_gt_i32_e32 vcc, s6, v0
	s_and_saveexec_b64 s[0:1], vcc
	s_cbranch_execnz .LBB202_60
.LBB202_43:
	s_or_b64 exec, exec, s[0:1]
	v_cmp_gt_i32_e32 vcc, s6, v0
	s_and_saveexec_b64 s[0:1], vcc
	s_cbranch_execnz .LBB202_61
.LBB202_44:
	s_or_b64 exec, exec, s[0:1]
	v_cmp_gt_i32_e32 vcc, s6, v0
	s_and_saveexec_b64 s[0:1], vcc
	s_cbranch_execnz .LBB202_62
.LBB202_45:
	s_or_b64 exec, exec, s[0:1]
	v_cmp_gt_i32_e32 vcc, s6, v0
	s_and_saveexec_b64 s[0:1], vcc
	s_cbranch_execnz .LBB202_63
.LBB202_46:
	s_or_b64 exec, exec, s[0:1]
	v_cmp_gt_i32_e32 vcc, s6, v0
	s_and_saveexec_b64 s[0:1], vcc
	s_cbranch_execnz .LBB202_64
.LBB202_47:
	s_or_b64 exec, exec, s[0:1]
	v_cmp_gt_i32_e32 vcc, s6, v0
	s_and_saveexec_b64 s[0:1], vcc
	s_cbranch_execnz .LBB202_65
.LBB202_48:
	s_or_b64 exec, exec, s[0:1]
	v_cmp_gt_i32_e32 vcc, s6, v0
	s_and_saveexec_b64 s[0:1], vcc
	s_cbranch_execnz .LBB202_66
.LBB202_49:
	s_or_b64 exec, exec, s[0:1]
	v_cmp_gt_i32_e32 vcc, s6, v0
	s_and_saveexec_b64 s[0:1], vcc
	s_cbranch_execnz .LBB202_67
.LBB202_50:
	s_or_b64 exec, exec, s[0:1]
	v_cmp_gt_i32_e32 vcc, s6, v0
	s_and_saveexec_b64 s[0:1], vcc
	s_cbranch_execz .LBB202_52
.LBB202_51:
	v_lshrrev_b32_e32 v1, 24, v2
	v_add_u32_e32 v0, s4, v0
	global_store_byte v0, v1, s[12:13]
.LBB202_52:
	s_endpgm
.LBB202_53:
	v_mov_b32_e32 v0, v19
	global_store_byte v1, v5, s[12:13]
	s_or_b64 exec, exec, s[0:1]
	v_cmp_gt_i32_e32 vcc, s6, v0
	s_and_saveexec_b64 s[0:1], vcc
	s_cbranch_execz .LBB202_37
.LBB202_54:
	v_lshrrev_b32_e32 v1, 8, v5
	v_add_u32_e32 v6, s4, v0
	v_add_u32_e32 v0, 0x100, v0
	global_store_byte v6, v1, s[12:13]
	s_or_b64 exec, exec, s[0:1]
	v_cmp_gt_i32_e32 vcc, s6, v0
	s_and_saveexec_b64 s[0:1], vcc
	s_cbranch_execz .LBB202_38
.LBB202_55:
	v_add_u32_e32 v1, s4, v0
	v_add_u32_e32 v0, 0x100, v0
	global_store_byte_d16_hi v1, v5, s[12:13]
	s_or_b64 exec, exec, s[0:1]
	v_cmp_gt_i32_e32 vcc, s6, v0
	s_and_saveexec_b64 s[0:1], vcc
	s_cbranch_execz .LBB202_39
.LBB202_56:
	v_lshrrev_b32_e32 v1, 24, v5
	v_add_u32_e32 v5, s4, v0
	v_add_u32_e32 v0, 0x100, v0
	global_store_byte v5, v1, s[12:13]
	s_or_b64 exec, exec, s[0:1]
	v_cmp_gt_i32_e32 vcc, s6, v0
	s_and_saveexec_b64 s[0:1], vcc
	s_cbranch_execz .LBB202_40
.LBB202_57:
	v_add_u32_e32 v1, s4, v0
	v_add_u32_e32 v0, 0x100, v0
	global_store_byte v1, v4, s[12:13]
	s_or_b64 exec, exec, s[0:1]
	v_cmp_gt_i32_e32 vcc, s6, v0
	s_and_saveexec_b64 s[0:1], vcc
	s_cbranch_execz .LBB202_41
.LBB202_58:
	v_lshrrev_b32_e32 v1, 8, v4
	v_add_u32_e32 v5, s4, v0
	v_add_u32_e32 v0, 0x100, v0
	global_store_byte v5, v1, s[12:13]
	s_or_b64 exec, exec, s[0:1]
	v_cmp_gt_i32_e32 vcc, s6, v0
	s_and_saveexec_b64 s[0:1], vcc
	s_cbranch_execz .LBB202_42
.LBB202_59:
	v_add_u32_e32 v1, s4, v0
	v_add_u32_e32 v0, 0x100, v0
	global_store_byte_d16_hi v1, v4, s[12:13]
	s_or_b64 exec, exec, s[0:1]
	v_cmp_gt_i32_e32 vcc, s6, v0
	s_and_saveexec_b64 s[0:1], vcc
	s_cbranch_execz .LBB202_43
.LBB202_60:
	v_lshrrev_b32_e32 v1, 24, v4
	v_add_u32_e32 v4, s4, v0
	v_add_u32_e32 v0, 0x100, v0
	global_store_byte v4, v1, s[12:13]
	s_or_b64 exec, exec, s[0:1]
	v_cmp_gt_i32_e32 vcc, s6, v0
	s_and_saveexec_b64 s[0:1], vcc
	s_cbranch_execz .LBB202_44
.LBB202_61:
	v_add_u32_e32 v1, s4, v0
	v_add_u32_e32 v0, 0x100, v0
	global_store_byte v1, v3, s[12:13]
	s_or_b64 exec, exec, s[0:1]
	v_cmp_gt_i32_e32 vcc, s6, v0
	s_and_saveexec_b64 s[0:1], vcc
	s_cbranch_execz .LBB202_45
.LBB202_62:
	v_lshrrev_b32_e32 v1, 8, v3
	v_add_u32_e32 v4, s4, v0
	v_add_u32_e32 v0, 0x100, v0
	global_store_byte v4, v1, s[12:13]
	s_or_b64 exec, exec, s[0:1]
	v_cmp_gt_i32_e32 vcc, s6, v0
	s_and_saveexec_b64 s[0:1], vcc
	s_cbranch_execz .LBB202_46
.LBB202_63:
	v_add_u32_e32 v1, s4, v0
	v_add_u32_e32 v0, 0x100, v0
	global_store_byte_d16_hi v1, v3, s[12:13]
	s_or_b64 exec, exec, s[0:1]
	v_cmp_gt_i32_e32 vcc, s6, v0
	s_and_saveexec_b64 s[0:1], vcc
	s_cbranch_execz .LBB202_47
.LBB202_64:
	v_lshrrev_b32_e32 v1, 24, v3
	v_add_u32_e32 v3, s4, v0
	v_add_u32_e32 v0, 0x100, v0
	global_store_byte v3, v1, s[12:13]
	s_or_b64 exec, exec, s[0:1]
	v_cmp_gt_i32_e32 vcc, s6, v0
	s_and_saveexec_b64 s[0:1], vcc
	s_cbranch_execz .LBB202_48
.LBB202_65:
	v_add_u32_e32 v1, s4, v0
	v_add_u32_e32 v0, 0x100, v0
	global_store_byte v1, v2, s[12:13]
	s_or_b64 exec, exec, s[0:1]
	v_cmp_gt_i32_e32 vcc, s6, v0
	s_and_saveexec_b64 s[0:1], vcc
	s_cbranch_execz .LBB202_49
.LBB202_66:
	v_lshrrev_b32_e32 v1, 8, v2
	v_add_u32_e32 v3, s4, v0
	v_add_u32_e32 v0, 0x100, v0
	global_store_byte v3, v1, s[12:13]
	s_or_b64 exec, exec, s[0:1]
	v_cmp_gt_i32_e32 vcc, s6, v0
	s_and_saveexec_b64 s[0:1], vcc
	s_cbranch_execz .LBB202_50
.LBB202_67:
	v_add_u32_e32 v1, s4, v0
	v_add_u32_e32 v0, 0x100, v0
	global_store_byte_d16_hi v1, v2, s[12:13]
	s_or_b64 exec, exec, s[0:1]
	v_cmp_gt_i32_e32 vcc, s6, v0
	s_and_saveexec_b64 s[0:1], vcc
	s_cbranch_execnz .LBB202_51
	s_branch .LBB202_52
	.section	.rodata,"a",@progbits
	.p2align	6, 0x0
	.amdhsa_kernel _ZN2at6native29vectorized_elementwise_kernelILi4ENS0_13AUnaryFunctorIN3c108BFloat16ES4_bNS0_12_GLOBAL__N_116CompareEqFunctorIS4_EEEESt5arrayIPcLm2EEEEviT0_T1_
		.amdhsa_group_segment_fixed_size 0
		.amdhsa_private_segment_fixed_size 0
		.amdhsa_kernarg_size 32
		.amdhsa_user_sgpr_count 6
		.amdhsa_user_sgpr_private_segment_buffer 1
		.amdhsa_user_sgpr_dispatch_ptr 0
		.amdhsa_user_sgpr_queue_ptr 0
		.amdhsa_user_sgpr_kernarg_segment_ptr 1
		.amdhsa_user_sgpr_dispatch_id 0
		.amdhsa_user_sgpr_flat_scratch_init 0
		.amdhsa_user_sgpr_private_segment_size 0
		.amdhsa_uses_dynamic_stack 0
		.amdhsa_system_sgpr_private_segment_wavefront_offset 0
		.amdhsa_system_sgpr_workgroup_id_x 1
		.amdhsa_system_sgpr_workgroup_id_y 0
		.amdhsa_system_sgpr_workgroup_id_z 0
		.amdhsa_system_sgpr_workgroup_info 0
		.amdhsa_system_vgpr_workitem_id 0
		.amdhsa_next_free_vgpr 21
		.amdhsa_next_free_sgpr 16
		.amdhsa_reserve_vcc 1
		.amdhsa_reserve_flat_scratch 0
		.amdhsa_float_round_mode_32 0
		.amdhsa_float_round_mode_16_64 0
		.amdhsa_float_denorm_mode_32 3
		.amdhsa_float_denorm_mode_16_64 3
		.amdhsa_dx10_clamp 1
		.amdhsa_ieee_mode 1
		.amdhsa_fp16_overflow 0
		.amdhsa_exception_fp_ieee_invalid_op 0
		.amdhsa_exception_fp_denorm_src 0
		.amdhsa_exception_fp_ieee_div_zero 0
		.amdhsa_exception_fp_ieee_overflow 0
		.amdhsa_exception_fp_ieee_underflow 0
		.amdhsa_exception_fp_ieee_inexact 0
		.amdhsa_exception_int_div_zero 0
	.end_amdhsa_kernel
	.section	.text._ZN2at6native29vectorized_elementwise_kernelILi4ENS0_13AUnaryFunctorIN3c108BFloat16ES4_bNS0_12_GLOBAL__N_116CompareEqFunctorIS4_EEEESt5arrayIPcLm2EEEEviT0_T1_,"axG",@progbits,_ZN2at6native29vectorized_elementwise_kernelILi4ENS0_13AUnaryFunctorIN3c108BFloat16ES4_bNS0_12_GLOBAL__N_116CompareEqFunctorIS4_EEEESt5arrayIPcLm2EEEEviT0_T1_,comdat
.Lfunc_end202:
	.size	_ZN2at6native29vectorized_elementwise_kernelILi4ENS0_13AUnaryFunctorIN3c108BFloat16ES4_bNS0_12_GLOBAL__N_116CompareEqFunctorIS4_EEEESt5arrayIPcLm2EEEEviT0_T1_, .Lfunc_end202-_ZN2at6native29vectorized_elementwise_kernelILi4ENS0_13AUnaryFunctorIN3c108BFloat16ES4_bNS0_12_GLOBAL__N_116CompareEqFunctorIS4_EEEESt5arrayIPcLm2EEEEviT0_T1_
                                        ; -- End function
	.set _ZN2at6native29vectorized_elementwise_kernelILi4ENS0_13AUnaryFunctorIN3c108BFloat16ES4_bNS0_12_GLOBAL__N_116CompareEqFunctorIS4_EEEESt5arrayIPcLm2EEEEviT0_T1_.num_vgpr, 21
	.set _ZN2at6native29vectorized_elementwise_kernelILi4ENS0_13AUnaryFunctorIN3c108BFloat16ES4_bNS0_12_GLOBAL__N_116CompareEqFunctorIS4_EEEESt5arrayIPcLm2EEEEviT0_T1_.num_agpr, 0
	.set _ZN2at6native29vectorized_elementwise_kernelILi4ENS0_13AUnaryFunctorIN3c108BFloat16ES4_bNS0_12_GLOBAL__N_116CompareEqFunctorIS4_EEEESt5arrayIPcLm2EEEEviT0_T1_.numbered_sgpr, 16
	.set _ZN2at6native29vectorized_elementwise_kernelILi4ENS0_13AUnaryFunctorIN3c108BFloat16ES4_bNS0_12_GLOBAL__N_116CompareEqFunctorIS4_EEEESt5arrayIPcLm2EEEEviT0_T1_.num_named_barrier, 0
	.set _ZN2at6native29vectorized_elementwise_kernelILi4ENS0_13AUnaryFunctorIN3c108BFloat16ES4_bNS0_12_GLOBAL__N_116CompareEqFunctorIS4_EEEESt5arrayIPcLm2EEEEviT0_T1_.private_seg_size, 0
	.set _ZN2at6native29vectorized_elementwise_kernelILi4ENS0_13AUnaryFunctorIN3c108BFloat16ES4_bNS0_12_GLOBAL__N_116CompareEqFunctorIS4_EEEESt5arrayIPcLm2EEEEviT0_T1_.uses_vcc, 1
	.set _ZN2at6native29vectorized_elementwise_kernelILi4ENS0_13AUnaryFunctorIN3c108BFloat16ES4_bNS0_12_GLOBAL__N_116CompareEqFunctorIS4_EEEESt5arrayIPcLm2EEEEviT0_T1_.uses_flat_scratch, 0
	.set _ZN2at6native29vectorized_elementwise_kernelILi4ENS0_13AUnaryFunctorIN3c108BFloat16ES4_bNS0_12_GLOBAL__N_116CompareEqFunctorIS4_EEEESt5arrayIPcLm2EEEEviT0_T1_.has_dyn_sized_stack, 0
	.set _ZN2at6native29vectorized_elementwise_kernelILi4ENS0_13AUnaryFunctorIN3c108BFloat16ES4_bNS0_12_GLOBAL__N_116CompareEqFunctorIS4_EEEESt5arrayIPcLm2EEEEviT0_T1_.has_recursion, 0
	.set _ZN2at6native29vectorized_elementwise_kernelILi4ENS0_13AUnaryFunctorIN3c108BFloat16ES4_bNS0_12_GLOBAL__N_116CompareEqFunctorIS4_EEEESt5arrayIPcLm2EEEEviT0_T1_.has_indirect_call, 0
	.section	.AMDGPU.csdata,"",@progbits
; Kernel info:
; codeLenInByte = 4580
; TotalNumSgprs: 20
; NumVgprs: 21
; ScratchSize: 0
; MemoryBound: 0
; FloatMode: 240
; IeeeMode: 1
; LDSByteSize: 0 bytes/workgroup (compile time only)
; SGPRBlocks: 2
; VGPRBlocks: 5
; NumSGPRsForWavesPerEU: 20
; NumVGPRsForWavesPerEU: 21
; Occupancy: 10
; WaveLimiterHint : 1
; COMPUTE_PGM_RSRC2:SCRATCH_EN: 0
; COMPUTE_PGM_RSRC2:USER_SGPR: 6
; COMPUTE_PGM_RSRC2:TRAP_HANDLER: 0
; COMPUTE_PGM_RSRC2:TGID_X_EN: 1
; COMPUTE_PGM_RSRC2:TGID_Y_EN: 0
; COMPUTE_PGM_RSRC2:TGID_Z_EN: 0
; COMPUTE_PGM_RSRC2:TIDIG_COMP_CNT: 0
	.section	.text._ZN2at6native29vectorized_elementwise_kernelILi2ENS0_13AUnaryFunctorIN3c108BFloat16ES4_bNS0_12_GLOBAL__N_116CompareEqFunctorIS4_EEEESt5arrayIPcLm2EEEEviT0_T1_,"axG",@progbits,_ZN2at6native29vectorized_elementwise_kernelILi2ENS0_13AUnaryFunctorIN3c108BFloat16ES4_bNS0_12_GLOBAL__N_116CompareEqFunctorIS4_EEEESt5arrayIPcLm2EEEEviT0_T1_,comdat
	.globl	_ZN2at6native29vectorized_elementwise_kernelILi2ENS0_13AUnaryFunctorIN3c108BFloat16ES4_bNS0_12_GLOBAL__N_116CompareEqFunctorIS4_EEEESt5arrayIPcLm2EEEEviT0_T1_ ; -- Begin function _ZN2at6native29vectorized_elementwise_kernelILi2ENS0_13AUnaryFunctorIN3c108BFloat16ES4_bNS0_12_GLOBAL__N_116CompareEqFunctorIS4_EEEESt5arrayIPcLm2EEEEviT0_T1_
	.p2align	8
	.type	_ZN2at6native29vectorized_elementwise_kernelILi2ENS0_13AUnaryFunctorIN3c108BFloat16ES4_bNS0_12_GLOBAL__N_116CompareEqFunctorIS4_EEEESt5arrayIPcLm2EEEEviT0_T1_,@function
_ZN2at6native29vectorized_elementwise_kernelILi2ENS0_13AUnaryFunctorIN3c108BFloat16ES4_bNS0_12_GLOBAL__N_116CompareEqFunctorIS4_EEEESt5arrayIPcLm2EEEEviT0_T1_: ; @_ZN2at6native29vectorized_elementwise_kernelILi2ENS0_13AUnaryFunctorIN3c108BFloat16ES4_bNS0_12_GLOBAL__N_116CompareEqFunctorIS4_EEEESt5arrayIPcLm2EEEEviT0_T1_
; %bb.0:
	s_load_dwordx8 s[8:15], s[4:5], 0x0
	s_lshl_b32 s4, s6, 12
	s_mov_b64 s[0:1], -1
	s_waitcnt lgkmcnt(0)
	s_sub_i32 s6, s8, s4
	s_cmpk_gt_i32 s6, 0xfff
	s_cbranch_scc0 .LBB203_2
; %bb.1:
	s_ashr_i32 s5, s4, 31
	s_lshl_b64 s[0:1], s[4:5], 1
	s_add_u32 s0, s14, s0
	s_addc_u32 s1, s15, s1
	v_lshlrev_b32_e32 v1, 2, v0
	global_load_dword v3, v1, s[0:1]
	global_load_dword v4, v1, s[0:1] offset:1024
	global_load_dword v5, v1, s[0:1] offset:2048
	;; [unrolled: 1-line block ×3, first 2 shown]
	v_mov_b32_e32 v2, s1
	v_add_co_u32_e32 v1, vcc, s0, v1
	v_addc_co_u32_e32 v2, vcc, 0, v2, vcc
	v_add_co_u32_e32 v1, vcc, 0x1000, v1
	v_addc_co_u32_e32 v2, vcc, 0, v2, vcc
	global_load_dword v7, v[1:2], off
	global_load_dword v8, v[1:2], off offset:1024
	global_load_dword v10, v[1:2], off offset:2048
	;; [unrolled: 1-line block ×3, first 2 shown]
	s_cmp_eq_u32 s9, 0
	s_cselect_b64 vcc, -1, 0
	s_lshl_b32 s2, s10, 16
	v_mov_b32_e32 v9, 1
	s_waitcnt vmcnt(7)
	v_lshlrev_b32_e32 v1, 16, v3
	v_cmp_eq_f32_e64 s[0:1], s2, v1
	v_and_b32_e32 v2, 0xffff0000, v3
	v_cndmask_b32_e64 v14, 0, 1, s[0:1]
	v_cmp_neq_f32_e64 s[0:1], s2, v1
	v_cndmask_b32_e64 v1, 0, 1, s[0:1]
	v_cmp_eq_f32_e64 s[0:1], s2, v2
	s_waitcnt vmcnt(6)
	v_lshlrev_b32_e32 v3, 16, v4
	v_cndmask_b32_e64 v15, 0, 1, s[0:1]
	v_cmp_neq_f32_e64 s[0:1], s2, v2
	v_cndmask_b32_e64 v2, 0, 1, s[0:1]
	v_cmp_eq_f32_e64 s[0:1], s2, v3
	v_and_b32_e32 v4, 0xffff0000, v4
	v_cndmask_b32_e64 v16, 0, 1, s[0:1]
	v_cmp_neq_f32_e64 s[0:1], s2, v3
	v_cndmask_b32_e64 v3, 0, 1, s[0:1]
	v_cmp_eq_f32_e64 s[0:1], s2, v4
	s_waitcnt vmcnt(5)
	v_lshlrev_b32_e32 v12, 16, v5
	v_cndmask_b32_e64 v17, 0, 1, s[0:1]
	v_cmp_neq_f32_e64 s[0:1], s2, v4
	v_cndmask_b32_e64 v4, 0, 1, s[0:1]
	;; [unrolled: 11-line block ×3, first 2 shown]
	v_cmp_eq_f32_e64 s[0:1], s2, v13
	v_and_b32_e32 v6, 0xffff0000, v6
	v_cndmask_b32_e32 v1, v1, v14, vcc
	v_cndmask_b32_e64 v14, 0, 1, s[0:1]
	v_cmp_neq_f32_e64 s[0:1], s2, v13
	v_cndmask_b32_e64 v13, 0, 1, s[0:1]
	v_cmp_eq_f32_e64 s[0:1], s2, v6
	v_cndmask_b32_e32 v2, v2, v15, vcc
	v_cndmask_b32_e64 v15, 0, 1, s[0:1]
	v_cmp_neq_f32_e64 s[0:1], s2, v6
	v_cndmask_b32_e32 v13, v13, v14, vcc
	s_waitcnt vmcnt(3)
	v_lshlrev_b32_e32 v14, 16, v7
	v_cndmask_b32_e64 v6, 0, 1, s[0:1]
	v_cmp_eq_f32_e64 s[0:1], s2, v14
	v_cndmask_b32_e32 v6, v6, v15, vcc
	v_and_b32_e32 v7, 0xffff0000, v7
	v_cndmask_b32_e64 v15, 0, 1, s[0:1]
	v_cmp_neq_f32_e64 s[0:1], s2, v14
	v_cndmask_b32_e64 v14, 0, 1, s[0:1]
	v_cmp_eq_f32_e64 s[0:1], s2, v7
	v_cndmask_b32_e32 v14, v14, v15, vcc
	v_cndmask_b32_e64 v15, 0, 1, s[0:1]
	v_cmp_neq_f32_e64 s[0:1], s2, v7
	v_cndmask_b32_e64 v7, 0, 1, s[0:1]
	v_cndmask_b32_e32 v7, v7, v15, vcc
	s_waitcnt vmcnt(2)
	v_lshlrev_b32_e32 v15, 16, v8
	v_cmp_eq_f32_e64 s[0:1], s2, v15
	v_cndmask_b32_e32 v3, v3, v16, vcc
	v_cndmask_b32_e64 v16, 0, 1, s[0:1]
	v_cmp_neq_f32_e64 s[0:1], s2, v15
	v_and_b32_e32 v8, 0xffff0000, v8
	v_cndmask_b32_e64 v15, 0, 1, s[0:1]
	v_cmp_eq_f32_e64 s[0:1], s2, v8
	v_cndmask_b32_e32 v15, v15, v16, vcc
	v_cndmask_b32_e64 v16, 0, 1, s[0:1]
	v_cmp_neq_f32_e64 s[0:1], s2, v8
	v_cndmask_b32_e64 v8, 0, 1, s[0:1]
	v_cndmask_b32_e32 v8, v8, v16, vcc
	s_waitcnt vmcnt(1)
	v_lshlrev_b32_e32 v16, 16, v10
	v_cmp_eq_f32_e64 s[0:1], s2, v16
	v_cndmask_b32_e32 v4, v4, v17, vcc
	v_cndmask_b32_e64 v17, 0, 1, s[0:1]
	v_cmp_neq_f32_e64 s[0:1], s2, v16
	v_and_b32_e32 v10, 0xffff0000, v10
	;; [unrolled: 14-line block ×3, first 2 shown]
	v_cndmask_b32_e64 v17, 0, 1, s[0:1]
	v_cmp_eq_f32_e64 s[0:1], s2, v11
	v_cndmask_b32_e32 v17, v17, v18, vcc
	v_cndmask_b32_e64 v18, 0, 1, s[0:1]
	v_cmp_neq_f32_e64 s[0:1], s2, v11
	v_cndmask_b32_e64 v11, 0, 1, s[0:1]
	v_cndmask_b32_e32 v5, v5, v19, vcc
	v_and_b32_e32 v1, 1, v1
	v_and_b32_sdwa v2, v2, v9 dst_sel:BYTE_1 dst_unused:UNUSED_PAD src0_sel:DWORD src1_sel:DWORD
	v_cndmask_b32_e32 v11, v11, v18, vcc
	s_add_u32 s0, s12, s4
	v_and_b32_e32 v3, 1, v3
	v_and_b32_sdwa v4, v4, v9 dst_sel:BYTE_1 dst_unused:UNUSED_PAD src0_sel:DWORD src1_sel:DWORD
	v_and_b32_e32 v12, 1, v12
	v_and_b32_sdwa v5, v5, v9 dst_sel:BYTE_1 dst_unused:UNUSED_PAD src0_sel:DWORD src1_sel:DWORD
	;; [unrolled: 2-line block ×7, first 2 shown]
	v_or_b32_e32 v1, v1, v2
	s_addc_u32 s1, s13, s5
	v_lshlrev_b32_e32 v2, 1, v0
	v_or_b32_e32 v9, v17, v9
	v_or_b32_e32 v10, v16, v10
	;; [unrolled: 1-line block ×7, first 2 shown]
	global_store_short v2, v1, s[0:1]
	global_store_short v2, v3, s[0:1] offset:512
	global_store_short v2, v5, s[0:1] offset:1024
	;; [unrolled: 1-line block ×7, first 2 shown]
	s_mov_b64 s[0:1], 0
.LBB203_2:
	s_andn2_b64 vcc, exec, s[0:1]
	s_cbranch_vccnz .LBB203_52
; %bb.3:
	v_cmp_gt_i32_e32 vcc, s6, v0
	v_mov_b32_e32 v3, 0
	v_or_b32_e32 v1, s4, v0
	v_mov_b32_e32 v2, 0
	v_mov_b32_e32 v5, v0
	s_and_saveexec_b64 s[2:3], vcc
	s_cbranch_execz .LBB203_5
; %bb.4:
	v_mov_b32_e32 v2, 0
	v_lshlrev_b64 v[4:5], 1, v[1:2]
	v_mov_b32_e32 v2, s15
	v_add_co_u32_e64 v4, s[0:1], s14, v4
	v_addc_co_u32_e64 v5, s[0:1], v2, v5, s[0:1]
	global_load_ushort v2, v[4:5], off
	v_or_b32_e32 v5, 0x100, v0
	s_waitcnt vmcnt(0)
	v_lshlrev_b32_e32 v2, 16, v2
.LBB203_5:
	s_or_b64 exec, exec, s[2:3]
	v_cmp_gt_i32_e64 s[0:1], s6, v5
	s_and_saveexec_b64 s[2:3], s[0:1]
	s_cbranch_execz .LBB203_7
; %bb.6:
	v_add_u32_e32 v3, s4, v5
	v_mov_b32_e32 v4, 0
	v_lshlrev_b64 v[3:4], 1, v[3:4]
	v_mov_b32_e32 v6, s15
	v_add_co_u32_e64 v3, s[0:1], s14, v3
	v_addc_co_u32_e64 v4, s[0:1], v6, v4, s[0:1]
	global_load_ushort v3, v[3:4], off
	v_add_u32_e32 v5, 0x100, v5
	s_waitcnt vmcnt(0)
	v_lshlrev_b32_e32 v3, 16, v3
.LBB203_7:
	s_or_b64 exec, exec, s[2:3]
	v_cmp_gt_i32_e64 s[0:1], s6, v5
	v_mov_b32_e32 v4, 0
	v_mov_b32_e32 v6, 0
	s_and_saveexec_b64 s[2:3], s[0:1]
	s_cbranch_execz .LBB203_9
; %bb.8:
	v_add_u32_e32 v6, s4, v5
	v_mov_b32_e32 v7, 0
	v_lshlrev_b64 v[6:7], 1, v[6:7]
	v_mov_b32_e32 v8, s15
	v_add_co_u32_e64 v6, s[0:1], s14, v6
	v_addc_co_u32_e64 v7, s[0:1], v8, v7, s[0:1]
	global_load_ushort v6, v[6:7], off
	v_add_u32_e32 v5, 0x100, v5
	s_waitcnt vmcnt(0)
	v_lshlrev_b32_e32 v6, 16, v6
.LBB203_9:
	s_or_b64 exec, exec, s[2:3]
	v_cmp_gt_i32_e64 s[0:1], s6, v5
	s_and_saveexec_b64 s[2:3], s[0:1]
	s_cbranch_execz .LBB203_11
; %bb.10:
	v_add_u32_e32 v7, s4, v5
	v_mov_b32_e32 v8, 0
	v_lshlrev_b64 v[7:8], 1, v[7:8]
	v_mov_b32_e32 v4, s15
	v_add_co_u32_e64 v7, s[0:1], s14, v7
	v_addc_co_u32_e64 v8, s[0:1], v4, v8, s[0:1]
	global_load_ushort v4, v[7:8], off
	v_add_u32_e32 v5, 0x100, v5
	s_waitcnt vmcnt(0)
	v_lshlrev_b32_e32 v4, 16, v4
.LBB203_11:
	s_or_b64 exec, exec, s[2:3]
	v_cmp_gt_i32_e64 s[0:1], s6, v5
	v_mov_b32_e32 v7, 0
	v_mov_b32_e32 v8, 0
	s_and_saveexec_b64 s[2:3], s[0:1]
	s_cbranch_execz .LBB203_13
; %bb.12:
	v_add_u32_e32 v8, s4, v5
	v_mov_b32_e32 v9, 0
	v_lshlrev_b64 v[8:9], 1, v[8:9]
	v_mov_b32_e32 v10, s15
	v_add_co_u32_e64 v8, s[0:1], s14, v8
	v_addc_co_u32_e64 v9, s[0:1], v10, v9, s[0:1]
	global_load_ushort v8, v[8:9], off
	v_add_u32_e32 v5, 0x100, v5
	s_waitcnt vmcnt(0)
	v_lshlrev_b32_e32 v8, 16, v8
.LBB203_13:
	;; [unrolled: 34-line block ×7, first 2 shown]
	s_or_b64 exec, exec, s[2:3]
	v_cmp_gt_i32_e64 s[0:1], s6, v5
	s_and_saveexec_b64 s[2:3], s[0:1]
	s_cbranch_execz .LBB203_35
; %bb.34:
	v_add_u32_e32 v19, s4, v5
	v_mov_b32_e32 v20, 0
	v_lshlrev_b64 v[19:20], 1, v[19:20]
	v_mov_b32_e32 v5, s15
	v_add_co_u32_e64 v19, s[0:1], s14, v19
	v_addc_co_u32_e64 v20, s[0:1], v5, v20, s[0:1]
	global_load_ushort v5, v[19:20], off
	s_waitcnt vmcnt(0)
	v_lshlrev_b32_e32 v17, 16, v5
.LBB203_35:
	s_or_b64 exec, exec, s[2:3]
	s_cmp_eq_u32 s9, 0
	s_cselect_b64 s[0:1], -1, 0
	s_lshl_b32 s5, s10, 16
	v_cmp_eq_f32_e64 s[2:3], s5, v2
	v_cndmask_b32_e64 v5, 0, 1, s[2:3]
	v_cmp_neq_f32_e64 s[2:3], s5, v2
	v_cndmask_b32_e64 v2, 0, 1, s[2:3]
	v_cndmask_b32_e64 v2, v2, v5, s[0:1]
	v_cndmask_b32_e64 v5, 0, 1, vcc
	v_cmp_eq_f32_e64 s[2:3], s5, v3
	v_and_b32_e32 v2, v5, v2
	v_cndmask_b32_e64 v5, 0, 1, s[2:3]
	v_cmp_neq_f32_e64 s[2:3], s5, v3
	v_cndmask_b32_e64 v3, 0, 1, s[2:3]
	v_cndmask_b32_e64 v3, v3, v5, s[0:1]
	v_mov_b32_e32 v20, 1
	v_and_b32_sdwa v3, v3, v20 dst_sel:BYTE_1 dst_unused:UNUSED_PAD src0_sel:DWORD src1_sel:DWORD
	v_or_b32_e32 v19, 0x100, v0
	v_or_b32_e32 v3, v2, v3
	v_and_b32_e32 v3, 0xffff, v3
	v_cmp_gt_i32_e64 s[2:3], s6, v19
	v_cndmask_b32_e64 v2, v2, v3, s[2:3]
	v_cmp_eq_f32_e64 s[2:3], s5, v6
	v_cndmask_b32_e64 v5, 0, 1, s[2:3]
	v_cmp_neq_f32_e64 s[2:3], s5, v6
	v_cndmask_b32_e64 v6, 0, 1, s[2:3]
	v_cndmask_b32_e64 v5, v6, v5, s[0:1]
	v_or_b32_e32 v3, 0x200, v0
	v_and_b32_e32 v5, 1, v5
	v_lshl_or_b32 v5, v5, 16, v2
	v_cmp_gt_i32_e64 s[2:3], s6, v3
	v_cndmask_b32_e64 v2, v2, v5, s[2:3]
	v_cmp_eq_f32_e64 s[2:3], s5, v4
	v_cndmask_b32_e64 v6, 0, 1, s[2:3]
	v_cmp_neq_f32_e64 s[2:3], s5, v4
	v_cndmask_b32_e64 v4, 0, 1, s[2:3]
	s_movk_i32 s8, 0xff
	v_cndmask_b32_e64 v4, v4, v6, s[0:1]
	v_and_b32_sdwa v3, v2, s8 dst_sel:DWORD dst_unused:UNUSED_PAD src0_sel:WORD_1 src1_sel:DWORD
	v_and_b32_sdwa v4, v4, v20 dst_sel:BYTE_1 dst_unused:UNUSED_PAD src0_sel:DWORD src1_sel:DWORD
	s_mov_b32 s7, 0xffff
	v_or_b32_e32 v5, 0x300, v0
	v_or_b32_sdwa v3, v3, v4 dst_sel:WORD_1 dst_unused:UNUSED_PAD src0_sel:DWORD src1_sel:DWORD
	v_and_or_b32 v3, v2, s7, v3
	v_cmp_gt_i32_e64 s[2:3], s6, v5
	v_cndmask_b32_e64 v5, v2, v3, s[2:3]
	v_cmp_eq_f32_e64 s[2:3], s5, v8
	v_cndmask_b32_e64 v2, 0, 1, s[2:3]
	v_cmp_neq_f32_e64 s[2:3], s5, v8
	v_cndmask_b32_e64 v3, 0, 1, s[2:3]
	v_cndmask_b32_e64 v2, v3, v2, s[0:1]
	v_and_b32_e32 v2, 1, v2
	v_or_b32_e32 v3, 0x400, v0
	v_and_b32_e32 v2, 0xffff, v2
	v_cmp_gt_i32_e64 s[2:3], s6, v3
	v_cndmask_b32_e64 v2, 0, v2, s[2:3]
	v_cmp_eq_f32_e64 s[2:3], s5, v7
	v_cndmask_b32_e64 v4, 0, 1, s[2:3]
	v_cmp_neq_f32_e64 s[2:3], s5, v7
	v_cndmask_b32_e64 v6, 0, 1, s[2:3]
	v_cndmask_b32_e64 v4, v6, v4, s[0:1]
	v_and_b32_sdwa v4, v4, v20 dst_sel:BYTE_1 dst_unused:UNUSED_PAD src0_sel:DWORD src1_sel:DWORD
	v_or_b32_e32 v3, 0x500, v0
	v_or_b32_sdwa v4, v2, v4 dst_sel:DWORD dst_unused:UNUSED_PAD src0_sel:BYTE_0 src1_sel:DWORD
	v_and_b32_e32 v4, 0xffff, v4
	v_cmp_gt_i32_e64 s[2:3], s6, v3
	v_cndmask_b32_e64 v2, v2, v4, s[2:3]
	v_cmp_eq_f32_e64 s[2:3], s5, v10
	v_cndmask_b32_e64 v4, 0, 1, s[2:3]
	v_cmp_neq_f32_e64 s[2:3], s5, v10
	v_cndmask_b32_e64 v6, 0, 1, s[2:3]
	s_movk_i32 s9, 0xff00
	v_cndmask_b32_e64 v4, v6, v4, s[0:1]
	v_and_b32_sdwa v3, v2, s9 dst_sel:DWORD dst_unused:UNUSED_PAD src0_sel:WORD_1 src1_sel:DWORD
	v_and_b32_e32 v4, 1, v4
	v_or_b32_sdwa v3, v4, v3 dst_sel:WORD_1 dst_unused:UNUSED_PAD src0_sel:DWORD src1_sel:DWORD
	v_or_b32_e32 v4, 0x600, v0
	v_and_or_b32 v3, v2, s7, v3
	v_cmp_gt_i32_e64 s[2:3], s6, v4
	v_cndmask_b32_e64 v2, v2, v3, s[2:3]
	v_cmp_eq_f32_e64 s[2:3], s5, v9
	v_cndmask_b32_e64 v6, 0, 1, s[2:3]
	v_cmp_neq_f32_e64 s[2:3], s5, v9
	v_cndmask_b32_e64 v7, 0, 1, s[2:3]
	v_cndmask_b32_e64 v6, v7, v6, s[0:1]
	v_and_b32_sdwa v3, v2, s8 dst_sel:DWORD dst_unused:UNUSED_PAD src0_sel:WORD_1 src1_sel:DWORD
	v_and_b32_sdwa v6, v6, v20 dst_sel:BYTE_1 dst_unused:UNUSED_PAD src0_sel:DWORD src1_sel:DWORD
	v_or_b32_e32 v4, 0x700, v0
	v_or_b32_sdwa v3, v3, v6 dst_sel:WORD_1 dst_unused:UNUSED_PAD src0_sel:DWORD src1_sel:DWORD
	v_and_or_b32 v3, v2, s7, v3
	v_cmp_gt_i32_e64 s[2:3], s6, v4
	v_cndmask_b32_e64 v4, v2, v3, s[2:3]
	v_cmp_eq_f32_e64 s[2:3], s5, v12
	v_or_b32_e32 v2, 0x800, v0
	v_cndmask_b32_e64 v3, 0, 1, s[2:3]
	v_cmp_neq_f32_e64 s[2:3], s5, v12
	v_cndmask_b32_e64 v6, 0, 1, s[2:3]
	v_cmp_gt_i32_e64 s[2:3], s6, v2
	v_cndmask_b32_e64 v2, 0, 1, s[2:3]
	v_cmp_eq_f32_e64 s[2:3], s5, v11
	v_cndmask_b32_e64 v3, v6, v3, s[0:1]
	v_cndmask_b32_e64 v6, 0, 1, s[2:3]
	v_cmp_neq_f32_e64 s[2:3], s5, v11
	v_cndmask_b32_e64 v7, 0, 1, s[2:3]
	v_cndmask_b32_e64 v6, v7, v6, s[0:1]
	v_and_b32_e32 v2, v2, v3
	v_and_b32_sdwa v6, v6, v20 dst_sel:BYTE_1 dst_unused:UNUSED_PAD src0_sel:DWORD src1_sel:DWORD
	v_or_b32_e32 v3, 0x900, v0
	v_or_b32_e32 v6, v2, v6
	v_and_b32_e32 v6, 0xffff, v6
	v_cmp_gt_i32_e64 s[2:3], s6, v3
	v_cndmask_b32_e64 v2, v2, v6, s[2:3]
	v_cmp_eq_f32_e64 s[2:3], s5, v14
	v_cndmask_b32_e64 v6, 0, 1, s[2:3]
	v_cmp_neq_f32_e64 s[2:3], s5, v14
	v_cndmask_b32_e64 v7, 0, 1, s[2:3]
	v_cndmask_b32_e64 v6, v7, v6, s[0:1]
	v_or_b32_e32 v3, 0xa00, v0
	v_and_b32_sdwa v6, v6, v20 dst_sel:WORD_1 dst_unused:UNUSED_PAD src0_sel:DWORD src1_sel:DWORD
	s_movk_i32 s2, 0x1ff
	v_and_or_b32 v6, v2, s2, v6
	v_cmp_gt_i32_e64 s[2:3], s6, v3
	v_cndmask_b32_e64 v2, v2, v6, s[2:3]
	v_cmp_eq_f32_e64 s[2:3], s5, v13
	v_cndmask_b32_e64 v7, 0, 1, s[2:3]
	v_cmp_neq_f32_e64 s[2:3], s5, v13
	v_cndmask_b32_e64 v8, 0, 1, s[2:3]
	v_cndmask_b32_e64 v7, v8, v7, s[0:1]
	v_and_b32_sdwa v3, v2, s8 dst_sel:DWORD dst_unused:UNUSED_PAD src0_sel:WORD_1 src1_sel:DWORD
	v_and_b32_sdwa v7, v7, v20 dst_sel:BYTE_1 dst_unused:UNUSED_PAD src0_sel:DWORD src1_sel:DWORD
	v_or_b32_e32 v6, 0xb00, v0
	v_or_b32_sdwa v3, v3, v7 dst_sel:WORD_1 dst_unused:UNUSED_PAD src0_sel:DWORD src1_sel:DWORD
	v_and_or_b32 v3, v2, s7, v3
	v_cmp_gt_i32_e64 s[2:3], s6, v6
	v_cndmask_b32_e64 v3, v2, v3, s[2:3]
	v_cmp_eq_f32_e64 s[2:3], s5, v16
	v_cndmask_b32_e64 v6, 0, 1, s[2:3]
	v_cmp_neq_f32_e64 s[2:3], s5, v16
	v_cndmask_b32_e64 v7, 0, 1, s[2:3]
	v_or_b32_e32 v2, 0xc00, v0
	v_cndmask_b32_e64 v6, v7, v6, s[0:1]
	v_and_b32_e32 v6, 1, v6
	v_cmp_gt_i32_e64 s[2:3], s6, v2
	v_cndmask_b32_e64 v2, 0, v6, s[2:3]
	v_cmp_eq_f32_e64 s[2:3], s5, v15
	v_cndmask_b32_e64 v7, 0, 1, s[2:3]
	v_cmp_neq_f32_e64 s[2:3], s5, v15
	v_cndmask_b32_e64 v8, 0, 1, s[2:3]
	v_cndmask_b32_e64 v7, v8, v7, s[0:1]
	v_and_b32_sdwa v7, v7, v20 dst_sel:BYTE_1 dst_unused:UNUSED_PAD src0_sel:DWORD src1_sel:DWORD
	v_or_b32_e32 v6, 0xd00, v0
	v_or_b32_sdwa v7, v2, v7 dst_sel:DWORD dst_unused:UNUSED_PAD src0_sel:BYTE_0 src1_sel:DWORD
	v_and_b32_e32 v7, 0xffff, v7
	v_cmp_gt_i32_e64 s[2:3], s6, v6
	v_cndmask_b32_e64 v2, v2, v7, s[2:3]
	v_cmp_eq_f32_e64 s[2:3], s5, v18
	v_cndmask_b32_e64 v7, 0, 1, s[2:3]
	v_cmp_neq_f32_e64 s[2:3], s5, v18
	v_cndmask_b32_e64 v8, 0, 1, s[2:3]
	v_cndmask_b32_e64 v7, v8, v7, s[0:1]
	v_and_b32_sdwa v6, v2, s9 dst_sel:DWORD dst_unused:UNUSED_PAD src0_sel:WORD_1 src1_sel:DWORD
	v_and_b32_e32 v7, 1, v7
	v_or_b32_sdwa v6, v7, v6 dst_sel:WORD_1 dst_unused:UNUSED_PAD src0_sel:DWORD src1_sel:DWORD
	v_or_b32_e32 v7, 0xe00, v0
	v_and_or_b32 v6, v2, s7, v6
	v_cmp_gt_i32_e64 s[2:3], s6, v7
	v_cndmask_b32_e64 v2, v2, v6, s[2:3]
	v_cmp_eq_f32_e64 s[2:3], s5, v17
	v_cndmask_b32_e64 v8, 0, 1, s[2:3]
	v_cmp_neq_f32_e64 s[2:3], s5, v17
	v_cndmask_b32_e64 v9, 0, 1, s[2:3]
	v_cndmask_b32_e64 v8, v9, v8, s[0:1]
	v_and_b32_sdwa v6, v2, s8 dst_sel:DWORD dst_unused:UNUSED_PAD src0_sel:WORD_1 src1_sel:DWORD
	v_and_b32_sdwa v8, v8, v20 dst_sel:BYTE_1 dst_unused:UNUSED_PAD src0_sel:DWORD src1_sel:DWORD
	v_or_b32_e32 v7, 0xf00, v0
	v_or_b32_sdwa v6, v6, v8 dst_sel:WORD_1 dst_unused:UNUSED_PAD src0_sel:DWORD src1_sel:DWORD
	v_and_or_b32 v6, v2, s7, v6
	v_cmp_gt_i32_e64 s[0:1], s6, v7
	v_cndmask_b32_e64 v2, v2, v6, s[0:1]
	s_and_saveexec_b64 s[0:1], vcc
	s_cbranch_execnz .LBB203_53
; %bb.36:
	s_or_b64 exec, exec, s[0:1]
	v_cmp_gt_i32_e32 vcc, s6, v0
	s_and_saveexec_b64 s[0:1], vcc
	s_cbranch_execnz .LBB203_54
.LBB203_37:
	s_or_b64 exec, exec, s[0:1]
	v_cmp_gt_i32_e32 vcc, s6, v0
	s_and_saveexec_b64 s[0:1], vcc
	s_cbranch_execnz .LBB203_55
.LBB203_38:
	s_or_b64 exec, exec, s[0:1]
	v_cmp_gt_i32_e32 vcc, s6, v0
	s_and_saveexec_b64 s[0:1], vcc
	s_cbranch_execnz .LBB203_56
.LBB203_39:
	s_or_b64 exec, exec, s[0:1]
	v_cmp_gt_i32_e32 vcc, s6, v0
	s_and_saveexec_b64 s[0:1], vcc
	s_cbranch_execnz .LBB203_57
.LBB203_40:
	s_or_b64 exec, exec, s[0:1]
	v_cmp_gt_i32_e32 vcc, s6, v0
	s_and_saveexec_b64 s[0:1], vcc
	s_cbranch_execnz .LBB203_58
.LBB203_41:
	s_or_b64 exec, exec, s[0:1]
	v_cmp_gt_i32_e32 vcc, s6, v0
	s_and_saveexec_b64 s[0:1], vcc
	s_cbranch_execnz .LBB203_59
.LBB203_42:
	s_or_b64 exec, exec, s[0:1]
	v_cmp_gt_i32_e32 vcc, s6, v0
	s_and_saveexec_b64 s[0:1], vcc
	s_cbranch_execnz .LBB203_60
.LBB203_43:
	s_or_b64 exec, exec, s[0:1]
	v_cmp_gt_i32_e32 vcc, s6, v0
	s_and_saveexec_b64 s[0:1], vcc
	s_cbranch_execnz .LBB203_61
.LBB203_44:
	s_or_b64 exec, exec, s[0:1]
	v_cmp_gt_i32_e32 vcc, s6, v0
	s_and_saveexec_b64 s[0:1], vcc
	s_cbranch_execnz .LBB203_62
.LBB203_45:
	s_or_b64 exec, exec, s[0:1]
	v_cmp_gt_i32_e32 vcc, s6, v0
	s_and_saveexec_b64 s[0:1], vcc
	s_cbranch_execnz .LBB203_63
.LBB203_46:
	s_or_b64 exec, exec, s[0:1]
	v_cmp_gt_i32_e32 vcc, s6, v0
	s_and_saveexec_b64 s[0:1], vcc
	s_cbranch_execnz .LBB203_64
.LBB203_47:
	s_or_b64 exec, exec, s[0:1]
	v_cmp_gt_i32_e32 vcc, s6, v0
	s_and_saveexec_b64 s[0:1], vcc
	s_cbranch_execnz .LBB203_65
.LBB203_48:
	s_or_b64 exec, exec, s[0:1]
	v_cmp_gt_i32_e32 vcc, s6, v0
	s_and_saveexec_b64 s[0:1], vcc
	s_cbranch_execnz .LBB203_66
.LBB203_49:
	s_or_b64 exec, exec, s[0:1]
	v_cmp_gt_i32_e32 vcc, s6, v0
	s_and_saveexec_b64 s[0:1], vcc
	s_cbranch_execnz .LBB203_67
.LBB203_50:
	s_or_b64 exec, exec, s[0:1]
	v_cmp_gt_i32_e32 vcc, s6, v0
	s_and_saveexec_b64 s[0:1], vcc
	s_cbranch_execz .LBB203_52
.LBB203_51:
	v_lshrrev_b32_e32 v1, 24, v2
	v_add_u32_e32 v0, s4, v0
	global_store_byte v0, v1, s[12:13]
.LBB203_52:
	s_endpgm
.LBB203_53:
	v_mov_b32_e32 v0, v19
	global_store_byte v1, v5, s[12:13]
	s_or_b64 exec, exec, s[0:1]
	v_cmp_gt_i32_e32 vcc, s6, v0
	s_and_saveexec_b64 s[0:1], vcc
	s_cbranch_execz .LBB203_37
.LBB203_54:
	v_lshrrev_b32_e32 v1, 8, v5
	v_add_u32_e32 v6, s4, v0
	v_add_u32_e32 v0, 0x100, v0
	global_store_byte v6, v1, s[12:13]
	s_or_b64 exec, exec, s[0:1]
	v_cmp_gt_i32_e32 vcc, s6, v0
	s_and_saveexec_b64 s[0:1], vcc
	s_cbranch_execz .LBB203_38
.LBB203_55:
	v_add_u32_e32 v1, s4, v0
	v_add_u32_e32 v0, 0x100, v0
	global_store_byte_d16_hi v1, v5, s[12:13]
	s_or_b64 exec, exec, s[0:1]
	v_cmp_gt_i32_e32 vcc, s6, v0
	s_and_saveexec_b64 s[0:1], vcc
	s_cbranch_execz .LBB203_39
.LBB203_56:
	v_lshrrev_b32_e32 v1, 24, v5
	v_add_u32_e32 v5, s4, v0
	v_add_u32_e32 v0, 0x100, v0
	global_store_byte v5, v1, s[12:13]
	s_or_b64 exec, exec, s[0:1]
	v_cmp_gt_i32_e32 vcc, s6, v0
	s_and_saveexec_b64 s[0:1], vcc
	s_cbranch_execz .LBB203_40
.LBB203_57:
	v_add_u32_e32 v1, s4, v0
	v_add_u32_e32 v0, 0x100, v0
	global_store_byte v1, v4, s[12:13]
	s_or_b64 exec, exec, s[0:1]
	v_cmp_gt_i32_e32 vcc, s6, v0
	s_and_saveexec_b64 s[0:1], vcc
	s_cbranch_execz .LBB203_41
.LBB203_58:
	v_lshrrev_b32_e32 v1, 8, v4
	v_add_u32_e32 v5, s4, v0
	v_add_u32_e32 v0, 0x100, v0
	global_store_byte v5, v1, s[12:13]
	s_or_b64 exec, exec, s[0:1]
	v_cmp_gt_i32_e32 vcc, s6, v0
	s_and_saveexec_b64 s[0:1], vcc
	s_cbranch_execz .LBB203_42
.LBB203_59:
	v_add_u32_e32 v1, s4, v0
	v_add_u32_e32 v0, 0x100, v0
	global_store_byte_d16_hi v1, v4, s[12:13]
	s_or_b64 exec, exec, s[0:1]
	v_cmp_gt_i32_e32 vcc, s6, v0
	s_and_saveexec_b64 s[0:1], vcc
	s_cbranch_execz .LBB203_43
.LBB203_60:
	v_lshrrev_b32_e32 v1, 24, v4
	v_add_u32_e32 v4, s4, v0
	v_add_u32_e32 v0, 0x100, v0
	global_store_byte v4, v1, s[12:13]
	s_or_b64 exec, exec, s[0:1]
	v_cmp_gt_i32_e32 vcc, s6, v0
	s_and_saveexec_b64 s[0:1], vcc
	s_cbranch_execz .LBB203_44
.LBB203_61:
	v_add_u32_e32 v1, s4, v0
	v_add_u32_e32 v0, 0x100, v0
	global_store_byte v1, v3, s[12:13]
	s_or_b64 exec, exec, s[0:1]
	v_cmp_gt_i32_e32 vcc, s6, v0
	s_and_saveexec_b64 s[0:1], vcc
	s_cbranch_execz .LBB203_45
.LBB203_62:
	v_lshrrev_b32_e32 v1, 8, v3
	v_add_u32_e32 v4, s4, v0
	v_add_u32_e32 v0, 0x100, v0
	global_store_byte v4, v1, s[12:13]
	s_or_b64 exec, exec, s[0:1]
	v_cmp_gt_i32_e32 vcc, s6, v0
	s_and_saveexec_b64 s[0:1], vcc
	s_cbranch_execz .LBB203_46
.LBB203_63:
	v_add_u32_e32 v1, s4, v0
	v_add_u32_e32 v0, 0x100, v0
	global_store_byte_d16_hi v1, v3, s[12:13]
	s_or_b64 exec, exec, s[0:1]
	v_cmp_gt_i32_e32 vcc, s6, v0
	s_and_saveexec_b64 s[0:1], vcc
	s_cbranch_execz .LBB203_47
.LBB203_64:
	v_lshrrev_b32_e32 v1, 24, v3
	v_add_u32_e32 v3, s4, v0
	v_add_u32_e32 v0, 0x100, v0
	global_store_byte v3, v1, s[12:13]
	s_or_b64 exec, exec, s[0:1]
	v_cmp_gt_i32_e32 vcc, s6, v0
	s_and_saveexec_b64 s[0:1], vcc
	s_cbranch_execz .LBB203_48
.LBB203_65:
	v_add_u32_e32 v1, s4, v0
	v_add_u32_e32 v0, 0x100, v0
	global_store_byte v1, v2, s[12:13]
	s_or_b64 exec, exec, s[0:1]
	v_cmp_gt_i32_e32 vcc, s6, v0
	s_and_saveexec_b64 s[0:1], vcc
	s_cbranch_execz .LBB203_49
.LBB203_66:
	v_lshrrev_b32_e32 v1, 8, v2
	v_add_u32_e32 v3, s4, v0
	v_add_u32_e32 v0, 0x100, v0
	global_store_byte v3, v1, s[12:13]
	s_or_b64 exec, exec, s[0:1]
	v_cmp_gt_i32_e32 vcc, s6, v0
	s_and_saveexec_b64 s[0:1], vcc
	s_cbranch_execz .LBB203_50
.LBB203_67:
	v_add_u32_e32 v1, s4, v0
	v_add_u32_e32 v0, 0x100, v0
	global_store_byte_d16_hi v1, v2, s[12:13]
	s_or_b64 exec, exec, s[0:1]
	v_cmp_gt_i32_e32 vcc, s6, v0
	s_and_saveexec_b64 s[0:1], vcc
	s_cbranch_execnz .LBB203_51
	s_branch .LBB203_52
	.section	.rodata,"a",@progbits
	.p2align	6, 0x0
	.amdhsa_kernel _ZN2at6native29vectorized_elementwise_kernelILi2ENS0_13AUnaryFunctorIN3c108BFloat16ES4_bNS0_12_GLOBAL__N_116CompareEqFunctorIS4_EEEESt5arrayIPcLm2EEEEviT0_T1_
		.amdhsa_group_segment_fixed_size 0
		.amdhsa_private_segment_fixed_size 0
		.amdhsa_kernarg_size 32
		.amdhsa_user_sgpr_count 6
		.amdhsa_user_sgpr_private_segment_buffer 1
		.amdhsa_user_sgpr_dispatch_ptr 0
		.amdhsa_user_sgpr_queue_ptr 0
		.amdhsa_user_sgpr_kernarg_segment_ptr 1
		.amdhsa_user_sgpr_dispatch_id 0
		.amdhsa_user_sgpr_flat_scratch_init 0
		.amdhsa_user_sgpr_private_segment_size 0
		.amdhsa_uses_dynamic_stack 0
		.amdhsa_system_sgpr_private_segment_wavefront_offset 0
		.amdhsa_system_sgpr_workgroup_id_x 1
		.amdhsa_system_sgpr_workgroup_id_y 0
		.amdhsa_system_sgpr_workgroup_id_z 0
		.amdhsa_system_sgpr_workgroup_info 0
		.amdhsa_system_vgpr_workitem_id 0
		.amdhsa_next_free_vgpr 21
		.amdhsa_next_free_sgpr 16
		.amdhsa_reserve_vcc 1
		.amdhsa_reserve_flat_scratch 0
		.amdhsa_float_round_mode_32 0
		.amdhsa_float_round_mode_16_64 0
		.amdhsa_float_denorm_mode_32 3
		.amdhsa_float_denorm_mode_16_64 3
		.amdhsa_dx10_clamp 1
		.amdhsa_ieee_mode 1
		.amdhsa_fp16_overflow 0
		.amdhsa_exception_fp_ieee_invalid_op 0
		.amdhsa_exception_fp_denorm_src 0
		.amdhsa_exception_fp_ieee_div_zero 0
		.amdhsa_exception_fp_ieee_overflow 0
		.amdhsa_exception_fp_ieee_underflow 0
		.amdhsa_exception_fp_ieee_inexact 0
		.amdhsa_exception_int_div_zero 0
	.end_amdhsa_kernel
	.section	.text._ZN2at6native29vectorized_elementwise_kernelILi2ENS0_13AUnaryFunctorIN3c108BFloat16ES4_bNS0_12_GLOBAL__N_116CompareEqFunctorIS4_EEEESt5arrayIPcLm2EEEEviT0_T1_,"axG",@progbits,_ZN2at6native29vectorized_elementwise_kernelILi2ENS0_13AUnaryFunctorIN3c108BFloat16ES4_bNS0_12_GLOBAL__N_116CompareEqFunctorIS4_EEEESt5arrayIPcLm2EEEEviT0_T1_,comdat
.Lfunc_end203:
	.size	_ZN2at6native29vectorized_elementwise_kernelILi2ENS0_13AUnaryFunctorIN3c108BFloat16ES4_bNS0_12_GLOBAL__N_116CompareEqFunctorIS4_EEEESt5arrayIPcLm2EEEEviT0_T1_, .Lfunc_end203-_ZN2at6native29vectorized_elementwise_kernelILi2ENS0_13AUnaryFunctorIN3c108BFloat16ES4_bNS0_12_GLOBAL__N_116CompareEqFunctorIS4_EEEESt5arrayIPcLm2EEEEviT0_T1_
                                        ; -- End function
	.set _ZN2at6native29vectorized_elementwise_kernelILi2ENS0_13AUnaryFunctorIN3c108BFloat16ES4_bNS0_12_GLOBAL__N_116CompareEqFunctorIS4_EEEESt5arrayIPcLm2EEEEviT0_T1_.num_vgpr, 21
	.set _ZN2at6native29vectorized_elementwise_kernelILi2ENS0_13AUnaryFunctorIN3c108BFloat16ES4_bNS0_12_GLOBAL__N_116CompareEqFunctorIS4_EEEESt5arrayIPcLm2EEEEviT0_T1_.num_agpr, 0
	.set _ZN2at6native29vectorized_elementwise_kernelILi2ENS0_13AUnaryFunctorIN3c108BFloat16ES4_bNS0_12_GLOBAL__N_116CompareEqFunctorIS4_EEEESt5arrayIPcLm2EEEEviT0_T1_.numbered_sgpr, 16
	.set _ZN2at6native29vectorized_elementwise_kernelILi2ENS0_13AUnaryFunctorIN3c108BFloat16ES4_bNS0_12_GLOBAL__N_116CompareEqFunctorIS4_EEEESt5arrayIPcLm2EEEEviT0_T1_.num_named_barrier, 0
	.set _ZN2at6native29vectorized_elementwise_kernelILi2ENS0_13AUnaryFunctorIN3c108BFloat16ES4_bNS0_12_GLOBAL__N_116CompareEqFunctorIS4_EEEESt5arrayIPcLm2EEEEviT0_T1_.private_seg_size, 0
	.set _ZN2at6native29vectorized_elementwise_kernelILi2ENS0_13AUnaryFunctorIN3c108BFloat16ES4_bNS0_12_GLOBAL__N_116CompareEqFunctorIS4_EEEESt5arrayIPcLm2EEEEviT0_T1_.uses_vcc, 1
	.set _ZN2at6native29vectorized_elementwise_kernelILi2ENS0_13AUnaryFunctorIN3c108BFloat16ES4_bNS0_12_GLOBAL__N_116CompareEqFunctorIS4_EEEESt5arrayIPcLm2EEEEviT0_T1_.uses_flat_scratch, 0
	.set _ZN2at6native29vectorized_elementwise_kernelILi2ENS0_13AUnaryFunctorIN3c108BFloat16ES4_bNS0_12_GLOBAL__N_116CompareEqFunctorIS4_EEEESt5arrayIPcLm2EEEEviT0_T1_.has_dyn_sized_stack, 0
	.set _ZN2at6native29vectorized_elementwise_kernelILi2ENS0_13AUnaryFunctorIN3c108BFloat16ES4_bNS0_12_GLOBAL__N_116CompareEqFunctorIS4_EEEESt5arrayIPcLm2EEEEviT0_T1_.has_recursion, 0
	.set _ZN2at6native29vectorized_elementwise_kernelILi2ENS0_13AUnaryFunctorIN3c108BFloat16ES4_bNS0_12_GLOBAL__N_116CompareEqFunctorIS4_EEEESt5arrayIPcLm2EEEEviT0_T1_.has_indirect_call, 0
	.section	.AMDGPU.csdata,"",@progbits
; Kernel info:
; codeLenInByte = 4612
; TotalNumSgprs: 20
; NumVgprs: 21
; ScratchSize: 0
; MemoryBound: 0
; FloatMode: 240
; IeeeMode: 1
; LDSByteSize: 0 bytes/workgroup (compile time only)
; SGPRBlocks: 2
; VGPRBlocks: 5
; NumSGPRsForWavesPerEU: 20
; NumVGPRsForWavesPerEU: 21
; Occupancy: 10
; WaveLimiterHint : 1
; COMPUTE_PGM_RSRC2:SCRATCH_EN: 0
; COMPUTE_PGM_RSRC2:USER_SGPR: 6
; COMPUTE_PGM_RSRC2:TRAP_HANDLER: 0
; COMPUTE_PGM_RSRC2:TGID_X_EN: 1
; COMPUTE_PGM_RSRC2:TGID_Y_EN: 0
; COMPUTE_PGM_RSRC2:TGID_Z_EN: 0
; COMPUTE_PGM_RSRC2:TIDIG_COMP_CNT: 0
	.section	.text._ZN2at6native27unrolled_elementwise_kernelINS0_13AUnaryFunctorIN3c108BFloat16ES4_bNS0_12_GLOBAL__N_116CompareEqFunctorIS4_EEEESt5arrayIPcLm2EELi4E23TrivialOffsetCalculatorILi1EjESD_NS0_6memory15LoadWithoutCastENSE_16StoreWithoutCastEEEviT_T0_T2_T3_T4_T5_,"axG",@progbits,_ZN2at6native27unrolled_elementwise_kernelINS0_13AUnaryFunctorIN3c108BFloat16ES4_bNS0_12_GLOBAL__N_116CompareEqFunctorIS4_EEEESt5arrayIPcLm2EELi4E23TrivialOffsetCalculatorILi1EjESD_NS0_6memory15LoadWithoutCastENSE_16StoreWithoutCastEEEviT_T0_T2_T3_T4_T5_,comdat
	.globl	_ZN2at6native27unrolled_elementwise_kernelINS0_13AUnaryFunctorIN3c108BFloat16ES4_bNS0_12_GLOBAL__N_116CompareEqFunctorIS4_EEEESt5arrayIPcLm2EELi4E23TrivialOffsetCalculatorILi1EjESD_NS0_6memory15LoadWithoutCastENSE_16StoreWithoutCastEEEviT_T0_T2_T3_T4_T5_ ; -- Begin function _ZN2at6native27unrolled_elementwise_kernelINS0_13AUnaryFunctorIN3c108BFloat16ES4_bNS0_12_GLOBAL__N_116CompareEqFunctorIS4_EEEESt5arrayIPcLm2EELi4E23TrivialOffsetCalculatorILi1EjESD_NS0_6memory15LoadWithoutCastENSE_16StoreWithoutCastEEEviT_T0_T2_T3_T4_T5_
	.p2align	8
	.type	_ZN2at6native27unrolled_elementwise_kernelINS0_13AUnaryFunctorIN3c108BFloat16ES4_bNS0_12_GLOBAL__N_116CompareEqFunctorIS4_EEEESt5arrayIPcLm2EELi4E23TrivialOffsetCalculatorILi1EjESD_NS0_6memory15LoadWithoutCastENSE_16StoreWithoutCastEEEviT_T0_T2_T3_T4_T5_,@function
_ZN2at6native27unrolled_elementwise_kernelINS0_13AUnaryFunctorIN3c108BFloat16ES4_bNS0_12_GLOBAL__N_116CompareEqFunctorIS4_EEEESt5arrayIPcLm2EELi4E23TrivialOffsetCalculatorILi1EjESD_NS0_6memory15LoadWithoutCastENSE_16StoreWithoutCastEEEviT_T0_T2_T3_T4_T5_: ; @_ZN2at6native27unrolled_elementwise_kernelINS0_13AUnaryFunctorIN3c108BFloat16ES4_bNS0_12_GLOBAL__N_116CompareEqFunctorIS4_EEEESt5arrayIPcLm2EELi4E23TrivialOffsetCalculatorILi1EjESD_NS0_6memory15LoadWithoutCastENSE_16StoreWithoutCastEEEviT_T0_T2_T3_T4_T5_
; %bb.0:
	s_load_dwordx8 s[8:15], s[4:5], 0x0
	s_lshl_b32 s4, s6, 10
	v_mov_b32_e32 v3, 0
	v_or_b32_e32 v1, s4, v0
	v_mov_b32_e32 v2, 0
	s_waitcnt lgkmcnt(0)
	s_sub_i32 s5, s8, s4
	v_cmp_gt_i32_e32 vcc, s5, v0
	v_mov_b32_e32 v5, v0
	s_and_saveexec_b64 s[2:3], vcc
	s_cbranch_execz .LBB204_2
; %bb.1:
	v_mov_b32_e32 v2, 0
	v_lshlrev_b64 v[4:5], 1, v[1:2]
	v_mov_b32_e32 v2, s15
	v_add_co_u32_e64 v4, s[0:1], s14, v4
	v_addc_co_u32_e64 v5, s[0:1], v2, v5, s[0:1]
	global_load_ushort v2, v[4:5], off
	v_or_b32_e32 v5, 0x100, v0
	s_waitcnt vmcnt(0)
	v_lshlrev_b32_e32 v2, 16, v2
.LBB204_2:
	s_or_b64 exec, exec, s[2:3]
	v_cmp_gt_i32_e64 s[0:1], s5, v5
	s_and_saveexec_b64 s[2:3], s[0:1]
	s_cbranch_execz .LBB204_4
; %bb.3:
	v_add_u32_e32 v3, s4, v5
	v_mov_b32_e32 v4, 0
	v_lshlrev_b64 v[3:4], 1, v[3:4]
	v_mov_b32_e32 v6, s15
	v_add_co_u32_e64 v3, s[0:1], s14, v3
	v_addc_co_u32_e64 v4, s[0:1], v6, v4, s[0:1]
	global_load_ushort v3, v[3:4], off
	v_add_u32_e32 v5, 0x100, v5
	s_waitcnt vmcnt(0)
	v_lshlrev_b32_e32 v3, 16, v3
.LBB204_4:
	s_or_b64 exec, exec, s[2:3]
	v_cmp_gt_i32_e64 s[0:1], s5, v5
	v_mov_b32_e32 v4, 0
	v_mov_b32_e32 v6, 0
	s_and_saveexec_b64 s[2:3], s[0:1]
	s_cbranch_execz .LBB204_6
; %bb.5:
	v_add_u32_e32 v6, s4, v5
	v_mov_b32_e32 v7, 0
	v_lshlrev_b64 v[6:7], 1, v[6:7]
	v_mov_b32_e32 v8, s15
	v_add_co_u32_e64 v6, s[0:1], s14, v6
	v_addc_co_u32_e64 v7, s[0:1], v8, v7, s[0:1]
	global_load_ushort v6, v[6:7], off
	v_add_u32_e32 v5, 0x100, v5
	s_waitcnt vmcnt(0)
	v_lshlrev_b32_e32 v6, 16, v6
.LBB204_6:
	s_or_b64 exec, exec, s[2:3]
	v_cmp_gt_i32_e64 s[0:1], s5, v5
	s_and_saveexec_b64 s[2:3], s[0:1]
	s_cbranch_execz .LBB204_8
; %bb.7:
	v_add_u32_e32 v4, s4, v5
	v_mov_b32_e32 v5, 0
	v_lshlrev_b64 v[4:5], 1, v[4:5]
	v_mov_b32_e32 v7, s15
	v_add_co_u32_e64 v4, s[0:1], s14, v4
	v_addc_co_u32_e64 v5, s[0:1], v7, v5, s[0:1]
	global_load_ushort v4, v[4:5], off
	s_waitcnt vmcnt(0)
	v_lshlrev_b32_e32 v4, 16, v4
.LBB204_8:
	s_or_b64 exec, exec, s[2:3]
	s_cmp_eq_u32 s9, 0
	s_cselect_b64 s[0:1], -1, 0
	s_lshl_b32 s6, s10, 16
	v_cmp_eq_f32_e64 s[2:3], s6, v2
	v_cndmask_b32_e64 v5, 0, 1, s[2:3]
	v_cmp_neq_f32_e64 s[2:3], s6, v2
	v_cndmask_b32_e64 v2, 0, 1, s[2:3]
	v_cmp_eq_f32_e64 s[2:3], s6, v3
	v_cndmask_b32_e64 v7, 0, 1, s[2:3]
	v_cmp_neq_f32_e64 s[2:3], s6, v3
	v_cndmask_b32_e64 v3, 0, 1, s[2:3]
	v_cndmask_b32_e64 v2, v2, v5, s[0:1]
	v_cndmask_b32_e64 v5, 0, 1, vcc
	v_cndmask_b32_e64 v3, v3, v7, s[0:1]
	v_mov_b32_e32 v7, 1
	v_and_b32_e32 v2, v5, v2
	v_and_b32_sdwa v3, v3, v7 dst_sel:BYTE_1 dst_unused:UNUSED_PAD src0_sel:DWORD src1_sel:DWORD
	v_or_b32_e32 v5, 0x100, v0
	v_or_b32_e32 v3, v2, v3
	v_and_b32_e32 v3, 0xffff, v3
	v_cmp_gt_i32_e64 s[2:3], s5, v5
	v_cndmask_b32_e64 v2, v2, v3, s[2:3]
	v_cmp_eq_f32_e64 s[2:3], s6, v6
	v_cndmask_b32_e64 v8, 0, 1, s[2:3]
	v_cmp_neq_f32_e64 s[2:3], s6, v6
	v_cndmask_b32_e64 v6, 0, 1, s[2:3]
	v_cndmask_b32_e64 v6, v6, v8, s[0:1]
	v_or_b32_e32 v3, 0x200, v0
	v_and_b32_sdwa v6, v6, v7 dst_sel:WORD_1 dst_unused:UNUSED_PAD src0_sel:DWORD src1_sel:DWORD
	v_or_b32_e32 v6, v2, v6
	v_cmp_gt_i32_e64 s[2:3], s5, v3
	v_cndmask_b32_e64 v2, v2, v6, s[2:3]
	s_movk_i32 s2, 0xff
	v_and_b32_sdwa v3, v2, s2 dst_sel:DWORD dst_unused:UNUSED_PAD src0_sel:WORD_1 src1_sel:DWORD
	v_cmp_eq_f32_e64 s[2:3], s6, v4
	v_cndmask_b32_e64 v8, 0, 1, s[2:3]
	v_cmp_neq_f32_e64 s[2:3], s6, v4
	v_cndmask_b32_e64 v4, 0, 1, s[2:3]
	v_cndmask_b32_e64 v4, v4, v8, s[0:1]
	v_and_b32_sdwa v4, v4, v7 dst_sel:BYTE_1 dst_unused:UNUSED_PAD src0_sel:DWORD src1_sel:DWORD
	s_mov_b32 s7, 0xffff
	v_or_b32_e32 v6, 0x300, v0
	v_or_b32_sdwa v3, v3, v4 dst_sel:WORD_1 dst_unused:UNUSED_PAD src0_sel:DWORD src1_sel:DWORD
	v_and_or_b32 v3, v2, s7, v3
	v_cmp_gt_i32_e64 s[0:1], s5, v6
	v_cndmask_b32_e64 v2, v2, v3, s[0:1]
	s_and_saveexec_b64 s[0:1], vcc
	s_cbranch_execnz .LBB204_13
; %bb.9:
	s_or_b64 exec, exec, s[0:1]
	v_cmp_gt_i32_e32 vcc, s5, v0
	s_and_saveexec_b64 s[0:1], vcc
	s_cbranch_execnz .LBB204_14
.LBB204_10:
	s_or_b64 exec, exec, s[0:1]
	v_cmp_gt_i32_e32 vcc, s5, v0
	s_and_saveexec_b64 s[0:1], vcc
	s_cbranch_execnz .LBB204_15
.LBB204_11:
	s_or_b64 exec, exec, s[0:1]
	v_cmp_gt_i32_e32 vcc, s5, v0
	s_and_saveexec_b64 s[0:1], vcc
	s_cbranch_execnz .LBB204_16
.LBB204_12:
	s_endpgm
.LBB204_13:
	v_mov_b32_e32 v0, v5
	global_store_byte v1, v2, s[12:13]
	s_or_b64 exec, exec, s[0:1]
	v_cmp_gt_i32_e32 vcc, s5, v0
	s_and_saveexec_b64 s[0:1], vcc
	s_cbranch_execz .LBB204_10
.LBB204_14:
	v_add_u32_e32 v1, 0x100, v0
	v_add_u32_e32 v0, s4, v0
	v_lshrrev_b32_e32 v3, 8, v2
	global_store_byte v0, v3, s[12:13]
	v_mov_b32_e32 v0, v1
	s_or_b64 exec, exec, s[0:1]
	v_cmp_gt_i32_e32 vcc, s5, v0
	s_and_saveexec_b64 s[0:1], vcc
	s_cbranch_execz .LBB204_11
.LBB204_15:
	v_add_u32_e32 v1, 0x100, v0
	v_add_u32_e32 v0, s4, v0
	global_store_byte_d16_hi v0, v2, s[12:13]
	v_mov_b32_e32 v0, v1
	s_or_b64 exec, exec, s[0:1]
	v_cmp_gt_i32_e32 vcc, s5, v0
	s_and_saveexec_b64 s[0:1], vcc
	s_cbranch_execz .LBB204_12
.LBB204_16:
	v_add_u32_e32 v0, s4, v0
	v_lshrrev_b32_e32 v1, 24, v2
	global_store_byte v0, v1, s[12:13]
	s_endpgm
	.section	.rodata,"a",@progbits
	.p2align	6, 0x0
	.amdhsa_kernel _ZN2at6native27unrolled_elementwise_kernelINS0_13AUnaryFunctorIN3c108BFloat16ES4_bNS0_12_GLOBAL__N_116CompareEqFunctorIS4_EEEESt5arrayIPcLm2EELi4E23TrivialOffsetCalculatorILi1EjESD_NS0_6memory15LoadWithoutCastENSE_16StoreWithoutCastEEEviT_T0_T2_T3_T4_T5_
		.amdhsa_group_segment_fixed_size 0
		.amdhsa_private_segment_fixed_size 0
		.amdhsa_kernarg_size 36
		.amdhsa_user_sgpr_count 6
		.amdhsa_user_sgpr_private_segment_buffer 1
		.amdhsa_user_sgpr_dispatch_ptr 0
		.amdhsa_user_sgpr_queue_ptr 0
		.amdhsa_user_sgpr_kernarg_segment_ptr 1
		.amdhsa_user_sgpr_dispatch_id 0
		.amdhsa_user_sgpr_flat_scratch_init 0
		.amdhsa_user_sgpr_private_segment_size 0
		.amdhsa_uses_dynamic_stack 0
		.amdhsa_system_sgpr_private_segment_wavefront_offset 0
		.amdhsa_system_sgpr_workgroup_id_x 1
		.amdhsa_system_sgpr_workgroup_id_y 0
		.amdhsa_system_sgpr_workgroup_id_z 0
		.amdhsa_system_sgpr_workgroup_info 0
		.amdhsa_system_vgpr_workitem_id 0
		.amdhsa_next_free_vgpr 9
		.amdhsa_next_free_sgpr 16
		.amdhsa_reserve_vcc 1
		.amdhsa_reserve_flat_scratch 0
		.amdhsa_float_round_mode_32 0
		.amdhsa_float_round_mode_16_64 0
		.amdhsa_float_denorm_mode_32 3
		.amdhsa_float_denorm_mode_16_64 3
		.amdhsa_dx10_clamp 1
		.amdhsa_ieee_mode 1
		.amdhsa_fp16_overflow 0
		.amdhsa_exception_fp_ieee_invalid_op 0
		.amdhsa_exception_fp_denorm_src 0
		.amdhsa_exception_fp_ieee_div_zero 0
		.amdhsa_exception_fp_ieee_overflow 0
		.amdhsa_exception_fp_ieee_underflow 0
		.amdhsa_exception_fp_ieee_inexact 0
		.amdhsa_exception_int_div_zero 0
	.end_amdhsa_kernel
	.section	.text._ZN2at6native27unrolled_elementwise_kernelINS0_13AUnaryFunctorIN3c108BFloat16ES4_bNS0_12_GLOBAL__N_116CompareEqFunctorIS4_EEEESt5arrayIPcLm2EELi4E23TrivialOffsetCalculatorILi1EjESD_NS0_6memory15LoadWithoutCastENSE_16StoreWithoutCastEEEviT_T0_T2_T3_T4_T5_,"axG",@progbits,_ZN2at6native27unrolled_elementwise_kernelINS0_13AUnaryFunctorIN3c108BFloat16ES4_bNS0_12_GLOBAL__N_116CompareEqFunctorIS4_EEEESt5arrayIPcLm2EELi4E23TrivialOffsetCalculatorILi1EjESD_NS0_6memory15LoadWithoutCastENSE_16StoreWithoutCastEEEviT_T0_T2_T3_T4_T5_,comdat
.Lfunc_end204:
	.size	_ZN2at6native27unrolled_elementwise_kernelINS0_13AUnaryFunctorIN3c108BFloat16ES4_bNS0_12_GLOBAL__N_116CompareEqFunctorIS4_EEEESt5arrayIPcLm2EELi4E23TrivialOffsetCalculatorILi1EjESD_NS0_6memory15LoadWithoutCastENSE_16StoreWithoutCastEEEviT_T0_T2_T3_T4_T5_, .Lfunc_end204-_ZN2at6native27unrolled_elementwise_kernelINS0_13AUnaryFunctorIN3c108BFloat16ES4_bNS0_12_GLOBAL__N_116CompareEqFunctorIS4_EEEESt5arrayIPcLm2EELi4E23TrivialOffsetCalculatorILi1EjESD_NS0_6memory15LoadWithoutCastENSE_16StoreWithoutCastEEEviT_T0_T2_T3_T4_T5_
                                        ; -- End function
	.set _ZN2at6native27unrolled_elementwise_kernelINS0_13AUnaryFunctorIN3c108BFloat16ES4_bNS0_12_GLOBAL__N_116CompareEqFunctorIS4_EEEESt5arrayIPcLm2EELi4E23TrivialOffsetCalculatorILi1EjESD_NS0_6memory15LoadWithoutCastENSE_16StoreWithoutCastEEEviT_T0_T2_T3_T4_T5_.num_vgpr, 9
	.set _ZN2at6native27unrolled_elementwise_kernelINS0_13AUnaryFunctorIN3c108BFloat16ES4_bNS0_12_GLOBAL__N_116CompareEqFunctorIS4_EEEESt5arrayIPcLm2EELi4E23TrivialOffsetCalculatorILi1EjESD_NS0_6memory15LoadWithoutCastENSE_16StoreWithoutCastEEEviT_T0_T2_T3_T4_T5_.num_agpr, 0
	.set _ZN2at6native27unrolled_elementwise_kernelINS0_13AUnaryFunctorIN3c108BFloat16ES4_bNS0_12_GLOBAL__N_116CompareEqFunctorIS4_EEEESt5arrayIPcLm2EELi4E23TrivialOffsetCalculatorILi1EjESD_NS0_6memory15LoadWithoutCastENSE_16StoreWithoutCastEEEviT_T0_T2_T3_T4_T5_.numbered_sgpr, 16
	.set _ZN2at6native27unrolled_elementwise_kernelINS0_13AUnaryFunctorIN3c108BFloat16ES4_bNS0_12_GLOBAL__N_116CompareEqFunctorIS4_EEEESt5arrayIPcLm2EELi4E23TrivialOffsetCalculatorILi1EjESD_NS0_6memory15LoadWithoutCastENSE_16StoreWithoutCastEEEviT_T0_T2_T3_T4_T5_.num_named_barrier, 0
	.set _ZN2at6native27unrolled_elementwise_kernelINS0_13AUnaryFunctorIN3c108BFloat16ES4_bNS0_12_GLOBAL__N_116CompareEqFunctorIS4_EEEESt5arrayIPcLm2EELi4E23TrivialOffsetCalculatorILi1EjESD_NS0_6memory15LoadWithoutCastENSE_16StoreWithoutCastEEEviT_T0_T2_T3_T4_T5_.private_seg_size, 0
	.set _ZN2at6native27unrolled_elementwise_kernelINS0_13AUnaryFunctorIN3c108BFloat16ES4_bNS0_12_GLOBAL__N_116CompareEqFunctorIS4_EEEESt5arrayIPcLm2EELi4E23TrivialOffsetCalculatorILi1EjESD_NS0_6memory15LoadWithoutCastENSE_16StoreWithoutCastEEEviT_T0_T2_T3_T4_T5_.uses_vcc, 1
	.set _ZN2at6native27unrolled_elementwise_kernelINS0_13AUnaryFunctorIN3c108BFloat16ES4_bNS0_12_GLOBAL__N_116CompareEqFunctorIS4_EEEESt5arrayIPcLm2EELi4E23TrivialOffsetCalculatorILi1EjESD_NS0_6memory15LoadWithoutCastENSE_16StoreWithoutCastEEEviT_T0_T2_T3_T4_T5_.uses_flat_scratch, 0
	.set _ZN2at6native27unrolled_elementwise_kernelINS0_13AUnaryFunctorIN3c108BFloat16ES4_bNS0_12_GLOBAL__N_116CompareEqFunctorIS4_EEEESt5arrayIPcLm2EELi4E23TrivialOffsetCalculatorILi1EjESD_NS0_6memory15LoadWithoutCastENSE_16StoreWithoutCastEEEviT_T0_T2_T3_T4_T5_.has_dyn_sized_stack, 0
	.set _ZN2at6native27unrolled_elementwise_kernelINS0_13AUnaryFunctorIN3c108BFloat16ES4_bNS0_12_GLOBAL__N_116CompareEqFunctorIS4_EEEESt5arrayIPcLm2EELi4E23TrivialOffsetCalculatorILi1EjESD_NS0_6memory15LoadWithoutCastENSE_16StoreWithoutCastEEEviT_T0_T2_T3_T4_T5_.has_recursion, 0
	.set _ZN2at6native27unrolled_elementwise_kernelINS0_13AUnaryFunctorIN3c108BFloat16ES4_bNS0_12_GLOBAL__N_116CompareEqFunctorIS4_EEEESt5arrayIPcLm2EELi4E23TrivialOffsetCalculatorILi1EjESD_NS0_6memory15LoadWithoutCastENSE_16StoreWithoutCastEEEviT_T0_T2_T3_T4_T5_.has_indirect_call, 0
	.section	.AMDGPU.csdata,"",@progbits
; Kernel info:
; codeLenInByte = 876
; TotalNumSgprs: 20
; NumVgprs: 9
; ScratchSize: 0
; MemoryBound: 0
; FloatMode: 240
; IeeeMode: 1
; LDSByteSize: 0 bytes/workgroup (compile time only)
; SGPRBlocks: 2
; VGPRBlocks: 2
; NumSGPRsForWavesPerEU: 20
; NumVGPRsForWavesPerEU: 9
; Occupancy: 10
; WaveLimiterHint : 0
; COMPUTE_PGM_RSRC2:SCRATCH_EN: 0
; COMPUTE_PGM_RSRC2:USER_SGPR: 6
; COMPUTE_PGM_RSRC2:TRAP_HANDLER: 0
; COMPUTE_PGM_RSRC2:TGID_X_EN: 1
; COMPUTE_PGM_RSRC2:TGID_Y_EN: 0
; COMPUTE_PGM_RSRC2:TGID_Z_EN: 0
; COMPUTE_PGM_RSRC2:TIDIG_COMP_CNT: 0
	.section	.text._ZN2at6native32elementwise_kernel_manual_unrollILi128ELi8EZNS0_22gpu_kernel_impl_nocastINS0_13AUnaryFunctorIN3c108BFloat16ES5_bNS0_12_GLOBAL__N_116CompareEqFunctorIS5_EEEEEEvRNS_18TensorIteratorBaseERKT_EUlibE_EEviT1_,"axG",@progbits,_ZN2at6native32elementwise_kernel_manual_unrollILi128ELi8EZNS0_22gpu_kernel_impl_nocastINS0_13AUnaryFunctorIN3c108BFloat16ES5_bNS0_12_GLOBAL__N_116CompareEqFunctorIS5_EEEEEEvRNS_18TensorIteratorBaseERKT_EUlibE_EEviT1_,comdat
	.globl	_ZN2at6native32elementwise_kernel_manual_unrollILi128ELi8EZNS0_22gpu_kernel_impl_nocastINS0_13AUnaryFunctorIN3c108BFloat16ES5_bNS0_12_GLOBAL__N_116CompareEqFunctorIS5_EEEEEEvRNS_18TensorIteratorBaseERKT_EUlibE_EEviT1_ ; -- Begin function _ZN2at6native32elementwise_kernel_manual_unrollILi128ELi8EZNS0_22gpu_kernel_impl_nocastINS0_13AUnaryFunctorIN3c108BFloat16ES5_bNS0_12_GLOBAL__N_116CompareEqFunctorIS5_EEEEEEvRNS_18TensorIteratorBaseERKT_EUlibE_EEviT1_
	.p2align	8
	.type	_ZN2at6native32elementwise_kernel_manual_unrollILi128ELi8EZNS0_22gpu_kernel_impl_nocastINS0_13AUnaryFunctorIN3c108BFloat16ES5_bNS0_12_GLOBAL__N_116CompareEqFunctorIS5_EEEEEEvRNS_18TensorIteratorBaseERKT_EUlibE_EEviT1_,@function
_ZN2at6native32elementwise_kernel_manual_unrollILi128ELi8EZNS0_22gpu_kernel_impl_nocastINS0_13AUnaryFunctorIN3c108BFloat16ES5_bNS0_12_GLOBAL__N_116CompareEqFunctorIS5_EEEEEEvRNS_18TensorIteratorBaseERKT_EUlibE_EEviT1_: ; @_ZN2at6native32elementwise_kernel_manual_unrollILi128ELi8EZNS0_22gpu_kernel_impl_nocastINS0_13AUnaryFunctorIN3c108BFloat16ES5_bNS0_12_GLOBAL__N_116CompareEqFunctorIS5_EEEEEEvRNS_18TensorIteratorBaseERKT_EUlibE_EEviT1_
; %bb.0:
	s_load_dword s58, s[4:5], 0x0
	s_load_dword s33, s[4:5], 0x8
	s_add_u32 s34, s4, 8
	s_addc_u32 s35, s5, 0
	v_lshl_or_b32 v19, s6, 10, v0
	v_or_b32_e32 v25, 0x380, v19
	s_waitcnt lgkmcnt(0)
	s_add_i32 s56, s33, -1
	s_cmp_gt_u32 s56, 1
	v_cmp_le_i32_e32 vcc, s58, v25
	s_cselect_b64 s[2:3], -1, 0
	s_and_saveexec_b64 s[0:1], vcc
	s_xor_b64 s[40:41], exec, s[0:1]
	s_cbranch_execz .LBB205_7
; %bb.1:
	s_load_dwordx4 s[24:27], s[34:35], 0x4
	s_load_dwordx2 s[42:43], s[34:35], 0x14
	s_load_dwordx2 s[4:5], s[34:35], 0x158
	s_cmp_lg_u32 s33, 0
	s_cselect_b64 s[48:49], -1, 0
	s_add_u32 s46, s34, 0xc4
	s_load_dwordx4 s[28:31], s[34:35], 0xc4
	s_load_dwordx4 s[20:23], s[34:35], 0x148
	s_addc_u32 s47, s35, 0
	s_min_u32 s59, s56, 15
	s_cmp_gt_u32 s33, 1
	s_cselect_b64 s[44:45], -1, 0
	s_waitcnt lgkmcnt(0)
	s_cmp_eq_u32 s4, 0
	s_cselect_b64 s[0:1], -1, 0
	s_lshl_b32 s57, s5, 16
	v_cmp_gt_i32_e32 vcc, s58, v19
	s_and_saveexec_b64 s[50:51], vcc
	s_cbranch_execz .LBB205_14
; %bb.2:
	s_andn2_b64 vcc, exec, s[2:3]
	s_cbranch_vccnz .LBB205_21
; %bb.3:
	s_andn2_b64 vcc, exec, s[48:49]
	s_cbranch_vccnz .LBB205_129
; %bb.4:
	s_add_i32 s61, s59, 1
	s_cmp_eq_u32 s56, 2
	s_cbranch_scc1 .LBB205_131
; %bb.5:
	s_and_b32 s60, s61, 28
	v_mov_b32_e32 v2, 0
	s_mov_b32 s62, 0
	s_mov_b64 s[52:53], s[34:35]
	s_mov_b64 s[54:55], s[46:47]
	v_mov_b32_e32 v0, 0
	v_mov_b32_e32 v1, v19
.LBB205_6:                              ; =>This Inner Loop Header: Depth=1
	s_load_dwordx8 s[12:19], s[52:53], 0x4
	s_load_dwordx4 s[36:39], s[52:53], 0x24
	s_load_dwordx8 s[4:11], s[54:55], 0x0
	s_add_u32 s52, s52, 48
	s_addc_u32 s53, s53, 0
	s_waitcnt lgkmcnt(0)
	v_mul_hi_u32 v3, s13, v1
	s_add_i32 s62, s62, 4
	s_add_u32 s54, s54, 32
	s_addc_u32 s55, s55, 0
	v_add_u32_e32 v3, v1, v3
	v_lshrrev_b32_e32 v3, s14, v3
	v_mul_lo_u32 v4, v3, s12
	v_mul_hi_u32 v5, s16, v3
	s_cmp_lg_u32 s60, s62
	v_sub_u32_e32 v1, v1, v4
	v_add_u32_e32 v4, v3, v5
	v_mul_lo_u32 v5, v1, s4
	v_mul_lo_u32 v6, v1, s5
	v_lshrrev_b32_e32 v1, s17, v4
	v_mul_lo_u32 v4, v1, s15
	v_mul_hi_u32 v7, s19, v1
	v_sub_u32_e32 v3, v3, v4
	v_add_u32_e32 v4, v1, v7
	v_lshrrev_b32_e32 v4, s36, v4
	v_mul_hi_u32 v8, s38, v4
	v_mul_lo_u32 v9, v4, s18
	v_mul_lo_u32 v7, v3, s6
	;; [unrolled: 1-line block ×3, first 2 shown]
	v_sub_u32_e32 v9, v1, v9
	v_add_u32_e32 v1, v4, v8
	v_lshrrev_b32_e32 v1, s39, v1
	v_mul_lo_u32 v8, v1, s37
	v_mul_lo_u32 v10, v9, s8
	;; [unrolled: 1-line block ×3, first 2 shown]
	v_add3_u32 v0, v5, v0, v7
	v_sub_u32_e32 v4, v4, v8
	v_mul_lo_u32 v8, v4, s10
	v_mul_lo_u32 v4, v4, s11
	v_add3_u32 v2, v6, v2, v3
	v_add3_u32 v0, v10, v0, v8
	;; [unrolled: 1-line block ×3, first 2 shown]
	s_cbranch_scc1 .LBB205_6
	s_branch .LBB205_132
.LBB205_7:
	s_andn2_saveexec_b64 s[0:1], s[40:41]
	s_cbranch_execz .LBB205_221
.LBB205_8:
	v_cndmask_b32_e64 v0, 0, 1, s[2:3]
	v_cmp_ne_u32_e64 s[0:1], 1, v0
	s_andn2_b64 vcc, exec, s[2:3]
	s_cbranch_vccnz .LBB205_20
; %bb.9:
	s_cmp_lg_u32 s33, 0
	s_mov_b32 s26, 0
	s_cbranch_scc0 .LBB205_23
; %bb.10:
	s_min_u32 s27, s56, 15
	s_add_i32 s27, s27, 1
	s_cmp_eq_u32 s56, 2
	s_cbranch_scc1 .LBB205_24
; %bb.11:
	s_and_b32 s26, s27, 28
	s_add_u32 s2, s34, 0xc4
	s_addc_u32 s3, s35, 0
	v_mov_b32_e32 v2, 0
	s_mov_b32 s28, 0
	s_mov_b64 s[24:25], s[34:35]
	v_mov_b32_e32 v0, 0
	v_mov_b32_e32 v1, v19
.LBB205_12:                             ; =>This Inner Loop Header: Depth=1
	s_load_dwordx8 s[12:19], s[24:25], 0x4
	s_load_dwordx4 s[20:23], s[24:25], 0x24
	s_load_dwordx8 s[4:11], s[2:3], 0x0
	s_add_u32 s24, s24, 48
	s_addc_u32 s25, s25, 0
	s_waitcnt lgkmcnt(0)
	v_mul_hi_u32 v3, s13, v1
	s_add_i32 s28, s28, 4
	s_add_u32 s2, s2, 32
	s_addc_u32 s3, s3, 0
	v_add_u32_e32 v3, v1, v3
	v_lshrrev_b32_e32 v3, s14, v3
	v_mul_lo_u32 v4, v3, s12
	v_mul_hi_u32 v5, s16, v3
	s_cmp_lg_u32 s26, s28
	v_sub_u32_e32 v1, v1, v4
	v_add_u32_e32 v4, v3, v5
	v_mul_lo_u32 v5, v1, s4
	v_mul_lo_u32 v6, v1, s5
	v_lshrrev_b32_e32 v1, s17, v4
	v_mul_lo_u32 v4, v1, s15
	v_mul_hi_u32 v7, s19, v1
	v_sub_u32_e32 v3, v3, v4
	v_add_u32_e32 v4, v1, v7
	v_lshrrev_b32_e32 v4, s20, v4
	v_mul_hi_u32 v8, s22, v4
	v_mul_lo_u32 v9, v4, s18
	v_mul_lo_u32 v7, v3, s6
	;; [unrolled: 1-line block ×3, first 2 shown]
	v_sub_u32_e32 v9, v1, v9
	v_add_u32_e32 v1, v4, v8
	v_lshrrev_b32_e32 v1, s23, v1
	v_mul_lo_u32 v8, v1, s21
	v_mul_lo_u32 v10, v9, s8
	;; [unrolled: 1-line block ×3, first 2 shown]
	v_add3_u32 v0, v5, v0, v7
	v_sub_u32_e32 v4, v4, v8
	v_mul_lo_u32 v8, v4, s10
	v_mul_lo_u32 v4, v4, s11
	v_add3_u32 v2, v6, v2, v3
	v_add3_u32 v0, v10, v0, v8
	;; [unrolled: 1-line block ×3, first 2 shown]
	s_cbranch_scc1 .LBB205_12
; %bb.13:
	s_and_b32 s6, s27, 3
	s_cmp_eq_u32 s6, 0
	s_cbranch_scc0 .LBB205_25
	s_branch .LBB205_27
.LBB205_14:
	s_or_b64 exec, exec, s[50:51]
	v_cmp_gt_i32_e32 vcc, s58, v19
	s_and_saveexec_b64 s[50:51], vcc
	s_cbranch_execz .LBB205_139
.LBB205_15:
	s_andn2_b64 vcc, exec, s[2:3]
	s_cbranch_vccnz .LBB205_22
; %bb.16:
	s_andn2_b64 vcc, exec, s[48:49]
	s_cbranch_vccnz .LBB205_130
; %bb.17:
	s_add_i32 s61, s59, 1
	s_cmp_eq_u32 s56, 2
	s_cbranch_scc1 .LBB205_147
; %bb.18:
	s_and_b32 s60, s61, 28
	v_mov_b32_e32 v2, 0
	s_mov_b32 s62, 0
	s_mov_b64 s[52:53], s[34:35]
	s_mov_b64 s[54:55], s[46:47]
	v_mov_b32_e32 v0, 0
	v_mov_b32_e32 v1, v19
.LBB205_19:                             ; =>This Inner Loop Header: Depth=1
	s_load_dwordx8 s[12:19], s[52:53], 0x4
	s_load_dwordx4 s[36:39], s[52:53], 0x24
	s_load_dwordx8 s[4:11], s[54:55], 0x0
	s_add_u32 s52, s52, 48
	s_addc_u32 s53, s53, 0
	s_waitcnt lgkmcnt(0)
	v_mul_hi_u32 v3, s13, v1
	s_add_i32 s62, s62, 4
	s_add_u32 s54, s54, 32
	s_addc_u32 s55, s55, 0
	v_add_u32_e32 v3, v1, v3
	v_lshrrev_b32_e32 v3, s14, v3
	v_mul_lo_u32 v4, v3, s12
	v_mul_hi_u32 v5, s16, v3
	s_cmp_eq_u32 s60, s62
	v_sub_u32_e32 v1, v1, v4
	v_add_u32_e32 v4, v3, v5
	v_mul_lo_u32 v5, v1, s4
	v_mul_lo_u32 v6, v1, s5
	v_lshrrev_b32_e32 v1, s17, v4
	v_mul_lo_u32 v4, v1, s15
	v_mul_hi_u32 v7, s19, v1
	v_sub_u32_e32 v3, v3, v4
	v_add_u32_e32 v4, v1, v7
	v_lshrrev_b32_e32 v4, s36, v4
	v_mul_hi_u32 v8, s38, v4
	v_mul_lo_u32 v9, v4, s18
	v_mul_lo_u32 v7, v3, s6
	;; [unrolled: 1-line block ×3, first 2 shown]
	v_sub_u32_e32 v9, v1, v9
	v_add_u32_e32 v1, v4, v8
	v_lshrrev_b32_e32 v1, s39, v1
	v_mul_lo_u32 v8, v1, s37
	v_mul_lo_u32 v10, v9, s8
	;; [unrolled: 1-line block ×3, first 2 shown]
	v_add3_u32 v0, v5, v0, v7
	v_sub_u32_e32 v4, v4, v8
	v_mul_lo_u32 v8, v4, s10
	v_mul_lo_u32 v4, v4, s11
	v_add3_u32 v2, v6, v2, v3
	v_add3_u32 v0, v10, v0, v8
	;; [unrolled: 1-line block ×3, first 2 shown]
	s_cbranch_scc0 .LBB205_19
	s_branch .LBB205_148
.LBB205_20:
                                        ; implicit-def: $vgpr0
                                        ; implicit-def: $vgpr2
	s_branch .LBB205_28
.LBB205_21:
                                        ; implicit-def: $vgpr0
                                        ; implicit-def: $vgpr2
	s_branch .LBB205_136
.LBB205_22:
                                        ; implicit-def: $vgpr0
                                        ; implicit-def: $vgpr2
	s_branch .LBB205_152
.LBB205_23:
	v_mov_b32_e32 v0, 0
	v_mov_b32_e32 v2, 0
	s_branch .LBB205_27
.LBB205_24:
	v_mov_b32_e32 v0, 0
	v_mov_b32_e32 v2, 0
	v_mov_b32_e32 v1, v19
	s_and_b32 s6, s27, 3
	s_cmp_eq_u32 s6, 0
	s_cbranch_scc1 .LBB205_27
.LBB205_25:
	s_lshl_b32 s2, s26, 3
	s_add_u32 s2, s34, s2
	s_addc_u32 s3, s35, 0
	s_add_u32 s2, s2, 0xc4
	s_addc_u32 s3, s3, 0
	s_mul_i32 s4, s26, 12
	s_add_u32 s4, s34, s4
	s_addc_u32 s5, s35, 0
.LBB205_26:                             ; =>This Inner Loop Header: Depth=1
	s_load_dwordx2 s[8:9], s[4:5], 0x4
	s_load_dword s7, s[4:5], 0xc
	s_load_dwordx2 s[10:11], s[2:3], 0x0
	s_add_u32 s4, s4, 12
	s_addc_u32 s5, s5, 0
	s_waitcnt lgkmcnt(0)
	v_mul_hi_u32 v4, s9, v1
	s_add_u32 s2, s2, 8
	s_addc_u32 s3, s3, 0
	s_add_i32 s6, s6, -1
	v_add_u32_e32 v4, v1, v4
	v_lshrrev_b32_e32 v4, s7, v4
	v_mul_lo_u32 v5, v4, s8
	s_cmp_lg_u32 s6, 0
	v_sub_u32_e32 v5, v1, v5
	v_mad_u64_u32 v[0:1], s[8:9], v5, s10, v[0:1]
	v_mad_u64_u32 v[2:3], s[8:9], v5, s11, v[2:3]
	v_mov_b32_e32 v1, v4
	s_cbranch_scc1 .LBB205_26
.LBB205_27:
	s_cbranch_execnz .LBB205_30
.LBB205_28:
	s_load_dwordx4 s[4:7], s[34:35], 0x4
	s_load_dwordx2 s[2:3], s[34:35], 0xc4
	s_cmp_lt_u32 s33, 2
	s_waitcnt lgkmcnt(0)
	v_mul_hi_u32 v0, s5, v19
	v_add_u32_e32 v0, v19, v0
	v_lshrrev_b32_e32 v1, s6, v0
	v_mul_lo_u32 v0, v1, s4
	v_sub_u32_e32 v2, v19, v0
	v_mul_lo_u32 v0, v2, s2
	v_mul_lo_u32 v2, v2, s3
	s_cbranch_scc1 .LBB205_30
; %bb.29:
	s_load_dwordx4 s[4:7], s[34:35], 0x10
	s_load_dwordx2 s[2:3], s[34:35], 0xcc
	s_waitcnt lgkmcnt(0)
	v_mul_hi_u32 v3, s5, v1
	v_add_u32_e32 v3, v1, v3
	v_lshrrev_b32_e32 v3, s6, v3
	v_mul_lo_u32 v3, v3, s4
	v_sub_u32_e32 v3, v1, v3
	v_mad_u64_u32 v[0:1], s[4:5], v3, s2, v[0:1]
	v_mad_u64_u32 v[2:3], s[2:3], v3, s3, v[2:3]
.LBB205_30:
	s_and_b64 vcc, exec, s[0:1]
	v_add_u32_e32 v1, 0x80, v19
	s_cbranch_vccnz .LBB205_36
; %bb.31:
	s_cmp_lg_u32 s33, 0
	s_mov_b32 s26, 0
	s_cbranch_scc0 .LBB205_37
; %bb.32:
	s_min_u32 s27, s56, 15
	s_add_i32 s27, s27, 1
	s_cmp_eq_u32 s56, 2
	s_cbranch_scc1 .LBB205_38
; %bb.33:
	s_and_b32 s26, s27, 28
	s_add_u32 s2, s34, 0xc4
	s_addc_u32 s3, s35, 0
	v_mov_b32_e32 v5, 0
	s_mov_b32 s28, 0
	s_mov_b64 s[24:25], s[34:35]
	v_mov_b32_e32 v3, 0
	v_mov_b32_e32 v4, v1
.LBB205_34:                             ; =>This Inner Loop Header: Depth=1
	s_load_dwordx8 s[12:19], s[24:25], 0x4
	s_load_dwordx4 s[20:23], s[24:25], 0x24
	s_load_dwordx8 s[4:11], s[2:3], 0x0
	s_add_u32 s24, s24, 48
	s_addc_u32 s25, s25, 0
	s_waitcnt lgkmcnt(0)
	v_mul_hi_u32 v6, s13, v4
	s_add_i32 s28, s28, 4
	s_add_u32 s2, s2, 32
	s_addc_u32 s3, s3, 0
	v_add_u32_e32 v6, v4, v6
	v_lshrrev_b32_e32 v6, s14, v6
	v_mul_lo_u32 v7, v6, s12
	v_mul_hi_u32 v8, s16, v6
	s_cmp_lg_u32 s26, s28
	v_sub_u32_e32 v4, v4, v7
	v_add_u32_e32 v7, v6, v8
	v_mul_lo_u32 v8, v4, s4
	v_mul_lo_u32 v9, v4, s5
	v_lshrrev_b32_e32 v4, s17, v7
	v_mul_lo_u32 v7, v4, s15
	v_mul_hi_u32 v10, s19, v4
	v_sub_u32_e32 v6, v6, v7
	v_add_u32_e32 v7, v4, v10
	v_lshrrev_b32_e32 v7, s20, v7
	v_mul_hi_u32 v11, s22, v7
	v_mul_lo_u32 v12, v7, s18
	v_mul_lo_u32 v10, v6, s6
	;; [unrolled: 1-line block ×3, first 2 shown]
	v_sub_u32_e32 v12, v4, v12
	v_add_u32_e32 v4, v7, v11
	v_lshrrev_b32_e32 v4, s23, v4
	v_mul_lo_u32 v11, v4, s21
	v_mul_lo_u32 v13, v12, s8
	;; [unrolled: 1-line block ×3, first 2 shown]
	v_add3_u32 v3, v8, v3, v10
	v_sub_u32_e32 v7, v7, v11
	v_mul_lo_u32 v11, v7, s10
	v_mul_lo_u32 v7, v7, s11
	v_add3_u32 v5, v9, v5, v6
	v_add3_u32 v3, v13, v3, v11
	v_add3_u32 v5, v12, v5, v7
	s_cbranch_scc1 .LBB205_34
; %bb.35:
	s_and_b32 s6, s27, 3
	s_cmp_eq_u32 s6, 0
	s_cbranch_scc0 .LBB205_39
	s_branch .LBB205_41
.LBB205_36:
                                        ; implicit-def: $vgpr3
                                        ; implicit-def: $vgpr5
	s_branch .LBB205_42
.LBB205_37:
	v_mov_b32_e32 v3, 0
	v_mov_b32_e32 v5, 0
	s_branch .LBB205_41
.LBB205_38:
	v_mov_b32_e32 v3, 0
	v_mov_b32_e32 v5, 0
	;; [unrolled: 1-line block ×3, first 2 shown]
	s_and_b32 s6, s27, 3
	s_cmp_eq_u32 s6, 0
	s_cbranch_scc1 .LBB205_41
.LBB205_39:
	s_lshl_b32 s2, s26, 3
	s_add_u32 s2, s34, s2
	s_addc_u32 s3, s35, 0
	s_add_u32 s2, s2, 0xc4
	s_addc_u32 s3, s3, 0
	s_mul_i32 s4, s26, 12
	s_add_u32 s4, s34, s4
	s_addc_u32 s5, s35, 0
.LBB205_40:                             ; =>This Inner Loop Header: Depth=1
	s_load_dwordx2 s[8:9], s[4:5], 0x4
	s_load_dword s7, s[4:5], 0xc
	s_load_dwordx2 s[10:11], s[2:3], 0x0
	s_add_u32 s4, s4, 12
	s_addc_u32 s5, s5, 0
	s_waitcnt lgkmcnt(0)
	v_mul_hi_u32 v7, s9, v4
	s_add_u32 s2, s2, 8
	s_addc_u32 s3, s3, 0
	s_add_i32 s6, s6, -1
	v_add_u32_e32 v7, v4, v7
	v_lshrrev_b32_e32 v7, s7, v7
	v_mul_lo_u32 v8, v7, s8
	s_cmp_lg_u32 s6, 0
	v_sub_u32_e32 v8, v4, v8
	v_mad_u64_u32 v[3:4], s[8:9], v8, s10, v[3:4]
	v_mad_u64_u32 v[5:6], s[8:9], v8, s11, v[5:6]
	v_mov_b32_e32 v4, v7
	s_cbranch_scc1 .LBB205_40
.LBB205_41:
	s_cbranch_execnz .LBB205_44
.LBB205_42:
	s_load_dwordx4 s[4:7], s[34:35], 0x4
	s_load_dwordx2 s[2:3], s[34:35], 0xc4
	s_cmp_lt_u32 s33, 2
	s_waitcnt lgkmcnt(0)
	v_mul_hi_u32 v3, s5, v1
	v_add_u32_e32 v3, v1, v3
	v_lshrrev_b32_e32 v4, s6, v3
	v_mul_lo_u32 v3, v4, s4
	v_sub_u32_e32 v1, v1, v3
	v_mul_lo_u32 v3, v1, s2
	v_mul_lo_u32 v5, v1, s3
	s_cbranch_scc1 .LBB205_44
; %bb.43:
	s_load_dwordx4 s[4:7], s[34:35], 0x10
	s_load_dwordx2 s[2:3], s[34:35], 0xcc
	s_waitcnt lgkmcnt(0)
	v_mul_hi_u32 v1, s5, v4
	v_add_u32_e32 v1, v4, v1
	v_lshrrev_b32_e32 v1, s6, v1
	v_mul_lo_u32 v1, v1, s4
	v_sub_u32_e32 v1, v4, v1
	v_mad_u64_u32 v[3:4], s[4:5], v1, s2, v[3:4]
	v_mad_u64_u32 v[5:6], s[2:3], v1, s3, v[5:6]
.LBB205_44:
	s_and_b64 vcc, exec, s[0:1]
	v_add_u32_e32 v1, 0x100, v19
	s_cbranch_vccnz .LBB205_50
; %bb.45:
	s_cmp_lg_u32 s33, 0
	s_mov_b32 s26, 0
	s_cbranch_scc0 .LBB205_51
; %bb.46:
	s_min_u32 s27, s56, 15
	s_add_i32 s27, s27, 1
	s_cmp_eq_u32 s56, 2
	s_cbranch_scc1 .LBB205_52
; %bb.47:
	s_and_b32 s26, s27, 28
	s_add_u32 s2, s34, 0xc4
	s_addc_u32 s3, s35, 0
	v_mov_b32_e32 v8, 0
	s_mov_b32 s28, 0
	s_mov_b64 s[24:25], s[34:35]
	v_mov_b32_e32 v6, 0
	v_mov_b32_e32 v4, v1
.LBB205_48:                             ; =>This Inner Loop Header: Depth=1
	s_load_dwordx8 s[12:19], s[24:25], 0x4
	s_load_dwordx4 s[20:23], s[24:25], 0x24
	s_load_dwordx8 s[4:11], s[2:3], 0x0
	s_add_u32 s24, s24, 48
	s_addc_u32 s25, s25, 0
	s_waitcnt lgkmcnt(0)
	v_mul_hi_u32 v7, s13, v4
	s_add_i32 s28, s28, 4
	s_add_u32 s2, s2, 32
	s_addc_u32 s3, s3, 0
	v_add_u32_e32 v7, v4, v7
	v_lshrrev_b32_e32 v7, s14, v7
	v_mul_lo_u32 v9, v7, s12
	v_mul_hi_u32 v10, s16, v7
	s_cmp_lg_u32 s26, s28
	v_sub_u32_e32 v4, v4, v9
	v_add_u32_e32 v9, v7, v10
	v_mul_lo_u32 v10, v4, s4
	v_mul_lo_u32 v11, v4, s5
	v_lshrrev_b32_e32 v4, s17, v9
	v_mul_lo_u32 v9, v4, s15
	v_mul_hi_u32 v12, s19, v4
	v_sub_u32_e32 v7, v7, v9
	v_add_u32_e32 v9, v4, v12
	v_lshrrev_b32_e32 v9, s20, v9
	v_mul_hi_u32 v13, s22, v9
	v_mul_lo_u32 v14, v9, s18
	v_mul_lo_u32 v12, v7, s6
	;; [unrolled: 1-line block ×3, first 2 shown]
	v_sub_u32_e32 v14, v4, v14
	v_add_u32_e32 v4, v9, v13
	v_lshrrev_b32_e32 v4, s23, v4
	v_mul_lo_u32 v13, v4, s21
	v_mul_lo_u32 v15, v14, s8
	;; [unrolled: 1-line block ×3, first 2 shown]
	v_add3_u32 v6, v10, v6, v12
	v_sub_u32_e32 v9, v9, v13
	v_mul_lo_u32 v13, v9, s10
	v_mul_lo_u32 v9, v9, s11
	v_add3_u32 v7, v11, v8, v7
	v_add3_u32 v6, v15, v6, v13
	;; [unrolled: 1-line block ×3, first 2 shown]
	s_cbranch_scc1 .LBB205_48
; %bb.49:
	s_and_b32 s6, s27, 3
	s_cmp_eq_u32 s6, 0
	s_cbranch_scc0 .LBB205_53
	s_branch .LBB205_55
.LBB205_50:
                                        ; implicit-def: $vgpr6
                                        ; implicit-def: $vgpr8
	s_branch .LBB205_56
.LBB205_51:
	v_mov_b32_e32 v6, 0
	v_mov_b32_e32 v8, 0
	s_branch .LBB205_55
.LBB205_52:
	v_mov_b32_e32 v6, 0
	v_mov_b32_e32 v8, 0
	;; [unrolled: 1-line block ×3, first 2 shown]
	s_and_b32 s6, s27, 3
	s_cmp_eq_u32 s6, 0
	s_cbranch_scc1 .LBB205_55
.LBB205_53:
	s_lshl_b32 s2, s26, 3
	s_add_u32 s2, s34, s2
	s_addc_u32 s3, s35, 0
	s_add_u32 s2, s2, 0xc4
	s_addc_u32 s3, s3, 0
	s_mul_i32 s4, s26, 12
	s_add_u32 s4, s34, s4
	s_addc_u32 s5, s35, 0
.LBB205_54:                             ; =>This Inner Loop Header: Depth=1
	s_load_dwordx2 s[8:9], s[4:5], 0x4
	s_load_dword s7, s[4:5], 0xc
	s_load_dwordx2 s[10:11], s[2:3], 0x0
	s_add_u32 s4, s4, 12
	s_addc_u32 s5, s5, 0
	s_waitcnt lgkmcnt(0)
	v_mul_hi_u32 v7, s9, v4
	s_add_u32 s2, s2, 8
	s_addc_u32 s3, s3, 0
	s_add_i32 s6, s6, -1
	v_add_u32_e32 v7, v4, v7
	v_lshrrev_b32_e32 v10, s7, v7
	v_mul_lo_u32 v7, v10, s8
	s_cmp_lg_u32 s6, 0
	v_sub_u32_e32 v4, v4, v7
	v_mad_u64_u32 v[6:7], s[8:9], v4, s10, v[6:7]
	v_mad_u64_u32 v[8:9], s[8:9], v4, s11, v[8:9]
	v_mov_b32_e32 v4, v10
	s_cbranch_scc1 .LBB205_54
.LBB205_55:
	s_cbranch_execnz .LBB205_58
.LBB205_56:
	s_load_dwordx4 s[4:7], s[34:35], 0x4
	s_load_dwordx2 s[2:3], s[34:35], 0xc4
	s_cmp_lt_u32 s33, 2
	s_waitcnt lgkmcnt(0)
	v_mul_hi_u32 v4, s5, v1
	v_add_u32_e32 v4, v1, v4
	v_lshrrev_b32_e32 v4, s6, v4
	v_mul_lo_u32 v6, v4, s4
	v_sub_u32_e32 v1, v1, v6
	v_mul_lo_u32 v6, v1, s2
	v_mul_lo_u32 v8, v1, s3
	s_cbranch_scc1 .LBB205_58
; %bb.57:
	s_load_dwordx4 s[4:7], s[34:35], 0x10
	s_load_dwordx2 s[2:3], s[34:35], 0xcc
	s_waitcnt lgkmcnt(0)
	v_mul_hi_u32 v1, s5, v4
	v_add_u32_e32 v1, v4, v1
	v_lshrrev_b32_e32 v1, s6, v1
	v_mul_lo_u32 v1, v1, s4
	v_sub_u32_e32 v1, v4, v1
	v_mad_u64_u32 v[6:7], s[4:5], v1, s2, v[6:7]
	v_mad_u64_u32 v[8:9], s[2:3], v1, s3, v[8:9]
.LBB205_58:
	s_and_b64 vcc, exec, s[0:1]
	v_add_u32_e32 v1, 0x180, v19
	s_cbranch_vccnz .LBB205_64
; %bb.59:
	s_cmp_lg_u32 s33, 0
	s_mov_b32 s26, 0
	s_cbranch_scc0 .LBB205_65
; %bb.60:
	s_min_u32 s27, s56, 15
	s_add_i32 s27, s27, 1
	s_cmp_eq_u32 s56, 2
	s_cbranch_scc1 .LBB205_66
; %bb.61:
	s_and_b32 s26, s27, 28
	s_add_u32 s2, s34, 0xc4
	s_addc_u32 s3, s35, 0
	v_mov_b32_e32 v11, 0
	s_mov_b32 s28, 0
	s_mov_b64 s[24:25], s[34:35]
	v_mov_b32_e32 v9, 0
	v_mov_b32_e32 v4, v1
.LBB205_62:                             ; =>This Inner Loop Header: Depth=1
	s_load_dwordx8 s[12:19], s[24:25], 0x4
	s_load_dwordx4 s[20:23], s[24:25], 0x24
	s_load_dwordx8 s[4:11], s[2:3], 0x0
	s_add_u32 s24, s24, 48
	s_addc_u32 s25, s25, 0
	s_waitcnt lgkmcnt(0)
	v_mul_hi_u32 v7, s13, v4
	s_add_i32 s28, s28, 4
	s_add_u32 s2, s2, 32
	s_addc_u32 s3, s3, 0
	v_add_u32_e32 v7, v4, v7
	v_lshrrev_b32_e32 v7, s14, v7
	v_mul_lo_u32 v10, v7, s12
	v_mul_hi_u32 v12, s16, v7
	s_cmp_lg_u32 s26, s28
	v_sub_u32_e32 v4, v4, v10
	v_add_u32_e32 v10, v7, v12
	v_mul_lo_u32 v12, v4, s4
	v_mul_lo_u32 v13, v4, s5
	v_lshrrev_b32_e32 v4, s17, v10
	v_mul_lo_u32 v10, v4, s15
	v_mul_hi_u32 v14, s19, v4
	v_sub_u32_e32 v7, v7, v10
	v_add_u32_e32 v10, v4, v14
	v_lshrrev_b32_e32 v10, s20, v10
	v_mul_hi_u32 v15, s22, v10
	v_mul_lo_u32 v16, v10, s18
	v_mul_lo_u32 v14, v7, s6
	;; [unrolled: 1-line block ×3, first 2 shown]
	v_sub_u32_e32 v16, v4, v16
	v_add_u32_e32 v4, v10, v15
	v_lshrrev_b32_e32 v4, s23, v4
	v_mul_lo_u32 v15, v4, s21
	v_mul_lo_u32 v17, v16, s8
	;; [unrolled: 1-line block ×3, first 2 shown]
	v_add3_u32 v9, v12, v9, v14
	v_sub_u32_e32 v10, v10, v15
	v_mul_lo_u32 v15, v10, s10
	v_mul_lo_u32 v10, v10, s11
	v_add3_u32 v7, v13, v11, v7
	v_add3_u32 v9, v17, v9, v15
	;; [unrolled: 1-line block ×3, first 2 shown]
	s_cbranch_scc1 .LBB205_62
; %bb.63:
	s_and_b32 s6, s27, 3
	s_cmp_eq_u32 s6, 0
	s_cbranch_scc0 .LBB205_67
	s_branch .LBB205_69
.LBB205_64:
                                        ; implicit-def: $vgpr9
                                        ; implicit-def: $vgpr11
	s_branch .LBB205_70
.LBB205_65:
	v_mov_b32_e32 v9, 0
	v_mov_b32_e32 v11, 0
	s_branch .LBB205_69
.LBB205_66:
	v_mov_b32_e32 v9, 0
	v_mov_b32_e32 v11, 0
	;; [unrolled: 1-line block ×3, first 2 shown]
	s_and_b32 s6, s27, 3
	s_cmp_eq_u32 s6, 0
	s_cbranch_scc1 .LBB205_69
.LBB205_67:
	s_lshl_b32 s2, s26, 3
	s_add_u32 s2, s34, s2
	s_addc_u32 s3, s35, 0
	s_add_u32 s2, s2, 0xc4
	s_addc_u32 s3, s3, 0
	s_mul_i32 s4, s26, 12
	s_add_u32 s4, s34, s4
	s_addc_u32 s5, s35, 0
.LBB205_68:                             ; =>This Inner Loop Header: Depth=1
	s_load_dwordx2 s[8:9], s[4:5], 0x4
	s_load_dword s7, s[4:5], 0xc
	s_load_dwordx2 s[10:11], s[2:3], 0x0
	s_add_u32 s4, s4, 12
	s_addc_u32 s5, s5, 0
	s_waitcnt lgkmcnt(0)
	v_mul_hi_u32 v7, s9, v4
	s_add_u32 s2, s2, 8
	s_addc_u32 s3, s3, 0
	s_add_i32 s6, s6, -1
	v_add_u32_e32 v7, v4, v7
	v_lshrrev_b32_e32 v7, s7, v7
	v_mul_lo_u32 v10, v7, s8
	s_cmp_lg_u32 s6, 0
	v_sub_u32_e32 v4, v4, v10
	v_mad_u64_u32 v[9:10], s[8:9], v4, s10, v[9:10]
	v_mad_u64_u32 v[11:12], s[8:9], v4, s11, v[11:12]
	v_mov_b32_e32 v4, v7
	s_cbranch_scc1 .LBB205_68
.LBB205_69:
	s_cbranch_execnz .LBB205_72
.LBB205_70:
	s_load_dwordx4 s[4:7], s[34:35], 0x4
	s_load_dwordx2 s[2:3], s[34:35], 0xc4
	s_cmp_lt_u32 s33, 2
	s_waitcnt lgkmcnt(0)
	v_mul_hi_u32 v4, s5, v1
	v_add_u32_e32 v4, v1, v4
	v_lshrrev_b32_e32 v4, s6, v4
	v_mul_lo_u32 v7, v4, s4
	v_sub_u32_e32 v1, v1, v7
	v_mul_lo_u32 v9, v1, s2
	v_mul_lo_u32 v11, v1, s3
	s_cbranch_scc1 .LBB205_72
; %bb.71:
	s_load_dwordx4 s[4:7], s[34:35], 0x10
	s_load_dwordx2 s[2:3], s[34:35], 0xcc
	s_waitcnt lgkmcnt(0)
	v_mul_hi_u32 v1, s5, v4
	v_add_u32_e32 v1, v4, v1
	v_lshrrev_b32_e32 v1, s6, v1
	v_mul_lo_u32 v1, v1, s4
	v_sub_u32_e32 v1, v4, v1
	v_mad_u64_u32 v[9:10], s[4:5], v1, s2, v[9:10]
	v_mad_u64_u32 v[11:12], s[2:3], v1, s3, v[11:12]
.LBB205_72:
	s_and_b64 vcc, exec, s[0:1]
	v_add_u32_e32 v1, 0x200, v19
	s_cbranch_vccnz .LBB205_78
; %bb.73:
	s_cmp_lg_u32 s33, 0
	s_mov_b32 s26, 0
	s_cbranch_scc0 .LBB205_79
; %bb.74:
	s_min_u32 s27, s56, 15
	s_add_i32 s27, s27, 1
	s_cmp_eq_u32 s56, 2
	s_cbranch_scc1 .LBB205_80
; %bb.75:
	s_and_b32 s26, s27, 28
	s_add_u32 s2, s34, 0xc4
	s_addc_u32 s3, s35, 0
	v_mov_b32_e32 v14, 0
	s_mov_b32 s28, 0
	s_mov_b64 s[24:25], s[34:35]
	v_mov_b32_e32 v12, 0
	v_mov_b32_e32 v4, v1
.LBB205_76:                             ; =>This Inner Loop Header: Depth=1
	s_load_dwordx8 s[12:19], s[24:25], 0x4
	s_load_dwordx4 s[20:23], s[24:25], 0x24
	s_load_dwordx8 s[4:11], s[2:3], 0x0
	s_add_u32 s24, s24, 48
	s_addc_u32 s25, s25, 0
	s_waitcnt lgkmcnt(0)
	v_mul_hi_u32 v7, s13, v4
	s_add_i32 s28, s28, 4
	s_add_u32 s2, s2, 32
	s_addc_u32 s3, s3, 0
	v_add_u32_e32 v7, v4, v7
	v_lshrrev_b32_e32 v7, s14, v7
	v_mul_lo_u32 v10, v7, s12
	v_mul_hi_u32 v13, s16, v7
	s_cmp_lg_u32 s26, s28
	v_sub_u32_e32 v4, v4, v10
	v_add_u32_e32 v10, v7, v13
	v_mul_lo_u32 v13, v4, s4
	v_mul_lo_u32 v15, v4, s5
	v_lshrrev_b32_e32 v4, s17, v10
	v_mul_lo_u32 v10, v4, s15
	v_mul_hi_u32 v16, s19, v4
	v_sub_u32_e32 v7, v7, v10
	v_add_u32_e32 v10, v4, v16
	v_lshrrev_b32_e32 v10, s20, v10
	v_mul_hi_u32 v17, s22, v10
	v_mul_lo_u32 v18, v10, s18
	v_mul_lo_u32 v16, v7, s6
	;; [unrolled: 1-line block ×3, first 2 shown]
	v_sub_u32_e32 v18, v4, v18
	v_add_u32_e32 v4, v10, v17
	v_lshrrev_b32_e32 v4, s23, v4
	v_mul_lo_u32 v17, v4, s21
	v_mul_lo_u32 v20, v18, s8
	;; [unrolled: 1-line block ×3, first 2 shown]
	v_add3_u32 v12, v13, v12, v16
	v_sub_u32_e32 v10, v10, v17
	v_mul_lo_u32 v17, v10, s10
	v_mul_lo_u32 v10, v10, s11
	v_add3_u32 v7, v15, v14, v7
	v_add3_u32 v12, v20, v12, v17
	;; [unrolled: 1-line block ×3, first 2 shown]
	s_cbranch_scc1 .LBB205_76
; %bb.77:
	s_and_b32 s6, s27, 3
	s_cmp_eq_u32 s6, 0
	s_cbranch_scc0 .LBB205_81
	s_branch .LBB205_83
.LBB205_78:
                                        ; implicit-def: $vgpr12
                                        ; implicit-def: $vgpr14
	s_branch .LBB205_84
.LBB205_79:
	v_mov_b32_e32 v12, 0
	v_mov_b32_e32 v14, 0
	s_branch .LBB205_83
.LBB205_80:
	v_mov_b32_e32 v12, 0
	v_mov_b32_e32 v14, 0
	;; [unrolled: 1-line block ×3, first 2 shown]
	s_and_b32 s6, s27, 3
	s_cmp_eq_u32 s6, 0
	s_cbranch_scc1 .LBB205_83
.LBB205_81:
	s_lshl_b32 s2, s26, 3
	s_add_u32 s2, s34, s2
	s_addc_u32 s3, s35, 0
	s_add_u32 s2, s2, 0xc4
	s_addc_u32 s3, s3, 0
	s_mul_i32 s4, s26, 12
	s_add_u32 s4, s34, s4
	s_addc_u32 s5, s35, 0
.LBB205_82:                             ; =>This Inner Loop Header: Depth=1
	s_load_dwordx2 s[8:9], s[4:5], 0x4
	s_load_dword s7, s[4:5], 0xc
	s_load_dwordx2 s[10:11], s[2:3], 0x0
	s_add_u32 s4, s4, 12
	s_addc_u32 s5, s5, 0
	s_waitcnt lgkmcnt(0)
	v_mul_hi_u32 v7, s9, v4
	s_add_u32 s2, s2, 8
	s_addc_u32 s3, s3, 0
	s_add_i32 s6, s6, -1
	v_add_u32_e32 v7, v4, v7
	v_lshrrev_b32_e32 v7, s7, v7
	v_mul_lo_u32 v10, v7, s8
	s_cmp_lg_u32 s6, 0
	v_sub_u32_e32 v4, v4, v10
	v_mad_u64_u32 v[12:13], s[8:9], v4, s10, v[12:13]
	v_mad_u64_u32 v[14:15], s[8:9], v4, s11, v[14:15]
	v_mov_b32_e32 v4, v7
	s_cbranch_scc1 .LBB205_82
.LBB205_83:
	s_cbranch_execnz .LBB205_86
.LBB205_84:
	s_load_dwordx4 s[4:7], s[34:35], 0x4
	s_load_dwordx2 s[2:3], s[34:35], 0xc4
	s_cmp_lt_u32 s33, 2
	s_waitcnt lgkmcnt(0)
	v_mul_hi_u32 v4, s5, v1
	v_add_u32_e32 v4, v1, v4
	v_lshrrev_b32_e32 v4, s6, v4
	v_mul_lo_u32 v7, v4, s4
	v_sub_u32_e32 v1, v1, v7
	v_mul_lo_u32 v12, v1, s2
	v_mul_lo_u32 v14, v1, s3
	s_cbranch_scc1 .LBB205_86
; %bb.85:
	s_load_dwordx4 s[4:7], s[34:35], 0x10
	s_load_dwordx2 s[2:3], s[34:35], 0xcc
	s_waitcnt lgkmcnt(0)
	v_mul_hi_u32 v1, s5, v4
	v_add_u32_e32 v1, v4, v1
	v_lshrrev_b32_e32 v1, s6, v1
	v_mul_lo_u32 v1, v1, s4
	v_sub_u32_e32 v1, v4, v1
	v_mad_u64_u32 v[12:13], s[4:5], v1, s2, v[12:13]
	v_mad_u64_u32 v[14:15], s[2:3], v1, s3, v[14:15]
.LBB205_86:
	s_and_b64 vcc, exec, s[0:1]
	v_add_u32_e32 v1, 0x280, v19
	s_cbranch_vccnz .LBB205_92
; %bb.87:
	s_cmp_lg_u32 s33, 0
	s_mov_b32 s26, 0
	s_cbranch_scc0 .LBB205_93
; %bb.88:
	s_min_u32 s27, s56, 15
	s_add_i32 s27, s27, 1
	s_cmp_eq_u32 s56, 2
	s_cbranch_scc1 .LBB205_94
; %bb.89:
	s_and_b32 s26, s27, 28
	s_add_u32 s2, s34, 0xc4
	s_addc_u32 s3, s35, 0
	v_mov_b32_e32 v17, 0
	s_mov_b32 s28, 0
	s_mov_b64 s[24:25], s[34:35]
	v_mov_b32_e32 v15, 0
	v_mov_b32_e32 v4, v1
.LBB205_90:                             ; =>This Inner Loop Header: Depth=1
	s_load_dwordx8 s[12:19], s[24:25], 0x4
	s_load_dwordx4 s[20:23], s[24:25], 0x24
	s_load_dwordx8 s[4:11], s[2:3], 0x0
	s_add_u32 s24, s24, 48
	s_addc_u32 s25, s25, 0
	s_waitcnt lgkmcnt(0)
	v_mul_hi_u32 v7, s13, v4
	s_add_i32 s28, s28, 4
	s_add_u32 s2, s2, 32
	s_addc_u32 s3, s3, 0
	v_add_u32_e32 v7, v4, v7
	v_lshrrev_b32_e32 v7, s14, v7
	v_mul_lo_u32 v10, v7, s12
	v_mul_hi_u32 v13, s16, v7
	s_cmp_lg_u32 s26, s28
	v_sub_u32_e32 v4, v4, v10
	v_add_u32_e32 v10, v7, v13
	v_mul_lo_u32 v13, v4, s4
	v_mul_lo_u32 v16, v4, s5
	v_lshrrev_b32_e32 v4, s17, v10
	v_mul_lo_u32 v10, v4, s15
	v_mul_hi_u32 v18, s19, v4
	v_sub_u32_e32 v7, v7, v10
	v_add_u32_e32 v10, v4, v18
	v_lshrrev_b32_e32 v10, s20, v10
	v_mul_hi_u32 v20, s22, v10
	v_mul_lo_u32 v21, v10, s18
	v_mul_lo_u32 v18, v7, s6
	;; [unrolled: 1-line block ×3, first 2 shown]
	v_sub_u32_e32 v21, v4, v21
	v_add_u32_e32 v4, v10, v20
	v_lshrrev_b32_e32 v4, s23, v4
	v_mul_lo_u32 v20, v4, s21
	v_mul_lo_u32 v22, v21, s8
	;; [unrolled: 1-line block ×3, first 2 shown]
	v_add3_u32 v13, v13, v15, v18
	v_sub_u32_e32 v10, v10, v20
	v_mul_lo_u32 v20, v10, s10
	v_mul_lo_u32 v10, v10, s11
	v_add3_u32 v7, v16, v17, v7
	v_add3_u32 v15, v22, v13, v20
	;; [unrolled: 1-line block ×3, first 2 shown]
	s_cbranch_scc1 .LBB205_90
; %bb.91:
	s_and_b32 s6, s27, 3
	s_cmp_eq_u32 s6, 0
	s_cbranch_scc0 .LBB205_95
	s_branch .LBB205_97
.LBB205_92:
                                        ; implicit-def: $vgpr15
                                        ; implicit-def: $vgpr17
	s_branch .LBB205_98
.LBB205_93:
	v_mov_b32_e32 v15, 0
	v_mov_b32_e32 v17, 0
	s_branch .LBB205_97
.LBB205_94:
	v_mov_b32_e32 v15, 0
	v_mov_b32_e32 v17, 0
	;; [unrolled: 1-line block ×3, first 2 shown]
	s_and_b32 s6, s27, 3
	s_cmp_eq_u32 s6, 0
	s_cbranch_scc1 .LBB205_97
.LBB205_95:
	s_lshl_b32 s2, s26, 3
	s_add_u32 s2, s34, s2
	s_addc_u32 s3, s35, 0
	s_add_u32 s2, s2, 0xc4
	s_addc_u32 s3, s3, 0
	s_mul_i32 s4, s26, 12
	s_add_u32 s4, s34, s4
	s_addc_u32 s5, s35, 0
.LBB205_96:                             ; =>This Inner Loop Header: Depth=1
	s_load_dwordx2 s[8:9], s[4:5], 0x4
	s_load_dword s7, s[4:5], 0xc
	s_load_dwordx2 s[10:11], s[2:3], 0x0
	s_add_u32 s4, s4, 12
	s_addc_u32 s5, s5, 0
	s_waitcnt lgkmcnt(0)
	v_mul_hi_u32 v7, s9, v4
	s_add_u32 s2, s2, 8
	s_addc_u32 s3, s3, 0
	s_add_i32 s6, s6, -1
	v_add_u32_e32 v7, v4, v7
	v_lshrrev_b32_e32 v7, s7, v7
	v_mul_lo_u32 v10, v7, s8
	s_cmp_lg_u32 s6, 0
	v_sub_u32_e32 v4, v4, v10
	v_mad_u64_u32 v[15:16], s[8:9], v4, s10, v[15:16]
	v_mad_u64_u32 v[17:18], s[8:9], v4, s11, v[17:18]
	v_mov_b32_e32 v4, v7
	s_cbranch_scc1 .LBB205_96
.LBB205_97:
	s_cbranch_execnz .LBB205_100
.LBB205_98:
	s_load_dwordx4 s[4:7], s[34:35], 0x4
	s_load_dwordx2 s[2:3], s[34:35], 0xc4
	s_cmp_lt_u32 s33, 2
	s_waitcnt lgkmcnt(0)
	v_mul_hi_u32 v4, s5, v1
	v_add_u32_e32 v4, v1, v4
	v_lshrrev_b32_e32 v4, s6, v4
	v_mul_lo_u32 v7, v4, s4
	v_sub_u32_e32 v1, v1, v7
	v_mul_lo_u32 v15, v1, s2
	v_mul_lo_u32 v17, v1, s3
	s_cbranch_scc1 .LBB205_100
; %bb.99:
	s_load_dwordx4 s[4:7], s[34:35], 0x10
	s_load_dwordx2 s[2:3], s[34:35], 0xcc
	s_waitcnt lgkmcnt(0)
	v_mul_hi_u32 v1, s5, v4
	v_add_u32_e32 v1, v4, v1
	v_lshrrev_b32_e32 v1, s6, v1
	v_mul_lo_u32 v1, v1, s4
	v_sub_u32_e32 v1, v4, v1
	v_mad_u64_u32 v[15:16], s[4:5], v1, s2, v[15:16]
	v_mad_u64_u32 v[17:18], s[2:3], v1, s3, v[17:18]
.LBB205_100:
	s_and_b64 vcc, exec, s[0:1]
	v_add_u32_e32 v1, 0x300, v19
	s_cbranch_vccnz .LBB205_106
; %bb.101:
	s_cmp_lg_u32 s33, 0
	s_mov_b32 s26, 0
	s_cbranch_scc0 .LBB205_107
; %bb.102:
	s_min_u32 s27, s56, 15
	s_add_i32 s27, s27, 1
	s_cmp_eq_u32 s56, 2
	s_cbranch_scc1 .LBB205_108
; %bb.103:
	s_and_b32 s26, s27, 28
	s_add_u32 s2, s34, 0xc4
	s_addc_u32 s3, s35, 0
	v_mov_b32_e32 v20, 0
	s_mov_b32 s28, 0
	s_mov_b64 s[24:25], s[34:35]
	v_mov_b32_e32 v18, 0
	v_mov_b32_e32 v4, v1
.LBB205_104:                            ; =>This Inner Loop Header: Depth=1
	s_load_dwordx8 s[12:19], s[24:25], 0x4
	s_load_dwordx4 s[20:23], s[24:25], 0x24
	s_load_dwordx8 s[4:11], s[2:3], 0x0
	s_add_u32 s24, s24, 48
	s_addc_u32 s25, s25, 0
	s_waitcnt lgkmcnt(0)
	v_mul_hi_u32 v7, s13, v4
	s_add_i32 s28, s28, 4
	s_add_u32 s2, s2, 32
	s_addc_u32 s3, s3, 0
	v_add_u32_e32 v7, v4, v7
	v_lshrrev_b32_e32 v7, s14, v7
	v_mul_lo_u32 v10, v7, s12
	v_mul_hi_u32 v13, s16, v7
	s_cmp_lg_u32 s26, s28
	v_sub_u32_e32 v4, v4, v10
	v_add_u32_e32 v10, v7, v13
	v_mul_lo_u32 v13, v4, s4
	v_mul_lo_u32 v16, v4, s5
	v_lshrrev_b32_e32 v4, s17, v10
	v_mul_lo_u32 v10, v4, s15
	v_mul_hi_u32 v19, s19, v4
	v_sub_u32_e32 v7, v7, v10
	v_add_u32_e32 v10, v4, v19
	v_lshrrev_b32_e32 v10, s20, v10
	v_mul_hi_u32 v21, s22, v10
	v_mul_lo_u32 v22, v10, s18
	v_mul_lo_u32 v19, v7, s6
	;; [unrolled: 1-line block ×3, first 2 shown]
	v_sub_u32_e32 v22, v4, v22
	v_add_u32_e32 v4, v10, v21
	v_lshrrev_b32_e32 v4, s23, v4
	v_mul_lo_u32 v21, v4, s21
	v_mul_lo_u32 v23, v22, s8
	;; [unrolled: 1-line block ×3, first 2 shown]
	v_add3_u32 v13, v13, v18, v19
	v_sub_u32_e32 v10, v10, v21
	v_mul_lo_u32 v21, v10, s10
	v_mul_lo_u32 v10, v10, s11
	v_add3_u32 v7, v16, v20, v7
	v_add3_u32 v18, v23, v13, v21
	;; [unrolled: 1-line block ×3, first 2 shown]
	s_cbranch_scc1 .LBB205_104
; %bb.105:
	s_and_b32 s6, s27, 3
	s_cmp_eq_u32 s6, 0
	s_cbranch_scc0 .LBB205_109
	s_branch .LBB205_111
.LBB205_106:
                                        ; implicit-def: $vgpr18
                                        ; implicit-def: $vgpr20
	s_branch .LBB205_112
.LBB205_107:
	v_mov_b32_e32 v18, 0
	v_mov_b32_e32 v20, 0
	s_branch .LBB205_111
.LBB205_108:
	v_mov_b32_e32 v18, 0
	v_mov_b32_e32 v20, 0
	;; [unrolled: 1-line block ×3, first 2 shown]
	s_and_b32 s6, s27, 3
	s_cmp_eq_u32 s6, 0
	s_cbranch_scc1 .LBB205_111
.LBB205_109:
	s_lshl_b32 s2, s26, 3
	s_add_u32 s2, s34, s2
	s_addc_u32 s3, s35, 0
	s_add_u32 s2, s2, 0xc4
	s_addc_u32 s3, s3, 0
	s_mul_i32 s4, s26, 12
	s_add_u32 s4, s34, s4
	s_addc_u32 s5, s35, 0
.LBB205_110:                            ; =>This Inner Loop Header: Depth=1
	s_load_dwordx2 s[8:9], s[4:5], 0x4
	s_load_dword s7, s[4:5], 0xc
	s_load_dwordx2 s[10:11], s[2:3], 0x0
	s_add_u32 s4, s4, 12
	s_addc_u32 s5, s5, 0
	s_waitcnt lgkmcnt(0)
	v_mul_hi_u32 v7, s9, v4
	s_add_u32 s2, s2, 8
	s_addc_u32 s3, s3, 0
	s_add_i32 s6, s6, -1
	v_add_u32_e32 v7, v4, v7
	v_lshrrev_b32_e32 v7, s7, v7
	v_mul_lo_u32 v10, v7, s8
	s_cmp_lg_u32 s6, 0
	v_sub_u32_e32 v4, v4, v10
	v_mad_u64_u32 v[18:19], s[8:9], v4, s10, v[18:19]
	v_mad_u64_u32 v[20:21], s[8:9], v4, s11, v[20:21]
	v_mov_b32_e32 v4, v7
	s_cbranch_scc1 .LBB205_110
.LBB205_111:
	s_cbranch_execnz .LBB205_114
.LBB205_112:
	s_load_dwordx4 s[4:7], s[34:35], 0x4
	s_load_dwordx2 s[2:3], s[34:35], 0xc4
	s_cmp_lt_u32 s33, 2
	s_waitcnt lgkmcnt(0)
	v_mul_hi_u32 v4, s5, v1
	v_add_u32_e32 v4, v1, v4
	v_lshrrev_b32_e32 v4, s6, v4
	v_mul_lo_u32 v7, v4, s4
	v_sub_u32_e32 v1, v1, v7
	v_mul_lo_u32 v18, v1, s2
	v_mul_lo_u32 v20, v1, s3
	s_cbranch_scc1 .LBB205_114
; %bb.113:
	s_load_dwordx4 s[4:7], s[34:35], 0x10
	s_load_dwordx2 s[2:3], s[34:35], 0xcc
	s_waitcnt lgkmcnt(0)
	v_mul_hi_u32 v1, s5, v4
	v_add_u32_e32 v1, v4, v1
	v_lshrrev_b32_e32 v1, s6, v1
	v_mul_lo_u32 v1, v1, s4
	v_sub_u32_e32 v1, v4, v1
	v_mad_u64_u32 v[18:19], s[4:5], v1, s2, v[18:19]
	v_mad_u64_u32 v[20:21], s[2:3], v1, s3, v[20:21]
.LBB205_114:
	s_and_b64 vcc, exec, s[0:1]
	s_cbranch_vccnz .LBB205_120
; %bb.115:
	s_cmp_lg_u32 s33, 0
	s_mov_b32 s24, 0
	s_cbranch_scc0 .LBB205_121
; %bb.116:
	s_min_u32 s25, s56, 15
	s_add_i32 s25, s25, 1
	s_cmp_eq_u32 s56, 2
	s_cbranch_scc1 .LBB205_122
; %bb.117:
	s_and_b32 s24, s25, 28
	s_add_u32 s20, s34, 0xc4
	s_addc_u32 s21, s35, 0
	v_mov_b32_e32 v23, 0
	s_mov_b32 s26, 0
	s_mov_b64 s[22:23], s[34:35]
	v_mov_b32_e32 v21, 0
	v_mov_b32_e32 v1, v25
.LBB205_118:                            ; =>This Inner Loop Header: Depth=1
	s_load_dwordx8 s[8:15], s[22:23], 0x4
	s_load_dwordx4 s[16:19], s[22:23], 0x24
	s_load_dwordx8 s[0:7], s[20:21], 0x0
	s_add_u32 s22, s22, 48
	s_addc_u32 s23, s23, 0
	s_waitcnt lgkmcnt(0)
	v_mul_hi_u32 v4, s9, v1
	s_add_i32 s26, s26, 4
	s_add_u32 s20, s20, 32
	s_addc_u32 s21, s21, 0
	v_add_u32_e32 v4, v1, v4
	v_lshrrev_b32_e32 v4, s10, v4
	v_mul_lo_u32 v7, v4, s8
	v_mul_hi_u32 v10, s12, v4
	s_cmp_lg_u32 s24, s26
	v_sub_u32_e32 v1, v1, v7
	v_add_u32_e32 v7, v4, v10
	v_mul_lo_u32 v10, v1, s0
	v_mul_lo_u32 v13, v1, s1
	v_lshrrev_b32_e32 v1, s13, v7
	v_mul_lo_u32 v7, v1, s11
	v_mul_hi_u32 v16, s15, v1
	v_sub_u32_e32 v4, v4, v7
	v_add_u32_e32 v7, v1, v16
	v_lshrrev_b32_e32 v7, s16, v7
	v_mul_hi_u32 v19, s18, v7
	v_mul_lo_u32 v22, v7, s14
	v_mul_lo_u32 v16, v4, s2
	;; [unrolled: 1-line block ×3, first 2 shown]
	v_sub_u32_e32 v22, v1, v22
	v_add_u32_e32 v1, v7, v19
	v_lshrrev_b32_e32 v1, s19, v1
	v_mul_lo_u32 v19, v1, s17
	v_mul_lo_u32 v24, v22, s4
	;; [unrolled: 1-line block ×3, first 2 shown]
	v_add3_u32 v10, v10, v21, v16
	v_sub_u32_e32 v7, v7, v19
	v_mul_lo_u32 v19, v7, s6
	v_mul_lo_u32 v7, v7, s7
	v_add3_u32 v4, v13, v23, v4
	v_add3_u32 v21, v24, v10, v19
	;; [unrolled: 1-line block ×3, first 2 shown]
	s_cbranch_scc1 .LBB205_118
; %bb.119:
	s_and_b32 s4, s25, 3
	s_cmp_eq_u32 s4, 0
	s_cbranch_scc0 .LBB205_123
	s_branch .LBB205_125
.LBB205_120:
                                        ; implicit-def: $vgpr21
                                        ; implicit-def: $vgpr23
	s_branch .LBB205_126
.LBB205_121:
	v_mov_b32_e32 v21, 0
	v_mov_b32_e32 v23, 0
	s_branch .LBB205_125
.LBB205_122:
	v_mov_b32_e32 v21, 0
	v_mov_b32_e32 v23, 0
	;; [unrolled: 1-line block ×3, first 2 shown]
	s_and_b32 s4, s25, 3
	s_cmp_eq_u32 s4, 0
	s_cbranch_scc1 .LBB205_125
.LBB205_123:
	s_lshl_b32 s0, s24, 3
	s_add_u32 s0, s34, s0
	s_addc_u32 s1, s35, 0
	s_add_u32 s0, s0, 0xc4
	s_addc_u32 s1, s1, 0
	s_mul_i32 s2, s24, 12
	s_add_u32 s2, s34, s2
	s_addc_u32 s3, s35, 0
.LBB205_124:                            ; =>This Inner Loop Header: Depth=1
	s_load_dwordx2 s[6:7], s[2:3], 0x4
	s_load_dword s5, s[2:3], 0xc
	s_load_dwordx2 s[8:9], s[0:1], 0x0
	s_add_u32 s2, s2, 12
	s_addc_u32 s3, s3, 0
	s_waitcnt lgkmcnt(0)
	v_mul_hi_u32 v4, s7, v1
	s_add_u32 s0, s0, 8
	s_addc_u32 s1, s1, 0
	s_add_i32 s4, s4, -1
	v_add_u32_e32 v4, v1, v4
	v_lshrrev_b32_e32 v4, s5, v4
	v_mul_lo_u32 v7, v4, s6
	s_cmp_lg_u32 s4, 0
	v_sub_u32_e32 v1, v1, v7
	v_mad_u64_u32 v[21:22], s[6:7], v1, s8, v[21:22]
	v_mad_u64_u32 v[23:24], s[6:7], v1, s9, v[23:24]
	v_mov_b32_e32 v1, v4
	s_cbranch_scc1 .LBB205_124
.LBB205_125:
	s_cbranch_execnz .LBB205_128
.LBB205_126:
	s_load_dwordx4 s[0:3], s[34:35], 0x4
	s_load_dwordx2 s[4:5], s[34:35], 0xc4
	s_cmp_lt_u32 s33, 2
	s_waitcnt lgkmcnt(0)
	v_mul_hi_u32 v1, s1, v25
	v_add_u32_e32 v1, v25, v1
	v_lshrrev_b32_e32 v1, s2, v1
	v_mul_lo_u32 v4, v1, s0
	v_sub_u32_e32 v4, v25, v4
	v_mul_lo_u32 v21, v4, s4
	v_mul_lo_u32 v23, v4, s5
	s_cbranch_scc1 .LBB205_128
; %bb.127:
	s_load_dwordx4 s[0:3], s[34:35], 0x10
	s_load_dwordx2 s[4:5], s[34:35], 0xcc
	s_waitcnt lgkmcnt(0)
	v_mul_hi_u32 v4, s1, v1
	v_add_u32_e32 v4, v1, v4
	v_lshrrev_b32_e32 v4, s2, v4
	v_mul_lo_u32 v4, v4, s0
	v_sub_u32_e32 v1, v1, v4
	v_mad_u64_u32 v[21:22], s[0:1], v1, s4, v[21:22]
	v_mad_u64_u32 v[23:24], s[0:1], v1, s5, v[23:24]
.LBB205_128:
	s_load_dwordx4 s[4:7], s[34:35], 0x148
	s_load_dwordx2 s[0:1], s[34:35], 0x158
	s_waitcnt lgkmcnt(0)
	global_load_ushort v1, v2, s[6:7]
	global_load_ushort v4, v5, s[6:7]
	;; [unrolled: 1-line block ×8, first 2 shown]
	s_cmp_eq_u32 s0, 0
	s_cselect_b64 vcc, -1, 0
	s_lshl_b32 s6, s1, 16
	s_waitcnt vmcnt(7)
	v_lshlrev_b32_e32 v1, 16, v1
	v_cmp_neq_f32_e64 s[0:1], s6, v1
	v_cmp_eq_f32_e64 s[2:3], s6, v1
	v_cndmask_b32_e64 v1, 0, 1, s[2:3]
	v_cndmask_b32_e64 v2, 0, 1, s[0:1]
	v_cndmask_b32_e32 v1, v2, v1, vcc
	s_waitcnt vmcnt(6)
	v_lshlrev_b32_e32 v2, 16, v4
	v_cmp_neq_f32_e64 s[0:1], s6, v2
	v_cmp_eq_f32_e64 s[2:3], s6, v2
	v_cndmask_b32_e64 v2, 0, 1, s[2:3]
	v_cndmask_b32_e64 v4, 0, 1, s[0:1]
	v_cndmask_b32_e32 v2, v4, v2, vcc
	;; [unrolled: 7-line block ×8, first 2 shown]
	v_and_b32_e32 v1, 1, v1
	v_and_b32_e32 v2, 1, v2
	;; [unrolled: 1-line block ×8, first 2 shown]
	global_store_byte v0, v1, s[4:5]
	global_store_byte v3, v2, s[4:5]
	;; [unrolled: 1-line block ×8, first 2 shown]
	s_endpgm
.LBB205_129:
	v_mov_b32_e32 v0, 0
	v_mov_b32_e32 v2, 0
	s_branch .LBB205_135
.LBB205_130:
	v_mov_b32_e32 v0, 0
	v_mov_b32_e32 v2, 0
	s_branch .LBB205_151
.LBB205_131:
	s_mov_b32 s60, 0
	v_mov_b32_e32 v0, 0
	v_mov_b32_e32 v2, 0
	v_mov_b32_e32 v1, v19
.LBB205_132:
	s_and_b32 s8, s61, 3
	s_cmp_eq_u32 s8, 0
	s_cbranch_scc1 .LBB205_135
; %bb.133:
	s_lshl_b32 s4, s60, 3
	s_add_u32 s4, s34, s4
	s_addc_u32 s5, s35, 0
	s_add_u32 s4, s4, 0xc4
	s_addc_u32 s5, s5, 0
	s_mul_i32 s6, s60, 12
	s_add_u32 s6, s34, s6
	s_addc_u32 s7, s35, 0
.LBB205_134:                            ; =>This Inner Loop Header: Depth=1
	s_load_dwordx2 s[10:11], s[6:7], 0x4
	s_load_dword s9, s[6:7], 0xc
	s_load_dwordx2 s[12:13], s[4:5], 0x0
	s_add_u32 s6, s6, 12
	s_addc_u32 s7, s7, 0
	s_waitcnt lgkmcnt(0)
	v_mul_hi_u32 v3, s11, v1
	s_add_u32 s4, s4, 8
	s_addc_u32 s5, s5, 0
	s_add_i32 s8, s8, -1
	v_add_u32_e32 v3, v1, v3
	v_lshrrev_b32_e32 v4, s9, v3
	v_mul_lo_u32 v3, v4, s10
	s_cmp_lg_u32 s8, 0
	v_sub_u32_e32 v3, v1, v3
	v_mad_u64_u32 v[0:1], s[10:11], v3, s12, v[0:1]
	v_mad_u64_u32 v[2:3], s[10:11], v3, s13, v[2:3]
	v_mov_b32_e32 v1, v4
	s_cbranch_scc1 .LBB205_134
.LBB205_135:
	s_cbranch_execnz .LBB205_138
.LBB205_136:
	v_mul_hi_u32 v0, s25, v19
	s_andn2_b64 vcc, exec, s[44:45]
	v_add_u32_e32 v0, v19, v0
	v_lshrrev_b32_e32 v1, s26, v0
	v_mul_lo_u32 v0, v1, s24
	v_sub_u32_e32 v2, v19, v0
	v_mul_lo_u32 v0, v2, s28
	v_mul_lo_u32 v2, v2, s29
	s_cbranch_vccnz .LBB205_138
; %bb.137:
	v_mul_hi_u32 v3, s42, v1
	v_add_u32_e32 v3, v1, v3
	v_lshrrev_b32_e32 v3, s43, v3
	v_mul_lo_u32 v3, v3, s27
	v_sub_u32_e32 v3, v1, v3
	v_mad_u64_u32 v[0:1], s[4:5], v3, s30, v[0:1]
	v_mad_u64_u32 v[2:3], s[4:5], v3, s31, v[2:3]
.LBB205_138:
	global_load_ushort v1, v2, s[22:23]
	v_add_u32_e32 v19, 0x80, v19
	s_waitcnt vmcnt(0)
	v_lshlrev_b32_e32 v1, 16, v1
	v_cmp_eq_f32_e32 vcc, s57, v1
	v_cndmask_b32_e64 v2, 0, 1, vcc
	v_cmp_neq_f32_e32 vcc, s57, v1
	v_cndmask_b32_e64 v1, 0, 1, vcc
	v_cndmask_b32_e64 v1, v1, v2, s[0:1]
	v_and_b32_e32 v1, 1, v1
	global_store_byte v0, v1, s[20:21]
	s_or_b64 exec, exec, s[50:51]
	v_cmp_gt_i32_e32 vcc, s58, v19
	s_and_saveexec_b64 s[50:51], vcc
	s_cbranch_execnz .LBB205_15
.LBB205_139:
	s_or_b64 exec, exec, s[50:51]
	v_cmp_gt_i32_e32 vcc, s58, v19
	s_and_saveexec_b64 s[50:51], vcc
	s_cbranch_execz .LBB205_155
.LBB205_140:
	s_andn2_b64 vcc, exec, s[2:3]
	s_cbranch_vccnz .LBB205_145
; %bb.141:
	s_andn2_b64 vcc, exec, s[48:49]
	s_cbranch_vccnz .LBB205_146
; %bb.142:
	s_add_i32 s61, s59, 1
	s_cmp_eq_u32 s56, 2
	s_cbranch_scc1 .LBB205_163
; %bb.143:
	s_and_b32 s60, s61, 28
	v_mov_b32_e32 v2, 0
	s_mov_b32 s62, 0
	s_mov_b64 s[52:53], s[34:35]
	s_mov_b64 s[54:55], s[46:47]
	v_mov_b32_e32 v0, 0
	v_mov_b32_e32 v1, v19
.LBB205_144:                            ; =>This Inner Loop Header: Depth=1
	s_load_dwordx8 s[12:19], s[52:53], 0x4
	s_load_dwordx4 s[36:39], s[52:53], 0x24
	s_load_dwordx8 s[4:11], s[54:55], 0x0
	s_add_u32 s52, s52, 48
	s_addc_u32 s53, s53, 0
	s_waitcnt lgkmcnt(0)
	v_mul_hi_u32 v3, s13, v1
	s_add_i32 s62, s62, 4
	s_add_u32 s54, s54, 32
	s_addc_u32 s55, s55, 0
	v_add_u32_e32 v3, v1, v3
	v_lshrrev_b32_e32 v3, s14, v3
	v_mul_lo_u32 v4, v3, s12
	v_mul_hi_u32 v5, s16, v3
	s_cmp_eq_u32 s60, s62
	v_sub_u32_e32 v1, v1, v4
	v_add_u32_e32 v4, v3, v5
	v_mul_lo_u32 v5, v1, s4
	v_mul_lo_u32 v6, v1, s5
	v_lshrrev_b32_e32 v1, s17, v4
	v_mul_lo_u32 v4, v1, s15
	v_mul_hi_u32 v7, s19, v1
	v_sub_u32_e32 v3, v3, v4
	v_add_u32_e32 v4, v1, v7
	v_lshrrev_b32_e32 v4, s36, v4
	v_mul_hi_u32 v8, s38, v4
	v_mul_lo_u32 v9, v4, s18
	v_mul_lo_u32 v7, v3, s6
	;; [unrolled: 1-line block ×3, first 2 shown]
	v_sub_u32_e32 v9, v1, v9
	v_add_u32_e32 v1, v4, v8
	v_lshrrev_b32_e32 v1, s39, v1
	v_mul_lo_u32 v8, v1, s37
	v_mul_lo_u32 v10, v9, s8
	v_mul_lo_u32 v9, v9, s9
	v_add3_u32 v0, v5, v0, v7
	v_sub_u32_e32 v4, v4, v8
	v_mul_lo_u32 v8, v4, s10
	v_mul_lo_u32 v4, v4, s11
	v_add3_u32 v2, v6, v2, v3
	v_add3_u32 v0, v10, v0, v8
	;; [unrolled: 1-line block ×3, first 2 shown]
	s_cbranch_scc0 .LBB205_144
	s_branch .LBB205_164
.LBB205_145:
                                        ; implicit-def: $vgpr0
                                        ; implicit-def: $vgpr2
	s_branch .LBB205_168
.LBB205_146:
	v_mov_b32_e32 v0, 0
	v_mov_b32_e32 v2, 0
	s_branch .LBB205_167
.LBB205_147:
	s_mov_b32 s60, 0
	v_mov_b32_e32 v0, 0
	v_mov_b32_e32 v2, 0
	;; [unrolled: 1-line block ×3, first 2 shown]
.LBB205_148:
	s_and_b32 s8, s61, 3
	s_cmp_eq_u32 s8, 0
	s_cbranch_scc1 .LBB205_151
; %bb.149:
	s_lshl_b32 s4, s60, 3
	s_add_u32 s4, s34, s4
	s_addc_u32 s5, s35, 0
	s_add_u32 s4, s4, 0xc4
	s_addc_u32 s5, s5, 0
	s_mul_i32 s6, s60, 12
	s_add_u32 s6, s34, s6
	s_addc_u32 s7, s35, 0
.LBB205_150:                            ; =>This Inner Loop Header: Depth=1
	s_load_dwordx2 s[10:11], s[6:7], 0x4
	s_load_dword s9, s[6:7], 0xc
	s_load_dwordx2 s[12:13], s[4:5], 0x0
	s_add_u32 s6, s6, 12
	s_addc_u32 s7, s7, 0
	s_waitcnt lgkmcnt(0)
	v_mul_hi_u32 v3, s11, v1
	s_add_u32 s4, s4, 8
	s_addc_u32 s5, s5, 0
	s_add_i32 s8, s8, -1
	v_add_u32_e32 v3, v1, v3
	v_lshrrev_b32_e32 v4, s9, v3
	v_mul_lo_u32 v3, v4, s10
	s_cmp_lg_u32 s8, 0
	v_sub_u32_e32 v3, v1, v3
	v_mad_u64_u32 v[0:1], s[10:11], v3, s12, v[0:1]
	v_mad_u64_u32 v[2:3], s[10:11], v3, s13, v[2:3]
	v_mov_b32_e32 v1, v4
	s_cbranch_scc1 .LBB205_150
.LBB205_151:
	s_cbranch_execnz .LBB205_154
.LBB205_152:
	v_mul_hi_u32 v0, s25, v19
	s_andn2_b64 vcc, exec, s[44:45]
	v_add_u32_e32 v0, v19, v0
	v_lshrrev_b32_e32 v1, s26, v0
	v_mul_lo_u32 v0, v1, s24
	v_sub_u32_e32 v2, v19, v0
	v_mul_lo_u32 v0, v2, s28
	v_mul_lo_u32 v2, v2, s29
	s_cbranch_vccnz .LBB205_154
; %bb.153:
	v_mul_hi_u32 v3, s42, v1
	v_add_u32_e32 v3, v1, v3
	v_lshrrev_b32_e32 v3, s43, v3
	v_mul_lo_u32 v3, v3, s27
	v_sub_u32_e32 v3, v1, v3
	v_mad_u64_u32 v[0:1], s[4:5], v3, s30, v[0:1]
	v_mad_u64_u32 v[2:3], s[4:5], v3, s31, v[2:3]
.LBB205_154:
	global_load_ushort v1, v2, s[22:23]
	v_add_u32_e32 v19, 0x80, v19
	s_waitcnt vmcnt(0)
	v_lshlrev_b32_e32 v1, 16, v1
	v_cmp_eq_f32_e32 vcc, s57, v1
	v_cndmask_b32_e64 v2, 0, 1, vcc
	v_cmp_neq_f32_e32 vcc, s57, v1
	v_cndmask_b32_e64 v1, 0, 1, vcc
	v_cndmask_b32_e64 v1, v1, v2, s[0:1]
	v_and_b32_e32 v1, 1, v1
	global_store_byte v0, v1, s[20:21]
	s_or_b64 exec, exec, s[50:51]
	v_cmp_gt_i32_e32 vcc, s58, v19
	s_and_saveexec_b64 s[50:51], vcc
	s_cbranch_execnz .LBB205_140
.LBB205_155:
	s_or_b64 exec, exec, s[50:51]
	v_cmp_gt_i32_e32 vcc, s58, v19
	s_and_saveexec_b64 s[50:51], vcc
	s_cbranch_execz .LBB205_171
.LBB205_156:
	s_andn2_b64 vcc, exec, s[2:3]
	s_cbranch_vccnz .LBB205_161
; %bb.157:
	s_andn2_b64 vcc, exec, s[48:49]
	s_cbranch_vccnz .LBB205_162
; %bb.158:
	s_add_i32 s61, s59, 1
	s_cmp_eq_u32 s56, 2
	s_cbranch_scc1 .LBB205_179
; %bb.159:
	s_and_b32 s60, s61, 28
	v_mov_b32_e32 v2, 0
	s_mov_b32 s62, 0
	s_mov_b64 s[52:53], s[34:35]
	s_mov_b64 s[54:55], s[46:47]
	v_mov_b32_e32 v0, 0
	v_mov_b32_e32 v1, v19
.LBB205_160:                            ; =>This Inner Loop Header: Depth=1
	s_load_dwordx8 s[12:19], s[52:53], 0x4
	s_load_dwordx4 s[36:39], s[52:53], 0x24
	s_load_dwordx8 s[4:11], s[54:55], 0x0
	s_add_u32 s52, s52, 48
	s_addc_u32 s53, s53, 0
	s_waitcnt lgkmcnt(0)
	v_mul_hi_u32 v3, s13, v1
	s_add_i32 s62, s62, 4
	s_add_u32 s54, s54, 32
	s_addc_u32 s55, s55, 0
	v_add_u32_e32 v3, v1, v3
	v_lshrrev_b32_e32 v3, s14, v3
	v_mul_lo_u32 v4, v3, s12
	v_mul_hi_u32 v5, s16, v3
	s_cmp_eq_u32 s60, s62
	v_sub_u32_e32 v1, v1, v4
	v_add_u32_e32 v4, v3, v5
	v_mul_lo_u32 v5, v1, s4
	v_mul_lo_u32 v6, v1, s5
	v_lshrrev_b32_e32 v1, s17, v4
	v_mul_lo_u32 v4, v1, s15
	v_mul_hi_u32 v7, s19, v1
	v_sub_u32_e32 v3, v3, v4
	v_add_u32_e32 v4, v1, v7
	v_lshrrev_b32_e32 v4, s36, v4
	v_mul_hi_u32 v8, s38, v4
	v_mul_lo_u32 v9, v4, s18
	v_mul_lo_u32 v7, v3, s6
	;; [unrolled: 1-line block ×3, first 2 shown]
	v_sub_u32_e32 v9, v1, v9
	v_add_u32_e32 v1, v4, v8
	v_lshrrev_b32_e32 v1, s39, v1
	v_mul_lo_u32 v8, v1, s37
	v_mul_lo_u32 v10, v9, s8
	;; [unrolled: 1-line block ×3, first 2 shown]
	v_add3_u32 v0, v5, v0, v7
	v_sub_u32_e32 v4, v4, v8
	v_mul_lo_u32 v8, v4, s10
	v_mul_lo_u32 v4, v4, s11
	v_add3_u32 v2, v6, v2, v3
	v_add3_u32 v0, v10, v0, v8
	;; [unrolled: 1-line block ×3, first 2 shown]
	s_cbranch_scc0 .LBB205_160
	s_branch .LBB205_180
.LBB205_161:
                                        ; implicit-def: $vgpr0
                                        ; implicit-def: $vgpr2
	s_branch .LBB205_184
.LBB205_162:
	v_mov_b32_e32 v0, 0
	v_mov_b32_e32 v2, 0
	s_branch .LBB205_183
.LBB205_163:
	s_mov_b32 s60, 0
	v_mov_b32_e32 v0, 0
	v_mov_b32_e32 v2, 0
	;; [unrolled: 1-line block ×3, first 2 shown]
.LBB205_164:
	s_and_b32 s8, s61, 3
	s_cmp_eq_u32 s8, 0
	s_cbranch_scc1 .LBB205_167
; %bb.165:
	s_lshl_b32 s4, s60, 3
	s_add_u32 s4, s34, s4
	s_addc_u32 s5, s35, 0
	s_add_u32 s4, s4, 0xc4
	s_addc_u32 s5, s5, 0
	s_mul_i32 s6, s60, 12
	s_add_u32 s6, s34, s6
	s_addc_u32 s7, s35, 0
.LBB205_166:                            ; =>This Inner Loop Header: Depth=1
	s_load_dwordx2 s[10:11], s[6:7], 0x4
	s_load_dword s9, s[6:7], 0xc
	s_load_dwordx2 s[12:13], s[4:5], 0x0
	s_add_u32 s6, s6, 12
	s_addc_u32 s7, s7, 0
	s_waitcnt lgkmcnt(0)
	v_mul_hi_u32 v3, s11, v1
	s_add_u32 s4, s4, 8
	s_addc_u32 s5, s5, 0
	s_add_i32 s8, s8, -1
	v_add_u32_e32 v3, v1, v3
	v_lshrrev_b32_e32 v4, s9, v3
	v_mul_lo_u32 v3, v4, s10
	s_cmp_lg_u32 s8, 0
	v_sub_u32_e32 v3, v1, v3
	v_mad_u64_u32 v[0:1], s[10:11], v3, s12, v[0:1]
	v_mad_u64_u32 v[2:3], s[10:11], v3, s13, v[2:3]
	v_mov_b32_e32 v1, v4
	s_cbranch_scc1 .LBB205_166
.LBB205_167:
	s_cbranch_execnz .LBB205_170
.LBB205_168:
	v_mul_hi_u32 v0, s25, v19
	s_andn2_b64 vcc, exec, s[44:45]
	v_add_u32_e32 v0, v19, v0
	v_lshrrev_b32_e32 v1, s26, v0
	v_mul_lo_u32 v0, v1, s24
	v_sub_u32_e32 v2, v19, v0
	v_mul_lo_u32 v0, v2, s28
	v_mul_lo_u32 v2, v2, s29
	s_cbranch_vccnz .LBB205_170
; %bb.169:
	v_mul_hi_u32 v3, s42, v1
	v_add_u32_e32 v3, v1, v3
	v_lshrrev_b32_e32 v3, s43, v3
	v_mul_lo_u32 v3, v3, s27
	v_sub_u32_e32 v3, v1, v3
	v_mad_u64_u32 v[0:1], s[4:5], v3, s30, v[0:1]
	v_mad_u64_u32 v[2:3], s[4:5], v3, s31, v[2:3]
.LBB205_170:
	global_load_ushort v1, v2, s[22:23]
	v_add_u32_e32 v19, 0x80, v19
	s_waitcnt vmcnt(0)
	v_lshlrev_b32_e32 v1, 16, v1
	v_cmp_eq_f32_e32 vcc, s57, v1
	v_cndmask_b32_e64 v2, 0, 1, vcc
	v_cmp_neq_f32_e32 vcc, s57, v1
	v_cndmask_b32_e64 v1, 0, 1, vcc
	v_cndmask_b32_e64 v1, v1, v2, s[0:1]
	v_and_b32_e32 v1, 1, v1
	global_store_byte v0, v1, s[20:21]
	s_or_b64 exec, exec, s[50:51]
	v_cmp_gt_i32_e32 vcc, s58, v19
	s_and_saveexec_b64 s[50:51], vcc
	s_cbranch_execnz .LBB205_156
.LBB205_171:
	s_or_b64 exec, exec, s[50:51]
	v_cmp_gt_i32_e32 vcc, s58, v19
	s_and_saveexec_b64 s[50:51], vcc
	s_cbranch_execz .LBB205_187
.LBB205_172:
	s_andn2_b64 vcc, exec, s[2:3]
	s_cbranch_vccnz .LBB205_177
; %bb.173:
	s_andn2_b64 vcc, exec, s[48:49]
	s_cbranch_vccnz .LBB205_178
; %bb.174:
	s_add_i32 s61, s59, 1
	s_cmp_eq_u32 s56, 2
	s_cbranch_scc1 .LBB205_195
; %bb.175:
	s_and_b32 s60, s61, 28
	v_mov_b32_e32 v2, 0
	s_mov_b32 s62, 0
	s_mov_b64 s[52:53], s[34:35]
	s_mov_b64 s[54:55], s[46:47]
	v_mov_b32_e32 v0, 0
	v_mov_b32_e32 v1, v19
.LBB205_176:                            ; =>This Inner Loop Header: Depth=1
	s_load_dwordx8 s[12:19], s[52:53], 0x4
	s_load_dwordx4 s[36:39], s[52:53], 0x24
	s_load_dwordx8 s[4:11], s[54:55], 0x0
	s_add_u32 s52, s52, 48
	s_addc_u32 s53, s53, 0
	s_waitcnt lgkmcnt(0)
	v_mul_hi_u32 v3, s13, v1
	s_add_i32 s62, s62, 4
	s_add_u32 s54, s54, 32
	s_addc_u32 s55, s55, 0
	v_add_u32_e32 v3, v1, v3
	v_lshrrev_b32_e32 v3, s14, v3
	v_mul_lo_u32 v4, v3, s12
	v_mul_hi_u32 v5, s16, v3
	s_cmp_eq_u32 s60, s62
	v_sub_u32_e32 v1, v1, v4
	v_add_u32_e32 v4, v3, v5
	v_mul_lo_u32 v5, v1, s4
	v_mul_lo_u32 v6, v1, s5
	v_lshrrev_b32_e32 v1, s17, v4
	v_mul_lo_u32 v4, v1, s15
	v_mul_hi_u32 v7, s19, v1
	v_sub_u32_e32 v3, v3, v4
	v_add_u32_e32 v4, v1, v7
	v_lshrrev_b32_e32 v4, s36, v4
	v_mul_hi_u32 v8, s38, v4
	v_mul_lo_u32 v9, v4, s18
	v_mul_lo_u32 v7, v3, s6
	;; [unrolled: 1-line block ×3, first 2 shown]
	v_sub_u32_e32 v9, v1, v9
	v_add_u32_e32 v1, v4, v8
	v_lshrrev_b32_e32 v1, s39, v1
	v_mul_lo_u32 v8, v1, s37
	v_mul_lo_u32 v10, v9, s8
	;; [unrolled: 1-line block ×3, first 2 shown]
	v_add3_u32 v0, v5, v0, v7
	v_sub_u32_e32 v4, v4, v8
	v_mul_lo_u32 v8, v4, s10
	v_mul_lo_u32 v4, v4, s11
	v_add3_u32 v2, v6, v2, v3
	v_add3_u32 v0, v10, v0, v8
	;; [unrolled: 1-line block ×3, first 2 shown]
	s_cbranch_scc0 .LBB205_176
	s_branch .LBB205_196
.LBB205_177:
                                        ; implicit-def: $vgpr0
                                        ; implicit-def: $vgpr2
	s_branch .LBB205_200
.LBB205_178:
	v_mov_b32_e32 v0, 0
	v_mov_b32_e32 v2, 0
	s_branch .LBB205_199
.LBB205_179:
	s_mov_b32 s60, 0
	v_mov_b32_e32 v0, 0
	v_mov_b32_e32 v2, 0
	;; [unrolled: 1-line block ×3, first 2 shown]
.LBB205_180:
	s_and_b32 s8, s61, 3
	s_cmp_eq_u32 s8, 0
	s_cbranch_scc1 .LBB205_183
; %bb.181:
	s_lshl_b32 s4, s60, 3
	s_add_u32 s4, s34, s4
	s_addc_u32 s5, s35, 0
	s_add_u32 s4, s4, 0xc4
	s_addc_u32 s5, s5, 0
	s_mul_i32 s6, s60, 12
	s_add_u32 s6, s34, s6
	s_addc_u32 s7, s35, 0
.LBB205_182:                            ; =>This Inner Loop Header: Depth=1
	s_load_dwordx2 s[10:11], s[6:7], 0x4
	s_load_dword s9, s[6:7], 0xc
	s_load_dwordx2 s[12:13], s[4:5], 0x0
	s_add_u32 s6, s6, 12
	s_addc_u32 s7, s7, 0
	s_waitcnt lgkmcnt(0)
	v_mul_hi_u32 v3, s11, v1
	s_add_u32 s4, s4, 8
	s_addc_u32 s5, s5, 0
	s_add_i32 s8, s8, -1
	v_add_u32_e32 v3, v1, v3
	v_lshrrev_b32_e32 v4, s9, v3
	v_mul_lo_u32 v3, v4, s10
	s_cmp_lg_u32 s8, 0
	v_sub_u32_e32 v3, v1, v3
	v_mad_u64_u32 v[0:1], s[10:11], v3, s12, v[0:1]
	v_mad_u64_u32 v[2:3], s[10:11], v3, s13, v[2:3]
	v_mov_b32_e32 v1, v4
	s_cbranch_scc1 .LBB205_182
.LBB205_183:
	s_cbranch_execnz .LBB205_186
.LBB205_184:
	v_mul_hi_u32 v0, s25, v19
	s_andn2_b64 vcc, exec, s[44:45]
	v_add_u32_e32 v0, v19, v0
	v_lshrrev_b32_e32 v1, s26, v0
	v_mul_lo_u32 v0, v1, s24
	v_sub_u32_e32 v2, v19, v0
	v_mul_lo_u32 v0, v2, s28
	v_mul_lo_u32 v2, v2, s29
	s_cbranch_vccnz .LBB205_186
; %bb.185:
	v_mul_hi_u32 v3, s42, v1
	v_add_u32_e32 v3, v1, v3
	v_lshrrev_b32_e32 v3, s43, v3
	v_mul_lo_u32 v3, v3, s27
	v_sub_u32_e32 v3, v1, v3
	v_mad_u64_u32 v[0:1], s[4:5], v3, s30, v[0:1]
	v_mad_u64_u32 v[2:3], s[4:5], v3, s31, v[2:3]
.LBB205_186:
	global_load_ushort v1, v2, s[22:23]
	v_add_u32_e32 v19, 0x80, v19
	s_waitcnt vmcnt(0)
	v_lshlrev_b32_e32 v1, 16, v1
	v_cmp_eq_f32_e32 vcc, s57, v1
	v_cndmask_b32_e64 v2, 0, 1, vcc
	v_cmp_neq_f32_e32 vcc, s57, v1
	v_cndmask_b32_e64 v1, 0, 1, vcc
	v_cndmask_b32_e64 v1, v1, v2, s[0:1]
	v_and_b32_e32 v1, 1, v1
	global_store_byte v0, v1, s[20:21]
	s_or_b64 exec, exec, s[50:51]
	v_cmp_gt_i32_e32 vcc, s58, v19
	s_and_saveexec_b64 s[50:51], vcc
	s_cbranch_execnz .LBB205_172
.LBB205_187:
	s_or_b64 exec, exec, s[50:51]
	v_cmp_gt_i32_e32 vcc, s58, v19
	s_and_saveexec_b64 s[50:51], vcc
	s_cbranch_execz .LBB205_203
.LBB205_188:
	s_andn2_b64 vcc, exec, s[2:3]
	s_cbranch_vccnz .LBB205_193
; %bb.189:
	s_andn2_b64 vcc, exec, s[48:49]
	s_cbranch_vccnz .LBB205_194
; %bb.190:
	s_add_i32 s61, s59, 1
	s_cmp_eq_u32 s56, 2
	s_cbranch_scc1 .LBB205_211
; %bb.191:
	s_and_b32 s60, s61, 28
	v_mov_b32_e32 v2, 0
	s_mov_b32 s62, 0
	s_mov_b64 s[52:53], s[34:35]
	s_mov_b64 s[54:55], s[46:47]
	v_mov_b32_e32 v0, 0
	v_mov_b32_e32 v1, v19
.LBB205_192:                            ; =>This Inner Loop Header: Depth=1
	s_load_dwordx8 s[12:19], s[52:53], 0x4
	s_load_dwordx4 s[36:39], s[52:53], 0x24
	s_load_dwordx8 s[4:11], s[54:55], 0x0
	s_add_u32 s52, s52, 48
	s_addc_u32 s53, s53, 0
	s_waitcnt lgkmcnt(0)
	v_mul_hi_u32 v3, s13, v1
	s_add_i32 s62, s62, 4
	s_add_u32 s54, s54, 32
	s_addc_u32 s55, s55, 0
	v_add_u32_e32 v3, v1, v3
	v_lshrrev_b32_e32 v3, s14, v3
	v_mul_lo_u32 v4, v3, s12
	v_mul_hi_u32 v5, s16, v3
	s_cmp_eq_u32 s60, s62
	v_sub_u32_e32 v1, v1, v4
	v_add_u32_e32 v4, v3, v5
	v_mul_lo_u32 v5, v1, s4
	v_mul_lo_u32 v6, v1, s5
	v_lshrrev_b32_e32 v1, s17, v4
	v_mul_lo_u32 v4, v1, s15
	v_mul_hi_u32 v7, s19, v1
	v_sub_u32_e32 v3, v3, v4
	v_add_u32_e32 v4, v1, v7
	v_lshrrev_b32_e32 v4, s36, v4
	v_mul_hi_u32 v8, s38, v4
	v_mul_lo_u32 v9, v4, s18
	v_mul_lo_u32 v7, v3, s6
	;; [unrolled: 1-line block ×3, first 2 shown]
	v_sub_u32_e32 v9, v1, v9
	v_add_u32_e32 v1, v4, v8
	v_lshrrev_b32_e32 v1, s39, v1
	v_mul_lo_u32 v8, v1, s37
	v_mul_lo_u32 v10, v9, s8
	;; [unrolled: 1-line block ×3, first 2 shown]
	v_add3_u32 v0, v5, v0, v7
	v_sub_u32_e32 v4, v4, v8
	v_mul_lo_u32 v8, v4, s10
	v_mul_lo_u32 v4, v4, s11
	v_add3_u32 v2, v6, v2, v3
	v_add3_u32 v0, v10, v0, v8
	;; [unrolled: 1-line block ×3, first 2 shown]
	s_cbranch_scc0 .LBB205_192
	s_branch .LBB205_212
.LBB205_193:
                                        ; implicit-def: $vgpr0
                                        ; implicit-def: $vgpr2
	s_branch .LBB205_216
.LBB205_194:
	v_mov_b32_e32 v0, 0
	v_mov_b32_e32 v2, 0
	s_branch .LBB205_215
.LBB205_195:
	s_mov_b32 s60, 0
	v_mov_b32_e32 v0, 0
	v_mov_b32_e32 v2, 0
	;; [unrolled: 1-line block ×3, first 2 shown]
.LBB205_196:
	s_and_b32 s8, s61, 3
	s_cmp_eq_u32 s8, 0
	s_cbranch_scc1 .LBB205_199
; %bb.197:
	s_lshl_b32 s4, s60, 3
	s_add_u32 s4, s34, s4
	s_addc_u32 s5, s35, 0
	s_add_u32 s4, s4, 0xc4
	s_addc_u32 s5, s5, 0
	s_mul_i32 s6, s60, 12
	s_add_u32 s6, s34, s6
	s_addc_u32 s7, s35, 0
.LBB205_198:                            ; =>This Inner Loop Header: Depth=1
	s_load_dwordx2 s[10:11], s[6:7], 0x4
	s_load_dword s9, s[6:7], 0xc
	s_load_dwordx2 s[12:13], s[4:5], 0x0
	s_add_u32 s6, s6, 12
	s_addc_u32 s7, s7, 0
	s_waitcnt lgkmcnt(0)
	v_mul_hi_u32 v3, s11, v1
	s_add_u32 s4, s4, 8
	s_addc_u32 s5, s5, 0
	s_add_i32 s8, s8, -1
	v_add_u32_e32 v3, v1, v3
	v_lshrrev_b32_e32 v4, s9, v3
	v_mul_lo_u32 v3, v4, s10
	s_cmp_lg_u32 s8, 0
	v_sub_u32_e32 v3, v1, v3
	v_mad_u64_u32 v[0:1], s[10:11], v3, s12, v[0:1]
	v_mad_u64_u32 v[2:3], s[10:11], v3, s13, v[2:3]
	v_mov_b32_e32 v1, v4
	s_cbranch_scc1 .LBB205_198
.LBB205_199:
	s_cbranch_execnz .LBB205_202
.LBB205_200:
	v_mul_hi_u32 v0, s25, v19
	s_andn2_b64 vcc, exec, s[44:45]
	v_add_u32_e32 v0, v19, v0
	v_lshrrev_b32_e32 v1, s26, v0
	v_mul_lo_u32 v0, v1, s24
	v_sub_u32_e32 v2, v19, v0
	v_mul_lo_u32 v0, v2, s28
	v_mul_lo_u32 v2, v2, s29
	s_cbranch_vccnz .LBB205_202
; %bb.201:
	v_mul_hi_u32 v3, s42, v1
	v_add_u32_e32 v3, v1, v3
	v_lshrrev_b32_e32 v3, s43, v3
	v_mul_lo_u32 v3, v3, s27
	v_sub_u32_e32 v3, v1, v3
	v_mad_u64_u32 v[0:1], s[4:5], v3, s30, v[0:1]
	v_mad_u64_u32 v[2:3], s[4:5], v3, s31, v[2:3]
.LBB205_202:
	global_load_ushort v1, v2, s[22:23]
	v_add_u32_e32 v19, 0x80, v19
	s_waitcnt vmcnt(0)
	v_lshlrev_b32_e32 v1, 16, v1
	v_cmp_eq_f32_e32 vcc, s57, v1
	v_cndmask_b32_e64 v2, 0, 1, vcc
	v_cmp_neq_f32_e32 vcc, s57, v1
	v_cndmask_b32_e64 v1, 0, 1, vcc
	v_cndmask_b32_e64 v1, v1, v2, s[0:1]
	v_and_b32_e32 v1, 1, v1
	global_store_byte v0, v1, s[20:21]
	s_or_b64 exec, exec, s[50:51]
	v_cmp_gt_i32_e32 vcc, s58, v19
	s_and_saveexec_b64 s[50:51], vcc
	s_cbranch_execnz .LBB205_188
.LBB205_203:
	s_or_b64 exec, exec, s[50:51]
	v_cmp_gt_i32_e32 vcc, s58, v19
	s_and_saveexec_b64 s[50:51], vcc
	s_cbranch_execz .LBB205_219
.LBB205_204:
	s_andn2_b64 vcc, exec, s[2:3]
	s_cbranch_vccnz .LBB205_209
; %bb.205:
	s_andn2_b64 vcc, exec, s[48:49]
	s_cbranch_vccnz .LBB205_210
; %bb.206:
	s_add_i32 s61, s59, 1
	s_cmp_eq_u32 s56, 2
	s_cbranch_scc1 .LBB205_222
; %bb.207:
	s_and_b32 s60, s61, 28
	v_mov_b32_e32 v2, 0
	s_mov_b32 s62, 0
	s_mov_b64 s[52:53], s[34:35]
	s_mov_b64 s[54:55], s[46:47]
	v_mov_b32_e32 v0, 0
	v_mov_b32_e32 v1, v19
.LBB205_208:                            ; =>This Inner Loop Header: Depth=1
	s_load_dwordx8 s[12:19], s[52:53], 0x4
	s_load_dwordx4 s[36:39], s[52:53], 0x24
	s_load_dwordx8 s[4:11], s[54:55], 0x0
	s_add_u32 s52, s52, 48
	s_addc_u32 s53, s53, 0
	s_waitcnt lgkmcnt(0)
	v_mul_hi_u32 v3, s13, v1
	s_add_i32 s62, s62, 4
	s_add_u32 s54, s54, 32
	s_addc_u32 s55, s55, 0
	v_add_u32_e32 v3, v1, v3
	v_lshrrev_b32_e32 v3, s14, v3
	v_mul_lo_u32 v4, v3, s12
	v_mul_hi_u32 v5, s16, v3
	s_cmp_eq_u32 s60, s62
	v_sub_u32_e32 v1, v1, v4
	v_add_u32_e32 v4, v3, v5
	v_mul_lo_u32 v5, v1, s4
	v_mul_lo_u32 v6, v1, s5
	v_lshrrev_b32_e32 v1, s17, v4
	v_mul_lo_u32 v4, v1, s15
	v_mul_hi_u32 v7, s19, v1
	v_sub_u32_e32 v3, v3, v4
	v_add_u32_e32 v4, v1, v7
	v_lshrrev_b32_e32 v4, s36, v4
	v_mul_hi_u32 v8, s38, v4
	v_mul_lo_u32 v9, v4, s18
	v_mul_lo_u32 v7, v3, s6
	;; [unrolled: 1-line block ×3, first 2 shown]
	v_sub_u32_e32 v9, v1, v9
	v_add_u32_e32 v1, v4, v8
	v_lshrrev_b32_e32 v1, s39, v1
	v_mul_lo_u32 v8, v1, s37
	v_mul_lo_u32 v10, v9, s8
	;; [unrolled: 1-line block ×3, first 2 shown]
	v_add3_u32 v0, v5, v0, v7
	v_sub_u32_e32 v4, v4, v8
	v_mul_lo_u32 v8, v4, s10
	v_mul_lo_u32 v4, v4, s11
	v_add3_u32 v2, v6, v2, v3
	v_add3_u32 v0, v10, v0, v8
	;; [unrolled: 1-line block ×3, first 2 shown]
	s_cbranch_scc0 .LBB205_208
	s_branch .LBB205_223
.LBB205_209:
                                        ; implicit-def: $vgpr0
                                        ; implicit-def: $vgpr2
	s_branch .LBB205_227
.LBB205_210:
	v_mov_b32_e32 v0, 0
	v_mov_b32_e32 v2, 0
	s_branch .LBB205_226
.LBB205_211:
	s_mov_b32 s60, 0
	v_mov_b32_e32 v0, 0
	v_mov_b32_e32 v2, 0
	;; [unrolled: 1-line block ×3, first 2 shown]
.LBB205_212:
	s_and_b32 s8, s61, 3
	s_cmp_eq_u32 s8, 0
	s_cbranch_scc1 .LBB205_215
; %bb.213:
	s_lshl_b32 s4, s60, 3
	s_add_u32 s4, s34, s4
	s_addc_u32 s5, s35, 0
	s_add_u32 s4, s4, 0xc4
	s_addc_u32 s5, s5, 0
	s_mul_i32 s6, s60, 12
	s_add_u32 s6, s34, s6
	s_addc_u32 s7, s35, 0
.LBB205_214:                            ; =>This Inner Loop Header: Depth=1
	s_load_dwordx2 s[10:11], s[6:7], 0x4
	s_load_dword s9, s[6:7], 0xc
	s_load_dwordx2 s[12:13], s[4:5], 0x0
	s_add_u32 s6, s6, 12
	s_addc_u32 s7, s7, 0
	s_waitcnt lgkmcnt(0)
	v_mul_hi_u32 v3, s11, v1
	s_add_u32 s4, s4, 8
	s_addc_u32 s5, s5, 0
	s_add_i32 s8, s8, -1
	v_add_u32_e32 v3, v1, v3
	v_lshrrev_b32_e32 v4, s9, v3
	v_mul_lo_u32 v3, v4, s10
	s_cmp_lg_u32 s8, 0
	v_sub_u32_e32 v3, v1, v3
	v_mad_u64_u32 v[0:1], s[10:11], v3, s12, v[0:1]
	v_mad_u64_u32 v[2:3], s[10:11], v3, s13, v[2:3]
	v_mov_b32_e32 v1, v4
	s_cbranch_scc1 .LBB205_214
.LBB205_215:
	s_cbranch_execnz .LBB205_218
.LBB205_216:
	v_mul_hi_u32 v0, s25, v19
	s_andn2_b64 vcc, exec, s[44:45]
	v_add_u32_e32 v0, v19, v0
	v_lshrrev_b32_e32 v1, s26, v0
	v_mul_lo_u32 v0, v1, s24
	v_sub_u32_e32 v2, v19, v0
	v_mul_lo_u32 v0, v2, s28
	v_mul_lo_u32 v2, v2, s29
	s_cbranch_vccnz .LBB205_218
; %bb.217:
	v_mul_hi_u32 v3, s42, v1
	v_add_u32_e32 v3, v1, v3
	v_lshrrev_b32_e32 v3, s43, v3
	v_mul_lo_u32 v3, v3, s27
	v_sub_u32_e32 v3, v1, v3
	v_mad_u64_u32 v[0:1], s[4:5], v3, s30, v[0:1]
	v_mad_u64_u32 v[2:3], s[4:5], v3, s31, v[2:3]
.LBB205_218:
	global_load_ushort v1, v2, s[22:23]
	v_add_u32_e32 v19, 0x80, v19
	s_waitcnt vmcnt(0)
	v_lshlrev_b32_e32 v1, 16, v1
	v_cmp_eq_f32_e32 vcc, s57, v1
	v_cndmask_b32_e64 v2, 0, 1, vcc
	v_cmp_neq_f32_e32 vcc, s57, v1
	v_cndmask_b32_e64 v1, 0, 1, vcc
	v_cndmask_b32_e64 v1, v1, v2, s[0:1]
	v_and_b32_e32 v1, 1, v1
	global_store_byte v0, v1, s[20:21]
	s_or_b64 exec, exec, s[50:51]
	v_cmp_gt_i32_e32 vcc, s58, v19
	s_and_saveexec_b64 s[50:51], vcc
	s_cbranch_execnz .LBB205_204
.LBB205_219:
	s_or_b64 exec, exec, s[50:51]
	v_cmp_gt_i32_e32 vcc, s58, v19
	s_and_saveexec_b64 s[50:51], vcc
	s_cbranch_execnz .LBB205_230
.LBB205_220:
	s_or_b64 exec, exec, s[50:51]
                                        ; implicit-def: $vgpr25
                                        ; implicit-def: $vgpr19
	s_andn2_saveexec_b64 s[0:1], s[40:41]
	s_cbranch_execnz .LBB205_8
.LBB205_221:
	s_endpgm
.LBB205_222:
	s_mov_b32 s60, 0
	v_mov_b32_e32 v0, 0
	v_mov_b32_e32 v2, 0
	v_mov_b32_e32 v1, v19
.LBB205_223:
	s_and_b32 s8, s61, 3
	s_cmp_eq_u32 s8, 0
	s_cbranch_scc1 .LBB205_226
; %bb.224:
	s_lshl_b32 s4, s60, 3
	s_add_u32 s4, s34, s4
	s_addc_u32 s5, s35, 0
	s_add_u32 s4, s4, 0xc4
	s_addc_u32 s5, s5, 0
	s_mul_i32 s6, s60, 12
	s_add_u32 s6, s34, s6
	s_addc_u32 s7, s35, 0
.LBB205_225:                            ; =>This Inner Loop Header: Depth=1
	s_load_dwordx2 s[10:11], s[6:7], 0x4
	s_load_dword s9, s[6:7], 0xc
	s_load_dwordx2 s[12:13], s[4:5], 0x0
	s_add_u32 s6, s6, 12
	s_addc_u32 s7, s7, 0
	s_waitcnt lgkmcnt(0)
	v_mul_hi_u32 v3, s11, v1
	s_add_u32 s4, s4, 8
	s_addc_u32 s5, s5, 0
	s_add_i32 s8, s8, -1
	v_add_u32_e32 v3, v1, v3
	v_lshrrev_b32_e32 v4, s9, v3
	v_mul_lo_u32 v3, v4, s10
	s_cmp_lg_u32 s8, 0
	v_sub_u32_e32 v3, v1, v3
	v_mad_u64_u32 v[0:1], s[10:11], v3, s12, v[0:1]
	v_mad_u64_u32 v[2:3], s[10:11], v3, s13, v[2:3]
	v_mov_b32_e32 v1, v4
	s_cbranch_scc1 .LBB205_225
.LBB205_226:
	s_cbranch_execnz .LBB205_229
.LBB205_227:
	v_mul_hi_u32 v0, s25, v19
	s_andn2_b64 vcc, exec, s[44:45]
	v_add_u32_e32 v0, v19, v0
	v_lshrrev_b32_e32 v1, s26, v0
	v_mul_lo_u32 v0, v1, s24
	v_sub_u32_e32 v2, v19, v0
	v_mul_lo_u32 v0, v2, s28
	v_mul_lo_u32 v2, v2, s29
	s_cbranch_vccnz .LBB205_229
; %bb.228:
	v_mul_hi_u32 v3, s42, v1
	v_add_u32_e32 v3, v1, v3
	v_lshrrev_b32_e32 v3, s43, v3
	v_mul_lo_u32 v3, v3, s27
	v_sub_u32_e32 v3, v1, v3
	v_mad_u64_u32 v[0:1], s[4:5], v3, s30, v[0:1]
	v_mad_u64_u32 v[2:3], s[4:5], v3, s31, v[2:3]
.LBB205_229:
	global_load_ushort v1, v2, s[22:23]
	v_add_u32_e32 v19, 0x80, v19
	s_waitcnt vmcnt(0)
	v_lshlrev_b32_e32 v1, 16, v1
	v_cmp_eq_f32_e32 vcc, s57, v1
	v_cndmask_b32_e64 v2, 0, 1, vcc
	v_cmp_neq_f32_e32 vcc, s57, v1
	v_cndmask_b32_e64 v1, 0, 1, vcc
	v_cndmask_b32_e64 v1, v1, v2, s[0:1]
	v_and_b32_e32 v1, 1, v1
	global_store_byte v0, v1, s[20:21]
	s_or_b64 exec, exec, s[50:51]
	v_cmp_gt_i32_e32 vcc, s58, v19
	s_and_saveexec_b64 s[50:51], vcc
	s_cbranch_execz .LBB205_220
.LBB205_230:
	s_andn2_b64 vcc, exec, s[2:3]
	s_cbranch_vccnz .LBB205_235
; %bb.231:
	s_andn2_b64 vcc, exec, s[48:49]
	s_cbranch_vccnz .LBB205_236
; %bb.232:
	s_add_i32 s59, s59, 1
	s_cmp_eq_u32 s56, 2
	s_cbranch_scc1 .LBB205_237
; %bb.233:
	s_and_b32 s52, s59, 28
	v_mov_b32_e32 v2, 0
	s_mov_b32 s53, 0
	s_mov_b64 s[48:49], s[34:35]
	v_mov_b32_e32 v0, 0
	v_mov_b32_e32 v1, v19
.LBB205_234:                            ; =>This Inner Loop Header: Depth=1
	s_load_dwordx8 s[12:19], s[48:49], 0x4
	s_load_dwordx4 s[36:39], s[48:49], 0x24
	s_load_dwordx8 s[4:11], s[46:47], 0x0
	s_add_u32 s48, s48, 48
	s_addc_u32 s49, s49, 0
	s_waitcnt lgkmcnt(0)
	v_mul_hi_u32 v3, s13, v1
	s_add_i32 s53, s53, 4
	s_add_u32 s46, s46, 32
	s_addc_u32 s47, s47, 0
	v_add_u32_e32 v3, v1, v3
	v_lshrrev_b32_e32 v3, s14, v3
	v_mul_lo_u32 v4, v3, s12
	v_mul_hi_u32 v5, s16, v3
	s_cmp_eq_u32 s52, s53
	v_sub_u32_e32 v1, v1, v4
	v_add_u32_e32 v4, v3, v5
	v_mul_lo_u32 v5, v1, s4
	v_mul_lo_u32 v6, v1, s5
	v_lshrrev_b32_e32 v1, s17, v4
	v_mul_lo_u32 v4, v1, s15
	v_mul_hi_u32 v7, s19, v1
	v_sub_u32_e32 v3, v3, v4
	v_add_u32_e32 v4, v1, v7
	v_lshrrev_b32_e32 v4, s36, v4
	v_mul_hi_u32 v8, s38, v4
	v_mul_lo_u32 v9, v4, s18
	v_mul_lo_u32 v7, v3, s6
	;; [unrolled: 1-line block ×3, first 2 shown]
	v_sub_u32_e32 v9, v1, v9
	v_add_u32_e32 v1, v4, v8
	v_lshrrev_b32_e32 v1, s39, v1
	v_mul_lo_u32 v8, v1, s37
	v_mul_lo_u32 v10, v9, s8
	;; [unrolled: 1-line block ×3, first 2 shown]
	v_add3_u32 v0, v5, v0, v7
	v_sub_u32_e32 v4, v4, v8
	v_mul_lo_u32 v8, v4, s10
	v_mul_lo_u32 v4, v4, s11
	v_add3_u32 v2, v6, v2, v3
	v_add3_u32 v0, v10, v0, v8
	;; [unrolled: 1-line block ×3, first 2 shown]
	s_cbranch_scc0 .LBB205_234
	s_branch .LBB205_238
.LBB205_235:
                                        ; implicit-def: $vgpr0
                                        ; implicit-def: $vgpr2
	s_branch .LBB205_242
.LBB205_236:
	v_mov_b32_e32 v0, 0
	v_mov_b32_e32 v2, 0
	s_branch .LBB205_241
.LBB205_237:
	s_mov_b32 s52, 0
	v_mov_b32_e32 v0, 0
	v_mov_b32_e32 v2, 0
	;; [unrolled: 1-line block ×3, first 2 shown]
.LBB205_238:
	s_and_b32 s8, s59, 3
	s_cmp_eq_u32 s8, 0
	s_cbranch_scc1 .LBB205_241
; %bb.239:
	s_lshl_b32 s4, s52, 3
	s_add_u32 s4, s34, s4
	s_addc_u32 s5, s35, 0
	s_add_u32 s4, s4, 0xc4
	s_addc_u32 s5, s5, 0
	s_mul_i32 s6, s52, 12
	s_add_u32 s6, s34, s6
	s_addc_u32 s7, s35, 0
.LBB205_240:                            ; =>This Inner Loop Header: Depth=1
	s_load_dwordx2 s[10:11], s[6:7], 0x4
	s_load_dword s9, s[6:7], 0xc
	s_load_dwordx2 s[12:13], s[4:5], 0x0
	s_add_u32 s6, s6, 12
	s_addc_u32 s7, s7, 0
	s_waitcnt lgkmcnt(0)
	v_mul_hi_u32 v3, s11, v1
	s_add_u32 s4, s4, 8
	s_addc_u32 s5, s5, 0
	s_add_i32 s8, s8, -1
	v_add_u32_e32 v3, v1, v3
	v_lshrrev_b32_e32 v4, s9, v3
	v_mul_lo_u32 v3, v4, s10
	s_cmp_lg_u32 s8, 0
	v_sub_u32_e32 v3, v1, v3
	v_mad_u64_u32 v[0:1], s[10:11], v3, s12, v[0:1]
	v_mad_u64_u32 v[2:3], s[10:11], v3, s13, v[2:3]
	v_mov_b32_e32 v1, v4
	s_cbranch_scc1 .LBB205_240
.LBB205_241:
	s_cbranch_execnz .LBB205_244
.LBB205_242:
	v_mul_hi_u32 v0, s25, v19
	s_andn2_b64 vcc, exec, s[44:45]
	v_add_u32_e32 v0, v19, v0
	v_lshrrev_b32_e32 v1, s26, v0
	v_mul_lo_u32 v0, v1, s24
	v_sub_u32_e32 v2, v19, v0
	v_mul_lo_u32 v0, v2, s28
	v_mul_lo_u32 v2, v2, s29
	s_cbranch_vccnz .LBB205_244
; %bb.243:
	v_mul_hi_u32 v3, s42, v1
	v_add_u32_e32 v3, v1, v3
	v_lshrrev_b32_e32 v3, s43, v3
	v_mul_lo_u32 v3, v3, s27
	v_sub_u32_e32 v3, v1, v3
	v_mad_u64_u32 v[0:1], s[4:5], v3, s30, v[0:1]
	v_mad_u64_u32 v[2:3], s[4:5], v3, s31, v[2:3]
.LBB205_244:
	global_load_ushort v1, v2, s[22:23]
	s_waitcnt vmcnt(0)
	v_lshlrev_b32_e32 v1, 16, v1
	v_cmp_eq_f32_e32 vcc, s57, v1
	v_cndmask_b32_e64 v2, 0, 1, vcc
	v_cmp_neq_f32_e32 vcc, s57, v1
	v_cndmask_b32_e64 v1, 0, 1, vcc
	v_cndmask_b32_e64 v1, v1, v2, s[0:1]
	v_and_b32_e32 v1, 1, v1
	global_store_byte v0, v1, s[20:21]
	s_or_b64 exec, exec, s[50:51]
                                        ; implicit-def: $vgpr25
                                        ; implicit-def: $vgpr19
	s_andn2_saveexec_b64 s[0:1], s[40:41]
	s_cbranch_execz .LBB205_221
	s_branch .LBB205_8
	.section	.rodata,"a",@progbits
	.p2align	6, 0x0
	.amdhsa_kernel _ZN2at6native32elementwise_kernel_manual_unrollILi128ELi8EZNS0_22gpu_kernel_impl_nocastINS0_13AUnaryFunctorIN3c108BFloat16ES5_bNS0_12_GLOBAL__N_116CompareEqFunctorIS5_EEEEEEvRNS_18TensorIteratorBaseERKT_EUlibE_EEviT1_
		.amdhsa_group_segment_fixed_size 0
		.amdhsa_private_segment_fixed_size 0
		.amdhsa_kernarg_size 360
		.amdhsa_user_sgpr_count 6
		.amdhsa_user_sgpr_private_segment_buffer 1
		.amdhsa_user_sgpr_dispatch_ptr 0
		.amdhsa_user_sgpr_queue_ptr 0
		.amdhsa_user_sgpr_kernarg_segment_ptr 1
		.amdhsa_user_sgpr_dispatch_id 0
		.amdhsa_user_sgpr_flat_scratch_init 0
		.amdhsa_user_sgpr_private_segment_size 0
		.amdhsa_uses_dynamic_stack 0
		.amdhsa_system_sgpr_private_segment_wavefront_offset 0
		.amdhsa_system_sgpr_workgroup_id_x 1
		.amdhsa_system_sgpr_workgroup_id_y 0
		.amdhsa_system_sgpr_workgroup_id_z 0
		.amdhsa_system_sgpr_workgroup_info 0
		.amdhsa_system_vgpr_workitem_id 0
		.amdhsa_next_free_vgpr 26
		.amdhsa_next_free_sgpr 63
		.amdhsa_reserve_vcc 1
		.amdhsa_reserve_flat_scratch 0
		.amdhsa_float_round_mode_32 0
		.amdhsa_float_round_mode_16_64 0
		.amdhsa_float_denorm_mode_32 3
		.amdhsa_float_denorm_mode_16_64 3
		.amdhsa_dx10_clamp 1
		.amdhsa_ieee_mode 1
		.amdhsa_fp16_overflow 0
		.amdhsa_exception_fp_ieee_invalid_op 0
		.amdhsa_exception_fp_denorm_src 0
		.amdhsa_exception_fp_ieee_div_zero 0
		.amdhsa_exception_fp_ieee_overflow 0
		.amdhsa_exception_fp_ieee_underflow 0
		.amdhsa_exception_fp_ieee_inexact 0
		.amdhsa_exception_int_div_zero 0
	.end_amdhsa_kernel
	.section	.text._ZN2at6native32elementwise_kernel_manual_unrollILi128ELi8EZNS0_22gpu_kernel_impl_nocastINS0_13AUnaryFunctorIN3c108BFloat16ES5_bNS0_12_GLOBAL__N_116CompareEqFunctorIS5_EEEEEEvRNS_18TensorIteratorBaseERKT_EUlibE_EEviT1_,"axG",@progbits,_ZN2at6native32elementwise_kernel_manual_unrollILi128ELi8EZNS0_22gpu_kernel_impl_nocastINS0_13AUnaryFunctorIN3c108BFloat16ES5_bNS0_12_GLOBAL__N_116CompareEqFunctorIS5_EEEEEEvRNS_18TensorIteratorBaseERKT_EUlibE_EEviT1_,comdat
.Lfunc_end205:
	.size	_ZN2at6native32elementwise_kernel_manual_unrollILi128ELi8EZNS0_22gpu_kernel_impl_nocastINS0_13AUnaryFunctorIN3c108BFloat16ES5_bNS0_12_GLOBAL__N_116CompareEqFunctorIS5_EEEEEEvRNS_18TensorIteratorBaseERKT_EUlibE_EEviT1_, .Lfunc_end205-_ZN2at6native32elementwise_kernel_manual_unrollILi128ELi8EZNS0_22gpu_kernel_impl_nocastINS0_13AUnaryFunctorIN3c108BFloat16ES5_bNS0_12_GLOBAL__N_116CompareEqFunctorIS5_EEEEEEvRNS_18TensorIteratorBaseERKT_EUlibE_EEviT1_
                                        ; -- End function
	.set _ZN2at6native32elementwise_kernel_manual_unrollILi128ELi8EZNS0_22gpu_kernel_impl_nocastINS0_13AUnaryFunctorIN3c108BFloat16ES5_bNS0_12_GLOBAL__N_116CompareEqFunctorIS5_EEEEEEvRNS_18TensorIteratorBaseERKT_EUlibE_EEviT1_.num_vgpr, 26
	.set _ZN2at6native32elementwise_kernel_manual_unrollILi128ELi8EZNS0_22gpu_kernel_impl_nocastINS0_13AUnaryFunctorIN3c108BFloat16ES5_bNS0_12_GLOBAL__N_116CompareEqFunctorIS5_EEEEEEvRNS_18TensorIteratorBaseERKT_EUlibE_EEviT1_.num_agpr, 0
	.set _ZN2at6native32elementwise_kernel_manual_unrollILi128ELi8EZNS0_22gpu_kernel_impl_nocastINS0_13AUnaryFunctorIN3c108BFloat16ES5_bNS0_12_GLOBAL__N_116CompareEqFunctorIS5_EEEEEEvRNS_18TensorIteratorBaseERKT_EUlibE_EEviT1_.numbered_sgpr, 63
	.set _ZN2at6native32elementwise_kernel_manual_unrollILi128ELi8EZNS0_22gpu_kernel_impl_nocastINS0_13AUnaryFunctorIN3c108BFloat16ES5_bNS0_12_GLOBAL__N_116CompareEqFunctorIS5_EEEEEEvRNS_18TensorIteratorBaseERKT_EUlibE_EEviT1_.num_named_barrier, 0
	.set _ZN2at6native32elementwise_kernel_manual_unrollILi128ELi8EZNS0_22gpu_kernel_impl_nocastINS0_13AUnaryFunctorIN3c108BFloat16ES5_bNS0_12_GLOBAL__N_116CompareEqFunctorIS5_EEEEEEvRNS_18TensorIteratorBaseERKT_EUlibE_EEviT1_.private_seg_size, 0
	.set _ZN2at6native32elementwise_kernel_manual_unrollILi128ELi8EZNS0_22gpu_kernel_impl_nocastINS0_13AUnaryFunctorIN3c108BFloat16ES5_bNS0_12_GLOBAL__N_116CompareEqFunctorIS5_EEEEEEvRNS_18TensorIteratorBaseERKT_EUlibE_EEviT1_.uses_vcc, 1
	.set _ZN2at6native32elementwise_kernel_manual_unrollILi128ELi8EZNS0_22gpu_kernel_impl_nocastINS0_13AUnaryFunctorIN3c108BFloat16ES5_bNS0_12_GLOBAL__N_116CompareEqFunctorIS5_EEEEEEvRNS_18TensorIteratorBaseERKT_EUlibE_EEviT1_.uses_flat_scratch, 0
	.set _ZN2at6native32elementwise_kernel_manual_unrollILi128ELi8EZNS0_22gpu_kernel_impl_nocastINS0_13AUnaryFunctorIN3c108BFloat16ES5_bNS0_12_GLOBAL__N_116CompareEqFunctorIS5_EEEEEEvRNS_18TensorIteratorBaseERKT_EUlibE_EEviT1_.has_dyn_sized_stack, 0
	.set _ZN2at6native32elementwise_kernel_manual_unrollILi128ELi8EZNS0_22gpu_kernel_impl_nocastINS0_13AUnaryFunctorIN3c108BFloat16ES5_bNS0_12_GLOBAL__N_116CompareEqFunctorIS5_EEEEEEvRNS_18TensorIteratorBaseERKT_EUlibE_EEviT1_.has_recursion, 0
	.set _ZN2at6native32elementwise_kernel_manual_unrollILi128ELi8EZNS0_22gpu_kernel_impl_nocastINS0_13AUnaryFunctorIN3c108BFloat16ES5_bNS0_12_GLOBAL__N_116CompareEqFunctorIS5_EEEEEEvRNS_18TensorIteratorBaseERKT_EUlibE_EEviT1_.has_indirect_call, 0
	.section	.AMDGPU.csdata,"",@progbits
; Kernel info:
; codeLenInByte = 11820
; TotalNumSgprs: 67
; NumVgprs: 26
; ScratchSize: 0
; MemoryBound: 0
; FloatMode: 240
; IeeeMode: 1
; LDSByteSize: 0 bytes/workgroup (compile time only)
; SGPRBlocks: 8
; VGPRBlocks: 6
; NumSGPRsForWavesPerEU: 67
; NumVGPRsForWavesPerEU: 26
; Occupancy: 9
; WaveLimiterHint : 1
; COMPUTE_PGM_RSRC2:SCRATCH_EN: 0
; COMPUTE_PGM_RSRC2:USER_SGPR: 6
; COMPUTE_PGM_RSRC2:TRAP_HANDLER: 0
; COMPUTE_PGM_RSRC2:TGID_X_EN: 1
; COMPUTE_PGM_RSRC2:TGID_Y_EN: 0
; COMPUTE_PGM_RSRC2:TGID_Z_EN: 0
; COMPUTE_PGM_RSRC2:TIDIG_COMP_CNT: 0
	.section	.text._ZN2at6native32elementwise_kernel_manual_unrollILi128ELi4EZNS0_15gpu_kernel_implINS0_13AUnaryFunctorIN3c108BFloat16ES5_bNS0_12_GLOBAL__N_116CompareEqFunctorIS5_EEEEEEvRNS_18TensorIteratorBaseERKT_EUlibE_EEviT1_,"axG",@progbits,_ZN2at6native32elementwise_kernel_manual_unrollILi128ELi4EZNS0_15gpu_kernel_implINS0_13AUnaryFunctorIN3c108BFloat16ES5_bNS0_12_GLOBAL__N_116CompareEqFunctorIS5_EEEEEEvRNS_18TensorIteratorBaseERKT_EUlibE_EEviT1_,comdat
	.globl	_ZN2at6native32elementwise_kernel_manual_unrollILi128ELi4EZNS0_15gpu_kernel_implINS0_13AUnaryFunctorIN3c108BFloat16ES5_bNS0_12_GLOBAL__N_116CompareEqFunctorIS5_EEEEEEvRNS_18TensorIteratorBaseERKT_EUlibE_EEviT1_ ; -- Begin function _ZN2at6native32elementwise_kernel_manual_unrollILi128ELi4EZNS0_15gpu_kernel_implINS0_13AUnaryFunctorIN3c108BFloat16ES5_bNS0_12_GLOBAL__N_116CompareEqFunctorIS5_EEEEEEvRNS_18TensorIteratorBaseERKT_EUlibE_EEviT1_
	.p2align	8
	.type	_ZN2at6native32elementwise_kernel_manual_unrollILi128ELi4EZNS0_15gpu_kernel_implINS0_13AUnaryFunctorIN3c108BFloat16ES5_bNS0_12_GLOBAL__N_116CompareEqFunctorIS5_EEEEEEvRNS_18TensorIteratorBaseERKT_EUlibE_EEviT1_,@function
_ZN2at6native32elementwise_kernel_manual_unrollILi128ELi4EZNS0_15gpu_kernel_implINS0_13AUnaryFunctorIN3c108BFloat16ES5_bNS0_12_GLOBAL__N_116CompareEqFunctorIS5_EEEEEEvRNS_18TensorIteratorBaseERKT_EUlibE_EEviT1_: ; @_ZN2at6native32elementwise_kernel_manual_unrollILi128ELi4EZNS0_15gpu_kernel_implINS0_13AUnaryFunctorIN3c108BFloat16ES5_bNS0_12_GLOBAL__N_116CompareEqFunctorIS5_EEEEEEvRNS_18TensorIteratorBaseERKT_EUlibE_EEviT1_
; %bb.0:
	s_load_dwordx2 s[16:17], s[4:5], 0x24
	s_load_dword s44, s[4:5], 0x0
	s_load_dwordx8 s[8:15], s[4:5], 0x8
	v_lshl_or_b32 v2, s6, 9, v0
	v_or_b32_e32 v0, 0x180, v2
	s_waitcnt lgkmcnt(0)
	s_and_b32 s15, s16, 0xffff
	s_bfe_u32 s16, s17, 0x80008
	v_cmp_le_i32_e32 vcc, s44, v0
	s_mov_b64 s[6:7], 0
	s_mov_b64 s[20:21], 0
	s_and_saveexec_b64 s[0:1], vcc
	s_xor_b64 s[18:19], exec, s[0:1]
	s_cbranch_execz .LBB206_1029
; %bb.1:
	s_cmp_eq_u32 s14, 0
	s_cselect_b64 s[0:1], -1, 0
	s_lshl_b32 s33, s15, 16
	v_cmp_gt_i32_e32 vcc, s44, v2
	s_mov_b64 s[2:3], -1
	s_mov_b64 s[28:29], 0
	s_mov_b64 s[22:23], 0
	s_and_saveexec_b64 s[24:25], vcc
	s_cbranch_execz .LBB206_252
; %bb.2:
	v_mul_lo_u32 v0, v2, s13
	v_mov_b32_e32 v1, s11
	s_and_b32 s26, 0xffff, s16
	s_cmp_lt_i32 s26, 11
	v_ashrrev_i32_e32 v3, 31, v0
	v_add_co_u32_e32 v0, vcc, s10, v0
	v_addc_co_u32_e32 v1, vcc, v1, v3, vcc
	s_cbranch_scc1 .LBB206_9
; %bb.3:
	s_cmp_gt_i32 s26, 25
	s_cbranch_scc0 .LBB206_18
; %bb.4:
	s_cmp_gt_i32 s26, 28
	s_cbranch_scc0 .LBB206_22
	;; [unrolled: 3-line block ×4, first 2 shown]
; %bb.7:
	s_cmp_eq_u32 s26, 46
	s_mov_b64 s[4:5], 0
	s_cbranch_scc0 .LBB206_28
; %bb.8:
	global_load_dword v3, v[0:1], off
	s_branch .LBB206_30
.LBB206_9:
                                        ; implicit-def: $vgpr3
	s_mov_b64 s[2:3], 0
	s_cbranch_execnz .LBB206_203
.LBB206_10:
	s_andn2_b64 vcc, exec, s[2:3]
	s_cbranch_vccnz .LBB206_250
.LBB206_11:
	s_waitcnt vmcnt(0)
	v_lshlrev_b32_e32 v0, 16, v3
	v_cmp_eq_f32_e32 vcc, s33, v0
	v_cndmask_b32_e64 v1, 0, 1, vcc
	v_cmp_neq_f32_e32 vcc, s33, v0
	v_mul_lo_u32 v3, v2, s12
	v_cndmask_b32_e64 v0, 0, 1, vcc
	v_cndmask_b32_e64 v0, v0, v1, s[0:1]
	v_and_b32_e32 v0, 1, v0
	v_cmp_eq_u32_e64 s[2:3], 1, v0
	v_ashrrev_i32_e32 v1, 31, v3
	v_mov_b32_e32 v4, s9
	s_and_b32 s34, s17, 0xff
	v_add_co_u32_e32 v0, vcc, s8, v3
	s_cmp_lt_i32 s34, 11
	v_addc_co_u32_e32 v1, vcc, v4, v1, vcc
	s_cbranch_scc1 .LBB206_19
; %bb.12:
	s_and_b32 s35, 0xffff, s34
	s_cmp_gt_i32 s35, 25
	s_cbranch_scc0 .LBB206_23
; %bb.13:
	s_cmp_gt_i32 s35, 28
	s_cbranch_scc0 .LBB206_25
; %bb.14:
	;; [unrolled: 3-line block ×4, first 2 shown]
	s_mov_b64 s[26:27], 0
	s_mov_b64 s[4:5], -1
	s_cmp_eq_u32 s35, 46
	s_mov_b64 s[20:21], 0
	s_cbranch_scc0 .LBB206_34
; %bb.17:
	v_cndmask_b32_e64 v3, 0, 1.0, s[2:3]
	v_bfe_u32 v4, v3, 16, 1
	s_movk_i32 s4, 0x7fff
	v_add3_u32 v3, v3, v4, s4
	v_lshrrev_b32_e32 v3, 16, v3
	global_store_dword v[0:1], v3, off
	s_mov_b64 s[20:21], -1
	s_mov_b64 s[4:5], 0
	s_branch .LBB206_34
.LBB206_18:
	s_mov_b64 s[2:3], 0
                                        ; implicit-def: $vgpr3
	s_cbranch_execnz .LBB206_168
	s_branch .LBB206_202
.LBB206_19:
	s_mov_b64 s[4:5], 0
	s_mov_b64 s[20:21], 0
	s_cbranch_execnz .LBB206_103
.LBB206_20:
	s_andn2_b64 vcc, exec, s[20:21]
	s_cbranch_vccnz .LBB206_141
.LBB206_21:
	v_add_u32_e32 v2, 0x80, v2
	s_mov_b64 s[2:3], -1
	s_branch .LBB206_251
.LBB206_22:
	s_mov_b64 s[4:5], -1
	s_mov_b64 s[2:3], 0
                                        ; implicit-def: $vgpr3
	s_branch .LBB206_149
.LBB206_23:
	s_mov_b64 s[26:27], -1
	s_mov_b64 s[4:5], 0
	s_mov_b64 s[20:21], 0
	s_branch .LBB206_61
.LBB206_24:
	s_mov_b64 s[4:5], -1
	s_mov_b64 s[2:3], 0
                                        ; implicit-def: $vgpr3
	s_branch .LBB206_144
.LBB206_25:
	s_mov_b64 s[26:27], -1
	s_mov_b64 s[4:5], 0
	s_mov_b64 s[20:21], 0
	s_branch .LBB206_44
.LBB206_26:
	s_mov_b64 s[4:5], -1
	s_branch .LBB206_29
.LBB206_27:
	s_mov_b64 s[26:27], -1
	s_mov_b64 s[4:5], 0
	s_mov_b64 s[20:21], 0
	s_branch .LBB206_40
.LBB206_28:
	s_mov_b64 s[22:23], -1
.LBB206_29:
	s_mov_b64 s[2:3], 0
                                        ; implicit-def: $vgpr3
.LBB206_30:
	s_and_b64 vcc, exec, s[4:5]
	s_cbranch_vccz .LBB206_143
; %bb.31:
	s_cmp_eq_u32 s26, 44
	s_cbranch_scc0 .LBB206_142
; %bb.32:
	global_load_ubyte v3, v[0:1], off
	s_movk_i32 s4, 0xff
	v_mov_b32_e32 v4, 0x7f800001
	v_mov_b32_e32 v5, 0x400000
	v_mov_b32_e32 v6, 0x7fc0
	s_mov_b64 s[2:3], -1
	s_mov_b64 s[22:23], 0
	s_waitcnt vmcnt(0)
	v_lshlrev_b32_e32 v7, 23, v3
	v_cmp_ne_u32_e32 vcc, s4, v3
	v_cndmask_b32_e32 v4, v4, v7, vcc
	v_cmp_ne_u32_e32 vcc, 0, v3
	v_cndmask_b32_e32 v3, v5, v4, vcc
	v_add_u32_e32 v4, 0x7fff, v3
	v_cmp_o_f32_e32 vcc, v3, v3
	v_cndmask_b32_sdwa v3, v6, v4, vcc dst_sel:DWORD dst_unused:UNUSED_PAD src0_sel:DWORD src1_sel:WORD_1
	s_branch .LBB206_143
.LBB206_33:
	s_mov_b64 s[26:27], -1
	s_mov_b64 s[4:5], 0
	s_mov_b64 s[20:21], 0
.LBB206_34:
	s_and_b64 vcc, exec, s[26:27]
	s_cbranch_vccz .LBB206_39
; %bb.35:
	s_cmp_eq_u32 s35, 44
	s_mov_b64 s[4:5], -1
	s_cbranch_scc0 .LBB206_39
; %bb.36:
	v_cndmask_b32_e64 v4, 0, 1.0, s[2:3]
	v_lshrrev_b32_e32 v3, 23, v4
	s_movk_i32 s4, 0xff
	v_cmp_ne_u32_e32 vcc, s4, v3
	v_mov_b32_e32 v5, 0xff
	s_and_saveexec_b64 s[20:21], vcc
; %bb.37:
	s_mov_b32 s4, 0x3fffff
	v_and_b32_e32 v5, 0x400000, v4
	v_and_or_b32 v4, v4, s4, v3
	v_cmp_ne_u32_e32 vcc, 0, v5
	v_cmp_ne_u32_e64 s[4:5], 0, v4
	s_and_b64 s[4:5], vcc, s[4:5]
	v_cndmask_b32_e64 v4, 0, 1, s[4:5]
	v_add_u32_e32 v5, v3, v4
; %bb.38:
	s_or_b64 exec, exec, s[20:21]
	s_mov_b64 s[20:21], -1
	s_mov_b64 s[4:5], 0
	global_store_byte v[0:1], v5, off
.LBB206_39:
	s_mov_b64 s[26:27], 0
.LBB206_40:
	s_and_b64 vcc, exec, s[26:27]
	s_cbranch_vccz .LBB206_43
; %bb.41:
	s_cmp_eq_u32 s35, 29
	s_mov_b64 s[4:5], -1
	s_cbranch_scc0 .LBB206_43
; %bb.42:
	s_mov_b32 s4, 0
	v_cndmask_b32_e64 v3, 0, 1, s[2:3]
	v_mov_b32_e32 v4, s4
	global_store_dwordx2 v[0:1], v[3:4], off
	s_mov_b64 s[20:21], -1
	s_mov_b64 s[4:5], 0
.LBB206_43:
	s_mov_b64 s[26:27], 0
.LBB206_44:
	s_and_b64 vcc, exec, s[26:27]
	s_cbranch_vccz .LBB206_60
; %bb.45:
	s_cmp_lt_i32 s35, 27
	s_mov_b64 s[20:21], -1
	s_cbranch_scc1 .LBB206_51
; %bb.46:
	s_cmp_gt_i32 s35, 27
	s_cbranch_scc0 .LBB206_48
; %bb.47:
	v_cndmask_b32_e64 v3, 0, 1, s[2:3]
	s_mov_b64 s[20:21], 0
	global_store_dword v[0:1], v3, off
.LBB206_48:
	s_andn2_b64 vcc, exec, s[20:21]
	s_cbranch_vccnz .LBB206_50
; %bb.49:
	v_cndmask_b32_e64 v3, 0, 1, s[2:3]
	global_store_short v[0:1], v3, off
.LBB206_50:
	s_mov_b64 s[20:21], 0
.LBB206_51:
	s_andn2_b64 vcc, exec, s[20:21]
	s_cbranch_vccnz .LBB206_59
; %bb.52:
	v_cndmask_b32_e64 v4, 0, 1.0, s[2:3]
	s_mov_b32 s20, 0x43800000
	v_cmp_gt_u32_e32 vcc, s20, v4
	v_mov_b32_e32 v5, 0x80
	s_and_saveexec_b64 s[20:21], vcc
	s_cbranch_execz .LBB206_58
; %bb.53:
	s_mov_b32 s26, 0x3bffffff
	v_cmp_lt_u32_e32 vcc, s26, v4
	s_mov_b64 s[26:27], 0
                                        ; implicit-def: $vgpr3
	s_and_saveexec_b64 s[30:31], vcc
	s_xor_b64 s[30:31], exec, s[30:31]
	s_cbranch_execz .LBB206_279
; %bb.54:
	v_bfe_u32 v3, v4, 20, 1
	s_mov_b32 s36, 0x487ffff
	v_add3_u32 v3, v4, v3, s36
	s_mov_b64 s[26:27], exec
	v_lshrrev_b32_e32 v3, 20, v3
                                        ; implicit-def: $vgpr4
	s_andn2_saveexec_b64 s[30:31], s[30:31]
	s_cbranch_execnz .LBB206_280
.LBB206_55:
	s_or_b64 exec, exec, s[30:31]
	v_mov_b32_e32 v5, 0
	s_and_saveexec_b64 s[30:31], s[26:27]
.LBB206_56:
	v_mov_b32_e32 v5, v3
.LBB206_57:
	s_or_b64 exec, exec, s[30:31]
.LBB206_58:
	s_or_b64 exec, exec, s[20:21]
	global_store_byte v[0:1], v5, off
.LBB206_59:
	s_mov_b64 s[20:21], -1
.LBB206_60:
	s_mov_b64 s[26:27], 0
.LBB206_61:
	s_and_b64 vcc, exec, s[26:27]
	s_cbranch_vccz .LBB206_102
; %bb.62:
	s_cmp_gt_i32 s35, 22
	s_mov_b64 s[26:27], -1
	s_cbranch_scc0 .LBB206_94
; %bb.63:
	s_cmp_lt_i32 s35, 24
	s_mov_b64 s[20:21], -1
	s_cbranch_scc1 .LBB206_83
; %bb.64:
	s_cmp_gt_i32 s35, 24
	s_cbranch_scc0 .LBB206_72
; %bb.65:
	v_cndmask_b32_e64 v4, 0, 1.0, s[2:3]
	s_mov_b32 s20, 0x47800000
	v_cmp_gt_u32_e32 vcc, s20, v4
	v_mov_b32_e32 v5, 0x80
	s_and_saveexec_b64 s[20:21], vcc
	s_cbranch_execz .LBB206_71
; %bb.66:
	s_mov_b32 s26, 0x37ffffff
	v_cmp_lt_u32_e32 vcc, s26, v4
	s_mov_b64 s[26:27], 0
                                        ; implicit-def: $vgpr3
	s_and_saveexec_b64 s[30:31], vcc
	s_xor_b64 s[30:31], exec, s[30:31]
	s_cbranch_execz .LBB206_283
; %bb.67:
	v_bfe_u32 v3, v4, 21, 1
	s_mov_b32 s36, 0x88fffff
	v_add3_u32 v3, v4, v3, s36
	s_mov_b64 s[26:27], exec
	v_lshrrev_b32_e32 v3, 21, v3
                                        ; implicit-def: $vgpr4
	s_andn2_saveexec_b64 s[30:31], s[30:31]
	s_cbranch_execnz .LBB206_284
.LBB206_68:
	s_or_b64 exec, exec, s[30:31]
	v_mov_b32_e32 v5, 0
	s_and_saveexec_b64 s[30:31], s[26:27]
.LBB206_69:
	v_mov_b32_e32 v5, v3
.LBB206_70:
	s_or_b64 exec, exec, s[30:31]
.LBB206_71:
	s_or_b64 exec, exec, s[20:21]
	s_mov_b64 s[20:21], 0
	global_store_byte v[0:1], v5, off
.LBB206_72:
	s_and_b64 vcc, exec, s[20:21]
	s_cbranch_vccz .LBB206_82
; %bb.73:
	v_cndmask_b32_e64 v3, 0, 1.0, s[2:3]
	s_mov_b32 s20, 0x43f00000
	v_cmp_gt_u32_e32 vcc, s20, v3
                                        ; implicit-def: $vgpr4
	s_and_saveexec_b64 s[20:21], vcc
	s_xor_b64 s[20:21], exec, s[20:21]
	s_cbranch_execz .LBB206_79
; %bb.74:
	s_mov_b32 s26, 0x3c7fffff
	v_cmp_lt_u32_e32 vcc, s26, v3
                                        ; implicit-def: $vgpr4
	s_and_saveexec_b64 s[26:27], vcc
	s_xor_b64 s[26:27], exec, s[26:27]
; %bb.75:
	v_bfe_u32 v4, v3, 20, 1
	s_mov_b32 s30, 0x407ffff
	v_add3_u32 v3, v3, v4, s30
	v_lshrrev_b32_e32 v4, 20, v3
	v_and_b32_e32 v3, 0xff00000, v3
	s_mov_b32 s30, 0x7f00000
	v_mov_b32_e32 v5, 0x7e
	v_cmp_ne_u32_e32 vcc, s30, v3
	v_cndmask_b32_e32 v4, v5, v4, vcc
                                        ; implicit-def: $vgpr3
; %bb.76:
	s_andn2_saveexec_b64 s[26:27], s[26:27]
; %bb.77:
	v_add_f32_e32 v4, 0x46800000, v3
; %bb.78:
	s_or_b64 exec, exec, s[26:27]
                                        ; implicit-def: $vgpr3
.LBB206_79:
	s_andn2_saveexec_b64 s[20:21], s[20:21]
; %bb.80:
	s_mov_b32 s26, 0x7f800000
	v_mov_b32_e32 v4, 0x7e
	v_mov_b32_e32 v5, 0x7f
	v_cmp_lt_u32_e32 vcc, s26, v3
	v_cndmask_b32_e32 v4, v4, v5, vcc
; %bb.81:
	s_or_b64 exec, exec, s[20:21]
	global_store_byte v[0:1], v4, off
.LBB206_82:
	s_mov_b64 s[20:21], 0
.LBB206_83:
	s_andn2_b64 vcc, exec, s[20:21]
	s_cbranch_vccnz .LBB206_93
; %bb.84:
	v_cndmask_b32_e64 v3, 0, 1.0, s[2:3]
	s_mov_b32 s20, 0x47800000
	v_cmp_gt_u32_e32 vcc, s20, v3
                                        ; implicit-def: $vgpr4
	s_and_saveexec_b64 s[20:21], vcc
	s_xor_b64 s[20:21], exec, s[20:21]
	s_cbranch_execz .LBB206_90
; %bb.85:
	s_mov_b32 s26, 0x387fffff
	v_cmp_lt_u32_e32 vcc, s26, v3
                                        ; implicit-def: $vgpr4
	s_and_saveexec_b64 s[26:27], vcc
	s_xor_b64 s[26:27], exec, s[26:27]
; %bb.86:
	v_bfe_u32 v4, v3, 21, 1
	s_mov_b32 s30, 0x80fffff
	v_add3_u32 v3, v3, v4, s30
	v_lshrrev_b32_e32 v4, 21, v3
                                        ; implicit-def: $vgpr3
; %bb.87:
	s_andn2_saveexec_b64 s[26:27], s[26:27]
; %bb.88:
	v_add_f32_e32 v4, 0x43000000, v3
; %bb.89:
	s_or_b64 exec, exec, s[26:27]
                                        ; implicit-def: $vgpr3
.LBB206_90:
	s_andn2_saveexec_b64 s[20:21], s[20:21]
; %bb.91:
	s_mov_b32 s26, 0x7f800000
	v_mov_b32_e32 v4, 0x7c
	v_mov_b32_e32 v5, 0x7f
	v_cmp_lt_u32_e32 vcc, s26, v3
	v_cndmask_b32_e32 v4, v4, v5, vcc
; %bb.92:
	s_or_b64 exec, exec, s[20:21]
	global_store_byte v[0:1], v4, off
.LBB206_93:
	s_mov_b64 s[26:27], 0
	s_mov_b64 s[20:21], -1
.LBB206_94:
	s_andn2_b64 vcc, exec, s[26:27]
	s_cbranch_vccnz .LBB206_102
; %bb.95:
	s_cmp_gt_i32 s35, 14
	s_mov_b64 s[26:27], -1
	s_cbranch_scc0 .LBB206_99
; %bb.96:
	s_cmp_eq_u32 s35, 15
	s_mov_b64 s[4:5], -1
	s_cbranch_scc0 .LBB206_98
; %bb.97:
	v_cndmask_b32_e64 v3, 0, 1.0, s[2:3]
	v_bfe_u32 v4, v3, 16, 1
	s_movk_i32 s4, 0x7fff
	v_add3_u32 v3, v3, v4, s4
	global_store_short_d16_hi v[0:1], v3, off
	s_mov_b64 s[20:21], -1
	s_mov_b64 s[4:5], 0
.LBB206_98:
	s_mov_b64 s[26:27], 0
.LBB206_99:
	s_and_b64 vcc, exec, s[26:27]
	s_cbranch_vccz .LBB206_102
; %bb.100:
	s_cmp_eq_u32 s35, 11
	s_mov_b64 s[4:5], -1
	s_cbranch_scc0 .LBB206_102
; %bb.101:
	v_cndmask_b32_e64 v3, 0, 1, s[2:3]
	s_mov_b64 s[20:21], -1
	s_mov_b64 s[4:5], 0
	global_store_byte v[0:1], v3, off
.LBB206_102:
	s_branch .LBB206_20
.LBB206_103:
	s_and_b32 s26, 0xffff, s34
	s_cmp_lt_i32 s26, 5
	s_mov_b64 s[20:21], -1
	s_cbranch_scc1 .LBB206_124
; %bb.104:
	s_cmp_lt_i32 s26, 8
	s_cbranch_scc1 .LBB206_114
; %bb.105:
	s_cmp_lt_i32 s26, 9
	s_cbranch_scc1 .LBB206_111
; %bb.106:
	s_cmp_gt_i32 s26, 9
	s_cbranch_scc0 .LBB206_108
; %bb.107:
	v_cndmask_b32_e64 v3, 0, 1, s[2:3]
	v_cvt_f64_u32_e32 v[3:4], v3
	v_mov_b32_e32 v5, 0
	v_mov_b32_e32 v6, v5
	s_mov_b64 s[20:21], 0
	global_store_dwordx4 v[0:1], v[3:6], off
.LBB206_108:
	s_andn2_b64 vcc, exec, s[20:21]
	s_cbranch_vccnz .LBB206_110
; %bb.109:
	v_cndmask_b32_e64 v3, 0, 1.0, s[2:3]
	v_mov_b32_e32 v4, 0
	global_store_dwordx2 v[0:1], v[3:4], off
.LBB206_110:
	s_mov_b64 s[20:21], 0
.LBB206_111:
	s_andn2_b64 vcc, exec, s[20:21]
	s_cbranch_vccnz .LBB206_113
; %bb.112:
	v_cndmask_b32_e64 v3, 0, 1.0, s[2:3]
	v_cvt_f16_f32_e32 v3, v3
	global_store_dword v[0:1], v3, off
.LBB206_113:
	s_mov_b64 s[20:21], 0
.LBB206_114:
	s_andn2_b64 vcc, exec, s[20:21]
	s_cbranch_vccnz .LBB206_123
; %bb.115:
	s_cmp_lt_i32 s26, 6
	s_mov_b64 s[20:21], -1
	s_cbranch_scc1 .LBB206_121
; %bb.116:
	s_cmp_gt_i32 s26, 6
	s_cbranch_scc0 .LBB206_118
; %bb.117:
	v_cndmask_b32_e64 v3, 0, 1, s[2:3]
	v_cvt_f64_u32_e32 v[3:4], v3
	s_mov_b64 s[20:21], 0
	global_store_dwordx2 v[0:1], v[3:4], off
.LBB206_118:
	s_andn2_b64 vcc, exec, s[20:21]
	s_cbranch_vccnz .LBB206_120
; %bb.119:
	v_cndmask_b32_e64 v3, 0, 1.0, s[2:3]
	global_store_dword v[0:1], v3, off
.LBB206_120:
	s_mov_b64 s[20:21], 0
.LBB206_121:
	s_andn2_b64 vcc, exec, s[20:21]
	s_cbranch_vccnz .LBB206_123
; %bb.122:
	v_cndmask_b32_e64 v3, 0, 1.0, s[2:3]
	v_cvt_f16_f32_e32 v3, v3
	global_store_short v[0:1], v3, off
.LBB206_123:
	s_mov_b64 s[20:21], 0
.LBB206_124:
	s_andn2_b64 vcc, exec, s[20:21]
	s_cbranch_vccnz .LBB206_140
; %bb.125:
	s_cmp_lt_i32 s26, 2
	s_mov_b64 s[20:21], -1
	s_cbranch_scc1 .LBB206_135
; %bb.126:
	s_cmp_lt_i32 s26, 3
	s_cbranch_scc1 .LBB206_132
; %bb.127:
	s_cmp_gt_i32 s26, 3
	s_cbranch_scc0 .LBB206_129
; %bb.128:
	s_mov_b32 s20, 0
	v_cndmask_b32_e64 v3, 0, 1, s[2:3]
	v_mov_b32_e32 v4, s20
	global_store_dwordx2 v[0:1], v[3:4], off
	s_mov_b64 s[20:21], 0
.LBB206_129:
	s_andn2_b64 vcc, exec, s[20:21]
	s_cbranch_vccnz .LBB206_131
; %bb.130:
	v_cndmask_b32_e64 v3, 0, 1, s[2:3]
	global_store_dword v[0:1], v3, off
.LBB206_131:
	s_mov_b64 s[20:21], 0
.LBB206_132:
	s_andn2_b64 vcc, exec, s[20:21]
	s_cbranch_vccnz .LBB206_134
; %bb.133:
	v_cndmask_b32_e64 v3, 0, 1, s[2:3]
	global_store_short v[0:1], v3, off
.LBB206_134:
	s_mov_b64 s[20:21], 0
.LBB206_135:
	s_andn2_b64 vcc, exec, s[20:21]
	s_cbranch_vccnz .LBB206_140
; %bb.136:
	s_mov_b64 s[20:21], -1
	s_cmp_gt_i32 s26, 0
	v_cndmask_b32_e64 v3, 0, 1, s[2:3]
	s_cbranch_scc0 .LBB206_138
; %bb.137:
	global_store_byte v[0:1], v3, off
	s_mov_b64 s[20:21], 0
.LBB206_138:
	s_andn2_b64 vcc, exec, s[20:21]
	s_cbranch_vccnz .LBB206_140
; %bb.139:
	global_store_byte v[0:1], v3, off
.LBB206_140:
	s_branch .LBB206_21
.LBB206_141:
	s_mov_b64 s[2:3], 0
                                        ; implicit-def: $vgpr2
	s_branch .LBB206_251
.LBB206_142:
	s_mov_b64 s[22:23], -1
                                        ; implicit-def: $vgpr3
.LBB206_143:
	s_mov_b64 s[4:5], 0
.LBB206_144:
	s_and_b64 vcc, exec, s[4:5]
	s_cbranch_vccz .LBB206_148
; %bb.145:
	s_cmp_eq_u32 s26, 29
	s_cbranch_scc0 .LBB206_147
; %bb.146:
	global_load_dwordx2 v[3:4], v[0:1], off
	s_movk_i32 s4, 0x7fff
	s_mov_b64 s[2:3], -1
	s_mov_b64 s[22:23], 0
	s_waitcnt vmcnt(0)
	v_ffbh_u32_e32 v5, v4
	v_min_u32_e32 v5, 32, v5
	v_lshlrev_b64 v[3:4], v5, v[3:4]
	v_min_u32_e32 v3, 1, v3
	v_or_b32_e32 v3, v4, v3
	v_cvt_f32_u32_e32 v3, v3
	v_sub_u32_e32 v4, 32, v5
	v_ldexp_f32 v3, v3, v4
	v_bfe_u32 v4, v3, 16, 1
	v_add3_u32 v3, v3, v4, s4
	v_lshrrev_b32_e32 v3, 16, v3
	s_branch .LBB206_148
.LBB206_147:
	s_mov_b64 s[22:23], -1
                                        ; implicit-def: $vgpr3
.LBB206_148:
	s_mov_b64 s[4:5], 0
.LBB206_149:
	s_and_b64 vcc, exec, s[4:5]
	s_cbranch_vccz .LBB206_167
; %bb.150:
	s_cmp_lt_i32 s26, 27
	s_cbranch_scc1 .LBB206_153
; %bb.151:
	s_cmp_gt_i32 s26, 27
	s_cbranch_scc0 .LBB206_154
; %bb.152:
	global_load_dword v3, v[0:1], off
	s_movk_i32 s2, 0x7fff
	s_waitcnt vmcnt(0)
	v_cvt_f32_u32_e32 v3, v3
	v_bfe_u32 v4, v3, 16, 1
	v_add3_u32 v3, v3, v4, s2
	v_lshrrev_b32_e32 v3, 16, v3
	s_mov_b64 s[2:3], 0
	s_branch .LBB206_155
.LBB206_153:
	s_mov_b64 s[2:3], -1
                                        ; implicit-def: $vgpr3
	s_branch .LBB206_158
.LBB206_154:
	s_mov_b64 s[2:3], -1
                                        ; implicit-def: $vgpr3
.LBB206_155:
	s_andn2_b64 vcc, exec, s[2:3]
	s_cbranch_vccnz .LBB206_157
; %bb.156:
	global_load_ushort v3, v[0:1], off
	s_movk_i32 s2, 0x7fff
	s_waitcnt vmcnt(0)
	v_cvt_f32_u32_e32 v3, v3
	v_bfe_u32 v4, v3, 16, 1
	v_add3_u32 v3, v3, v4, s2
	v_lshrrev_b32_e32 v3, 16, v3
.LBB206_157:
	s_mov_b64 s[2:3], 0
.LBB206_158:
	s_andn2_b64 vcc, exec, s[2:3]
	s_cbranch_vccnz .LBB206_166
; %bb.159:
	global_load_ubyte v3, v[0:1], off
	s_movk_i32 s2, 0x7f
	s_waitcnt vmcnt(0)
	v_cmp_lt_i16_e32 vcc, s2, v3
	s_mov_b64 s[2:3], 0
	s_and_saveexec_b64 s[4:5], vcc
	s_xor_b64 s[4:5], exec, s[4:5]
	s_cbranch_execz .LBB206_179
; %bb.160:
	s_movk_i32 s2, 0x80
	v_cmp_eq_u16_e32 vcc, s2, v3
	s_mov_b64 s[2:3], -1
	s_and_saveexec_b64 s[20:21], vcc
; %bb.161:
	s_xor_b64 s[2:3], exec, -1
; %bb.162:
	s_or_b64 exec, exec, s[20:21]
	s_and_b64 s[2:3], s[2:3], exec
	s_or_saveexec_b64 s[4:5], s[4:5]
	v_mov_b32_e32 v4, 0x7f800001
	s_xor_b64 exec, exec, s[4:5]
	s_cbranch_execnz .LBB206_180
.LBB206_163:
	s_or_b64 exec, exec, s[4:5]
	s_and_saveexec_b64 s[4:5], s[2:3]
	s_cbranch_execz .LBB206_165
.LBB206_164:
	v_lshlrev_b32_e32 v4, 24, v3
	v_and_b32_e32 v3, 0xffff, v3
	v_and_b32_e32 v5, 7, v3
	v_ffbh_u32_e32 v7, v5
	v_min_u32_e32 v7, 32, v7
	v_subrev_u32_e32 v8, 28, v7
	v_bfe_u32 v6, v3, 3, 4
	v_lshlrev_b32_e32 v3, v8, v3
	v_sub_u32_e32 v7, 29, v7
	v_and_b32_e32 v3, 7, v3
	v_cmp_eq_u32_e32 vcc, 0, v6
	v_cndmask_b32_e32 v6, v6, v7, vcc
	v_cndmask_b32_e32 v3, v5, v3, vcc
	v_mov_b32_e32 v5, 0x3b800000
	v_lshlrev_b32_e32 v3, 20, v3
	v_and_b32_e32 v4, 0x80000000, v4
	v_lshl_add_u32 v5, v6, 23, v5
	v_or3_b32 v4, v4, v5, v3
.LBB206_165:
	s_or_b64 exec, exec, s[4:5]
	v_bfe_u32 v3, v4, 16, 1
	s_movk_i32 s2, 0x7fff
	v_add3_u32 v3, v4, v3, s2
	v_cmp_o_f32_e32 vcc, v4, v4
	v_mov_b32_e32 v4, 0x7fc0
	v_cndmask_b32_sdwa v3, v4, v3, vcc dst_sel:DWORD dst_unused:UNUSED_PAD src0_sel:DWORD src1_sel:WORD_1
.LBB206_166:
	s_mov_b64 s[2:3], -1
.LBB206_167:
	s_branch .LBB206_202
.LBB206_168:
	s_cmp_gt_i32 s26, 22
	s_cbranch_scc0 .LBB206_178
; %bb.169:
	s_cmp_lt_i32 s26, 24
	s_cbranch_scc1 .LBB206_181
; %bb.170:
	s_cmp_gt_i32 s26, 24
	s_cbranch_scc0 .LBB206_182
; %bb.171:
	global_load_ubyte v3, v[0:1], off
	s_movk_i32 s2, 0x7f
	s_waitcnt vmcnt(0)
	v_cmp_lt_i16_e32 vcc, s2, v3
	s_mov_b64 s[2:3], 0
	s_and_saveexec_b64 s[4:5], vcc
	s_xor_b64 s[4:5], exec, s[4:5]
	s_cbranch_execz .LBB206_194
; %bb.172:
	s_movk_i32 s2, 0x80
	v_cmp_eq_u16_e32 vcc, s2, v3
	s_mov_b64 s[2:3], -1
	s_and_saveexec_b64 s[20:21], vcc
; %bb.173:
	s_xor_b64 s[2:3], exec, -1
; %bb.174:
	s_or_b64 exec, exec, s[20:21]
	s_and_b64 s[2:3], s[2:3], exec
	s_or_saveexec_b64 s[4:5], s[4:5]
	v_mov_b32_e32 v4, 0x7f800001
	s_xor_b64 exec, exec, s[4:5]
	s_cbranch_execnz .LBB206_195
.LBB206_175:
	s_or_b64 exec, exec, s[4:5]
	s_and_saveexec_b64 s[4:5], s[2:3]
	s_cbranch_execz .LBB206_177
.LBB206_176:
	v_lshlrev_b32_e32 v4, 24, v3
	v_and_b32_e32 v3, 0xffff, v3
	v_and_b32_e32 v5, 3, v3
	v_ffbh_u32_e32 v7, v5
	v_min_u32_e32 v7, 32, v7
	v_subrev_u32_e32 v8, 29, v7
	v_bfe_u32 v6, v3, 2, 5
	v_lshlrev_b32_e32 v3, v8, v3
	v_sub_u32_e32 v7, 30, v7
	v_and_b32_e32 v3, 3, v3
	v_cmp_eq_u32_e32 vcc, 0, v6
	v_cndmask_b32_e32 v6, v6, v7, vcc
	v_cndmask_b32_e32 v3, v5, v3, vcc
	v_mov_b32_e32 v5, 0x37800000
	v_lshlrev_b32_e32 v3, 21, v3
	v_and_b32_e32 v4, 0x80000000, v4
	v_lshl_add_u32 v5, v6, 23, v5
	v_or3_b32 v4, v4, v5, v3
.LBB206_177:
	s_or_b64 exec, exec, s[4:5]
	v_bfe_u32 v3, v4, 16, 1
	s_movk_i32 s2, 0x7fff
	v_add3_u32 v3, v4, v3, s2
	v_cmp_o_f32_e32 vcc, v4, v4
	v_mov_b32_e32 v4, 0x7fc0
	v_cndmask_b32_sdwa v3, v4, v3, vcc dst_sel:DWORD dst_unused:UNUSED_PAD src0_sel:DWORD src1_sel:WORD_1
	s_mov_b64 s[2:3], 0
	s_branch .LBB206_183
.LBB206_178:
	s_mov_b64 s[4:5], -1
                                        ; implicit-def: $vgpr3
	s_branch .LBB206_189
.LBB206_179:
	s_or_saveexec_b64 s[4:5], s[4:5]
	v_mov_b32_e32 v4, 0x7f800001
	s_xor_b64 exec, exec, s[4:5]
	s_cbranch_execz .LBB206_163
.LBB206_180:
	v_cmp_ne_u16_e32 vcc, 0, v3
	s_andn2_b64 s[2:3], s[2:3], exec
	s_and_b64 s[20:21], vcc, exec
	v_mov_b32_e32 v4, 0
	s_or_b64 s[2:3], s[2:3], s[20:21]
	s_or_b64 exec, exec, s[4:5]
	s_and_saveexec_b64 s[4:5], s[2:3]
	s_cbranch_execnz .LBB206_164
	s_branch .LBB206_165
.LBB206_181:
	s_mov_b64 s[2:3], -1
                                        ; implicit-def: $vgpr3
	s_branch .LBB206_186
.LBB206_182:
	s_mov_b64 s[2:3], -1
                                        ; implicit-def: $vgpr3
.LBB206_183:
	s_and_b64 vcc, exec, s[2:3]
	s_cbranch_vccz .LBB206_185
; %bb.184:
	global_load_ubyte v3, v[0:1], off
	s_mov_b32 s2, 0x7f800000
	s_brev_b32 s3, 1
	s_movk_i32 s4, 0x7fff
	s_waitcnt vmcnt(0)
	v_lshlrev_b32_e32 v3, 24, v3
	v_and_b32_e32 v4, 0x7f000000, v3
	v_ffbh_u32_e32 v5, v4
	v_min_u32_e32 v5, 32, v5
	v_sub_u32_e64 v5, v5, 4 clamp
	v_lshlrev_b32_e32 v7, v5, v4
	v_lshlrev_b32_e32 v5, 23, v5
	v_lshrrev_b32_e32 v7, 4, v7
	v_add_u32_e32 v6, 0x1000000, v4
	v_sub_u32_e32 v5, v7, v5
	v_ashrrev_i32_e32 v6, 8, v6
	v_add_u32_e32 v5, 0x3c000000, v5
	v_and_or_b32 v5, v6, s2, v5
	v_cmp_ne_u32_e32 vcc, 0, v4
	v_cndmask_b32_e32 v4, 0, v5, vcc
	v_and_or_b32 v3, v3, s3, v4
	v_bfe_u32 v4, v4, 16, 1
	v_add3_u32 v4, v3, v4, s4
	v_cmp_o_f32_e32 vcc, v3, v3
	v_mov_b32_e32 v3, 0x7fc0
	v_cndmask_b32_sdwa v3, v3, v4, vcc dst_sel:DWORD dst_unused:UNUSED_PAD src0_sel:DWORD src1_sel:WORD_1
.LBB206_185:
	s_mov_b64 s[2:3], 0
.LBB206_186:
	s_andn2_b64 vcc, exec, s[2:3]
	s_cbranch_vccnz .LBB206_188
; %bb.187:
	global_load_ubyte v3, v[0:1], off
	s_movk_i32 s2, 0x7f00
	s_brev_b32 s3, 16
	s_brev_b32 s4, 1
	s_movk_i32 s5, 0x7fff
	s_waitcnt vmcnt(0)
	v_lshlrev_b16_e32 v4, 8, v3
	v_lshlrev_b32_e32 v3, 25, v3
	v_lshrrev_b32_e32 v5, 4, v3
	v_and_or_b32 v6, v4, s2, 0.5
	v_or_b32_e32 v5, 0x70000000, v5
	v_add_f32_e32 v6, -0.5, v6
	v_mul_f32_e32 v5, 0x7800000, v5
	v_cmp_gt_u32_e32 vcc, s3, v3
	v_bfe_i32 v4, v4, 0, 16
	v_cndmask_b32_e32 v3, v5, v6, vcc
	v_and_or_b32 v4, v4, s4, v3
	v_bfe_u32 v3, v3, 16, 1
	v_add3_u32 v3, v4, v3, s5
	v_cmp_o_f32_e32 vcc, v4, v4
	v_mov_b32_e32 v4, 0x7fc0
	v_cndmask_b32_sdwa v3, v4, v3, vcc dst_sel:DWORD dst_unused:UNUSED_PAD src0_sel:DWORD src1_sel:WORD_1
.LBB206_188:
	s_mov_b64 s[4:5], 0
	s_mov_b64 s[2:3], -1
.LBB206_189:
	s_andn2_b64 vcc, exec, s[4:5]
	s_cbranch_vccnz .LBB206_202
; %bb.190:
	s_cmp_gt_i32 s26, 14
	s_cbranch_scc0 .LBB206_193
; %bb.191:
	s_cmp_eq_u32 s26, 15
	s_cbranch_scc0 .LBB206_196
; %bb.192:
	global_load_ushort v3, v[0:1], off
	s_mov_b64 s[2:3], -1
	s_mov_b64 s[22:23], 0
	s_branch .LBB206_197
.LBB206_193:
	s_mov_b64 s[4:5], -1
                                        ; implicit-def: $vgpr3
	s_branch .LBB206_198
.LBB206_194:
	s_or_saveexec_b64 s[4:5], s[4:5]
	v_mov_b32_e32 v4, 0x7f800001
	s_xor_b64 exec, exec, s[4:5]
	s_cbranch_execz .LBB206_175
.LBB206_195:
	v_cmp_ne_u16_e32 vcc, 0, v3
	s_andn2_b64 s[2:3], s[2:3], exec
	s_and_b64 s[20:21], vcc, exec
	v_mov_b32_e32 v4, 0
	s_or_b64 s[2:3], s[2:3], s[20:21]
	s_or_b64 exec, exec, s[4:5]
	s_and_saveexec_b64 s[4:5], s[2:3]
	s_cbranch_execnz .LBB206_176
	s_branch .LBB206_177
.LBB206_196:
	s_mov_b64 s[22:23], -1
                                        ; implicit-def: $vgpr3
.LBB206_197:
	s_mov_b64 s[4:5], 0
.LBB206_198:
	s_and_b64 vcc, exec, s[4:5]
	s_cbranch_vccz .LBB206_202
; %bb.199:
	s_cmp_eq_u32 s26, 11
	s_cbranch_scc0 .LBB206_201
; %bb.200:
	global_load_ubyte v3, v[0:1], off
	s_mov_b64 s[2:3], -1
	s_mov_b64 s[22:23], 0
	s_waitcnt vmcnt(0)
	v_cmp_ne_u16_e32 vcc, 0, v3
	v_cndmask_b32_e64 v3, 0, 1.0, vcc
	v_lshrrev_b32_e32 v3, 16, v3
	s_branch .LBB206_202
.LBB206_201:
	s_mov_b64 s[22:23], -1
                                        ; implicit-def: $vgpr3
.LBB206_202:
	s_branch .LBB206_10
.LBB206_203:
	s_cmp_lt_i32 s26, 5
	s_cbranch_scc1 .LBB206_208
; %bb.204:
	s_cmp_lt_i32 s26, 8
	s_cbranch_scc1 .LBB206_209
; %bb.205:
	;; [unrolled: 3-line block ×3, first 2 shown]
	s_cmp_gt_i32 s26, 9
	s_cbranch_scc0 .LBB206_211
; %bb.207:
	global_load_dwordx2 v[3:4], v[0:1], off
	s_movk_i32 s2, 0x7fff
	s_waitcnt vmcnt(0)
	v_cvt_f32_f64_e32 v3, v[3:4]
	v_mov_b32_e32 v4, 0x7fc0
	v_bfe_u32 v5, v3, 16, 1
	v_cmp_o_f32_e32 vcc, v3, v3
	v_add3_u32 v3, v3, v5, s2
	v_cndmask_b32_sdwa v3, v4, v3, vcc dst_sel:DWORD dst_unused:UNUSED_PAD src0_sel:DWORD src1_sel:WORD_1
	s_mov_b64 s[2:3], 0
	s_branch .LBB206_212
.LBB206_208:
                                        ; implicit-def: $vgpr3
	s_branch .LBB206_230
.LBB206_209:
	s_mov_b64 s[2:3], -1
                                        ; implicit-def: $vgpr3
	s_branch .LBB206_218
.LBB206_210:
	s_mov_b64 s[2:3], -1
                                        ; implicit-def: $vgpr3
	s_branch .LBB206_215
.LBB206_211:
	s_mov_b64 s[2:3], -1
                                        ; implicit-def: $vgpr3
.LBB206_212:
	s_andn2_b64 vcc, exec, s[2:3]
	s_cbranch_vccnz .LBB206_214
; %bb.213:
	global_load_dword v3, v[0:1], off
	s_movk_i32 s2, 0x7fff
	v_mov_b32_e32 v4, 0x7fc0
	s_waitcnt vmcnt(0)
	v_bfe_u32 v5, v3, 16, 1
	v_cmp_o_f32_e32 vcc, v3, v3
	v_add3_u32 v3, v3, v5, s2
	v_cndmask_b32_sdwa v3, v4, v3, vcc dst_sel:DWORD dst_unused:UNUSED_PAD src0_sel:DWORD src1_sel:WORD_1
.LBB206_214:
	s_mov_b64 s[2:3], 0
.LBB206_215:
	s_andn2_b64 vcc, exec, s[2:3]
	s_cbranch_vccnz .LBB206_217
; %bb.216:
	global_load_dword v3, v[0:1], off
	s_movk_i32 s2, 0x7fff
	v_mov_b32_e32 v5, 0x7fc0
	s_waitcnt vmcnt(0)
	v_cvt_f32_f16_e32 v4, v3
	v_cmp_o_f16_e32 vcc, v3, v3
	v_bfe_u32 v3, v4, 16, 1
	v_add3_u32 v3, v4, v3, s2
	v_cndmask_b32_sdwa v3, v5, v3, vcc dst_sel:DWORD dst_unused:UNUSED_PAD src0_sel:DWORD src1_sel:WORD_1
.LBB206_217:
	s_mov_b64 s[2:3], 0
.LBB206_218:
	s_andn2_b64 vcc, exec, s[2:3]
	s_cbranch_vccnz .LBB206_229
; %bb.219:
	s_cmp_lt_i32 s26, 6
	s_cbranch_scc1 .LBB206_222
; %bb.220:
	s_cmp_gt_i32 s26, 6
	s_cbranch_scc0 .LBB206_223
; %bb.221:
	global_load_dwordx2 v[3:4], v[0:1], off
	s_movk_i32 s2, 0x7fff
	s_waitcnt vmcnt(0)
	v_cvt_f32_f64_e32 v3, v[3:4]
	v_mov_b32_e32 v4, 0x7fc0
	v_bfe_u32 v5, v3, 16, 1
	v_cmp_o_f32_e32 vcc, v3, v3
	v_add3_u32 v3, v3, v5, s2
	v_cndmask_b32_sdwa v3, v4, v3, vcc dst_sel:DWORD dst_unused:UNUSED_PAD src0_sel:DWORD src1_sel:WORD_1
	s_mov_b64 s[2:3], 0
	s_branch .LBB206_224
.LBB206_222:
	s_mov_b64 s[2:3], -1
                                        ; implicit-def: $vgpr3
	s_branch .LBB206_227
.LBB206_223:
	s_mov_b64 s[2:3], -1
                                        ; implicit-def: $vgpr3
.LBB206_224:
	s_andn2_b64 vcc, exec, s[2:3]
	s_cbranch_vccnz .LBB206_226
; %bb.225:
	global_load_dword v3, v[0:1], off
	s_movk_i32 s2, 0x7fff
	v_mov_b32_e32 v4, 0x7fc0
	s_waitcnt vmcnt(0)
	v_bfe_u32 v5, v3, 16, 1
	v_cmp_o_f32_e32 vcc, v3, v3
	v_add3_u32 v3, v3, v5, s2
	v_cndmask_b32_sdwa v3, v4, v3, vcc dst_sel:DWORD dst_unused:UNUSED_PAD src0_sel:DWORD src1_sel:WORD_1
.LBB206_226:
	s_mov_b64 s[2:3], 0
.LBB206_227:
	s_andn2_b64 vcc, exec, s[2:3]
	s_cbranch_vccnz .LBB206_229
; %bb.228:
	global_load_ushort v3, v[0:1], off
	s_movk_i32 s2, 0x7fff
	v_mov_b32_e32 v5, 0x7fc0
	s_waitcnt vmcnt(0)
	v_cvt_f32_f16_e32 v4, v3
	v_cmp_o_f16_e32 vcc, v3, v3
	v_bfe_u32 v3, v4, 16, 1
	v_add3_u32 v3, v4, v3, s2
	v_cndmask_b32_sdwa v3, v5, v3, vcc dst_sel:DWORD dst_unused:UNUSED_PAD src0_sel:DWORD src1_sel:WORD_1
.LBB206_229:
	s_cbranch_execnz .LBB206_249
.LBB206_230:
	s_cmp_lt_i32 s26, 2
	s_cbranch_scc1 .LBB206_234
; %bb.231:
	s_cmp_lt_i32 s26, 3
	s_cbranch_scc1 .LBB206_235
; %bb.232:
	s_cmp_gt_i32 s26, 3
	s_cbranch_scc0 .LBB206_236
; %bb.233:
	global_load_dwordx2 v[3:4], v[0:1], off
	s_movk_i32 s2, 0x7fff
	s_waitcnt vmcnt(0)
	v_xor_b32_e32 v6, v3, v4
	v_ffbh_i32_e32 v5, v4
	v_ashrrev_i32_e32 v6, 31, v6
	v_add_u32_e32 v5, -1, v5
	v_add_u32_e32 v6, 32, v6
	v_min_u32_e32 v5, v5, v6
	v_lshlrev_b64 v[3:4], v5, v[3:4]
	v_min_u32_e32 v3, 1, v3
	v_or_b32_e32 v3, v4, v3
	v_cvt_f32_i32_e32 v3, v3
	v_sub_u32_e32 v4, 32, v5
	v_ldexp_f32 v3, v3, v4
	v_bfe_u32 v4, v3, 16, 1
	v_add3_u32 v3, v3, v4, s2
	v_lshrrev_b32_e32 v3, 16, v3
	s_mov_b64 s[2:3], 0
	s_branch .LBB206_237
.LBB206_234:
	s_mov_b64 s[2:3], -1
                                        ; implicit-def: $vgpr3
	s_branch .LBB206_243
.LBB206_235:
	s_mov_b64 s[2:3], -1
                                        ; implicit-def: $vgpr3
	s_branch .LBB206_240
.LBB206_236:
	s_mov_b64 s[2:3], -1
                                        ; implicit-def: $vgpr3
.LBB206_237:
	s_andn2_b64 vcc, exec, s[2:3]
	s_cbranch_vccnz .LBB206_239
; %bb.238:
	global_load_dword v3, v[0:1], off
	s_movk_i32 s2, 0x7fff
	s_waitcnt vmcnt(0)
	v_cvt_f32_i32_e32 v3, v3
	v_bfe_u32 v4, v3, 16, 1
	v_add3_u32 v3, v3, v4, s2
	v_lshrrev_b32_e32 v3, 16, v3
.LBB206_239:
	s_mov_b64 s[2:3], 0
.LBB206_240:
	s_andn2_b64 vcc, exec, s[2:3]
	s_cbranch_vccnz .LBB206_242
; %bb.241:
	global_load_sshort v3, v[0:1], off
	s_movk_i32 s2, 0x7fff
	s_waitcnt vmcnt(0)
	v_cvt_f32_i32_e32 v3, v3
	v_bfe_u32 v4, v3, 16, 1
	v_add3_u32 v3, v3, v4, s2
	v_lshrrev_b32_e32 v3, 16, v3
.LBB206_242:
	s_mov_b64 s[2:3], 0
.LBB206_243:
	s_andn2_b64 vcc, exec, s[2:3]
	s_cbranch_vccnz .LBB206_249
; %bb.244:
	s_cmp_gt_i32 s26, 0
	s_cbranch_scc0 .LBB206_246
; %bb.245:
	global_load_sbyte v3, v[0:1], off
	s_movk_i32 s2, 0x7fff
	s_waitcnt vmcnt(0)
	v_cvt_f32_i32_e32 v3, v3
	v_bfe_u32 v4, v3, 16, 1
	v_add3_u32 v3, v3, v4, s2
	v_lshrrev_b32_e32 v3, 16, v3
	s_mov_b64 s[2:3], 0
	s_branch .LBB206_247
.LBB206_246:
	s_mov_b64 s[2:3], -1
                                        ; implicit-def: $vgpr3
.LBB206_247:
	s_andn2_b64 vcc, exec, s[2:3]
	s_cbranch_vccnz .LBB206_249
; %bb.248:
	global_load_ubyte v0, v[0:1], off
	s_movk_i32 s2, 0x7fff
	s_waitcnt vmcnt(0)
	v_cvt_f32_ubyte0_e32 v0, v0
	v_bfe_u32 v1, v0, 16, 1
	v_add3_u32 v0, v0, v1, s2
	v_lshrrev_b32_e32 v3, 16, v0
.LBB206_249:
	s_branch .LBB206_11
.LBB206_250:
	s_mov_b64 s[4:5], 0
                                        ; implicit-def: $vgpr2
	s_mov_b64 s[2:3], 0
.LBB206_251:
	s_and_b64 s[20:21], s[4:5], exec
	s_and_b64 s[22:23], s[22:23], exec
	s_orn2_b64 s[2:3], s[2:3], exec
.LBB206_252:
	s_or_b64 exec, exec, s[24:25]
	s_mov_b64 s[34:35], 0
	s_mov_b64 s[30:31], 0
                                        ; implicit-def: $vgpr0_vgpr1
                                        ; implicit-def: $vgpr3
	s_and_saveexec_b64 s[24:25], s[2:3]
	s_cbranch_execz .LBB206_261
; %bb.253:
	v_cmp_gt_i32_e32 vcc, s44, v2
	s_mov_b64 s[2:3], -1
	s_mov_b64 s[26:27], s[22:23]
	s_mov_b64 s[28:29], s[20:21]
	s_and_saveexec_b64 s[30:31], vcc
	s_cbranch_execz .LBB206_514
; %bb.254:
	v_mul_lo_u32 v0, v2, s13
	v_mov_b32_e32 v1, s11
	s_and_b32 s34, 0xffff, s16
	s_cmp_lt_i32 s34, 11
	s_waitcnt vmcnt(0)
	v_ashrrev_i32_e32 v3, 31, v0
	v_add_co_u32_e32 v0, vcc, s10, v0
	v_addc_co_u32_e32 v1, vcc, v1, v3, vcc
	s_cbranch_scc1 .LBB206_264
; %bb.255:
	s_cmp_gt_i32 s34, 25
	s_cbranch_scc0 .LBB206_273
; %bb.256:
	s_cmp_gt_i32 s34, 28
	s_cbranch_scc0 .LBB206_275
	;; [unrolled: 3-line block ×4, first 2 shown]
; %bb.259:
	s_cmp_eq_u32 s34, 46
	s_mov_b64 s[4:5], 0
	s_cbranch_scc0 .LBB206_285
; %bb.260:
	global_load_dword v3, v[0:1], off
	s_mov_b64 s[26:27], 0
	s_branch .LBB206_286
.LBB206_261:
	s_or_b64 exec, exec, s[24:25]
	s_mov_b64 s[2:3], 0
	s_and_saveexec_b64 s[4:5], s[22:23]
	s_cbranch_execnz .LBB206_861
.LBB206_262:
	s_or_b64 exec, exec, s[4:5]
	s_and_saveexec_b64 s[4:5], s[28:29]
	s_xor_b64 s[4:5], exec, s[4:5]
	s_cbranch_execz .LBB206_862
.LBB206_263:
	global_load_ubyte v3, v[0:1], off
	s_or_b64 s[30:31], s[30:31], exec
	s_waitcnt vmcnt(0)
	v_cmp_ne_u16_e32 vcc, 0, v3
	v_cndmask_b32_e64 v3, 0, 1.0, vcc
	v_lshrrev_b32_e32 v3, 16, v3
	s_or_b64 exec, exec, s[4:5]
	s_and_saveexec_b64 s[4:5], s[34:35]
	s_cbranch_execz .LBB206_908
	s_branch .LBB206_863
.LBB206_264:
	s_mov_b64 s[2:3], 0
                                        ; implicit-def: $vgpr3
	s_mov_b64 s[26:27], s[22:23]
	s_cbranch_execnz .LBB206_463
.LBB206_265:
	s_andn2_b64 vcc, exec, s[2:3]
	s_cbranch_vccnz .LBB206_511
.LBB206_266:
	s_waitcnt vmcnt(0)
	v_lshlrev_b32_e32 v0, 16, v3
	v_cmp_eq_f32_e32 vcc, s33, v0
	v_cndmask_b32_e64 v1, 0, 1, vcc
	v_cmp_neq_f32_e32 vcc, s33, v0
	v_mul_lo_u32 v3, v2, s12
	v_cndmask_b32_e64 v0, 0, 1, vcc
	v_cndmask_b32_e64 v0, v0, v1, s[0:1]
	v_and_b32_e32 v0, 1, v0
	v_cmp_eq_u32_e64 s[2:3], 1, v0
	v_ashrrev_i32_e32 v1, 31, v3
	v_mov_b32_e32 v4, s9
	s_and_b32 s38, s17, 0xff
	v_add_co_u32_e32 v0, vcc, s8, v3
	s_cmp_lt_i32 s38, 11
	v_addc_co_u32_e32 v1, vcc, v4, v1, vcc
	s_cbranch_scc1 .LBB206_274
; %bb.267:
	s_and_b32 s39, 0xffff, s38
	s_cmp_gt_i32 s39, 25
	s_cbranch_scc0 .LBB206_276
; %bb.268:
	s_cmp_gt_i32 s39, 28
	s_cbranch_scc0 .LBB206_278
; %bb.269:
	;; [unrolled: 3-line block ×4, first 2 shown]
	s_mov_b64 s[34:35], 0
	s_mov_b64 s[4:5], -1
	s_cmp_eq_u32 s39, 46
	s_mov_b64 s[28:29], 0
	s_cbranch_scc0 .LBB206_290
; %bb.272:
	v_cndmask_b32_e64 v3, 0, 1.0, s[2:3]
	v_bfe_u32 v4, v3, 16, 1
	s_movk_i32 s4, 0x7fff
	v_add3_u32 v3, v3, v4, s4
	v_lshrrev_b32_e32 v3, 16, v3
	global_store_dword v[0:1], v3, off
	s_mov_b64 s[28:29], -1
	s_mov_b64 s[4:5], 0
	s_branch .LBB206_290
.LBB206_273:
	s_mov_b64 s[4:5], -1
	s_mov_b64 s[2:3], 0
	s_mov_b64 s[26:27], s[22:23]
                                        ; implicit-def: $vgpr3
	s_branch .LBB206_427
.LBB206_274:
	s_mov_b64 s[34:35], -1
	s_mov_b64 s[28:29], 0
	s_mov_b64 s[4:5], s[20:21]
	s_branch .LBB206_359
.LBB206_275:
	s_mov_b64 s[4:5], -1
	s_mov_b64 s[2:3], 0
	s_mov_b64 s[26:27], s[22:23]
                                        ; implicit-def: $vgpr3
	s_branch .LBB206_408
.LBB206_276:
	s_mov_b64 s[34:35], -1
	s_mov_b64 s[28:29], 0
	s_mov_b64 s[4:5], s[20:21]
	s_branch .LBB206_317
.LBB206_277:
	s_mov_b64 s[4:5], -1
	s_mov_b64 s[2:3], 0
	s_mov_b64 s[26:27], s[22:23]
                                        ; implicit-def: $vgpr3
	s_branch .LBB206_403
.LBB206_278:
	s_mov_b64 s[34:35], -1
	s_mov_b64 s[28:29], 0
	s_mov_b64 s[4:5], s[20:21]
	s_branch .LBB206_300
.LBB206_279:
	s_andn2_saveexec_b64 s[30:31], s[30:31]
	s_cbranch_execz .LBB206_55
.LBB206_280:
	v_add_f32_e32 v3, 0x46000000, v4
	v_and_b32_e32 v3, 0xff, v3
	v_cmp_ne_u32_e32 vcc, 0, v3
	s_andn2_b64 s[26:27], s[26:27], exec
	s_and_b64 s[36:37], vcc, exec
	s_or_b64 s[26:27], s[26:27], s[36:37]
	s_or_b64 exec, exec, s[30:31]
	v_mov_b32_e32 v5, 0
	s_and_saveexec_b64 s[30:31], s[26:27]
	s_cbranch_execnz .LBB206_56
	s_branch .LBB206_57
.LBB206_281:
	s_mov_b64 s[4:5], -1
	s_mov_b64 s[2:3], 0
	s_mov_b64 s[26:27], s[22:23]
                                        ; implicit-def: $vgpr3
	s_branch .LBB206_286
.LBB206_282:
	s_mov_b64 s[34:35], -1
	s_mov_b64 s[28:29], 0
	s_mov_b64 s[4:5], s[20:21]
	s_branch .LBB206_296
.LBB206_283:
	s_andn2_saveexec_b64 s[30:31], s[30:31]
	s_cbranch_execz .LBB206_68
.LBB206_284:
	v_add_f32_e32 v3, 0x42800000, v4
	v_and_b32_e32 v3, 0xff, v3
	v_cmp_ne_u32_e32 vcc, 0, v3
	s_andn2_b64 s[26:27], s[26:27], exec
	s_and_b64 s[36:37], vcc, exec
	s_or_b64 s[26:27], s[26:27], s[36:37]
	s_or_b64 exec, exec, s[30:31]
	v_mov_b32_e32 v5, 0
	s_and_saveexec_b64 s[30:31], s[26:27]
	s_cbranch_execnz .LBB206_69
	s_branch .LBB206_70
.LBB206_285:
	s_mov_b64 s[26:27], -1
                                        ; implicit-def: $vgpr3
	s_mov_b64 s[2:3], 0
.LBB206_286:
	s_and_b64 vcc, exec, s[4:5]
	s_cbranch_vccz .LBB206_402
; %bb.287:
	s_cmp_eq_u32 s34, 44
	s_cbranch_scc0 .LBB206_401
; %bb.288:
	global_load_ubyte v3, v[0:1], off
	s_movk_i32 s4, 0xff
	v_mov_b32_e32 v4, 0x7f800001
	v_mov_b32_e32 v5, 0x400000
	;; [unrolled: 1-line block ×3, first 2 shown]
	s_mov_b64 s[2:3], -1
	s_mov_b64 s[26:27], 0
	s_waitcnt vmcnt(0)
	v_lshlrev_b32_e32 v7, 23, v3
	v_cmp_ne_u32_e32 vcc, s4, v3
	v_cndmask_b32_e32 v4, v4, v7, vcc
	v_cmp_ne_u32_e32 vcc, 0, v3
	v_cndmask_b32_e32 v3, v5, v4, vcc
	v_add_u32_e32 v4, 0x7fff, v3
	v_cmp_o_f32_e32 vcc, v3, v3
	v_cndmask_b32_sdwa v3, v6, v4, vcc dst_sel:DWORD dst_unused:UNUSED_PAD src0_sel:DWORD src1_sel:WORD_1
	s_branch .LBB206_402
.LBB206_289:
	s_mov_b64 s[34:35], -1
	s_mov_b64 s[28:29], 0
	s_mov_b64 s[4:5], s[20:21]
.LBB206_290:
	s_and_b64 vcc, exec, s[34:35]
	s_cbranch_vccz .LBB206_295
; %bb.291:
	s_cmp_eq_u32 s39, 44
	s_mov_b64 s[4:5], -1
	s_cbranch_scc0 .LBB206_295
; %bb.292:
	v_cndmask_b32_e64 v4, 0, 1.0, s[2:3]
	v_lshrrev_b32_e32 v3, 23, v4
	s_movk_i32 s4, 0xff
	v_cmp_ne_u32_e32 vcc, s4, v3
	v_mov_b32_e32 v5, 0xff
	s_and_saveexec_b64 s[28:29], vcc
; %bb.293:
	s_mov_b32 s4, 0x3fffff
	v_and_b32_e32 v5, 0x400000, v4
	v_and_or_b32 v4, v4, s4, v3
	v_cmp_ne_u32_e32 vcc, 0, v5
	v_cmp_ne_u32_e64 s[4:5], 0, v4
	s_and_b64 s[4:5], vcc, s[4:5]
	v_cndmask_b32_e64 v4, 0, 1, s[4:5]
	v_add_u32_e32 v5, v3, v4
; %bb.294:
	s_or_b64 exec, exec, s[28:29]
	s_mov_b64 s[28:29], -1
	s_mov_b64 s[4:5], 0
	global_store_byte v[0:1], v5, off
.LBB206_295:
	s_mov_b64 s[34:35], 0
.LBB206_296:
	s_and_b64 vcc, exec, s[34:35]
	s_cbranch_vccz .LBB206_299
; %bb.297:
	s_cmp_eq_u32 s39, 29
	s_mov_b64 s[4:5], -1
	s_cbranch_scc0 .LBB206_299
; %bb.298:
	s_mov_b32 s4, 0
	v_cndmask_b32_e64 v3, 0, 1, s[2:3]
	v_mov_b32_e32 v4, s4
	global_store_dwordx2 v[0:1], v[3:4], off
	s_mov_b64 s[28:29], -1
	s_mov_b64 s[4:5], 0
.LBB206_299:
	s_mov_b64 s[34:35], 0
.LBB206_300:
	s_and_b64 vcc, exec, s[34:35]
	s_cbranch_vccz .LBB206_316
; %bb.301:
	s_cmp_lt_i32 s39, 27
	s_mov_b64 s[28:29], -1
	s_cbranch_scc1 .LBB206_307
; %bb.302:
	s_cmp_gt_i32 s39, 27
	s_cbranch_scc0 .LBB206_304
; %bb.303:
	v_cndmask_b32_e64 v3, 0, 1, s[2:3]
	s_mov_b64 s[28:29], 0
	global_store_dword v[0:1], v3, off
.LBB206_304:
	s_andn2_b64 vcc, exec, s[28:29]
	s_cbranch_vccnz .LBB206_306
; %bb.305:
	v_cndmask_b32_e64 v3, 0, 1, s[2:3]
	global_store_short v[0:1], v3, off
.LBB206_306:
	s_mov_b64 s[28:29], 0
.LBB206_307:
	s_andn2_b64 vcc, exec, s[28:29]
	s_cbranch_vccnz .LBB206_315
; %bb.308:
	v_cndmask_b32_e64 v4, 0, 1.0, s[2:3]
	s_mov_b32 s28, 0x43800000
	v_cmp_gt_u32_e32 vcc, s28, v4
	v_mov_b32_e32 v5, 0x80
	s_and_saveexec_b64 s[28:29], vcc
	s_cbranch_execz .LBB206_314
; %bb.309:
	s_mov_b32 s34, 0x3bffffff
	v_cmp_lt_u32_e32 vcc, s34, v4
	s_mov_b64 s[34:35], 0
                                        ; implicit-def: $vgpr3
	s_and_saveexec_b64 s[36:37], vcc
	s_xor_b64 s[36:37], exec, s[36:37]
	s_cbranch_execz .LBB206_527
; %bb.310:
	v_bfe_u32 v3, v4, 20, 1
	s_mov_b32 s40, 0x487ffff
	v_add3_u32 v3, v4, v3, s40
	s_mov_b64 s[34:35], exec
	v_lshrrev_b32_e32 v3, 20, v3
                                        ; implicit-def: $vgpr4
	s_andn2_saveexec_b64 s[36:37], s[36:37]
	s_cbranch_execnz .LBB206_528
.LBB206_311:
	s_or_b64 exec, exec, s[36:37]
	v_mov_b32_e32 v5, 0
	s_and_saveexec_b64 s[36:37], s[34:35]
.LBB206_312:
	v_mov_b32_e32 v5, v3
.LBB206_313:
	s_or_b64 exec, exec, s[36:37]
.LBB206_314:
	s_or_b64 exec, exec, s[28:29]
	global_store_byte v[0:1], v5, off
.LBB206_315:
	s_mov_b64 s[28:29], -1
.LBB206_316:
	s_mov_b64 s[34:35], 0
.LBB206_317:
	s_and_b64 vcc, exec, s[34:35]
	s_cbranch_vccz .LBB206_358
; %bb.318:
	s_cmp_gt_i32 s39, 22
	s_mov_b64 s[34:35], -1
	s_cbranch_scc0 .LBB206_350
; %bb.319:
	s_cmp_lt_i32 s39, 24
	s_mov_b64 s[28:29], -1
	s_cbranch_scc1 .LBB206_339
; %bb.320:
	s_cmp_gt_i32 s39, 24
	s_cbranch_scc0 .LBB206_328
; %bb.321:
	v_cndmask_b32_e64 v4, 0, 1.0, s[2:3]
	s_mov_b32 s28, 0x47800000
	v_cmp_gt_u32_e32 vcc, s28, v4
	v_mov_b32_e32 v5, 0x80
	s_and_saveexec_b64 s[28:29], vcc
	s_cbranch_execz .LBB206_327
; %bb.322:
	s_mov_b32 s34, 0x37ffffff
	v_cmp_lt_u32_e32 vcc, s34, v4
	s_mov_b64 s[34:35], 0
                                        ; implicit-def: $vgpr3
	s_and_saveexec_b64 s[36:37], vcc
	s_xor_b64 s[36:37], exec, s[36:37]
	s_cbranch_execz .LBB206_530
; %bb.323:
	v_bfe_u32 v3, v4, 21, 1
	s_mov_b32 s40, 0x88fffff
	v_add3_u32 v3, v4, v3, s40
	s_mov_b64 s[34:35], exec
	v_lshrrev_b32_e32 v3, 21, v3
                                        ; implicit-def: $vgpr4
	s_andn2_saveexec_b64 s[36:37], s[36:37]
	s_cbranch_execnz .LBB206_531
.LBB206_324:
	s_or_b64 exec, exec, s[36:37]
	v_mov_b32_e32 v5, 0
	s_and_saveexec_b64 s[36:37], s[34:35]
.LBB206_325:
	v_mov_b32_e32 v5, v3
.LBB206_326:
	s_or_b64 exec, exec, s[36:37]
.LBB206_327:
	s_or_b64 exec, exec, s[28:29]
	s_mov_b64 s[28:29], 0
	global_store_byte v[0:1], v5, off
.LBB206_328:
	s_and_b64 vcc, exec, s[28:29]
	s_cbranch_vccz .LBB206_338
; %bb.329:
	v_cndmask_b32_e64 v3, 0, 1.0, s[2:3]
	s_mov_b32 s28, 0x43f00000
	v_cmp_gt_u32_e32 vcc, s28, v3
                                        ; implicit-def: $vgpr4
	s_and_saveexec_b64 s[28:29], vcc
	s_xor_b64 s[28:29], exec, s[28:29]
	s_cbranch_execz .LBB206_335
; %bb.330:
	s_mov_b32 s34, 0x3c7fffff
	v_cmp_lt_u32_e32 vcc, s34, v3
                                        ; implicit-def: $vgpr4
	s_and_saveexec_b64 s[34:35], vcc
	s_xor_b64 s[34:35], exec, s[34:35]
; %bb.331:
	v_bfe_u32 v4, v3, 20, 1
	s_mov_b32 s36, 0x407ffff
	v_add3_u32 v3, v3, v4, s36
	v_lshrrev_b32_e32 v4, 20, v3
	v_and_b32_e32 v3, 0xff00000, v3
	s_mov_b32 s36, 0x7f00000
	v_mov_b32_e32 v5, 0x7e
	v_cmp_ne_u32_e32 vcc, s36, v3
	v_cndmask_b32_e32 v4, v5, v4, vcc
                                        ; implicit-def: $vgpr3
; %bb.332:
	s_andn2_saveexec_b64 s[34:35], s[34:35]
; %bb.333:
	v_add_f32_e32 v4, 0x46800000, v3
; %bb.334:
	s_or_b64 exec, exec, s[34:35]
                                        ; implicit-def: $vgpr3
.LBB206_335:
	s_andn2_saveexec_b64 s[28:29], s[28:29]
; %bb.336:
	s_mov_b32 s34, 0x7f800000
	v_mov_b32_e32 v4, 0x7e
	v_mov_b32_e32 v5, 0x7f
	v_cmp_lt_u32_e32 vcc, s34, v3
	v_cndmask_b32_e32 v4, v4, v5, vcc
; %bb.337:
	s_or_b64 exec, exec, s[28:29]
	global_store_byte v[0:1], v4, off
.LBB206_338:
	s_mov_b64 s[28:29], 0
.LBB206_339:
	s_andn2_b64 vcc, exec, s[28:29]
	s_cbranch_vccnz .LBB206_349
; %bb.340:
	v_cndmask_b32_e64 v3, 0, 1.0, s[2:3]
	s_mov_b32 s28, 0x47800000
	v_cmp_gt_u32_e32 vcc, s28, v3
                                        ; implicit-def: $vgpr4
	s_and_saveexec_b64 s[28:29], vcc
	s_xor_b64 s[28:29], exec, s[28:29]
	s_cbranch_execz .LBB206_346
; %bb.341:
	s_mov_b32 s34, 0x387fffff
	v_cmp_lt_u32_e32 vcc, s34, v3
                                        ; implicit-def: $vgpr4
	s_and_saveexec_b64 s[34:35], vcc
	s_xor_b64 s[34:35], exec, s[34:35]
; %bb.342:
	v_bfe_u32 v4, v3, 21, 1
	s_mov_b32 s36, 0x80fffff
	v_add3_u32 v3, v3, v4, s36
	v_lshrrev_b32_e32 v4, 21, v3
                                        ; implicit-def: $vgpr3
; %bb.343:
	s_andn2_saveexec_b64 s[34:35], s[34:35]
; %bb.344:
	v_add_f32_e32 v4, 0x43000000, v3
; %bb.345:
	s_or_b64 exec, exec, s[34:35]
                                        ; implicit-def: $vgpr3
.LBB206_346:
	s_andn2_saveexec_b64 s[28:29], s[28:29]
; %bb.347:
	s_mov_b32 s34, 0x7f800000
	v_mov_b32_e32 v4, 0x7c
	v_mov_b32_e32 v5, 0x7f
	v_cmp_lt_u32_e32 vcc, s34, v3
	v_cndmask_b32_e32 v4, v4, v5, vcc
; %bb.348:
	s_or_b64 exec, exec, s[28:29]
	global_store_byte v[0:1], v4, off
.LBB206_349:
	s_mov_b64 s[34:35], 0
	s_mov_b64 s[28:29], -1
.LBB206_350:
	s_andn2_b64 vcc, exec, s[34:35]
	s_cbranch_vccnz .LBB206_358
; %bb.351:
	s_cmp_gt_i32 s39, 14
	s_mov_b64 s[34:35], -1
	s_cbranch_scc0 .LBB206_355
; %bb.352:
	s_cmp_eq_u32 s39, 15
	s_mov_b64 s[4:5], -1
	s_cbranch_scc0 .LBB206_354
; %bb.353:
	v_cndmask_b32_e64 v3, 0, 1.0, s[2:3]
	v_bfe_u32 v4, v3, 16, 1
	s_movk_i32 s4, 0x7fff
	v_add3_u32 v3, v3, v4, s4
	global_store_short_d16_hi v[0:1], v3, off
	s_mov_b64 s[28:29], -1
	s_mov_b64 s[4:5], 0
.LBB206_354:
	s_mov_b64 s[34:35], 0
.LBB206_355:
	s_and_b64 vcc, exec, s[34:35]
	s_cbranch_vccz .LBB206_358
; %bb.356:
	s_cmp_eq_u32 s39, 11
	s_mov_b64 s[4:5], -1
	s_cbranch_scc0 .LBB206_358
; %bb.357:
	v_cndmask_b32_e64 v3, 0, 1, s[2:3]
	s_mov_b64 s[28:29], -1
	s_mov_b64 s[4:5], 0
	global_store_byte v[0:1], v3, off
.LBB206_358:
	s_mov_b64 s[34:35], 0
.LBB206_359:
	s_and_b64 vcc, exec, s[34:35]
	s_cbranch_vccz .LBB206_398
; %bb.360:
	s_and_b32 s34, 0xffff, s38
	s_cmp_lt_i32 s34, 5
	s_mov_b64 s[28:29], -1
	s_cbranch_scc1 .LBB206_381
; %bb.361:
	s_cmp_lt_i32 s34, 8
	s_cbranch_scc1 .LBB206_371
; %bb.362:
	s_cmp_lt_i32 s34, 9
	s_cbranch_scc1 .LBB206_368
; %bb.363:
	s_cmp_gt_i32 s34, 9
	s_cbranch_scc0 .LBB206_365
; %bb.364:
	v_cndmask_b32_e64 v3, 0, 1, s[2:3]
	v_cvt_f64_u32_e32 v[3:4], v3
	v_mov_b32_e32 v5, 0
	v_mov_b32_e32 v6, v5
	s_mov_b64 s[28:29], 0
	global_store_dwordx4 v[0:1], v[3:6], off
.LBB206_365:
	s_andn2_b64 vcc, exec, s[28:29]
	s_cbranch_vccnz .LBB206_367
; %bb.366:
	v_cndmask_b32_e64 v3, 0, 1.0, s[2:3]
	v_mov_b32_e32 v4, 0
	global_store_dwordx2 v[0:1], v[3:4], off
.LBB206_367:
	s_mov_b64 s[28:29], 0
.LBB206_368:
	s_andn2_b64 vcc, exec, s[28:29]
	s_cbranch_vccnz .LBB206_370
; %bb.369:
	v_cndmask_b32_e64 v3, 0, 1.0, s[2:3]
	v_cvt_f16_f32_e32 v3, v3
	global_store_dword v[0:1], v3, off
.LBB206_370:
	s_mov_b64 s[28:29], 0
.LBB206_371:
	s_andn2_b64 vcc, exec, s[28:29]
	s_cbranch_vccnz .LBB206_380
; %bb.372:
	s_cmp_lt_i32 s34, 6
	s_mov_b64 s[28:29], -1
	s_cbranch_scc1 .LBB206_378
; %bb.373:
	s_cmp_gt_i32 s34, 6
	s_cbranch_scc0 .LBB206_375
; %bb.374:
	v_cndmask_b32_e64 v3, 0, 1, s[2:3]
	v_cvt_f64_u32_e32 v[3:4], v3
	s_mov_b64 s[28:29], 0
	global_store_dwordx2 v[0:1], v[3:4], off
.LBB206_375:
	s_andn2_b64 vcc, exec, s[28:29]
	s_cbranch_vccnz .LBB206_377
; %bb.376:
	v_cndmask_b32_e64 v3, 0, 1.0, s[2:3]
	global_store_dword v[0:1], v3, off
.LBB206_377:
	s_mov_b64 s[28:29], 0
.LBB206_378:
	s_andn2_b64 vcc, exec, s[28:29]
	s_cbranch_vccnz .LBB206_380
; %bb.379:
	v_cndmask_b32_e64 v3, 0, 1.0, s[2:3]
	v_cvt_f16_f32_e32 v3, v3
	global_store_short v[0:1], v3, off
.LBB206_380:
	s_mov_b64 s[28:29], 0
.LBB206_381:
	s_andn2_b64 vcc, exec, s[28:29]
	s_cbranch_vccnz .LBB206_397
; %bb.382:
	s_cmp_lt_i32 s34, 2
	s_mov_b64 s[28:29], -1
	s_cbranch_scc1 .LBB206_392
; %bb.383:
	s_cmp_lt_i32 s34, 3
	s_cbranch_scc1 .LBB206_389
; %bb.384:
	s_cmp_gt_i32 s34, 3
	s_cbranch_scc0 .LBB206_386
; %bb.385:
	s_mov_b32 s28, 0
	v_cndmask_b32_e64 v3, 0, 1, s[2:3]
	v_mov_b32_e32 v4, s28
	s_mov_b64 s[28:29], 0
	global_store_dwordx2 v[0:1], v[3:4], off
.LBB206_386:
	s_andn2_b64 vcc, exec, s[28:29]
	s_cbranch_vccnz .LBB206_388
; %bb.387:
	v_cndmask_b32_e64 v3, 0, 1, s[2:3]
	global_store_dword v[0:1], v3, off
.LBB206_388:
	s_mov_b64 s[28:29], 0
.LBB206_389:
	s_andn2_b64 vcc, exec, s[28:29]
	s_cbranch_vccnz .LBB206_391
; %bb.390:
	v_cndmask_b32_e64 v3, 0, 1, s[2:3]
	global_store_short v[0:1], v3, off
.LBB206_391:
	s_mov_b64 s[28:29], 0
.LBB206_392:
	s_andn2_b64 vcc, exec, s[28:29]
	s_cbranch_vccnz .LBB206_397
; %bb.393:
	s_mov_b64 s[28:29], -1
	s_cmp_gt_i32 s34, 0
	v_cndmask_b32_e64 v3, 0, 1, s[2:3]
	s_cbranch_scc0 .LBB206_395
; %bb.394:
	s_mov_b64 s[28:29], 0
	global_store_byte v[0:1], v3, off
.LBB206_395:
	s_andn2_b64 vcc, exec, s[28:29]
	s_cbranch_vccnz .LBB206_397
; %bb.396:
	global_store_byte v[0:1], v3, off
.LBB206_397:
	s_mov_b64 s[28:29], -1
.LBB206_398:
	s_andn2_b64 vcc, exec, s[28:29]
	s_cbranch_vccnz .LBB206_400
; %bb.399:
	v_add_u32_e32 v2, 0x80, v2
	s_mov_b64 s[2:3], -1
	s_branch .LBB206_513
.LBB206_400:
	s_mov_b64 s[2:3], 0
	s_branch .LBB206_512
.LBB206_401:
	s_mov_b64 s[26:27], -1
                                        ; implicit-def: $vgpr3
.LBB206_402:
	s_mov_b64 s[4:5], 0
.LBB206_403:
	s_and_b64 vcc, exec, s[4:5]
	s_cbranch_vccz .LBB206_407
; %bb.404:
	s_cmp_eq_u32 s34, 29
	s_cbranch_scc0 .LBB206_406
; %bb.405:
	global_load_dwordx2 v[3:4], v[0:1], off
	s_movk_i32 s4, 0x7fff
	s_mov_b64 s[2:3], -1
	s_mov_b64 s[26:27], 0
	s_waitcnt vmcnt(0)
	v_ffbh_u32_e32 v5, v4
	v_min_u32_e32 v5, 32, v5
	v_lshlrev_b64 v[3:4], v5, v[3:4]
	v_min_u32_e32 v3, 1, v3
	v_or_b32_e32 v3, v4, v3
	v_cvt_f32_u32_e32 v3, v3
	v_sub_u32_e32 v4, 32, v5
	v_ldexp_f32 v3, v3, v4
	v_bfe_u32 v4, v3, 16, 1
	v_add3_u32 v3, v3, v4, s4
	v_lshrrev_b32_e32 v3, 16, v3
	s_branch .LBB206_407
.LBB206_406:
	s_mov_b64 s[26:27], -1
                                        ; implicit-def: $vgpr3
.LBB206_407:
	s_mov_b64 s[4:5], 0
.LBB206_408:
	s_and_b64 vcc, exec, s[4:5]
	s_cbranch_vccz .LBB206_426
; %bb.409:
	s_cmp_lt_i32 s34, 27
	s_cbranch_scc1 .LBB206_412
; %bb.410:
	s_cmp_gt_i32 s34, 27
	s_cbranch_scc0 .LBB206_413
; %bb.411:
	global_load_dword v3, v[0:1], off
	s_movk_i32 s2, 0x7fff
	s_waitcnt vmcnt(0)
	v_cvt_f32_u32_e32 v3, v3
	v_bfe_u32 v4, v3, 16, 1
	v_add3_u32 v3, v3, v4, s2
	v_lshrrev_b32_e32 v3, 16, v3
	s_mov_b64 s[2:3], 0
	s_branch .LBB206_414
.LBB206_412:
	s_mov_b64 s[2:3], -1
                                        ; implicit-def: $vgpr3
	s_branch .LBB206_417
.LBB206_413:
	s_mov_b64 s[2:3], -1
                                        ; implicit-def: $vgpr3
.LBB206_414:
	s_andn2_b64 vcc, exec, s[2:3]
	s_cbranch_vccnz .LBB206_416
; %bb.415:
	global_load_ushort v3, v[0:1], off
	s_movk_i32 s2, 0x7fff
	s_waitcnt vmcnt(0)
	v_cvt_f32_u32_e32 v3, v3
	v_bfe_u32 v4, v3, 16, 1
	v_add3_u32 v3, v3, v4, s2
	v_lshrrev_b32_e32 v3, 16, v3
.LBB206_416:
	s_mov_b64 s[2:3], 0
.LBB206_417:
	s_andn2_b64 vcc, exec, s[2:3]
	s_cbranch_vccnz .LBB206_425
; %bb.418:
	global_load_ubyte v3, v[0:1], off
	s_movk_i32 s2, 0x7f
	s_waitcnt vmcnt(0)
	v_cmp_lt_i16_e32 vcc, s2, v3
	s_mov_b64 s[2:3], 0
	s_and_saveexec_b64 s[4:5], vcc
	s_xor_b64 s[4:5], exec, s[4:5]
	s_cbranch_execz .LBB206_439
; %bb.419:
	s_movk_i32 s2, 0x80
	v_cmp_eq_u16_e32 vcc, s2, v3
	s_mov_b64 s[2:3], -1
	s_and_saveexec_b64 s[28:29], vcc
; %bb.420:
	s_xor_b64 s[2:3], exec, -1
; %bb.421:
	s_or_b64 exec, exec, s[28:29]
	s_and_b64 s[2:3], s[2:3], exec
	s_or_saveexec_b64 s[4:5], s[4:5]
	v_mov_b32_e32 v4, 0x7f800001
	s_xor_b64 exec, exec, s[4:5]
	s_cbranch_execnz .LBB206_440
.LBB206_422:
	s_or_b64 exec, exec, s[4:5]
	s_and_saveexec_b64 s[4:5], s[2:3]
	s_cbranch_execz .LBB206_424
.LBB206_423:
	v_lshlrev_b32_e32 v4, 24, v3
	v_and_b32_e32 v3, 0xffff, v3
	v_and_b32_e32 v5, 7, v3
	v_ffbh_u32_e32 v7, v5
	v_min_u32_e32 v7, 32, v7
	v_subrev_u32_e32 v8, 28, v7
	v_bfe_u32 v6, v3, 3, 4
	v_lshlrev_b32_e32 v3, v8, v3
	v_sub_u32_e32 v7, 29, v7
	v_and_b32_e32 v3, 7, v3
	v_cmp_eq_u32_e32 vcc, 0, v6
	v_cndmask_b32_e32 v6, v6, v7, vcc
	v_cndmask_b32_e32 v3, v5, v3, vcc
	v_mov_b32_e32 v5, 0x3b800000
	v_lshlrev_b32_e32 v3, 20, v3
	v_and_b32_e32 v4, 0x80000000, v4
	v_lshl_add_u32 v5, v6, 23, v5
	v_or3_b32 v4, v4, v5, v3
.LBB206_424:
	s_or_b64 exec, exec, s[4:5]
	v_bfe_u32 v3, v4, 16, 1
	s_movk_i32 s2, 0x7fff
	v_add3_u32 v3, v4, v3, s2
	v_cmp_o_f32_e32 vcc, v4, v4
	v_mov_b32_e32 v4, 0x7fc0
	v_cndmask_b32_sdwa v3, v4, v3, vcc dst_sel:DWORD dst_unused:UNUSED_PAD src0_sel:DWORD src1_sel:WORD_1
.LBB206_425:
	s_mov_b64 s[2:3], -1
.LBB206_426:
	s_mov_b64 s[4:5], 0
.LBB206_427:
	s_and_b64 vcc, exec, s[4:5]
	s_cbranch_vccz .LBB206_462
; %bb.428:
	s_cmp_gt_i32 s34, 22
	s_cbranch_scc0 .LBB206_438
; %bb.429:
	s_cmp_lt_i32 s34, 24
	s_cbranch_scc1 .LBB206_441
; %bb.430:
	s_cmp_gt_i32 s34, 24
	s_cbranch_scc0 .LBB206_442
; %bb.431:
	global_load_ubyte v3, v[0:1], off
	s_movk_i32 s2, 0x7f
	s_waitcnt vmcnt(0)
	v_cmp_lt_i16_e32 vcc, s2, v3
	s_mov_b64 s[2:3], 0
	s_and_saveexec_b64 s[4:5], vcc
	s_xor_b64 s[4:5], exec, s[4:5]
	s_cbranch_execz .LBB206_454
; %bb.432:
	s_movk_i32 s2, 0x80
	v_cmp_eq_u16_e32 vcc, s2, v3
	s_mov_b64 s[2:3], -1
	s_and_saveexec_b64 s[28:29], vcc
; %bb.433:
	s_xor_b64 s[2:3], exec, -1
; %bb.434:
	s_or_b64 exec, exec, s[28:29]
	s_and_b64 s[2:3], s[2:3], exec
	s_or_saveexec_b64 s[4:5], s[4:5]
	v_mov_b32_e32 v4, 0x7f800001
	s_xor_b64 exec, exec, s[4:5]
	s_cbranch_execnz .LBB206_455
.LBB206_435:
	s_or_b64 exec, exec, s[4:5]
	s_and_saveexec_b64 s[4:5], s[2:3]
	s_cbranch_execz .LBB206_437
.LBB206_436:
	v_lshlrev_b32_e32 v4, 24, v3
	v_and_b32_e32 v3, 0xffff, v3
	v_and_b32_e32 v5, 3, v3
	v_ffbh_u32_e32 v7, v5
	v_min_u32_e32 v7, 32, v7
	v_subrev_u32_e32 v8, 29, v7
	v_bfe_u32 v6, v3, 2, 5
	v_lshlrev_b32_e32 v3, v8, v3
	v_sub_u32_e32 v7, 30, v7
	v_and_b32_e32 v3, 3, v3
	v_cmp_eq_u32_e32 vcc, 0, v6
	v_cndmask_b32_e32 v6, v6, v7, vcc
	v_cndmask_b32_e32 v3, v5, v3, vcc
	v_mov_b32_e32 v5, 0x37800000
	v_lshlrev_b32_e32 v3, 21, v3
	v_and_b32_e32 v4, 0x80000000, v4
	v_lshl_add_u32 v5, v6, 23, v5
	v_or3_b32 v4, v4, v5, v3
.LBB206_437:
	s_or_b64 exec, exec, s[4:5]
	v_bfe_u32 v3, v4, 16, 1
	s_movk_i32 s2, 0x7fff
	v_add3_u32 v3, v4, v3, s2
	v_cmp_o_f32_e32 vcc, v4, v4
	v_mov_b32_e32 v4, 0x7fc0
	v_cndmask_b32_sdwa v3, v4, v3, vcc dst_sel:DWORD dst_unused:UNUSED_PAD src0_sel:DWORD src1_sel:WORD_1
	s_mov_b64 s[2:3], 0
	s_branch .LBB206_443
.LBB206_438:
	s_mov_b64 s[4:5], -1
                                        ; implicit-def: $vgpr3
	s_branch .LBB206_449
.LBB206_439:
	s_or_saveexec_b64 s[4:5], s[4:5]
	v_mov_b32_e32 v4, 0x7f800001
	s_xor_b64 exec, exec, s[4:5]
	s_cbranch_execz .LBB206_422
.LBB206_440:
	v_cmp_ne_u16_e32 vcc, 0, v3
	s_andn2_b64 s[2:3], s[2:3], exec
	s_and_b64 s[28:29], vcc, exec
	v_mov_b32_e32 v4, 0
	s_or_b64 s[2:3], s[2:3], s[28:29]
	s_or_b64 exec, exec, s[4:5]
	s_and_saveexec_b64 s[4:5], s[2:3]
	s_cbranch_execnz .LBB206_423
	s_branch .LBB206_424
.LBB206_441:
	s_mov_b64 s[2:3], -1
                                        ; implicit-def: $vgpr3
	s_branch .LBB206_446
.LBB206_442:
	s_mov_b64 s[2:3], -1
                                        ; implicit-def: $vgpr3
.LBB206_443:
	s_and_b64 vcc, exec, s[2:3]
	s_cbranch_vccz .LBB206_445
; %bb.444:
	global_load_ubyte v3, v[0:1], off
	s_mov_b32 s2, 0x7f800000
	s_brev_b32 s3, 1
	s_movk_i32 s4, 0x7fff
	s_waitcnt vmcnt(0)
	v_lshlrev_b32_e32 v3, 24, v3
	v_and_b32_e32 v4, 0x7f000000, v3
	v_ffbh_u32_e32 v5, v4
	v_min_u32_e32 v5, 32, v5
	v_sub_u32_e64 v5, v5, 4 clamp
	v_lshlrev_b32_e32 v7, v5, v4
	v_lshlrev_b32_e32 v5, 23, v5
	v_lshrrev_b32_e32 v7, 4, v7
	v_add_u32_e32 v6, 0x1000000, v4
	v_sub_u32_e32 v5, v7, v5
	v_ashrrev_i32_e32 v6, 8, v6
	v_add_u32_e32 v5, 0x3c000000, v5
	v_and_or_b32 v5, v6, s2, v5
	v_cmp_ne_u32_e32 vcc, 0, v4
	v_cndmask_b32_e32 v4, 0, v5, vcc
	v_and_or_b32 v3, v3, s3, v4
	v_bfe_u32 v4, v4, 16, 1
	v_add3_u32 v4, v3, v4, s4
	v_cmp_o_f32_e32 vcc, v3, v3
	v_mov_b32_e32 v3, 0x7fc0
	v_cndmask_b32_sdwa v3, v3, v4, vcc dst_sel:DWORD dst_unused:UNUSED_PAD src0_sel:DWORD src1_sel:WORD_1
.LBB206_445:
	s_mov_b64 s[2:3], 0
.LBB206_446:
	s_andn2_b64 vcc, exec, s[2:3]
	s_cbranch_vccnz .LBB206_448
; %bb.447:
	global_load_ubyte v3, v[0:1], off
	s_movk_i32 s2, 0x7f00
	s_brev_b32 s3, 16
	s_brev_b32 s4, 1
	s_movk_i32 s5, 0x7fff
	s_waitcnt vmcnt(0)
	v_lshlrev_b16_e32 v4, 8, v3
	v_lshlrev_b32_e32 v3, 25, v3
	v_lshrrev_b32_e32 v5, 4, v3
	v_and_or_b32 v6, v4, s2, 0.5
	v_or_b32_e32 v5, 0x70000000, v5
	v_add_f32_e32 v6, -0.5, v6
	v_mul_f32_e32 v5, 0x7800000, v5
	v_cmp_gt_u32_e32 vcc, s3, v3
	v_bfe_i32 v4, v4, 0, 16
	v_cndmask_b32_e32 v3, v5, v6, vcc
	v_and_or_b32 v4, v4, s4, v3
	v_bfe_u32 v3, v3, 16, 1
	v_add3_u32 v3, v4, v3, s5
	v_cmp_o_f32_e32 vcc, v4, v4
	v_mov_b32_e32 v4, 0x7fc0
	v_cndmask_b32_sdwa v3, v4, v3, vcc dst_sel:DWORD dst_unused:UNUSED_PAD src0_sel:DWORD src1_sel:WORD_1
.LBB206_448:
	s_mov_b64 s[4:5], 0
	s_mov_b64 s[2:3], -1
.LBB206_449:
	s_andn2_b64 vcc, exec, s[4:5]
	s_cbranch_vccnz .LBB206_462
; %bb.450:
	s_cmp_gt_i32 s34, 14
	s_cbranch_scc0 .LBB206_453
; %bb.451:
	s_cmp_eq_u32 s34, 15
	s_cbranch_scc0 .LBB206_456
; %bb.452:
	global_load_ushort v3, v[0:1], off
	s_mov_b64 s[2:3], -1
	s_mov_b64 s[26:27], 0
	s_branch .LBB206_457
.LBB206_453:
	s_mov_b64 s[4:5], -1
                                        ; implicit-def: $vgpr3
	s_branch .LBB206_458
.LBB206_454:
	s_or_saveexec_b64 s[4:5], s[4:5]
	v_mov_b32_e32 v4, 0x7f800001
	s_xor_b64 exec, exec, s[4:5]
	s_cbranch_execz .LBB206_435
.LBB206_455:
	v_cmp_ne_u16_e32 vcc, 0, v3
	s_andn2_b64 s[2:3], s[2:3], exec
	s_and_b64 s[28:29], vcc, exec
	v_mov_b32_e32 v4, 0
	s_or_b64 s[2:3], s[2:3], s[28:29]
	s_or_b64 exec, exec, s[4:5]
	s_and_saveexec_b64 s[4:5], s[2:3]
	s_cbranch_execnz .LBB206_436
	s_branch .LBB206_437
.LBB206_456:
	s_mov_b64 s[26:27], -1
                                        ; implicit-def: $vgpr3
.LBB206_457:
	s_mov_b64 s[4:5], 0
.LBB206_458:
	s_and_b64 vcc, exec, s[4:5]
	s_cbranch_vccz .LBB206_462
; %bb.459:
	s_cmp_eq_u32 s34, 11
	s_cbranch_scc0 .LBB206_461
; %bb.460:
	global_load_ubyte v3, v[0:1], off
	s_mov_b64 s[2:3], -1
	s_mov_b64 s[26:27], 0
	s_waitcnt vmcnt(0)
	v_cmp_ne_u16_e32 vcc, 0, v3
	v_cndmask_b32_e64 v3, 0, 1.0, vcc
	v_lshrrev_b32_e32 v3, 16, v3
	s_branch .LBB206_462
.LBB206_461:
	s_mov_b64 s[26:27], -1
                                        ; implicit-def: $vgpr3
.LBB206_462:
	s_branch .LBB206_265
.LBB206_463:
	s_cmp_lt_i32 s34, 5
	s_cbranch_scc1 .LBB206_468
; %bb.464:
	s_cmp_lt_i32 s34, 8
	s_cbranch_scc1 .LBB206_469
; %bb.465:
	;; [unrolled: 3-line block ×3, first 2 shown]
	s_cmp_gt_i32 s34, 9
	s_cbranch_scc0 .LBB206_471
; %bb.467:
	global_load_dwordx2 v[3:4], v[0:1], off
	s_movk_i32 s2, 0x7fff
	s_waitcnt vmcnt(0)
	v_cvt_f32_f64_e32 v3, v[3:4]
	v_mov_b32_e32 v4, 0x7fc0
	v_bfe_u32 v5, v3, 16, 1
	v_cmp_o_f32_e32 vcc, v3, v3
	v_add3_u32 v3, v3, v5, s2
	v_cndmask_b32_sdwa v3, v4, v3, vcc dst_sel:DWORD dst_unused:UNUSED_PAD src0_sel:DWORD src1_sel:WORD_1
	s_mov_b64 s[2:3], 0
	s_branch .LBB206_472
.LBB206_468:
	s_mov_b64 s[2:3], -1
                                        ; implicit-def: $vgpr3
	s_branch .LBB206_490
.LBB206_469:
	s_mov_b64 s[2:3], -1
                                        ; implicit-def: $vgpr3
	s_branch .LBB206_478
.LBB206_470:
	s_mov_b64 s[2:3], -1
                                        ; implicit-def: $vgpr3
	s_branch .LBB206_475
.LBB206_471:
	s_mov_b64 s[2:3], -1
                                        ; implicit-def: $vgpr3
.LBB206_472:
	s_andn2_b64 vcc, exec, s[2:3]
	s_cbranch_vccnz .LBB206_474
; %bb.473:
	global_load_dword v3, v[0:1], off
	s_movk_i32 s2, 0x7fff
	v_mov_b32_e32 v4, 0x7fc0
	s_waitcnt vmcnt(0)
	v_bfe_u32 v5, v3, 16, 1
	v_cmp_o_f32_e32 vcc, v3, v3
	v_add3_u32 v3, v3, v5, s2
	v_cndmask_b32_sdwa v3, v4, v3, vcc dst_sel:DWORD dst_unused:UNUSED_PAD src0_sel:DWORD src1_sel:WORD_1
.LBB206_474:
	s_mov_b64 s[2:3], 0
.LBB206_475:
	s_andn2_b64 vcc, exec, s[2:3]
	s_cbranch_vccnz .LBB206_477
; %bb.476:
	global_load_dword v3, v[0:1], off
	s_movk_i32 s2, 0x7fff
	v_mov_b32_e32 v5, 0x7fc0
	s_waitcnt vmcnt(0)
	v_cvt_f32_f16_e32 v4, v3
	v_cmp_o_f16_e32 vcc, v3, v3
	v_bfe_u32 v3, v4, 16, 1
	v_add3_u32 v3, v4, v3, s2
	v_cndmask_b32_sdwa v3, v5, v3, vcc dst_sel:DWORD dst_unused:UNUSED_PAD src0_sel:DWORD src1_sel:WORD_1
.LBB206_477:
	s_mov_b64 s[2:3], 0
.LBB206_478:
	s_andn2_b64 vcc, exec, s[2:3]
	s_cbranch_vccnz .LBB206_489
; %bb.479:
	s_cmp_lt_i32 s34, 6
	s_cbranch_scc1 .LBB206_482
; %bb.480:
	s_cmp_gt_i32 s34, 6
	s_cbranch_scc0 .LBB206_483
; %bb.481:
	global_load_dwordx2 v[3:4], v[0:1], off
	s_movk_i32 s2, 0x7fff
	s_waitcnt vmcnt(0)
	v_cvt_f32_f64_e32 v3, v[3:4]
	v_mov_b32_e32 v4, 0x7fc0
	v_bfe_u32 v5, v3, 16, 1
	v_cmp_o_f32_e32 vcc, v3, v3
	v_add3_u32 v3, v3, v5, s2
	v_cndmask_b32_sdwa v3, v4, v3, vcc dst_sel:DWORD dst_unused:UNUSED_PAD src0_sel:DWORD src1_sel:WORD_1
	s_mov_b64 s[2:3], 0
	s_branch .LBB206_484
.LBB206_482:
	s_mov_b64 s[2:3], -1
                                        ; implicit-def: $vgpr3
	s_branch .LBB206_487
.LBB206_483:
	s_mov_b64 s[2:3], -1
                                        ; implicit-def: $vgpr3
.LBB206_484:
	s_andn2_b64 vcc, exec, s[2:3]
	s_cbranch_vccnz .LBB206_486
; %bb.485:
	global_load_dword v3, v[0:1], off
	s_movk_i32 s2, 0x7fff
	v_mov_b32_e32 v4, 0x7fc0
	s_waitcnt vmcnt(0)
	v_bfe_u32 v5, v3, 16, 1
	v_cmp_o_f32_e32 vcc, v3, v3
	v_add3_u32 v3, v3, v5, s2
	v_cndmask_b32_sdwa v3, v4, v3, vcc dst_sel:DWORD dst_unused:UNUSED_PAD src0_sel:DWORD src1_sel:WORD_1
.LBB206_486:
	s_mov_b64 s[2:3], 0
.LBB206_487:
	s_andn2_b64 vcc, exec, s[2:3]
	s_cbranch_vccnz .LBB206_489
; %bb.488:
	global_load_ushort v3, v[0:1], off
	s_movk_i32 s2, 0x7fff
	v_mov_b32_e32 v5, 0x7fc0
	s_waitcnt vmcnt(0)
	v_cvt_f32_f16_e32 v4, v3
	v_cmp_o_f16_e32 vcc, v3, v3
	v_bfe_u32 v3, v4, 16, 1
	v_add3_u32 v3, v4, v3, s2
	v_cndmask_b32_sdwa v3, v5, v3, vcc dst_sel:DWORD dst_unused:UNUSED_PAD src0_sel:DWORD src1_sel:WORD_1
.LBB206_489:
	s_mov_b64 s[2:3], 0
.LBB206_490:
	s_andn2_b64 vcc, exec, s[2:3]
	s_cbranch_vccnz .LBB206_510
; %bb.491:
	s_cmp_lt_i32 s34, 2
	s_cbranch_scc1 .LBB206_495
; %bb.492:
	s_cmp_lt_i32 s34, 3
	s_cbranch_scc1 .LBB206_496
; %bb.493:
	s_cmp_gt_i32 s34, 3
	s_cbranch_scc0 .LBB206_497
; %bb.494:
	global_load_dwordx2 v[3:4], v[0:1], off
	s_movk_i32 s2, 0x7fff
	s_waitcnt vmcnt(0)
	v_xor_b32_e32 v6, v3, v4
	v_ffbh_i32_e32 v5, v4
	v_ashrrev_i32_e32 v6, 31, v6
	v_add_u32_e32 v5, -1, v5
	v_add_u32_e32 v6, 32, v6
	v_min_u32_e32 v5, v5, v6
	v_lshlrev_b64 v[3:4], v5, v[3:4]
	v_min_u32_e32 v3, 1, v3
	v_or_b32_e32 v3, v4, v3
	v_cvt_f32_i32_e32 v3, v3
	v_sub_u32_e32 v4, 32, v5
	v_ldexp_f32 v3, v3, v4
	v_bfe_u32 v4, v3, 16, 1
	v_add3_u32 v3, v3, v4, s2
	v_lshrrev_b32_e32 v3, 16, v3
	s_mov_b64 s[2:3], 0
	s_branch .LBB206_498
.LBB206_495:
	s_mov_b64 s[2:3], -1
                                        ; implicit-def: $vgpr3
	s_branch .LBB206_504
.LBB206_496:
	s_mov_b64 s[2:3], -1
                                        ; implicit-def: $vgpr3
	s_branch .LBB206_501
.LBB206_497:
	s_mov_b64 s[2:3], -1
                                        ; implicit-def: $vgpr3
.LBB206_498:
	s_andn2_b64 vcc, exec, s[2:3]
	s_cbranch_vccnz .LBB206_500
; %bb.499:
	global_load_dword v3, v[0:1], off
	s_movk_i32 s2, 0x7fff
	s_waitcnt vmcnt(0)
	v_cvt_f32_i32_e32 v3, v3
	v_bfe_u32 v4, v3, 16, 1
	v_add3_u32 v3, v3, v4, s2
	v_lshrrev_b32_e32 v3, 16, v3
.LBB206_500:
	s_mov_b64 s[2:3], 0
.LBB206_501:
	s_andn2_b64 vcc, exec, s[2:3]
	s_cbranch_vccnz .LBB206_503
; %bb.502:
	global_load_sshort v3, v[0:1], off
	s_movk_i32 s2, 0x7fff
	s_waitcnt vmcnt(0)
	v_cvt_f32_i32_e32 v3, v3
	v_bfe_u32 v4, v3, 16, 1
	v_add3_u32 v3, v3, v4, s2
	v_lshrrev_b32_e32 v3, 16, v3
.LBB206_503:
	s_mov_b64 s[2:3], 0
.LBB206_504:
	s_andn2_b64 vcc, exec, s[2:3]
	s_cbranch_vccnz .LBB206_510
; %bb.505:
	s_cmp_gt_i32 s34, 0
	s_cbranch_scc0 .LBB206_507
; %bb.506:
	global_load_sbyte v3, v[0:1], off
	s_movk_i32 s2, 0x7fff
	s_waitcnt vmcnt(0)
	v_cvt_f32_i32_e32 v3, v3
	v_bfe_u32 v4, v3, 16, 1
	v_add3_u32 v3, v3, v4, s2
	v_lshrrev_b32_e32 v3, 16, v3
	s_mov_b64 s[2:3], 0
	s_branch .LBB206_508
.LBB206_507:
	s_mov_b64 s[2:3], -1
                                        ; implicit-def: $vgpr3
.LBB206_508:
	s_andn2_b64 vcc, exec, s[2:3]
	s_cbranch_vccnz .LBB206_510
; %bb.509:
	global_load_ubyte v0, v[0:1], off
	s_movk_i32 s2, 0x7fff
	s_waitcnt vmcnt(0)
	v_cvt_f32_ubyte0_e32 v0, v0
	v_bfe_u32 v1, v0, 16, 1
	v_add3_u32 v0, v0, v1, s2
	v_lshrrev_b32_e32 v3, 16, v0
.LBB206_510:
	s_branch .LBB206_266
.LBB206_511:
	s_mov_b64 s[2:3], 0
	s_mov_b64 s[4:5], s[20:21]
.LBB206_512:
                                        ; implicit-def: $vgpr2
.LBB206_513:
	s_andn2_b64 s[28:29], s[20:21], exec
	s_and_b64 s[4:5], s[4:5], exec
	s_or_b64 s[28:29], s[28:29], s[4:5]
	s_andn2_b64 s[4:5], s[22:23], exec
	s_and_b64 s[26:27], s[26:27], exec
	s_or_b64 s[26:27], s[4:5], s[26:27]
	s_orn2_b64 s[2:3], s[2:3], exec
.LBB206_514:
	s_or_b64 exec, exec, s[30:31]
	s_mov_b64 s[4:5], 0
	s_mov_b64 s[34:35], 0
	;; [unrolled: 1-line block ×3, first 2 shown]
                                        ; implicit-def: $vgpr0_vgpr1
                                        ; implicit-def: $vgpr3
	s_and_saveexec_b64 s[30:31], s[2:3]
	s_cbranch_execz .LBB206_860
; %bb.515:
	v_cmp_gt_i32_e32 vcc, s44, v2
	s_mov_b64 s[40:41], -1
	s_mov_b64 s[2:3], s[26:27]
	s_mov_b64 s[4:5], s[28:29]
	s_and_saveexec_b64 s[34:35], vcc
	s_cbranch_execz .LBB206_774
; %bb.516:
	v_mul_lo_u32 v0, v2, s13
	v_mov_b32_e32 v1, s11
	s_and_b32 s40, 0xffff, s16
	s_cmp_lt_i32 s40, 11
	s_waitcnt vmcnt(0)
	v_ashrrev_i32_e32 v3, 31, v0
	v_add_co_u32_e32 v0, vcc, s10, v0
	v_addc_co_u32_e32 v1, vcc, v1, v3, vcc
	s_cbranch_scc1 .LBB206_523
; %bb.517:
	s_cmp_gt_i32 s40, 25
	s_cbranch_scc0 .LBB206_524
; %bb.518:
	s_cmp_gt_i32 s40, 28
	s_cbranch_scc0 .LBB206_525
	;; [unrolled: 3-line block ×4, first 2 shown]
; %bb.521:
	s_cmp_eq_u32 s40, 46
	s_mov_b64 s[4:5], 0
	s_cbranch_scc0 .LBB206_532
; %bb.522:
	global_load_dword v3, v[0:1], off
	s_mov_b64 s[2:3], -1
	s_branch .LBB206_533
.LBB206_523:
	s_mov_b64 s[4:5], -1
	s_mov_b64 s[2:3], 0
                                        ; implicit-def: $vgpr3
	s_mov_b64 s[36:37], s[26:27]
	s_branch .LBB206_598
.LBB206_524:
	s_mov_b64 s[4:5], -1
	s_mov_b64 s[2:3], 0
	s_mov_b64 s[36:37], s[26:27]
                                        ; implicit-def: $vgpr3
	s_branch .LBB206_562
.LBB206_525:
	s_mov_b64 s[4:5], -1
	s_mov_b64 s[2:3], 0
	s_mov_b64 s[36:37], s[26:27]
                                        ; implicit-def: $vgpr3
	s_branch .LBB206_543
.LBB206_526:
	s_mov_b64 s[4:5], -1
	s_mov_b64 s[2:3], 0
	s_mov_b64 s[36:37], s[26:27]
                                        ; implicit-def: $vgpr3
	s_branch .LBB206_538
.LBB206_527:
	s_andn2_saveexec_b64 s[36:37], s[36:37]
	s_cbranch_execz .LBB206_311
.LBB206_528:
	v_add_f32_e32 v3, 0x46000000, v4
	v_and_b32_e32 v3, 0xff, v3
	v_cmp_ne_u32_e32 vcc, 0, v3
	s_andn2_b64 s[34:35], s[34:35], exec
	s_and_b64 s[40:41], vcc, exec
	s_or_b64 s[34:35], s[34:35], s[40:41]
	s_or_b64 exec, exec, s[36:37]
	v_mov_b32_e32 v5, 0
	s_and_saveexec_b64 s[36:37], s[34:35]
	s_cbranch_execnz .LBB206_312
	s_branch .LBB206_313
.LBB206_529:
	s_mov_b64 s[4:5], -1
	s_mov_b64 s[2:3], 0
	s_mov_b64 s[36:37], s[26:27]
                                        ; implicit-def: $vgpr3
	s_branch .LBB206_533
.LBB206_530:
	s_andn2_saveexec_b64 s[36:37], s[36:37]
	s_cbranch_execz .LBB206_324
.LBB206_531:
	v_add_f32_e32 v3, 0x42800000, v4
	v_and_b32_e32 v3, 0xff, v3
	v_cmp_ne_u32_e32 vcc, 0, v3
	s_andn2_b64 s[34:35], s[34:35], exec
	s_and_b64 s[40:41], vcc, exec
	s_or_b64 s[34:35], s[34:35], s[40:41]
	s_or_b64 exec, exec, s[36:37]
	v_mov_b32_e32 v5, 0
	s_and_saveexec_b64 s[36:37], s[34:35]
	s_cbranch_execnz .LBB206_325
	s_branch .LBB206_326
.LBB206_532:
	s_mov_b64 s[36:37], -1
                                        ; implicit-def: $vgpr3
	s_mov_b64 s[2:3], 0
.LBB206_533:
	s_and_b64 vcc, exec, s[4:5]
	s_cbranch_vccz .LBB206_537
; %bb.534:
	s_cmp_eq_u32 s40, 44
	s_cbranch_scc0 .LBB206_536
; %bb.535:
	global_load_ubyte v3, v[0:1], off
	s_movk_i32 s4, 0xff
	v_mov_b32_e32 v4, 0x7f800001
	v_mov_b32_e32 v5, 0x400000
	;; [unrolled: 1-line block ×3, first 2 shown]
	s_mov_b64 s[2:3], -1
	s_mov_b64 s[36:37], 0
	s_waitcnt vmcnt(0)
	v_lshlrev_b32_e32 v7, 23, v3
	v_cmp_ne_u32_e32 vcc, s4, v3
	v_cndmask_b32_e32 v4, v4, v7, vcc
	v_cmp_ne_u32_e32 vcc, 0, v3
	v_cndmask_b32_e32 v3, v5, v4, vcc
	v_add_u32_e32 v4, 0x7fff, v3
	v_cmp_o_f32_e32 vcc, v3, v3
	v_cndmask_b32_sdwa v3, v6, v4, vcc dst_sel:DWORD dst_unused:UNUSED_PAD src0_sel:DWORD src1_sel:WORD_1
	s_branch .LBB206_537
.LBB206_536:
	s_mov_b64 s[36:37], -1
                                        ; implicit-def: $vgpr3
.LBB206_537:
	s_mov_b64 s[4:5], 0
.LBB206_538:
	s_and_b64 vcc, exec, s[4:5]
	s_cbranch_vccz .LBB206_542
; %bb.539:
	s_cmp_eq_u32 s40, 29
	s_cbranch_scc0 .LBB206_541
; %bb.540:
	global_load_dwordx2 v[3:4], v[0:1], off
	s_movk_i32 s4, 0x7fff
	s_mov_b64 s[2:3], -1
	s_mov_b64 s[36:37], 0
	s_waitcnt vmcnt(0)
	v_ffbh_u32_e32 v5, v4
	v_min_u32_e32 v5, 32, v5
	v_lshlrev_b64 v[3:4], v5, v[3:4]
	v_min_u32_e32 v3, 1, v3
	v_or_b32_e32 v3, v4, v3
	v_cvt_f32_u32_e32 v3, v3
	v_sub_u32_e32 v4, 32, v5
	v_ldexp_f32 v3, v3, v4
	v_bfe_u32 v4, v3, 16, 1
	v_add3_u32 v3, v3, v4, s4
	v_lshrrev_b32_e32 v3, 16, v3
	s_branch .LBB206_542
.LBB206_541:
	s_mov_b64 s[36:37], -1
                                        ; implicit-def: $vgpr3
.LBB206_542:
	s_mov_b64 s[4:5], 0
.LBB206_543:
	s_and_b64 vcc, exec, s[4:5]
	s_cbranch_vccz .LBB206_561
; %bb.544:
	s_cmp_lt_i32 s40, 27
	s_cbranch_scc1 .LBB206_547
; %bb.545:
	s_cmp_gt_i32 s40, 27
	s_cbranch_scc0 .LBB206_548
; %bb.546:
	global_load_dword v3, v[0:1], off
	s_movk_i32 s2, 0x7fff
	s_waitcnt vmcnt(0)
	v_cvt_f32_u32_e32 v3, v3
	v_bfe_u32 v4, v3, 16, 1
	v_add3_u32 v3, v3, v4, s2
	v_lshrrev_b32_e32 v3, 16, v3
	s_mov_b64 s[2:3], 0
	s_branch .LBB206_549
.LBB206_547:
	s_mov_b64 s[2:3], -1
                                        ; implicit-def: $vgpr3
	s_branch .LBB206_552
.LBB206_548:
	s_mov_b64 s[2:3], -1
                                        ; implicit-def: $vgpr3
.LBB206_549:
	s_andn2_b64 vcc, exec, s[2:3]
	s_cbranch_vccnz .LBB206_551
; %bb.550:
	global_load_ushort v3, v[0:1], off
	s_movk_i32 s2, 0x7fff
	s_waitcnt vmcnt(0)
	v_cvt_f32_u32_e32 v3, v3
	v_bfe_u32 v4, v3, 16, 1
	v_add3_u32 v3, v3, v4, s2
	v_lshrrev_b32_e32 v3, 16, v3
.LBB206_551:
	s_mov_b64 s[2:3], 0
.LBB206_552:
	s_andn2_b64 vcc, exec, s[2:3]
	s_cbranch_vccnz .LBB206_560
; %bb.553:
	global_load_ubyte v3, v[0:1], off
	s_movk_i32 s2, 0x7f
	s_waitcnt vmcnt(0)
	v_cmp_lt_i16_e32 vcc, s2, v3
	s_mov_b64 s[2:3], 0
	s_and_saveexec_b64 s[4:5], vcc
	s_xor_b64 s[4:5], exec, s[4:5]
	s_cbranch_execz .LBB206_574
; %bb.554:
	s_movk_i32 s2, 0x80
	v_cmp_eq_u16_e32 vcc, s2, v3
	s_mov_b64 s[2:3], -1
	s_and_saveexec_b64 s[38:39], vcc
; %bb.555:
	s_xor_b64 s[2:3], exec, -1
; %bb.556:
	s_or_b64 exec, exec, s[38:39]
	s_and_b64 s[2:3], s[2:3], exec
	s_or_saveexec_b64 s[4:5], s[4:5]
	v_mov_b32_e32 v4, 0x7f800001
	s_xor_b64 exec, exec, s[4:5]
	s_cbranch_execnz .LBB206_575
.LBB206_557:
	s_or_b64 exec, exec, s[4:5]
	s_and_saveexec_b64 s[4:5], s[2:3]
	s_cbranch_execz .LBB206_559
.LBB206_558:
	v_lshlrev_b32_e32 v4, 24, v3
	v_and_b32_e32 v3, 0xffff, v3
	v_and_b32_e32 v5, 7, v3
	v_ffbh_u32_e32 v7, v5
	v_min_u32_e32 v7, 32, v7
	v_subrev_u32_e32 v8, 28, v7
	v_bfe_u32 v6, v3, 3, 4
	v_lshlrev_b32_e32 v3, v8, v3
	v_sub_u32_e32 v7, 29, v7
	v_and_b32_e32 v3, 7, v3
	v_cmp_eq_u32_e32 vcc, 0, v6
	v_cndmask_b32_e32 v6, v6, v7, vcc
	v_cndmask_b32_e32 v3, v5, v3, vcc
	v_mov_b32_e32 v5, 0x3b800000
	v_lshlrev_b32_e32 v3, 20, v3
	v_and_b32_e32 v4, 0x80000000, v4
	v_lshl_add_u32 v5, v6, 23, v5
	v_or3_b32 v4, v4, v5, v3
.LBB206_559:
	s_or_b64 exec, exec, s[4:5]
	v_bfe_u32 v3, v4, 16, 1
	s_movk_i32 s2, 0x7fff
	v_add3_u32 v3, v4, v3, s2
	v_cmp_o_f32_e32 vcc, v4, v4
	v_mov_b32_e32 v4, 0x7fc0
	v_cndmask_b32_sdwa v3, v4, v3, vcc dst_sel:DWORD dst_unused:UNUSED_PAD src0_sel:DWORD src1_sel:WORD_1
.LBB206_560:
	s_mov_b64 s[2:3], -1
.LBB206_561:
	s_mov_b64 s[4:5], 0
.LBB206_562:
	s_and_b64 vcc, exec, s[4:5]
	s_cbranch_vccz .LBB206_597
; %bb.563:
	s_cmp_gt_i32 s40, 22
	s_cbranch_scc0 .LBB206_573
; %bb.564:
	s_cmp_lt_i32 s40, 24
	s_cbranch_scc1 .LBB206_576
; %bb.565:
	s_cmp_gt_i32 s40, 24
	s_cbranch_scc0 .LBB206_577
; %bb.566:
	global_load_ubyte v3, v[0:1], off
	s_movk_i32 s2, 0x7f
	s_waitcnt vmcnt(0)
	v_cmp_lt_i16_e32 vcc, s2, v3
	s_mov_b64 s[2:3], 0
	s_and_saveexec_b64 s[4:5], vcc
	s_xor_b64 s[4:5], exec, s[4:5]
	s_cbranch_execz .LBB206_589
; %bb.567:
	s_movk_i32 s2, 0x80
	v_cmp_eq_u16_e32 vcc, s2, v3
	s_mov_b64 s[2:3], -1
	s_and_saveexec_b64 s[38:39], vcc
; %bb.568:
	s_xor_b64 s[2:3], exec, -1
; %bb.569:
	s_or_b64 exec, exec, s[38:39]
	s_and_b64 s[2:3], s[2:3], exec
	s_or_saveexec_b64 s[4:5], s[4:5]
	v_mov_b32_e32 v4, 0x7f800001
	s_xor_b64 exec, exec, s[4:5]
	s_cbranch_execnz .LBB206_590
.LBB206_570:
	s_or_b64 exec, exec, s[4:5]
	s_and_saveexec_b64 s[4:5], s[2:3]
	s_cbranch_execz .LBB206_572
.LBB206_571:
	v_lshlrev_b32_e32 v4, 24, v3
	v_and_b32_e32 v3, 0xffff, v3
	v_and_b32_e32 v5, 3, v3
	v_ffbh_u32_e32 v7, v5
	v_min_u32_e32 v7, 32, v7
	v_subrev_u32_e32 v8, 29, v7
	v_bfe_u32 v6, v3, 2, 5
	v_lshlrev_b32_e32 v3, v8, v3
	v_sub_u32_e32 v7, 30, v7
	v_and_b32_e32 v3, 3, v3
	v_cmp_eq_u32_e32 vcc, 0, v6
	v_cndmask_b32_e32 v6, v6, v7, vcc
	v_cndmask_b32_e32 v3, v5, v3, vcc
	v_mov_b32_e32 v5, 0x37800000
	v_lshlrev_b32_e32 v3, 21, v3
	v_and_b32_e32 v4, 0x80000000, v4
	v_lshl_add_u32 v5, v6, 23, v5
	v_or3_b32 v4, v4, v5, v3
.LBB206_572:
	s_or_b64 exec, exec, s[4:5]
	v_bfe_u32 v3, v4, 16, 1
	s_movk_i32 s2, 0x7fff
	v_add3_u32 v3, v4, v3, s2
	v_cmp_o_f32_e32 vcc, v4, v4
	v_mov_b32_e32 v4, 0x7fc0
	v_cndmask_b32_sdwa v3, v4, v3, vcc dst_sel:DWORD dst_unused:UNUSED_PAD src0_sel:DWORD src1_sel:WORD_1
	s_mov_b64 s[2:3], 0
	s_branch .LBB206_578
.LBB206_573:
	s_mov_b64 s[4:5], -1
                                        ; implicit-def: $vgpr3
	s_branch .LBB206_584
.LBB206_574:
	s_or_saveexec_b64 s[4:5], s[4:5]
	v_mov_b32_e32 v4, 0x7f800001
	s_xor_b64 exec, exec, s[4:5]
	s_cbranch_execz .LBB206_557
.LBB206_575:
	v_cmp_ne_u16_e32 vcc, 0, v3
	s_andn2_b64 s[2:3], s[2:3], exec
	s_and_b64 s[38:39], vcc, exec
	v_mov_b32_e32 v4, 0
	s_or_b64 s[2:3], s[2:3], s[38:39]
	s_or_b64 exec, exec, s[4:5]
	s_and_saveexec_b64 s[4:5], s[2:3]
	s_cbranch_execnz .LBB206_558
	s_branch .LBB206_559
.LBB206_576:
	s_mov_b64 s[2:3], -1
                                        ; implicit-def: $vgpr3
	s_branch .LBB206_581
.LBB206_577:
	s_mov_b64 s[2:3], -1
                                        ; implicit-def: $vgpr3
.LBB206_578:
	s_and_b64 vcc, exec, s[2:3]
	s_cbranch_vccz .LBB206_580
; %bb.579:
	global_load_ubyte v3, v[0:1], off
	s_mov_b32 s2, 0x7f800000
	s_brev_b32 s3, 1
	s_movk_i32 s4, 0x7fff
	s_waitcnt vmcnt(0)
	v_lshlrev_b32_e32 v3, 24, v3
	v_and_b32_e32 v4, 0x7f000000, v3
	v_ffbh_u32_e32 v5, v4
	v_min_u32_e32 v5, 32, v5
	v_sub_u32_e64 v5, v5, 4 clamp
	v_lshlrev_b32_e32 v7, v5, v4
	v_lshlrev_b32_e32 v5, 23, v5
	v_lshrrev_b32_e32 v7, 4, v7
	v_add_u32_e32 v6, 0x1000000, v4
	v_sub_u32_e32 v5, v7, v5
	v_ashrrev_i32_e32 v6, 8, v6
	v_add_u32_e32 v5, 0x3c000000, v5
	v_and_or_b32 v5, v6, s2, v5
	v_cmp_ne_u32_e32 vcc, 0, v4
	v_cndmask_b32_e32 v4, 0, v5, vcc
	v_and_or_b32 v3, v3, s3, v4
	v_bfe_u32 v4, v4, 16, 1
	v_add3_u32 v4, v3, v4, s4
	v_cmp_o_f32_e32 vcc, v3, v3
	v_mov_b32_e32 v3, 0x7fc0
	v_cndmask_b32_sdwa v3, v3, v4, vcc dst_sel:DWORD dst_unused:UNUSED_PAD src0_sel:DWORD src1_sel:WORD_1
.LBB206_580:
	s_mov_b64 s[2:3], 0
.LBB206_581:
	s_andn2_b64 vcc, exec, s[2:3]
	s_cbranch_vccnz .LBB206_583
; %bb.582:
	global_load_ubyte v3, v[0:1], off
	s_movk_i32 s2, 0x7f00
	s_brev_b32 s3, 16
	s_brev_b32 s4, 1
	s_movk_i32 s5, 0x7fff
	s_waitcnt vmcnt(0)
	v_lshlrev_b16_e32 v4, 8, v3
	v_lshlrev_b32_e32 v3, 25, v3
	v_lshrrev_b32_e32 v5, 4, v3
	v_and_or_b32 v6, v4, s2, 0.5
	v_or_b32_e32 v5, 0x70000000, v5
	v_add_f32_e32 v6, -0.5, v6
	v_mul_f32_e32 v5, 0x7800000, v5
	v_cmp_gt_u32_e32 vcc, s3, v3
	v_bfe_i32 v4, v4, 0, 16
	v_cndmask_b32_e32 v3, v5, v6, vcc
	v_and_or_b32 v4, v4, s4, v3
	v_bfe_u32 v3, v3, 16, 1
	v_add3_u32 v3, v4, v3, s5
	v_cmp_o_f32_e32 vcc, v4, v4
	v_mov_b32_e32 v4, 0x7fc0
	v_cndmask_b32_sdwa v3, v4, v3, vcc dst_sel:DWORD dst_unused:UNUSED_PAD src0_sel:DWORD src1_sel:WORD_1
.LBB206_583:
	s_mov_b64 s[4:5], 0
	s_mov_b64 s[2:3], -1
.LBB206_584:
	s_andn2_b64 vcc, exec, s[4:5]
	s_cbranch_vccnz .LBB206_597
; %bb.585:
	s_cmp_gt_i32 s40, 14
	s_cbranch_scc0 .LBB206_588
; %bb.586:
	s_cmp_eq_u32 s40, 15
	s_cbranch_scc0 .LBB206_591
; %bb.587:
	global_load_ushort v3, v[0:1], off
	s_mov_b64 s[2:3], -1
	s_mov_b64 s[36:37], 0
	s_branch .LBB206_592
.LBB206_588:
	s_mov_b64 s[4:5], -1
                                        ; implicit-def: $vgpr3
	s_branch .LBB206_593
.LBB206_589:
	s_or_saveexec_b64 s[4:5], s[4:5]
	v_mov_b32_e32 v4, 0x7f800001
	s_xor_b64 exec, exec, s[4:5]
	s_cbranch_execz .LBB206_570
.LBB206_590:
	v_cmp_ne_u16_e32 vcc, 0, v3
	s_andn2_b64 s[2:3], s[2:3], exec
	s_and_b64 s[38:39], vcc, exec
	v_mov_b32_e32 v4, 0
	s_or_b64 s[2:3], s[2:3], s[38:39]
	s_or_b64 exec, exec, s[4:5]
	s_and_saveexec_b64 s[4:5], s[2:3]
	s_cbranch_execnz .LBB206_571
	s_branch .LBB206_572
.LBB206_591:
	s_mov_b64 s[36:37], -1
                                        ; implicit-def: $vgpr3
.LBB206_592:
	s_mov_b64 s[4:5], 0
.LBB206_593:
	s_and_b64 vcc, exec, s[4:5]
	s_cbranch_vccz .LBB206_597
; %bb.594:
	s_cmp_eq_u32 s40, 11
	s_cbranch_scc0 .LBB206_596
; %bb.595:
	global_load_ubyte v3, v[0:1], off
	s_mov_b64 s[2:3], -1
	s_mov_b64 s[36:37], 0
	s_waitcnt vmcnt(0)
	v_cmp_ne_u16_e32 vcc, 0, v3
	v_cndmask_b32_e64 v3, 0, 1.0, vcc
	v_lshrrev_b32_e32 v3, 16, v3
	s_branch .LBB206_597
.LBB206_596:
	s_mov_b64 s[36:37], -1
                                        ; implicit-def: $vgpr3
.LBB206_597:
	s_mov_b64 s[4:5], 0
.LBB206_598:
	s_and_b64 vcc, exec, s[4:5]
	s_cbranch_vccz .LBB206_647
; %bb.599:
	s_cmp_lt_i32 s40, 5
	s_cbranch_scc1 .LBB206_604
; %bb.600:
	s_cmp_lt_i32 s40, 8
	s_cbranch_scc1 .LBB206_605
	;; [unrolled: 3-line block ×3, first 2 shown]
; %bb.602:
	s_cmp_gt_i32 s40, 9
	s_cbranch_scc0 .LBB206_607
; %bb.603:
	global_load_dwordx2 v[3:4], v[0:1], off
	s_movk_i32 s2, 0x7fff
	s_waitcnt vmcnt(0)
	v_cvt_f32_f64_e32 v3, v[3:4]
	v_mov_b32_e32 v4, 0x7fc0
	v_bfe_u32 v5, v3, 16, 1
	v_cmp_o_f32_e32 vcc, v3, v3
	v_add3_u32 v3, v3, v5, s2
	v_cndmask_b32_sdwa v3, v4, v3, vcc dst_sel:DWORD dst_unused:UNUSED_PAD src0_sel:DWORD src1_sel:WORD_1
	s_mov_b64 s[2:3], 0
	s_branch .LBB206_608
.LBB206_604:
	s_mov_b64 s[2:3], -1
                                        ; implicit-def: $vgpr3
	s_branch .LBB206_626
.LBB206_605:
	s_mov_b64 s[2:3], -1
                                        ; implicit-def: $vgpr3
	s_branch .LBB206_614
.LBB206_606:
	s_mov_b64 s[2:3], -1
                                        ; implicit-def: $vgpr3
	s_branch .LBB206_611
.LBB206_607:
	s_mov_b64 s[2:3], -1
                                        ; implicit-def: $vgpr3
.LBB206_608:
	s_andn2_b64 vcc, exec, s[2:3]
	s_cbranch_vccnz .LBB206_610
; %bb.609:
	global_load_dword v3, v[0:1], off
	s_movk_i32 s2, 0x7fff
	v_mov_b32_e32 v4, 0x7fc0
	s_waitcnt vmcnt(0)
	v_bfe_u32 v5, v3, 16, 1
	v_cmp_o_f32_e32 vcc, v3, v3
	v_add3_u32 v3, v3, v5, s2
	v_cndmask_b32_sdwa v3, v4, v3, vcc dst_sel:DWORD dst_unused:UNUSED_PAD src0_sel:DWORD src1_sel:WORD_1
.LBB206_610:
	s_mov_b64 s[2:3], 0
.LBB206_611:
	s_andn2_b64 vcc, exec, s[2:3]
	s_cbranch_vccnz .LBB206_613
; %bb.612:
	global_load_dword v3, v[0:1], off
	s_movk_i32 s2, 0x7fff
	v_mov_b32_e32 v5, 0x7fc0
	s_waitcnt vmcnt(0)
	v_cvt_f32_f16_e32 v4, v3
	v_cmp_o_f16_e32 vcc, v3, v3
	v_bfe_u32 v3, v4, 16, 1
	v_add3_u32 v3, v4, v3, s2
	v_cndmask_b32_sdwa v3, v5, v3, vcc dst_sel:DWORD dst_unused:UNUSED_PAD src0_sel:DWORD src1_sel:WORD_1
.LBB206_613:
	s_mov_b64 s[2:3], 0
.LBB206_614:
	s_andn2_b64 vcc, exec, s[2:3]
	s_cbranch_vccnz .LBB206_625
; %bb.615:
	s_cmp_lt_i32 s40, 6
	s_cbranch_scc1 .LBB206_618
; %bb.616:
	s_cmp_gt_i32 s40, 6
	s_cbranch_scc0 .LBB206_619
; %bb.617:
	global_load_dwordx2 v[3:4], v[0:1], off
	s_movk_i32 s2, 0x7fff
	s_waitcnt vmcnt(0)
	v_cvt_f32_f64_e32 v3, v[3:4]
	v_mov_b32_e32 v4, 0x7fc0
	v_bfe_u32 v5, v3, 16, 1
	v_cmp_o_f32_e32 vcc, v3, v3
	v_add3_u32 v3, v3, v5, s2
	v_cndmask_b32_sdwa v3, v4, v3, vcc dst_sel:DWORD dst_unused:UNUSED_PAD src0_sel:DWORD src1_sel:WORD_1
	s_mov_b64 s[2:3], 0
	s_branch .LBB206_620
.LBB206_618:
	s_mov_b64 s[2:3], -1
                                        ; implicit-def: $vgpr3
	s_branch .LBB206_623
.LBB206_619:
	s_mov_b64 s[2:3], -1
                                        ; implicit-def: $vgpr3
.LBB206_620:
	s_andn2_b64 vcc, exec, s[2:3]
	s_cbranch_vccnz .LBB206_622
; %bb.621:
	global_load_dword v3, v[0:1], off
	s_movk_i32 s2, 0x7fff
	v_mov_b32_e32 v4, 0x7fc0
	s_waitcnt vmcnt(0)
	v_bfe_u32 v5, v3, 16, 1
	v_cmp_o_f32_e32 vcc, v3, v3
	v_add3_u32 v3, v3, v5, s2
	v_cndmask_b32_sdwa v3, v4, v3, vcc dst_sel:DWORD dst_unused:UNUSED_PAD src0_sel:DWORD src1_sel:WORD_1
.LBB206_622:
	s_mov_b64 s[2:3], 0
.LBB206_623:
	s_andn2_b64 vcc, exec, s[2:3]
	s_cbranch_vccnz .LBB206_625
; %bb.624:
	global_load_ushort v3, v[0:1], off
	s_movk_i32 s2, 0x7fff
	v_mov_b32_e32 v5, 0x7fc0
	s_waitcnt vmcnt(0)
	v_cvt_f32_f16_e32 v4, v3
	v_cmp_o_f16_e32 vcc, v3, v3
	v_bfe_u32 v3, v4, 16, 1
	v_add3_u32 v3, v4, v3, s2
	v_cndmask_b32_sdwa v3, v5, v3, vcc dst_sel:DWORD dst_unused:UNUSED_PAD src0_sel:DWORD src1_sel:WORD_1
.LBB206_625:
	s_mov_b64 s[2:3], 0
.LBB206_626:
	s_andn2_b64 vcc, exec, s[2:3]
	s_cbranch_vccnz .LBB206_646
; %bb.627:
	s_cmp_lt_i32 s40, 2
	s_cbranch_scc1 .LBB206_631
; %bb.628:
	s_cmp_lt_i32 s40, 3
	s_cbranch_scc1 .LBB206_632
; %bb.629:
	s_cmp_gt_i32 s40, 3
	s_cbranch_scc0 .LBB206_633
; %bb.630:
	global_load_dwordx2 v[3:4], v[0:1], off
	s_movk_i32 s2, 0x7fff
	s_waitcnt vmcnt(0)
	v_xor_b32_e32 v6, v3, v4
	v_ffbh_i32_e32 v5, v4
	v_ashrrev_i32_e32 v6, 31, v6
	v_add_u32_e32 v5, -1, v5
	v_add_u32_e32 v6, 32, v6
	v_min_u32_e32 v5, v5, v6
	v_lshlrev_b64 v[3:4], v5, v[3:4]
	v_min_u32_e32 v3, 1, v3
	v_or_b32_e32 v3, v4, v3
	v_cvt_f32_i32_e32 v3, v3
	v_sub_u32_e32 v4, 32, v5
	v_ldexp_f32 v3, v3, v4
	v_bfe_u32 v4, v3, 16, 1
	v_add3_u32 v3, v3, v4, s2
	v_lshrrev_b32_e32 v3, 16, v3
	s_mov_b64 s[2:3], 0
	s_branch .LBB206_634
.LBB206_631:
	s_mov_b64 s[2:3], -1
                                        ; implicit-def: $vgpr3
	s_branch .LBB206_640
.LBB206_632:
	s_mov_b64 s[2:3], -1
                                        ; implicit-def: $vgpr3
	s_branch .LBB206_637
.LBB206_633:
	s_mov_b64 s[2:3], -1
                                        ; implicit-def: $vgpr3
.LBB206_634:
	s_andn2_b64 vcc, exec, s[2:3]
	s_cbranch_vccnz .LBB206_636
; %bb.635:
	global_load_dword v3, v[0:1], off
	s_movk_i32 s2, 0x7fff
	s_waitcnt vmcnt(0)
	v_cvt_f32_i32_e32 v3, v3
	v_bfe_u32 v4, v3, 16, 1
	v_add3_u32 v3, v3, v4, s2
	v_lshrrev_b32_e32 v3, 16, v3
.LBB206_636:
	s_mov_b64 s[2:3], 0
.LBB206_637:
	s_andn2_b64 vcc, exec, s[2:3]
	s_cbranch_vccnz .LBB206_639
; %bb.638:
	global_load_sshort v3, v[0:1], off
	s_movk_i32 s2, 0x7fff
	s_waitcnt vmcnt(0)
	v_cvt_f32_i32_e32 v3, v3
	v_bfe_u32 v4, v3, 16, 1
	v_add3_u32 v3, v3, v4, s2
	v_lshrrev_b32_e32 v3, 16, v3
.LBB206_639:
	s_mov_b64 s[2:3], 0
.LBB206_640:
	s_andn2_b64 vcc, exec, s[2:3]
	s_cbranch_vccnz .LBB206_646
; %bb.641:
	s_cmp_gt_i32 s40, 0
	s_cbranch_scc0 .LBB206_643
; %bb.642:
	global_load_sbyte v3, v[0:1], off
	s_movk_i32 s2, 0x7fff
	s_waitcnt vmcnt(0)
	v_cvt_f32_i32_e32 v3, v3
	v_bfe_u32 v4, v3, 16, 1
	v_add3_u32 v3, v3, v4, s2
	v_lshrrev_b32_e32 v3, 16, v3
	s_mov_b64 s[2:3], 0
	s_branch .LBB206_644
.LBB206_643:
	s_mov_b64 s[2:3], -1
                                        ; implicit-def: $vgpr3
.LBB206_644:
	s_andn2_b64 vcc, exec, s[2:3]
	s_cbranch_vccnz .LBB206_646
; %bb.645:
	global_load_ubyte v0, v[0:1], off
	s_movk_i32 s2, 0x7fff
	s_waitcnt vmcnt(0)
	v_cvt_f32_ubyte0_e32 v0, v0
	v_bfe_u32 v1, v0, 16, 1
	v_add3_u32 v0, v0, v1, s2
	v_lshrrev_b32_e32 v3, 16, v0
.LBB206_646:
	s_mov_b64 s[2:3], -1
.LBB206_647:
	s_andn2_b64 vcc, exec, s[2:3]
	s_cbranch_vccnz .LBB206_655
; %bb.648:
	s_waitcnt vmcnt(0)
	v_lshlrev_b32_e32 v0, 16, v3
	v_cmp_eq_f32_e32 vcc, s33, v0
	v_cndmask_b32_e64 v1, 0, 1, vcc
	v_cmp_neq_f32_e32 vcc, s33, v0
	v_mul_lo_u32 v3, v2, s12
	v_cndmask_b32_e64 v0, 0, 1, vcc
	v_cndmask_b32_e64 v0, v0, v1, s[0:1]
	v_and_b32_e32 v0, 1, v0
	v_cmp_eq_u32_e64 s[2:3], 1, v0
	v_ashrrev_i32_e32 v1, 31, v3
	v_mov_b32_e32 v4, s9
	s_and_b32 s45, s17, 0xff
	v_add_co_u32_e32 v0, vcc, s8, v3
	s_cmp_lt_i32 s45, 11
	v_addc_co_u32_e32 v1, vcc, v4, v1, vcc
	s_cbranch_scc1 .LBB206_656
; %bb.649:
	s_and_b32 s46, 0xffff, s45
	s_cmp_gt_i32 s46, 25
	s_cbranch_scc0 .LBB206_657
; %bb.650:
	s_cmp_gt_i32 s46, 28
	s_cbranch_scc0 .LBB206_658
; %bb.651:
	;; [unrolled: 3-line block ×4, first 2 shown]
	s_mov_b64 s[40:41], 0
	s_mov_b64 s[4:5], -1
	s_cmp_eq_u32 s46, 46
	s_mov_b64 s[38:39], 0
	s_cbranch_scc0 .LBB206_661
; %bb.654:
	v_cndmask_b32_e64 v3, 0, 1.0, s[2:3]
	v_bfe_u32 v4, v3, 16, 1
	s_movk_i32 s4, 0x7fff
	v_add3_u32 v3, v3, v4, s4
	v_lshrrev_b32_e32 v3, 16, v3
	global_store_dword v[0:1], v3, off
	s_mov_b64 s[38:39], -1
	s_mov_b64 s[4:5], 0
	s_branch .LBB206_661
.LBB206_655:
	s_mov_b64 s[38:39], 0
	s_mov_b64 s[4:5], s[28:29]
	s_branch .LBB206_772
.LBB206_656:
	s_mov_b64 s[40:41], -1
	s_mov_b64 s[38:39], 0
	s_mov_b64 s[4:5], s[28:29]
	s_branch .LBB206_730
.LBB206_657:
	s_mov_b64 s[40:41], -1
	s_mov_b64 s[38:39], 0
	s_mov_b64 s[4:5], s[28:29]
	s_branch .LBB206_688
.LBB206_658:
	s_mov_b64 s[40:41], -1
	s_mov_b64 s[38:39], 0
	s_mov_b64 s[4:5], s[28:29]
	s_branch .LBB206_671
.LBB206_659:
	s_mov_b64 s[40:41], -1
	s_mov_b64 s[38:39], 0
	s_mov_b64 s[4:5], s[28:29]
	s_branch .LBB206_667
.LBB206_660:
	s_mov_b64 s[40:41], -1
	s_mov_b64 s[38:39], 0
	s_mov_b64 s[4:5], s[28:29]
.LBB206_661:
	s_and_b64 vcc, exec, s[40:41]
	s_cbranch_vccz .LBB206_666
; %bb.662:
	s_cmp_eq_u32 s46, 44
	s_mov_b64 s[4:5], -1
	s_cbranch_scc0 .LBB206_666
; %bb.663:
	v_cndmask_b32_e64 v4, 0, 1.0, s[2:3]
	v_lshrrev_b32_e32 v3, 23, v4
	s_movk_i32 s4, 0xff
	v_cmp_ne_u32_e32 vcc, s4, v3
	v_mov_b32_e32 v5, 0xff
	s_and_saveexec_b64 s[38:39], vcc
; %bb.664:
	s_mov_b32 s4, 0x3fffff
	v_and_b32_e32 v5, 0x400000, v4
	v_and_or_b32 v4, v4, s4, v3
	v_cmp_ne_u32_e32 vcc, 0, v5
	v_cmp_ne_u32_e64 s[4:5], 0, v4
	s_and_b64 s[4:5], vcc, s[4:5]
	v_cndmask_b32_e64 v4, 0, 1, s[4:5]
	v_add_u32_e32 v5, v3, v4
; %bb.665:
	s_or_b64 exec, exec, s[38:39]
	s_mov_b64 s[38:39], -1
	s_mov_b64 s[4:5], 0
	global_store_byte v[0:1], v5, off
.LBB206_666:
	s_mov_b64 s[40:41], 0
.LBB206_667:
	s_and_b64 vcc, exec, s[40:41]
	s_cbranch_vccz .LBB206_670
; %bb.668:
	s_cmp_eq_u32 s46, 29
	s_mov_b64 s[4:5], -1
	s_cbranch_scc0 .LBB206_670
; %bb.669:
	s_mov_b32 s4, 0
	v_cndmask_b32_e64 v3, 0, 1, s[2:3]
	v_mov_b32_e32 v4, s4
	global_store_dwordx2 v[0:1], v[3:4], off
	s_mov_b64 s[38:39], -1
	s_mov_b64 s[4:5], 0
.LBB206_670:
	s_mov_b64 s[40:41], 0
.LBB206_671:
	s_and_b64 vcc, exec, s[40:41]
	s_cbranch_vccz .LBB206_687
; %bb.672:
	s_cmp_lt_i32 s46, 27
	s_mov_b64 s[38:39], -1
	s_cbranch_scc1 .LBB206_678
; %bb.673:
	s_cmp_gt_i32 s46, 27
	s_cbranch_scc0 .LBB206_675
; %bb.674:
	v_cndmask_b32_e64 v3, 0, 1, s[2:3]
	s_mov_b64 s[38:39], 0
	global_store_dword v[0:1], v3, off
.LBB206_675:
	s_andn2_b64 vcc, exec, s[38:39]
	s_cbranch_vccnz .LBB206_677
; %bb.676:
	v_cndmask_b32_e64 v3, 0, 1, s[2:3]
	global_store_short v[0:1], v3, off
.LBB206_677:
	s_mov_b64 s[38:39], 0
.LBB206_678:
	s_andn2_b64 vcc, exec, s[38:39]
	s_cbranch_vccnz .LBB206_686
; %bb.679:
	v_cndmask_b32_e64 v4, 0, 1.0, s[2:3]
	s_mov_b32 s38, 0x43800000
	v_cmp_gt_u32_e32 vcc, s38, v4
	v_mov_b32_e32 v5, 0x80
	s_and_saveexec_b64 s[38:39], vcc
	s_cbranch_execz .LBB206_685
; %bb.680:
	s_mov_b32 s40, 0x3bffffff
	v_cmp_lt_u32_e32 vcc, s40, v4
	s_mov_b64 s[40:41], 0
                                        ; implicit-def: $vgpr3
	s_and_saveexec_b64 s[42:43], vcc
	s_xor_b64 s[42:43], exec, s[42:43]
	s_cbranch_execz .LBB206_787
; %bb.681:
	v_bfe_u32 v3, v4, 20, 1
	s_mov_b32 s47, 0x487ffff
	v_add3_u32 v3, v4, v3, s47
	s_mov_b64 s[40:41], exec
	v_lshrrev_b32_e32 v3, 20, v3
                                        ; implicit-def: $vgpr4
	s_andn2_saveexec_b64 s[42:43], s[42:43]
	s_cbranch_execnz .LBB206_788
.LBB206_682:
	s_or_b64 exec, exec, s[42:43]
	v_mov_b32_e32 v5, 0
	s_and_saveexec_b64 s[42:43], s[40:41]
.LBB206_683:
	v_mov_b32_e32 v5, v3
.LBB206_684:
	s_or_b64 exec, exec, s[42:43]
.LBB206_685:
	s_or_b64 exec, exec, s[38:39]
	global_store_byte v[0:1], v5, off
.LBB206_686:
	s_mov_b64 s[38:39], -1
.LBB206_687:
	s_mov_b64 s[40:41], 0
.LBB206_688:
	s_and_b64 vcc, exec, s[40:41]
	s_cbranch_vccz .LBB206_729
; %bb.689:
	s_cmp_gt_i32 s46, 22
	s_mov_b64 s[40:41], -1
	s_cbranch_scc0 .LBB206_721
; %bb.690:
	s_cmp_lt_i32 s46, 24
	s_mov_b64 s[38:39], -1
	s_cbranch_scc1 .LBB206_710
; %bb.691:
	s_cmp_gt_i32 s46, 24
	s_cbranch_scc0 .LBB206_699
; %bb.692:
	v_cndmask_b32_e64 v4, 0, 1.0, s[2:3]
	s_mov_b32 s38, 0x47800000
	v_cmp_gt_u32_e32 vcc, s38, v4
	v_mov_b32_e32 v5, 0x80
	s_and_saveexec_b64 s[38:39], vcc
	s_cbranch_execz .LBB206_698
; %bb.693:
	s_mov_b32 s40, 0x37ffffff
	v_cmp_lt_u32_e32 vcc, s40, v4
	s_mov_b64 s[40:41], 0
                                        ; implicit-def: $vgpr3
	s_and_saveexec_b64 s[42:43], vcc
	s_xor_b64 s[42:43], exec, s[42:43]
	s_cbranch_execz .LBB206_790
; %bb.694:
	v_bfe_u32 v3, v4, 21, 1
	s_mov_b32 s47, 0x88fffff
	v_add3_u32 v3, v4, v3, s47
	s_mov_b64 s[40:41], exec
	v_lshrrev_b32_e32 v3, 21, v3
                                        ; implicit-def: $vgpr4
	s_andn2_saveexec_b64 s[42:43], s[42:43]
	s_cbranch_execnz .LBB206_791
.LBB206_695:
	s_or_b64 exec, exec, s[42:43]
	v_mov_b32_e32 v5, 0
	s_and_saveexec_b64 s[42:43], s[40:41]
.LBB206_696:
	v_mov_b32_e32 v5, v3
.LBB206_697:
	s_or_b64 exec, exec, s[42:43]
.LBB206_698:
	s_or_b64 exec, exec, s[38:39]
	s_mov_b64 s[38:39], 0
	global_store_byte v[0:1], v5, off
.LBB206_699:
	s_and_b64 vcc, exec, s[38:39]
	s_cbranch_vccz .LBB206_709
; %bb.700:
	v_cndmask_b32_e64 v3, 0, 1.0, s[2:3]
	s_mov_b32 s38, 0x43f00000
	v_cmp_gt_u32_e32 vcc, s38, v3
                                        ; implicit-def: $vgpr4
	s_and_saveexec_b64 s[38:39], vcc
	s_xor_b64 s[38:39], exec, s[38:39]
	s_cbranch_execz .LBB206_706
; %bb.701:
	s_mov_b32 s40, 0x3c7fffff
	v_cmp_lt_u32_e32 vcc, s40, v3
                                        ; implicit-def: $vgpr4
	s_and_saveexec_b64 s[40:41], vcc
	s_xor_b64 s[40:41], exec, s[40:41]
; %bb.702:
	v_bfe_u32 v4, v3, 20, 1
	s_mov_b32 s42, 0x407ffff
	v_add3_u32 v3, v3, v4, s42
	v_lshrrev_b32_e32 v4, 20, v3
	v_and_b32_e32 v3, 0xff00000, v3
	s_mov_b32 s42, 0x7f00000
	v_mov_b32_e32 v5, 0x7e
	v_cmp_ne_u32_e32 vcc, s42, v3
	v_cndmask_b32_e32 v4, v5, v4, vcc
                                        ; implicit-def: $vgpr3
; %bb.703:
	s_andn2_saveexec_b64 s[40:41], s[40:41]
; %bb.704:
	v_add_f32_e32 v4, 0x46800000, v3
; %bb.705:
	s_or_b64 exec, exec, s[40:41]
                                        ; implicit-def: $vgpr3
.LBB206_706:
	s_andn2_saveexec_b64 s[38:39], s[38:39]
; %bb.707:
	s_mov_b32 s40, 0x7f800000
	v_mov_b32_e32 v4, 0x7e
	v_mov_b32_e32 v5, 0x7f
	v_cmp_lt_u32_e32 vcc, s40, v3
	v_cndmask_b32_e32 v4, v4, v5, vcc
; %bb.708:
	s_or_b64 exec, exec, s[38:39]
	global_store_byte v[0:1], v4, off
.LBB206_709:
	s_mov_b64 s[38:39], 0
.LBB206_710:
	s_andn2_b64 vcc, exec, s[38:39]
	s_cbranch_vccnz .LBB206_720
; %bb.711:
	v_cndmask_b32_e64 v3, 0, 1.0, s[2:3]
	s_mov_b32 s38, 0x47800000
	v_cmp_gt_u32_e32 vcc, s38, v3
                                        ; implicit-def: $vgpr4
	s_and_saveexec_b64 s[38:39], vcc
	s_xor_b64 s[38:39], exec, s[38:39]
	s_cbranch_execz .LBB206_717
; %bb.712:
	s_mov_b32 s40, 0x387fffff
	v_cmp_lt_u32_e32 vcc, s40, v3
                                        ; implicit-def: $vgpr4
	s_and_saveexec_b64 s[40:41], vcc
	s_xor_b64 s[40:41], exec, s[40:41]
; %bb.713:
	v_bfe_u32 v4, v3, 21, 1
	s_mov_b32 s42, 0x80fffff
	v_add3_u32 v3, v3, v4, s42
	v_lshrrev_b32_e32 v4, 21, v3
                                        ; implicit-def: $vgpr3
; %bb.714:
	s_andn2_saveexec_b64 s[40:41], s[40:41]
; %bb.715:
	v_add_f32_e32 v4, 0x43000000, v3
; %bb.716:
	s_or_b64 exec, exec, s[40:41]
                                        ; implicit-def: $vgpr3
.LBB206_717:
	s_andn2_saveexec_b64 s[38:39], s[38:39]
; %bb.718:
	s_mov_b32 s40, 0x7f800000
	v_mov_b32_e32 v4, 0x7c
	v_mov_b32_e32 v5, 0x7f
	v_cmp_lt_u32_e32 vcc, s40, v3
	v_cndmask_b32_e32 v4, v4, v5, vcc
; %bb.719:
	s_or_b64 exec, exec, s[38:39]
	global_store_byte v[0:1], v4, off
.LBB206_720:
	s_mov_b64 s[40:41], 0
	s_mov_b64 s[38:39], -1
.LBB206_721:
	s_andn2_b64 vcc, exec, s[40:41]
	s_cbranch_vccnz .LBB206_729
; %bb.722:
	s_cmp_gt_i32 s46, 14
	s_mov_b64 s[40:41], -1
	s_cbranch_scc0 .LBB206_726
; %bb.723:
	s_cmp_eq_u32 s46, 15
	s_mov_b64 s[4:5], -1
	s_cbranch_scc0 .LBB206_725
; %bb.724:
	v_cndmask_b32_e64 v3, 0, 1.0, s[2:3]
	v_bfe_u32 v4, v3, 16, 1
	s_movk_i32 s4, 0x7fff
	v_add3_u32 v3, v3, v4, s4
	global_store_short_d16_hi v[0:1], v3, off
	s_mov_b64 s[38:39], -1
	s_mov_b64 s[4:5], 0
.LBB206_725:
	s_mov_b64 s[40:41], 0
.LBB206_726:
	s_and_b64 vcc, exec, s[40:41]
	s_cbranch_vccz .LBB206_729
; %bb.727:
	s_cmp_eq_u32 s46, 11
	s_mov_b64 s[4:5], -1
	s_cbranch_scc0 .LBB206_729
; %bb.728:
	v_cndmask_b32_e64 v3, 0, 1, s[2:3]
	s_mov_b64 s[38:39], -1
	s_mov_b64 s[4:5], 0
	global_store_byte v[0:1], v3, off
.LBB206_729:
	s_mov_b64 s[40:41], 0
.LBB206_730:
	s_and_b64 vcc, exec, s[40:41]
	s_cbranch_vccz .LBB206_769
; %bb.731:
	s_and_b32 s40, 0xffff, s45
	s_cmp_lt_i32 s40, 5
	s_mov_b64 s[38:39], -1
	s_cbranch_scc1 .LBB206_752
; %bb.732:
	s_cmp_lt_i32 s40, 8
	s_cbranch_scc1 .LBB206_742
; %bb.733:
	s_cmp_lt_i32 s40, 9
	s_cbranch_scc1 .LBB206_739
; %bb.734:
	s_cmp_gt_i32 s40, 9
	s_cbranch_scc0 .LBB206_736
; %bb.735:
	v_cndmask_b32_e64 v3, 0, 1, s[2:3]
	v_cvt_f64_u32_e32 v[3:4], v3
	v_mov_b32_e32 v5, 0
	v_mov_b32_e32 v6, v5
	s_mov_b64 s[38:39], 0
	global_store_dwordx4 v[0:1], v[3:6], off
.LBB206_736:
	s_andn2_b64 vcc, exec, s[38:39]
	s_cbranch_vccnz .LBB206_738
; %bb.737:
	v_cndmask_b32_e64 v3, 0, 1.0, s[2:3]
	v_mov_b32_e32 v4, 0
	global_store_dwordx2 v[0:1], v[3:4], off
.LBB206_738:
	s_mov_b64 s[38:39], 0
.LBB206_739:
	s_andn2_b64 vcc, exec, s[38:39]
	s_cbranch_vccnz .LBB206_741
; %bb.740:
	v_cndmask_b32_e64 v3, 0, 1.0, s[2:3]
	v_cvt_f16_f32_e32 v3, v3
	global_store_dword v[0:1], v3, off
.LBB206_741:
	s_mov_b64 s[38:39], 0
.LBB206_742:
	s_andn2_b64 vcc, exec, s[38:39]
	s_cbranch_vccnz .LBB206_751
; %bb.743:
	s_cmp_lt_i32 s40, 6
	s_mov_b64 s[38:39], -1
	s_cbranch_scc1 .LBB206_749
; %bb.744:
	s_cmp_gt_i32 s40, 6
	s_cbranch_scc0 .LBB206_746
; %bb.745:
	v_cndmask_b32_e64 v3, 0, 1, s[2:3]
	v_cvt_f64_u32_e32 v[3:4], v3
	s_mov_b64 s[38:39], 0
	global_store_dwordx2 v[0:1], v[3:4], off
.LBB206_746:
	s_andn2_b64 vcc, exec, s[38:39]
	s_cbranch_vccnz .LBB206_748
; %bb.747:
	v_cndmask_b32_e64 v3, 0, 1.0, s[2:3]
	global_store_dword v[0:1], v3, off
.LBB206_748:
	s_mov_b64 s[38:39], 0
.LBB206_749:
	s_andn2_b64 vcc, exec, s[38:39]
	s_cbranch_vccnz .LBB206_751
; %bb.750:
	v_cndmask_b32_e64 v3, 0, 1.0, s[2:3]
	v_cvt_f16_f32_e32 v3, v3
	global_store_short v[0:1], v3, off
.LBB206_751:
	s_mov_b64 s[38:39], 0
.LBB206_752:
	s_andn2_b64 vcc, exec, s[38:39]
	s_cbranch_vccnz .LBB206_768
; %bb.753:
	s_cmp_lt_i32 s40, 2
	s_mov_b64 s[38:39], -1
	s_cbranch_scc1 .LBB206_763
; %bb.754:
	s_cmp_lt_i32 s40, 3
	s_cbranch_scc1 .LBB206_760
; %bb.755:
	s_cmp_gt_i32 s40, 3
	s_cbranch_scc0 .LBB206_757
; %bb.756:
	s_mov_b32 s38, 0
	v_cndmask_b32_e64 v3, 0, 1, s[2:3]
	v_mov_b32_e32 v4, s38
	s_mov_b64 s[38:39], 0
	global_store_dwordx2 v[0:1], v[3:4], off
.LBB206_757:
	s_andn2_b64 vcc, exec, s[38:39]
	s_cbranch_vccnz .LBB206_759
; %bb.758:
	v_cndmask_b32_e64 v3, 0, 1, s[2:3]
	global_store_dword v[0:1], v3, off
.LBB206_759:
	s_mov_b64 s[38:39], 0
.LBB206_760:
	s_andn2_b64 vcc, exec, s[38:39]
	s_cbranch_vccnz .LBB206_762
; %bb.761:
	v_cndmask_b32_e64 v3, 0, 1, s[2:3]
	global_store_short v[0:1], v3, off
.LBB206_762:
	s_mov_b64 s[38:39], 0
.LBB206_763:
	s_andn2_b64 vcc, exec, s[38:39]
	s_cbranch_vccnz .LBB206_768
; %bb.764:
	s_mov_b64 s[38:39], -1
	s_cmp_gt_i32 s40, 0
	v_cndmask_b32_e64 v3, 0, 1, s[2:3]
	s_cbranch_scc0 .LBB206_766
; %bb.765:
	s_mov_b64 s[38:39], 0
	global_store_byte v[0:1], v3, off
.LBB206_766:
	s_andn2_b64 vcc, exec, s[38:39]
	s_cbranch_vccnz .LBB206_768
; %bb.767:
	global_store_byte v[0:1], v3, off
.LBB206_768:
	s_mov_b64 s[38:39], -1
.LBB206_769:
	s_andn2_b64 vcc, exec, s[38:39]
	s_cbranch_vccnz .LBB206_771
; %bb.770:
	v_add_u32_e32 v2, 0x80, v2
	s_mov_b64 s[38:39], -1
	s_branch .LBB206_773
.LBB206_771:
	s_mov_b64 s[38:39], 0
.LBB206_772:
                                        ; implicit-def: $vgpr2
.LBB206_773:
	s_andn2_b64 s[2:3], s[28:29], exec
	s_and_b64 s[4:5], s[4:5], exec
	s_or_b64 s[4:5], s[2:3], s[4:5]
	s_andn2_b64 s[2:3], s[26:27], exec
	s_and_b64 s[36:37], s[36:37], exec
	s_or_b64 s[2:3], s[2:3], s[36:37]
	s_orn2_b64 s[40:41], s[38:39], exec
.LBB206_774:
	s_or_b64 exec, exec, s[34:35]
	s_mov_b64 s[38:39], 0
	s_mov_b64 s[42:43], 0
	;; [unrolled: 1-line block ×3, first 2 shown]
                                        ; implicit-def: $vgpr0_vgpr1
                                        ; implicit-def: $vgpr3
	s_and_saveexec_b64 s[34:35], s[40:41]
	s_cbranch_execz .LBB206_859
; %bb.775:
	v_cmp_gt_i32_e32 vcc, s44, v2
	s_mov_b64 s[40:41], 0
	s_mov_b64 s[44:45], s[2:3]
	;; [unrolled: 1-line block ×3, first 2 shown]
                                        ; implicit-def: $vgpr0_vgpr1
                                        ; implicit-def: $vgpr3
	s_and_saveexec_b64 s[36:37], vcc
	s_cbranch_execz .LBB206_858
; %bb.776:
	v_mul_lo_u32 v0, v2, s13
	v_mov_b32_e32 v1, s11
	s_and_b32 s48, 0xffff, s16
	s_cmp_lt_i32 s48, 11
	s_waitcnt vmcnt(0)
	v_ashrrev_i32_e32 v3, 31, v0
	v_add_co_u32_e32 v0, vcc, s10, v0
	v_addc_co_u32_e32 v1, vcc, v1, v3, vcc
	s_cbranch_scc1 .LBB206_783
; %bb.777:
	s_cmp_gt_i32 s48, 25
	s_cbranch_scc0 .LBB206_784
; %bb.778:
	s_cmp_gt_i32 s48, 28
	s_cbranch_scc0 .LBB206_785
	;; [unrolled: 3-line block ×4, first 2 shown]
; %bb.781:
	s_cmp_eq_u32 s48, 46
	s_mov_b64 s[44:45], 0
	s_cbranch_scc0 .LBB206_792
; %bb.782:
	global_load_dword v3, v[0:1], off
	s_mov_b64 s[42:43], -1
	s_branch .LBB206_794
.LBB206_783:
	s_mov_b64 s[44:45], -1
                                        ; implicit-def: $vgpr3
	s_mov_b64 s[38:39], s[2:3]
	s_branch .LBB206_857
.LBB206_784:
	s_mov_b64 s[44:45], -1
	s_mov_b64 s[38:39], s[2:3]
                                        ; implicit-def: $vgpr3
	s_branch .LBB206_823
.LBB206_785:
	s_mov_b64 s[44:45], -1
	s_mov_b64 s[38:39], s[2:3]
                                        ; implicit-def: $vgpr3
	s_branch .LBB206_804
.LBB206_786:
	s_mov_b64 s[44:45], -1
	s_mov_b64 s[38:39], s[2:3]
                                        ; implicit-def: $vgpr3
	s_branch .LBB206_799
.LBB206_787:
	s_andn2_saveexec_b64 s[42:43], s[42:43]
	s_cbranch_execz .LBB206_682
.LBB206_788:
	v_add_f32_e32 v3, 0x46000000, v4
	v_and_b32_e32 v3, 0xff, v3
	v_cmp_ne_u32_e32 vcc, 0, v3
	s_andn2_b64 s[40:41], s[40:41], exec
	s_and_b64 s[48:49], vcc, exec
	s_or_b64 s[40:41], s[40:41], s[48:49]
	s_or_b64 exec, exec, s[42:43]
	v_mov_b32_e32 v5, 0
	s_and_saveexec_b64 s[42:43], s[40:41]
	s_cbranch_execnz .LBB206_683
	s_branch .LBB206_684
.LBB206_789:
	s_mov_b64 s[44:45], -1
	s_mov_b64 s[38:39], s[2:3]
	s_branch .LBB206_793
.LBB206_790:
	s_andn2_saveexec_b64 s[42:43], s[42:43]
	s_cbranch_execz .LBB206_695
.LBB206_791:
	v_add_f32_e32 v3, 0x42800000, v4
	v_and_b32_e32 v3, 0xff, v3
	v_cmp_ne_u32_e32 vcc, 0, v3
	s_andn2_b64 s[40:41], s[40:41], exec
	s_and_b64 s[48:49], vcc, exec
	s_or_b64 s[40:41], s[40:41], s[48:49]
	s_or_b64 exec, exec, s[42:43]
	v_mov_b32_e32 v5, 0
	s_and_saveexec_b64 s[42:43], s[40:41]
	s_cbranch_execnz .LBB206_696
	s_branch .LBB206_697
.LBB206_792:
	s_mov_b64 s[38:39], -1
.LBB206_793:
                                        ; implicit-def: $vgpr3
.LBB206_794:
	s_and_b64 vcc, exec, s[44:45]
	s_cbranch_vccz .LBB206_798
; %bb.795:
	s_cmp_eq_u32 s48, 44
	s_cbranch_scc0 .LBB206_797
; %bb.796:
	global_load_ubyte v3, v[0:1], off
	s_movk_i32 s42, 0xff
	v_mov_b32_e32 v4, 0x7f800001
	v_mov_b32_e32 v5, 0x400000
	;; [unrolled: 1-line block ×3, first 2 shown]
	s_mov_b64 s[38:39], 0
	s_waitcnt vmcnt(0)
	v_lshlrev_b32_e32 v7, 23, v3
	v_cmp_ne_u32_e32 vcc, s42, v3
	v_cndmask_b32_e32 v4, v4, v7, vcc
	v_cmp_ne_u32_e32 vcc, 0, v3
	v_cndmask_b32_e32 v3, v5, v4, vcc
	v_add_u32_e32 v4, 0x7fff, v3
	v_cmp_o_f32_e32 vcc, v3, v3
	v_cndmask_b32_sdwa v3, v6, v4, vcc dst_sel:DWORD dst_unused:UNUSED_PAD src0_sel:DWORD src1_sel:WORD_1
	s_mov_b64 s[42:43], -1
	s_branch .LBB206_798
.LBB206_797:
	s_mov_b64 s[38:39], -1
                                        ; implicit-def: $vgpr3
.LBB206_798:
	s_mov_b64 s[44:45], 0
.LBB206_799:
	s_and_b64 vcc, exec, s[44:45]
	s_cbranch_vccz .LBB206_803
; %bb.800:
	s_cmp_eq_u32 s48, 29
	s_cbranch_scc0 .LBB206_802
; %bb.801:
	global_load_dwordx2 v[3:4], v[0:1], off
	s_movk_i32 s42, 0x7fff
	s_mov_b64 s[38:39], 0
	s_mov_b64 s[44:45], 0
	s_waitcnt vmcnt(0)
	v_ffbh_u32_e32 v5, v4
	v_min_u32_e32 v5, 32, v5
	v_lshlrev_b64 v[3:4], v5, v[3:4]
	v_min_u32_e32 v3, 1, v3
	v_or_b32_e32 v3, v4, v3
	v_cvt_f32_u32_e32 v3, v3
	v_sub_u32_e32 v4, 32, v5
	v_ldexp_f32 v3, v3, v4
	v_bfe_u32 v4, v3, 16, 1
	v_add3_u32 v3, v3, v4, s42
	v_lshrrev_b32_e32 v3, 16, v3
	s_mov_b64 s[42:43], -1
	s_branch .LBB206_804
.LBB206_802:
	s_mov_b64 s[38:39], -1
                                        ; implicit-def: $vgpr3
.LBB206_803:
	s_mov_b64 s[44:45], 0
.LBB206_804:
	s_and_b64 vcc, exec, s[44:45]
	s_cbranch_vccz .LBB206_822
; %bb.805:
	s_cmp_lt_i32 s48, 27
	s_cbranch_scc1 .LBB206_808
; %bb.806:
	s_cmp_gt_i32 s48, 27
	s_cbranch_scc0 .LBB206_809
; %bb.807:
	global_load_dword v3, v[0:1], off
	s_movk_i32 s42, 0x7fff
	s_waitcnt vmcnt(0)
	v_cvt_f32_u32_e32 v3, v3
	v_bfe_u32 v4, v3, 16, 1
	v_add3_u32 v3, v3, v4, s42
	v_lshrrev_b32_e32 v3, 16, v3
	s_mov_b64 s[42:43], 0
	s_branch .LBB206_810
.LBB206_808:
	s_mov_b64 s[42:43], -1
                                        ; implicit-def: $vgpr3
	s_branch .LBB206_813
.LBB206_809:
	s_mov_b64 s[42:43], -1
                                        ; implicit-def: $vgpr3
.LBB206_810:
	s_andn2_b64 vcc, exec, s[42:43]
	s_cbranch_vccnz .LBB206_812
; %bb.811:
	global_load_ushort v3, v[0:1], off
	s_movk_i32 s42, 0x7fff
	s_waitcnt vmcnt(0)
	v_cvt_f32_u32_e32 v3, v3
	v_bfe_u32 v4, v3, 16, 1
	v_add3_u32 v3, v3, v4, s42
	v_lshrrev_b32_e32 v3, 16, v3
.LBB206_812:
	s_mov_b64 s[42:43], 0
.LBB206_813:
	s_andn2_b64 vcc, exec, s[42:43]
	s_cbranch_vccnz .LBB206_821
; %bb.814:
	global_load_ubyte v3, v[0:1], off
	s_movk_i32 s42, 0x7f
	s_waitcnt vmcnt(0)
	v_cmp_lt_i16_e32 vcc, s42, v3
	s_mov_b64 s[42:43], 0
	s_and_saveexec_b64 s[44:45], vcc
	s_xor_b64 s[44:45], exec, s[44:45]
	s_cbranch_execz .LBB206_835
; %bb.815:
	s_movk_i32 s42, 0x80
	v_cmp_eq_u16_e32 vcc, s42, v3
	s_mov_b64 s[42:43], -1
	s_and_saveexec_b64 s[46:47], vcc
; %bb.816:
	s_xor_b64 s[42:43], exec, -1
; %bb.817:
	s_or_b64 exec, exec, s[46:47]
	s_and_b64 s[42:43], s[42:43], exec
	s_or_saveexec_b64 s[44:45], s[44:45]
	v_mov_b32_e32 v4, 0x7f800001
	s_xor_b64 exec, exec, s[44:45]
	s_cbranch_execnz .LBB206_836
.LBB206_818:
	s_or_b64 exec, exec, s[44:45]
	s_and_saveexec_b64 s[44:45], s[42:43]
	s_cbranch_execz .LBB206_820
.LBB206_819:
	v_lshlrev_b32_e32 v4, 24, v3
	v_and_b32_e32 v3, 0xffff, v3
	v_and_b32_e32 v5, 7, v3
	v_ffbh_u32_e32 v7, v5
	v_min_u32_e32 v7, 32, v7
	v_subrev_u32_e32 v8, 28, v7
	v_bfe_u32 v6, v3, 3, 4
	v_lshlrev_b32_e32 v3, v8, v3
	v_sub_u32_e32 v7, 29, v7
	v_and_b32_e32 v3, 7, v3
	v_cmp_eq_u32_e32 vcc, 0, v6
	v_cndmask_b32_e32 v6, v6, v7, vcc
	v_cndmask_b32_e32 v3, v5, v3, vcc
	v_mov_b32_e32 v5, 0x3b800000
	v_lshlrev_b32_e32 v3, 20, v3
	v_and_b32_e32 v4, 0x80000000, v4
	v_lshl_add_u32 v5, v6, 23, v5
	v_or3_b32 v4, v4, v5, v3
.LBB206_820:
	s_or_b64 exec, exec, s[44:45]
	v_bfe_u32 v3, v4, 16, 1
	s_movk_i32 s42, 0x7fff
	v_add3_u32 v3, v4, v3, s42
	v_cmp_o_f32_e32 vcc, v4, v4
	v_mov_b32_e32 v4, 0x7fc0
	v_cndmask_b32_sdwa v3, v4, v3, vcc dst_sel:DWORD dst_unused:UNUSED_PAD src0_sel:DWORD src1_sel:WORD_1
.LBB206_821:
	s_mov_b64 s[42:43], -1
.LBB206_822:
	s_mov_b64 s[44:45], 0
.LBB206_823:
	s_and_b64 vcc, exec, s[44:45]
	s_cbranch_vccz .LBB206_856
; %bb.824:
	s_cmp_gt_i32 s48, 22
	s_cbranch_scc0 .LBB206_834
; %bb.825:
	s_cmp_lt_i32 s48, 24
	s_cbranch_scc1 .LBB206_837
; %bb.826:
	s_cmp_gt_i32 s48, 24
	s_cbranch_scc0 .LBB206_838
; %bb.827:
	global_load_ubyte v3, v[0:1], off
	s_movk_i32 s40, 0x7f
	s_waitcnt vmcnt(0)
	v_cmp_lt_i16_e32 vcc, s40, v3
	s_mov_b64 s[40:41], 0
	s_and_saveexec_b64 s[42:43], vcc
	s_xor_b64 s[42:43], exec, s[42:43]
	s_cbranch_execz .LBB206_850
; %bb.828:
	s_movk_i32 s40, 0x80
	v_cmp_eq_u16_e32 vcc, s40, v3
	s_mov_b64 s[40:41], -1
	s_and_saveexec_b64 s[44:45], vcc
; %bb.829:
	s_xor_b64 s[40:41], exec, -1
; %bb.830:
	s_or_b64 exec, exec, s[44:45]
	s_and_b64 s[40:41], s[40:41], exec
	s_or_saveexec_b64 s[42:43], s[42:43]
	v_mov_b32_e32 v4, 0x7f800001
	s_xor_b64 exec, exec, s[42:43]
	s_cbranch_execnz .LBB206_851
.LBB206_831:
	s_or_b64 exec, exec, s[42:43]
	s_and_saveexec_b64 s[42:43], s[40:41]
	s_cbranch_execz .LBB206_833
.LBB206_832:
	v_lshlrev_b32_e32 v4, 24, v3
	v_and_b32_e32 v3, 0xffff, v3
	v_and_b32_e32 v5, 3, v3
	v_ffbh_u32_e32 v7, v5
	v_min_u32_e32 v7, 32, v7
	v_subrev_u32_e32 v8, 29, v7
	v_bfe_u32 v6, v3, 2, 5
	v_lshlrev_b32_e32 v3, v8, v3
	v_sub_u32_e32 v7, 30, v7
	v_and_b32_e32 v3, 3, v3
	v_cmp_eq_u32_e32 vcc, 0, v6
	v_cndmask_b32_e32 v6, v6, v7, vcc
	v_cndmask_b32_e32 v3, v5, v3, vcc
	v_mov_b32_e32 v5, 0x37800000
	v_lshlrev_b32_e32 v3, 21, v3
	v_and_b32_e32 v4, 0x80000000, v4
	v_lshl_add_u32 v5, v6, 23, v5
	v_or3_b32 v4, v4, v5, v3
.LBB206_833:
	s_or_b64 exec, exec, s[42:43]
	v_bfe_u32 v3, v4, 16, 1
	s_movk_i32 s40, 0x7fff
	v_add3_u32 v3, v4, v3, s40
	v_cmp_o_f32_e32 vcc, v4, v4
	v_mov_b32_e32 v4, 0x7fc0
	v_cndmask_b32_sdwa v3, v4, v3, vcc dst_sel:DWORD dst_unused:UNUSED_PAD src0_sel:DWORD src1_sel:WORD_1
	s_mov_b64 s[40:41], 0
	s_branch .LBB206_839
.LBB206_834:
	s_mov_b64 s[40:41], -1
                                        ; implicit-def: $vgpr3
	s_branch .LBB206_845
.LBB206_835:
	s_or_saveexec_b64 s[44:45], s[44:45]
	v_mov_b32_e32 v4, 0x7f800001
	s_xor_b64 exec, exec, s[44:45]
	s_cbranch_execz .LBB206_818
.LBB206_836:
	v_cmp_ne_u16_e32 vcc, 0, v3
	s_andn2_b64 s[42:43], s[42:43], exec
	s_and_b64 s[46:47], vcc, exec
	v_mov_b32_e32 v4, 0
	s_or_b64 s[42:43], s[42:43], s[46:47]
	s_or_b64 exec, exec, s[44:45]
	s_and_saveexec_b64 s[44:45], s[42:43]
	s_cbranch_execnz .LBB206_819
	s_branch .LBB206_820
.LBB206_837:
	s_mov_b64 s[40:41], -1
                                        ; implicit-def: $vgpr3
	s_branch .LBB206_842
.LBB206_838:
	s_mov_b64 s[40:41], -1
                                        ; implicit-def: $vgpr3
.LBB206_839:
	s_and_b64 vcc, exec, s[40:41]
	s_cbranch_vccz .LBB206_841
; %bb.840:
	global_load_ubyte v3, v[0:1], off
	s_mov_b32 s40, 0x7f800000
	s_brev_b32 s41, 1
	s_movk_i32 s42, 0x7fff
	s_waitcnt vmcnt(0)
	v_lshlrev_b32_e32 v3, 24, v3
	v_and_b32_e32 v4, 0x7f000000, v3
	v_ffbh_u32_e32 v5, v4
	v_min_u32_e32 v5, 32, v5
	v_sub_u32_e64 v5, v5, 4 clamp
	v_lshlrev_b32_e32 v7, v5, v4
	v_lshlrev_b32_e32 v5, 23, v5
	v_lshrrev_b32_e32 v7, 4, v7
	v_add_u32_e32 v6, 0x1000000, v4
	v_sub_u32_e32 v5, v7, v5
	v_ashrrev_i32_e32 v6, 8, v6
	v_add_u32_e32 v5, 0x3c000000, v5
	v_and_or_b32 v5, v6, s40, v5
	v_cmp_ne_u32_e32 vcc, 0, v4
	v_cndmask_b32_e32 v4, 0, v5, vcc
	v_and_or_b32 v3, v3, s41, v4
	v_bfe_u32 v4, v4, 16, 1
	v_add3_u32 v4, v3, v4, s42
	v_cmp_o_f32_e32 vcc, v3, v3
	v_mov_b32_e32 v3, 0x7fc0
	v_cndmask_b32_sdwa v3, v3, v4, vcc dst_sel:DWORD dst_unused:UNUSED_PAD src0_sel:DWORD src1_sel:WORD_1
.LBB206_841:
	s_mov_b64 s[40:41], 0
.LBB206_842:
	s_andn2_b64 vcc, exec, s[40:41]
	s_cbranch_vccnz .LBB206_844
; %bb.843:
	global_load_ubyte v3, v[0:1], off
	s_movk_i32 s40, 0x7f00
	s_brev_b32 s41, 16
	s_brev_b32 s42, 1
	s_movk_i32 s43, 0x7fff
	s_waitcnt vmcnt(0)
	v_lshlrev_b16_e32 v4, 8, v3
	v_lshlrev_b32_e32 v3, 25, v3
	v_lshrrev_b32_e32 v5, 4, v3
	v_and_or_b32 v6, v4, s40, 0.5
	v_or_b32_e32 v5, 0x70000000, v5
	v_add_f32_e32 v6, -0.5, v6
	v_mul_f32_e32 v5, 0x7800000, v5
	v_cmp_gt_u32_e32 vcc, s41, v3
	v_bfe_i32 v4, v4, 0, 16
	v_cndmask_b32_e32 v3, v5, v6, vcc
	v_and_or_b32 v4, v4, s42, v3
	v_bfe_u32 v3, v3, 16, 1
	v_add3_u32 v3, v4, v3, s43
	v_cmp_o_f32_e32 vcc, v4, v4
	v_mov_b32_e32 v4, 0x7fc0
	v_cndmask_b32_sdwa v3, v4, v3, vcc dst_sel:DWORD dst_unused:UNUSED_PAD src0_sel:DWORD src1_sel:WORD_1
.LBB206_844:
	s_mov_b64 s[40:41], 0
	s_mov_b64 s[42:43], -1
.LBB206_845:
	s_andn2_b64 vcc, exec, s[40:41]
	s_mov_b64 s[40:41], 0
	s_cbranch_vccnz .LBB206_856
; %bb.846:
	s_cmp_gt_i32 s48, 14
	s_cbranch_scc0 .LBB206_849
; %bb.847:
	s_cmp_eq_u32 s48, 15
	s_cbranch_scc0 .LBB206_852
; %bb.848:
	global_load_ushort v3, v[0:1], off
	s_mov_b64 s[38:39], 0
	s_mov_b64 s[42:43], -1
	s_branch .LBB206_853
.LBB206_849:
	s_mov_b64 s[44:45], -1
                                        ; implicit-def: $vgpr3
	s_branch .LBB206_854
.LBB206_850:
	s_or_saveexec_b64 s[42:43], s[42:43]
	v_mov_b32_e32 v4, 0x7f800001
	s_xor_b64 exec, exec, s[42:43]
	s_cbranch_execz .LBB206_831
.LBB206_851:
	v_cmp_ne_u16_e32 vcc, 0, v3
	s_andn2_b64 s[40:41], s[40:41], exec
	s_and_b64 s[44:45], vcc, exec
	v_mov_b32_e32 v4, 0
	s_or_b64 s[40:41], s[40:41], s[44:45]
	s_or_b64 exec, exec, s[42:43]
	s_and_saveexec_b64 s[42:43], s[40:41]
	s_cbranch_execnz .LBB206_832
	s_branch .LBB206_833
.LBB206_852:
	s_mov_b64 s[38:39], -1
                                        ; implicit-def: $vgpr3
.LBB206_853:
	s_mov_b64 s[44:45], 0
.LBB206_854:
	s_and_b64 vcc, exec, s[44:45]
	s_cbranch_vccz .LBB206_856
; %bb.855:
	s_cmp_lg_u32 s48, 11
	s_cselect_b64 s[44:45], -1, 0
	s_andn2_b64 s[38:39], s[38:39], exec
	s_and_b64 s[44:45], s[44:45], exec
	s_mov_b64 s[40:41], -1
	s_or_b64 s[38:39], s[38:39], s[44:45]
.LBB206_856:
	s_mov_b64 s[44:45], 0
.LBB206_857:
	s_and_b64 s[46:47], s[42:43], exec
	s_and_b64 s[42:43], s[44:45], exec
	s_andn2_b64 s[44:45], s[2:3], exec
	s_and_b64 s[38:39], s[38:39], exec
	s_and_b64 s[40:41], s[40:41], exec
	s_or_b64 s[44:45], s[44:45], s[38:39]
.LBB206_858:
	s_or_b64 exec, exec, s[36:37]
	s_and_b64 s[38:39], s[40:41], exec
	s_andn2_b64 s[2:3], s[2:3], exec
	s_and_b64 s[40:41], s[44:45], exec
	s_and_b64 s[36:37], s[46:47], exec
	;; [unrolled: 1-line block ×3, first 2 shown]
	s_or_b64 s[2:3], s[2:3], s[40:41]
.LBB206_859:
	s_or_b64 exec, exec, s[34:35]
	s_andn2_b64 s[28:29], s[28:29], exec
	s_and_b64 s[4:5], s[4:5], exec
	s_andn2_b64 s[26:27], s[26:27], exec
	s_and_b64 s[2:3], s[2:3], exec
	s_or_b64 s[28:29], s[28:29], s[4:5]
	s_and_b64 s[36:37], s[36:37], exec
	s_and_b64 s[34:35], s[42:43], exec
	;; [unrolled: 1-line block ×3, first 2 shown]
	s_or_b64 s[26:27], s[26:27], s[2:3]
.LBB206_860:
	s_or_b64 exec, exec, s[30:31]
	s_andn2_b64 s[2:3], s[20:21], exec
	s_and_b64 s[20:21], s[28:29], exec
	s_or_b64 s[20:21], s[2:3], s[20:21]
	s_and_b64 s[28:29], s[4:5], exec
	s_andn2_b64 s[2:3], s[22:23], exec
	s_and_b64 s[4:5], s[26:27], exec
	s_and_b64 s[30:31], s[36:37], exec
	;; [unrolled: 1-line block ×3, first 2 shown]
	s_or_b64 s[22:23], s[2:3], s[4:5]
	s_or_b64 exec, exec, s[24:25]
	s_mov_b64 s[2:3], 0
	s_and_saveexec_b64 s[4:5], s[22:23]
	s_cbranch_execz .LBB206_262
.LBB206_861:
	s_mov_b64 s[2:3], exec
	s_andn2_b64 s[28:29], s[28:29], exec
	s_trap 2
	s_or_b64 exec, exec, s[4:5]
	s_and_saveexec_b64 s[4:5], s[28:29]
	s_xor_b64 s[4:5], exec, s[4:5]
	s_cbranch_execnz .LBB206_263
.LBB206_862:
	s_or_b64 exec, exec, s[4:5]
	s_and_saveexec_b64 s[4:5], s[34:35]
	s_cbranch_execz .LBB206_908
.LBB206_863:
	s_sext_i32_i16 s22, s16
	s_cmp_lt_i32 s22, 5
	s_cbranch_scc1 .LBB206_868
; %bb.864:
	s_cmp_lt_i32 s22, 8
	s_cbranch_scc1 .LBB206_869
; %bb.865:
	;; [unrolled: 3-line block ×3, first 2 shown]
	s_cmp_gt_i32 s22, 9
	s_cbranch_scc0 .LBB206_871
; %bb.867:
	global_load_dwordx2 v[3:4], v[0:1], off
	s_movk_i32 s22, 0x7fff
	s_waitcnt vmcnt(0)
	v_cvt_f32_f64_e32 v3, v[3:4]
	v_mov_b32_e32 v4, 0x7fc0
	v_bfe_u32 v5, v3, 16, 1
	v_cmp_o_f32_e32 vcc, v3, v3
	v_add3_u32 v3, v3, v5, s22
	v_cndmask_b32_sdwa v3, v4, v3, vcc dst_sel:DWORD dst_unused:UNUSED_PAD src0_sel:DWORD src1_sel:WORD_1
	s_mov_b64 s[22:23], 0
	s_branch .LBB206_872
.LBB206_868:
                                        ; implicit-def: $vgpr3
	s_branch .LBB206_889
.LBB206_869:
                                        ; implicit-def: $vgpr3
	s_branch .LBB206_878
.LBB206_870:
	s_mov_b64 s[22:23], -1
                                        ; implicit-def: $vgpr3
	s_branch .LBB206_875
.LBB206_871:
	s_mov_b64 s[22:23], -1
                                        ; implicit-def: $vgpr3
.LBB206_872:
	s_andn2_b64 vcc, exec, s[22:23]
	s_cbranch_vccnz .LBB206_874
; %bb.873:
	global_load_dword v3, v[0:1], off
	s_movk_i32 s22, 0x7fff
	v_mov_b32_e32 v4, 0x7fc0
	s_waitcnt vmcnt(0)
	v_bfe_u32 v5, v3, 16, 1
	v_cmp_o_f32_e32 vcc, v3, v3
	v_add3_u32 v3, v3, v5, s22
	v_cndmask_b32_sdwa v3, v4, v3, vcc dst_sel:DWORD dst_unused:UNUSED_PAD src0_sel:DWORD src1_sel:WORD_1
.LBB206_874:
	s_mov_b64 s[22:23], 0
.LBB206_875:
	s_andn2_b64 vcc, exec, s[22:23]
	s_cbranch_vccnz .LBB206_877
; %bb.876:
	global_load_dword v3, v[0:1], off
	s_movk_i32 s22, 0x7fff
	v_mov_b32_e32 v5, 0x7fc0
	s_waitcnt vmcnt(0)
	v_cvt_f32_f16_e32 v4, v3
	v_cmp_o_f16_e32 vcc, v3, v3
	v_bfe_u32 v3, v4, 16, 1
	v_add3_u32 v3, v4, v3, s22
	v_cndmask_b32_sdwa v3, v5, v3, vcc dst_sel:DWORD dst_unused:UNUSED_PAD src0_sel:DWORD src1_sel:WORD_1
.LBB206_877:
	s_cbranch_execnz .LBB206_888
.LBB206_878:
	s_sext_i32_i16 s22, s16
	s_cmp_lt_i32 s22, 6
	s_cbranch_scc1 .LBB206_881
; %bb.879:
	s_cmp_gt_i32 s22, 6
	s_cbranch_scc0 .LBB206_882
; %bb.880:
	global_load_dwordx2 v[3:4], v[0:1], off
	s_movk_i32 s22, 0x7fff
	s_waitcnt vmcnt(0)
	v_cvt_f32_f64_e32 v3, v[3:4]
	v_mov_b32_e32 v4, 0x7fc0
	v_bfe_u32 v5, v3, 16, 1
	v_cmp_o_f32_e32 vcc, v3, v3
	v_add3_u32 v3, v3, v5, s22
	v_cndmask_b32_sdwa v3, v4, v3, vcc dst_sel:DWORD dst_unused:UNUSED_PAD src0_sel:DWORD src1_sel:WORD_1
	s_mov_b64 s[22:23], 0
	s_branch .LBB206_883
.LBB206_881:
	s_mov_b64 s[22:23], -1
                                        ; implicit-def: $vgpr3
	s_branch .LBB206_886
.LBB206_882:
	s_mov_b64 s[22:23], -1
                                        ; implicit-def: $vgpr3
.LBB206_883:
	s_andn2_b64 vcc, exec, s[22:23]
	s_cbranch_vccnz .LBB206_885
; %bb.884:
	global_load_dword v3, v[0:1], off
	s_movk_i32 s22, 0x7fff
	v_mov_b32_e32 v4, 0x7fc0
	s_waitcnt vmcnt(0)
	v_bfe_u32 v5, v3, 16, 1
	v_cmp_o_f32_e32 vcc, v3, v3
	v_add3_u32 v3, v3, v5, s22
	v_cndmask_b32_sdwa v3, v4, v3, vcc dst_sel:DWORD dst_unused:UNUSED_PAD src0_sel:DWORD src1_sel:WORD_1
.LBB206_885:
	s_mov_b64 s[22:23], 0
.LBB206_886:
	s_andn2_b64 vcc, exec, s[22:23]
	s_cbranch_vccnz .LBB206_888
; %bb.887:
	global_load_ushort v3, v[0:1], off
	s_movk_i32 s22, 0x7fff
	v_mov_b32_e32 v5, 0x7fc0
	s_waitcnt vmcnt(0)
	v_cvt_f32_f16_e32 v4, v3
	v_cmp_o_f16_e32 vcc, v3, v3
	v_bfe_u32 v3, v4, 16, 1
	v_add3_u32 v3, v4, v3, s22
	v_cndmask_b32_sdwa v3, v5, v3, vcc dst_sel:DWORD dst_unused:UNUSED_PAD src0_sel:DWORD src1_sel:WORD_1
.LBB206_888:
	s_cbranch_execnz .LBB206_907
.LBB206_889:
	s_sext_i32_i16 s22, s16
	s_cmp_lt_i32 s22, 2
	s_cbranch_scc1 .LBB206_893
; %bb.890:
	s_cmp_lt_i32 s22, 3
	s_cbranch_scc1 .LBB206_894
; %bb.891:
	s_cmp_gt_i32 s22, 3
	s_cbranch_scc0 .LBB206_895
; %bb.892:
	global_load_dwordx2 v[3:4], v[0:1], off
	s_movk_i32 s22, 0x7fff
	s_waitcnt vmcnt(0)
	v_xor_b32_e32 v6, v3, v4
	v_ffbh_i32_e32 v5, v4
	v_ashrrev_i32_e32 v6, 31, v6
	v_add_u32_e32 v5, -1, v5
	v_add_u32_e32 v6, 32, v6
	v_min_u32_e32 v5, v5, v6
	v_lshlrev_b64 v[3:4], v5, v[3:4]
	v_min_u32_e32 v3, 1, v3
	v_or_b32_e32 v3, v4, v3
	v_cvt_f32_i32_e32 v3, v3
	v_sub_u32_e32 v4, 32, v5
	v_ldexp_f32 v3, v3, v4
	v_bfe_u32 v4, v3, 16, 1
	v_add3_u32 v3, v3, v4, s22
	v_lshrrev_b32_e32 v3, 16, v3
	s_mov_b64 s[22:23], 0
	s_branch .LBB206_896
.LBB206_893:
                                        ; implicit-def: $vgpr3
	s_branch .LBB206_902
.LBB206_894:
	s_mov_b64 s[22:23], -1
                                        ; implicit-def: $vgpr3
	s_branch .LBB206_899
.LBB206_895:
	s_mov_b64 s[22:23], -1
                                        ; implicit-def: $vgpr3
.LBB206_896:
	s_andn2_b64 vcc, exec, s[22:23]
	s_cbranch_vccnz .LBB206_898
; %bb.897:
	global_load_dword v3, v[0:1], off
	s_movk_i32 s22, 0x7fff
	s_waitcnt vmcnt(0)
	v_cvt_f32_i32_e32 v3, v3
	v_bfe_u32 v4, v3, 16, 1
	v_add3_u32 v3, v3, v4, s22
	v_lshrrev_b32_e32 v3, 16, v3
.LBB206_898:
	s_mov_b64 s[22:23], 0
.LBB206_899:
	s_andn2_b64 vcc, exec, s[22:23]
	s_cbranch_vccnz .LBB206_901
; %bb.900:
	global_load_sshort v3, v[0:1], off
	s_movk_i32 s22, 0x7fff
	s_waitcnt vmcnt(0)
	v_cvt_f32_i32_e32 v3, v3
	v_bfe_u32 v4, v3, 16, 1
	v_add3_u32 v3, v3, v4, s22
	v_lshrrev_b32_e32 v3, 16, v3
.LBB206_901:
	s_cbranch_execnz .LBB206_907
.LBB206_902:
	s_sext_i32_i16 s22, s16
	s_cmp_gt_i32 s22, 0
	s_cbranch_scc0 .LBB206_904
; %bb.903:
	global_load_sbyte v3, v[0:1], off
	s_movk_i32 s22, 0x7fff
	s_waitcnt vmcnt(0)
	v_cvt_f32_i32_e32 v3, v3
	v_bfe_u32 v4, v3, 16, 1
	v_add3_u32 v3, v3, v4, s22
	v_lshrrev_b32_e32 v3, 16, v3
	s_mov_b64 s[22:23], 0
	s_branch .LBB206_905
.LBB206_904:
	s_mov_b64 s[22:23], -1
                                        ; implicit-def: $vgpr3
.LBB206_905:
	s_andn2_b64 vcc, exec, s[22:23]
	s_cbranch_vccnz .LBB206_907
; %bb.906:
	global_load_ubyte v0, v[0:1], off
	s_movk_i32 s22, 0x7fff
	s_waitcnt vmcnt(0)
	v_cvt_f32_ubyte0_e32 v0, v0
	v_bfe_u32 v1, v0, 16, 1
	v_add3_u32 v0, v0, v1, s22
	v_lshrrev_b32_e32 v3, 16, v0
.LBB206_907:
	s_or_b64 s[30:31], s[30:31], exec
.LBB206_908:
	s_or_b64 exec, exec, s[4:5]
	s_mov_b64 s[26:27], 0
	s_mov_b64 s[24:25], 0
                                        ; implicit-def: $sgpr4_sgpr5
                                        ; implicit-def: $sgpr34
                                        ; implicit-def: $vgpr0_vgpr1
	s_and_saveexec_b64 s[22:23], s[30:31]
	s_cbranch_execz .LBB206_983
; %bb.909:
	s_waitcnt vmcnt(0)
	v_lshlrev_b32_e32 v0, 16, v3
	v_cmp_eq_f32_e32 vcc, s33, v0
	v_cndmask_b32_e64 v1, 0, 1, vcc
	v_cmp_neq_f32_e32 vcc, s33, v0
	v_mul_lo_u32 v2, v2, s12
	v_cndmask_b32_e64 v0, 0, 1, vcc
	v_cndmask_b32_e64 v0, v0, v1, s[0:1]
	v_and_b32_e32 v0, 1, v0
	v_cmp_eq_u32_e64 s[4:5], 1, v0
	v_ashrrev_i32_e32 v1, 31, v2
	v_mov_b32_e32 v3, s9
	s_and_b32 s34, s17, 0xff
	v_add_co_u32_e32 v0, vcc, s8, v2
	s_cmp_lt_i32 s34, 11
	v_addc_co_u32_e32 v1, vcc, v3, v1, vcc
	s_cbranch_scc1 .LBB206_986
; %bb.910:
	s_and_b32 s33, 0xffff, s34
	s_mov_b64 s[26:27], -1
	s_cmp_gt_i32 s33, 25
	s_mov_b64 s[0:1], s[20:21]
	s_cbranch_scc0 .LBB206_943
; %bb.911:
	s_mov_b64 s[24:25], -1
	s_cmp_gt_i32 s33, 28
	s_mov_b64 s[0:1], s[20:21]
	s_cbranch_scc0 .LBB206_927
; %bb.912:
	s_cmp_gt_i32 s33, 43
	s_mov_b64 s[0:1], s[20:21]
	s_cbranch_scc0 .LBB206_923
; %bb.913:
	;; [unrolled: 4-line block ×3, first 2 shown]
	s_cmp_eq_u32 s33, 46
	s_mov_b64 s[0:1], -1
	s_cbranch_scc0 .LBB206_916
; %bb.915:
	v_cndmask_b32_e64 v2, 0, 1.0, s[4:5]
	v_bfe_u32 v3, v2, 16, 1
	s_movk_i32 s0, 0x7fff
	v_add3_u32 v2, v2, v3, s0
	v_lshrrev_b32_e32 v2, 16, v2
	global_store_dword v[0:1], v2, off
	s_mov_b64 s[0:1], 0
.LBB206_916:
	s_mov_b64 s[24:25], 0
.LBB206_917:
	s_and_b64 vcc, exec, s[24:25]
	s_cbranch_vccz .LBB206_922
; %bb.918:
	s_cmp_eq_u32 s33, 44
	s_mov_b64 s[0:1], -1
	s_cbranch_scc0 .LBB206_922
; %bb.919:
	v_cndmask_b32_e64 v3, 0, 1.0, s[4:5]
	v_lshrrev_b32_e32 v2, 23, v3
	s_movk_i32 s0, 0xff
	v_cmp_ne_u32_e32 vcc, s0, v2
	v_mov_b32_e32 v4, 0xff
	s_and_saveexec_b64 s[24:25], vcc
; %bb.920:
	s_mov_b32 s0, 0x3fffff
	v_and_b32_e32 v4, 0x400000, v3
	v_and_or_b32 v3, v3, s0, v2
	v_cmp_ne_u32_e32 vcc, 0, v4
	v_cmp_ne_u32_e64 s[0:1], 0, v3
	s_and_b64 s[0:1], vcc, s[0:1]
	v_cndmask_b32_e64 v3, 0, 1, s[0:1]
	v_add_u32_e32 v4, v2, v3
; %bb.921:
	s_or_b64 exec, exec, s[24:25]
	s_mov_b64 s[0:1], 0
	global_store_byte v[0:1], v4, off
.LBB206_922:
	s_mov_b64 s[24:25], 0
.LBB206_923:
	s_and_b64 vcc, exec, s[24:25]
	s_cbranch_vccz .LBB206_926
; %bb.924:
	s_cmp_eq_u32 s33, 29
	s_mov_b64 s[0:1], -1
	s_cbranch_scc0 .LBB206_926
; %bb.925:
	s_mov_b32 s0, 0
	v_cndmask_b32_e64 v2, 0, 1, s[4:5]
	v_mov_b32_e32 v3, s0
	global_store_dwordx2 v[0:1], v[2:3], off
	s_mov_b64 s[0:1], 0
.LBB206_926:
	s_mov_b64 s[24:25], 0
.LBB206_927:
	s_and_b64 vcc, exec, s[24:25]
	s_cbranch_vccz .LBB206_942
; %bb.928:
	s_cmp_lt_i32 s33, 27
	s_mov_b64 s[24:25], -1
	s_cbranch_scc1 .LBB206_934
; %bb.929:
	s_cmp_gt_i32 s33, 27
	v_cndmask_b32_e64 v2, 0, 1, s[4:5]
	s_cbranch_scc0 .LBB206_931
; %bb.930:
	s_mov_b64 s[24:25], 0
	global_store_dword v[0:1], v2, off
.LBB206_931:
	s_andn2_b64 vcc, exec, s[24:25]
	s_cbranch_vccnz .LBB206_933
; %bb.932:
	global_store_short v[0:1], v2, off
.LBB206_933:
	s_mov_b64 s[24:25], 0
.LBB206_934:
	s_andn2_b64 vcc, exec, s[24:25]
	s_cbranch_vccnz .LBB206_942
; %bb.935:
	v_cndmask_b32_e64 v3, 0, 1.0, s[4:5]
	s_mov_b32 s24, 0x43800000
	v_cmp_gt_u32_e32 vcc, s24, v3
	v_mov_b32_e32 v4, 0x80
	s_and_saveexec_b64 s[24:25], vcc
	s_cbranch_execz .LBB206_941
; %bb.936:
	s_mov_b32 s26, 0x3bffffff
	v_cmp_lt_u32_e32 vcc, s26, v3
	s_mov_b64 s[26:27], 0
                                        ; implicit-def: $vgpr2
	s_and_saveexec_b64 s[28:29], vcc
	s_xor_b64 s[28:29], exec, s[28:29]
	s_cbranch_execz .LBB206_1043
; %bb.937:
	v_bfe_u32 v2, v3, 20, 1
	s_mov_b32 s30, 0x487ffff
	v_add3_u32 v2, v3, v2, s30
	s_mov_b64 s[26:27], exec
	v_lshrrev_b32_e32 v2, 20, v2
                                        ; implicit-def: $vgpr3
	s_andn2_saveexec_b64 s[28:29], s[28:29]
	s_cbranch_execnz .LBB206_1044
.LBB206_938:
	s_or_b64 exec, exec, s[28:29]
	v_mov_b32_e32 v4, 0
	s_and_saveexec_b64 s[28:29], s[26:27]
.LBB206_939:
	v_mov_b32_e32 v4, v2
.LBB206_940:
	s_or_b64 exec, exec, s[28:29]
.LBB206_941:
	s_or_b64 exec, exec, s[24:25]
	global_store_byte v[0:1], v4, off
.LBB206_942:
	s_mov_b64 s[26:27], 0
.LBB206_943:
	s_mov_b64 s[24:25], 0
	s_and_b64 vcc, exec, s[26:27]
	s_cbranch_vccz .LBB206_987
; %bb.944:
	s_cmp_gt_i32 s33, 22
	s_mov_b64 s[26:27], -1
	s_cbranch_scc0 .LBB206_976
; %bb.945:
	s_cmp_lt_i32 s33, 24
	s_cbranch_scc1 .LBB206_965
; %bb.946:
	s_cmp_gt_i32 s33, 24
	s_cbranch_scc0 .LBB206_954
; %bb.947:
	v_cndmask_b32_e64 v3, 0, 1.0, s[4:5]
	s_mov_b32 s26, 0x47800000
	v_cmp_gt_u32_e32 vcc, s26, v3
	v_mov_b32_e32 v4, 0x80
	s_and_saveexec_b64 s[26:27], vcc
	s_cbranch_execz .LBB206_953
; %bb.948:
	s_mov_b32 s28, 0x37ffffff
	v_cmp_lt_u32_e32 vcc, s28, v3
	s_mov_b64 s[28:29], 0
                                        ; implicit-def: $vgpr2
	s_and_saveexec_b64 s[30:31], vcc
	s_xor_b64 s[30:31], exec, s[30:31]
	s_cbranch_execz .LBB206_1168
; %bb.949:
	v_bfe_u32 v2, v3, 21, 1
	s_mov_b32 s35, 0x88fffff
	v_add3_u32 v2, v3, v2, s35
	s_mov_b64 s[28:29], exec
	v_lshrrev_b32_e32 v2, 21, v2
                                        ; implicit-def: $vgpr3
	s_andn2_saveexec_b64 s[30:31], s[30:31]
	s_cbranch_execnz .LBB206_1169
.LBB206_950:
	s_or_b64 exec, exec, s[30:31]
	v_mov_b32_e32 v4, 0
	s_and_saveexec_b64 s[30:31], s[28:29]
.LBB206_951:
	v_mov_b32_e32 v4, v2
.LBB206_952:
	s_or_b64 exec, exec, s[30:31]
.LBB206_953:
	s_or_b64 exec, exec, s[26:27]
	s_mov_b64 s[26:27], 0
	global_store_byte v[0:1], v4, off
.LBB206_954:
	s_and_b64 vcc, exec, s[26:27]
	s_cbranch_vccz .LBB206_964
; %bb.955:
	v_cndmask_b32_e64 v2, 0, 1.0, s[4:5]
	s_mov_b32 s26, 0x43f00000
	v_cmp_gt_u32_e32 vcc, s26, v2
                                        ; implicit-def: $vgpr3
	s_and_saveexec_b64 s[26:27], vcc
	s_xor_b64 s[26:27], exec, s[26:27]
	s_cbranch_execz .LBB206_961
; %bb.956:
	s_mov_b32 s28, 0x3c7fffff
	v_cmp_lt_u32_e32 vcc, s28, v2
                                        ; implicit-def: $vgpr3
	s_and_saveexec_b64 s[28:29], vcc
	s_xor_b64 s[28:29], exec, s[28:29]
; %bb.957:
	v_bfe_u32 v3, v2, 20, 1
	s_mov_b32 s30, 0x407ffff
	v_add3_u32 v2, v2, v3, s30
	v_lshrrev_b32_e32 v3, 20, v2
	v_and_b32_e32 v2, 0xff00000, v2
	s_mov_b32 s30, 0x7f00000
	v_mov_b32_e32 v4, 0x7e
	v_cmp_ne_u32_e32 vcc, s30, v2
	v_cndmask_b32_e32 v3, v4, v3, vcc
                                        ; implicit-def: $vgpr2
; %bb.958:
	s_andn2_saveexec_b64 s[28:29], s[28:29]
; %bb.959:
	v_add_f32_e32 v3, 0x46800000, v2
; %bb.960:
	s_or_b64 exec, exec, s[28:29]
                                        ; implicit-def: $vgpr2
.LBB206_961:
	s_andn2_saveexec_b64 s[26:27], s[26:27]
; %bb.962:
	s_mov_b32 s28, 0x7f800000
	v_mov_b32_e32 v3, 0x7e
	v_mov_b32_e32 v4, 0x7f
	v_cmp_lt_u32_e32 vcc, s28, v2
	v_cndmask_b32_e32 v3, v3, v4, vcc
; %bb.963:
	s_or_b64 exec, exec, s[26:27]
	global_store_byte v[0:1], v3, off
.LBB206_964:
	s_mov_b64 s[26:27], 0
.LBB206_965:
	s_andn2_b64 vcc, exec, s[26:27]
	s_cbranch_vccnz .LBB206_975
; %bb.966:
	v_cndmask_b32_e64 v2, 0, 1.0, s[4:5]
	s_mov_b32 s26, 0x47800000
	v_cmp_gt_u32_e32 vcc, s26, v2
                                        ; implicit-def: $vgpr3
	s_and_saveexec_b64 s[26:27], vcc
	s_xor_b64 s[26:27], exec, s[26:27]
	s_cbranch_execz .LBB206_972
; %bb.967:
	s_mov_b32 s28, 0x387fffff
	v_cmp_lt_u32_e32 vcc, s28, v2
                                        ; implicit-def: $vgpr3
	s_and_saveexec_b64 s[28:29], vcc
	s_xor_b64 s[28:29], exec, s[28:29]
; %bb.968:
	v_bfe_u32 v3, v2, 21, 1
	s_mov_b32 s30, 0x80fffff
	v_add3_u32 v2, v2, v3, s30
	v_lshrrev_b32_e32 v3, 21, v2
                                        ; implicit-def: $vgpr2
; %bb.969:
	s_andn2_saveexec_b64 s[28:29], s[28:29]
; %bb.970:
	v_add_f32_e32 v3, 0x43000000, v2
; %bb.971:
	s_or_b64 exec, exec, s[28:29]
                                        ; implicit-def: $vgpr2
.LBB206_972:
	s_andn2_saveexec_b64 s[26:27], s[26:27]
; %bb.973:
	s_mov_b32 s28, 0x7f800000
	v_mov_b32_e32 v3, 0x7c
	v_mov_b32_e32 v4, 0x7f
	v_cmp_lt_u32_e32 vcc, s28, v2
	v_cndmask_b32_e32 v3, v3, v4, vcc
; %bb.974:
	s_or_b64 exec, exec, s[26:27]
	global_store_byte v[0:1], v3, off
.LBB206_975:
	s_mov_b64 s[26:27], 0
.LBB206_976:
	s_andn2_b64 vcc, exec, s[26:27]
	s_mov_b64 s[26:27], 0
	s_cbranch_vccnz .LBB206_988
; %bb.977:
	s_cmp_gt_i32 s33, 14
	s_mov_b64 s[28:29], -1
	s_cbranch_scc0 .LBB206_981
; %bb.978:
	s_cmp_eq_u32 s33, 15
	s_mov_b64 s[0:1], -1
	s_cbranch_scc0 .LBB206_980
; %bb.979:
	v_cndmask_b32_e64 v2, 0, 1.0, s[4:5]
	v_bfe_u32 v3, v2, 16, 1
	s_movk_i32 s0, 0x7fff
	v_add3_u32 v2, v2, v3, s0
	global_store_short_d16_hi v[0:1], v2, off
	s_mov_b64 s[0:1], 0
.LBB206_980:
	s_mov_b64 s[28:29], 0
.LBB206_981:
	s_and_b64 vcc, exec, s[28:29]
	s_cbranch_vccz .LBB206_988
; %bb.982:
	s_cmp_lg_u32 s33, 11
	s_cselect_b64 s[28:29], -1, 0
	s_andn2_b64 s[0:1], s[0:1], exec
	s_and_b64 s[28:29], s[28:29], exec
	s_mov_b64 s[26:27], -1
	s_or_b64 s[0:1], s[0:1], s[28:29]
	s_branch .LBB206_988
.LBB206_983:
	s_or_b64 exec, exec, s[22:23]
	s_and_saveexec_b64 s[0:1], s[20:21]
	s_cbranch_execnz .LBB206_989
.LBB206_984:
	s_or_b64 exec, exec, s[0:1]
	s_and_saveexec_b64 s[0:1], s[26:27]
	s_xor_b64 s[0:1], exec, s[0:1]
	s_cbranch_execz .LBB206_990
.LBB206_985:
	v_cndmask_b32_e64 v2, 0, 1, s[4:5]
	global_store_byte v[0:1], v2, off
	s_or_b64 exec, exec, s[0:1]
	s_and_saveexec_b64 s[0:1], s[24:25]
	s_xor_b64 s[0:1], exec, s[0:1]
	s_cbranch_execz .LBB206_1028
	s_branch .LBB206_991
.LBB206_986:
	s_mov_b64 s[24:25], -1
	s_mov_b64 s[0:1], s[20:21]
	s_branch .LBB206_988
.LBB206_987:
	s_mov_b64 s[26:27], 0
.LBB206_988:
	s_andn2_b64 s[20:21], s[20:21], exec
	s_and_b64 s[0:1], s[0:1], exec
	s_and_b64 s[24:25], s[24:25], exec
	;; [unrolled: 1-line block ×3, first 2 shown]
	s_or_b64 s[20:21], s[20:21], s[0:1]
	s_or_b64 exec, exec, s[22:23]
	s_and_saveexec_b64 s[0:1], s[20:21]
	s_cbranch_execz .LBB206_984
.LBB206_989:
	s_or_b64 s[2:3], s[2:3], exec
	s_andn2_b64 s[26:27], s[26:27], exec
	s_trap 2
	s_or_b64 exec, exec, s[0:1]
	s_and_saveexec_b64 s[0:1], s[26:27]
	s_xor_b64 s[0:1], exec, s[0:1]
	s_cbranch_execnz .LBB206_985
.LBB206_990:
	s_or_b64 exec, exec, s[0:1]
	s_and_saveexec_b64 s[0:1], s[24:25]
	s_xor_b64 s[0:1], exec, s[0:1]
	s_cbranch_execz .LBB206_1028
.LBB206_991:
	s_sext_i32_i16 s22, s34
	s_cmp_lt_i32 s22, 5
	s_mov_b64 s[20:21], -1
	s_cbranch_scc1 .LBB206_1012
; %bb.992:
	s_cmp_lt_i32 s22, 8
	s_cbranch_scc1 .LBB206_1002
; %bb.993:
	s_cmp_lt_i32 s22, 9
	s_cbranch_scc1 .LBB206_999
; %bb.994:
	s_cmp_gt_i32 s22, 9
	s_cbranch_scc0 .LBB206_996
; %bb.995:
	v_cndmask_b32_e64 v2, 0, 1, s[4:5]
	s_waitcnt vmcnt(0)
	v_cvt_f64_u32_e32 v[2:3], v2
	v_mov_b32_e32 v4, 0
	v_mov_b32_e32 v5, v4
	s_mov_b64 s[20:21], 0
	global_store_dwordx4 v[0:1], v[2:5], off
.LBB206_996:
	s_andn2_b64 vcc, exec, s[20:21]
	s_cbranch_vccnz .LBB206_998
; %bb.997:
	v_cndmask_b32_e64 v2, 0, 1.0, s[4:5]
	s_waitcnt vmcnt(0)
	v_mov_b32_e32 v3, 0
	global_store_dwordx2 v[0:1], v[2:3], off
.LBB206_998:
	s_mov_b64 s[20:21], 0
.LBB206_999:
	s_andn2_b64 vcc, exec, s[20:21]
	s_cbranch_vccnz .LBB206_1001
; %bb.1000:
	v_cndmask_b32_e64 v2, 0, 1.0, s[4:5]
	v_cvt_f16_f32_e32 v2, v2
	global_store_dword v[0:1], v2, off
.LBB206_1001:
	s_mov_b64 s[20:21], 0
.LBB206_1002:
	s_andn2_b64 vcc, exec, s[20:21]
	s_cbranch_vccnz .LBB206_1011
; %bb.1003:
	s_sext_i32_i16 s22, s34
	s_cmp_lt_i32 s22, 6
	s_mov_b64 s[20:21], -1
	s_cbranch_scc1 .LBB206_1009
; %bb.1004:
	s_cmp_gt_i32 s22, 6
	s_cbranch_scc0 .LBB206_1006
; %bb.1005:
	v_cndmask_b32_e64 v2, 0, 1, s[4:5]
	s_waitcnt vmcnt(0)
	v_cvt_f64_u32_e32 v[2:3], v2
	s_mov_b64 s[20:21], 0
	global_store_dwordx2 v[0:1], v[2:3], off
.LBB206_1006:
	s_andn2_b64 vcc, exec, s[20:21]
	s_cbranch_vccnz .LBB206_1008
; %bb.1007:
	v_cndmask_b32_e64 v2, 0, 1.0, s[4:5]
	global_store_dword v[0:1], v2, off
.LBB206_1008:
	s_mov_b64 s[20:21], 0
.LBB206_1009:
	s_andn2_b64 vcc, exec, s[20:21]
	s_cbranch_vccnz .LBB206_1011
; %bb.1010:
	v_cndmask_b32_e64 v2, 0, 1.0, s[4:5]
	v_cvt_f16_f32_e32 v2, v2
	global_store_short v[0:1], v2, off
.LBB206_1011:
	s_mov_b64 s[20:21], 0
.LBB206_1012:
	s_andn2_b64 vcc, exec, s[20:21]
	s_cbranch_vccnz .LBB206_1028
; %bb.1013:
	s_sext_i32_i16 s22, s34
	s_cmp_lt_i32 s22, 2
	s_mov_b64 s[20:21], -1
	s_cbranch_scc1 .LBB206_1023
; %bb.1014:
	s_cmp_lt_i32 s22, 3
	s_cbranch_scc1 .LBB206_1020
; %bb.1015:
	s_cmp_gt_i32 s22, 3
	s_cbranch_scc0 .LBB206_1017
; %bb.1016:
	s_mov_b32 s20, 0
	v_cndmask_b32_e64 v2, 0, 1, s[4:5]
	s_waitcnt vmcnt(0)
	v_mov_b32_e32 v3, s20
	s_mov_b64 s[20:21], 0
	global_store_dwordx2 v[0:1], v[2:3], off
.LBB206_1017:
	s_andn2_b64 vcc, exec, s[20:21]
	s_cbranch_vccnz .LBB206_1019
; %bb.1018:
	v_cndmask_b32_e64 v2, 0, 1, s[4:5]
	global_store_dword v[0:1], v2, off
.LBB206_1019:
	s_mov_b64 s[20:21], 0
.LBB206_1020:
	s_andn2_b64 vcc, exec, s[20:21]
	s_cbranch_vccnz .LBB206_1022
; %bb.1021:
	v_cndmask_b32_e64 v2, 0, 1, s[4:5]
	global_store_short v[0:1], v2, off
.LBB206_1022:
	s_mov_b64 s[20:21], 0
.LBB206_1023:
	s_andn2_b64 vcc, exec, s[20:21]
	s_cbranch_vccnz .LBB206_1028
; %bb.1024:
	s_sext_i32_i16 s22, s34
	s_mov_b64 s[20:21], -1
	s_cmp_gt_i32 s22, 0
	v_cndmask_b32_e64 v2, 0, 1, s[4:5]
	s_cbranch_scc0 .LBB206_1026
; %bb.1025:
	s_mov_b64 s[20:21], 0
	global_store_byte v[0:1], v2, off
.LBB206_1026:
	s_andn2_b64 vcc, exec, s[20:21]
	s_cbranch_vccnz .LBB206_1028
; %bb.1027:
	global_store_byte v[0:1], v2, off
.LBB206_1028:
	s_or_b64 exec, exec, s[0:1]
	s_and_b64 s[20:21], s[2:3], exec
                                        ; implicit-def: $vgpr2
.LBB206_1029:
	s_or_saveexec_b64 s[18:19], s[18:19]
	s_mov_b64 s[0:1], 0
                                        ; implicit-def: $sgpr2_sgpr3
                                        ; implicit-def: $sgpr24
                                        ; implicit-def: $vgpr0_vgpr1
	s_xor_b64 exec, exec, s[18:19]
	s_cbranch_execz .LBB206_1977
; %bb.1030:
	v_mul_lo_u32 v4, s13, v2
	v_mov_b32_e32 v1, s11
	s_and_b32 s16, 0xffff, s16
	s_cmp_lt_i32 s16, 11
	s_waitcnt vmcnt(0)
	v_ashrrev_i32_e32 v3, 31, v4
	v_add_co_u32_e32 v0, vcc, s10, v4
	v_addc_co_u32_e32 v1, vcc, v1, v3, vcc
	s_cbranch_scc1 .LBB206_1037
; %bb.1031:
	s_cmp_gt_i32 s16, 25
	s_mov_b64 s[2:3], 0
	s_cbranch_scc0 .LBB206_1039
; %bb.1032:
	s_cmp_gt_i32 s16, 28
	s_cbranch_scc0 .LBB206_1040
; %bb.1033:
	s_cmp_gt_i32 s16, 43
	;; [unrolled: 3-line block ×3, first 2 shown]
	s_cbranch_scc0 .LBB206_1042
; %bb.1035:
	s_cmp_eq_u32 s16, 46
	s_cbranch_scc0 .LBB206_1045
; %bb.1036:
	global_load_dword v3, v[0:1], off
	s_mov_b64 s[4:5], -1
	s_branch .LBB206_1046
.LBB206_1037:
	s_mov_b64 s[4:5], 0
                                        ; implicit-def: $vgpr3
	s_mov_b64 s[22:23], s[20:21]
	s_cbranch_execnz .LBB206_1109
.LBB206_1038:
	s_andn2_b64 vcc, exec, s[4:5]
	s_cbranch_vccz .LBB206_1154
	s_branch .LBB206_1975
.LBB206_1039:
	s_mov_b64 s[4:5], 0
                                        ; implicit-def: $vgpr3
	s_cbranch_execnz .LBB206_1074
	s_branch .LBB206_1105
.LBB206_1040:
	s_mov_b64 s[6:7], -1
	s_mov_b64 s[4:5], 0
                                        ; implicit-def: $vgpr3
	s_branch .LBB206_1055
.LBB206_1041:
	s_mov_b64 s[4:5], 0
                                        ; implicit-def: $vgpr3
	s_cbranch_execnz .LBB206_1051
	s_branch .LBB206_1054
.LBB206_1042:
	s_mov_b64 s[6:7], -1
	s_mov_b64 s[4:5], 0
                                        ; implicit-def: $vgpr3
	s_branch .LBB206_1046
.LBB206_1043:
	s_andn2_saveexec_b64 s[28:29], s[28:29]
	s_cbranch_execz .LBB206_938
.LBB206_1044:
	v_add_f32_e32 v2, 0x46000000, v3
	v_and_b32_e32 v2, 0xff, v2
	v_cmp_ne_u32_e32 vcc, 0, v2
	s_andn2_b64 s[26:27], s[26:27], exec
	s_and_b64 s[30:31], vcc, exec
	s_or_b64 s[26:27], s[26:27], s[30:31]
	s_or_b64 exec, exec, s[28:29]
	v_mov_b32_e32 v4, 0
	s_and_saveexec_b64 s[28:29], s[26:27]
	s_cbranch_execnz .LBB206_939
	s_branch .LBB206_940
.LBB206_1045:
	s_mov_b64 s[0:1], -1
                                        ; implicit-def: $vgpr3
	s_mov_b64 s[4:5], 0
.LBB206_1046:
	s_and_b64 vcc, exec, s[6:7]
	s_cbranch_vccz .LBB206_1049
; %bb.1047:
	s_cmp_eq_u32 s16, 44
	s_cbranch_scc0 .LBB206_1050
; %bb.1048:
	global_load_ubyte v3, v[0:1], off
	s_movk_i32 s4, 0xff
	v_mov_b32_e32 v5, 0x7f800001
	v_mov_b32_e32 v6, 0x400000
	;; [unrolled: 1-line block ×3, first 2 shown]
	s_mov_b64 s[0:1], 0
	s_waitcnt vmcnt(0)
	v_lshlrev_b32_e32 v8, 23, v3
	v_cmp_ne_u32_e32 vcc, s4, v3
	v_cndmask_b32_e32 v5, v5, v8, vcc
	v_cmp_ne_u32_e32 vcc, 0, v3
	v_cndmask_b32_e32 v3, v6, v5, vcc
	v_add_u32_e32 v5, 0x7fff, v3
	v_cmp_o_f32_e32 vcc, v3, v3
	v_cndmask_b32_sdwa v3, v7, v5, vcc dst_sel:DWORD dst_unused:UNUSED_PAD src0_sel:DWORD src1_sel:WORD_1
	s_mov_b64 s[4:5], -1
.LBB206_1049:
	s_branch .LBB206_1054
.LBB206_1050:
	s_mov_b64 s[0:1], -1
                                        ; implicit-def: $vgpr3
	s_branch .LBB206_1054
.LBB206_1051:
	s_cmp_eq_u32 s16, 29
	s_cbranch_scc0 .LBB206_1053
; %bb.1052:
	global_load_dwordx2 v[5:6], v[0:1], off
	s_movk_i32 s4, 0x7fff
	s_mov_b64 s[0:1], 0
	s_mov_b64 s[6:7], 0
	s_waitcnt vmcnt(0)
	v_ffbh_u32_e32 v3, v6
	v_min_u32_e32 v3, 32, v3
	v_lshlrev_b64 v[5:6], v3, v[5:6]
	v_sub_u32_e32 v3, 32, v3
	v_min_u32_e32 v5, 1, v5
	v_or_b32_e32 v5, v6, v5
	v_cvt_f32_u32_e32 v5, v5
	v_ldexp_f32 v3, v5, v3
	v_bfe_u32 v5, v3, 16, 1
	v_add3_u32 v3, v3, v5, s4
	v_lshrrev_b32_e32 v3, 16, v3
	s_mov_b64 s[4:5], -1
	s_branch .LBB206_1055
.LBB206_1053:
	s_mov_b64 s[0:1], -1
                                        ; implicit-def: $vgpr3
.LBB206_1054:
	s_mov_b64 s[6:7], 0
.LBB206_1055:
	s_and_b64 vcc, exec, s[6:7]
	s_cbranch_vccz .LBB206_1073
; %bb.1056:
	s_cmp_lt_i32 s16, 27
	s_cbranch_scc1 .LBB206_1059
; %bb.1057:
	s_cmp_gt_i32 s16, 27
	s_cbranch_scc0 .LBB206_1060
; %bb.1058:
	global_load_dword v3, v[0:1], off
	s_movk_i32 s4, 0x7fff
	s_waitcnt vmcnt(0)
	v_cvt_f32_u32_e32 v3, v3
	v_bfe_u32 v5, v3, 16, 1
	v_add3_u32 v3, v3, v5, s4
	v_lshrrev_b32_e32 v3, 16, v3
	s_mov_b64 s[4:5], 0
	s_branch .LBB206_1061
.LBB206_1059:
	s_mov_b64 s[4:5], -1
                                        ; implicit-def: $vgpr3
	s_branch .LBB206_1064
.LBB206_1060:
	s_mov_b64 s[4:5], -1
                                        ; implicit-def: $vgpr3
.LBB206_1061:
	s_andn2_b64 vcc, exec, s[4:5]
	s_cbranch_vccnz .LBB206_1063
; %bb.1062:
	global_load_ushort v3, v[0:1], off
	s_movk_i32 s4, 0x7fff
	s_waitcnt vmcnt(0)
	v_cvt_f32_u32_e32 v3, v3
	v_bfe_u32 v5, v3, 16, 1
	v_add3_u32 v3, v3, v5, s4
	v_lshrrev_b32_e32 v3, 16, v3
.LBB206_1063:
	s_mov_b64 s[4:5], 0
.LBB206_1064:
	s_andn2_b64 vcc, exec, s[4:5]
	s_cbranch_vccnz .LBB206_1072
; %bb.1065:
	global_load_ubyte v3, v[0:1], off
	s_movk_i32 s4, 0x7f
	s_waitcnt vmcnt(0)
	v_cmp_lt_i16_e32 vcc, s4, v3
	s_mov_b64 s[4:5], 0
	s_and_saveexec_b64 s[6:7], vcc
	s_xor_b64 s[6:7], exec, s[6:7]
	s_cbranch_execz .LBB206_1085
; %bb.1066:
	s_movk_i32 s4, 0x80
	v_cmp_eq_u16_e32 vcc, s4, v3
	s_mov_b64 s[4:5], -1
	s_and_saveexec_b64 s[22:23], vcc
; %bb.1067:
	s_xor_b64 s[4:5], exec, -1
; %bb.1068:
	s_or_b64 exec, exec, s[22:23]
	s_and_b64 s[4:5], s[4:5], exec
	s_or_saveexec_b64 s[6:7], s[6:7]
	v_mov_b32_e32 v5, 0x7f800001
	s_xor_b64 exec, exec, s[6:7]
	s_cbranch_execnz .LBB206_1086
.LBB206_1069:
	s_or_b64 exec, exec, s[6:7]
	s_and_saveexec_b64 s[6:7], s[4:5]
	s_cbranch_execz .LBB206_1071
.LBB206_1070:
	v_lshlrev_b32_e32 v5, 24, v3
	v_and_b32_e32 v3, 0xffff, v3
	v_and_b32_e32 v6, 7, v3
	v_ffbh_u32_e32 v8, v6
	v_min_u32_e32 v8, 32, v8
	v_subrev_u32_e32 v9, 28, v8
	v_bfe_u32 v7, v3, 3, 4
	v_lshlrev_b32_e32 v3, v9, v3
	v_sub_u32_e32 v8, 29, v8
	v_and_b32_e32 v3, 7, v3
	v_cmp_eq_u32_e32 vcc, 0, v7
	v_cndmask_b32_e32 v7, v7, v8, vcc
	v_cndmask_b32_e32 v3, v6, v3, vcc
	v_mov_b32_e32 v6, 0x3b800000
	v_lshlrev_b32_e32 v3, 20, v3
	v_and_b32_e32 v5, 0x80000000, v5
	v_lshl_add_u32 v6, v7, 23, v6
	v_or3_b32 v5, v5, v6, v3
.LBB206_1071:
	s_or_b64 exec, exec, s[6:7]
	v_bfe_u32 v3, v5, 16, 1
	s_movk_i32 s4, 0x7fff
	v_add3_u32 v3, v5, v3, s4
	v_cmp_o_f32_e32 vcc, v5, v5
	v_mov_b32_e32 v5, 0x7fc0
	v_cndmask_b32_sdwa v3, v5, v3, vcc dst_sel:DWORD dst_unused:UNUSED_PAD src0_sel:DWORD src1_sel:WORD_1
.LBB206_1072:
	s_mov_b64 s[4:5], -1
.LBB206_1073:
	s_branch .LBB206_1105
.LBB206_1074:
	s_cmp_gt_i32 s16, 22
	s_cbranch_scc0 .LBB206_1084
; %bb.1075:
	s_cmp_lt_i32 s16, 24
	s_cbranch_scc1 .LBB206_1087
; %bb.1076:
	s_cmp_gt_i32 s16, 24
	s_cbranch_scc0 .LBB206_1088
; %bb.1077:
	global_load_ubyte v3, v[0:1], off
	s_movk_i32 s2, 0x7f
	s_waitcnt vmcnt(0)
	v_cmp_lt_i16_e32 vcc, s2, v3
	s_mov_b64 s[2:3], 0
	s_and_saveexec_b64 s[4:5], vcc
	s_xor_b64 s[4:5], exec, s[4:5]
	s_cbranch_execz .LBB206_1099
; %bb.1078:
	s_movk_i32 s2, 0x80
	v_cmp_eq_u16_e32 vcc, s2, v3
	s_mov_b64 s[2:3], -1
	s_and_saveexec_b64 s[6:7], vcc
; %bb.1079:
	s_xor_b64 s[2:3], exec, -1
; %bb.1080:
	s_or_b64 exec, exec, s[6:7]
	s_and_b64 s[2:3], s[2:3], exec
	s_or_saveexec_b64 s[4:5], s[4:5]
	v_mov_b32_e32 v5, 0x7f800001
	s_xor_b64 exec, exec, s[4:5]
	s_cbranch_execnz .LBB206_1100
.LBB206_1081:
	s_or_b64 exec, exec, s[4:5]
	s_and_saveexec_b64 s[4:5], s[2:3]
	s_cbranch_execz .LBB206_1083
.LBB206_1082:
	v_lshlrev_b32_e32 v5, 24, v3
	v_and_b32_e32 v3, 0xffff, v3
	v_and_b32_e32 v6, 3, v3
	v_ffbh_u32_e32 v8, v6
	v_min_u32_e32 v8, 32, v8
	v_subrev_u32_e32 v9, 29, v8
	v_bfe_u32 v7, v3, 2, 5
	v_lshlrev_b32_e32 v3, v9, v3
	v_sub_u32_e32 v8, 30, v8
	v_and_b32_e32 v3, 3, v3
	v_cmp_eq_u32_e32 vcc, 0, v7
	v_cndmask_b32_e32 v7, v7, v8, vcc
	v_cndmask_b32_e32 v3, v6, v3, vcc
	v_mov_b32_e32 v6, 0x37800000
	v_lshlrev_b32_e32 v3, 21, v3
	v_and_b32_e32 v5, 0x80000000, v5
	v_lshl_add_u32 v6, v7, 23, v6
	v_or3_b32 v5, v5, v6, v3
.LBB206_1083:
	s_or_b64 exec, exec, s[4:5]
	v_bfe_u32 v3, v5, 16, 1
	s_movk_i32 s2, 0x7fff
	v_add3_u32 v3, v5, v3, s2
	v_cmp_o_f32_e32 vcc, v5, v5
	v_mov_b32_e32 v5, 0x7fc0
	v_cndmask_b32_sdwa v3, v5, v3, vcc dst_sel:DWORD dst_unused:UNUSED_PAD src0_sel:DWORD src1_sel:WORD_1
	s_mov_b64 s[2:3], 0
	s_branch .LBB206_1089
.LBB206_1084:
                                        ; implicit-def: $vgpr3
	s_mov_b64 s[2:3], 0
	s_branch .LBB206_1095
.LBB206_1085:
	s_or_saveexec_b64 s[6:7], s[6:7]
	v_mov_b32_e32 v5, 0x7f800001
	s_xor_b64 exec, exec, s[6:7]
	s_cbranch_execz .LBB206_1069
.LBB206_1086:
	v_cmp_ne_u16_e32 vcc, 0, v3
	s_andn2_b64 s[4:5], s[4:5], exec
	s_and_b64 s[22:23], vcc, exec
	v_mov_b32_e32 v5, 0
	s_or_b64 s[4:5], s[4:5], s[22:23]
	s_or_b64 exec, exec, s[6:7]
	s_and_saveexec_b64 s[6:7], s[4:5]
	s_cbranch_execnz .LBB206_1070
	s_branch .LBB206_1071
.LBB206_1087:
	s_mov_b64 s[2:3], -1
                                        ; implicit-def: $vgpr3
	s_branch .LBB206_1092
.LBB206_1088:
	s_mov_b64 s[2:3], -1
                                        ; implicit-def: $vgpr3
.LBB206_1089:
	s_and_b64 vcc, exec, s[2:3]
	s_cbranch_vccz .LBB206_1091
; %bb.1090:
	global_load_ubyte v3, v[0:1], off
	s_mov_b32 s2, 0x7f800000
	s_brev_b32 s3, 1
	s_movk_i32 s4, 0x7fff
	s_waitcnt vmcnt(0)
	v_lshlrev_b32_e32 v3, 24, v3
	v_and_b32_e32 v5, 0x7f000000, v3
	v_ffbh_u32_e32 v6, v5
	v_min_u32_e32 v6, 32, v6
	v_sub_u32_e64 v6, v6, 4 clamp
	v_lshlrev_b32_e32 v8, v6, v5
	v_lshlrev_b32_e32 v6, 23, v6
	v_lshrrev_b32_e32 v8, 4, v8
	v_add_u32_e32 v7, 0x1000000, v5
	v_sub_u32_e32 v6, v8, v6
	v_ashrrev_i32_e32 v7, 8, v7
	v_add_u32_e32 v6, 0x3c000000, v6
	v_and_or_b32 v6, v7, s2, v6
	v_cmp_ne_u32_e32 vcc, 0, v5
	v_cndmask_b32_e32 v5, 0, v6, vcc
	v_and_or_b32 v3, v3, s3, v5
	v_bfe_u32 v5, v5, 16, 1
	v_add3_u32 v5, v3, v5, s4
	v_cmp_o_f32_e32 vcc, v3, v3
	v_mov_b32_e32 v3, 0x7fc0
	v_cndmask_b32_sdwa v3, v3, v5, vcc dst_sel:DWORD dst_unused:UNUSED_PAD src0_sel:DWORD src1_sel:WORD_1
.LBB206_1091:
	s_mov_b64 s[2:3], 0
.LBB206_1092:
	s_andn2_b64 vcc, exec, s[2:3]
	s_cbranch_vccnz .LBB206_1094
; %bb.1093:
	global_load_ubyte v3, v[0:1], off
	s_movk_i32 s2, 0x7f00
	s_brev_b32 s3, 16
	s_brev_b32 s4, 1
	s_movk_i32 s5, 0x7fff
	s_waitcnt vmcnt(0)
	v_lshlrev_b16_e32 v5, 8, v3
	v_lshlrev_b32_e32 v3, 25, v3
	v_lshrrev_b32_e32 v6, 4, v3
	v_and_or_b32 v7, v5, s2, 0.5
	v_or_b32_e32 v6, 0x70000000, v6
	v_add_f32_e32 v7, -0.5, v7
	v_mul_f32_e32 v6, 0x7800000, v6
	v_cmp_gt_u32_e32 vcc, s3, v3
	v_bfe_i32 v5, v5, 0, 16
	v_cndmask_b32_e32 v3, v6, v7, vcc
	v_and_or_b32 v5, v5, s4, v3
	v_bfe_u32 v3, v3, 16, 1
	v_add3_u32 v3, v5, v3, s5
	v_cmp_o_f32_e32 vcc, v5, v5
	v_mov_b32_e32 v5, 0x7fc0
	v_cndmask_b32_sdwa v3, v5, v3, vcc dst_sel:DWORD dst_unused:UNUSED_PAD src0_sel:DWORD src1_sel:WORD_1
.LBB206_1094:
	s_mov_b64 s[4:5], -1
	s_mov_b64 s[2:3], 0
	s_cbranch_execnz .LBB206_1105
.LBB206_1095:
	s_cmp_gt_i32 s16, 14
	s_cbranch_scc0 .LBB206_1098
; %bb.1096:
	s_cmp_eq_u32 s16, 15
	s_cbranch_scc0 .LBB206_1101
; %bb.1097:
	global_load_ushort v3, v[0:1], off
	s_mov_b64 s[0:1], 0
	s_mov_b64 s[4:5], -1
	s_branch .LBB206_1102
.LBB206_1098:
	s_mov_b64 s[6:7], -1
                                        ; implicit-def: $vgpr3
	s_branch .LBB206_1103
.LBB206_1099:
	s_or_saveexec_b64 s[4:5], s[4:5]
	v_mov_b32_e32 v5, 0x7f800001
	s_xor_b64 exec, exec, s[4:5]
	s_cbranch_execz .LBB206_1081
.LBB206_1100:
	v_cmp_ne_u16_e32 vcc, 0, v3
	s_andn2_b64 s[2:3], s[2:3], exec
	s_and_b64 s[6:7], vcc, exec
	v_mov_b32_e32 v5, 0
	s_or_b64 s[2:3], s[2:3], s[6:7]
	s_or_b64 exec, exec, s[4:5]
	s_and_saveexec_b64 s[4:5], s[2:3]
	s_cbranch_execnz .LBB206_1082
	s_branch .LBB206_1083
.LBB206_1101:
	s_mov_b64 s[0:1], -1
                                        ; implicit-def: $vgpr3
.LBB206_1102:
	s_mov_b64 s[6:7], 0
.LBB206_1103:
	s_and_b64 vcc, exec, s[6:7]
	s_cbranch_vccz .LBB206_1105
; %bb.1104:
	s_cmp_lg_u32 s16, 11
	s_mov_b64 s[2:3], -1
	s_cselect_b64 s[0:1], -1, 0
.LBB206_1105:
	s_and_b64 vcc, exec, s[0:1]
	s_mov_b64 s[22:23], s[20:21]
	s_cbranch_vccnz .LBB206_1166
; %bb.1106:
	s_andn2_b64 vcc, exec, s[2:3]
	s_cbranch_vccnz .LBB206_1108
.LBB206_1107:
	global_load_ubyte v3, v[0:1], off
	s_mov_b64 s[4:5], -1
	s_waitcnt vmcnt(0)
	v_cmp_ne_u16_e32 vcc, 0, v3
	v_cndmask_b32_e64 v3, 0, 1.0, vcc
	v_lshrrev_b32_e32 v3, 16, v3
.LBB206_1108:
	s_branch .LBB206_1038
.LBB206_1109:
	s_cmp_lt_i32 s16, 5
	s_cbranch_scc1 .LBB206_1114
; %bb.1110:
	s_cmp_lt_i32 s16, 8
	s_cbranch_scc1 .LBB206_1115
; %bb.1111:
	;; [unrolled: 3-line block ×3, first 2 shown]
	s_cmp_gt_i32 s16, 9
	s_cbranch_scc0 .LBB206_1117
; %bb.1113:
	global_load_dwordx2 v[5:6], v[0:1], off
	s_movk_i32 s0, 0x7fff
	s_waitcnt vmcnt(0)
	v_cvt_f32_f64_e32 v3, v[5:6]
	v_mov_b32_e32 v5, 0x7fc0
	v_bfe_u32 v6, v3, 16, 1
	v_cmp_o_f32_e32 vcc, v3, v3
	v_add3_u32 v3, v3, v6, s0
	v_cndmask_b32_sdwa v3, v5, v3, vcc dst_sel:DWORD dst_unused:UNUSED_PAD src0_sel:DWORD src1_sel:WORD_1
	s_mov_b64 s[0:1], 0
	s_branch .LBB206_1118
.LBB206_1114:
                                        ; implicit-def: $vgpr3
	s_branch .LBB206_1135
.LBB206_1115:
                                        ; implicit-def: $vgpr3
	s_branch .LBB206_1124
.LBB206_1116:
	s_mov_b64 s[0:1], -1
                                        ; implicit-def: $vgpr3
	s_branch .LBB206_1121
.LBB206_1117:
	s_mov_b64 s[0:1], -1
                                        ; implicit-def: $vgpr3
.LBB206_1118:
	s_andn2_b64 vcc, exec, s[0:1]
	s_cbranch_vccnz .LBB206_1120
; %bb.1119:
	global_load_dword v3, v[0:1], off
	s_movk_i32 s0, 0x7fff
	v_mov_b32_e32 v5, 0x7fc0
	s_waitcnt vmcnt(0)
	v_bfe_u32 v6, v3, 16, 1
	v_cmp_o_f32_e32 vcc, v3, v3
	v_add3_u32 v3, v3, v6, s0
	v_cndmask_b32_sdwa v3, v5, v3, vcc dst_sel:DWORD dst_unused:UNUSED_PAD src0_sel:DWORD src1_sel:WORD_1
.LBB206_1120:
	s_mov_b64 s[0:1], 0
.LBB206_1121:
	s_andn2_b64 vcc, exec, s[0:1]
	s_cbranch_vccnz .LBB206_1123
; %bb.1122:
	global_load_dword v3, v[0:1], off
	s_movk_i32 s0, 0x7fff
	v_mov_b32_e32 v6, 0x7fc0
	s_waitcnt vmcnt(0)
	v_cvt_f32_f16_e32 v5, v3
	v_cmp_o_f16_e32 vcc, v3, v3
	v_bfe_u32 v3, v5, 16, 1
	v_add3_u32 v3, v5, v3, s0
	v_cndmask_b32_sdwa v3, v6, v3, vcc dst_sel:DWORD dst_unused:UNUSED_PAD src0_sel:DWORD src1_sel:WORD_1
.LBB206_1123:
	s_cbranch_execnz .LBB206_1134
.LBB206_1124:
	s_cmp_lt_i32 s16, 6
	s_cbranch_scc1 .LBB206_1127
; %bb.1125:
	s_cmp_gt_i32 s16, 6
	s_cbranch_scc0 .LBB206_1128
; %bb.1126:
	global_load_dwordx2 v[5:6], v[0:1], off
	s_movk_i32 s0, 0x7fff
	s_waitcnt vmcnt(0)
	v_cvt_f32_f64_e32 v3, v[5:6]
	v_mov_b32_e32 v5, 0x7fc0
	v_bfe_u32 v6, v3, 16, 1
	v_cmp_o_f32_e32 vcc, v3, v3
	v_add3_u32 v3, v3, v6, s0
	v_cndmask_b32_sdwa v3, v5, v3, vcc dst_sel:DWORD dst_unused:UNUSED_PAD src0_sel:DWORD src1_sel:WORD_1
	s_mov_b64 s[0:1], 0
	s_branch .LBB206_1129
.LBB206_1127:
	s_mov_b64 s[0:1], -1
                                        ; implicit-def: $vgpr3
	s_branch .LBB206_1132
.LBB206_1128:
	s_mov_b64 s[0:1], -1
                                        ; implicit-def: $vgpr3
.LBB206_1129:
	s_andn2_b64 vcc, exec, s[0:1]
	s_cbranch_vccnz .LBB206_1131
; %bb.1130:
	global_load_dword v3, v[0:1], off
	s_movk_i32 s0, 0x7fff
	v_mov_b32_e32 v5, 0x7fc0
	s_waitcnt vmcnt(0)
	v_bfe_u32 v6, v3, 16, 1
	v_cmp_o_f32_e32 vcc, v3, v3
	v_add3_u32 v3, v3, v6, s0
	v_cndmask_b32_sdwa v3, v5, v3, vcc dst_sel:DWORD dst_unused:UNUSED_PAD src0_sel:DWORD src1_sel:WORD_1
.LBB206_1131:
	s_mov_b64 s[0:1], 0
.LBB206_1132:
	s_andn2_b64 vcc, exec, s[0:1]
	s_cbranch_vccnz .LBB206_1134
; %bb.1133:
	global_load_ushort v3, v[0:1], off
	s_movk_i32 s0, 0x7fff
	v_mov_b32_e32 v6, 0x7fc0
	s_waitcnt vmcnt(0)
	v_cvt_f32_f16_e32 v5, v3
	v_cmp_o_f16_e32 vcc, v3, v3
	v_bfe_u32 v3, v5, 16, 1
	v_add3_u32 v3, v5, v3, s0
	v_cndmask_b32_sdwa v3, v6, v3, vcc dst_sel:DWORD dst_unused:UNUSED_PAD src0_sel:DWORD src1_sel:WORD_1
.LBB206_1134:
	s_cbranch_execnz .LBB206_1153
.LBB206_1135:
	s_cmp_lt_i32 s16, 2
	s_cbranch_scc1 .LBB206_1139
; %bb.1136:
	s_cmp_lt_i32 s16, 3
	s_cbranch_scc1 .LBB206_1140
; %bb.1137:
	s_cmp_gt_i32 s16, 3
	s_cbranch_scc0 .LBB206_1141
; %bb.1138:
	global_load_dwordx2 v[5:6], v[0:1], off
	s_movk_i32 s0, 0x7fff
	s_waitcnt vmcnt(0)
	v_xor_b32_e32 v7, v5, v6
	v_ffbh_i32_e32 v3, v6
	v_ashrrev_i32_e32 v7, 31, v7
	v_add_u32_e32 v3, -1, v3
	v_add_u32_e32 v7, 32, v7
	v_min_u32_e32 v3, v3, v7
	v_lshlrev_b64 v[5:6], v3, v[5:6]
	v_sub_u32_e32 v3, 32, v3
	v_min_u32_e32 v5, 1, v5
	v_or_b32_e32 v5, v6, v5
	v_cvt_f32_i32_e32 v5, v5
	v_ldexp_f32 v3, v5, v3
	v_bfe_u32 v5, v3, 16, 1
	v_add3_u32 v3, v3, v5, s0
	v_lshrrev_b32_e32 v3, 16, v3
	s_mov_b64 s[0:1], 0
	s_branch .LBB206_1142
.LBB206_1139:
                                        ; implicit-def: $vgpr3
	s_branch .LBB206_1148
.LBB206_1140:
	s_mov_b64 s[0:1], -1
                                        ; implicit-def: $vgpr3
	s_branch .LBB206_1145
.LBB206_1141:
	s_mov_b64 s[0:1], -1
                                        ; implicit-def: $vgpr3
.LBB206_1142:
	s_andn2_b64 vcc, exec, s[0:1]
	s_cbranch_vccnz .LBB206_1144
; %bb.1143:
	global_load_dword v3, v[0:1], off
	s_movk_i32 s0, 0x7fff
	s_waitcnt vmcnt(0)
	v_cvt_f32_i32_e32 v3, v3
	v_bfe_u32 v5, v3, 16, 1
	v_add3_u32 v3, v3, v5, s0
	v_lshrrev_b32_e32 v3, 16, v3
.LBB206_1144:
	s_mov_b64 s[0:1], 0
.LBB206_1145:
	s_andn2_b64 vcc, exec, s[0:1]
	s_cbranch_vccnz .LBB206_1147
; %bb.1146:
	global_load_sshort v3, v[0:1], off
	s_movk_i32 s0, 0x7fff
	s_waitcnt vmcnt(0)
	v_cvt_f32_i32_e32 v3, v3
	v_bfe_u32 v5, v3, 16, 1
	v_add3_u32 v3, v3, v5, s0
	v_lshrrev_b32_e32 v3, 16, v3
.LBB206_1147:
	s_cbranch_execnz .LBB206_1153
.LBB206_1148:
	s_cmp_gt_i32 s16, 0
	s_cbranch_scc0 .LBB206_1150
; %bb.1149:
	global_load_sbyte v3, v[0:1], off
	s_movk_i32 s0, 0x7fff
	s_waitcnt vmcnt(0)
	v_cvt_f32_i32_e32 v3, v3
	v_bfe_u32 v5, v3, 16, 1
	v_add3_u32 v3, v3, v5, s0
	v_lshrrev_b32_e32 v3, 16, v3
	s_mov_b64 s[0:1], 0
	s_branch .LBB206_1151
.LBB206_1150:
	s_mov_b64 s[0:1], -1
                                        ; implicit-def: $vgpr3
.LBB206_1151:
	s_andn2_b64 vcc, exec, s[0:1]
	s_cbranch_vccnz .LBB206_1153
; %bb.1152:
	global_load_ubyte v0, v[0:1], off
	s_movk_i32 s0, 0x7fff
	s_waitcnt vmcnt(0)
	v_cvt_f32_ubyte0_e32 v0, v0
	v_bfe_u32 v1, v0, 16, 1
	v_add3_u32 v0, v0, v1, s0
	v_lshrrev_b32_e32 v3, 16, v0
.LBB206_1153:
.LBB206_1154:
	s_lshl_b32 s13, s13, 7
	v_add_u32_e32 v5, s13, v4
	v_ashrrev_i32_e32 v1, 31, v5
	v_mov_b32_e32 v4, s11
	v_add_co_u32_e32 v0, vcc, s10, v5
	s_cmp_lt_i32 s16, 11
	v_addc_co_u32_e32 v1, vcc, v4, v1, vcc
	s_cbranch_scc1 .LBB206_1161
; %bb.1155:
	s_cmp_gt_i32 s16, 25
	s_mov_b64 s[2:3], 0
	s_cbranch_scc0 .LBB206_1163
; %bb.1156:
	s_cmp_gt_i32 s16, 28
	s_cbranch_scc0 .LBB206_1164
; %bb.1157:
	s_cmp_gt_i32 s16, 43
	;; [unrolled: 3-line block ×3, first 2 shown]
	s_cbranch_scc0 .LBB206_1167
; %bb.1159:
	s_cmp_eq_u32 s16, 46
	s_mov_b64 s[6:7], 0
	s_cbranch_scc0 .LBB206_1170
; %bb.1160:
	global_load_dword v4, v[0:1], off
	s_mov_b64 s[0:1], 0
	s_mov_b64 s[4:5], -1
	s_branch .LBB206_1171
.LBB206_1161:
	s_mov_b64 s[4:5], 0
                                        ; implicit-def: $vgpr4
	s_cbranch_execnz .LBB206_1236
.LBB206_1162:
	s_andn2_b64 vcc, exec, s[4:5]
	s_cbranch_vccnz .LBB206_1975
	s_branch .LBB206_1283
.LBB206_1163:
	s_mov_b64 s[4:5], 0
	s_mov_b64 s[0:1], 0
                                        ; implicit-def: $vgpr4
	s_cbranch_execnz .LBB206_1200
	s_branch .LBB206_1232
.LBB206_1164:
	s_mov_b64 s[6:7], -1
	s_mov_b64 s[4:5], 0
	s_mov_b64 s[0:1], 0
                                        ; implicit-def: $vgpr4
	s_branch .LBB206_1181
.LBB206_1165:
	s_mov_b64 s[6:7], -1
	s_mov_b64 s[4:5], 0
	s_mov_b64 s[0:1], 0
                                        ; implicit-def: $vgpr4
	s_branch .LBB206_1176
.LBB206_1166:
	s_or_b64 s[22:23], s[20:21], exec
	s_trap 2
	s_cbranch_execz .LBB206_1107
	s_branch .LBB206_1108
.LBB206_1167:
	s_mov_b64 s[6:7], -1
	s_mov_b64 s[4:5], 0
	s_mov_b64 s[0:1], 0
                                        ; implicit-def: $vgpr4
	s_branch .LBB206_1171
.LBB206_1168:
	s_andn2_saveexec_b64 s[30:31], s[30:31]
	s_cbranch_execz .LBB206_950
.LBB206_1169:
	v_add_f32_e32 v2, 0x42800000, v3
	v_and_b32_e32 v2, 0xff, v2
	v_cmp_ne_u32_e32 vcc, 0, v2
	s_andn2_b64 s[28:29], s[28:29], exec
	s_and_b64 s[36:37], vcc, exec
	s_or_b64 s[28:29], s[28:29], s[36:37]
	s_or_b64 exec, exec, s[30:31]
	v_mov_b32_e32 v4, 0
	s_and_saveexec_b64 s[30:31], s[28:29]
	s_cbranch_execnz .LBB206_951
	s_branch .LBB206_952
.LBB206_1170:
	s_mov_b64 s[0:1], -1
                                        ; implicit-def: $vgpr4
	s_mov_b64 s[4:5], 0
.LBB206_1171:
	s_and_b64 vcc, exec, s[6:7]
	s_cbranch_vccz .LBB206_1175
; %bb.1172:
	s_cmp_eq_u32 s16, 44
	s_cbranch_scc0 .LBB206_1174
; %bb.1173:
	global_load_ubyte v4, v[0:1], off
	s_movk_i32 s4, 0xff
	v_mov_b32_e32 v6, 0x7f800001
	v_mov_b32_e32 v7, 0x400000
	;; [unrolled: 1-line block ×3, first 2 shown]
	s_mov_b64 s[0:1], 0
	s_waitcnt vmcnt(0)
	v_lshlrev_b32_e32 v9, 23, v4
	v_cmp_ne_u32_e32 vcc, s4, v4
	v_cndmask_b32_e32 v6, v6, v9, vcc
	v_cmp_ne_u32_e32 vcc, 0, v4
	v_cndmask_b32_e32 v4, v7, v6, vcc
	v_add_u32_e32 v6, 0x7fff, v4
	v_cmp_o_f32_e32 vcc, v4, v4
	v_cndmask_b32_sdwa v4, v8, v6, vcc dst_sel:DWORD dst_unused:UNUSED_PAD src0_sel:DWORD src1_sel:WORD_1
	s_mov_b64 s[4:5], -1
	s_branch .LBB206_1175
.LBB206_1174:
	s_mov_b64 s[0:1], -1
                                        ; implicit-def: $vgpr4
.LBB206_1175:
	s_mov_b64 s[6:7], 0
.LBB206_1176:
	s_and_b64 vcc, exec, s[6:7]
	s_cbranch_vccz .LBB206_1180
; %bb.1177:
	s_cmp_eq_u32 s16, 29
	s_cbranch_scc0 .LBB206_1179
; %bb.1178:
	global_load_dwordx2 v[6:7], v[0:1], off
	s_movk_i32 s4, 0x7fff
	s_mov_b64 s[0:1], 0
	s_mov_b64 s[6:7], 0
	s_waitcnt vmcnt(0)
	v_ffbh_u32_e32 v4, v7
	v_min_u32_e32 v4, 32, v4
	v_lshlrev_b64 v[6:7], v4, v[6:7]
	v_sub_u32_e32 v4, 32, v4
	v_min_u32_e32 v6, 1, v6
	v_or_b32_e32 v6, v7, v6
	v_cvt_f32_u32_e32 v6, v6
	v_ldexp_f32 v4, v6, v4
	v_bfe_u32 v6, v4, 16, 1
	v_add3_u32 v4, v4, v6, s4
	v_lshrrev_b32_e32 v4, 16, v4
	s_mov_b64 s[4:5], -1
	s_branch .LBB206_1181
.LBB206_1179:
	s_mov_b64 s[0:1], -1
                                        ; implicit-def: $vgpr4
.LBB206_1180:
	s_mov_b64 s[6:7], 0
.LBB206_1181:
	s_and_b64 vcc, exec, s[6:7]
	s_cbranch_vccz .LBB206_1199
; %bb.1182:
	s_cmp_lt_i32 s16, 27
	s_cbranch_scc1 .LBB206_1185
; %bb.1183:
	s_cmp_gt_i32 s16, 27
	s_cbranch_scc0 .LBB206_1186
; %bb.1184:
	global_load_dword v4, v[0:1], off
	s_movk_i32 s4, 0x7fff
	s_waitcnt vmcnt(0)
	v_cvt_f32_u32_e32 v4, v4
	v_bfe_u32 v6, v4, 16, 1
	v_add3_u32 v4, v4, v6, s4
	v_lshrrev_b32_e32 v4, 16, v4
	s_mov_b64 s[4:5], 0
	s_branch .LBB206_1187
.LBB206_1185:
	s_mov_b64 s[4:5], -1
                                        ; implicit-def: $vgpr4
	s_branch .LBB206_1190
.LBB206_1186:
	s_mov_b64 s[4:5], -1
                                        ; implicit-def: $vgpr4
.LBB206_1187:
	s_andn2_b64 vcc, exec, s[4:5]
	s_cbranch_vccnz .LBB206_1189
; %bb.1188:
	global_load_ushort v4, v[0:1], off
	s_movk_i32 s4, 0x7fff
	s_waitcnt vmcnt(0)
	v_cvt_f32_u32_e32 v4, v4
	v_bfe_u32 v6, v4, 16, 1
	v_add3_u32 v4, v4, v6, s4
	v_lshrrev_b32_e32 v4, 16, v4
.LBB206_1189:
	s_mov_b64 s[4:5], 0
.LBB206_1190:
	s_andn2_b64 vcc, exec, s[4:5]
	s_cbranch_vccnz .LBB206_1198
; %bb.1191:
	global_load_ubyte v4, v[0:1], off
	s_movk_i32 s4, 0x7f
	s_waitcnt vmcnt(0)
	v_cmp_lt_i16_e32 vcc, s4, v4
	s_mov_b64 s[4:5], 0
	s_and_saveexec_b64 s[6:7], vcc
	s_xor_b64 s[6:7], exec, s[6:7]
	s_cbranch_execz .LBB206_1211
; %bb.1192:
	s_movk_i32 s4, 0x80
	v_cmp_eq_u16_e32 vcc, s4, v4
	s_mov_b64 s[4:5], -1
	s_and_saveexec_b64 s[24:25], vcc
; %bb.1193:
	s_xor_b64 s[4:5], exec, -1
; %bb.1194:
	s_or_b64 exec, exec, s[24:25]
	s_and_b64 s[4:5], s[4:5], exec
	s_or_saveexec_b64 s[6:7], s[6:7]
	v_mov_b32_e32 v6, 0x7f800001
	s_xor_b64 exec, exec, s[6:7]
	s_cbranch_execnz .LBB206_1212
.LBB206_1195:
	s_or_b64 exec, exec, s[6:7]
	s_and_saveexec_b64 s[6:7], s[4:5]
	s_cbranch_execz .LBB206_1197
.LBB206_1196:
	v_lshlrev_b32_e32 v6, 24, v4
	v_and_b32_e32 v4, 0xffff, v4
	v_and_b32_e32 v7, 7, v4
	v_ffbh_u32_e32 v9, v7
	v_min_u32_e32 v9, 32, v9
	v_subrev_u32_e32 v10, 28, v9
	v_bfe_u32 v8, v4, 3, 4
	v_lshlrev_b32_e32 v4, v10, v4
	v_sub_u32_e32 v9, 29, v9
	v_and_b32_e32 v4, 7, v4
	v_cmp_eq_u32_e32 vcc, 0, v8
	v_cndmask_b32_e32 v8, v8, v9, vcc
	v_cndmask_b32_e32 v4, v7, v4, vcc
	v_mov_b32_e32 v7, 0x3b800000
	v_lshlrev_b32_e32 v4, 20, v4
	v_and_b32_e32 v6, 0x80000000, v6
	v_lshl_add_u32 v7, v8, 23, v7
	v_or3_b32 v6, v6, v7, v4
.LBB206_1197:
	s_or_b64 exec, exec, s[6:7]
	v_bfe_u32 v4, v6, 16, 1
	s_movk_i32 s4, 0x7fff
	v_add3_u32 v4, v6, v4, s4
	v_cmp_o_f32_e32 vcc, v6, v6
	v_mov_b32_e32 v6, 0x7fc0
	v_cndmask_b32_sdwa v4, v6, v4, vcc dst_sel:DWORD dst_unused:UNUSED_PAD src0_sel:DWORD src1_sel:WORD_1
.LBB206_1198:
	s_mov_b64 s[4:5], -1
.LBB206_1199:
	s_branch .LBB206_1232
.LBB206_1200:
	s_cmp_gt_i32 s16, 22
	s_cbranch_scc0 .LBB206_1210
; %bb.1201:
	s_cmp_lt_i32 s16, 24
	s_cbranch_scc1 .LBB206_1213
; %bb.1202:
	s_cmp_gt_i32 s16, 24
	s_cbranch_scc0 .LBB206_1214
; %bb.1203:
	global_load_ubyte v4, v[0:1], off
	s_movk_i32 s2, 0x7f
	s_waitcnt vmcnt(0)
	v_cmp_lt_i16_e32 vcc, s2, v4
	s_mov_b64 s[2:3], 0
	s_and_saveexec_b64 s[4:5], vcc
	s_xor_b64 s[4:5], exec, s[4:5]
	s_cbranch_execz .LBB206_1226
; %bb.1204:
	s_movk_i32 s2, 0x80
	v_cmp_eq_u16_e32 vcc, s2, v4
	s_mov_b64 s[2:3], -1
	s_and_saveexec_b64 s[6:7], vcc
; %bb.1205:
	s_xor_b64 s[2:3], exec, -1
; %bb.1206:
	s_or_b64 exec, exec, s[6:7]
	s_and_b64 s[2:3], s[2:3], exec
	s_or_saveexec_b64 s[4:5], s[4:5]
	v_mov_b32_e32 v6, 0x7f800001
	s_xor_b64 exec, exec, s[4:5]
	s_cbranch_execnz .LBB206_1227
.LBB206_1207:
	s_or_b64 exec, exec, s[4:5]
	s_and_saveexec_b64 s[4:5], s[2:3]
	s_cbranch_execz .LBB206_1209
.LBB206_1208:
	v_lshlrev_b32_e32 v6, 24, v4
	v_and_b32_e32 v4, 0xffff, v4
	v_and_b32_e32 v7, 3, v4
	v_ffbh_u32_e32 v9, v7
	v_min_u32_e32 v9, 32, v9
	v_subrev_u32_e32 v10, 29, v9
	v_bfe_u32 v8, v4, 2, 5
	v_lshlrev_b32_e32 v4, v10, v4
	v_sub_u32_e32 v9, 30, v9
	v_and_b32_e32 v4, 3, v4
	v_cmp_eq_u32_e32 vcc, 0, v8
	v_cndmask_b32_e32 v8, v8, v9, vcc
	v_cndmask_b32_e32 v4, v7, v4, vcc
	v_mov_b32_e32 v7, 0x37800000
	v_lshlrev_b32_e32 v4, 21, v4
	v_and_b32_e32 v6, 0x80000000, v6
	v_lshl_add_u32 v7, v8, 23, v7
	v_or3_b32 v6, v6, v7, v4
.LBB206_1209:
	s_or_b64 exec, exec, s[4:5]
	v_bfe_u32 v4, v6, 16, 1
	s_movk_i32 s2, 0x7fff
	v_add3_u32 v4, v6, v4, s2
	v_cmp_o_f32_e32 vcc, v6, v6
	v_mov_b32_e32 v6, 0x7fc0
	v_cndmask_b32_sdwa v4, v6, v4, vcc dst_sel:DWORD dst_unused:UNUSED_PAD src0_sel:DWORD src1_sel:WORD_1
	s_mov_b64 s[2:3], 0
	s_branch .LBB206_1215
.LBB206_1210:
	s_mov_b64 s[2:3], -1
                                        ; implicit-def: $vgpr4
	s_branch .LBB206_1221
.LBB206_1211:
	s_or_saveexec_b64 s[6:7], s[6:7]
	v_mov_b32_e32 v6, 0x7f800001
	s_xor_b64 exec, exec, s[6:7]
	s_cbranch_execz .LBB206_1195
.LBB206_1212:
	v_cmp_ne_u16_e32 vcc, 0, v4
	s_andn2_b64 s[4:5], s[4:5], exec
	s_and_b64 s[24:25], vcc, exec
	v_mov_b32_e32 v6, 0
	s_or_b64 s[4:5], s[4:5], s[24:25]
	s_or_b64 exec, exec, s[6:7]
	s_and_saveexec_b64 s[6:7], s[4:5]
	s_cbranch_execnz .LBB206_1196
	s_branch .LBB206_1197
.LBB206_1213:
	s_mov_b64 s[2:3], -1
                                        ; implicit-def: $vgpr4
	s_branch .LBB206_1218
.LBB206_1214:
	s_mov_b64 s[2:3], -1
                                        ; implicit-def: $vgpr4
.LBB206_1215:
	s_and_b64 vcc, exec, s[2:3]
	s_cbranch_vccz .LBB206_1217
; %bb.1216:
	global_load_ubyte v4, v[0:1], off
	s_mov_b32 s2, 0x7f800000
	s_brev_b32 s3, 1
	s_movk_i32 s4, 0x7fff
	s_waitcnt vmcnt(0)
	v_lshlrev_b32_e32 v4, 24, v4
	v_and_b32_e32 v6, 0x7f000000, v4
	v_ffbh_u32_e32 v7, v6
	v_min_u32_e32 v7, 32, v7
	v_sub_u32_e64 v7, v7, 4 clamp
	v_lshlrev_b32_e32 v9, v7, v6
	v_lshlrev_b32_e32 v7, 23, v7
	v_lshrrev_b32_e32 v9, 4, v9
	v_add_u32_e32 v8, 0x1000000, v6
	v_sub_u32_e32 v7, v9, v7
	v_ashrrev_i32_e32 v8, 8, v8
	v_add_u32_e32 v7, 0x3c000000, v7
	v_and_or_b32 v7, v8, s2, v7
	v_cmp_ne_u32_e32 vcc, 0, v6
	v_cndmask_b32_e32 v6, 0, v7, vcc
	v_and_or_b32 v4, v4, s3, v6
	v_bfe_u32 v6, v6, 16, 1
	v_add3_u32 v6, v4, v6, s4
	v_cmp_o_f32_e32 vcc, v4, v4
	v_mov_b32_e32 v4, 0x7fc0
	v_cndmask_b32_sdwa v4, v4, v6, vcc dst_sel:DWORD dst_unused:UNUSED_PAD src0_sel:DWORD src1_sel:WORD_1
.LBB206_1217:
	s_mov_b64 s[2:3], 0
.LBB206_1218:
	s_andn2_b64 vcc, exec, s[2:3]
	s_cbranch_vccnz .LBB206_1220
; %bb.1219:
	global_load_ubyte v4, v[0:1], off
	s_movk_i32 s2, 0x7f00
	s_brev_b32 s3, 16
	s_brev_b32 s4, 1
	s_movk_i32 s5, 0x7fff
	s_waitcnt vmcnt(0)
	v_lshlrev_b16_e32 v6, 8, v4
	v_lshlrev_b32_e32 v4, 25, v4
	v_lshrrev_b32_e32 v7, 4, v4
	v_and_or_b32 v8, v6, s2, 0.5
	v_or_b32_e32 v7, 0x70000000, v7
	v_add_f32_e32 v8, -0.5, v8
	v_mul_f32_e32 v7, 0x7800000, v7
	v_cmp_gt_u32_e32 vcc, s3, v4
	v_bfe_i32 v6, v6, 0, 16
	v_cndmask_b32_e32 v4, v7, v8, vcc
	v_and_or_b32 v6, v6, s4, v4
	v_bfe_u32 v4, v4, 16, 1
	v_add3_u32 v4, v6, v4, s5
	v_cmp_o_f32_e32 vcc, v6, v6
	v_mov_b32_e32 v6, 0x7fc0
	v_cndmask_b32_sdwa v4, v6, v4, vcc dst_sel:DWORD dst_unused:UNUSED_PAD src0_sel:DWORD src1_sel:WORD_1
.LBB206_1220:
	s_mov_b64 s[2:3], 0
	s_mov_b64 s[4:5], -1
.LBB206_1221:
	s_andn2_b64 vcc, exec, s[2:3]
	s_mov_b64 s[2:3], 0
	s_cbranch_vccnz .LBB206_1232
; %bb.1222:
	s_cmp_gt_i32 s16, 14
	s_cbranch_scc0 .LBB206_1225
; %bb.1223:
	s_cmp_eq_u32 s16, 15
	s_cbranch_scc0 .LBB206_1228
; %bb.1224:
	global_load_ushort v4, v[0:1], off
	s_mov_b64 s[0:1], 0
	s_mov_b64 s[4:5], -1
	s_branch .LBB206_1229
.LBB206_1225:
	s_mov_b64 s[6:7], -1
                                        ; implicit-def: $vgpr4
	s_branch .LBB206_1230
.LBB206_1226:
	s_or_saveexec_b64 s[4:5], s[4:5]
	v_mov_b32_e32 v6, 0x7f800001
	s_xor_b64 exec, exec, s[4:5]
	s_cbranch_execz .LBB206_1207
.LBB206_1227:
	v_cmp_ne_u16_e32 vcc, 0, v4
	s_andn2_b64 s[2:3], s[2:3], exec
	s_and_b64 s[6:7], vcc, exec
	v_mov_b32_e32 v6, 0
	s_or_b64 s[2:3], s[2:3], s[6:7]
	s_or_b64 exec, exec, s[4:5]
	s_and_saveexec_b64 s[4:5], s[2:3]
	s_cbranch_execnz .LBB206_1208
	s_branch .LBB206_1209
.LBB206_1228:
	s_mov_b64 s[0:1], -1
                                        ; implicit-def: $vgpr4
.LBB206_1229:
	s_mov_b64 s[6:7], 0
.LBB206_1230:
	s_and_b64 vcc, exec, s[6:7]
	s_cbranch_vccz .LBB206_1232
; %bb.1231:
	s_cmp_lg_u32 s16, 11
	s_mov_b64 s[2:3], -1
	s_cselect_b64 s[0:1], -1, 0
.LBB206_1232:
	s_and_b64 vcc, exec, s[0:1]
	s_cbranch_vccnz .LBB206_1295
; %bb.1233:
	s_andn2_b64 vcc, exec, s[2:3]
	s_cbranch_vccnz .LBB206_1235
.LBB206_1234:
	global_load_ubyte v4, v[0:1], off
	s_mov_b64 s[4:5], -1
	s_waitcnt vmcnt(0)
	v_cmp_ne_u16_e32 vcc, 0, v4
	v_cndmask_b32_e64 v4, 0, 1.0, vcc
	v_lshrrev_b32_e32 v4, 16, v4
.LBB206_1235:
	s_branch .LBB206_1162
.LBB206_1236:
	s_cmp_lt_i32 s16, 5
	s_cbranch_scc1 .LBB206_1241
; %bb.1237:
	s_cmp_lt_i32 s16, 8
	s_cbranch_scc1 .LBB206_1242
; %bb.1238:
	;; [unrolled: 3-line block ×3, first 2 shown]
	s_cmp_gt_i32 s16, 9
	s_cbranch_scc0 .LBB206_1244
; %bb.1240:
	global_load_dwordx2 v[6:7], v[0:1], off
	s_movk_i32 s0, 0x7fff
	s_waitcnt vmcnt(0)
	v_cvt_f32_f64_e32 v4, v[6:7]
	v_mov_b32_e32 v6, 0x7fc0
	v_bfe_u32 v7, v4, 16, 1
	v_cmp_o_f32_e32 vcc, v4, v4
	v_add3_u32 v4, v4, v7, s0
	v_cndmask_b32_sdwa v4, v6, v4, vcc dst_sel:DWORD dst_unused:UNUSED_PAD src0_sel:DWORD src1_sel:WORD_1
	s_mov_b64 s[0:1], 0
	s_branch .LBB206_1245
.LBB206_1241:
                                        ; implicit-def: $vgpr4
	s_branch .LBB206_1263
.LBB206_1242:
	s_mov_b64 s[0:1], -1
                                        ; implicit-def: $vgpr4
	s_branch .LBB206_1251
.LBB206_1243:
	s_mov_b64 s[0:1], -1
                                        ; implicit-def: $vgpr4
	s_branch .LBB206_1248
.LBB206_1244:
	s_mov_b64 s[0:1], -1
                                        ; implicit-def: $vgpr4
.LBB206_1245:
	s_andn2_b64 vcc, exec, s[0:1]
	s_cbranch_vccnz .LBB206_1247
; %bb.1246:
	global_load_dword v4, v[0:1], off
	s_movk_i32 s0, 0x7fff
	v_mov_b32_e32 v6, 0x7fc0
	s_waitcnt vmcnt(0)
	v_bfe_u32 v7, v4, 16, 1
	v_cmp_o_f32_e32 vcc, v4, v4
	v_add3_u32 v4, v4, v7, s0
	v_cndmask_b32_sdwa v4, v6, v4, vcc dst_sel:DWORD dst_unused:UNUSED_PAD src0_sel:DWORD src1_sel:WORD_1
.LBB206_1247:
	s_mov_b64 s[0:1], 0
.LBB206_1248:
	s_andn2_b64 vcc, exec, s[0:1]
	s_cbranch_vccnz .LBB206_1250
; %bb.1249:
	global_load_dword v4, v[0:1], off
	s_movk_i32 s0, 0x7fff
	v_mov_b32_e32 v7, 0x7fc0
	s_waitcnt vmcnt(0)
	v_cvt_f32_f16_e32 v6, v4
	v_cmp_o_f16_e32 vcc, v4, v4
	v_bfe_u32 v4, v6, 16, 1
	v_add3_u32 v4, v6, v4, s0
	v_cndmask_b32_sdwa v4, v7, v4, vcc dst_sel:DWORD dst_unused:UNUSED_PAD src0_sel:DWORD src1_sel:WORD_1
.LBB206_1250:
	s_mov_b64 s[0:1], 0
.LBB206_1251:
	s_andn2_b64 vcc, exec, s[0:1]
	s_cbranch_vccnz .LBB206_1262
; %bb.1252:
	s_cmp_lt_i32 s16, 6
	s_cbranch_scc1 .LBB206_1255
; %bb.1253:
	s_cmp_gt_i32 s16, 6
	s_cbranch_scc0 .LBB206_1256
; %bb.1254:
	global_load_dwordx2 v[6:7], v[0:1], off
	s_movk_i32 s0, 0x7fff
	s_waitcnt vmcnt(0)
	v_cvt_f32_f64_e32 v4, v[6:7]
	v_mov_b32_e32 v6, 0x7fc0
	v_bfe_u32 v7, v4, 16, 1
	v_cmp_o_f32_e32 vcc, v4, v4
	v_add3_u32 v4, v4, v7, s0
	v_cndmask_b32_sdwa v4, v6, v4, vcc dst_sel:DWORD dst_unused:UNUSED_PAD src0_sel:DWORD src1_sel:WORD_1
	s_mov_b64 s[0:1], 0
	s_branch .LBB206_1257
.LBB206_1255:
	s_mov_b64 s[0:1], -1
                                        ; implicit-def: $vgpr4
	s_branch .LBB206_1260
.LBB206_1256:
	s_mov_b64 s[0:1], -1
                                        ; implicit-def: $vgpr4
.LBB206_1257:
	s_andn2_b64 vcc, exec, s[0:1]
	s_cbranch_vccnz .LBB206_1259
; %bb.1258:
	global_load_dword v4, v[0:1], off
	s_movk_i32 s0, 0x7fff
	v_mov_b32_e32 v6, 0x7fc0
	s_waitcnt vmcnt(0)
	v_bfe_u32 v7, v4, 16, 1
	v_cmp_o_f32_e32 vcc, v4, v4
	v_add3_u32 v4, v4, v7, s0
	v_cndmask_b32_sdwa v4, v6, v4, vcc dst_sel:DWORD dst_unused:UNUSED_PAD src0_sel:DWORD src1_sel:WORD_1
.LBB206_1259:
	s_mov_b64 s[0:1], 0
.LBB206_1260:
	s_andn2_b64 vcc, exec, s[0:1]
	s_cbranch_vccnz .LBB206_1262
; %bb.1261:
	global_load_ushort v4, v[0:1], off
	s_movk_i32 s0, 0x7fff
	v_mov_b32_e32 v7, 0x7fc0
	s_waitcnt vmcnt(0)
	v_cvt_f32_f16_e32 v6, v4
	v_cmp_o_f16_e32 vcc, v4, v4
	v_bfe_u32 v4, v6, 16, 1
	v_add3_u32 v4, v6, v4, s0
	v_cndmask_b32_sdwa v4, v7, v4, vcc dst_sel:DWORD dst_unused:UNUSED_PAD src0_sel:DWORD src1_sel:WORD_1
.LBB206_1262:
	s_cbranch_execnz .LBB206_1282
.LBB206_1263:
	s_cmp_lt_i32 s16, 2
	s_cbranch_scc1 .LBB206_1267
; %bb.1264:
	s_cmp_lt_i32 s16, 3
	s_cbranch_scc1 .LBB206_1268
; %bb.1265:
	s_cmp_gt_i32 s16, 3
	s_cbranch_scc0 .LBB206_1269
; %bb.1266:
	global_load_dwordx2 v[6:7], v[0:1], off
	s_movk_i32 s0, 0x7fff
	s_waitcnt vmcnt(0)
	v_xor_b32_e32 v8, v6, v7
	v_ffbh_i32_e32 v4, v7
	v_ashrrev_i32_e32 v8, 31, v8
	v_add_u32_e32 v4, -1, v4
	v_add_u32_e32 v8, 32, v8
	v_min_u32_e32 v4, v4, v8
	v_lshlrev_b64 v[6:7], v4, v[6:7]
	v_sub_u32_e32 v4, 32, v4
	v_min_u32_e32 v6, 1, v6
	v_or_b32_e32 v6, v7, v6
	v_cvt_f32_i32_e32 v6, v6
	v_ldexp_f32 v4, v6, v4
	v_bfe_u32 v6, v4, 16, 1
	v_add3_u32 v4, v4, v6, s0
	v_lshrrev_b32_e32 v4, 16, v4
	s_mov_b64 s[0:1], 0
	s_branch .LBB206_1270
.LBB206_1267:
	s_mov_b64 s[0:1], -1
                                        ; implicit-def: $vgpr4
	s_branch .LBB206_1276
.LBB206_1268:
	s_mov_b64 s[0:1], -1
                                        ; implicit-def: $vgpr4
	s_branch .LBB206_1273
.LBB206_1269:
	s_mov_b64 s[0:1], -1
                                        ; implicit-def: $vgpr4
.LBB206_1270:
	s_andn2_b64 vcc, exec, s[0:1]
	s_cbranch_vccnz .LBB206_1272
; %bb.1271:
	global_load_dword v4, v[0:1], off
	s_movk_i32 s0, 0x7fff
	s_waitcnt vmcnt(0)
	v_cvt_f32_i32_e32 v4, v4
	v_bfe_u32 v6, v4, 16, 1
	v_add3_u32 v4, v4, v6, s0
	v_lshrrev_b32_e32 v4, 16, v4
.LBB206_1272:
	s_mov_b64 s[0:1], 0
.LBB206_1273:
	s_andn2_b64 vcc, exec, s[0:1]
	s_cbranch_vccnz .LBB206_1275
; %bb.1274:
	global_load_sshort v4, v[0:1], off
	s_movk_i32 s0, 0x7fff
	s_waitcnt vmcnt(0)
	v_cvt_f32_i32_e32 v4, v4
	v_bfe_u32 v6, v4, 16, 1
	v_add3_u32 v4, v4, v6, s0
	v_lshrrev_b32_e32 v4, 16, v4
.LBB206_1275:
	s_mov_b64 s[0:1], 0
.LBB206_1276:
	s_andn2_b64 vcc, exec, s[0:1]
	s_cbranch_vccnz .LBB206_1282
; %bb.1277:
	s_cmp_gt_i32 s16, 0
	s_cbranch_scc0 .LBB206_1279
; %bb.1278:
	global_load_sbyte v4, v[0:1], off
	s_movk_i32 s0, 0x7fff
	s_waitcnt vmcnt(0)
	v_cvt_f32_i32_e32 v4, v4
	v_bfe_u32 v6, v4, 16, 1
	v_add3_u32 v4, v4, v6, s0
	v_lshrrev_b32_e32 v4, 16, v4
	s_mov_b64 s[0:1], 0
	s_branch .LBB206_1280
.LBB206_1279:
	s_mov_b64 s[0:1], -1
                                        ; implicit-def: $vgpr4
.LBB206_1280:
	s_andn2_b64 vcc, exec, s[0:1]
	s_cbranch_vccnz .LBB206_1282
; %bb.1281:
	global_load_ubyte v0, v[0:1], off
	s_movk_i32 s0, 0x7fff
	s_waitcnt vmcnt(0)
	v_cvt_f32_ubyte0_e32 v0, v0
	v_bfe_u32 v1, v0, 16, 1
	v_add3_u32 v0, v0, v1, s0
	v_lshrrev_b32_e32 v4, 16, v0
.LBB206_1282:
.LBB206_1283:
	v_add_u32_e32 v6, s13, v5
	v_ashrrev_i32_e32 v1, 31, v6
	v_mov_b32_e32 v5, s11
	v_add_co_u32_e32 v0, vcc, s10, v6
	s_cmp_lt_i32 s16, 11
	v_addc_co_u32_e32 v1, vcc, v5, v1, vcc
	s_cbranch_scc1 .LBB206_1290
; %bb.1284:
	s_cmp_gt_i32 s16, 25
	s_mov_b64 s[2:3], 0
	s_cbranch_scc0 .LBB206_1292
; %bb.1285:
	s_cmp_gt_i32 s16, 28
	s_cbranch_scc0 .LBB206_1293
; %bb.1286:
	s_cmp_gt_i32 s16, 43
	s_cbranch_scc0 .LBB206_1294
; %bb.1287:
	s_cmp_gt_i32 s16, 45
	s_cbranch_scc0 .LBB206_1296
; %bb.1288:
	s_cmp_eq_u32 s16, 46
	s_mov_b64 s[6:7], 0
	s_cbranch_scc0 .LBB206_1297
; %bb.1289:
	global_load_dword v5, v[0:1], off
	s_mov_b64 s[0:1], 0
	s_mov_b64 s[4:5], -1
	s_branch .LBB206_1298
.LBB206_1290:
	s_mov_b64 s[4:5], 0
                                        ; implicit-def: $vgpr5
	s_cbranch_execnz .LBB206_1364
.LBB206_1291:
	s_andn2_b64 vcc, exec, s[4:5]
	s_cbranch_vccnz .LBB206_1975
	s_branch .LBB206_1412
.LBB206_1292:
	s_mov_b64 s[6:7], -1
	s_mov_b64 s[4:5], 0
	s_mov_b64 s[0:1], 0
                                        ; implicit-def: $vgpr5
	s_branch .LBB206_1327
.LBB206_1293:
	s_mov_b64 s[6:7], -1
	s_mov_b64 s[4:5], 0
	s_mov_b64 s[0:1], 0
                                        ; implicit-def: $vgpr5
	s_branch .LBB206_1308
.LBB206_1294:
	s_mov_b64 s[6:7], -1
	s_mov_b64 s[4:5], 0
	s_mov_b64 s[0:1], 0
                                        ; implicit-def: $vgpr5
	s_branch .LBB206_1303
.LBB206_1295:
	s_trap 2
	s_or_b64 s[22:23], s[22:23], exec
	s_cbranch_execz .LBB206_1234
	s_branch .LBB206_1235
.LBB206_1296:
	s_mov_b64 s[6:7], -1
	s_mov_b64 s[4:5], 0
	s_mov_b64 s[0:1], 0
                                        ; implicit-def: $vgpr5
	s_branch .LBB206_1298
.LBB206_1297:
	s_mov_b64 s[0:1], -1
                                        ; implicit-def: $vgpr5
	s_mov_b64 s[4:5], 0
.LBB206_1298:
	s_and_b64 vcc, exec, s[6:7]
	s_cbranch_vccz .LBB206_1302
; %bb.1299:
	s_cmp_eq_u32 s16, 44
	s_cbranch_scc0 .LBB206_1301
; %bb.1300:
	global_load_ubyte v5, v[0:1], off
	s_movk_i32 s4, 0xff
	v_mov_b32_e32 v7, 0x7f800001
	v_mov_b32_e32 v8, 0x400000
	;; [unrolled: 1-line block ×3, first 2 shown]
	s_mov_b64 s[0:1], 0
	s_waitcnt vmcnt(0)
	v_lshlrev_b32_e32 v10, 23, v5
	v_cmp_ne_u32_e32 vcc, s4, v5
	v_cndmask_b32_e32 v7, v7, v10, vcc
	v_cmp_ne_u32_e32 vcc, 0, v5
	v_cndmask_b32_e32 v5, v8, v7, vcc
	v_add_u32_e32 v7, 0x7fff, v5
	v_cmp_o_f32_e32 vcc, v5, v5
	v_cndmask_b32_sdwa v5, v9, v7, vcc dst_sel:DWORD dst_unused:UNUSED_PAD src0_sel:DWORD src1_sel:WORD_1
	s_mov_b64 s[4:5], -1
	s_branch .LBB206_1302
.LBB206_1301:
	s_mov_b64 s[0:1], -1
                                        ; implicit-def: $vgpr5
.LBB206_1302:
	s_mov_b64 s[6:7], 0
.LBB206_1303:
	s_and_b64 vcc, exec, s[6:7]
	s_cbranch_vccz .LBB206_1307
; %bb.1304:
	s_cmp_eq_u32 s16, 29
	s_cbranch_scc0 .LBB206_1306
; %bb.1305:
	global_load_dwordx2 v[7:8], v[0:1], off
	s_movk_i32 s4, 0x7fff
	s_mov_b64 s[0:1], 0
	s_mov_b64 s[6:7], 0
	s_waitcnt vmcnt(0)
	v_ffbh_u32_e32 v5, v8
	v_min_u32_e32 v5, 32, v5
	v_lshlrev_b64 v[7:8], v5, v[7:8]
	v_sub_u32_e32 v5, 32, v5
	v_min_u32_e32 v7, 1, v7
	v_or_b32_e32 v7, v8, v7
	v_cvt_f32_u32_e32 v7, v7
	v_ldexp_f32 v5, v7, v5
	v_bfe_u32 v7, v5, 16, 1
	v_add3_u32 v5, v5, v7, s4
	v_lshrrev_b32_e32 v5, 16, v5
	s_mov_b64 s[4:5], -1
	s_branch .LBB206_1308
.LBB206_1306:
	s_mov_b64 s[0:1], -1
                                        ; implicit-def: $vgpr5
.LBB206_1307:
	s_mov_b64 s[6:7], 0
.LBB206_1308:
	s_and_b64 vcc, exec, s[6:7]
	s_cbranch_vccz .LBB206_1326
; %bb.1309:
	s_cmp_lt_i32 s16, 27
	s_cbranch_scc1 .LBB206_1312
; %bb.1310:
	s_cmp_gt_i32 s16, 27
	s_cbranch_scc0 .LBB206_1313
; %bb.1311:
	global_load_dword v5, v[0:1], off
	s_movk_i32 s4, 0x7fff
	s_waitcnt vmcnt(0)
	v_cvt_f32_u32_e32 v5, v5
	v_bfe_u32 v7, v5, 16, 1
	v_add3_u32 v5, v5, v7, s4
	v_lshrrev_b32_e32 v5, 16, v5
	s_mov_b64 s[4:5], 0
	s_branch .LBB206_1314
.LBB206_1312:
	s_mov_b64 s[4:5], -1
                                        ; implicit-def: $vgpr5
	s_branch .LBB206_1317
.LBB206_1313:
	s_mov_b64 s[4:5], -1
                                        ; implicit-def: $vgpr5
.LBB206_1314:
	s_andn2_b64 vcc, exec, s[4:5]
	s_cbranch_vccnz .LBB206_1316
; %bb.1315:
	global_load_ushort v5, v[0:1], off
	s_movk_i32 s4, 0x7fff
	s_waitcnt vmcnt(0)
	v_cvt_f32_u32_e32 v5, v5
	v_bfe_u32 v7, v5, 16, 1
	v_add3_u32 v5, v5, v7, s4
	v_lshrrev_b32_e32 v5, 16, v5
.LBB206_1316:
	s_mov_b64 s[4:5], 0
.LBB206_1317:
	s_andn2_b64 vcc, exec, s[4:5]
	s_cbranch_vccnz .LBB206_1325
; %bb.1318:
	global_load_ubyte v5, v[0:1], off
	s_movk_i32 s4, 0x7f
	s_waitcnt vmcnt(0)
	v_cmp_lt_i16_e32 vcc, s4, v5
	s_mov_b64 s[4:5], 0
	s_and_saveexec_b64 s[6:7], vcc
	s_xor_b64 s[6:7], exec, s[6:7]
	s_cbranch_execz .LBB206_1339
; %bb.1319:
	s_movk_i32 s4, 0x80
	v_cmp_eq_u16_e32 vcc, s4, v5
	s_mov_b64 s[4:5], -1
	s_and_saveexec_b64 s[24:25], vcc
; %bb.1320:
	s_xor_b64 s[4:5], exec, -1
; %bb.1321:
	s_or_b64 exec, exec, s[24:25]
	s_and_b64 s[4:5], s[4:5], exec
	s_or_saveexec_b64 s[6:7], s[6:7]
	v_mov_b32_e32 v7, 0x7f800001
	s_xor_b64 exec, exec, s[6:7]
	s_cbranch_execnz .LBB206_1340
.LBB206_1322:
	s_or_b64 exec, exec, s[6:7]
	s_and_saveexec_b64 s[6:7], s[4:5]
	s_cbranch_execz .LBB206_1324
.LBB206_1323:
	v_lshlrev_b32_e32 v7, 24, v5
	v_and_b32_e32 v5, 0xffff, v5
	v_and_b32_e32 v8, 7, v5
	v_ffbh_u32_e32 v10, v8
	v_min_u32_e32 v10, 32, v10
	v_subrev_u32_e32 v11, 28, v10
	v_bfe_u32 v9, v5, 3, 4
	v_lshlrev_b32_e32 v5, v11, v5
	v_sub_u32_e32 v10, 29, v10
	v_and_b32_e32 v5, 7, v5
	v_cmp_eq_u32_e32 vcc, 0, v9
	v_cndmask_b32_e32 v9, v9, v10, vcc
	v_cndmask_b32_e32 v5, v8, v5, vcc
	v_mov_b32_e32 v8, 0x3b800000
	v_lshlrev_b32_e32 v5, 20, v5
	v_and_b32_e32 v7, 0x80000000, v7
	v_lshl_add_u32 v8, v9, 23, v8
	v_or3_b32 v7, v7, v8, v5
.LBB206_1324:
	s_or_b64 exec, exec, s[6:7]
	v_bfe_u32 v5, v7, 16, 1
	s_movk_i32 s4, 0x7fff
	v_add3_u32 v5, v7, v5, s4
	v_cmp_o_f32_e32 vcc, v7, v7
	v_mov_b32_e32 v7, 0x7fc0
	v_cndmask_b32_sdwa v5, v7, v5, vcc dst_sel:DWORD dst_unused:UNUSED_PAD src0_sel:DWORD src1_sel:WORD_1
.LBB206_1325:
	s_mov_b64 s[4:5], -1
.LBB206_1326:
	s_mov_b64 s[6:7], 0
.LBB206_1327:
	s_and_b64 vcc, exec, s[6:7]
	s_cbranch_vccz .LBB206_1360
; %bb.1328:
	s_cmp_gt_i32 s16, 22
	s_cbranch_scc0 .LBB206_1338
; %bb.1329:
	s_cmp_lt_i32 s16, 24
	s_cbranch_scc1 .LBB206_1341
; %bb.1330:
	s_cmp_gt_i32 s16, 24
	s_cbranch_scc0 .LBB206_1342
; %bb.1331:
	global_load_ubyte v5, v[0:1], off
	s_movk_i32 s2, 0x7f
	s_waitcnt vmcnt(0)
	v_cmp_lt_i16_e32 vcc, s2, v5
	s_mov_b64 s[2:3], 0
	s_and_saveexec_b64 s[4:5], vcc
	s_xor_b64 s[4:5], exec, s[4:5]
	s_cbranch_execz .LBB206_1354
; %bb.1332:
	s_movk_i32 s2, 0x80
	v_cmp_eq_u16_e32 vcc, s2, v5
	s_mov_b64 s[2:3], -1
	s_and_saveexec_b64 s[6:7], vcc
; %bb.1333:
	s_xor_b64 s[2:3], exec, -1
; %bb.1334:
	s_or_b64 exec, exec, s[6:7]
	s_and_b64 s[2:3], s[2:3], exec
	s_or_saveexec_b64 s[4:5], s[4:5]
	v_mov_b32_e32 v7, 0x7f800001
	s_xor_b64 exec, exec, s[4:5]
	s_cbranch_execnz .LBB206_1355
.LBB206_1335:
	s_or_b64 exec, exec, s[4:5]
	s_and_saveexec_b64 s[4:5], s[2:3]
	s_cbranch_execz .LBB206_1337
.LBB206_1336:
	v_lshlrev_b32_e32 v7, 24, v5
	v_and_b32_e32 v5, 0xffff, v5
	v_and_b32_e32 v8, 3, v5
	v_ffbh_u32_e32 v10, v8
	v_min_u32_e32 v10, 32, v10
	v_subrev_u32_e32 v11, 29, v10
	v_bfe_u32 v9, v5, 2, 5
	v_lshlrev_b32_e32 v5, v11, v5
	v_sub_u32_e32 v10, 30, v10
	v_and_b32_e32 v5, 3, v5
	v_cmp_eq_u32_e32 vcc, 0, v9
	v_cndmask_b32_e32 v9, v9, v10, vcc
	v_cndmask_b32_e32 v5, v8, v5, vcc
	v_mov_b32_e32 v8, 0x37800000
	v_lshlrev_b32_e32 v5, 21, v5
	v_and_b32_e32 v7, 0x80000000, v7
	v_lshl_add_u32 v8, v9, 23, v8
	v_or3_b32 v7, v7, v8, v5
.LBB206_1337:
	s_or_b64 exec, exec, s[4:5]
	v_bfe_u32 v5, v7, 16, 1
	s_movk_i32 s2, 0x7fff
	v_add3_u32 v5, v7, v5, s2
	v_cmp_o_f32_e32 vcc, v7, v7
	v_mov_b32_e32 v7, 0x7fc0
	v_cndmask_b32_sdwa v5, v7, v5, vcc dst_sel:DWORD dst_unused:UNUSED_PAD src0_sel:DWORD src1_sel:WORD_1
	s_mov_b64 s[2:3], 0
	s_branch .LBB206_1343
.LBB206_1338:
	s_mov_b64 s[2:3], -1
                                        ; implicit-def: $vgpr5
	s_branch .LBB206_1349
.LBB206_1339:
	s_or_saveexec_b64 s[6:7], s[6:7]
	v_mov_b32_e32 v7, 0x7f800001
	s_xor_b64 exec, exec, s[6:7]
	s_cbranch_execz .LBB206_1322
.LBB206_1340:
	v_cmp_ne_u16_e32 vcc, 0, v5
	s_andn2_b64 s[4:5], s[4:5], exec
	s_and_b64 s[24:25], vcc, exec
	v_mov_b32_e32 v7, 0
	s_or_b64 s[4:5], s[4:5], s[24:25]
	s_or_b64 exec, exec, s[6:7]
	s_and_saveexec_b64 s[6:7], s[4:5]
	s_cbranch_execnz .LBB206_1323
	s_branch .LBB206_1324
.LBB206_1341:
	s_mov_b64 s[2:3], -1
                                        ; implicit-def: $vgpr5
	s_branch .LBB206_1346
.LBB206_1342:
	s_mov_b64 s[2:3], -1
                                        ; implicit-def: $vgpr5
.LBB206_1343:
	s_and_b64 vcc, exec, s[2:3]
	s_cbranch_vccz .LBB206_1345
; %bb.1344:
	global_load_ubyte v5, v[0:1], off
	s_mov_b32 s2, 0x7f800000
	s_brev_b32 s3, 1
	s_movk_i32 s4, 0x7fff
	s_waitcnt vmcnt(0)
	v_lshlrev_b32_e32 v5, 24, v5
	v_and_b32_e32 v7, 0x7f000000, v5
	v_ffbh_u32_e32 v8, v7
	v_min_u32_e32 v8, 32, v8
	v_sub_u32_e64 v8, v8, 4 clamp
	v_lshlrev_b32_e32 v10, v8, v7
	v_lshlrev_b32_e32 v8, 23, v8
	v_lshrrev_b32_e32 v10, 4, v10
	v_add_u32_e32 v9, 0x1000000, v7
	v_sub_u32_e32 v8, v10, v8
	v_ashrrev_i32_e32 v9, 8, v9
	v_add_u32_e32 v8, 0x3c000000, v8
	v_and_or_b32 v8, v9, s2, v8
	v_cmp_ne_u32_e32 vcc, 0, v7
	v_cndmask_b32_e32 v7, 0, v8, vcc
	v_and_or_b32 v5, v5, s3, v7
	v_bfe_u32 v7, v7, 16, 1
	v_add3_u32 v7, v5, v7, s4
	v_cmp_o_f32_e32 vcc, v5, v5
	v_mov_b32_e32 v5, 0x7fc0
	v_cndmask_b32_sdwa v5, v5, v7, vcc dst_sel:DWORD dst_unused:UNUSED_PAD src0_sel:DWORD src1_sel:WORD_1
.LBB206_1345:
	s_mov_b64 s[2:3], 0
.LBB206_1346:
	s_andn2_b64 vcc, exec, s[2:3]
	s_cbranch_vccnz .LBB206_1348
; %bb.1347:
	global_load_ubyte v5, v[0:1], off
	s_movk_i32 s2, 0x7f00
	s_brev_b32 s3, 16
	s_brev_b32 s4, 1
	s_movk_i32 s5, 0x7fff
	s_waitcnt vmcnt(0)
	v_lshlrev_b16_e32 v7, 8, v5
	v_lshlrev_b32_e32 v5, 25, v5
	v_lshrrev_b32_e32 v8, 4, v5
	v_and_or_b32 v9, v7, s2, 0.5
	v_or_b32_e32 v8, 0x70000000, v8
	v_add_f32_e32 v9, -0.5, v9
	v_mul_f32_e32 v8, 0x7800000, v8
	v_cmp_gt_u32_e32 vcc, s3, v5
	v_bfe_i32 v7, v7, 0, 16
	v_cndmask_b32_e32 v5, v8, v9, vcc
	v_and_or_b32 v7, v7, s4, v5
	v_bfe_u32 v5, v5, 16, 1
	v_add3_u32 v5, v7, v5, s5
	v_cmp_o_f32_e32 vcc, v7, v7
	v_mov_b32_e32 v7, 0x7fc0
	v_cndmask_b32_sdwa v5, v7, v5, vcc dst_sel:DWORD dst_unused:UNUSED_PAD src0_sel:DWORD src1_sel:WORD_1
.LBB206_1348:
	s_mov_b64 s[2:3], 0
	s_mov_b64 s[4:5], -1
.LBB206_1349:
	s_andn2_b64 vcc, exec, s[2:3]
	s_mov_b64 s[2:3], 0
	s_cbranch_vccnz .LBB206_1360
; %bb.1350:
	s_cmp_gt_i32 s16, 14
	s_cbranch_scc0 .LBB206_1353
; %bb.1351:
	s_cmp_eq_u32 s16, 15
	s_cbranch_scc0 .LBB206_1356
; %bb.1352:
	global_load_ushort v5, v[0:1], off
	s_mov_b64 s[0:1], 0
	s_mov_b64 s[4:5], -1
	s_branch .LBB206_1357
.LBB206_1353:
	s_mov_b64 s[6:7], -1
                                        ; implicit-def: $vgpr5
	s_branch .LBB206_1358
.LBB206_1354:
	s_or_saveexec_b64 s[4:5], s[4:5]
	v_mov_b32_e32 v7, 0x7f800001
	s_xor_b64 exec, exec, s[4:5]
	s_cbranch_execz .LBB206_1335
.LBB206_1355:
	v_cmp_ne_u16_e32 vcc, 0, v5
	s_andn2_b64 s[2:3], s[2:3], exec
	s_and_b64 s[6:7], vcc, exec
	v_mov_b32_e32 v7, 0
	s_or_b64 s[2:3], s[2:3], s[6:7]
	s_or_b64 exec, exec, s[4:5]
	s_and_saveexec_b64 s[4:5], s[2:3]
	s_cbranch_execnz .LBB206_1336
	s_branch .LBB206_1337
.LBB206_1356:
	s_mov_b64 s[0:1], -1
                                        ; implicit-def: $vgpr5
.LBB206_1357:
	s_mov_b64 s[6:7], 0
.LBB206_1358:
	s_and_b64 vcc, exec, s[6:7]
	s_cbranch_vccz .LBB206_1360
; %bb.1359:
	s_cmp_lg_u32 s16, 11
	s_mov_b64 s[2:3], -1
	s_cselect_b64 s[0:1], -1, 0
.LBB206_1360:
	s_and_b64 vcc, exec, s[0:1]
	s_cbranch_vccnz .LBB206_1423
; %bb.1361:
	s_andn2_b64 vcc, exec, s[2:3]
	s_cbranch_vccnz .LBB206_1363
.LBB206_1362:
	global_load_ubyte v5, v[0:1], off
	s_mov_b64 s[4:5], -1
	s_waitcnt vmcnt(0)
	v_cmp_ne_u16_e32 vcc, 0, v5
	v_cndmask_b32_e64 v5, 0, 1.0, vcc
	v_lshrrev_b32_e32 v5, 16, v5
.LBB206_1363:
	s_branch .LBB206_1291
.LBB206_1364:
	s_cmp_lt_i32 s16, 5
	s_cbranch_scc1 .LBB206_1369
; %bb.1365:
	s_cmp_lt_i32 s16, 8
	s_cbranch_scc1 .LBB206_1370
; %bb.1366:
	;; [unrolled: 3-line block ×3, first 2 shown]
	s_cmp_gt_i32 s16, 9
	s_cbranch_scc0 .LBB206_1372
; %bb.1368:
	global_load_dwordx2 v[7:8], v[0:1], off
	s_movk_i32 s0, 0x7fff
	s_waitcnt vmcnt(0)
	v_cvt_f32_f64_e32 v5, v[7:8]
	v_mov_b32_e32 v7, 0x7fc0
	v_bfe_u32 v8, v5, 16, 1
	v_cmp_o_f32_e32 vcc, v5, v5
	v_add3_u32 v5, v5, v8, s0
	v_cndmask_b32_sdwa v5, v7, v5, vcc dst_sel:DWORD dst_unused:UNUSED_PAD src0_sel:DWORD src1_sel:WORD_1
	s_mov_b64 s[0:1], 0
	s_branch .LBB206_1373
.LBB206_1369:
	s_mov_b64 s[0:1], -1
                                        ; implicit-def: $vgpr5
	s_branch .LBB206_1391
.LBB206_1370:
	s_mov_b64 s[0:1], -1
                                        ; implicit-def: $vgpr5
	s_branch .LBB206_1379
.LBB206_1371:
	s_mov_b64 s[0:1], -1
                                        ; implicit-def: $vgpr5
	s_branch .LBB206_1376
.LBB206_1372:
	s_mov_b64 s[0:1], -1
                                        ; implicit-def: $vgpr5
.LBB206_1373:
	s_andn2_b64 vcc, exec, s[0:1]
	s_cbranch_vccnz .LBB206_1375
; %bb.1374:
	global_load_dword v5, v[0:1], off
	s_movk_i32 s0, 0x7fff
	v_mov_b32_e32 v7, 0x7fc0
	s_waitcnt vmcnt(0)
	v_bfe_u32 v8, v5, 16, 1
	v_cmp_o_f32_e32 vcc, v5, v5
	v_add3_u32 v5, v5, v8, s0
	v_cndmask_b32_sdwa v5, v7, v5, vcc dst_sel:DWORD dst_unused:UNUSED_PAD src0_sel:DWORD src1_sel:WORD_1
.LBB206_1375:
	s_mov_b64 s[0:1], 0
.LBB206_1376:
	s_andn2_b64 vcc, exec, s[0:1]
	s_cbranch_vccnz .LBB206_1378
; %bb.1377:
	global_load_dword v5, v[0:1], off
	s_movk_i32 s0, 0x7fff
	v_mov_b32_e32 v8, 0x7fc0
	s_waitcnt vmcnt(0)
	v_cvt_f32_f16_e32 v7, v5
	v_cmp_o_f16_e32 vcc, v5, v5
	v_bfe_u32 v5, v7, 16, 1
	v_add3_u32 v5, v7, v5, s0
	v_cndmask_b32_sdwa v5, v8, v5, vcc dst_sel:DWORD dst_unused:UNUSED_PAD src0_sel:DWORD src1_sel:WORD_1
.LBB206_1378:
	s_mov_b64 s[0:1], 0
.LBB206_1379:
	s_andn2_b64 vcc, exec, s[0:1]
	s_cbranch_vccnz .LBB206_1390
; %bb.1380:
	s_cmp_lt_i32 s16, 6
	s_cbranch_scc1 .LBB206_1383
; %bb.1381:
	s_cmp_gt_i32 s16, 6
	s_cbranch_scc0 .LBB206_1384
; %bb.1382:
	global_load_dwordx2 v[7:8], v[0:1], off
	s_movk_i32 s0, 0x7fff
	s_waitcnt vmcnt(0)
	v_cvt_f32_f64_e32 v5, v[7:8]
	v_mov_b32_e32 v7, 0x7fc0
	v_bfe_u32 v8, v5, 16, 1
	v_cmp_o_f32_e32 vcc, v5, v5
	v_add3_u32 v5, v5, v8, s0
	v_cndmask_b32_sdwa v5, v7, v5, vcc dst_sel:DWORD dst_unused:UNUSED_PAD src0_sel:DWORD src1_sel:WORD_1
	s_mov_b64 s[0:1], 0
	s_branch .LBB206_1385
.LBB206_1383:
	s_mov_b64 s[0:1], -1
                                        ; implicit-def: $vgpr5
	s_branch .LBB206_1388
.LBB206_1384:
	s_mov_b64 s[0:1], -1
                                        ; implicit-def: $vgpr5
.LBB206_1385:
	s_andn2_b64 vcc, exec, s[0:1]
	s_cbranch_vccnz .LBB206_1387
; %bb.1386:
	global_load_dword v5, v[0:1], off
	s_movk_i32 s0, 0x7fff
	v_mov_b32_e32 v7, 0x7fc0
	s_waitcnt vmcnt(0)
	v_bfe_u32 v8, v5, 16, 1
	v_cmp_o_f32_e32 vcc, v5, v5
	v_add3_u32 v5, v5, v8, s0
	v_cndmask_b32_sdwa v5, v7, v5, vcc dst_sel:DWORD dst_unused:UNUSED_PAD src0_sel:DWORD src1_sel:WORD_1
.LBB206_1387:
	s_mov_b64 s[0:1], 0
.LBB206_1388:
	s_andn2_b64 vcc, exec, s[0:1]
	s_cbranch_vccnz .LBB206_1390
; %bb.1389:
	global_load_ushort v5, v[0:1], off
	s_movk_i32 s0, 0x7fff
	v_mov_b32_e32 v8, 0x7fc0
	s_waitcnt vmcnt(0)
	v_cvt_f32_f16_e32 v7, v5
	v_cmp_o_f16_e32 vcc, v5, v5
	v_bfe_u32 v5, v7, 16, 1
	v_add3_u32 v5, v7, v5, s0
	v_cndmask_b32_sdwa v5, v8, v5, vcc dst_sel:DWORD dst_unused:UNUSED_PAD src0_sel:DWORD src1_sel:WORD_1
.LBB206_1390:
	s_mov_b64 s[0:1], 0
.LBB206_1391:
	s_andn2_b64 vcc, exec, s[0:1]
	s_cbranch_vccnz .LBB206_1411
; %bb.1392:
	s_cmp_lt_i32 s16, 2
	s_cbranch_scc1 .LBB206_1396
; %bb.1393:
	s_cmp_lt_i32 s16, 3
	s_cbranch_scc1 .LBB206_1397
; %bb.1394:
	s_cmp_gt_i32 s16, 3
	s_cbranch_scc0 .LBB206_1398
; %bb.1395:
	global_load_dwordx2 v[7:8], v[0:1], off
	s_movk_i32 s0, 0x7fff
	s_waitcnt vmcnt(0)
	v_xor_b32_e32 v9, v7, v8
	v_ffbh_i32_e32 v5, v8
	v_ashrrev_i32_e32 v9, 31, v9
	v_add_u32_e32 v5, -1, v5
	v_add_u32_e32 v9, 32, v9
	v_min_u32_e32 v5, v5, v9
	v_lshlrev_b64 v[7:8], v5, v[7:8]
	v_sub_u32_e32 v5, 32, v5
	v_min_u32_e32 v7, 1, v7
	v_or_b32_e32 v7, v8, v7
	v_cvt_f32_i32_e32 v7, v7
	v_ldexp_f32 v5, v7, v5
	v_bfe_u32 v7, v5, 16, 1
	v_add3_u32 v5, v5, v7, s0
	v_lshrrev_b32_e32 v5, 16, v5
	s_mov_b64 s[0:1], 0
	s_branch .LBB206_1399
.LBB206_1396:
	s_mov_b64 s[0:1], -1
                                        ; implicit-def: $vgpr5
	s_branch .LBB206_1405
.LBB206_1397:
	s_mov_b64 s[0:1], -1
                                        ; implicit-def: $vgpr5
	s_branch .LBB206_1402
.LBB206_1398:
	s_mov_b64 s[0:1], -1
                                        ; implicit-def: $vgpr5
.LBB206_1399:
	s_andn2_b64 vcc, exec, s[0:1]
	s_cbranch_vccnz .LBB206_1401
; %bb.1400:
	global_load_dword v5, v[0:1], off
	s_movk_i32 s0, 0x7fff
	s_waitcnt vmcnt(0)
	v_cvt_f32_i32_e32 v5, v5
	v_bfe_u32 v7, v5, 16, 1
	v_add3_u32 v5, v5, v7, s0
	v_lshrrev_b32_e32 v5, 16, v5
.LBB206_1401:
	s_mov_b64 s[0:1], 0
.LBB206_1402:
	s_andn2_b64 vcc, exec, s[0:1]
	s_cbranch_vccnz .LBB206_1404
; %bb.1403:
	global_load_sshort v5, v[0:1], off
	s_movk_i32 s0, 0x7fff
	s_waitcnt vmcnt(0)
	v_cvt_f32_i32_e32 v5, v5
	v_bfe_u32 v7, v5, 16, 1
	v_add3_u32 v5, v5, v7, s0
	v_lshrrev_b32_e32 v5, 16, v5
.LBB206_1404:
	s_mov_b64 s[0:1], 0
.LBB206_1405:
	s_andn2_b64 vcc, exec, s[0:1]
	s_cbranch_vccnz .LBB206_1411
; %bb.1406:
	s_cmp_gt_i32 s16, 0
	s_cbranch_scc0 .LBB206_1408
; %bb.1407:
	global_load_sbyte v5, v[0:1], off
	s_movk_i32 s0, 0x7fff
	s_waitcnt vmcnt(0)
	v_cvt_f32_i32_e32 v5, v5
	v_bfe_u32 v7, v5, 16, 1
	v_add3_u32 v5, v5, v7, s0
	v_lshrrev_b32_e32 v5, 16, v5
	s_mov_b64 s[0:1], 0
	s_branch .LBB206_1409
.LBB206_1408:
	s_mov_b64 s[0:1], -1
                                        ; implicit-def: $vgpr5
.LBB206_1409:
	s_andn2_b64 vcc, exec, s[0:1]
	s_cbranch_vccnz .LBB206_1411
; %bb.1410:
	global_load_ubyte v0, v[0:1], off
	s_movk_i32 s0, 0x7fff
	s_waitcnt vmcnt(0)
	v_cvt_f32_ubyte0_e32 v0, v0
	v_bfe_u32 v1, v0, 16, 1
	v_add3_u32 v0, v0, v1, s0
	v_lshrrev_b32_e32 v5, 16, v0
.LBB206_1411:
.LBB206_1412:
	v_add_u32_e32 v0, s13, v6
	v_ashrrev_i32_e32 v1, 31, v0
	v_mov_b32_e32 v6, s11
	v_add_co_u32_e32 v0, vcc, s10, v0
	s_cmp_lt_i32 s16, 11
	v_addc_co_u32_e32 v1, vcc, v6, v1, vcc
	s_cbranch_scc1 .LBB206_1419
; %bb.1413:
	s_cmp_gt_i32 s16, 25
	s_mov_b64 s[2:3], 0
	s_cbranch_scc0 .LBB206_1420
; %bb.1414:
	s_cmp_gt_i32 s16, 28
	s_cbranch_scc0 .LBB206_1421
; %bb.1415:
	s_cmp_gt_i32 s16, 43
	;; [unrolled: 3-line block ×3, first 2 shown]
	s_cbranch_scc0 .LBB206_1424
; %bb.1417:
	s_cmp_eq_u32 s16, 46
	s_mov_b64 s[6:7], 0
	s_cbranch_scc0 .LBB206_1425
; %bb.1418:
	global_load_dword v6, v[0:1], off
	s_mov_b64 s[0:1], 0
	s_mov_b64 s[4:5], -1
	s_branch .LBB206_1426
.LBB206_1419:
	s_mov_b64 s[0:1], -1
	s_mov_b64 s[4:5], 0
                                        ; implicit-def: $vgpr6
	s_branch .LBB206_1492
.LBB206_1420:
	s_mov_b64 s[6:7], -1
	s_mov_b64 s[4:5], 0
	s_mov_b64 s[0:1], 0
                                        ; implicit-def: $vgpr6
	s_branch .LBB206_1455
.LBB206_1421:
	s_mov_b64 s[6:7], -1
	s_mov_b64 s[4:5], 0
	s_mov_b64 s[0:1], 0
                                        ; implicit-def: $vgpr6
	s_branch .LBB206_1436
.LBB206_1422:
	s_mov_b64 s[6:7], -1
	s_mov_b64 s[4:5], 0
	s_mov_b64 s[0:1], 0
                                        ; implicit-def: $vgpr6
	s_branch .LBB206_1431
.LBB206_1423:
	s_trap 2
	s_or_b64 s[22:23], s[22:23], exec
	s_cbranch_execz .LBB206_1362
	s_branch .LBB206_1363
.LBB206_1424:
	s_mov_b64 s[6:7], -1
	s_mov_b64 s[4:5], 0
	s_mov_b64 s[0:1], 0
                                        ; implicit-def: $vgpr6
	s_branch .LBB206_1426
.LBB206_1425:
	s_mov_b64 s[0:1], -1
                                        ; implicit-def: $vgpr6
	s_mov_b64 s[4:5], 0
.LBB206_1426:
	s_and_b64 vcc, exec, s[6:7]
	s_cbranch_vccz .LBB206_1430
; %bb.1427:
	s_cmp_eq_u32 s16, 44
	s_cbranch_scc0 .LBB206_1429
; %bb.1428:
	global_load_ubyte v6, v[0:1], off
	s_movk_i32 s4, 0xff
	v_mov_b32_e32 v7, 0x7f800001
	v_mov_b32_e32 v8, 0x400000
	;; [unrolled: 1-line block ×3, first 2 shown]
	s_mov_b64 s[0:1], 0
	s_waitcnt vmcnt(0)
	v_lshlrev_b32_e32 v10, 23, v6
	v_cmp_ne_u32_e32 vcc, s4, v6
	v_cndmask_b32_e32 v7, v7, v10, vcc
	v_cmp_ne_u32_e32 vcc, 0, v6
	v_cndmask_b32_e32 v6, v8, v7, vcc
	v_add_u32_e32 v7, 0x7fff, v6
	v_cmp_o_f32_e32 vcc, v6, v6
	v_cndmask_b32_sdwa v6, v9, v7, vcc dst_sel:DWORD dst_unused:UNUSED_PAD src0_sel:DWORD src1_sel:WORD_1
	s_mov_b64 s[4:5], -1
	s_branch .LBB206_1430
.LBB206_1429:
	s_mov_b64 s[0:1], -1
                                        ; implicit-def: $vgpr6
.LBB206_1430:
	s_mov_b64 s[6:7], 0
.LBB206_1431:
	s_and_b64 vcc, exec, s[6:7]
	s_cbranch_vccz .LBB206_1435
; %bb.1432:
	s_cmp_eq_u32 s16, 29
	s_cbranch_scc0 .LBB206_1434
; %bb.1433:
	global_load_dwordx2 v[6:7], v[0:1], off
	s_movk_i32 s4, 0x7fff
	s_mov_b64 s[0:1], 0
	s_mov_b64 s[6:7], 0
	s_waitcnt vmcnt(0)
	v_ffbh_u32_e32 v8, v7
	v_min_u32_e32 v8, 32, v8
	v_lshlrev_b64 v[6:7], v8, v[6:7]
	v_min_u32_e32 v6, 1, v6
	v_or_b32_e32 v6, v7, v6
	v_cvt_f32_u32_e32 v6, v6
	v_sub_u32_e32 v7, 32, v8
	v_ldexp_f32 v6, v6, v7
	v_bfe_u32 v7, v6, 16, 1
	v_add3_u32 v6, v6, v7, s4
	v_lshrrev_b32_e32 v6, 16, v6
	s_mov_b64 s[4:5], -1
	s_branch .LBB206_1436
.LBB206_1434:
	s_mov_b64 s[0:1], -1
                                        ; implicit-def: $vgpr6
.LBB206_1435:
	s_mov_b64 s[6:7], 0
.LBB206_1436:
	s_and_b64 vcc, exec, s[6:7]
	s_cbranch_vccz .LBB206_1454
; %bb.1437:
	s_cmp_lt_i32 s16, 27
	s_cbranch_scc1 .LBB206_1440
; %bb.1438:
	s_cmp_gt_i32 s16, 27
	s_cbranch_scc0 .LBB206_1441
; %bb.1439:
	global_load_dword v6, v[0:1], off
	s_movk_i32 s4, 0x7fff
	s_waitcnt vmcnt(0)
	v_cvt_f32_u32_e32 v6, v6
	v_bfe_u32 v7, v6, 16, 1
	v_add3_u32 v6, v6, v7, s4
	v_lshrrev_b32_e32 v6, 16, v6
	s_mov_b64 s[4:5], 0
	s_branch .LBB206_1442
.LBB206_1440:
	s_mov_b64 s[4:5], -1
                                        ; implicit-def: $vgpr6
	s_branch .LBB206_1445
.LBB206_1441:
	s_mov_b64 s[4:5], -1
                                        ; implicit-def: $vgpr6
.LBB206_1442:
	s_andn2_b64 vcc, exec, s[4:5]
	s_cbranch_vccnz .LBB206_1444
; %bb.1443:
	global_load_ushort v6, v[0:1], off
	s_movk_i32 s4, 0x7fff
	s_waitcnt vmcnt(0)
	v_cvt_f32_u32_e32 v6, v6
	v_bfe_u32 v7, v6, 16, 1
	v_add3_u32 v6, v6, v7, s4
	v_lshrrev_b32_e32 v6, 16, v6
.LBB206_1444:
	s_mov_b64 s[4:5], 0
.LBB206_1445:
	s_andn2_b64 vcc, exec, s[4:5]
	s_cbranch_vccnz .LBB206_1453
; %bb.1446:
	global_load_ubyte v6, v[0:1], off
	s_movk_i32 s4, 0x7f
	s_waitcnt vmcnt(0)
	v_cmp_lt_i16_e32 vcc, s4, v6
	s_mov_b64 s[4:5], 0
	s_and_saveexec_b64 s[6:7], vcc
	s_xor_b64 s[6:7], exec, s[6:7]
	s_cbranch_execz .LBB206_1467
; %bb.1447:
	s_movk_i32 s4, 0x80
	v_cmp_eq_u16_e32 vcc, s4, v6
	s_mov_b64 s[4:5], -1
	s_and_saveexec_b64 s[10:11], vcc
; %bb.1448:
	s_xor_b64 s[4:5], exec, -1
; %bb.1449:
	s_or_b64 exec, exec, s[10:11]
	s_and_b64 s[4:5], s[4:5], exec
	s_or_saveexec_b64 s[6:7], s[6:7]
	v_mov_b32_e32 v7, 0x7f800001
	s_xor_b64 exec, exec, s[6:7]
	s_cbranch_execnz .LBB206_1468
.LBB206_1450:
	s_or_b64 exec, exec, s[6:7]
	s_and_saveexec_b64 s[6:7], s[4:5]
	s_cbranch_execz .LBB206_1452
.LBB206_1451:
	v_lshlrev_b32_e32 v7, 24, v6
	v_and_b32_e32 v6, 0xffff, v6
	v_and_b32_e32 v8, 7, v6
	v_ffbh_u32_e32 v10, v8
	v_min_u32_e32 v10, 32, v10
	v_subrev_u32_e32 v11, 28, v10
	v_bfe_u32 v9, v6, 3, 4
	v_lshlrev_b32_e32 v6, v11, v6
	v_sub_u32_e32 v10, 29, v10
	v_and_b32_e32 v6, 7, v6
	v_cmp_eq_u32_e32 vcc, 0, v9
	v_cndmask_b32_e32 v9, v9, v10, vcc
	v_cndmask_b32_e32 v6, v8, v6, vcc
	v_mov_b32_e32 v8, 0x3b800000
	v_lshlrev_b32_e32 v6, 20, v6
	v_and_b32_e32 v7, 0x80000000, v7
	v_lshl_add_u32 v8, v9, 23, v8
	v_or3_b32 v7, v7, v8, v6
.LBB206_1452:
	s_or_b64 exec, exec, s[6:7]
	v_bfe_u32 v6, v7, 16, 1
	s_movk_i32 s4, 0x7fff
	v_add3_u32 v6, v7, v6, s4
	v_cmp_o_f32_e32 vcc, v7, v7
	v_mov_b32_e32 v7, 0x7fc0
	v_cndmask_b32_sdwa v6, v7, v6, vcc dst_sel:DWORD dst_unused:UNUSED_PAD src0_sel:DWORD src1_sel:WORD_1
.LBB206_1453:
	s_mov_b64 s[4:5], -1
.LBB206_1454:
	s_mov_b64 s[6:7], 0
.LBB206_1455:
	s_and_b64 vcc, exec, s[6:7]
	s_cbranch_vccz .LBB206_1488
; %bb.1456:
	s_cmp_gt_i32 s16, 22
	s_cbranch_scc0 .LBB206_1466
; %bb.1457:
	s_cmp_lt_i32 s16, 24
	s_cbranch_scc1 .LBB206_1469
; %bb.1458:
	s_cmp_gt_i32 s16, 24
	s_cbranch_scc0 .LBB206_1470
; %bb.1459:
	global_load_ubyte v6, v[0:1], off
	s_movk_i32 s2, 0x7f
	s_waitcnt vmcnt(0)
	v_cmp_lt_i16_e32 vcc, s2, v6
	s_mov_b64 s[2:3], 0
	s_and_saveexec_b64 s[4:5], vcc
	s_xor_b64 s[4:5], exec, s[4:5]
	s_cbranch_execz .LBB206_1482
; %bb.1460:
	s_movk_i32 s2, 0x80
	v_cmp_eq_u16_e32 vcc, s2, v6
	s_mov_b64 s[2:3], -1
	s_and_saveexec_b64 s[6:7], vcc
; %bb.1461:
	s_xor_b64 s[2:3], exec, -1
; %bb.1462:
	s_or_b64 exec, exec, s[6:7]
	s_and_b64 s[2:3], s[2:3], exec
	s_or_saveexec_b64 s[4:5], s[4:5]
	v_mov_b32_e32 v7, 0x7f800001
	s_xor_b64 exec, exec, s[4:5]
	s_cbranch_execnz .LBB206_1483
.LBB206_1463:
	s_or_b64 exec, exec, s[4:5]
	s_and_saveexec_b64 s[4:5], s[2:3]
	s_cbranch_execz .LBB206_1465
.LBB206_1464:
	v_lshlrev_b32_e32 v7, 24, v6
	v_and_b32_e32 v6, 0xffff, v6
	v_and_b32_e32 v8, 3, v6
	v_ffbh_u32_e32 v10, v8
	v_min_u32_e32 v10, 32, v10
	v_subrev_u32_e32 v11, 29, v10
	v_bfe_u32 v9, v6, 2, 5
	v_lshlrev_b32_e32 v6, v11, v6
	v_sub_u32_e32 v10, 30, v10
	v_and_b32_e32 v6, 3, v6
	v_cmp_eq_u32_e32 vcc, 0, v9
	v_cndmask_b32_e32 v9, v9, v10, vcc
	v_cndmask_b32_e32 v6, v8, v6, vcc
	v_mov_b32_e32 v8, 0x37800000
	v_lshlrev_b32_e32 v6, 21, v6
	v_and_b32_e32 v7, 0x80000000, v7
	v_lshl_add_u32 v8, v9, 23, v8
	v_or3_b32 v7, v7, v8, v6
.LBB206_1465:
	s_or_b64 exec, exec, s[4:5]
	v_bfe_u32 v6, v7, 16, 1
	s_movk_i32 s2, 0x7fff
	v_add3_u32 v6, v7, v6, s2
	v_cmp_o_f32_e32 vcc, v7, v7
	v_mov_b32_e32 v7, 0x7fc0
	v_cndmask_b32_sdwa v6, v7, v6, vcc dst_sel:DWORD dst_unused:UNUSED_PAD src0_sel:DWORD src1_sel:WORD_1
	s_mov_b64 s[2:3], 0
	s_branch .LBB206_1471
.LBB206_1466:
	s_mov_b64 s[2:3], -1
                                        ; implicit-def: $vgpr6
	s_branch .LBB206_1477
.LBB206_1467:
	s_or_saveexec_b64 s[6:7], s[6:7]
	v_mov_b32_e32 v7, 0x7f800001
	s_xor_b64 exec, exec, s[6:7]
	s_cbranch_execz .LBB206_1450
.LBB206_1468:
	v_cmp_ne_u16_e32 vcc, 0, v6
	s_andn2_b64 s[4:5], s[4:5], exec
	s_and_b64 s[10:11], vcc, exec
	v_mov_b32_e32 v7, 0
	s_or_b64 s[4:5], s[4:5], s[10:11]
	s_or_b64 exec, exec, s[6:7]
	s_and_saveexec_b64 s[6:7], s[4:5]
	s_cbranch_execnz .LBB206_1451
	s_branch .LBB206_1452
.LBB206_1469:
	s_mov_b64 s[2:3], -1
                                        ; implicit-def: $vgpr6
	s_branch .LBB206_1474
.LBB206_1470:
	s_mov_b64 s[2:3], -1
                                        ; implicit-def: $vgpr6
.LBB206_1471:
	s_and_b64 vcc, exec, s[2:3]
	s_cbranch_vccz .LBB206_1473
; %bb.1472:
	global_load_ubyte v6, v[0:1], off
	s_mov_b32 s2, 0x7f800000
	s_brev_b32 s3, 1
	s_movk_i32 s4, 0x7fff
	s_waitcnt vmcnt(0)
	v_lshlrev_b32_e32 v6, 24, v6
	v_and_b32_e32 v7, 0x7f000000, v6
	v_ffbh_u32_e32 v8, v7
	v_min_u32_e32 v8, 32, v8
	v_sub_u32_e64 v8, v8, 4 clamp
	v_lshlrev_b32_e32 v10, v8, v7
	v_lshlrev_b32_e32 v8, 23, v8
	v_lshrrev_b32_e32 v10, 4, v10
	v_add_u32_e32 v9, 0x1000000, v7
	v_sub_u32_e32 v8, v10, v8
	v_ashrrev_i32_e32 v9, 8, v9
	v_add_u32_e32 v8, 0x3c000000, v8
	v_and_or_b32 v8, v9, s2, v8
	v_cmp_ne_u32_e32 vcc, 0, v7
	v_cndmask_b32_e32 v7, 0, v8, vcc
	v_and_or_b32 v6, v6, s3, v7
	v_bfe_u32 v7, v7, 16, 1
	v_add3_u32 v7, v6, v7, s4
	v_cmp_o_f32_e32 vcc, v6, v6
	v_mov_b32_e32 v6, 0x7fc0
	v_cndmask_b32_sdwa v6, v6, v7, vcc dst_sel:DWORD dst_unused:UNUSED_PAD src0_sel:DWORD src1_sel:WORD_1
.LBB206_1473:
	s_mov_b64 s[2:3], 0
.LBB206_1474:
	s_andn2_b64 vcc, exec, s[2:3]
	s_cbranch_vccnz .LBB206_1476
; %bb.1475:
	global_load_ubyte v6, v[0:1], off
	s_movk_i32 s2, 0x7f00
	s_brev_b32 s3, 16
	s_brev_b32 s4, 1
	s_movk_i32 s5, 0x7fff
	s_waitcnt vmcnt(0)
	v_lshlrev_b16_e32 v7, 8, v6
	v_lshlrev_b32_e32 v6, 25, v6
	v_lshrrev_b32_e32 v8, 4, v6
	v_and_or_b32 v9, v7, s2, 0.5
	v_or_b32_e32 v8, 0x70000000, v8
	v_add_f32_e32 v9, -0.5, v9
	v_mul_f32_e32 v8, 0x7800000, v8
	v_cmp_gt_u32_e32 vcc, s3, v6
	v_bfe_i32 v7, v7, 0, 16
	v_cndmask_b32_e32 v6, v8, v9, vcc
	v_and_or_b32 v7, v7, s4, v6
	v_bfe_u32 v6, v6, 16, 1
	v_add3_u32 v6, v7, v6, s5
	v_cmp_o_f32_e32 vcc, v7, v7
	v_mov_b32_e32 v7, 0x7fc0
	v_cndmask_b32_sdwa v6, v7, v6, vcc dst_sel:DWORD dst_unused:UNUSED_PAD src0_sel:DWORD src1_sel:WORD_1
.LBB206_1476:
	s_mov_b64 s[2:3], 0
	s_mov_b64 s[4:5], -1
.LBB206_1477:
	s_andn2_b64 vcc, exec, s[2:3]
	s_mov_b64 s[2:3], 0
	s_cbranch_vccnz .LBB206_1488
; %bb.1478:
	s_cmp_gt_i32 s16, 14
	s_cbranch_scc0 .LBB206_1481
; %bb.1479:
	s_cmp_eq_u32 s16, 15
	s_cbranch_scc0 .LBB206_1484
; %bb.1480:
	global_load_ushort v6, v[0:1], off
	s_mov_b64 s[0:1], 0
	s_mov_b64 s[4:5], -1
	s_branch .LBB206_1485
.LBB206_1481:
	s_mov_b64 s[6:7], -1
                                        ; implicit-def: $vgpr6
	s_branch .LBB206_1486
.LBB206_1482:
	s_or_saveexec_b64 s[4:5], s[4:5]
	v_mov_b32_e32 v7, 0x7f800001
	s_xor_b64 exec, exec, s[4:5]
	s_cbranch_execz .LBB206_1463
.LBB206_1483:
	v_cmp_ne_u16_e32 vcc, 0, v6
	s_andn2_b64 s[2:3], s[2:3], exec
	s_and_b64 s[6:7], vcc, exec
	v_mov_b32_e32 v7, 0
	s_or_b64 s[2:3], s[2:3], s[6:7]
	s_or_b64 exec, exec, s[4:5]
	s_and_saveexec_b64 s[4:5], s[2:3]
	s_cbranch_execnz .LBB206_1464
	s_branch .LBB206_1465
.LBB206_1484:
	s_mov_b64 s[0:1], -1
                                        ; implicit-def: $vgpr6
.LBB206_1485:
	s_mov_b64 s[6:7], 0
.LBB206_1486:
	s_and_b64 vcc, exec, s[6:7]
	s_cbranch_vccz .LBB206_1488
; %bb.1487:
	s_cmp_lg_u32 s16, 11
	s_mov_b64 s[2:3], -1
	s_cselect_b64 s[0:1], -1, 0
.LBB206_1488:
	s_and_b64 vcc, exec, s[0:1]
	s_cbranch_vccnz .LBB206_2021
; %bb.1489:
	s_andn2_b64 vcc, exec, s[2:3]
	s_cbranch_vccnz .LBB206_1491
.LBB206_1490:
	global_load_ubyte v6, v[0:1], off
	s_mov_b64 s[4:5], -1
	s_waitcnt vmcnt(0)
	v_cmp_ne_u16_e32 vcc, 0, v6
	v_cndmask_b32_e64 v6, 0, 1.0, vcc
	v_lshrrev_b32_e32 v6, 16, v6
.LBB206_1491:
	s_mov_b64 s[0:1], 0
.LBB206_1492:
	s_and_b64 vcc, exec, s[0:1]
	s_cbranch_vccz .LBB206_1541
; %bb.1493:
	s_cmp_lt_i32 s16, 5
	s_cbranch_scc1 .LBB206_1498
; %bb.1494:
	s_cmp_lt_i32 s16, 8
	s_cbranch_scc1 .LBB206_1499
	;; [unrolled: 3-line block ×3, first 2 shown]
; %bb.1496:
	s_cmp_gt_i32 s16, 9
	s_cbranch_scc0 .LBB206_1501
; %bb.1497:
	global_load_dwordx2 v[6:7], v[0:1], off
	s_movk_i32 s0, 0x7fff
	s_waitcnt vmcnt(0)
	v_cvt_f32_f64_e32 v6, v[6:7]
	v_mov_b32_e32 v7, 0x7fc0
	v_bfe_u32 v8, v6, 16, 1
	v_cmp_o_f32_e32 vcc, v6, v6
	v_add3_u32 v6, v6, v8, s0
	v_cndmask_b32_sdwa v6, v7, v6, vcc dst_sel:DWORD dst_unused:UNUSED_PAD src0_sel:DWORD src1_sel:WORD_1
	s_mov_b64 s[0:1], 0
	s_branch .LBB206_1502
.LBB206_1498:
	s_mov_b64 s[0:1], -1
                                        ; implicit-def: $vgpr6
	s_branch .LBB206_1520
.LBB206_1499:
	s_mov_b64 s[0:1], -1
                                        ; implicit-def: $vgpr6
	s_branch .LBB206_1508
.LBB206_1500:
	s_mov_b64 s[0:1], -1
                                        ; implicit-def: $vgpr6
	s_branch .LBB206_1505
.LBB206_1501:
	s_mov_b64 s[0:1], -1
                                        ; implicit-def: $vgpr6
.LBB206_1502:
	s_andn2_b64 vcc, exec, s[0:1]
	s_cbranch_vccnz .LBB206_1504
; %bb.1503:
	global_load_dword v6, v[0:1], off
	s_movk_i32 s0, 0x7fff
	v_mov_b32_e32 v7, 0x7fc0
	s_waitcnt vmcnt(0)
	v_bfe_u32 v8, v6, 16, 1
	v_cmp_o_f32_e32 vcc, v6, v6
	v_add3_u32 v6, v6, v8, s0
	v_cndmask_b32_sdwa v6, v7, v6, vcc dst_sel:DWORD dst_unused:UNUSED_PAD src0_sel:DWORD src1_sel:WORD_1
.LBB206_1504:
	s_mov_b64 s[0:1], 0
.LBB206_1505:
	s_andn2_b64 vcc, exec, s[0:1]
	s_cbranch_vccnz .LBB206_1507
; %bb.1506:
	global_load_dword v6, v[0:1], off
	s_movk_i32 s0, 0x7fff
	v_mov_b32_e32 v8, 0x7fc0
	s_waitcnt vmcnt(0)
	v_cvt_f32_f16_e32 v7, v6
	v_cmp_o_f16_e32 vcc, v6, v6
	v_bfe_u32 v6, v7, 16, 1
	v_add3_u32 v6, v7, v6, s0
	v_cndmask_b32_sdwa v6, v8, v6, vcc dst_sel:DWORD dst_unused:UNUSED_PAD src0_sel:DWORD src1_sel:WORD_1
.LBB206_1507:
	s_mov_b64 s[0:1], 0
.LBB206_1508:
	s_andn2_b64 vcc, exec, s[0:1]
	s_cbranch_vccnz .LBB206_1519
; %bb.1509:
	s_cmp_lt_i32 s16, 6
	s_cbranch_scc1 .LBB206_1512
; %bb.1510:
	s_cmp_gt_i32 s16, 6
	s_cbranch_scc0 .LBB206_1513
; %bb.1511:
	global_load_dwordx2 v[6:7], v[0:1], off
	s_movk_i32 s0, 0x7fff
	s_waitcnt vmcnt(0)
	v_cvt_f32_f64_e32 v6, v[6:7]
	v_mov_b32_e32 v7, 0x7fc0
	v_bfe_u32 v8, v6, 16, 1
	v_cmp_o_f32_e32 vcc, v6, v6
	v_add3_u32 v6, v6, v8, s0
	v_cndmask_b32_sdwa v6, v7, v6, vcc dst_sel:DWORD dst_unused:UNUSED_PAD src0_sel:DWORD src1_sel:WORD_1
	s_mov_b64 s[0:1], 0
	s_branch .LBB206_1514
.LBB206_1512:
	s_mov_b64 s[0:1], -1
                                        ; implicit-def: $vgpr6
	s_branch .LBB206_1517
.LBB206_1513:
	s_mov_b64 s[0:1], -1
                                        ; implicit-def: $vgpr6
.LBB206_1514:
	s_andn2_b64 vcc, exec, s[0:1]
	s_cbranch_vccnz .LBB206_1516
; %bb.1515:
	global_load_dword v6, v[0:1], off
	s_movk_i32 s0, 0x7fff
	v_mov_b32_e32 v7, 0x7fc0
	s_waitcnt vmcnt(0)
	v_bfe_u32 v8, v6, 16, 1
	v_cmp_o_f32_e32 vcc, v6, v6
	v_add3_u32 v6, v6, v8, s0
	v_cndmask_b32_sdwa v6, v7, v6, vcc dst_sel:DWORD dst_unused:UNUSED_PAD src0_sel:DWORD src1_sel:WORD_1
.LBB206_1516:
	s_mov_b64 s[0:1], 0
.LBB206_1517:
	s_andn2_b64 vcc, exec, s[0:1]
	s_cbranch_vccnz .LBB206_1519
; %bb.1518:
	global_load_ushort v6, v[0:1], off
	s_movk_i32 s0, 0x7fff
	v_mov_b32_e32 v8, 0x7fc0
	s_waitcnt vmcnt(0)
	v_cvt_f32_f16_e32 v7, v6
	v_cmp_o_f16_e32 vcc, v6, v6
	v_bfe_u32 v6, v7, 16, 1
	v_add3_u32 v6, v7, v6, s0
	v_cndmask_b32_sdwa v6, v8, v6, vcc dst_sel:DWORD dst_unused:UNUSED_PAD src0_sel:DWORD src1_sel:WORD_1
.LBB206_1519:
	s_mov_b64 s[0:1], 0
.LBB206_1520:
	s_andn2_b64 vcc, exec, s[0:1]
	s_cbranch_vccnz .LBB206_1540
; %bb.1521:
	s_cmp_lt_i32 s16, 2
	s_cbranch_scc1 .LBB206_1525
; %bb.1522:
	s_cmp_lt_i32 s16, 3
	s_cbranch_scc1 .LBB206_1526
; %bb.1523:
	s_cmp_gt_i32 s16, 3
	s_cbranch_scc0 .LBB206_1527
; %bb.1524:
	global_load_dwordx2 v[6:7], v[0:1], off
	s_movk_i32 s0, 0x7fff
	s_waitcnt vmcnt(0)
	v_xor_b32_e32 v9, v6, v7
	v_ffbh_i32_e32 v8, v7
	v_ashrrev_i32_e32 v9, 31, v9
	v_add_u32_e32 v8, -1, v8
	v_add_u32_e32 v9, 32, v9
	v_min_u32_e32 v8, v8, v9
	v_lshlrev_b64 v[6:7], v8, v[6:7]
	v_min_u32_e32 v6, 1, v6
	v_or_b32_e32 v6, v7, v6
	v_cvt_f32_i32_e32 v6, v6
	v_sub_u32_e32 v7, 32, v8
	v_ldexp_f32 v6, v6, v7
	v_bfe_u32 v7, v6, 16, 1
	v_add3_u32 v6, v6, v7, s0
	v_lshrrev_b32_e32 v6, 16, v6
	s_mov_b64 s[0:1], 0
	s_branch .LBB206_1528
.LBB206_1525:
	s_mov_b64 s[0:1], -1
                                        ; implicit-def: $vgpr6
	s_branch .LBB206_1534
.LBB206_1526:
	s_mov_b64 s[0:1], -1
                                        ; implicit-def: $vgpr6
	s_branch .LBB206_1531
.LBB206_1527:
	s_mov_b64 s[0:1], -1
                                        ; implicit-def: $vgpr6
.LBB206_1528:
	s_andn2_b64 vcc, exec, s[0:1]
	s_cbranch_vccnz .LBB206_1530
; %bb.1529:
	global_load_dword v6, v[0:1], off
	s_movk_i32 s0, 0x7fff
	s_waitcnt vmcnt(0)
	v_cvt_f32_i32_e32 v6, v6
	v_bfe_u32 v7, v6, 16, 1
	v_add3_u32 v6, v6, v7, s0
	v_lshrrev_b32_e32 v6, 16, v6
.LBB206_1530:
	s_mov_b64 s[0:1], 0
.LBB206_1531:
	s_andn2_b64 vcc, exec, s[0:1]
	s_cbranch_vccnz .LBB206_1533
; %bb.1532:
	global_load_sshort v6, v[0:1], off
	s_movk_i32 s0, 0x7fff
	s_waitcnt vmcnt(0)
	v_cvt_f32_i32_e32 v6, v6
	v_bfe_u32 v7, v6, 16, 1
	v_add3_u32 v6, v6, v7, s0
	v_lshrrev_b32_e32 v6, 16, v6
.LBB206_1533:
	s_mov_b64 s[0:1], 0
.LBB206_1534:
	s_andn2_b64 vcc, exec, s[0:1]
	s_cbranch_vccnz .LBB206_1540
; %bb.1535:
	s_cmp_gt_i32 s16, 0
	s_cbranch_scc0 .LBB206_1537
; %bb.1536:
	global_load_sbyte v6, v[0:1], off
	s_movk_i32 s0, 0x7fff
	s_waitcnt vmcnt(0)
	v_cvt_f32_i32_e32 v6, v6
	v_bfe_u32 v7, v6, 16, 1
	v_add3_u32 v6, v6, v7, s0
	v_lshrrev_b32_e32 v6, 16, v6
	s_mov_b64 s[0:1], 0
	s_branch .LBB206_1538
.LBB206_1537:
	s_mov_b64 s[0:1], -1
                                        ; implicit-def: $vgpr6
.LBB206_1538:
	s_andn2_b64 vcc, exec, s[0:1]
	s_cbranch_vccnz .LBB206_1540
; %bb.1539:
	global_load_ubyte v0, v[0:1], off
	s_movk_i32 s0, 0x7fff
	s_waitcnt vmcnt(0)
	v_cvt_f32_ubyte0_e32 v0, v0
	v_bfe_u32 v1, v0, 16, 1
	v_add3_u32 v0, v0, v1, s0
	v_lshrrev_b32_e32 v6, 16, v0
.LBB206_1540:
	s_mov_b64 s[4:5], -1
.LBB206_1541:
	s_andn2_b64 vcc, exec, s[4:5]
	s_cbranch_vccnz .LBB206_1975
; %bb.1542:
	s_cmp_eq_u32 s14, 0
	s_cselect_b64 s[0:1], -1, 0
	s_lshl_b32 s25, s15, 16
	s_waitcnt vmcnt(0)
	v_lshlrev_b32_e32 v0, 16, v3
	v_cmp_eq_f32_e32 vcc, s25, v0
	v_cndmask_b32_e64 v1, 0, 1, vcc
	v_cmp_neq_f32_e32 vcc, s25, v0
	v_mul_lo_u32 v2, s12, v2
	v_cndmask_b32_e64 v0, 0, 1, vcc
	v_cndmask_b32_e64 v0, v0, v1, s[0:1]
	v_and_b32_e32 v0, 1, v0
	v_cmp_eq_u32_e64 s[2:3], 1, v0
	v_ashrrev_i32_e32 v1, 31, v2
	v_mov_b32_e32 v3, s9
	s_and_b32 s24, s17, 0xff
	v_add_co_u32_e32 v0, vcc, s8, v2
	s_cmp_lt_i32 s24, 11
	v_addc_co_u32_e32 v1, vcc, v3, v1, vcc
	s_cbranch_scc1 .LBB206_1620
; %bb.1543:
	s_and_b32 s13, 0xffff, s24
	s_mov_b64 s[14:15], -1
	s_mov_b64 s[6:7], 0
	s_cmp_gt_i32 s13, 25
	s_mov_b64 s[10:11], 0
	s_mov_b64 s[4:5], 0
	s_cbranch_scc0 .LBB206_1576
; %bb.1544:
	s_cmp_gt_i32 s13, 28
	s_cbranch_scc0 .LBB206_1559
; %bb.1545:
	s_cmp_gt_i32 s13, 43
	;; [unrolled: 3-line block ×3, first 2 shown]
	s_cbranch_scc0 .LBB206_1549
; %bb.1547:
	s_mov_b64 s[4:5], -1
	s_mov_b64 s[14:15], 0
	s_cmp_eq_u32 s13, 46
	s_cbranch_scc0 .LBB206_1549
; %bb.1548:
	v_cndmask_b32_e64 v3, 0, 1.0, s[2:3]
	v_bfe_u32 v7, v3, 16, 1
	s_movk_i32 s4, 0x7fff
	v_add3_u32 v3, v3, v7, s4
	v_lshrrev_b32_e32 v3, 16, v3
	global_store_dword v[0:1], v3, off
	s_mov_b64 s[4:5], 0
	s_mov_b64 s[10:11], -1
.LBB206_1549:
	s_and_b64 vcc, exec, s[14:15]
	s_cbranch_vccz .LBB206_1554
; %bb.1550:
	s_cmp_eq_u32 s13, 44
	s_mov_b64 s[4:5], -1
	s_cbranch_scc0 .LBB206_1554
; %bb.1551:
	v_cndmask_b32_e64 v7, 0, 1.0, s[2:3]
	v_lshrrev_b32_e32 v3, 23, v7
	s_movk_i32 s4, 0xff
	v_cmp_ne_u32_e32 vcc, s4, v3
	v_mov_b32_e32 v8, 0xff
	s_and_saveexec_b64 s[10:11], vcc
; %bb.1552:
	s_mov_b32 s4, 0x3fffff
	v_and_b32_e32 v8, 0x400000, v7
	v_and_or_b32 v7, v7, s4, v3
	v_cmp_ne_u32_e32 vcc, 0, v8
	v_cmp_ne_u32_e64 s[4:5], 0, v7
	s_and_b64 s[4:5], vcc, s[4:5]
	v_cndmask_b32_e64 v7, 0, 1, s[4:5]
	v_add_u32_e32 v8, v3, v7
; %bb.1553:
	s_or_b64 exec, exec, s[10:11]
	s_mov_b64 s[4:5], 0
	s_mov_b64 s[10:11], -1
	global_store_byte v[0:1], v8, off
.LBB206_1554:
	s_mov_b64 s[14:15], 0
.LBB206_1555:
	s_and_b64 vcc, exec, s[14:15]
	s_cbranch_vccz .LBB206_1558
; %bb.1556:
	s_cmp_eq_u32 s13, 29
	s_mov_b64 s[4:5], -1
	s_cbranch_scc0 .LBB206_1558
; %bb.1557:
	s_mov_b32 s4, 0
	v_cndmask_b32_e64 v7, 0, 1, s[2:3]
	v_mov_b32_e32 v8, s4
	global_store_dwordx2 v[0:1], v[7:8], off
	s_mov_b64 s[4:5], 0
	s_mov_b64 s[10:11], -1
.LBB206_1558:
	s_mov_b64 s[14:15], 0
.LBB206_1559:
	s_and_b64 vcc, exec, s[14:15]
	s_cbranch_vccz .LBB206_1575
; %bb.1560:
	s_cmp_lt_i32 s13, 27
	s_mov_b64 s[10:11], -1
	s_cbranch_scc1 .LBB206_1566
; %bb.1561:
	s_cmp_gt_i32 s13, 27
	s_cbranch_scc0 .LBB206_1563
; %bb.1562:
	v_cndmask_b32_e64 v3, 0, 1, s[2:3]
	s_mov_b64 s[10:11], 0
	global_store_dword v[0:1], v3, off
.LBB206_1563:
	s_andn2_b64 vcc, exec, s[10:11]
	s_cbranch_vccnz .LBB206_1565
; %bb.1564:
	v_cndmask_b32_e64 v3, 0, 1, s[2:3]
	global_store_short v[0:1], v3, off
.LBB206_1565:
	s_mov_b64 s[10:11], 0
.LBB206_1566:
	s_andn2_b64 vcc, exec, s[10:11]
	s_cbranch_vccnz .LBB206_1574
; %bb.1567:
	v_cndmask_b32_e64 v7, 0, 1.0, s[2:3]
	s_mov_b32 s10, 0x43800000
	v_cmp_gt_u32_e32 vcc, s10, v7
	v_mov_b32_e32 v8, 0x80
	s_and_saveexec_b64 s[10:11], vcc
	s_cbranch_execz .LBB206_1573
; %bb.1568:
	s_mov_b32 s14, 0x3bffffff
	v_cmp_lt_u32_e32 vcc, s14, v7
	s_mov_b64 s[14:15], 0
                                        ; implicit-def: $vgpr3
	s_and_saveexec_b64 s[16:17], vcc
	s_xor_b64 s[16:17], exec, s[16:17]
	s_cbranch_execz .LBB206_2022
; %bb.1569:
	v_bfe_u32 v3, v7, 20, 1
	s_mov_b32 s26, 0x487ffff
	v_add3_u32 v3, v7, v3, s26
	s_mov_b64 s[14:15], exec
	v_lshrrev_b32_e32 v3, 20, v3
                                        ; implicit-def: $vgpr7
	s_andn2_saveexec_b64 s[16:17], s[16:17]
	s_cbranch_execnz .LBB206_2023
.LBB206_1570:
	s_or_b64 exec, exec, s[16:17]
	v_mov_b32_e32 v8, 0
	s_and_saveexec_b64 s[16:17], s[14:15]
.LBB206_1571:
	v_mov_b32_e32 v8, v3
.LBB206_1572:
	s_or_b64 exec, exec, s[16:17]
.LBB206_1573:
	s_or_b64 exec, exec, s[10:11]
	global_store_byte v[0:1], v8, off
.LBB206_1574:
	s_mov_b64 s[10:11], -1
.LBB206_1575:
	s_mov_b64 s[14:15], 0
.LBB206_1576:
	s_and_b64 vcc, exec, s[14:15]
	s_cbranch_vccz .LBB206_1616
; %bb.1577:
	s_cmp_gt_i32 s13, 22
	s_mov_b64 s[6:7], -1
	s_cbranch_scc0 .LBB206_1609
; %bb.1578:
	s_cmp_lt_i32 s13, 24
	s_cbranch_scc1 .LBB206_1598
; %bb.1579:
	s_cmp_gt_i32 s13, 24
	s_cbranch_scc0 .LBB206_1587
; %bb.1580:
	v_cndmask_b32_e64 v7, 0, 1.0, s[2:3]
	s_mov_b32 s6, 0x47800000
	v_cmp_gt_u32_e32 vcc, s6, v7
	v_mov_b32_e32 v8, 0x80
	s_and_saveexec_b64 s[6:7], vcc
	s_cbranch_execz .LBB206_1586
; %bb.1581:
	s_mov_b32 s10, 0x37ffffff
	v_cmp_lt_u32_e32 vcc, s10, v7
	s_mov_b64 s[10:11], 0
                                        ; implicit-def: $vgpr3
	s_and_saveexec_b64 s[14:15], vcc
	s_xor_b64 s[14:15], exec, s[14:15]
	s_cbranch_execz .LBB206_2025
; %bb.1582:
	v_bfe_u32 v3, v7, 21, 1
	s_mov_b32 s16, 0x88fffff
	v_add3_u32 v3, v7, v3, s16
	s_mov_b64 s[10:11], exec
	v_lshrrev_b32_e32 v3, 21, v3
                                        ; implicit-def: $vgpr7
	s_andn2_saveexec_b64 s[14:15], s[14:15]
	s_cbranch_execnz .LBB206_2026
.LBB206_1583:
	s_or_b64 exec, exec, s[14:15]
	v_mov_b32_e32 v8, 0
	s_and_saveexec_b64 s[14:15], s[10:11]
.LBB206_1584:
	v_mov_b32_e32 v8, v3
.LBB206_1585:
	s_or_b64 exec, exec, s[14:15]
.LBB206_1586:
	s_or_b64 exec, exec, s[6:7]
	s_mov_b64 s[6:7], 0
	global_store_byte v[0:1], v8, off
.LBB206_1587:
	s_and_b64 vcc, exec, s[6:7]
	s_cbranch_vccz .LBB206_1597
; %bb.1588:
	v_cndmask_b32_e64 v3, 0, 1.0, s[2:3]
	s_mov_b32 s6, 0x43f00000
	v_cmp_gt_u32_e32 vcc, s6, v3
                                        ; implicit-def: $vgpr7
	s_and_saveexec_b64 s[6:7], vcc
	s_xor_b64 s[6:7], exec, s[6:7]
	s_cbranch_execz .LBB206_1594
; %bb.1589:
	s_mov_b32 s10, 0x3c7fffff
	v_cmp_lt_u32_e32 vcc, s10, v3
                                        ; implicit-def: $vgpr7
	s_and_saveexec_b64 s[10:11], vcc
	s_xor_b64 s[10:11], exec, s[10:11]
; %bb.1590:
	v_bfe_u32 v7, v3, 20, 1
	s_mov_b32 s14, 0x407ffff
	v_add3_u32 v3, v3, v7, s14
	v_lshrrev_b32_e32 v7, 20, v3
	v_and_b32_e32 v3, 0xff00000, v3
	s_mov_b32 s14, 0x7f00000
	v_mov_b32_e32 v8, 0x7e
	v_cmp_ne_u32_e32 vcc, s14, v3
	v_cndmask_b32_e32 v7, v8, v7, vcc
                                        ; implicit-def: $vgpr3
; %bb.1591:
	s_andn2_saveexec_b64 s[10:11], s[10:11]
; %bb.1592:
	v_add_f32_e32 v7, 0x46800000, v3
; %bb.1593:
	s_or_b64 exec, exec, s[10:11]
                                        ; implicit-def: $vgpr3
.LBB206_1594:
	s_andn2_saveexec_b64 s[6:7], s[6:7]
; %bb.1595:
	s_mov_b32 s10, 0x7f800000
	v_mov_b32_e32 v7, 0x7e
	v_mov_b32_e32 v8, 0x7f
	v_cmp_lt_u32_e32 vcc, s10, v3
	v_cndmask_b32_e32 v7, v7, v8, vcc
; %bb.1596:
	s_or_b64 exec, exec, s[6:7]
	global_store_byte v[0:1], v7, off
.LBB206_1597:
	s_mov_b64 s[6:7], 0
.LBB206_1598:
	s_andn2_b64 vcc, exec, s[6:7]
	s_cbranch_vccnz .LBB206_1608
; %bb.1599:
	v_cndmask_b32_e64 v3, 0, 1.0, s[2:3]
	s_mov_b32 s6, 0x47800000
	v_cmp_gt_u32_e32 vcc, s6, v3
                                        ; implicit-def: $vgpr7
	s_and_saveexec_b64 s[6:7], vcc
	s_xor_b64 s[6:7], exec, s[6:7]
	s_cbranch_execz .LBB206_1605
; %bb.1600:
	s_mov_b32 s10, 0x387fffff
	v_cmp_lt_u32_e32 vcc, s10, v3
                                        ; implicit-def: $vgpr7
	s_and_saveexec_b64 s[10:11], vcc
	s_xor_b64 s[10:11], exec, s[10:11]
; %bb.1601:
	v_bfe_u32 v7, v3, 21, 1
	s_mov_b32 s14, 0x80fffff
	v_add3_u32 v3, v3, v7, s14
	v_lshrrev_b32_e32 v7, 21, v3
                                        ; implicit-def: $vgpr3
; %bb.1602:
	s_andn2_saveexec_b64 s[10:11], s[10:11]
; %bb.1603:
	v_add_f32_e32 v7, 0x43000000, v3
; %bb.1604:
	s_or_b64 exec, exec, s[10:11]
                                        ; implicit-def: $vgpr3
.LBB206_1605:
	s_andn2_saveexec_b64 s[6:7], s[6:7]
; %bb.1606:
	s_mov_b32 s10, 0x7f800000
	v_mov_b32_e32 v7, 0x7c
	v_mov_b32_e32 v8, 0x7f
	v_cmp_lt_u32_e32 vcc, s10, v3
	v_cndmask_b32_e32 v7, v7, v8, vcc
; %bb.1607:
	s_or_b64 exec, exec, s[6:7]
	global_store_byte v[0:1], v7, off
.LBB206_1608:
	s_mov_b64 s[6:7], 0
	s_mov_b64 s[10:11], -1
.LBB206_1609:
	s_andn2_b64 vcc, exec, s[6:7]
	s_mov_b64 s[6:7], 0
	s_cbranch_vccnz .LBB206_1616
; %bb.1610:
	s_cmp_gt_i32 s13, 14
	s_mov_b64 s[14:15], -1
	s_cbranch_scc0 .LBB206_1614
; %bb.1611:
	s_cmp_eq_u32 s13, 15
	s_mov_b64 s[4:5], -1
	s_cbranch_scc0 .LBB206_1613
; %bb.1612:
	v_cndmask_b32_e64 v3, 0, 1.0, s[2:3]
	v_bfe_u32 v7, v3, 16, 1
	s_movk_i32 s4, 0x7fff
	v_add3_u32 v3, v3, v7, s4
	global_store_short_d16_hi v[0:1], v3, off
	s_mov_b64 s[4:5], 0
	s_mov_b64 s[10:11], -1
.LBB206_1613:
	s_mov_b64 s[14:15], 0
.LBB206_1614:
	s_and_b64 vcc, exec, s[14:15]
	s_cbranch_vccz .LBB206_1616
; %bb.1615:
	s_cmp_lg_u32 s13, 11
	s_mov_b64 s[6:7], -1
	s_cselect_b64 s[4:5], -1, 0
.LBB206_1616:
	s_and_b64 vcc, exec, s[4:5]
	s_cbranch_vccnz .LBB206_2024
; %bb.1617:
	s_andn2_b64 vcc, exec, s[6:7]
	s_cbranch_vccnz .LBB206_1619
.LBB206_1618:
	v_cndmask_b32_e64 v3, 0, 1, s[2:3]
	s_mov_b64 s[10:11], -1
	global_store_byte v[0:1], v3, off
.LBB206_1619:
	s_mov_b64 s[4:5], 0
	s_branch .LBB206_1621
.LBB206_1620:
	s_mov_b64 s[4:5], -1
	s_mov_b64 s[10:11], 0
.LBB206_1621:
	s_and_b64 vcc, exec, s[4:5]
	s_cbranch_vccz .LBB206_1660
; %bb.1622:
	s_and_b32 s6, 0xffff, s24
	s_cmp_lt_i32 s6, 5
	s_mov_b64 s[4:5], -1
	s_cbranch_scc1 .LBB206_1643
; %bb.1623:
	s_cmp_lt_i32 s6, 8
	s_cbranch_scc1 .LBB206_1633
; %bb.1624:
	s_cmp_lt_i32 s6, 9
	s_cbranch_scc1 .LBB206_1630
; %bb.1625:
	s_cmp_gt_i32 s6, 9
	s_cbranch_scc0 .LBB206_1627
; %bb.1626:
	v_cndmask_b32_e64 v3, 0, 1, s[2:3]
	v_cvt_f64_u32_e32 v[7:8], v3
	v_mov_b32_e32 v9, 0
	v_mov_b32_e32 v10, v9
	s_mov_b64 s[4:5], 0
	global_store_dwordx4 v[0:1], v[7:10], off
.LBB206_1627:
	s_andn2_b64 vcc, exec, s[4:5]
	s_cbranch_vccnz .LBB206_1629
; %bb.1628:
	v_cndmask_b32_e64 v7, 0, 1.0, s[2:3]
	v_mov_b32_e32 v8, 0
	global_store_dwordx2 v[0:1], v[7:8], off
.LBB206_1629:
	s_mov_b64 s[4:5], 0
.LBB206_1630:
	s_andn2_b64 vcc, exec, s[4:5]
	s_cbranch_vccnz .LBB206_1632
; %bb.1631:
	v_cndmask_b32_e64 v3, 0, 1.0, s[2:3]
	v_cvt_f16_f32_e32 v3, v3
	global_store_dword v[0:1], v3, off
.LBB206_1632:
	s_mov_b64 s[4:5], 0
.LBB206_1633:
	s_andn2_b64 vcc, exec, s[4:5]
	s_cbranch_vccnz .LBB206_1642
; %bb.1634:
	s_cmp_lt_i32 s6, 6
	s_mov_b64 s[4:5], -1
	s_cbranch_scc1 .LBB206_1640
; %bb.1635:
	s_cmp_gt_i32 s6, 6
	s_cbranch_scc0 .LBB206_1637
; %bb.1636:
	v_cndmask_b32_e64 v3, 0, 1, s[2:3]
	v_cvt_f64_u32_e32 v[7:8], v3
	s_mov_b64 s[4:5], 0
	global_store_dwordx2 v[0:1], v[7:8], off
.LBB206_1637:
	s_andn2_b64 vcc, exec, s[4:5]
	s_cbranch_vccnz .LBB206_1639
; %bb.1638:
	v_cndmask_b32_e64 v3, 0, 1.0, s[2:3]
	global_store_dword v[0:1], v3, off
.LBB206_1639:
	s_mov_b64 s[4:5], 0
.LBB206_1640:
	s_andn2_b64 vcc, exec, s[4:5]
	s_cbranch_vccnz .LBB206_1642
; %bb.1641:
	v_cndmask_b32_e64 v3, 0, 1.0, s[2:3]
	v_cvt_f16_f32_e32 v3, v3
	global_store_short v[0:1], v3, off
.LBB206_1642:
	s_mov_b64 s[4:5], 0
.LBB206_1643:
	s_andn2_b64 vcc, exec, s[4:5]
	s_cbranch_vccnz .LBB206_1659
; %bb.1644:
	s_cmp_lt_i32 s6, 2
	s_mov_b64 s[4:5], -1
	s_cbranch_scc1 .LBB206_1654
; %bb.1645:
	s_cmp_lt_i32 s6, 3
	s_cbranch_scc1 .LBB206_1651
; %bb.1646:
	s_cmp_gt_i32 s6, 3
	s_cbranch_scc0 .LBB206_1648
; %bb.1647:
	s_mov_b32 s4, 0
	v_cndmask_b32_e64 v7, 0, 1, s[2:3]
	v_mov_b32_e32 v8, s4
	global_store_dwordx2 v[0:1], v[7:8], off
	s_mov_b64 s[4:5], 0
.LBB206_1648:
	s_andn2_b64 vcc, exec, s[4:5]
	s_cbranch_vccnz .LBB206_1650
; %bb.1649:
	v_cndmask_b32_e64 v3, 0, 1, s[2:3]
	global_store_dword v[0:1], v3, off
.LBB206_1650:
	s_mov_b64 s[4:5], 0
.LBB206_1651:
	s_andn2_b64 vcc, exec, s[4:5]
	s_cbranch_vccnz .LBB206_1653
; %bb.1652:
	v_cndmask_b32_e64 v3, 0, 1, s[2:3]
	global_store_short v[0:1], v3, off
.LBB206_1653:
	s_mov_b64 s[4:5], 0
.LBB206_1654:
	s_andn2_b64 vcc, exec, s[4:5]
	s_cbranch_vccnz .LBB206_1659
; %bb.1655:
	s_mov_b64 s[4:5], -1
	s_cmp_gt_i32 s6, 0
	v_cndmask_b32_e64 v3, 0, 1, s[2:3]
	s_cbranch_scc0 .LBB206_1657
; %bb.1656:
	global_store_byte v[0:1], v3, off
	s_mov_b64 s[4:5], 0
.LBB206_1657:
	s_andn2_b64 vcc, exec, s[4:5]
	s_cbranch_vccnz .LBB206_1659
; %bb.1658:
	global_store_byte v[0:1], v3, off
.LBB206_1659:
	s_mov_b64 s[10:11], -1
.LBB206_1660:
	s_andn2_b64 vcc, exec, s[10:11]
	s_cbranch_vccnz .LBB206_1975
; %bb.1661:
	v_lshlrev_b32_e32 v0, 16, v4
	v_cmp_eq_f32_e32 vcc, s25, v0
	v_cndmask_b32_e64 v1, 0, 1, vcc
	v_cmp_neq_f32_e32 vcc, s25, v0
	v_cndmask_b32_e64 v0, 0, 1, vcc
	v_cndmask_b32_e64 v0, v0, v1, s[0:1]
	s_lshl_b32 s16, s12, 7
	v_and_b32_e32 v0, 1, v0
	v_add_u32_e32 v2, s16, v2
	v_cmp_eq_u32_e64 s[2:3], 1, v0
	v_ashrrev_i32_e32 v1, 31, v2
	v_mov_b32_e32 v3, s9
	v_add_co_u32_e32 v0, vcc, s8, v2
	s_cmp_lt_i32 s24, 11
	v_addc_co_u32_e32 v1, vcc, v3, v1, vcc
	s_cbranch_scc1 .LBB206_1739
; %bb.1662:
	s_and_b32 s17, 0xffff, s24
	s_mov_b64 s[12:13], -1
	s_mov_b64 s[6:7], 0
	s_cmp_gt_i32 s17, 25
	s_mov_b64 s[10:11], 0
	s_mov_b64 s[4:5], 0
	s_cbranch_scc0 .LBB206_1695
; %bb.1663:
	s_cmp_gt_i32 s17, 28
	s_cbranch_scc0 .LBB206_1678
; %bb.1664:
	s_cmp_gt_i32 s17, 43
	;; [unrolled: 3-line block ×3, first 2 shown]
	s_cbranch_scc0 .LBB206_1668
; %bb.1666:
	s_mov_b64 s[4:5], -1
	s_mov_b64 s[12:13], 0
	s_cmp_eq_u32 s17, 46
	s_cbranch_scc0 .LBB206_1668
; %bb.1667:
	v_cndmask_b32_e64 v3, 0, 1.0, s[2:3]
	v_bfe_u32 v4, v3, 16, 1
	s_movk_i32 s4, 0x7fff
	v_add3_u32 v3, v3, v4, s4
	v_lshrrev_b32_e32 v3, 16, v3
	global_store_dword v[0:1], v3, off
	s_mov_b64 s[4:5], 0
	s_mov_b64 s[10:11], -1
.LBB206_1668:
	s_and_b64 vcc, exec, s[12:13]
	s_cbranch_vccz .LBB206_1673
; %bb.1669:
	s_cmp_eq_u32 s17, 44
	s_mov_b64 s[4:5], -1
	s_cbranch_scc0 .LBB206_1673
; %bb.1670:
	v_cndmask_b32_e64 v4, 0, 1.0, s[2:3]
	v_lshrrev_b32_e32 v3, 23, v4
	s_movk_i32 s4, 0xff
	v_cmp_ne_u32_e32 vcc, s4, v3
	v_mov_b32_e32 v7, 0xff
	s_and_saveexec_b64 s[10:11], vcc
; %bb.1671:
	s_mov_b32 s4, 0x3fffff
	v_and_b32_e32 v7, 0x400000, v4
	v_and_or_b32 v4, v4, s4, v3
	v_cmp_ne_u32_e32 vcc, 0, v7
	v_cmp_ne_u32_e64 s[4:5], 0, v4
	s_and_b64 s[4:5], vcc, s[4:5]
	v_cndmask_b32_e64 v4, 0, 1, s[4:5]
	v_add_u32_e32 v7, v3, v4
; %bb.1672:
	s_or_b64 exec, exec, s[10:11]
	s_mov_b64 s[4:5], 0
	s_mov_b64 s[10:11], -1
	global_store_byte v[0:1], v7, off
.LBB206_1673:
	s_mov_b64 s[12:13], 0
.LBB206_1674:
	s_and_b64 vcc, exec, s[12:13]
	s_cbranch_vccz .LBB206_1677
; %bb.1675:
	s_cmp_eq_u32 s17, 29
	s_mov_b64 s[4:5], -1
	s_cbranch_scc0 .LBB206_1677
; %bb.1676:
	s_mov_b32 s4, 0
	v_cndmask_b32_e64 v3, 0, 1, s[2:3]
	v_mov_b32_e32 v4, s4
	global_store_dwordx2 v[0:1], v[3:4], off
	s_mov_b64 s[4:5], 0
	s_mov_b64 s[10:11], -1
.LBB206_1677:
	s_mov_b64 s[12:13], 0
.LBB206_1678:
	s_and_b64 vcc, exec, s[12:13]
	s_cbranch_vccz .LBB206_1694
; %bb.1679:
	s_cmp_lt_i32 s17, 27
	s_mov_b64 s[10:11], -1
	s_cbranch_scc1 .LBB206_1685
; %bb.1680:
	s_cmp_gt_i32 s17, 27
	s_cbranch_scc0 .LBB206_1682
; %bb.1681:
	v_cndmask_b32_e64 v3, 0, 1, s[2:3]
	s_mov_b64 s[10:11], 0
	global_store_dword v[0:1], v3, off
.LBB206_1682:
	s_andn2_b64 vcc, exec, s[10:11]
	s_cbranch_vccnz .LBB206_1684
; %bb.1683:
	v_cndmask_b32_e64 v3, 0, 1, s[2:3]
	global_store_short v[0:1], v3, off
.LBB206_1684:
	s_mov_b64 s[10:11], 0
.LBB206_1685:
	s_andn2_b64 vcc, exec, s[10:11]
	s_cbranch_vccnz .LBB206_1693
; %bb.1686:
	v_cndmask_b32_e64 v4, 0, 1.0, s[2:3]
	s_mov_b32 s10, 0x43800000
	v_cmp_gt_u32_e32 vcc, s10, v4
	v_mov_b32_e32 v7, 0x80
	s_and_saveexec_b64 s[10:11], vcc
	s_cbranch_execz .LBB206_1692
; %bb.1687:
	s_mov_b32 s12, 0x3bffffff
	v_cmp_lt_u32_e32 vcc, s12, v4
	s_mov_b64 s[12:13], 0
                                        ; implicit-def: $vgpr3
	s_and_saveexec_b64 s[14:15], vcc
	s_xor_b64 s[14:15], exec, s[14:15]
	s_cbranch_execz .LBB206_2027
; %bb.1688:
	v_bfe_u32 v3, v4, 20, 1
	s_mov_b32 s26, 0x487ffff
	v_add3_u32 v3, v4, v3, s26
	s_mov_b64 s[12:13], exec
	v_lshrrev_b32_e32 v3, 20, v3
                                        ; implicit-def: $vgpr4
	s_andn2_saveexec_b64 s[14:15], s[14:15]
	s_cbranch_execnz .LBB206_2028
.LBB206_1689:
	s_or_b64 exec, exec, s[14:15]
	v_mov_b32_e32 v7, 0
	s_and_saveexec_b64 s[14:15], s[12:13]
.LBB206_1690:
	v_mov_b32_e32 v7, v3
.LBB206_1691:
	s_or_b64 exec, exec, s[14:15]
.LBB206_1692:
	s_or_b64 exec, exec, s[10:11]
	global_store_byte v[0:1], v7, off
.LBB206_1693:
	s_mov_b64 s[10:11], -1
.LBB206_1694:
	s_mov_b64 s[12:13], 0
.LBB206_1695:
	s_and_b64 vcc, exec, s[12:13]
	s_cbranch_vccz .LBB206_1735
; %bb.1696:
	s_cmp_gt_i32 s17, 22
	s_mov_b64 s[6:7], -1
	s_cbranch_scc0 .LBB206_1728
; %bb.1697:
	s_cmp_lt_i32 s17, 24
	s_cbranch_scc1 .LBB206_1717
; %bb.1698:
	s_cmp_gt_i32 s17, 24
	s_cbranch_scc0 .LBB206_1706
; %bb.1699:
	v_cndmask_b32_e64 v4, 0, 1.0, s[2:3]
	s_mov_b32 s6, 0x47800000
	v_cmp_gt_u32_e32 vcc, s6, v4
	v_mov_b32_e32 v7, 0x80
	s_and_saveexec_b64 s[6:7], vcc
	s_cbranch_execz .LBB206_1705
; %bb.1700:
	s_mov_b32 s10, 0x37ffffff
	v_cmp_lt_u32_e32 vcc, s10, v4
	s_mov_b64 s[10:11], 0
                                        ; implicit-def: $vgpr3
	s_and_saveexec_b64 s[12:13], vcc
	s_xor_b64 s[12:13], exec, s[12:13]
	s_cbranch_execz .LBB206_2030
; %bb.1701:
	v_bfe_u32 v3, v4, 21, 1
	s_mov_b32 s14, 0x88fffff
	v_add3_u32 v3, v4, v3, s14
	s_mov_b64 s[10:11], exec
	v_lshrrev_b32_e32 v3, 21, v3
                                        ; implicit-def: $vgpr4
	s_andn2_saveexec_b64 s[12:13], s[12:13]
	s_cbranch_execnz .LBB206_2031
.LBB206_1702:
	s_or_b64 exec, exec, s[12:13]
	v_mov_b32_e32 v7, 0
	s_and_saveexec_b64 s[12:13], s[10:11]
.LBB206_1703:
	v_mov_b32_e32 v7, v3
.LBB206_1704:
	s_or_b64 exec, exec, s[12:13]
.LBB206_1705:
	s_or_b64 exec, exec, s[6:7]
	s_mov_b64 s[6:7], 0
	global_store_byte v[0:1], v7, off
.LBB206_1706:
	s_and_b64 vcc, exec, s[6:7]
	s_cbranch_vccz .LBB206_1716
; %bb.1707:
	v_cndmask_b32_e64 v3, 0, 1.0, s[2:3]
	s_mov_b32 s6, 0x43f00000
	v_cmp_gt_u32_e32 vcc, s6, v3
                                        ; implicit-def: $vgpr4
	s_and_saveexec_b64 s[6:7], vcc
	s_xor_b64 s[6:7], exec, s[6:7]
	s_cbranch_execz .LBB206_1713
; %bb.1708:
	s_mov_b32 s10, 0x3c7fffff
	v_cmp_lt_u32_e32 vcc, s10, v3
                                        ; implicit-def: $vgpr4
	s_and_saveexec_b64 s[10:11], vcc
	s_xor_b64 s[10:11], exec, s[10:11]
; %bb.1709:
	v_bfe_u32 v4, v3, 20, 1
	s_mov_b32 s12, 0x407ffff
	v_add3_u32 v3, v3, v4, s12
	v_lshrrev_b32_e32 v4, 20, v3
	v_and_b32_e32 v3, 0xff00000, v3
	s_mov_b32 s12, 0x7f00000
	v_mov_b32_e32 v7, 0x7e
	v_cmp_ne_u32_e32 vcc, s12, v3
	v_cndmask_b32_e32 v4, v7, v4, vcc
                                        ; implicit-def: $vgpr3
; %bb.1710:
	s_andn2_saveexec_b64 s[10:11], s[10:11]
; %bb.1711:
	v_add_f32_e32 v4, 0x46800000, v3
; %bb.1712:
	s_or_b64 exec, exec, s[10:11]
                                        ; implicit-def: $vgpr3
.LBB206_1713:
	s_andn2_saveexec_b64 s[6:7], s[6:7]
; %bb.1714:
	s_mov_b32 s10, 0x7f800000
	v_mov_b32_e32 v4, 0x7e
	v_mov_b32_e32 v7, 0x7f
	v_cmp_lt_u32_e32 vcc, s10, v3
	v_cndmask_b32_e32 v4, v4, v7, vcc
; %bb.1715:
	s_or_b64 exec, exec, s[6:7]
	global_store_byte v[0:1], v4, off
.LBB206_1716:
	s_mov_b64 s[6:7], 0
.LBB206_1717:
	s_andn2_b64 vcc, exec, s[6:7]
	s_cbranch_vccnz .LBB206_1727
; %bb.1718:
	v_cndmask_b32_e64 v3, 0, 1.0, s[2:3]
	s_mov_b32 s6, 0x47800000
	v_cmp_gt_u32_e32 vcc, s6, v3
                                        ; implicit-def: $vgpr4
	s_and_saveexec_b64 s[6:7], vcc
	s_xor_b64 s[6:7], exec, s[6:7]
	s_cbranch_execz .LBB206_1724
; %bb.1719:
	s_mov_b32 s10, 0x387fffff
	v_cmp_lt_u32_e32 vcc, s10, v3
                                        ; implicit-def: $vgpr4
	s_and_saveexec_b64 s[10:11], vcc
	s_xor_b64 s[10:11], exec, s[10:11]
; %bb.1720:
	v_bfe_u32 v4, v3, 21, 1
	s_mov_b32 s12, 0x80fffff
	v_add3_u32 v3, v3, v4, s12
	v_lshrrev_b32_e32 v4, 21, v3
                                        ; implicit-def: $vgpr3
; %bb.1721:
	s_andn2_saveexec_b64 s[10:11], s[10:11]
; %bb.1722:
	v_add_f32_e32 v4, 0x43000000, v3
; %bb.1723:
	s_or_b64 exec, exec, s[10:11]
                                        ; implicit-def: $vgpr3
.LBB206_1724:
	s_andn2_saveexec_b64 s[6:7], s[6:7]
; %bb.1725:
	s_mov_b32 s10, 0x7f800000
	v_mov_b32_e32 v4, 0x7c
	v_mov_b32_e32 v7, 0x7f
	v_cmp_lt_u32_e32 vcc, s10, v3
	v_cndmask_b32_e32 v4, v4, v7, vcc
; %bb.1726:
	s_or_b64 exec, exec, s[6:7]
	global_store_byte v[0:1], v4, off
.LBB206_1727:
	s_mov_b64 s[6:7], 0
	s_mov_b64 s[10:11], -1
.LBB206_1728:
	s_andn2_b64 vcc, exec, s[6:7]
	s_mov_b64 s[6:7], 0
	s_cbranch_vccnz .LBB206_1735
; %bb.1729:
	s_cmp_gt_i32 s17, 14
	s_mov_b64 s[12:13], -1
	s_cbranch_scc0 .LBB206_1733
; %bb.1730:
	s_cmp_eq_u32 s17, 15
	s_mov_b64 s[4:5], -1
	s_cbranch_scc0 .LBB206_1732
; %bb.1731:
	v_cndmask_b32_e64 v3, 0, 1.0, s[2:3]
	v_bfe_u32 v4, v3, 16, 1
	s_movk_i32 s4, 0x7fff
	v_add3_u32 v3, v3, v4, s4
	global_store_short_d16_hi v[0:1], v3, off
	s_mov_b64 s[4:5], 0
	s_mov_b64 s[10:11], -1
.LBB206_1732:
	s_mov_b64 s[12:13], 0
.LBB206_1733:
	s_and_b64 vcc, exec, s[12:13]
	s_cbranch_vccz .LBB206_1735
; %bb.1734:
	s_cmp_lg_u32 s17, 11
	s_mov_b64 s[6:7], -1
	s_cselect_b64 s[4:5], -1, 0
.LBB206_1735:
	s_and_b64 vcc, exec, s[4:5]
	s_cbranch_vccnz .LBB206_2029
; %bb.1736:
	s_andn2_b64 vcc, exec, s[6:7]
	s_cbranch_vccnz .LBB206_1738
.LBB206_1737:
	v_cndmask_b32_e64 v3, 0, 1, s[2:3]
	s_mov_b64 s[10:11], -1
	global_store_byte v[0:1], v3, off
.LBB206_1738:
	s_mov_b64 s[4:5], 0
	s_branch .LBB206_1740
.LBB206_1739:
	s_mov_b64 s[4:5], -1
	s_mov_b64 s[10:11], 0
.LBB206_1740:
	s_and_b64 vcc, exec, s[4:5]
	s_cbranch_vccz .LBB206_1779
; %bb.1741:
	s_and_b32 s6, 0xffff, s24
	s_cmp_lt_i32 s6, 5
	s_mov_b64 s[4:5], -1
	s_cbranch_scc1 .LBB206_1762
; %bb.1742:
	s_cmp_lt_i32 s6, 8
	s_cbranch_scc1 .LBB206_1752
; %bb.1743:
	s_cmp_lt_i32 s6, 9
	s_cbranch_scc1 .LBB206_1749
; %bb.1744:
	s_cmp_gt_i32 s6, 9
	s_cbranch_scc0 .LBB206_1746
; %bb.1745:
	v_cndmask_b32_e64 v3, 0, 1, s[2:3]
	v_cvt_f64_u32_e32 v[7:8], v3
	v_mov_b32_e32 v9, 0
	v_mov_b32_e32 v10, v9
	s_mov_b64 s[4:5], 0
	global_store_dwordx4 v[0:1], v[7:10], off
.LBB206_1746:
	s_andn2_b64 vcc, exec, s[4:5]
	s_cbranch_vccnz .LBB206_1748
; %bb.1747:
	v_cndmask_b32_e64 v3, 0, 1.0, s[2:3]
	v_mov_b32_e32 v4, 0
	global_store_dwordx2 v[0:1], v[3:4], off
.LBB206_1748:
	s_mov_b64 s[4:5], 0
.LBB206_1749:
	s_andn2_b64 vcc, exec, s[4:5]
	s_cbranch_vccnz .LBB206_1751
; %bb.1750:
	v_cndmask_b32_e64 v3, 0, 1.0, s[2:3]
	v_cvt_f16_f32_e32 v3, v3
	global_store_dword v[0:1], v3, off
.LBB206_1751:
	s_mov_b64 s[4:5], 0
.LBB206_1752:
	s_andn2_b64 vcc, exec, s[4:5]
	s_cbranch_vccnz .LBB206_1761
; %bb.1753:
	s_cmp_lt_i32 s6, 6
	s_mov_b64 s[4:5], -1
	s_cbranch_scc1 .LBB206_1759
; %bb.1754:
	s_cmp_gt_i32 s6, 6
	s_cbranch_scc0 .LBB206_1756
; %bb.1755:
	v_cndmask_b32_e64 v3, 0, 1, s[2:3]
	v_cvt_f64_u32_e32 v[3:4], v3
	s_mov_b64 s[4:5], 0
	global_store_dwordx2 v[0:1], v[3:4], off
.LBB206_1756:
	s_andn2_b64 vcc, exec, s[4:5]
	s_cbranch_vccnz .LBB206_1758
; %bb.1757:
	v_cndmask_b32_e64 v3, 0, 1.0, s[2:3]
	global_store_dword v[0:1], v3, off
.LBB206_1758:
	s_mov_b64 s[4:5], 0
.LBB206_1759:
	s_andn2_b64 vcc, exec, s[4:5]
	s_cbranch_vccnz .LBB206_1761
; %bb.1760:
	v_cndmask_b32_e64 v3, 0, 1.0, s[2:3]
	v_cvt_f16_f32_e32 v3, v3
	global_store_short v[0:1], v3, off
.LBB206_1761:
	s_mov_b64 s[4:5], 0
.LBB206_1762:
	s_andn2_b64 vcc, exec, s[4:5]
	s_cbranch_vccnz .LBB206_1778
; %bb.1763:
	s_cmp_lt_i32 s6, 2
	s_mov_b64 s[4:5], -1
	s_cbranch_scc1 .LBB206_1773
; %bb.1764:
	s_cmp_lt_i32 s6, 3
	s_cbranch_scc1 .LBB206_1770
; %bb.1765:
	s_cmp_gt_i32 s6, 3
	s_cbranch_scc0 .LBB206_1767
; %bb.1766:
	s_mov_b32 s4, 0
	v_cndmask_b32_e64 v3, 0, 1, s[2:3]
	v_mov_b32_e32 v4, s4
	global_store_dwordx2 v[0:1], v[3:4], off
	s_mov_b64 s[4:5], 0
.LBB206_1767:
	s_andn2_b64 vcc, exec, s[4:5]
	s_cbranch_vccnz .LBB206_1769
; %bb.1768:
	v_cndmask_b32_e64 v3, 0, 1, s[2:3]
	global_store_dword v[0:1], v3, off
.LBB206_1769:
	s_mov_b64 s[4:5], 0
.LBB206_1770:
	s_andn2_b64 vcc, exec, s[4:5]
	s_cbranch_vccnz .LBB206_1772
; %bb.1771:
	v_cndmask_b32_e64 v3, 0, 1, s[2:3]
	global_store_short v[0:1], v3, off
.LBB206_1772:
	s_mov_b64 s[4:5], 0
.LBB206_1773:
	s_andn2_b64 vcc, exec, s[4:5]
	s_cbranch_vccnz .LBB206_1778
; %bb.1774:
	s_mov_b64 s[4:5], -1
	s_cmp_gt_i32 s6, 0
	v_cndmask_b32_e64 v3, 0, 1, s[2:3]
	s_cbranch_scc0 .LBB206_1776
; %bb.1775:
	global_store_byte v[0:1], v3, off
	s_mov_b64 s[4:5], 0
.LBB206_1776:
	s_andn2_b64 vcc, exec, s[4:5]
	s_cbranch_vccnz .LBB206_1778
; %bb.1777:
	global_store_byte v[0:1], v3, off
.LBB206_1778:
	s_mov_b64 s[10:11], -1
.LBB206_1779:
	s_andn2_b64 vcc, exec, s[10:11]
	s_cbranch_vccnz .LBB206_1975
; %bb.1780:
	v_lshlrev_b32_e32 v0, 16, v5
	v_cmp_eq_f32_e32 vcc, s25, v0
	v_cndmask_b32_e64 v1, 0, 1, vcc
	v_cmp_neq_f32_e32 vcc, s25, v0
	v_cndmask_b32_e64 v0, 0, 1, vcc
	v_cndmask_b32_e64 v0, v0, v1, s[0:1]
	v_and_b32_e32 v0, 1, v0
	v_add_u32_e32 v2, s16, v2
	v_cmp_eq_u32_e64 s[2:3], 1, v0
	v_ashrrev_i32_e32 v1, 31, v2
	v_mov_b32_e32 v3, s9
	v_add_co_u32_e32 v0, vcc, s8, v2
	s_cmp_lt_i32 s24, 11
	v_addc_co_u32_e32 v1, vcc, v3, v1, vcc
	s_cbranch_scc1 .LBB206_1858
; %bb.1781:
	s_and_b32 s17, 0xffff, s24
	s_mov_b64 s[12:13], -1
	s_mov_b64 s[6:7], 0
	s_cmp_gt_i32 s17, 25
	s_mov_b64 s[10:11], 0
	s_mov_b64 s[4:5], 0
	s_cbranch_scc0 .LBB206_1814
; %bb.1782:
	s_cmp_gt_i32 s17, 28
	s_cbranch_scc0 .LBB206_1797
; %bb.1783:
	s_cmp_gt_i32 s17, 43
	;; [unrolled: 3-line block ×3, first 2 shown]
	s_cbranch_scc0 .LBB206_1787
; %bb.1785:
	s_mov_b64 s[4:5], -1
	s_mov_b64 s[12:13], 0
	s_cmp_eq_u32 s17, 46
	s_cbranch_scc0 .LBB206_1787
; %bb.1786:
	v_cndmask_b32_e64 v3, 0, 1.0, s[2:3]
	v_bfe_u32 v4, v3, 16, 1
	s_movk_i32 s4, 0x7fff
	v_add3_u32 v3, v3, v4, s4
	v_lshrrev_b32_e32 v3, 16, v3
	global_store_dword v[0:1], v3, off
	s_mov_b64 s[4:5], 0
	s_mov_b64 s[10:11], -1
.LBB206_1787:
	s_and_b64 vcc, exec, s[12:13]
	s_cbranch_vccz .LBB206_1792
; %bb.1788:
	s_cmp_eq_u32 s17, 44
	s_mov_b64 s[4:5], -1
	s_cbranch_scc0 .LBB206_1792
; %bb.1789:
	v_cndmask_b32_e64 v4, 0, 1.0, s[2:3]
	v_lshrrev_b32_e32 v3, 23, v4
	s_movk_i32 s4, 0xff
	v_cmp_ne_u32_e32 vcc, s4, v3
	v_mov_b32_e32 v5, 0xff
	s_and_saveexec_b64 s[10:11], vcc
; %bb.1790:
	s_mov_b32 s4, 0x3fffff
	v_and_b32_e32 v5, 0x400000, v4
	v_and_or_b32 v4, v4, s4, v3
	v_cmp_ne_u32_e32 vcc, 0, v5
	v_cmp_ne_u32_e64 s[4:5], 0, v4
	s_and_b64 s[4:5], vcc, s[4:5]
	v_cndmask_b32_e64 v4, 0, 1, s[4:5]
	v_add_u32_e32 v5, v3, v4
; %bb.1791:
	s_or_b64 exec, exec, s[10:11]
	s_mov_b64 s[4:5], 0
	s_mov_b64 s[10:11], -1
	global_store_byte v[0:1], v5, off
.LBB206_1792:
	s_mov_b64 s[12:13], 0
.LBB206_1793:
	s_and_b64 vcc, exec, s[12:13]
	s_cbranch_vccz .LBB206_1796
; %bb.1794:
	s_cmp_eq_u32 s17, 29
	s_mov_b64 s[4:5], -1
	s_cbranch_scc0 .LBB206_1796
; %bb.1795:
	s_mov_b32 s4, 0
	v_cndmask_b32_e64 v3, 0, 1, s[2:3]
	v_mov_b32_e32 v4, s4
	global_store_dwordx2 v[0:1], v[3:4], off
	s_mov_b64 s[4:5], 0
	s_mov_b64 s[10:11], -1
.LBB206_1796:
	s_mov_b64 s[12:13], 0
.LBB206_1797:
	s_and_b64 vcc, exec, s[12:13]
	s_cbranch_vccz .LBB206_1813
; %bb.1798:
	s_cmp_lt_i32 s17, 27
	s_mov_b64 s[10:11], -1
	s_cbranch_scc1 .LBB206_1804
; %bb.1799:
	s_cmp_gt_i32 s17, 27
	s_cbranch_scc0 .LBB206_1801
; %bb.1800:
	v_cndmask_b32_e64 v3, 0, 1, s[2:3]
	s_mov_b64 s[10:11], 0
	global_store_dword v[0:1], v3, off
.LBB206_1801:
	s_andn2_b64 vcc, exec, s[10:11]
	s_cbranch_vccnz .LBB206_1803
; %bb.1802:
	v_cndmask_b32_e64 v3, 0, 1, s[2:3]
	global_store_short v[0:1], v3, off
.LBB206_1803:
	s_mov_b64 s[10:11], 0
.LBB206_1804:
	s_andn2_b64 vcc, exec, s[10:11]
	s_cbranch_vccnz .LBB206_1812
; %bb.1805:
	v_cndmask_b32_e64 v4, 0, 1.0, s[2:3]
	s_mov_b32 s10, 0x43800000
	v_cmp_gt_u32_e32 vcc, s10, v4
	v_mov_b32_e32 v5, 0x80
	s_and_saveexec_b64 s[10:11], vcc
	s_cbranch_execz .LBB206_1811
; %bb.1806:
	s_mov_b32 s12, 0x3bffffff
	v_cmp_lt_u32_e32 vcc, s12, v4
	s_mov_b64 s[12:13], 0
                                        ; implicit-def: $vgpr3
	s_and_saveexec_b64 s[14:15], vcc
	s_xor_b64 s[14:15], exec, s[14:15]
	s_cbranch_execz .LBB206_2032
; %bb.1807:
	v_bfe_u32 v3, v4, 20, 1
	s_mov_b32 s26, 0x487ffff
	v_add3_u32 v3, v4, v3, s26
	s_mov_b64 s[12:13], exec
	v_lshrrev_b32_e32 v3, 20, v3
                                        ; implicit-def: $vgpr4
	s_andn2_saveexec_b64 s[14:15], s[14:15]
	s_cbranch_execnz .LBB206_2033
.LBB206_1808:
	s_or_b64 exec, exec, s[14:15]
	v_mov_b32_e32 v5, 0
	s_and_saveexec_b64 s[14:15], s[12:13]
.LBB206_1809:
	v_mov_b32_e32 v5, v3
.LBB206_1810:
	s_or_b64 exec, exec, s[14:15]
.LBB206_1811:
	s_or_b64 exec, exec, s[10:11]
	global_store_byte v[0:1], v5, off
.LBB206_1812:
	s_mov_b64 s[10:11], -1
.LBB206_1813:
	s_mov_b64 s[12:13], 0
.LBB206_1814:
	s_and_b64 vcc, exec, s[12:13]
	s_cbranch_vccz .LBB206_1854
; %bb.1815:
	s_cmp_gt_i32 s17, 22
	s_mov_b64 s[6:7], -1
	s_cbranch_scc0 .LBB206_1847
; %bb.1816:
	s_cmp_lt_i32 s17, 24
	s_cbranch_scc1 .LBB206_1836
; %bb.1817:
	s_cmp_gt_i32 s17, 24
	s_cbranch_scc0 .LBB206_1825
; %bb.1818:
	v_cndmask_b32_e64 v4, 0, 1.0, s[2:3]
	s_mov_b32 s6, 0x47800000
	v_cmp_gt_u32_e32 vcc, s6, v4
	v_mov_b32_e32 v5, 0x80
	s_and_saveexec_b64 s[6:7], vcc
	s_cbranch_execz .LBB206_1824
; %bb.1819:
	s_mov_b32 s10, 0x37ffffff
	v_cmp_lt_u32_e32 vcc, s10, v4
	s_mov_b64 s[10:11], 0
                                        ; implicit-def: $vgpr3
	s_and_saveexec_b64 s[12:13], vcc
	s_xor_b64 s[12:13], exec, s[12:13]
	s_cbranch_execz .LBB206_2035
; %bb.1820:
	v_bfe_u32 v3, v4, 21, 1
	s_mov_b32 s14, 0x88fffff
	v_add3_u32 v3, v4, v3, s14
	s_mov_b64 s[10:11], exec
	v_lshrrev_b32_e32 v3, 21, v3
                                        ; implicit-def: $vgpr4
	s_andn2_saveexec_b64 s[12:13], s[12:13]
	s_cbranch_execnz .LBB206_2036
.LBB206_1821:
	s_or_b64 exec, exec, s[12:13]
	v_mov_b32_e32 v5, 0
	s_and_saveexec_b64 s[12:13], s[10:11]
.LBB206_1822:
	v_mov_b32_e32 v5, v3
.LBB206_1823:
	s_or_b64 exec, exec, s[12:13]
.LBB206_1824:
	s_or_b64 exec, exec, s[6:7]
	s_mov_b64 s[6:7], 0
	global_store_byte v[0:1], v5, off
.LBB206_1825:
	s_and_b64 vcc, exec, s[6:7]
	s_cbranch_vccz .LBB206_1835
; %bb.1826:
	v_cndmask_b32_e64 v3, 0, 1.0, s[2:3]
	s_mov_b32 s6, 0x43f00000
	v_cmp_gt_u32_e32 vcc, s6, v3
                                        ; implicit-def: $vgpr4
	s_and_saveexec_b64 s[6:7], vcc
	s_xor_b64 s[6:7], exec, s[6:7]
	s_cbranch_execz .LBB206_1832
; %bb.1827:
	s_mov_b32 s10, 0x3c7fffff
	v_cmp_lt_u32_e32 vcc, s10, v3
                                        ; implicit-def: $vgpr4
	s_and_saveexec_b64 s[10:11], vcc
	s_xor_b64 s[10:11], exec, s[10:11]
; %bb.1828:
	v_bfe_u32 v4, v3, 20, 1
	s_mov_b32 s12, 0x407ffff
	v_add3_u32 v3, v3, v4, s12
	v_lshrrev_b32_e32 v4, 20, v3
	v_and_b32_e32 v3, 0xff00000, v3
	s_mov_b32 s12, 0x7f00000
	v_mov_b32_e32 v5, 0x7e
	v_cmp_ne_u32_e32 vcc, s12, v3
	v_cndmask_b32_e32 v4, v5, v4, vcc
                                        ; implicit-def: $vgpr3
; %bb.1829:
	s_andn2_saveexec_b64 s[10:11], s[10:11]
; %bb.1830:
	v_add_f32_e32 v4, 0x46800000, v3
; %bb.1831:
	s_or_b64 exec, exec, s[10:11]
                                        ; implicit-def: $vgpr3
.LBB206_1832:
	s_andn2_saveexec_b64 s[6:7], s[6:7]
; %bb.1833:
	s_mov_b32 s10, 0x7f800000
	v_mov_b32_e32 v4, 0x7e
	v_mov_b32_e32 v5, 0x7f
	v_cmp_lt_u32_e32 vcc, s10, v3
	v_cndmask_b32_e32 v4, v4, v5, vcc
; %bb.1834:
	s_or_b64 exec, exec, s[6:7]
	global_store_byte v[0:1], v4, off
.LBB206_1835:
	s_mov_b64 s[6:7], 0
.LBB206_1836:
	s_andn2_b64 vcc, exec, s[6:7]
	s_cbranch_vccnz .LBB206_1846
; %bb.1837:
	v_cndmask_b32_e64 v3, 0, 1.0, s[2:3]
	s_mov_b32 s6, 0x47800000
	v_cmp_gt_u32_e32 vcc, s6, v3
                                        ; implicit-def: $vgpr4
	s_and_saveexec_b64 s[6:7], vcc
	s_xor_b64 s[6:7], exec, s[6:7]
	s_cbranch_execz .LBB206_1843
; %bb.1838:
	s_mov_b32 s10, 0x387fffff
	v_cmp_lt_u32_e32 vcc, s10, v3
                                        ; implicit-def: $vgpr4
	s_and_saveexec_b64 s[10:11], vcc
	s_xor_b64 s[10:11], exec, s[10:11]
; %bb.1839:
	v_bfe_u32 v4, v3, 21, 1
	s_mov_b32 s12, 0x80fffff
	v_add3_u32 v3, v3, v4, s12
	v_lshrrev_b32_e32 v4, 21, v3
                                        ; implicit-def: $vgpr3
; %bb.1840:
	s_andn2_saveexec_b64 s[10:11], s[10:11]
; %bb.1841:
	v_add_f32_e32 v4, 0x43000000, v3
; %bb.1842:
	s_or_b64 exec, exec, s[10:11]
                                        ; implicit-def: $vgpr3
.LBB206_1843:
	s_andn2_saveexec_b64 s[6:7], s[6:7]
; %bb.1844:
	s_mov_b32 s10, 0x7f800000
	v_mov_b32_e32 v4, 0x7c
	v_mov_b32_e32 v5, 0x7f
	v_cmp_lt_u32_e32 vcc, s10, v3
	v_cndmask_b32_e32 v4, v4, v5, vcc
; %bb.1845:
	s_or_b64 exec, exec, s[6:7]
	global_store_byte v[0:1], v4, off
.LBB206_1846:
	s_mov_b64 s[6:7], 0
	s_mov_b64 s[10:11], -1
.LBB206_1847:
	s_andn2_b64 vcc, exec, s[6:7]
	s_mov_b64 s[6:7], 0
	s_cbranch_vccnz .LBB206_1854
; %bb.1848:
	s_cmp_gt_i32 s17, 14
	s_mov_b64 s[12:13], -1
	s_cbranch_scc0 .LBB206_1852
; %bb.1849:
	s_cmp_eq_u32 s17, 15
	s_mov_b64 s[4:5], -1
	s_cbranch_scc0 .LBB206_1851
; %bb.1850:
	v_cndmask_b32_e64 v3, 0, 1.0, s[2:3]
	v_bfe_u32 v4, v3, 16, 1
	s_movk_i32 s4, 0x7fff
	v_add3_u32 v3, v3, v4, s4
	global_store_short_d16_hi v[0:1], v3, off
	s_mov_b64 s[4:5], 0
	s_mov_b64 s[10:11], -1
.LBB206_1851:
	s_mov_b64 s[12:13], 0
.LBB206_1852:
	s_and_b64 vcc, exec, s[12:13]
	s_cbranch_vccz .LBB206_1854
; %bb.1853:
	s_cmp_lg_u32 s17, 11
	s_mov_b64 s[6:7], -1
	s_cselect_b64 s[4:5], -1, 0
.LBB206_1854:
	s_and_b64 vcc, exec, s[4:5]
	s_cbranch_vccnz .LBB206_2034
; %bb.1855:
	s_andn2_b64 vcc, exec, s[6:7]
	s_cbranch_vccnz .LBB206_1857
.LBB206_1856:
	v_cndmask_b32_e64 v3, 0, 1, s[2:3]
	s_mov_b64 s[10:11], -1
	global_store_byte v[0:1], v3, off
.LBB206_1857:
	s_mov_b64 s[4:5], 0
	s_branch .LBB206_1859
.LBB206_1858:
	s_mov_b64 s[4:5], -1
	s_mov_b64 s[10:11], 0
.LBB206_1859:
	s_and_b64 vcc, exec, s[4:5]
	s_cbranch_vccz .LBB206_1898
; %bb.1860:
	s_and_b32 s6, 0xffff, s24
	s_cmp_lt_i32 s6, 5
	s_mov_b64 s[4:5], -1
	s_cbranch_scc1 .LBB206_1881
; %bb.1861:
	s_cmp_lt_i32 s6, 8
	s_cbranch_scc1 .LBB206_1871
; %bb.1862:
	s_cmp_lt_i32 s6, 9
	s_cbranch_scc1 .LBB206_1868
; %bb.1863:
	s_cmp_gt_i32 s6, 9
	s_cbranch_scc0 .LBB206_1865
; %bb.1864:
	v_cndmask_b32_e64 v3, 0, 1, s[2:3]
	v_cvt_f64_u32_e32 v[7:8], v3
	v_mov_b32_e32 v9, 0
	v_mov_b32_e32 v10, v9
	s_mov_b64 s[4:5], 0
	global_store_dwordx4 v[0:1], v[7:10], off
.LBB206_1865:
	s_andn2_b64 vcc, exec, s[4:5]
	s_cbranch_vccnz .LBB206_1867
; %bb.1866:
	v_cndmask_b32_e64 v3, 0, 1.0, s[2:3]
	v_mov_b32_e32 v4, 0
	global_store_dwordx2 v[0:1], v[3:4], off
.LBB206_1867:
	s_mov_b64 s[4:5], 0
.LBB206_1868:
	s_andn2_b64 vcc, exec, s[4:5]
	s_cbranch_vccnz .LBB206_1870
; %bb.1869:
	v_cndmask_b32_e64 v3, 0, 1.0, s[2:3]
	v_cvt_f16_f32_e32 v3, v3
	global_store_dword v[0:1], v3, off
.LBB206_1870:
	s_mov_b64 s[4:5], 0
.LBB206_1871:
	s_andn2_b64 vcc, exec, s[4:5]
	s_cbranch_vccnz .LBB206_1880
; %bb.1872:
	s_cmp_lt_i32 s6, 6
	s_mov_b64 s[4:5], -1
	s_cbranch_scc1 .LBB206_1878
; %bb.1873:
	s_cmp_gt_i32 s6, 6
	s_cbranch_scc0 .LBB206_1875
; %bb.1874:
	v_cndmask_b32_e64 v3, 0, 1, s[2:3]
	v_cvt_f64_u32_e32 v[3:4], v3
	s_mov_b64 s[4:5], 0
	global_store_dwordx2 v[0:1], v[3:4], off
.LBB206_1875:
	s_andn2_b64 vcc, exec, s[4:5]
	s_cbranch_vccnz .LBB206_1877
; %bb.1876:
	v_cndmask_b32_e64 v3, 0, 1.0, s[2:3]
	global_store_dword v[0:1], v3, off
.LBB206_1877:
	s_mov_b64 s[4:5], 0
.LBB206_1878:
	s_andn2_b64 vcc, exec, s[4:5]
	s_cbranch_vccnz .LBB206_1880
; %bb.1879:
	v_cndmask_b32_e64 v3, 0, 1.0, s[2:3]
	v_cvt_f16_f32_e32 v3, v3
	global_store_short v[0:1], v3, off
.LBB206_1880:
	s_mov_b64 s[4:5], 0
.LBB206_1881:
	s_andn2_b64 vcc, exec, s[4:5]
	s_cbranch_vccnz .LBB206_1897
; %bb.1882:
	s_cmp_lt_i32 s6, 2
	s_mov_b64 s[4:5], -1
	s_cbranch_scc1 .LBB206_1892
; %bb.1883:
	s_cmp_lt_i32 s6, 3
	s_cbranch_scc1 .LBB206_1889
; %bb.1884:
	s_cmp_gt_i32 s6, 3
	s_cbranch_scc0 .LBB206_1886
; %bb.1885:
	s_mov_b32 s4, 0
	v_cndmask_b32_e64 v3, 0, 1, s[2:3]
	v_mov_b32_e32 v4, s4
	global_store_dwordx2 v[0:1], v[3:4], off
	s_mov_b64 s[4:5], 0
.LBB206_1886:
	s_andn2_b64 vcc, exec, s[4:5]
	s_cbranch_vccnz .LBB206_1888
; %bb.1887:
	v_cndmask_b32_e64 v3, 0, 1, s[2:3]
	global_store_dword v[0:1], v3, off
.LBB206_1888:
	s_mov_b64 s[4:5], 0
.LBB206_1889:
	s_andn2_b64 vcc, exec, s[4:5]
	s_cbranch_vccnz .LBB206_1891
; %bb.1890:
	v_cndmask_b32_e64 v3, 0, 1, s[2:3]
	global_store_short v[0:1], v3, off
.LBB206_1891:
	s_mov_b64 s[4:5], 0
.LBB206_1892:
	s_andn2_b64 vcc, exec, s[4:5]
	s_cbranch_vccnz .LBB206_1897
; %bb.1893:
	s_mov_b64 s[4:5], -1
	s_cmp_gt_i32 s6, 0
	v_cndmask_b32_e64 v3, 0, 1, s[2:3]
	s_cbranch_scc0 .LBB206_1895
; %bb.1894:
	global_store_byte v[0:1], v3, off
	s_mov_b64 s[4:5], 0
.LBB206_1895:
	s_andn2_b64 vcc, exec, s[4:5]
	s_cbranch_vccnz .LBB206_1897
; %bb.1896:
	global_store_byte v[0:1], v3, off
.LBB206_1897:
	s_mov_b64 s[10:11], -1
.LBB206_1898:
	s_andn2_b64 vcc, exec, s[10:11]
	s_cbranch_vccnz .LBB206_1975
; %bb.1899:
	v_lshlrev_b32_e32 v0, 16, v6
	v_cmp_eq_f32_e32 vcc, s25, v0
	v_cndmask_b32_e64 v1, 0, 1, vcc
	v_cmp_neq_f32_e32 vcc, s25, v0
	v_cndmask_b32_e64 v0, 0, 1, vcc
	v_cndmask_b32_e64 v0, v0, v1, s[0:1]
	v_and_b32_e32 v0, 1, v0
	v_cmp_eq_u32_e64 s[2:3], 1, v0
	v_add_u32_e32 v0, s16, v2
	v_ashrrev_i32_e32 v1, 31, v0
	v_mov_b32_e32 v2, s9
	v_add_co_u32_e32 v0, vcc, s8, v0
	s_cmp_lt_i32 s24, 11
	v_addc_co_u32_e32 v1, vcc, v2, v1, vcc
	s_cbranch_scc1 .LBB206_2020
; %bb.1900:
	s_and_b32 s12, 0xffff, s24
	s_mov_b64 s[6:7], -1
	s_mov_b64 s[4:5], 0
	s_cmp_gt_i32 s12, 25
	s_mov_b64 s[0:1], 0
	s_cbranch_scc0 .LBB206_1933
; %bb.1901:
	s_cmp_gt_i32 s12, 28
	s_cbranch_scc0 .LBB206_1917
; %bb.1902:
	s_cmp_gt_i32 s12, 43
	;; [unrolled: 3-line block ×3, first 2 shown]
	s_cbranch_scc0 .LBB206_1907
; %bb.1904:
	s_cmp_eq_u32 s12, 46
	s_mov_b64 s[0:1], -1
	s_cbranch_scc0 .LBB206_1906
; %bb.1905:
	v_cndmask_b32_e64 v2, 0, 1.0, s[2:3]
	v_bfe_u32 v3, v2, 16, 1
	s_movk_i32 s0, 0x7fff
	v_add3_u32 v2, v2, v3, s0
	v_lshrrev_b32_e32 v2, 16, v2
	global_store_dword v[0:1], v2, off
	s_mov_b64 s[0:1], 0
.LBB206_1906:
	s_mov_b64 s[6:7], 0
.LBB206_1907:
	s_and_b64 vcc, exec, s[6:7]
	s_cbranch_vccz .LBB206_1912
; %bb.1908:
	s_cmp_eq_u32 s12, 44
	s_mov_b64 s[0:1], -1
	s_cbranch_scc0 .LBB206_1912
; %bb.1909:
	v_cndmask_b32_e64 v3, 0, 1.0, s[2:3]
	v_lshrrev_b32_e32 v2, 23, v3
	s_movk_i32 s0, 0xff
	v_cmp_ne_u32_e32 vcc, s0, v2
	v_mov_b32_e32 v4, 0xff
	s_and_saveexec_b64 s[6:7], vcc
; %bb.1910:
	s_mov_b32 s0, 0x3fffff
	v_and_b32_e32 v4, 0x400000, v3
	v_and_or_b32 v3, v3, s0, v2
	v_cmp_ne_u32_e32 vcc, 0, v4
	v_cmp_ne_u32_e64 s[0:1], 0, v3
	s_and_b64 s[0:1], vcc, s[0:1]
	v_cndmask_b32_e64 v3, 0, 1, s[0:1]
	v_add_u32_e32 v4, v2, v3
; %bb.1911:
	s_or_b64 exec, exec, s[6:7]
	s_mov_b64 s[0:1], 0
	global_store_byte v[0:1], v4, off
.LBB206_1912:
	s_mov_b64 s[6:7], 0
.LBB206_1913:
	s_and_b64 vcc, exec, s[6:7]
	s_cbranch_vccz .LBB206_1916
; %bb.1914:
	s_cmp_eq_u32 s12, 29
	s_mov_b64 s[0:1], -1
	s_cbranch_scc0 .LBB206_1916
; %bb.1915:
	s_mov_b32 s0, 0
	v_cndmask_b32_e64 v2, 0, 1, s[2:3]
	v_mov_b32_e32 v3, s0
	global_store_dwordx2 v[0:1], v[2:3], off
	s_mov_b64 s[0:1], 0
.LBB206_1916:
	s_mov_b64 s[6:7], 0
.LBB206_1917:
	s_and_b64 vcc, exec, s[6:7]
	s_cbranch_vccz .LBB206_1932
; %bb.1918:
	s_cmp_lt_i32 s12, 27
	s_mov_b64 s[6:7], -1
	s_cbranch_scc1 .LBB206_1924
; %bb.1919:
	s_cmp_gt_i32 s12, 27
	v_cndmask_b32_e64 v2, 0, 1, s[2:3]
	s_cbranch_scc0 .LBB206_1921
; %bb.1920:
	global_store_dword v[0:1], v2, off
	s_mov_b64 s[6:7], 0
.LBB206_1921:
	s_andn2_b64 vcc, exec, s[6:7]
	s_cbranch_vccnz .LBB206_1923
; %bb.1922:
	global_store_short v[0:1], v2, off
.LBB206_1923:
	s_mov_b64 s[6:7], 0
.LBB206_1924:
	s_andn2_b64 vcc, exec, s[6:7]
	s_cbranch_vccnz .LBB206_1932
; %bb.1925:
	v_cndmask_b32_e64 v3, 0, 1.0, s[2:3]
	s_mov_b32 s6, 0x43800000
	v_cmp_gt_u32_e32 vcc, s6, v3
	v_mov_b32_e32 v4, 0x80
	s_and_saveexec_b64 s[6:7], vcc
	s_cbranch_execz .LBB206_1931
; %bb.1926:
	s_mov_b32 s8, 0x3bffffff
	v_cmp_lt_u32_e32 vcc, s8, v3
	s_mov_b64 s[8:9], 0
                                        ; implicit-def: $vgpr2
	s_and_saveexec_b64 s[10:11], vcc
	s_xor_b64 s[10:11], exec, s[10:11]
	s_cbranch_execz .LBB206_2037
; %bb.1927:
	v_bfe_u32 v2, v3, 20, 1
	s_mov_b32 s13, 0x487ffff
	v_add3_u32 v2, v3, v2, s13
	s_mov_b64 s[8:9], exec
	v_lshrrev_b32_e32 v2, 20, v2
                                        ; implicit-def: $vgpr3
	s_andn2_saveexec_b64 s[10:11], s[10:11]
	s_cbranch_execnz .LBB206_2038
.LBB206_1928:
	s_or_b64 exec, exec, s[10:11]
	v_mov_b32_e32 v4, 0
	s_and_saveexec_b64 s[10:11], s[8:9]
.LBB206_1929:
	v_mov_b32_e32 v4, v2
.LBB206_1930:
	s_or_b64 exec, exec, s[10:11]
.LBB206_1931:
	s_or_b64 exec, exec, s[6:7]
	global_store_byte v[0:1], v4, off
.LBB206_1932:
	s_mov_b64 s[6:7], 0
.LBB206_1933:
	s_and_b64 vcc, exec, s[6:7]
	s_cbranch_vccz .LBB206_1973
; %bb.1934:
	s_cmp_gt_i32 s12, 22
	s_mov_b64 s[4:5], -1
	s_cbranch_scc0 .LBB206_1966
; %bb.1935:
	s_cmp_lt_i32 s12, 24
	s_cbranch_scc1 .LBB206_1955
; %bb.1936:
	s_cmp_gt_i32 s12, 24
	s_cbranch_scc0 .LBB206_1944
; %bb.1937:
	v_cndmask_b32_e64 v3, 0, 1.0, s[2:3]
	s_mov_b32 s4, 0x47800000
	v_cmp_gt_u32_e32 vcc, s4, v3
	v_mov_b32_e32 v4, 0x80
	s_and_saveexec_b64 s[4:5], vcc
	s_cbranch_execz .LBB206_1943
; %bb.1938:
	s_mov_b32 s6, 0x37ffffff
	v_cmp_lt_u32_e32 vcc, s6, v3
	s_mov_b64 s[6:7], 0
                                        ; implicit-def: $vgpr2
	s_and_saveexec_b64 s[8:9], vcc
	s_xor_b64 s[8:9], exec, s[8:9]
	s_cbranch_execz .LBB206_2040
; %bb.1939:
	v_bfe_u32 v2, v3, 21, 1
	s_mov_b32 s10, 0x88fffff
	v_add3_u32 v2, v3, v2, s10
	s_mov_b64 s[6:7], exec
	v_lshrrev_b32_e32 v2, 21, v2
                                        ; implicit-def: $vgpr3
	s_andn2_saveexec_b64 s[8:9], s[8:9]
	s_cbranch_execnz .LBB206_2041
.LBB206_1940:
	s_or_b64 exec, exec, s[8:9]
	v_mov_b32_e32 v4, 0
	s_and_saveexec_b64 s[8:9], s[6:7]
.LBB206_1941:
	v_mov_b32_e32 v4, v2
.LBB206_1942:
	s_or_b64 exec, exec, s[8:9]
.LBB206_1943:
	s_or_b64 exec, exec, s[4:5]
	s_mov_b64 s[4:5], 0
	global_store_byte v[0:1], v4, off
.LBB206_1944:
	s_and_b64 vcc, exec, s[4:5]
	s_cbranch_vccz .LBB206_1954
; %bb.1945:
	v_cndmask_b32_e64 v2, 0, 1.0, s[2:3]
	s_mov_b32 s4, 0x43f00000
	v_cmp_gt_u32_e32 vcc, s4, v2
                                        ; implicit-def: $vgpr3
	s_and_saveexec_b64 s[4:5], vcc
	s_xor_b64 s[4:5], exec, s[4:5]
	s_cbranch_execz .LBB206_1951
; %bb.1946:
	s_mov_b32 s6, 0x3c7fffff
	v_cmp_lt_u32_e32 vcc, s6, v2
                                        ; implicit-def: $vgpr3
	s_and_saveexec_b64 s[6:7], vcc
	s_xor_b64 s[6:7], exec, s[6:7]
; %bb.1947:
	v_bfe_u32 v3, v2, 20, 1
	s_mov_b32 s8, 0x407ffff
	v_add3_u32 v2, v2, v3, s8
	v_lshrrev_b32_e32 v3, 20, v2
	v_and_b32_e32 v2, 0xff00000, v2
	s_mov_b32 s8, 0x7f00000
	v_mov_b32_e32 v4, 0x7e
	v_cmp_ne_u32_e32 vcc, s8, v2
	v_cndmask_b32_e32 v3, v4, v3, vcc
                                        ; implicit-def: $vgpr2
; %bb.1948:
	s_andn2_saveexec_b64 s[6:7], s[6:7]
; %bb.1949:
	v_add_f32_e32 v3, 0x46800000, v2
; %bb.1950:
	s_or_b64 exec, exec, s[6:7]
                                        ; implicit-def: $vgpr2
.LBB206_1951:
	s_andn2_saveexec_b64 s[4:5], s[4:5]
; %bb.1952:
	s_mov_b32 s6, 0x7f800000
	v_mov_b32_e32 v3, 0x7e
	v_mov_b32_e32 v4, 0x7f
	v_cmp_lt_u32_e32 vcc, s6, v2
	v_cndmask_b32_e32 v3, v3, v4, vcc
; %bb.1953:
	s_or_b64 exec, exec, s[4:5]
	global_store_byte v[0:1], v3, off
.LBB206_1954:
	s_mov_b64 s[4:5], 0
.LBB206_1955:
	s_andn2_b64 vcc, exec, s[4:5]
	s_cbranch_vccnz .LBB206_1965
; %bb.1956:
	v_cndmask_b32_e64 v2, 0, 1.0, s[2:3]
	s_mov_b32 s4, 0x47800000
	v_cmp_gt_u32_e32 vcc, s4, v2
                                        ; implicit-def: $vgpr3
	s_and_saveexec_b64 s[4:5], vcc
	s_xor_b64 s[4:5], exec, s[4:5]
	s_cbranch_execz .LBB206_1962
; %bb.1957:
	s_mov_b32 s6, 0x387fffff
	v_cmp_lt_u32_e32 vcc, s6, v2
                                        ; implicit-def: $vgpr3
	s_and_saveexec_b64 s[6:7], vcc
	s_xor_b64 s[6:7], exec, s[6:7]
; %bb.1958:
	v_bfe_u32 v3, v2, 21, 1
	s_mov_b32 s8, 0x80fffff
	v_add3_u32 v2, v2, v3, s8
	v_lshrrev_b32_e32 v3, 21, v2
                                        ; implicit-def: $vgpr2
; %bb.1959:
	s_andn2_saveexec_b64 s[6:7], s[6:7]
; %bb.1960:
	v_add_f32_e32 v3, 0x43000000, v2
; %bb.1961:
	s_or_b64 exec, exec, s[6:7]
                                        ; implicit-def: $vgpr2
.LBB206_1962:
	s_andn2_saveexec_b64 s[4:5], s[4:5]
; %bb.1963:
	s_mov_b32 s6, 0x7f800000
	v_mov_b32_e32 v3, 0x7c
	v_mov_b32_e32 v4, 0x7f
	v_cmp_lt_u32_e32 vcc, s6, v2
	v_cndmask_b32_e32 v3, v3, v4, vcc
; %bb.1964:
	s_or_b64 exec, exec, s[4:5]
	global_store_byte v[0:1], v3, off
.LBB206_1965:
	s_mov_b64 s[4:5], 0
.LBB206_1966:
	s_andn2_b64 vcc, exec, s[4:5]
	s_mov_b64 s[4:5], 0
	s_cbranch_vccnz .LBB206_1973
; %bb.1967:
	s_cmp_gt_i32 s12, 14
	s_mov_b64 s[6:7], -1
	s_cbranch_scc0 .LBB206_1971
; %bb.1968:
	s_cmp_eq_u32 s12, 15
	s_mov_b64 s[0:1], -1
	s_cbranch_scc0 .LBB206_1970
; %bb.1969:
	v_cndmask_b32_e64 v2, 0, 1.0, s[2:3]
	v_bfe_u32 v3, v2, 16, 1
	s_movk_i32 s0, 0x7fff
	v_add3_u32 v2, v2, v3, s0
	global_store_short_d16_hi v[0:1], v2, off
	s_mov_b64 s[0:1], 0
.LBB206_1970:
	s_mov_b64 s[6:7], 0
.LBB206_1971:
	s_and_b64 vcc, exec, s[6:7]
	s_cbranch_vccz .LBB206_1973
; %bb.1972:
	s_cmp_lg_u32 s12, 11
	s_mov_b64 s[4:5], -1
	s_cselect_b64 s[0:1], -1, 0
.LBB206_1973:
	s_and_b64 vcc, exec, s[0:1]
	s_cbranch_vccnz .LBB206_2039
.LBB206_1974:
	s_mov_b64 s[0:1], 0
	s_branch .LBB206_1976
.LBB206_1975:
	s_mov_b64 s[0:1], 0
	s_mov_b64 s[4:5], 0
                                        ; implicit-def: $sgpr2_sgpr3
                                        ; implicit-def: $sgpr24
                                        ; implicit-def: $vgpr0_vgpr1
.LBB206_1976:
	s_and_b64 s[6:7], s[4:5], exec
	s_andn2_b64 s[4:5], s[20:21], exec
	s_and_b64 s[8:9], s[22:23], exec
	s_and_b64 s[0:1], s[0:1], exec
	s_or_b64 s[20:21], s[4:5], s[8:9]
.LBB206_1977:
	s_or_b64 exec, exec, s[18:19]
	s_and_saveexec_b64 s[4:5], s[20:21]
	s_cbranch_execz .LBB206_1980
; %bb.1978:
	; divergent unreachable
	s_or_b64 exec, exec, s[4:5]
	s_and_saveexec_b64 s[4:5], s[6:7]
	s_xor_b64 s[4:5], exec, s[4:5]
	s_cbranch_execnz .LBB206_1981
.LBB206_1979:
	s_or_b64 exec, exec, s[4:5]
	s_and_saveexec_b64 s[4:5], s[0:1]
	s_cbranch_execnz .LBB206_1982
	s_branch .LBB206_2019
.LBB206_1980:
	s_or_b64 exec, exec, s[4:5]
	s_and_saveexec_b64 s[4:5], s[6:7]
	s_xor_b64 s[4:5], exec, s[4:5]
	s_cbranch_execz .LBB206_1979
.LBB206_1981:
	v_cndmask_b32_e64 v2, 0, 1, s[2:3]
	global_store_byte v[0:1], v2, off
	s_or_b64 exec, exec, s[4:5]
	s_and_saveexec_b64 s[4:5], s[0:1]
	s_cbranch_execz .LBB206_2019
.LBB206_1982:
	s_sext_i32_i16 s4, s24
	s_cmp_lt_i32 s4, 5
	s_mov_b64 s[0:1], -1
	s_cbranch_scc1 .LBB206_2003
; %bb.1983:
	s_cmp_lt_i32 s4, 8
	s_cbranch_scc1 .LBB206_1993
; %bb.1984:
	s_cmp_lt_i32 s4, 9
	s_cbranch_scc1 .LBB206_1990
; %bb.1985:
	s_cmp_gt_i32 s4, 9
	s_cbranch_scc0 .LBB206_1987
; %bb.1986:
	v_cndmask_b32_e64 v2, 0, 1, s[2:3]
	s_waitcnt vmcnt(0)
	v_cvt_f64_u32_e32 v[2:3], v2
	v_mov_b32_e32 v4, 0
	v_mov_b32_e32 v5, v4
	s_mov_b64 s[0:1], 0
	global_store_dwordx4 v[0:1], v[2:5], off
.LBB206_1987:
	s_andn2_b64 vcc, exec, s[0:1]
	s_cbranch_vccnz .LBB206_1989
; %bb.1988:
	v_cndmask_b32_e64 v2, 0, 1.0, s[2:3]
	s_waitcnt vmcnt(0)
	v_mov_b32_e32 v3, 0
	global_store_dwordx2 v[0:1], v[2:3], off
.LBB206_1989:
	s_mov_b64 s[0:1], 0
.LBB206_1990:
	s_andn2_b64 vcc, exec, s[0:1]
	s_cbranch_vccnz .LBB206_1992
; %bb.1991:
	v_cndmask_b32_e64 v2, 0, 1.0, s[2:3]
	v_cvt_f16_f32_e32 v2, v2
	global_store_dword v[0:1], v2, off
.LBB206_1992:
	s_mov_b64 s[0:1], 0
.LBB206_1993:
	s_andn2_b64 vcc, exec, s[0:1]
	s_cbranch_vccnz .LBB206_2002
; %bb.1994:
	s_sext_i32_i16 s4, s24
	s_cmp_lt_i32 s4, 6
	s_mov_b64 s[0:1], -1
	s_cbranch_scc1 .LBB206_2000
; %bb.1995:
	s_cmp_gt_i32 s4, 6
	s_cbranch_scc0 .LBB206_1997
; %bb.1996:
	v_cndmask_b32_e64 v2, 0, 1, s[2:3]
	s_waitcnt vmcnt(0)
	v_cvt_f64_u32_e32 v[2:3], v2
	s_mov_b64 s[0:1], 0
	global_store_dwordx2 v[0:1], v[2:3], off
.LBB206_1997:
	s_andn2_b64 vcc, exec, s[0:1]
	s_cbranch_vccnz .LBB206_1999
; %bb.1998:
	v_cndmask_b32_e64 v2, 0, 1.0, s[2:3]
	global_store_dword v[0:1], v2, off
.LBB206_1999:
	s_mov_b64 s[0:1], 0
.LBB206_2000:
	s_andn2_b64 vcc, exec, s[0:1]
	s_cbranch_vccnz .LBB206_2002
; %bb.2001:
	v_cndmask_b32_e64 v2, 0, 1.0, s[2:3]
	v_cvt_f16_f32_e32 v2, v2
	global_store_short v[0:1], v2, off
.LBB206_2002:
	s_mov_b64 s[0:1], 0
.LBB206_2003:
	s_andn2_b64 vcc, exec, s[0:1]
	s_cbranch_vccnz .LBB206_2019
; %bb.2004:
	s_sext_i32_i16 s4, s24
	s_cmp_lt_i32 s4, 2
	s_mov_b64 s[0:1], -1
	s_cbranch_scc1 .LBB206_2014
; %bb.2005:
	s_cmp_lt_i32 s4, 3
	s_cbranch_scc1 .LBB206_2011
; %bb.2006:
	s_cmp_gt_i32 s4, 3
	s_cbranch_scc0 .LBB206_2008
; %bb.2007:
	s_mov_b32 s0, 0
	v_cndmask_b32_e64 v2, 0, 1, s[2:3]
	s_waitcnt vmcnt(0)
	v_mov_b32_e32 v3, s0
	global_store_dwordx2 v[0:1], v[2:3], off
	s_mov_b64 s[0:1], 0
.LBB206_2008:
	s_andn2_b64 vcc, exec, s[0:1]
	s_cbranch_vccnz .LBB206_2010
; %bb.2009:
	v_cndmask_b32_e64 v2, 0, 1, s[2:3]
	global_store_dword v[0:1], v2, off
.LBB206_2010:
	s_mov_b64 s[0:1], 0
.LBB206_2011:
	s_andn2_b64 vcc, exec, s[0:1]
	s_cbranch_vccnz .LBB206_2013
; %bb.2012:
	v_cndmask_b32_e64 v2, 0, 1, s[2:3]
	global_store_short v[0:1], v2, off
.LBB206_2013:
	s_mov_b64 s[0:1], 0
.LBB206_2014:
	s_andn2_b64 vcc, exec, s[0:1]
	s_cbranch_vccnz .LBB206_2019
; %bb.2015:
	s_sext_i32_i16 s4, s24
	s_mov_b64 s[0:1], -1
	s_cmp_gt_i32 s4, 0
	v_cndmask_b32_e64 v2, 0, 1, s[2:3]
	s_cbranch_scc0 .LBB206_2017
; %bb.2016:
	global_store_byte v[0:1], v2, off
	s_mov_b64 s[0:1], 0
.LBB206_2017:
	s_andn2_b64 vcc, exec, s[0:1]
	s_cbranch_vccnz .LBB206_2019
; %bb.2018:
	global_store_byte v[0:1], v2, off
	s_endpgm
.LBB206_2019:
	s_endpgm
.LBB206_2020:
	s_mov_b64 s[4:5], 0
	s_mov_b64 s[0:1], -1
	s_branch .LBB206_1976
.LBB206_2021:
	s_trap 2
	s_or_b64 s[22:23], s[22:23], exec
	s_cbranch_execz .LBB206_1490
	s_branch .LBB206_1491
.LBB206_2022:
	s_andn2_saveexec_b64 s[16:17], s[16:17]
	s_cbranch_execz .LBB206_1570
.LBB206_2023:
	v_add_f32_e32 v3, 0x46000000, v7
	v_and_b32_e32 v3, 0xff, v3
	v_cmp_ne_u32_e32 vcc, 0, v3
	s_andn2_b64 s[14:15], s[14:15], exec
	s_and_b64 s[26:27], vcc, exec
	s_or_b64 s[14:15], s[14:15], s[26:27]
	s_or_b64 exec, exec, s[16:17]
	v_mov_b32_e32 v8, 0
	s_and_saveexec_b64 s[16:17], s[14:15]
	s_cbranch_execnz .LBB206_1571
	s_branch .LBB206_1572
.LBB206_2024:
	s_trap 2
	s_or_b64 s[22:23], s[22:23], exec
	s_cbranch_execz .LBB206_1618
	s_branch .LBB206_1619
.LBB206_2025:
	s_andn2_saveexec_b64 s[14:15], s[14:15]
	s_cbranch_execz .LBB206_1583
.LBB206_2026:
	v_add_f32_e32 v3, 0x42800000, v7
	v_and_b32_e32 v3, 0xff, v3
	v_cmp_ne_u32_e32 vcc, 0, v3
	s_andn2_b64 s[10:11], s[10:11], exec
	s_and_b64 s[16:17], vcc, exec
	s_or_b64 s[10:11], s[10:11], s[16:17]
	s_or_b64 exec, exec, s[14:15]
	v_mov_b32_e32 v8, 0
	s_and_saveexec_b64 s[14:15], s[10:11]
	s_cbranch_execnz .LBB206_1584
	s_branch .LBB206_1585
.LBB206_2027:
	s_andn2_saveexec_b64 s[14:15], s[14:15]
	s_cbranch_execz .LBB206_1689
.LBB206_2028:
	v_add_f32_e32 v3, 0x46000000, v4
	v_and_b32_e32 v3, 0xff, v3
	v_cmp_ne_u32_e32 vcc, 0, v3
	s_andn2_b64 s[12:13], s[12:13], exec
	s_and_b64 s[26:27], vcc, exec
	s_or_b64 s[12:13], s[12:13], s[26:27]
	s_or_b64 exec, exec, s[14:15]
	v_mov_b32_e32 v7, 0
	s_and_saveexec_b64 s[14:15], s[12:13]
	s_cbranch_execnz .LBB206_1690
	s_branch .LBB206_1691
.LBB206_2029:
	s_trap 2
	s_or_b64 s[22:23], s[22:23], exec
	s_cbranch_execz .LBB206_1737
	s_branch .LBB206_1738
.LBB206_2030:
	s_andn2_saveexec_b64 s[12:13], s[12:13]
	s_cbranch_execz .LBB206_1702
.LBB206_2031:
	v_add_f32_e32 v3, 0x42800000, v4
	v_and_b32_e32 v3, 0xff, v3
	v_cmp_ne_u32_e32 vcc, 0, v3
	s_andn2_b64 s[10:11], s[10:11], exec
	s_and_b64 s[14:15], vcc, exec
	s_or_b64 s[10:11], s[10:11], s[14:15]
	s_or_b64 exec, exec, s[12:13]
	v_mov_b32_e32 v7, 0
	s_and_saveexec_b64 s[12:13], s[10:11]
	s_cbranch_execnz .LBB206_1703
	s_branch .LBB206_1704
.LBB206_2032:
	s_andn2_saveexec_b64 s[14:15], s[14:15]
	s_cbranch_execz .LBB206_1808
.LBB206_2033:
	v_add_f32_e32 v3, 0x46000000, v4
	v_and_b32_e32 v3, 0xff, v3
	v_cmp_ne_u32_e32 vcc, 0, v3
	s_andn2_b64 s[12:13], s[12:13], exec
	s_and_b64 s[26:27], vcc, exec
	s_or_b64 s[12:13], s[12:13], s[26:27]
	s_or_b64 exec, exec, s[14:15]
	v_mov_b32_e32 v5, 0
	s_and_saveexec_b64 s[14:15], s[12:13]
	s_cbranch_execnz .LBB206_1809
	s_branch .LBB206_1810
.LBB206_2034:
	s_trap 2
	s_or_b64 s[22:23], s[22:23], exec
	s_cbranch_execz .LBB206_1856
	s_branch .LBB206_1857
.LBB206_2035:
	s_andn2_saveexec_b64 s[12:13], s[12:13]
	s_cbranch_execz .LBB206_1821
.LBB206_2036:
	v_add_f32_e32 v3, 0x42800000, v4
	v_and_b32_e32 v3, 0xff, v3
	v_cmp_ne_u32_e32 vcc, 0, v3
	s_andn2_b64 s[10:11], s[10:11], exec
	s_and_b64 s[14:15], vcc, exec
	s_or_b64 s[10:11], s[10:11], s[14:15]
	s_or_b64 exec, exec, s[12:13]
	v_mov_b32_e32 v5, 0
	s_and_saveexec_b64 s[12:13], s[10:11]
	s_cbranch_execnz .LBB206_1822
	s_branch .LBB206_1823
.LBB206_2037:
	s_andn2_saveexec_b64 s[10:11], s[10:11]
	s_cbranch_execz .LBB206_1928
.LBB206_2038:
	v_add_f32_e32 v2, 0x46000000, v3
	v_and_b32_e32 v2, 0xff, v2
	v_cmp_ne_u32_e32 vcc, 0, v2
	s_andn2_b64 s[8:9], s[8:9], exec
	s_and_b64 s[14:15], vcc, exec
	s_or_b64 s[8:9], s[8:9], s[14:15]
	s_or_b64 exec, exec, s[10:11]
	v_mov_b32_e32 v4, 0
	s_and_saveexec_b64 s[10:11], s[8:9]
	s_cbranch_execnz .LBB206_1929
	s_branch .LBB206_1930
.LBB206_2039:
	s_mov_b64 s[4:5], 0
	s_or_b64 s[22:23], s[22:23], exec
	s_trap 2
	s_branch .LBB206_1974
.LBB206_2040:
	s_andn2_saveexec_b64 s[8:9], s[8:9]
	s_cbranch_execz .LBB206_1940
.LBB206_2041:
	v_add_f32_e32 v2, 0x42800000, v3
	v_and_b32_e32 v2, 0xff, v2
	v_cmp_ne_u32_e32 vcc, 0, v2
	s_andn2_b64 s[6:7], s[6:7], exec
	s_and_b64 s[10:11], vcc, exec
	s_or_b64 s[6:7], s[6:7], s[10:11]
	s_or_b64 exec, exec, s[8:9]
	v_mov_b32_e32 v4, 0
	s_and_saveexec_b64 s[8:9], s[6:7]
	s_cbranch_execnz .LBB206_1941
	s_branch .LBB206_1942
	.section	.rodata,"a",@progbits
	.p2align	6, 0x0
	.amdhsa_kernel _ZN2at6native32elementwise_kernel_manual_unrollILi128ELi4EZNS0_15gpu_kernel_implINS0_13AUnaryFunctorIN3c108BFloat16ES5_bNS0_12_GLOBAL__N_116CompareEqFunctorIS5_EEEEEEvRNS_18TensorIteratorBaseERKT_EUlibE_EEviT1_
		.amdhsa_group_segment_fixed_size 0
		.amdhsa_private_segment_fixed_size 0
		.amdhsa_kernarg_size 48
		.amdhsa_user_sgpr_count 6
		.amdhsa_user_sgpr_private_segment_buffer 1
		.amdhsa_user_sgpr_dispatch_ptr 0
		.amdhsa_user_sgpr_queue_ptr 0
		.amdhsa_user_sgpr_kernarg_segment_ptr 1
		.amdhsa_user_sgpr_dispatch_id 0
		.amdhsa_user_sgpr_flat_scratch_init 0
		.amdhsa_user_sgpr_private_segment_size 0
		.amdhsa_uses_dynamic_stack 0
		.amdhsa_system_sgpr_private_segment_wavefront_offset 0
		.amdhsa_system_sgpr_workgroup_id_x 1
		.amdhsa_system_sgpr_workgroup_id_y 0
		.amdhsa_system_sgpr_workgroup_id_z 0
		.amdhsa_system_sgpr_workgroup_info 0
		.amdhsa_system_vgpr_workitem_id 0
		.amdhsa_next_free_vgpr 12
		.amdhsa_next_free_sgpr 50
		.amdhsa_reserve_vcc 1
		.amdhsa_reserve_flat_scratch 0
		.amdhsa_float_round_mode_32 0
		.amdhsa_float_round_mode_16_64 0
		.amdhsa_float_denorm_mode_32 3
		.amdhsa_float_denorm_mode_16_64 3
		.amdhsa_dx10_clamp 1
		.amdhsa_ieee_mode 1
		.amdhsa_fp16_overflow 0
		.amdhsa_exception_fp_ieee_invalid_op 0
		.amdhsa_exception_fp_denorm_src 0
		.amdhsa_exception_fp_ieee_div_zero 0
		.amdhsa_exception_fp_ieee_overflow 0
		.amdhsa_exception_fp_ieee_underflow 0
		.amdhsa_exception_fp_ieee_inexact 0
		.amdhsa_exception_int_div_zero 0
	.end_amdhsa_kernel
	.section	.text._ZN2at6native32elementwise_kernel_manual_unrollILi128ELi4EZNS0_15gpu_kernel_implINS0_13AUnaryFunctorIN3c108BFloat16ES5_bNS0_12_GLOBAL__N_116CompareEqFunctorIS5_EEEEEEvRNS_18TensorIteratorBaseERKT_EUlibE_EEviT1_,"axG",@progbits,_ZN2at6native32elementwise_kernel_manual_unrollILi128ELi4EZNS0_15gpu_kernel_implINS0_13AUnaryFunctorIN3c108BFloat16ES5_bNS0_12_GLOBAL__N_116CompareEqFunctorIS5_EEEEEEvRNS_18TensorIteratorBaseERKT_EUlibE_EEviT1_,comdat
.Lfunc_end206:
	.size	_ZN2at6native32elementwise_kernel_manual_unrollILi128ELi4EZNS0_15gpu_kernel_implINS0_13AUnaryFunctorIN3c108BFloat16ES5_bNS0_12_GLOBAL__N_116CompareEqFunctorIS5_EEEEEEvRNS_18TensorIteratorBaseERKT_EUlibE_EEviT1_, .Lfunc_end206-_ZN2at6native32elementwise_kernel_manual_unrollILi128ELi4EZNS0_15gpu_kernel_implINS0_13AUnaryFunctorIN3c108BFloat16ES5_bNS0_12_GLOBAL__N_116CompareEqFunctorIS5_EEEEEEvRNS_18TensorIteratorBaseERKT_EUlibE_EEviT1_
                                        ; -- End function
	.set _ZN2at6native32elementwise_kernel_manual_unrollILi128ELi4EZNS0_15gpu_kernel_implINS0_13AUnaryFunctorIN3c108BFloat16ES5_bNS0_12_GLOBAL__N_116CompareEqFunctorIS5_EEEEEEvRNS_18TensorIteratorBaseERKT_EUlibE_EEviT1_.num_vgpr, 12
	.set _ZN2at6native32elementwise_kernel_manual_unrollILi128ELi4EZNS0_15gpu_kernel_implINS0_13AUnaryFunctorIN3c108BFloat16ES5_bNS0_12_GLOBAL__N_116CompareEqFunctorIS5_EEEEEEvRNS_18TensorIteratorBaseERKT_EUlibE_EEviT1_.num_agpr, 0
	.set _ZN2at6native32elementwise_kernel_manual_unrollILi128ELi4EZNS0_15gpu_kernel_implINS0_13AUnaryFunctorIN3c108BFloat16ES5_bNS0_12_GLOBAL__N_116CompareEqFunctorIS5_EEEEEEvRNS_18TensorIteratorBaseERKT_EUlibE_EEviT1_.numbered_sgpr, 50
	.set _ZN2at6native32elementwise_kernel_manual_unrollILi128ELi4EZNS0_15gpu_kernel_implINS0_13AUnaryFunctorIN3c108BFloat16ES5_bNS0_12_GLOBAL__N_116CompareEqFunctorIS5_EEEEEEvRNS_18TensorIteratorBaseERKT_EUlibE_EEviT1_.num_named_barrier, 0
	.set _ZN2at6native32elementwise_kernel_manual_unrollILi128ELi4EZNS0_15gpu_kernel_implINS0_13AUnaryFunctorIN3c108BFloat16ES5_bNS0_12_GLOBAL__N_116CompareEqFunctorIS5_EEEEEEvRNS_18TensorIteratorBaseERKT_EUlibE_EEviT1_.private_seg_size, 0
	.set _ZN2at6native32elementwise_kernel_manual_unrollILi128ELi4EZNS0_15gpu_kernel_implINS0_13AUnaryFunctorIN3c108BFloat16ES5_bNS0_12_GLOBAL__N_116CompareEqFunctorIS5_EEEEEEvRNS_18TensorIteratorBaseERKT_EUlibE_EEviT1_.uses_vcc, 1
	.set _ZN2at6native32elementwise_kernel_manual_unrollILi128ELi4EZNS0_15gpu_kernel_implINS0_13AUnaryFunctorIN3c108BFloat16ES5_bNS0_12_GLOBAL__N_116CompareEqFunctorIS5_EEEEEEvRNS_18TensorIteratorBaseERKT_EUlibE_EEviT1_.uses_flat_scratch, 0
	.set _ZN2at6native32elementwise_kernel_manual_unrollILi128ELi4EZNS0_15gpu_kernel_implINS0_13AUnaryFunctorIN3c108BFloat16ES5_bNS0_12_GLOBAL__N_116CompareEqFunctorIS5_EEEEEEvRNS_18TensorIteratorBaseERKT_EUlibE_EEviT1_.has_dyn_sized_stack, 0
	.set _ZN2at6native32elementwise_kernel_manual_unrollILi128ELi4EZNS0_15gpu_kernel_implINS0_13AUnaryFunctorIN3c108BFloat16ES5_bNS0_12_GLOBAL__N_116CompareEqFunctorIS5_EEEEEEvRNS_18TensorIteratorBaseERKT_EUlibE_EEviT1_.has_recursion, 0
	.set _ZN2at6native32elementwise_kernel_manual_unrollILi128ELi4EZNS0_15gpu_kernel_implINS0_13AUnaryFunctorIN3c108BFloat16ES5_bNS0_12_GLOBAL__N_116CompareEqFunctorIS5_EEEEEEvRNS_18TensorIteratorBaseERKT_EUlibE_EEviT1_.has_indirect_call, 0
	.section	.AMDGPU.csdata,"",@progbits
; Kernel info:
; codeLenInByte = 36072
; TotalNumSgprs: 54
; NumVgprs: 12
; ScratchSize: 0
; MemoryBound: 0
; FloatMode: 240
; IeeeMode: 1
; LDSByteSize: 0 bytes/workgroup (compile time only)
; SGPRBlocks: 6
; VGPRBlocks: 2
; NumSGPRsForWavesPerEU: 54
; NumVGPRsForWavesPerEU: 12
; Occupancy: 10
; WaveLimiterHint : 0
; COMPUTE_PGM_RSRC2:SCRATCH_EN: 0
; COMPUTE_PGM_RSRC2:USER_SGPR: 6
; COMPUTE_PGM_RSRC2:TRAP_HANDLER: 0
; COMPUTE_PGM_RSRC2:TGID_X_EN: 1
; COMPUTE_PGM_RSRC2:TGID_Y_EN: 0
; COMPUTE_PGM_RSRC2:TGID_Z_EN: 0
; COMPUTE_PGM_RSRC2:TIDIG_COMP_CNT: 0
	.section	.text._ZN2at6native32elementwise_kernel_manual_unrollILi128ELi4EZNS0_15gpu_kernel_implINS0_13AUnaryFunctorIN3c108BFloat16ES5_bNS0_12_GLOBAL__N_116CompareEqFunctorIS5_EEEEEEvRNS_18TensorIteratorBaseERKT_EUlibE0_EEviT1_,"axG",@progbits,_ZN2at6native32elementwise_kernel_manual_unrollILi128ELi4EZNS0_15gpu_kernel_implINS0_13AUnaryFunctorIN3c108BFloat16ES5_bNS0_12_GLOBAL__N_116CompareEqFunctorIS5_EEEEEEvRNS_18TensorIteratorBaseERKT_EUlibE0_EEviT1_,comdat
	.globl	_ZN2at6native32elementwise_kernel_manual_unrollILi128ELi4EZNS0_15gpu_kernel_implINS0_13AUnaryFunctorIN3c108BFloat16ES5_bNS0_12_GLOBAL__N_116CompareEqFunctorIS5_EEEEEEvRNS_18TensorIteratorBaseERKT_EUlibE0_EEviT1_ ; -- Begin function _ZN2at6native32elementwise_kernel_manual_unrollILi128ELi4EZNS0_15gpu_kernel_implINS0_13AUnaryFunctorIN3c108BFloat16ES5_bNS0_12_GLOBAL__N_116CompareEqFunctorIS5_EEEEEEvRNS_18TensorIteratorBaseERKT_EUlibE0_EEviT1_
	.p2align	8
	.type	_ZN2at6native32elementwise_kernel_manual_unrollILi128ELi4EZNS0_15gpu_kernel_implINS0_13AUnaryFunctorIN3c108BFloat16ES5_bNS0_12_GLOBAL__N_116CompareEqFunctorIS5_EEEEEEvRNS_18TensorIteratorBaseERKT_EUlibE0_EEviT1_,@function
_ZN2at6native32elementwise_kernel_manual_unrollILi128ELi4EZNS0_15gpu_kernel_implINS0_13AUnaryFunctorIN3c108BFloat16ES5_bNS0_12_GLOBAL__N_116CompareEqFunctorIS5_EEEEEEvRNS_18TensorIteratorBaseERKT_EUlibE0_EEviT1_: ; @_ZN2at6native32elementwise_kernel_manual_unrollILi128ELi4EZNS0_15gpu_kernel_implINS0_13AUnaryFunctorIN3c108BFloat16ES5_bNS0_12_GLOBAL__N_116CompareEqFunctorIS5_EEEEEEvRNS_18TensorIteratorBaseERKT_EUlibE0_EEviT1_
; %bb.0:
	s_load_dword s72, s[4:5], 0x0
	s_load_dword s33, s[4:5], 0x8
	s_add_u32 s34, s4, 8
	s_addc_u32 s35, s5, 0
	v_lshl_or_b32 v8, s6, 9, v0
	v_or_b32_e32 v15, 0x180, v8
	s_waitcnt lgkmcnt(0)
	s_add_i32 s74, s33, -1
	s_cmp_gt_u32 s74, 1
	v_cmp_le_i32_e32 vcc, s72, v15
	s_cselect_b64 s[46:47], -1, 0
	s_mov_b64 s[44:45], 0
	s_mov_b64 s[6:7], 0
	s_and_saveexec_b64 s[0:1], vcc
	s_xor_b64 s[48:49], exec, s[0:1]
	s_cbranch_execz .LBB207_1086
; %bb.1:
	s_load_dwordx4 s[28:31], s[34:35], 0x4
	s_load_dwordx2 s[50:51], s[34:35], 0x14
	s_load_dwordx2 s[2:3], s[34:35], 0x158
	s_load_dword s75, s[34:35], 0x160
	s_cmp_lg_u32 s33, 0
	s_cselect_b64 s[56:57], -1, 0
	s_add_u32 s54, s34, 0xc4
	s_addc_u32 s55, s35, 0
	s_min_u32 s78, s74, 15
	s_load_dwordx4 s[36:39], s[34:35], 0xc4
	s_load_dwordx4 s[24:27], s[34:35], 0x148
	s_cmp_gt_u32 s33, 1
	s_cselect_b64 s[52:53], -1, 0
	s_waitcnt lgkmcnt(0)
	s_bfe_u32 s77, s75, 0x80008
	s_cmp_eq_u32 s2, 0
	s_cselect_b64 s[0:1], -1, 0
	s_lshl_b32 s76, s3, 16
	v_cmp_gt_i32_e32 vcc, s72, v8
	s_mov_b64 s[2:3], -1
	s_mov_b64 s[66:67], 0
	s_mov_b64 s[60:61], 0
	;; [unrolled: 1-line block ×3, first 2 shown]
	s_and_saveexec_b64 s[62:63], vcc
	s_cbranch_execz .LBB207_266
; %bb.2:
	s_andn2_b64 vcc, exec, s[46:47]
	s_cbranch_vccnz .LBB207_7
; %bb.3:
	s_andn2_b64 vcc, exec, s[56:57]
	s_cbranch_vccnz .LBB207_8
; %bb.4:
	s_add_i32 s59, s78, 1
	s_cmp_eq_u32 s74, 2
	s_cbranch_scc1 .LBB207_9
; %bb.5:
	s_and_b32 s58, s59, 28
	v_mov_b32_e32 v2, 0
	s_mov_b32 s60, 0
	s_mov_b64 s[2:3], s[34:35]
	s_mov_b64 s[6:7], s[54:55]
	v_mov_b32_e32 v0, 0
	v_mov_b32_e32 v1, v8
.LBB207_6:                              ; =>This Inner Loop Header: Depth=1
	s_load_dwordx8 s[16:23], s[2:3], 0x4
	s_load_dwordx4 s[40:43], s[2:3], 0x24
	s_load_dwordx8 s[8:15], s[6:7], 0x0
	s_add_u32 s2, s2, 48
	s_addc_u32 s3, s3, 0
	s_waitcnt lgkmcnt(0)
	v_mul_hi_u32 v3, s17, v1
	s_add_i32 s60, s60, 4
	s_add_u32 s6, s6, 32
	s_addc_u32 s7, s7, 0
	v_add_u32_e32 v3, v1, v3
	v_lshrrev_b32_e32 v3, s18, v3
	v_mul_lo_u32 v4, v3, s16
	v_mul_hi_u32 v5, s20, v3
	s_cmp_lg_u32 s58, s60
	v_sub_u32_e32 v1, v1, v4
	v_add_u32_e32 v4, v3, v5
	v_mul_lo_u32 v5, v1, s8
	v_mul_lo_u32 v6, v1, s9
	v_lshrrev_b32_e32 v1, s21, v4
	v_mul_lo_u32 v4, v1, s19
	v_mul_hi_u32 v7, s23, v1
	v_sub_u32_e32 v3, v3, v4
	v_add_u32_e32 v4, v1, v7
	v_lshrrev_b32_e32 v4, s40, v4
	v_mul_hi_u32 v9, s42, v4
	v_mul_lo_u32 v10, v4, s22
	v_mul_lo_u32 v7, v3, s10
	;; [unrolled: 1-line block ×3, first 2 shown]
	v_sub_u32_e32 v10, v1, v10
	v_add_u32_e32 v1, v4, v9
	v_lshrrev_b32_e32 v1, s43, v1
	v_mul_lo_u32 v9, v1, s41
	v_mul_lo_u32 v11, v10, s12
	;; [unrolled: 1-line block ×3, first 2 shown]
	v_add3_u32 v0, v5, v0, v7
	v_sub_u32_e32 v4, v4, v9
	v_mul_lo_u32 v9, v4, s14
	v_mul_lo_u32 v4, v4, s15
	v_add3_u32 v2, v6, v2, v3
	v_add3_u32 v0, v11, v0, v9
	;; [unrolled: 1-line block ×3, first 2 shown]
	s_cbranch_scc1 .LBB207_6
	s_branch .LBB207_10
.LBB207_7:
                                        ; implicit-def: $vgpr0
                                        ; implicit-def: $vgpr2
	s_andn2_b64 vcc, exec, s[2:3]
	s_cbranch_vccz .LBB207_14
	s_branch .LBB207_16
.LBB207_8:
	v_mov_b32_e32 v0, 0
	v_mov_b32_e32 v2, 0
	s_branch .LBB207_13
.LBB207_9:
	s_mov_b32 s58, 0
	v_mov_b32_e32 v0, 0
	v_mov_b32_e32 v2, 0
	;; [unrolled: 1-line block ×3, first 2 shown]
.LBB207_10:
	s_and_b32 s8, s59, 3
	s_cmp_eq_u32 s8, 0
	s_cbranch_scc1 .LBB207_13
; %bb.11:
	s_lshl_b32 s2, s58, 3
	s_add_u32 s2, s34, s2
	s_addc_u32 s3, s35, 0
	s_add_u32 s2, s2, 0xc4
	s_addc_u32 s3, s3, 0
	s_mul_i32 s6, s58, 12
	s_add_u32 s6, s34, s6
	s_addc_u32 s7, s35, 0
.LBB207_12:                             ; =>This Inner Loop Header: Depth=1
	s_load_dwordx2 s[10:11], s[6:7], 0x4
	s_load_dword s9, s[6:7], 0xc
	s_load_dwordx2 s[12:13], s[2:3], 0x0
	s_add_u32 s6, s6, 12
	s_addc_u32 s7, s7, 0
	s_waitcnt lgkmcnt(0)
	v_mul_hi_u32 v3, s11, v1
	s_add_u32 s2, s2, 8
	s_addc_u32 s3, s3, 0
	s_add_i32 s8, s8, -1
	v_add_u32_e32 v3, v1, v3
	v_lshrrev_b32_e32 v4, s9, v3
	v_mul_lo_u32 v3, v4, s10
	s_cmp_lg_u32 s8, 0
	v_sub_u32_e32 v3, v1, v3
	v_mad_u64_u32 v[0:1], s[10:11], v3, s12, v[0:1]
	v_mad_u64_u32 v[2:3], s[10:11], v3, s13, v[2:3]
	v_mov_b32_e32 v1, v4
	s_cbranch_scc1 .LBB207_12
.LBB207_13:
	s_cbranch_execnz .LBB207_16
.LBB207_14:
	v_mul_hi_u32 v0, s29, v8
	s_andn2_b64 vcc, exec, s[52:53]
	v_add_u32_e32 v0, v8, v0
	v_lshrrev_b32_e32 v1, s30, v0
	v_mul_lo_u32 v0, v1, s28
	v_sub_u32_e32 v2, v8, v0
	v_mul_lo_u32 v0, v2, s36
	v_mul_lo_u32 v2, v2, s37
	s_cbranch_vccnz .LBB207_16
; %bb.15:
	v_mul_hi_u32 v3, s50, v1
	v_add_u32_e32 v3, v1, v3
	v_lshrrev_b32_e32 v3, s51, v3
	v_mul_lo_u32 v3, v3, s31
	v_sub_u32_e32 v3, v1, v3
	v_mad_u64_u32 v[0:1], s[2:3], v3, s38, v[0:1]
	v_mad_u64_u32 v[2:3], s[2:3], v3, s39, v[2:3]
.LBB207_16:
	v_mov_b32_e32 v3, s27
	s_and_b32 s12, 0xffff, s77
	v_add_co_u32_e32 v1, vcc, s26, v2
	s_cmp_lt_i32 s12, 11
	v_addc_co_u32_e32 v2, vcc, 0, v3, vcc
	s_cbranch_scc1 .LBB207_23
; %bb.17:
	s_cmp_gt_i32 s12, 25
	s_cbranch_scc0 .LBB207_32
; %bb.18:
	s_cmp_gt_i32 s12, 28
	s_cbranch_scc0 .LBB207_35
	;; [unrolled: 3-line block ×4, first 2 shown]
; %bb.21:
	s_cmp_eq_u32 s12, 46
	s_mov_b64 s[6:7], 0
	s_cbranch_scc0 .LBB207_41
; %bb.22:
	global_load_dword v3, v[1:2], off
	s_mov_b64 s[2:3], -1
	s_mov_b64 s[8:9], 0
	s_branch .LBB207_43
.LBB207_23:
	s_mov_b64 s[8:9], 0
                                        ; implicit-def: $vgpr3
	s_mov_b64 s[2:3], 0
	s_cbranch_execnz .LBB207_216
.LBB207_24:
	s_andn2_b64 vcc, exec, s[2:3]
	s_cbranch_vccnz .LBB207_263
.LBB207_25:
	s_waitcnt vmcnt(0)
	v_lshlrev_b32_e32 v1, 16, v3
	v_cmp_eq_f32_e32 vcc, s76, v1
	v_cndmask_b32_e64 v2, 0, 1, vcc
	v_cmp_neq_f32_e32 vcc, s76, v1
	v_cndmask_b32_e64 v1, 0, 1, vcc
	v_cndmask_b32_e64 v1, v1, v2, s[0:1]
	v_and_b32_e32 v1, 1, v1
	v_cmp_eq_u32_e64 s[2:3], 1, v1
	v_mov_b32_e32 v1, s25
	s_and_b32 s16, s75, 0xff
	v_add_co_u32_e32 v0, vcc, s24, v0
	s_cmp_lt_i32 s16, 11
	v_addc_co_u32_e32 v1, vcc, 0, v1, vcc
	s_cbranch_scc1 .LBB207_33
; %bb.26:
	s_and_b32 s17, 0xffff, s16
	s_cmp_gt_i32 s17, 25
	s_cbranch_scc0 .LBB207_36
; %bb.27:
	s_cmp_gt_i32 s17, 28
	s_cbranch_scc0 .LBB207_38
; %bb.28:
	;; [unrolled: 3-line block ×4, first 2 shown]
	s_mov_b64 s[12:13], 0
	s_mov_b64 s[6:7], -1
	s_cmp_eq_u32 s17, 46
	s_mov_b64 s[10:11], 0
	s_cbranch_scc0 .LBB207_47
; %bb.31:
	v_cndmask_b32_e64 v2, 0, 1.0, s[2:3]
	v_bfe_u32 v3, v2, 16, 1
	s_movk_i32 s6, 0x7fff
	v_add3_u32 v2, v2, v3, s6
	v_lshrrev_b32_e32 v2, 16, v2
	global_store_dword v[0:1], v2, off
	s_mov_b64 s[10:11], -1
	s_mov_b64 s[6:7], 0
	s_branch .LBB207_47
.LBB207_32:
	s_mov_b64 s[8:9], 0
	s_mov_b64 s[2:3], 0
                                        ; implicit-def: $vgpr3
	s_cbranch_execnz .LBB207_181
	s_branch .LBB207_215
.LBB207_33:
	s_mov_b64 s[6:7], 0
	s_mov_b64 s[10:11], 0
	s_cbranch_execnz .LBB207_116
.LBB207_34:
	s_andn2_b64 vcc, exec, s[10:11]
	s_cbranch_vccnz .LBB207_264
	s_branch .LBB207_154
.LBB207_35:
	s_mov_b64 s[6:7], -1
	s_mov_b64 s[8:9], 0
	s_mov_b64 s[2:3], 0
                                        ; implicit-def: $vgpr3
	s_branch .LBB207_162
.LBB207_36:
	s_mov_b64 s[12:13], -1
	s_mov_b64 s[6:7], 0
	s_mov_b64 s[10:11], 0
	s_branch .LBB207_74
.LBB207_37:
	s_mov_b64 s[6:7], -1
	s_mov_b64 s[8:9], 0
	s_mov_b64 s[2:3], 0
                                        ; implicit-def: $vgpr3
	s_branch .LBB207_157
.LBB207_38:
	s_mov_b64 s[12:13], -1
	s_mov_b64 s[6:7], 0
	s_mov_b64 s[10:11], 0
	s_branch .LBB207_57
.LBB207_39:
	s_mov_b64 s[6:7], -1
	s_mov_b64 s[8:9], 0
	s_branch .LBB207_42
.LBB207_40:
	s_mov_b64 s[12:13], -1
	s_mov_b64 s[6:7], 0
	s_mov_b64 s[10:11], 0
	s_branch .LBB207_53
.LBB207_41:
	s_mov_b64 s[8:9], -1
.LBB207_42:
	s_mov_b64 s[2:3], 0
                                        ; implicit-def: $vgpr3
.LBB207_43:
	s_and_b64 vcc, exec, s[6:7]
	s_cbranch_vccz .LBB207_156
; %bb.44:
	s_cmp_eq_u32 s12, 44
	s_cbranch_scc0 .LBB207_155
; %bb.45:
	global_load_ubyte v3, v[1:2], off
	s_movk_i32 s6, 0xff
	v_mov_b32_e32 v4, 0x7f800001
	v_mov_b32_e32 v5, 0x400000
	v_mov_b32_e32 v6, 0x7fc0
	s_mov_b64 s[2:3], -1
	s_mov_b64 s[8:9], 0
	s_waitcnt vmcnt(0)
	v_lshlrev_b32_e32 v7, 23, v3
	v_cmp_ne_u32_e32 vcc, s6, v3
	v_cndmask_b32_e32 v4, v4, v7, vcc
	v_cmp_ne_u32_e32 vcc, 0, v3
	v_cndmask_b32_e32 v3, v5, v4, vcc
	v_add_u32_e32 v4, 0x7fff, v3
	v_cmp_o_f32_e32 vcc, v3, v3
	v_cndmask_b32_sdwa v3, v6, v4, vcc dst_sel:DWORD dst_unused:UNUSED_PAD src0_sel:DWORD src1_sel:WORD_1
	s_branch .LBB207_156
.LBB207_46:
	s_mov_b64 s[12:13], -1
	s_mov_b64 s[6:7], 0
	s_mov_b64 s[10:11], 0
.LBB207_47:
	s_and_b64 vcc, exec, s[12:13]
	s_cbranch_vccz .LBB207_52
; %bb.48:
	s_cmp_eq_u32 s17, 44
	s_mov_b64 s[6:7], -1
	s_cbranch_scc0 .LBB207_52
; %bb.49:
	v_cndmask_b32_e64 v3, 0, 1.0, s[2:3]
	v_lshrrev_b32_e32 v2, 23, v3
	s_movk_i32 s6, 0xff
	v_cmp_ne_u32_e32 vcc, s6, v2
	v_mov_b32_e32 v4, 0xff
	s_and_saveexec_b64 s[10:11], vcc
; %bb.50:
	s_mov_b32 s6, 0x3fffff
	v_and_b32_e32 v4, 0x400000, v3
	v_and_or_b32 v3, v3, s6, v2
	v_cmp_ne_u32_e32 vcc, 0, v4
	v_cmp_ne_u32_e64 s[6:7], 0, v3
	s_and_b64 s[6:7], vcc, s[6:7]
	v_cndmask_b32_e64 v3, 0, 1, s[6:7]
	v_add_u32_e32 v4, v2, v3
; %bb.51:
	s_or_b64 exec, exec, s[10:11]
	s_mov_b64 s[10:11], -1
	s_mov_b64 s[6:7], 0
	global_store_byte v[0:1], v4, off
.LBB207_52:
	s_mov_b64 s[12:13], 0
.LBB207_53:
	s_and_b64 vcc, exec, s[12:13]
	s_cbranch_vccz .LBB207_56
; %bb.54:
	s_cmp_eq_u32 s17, 29
	s_mov_b64 s[6:7], -1
	s_cbranch_scc0 .LBB207_56
; %bb.55:
	s_mov_b32 s6, 0
	v_cndmask_b32_e64 v2, 0, 1, s[2:3]
	v_mov_b32_e32 v3, s6
	global_store_dwordx2 v[0:1], v[2:3], off
	s_mov_b64 s[10:11], -1
	s_mov_b64 s[6:7], 0
.LBB207_56:
	s_mov_b64 s[12:13], 0
.LBB207_57:
	s_and_b64 vcc, exec, s[12:13]
	s_cbranch_vccz .LBB207_73
; %bb.58:
	s_cmp_lt_i32 s17, 27
	s_mov_b64 s[10:11], -1
	s_cbranch_scc1 .LBB207_64
; %bb.59:
	s_cmp_gt_i32 s17, 27
	s_cbranch_scc0 .LBB207_61
; %bb.60:
	v_cndmask_b32_e64 v2, 0, 1, s[2:3]
	s_mov_b64 s[10:11], 0
	global_store_dword v[0:1], v2, off
.LBB207_61:
	s_andn2_b64 vcc, exec, s[10:11]
	s_cbranch_vccnz .LBB207_63
; %bb.62:
	v_cndmask_b32_e64 v2, 0, 1, s[2:3]
	global_store_short v[0:1], v2, off
.LBB207_63:
	s_mov_b64 s[10:11], 0
.LBB207_64:
	s_andn2_b64 vcc, exec, s[10:11]
	s_cbranch_vccnz .LBB207_72
; %bb.65:
	v_cndmask_b32_e64 v3, 0, 1.0, s[2:3]
	s_mov_b32 s10, 0x43800000
	v_cmp_gt_u32_e32 vcc, s10, v3
	v_mov_b32_e32 v4, 0x80
	s_and_saveexec_b64 s[10:11], vcc
	s_cbranch_execz .LBB207_71
; %bb.66:
	s_mov_b32 s12, 0x3bffffff
	v_cmp_lt_u32_e32 vcc, s12, v3
	s_mov_b64 s[12:13], 0
                                        ; implicit-def: $vgpr2
	s_and_saveexec_b64 s[14:15], vcc
	s_xor_b64 s[14:15], exec, s[14:15]
	s_cbranch_execz .LBB207_307
; %bb.67:
	v_bfe_u32 v2, v3, 20, 1
	s_mov_b32 s18, 0x487ffff
	v_add3_u32 v2, v3, v2, s18
	s_mov_b64 s[12:13], exec
	v_lshrrev_b32_e32 v2, 20, v2
                                        ; implicit-def: $vgpr3
	s_andn2_saveexec_b64 s[14:15], s[14:15]
	s_cbranch_execnz .LBB207_308
.LBB207_68:
	s_or_b64 exec, exec, s[14:15]
	v_mov_b32_e32 v4, 0
	s_and_saveexec_b64 s[14:15], s[12:13]
.LBB207_69:
	v_mov_b32_e32 v4, v2
.LBB207_70:
	s_or_b64 exec, exec, s[14:15]
.LBB207_71:
	s_or_b64 exec, exec, s[10:11]
	global_store_byte v[0:1], v4, off
.LBB207_72:
	s_mov_b64 s[10:11], -1
.LBB207_73:
	s_mov_b64 s[12:13], 0
.LBB207_74:
	s_and_b64 vcc, exec, s[12:13]
	s_cbranch_vccz .LBB207_115
; %bb.75:
	s_cmp_gt_i32 s17, 22
	s_mov_b64 s[12:13], -1
	s_cbranch_scc0 .LBB207_107
; %bb.76:
	s_cmp_lt_i32 s17, 24
	s_mov_b64 s[10:11], -1
	s_cbranch_scc1 .LBB207_96
; %bb.77:
	s_cmp_gt_i32 s17, 24
	s_cbranch_scc0 .LBB207_85
; %bb.78:
	v_cndmask_b32_e64 v3, 0, 1.0, s[2:3]
	s_mov_b32 s10, 0x47800000
	v_cmp_gt_u32_e32 vcc, s10, v3
	v_mov_b32_e32 v4, 0x80
	s_and_saveexec_b64 s[10:11], vcc
	s_cbranch_execz .LBB207_84
; %bb.79:
	s_mov_b32 s12, 0x37ffffff
	v_cmp_lt_u32_e32 vcc, s12, v3
	s_mov_b64 s[12:13], 0
                                        ; implicit-def: $vgpr2
	s_and_saveexec_b64 s[14:15], vcc
	s_xor_b64 s[14:15], exec, s[14:15]
	s_cbranch_execz .LBB207_311
; %bb.80:
	v_bfe_u32 v2, v3, 21, 1
	s_mov_b32 s18, 0x88fffff
	v_add3_u32 v2, v3, v2, s18
	s_mov_b64 s[12:13], exec
	v_lshrrev_b32_e32 v2, 21, v2
                                        ; implicit-def: $vgpr3
	s_andn2_saveexec_b64 s[14:15], s[14:15]
	s_cbranch_execnz .LBB207_312
.LBB207_81:
	s_or_b64 exec, exec, s[14:15]
	v_mov_b32_e32 v4, 0
	s_and_saveexec_b64 s[14:15], s[12:13]
.LBB207_82:
	v_mov_b32_e32 v4, v2
.LBB207_83:
	s_or_b64 exec, exec, s[14:15]
.LBB207_84:
	s_or_b64 exec, exec, s[10:11]
	s_mov_b64 s[10:11], 0
	global_store_byte v[0:1], v4, off
.LBB207_85:
	s_and_b64 vcc, exec, s[10:11]
	s_cbranch_vccz .LBB207_95
; %bb.86:
	v_cndmask_b32_e64 v2, 0, 1.0, s[2:3]
	s_mov_b32 s10, 0x43f00000
	v_cmp_gt_u32_e32 vcc, s10, v2
                                        ; implicit-def: $vgpr3
	s_and_saveexec_b64 s[10:11], vcc
	s_xor_b64 s[10:11], exec, s[10:11]
	s_cbranch_execz .LBB207_92
; %bb.87:
	s_mov_b32 s12, 0x3c7fffff
	v_cmp_lt_u32_e32 vcc, s12, v2
                                        ; implicit-def: $vgpr3
	s_and_saveexec_b64 s[12:13], vcc
	s_xor_b64 s[12:13], exec, s[12:13]
; %bb.88:
	v_bfe_u32 v3, v2, 20, 1
	s_mov_b32 s14, 0x407ffff
	v_add3_u32 v2, v2, v3, s14
	v_lshrrev_b32_e32 v3, 20, v2
	v_and_b32_e32 v2, 0xff00000, v2
	s_mov_b32 s14, 0x7f00000
	v_mov_b32_e32 v4, 0x7e
	v_cmp_ne_u32_e32 vcc, s14, v2
	v_cndmask_b32_e32 v3, v4, v3, vcc
                                        ; implicit-def: $vgpr2
; %bb.89:
	s_andn2_saveexec_b64 s[12:13], s[12:13]
; %bb.90:
	v_add_f32_e32 v3, 0x46800000, v2
; %bb.91:
	s_or_b64 exec, exec, s[12:13]
                                        ; implicit-def: $vgpr2
.LBB207_92:
	s_andn2_saveexec_b64 s[10:11], s[10:11]
; %bb.93:
	s_mov_b32 s12, 0x7f800000
	v_mov_b32_e32 v3, 0x7e
	v_mov_b32_e32 v4, 0x7f
	v_cmp_lt_u32_e32 vcc, s12, v2
	v_cndmask_b32_e32 v3, v3, v4, vcc
; %bb.94:
	s_or_b64 exec, exec, s[10:11]
	global_store_byte v[0:1], v3, off
.LBB207_95:
	s_mov_b64 s[10:11], 0
.LBB207_96:
	s_andn2_b64 vcc, exec, s[10:11]
	s_cbranch_vccnz .LBB207_106
; %bb.97:
	v_cndmask_b32_e64 v2, 0, 1.0, s[2:3]
	s_mov_b32 s10, 0x47800000
	v_cmp_gt_u32_e32 vcc, s10, v2
                                        ; implicit-def: $vgpr3
	s_and_saveexec_b64 s[10:11], vcc
	s_xor_b64 s[10:11], exec, s[10:11]
	s_cbranch_execz .LBB207_103
; %bb.98:
	s_mov_b32 s12, 0x387fffff
	v_cmp_lt_u32_e32 vcc, s12, v2
                                        ; implicit-def: $vgpr3
	s_and_saveexec_b64 s[12:13], vcc
	s_xor_b64 s[12:13], exec, s[12:13]
; %bb.99:
	v_bfe_u32 v3, v2, 21, 1
	s_mov_b32 s14, 0x80fffff
	v_add3_u32 v2, v2, v3, s14
	v_lshrrev_b32_e32 v3, 21, v2
                                        ; implicit-def: $vgpr2
; %bb.100:
	s_andn2_saveexec_b64 s[12:13], s[12:13]
; %bb.101:
	v_add_f32_e32 v3, 0x43000000, v2
; %bb.102:
	s_or_b64 exec, exec, s[12:13]
                                        ; implicit-def: $vgpr2
.LBB207_103:
	s_andn2_saveexec_b64 s[10:11], s[10:11]
; %bb.104:
	s_mov_b32 s12, 0x7f800000
	v_mov_b32_e32 v3, 0x7c
	v_mov_b32_e32 v4, 0x7f
	v_cmp_lt_u32_e32 vcc, s12, v2
	v_cndmask_b32_e32 v3, v3, v4, vcc
; %bb.105:
	s_or_b64 exec, exec, s[10:11]
	global_store_byte v[0:1], v3, off
.LBB207_106:
	s_mov_b64 s[12:13], 0
	s_mov_b64 s[10:11], -1
.LBB207_107:
	s_andn2_b64 vcc, exec, s[12:13]
	s_cbranch_vccnz .LBB207_115
; %bb.108:
	s_cmp_gt_i32 s17, 14
	s_mov_b64 s[12:13], -1
	s_cbranch_scc0 .LBB207_112
; %bb.109:
	s_cmp_eq_u32 s17, 15
	s_mov_b64 s[6:7], -1
	s_cbranch_scc0 .LBB207_111
; %bb.110:
	v_cndmask_b32_e64 v2, 0, 1.0, s[2:3]
	v_bfe_u32 v3, v2, 16, 1
	s_movk_i32 s6, 0x7fff
	v_add3_u32 v2, v2, v3, s6
	global_store_short_d16_hi v[0:1], v2, off
	s_mov_b64 s[10:11], -1
	s_mov_b64 s[6:7], 0
.LBB207_111:
	s_mov_b64 s[12:13], 0
.LBB207_112:
	s_and_b64 vcc, exec, s[12:13]
	s_cbranch_vccz .LBB207_115
; %bb.113:
	s_cmp_eq_u32 s17, 11
	s_mov_b64 s[6:7], -1
	s_cbranch_scc0 .LBB207_115
; %bb.114:
	v_cndmask_b32_e64 v2, 0, 1, s[2:3]
	s_mov_b64 s[10:11], -1
	s_mov_b64 s[6:7], 0
	global_store_byte v[0:1], v2, off
.LBB207_115:
	s_branch .LBB207_34
.LBB207_116:
	s_and_b32 s12, 0xffff, s16
	s_cmp_lt_i32 s12, 5
	s_mov_b64 s[10:11], -1
	s_cbranch_scc1 .LBB207_137
; %bb.117:
	s_cmp_lt_i32 s12, 8
	s_cbranch_scc1 .LBB207_127
; %bb.118:
	s_cmp_lt_i32 s12, 9
	s_cbranch_scc1 .LBB207_124
; %bb.119:
	s_cmp_gt_i32 s12, 9
	s_cbranch_scc0 .LBB207_121
; %bb.120:
	v_cndmask_b32_e64 v2, 0, 1, s[2:3]
	v_cvt_f64_u32_e32 v[2:3], v2
	v_mov_b32_e32 v4, 0
	v_mov_b32_e32 v5, v4
	s_mov_b64 s[10:11], 0
	global_store_dwordx4 v[0:1], v[2:5], off
.LBB207_121:
	s_andn2_b64 vcc, exec, s[10:11]
	s_cbranch_vccnz .LBB207_123
; %bb.122:
	v_cndmask_b32_e64 v2, 0, 1.0, s[2:3]
	v_mov_b32_e32 v3, 0
	global_store_dwordx2 v[0:1], v[2:3], off
.LBB207_123:
	s_mov_b64 s[10:11], 0
.LBB207_124:
	s_andn2_b64 vcc, exec, s[10:11]
	s_cbranch_vccnz .LBB207_126
; %bb.125:
	v_cndmask_b32_e64 v2, 0, 1.0, s[2:3]
	v_cvt_f16_f32_e32 v2, v2
	global_store_dword v[0:1], v2, off
.LBB207_126:
	s_mov_b64 s[10:11], 0
.LBB207_127:
	s_andn2_b64 vcc, exec, s[10:11]
	s_cbranch_vccnz .LBB207_136
; %bb.128:
	s_cmp_lt_i32 s12, 6
	s_mov_b64 s[10:11], -1
	s_cbranch_scc1 .LBB207_134
; %bb.129:
	s_cmp_gt_i32 s12, 6
	s_cbranch_scc0 .LBB207_131
; %bb.130:
	v_cndmask_b32_e64 v2, 0, 1, s[2:3]
	v_cvt_f64_u32_e32 v[2:3], v2
	s_mov_b64 s[10:11], 0
	global_store_dwordx2 v[0:1], v[2:3], off
.LBB207_131:
	s_andn2_b64 vcc, exec, s[10:11]
	s_cbranch_vccnz .LBB207_133
; %bb.132:
	v_cndmask_b32_e64 v2, 0, 1.0, s[2:3]
	global_store_dword v[0:1], v2, off
.LBB207_133:
	s_mov_b64 s[10:11], 0
.LBB207_134:
	s_andn2_b64 vcc, exec, s[10:11]
	s_cbranch_vccnz .LBB207_136
; %bb.135:
	v_cndmask_b32_e64 v2, 0, 1.0, s[2:3]
	v_cvt_f16_f32_e32 v2, v2
	global_store_short v[0:1], v2, off
.LBB207_136:
	s_mov_b64 s[10:11], 0
.LBB207_137:
	s_andn2_b64 vcc, exec, s[10:11]
	s_cbranch_vccnz .LBB207_153
; %bb.138:
	s_cmp_lt_i32 s12, 2
	s_mov_b64 s[10:11], -1
	s_cbranch_scc1 .LBB207_148
; %bb.139:
	s_cmp_lt_i32 s12, 3
	s_cbranch_scc1 .LBB207_145
; %bb.140:
	s_cmp_gt_i32 s12, 3
	s_cbranch_scc0 .LBB207_142
; %bb.141:
	s_mov_b32 s10, 0
	v_cndmask_b32_e64 v2, 0, 1, s[2:3]
	v_mov_b32_e32 v3, s10
	global_store_dwordx2 v[0:1], v[2:3], off
	s_mov_b64 s[10:11], 0
.LBB207_142:
	s_andn2_b64 vcc, exec, s[10:11]
	s_cbranch_vccnz .LBB207_144
; %bb.143:
	v_cndmask_b32_e64 v2, 0, 1, s[2:3]
	global_store_dword v[0:1], v2, off
.LBB207_144:
	s_mov_b64 s[10:11], 0
.LBB207_145:
	s_andn2_b64 vcc, exec, s[10:11]
	s_cbranch_vccnz .LBB207_147
; %bb.146:
	v_cndmask_b32_e64 v2, 0, 1, s[2:3]
	global_store_short v[0:1], v2, off
.LBB207_147:
	s_mov_b64 s[10:11], 0
.LBB207_148:
	s_andn2_b64 vcc, exec, s[10:11]
	s_cbranch_vccnz .LBB207_153
; %bb.149:
	s_cmp_gt_i32 s12, 0
	s_mov_b64 s[10:11], -1
	s_cbranch_scc0 .LBB207_151
; %bb.150:
	v_cndmask_b32_e64 v2, 0, 1, s[2:3]
	global_store_byte v[0:1], v2, off
	s_mov_b64 s[10:11], 0
.LBB207_151:
	s_andn2_b64 vcc, exec, s[10:11]
	s_cbranch_vccnz .LBB207_153
; %bb.152:
	v_cndmask_b32_e64 v2, 0, 1, s[2:3]
	global_store_byte v[0:1], v2, off
.LBB207_153:
.LBB207_154:
	v_add_u32_e32 v8, 0x80, v8
	s_mov_b64 s[2:3], -1
	s_branch .LBB207_265
.LBB207_155:
	s_mov_b64 s[8:9], -1
                                        ; implicit-def: $vgpr3
.LBB207_156:
	s_mov_b64 s[6:7], 0
.LBB207_157:
	s_and_b64 vcc, exec, s[6:7]
	s_cbranch_vccz .LBB207_161
; %bb.158:
	s_cmp_eq_u32 s12, 29
	s_cbranch_scc0 .LBB207_160
; %bb.159:
	global_load_dwordx2 v[3:4], v[1:2], off
	s_movk_i32 s6, 0x7fff
	s_mov_b64 s[2:3], -1
	s_mov_b64 s[8:9], 0
	s_waitcnt vmcnt(0)
	v_ffbh_u32_e32 v5, v4
	v_min_u32_e32 v5, 32, v5
	v_lshlrev_b64 v[3:4], v5, v[3:4]
	v_min_u32_e32 v3, 1, v3
	v_or_b32_e32 v3, v4, v3
	v_cvt_f32_u32_e32 v3, v3
	v_sub_u32_e32 v4, 32, v5
	v_ldexp_f32 v3, v3, v4
	v_bfe_u32 v4, v3, 16, 1
	v_add3_u32 v3, v3, v4, s6
	v_lshrrev_b32_e32 v3, 16, v3
	s_branch .LBB207_161
.LBB207_160:
	s_mov_b64 s[8:9], -1
                                        ; implicit-def: $vgpr3
.LBB207_161:
	s_mov_b64 s[6:7], 0
.LBB207_162:
	s_and_b64 vcc, exec, s[6:7]
	s_cbranch_vccz .LBB207_180
; %bb.163:
	s_cmp_lt_i32 s12, 27
	s_cbranch_scc1 .LBB207_166
; %bb.164:
	s_cmp_gt_i32 s12, 27
	s_cbranch_scc0 .LBB207_167
; %bb.165:
	global_load_dword v3, v[1:2], off
	s_movk_i32 s2, 0x7fff
	s_waitcnt vmcnt(0)
	v_cvt_f32_u32_e32 v3, v3
	v_bfe_u32 v4, v3, 16, 1
	v_add3_u32 v3, v3, v4, s2
	v_lshrrev_b32_e32 v3, 16, v3
	s_mov_b64 s[2:3], 0
	s_branch .LBB207_168
.LBB207_166:
	s_mov_b64 s[2:3], -1
                                        ; implicit-def: $vgpr3
	s_branch .LBB207_171
.LBB207_167:
	s_mov_b64 s[2:3], -1
                                        ; implicit-def: $vgpr3
.LBB207_168:
	s_andn2_b64 vcc, exec, s[2:3]
	s_cbranch_vccnz .LBB207_170
; %bb.169:
	global_load_ushort v3, v[1:2], off
	s_movk_i32 s2, 0x7fff
	s_waitcnt vmcnt(0)
	v_cvt_f32_u32_e32 v3, v3
	v_bfe_u32 v4, v3, 16, 1
	v_add3_u32 v3, v3, v4, s2
	v_lshrrev_b32_e32 v3, 16, v3
.LBB207_170:
	s_mov_b64 s[2:3], 0
.LBB207_171:
	s_andn2_b64 vcc, exec, s[2:3]
	s_cbranch_vccnz .LBB207_179
; %bb.172:
	global_load_ubyte v3, v[1:2], off
	s_movk_i32 s2, 0x7f
	s_waitcnt vmcnt(0)
	v_cmp_lt_i16_e32 vcc, s2, v3
	s_mov_b64 s[2:3], 0
	s_and_saveexec_b64 s[6:7], vcc
	s_xor_b64 s[6:7], exec, s[6:7]
	s_cbranch_execz .LBB207_192
; %bb.173:
	s_movk_i32 s2, 0x80
	v_cmp_eq_u16_e32 vcc, s2, v3
	s_mov_b64 s[2:3], -1
	s_and_saveexec_b64 s[10:11], vcc
; %bb.174:
	s_xor_b64 s[2:3], exec, -1
; %bb.175:
	s_or_b64 exec, exec, s[10:11]
	s_and_b64 s[2:3], s[2:3], exec
	s_or_saveexec_b64 s[6:7], s[6:7]
	v_mov_b32_e32 v4, 0x7f800001
	s_xor_b64 exec, exec, s[6:7]
	s_cbranch_execnz .LBB207_193
.LBB207_176:
	s_or_b64 exec, exec, s[6:7]
	s_and_saveexec_b64 s[6:7], s[2:3]
	s_cbranch_execz .LBB207_178
.LBB207_177:
	v_lshlrev_b32_e32 v4, 24, v3
	v_and_b32_e32 v3, 0xffff, v3
	v_and_b32_e32 v5, 7, v3
	v_ffbh_u32_e32 v7, v5
	v_min_u32_e32 v7, 32, v7
	v_subrev_u32_e32 v9, 28, v7
	v_bfe_u32 v6, v3, 3, 4
	v_lshlrev_b32_e32 v3, v9, v3
	v_sub_u32_e32 v7, 29, v7
	v_and_b32_e32 v3, 7, v3
	v_cmp_eq_u32_e32 vcc, 0, v6
	v_cndmask_b32_e32 v6, v6, v7, vcc
	v_cndmask_b32_e32 v3, v5, v3, vcc
	v_mov_b32_e32 v5, 0x3b800000
	v_lshlrev_b32_e32 v3, 20, v3
	v_and_b32_e32 v4, 0x80000000, v4
	v_lshl_add_u32 v5, v6, 23, v5
	v_or3_b32 v4, v4, v5, v3
.LBB207_178:
	s_or_b64 exec, exec, s[6:7]
	v_bfe_u32 v3, v4, 16, 1
	s_movk_i32 s2, 0x7fff
	v_add3_u32 v3, v4, v3, s2
	v_cmp_o_f32_e32 vcc, v4, v4
	v_mov_b32_e32 v4, 0x7fc0
	v_cndmask_b32_sdwa v3, v4, v3, vcc dst_sel:DWORD dst_unused:UNUSED_PAD src0_sel:DWORD src1_sel:WORD_1
.LBB207_179:
	s_mov_b64 s[2:3], -1
.LBB207_180:
	s_branch .LBB207_215
.LBB207_181:
	s_cmp_gt_i32 s12, 22
	s_cbranch_scc0 .LBB207_191
; %bb.182:
	s_cmp_lt_i32 s12, 24
	s_cbranch_scc1 .LBB207_194
; %bb.183:
	s_cmp_gt_i32 s12, 24
	s_cbranch_scc0 .LBB207_195
; %bb.184:
	global_load_ubyte v3, v[1:2], off
	s_movk_i32 s2, 0x7f
	s_waitcnt vmcnt(0)
	v_cmp_lt_i16_e32 vcc, s2, v3
	s_mov_b64 s[2:3], 0
	s_and_saveexec_b64 s[6:7], vcc
	s_xor_b64 s[6:7], exec, s[6:7]
	s_cbranch_execz .LBB207_207
; %bb.185:
	s_movk_i32 s2, 0x80
	v_cmp_eq_u16_e32 vcc, s2, v3
	s_mov_b64 s[2:3], -1
	s_and_saveexec_b64 s[10:11], vcc
; %bb.186:
	s_xor_b64 s[2:3], exec, -1
; %bb.187:
	s_or_b64 exec, exec, s[10:11]
	s_and_b64 s[2:3], s[2:3], exec
	s_or_saveexec_b64 s[6:7], s[6:7]
	v_mov_b32_e32 v4, 0x7f800001
	s_xor_b64 exec, exec, s[6:7]
	s_cbranch_execnz .LBB207_208
.LBB207_188:
	s_or_b64 exec, exec, s[6:7]
	s_and_saveexec_b64 s[6:7], s[2:3]
	s_cbranch_execz .LBB207_190
.LBB207_189:
	v_lshlrev_b32_e32 v4, 24, v3
	v_and_b32_e32 v3, 0xffff, v3
	v_and_b32_e32 v5, 3, v3
	v_ffbh_u32_e32 v7, v5
	v_min_u32_e32 v7, 32, v7
	v_subrev_u32_e32 v9, 29, v7
	v_bfe_u32 v6, v3, 2, 5
	v_lshlrev_b32_e32 v3, v9, v3
	v_sub_u32_e32 v7, 30, v7
	v_and_b32_e32 v3, 3, v3
	v_cmp_eq_u32_e32 vcc, 0, v6
	v_cndmask_b32_e32 v6, v6, v7, vcc
	v_cndmask_b32_e32 v3, v5, v3, vcc
	v_mov_b32_e32 v5, 0x37800000
	v_lshlrev_b32_e32 v3, 21, v3
	v_and_b32_e32 v4, 0x80000000, v4
	v_lshl_add_u32 v5, v6, 23, v5
	v_or3_b32 v4, v4, v5, v3
.LBB207_190:
	s_or_b64 exec, exec, s[6:7]
	v_bfe_u32 v3, v4, 16, 1
	s_movk_i32 s2, 0x7fff
	v_add3_u32 v3, v4, v3, s2
	v_cmp_o_f32_e32 vcc, v4, v4
	v_mov_b32_e32 v4, 0x7fc0
	v_cndmask_b32_sdwa v3, v4, v3, vcc dst_sel:DWORD dst_unused:UNUSED_PAD src0_sel:DWORD src1_sel:WORD_1
	s_mov_b64 s[2:3], 0
	s_branch .LBB207_196
.LBB207_191:
	s_mov_b64 s[6:7], -1
                                        ; implicit-def: $vgpr3
	s_branch .LBB207_202
.LBB207_192:
	s_or_saveexec_b64 s[6:7], s[6:7]
	v_mov_b32_e32 v4, 0x7f800001
	s_xor_b64 exec, exec, s[6:7]
	s_cbranch_execz .LBB207_176
.LBB207_193:
	v_cmp_ne_u16_e32 vcc, 0, v3
	s_andn2_b64 s[2:3], s[2:3], exec
	s_and_b64 s[10:11], vcc, exec
	v_mov_b32_e32 v4, 0
	s_or_b64 s[2:3], s[2:3], s[10:11]
	s_or_b64 exec, exec, s[6:7]
	s_and_saveexec_b64 s[6:7], s[2:3]
	s_cbranch_execnz .LBB207_177
	s_branch .LBB207_178
.LBB207_194:
	s_mov_b64 s[2:3], -1
                                        ; implicit-def: $vgpr3
	s_branch .LBB207_199
.LBB207_195:
	s_mov_b64 s[2:3], -1
                                        ; implicit-def: $vgpr3
.LBB207_196:
	s_and_b64 vcc, exec, s[2:3]
	s_cbranch_vccz .LBB207_198
; %bb.197:
	global_load_ubyte v3, v[1:2], off
	s_mov_b32 s2, 0x7f800000
	s_brev_b32 s3, 1
	s_movk_i32 s6, 0x7fff
	s_waitcnt vmcnt(0)
	v_lshlrev_b32_e32 v3, 24, v3
	v_and_b32_e32 v4, 0x7f000000, v3
	v_ffbh_u32_e32 v5, v4
	v_min_u32_e32 v5, 32, v5
	v_sub_u32_e64 v5, v5, 4 clamp
	v_lshlrev_b32_e32 v7, v5, v4
	v_lshlrev_b32_e32 v5, 23, v5
	v_lshrrev_b32_e32 v7, 4, v7
	v_add_u32_e32 v6, 0x1000000, v4
	v_sub_u32_e32 v5, v7, v5
	v_ashrrev_i32_e32 v6, 8, v6
	v_add_u32_e32 v5, 0x3c000000, v5
	v_and_or_b32 v5, v6, s2, v5
	v_cmp_ne_u32_e32 vcc, 0, v4
	v_cndmask_b32_e32 v4, 0, v5, vcc
	v_and_or_b32 v3, v3, s3, v4
	v_bfe_u32 v4, v4, 16, 1
	v_add3_u32 v4, v3, v4, s6
	v_cmp_o_f32_e32 vcc, v3, v3
	v_mov_b32_e32 v3, 0x7fc0
	v_cndmask_b32_sdwa v3, v3, v4, vcc dst_sel:DWORD dst_unused:UNUSED_PAD src0_sel:DWORD src1_sel:WORD_1
.LBB207_198:
	s_mov_b64 s[2:3], 0
.LBB207_199:
	s_andn2_b64 vcc, exec, s[2:3]
	s_cbranch_vccnz .LBB207_201
; %bb.200:
	global_load_ubyte v3, v[1:2], off
	s_movk_i32 s2, 0x7f00
	s_brev_b32 s3, 16
	s_brev_b32 s6, 1
	s_movk_i32 s7, 0x7fff
	s_waitcnt vmcnt(0)
	v_lshlrev_b16_e32 v4, 8, v3
	v_lshlrev_b32_e32 v3, 25, v3
	v_lshrrev_b32_e32 v5, 4, v3
	v_and_or_b32 v6, v4, s2, 0.5
	v_or_b32_e32 v5, 0x70000000, v5
	v_add_f32_e32 v6, -0.5, v6
	v_mul_f32_e32 v5, 0x7800000, v5
	v_cmp_gt_u32_e32 vcc, s3, v3
	v_bfe_i32 v4, v4, 0, 16
	v_cndmask_b32_e32 v3, v5, v6, vcc
	v_and_or_b32 v4, v4, s6, v3
	v_bfe_u32 v3, v3, 16, 1
	v_add3_u32 v3, v4, v3, s7
	v_cmp_o_f32_e32 vcc, v4, v4
	v_mov_b32_e32 v4, 0x7fc0
	v_cndmask_b32_sdwa v3, v4, v3, vcc dst_sel:DWORD dst_unused:UNUSED_PAD src0_sel:DWORD src1_sel:WORD_1
.LBB207_201:
	s_mov_b64 s[6:7], 0
	s_mov_b64 s[2:3], -1
.LBB207_202:
	s_andn2_b64 vcc, exec, s[6:7]
	s_cbranch_vccnz .LBB207_215
; %bb.203:
	s_cmp_gt_i32 s12, 14
	s_cbranch_scc0 .LBB207_206
; %bb.204:
	s_cmp_eq_u32 s12, 15
	s_cbranch_scc0 .LBB207_209
; %bb.205:
	global_load_ushort v3, v[1:2], off
	s_mov_b64 s[2:3], -1
	s_mov_b64 s[8:9], 0
	s_branch .LBB207_210
.LBB207_206:
	s_mov_b64 s[6:7], -1
                                        ; implicit-def: $vgpr3
	s_branch .LBB207_211
.LBB207_207:
	s_or_saveexec_b64 s[6:7], s[6:7]
	v_mov_b32_e32 v4, 0x7f800001
	s_xor_b64 exec, exec, s[6:7]
	s_cbranch_execz .LBB207_188
.LBB207_208:
	v_cmp_ne_u16_e32 vcc, 0, v3
	s_andn2_b64 s[2:3], s[2:3], exec
	s_and_b64 s[10:11], vcc, exec
	v_mov_b32_e32 v4, 0
	s_or_b64 s[2:3], s[2:3], s[10:11]
	s_or_b64 exec, exec, s[6:7]
	s_and_saveexec_b64 s[6:7], s[2:3]
	s_cbranch_execnz .LBB207_189
	s_branch .LBB207_190
.LBB207_209:
	s_mov_b64 s[8:9], -1
                                        ; implicit-def: $vgpr3
.LBB207_210:
	s_mov_b64 s[6:7], 0
.LBB207_211:
	s_and_b64 vcc, exec, s[6:7]
	s_cbranch_vccz .LBB207_215
; %bb.212:
	s_cmp_eq_u32 s12, 11
	s_cbranch_scc0 .LBB207_214
; %bb.213:
	global_load_ubyte v3, v[1:2], off
	s_mov_b64 s[2:3], -1
	s_mov_b64 s[8:9], 0
	s_waitcnt vmcnt(0)
	v_cmp_ne_u16_e32 vcc, 0, v3
	v_cndmask_b32_e64 v3, 0, 1.0, vcc
	v_lshrrev_b32_e32 v3, 16, v3
	s_branch .LBB207_215
.LBB207_214:
	s_mov_b64 s[8:9], -1
                                        ; implicit-def: $vgpr3
.LBB207_215:
	s_branch .LBB207_24
.LBB207_216:
	s_cmp_lt_i32 s12, 5
	s_cbranch_scc1 .LBB207_221
; %bb.217:
	s_cmp_lt_i32 s12, 8
	s_cbranch_scc1 .LBB207_222
; %bb.218:
	;; [unrolled: 3-line block ×3, first 2 shown]
	s_cmp_gt_i32 s12, 9
	s_cbranch_scc0 .LBB207_224
; %bb.220:
	global_load_dwordx2 v[3:4], v[1:2], off
	s_movk_i32 s2, 0x7fff
	s_waitcnt vmcnt(0)
	v_cvt_f32_f64_e32 v3, v[3:4]
	v_mov_b32_e32 v4, 0x7fc0
	v_bfe_u32 v5, v3, 16, 1
	v_cmp_o_f32_e32 vcc, v3, v3
	v_add3_u32 v3, v3, v5, s2
	v_cndmask_b32_sdwa v3, v4, v3, vcc dst_sel:DWORD dst_unused:UNUSED_PAD src0_sel:DWORD src1_sel:WORD_1
	s_mov_b64 s[2:3], 0
	s_branch .LBB207_225
.LBB207_221:
                                        ; implicit-def: $vgpr3
	s_branch .LBB207_243
.LBB207_222:
	s_mov_b64 s[2:3], -1
                                        ; implicit-def: $vgpr3
	s_branch .LBB207_231
.LBB207_223:
	s_mov_b64 s[2:3], -1
                                        ; implicit-def: $vgpr3
	s_branch .LBB207_228
.LBB207_224:
	s_mov_b64 s[2:3], -1
                                        ; implicit-def: $vgpr3
.LBB207_225:
	s_andn2_b64 vcc, exec, s[2:3]
	s_cbranch_vccnz .LBB207_227
; %bb.226:
	global_load_dword v3, v[1:2], off
	s_movk_i32 s2, 0x7fff
	v_mov_b32_e32 v4, 0x7fc0
	s_waitcnt vmcnt(0)
	v_bfe_u32 v5, v3, 16, 1
	v_cmp_o_f32_e32 vcc, v3, v3
	v_add3_u32 v3, v3, v5, s2
	v_cndmask_b32_sdwa v3, v4, v3, vcc dst_sel:DWORD dst_unused:UNUSED_PAD src0_sel:DWORD src1_sel:WORD_1
.LBB207_227:
	s_mov_b64 s[2:3], 0
.LBB207_228:
	s_andn2_b64 vcc, exec, s[2:3]
	s_cbranch_vccnz .LBB207_230
; %bb.229:
	global_load_dword v3, v[1:2], off
	s_movk_i32 s2, 0x7fff
	v_mov_b32_e32 v5, 0x7fc0
	s_waitcnt vmcnt(0)
	v_cvt_f32_f16_e32 v4, v3
	v_cmp_o_f16_e32 vcc, v3, v3
	v_bfe_u32 v3, v4, 16, 1
	v_add3_u32 v3, v4, v3, s2
	v_cndmask_b32_sdwa v3, v5, v3, vcc dst_sel:DWORD dst_unused:UNUSED_PAD src0_sel:DWORD src1_sel:WORD_1
.LBB207_230:
	s_mov_b64 s[2:3], 0
.LBB207_231:
	s_andn2_b64 vcc, exec, s[2:3]
	s_cbranch_vccnz .LBB207_242
; %bb.232:
	s_cmp_lt_i32 s12, 6
	s_cbranch_scc1 .LBB207_235
; %bb.233:
	s_cmp_gt_i32 s12, 6
	s_cbranch_scc0 .LBB207_236
; %bb.234:
	global_load_dwordx2 v[3:4], v[1:2], off
	s_movk_i32 s2, 0x7fff
	s_waitcnt vmcnt(0)
	v_cvt_f32_f64_e32 v3, v[3:4]
	v_mov_b32_e32 v4, 0x7fc0
	v_bfe_u32 v5, v3, 16, 1
	v_cmp_o_f32_e32 vcc, v3, v3
	v_add3_u32 v3, v3, v5, s2
	v_cndmask_b32_sdwa v3, v4, v3, vcc dst_sel:DWORD dst_unused:UNUSED_PAD src0_sel:DWORD src1_sel:WORD_1
	s_mov_b64 s[2:3], 0
	s_branch .LBB207_237
.LBB207_235:
	s_mov_b64 s[2:3], -1
                                        ; implicit-def: $vgpr3
	s_branch .LBB207_240
.LBB207_236:
	s_mov_b64 s[2:3], -1
                                        ; implicit-def: $vgpr3
.LBB207_237:
	s_andn2_b64 vcc, exec, s[2:3]
	s_cbranch_vccnz .LBB207_239
; %bb.238:
	global_load_dword v3, v[1:2], off
	s_movk_i32 s2, 0x7fff
	v_mov_b32_e32 v4, 0x7fc0
	s_waitcnt vmcnt(0)
	v_bfe_u32 v5, v3, 16, 1
	v_cmp_o_f32_e32 vcc, v3, v3
	v_add3_u32 v3, v3, v5, s2
	v_cndmask_b32_sdwa v3, v4, v3, vcc dst_sel:DWORD dst_unused:UNUSED_PAD src0_sel:DWORD src1_sel:WORD_1
.LBB207_239:
	s_mov_b64 s[2:3], 0
.LBB207_240:
	s_andn2_b64 vcc, exec, s[2:3]
	s_cbranch_vccnz .LBB207_242
; %bb.241:
	global_load_ushort v3, v[1:2], off
	s_movk_i32 s2, 0x7fff
	v_mov_b32_e32 v5, 0x7fc0
	s_waitcnt vmcnt(0)
	v_cvt_f32_f16_e32 v4, v3
	v_cmp_o_f16_e32 vcc, v3, v3
	v_bfe_u32 v3, v4, 16, 1
	v_add3_u32 v3, v4, v3, s2
	v_cndmask_b32_sdwa v3, v5, v3, vcc dst_sel:DWORD dst_unused:UNUSED_PAD src0_sel:DWORD src1_sel:WORD_1
.LBB207_242:
	s_cbranch_execnz .LBB207_262
.LBB207_243:
	s_cmp_lt_i32 s12, 2
	s_cbranch_scc1 .LBB207_247
; %bb.244:
	s_cmp_lt_i32 s12, 3
	s_cbranch_scc1 .LBB207_248
; %bb.245:
	s_cmp_gt_i32 s12, 3
	s_cbranch_scc0 .LBB207_249
; %bb.246:
	global_load_dwordx2 v[3:4], v[1:2], off
	s_movk_i32 s2, 0x7fff
	s_waitcnt vmcnt(0)
	v_xor_b32_e32 v6, v3, v4
	v_ffbh_i32_e32 v5, v4
	v_ashrrev_i32_e32 v6, 31, v6
	v_add_u32_e32 v5, -1, v5
	v_add_u32_e32 v6, 32, v6
	v_min_u32_e32 v5, v5, v6
	v_lshlrev_b64 v[3:4], v5, v[3:4]
	v_min_u32_e32 v3, 1, v3
	v_or_b32_e32 v3, v4, v3
	v_cvt_f32_i32_e32 v3, v3
	v_sub_u32_e32 v4, 32, v5
	v_ldexp_f32 v3, v3, v4
	v_bfe_u32 v4, v3, 16, 1
	v_add3_u32 v3, v3, v4, s2
	v_lshrrev_b32_e32 v3, 16, v3
	s_mov_b64 s[2:3], 0
	s_branch .LBB207_250
.LBB207_247:
	s_mov_b64 s[2:3], -1
                                        ; implicit-def: $vgpr3
	s_branch .LBB207_256
.LBB207_248:
	s_mov_b64 s[2:3], -1
                                        ; implicit-def: $vgpr3
	s_branch .LBB207_253
.LBB207_249:
	s_mov_b64 s[2:3], -1
                                        ; implicit-def: $vgpr3
.LBB207_250:
	s_andn2_b64 vcc, exec, s[2:3]
	s_cbranch_vccnz .LBB207_252
; %bb.251:
	global_load_dword v3, v[1:2], off
	s_movk_i32 s2, 0x7fff
	s_waitcnt vmcnt(0)
	v_cvt_f32_i32_e32 v3, v3
	v_bfe_u32 v4, v3, 16, 1
	v_add3_u32 v3, v3, v4, s2
	v_lshrrev_b32_e32 v3, 16, v3
.LBB207_252:
	s_mov_b64 s[2:3], 0
.LBB207_253:
	s_andn2_b64 vcc, exec, s[2:3]
	s_cbranch_vccnz .LBB207_255
; %bb.254:
	global_load_sshort v3, v[1:2], off
	s_movk_i32 s2, 0x7fff
	s_waitcnt vmcnt(0)
	v_cvt_f32_i32_e32 v3, v3
	v_bfe_u32 v4, v3, 16, 1
	v_add3_u32 v3, v3, v4, s2
	v_lshrrev_b32_e32 v3, 16, v3
.LBB207_255:
	s_mov_b64 s[2:3], 0
.LBB207_256:
	s_andn2_b64 vcc, exec, s[2:3]
	s_cbranch_vccnz .LBB207_262
; %bb.257:
	s_cmp_gt_i32 s12, 0
	s_cbranch_scc0 .LBB207_259
; %bb.258:
	global_load_sbyte v3, v[1:2], off
	s_movk_i32 s2, 0x7fff
	s_waitcnt vmcnt(0)
	v_cvt_f32_i32_e32 v3, v3
	v_bfe_u32 v4, v3, 16, 1
	v_add3_u32 v3, v3, v4, s2
	v_lshrrev_b32_e32 v3, 16, v3
	s_mov_b64 s[2:3], 0
	s_branch .LBB207_260
.LBB207_259:
	s_mov_b64 s[2:3], -1
                                        ; implicit-def: $vgpr3
.LBB207_260:
	s_andn2_b64 vcc, exec, s[2:3]
	s_cbranch_vccnz .LBB207_262
; %bb.261:
	global_load_ubyte v1, v[1:2], off
	s_movk_i32 s2, 0x7fff
	s_waitcnt vmcnt(0)
	v_cvt_f32_ubyte0_e32 v1, v1
	v_bfe_u32 v2, v1, 16, 1
	v_add3_u32 v1, v1, v2, s2
	v_lshrrev_b32_e32 v3, 16, v1
.LBB207_262:
	s_branch .LBB207_25
.LBB207_263:
	s_mov_b64 s[6:7], 0
.LBB207_264:
	s_mov_b64 s[2:3], 0
                                        ; implicit-def: $vgpr8
.LBB207_265:
	s_and_b64 s[58:59], s[6:7], exec
	s_and_b64 s[60:61], s[8:9], exec
	s_orn2_b64 s[2:3], s[2:3], exec
.LBB207_266:
	s_or_b64 exec, exec, s[62:63]
	s_mov_b64 s[8:9], 0
	s_mov_b64 s[10:11], 0
                                        ; implicit-def: $vgpr1_vgpr2
                                        ; implicit-def: $vgpr0
                                        ; implicit-def: $vgpr3
	s_and_saveexec_b64 s[62:63], s[2:3]
	s_cbranch_execz .LBB207_273
; %bb.267:
	v_cmp_gt_i32_e32 vcc, s72, v8
	s_mov_b64 s[2:3], -1
	s_mov_b64 s[64:65], s[60:61]
	s_mov_b64 s[66:67], s[58:59]
	s_and_saveexec_b64 s[68:69], vcc
	s_cbranch_execz .LBB207_542
; %bb.268:
	s_andn2_b64 vcc, exec, s[46:47]
	s_cbranch_vccnz .LBB207_276
; %bb.269:
	s_andn2_b64 vcc, exec, s[56:57]
	s_cbranch_vccnz .LBB207_277
; %bb.270:
	s_add_i32 s65, s78, 1
	s_cmp_eq_u32 s74, 2
	s_cbranch_scc1 .LBB207_278
; %bb.271:
	s_and_b32 s64, s65, 28
	v_mov_b32_e32 v2, 0
	s_mov_b32 s66, 0
	s_mov_b64 s[2:3], s[34:35]
	s_mov_b64 s[6:7], s[54:55]
	v_mov_b32_e32 v0, 0
	v_mov_b32_e32 v1, v8
.LBB207_272:                            ; =>This Inner Loop Header: Depth=1
	s_load_dwordx8 s[16:23], s[2:3], 0x4
	s_load_dwordx4 s[40:43], s[2:3], 0x24
	s_load_dwordx8 s[8:15], s[6:7], 0x0
	s_add_u32 s2, s2, 48
	s_addc_u32 s3, s3, 0
	s_waitcnt vmcnt(0) lgkmcnt(0)
	v_mul_hi_u32 v3, s17, v1
	s_add_i32 s66, s66, 4
	s_add_u32 s6, s6, 32
	s_addc_u32 s7, s7, 0
	v_add_u32_e32 v3, v1, v3
	v_lshrrev_b32_e32 v3, s18, v3
	v_mul_lo_u32 v4, v3, s16
	v_mul_hi_u32 v5, s20, v3
	s_cmp_eq_u32 s64, s66
	v_sub_u32_e32 v1, v1, v4
	v_add_u32_e32 v4, v3, v5
	v_mul_lo_u32 v5, v1, s8
	v_mul_lo_u32 v6, v1, s9
	v_lshrrev_b32_e32 v1, s21, v4
	v_mul_lo_u32 v4, v1, s19
	v_mul_hi_u32 v7, s23, v1
	v_sub_u32_e32 v3, v3, v4
	v_add_u32_e32 v4, v1, v7
	v_lshrrev_b32_e32 v4, s40, v4
	v_mul_hi_u32 v9, s42, v4
	v_mul_lo_u32 v10, v4, s22
	v_mul_lo_u32 v7, v3, s10
	;; [unrolled: 1-line block ×3, first 2 shown]
	v_sub_u32_e32 v10, v1, v10
	v_add_u32_e32 v1, v4, v9
	v_lshrrev_b32_e32 v1, s43, v1
	v_mul_lo_u32 v9, v1, s41
	v_mul_lo_u32 v11, v10, s12
	;; [unrolled: 1-line block ×3, first 2 shown]
	v_add3_u32 v0, v5, v0, v7
	v_sub_u32_e32 v4, v4, v9
	v_mul_lo_u32 v9, v4, s14
	v_mul_lo_u32 v4, v4, s15
	v_add3_u32 v2, v6, v2, v3
	v_add3_u32 v0, v11, v0, v9
	;; [unrolled: 1-line block ×3, first 2 shown]
	s_cbranch_scc0 .LBB207_272
	s_branch .LBB207_279
.LBB207_273:
	s_or_b64 exec, exec, s[62:63]
	s_mov_b64 s[2:3], 0
	s_and_saveexec_b64 s[6:7], s[60:61]
	s_cbranch_execnz .LBB207_918
.LBB207_274:
	s_or_b64 exec, exec, s[6:7]
	s_and_saveexec_b64 s[6:7], s[66:67]
	s_xor_b64 s[6:7], exec, s[6:7]
	s_cbranch_execz .LBB207_919
.LBB207_275:
	global_load_ubyte v3, v[1:2], off
	s_or_b64 s[10:11], s[10:11], exec
	s_waitcnt vmcnt(0)
	v_cmp_ne_u16_e32 vcc, 0, v3
	v_cndmask_b32_e64 v3, 0, 1.0, vcc
	v_lshrrev_b32_e32 v3, 16, v3
	s_or_b64 exec, exec, s[6:7]
	s_and_saveexec_b64 s[6:7], s[8:9]
	s_cbranch_execz .LBB207_965
	s_branch .LBB207_920
.LBB207_276:
                                        ; implicit-def: $vgpr0
                                        ; implicit-def: $vgpr2
	s_andn2_b64 vcc, exec, s[2:3]
	s_cbranch_vccz .LBB207_283
	s_branch .LBB207_285
.LBB207_277:
	v_mov_b32_e32 v0, 0
	v_mov_b32_e32 v2, 0
	s_branch .LBB207_282
.LBB207_278:
	s_mov_b32 s64, 0
	v_mov_b32_e32 v0, 0
	v_mov_b32_e32 v2, 0
	;; [unrolled: 1-line block ×3, first 2 shown]
.LBB207_279:
	s_and_b32 s8, s65, 3
	s_cmp_eq_u32 s8, 0
	s_cbranch_scc1 .LBB207_282
; %bb.280:
	s_lshl_b32 s2, s64, 3
	s_add_u32 s2, s34, s2
	s_addc_u32 s3, s35, 0
	s_add_u32 s2, s2, 0xc4
	s_addc_u32 s3, s3, 0
	s_mul_i32 s6, s64, 12
	s_add_u32 s6, s34, s6
	s_addc_u32 s7, s35, 0
.LBB207_281:                            ; =>This Inner Loop Header: Depth=1
	s_load_dwordx2 s[10:11], s[6:7], 0x4
	s_load_dword s9, s[6:7], 0xc
	s_load_dwordx2 s[12:13], s[2:3], 0x0
	s_add_u32 s6, s6, 12
	s_addc_u32 s7, s7, 0
	s_waitcnt vmcnt(0) lgkmcnt(0)
	v_mul_hi_u32 v3, s11, v1
	s_add_u32 s2, s2, 8
	s_addc_u32 s3, s3, 0
	s_add_i32 s8, s8, -1
	v_add_u32_e32 v3, v1, v3
	v_lshrrev_b32_e32 v4, s9, v3
	v_mul_lo_u32 v3, v4, s10
	s_cmp_lg_u32 s8, 0
	v_sub_u32_e32 v3, v1, v3
	v_mad_u64_u32 v[0:1], s[10:11], v3, s12, v[0:1]
	v_mad_u64_u32 v[2:3], s[10:11], v3, s13, v[2:3]
	v_mov_b32_e32 v1, v4
	s_cbranch_scc1 .LBB207_281
.LBB207_282:
	s_cbranch_execnz .LBB207_285
.LBB207_283:
	v_mul_hi_u32 v0, s29, v8
	s_andn2_b64 vcc, exec, s[52:53]
	v_add_u32_e32 v0, v8, v0
	v_lshrrev_b32_e32 v1, s30, v0
	v_mul_lo_u32 v0, v1, s28
	v_sub_u32_e32 v2, v8, v0
	v_mul_lo_u32 v0, v2, s36
	v_mul_lo_u32 v2, v2, s37
	s_cbranch_vccnz .LBB207_285
; %bb.284:
	s_waitcnt vmcnt(0)
	v_mul_hi_u32 v3, s50, v1
	v_add_u32_e32 v3, v1, v3
	v_lshrrev_b32_e32 v3, s51, v3
	v_mul_lo_u32 v3, v3, s31
	v_sub_u32_e32 v3, v1, v3
	v_mad_u64_u32 v[0:1], s[2:3], v3, s38, v[0:1]
	v_mad_u64_u32 v[2:3], s[2:3], v3, s39, v[2:3]
.LBB207_285:
	s_waitcnt vmcnt(0)
	v_mov_b32_e32 v3, s27
	s_and_b32 s12, 0xffff, s77
	v_add_co_u32_e32 v1, vcc, s26, v2
	s_cmp_lt_i32 s12, 11
	v_addc_co_u32_e32 v2, vcc, 0, v3, vcc
	s_cbranch_scc1 .LBB207_292
; %bb.286:
	s_cmp_gt_i32 s12, 25
	s_cbranch_scc0 .LBB207_301
; %bb.287:
	s_cmp_gt_i32 s12, 28
	s_cbranch_scc0 .LBB207_303
	;; [unrolled: 3-line block ×4, first 2 shown]
; %bb.290:
	s_cmp_eq_u32 s12, 46
	s_mov_b64 s[6:7], 0
	s_cbranch_scc0 .LBB207_313
; %bb.291:
	global_load_dword v3, v[1:2], off
	s_mov_b64 s[2:3], -1
	s_mov_b64 s[8:9], 0
	s_branch .LBB207_314
.LBB207_292:
	s_mov_b64 s[2:3], 0
                                        ; implicit-def: $vgpr3
	s_mov_b64 s[8:9], s[60:61]
	s_cbranch_execnz .LBB207_491
.LBB207_293:
	s_andn2_b64 vcc, exec, s[2:3]
	s_cbranch_vccnz .LBB207_539
.LBB207_294:
	s_waitcnt vmcnt(0)
	v_lshlrev_b32_e32 v1, 16, v3
	v_cmp_eq_f32_e32 vcc, s76, v1
	v_cndmask_b32_e64 v2, 0, 1, vcc
	v_cmp_neq_f32_e32 vcc, s76, v1
	v_cndmask_b32_e64 v1, 0, 1, vcc
	v_cndmask_b32_e64 v1, v1, v2, s[0:1]
	v_and_b32_e32 v1, 1, v1
	v_cmp_eq_u32_e64 s[2:3], 1, v1
	v_mov_b32_e32 v1, s25
	s_and_b32 s16, s75, 0xff
	v_add_co_u32_e32 v0, vcc, s24, v0
	s_cmp_lt_i32 s16, 11
	v_addc_co_u32_e32 v1, vcc, 0, v1, vcc
	s_cbranch_scc1 .LBB207_302
; %bb.295:
	s_and_b32 s17, 0xffff, s16
	s_cmp_gt_i32 s17, 25
	s_cbranch_scc0 .LBB207_304
; %bb.296:
	s_cmp_gt_i32 s17, 28
	s_cbranch_scc0 .LBB207_306
; %bb.297:
	;; [unrolled: 3-line block ×4, first 2 shown]
	s_mov_b64 s[12:13], 0
	s_mov_b64 s[6:7], -1
	s_cmp_eq_u32 s17, 46
	s_mov_b64 s[10:11], 0
	s_cbranch_scc0 .LBB207_318
; %bb.300:
	v_cndmask_b32_e64 v2, 0, 1.0, s[2:3]
	v_bfe_u32 v3, v2, 16, 1
	s_movk_i32 s6, 0x7fff
	v_add3_u32 v2, v2, v3, s6
	v_lshrrev_b32_e32 v2, 16, v2
	global_store_dword v[0:1], v2, off
	s_mov_b64 s[10:11], -1
	s_mov_b64 s[6:7], 0
	s_branch .LBB207_318
.LBB207_301:
	s_mov_b64 s[6:7], -1
	s_mov_b64 s[2:3], 0
	s_mov_b64 s[8:9], s[60:61]
                                        ; implicit-def: $vgpr3
	s_branch .LBB207_455
.LBB207_302:
	s_mov_b64 s[12:13], -1
	s_mov_b64 s[10:11], 0
	s_mov_b64 s[6:7], s[58:59]
	s_branch .LBB207_387
.LBB207_303:
	s_mov_b64 s[6:7], -1
	s_mov_b64 s[2:3], 0
	s_mov_b64 s[8:9], s[60:61]
                                        ; implicit-def: $vgpr3
	s_branch .LBB207_436
.LBB207_304:
	s_mov_b64 s[12:13], -1
	s_mov_b64 s[10:11], 0
	s_mov_b64 s[6:7], s[58:59]
	s_branch .LBB207_345
.LBB207_305:
	s_mov_b64 s[6:7], -1
	s_mov_b64 s[2:3], 0
	s_mov_b64 s[8:9], s[60:61]
                                        ; implicit-def: $vgpr3
	s_branch .LBB207_431
.LBB207_306:
	s_mov_b64 s[12:13], -1
	s_mov_b64 s[10:11], 0
	s_mov_b64 s[6:7], s[58:59]
	s_branch .LBB207_328
.LBB207_307:
	s_andn2_saveexec_b64 s[14:15], s[14:15]
	s_cbranch_execz .LBB207_68
.LBB207_308:
	v_add_f32_e32 v2, 0x46000000, v3
	v_and_b32_e32 v2, 0xff, v2
	v_cmp_ne_u32_e32 vcc, 0, v2
	s_andn2_b64 s[12:13], s[12:13], exec
	s_and_b64 s[18:19], vcc, exec
	s_or_b64 s[12:13], s[12:13], s[18:19]
	s_or_b64 exec, exec, s[14:15]
	v_mov_b32_e32 v4, 0
	s_and_saveexec_b64 s[14:15], s[12:13]
	s_cbranch_execnz .LBB207_69
	s_branch .LBB207_70
.LBB207_309:
	s_mov_b64 s[6:7], -1
	s_mov_b64 s[2:3], 0
	s_mov_b64 s[8:9], s[60:61]
                                        ; implicit-def: $vgpr3
	s_branch .LBB207_314
.LBB207_310:
	s_mov_b64 s[12:13], -1
	s_mov_b64 s[10:11], 0
	s_mov_b64 s[6:7], s[58:59]
	s_branch .LBB207_324
.LBB207_311:
	s_andn2_saveexec_b64 s[14:15], s[14:15]
	s_cbranch_execz .LBB207_81
.LBB207_312:
	v_add_f32_e32 v2, 0x42800000, v3
	v_and_b32_e32 v2, 0xff, v2
	v_cmp_ne_u32_e32 vcc, 0, v2
	s_andn2_b64 s[12:13], s[12:13], exec
	s_and_b64 s[18:19], vcc, exec
	s_or_b64 s[12:13], s[12:13], s[18:19]
	s_or_b64 exec, exec, s[14:15]
	v_mov_b32_e32 v4, 0
	s_and_saveexec_b64 s[14:15], s[12:13]
	s_cbranch_execnz .LBB207_82
	s_branch .LBB207_83
.LBB207_313:
	s_mov_b64 s[8:9], -1
                                        ; implicit-def: $vgpr3
	s_mov_b64 s[2:3], 0
.LBB207_314:
	s_and_b64 vcc, exec, s[6:7]
	s_cbranch_vccz .LBB207_430
; %bb.315:
	s_cmp_eq_u32 s12, 44
	s_cbranch_scc0 .LBB207_429
; %bb.316:
	global_load_ubyte v3, v[1:2], off
	s_movk_i32 s6, 0xff
	v_mov_b32_e32 v4, 0x7f800001
	v_mov_b32_e32 v5, 0x400000
	;; [unrolled: 1-line block ×3, first 2 shown]
	s_mov_b64 s[2:3], -1
	s_mov_b64 s[8:9], 0
	s_waitcnt vmcnt(0)
	v_lshlrev_b32_e32 v7, 23, v3
	v_cmp_ne_u32_e32 vcc, s6, v3
	v_cndmask_b32_e32 v4, v4, v7, vcc
	v_cmp_ne_u32_e32 vcc, 0, v3
	v_cndmask_b32_e32 v3, v5, v4, vcc
	v_add_u32_e32 v4, 0x7fff, v3
	v_cmp_o_f32_e32 vcc, v3, v3
	v_cndmask_b32_sdwa v3, v6, v4, vcc dst_sel:DWORD dst_unused:UNUSED_PAD src0_sel:DWORD src1_sel:WORD_1
	s_branch .LBB207_430
.LBB207_317:
	s_mov_b64 s[12:13], -1
	s_mov_b64 s[10:11], 0
	s_mov_b64 s[6:7], s[58:59]
.LBB207_318:
	s_and_b64 vcc, exec, s[12:13]
	s_cbranch_vccz .LBB207_323
; %bb.319:
	s_cmp_eq_u32 s17, 44
	s_mov_b64 s[6:7], -1
	s_cbranch_scc0 .LBB207_323
; %bb.320:
	v_cndmask_b32_e64 v3, 0, 1.0, s[2:3]
	v_lshrrev_b32_e32 v2, 23, v3
	s_movk_i32 s6, 0xff
	v_cmp_ne_u32_e32 vcc, s6, v2
	v_mov_b32_e32 v4, 0xff
	s_and_saveexec_b64 s[10:11], vcc
; %bb.321:
	s_mov_b32 s6, 0x3fffff
	v_and_b32_e32 v4, 0x400000, v3
	v_and_or_b32 v3, v3, s6, v2
	v_cmp_ne_u32_e32 vcc, 0, v4
	v_cmp_ne_u32_e64 s[6:7], 0, v3
	s_and_b64 s[6:7], vcc, s[6:7]
	v_cndmask_b32_e64 v3, 0, 1, s[6:7]
	v_add_u32_e32 v4, v2, v3
; %bb.322:
	s_or_b64 exec, exec, s[10:11]
	s_mov_b64 s[10:11], -1
	s_mov_b64 s[6:7], 0
	global_store_byte v[0:1], v4, off
.LBB207_323:
	s_mov_b64 s[12:13], 0
.LBB207_324:
	s_and_b64 vcc, exec, s[12:13]
	s_cbranch_vccz .LBB207_327
; %bb.325:
	s_cmp_eq_u32 s17, 29
	s_mov_b64 s[6:7], -1
	s_cbranch_scc0 .LBB207_327
; %bb.326:
	s_mov_b32 s6, 0
	v_cndmask_b32_e64 v2, 0, 1, s[2:3]
	v_mov_b32_e32 v3, s6
	global_store_dwordx2 v[0:1], v[2:3], off
	s_mov_b64 s[10:11], -1
	s_mov_b64 s[6:7], 0
.LBB207_327:
	s_mov_b64 s[12:13], 0
.LBB207_328:
	s_and_b64 vcc, exec, s[12:13]
	s_cbranch_vccz .LBB207_344
; %bb.329:
	s_cmp_lt_i32 s17, 27
	s_mov_b64 s[10:11], -1
	s_cbranch_scc1 .LBB207_335
; %bb.330:
	s_cmp_gt_i32 s17, 27
	s_cbranch_scc0 .LBB207_332
; %bb.331:
	v_cndmask_b32_e64 v2, 0, 1, s[2:3]
	s_mov_b64 s[10:11], 0
	global_store_dword v[0:1], v2, off
.LBB207_332:
	s_andn2_b64 vcc, exec, s[10:11]
	s_cbranch_vccnz .LBB207_334
; %bb.333:
	v_cndmask_b32_e64 v2, 0, 1, s[2:3]
	global_store_short v[0:1], v2, off
.LBB207_334:
	s_mov_b64 s[10:11], 0
.LBB207_335:
	s_andn2_b64 vcc, exec, s[10:11]
	s_cbranch_vccnz .LBB207_343
; %bb.336:
	v_cndmask_b32_e64 v3, 0, 1.0, s[2:3]
	s_mov_b32 s10, 0x43800000
	v_cmp_gt_u32_e32 vcc, s10, v3
	v_mov_b32_e32 v4, 0x80
	s_and_saveexec_b64 s[10:11], vcc
	s_cbranch_execz .LBB207_342
; %bb.337:
	s_mov_b32 s12, 0x3bffffff
	v_cmp_lt_u32_e32 vcc, s12, v3
	s_mov_b64 s[12:13], 0
                                        ; implicit-def: $vgpr2
	s_and_saveexec_b64 s[14:15], vcc
	s_xor_b64 s[14:15], exec, s[14:15]
	s_cbranch_execz .LBB207_570
; %bb.338:
	v_bfe_u32 v2, v3, 20, 1
	s_mov_b32 s18, 0x487ffff
	v_add3_u32 v2, v3, v2, s18
	s_mov_b64 s[12:13], exec
	v_lshrrev_b32_e32 v2, 20, v2
                                        ; implicit-def: $vgpr3
	s_andn2_saveexec_b64 s[14:15], s[14:15]
	s_cbranch_execnz .LBB207_571
.LBB207_339:
	s_or_b64 exec, exec, s[14:15]
	v_mov_b32_e32 v4, 0
	s_and_saveexec_b64 s[14:15], s[12:13]
.LBB207_340:
	v_mov_b32_e32 v4, v2
.LBB207_341:
	s_or_b64 exec, exec, s[14:15]
.LBB207_342:
	s_or_b64 exec, exec, s[10:11]
	global_store_byte v[0:1], v4, off
.LBB207_343:
	s_mov_b64 s[10:11], -1
.LBB207_344:
	s_mov_b64 s[12:13], 0
.LBB207_345:
	s_and_b64 vcc, exec, s[12:13]
	s_cbranch_vccz .LBB207_386
; %bb.346:
	s_cmp_gt_i32 s17, 22
	s_mov_b64 s[12:13], -1
	s_cbranch_scc0 .LBB207_378
; %bb.347:
	s_cmp_lt_i32 s17, 24
	s_mov_b64 s[10:11], -1
	s_cbranch_scc1 .LBB207_367
; %bb.348:
	s_cmp_gt_i32 s17, 24
	s_cbranch_scc0 .LBB207_356
; %bb.349:
	v_cndmask_b32_e64 v3, 0, 1.0, s[2:3]
	s_mov_b32 s10, 0x47800000
	v_cmp_gt_u32_e32 vcc, s10, v3
	v_mov_b32_e32 v4, 0x80
	s_and_saveexec_b64 s[10:11], vcc
	s_cbranch_execz .LBB207_355
; %bb.350:
	s_mov_b32 s12, 0x37ffffff
	v_cmp_lt_u32_e32 vcc, s12, v3
	s_mov_b64 s[12:13], 0
                                        ; implicit-def: $vgpr2
	s_and_saveexec_b64 s[14:15], vcc
	s_xor_b64 s[14:15], exec, s[14:15]
	s_cbranch_execz .LBB207_573
; %bb.351:
	v_bfe_u32 v2, v3, 21, 1
	s_mov_b32 s18, 0x88fffff
	v_add3_u32 v2, v3, v2, s18
	s_mov_b64 s[12:13], exec
	v_lshrrev_b32_e32 v2, 21, v2
                                        ; implicit-def: $vgpr3
	s_andn2_saveexec_b64 s[14:15], s[14:15]
	s_cbranch_execnz .LBB207_574
.LBB207_352:
	s_or_b64 exec, exec, s[14:15]
	v_mov_b32_e32 v4, 0
	s_and_saveexec_b64 s[14:15], s[12:13]
.LBB207_353:
	v_mov_b32_e32 v4, v2
.LBB207_354:
	s_or_b64 exec, exec, s[14:15]
.LBB207_355:
	s_or_b64 exec, exec, s[10:11]
	s_mov_b64 s[10:11], 0
	global_store_byte v[0:1], v4, off
.LBB207_356:
	s_and_b64 vcc, exec, s[10:11]
	s_cbranch_vccz .LBB207_366
; %bb.357:
	v_cndmask_b32_e64 v2, 0, 1.0, s[2:3]
	s_mov_b32 s10, 0x43f00000
	v_cmp_gt_u32_e32 vcc, s10, v2
                                        ; implicit-def: $vgpr3
	s_and_saveexec_b64 s[10:11], vcc
	s_xor_b64 s[10:11], exec, s[10:11]
	s_cbranch_execz .LBB207_363
; %bb.358:
	s_mov_b32 s12, 0x3c7fffff
	v_cmp_lt_u32_e32 vcc, s12, v2
                                        ; implicit-def: $vgpr3
	s_and_saveexec_b64 s[12:13], vcc
	s_xor_b64 s[12:13], exec, s[12:13]
; %bb.359:
	v_bfe_u32 v3, v2, 20, 1
	s_mov_b32 s14, 0x407ffff
	v_add3_u32 v2, v2, v3, s14
	v_lshrrev_b32_e32 v3, 20, v2
	v_and_b32_e32 v2, 0xff00000, v2
	s_mov_b32 s14, 0x7f00000
	v_mov_b32_e32 v4, 0x7e
	v_cmp_ne_u32_e32 vcc, s14, v2
	v_cndmask_b32_e32 v3, v4, v3, vcc
                                        ; implicit-def: $vgpr2
; %bb.360:
	s_andn2_saveexec_b64 s[12:13], s[12:13]
; %bb.361:
	v_add_f32_e32 v3, 0x46800000, v2
; %bb.362:
	s_or_b64 exec, exec, s[12:13]
                                        ; implicit-def: $vgpr2
.LBB207_363:
	s_andn2_saveexec_b64 s[10:11], s[10:11]
; %bb.364:
	s_mov_b32 s12, 0x7f800000
	v_mov_b32_e32 v3, 0x7e
	v_mov_b32_e32 v4, 0x7f
	v_cmp_lt_u32_e32 vcc, s12, v2
	v_cndmask_b32_e32 v3, v3, v4, vcc
; %bb.365:
	s_or_b64 exec, exec, s[10:11]
	global_store_byte v[0:1], v3, off
.LBB207_366:
	s_mov_b64 s[10:11], 0
.LBB207_367:
	s_andn2_b64 vcc, exec, s[10:11]
	s_cbranch_vccnz .LBB207_377
; %bb.368:
	v_cndmask_b32_e64 v2, 0, 1.0, s[2:3]
	s_mov_b32 s10, 0x47800000
	v_cmp_gt_u32_e32 vcc, s10, v2
                                        ; implicit-def: $vgpr3
	s_and_saveexec_b64 s[10:11], vcc
	s_xor_b64 s[10:11], exec, s[10:11]
	s_cbranch_execz .LBB207_374
; %bb.369:
	s_mov_b32 s12, 0x387fffff
	v_cmp_lt_u32_e32 vcc, s12, v2
                                        ; implicit-def: $vgpr3
	s_and_saveexec_b64 s[12:13], vcc
	s_xor_b64 s[12:13], exec, s[12:13]
; %bb.370:
	v_bfe_u32 v3, v2, 21, 1
	s_mov_b32 s14, 0x80fffff
	v_add3_u32 v2, v2, v3, s14
	v_lshrrev_b32_e32 v3, 21, v2
                                        ; implicit-def: $vgpr2
; %bb.371:
	s_andn2_saveexec_b64 s[12:13], s[12:13]
; %bb.372:
	v_add_f32_e32 v3, 0x43000000, v2
; %bb.373:
	s_or_b64 exec, exec, s[12:13]
                                        ; implicit-def: $vgpr2
.LBB207_374:
	s_andn2_saveexec_b64 s[10:11], s[10:11]
; %bb.375:
	s_mov_b32 s12, 0x7f800000
	v_mov_b32_e32 v3, 0x7c
	v_mov_b32_e32 v4, 0x7f
	v_cmp_lt_u32_e32 vcc, s12, v2
	v_cndmask_b32_e32 v3, v3, v4, vcc
; %bb.376:
	s_or_b64 exec, exec, s[10:11]
	global_store_byte v[0:1], v3, off
.LBB207_377:
	s_mov_b64 s[12:13], 0
	s_mov_b64 s[10:11], -1
.LBB207_378:
	s_andn2_b64 vcc, exec, s[12:13]
	s_cbranch_vccnz .LBB207_386
; %bb.379:
	s_cmp_gt_i32 s17, 14
	s_mov_b64 s[12:13], -1
	s_cbranch_scc0 .LBB207_383
; %bb.380:
	s_cmp_eq_u32 s17, 15
	s_mov_b64 s[6:7], -1
	s_cbranch_scc0 .LBB207_382
; %bb.381:
	v_cndmask_b32_e64 v2, 0, 1.0, s[2:3]
	v_bfe_u32 v3, v2, 16, 1
	s_movk_i32 s6, 0x7fff
	v_add3_u32 v2, v2, v3, s6
	global_store_short_d16_hi v[0:1], v2, off
	s_mov_b64 s[10:11], -1
	s_mov_b64 s[6:7], 0
.LBB207_382:
	s_mov_b64 s[12:13], 0
.LBB207_383:
	s_and_b64 vcc, exec, s[12:13]
	s_cbranch_vccz .LBB207_386
; %bb.384:
	s_cmp_eq_u32 s17, 11
	s_mov_b64 s[6:7], -1
	s_cbranch_scc0 .LBB207_386
; %bb.385:
	v_cndmask_b32_e64 v2, 0, 1, s[2:3]
	s_mov_b64 s[10:11], -1
	s_mov_b64 s[6:7], 0
	global_store_byte v[0:1], v2, off
.LBB207_386:
	s_mov_b64 s[12:13], 0
.LBB207_387:
	s_and_b64 vcc, exec, s[12:13]
	s_cbranch_vccz .LBB207_426
; %bb.388:
	s_and_b32 s12, 0xffff, s16
	s_cmp_lt_i32 s12, 5
	s_mov_b64 s[10:11], -1
	s_cbranch_scc1 .LBB207_409
; %bb.389:
	s_cmp_lt_i32 s12, 8
	s_cbranch_scc1 .LBB207_399
; %bb.390:
	s_cmp_lt_i32 s12, 9
	s_cbranch_scc1 .LBB207_396
; %bb.391:
	s_cmp_gt_i32 s12, 9
	s_cbranch_scc0 .LBB207_393
; %bb.392:
	v_cndmask_b32_e64 v2, 0, 1, s[2:3]
	v_cvt_f64_u32_e32 v[2:3], v2
	v_mov_b32_e32 v4, 0
	v_mov_b32_e32 v5, v4
	s_mov_b64 s[10:11], 0
	global_store_dwordx4 v[0:1], v[2:5], off
.LBB207_393:
	s_andn2_b64 vcc, exec, s[10:11]
	s_cbranch_vccnz .LBB207_395
; %bb.394:
	v_cndmask_b32_e64 v2, 0, 1.0, s[2:3]
	v_mov_b32_e32 v3, 0
	global_store_dwordx2 v[0:1], v[2:3], off
.LBB207_395:
	s_mov_b64 s[10:11], 0
.LBB207_396:
	s_andn2_b64 vcc, exec, s[10:11]
	s_cbranch_vccnz .LBB207_398
; %bb.397:
	v_cndmask_b32_e64 v2, 0, 1.0, s[2:3]
	v_cvt_f16_f32_e32 v2, v2
	global_store_dword v[0:1], v2, off
.LBB207_398:
	s_mov_b64 s[10:11], 0
.LBB207_399:
	s_andn2_b64 vcc, exec, s[10:11]
	s_cbranch_vccnz .LBB207_408
; %bb.400:
	s_cmp_lt_i32 s12, 6
	s_mov_b64 s[10:11], -1
	s_cbranch_scc1 .LBB207_406
; %bb.401:
	s_cmp_gt_i32 s12, 6
	s_cbranch_scc0 .LBB207_403
; %bb.402:
	v_cndmask_b32_e64 v2, 0, 1, s[2:3]
	v_cvt_f64_u32_e32 v[2:3], v2
	s_mov_b64 s[10:11], 0
	global_store_dwordx2 v[0:1], v[2:3], off
.LBB207_403:
	s_andn2_b64 vcc, exec, s[10:11]
	s_cbranch_vccnz .LBB207_405
; %bb.404:
	v_cndmask_b32_e64 v2, 0, 1.0, s[2:3]
	global_store_dword v[0:1], v2, off
.LBB207_405:
	s_mov_b64 s[10:11], 0
.LBB207_406:
	s_andn2_b64 vcc, exec, s[10:11]
	s_cbranch_vccnz .LBB207_408
; %bb.407:
	v_cndmask_b32_e64 v2, 0, 1.0, s[2:3]
	v_cvt_f16_f32_e32 v2, v2
	global_store_short v[0:1], v2, off
.LBB207_408:
	s_mov_b64 s[10:11], 0
.LBB207_409:
	s_andn2_b64 vcc, exec, s[10:11]
	s_cbranch_vccnz .LBB207_425
; %bb.410:
	s_cmp_lt_i32 s12, 2
	s_mov_b64 s[10:11], -1
	s_cbranch_scc1 .LBB207_420
; %bb.411:
	s_cmp_lt_i32 s12, 3
	s_cbranch_scc1 .LBB207_417
; %bb.412:
	s_cmp_gt_i32 s12, 3
	s_cbranch_scc0 .LBB207_414
; %bb.413:
	s_mov_b32 s10, 0
	v_cndmask_b32_e64 v2, 0, 1, s[2:3]
	v_mov_b32_e32 v3, s10
	s_mov_b64 s[10:11], 0
	global_store_dwordx2 v[0:1], v[2:3], off
.LBB207_414:
	s_andn2_b64 vcc, exec, s[10:11]
	s_cbranch_vccnz .LBB207_416
; %bb.415:
	v_cndmask_b32_e64 v2, 0, 1, s[2:3]
	global_store_dword v[0:1], v2, off
.LBB207_416:
	s_mov_b64 s[10:11], 0
.LBB207_417:
	s_andn2_b64 vcc, exec, s[10:11]
	s_cbranch_vccnz .LBB207_419
; %bb.418:
	v_cndmask_b32_e64 v2, 0, 1, s[2:3]
	global_store_short v[0:1], v2, off
.LBB207_419:
	s_mov_b64 s[10:11], 0
.LBB207_420:
	s_andn2_b64 vcc, exec, s[10:11]
	s_cbranch_vccnz .LBB207_425
; %bb.421:
	s_mov_b64 s[10:11], -1
	s_cmp_gt_i32 s12, 0
	v_cndmask_b32_e64 v2, 0, 1, s[2:3]
	s_cbranch_scc0 .LBB207_423
; %bb.422:
	s_mov_b64 s[10:11], 0
	global_store_byte v[0:1], v2, off
.LBB207_423:
	s_andn2_b64 vcc, exec, s[10:11]
	s_cbranch_vccnz .LBB207_425
; %bb.424:
	global_store_byte v[0:1], v2, off
.LBB207_425:
	s_mov_b64 s[10:11], -1
.LBB207_426:
	s_andn2_b64 vcc, exec, s[10:11]
	s_cbranch_vccnz .LBB207_428
; %bb.427:
	v_add_u32_e32 v8, 0x80, v8
	s_mov_b64 s[2:3], -1
	s_branch .LBB207_541
.LBB207_428:
	s_mov_b64 s[2:3], 0
	s_branch .LBB207_540
.LBB207_429:
	s_mov_b64 s[8:9], -1
                                        ; implicit-def: $vgpr3
.LBB207_430:
	s_mov_b64 s[6:7], 0
.LBB207_431:
	s_and_b64 vcc, exec, s[6:7]
	s_cbranch_vccz .LBB207_435
; %bb.432:
	s_cmp_eq_u32 s12, 29
	s_cbranch_scc0 .LBB207_434
; %bb.433:
	global_load_dwordx2 v[3:4], v[1:2], off
	s_movk_i32 s6, 0x7fff
	s_mov_b64 s[2:3], -1
	s_mov_b64 s[8:9], 0
	s_waitcnt vmcnt(0)
	v_ffbh_u32_e32 v5, v4
	v_min_u32_e32 v5, 32, v5
	v_lshlrev_b64 v[3:4], v5, v[3:4]
	v_min_u32_e32 v3, 1, v3
	v_or_b32_e32 v3, v4, v3
	v_cvt_f32_u32_e32 v3, v3
	v_sub_u32_e32 v4, 32, v5
	v_ldexp_f32 v3, v3, v4
	v_bfe_u32 v4, v3, 16, 1
	v_add3_u32 v3, v3, v4, s6
	v_lshrrev_b32_e32 v3, 16, v3
	s_branch .LBB207_435
.LBB207_434:
	s_mov_b64 s[8:9], -1
                                        ; implicit-def: $vgpr3
.LBB207_435:
	s_mov_b64 s[6:7], 0
.LBB207_436:
	s_and_b64 vcc, exec, s[6:7]
	s_cbranch_vccz .LBB207_454
; %bb.437:
	s_cmp_lt_i32 s12, 27
	s_cbranch_scc1 .LBB207_440
; %bb.438:
	s_cmp_gt_i32 s12, 27
	s_cbranch_scc0 .LBB207_441
; %bb.439:
	global_load_dword v3, v[1:2], off
	s_movk_i32 s2, 0x7fff
	s_waitcnt vmcnt(0)
	v_cvt_f32_u32_e32 v3, v3
	v_bfe_u32 v4, v3, 16, 1
	v_add3_u32 v3, v3, v4, s2
	v_lshrrev_b32_e32 v3, 16, v3
	s_mov_b64 s[2:3], 0
	s_branch .LBB207_442
.LBB207_440:
	s_mov_b64 s[2:3], -1
                                        ; implicit-def: $vgpr3
	s_branch .LBB207_445
.LBB207_441:
	s_mov_b64 s[2:3], -1
                                        ; implicit-def: $vgpr3
.LBB207_442:
	s_andn2_b64 vcc, exec, s[2:3]
	s_cbranch_vccnz .LBB207_444
; %bb.443:
	global_load_ushort v3, v[1:2], off
	s_movk_i32 s2, 0x7fff
	s_waitcnt vmcnt(0)
	v_cvt_f32_u32_e32 v3, v3
	v_bfe_u32 v4, v3, 16, 1
	v_add3_u32 v3, v3, v4, s2
	v_lshrrev_b32_e32 v3, 16, v3
.LBB207_444:
	s_mov_b64 s[2:3], 0
.LBB207_445:
	s_andn2_b64 vcc, exec, s[2:3]
	s_cbranch_vccnz .LBB207_453
; %bb.446:
	global_load_ubyte v3, v[1:2], off
	s_movk_i32 s2, 0x7f
	s_waitcnt vmcnt(0)
	v_cmp_lt_i16_e32 vcc, s2, v3
	s_mov_b64 s[2:3], 0
	s_and_saveexec_b64 s[6:7], vcc
	s_xor_b64 s[6:7], exec, s[6:7]
	s_cbranch_execz .LBB207_467
; %bb.447:
	s_movk_i32 s2, 0x80
	v_cmp_eq_u16_e32 vcc, s2, v3
	s_mov_b64 s[2:3], -1
	s_and_saveexec_b64 s[10:11], vcc
; %bb.448:
	s_xor_b64 s[2:3], exec, -1
; %bb.449:
	s_or_b64 exec, exec, s[10:11]
	s_and_b64 s[2:3], s[2:3], exec
	s_or_saveexec_b64 s[6:7], s[6:7]
	v_mov_b32_e32 v4, 0x7f800001
	s_xor_b64 exec, exec, s[6:7]
	s_cbranch_execnz .LBB207_468
.LBB207_450:
	s_or_b64 exec, exec, s[6:7]
	s_and_saveexec_b64 s[6:7], s[2:3]
	s_cbranch_execz .LBB207_452
.LBB207_451:
	v_lshlrev_b32_e32 v4, 24, v3
	v_and_b32_e32 v3, 0xffff, v3
	v_and_b32_e32 v5, 7, v3
	v_ffbh_u32_e32 v7, v5
	v_min_u32_e32 v7, 32, v7
	v_subrev_u32_e32 v9, 28, v7
	v_bfe_u32 v6, v3, 3, 4
	v_lshlrev_b32_e32 v3, v9, v3
	v_sub_u32_e32 v7, 29, v7
	v_and_b32_e32 v3, 7, v3
	v_cmp_eq_u32_e32 vcc, 0, v6
	v_cndmask_b32_e32 v6, v6, v7, vcc
	v_cndmask_b32_e32 v3, v5, v3, vcc
	v_mov_b32_e32 v5, 0x3b800000
	v_lshlrev_b32_e32 v3, 20, v3
	v_and_b32_e32 v4, 0x80000000, v4
	v_lshl_add_u32 v5, v6, 23, v5
	v_or3_b32 v4, v4, v5, v3
.LBB207_452:
	s_or_b64 exec, exec, s[6:7]
	v_bfe_u32 v3, v4, 16, 1
	s_movk_i32 s2, 0x7fff
	v_add3_u32 v3, v4, v3, s2
	v_cmp_o_f32_e32 vcc, v4, v4
	v_mov_b32_e32 v4, 0x7fc0
	v_cndmask_b32_sdwa v3, v4, v3, vcc dst_sel:DWORD dst_unused:UNUSED_PAD src0_sel:DWORD src1_sel:WORD_1
.LBB207_453:
	s_mov_b64 s[2:3], -1
.LBB207_454:
	s_mov_b64 s[6:7], 0
.LBB207_455:
	s_and_b64 vcc, exec, s[6:7]
	s_cbranch_vccz .LBB207_490
; %bb.456:
	s_cmp_gt_i32 s12, 22
	s_cbranch_scc0 .LBB207_466
; %bb.457:
	s_cmp_lt_i32 s12, 24
	s_cbranch_scc1 .LBB207_469
; %bb.458:
	s_cmp_gt_i32 s12, 24
	s_cbranch_scc0 .LBB207_470
; %bb.459:
	global_load_ubyte v3, v[1:2], off
	s_movk_i32 s2, 0x7f
	s_waitcnt vmcnt(0)
	v_cmp_lt_i16_e32 vcc, s2, v3
	s_mov_b64 s[2:3], 0
	s_and_saveexec_b64 s[6:7], vcc
	s_xor_b64 s[6:7], exec, s[6:7]
	s_cbranch_execz .LBB207_482
; %bb.460:
	s_movk_i32 s2, 0x80
	v_cmp_eq_u16_e32 vcc, s2, v3
	s_mov_b64 s[2:3], -1
	s_and_saveexec_b64 s[10:11], vcc
; %bb.461:
	s_xor_b64 s[2:3], exec, -1
; %bb.462:
	s_or_b64 exec, exec, s[10:11]
	s_and_b64 s[2:3], s[2:3], exec
	s_or_saveexec_b64 s[6:7], s[6:7]
	v_mov_b32_e32 v4, 0x7f800001
	s_xor_b64 exec, exec, s[6:7]
	s_cbranch_execnz .LBB207_483
.LBB207_463:
	s_or_b64 exec, exec, s[6:7]
	s_and_saveexec_b64 s[6:7], s[2:3]
	s_cbranch_execz .LBB207_465
.LBB207_464:
	v_lshlrev_b32_e32 v4, 24, v3
	v_and_b32_e32 v3, 0xffff, v3
	v_and_b32_e32 v5, 3, v3
	v_ffbh_u32_e32 v7, v5
	v_min_u32_e32 v7, 32, v7
	v_subrev_u32_e32 v9, 29, v7
	v_bfe_u32 v6, v3, 2, 5
	v_lshlrev_b32_e32 v3, v9, v3
	v_sub_u32_e32 v7, 30, v7
	v_and_b32_e32 v3, 3, v3
	v_cmp_eq_u32_e32 vcc, 0, v6
	v_cndmask_b32_e32 v6, v6, v7, vcc
	v_cndmask_b32_e32 v3, v5, v3, vcc
	v_mov_b32_e32 v5, 0x37800000
	v_lshlrev_b32_e32 v3, 21, v3
	v_and_b32_e32 v4, 0x80000000, v4
	v_lshl_add_u32 v5, v6, 23, v5
	v_or3_b32 v4, v4, v5, v3
.LBB207_465:
	s_or_b64 exec, exec, s[6:7]
	v_bfe_u32 v3, v4, 16, 1
	s_movk_i32 s2, 0x7fff
	v_add3_u32 v3, v4, v3, s2
	v_cmp_o_f32_e32 vcc, v4, v4
	v_mov_b32_e32 v4, 0x7fc0
	v_cndmask_b32_sdwa v3, v4, v3, vcc dst_sel:DWORD dst_unused:UNUSED_PAD src0_sel:DWORD src1_sel:WORD_1
	s_mov_b64 s[2:3], 0
	s_branch .LBB207_471
.LBB207_466:
	s_mov_b64 s[6:7], -1
                                        ; implicit-def: $vgpr3
	s_branch .LBB207_477
.LBB207_467:
	s_or_saveexec_b64 s[6:7], s[6:7]
	v_mov_b32_e32 v4, 0x7f800001
	s_xor_b64 exec, exec, s[6:7]
	s_cbranch_execz .LBB207_450
.LBB207_468:
	v_cmp_ne_u16_e32 vcc, 0, v3
	s_andn2_b64 s[2:3], s[2:3], exec
	s_and_b64 s[10:11], vcc, exec
	v_mov_b32_e32 v4, 0
	s_or_b64 s[2:3], s[2:3], s[10:11]
	s_or_b64 exec, exec, s[6:7]
	s_and_saveexec_b64 s[6:7], s[2:3]
	s_cbranch_execnz .LBB207_451
	s_branch .LBB207_452
.LBB207_469:
	s_mov_b64 s[2:3], -1
                                        ; implicit-def: $vgpr3
	s_branch .LBB207_474
.LBB207_470:
	s_mov_b64 s[2:3], -1
                                        ; implicit-def: $vgpr3
.LBB207_471:
	s_and_b64 vcc, exec, s[2:3]
	s_cbranch_vccz .LBB207_473
; %bb.472:
	global_load_ubyte v3, v[1:2], off
	s_mov_b32 s2, 0x7f800000
	s_brev_b32 s3, 1
	s_movk_i32 s6, 0x7fff
	s_waitcnt vmcnt(0)
	v_lshlrev_b32_e32 v3, 24, v3
	v_and_b32_e32 v4, 0x7f000000, v3
	v_ffbh_u32_e32 v5, v4
	v_min_u32_e32 v5, 32, v5
	v_sub_u32_e64 v5, v5, 4 clamp
	v_lshlrev_b32_e32 v7, v5, v4
	v_lshlrev_b32_e32 v5, 23, v5
	v_lshrrev_b32_e32 v7, 4, v7
	v_add_u32_e32 v6, 0x1000000, v4
	v_sub_u32_e32 v5, v7, v5
	v_ashrrev_i32_e32 v6, 8, v6
	v_add_u32_e32 v5, 0x3c000000, v5
	v_and_or_b32 v5, v6, s2, v5
	v_cmp_ne_u32_e32 vcc, 0, v4
	v_cndmask_b32_e32 v4, 0, v5, vcc
	v_and_or_b32 v3, v3, s3, v4
	v_bfe_u32 v4, v4, 16, 1
	v_add3_u32 v4, v3, v4, s6
	v_cmp_o_f32_e32 vcc, v3, v3
	v_mov_b32_e32 v3, 0x7fc0
	v_cndmask_b32_sdwa v3, v3, v4, vcc dst_sel:DWORD dst_unused:UNUSED_PAD src0_sel:DWORD src1_sel:WORD_1
.LBB207_473:
	s_mov_b64 s[2:3], 0
.LBB207_474:
	s_andn2_b64 vcc, exec, s[2:3]
	s_cbranch_vccnz .LBB207_476
; %bb.475:
	global_load_ubyte v3, v[1:2], off
	s_movk_i32 s2, 0x7f00
	s_brev_b32 s3, 16
	s_brev_b32 s6, 1
	s_movk_i32 s7, 0x7fff
	s_waitcnt vmcnt(0)
	v_lshlrev_b16_e32 v4, 8, v3
	v_lshlrev_b32_e32 v3, 25, v3
	v_lshrrev_b32_e32 v5, 4, v3
	v_and_or_b32 v6, v4, s2, 0.5
	v_or_b32_e32 v5, 0x70000000, v5
	v_add_f32_e32 v6, -0.5, v6
	v_mul_f32_e32 v5, 0x7800000, v5
	v_cmp_gt_u32_e32 vcc, s3, v3
	v_bfe_i32 v4, v4, 0, 16
	v_cndmask_b32_e32 v3, v5, v6, vcc
	v_and_or_b32 v4, v4, s6, v3
	v_bfe_u32 v3, v3, 16, 1
	v_add3_u32 v3, v4, v3, s7
	v_cmp_o_f32_e32 vcc, v4, v4
	v_mov_b32_e32 v4, 0x7fc0
	v_cndmask_b32_sdwa v3, v4, v3, vcc dst_sel:DWORD dst_unused:UNUSED_PAD src0_sel:DWORD src1_sel:WORD_1
.LBB207_476:
	s_mov_b64 s[6:7], 0
	s_mov_b64 s[2:3], -1
.LBB207_477:
	s_andn2_b64 vcc, exec, s[6:7]
	s_cbranch_vccnz .LBB207_490
; %bb.478:
	s_cmp_gt_i32 s12, 14
	s_cbranch_scc0 .LBB207_481
; %bb.479:
	s_cmp_eq_u32 s12, 15
	s_cbranch_scc0 .LBB207_484
; %bb.480:
	global_load_ushort v3, v[1:2], off
	s_mov_b64 s[2:3], -1
	s_mov_b64 s[8:9], 0
	s_branch .LBB207_485
.LBB207_481:
	s_mov_b64 s[6:7], -1
                                        ; implicit-def: $vgpr3
	s_branch .LBB207_486
.LBB207_482:
	s_or_saveexec_b64 s[6:7], s[6:7]
	v_mov_b32_e32 v4, 0x7f800001
	s_xor_b64 exec, exec, s[6:7]
	s_cbranch_execz .LBB207_463
.LBB207_483:
	v_cmp_ne_u16_e32 vcc, 0, v3
	s_andn2_b64 s[2:3], s[2:3], exec
	s_and_b64 s[10:11], vcc, exec
	v_mov_b32_e32 v4, 0
	s_or_b64 s[2:3], s[2:3], s[10:11]
	s_or_b64 exec, exec, s[6:7]
	s_and_saveexec_b64 s[6:7], s[2:3]
	s_cbranch_execnz .LBB207_464
	s_branch .LBB207_465
.LBB207_484:
	s_mov_b64 s[8:9], -1
                                        ; implicit-def: $vgpr3
.LBB207_485:
	s_mov_b64 s[6:7], 0
.LBB207_486:
	s_and_b64 vcc, exec, s[6:7]
	s_cbranch_vccz .LBB207_490
; %bb.487:
	s_cmp_eq_u32 s12, 11
	s_cbranch_scc0 .LBB207_489
; %bb.488:
	global_load_ubyte v3, v[1:2], off
	s_mov_b64 s[2:3], -1
	s_mov_b64 s[8:9], 0
	s_waitcnt vmcnt(0)
	v_cmp_ne_u16_e32 vcc, 0, v3
	v_cndmask_b32_e64 v3, 0, 1.0, vcc
	v_lshrrev_b32_e32 v3, 16, v3
	s_branch .LBB207_490
.LBB207_489:
	s_mov_b64 s[8:9], -1
                                        ; implicit-def: $vgpr3
.LBB207_490:
	s_branch .LBB207_293
.LBB207_491:
	s_cmp_lt_i32 s12, 5
	s_cbranch_scc1 .LBB207_496
; %bb.492:
	s_cmp_lt_i32 s12, 8
	s_cbranch_scc1 .LBB207_497
; %bb.493:
	;; [unrolled: 3-line block ×3, first 2 shown]
	s_cmp_gt_i32 s12, 9
	s_cbranch_scc0 .LBB207_499
; %bb.495:
	global_load_dwordx2 v[3:4], v[1:2], off
	s_movk_i32 s2, 0x7fff
	s_waitcnt vmcnt(0)
	v_cvt_f32_f64_e32 v3, v[3:4]
	v_mov_b32_e32 v4, 0x7fc0
	v_bfe_u32 v5, v3, 16, 1
	v_cmp_o_f32_e32 vcc, v3, v3
	v_add3_u32 v3, v3, v5, s2
	v_cndmask_b32_sdwa v3, v4, v3, vcc dst_sel:DWORD dst_unused:UNUSED_PAD src0_sel:DWORD src1_sel:WORD_1
	s_mov_b64 s[2:3], 0
	s_branch .LBB207_500
.LBB207_496:
	s_mov_b64 s[2:3], -1
                                        ; implicit-def: $vgpr3
	s_branch .LBB207_518
.LBB207_497:
	s_mov_b64 s[2:3], -1
                                        ; implicit-def: $vgpr3
	s_branch .LBB207_506
.LBB207_498:
	s_mov_b64 s[2:3], -1
                                        ; implicit-def: $vgpr3
	s_branch .LBB207_503
.LBB207_499:
	s_mov_b64 s[2:3], -1
                                        ; implicit-def: $vgpr3
.LBB207_500:
	s_andn2_b64 vcc, exec, s[2:3]
	s_cbranch_vccnz .LBB207_502
; %bb.501:
	global_load_dword v3, v[1:2], off
	s_movk_i32 s2, 0x7fff
	v_mov_b32_e32 v4, 0x7fc0
	s_waitcnt vmcnt(0)
	v_bfe_u32 v5, v3, 16, 1
	v_cmp_o_f32_e32 vcc, v3, v3
	v_add3_u32 v3, v3, v5, s2
	v_cndmask_b32_sdwa v3, v4, v3, vcc dst_sel:DWORD dst_unused:UNUSED_PAD src0_sel:DWORD src1_sel:WORD_1
.LBB207_502:
	s_mov_b64 s[2:3], 0
.LBB207_503:
	s_andn2_b64 vcc, exec, s[2:3]
	s_cbranch_vccnz .LBB207_505
; %bb.504:
	global_load_dword v3, v[1:2], off
	s_movk_i32 s2, 0x7fff
	v_mov_b32_e32 v5, 0x7fc0
	s_waitcnt vmcnt(0)
	v_cvt_f32_f16_e32 v4, v3
	v_cmp_o_f16_e32 vcc, v3, v3
	v_bfe_u32 v3, v4, 16, 1
	v_add3_u32 v3, v4, v3, s2
	v_cndmask_b32_sdwa v3, v5, v3, vcc dst_sel:DWORD dst_unused:UNUSED_PAD src0_sel:DWORD src1_sel:WORD_1
.LBB207_505:
	s_mov_b64 s[2:3], 0
.LBB207_506:
	s_andn2_b64 vcc, exec, s[2:3]
	s_cbranch_vccnz .LBB207_517
; %bb.507:
	s_cmp_lt_i32 s12, 6
	s_cbranch_scc1 .LBB207_510
; %bb.508:
	s_cmp_gt_i32 s12, 6
	s_cbranch_scc0 .LBB207_511
; %bb.509:
	global_load_dwordx2 v[3:4], v[1:2], off
	s_movk_i32 s2, 0x7fff
	s_waitcnt vmcnt(0)
	v_cvt_f32_f64_e32 v3, v[3:4]
	v_mov_b32_e32 v4, 0x7fc0
	v_bfe_u32 v5, v3, 16, 1
	v_cmp_o_f32_e32 vcc, v3, v3
	v_add3_u32 v3, v3, v5, s2
	v_cndmask_b32_sdwa v3, v4, v3, vcc dst_sel:DWORD dst_unused:UNUSED_PAD src0_sel:DWORD src1_sel:WORD_1
	s_mov_b64 s[2:3], 0
	s_branch .LBB207_512
.LBB207_510:
	s_mov_b64 s[2:3], -1
                                        ; implicit-def: $vgpr3
	s_branch .LBB207_515
.LBB207_511:
	s_mov_b64 s[2:3], -1
                                        ; implicit-def: $vgpr3
.LBB207_512:
	s_andn2_b64 vcc, exec, s[2:3]
	s_cbranch_vccnz .LBB207_514
; %bb.513:
	global_load_dword v3, v[1:2], off
	s_movk_i32 s2, 0x7fff
	v_mov_b32_e32 v4, 0x7fc0
	s_waitcnt vmcnt(0)
	v_bfe_u32 v5, v3, 16, 1
	v_cmp_o_f32_e32 vcc, v3, v3
	v_add3_u32 v3, v3, v5, s2
	v_cndmask_b32_sdwa v3, v4, v3, vcc dst_sel:DWORD dst_unused:UNUSED_PAD src0_sel:DWORD src1_sel:WORD_1
.LBB207_514:
	s_mov_b64 s[2:3], 0
.LBB207_515:
	s_andn2_b64 vcc, exec, s[2:3]
	s_cbranch_vccnz .LBB207_517
; %bb.516:
	global_load_ushort v3, v[1:2], off
	s_movk_i32 s2, 0x7fff
	v_mov_b32_e32 v5, 0x7fc0
	s_waitcnt vmcnt(0)
	v_cvt_f32_f16_e32 v4, v3
	v_cmp_o_f16_e32 vcc, v3, v3
	v_bfe_u32 v3, v4, 16, 1
	v_add3_u32 v3, v4, v3, s2
	v_cndmask_b32_sdwa v3, v5, v3, vcc dst_sel:DWORD dst_unused:UNUSED_PAD src0_sel:DWORD src1_sel:WORD_1
.LBB207_517:
	s_mov_b64 s[2:3], 0
.LBB207_518:
	s_andn2_b64 vcc, exec, s[2:3]
	s_cbranch_vccnz .LBB207_538
; %bb.519:
	s_cmp_lt_i32 s12, 2
	s_cbranch_scc1 .LBB207_523
; %bb.520:
	s_cmp_lt_i32 s12, 3
	s_cbranch_scc1 .LBB207_524
; %bb.521:
	s_cmp_gt_i32 s12, 3
	s_cbranch_scc0 .LBB207_525
; %bb.522:
	global_load_dwordx2 v[3:4], v[1:2], off
	s_movk_i32 s2, 0x7fff
	s_waitcnt vmcnt(0)
	v_xor_b32_e32 v6, v3, v4
	v_ffbh_i32_e32 v5, v4
	v_ashrrev_i32_e32 v6, 31, v6
	v_add_u32_e32 v5, -1, v5
	v_add_u32_e32 v6, 32, v6
	v_min_u32_e32 v5, v5, v6
	v_lshlrev_b64 v[3:4], v5, v[3:4]
	v_min_u32_e32 v3, 1, v3
	v_or_b32_e32 v3, v4, v3
	v_cvt_f32_i32_e32 v3, v3
	v_sub_u32_e32 v4, 32, v5
	v_ldexp_f32 v3, v3, v4
	v_bfe_u32 v4, v3, 16, 1
	v_add3_u32 v3, v3, v4, s2
	v_lshrrev_b32_e32 v3, 16, v3
	s_mov_b64 s[2:3], 0
	s_branch .LBB207_526
.LBB207_523:
	s_mov_b64 s[2:3], -1
                                        ; implicit-def: $vgpr3
	s_branch .LBB207_532
.LBB207_524:
	s_mov_b64 s[2:3], -1
                                        ; implicit-def: $vgpr3
	s_branch .LBB207_529
.LBB207_525:
	s_mov_b64 s[2:3], -1
                                        ; implicit-def: $vgpr3
.LBB207_526:
	s_andn2_b64 vcc, exec, s[2:3]
	s_cbranch_vccnz .LBB207_528
; %bb.527:
	global_load_dword v3, v[1:2], off
	s_movk_i32 s2, 0x7fff
	s_waitcnt vmcnt(0)
	v_cvt_f32_i32_e32 v3, v3
	v_bfe_u32 v4, v3, 16, 1
	v_add3_u32 v3, v3, v4, s2
	v_lshrrev_b32_e32 v3, 16, v3
.LBB207_528:
	s_mov_b64 s[2:3], 0
.LBB207_529:
	s_andn2_b64 vcc, exec, s[2:3]
	s_cbranch_vccnz .LBB207_531
; %bb.530:
	global_load_sshort v3, v[1:2], off
	s_movk_i32 s2, 0x7fff
	s_waitcnt vmcnt(0)
	v_cvt_f32_i32_e32 v3, v3
	v_bfe_u32 v4, v3, 16, 1
	v_add3_u32 v3, v3, v4, s2
	v_lshrrev_b32_e32 v3, 16, v3
.LBB207_531:
	s_mov_b64 s[2:3], 0
.LBB207_532:
	s_andn2_b64 vcc, exec, s[2:3]
	s_cbranch_vccnz .LBB207_538
; %bb.533:
	s_cmp_gt_i32 s12, 0
	s_cbranch_scc0 .LBB207_535
; %bb.534:
	global_load_sbyte v3, v[1:2], off
	s_movk_i32 s2, 0x7fff
	s_waitcnt vmcnt(0)
	v_cvt_f32_i32_e32 v3, v3
	v_bfe_u32 v4, v3, 16, 1
	v_add3_u32 v3, v3, v4, s2
	v_lshrrev_b32_e32 v3, 16, v3
	s_mov_b64 s[2:3], 0
	s_branch .LBB207_536
.LBB207_535:
	s_mov_b64 s[2:3], -1
                                        ; implicit-def: $vgpr3
.LBB207_536:
	s_andn2_b64 vcc, exec, s[2:3]
	s_cbranch_vccnz .LBB207_538
; %bb.537:
	global_load_ubyte v1, v[1:2], off
	s_movk_i32 s2, 0x7fff
	s_waitcnt vmcnt(0)
	v_cvt_f32_ubyte0_e32 v1, v1
	v_bfe_u32 v2, v1, 16, 1
	v_add3_u32 v1, v1, v2, s2
	v_lshrrev_b32_e32 v3, 16, v1
.LBB207_538:
	s_branch .LBB207_294
.LBB207_539:
	s_mov_b64 s[2:3], 0
	s_mov_b64 s[6:7], s[58:59]
.LBB207_540:
                                        ; implicit-def: $vgpr8
.LBB207_541:
	s_andn2_b64 s[10:11], s[58:59], exec
	s_and_b64 s[6:7], s[6:7], exec
	s_or_b64 s[66:67], s[10:11], s[6:7]
	s_andn2_b64 s[6:7], s[60:61], exec
	s_and_b64 s[8:9], s[8:9], exec
	s_or_b64 s[64:65], s[6:7], s[8:9]
	s_orn2_b64 s[2:3], s[2:3], exec
.LBB207_542:
	s_or_b64 exec, exec, s[68:69]
	s_mov_b64 s[6:7], 0
	s_mov_b64 s[8:9], 0
	s_mov_b64 s[12:13], 0
                                        ; implicit-def: $vgpr1_vgpr2
                                        ; implicit-def: $vgpr0
                                        ; implicit-def: $vgpr3
	s_and_saveexec_b64 s[68:69], s[2:3]
	s_cbranch_execz .LBB207_917
; %bb.543:
	v_cmp_gt_i32_e32 vcc, s72, v8
	s_mov_b64 s[14:15], -1
	s_mov_b64 s[2:3], s[64:65]
	s_mov_b64 s[6:7], s[66:67]
	s_and_saveexec_b64 s[70:71], vcc
	s_cbranch_execz .LBB207_817
; %bb.544:
	s_andn2_b64 vcc, exec, s[46:47]
	s_cbranch_vccnz .LBB207_549
; %bb.545:
	s_andn2_b64 vcc, exec, s[56:57]
	s_cbranch_vccnz .LBB207_550
; %bb.546:
	s_add_i32 s79, s78, 1
	s_cmp_eq_u32 s74, 2
	s_cbranch_scc1 .LBB207_551
; %bb.547:
	s_and_b32 s73, s79, 28
	v_mov_b32_e32 v2, 0
	s_mov_b32 s80, 0
	s_mov_b64 s[2:3], s[34:35]
	s_mov_b64 s[6:7], s[54:55]
	v_mov_b32_e32 v0, 0
	v_mov_b32_e32 v1, v8
.LBB207_548:                            ; =>This Inner Loop Header: Depth=1
	s_load_dwordx8 s[16:23], s[2:3], 0x4
	s_load_dwordx4 s[40:43], s[2:3], 0x24
	s_load_dwordx8 s[8:15], s[6:7], 0x0
	s_add_u32 s2, s2, 48
	s_addc_u32 s3, s3, 0
	s_waitcnt vmcnt(0) lgkmcnt(0)
	v_mul_hi_u32 v3, s17, v1
	s_add_i32 s80, s80, 4
	s_add_u32 s6, s6, 32
	s_addc_u32 s7, s7, 0
	v_add_u32_e32 v3, v1, v3
	v_lshrrev_b32_e32 v3, s18, v3
	v_mul_lo_u32 v4, v3, s16
	v_mul_hi_u32 v5, s20, v3
	s_cmp_eq_u32 s73, s80
	v_sub_u32_e32 v1, v1, v4
	v_add_u32_e32 v4, v3, v5
	v_mul_lo_u32 v5, v1, s8
	v_mul_lo_u32 v6, v1, s9
	v_lshrrev_b32_e32 v1, s21, v4
	v_mul_lo_u32 v4, v1, s19
	v_mul_hi_u32 v7, s23, v1
	v_sub_u32_e32 v3, v3, v4
	v_add_u32_e32 v4, v1, v7
	v_lshrrev_b32_e32 v4, s40, v4
	v_mul_hi_u32 v9, s42, v4
	v_mul_lo_u32 v10, v4, s22
	v_mul_lo_u32 v7, v3, s10
	;; [unrolled: 1-line block ×3, first 2 shown]
	v_sub_u32_e32 v10, v1, v10
	v_add_u32_e32 v1, v4, v9
	v_lshrrev_b32_e32 v1, s43, v1
	v_mul_lo_u32 v9, v1, s41
	v_mul_lo_u32 v11, v10, s12
	;; [unrolled: 1-line block ×3, first 2 shown]
	v_add3_u32 v0, v5, v0, v7
	v_sub_u32_e32 v4, v4, v9
	v_mul_lo_u32 v9, v4, s14
	v_mul_lo_u32 v4, v4, s15
	v_add3_u32 v2, v6, v2, v3
	v_add3_u32 v0, v11, v0, v9
	;; [unrolled: 1-line block ×3, first 2 shown]
	s_cbranch_scc0 .LBB207_548
	s_branch .LBB207_552
.LBB207_549:
	s_mov_b64 s[2:3], -1
                                        ; implicit-def: $vgpr0
                                        ; implicit-def: $vgpr2
	s_branch .LBB207_556
.LBB207_550:
	v_mov_b32_e32 v0, 0
	v_mov_b32_e32 v2, 0
	s_branch .LBB207_555
.LBB207_551:
	s_mov_b32 s73, 0
	v_mov_b32_e32 v0, 0
	v_mov_b32_e32 v2, 0
	;; [unrolled: 1-line block ×3, first 2 shown]
.LBB207_552:
	s_and_b32 s8, s79, 3
	s_cmp_eq_u32 s8, 0
	s_cbranch_scc1 .LBB207_555
; %bb.553:
	s_lshl_b32 s2, s73, 3
	s_add_u32 s2, s34, s2
	s_addc_u32 s3, s35, 0
	s_add_u32 s2, s2, 0xc4
	s_addc_u32 s3, s3, 0
	s_mul_i32 s6, s73, 12
	s_add_u32 s6, s34, s6
	s_addc_u32 s7, s35, 0
.LBB207_554:                            ; =>This Inner Loop Header: Depth=1
	s_load_dwordx2 s[10:11], s[6:7], 0x4
	s_load_dword s9, s[6:7], 0xc
	s_load_dwordx2 s[12:13], s[2:3], 0x0
	s_add_u32 s6, s6, 12
	s_addc_u32 s7, s7, 0
	s_waitcnt vmcnt(0) lgkmcnt(0)
	v_mul_hi_u32 v3, s11, v1
	s_add_u32 s2, s2, 8
	s_addc_u32 s3, s3, 0
	s_add_i32 s8, s8, -1
	v_add_u32_e32 v3, v1, v3
	v_lshrrev_b32_e32 v4, s9, v3
	v_mul_lo_u32 v3, v4, s10
	s_cmp_lg_u32 s8, 0
	v_sub_u32_e32 v3, v1, v3
	v_mad_u64_u32 v[0:1], s[10:11], v3, s12, v[0:1]
	v_mad_u64_u32 v[2:3], s[10:11], v3, s13, v[2:3]
	v_mov_b32_e32 v1, v4
	s_cbranch_scc1 .LBB207_554
.LBB207_555:
	s_mov_b64 s[2:3], 0
.LBB207_556:
	s_andn2_b64 vcc, exec, s[2:3]
	s_cbranch_vccnz .LBB207_559
; %bb.557:
	v_mul_hi_u32 v0, s29, v8
	s_andn2_b64 vcc, exec, s[52:53]
	v_add_u32_e32 v0, v8, v0
	v_lshrrev_b32_e32 v1, s30, v0
	v_mul_lo_u32 v0, v1, s28
	v_sub_u32_e32 v2, v8, v0
	v_mul_lo_u32 v0, v2, s36
	v_mul_lo_u32 v2, v2, s37
	s_cbranch_vccnz .LBB207_559
; %bb.558:
	s_waitcnt vmcnt(0)
	v_mul_hi_u32 v3, s50, v1
	v_add_u32_e32 v3, v1, v3
	v_lshrrev_b32_e32 v3, s51, v3
	v_mul_lo_u32 v3, v3, s31
	v_sub_u32_e32 v3, v1, v3
	v_mad_u64_u32 v[0:1], s[2:3], v3, s38, v[0:1]
	v_mad_u64_u32 v[2:3], s[2:3], v3, s39, v[2:3]
.LBB207_559:
	s_waitcnt vmcnt(0)
	v_mov_b32_e32 v3, s27
	s_and_b32 s12, 0xffff, s77
	v_add_co_u32_e32 v1, vcc, s26, v2
	s_cmp_lt_i32 s12, 11
	v_addc_co_u32_e32 v2, vcc, 0, v3, vcc
	s_cbranch_scc1 .LBB207_566
; %bb.560:
	s_cmp_gt_i32 s12, 25
	s_cbranch_scc0 .LBB207_567
; %bb.561:
	s_cmp_gt_i32 s12, 28
	s_cbranch_scc0 .LBB207_568
	;; [unrolled: 3-line block ×4, first 2 shown]
; %bb.564:
	s_cmp_eq_u32 s12, 46
	s_mov_b64 s[6:7], 0
	s_cbranch_scc0 .LBB207_575
; %bb.565:
	global_load_dword v3, v[1:2], off
	s_mov_b64 s[2:3], -1
	s_mov_b64 s[8:9], 0
	s_branch .LBB207_576
.LBB207_566:
	s_mov_b64 s[6:7], -1
	s_mov_b64 s[2:3], 0
                                        ; implicit-def: $vgpr3
	s_mov_b64 s[8:9], s[64:65]
	s_branch .LBB207_641
.LBB207_567:
	s_mov_b64 s[6:7], -1
	s_mov_b64 s[2:3], 0
	s_mov_b64 s[8:9], s[64:65]
                                        ; implicit-def: $vgpr3
	s_branch .LBB207_605
.LBB207_568:
	s_mov_b64 s[6:7], -1
	s_mov_b64 s[2:3], 0
	s_mov_b64 s[8:9], s[64:65]
                                        ; implicit-def: $vgpr3
	s_branch .LBB207_586
.LBB207_569:
	s_mov_b64 s[6:7], -1
	s_mov_b64 s[2:3], 0
	s_mov_b64 s[8:9], s[64:65]
                                        ; implicit-def: $vgpr3
	s_branch .LBB207_581
.LBB207_570:
	s_andn2_saveexec_b64 s[14:15], s[14:15]
	s_cbranch_execz .LBB207_339
.LBB207_571:
	v_add_f32_e32 v2, 0x46000000, v3
	v_and_b32_e32 v2, 0xff, v2
	v_cmp_ne_u32_e32 vcc, 0, v2
	s_andn2_b64 s[12:13], s[12:13], exec
	s_and_b64 s[18:19], vcc, exec
	s_or_b64 s[12:13], s[12:13], s[18:19]
	s_or_b64 exec, exec, s[14:15]
	v_mov_b32_e32 v4, 0
	s_and_saveexec_b64 s[14:15], s[12:13]
	s_cbranch_execnz .LBB207_340
	s_branch .LBB207_341
.LBB207_572:
	s_mov_b64 s[6:7], -1
	s_mov_b64 s[2:3], 0
	s_mov_b64 s[8:9], s[64:65]
                                        ; implicit-def: $vgpr3
	s_branch .LBB207_576
.LBB207_573:
	s_andn2_saveexec_b64 s[14:15], s[14:15]
	s_cbranch_execz .LBB207_352
.LBB207_574:
	v_add_f32_e32 v2, 0x42800000, v3
	v_and_b32_e32 v2, 0xff, v2
	v_cmp_ne_u32_e32 vcc, 0, v2
	s_andn2_b64 s[12:13], s[12:13], exec
	s_and_b64 s[18:19], vcc, exec
	s_or_b64 s[12:13], s[12:13], s[18:19]
	s_or_b64 exec, exec, s[14:15]
	v_mov_b32_e32 v4, 0
	s_and_saveexec_b64 s[14:15], s[12:13]
	s_cbranch_execnz .LBB207_353
	s_branch .LBB207_354
.LBB207_575:
	s_mov_b64 s[8:9], -1
                                        ; implicit-def: $vgpr3
	s_mov_b64 s[2:3], 0
.LBB207_576:
	s_and_b64 vcc, exec, s[6:7]
	s_cbranch_vccz .LBB207_580
; %bb.577:
	s_cmp_eq_u32 s12, 44
	s_cbranch_scc0 .LBB207_579
; %bb.578:
	global_load_ubyte v3, v[1:2], off
	s_movk_i32 s6, 0xff
	v_mov_b32_e32 v4, 0x7f800001
	v_mov_b32_e32 v5, 0x400000
	;; [unrolled: 1-line block ×3, first 2 shown]
	s_mov_b64 s[2:3], -1
	s_mov_b64 s[8:9], 0
	s_waitcnt vmcnt(0)
	v_lshlrev_b32_e32 v7, 23, v3
	v_cmp_ne_u32_e32 vcc, s6, v3
	v_cndmask_b32_e32 v4, v4, v7, vcc
	v_cmp_ne_u32_e32 vcc, 0, v3
	v_cndmask_b32_e32 v3, v5, v4, vcc
	v_add_u32_e32 v4, 0x7fff, v3
	v_cmp_o_f32_e32 vcc, v3, v3
	v_cndmask_b32_sdwa v3, v6, v4, vcc dst_sel:DWORD dst_unused:UNUSED_PAD src0_sel:DWORD src1_sel:WORD_1
	s_branch .LBB207_580
.LBB207_579:
	s_mov_b64 s[8:9], -1
                                        ; implicit-def: $vgpr3
.LBB207_580:
	s_mov_b64 s[6:7], 0
.LBB207_581:
	s_and_b64 vcc, exec, s[6:7]
	s_cbranch_vccz .LBB207_585
; %bb.582:
	s_cmp_eq_u32 s12, 29
	s_cbranch_scc0 .LBB207_584
; %bb.583:
	global_load_dwordx2 v[3:4], v[1:2], off
	s_movk_i32 s6, 0x7fff
	s_mov_b64 s[2:3], -1
	s_mov_b64 s[8:9], 0
	s_waitcnt vmcnt(0)
	v_ffbh_u32_e32 v5, v4
	v_min_u32_e32 v5, 32, v5
	v_lshlrev_b64 v[3:4], v5, v[3:4]
	v_min_u32_e32 v3, 1, v3
	v_or_b32_e32 v3, v4, v3
	v_cvt_f32_u32_e32 v3, v3
	v_sub_u32_e32 v4, 32, v5
	v_ldexp_f32 v3, v3, v4
	v_bfe_u32 v4, v3, 16, 1
	v_add3_u32 v3, v3, v4, s6
	v_lshrrev_b32_e32 v3, 16, v3
	s_branch .LBB207_585
.LBB207_584:
	s_mov_b64 s[8:9], -1
                                        ; implicit-def: $vgpr3
.LBB207_585:
	s_mov_b64 s[6:7], 0
.LBB207_586:
	s_and_b64 vcc, exec, s[6:7]
	s_cbranch_vccz .LBB207_604
; %bb.587:
	s_cmp_lt_i32 s12, 27
	s_cbranch_scc1 .LBB207_590
; %bb.588:
	s_cmp_gt_i32 s12, 27
	s_cbranch_scc0 .LBB207_591
; %bb.589:
	global_load_dword v3, v[1:2], off
	s_movk_i32 s2, 0x7fff
	s_waitcnt vmcnt(0)
	v_cvt_f32_u32_e32 v3, v3
	v_bfe_u32 v4, v3, 16, 1
	v_add3_u32 v3, v3, v4, s2
	v_lshrrev_b32_e32 v3, 16, v3
	s_mov_b64 s[2:3], 0
	s_branch .LBB207_592
.LBB207_590:
	s_mov_b64 s[2:3], -1
                                        ; implicit-def: $vgpr3
	s_branch .LBB207_595
.LBB207_591:
	s_mov_b64 s[2:3], -1
                                        ; implicit-def: $vgpr3
.LBB207_592:
	s_andn2_b64 vcc, exec, s[2:3]
	s_cbranch_vccnz .LBB207_594
; %bb.593:
	global_load_ushort v3, v[1:2], off
	s_movk_i32 s2, 0x7fff
	s_waitcnt vmcnt(0)
	v_cvt_f32_u32_e32 v3, v3
	v_bfe_u32 v4, v3, 16, 1
	v_add3_u32 v3, v3, v4, s2
	v_lshrrev_b32_e32 v3, 16, v3
.LBB207_594:
	s_mov_b64 s[2:3], 0
.LBB207_595:
	s_andn2_b64 vcc, exec, s[2:3]
	s_cbranch_vccnz .LBB207_603
; %bb.596:
	global_load_ubyte v3, v[1:2], off
	s_movk_i32 s2, 0x7f
	s_waitcnt vmcnt(0)
	v_cmp_lt_i16_e32 vcc, s2, v3
	s_mov_b64 s[2:3], 0
	s_and_saveexec_b64 s[6:7], vcc
	s_xor_b64 s[6:7], exec, s[6:7]
	s_cbranch_execz .LBB207_617
; %bb.597:
	s_movk_i32 s2, 0x80
	v_cmp_eq_u16_e32 vcc, s2, v3
	s_mov_b64 s[2:3], -1
	s_and_saveexec_b64 s[10:11], vcc
; %bb.598:
	s_xor_b64 s[2:3], exec, -1
; %bb.599:
	s_or_b64 exec, exec, s[10:11]
	s_and_b64 s[2:3], s[2:3], exec
	s_or_saveexec_b64 s[6:7], s[6:7]
	v_mov_b32_e32 v4, 0x7f800001
	s_xor_b64 exec, exec, s[6:7]
	s_cbranch_execnz .LBB207_618
.LBB207_600:
	s_or_b64 exec, exec, s[6:7]
	s_and_saveexec_b64 s[6:7], s[2:3]
	s_cbranch_execz .LBB207_602
.LBB207_601:
	v_lshlrev_b32_e32 v4, 24, v3
	v_and_b32_e32 v3, 0xffff, v3
	v_and_b32_e32 v5, 7, v3
	v_ffbh_u32_e32 v7, v5
	v_min_u32_e32 v7, 32, v7
	v_subrev_u32_e32 v9, 28, v7
	v_bfe_u32 v6, v3, 3, 4
	v_lshlrev_b32_e32 v3, v9, v3
	v_sub_u32_e32 v7, 29, v7
	v_and_b32_e32 v3, 7, v3
	v_cmp_eq_u32_e32 vcc, 0, v6
	v_cndmask_b32_e32 v6, v6, v7, vcc
	v_cndmask_b32_e32 v3, v5, v3, vcc
	v_mov_b32_e32 v5, 0x3b800000
	v_lshlrev_b32_e32 v3, 20, v3
	v_and_b32_e32 v4, 0x80000000, v4
	v_lshl_add_u32 v5, v6, 23, v5
	v_or3_b32 v4, v4, v5, v3
.LBB207_602:
	s_or_b64 exec, exec, s[6:7]
	v_bfe_u32 v3, v4, 16, 1
	s_movk_i32 s2, 0x7fff
	v_add3_u32 v3, v4, v3, s2
	v_cmp_o_f32_e32 vcc, v4, v4
	v_mov_b32_e32 v4, 0x7fc0
	v_cndmask_b32_sdwa v3, v4, v3, vcc dst_sel:DWORD dst_unused:UNUSED_PAD src0_sel:DWORD src1_sel:WORD_1
.LBB207_603:
	s_mov_b64 s[2:3], -1
.LBB207_604:
	s_mov_b64 s[6:7], 0
.LBB207_605:
	s_and_b64 vcc, exec, s[6:7]
	s_cbranch_vccz .LBB207_640
; %bb.606:
	s_cmp_gt_i32 s12, 22
	s_cbranch_scc0 .LBB207_616
; %bb.607:
	s_cmp_lt_i32 s12, 24
	s_cbranch_scc1 .LBB207_619
; %bb.608:
	s_cmp_gt_i32 s12, 24
	s_cbranch_scc0 .LBB207_620
; %bb.609:
	global_load_ubyte v3, v[1:2], off
	s_movk_i32 s2, 0x7f
	s_waitcnt vmcnt(0)
	v_cmp_lt_i16_e32 vcc, s2, v3
	s_mov_b64 s[2:3], 0
	s_and_saveexec_b64 s[6:7], vcc
	s_xor_b64 s[6:7], exec, s[6:7]
	s_cbranch_execz .LBB207_632
; %bb.610:
	s_movk_i32 s2, 0x80
	v_cmp_eq_u16_e32 vcc, s2, v3
	s_mov_b64 s[2:3], -1
	s_and_saveexec_b64 s[10:11], vcc
; %bb.611:
	s_xor_b64 s[2:3], exec, -1
; %bb.612:
	s_or_b64 exec, exec, s[10:11]
	s_and_b64 s[2:3], s[2:3], exec
	s_or_saveexec_b64 s[6:7], s[6:7]
	v_mov_b32_e32 v4, 0x7f800001
	s_xor_b64 exec, exec, s[6:7]
	s_cbranch_execnz .LBB207_633
.LBB207_613:
	s_or_b64 exec, exec, s[6:7]
	s_and_saveexec_b64 s[6:7], s[2:3]
	s_cbranch_execz .LBB207_615
.LBB207_614:
	v_lshlrev_b32_e32 v4, 24, v3
	v_and_b32_e32 v3, 0xffff, v3
	v_and_b32_e32 v5, 3, v3
	v_ffbh_u32_e32 v7, v5
	v_min_u32_e32 v7, 32, v7
	v_subrev_u32_e32 v9, 29, v7
	v_bfe_u32 v6, v3, 2, 5
	v_lshlrev_b32_e32 v3, v9, v3
	v_sub_u32_e32 v7, 30, v7
	v_and_b32_e32 v3, 3, v3
	v_cmp_eq_u32_e32 vcc, 0, v6
	v_cndmask_b32_e32 v6, v6, v7, vcc
	v_cndmask_b32_e32 v3, v5, v3, vcc
	v_mov_b32_e32 v5, 0x37800000
	v_lshlrev_b32_e32 v3, 21, v3
	v_and_b32_e32 v4, 0x80000000, v4
	v_lshl_add_u32 v5, v6, 23, v5
	v_or3_b32 v4, v4, v5, v3
.LBB207_615:
	s_or_b64 exec, exec, s[6:7]
	v_bfe_u32 v3, v4, 16, 1
	s_movk_i32 s2, 0x7fff
	v_add3_u32 v3, v4, v3, s2
	v_cmp_o_f32_e32 vcc, v4, v4
	v_mov_b32_e32 v4, 0x7fc0
	v_cndmask_b32_sdwa v3, v4, v3, vcc dst_sel:DWORD dst_unused:UNUSED_PAD src0_sel:DWORD src1_sel:WORD_1
	s_mov_b64 s[2:3], 0
	s_branch .LBB207_621
.LBB207_616:
	s_mov_b64 s[6:7], -1
                                        ; implicit-def: $vgpr3
	s_branch .LBB207_627
.LBB207_617:
	s_or_saveexec_b64 s[6:7], s[6:7]
	v_mov_b32_e32 v4, 0x7f800001
	s_xor_b64 exec, exec, s[6:7]
	s_cbranch_execz .LBB207_600
.LBB207_618:
	v_cmp_ne_u16_e32 vcc, 0, v3
	s_andn2_b64 s[2:3], s[2:3], exec
	s_and_b64 s[10:11], vcc, exec
	v_mov_b32_e32 v4, 0
	s_or_b64 s[2:3], s[2:3], s[10:11]
	s_or_b64 exec, exec, s[6:7]
	s_and_saveexec_b64 s[6:7], s[2:3]
	s_cbranch_execnz .LBB207_601
	s_branch .LBB207_602
.LBB207_619:
	s_mov_b64 s[2:3], -1
                                        ; implicit-def: $vgpr3
	s_branch .LBB207_624
.LBB207_620:
	s_mov_b64 s[2:3], -1
                                        ; implicit-def: $vgpr3
.LBB207_621:
	s_and_b64 vcc, exec, s[2:3]
	s_cbranch_vccz .LBB207_623
; %bb.622:
	global_load_ubyte v3, v[1:2], off
	s_mov_b32 s2, 0x7f800000
	s_brev_b32 s3, 1
	s_movk_i32 s6, 0x7fff
	s_waitcnt vmcnt(0)
	v_lshlrev_b32_e32 v3, 24, v3
	v_and_b32_e32 v4, 0x7f000000, v3
	v_ffbh_u32_e32 v5, v4
	v_min_u32_e32 v5, 32, v5
	v_sub_u32_e64 v5, v5, 4 clamp
	v_lshlrev_b32_e32 v7, v5, v4
	v_lshlrev_b32_e32 v5, 23, v5
	v_lshrrev_b32_e32 v7, 4, v7
	v_add_u32_e32 v6, 0x1000000, v4
	v_sub_u32_e32 v5, v7, v5
	v_ashrrev_i32_e32 v6, 8, v6
	v_add_u32_e32 v5, 0x3c000000, v5
	v_and_or_b32 v5, v6, s2, v5
	v_cmp_ne_u32_e32 vcc, 0, v4
	v_cndmask_b32_e32 v4, 0, v5, vcc
	v_and_or_b32 v3, v3, s3, v4
	v_bfe_u32 v4, v4, 16, 1
	v_add3_u32 v4, v3, v4, s6
	v_cmp_o_f32_e32 vcc, v3, v3
	v_mov_b32_e32 v3, 0x7fc0
	v_cndmask_b32_sdwa v3, v3, v4, vcc dst_sel:DWORD dst_unused:UNUSED_PAD src0_sel:DWORD src1_sel:WORD_1
.LBB207_623:
	s_mov_b64 s[2:3], 0
.LBB207_624:
	s_andn2_b64 vcc, exec, s[2:3]
	s_cbranch_vccnz .LBB207_626
; %bb.625:
	global_load_ubyte v3, v[1:2], off
	s_movk_i32 s2, 0x7f00
	s_brev_b32 s3, 16
	s_brev_b32 s6, 1
	s_movk_i32 s7, 0x7fff
	s_waitcnt vmcnt(0)
	v_lshlrev_b16_e32 v4, 8, v3
	v_lshlrev_b32_e32 v3, 25, v3
	v_lshrrev_b32_e32 v5, 4, v3
	v_and_or_b32 v6, v4, s2, 0.5
	v_or_b32_e32 v5, 0x70000000, v5
	v_add_f32_e32 v6, -0.5, v6
	v_mul_f32_e32 v5, 0x7800000, v5
	v_cmp_gt_u32_e32 vcc, s3, v3
	v_bfe_i32 v4, v4, 0, 16
	v_cndmask_b32_e32 v3, v5, v6, vcc
	v_and_or_b32 v4, v4, s6, v3
	v_bfe_u32 v3, v3, 16, 1
	v_add3_u32 v3, v4, v3, s7
	v_cmp_o_f32_e32 vcc, v4, v4
	v_mov_b32_e32 v4, 0x7fc0
	v_cndmask_b32_sdwa v3, v4, v3, vcc dst_sel:DWORD dst_unused:UNUSED_PAD src0_sel:DWORD src1_sel:WORD_1
.LBB207_626:
	s_mov_b64 s[6:7], 0
	s_mov_b64 s[2:3], -1
.LBB207_627:
	s_andn2_b64 vcc, exec, s[6:7]
	s_cbranch_vccnz .LBB207_640
; %bb.628:
	s_cmp_gt_i32 s12, 14
	s_cbranch_scc0 .LBB207_631
; %bb.629:
	s_cmp_eq_u32 s12, 15
	s_cbranch_scc0 .LBB207_634
; %bb.630:
	global_load_ushort v3, v[1:2], off
	s_mov_b64 s[2:3], -1
	s_mov_b64 s[8:9], 0
	s_branch .LBB207_635
.LBB207_631:
	s_mov_b64 s[6:7], -1
                                        ; implicit-def: $vgpr3
	s_branch .LBB207_636
.LBB207_632:
	s_or_saveexec_b64 s[6:7], s[6:7]
	v_mov_b32_e32 v4, 0x7f800001
	s_xor_b64 exec, exec, s[6:7]
	s_cbranch_execz .LBB207_613
.LBB207_633:
	v_cmp_ne_u16_e32 vcc, 0, v3
	s_andn2_b64 s[2:3], s[2:3], exec
	s_and_b64 s[10:11], vcc, exec
	v_mov_b32_e32 v4, 0
	s_or_b64 s[2:3], s[2:3], s[10:11]
	s_or_b64 exec, exec, s[6:7]
	s_and_saveexec_b64 s[6:7], s[2:3]
	s_cbranch_execnz .LBB207_614
	s_branch .LBB207_615
.LBB207_634:
	s_mov_b64 s[8:9], -1
                                        ; implicit-def: $vgpr3
.LBB207_635:
	s_mov_b64 s[6:7], 0
.LBB207_636:
	s_and_b64 vcc, exec, s[6:7]
	s_cbranch_vccz .LBB207_640
; %bb.637:
	s_cmp_eq_u32 s12, 11
	s_cbranch_scc0 .LBB207_639
; %bb.638:
	global_load_ubyte v3, v[1:2], off
	s_mov_b64 s[2:3], -1
	s_mov_b64 s[8:9], 0
	s_waitcnt vmcnt(0)
	v_cmp_ne_u16_e32 vcc, 0, v3
	v_cndmask_b32_e64 v3, 0, 1.0, vcc
	v_lshrrev_b32_e32 v3, 16, v3
	s_branch .LBB207_640
.LBB207_639:
	s_mov_b64 s[8:9], -1
                                        ; implicit-def: $vgpr3
.LBB207_640:
	s_mov_b64 s[6:7], 0
.LBB207_641:
	s_and_b64 vcc, exec, s[6:7]
	s_cbranch_vccz .LBB207_690
; %bb.642:
	s_cmp_lt_i32 s12, 5
	s_cbranch_scc1 .LBB207_647
; %bb.643:
	s_cmp_lt_i32 s12, 8
	s_cbranch_scc1 .LBB207_648
; %bb.644:
	s_cmp_lt_i32 s12, 9
	s_cbranch_scc1 .LBB207_649
; %bb.645:
	s_cmp_gt_i32 s12, 9
	s_cbranch_scc0 .LBB207_650
; %bb.646:
	global_load_dwordx2 v[3:4], v[1:2], off
	s_movk_i32 s2, 0x7fff
	s_waitcnt vmcnt(0)
	v_cvt_f32_f64_e32 v3, v[3:4]
	v_mov_b32_e32 v4, 0x7fc0
	v_bfe_u32 v5, v3, 16, 1
	v_cmp_o_f32_e32 vcc, v3, v3
	v_add3_u32 v3, v3, v5, s2
	v_cndmask_b32_sdwa v3, v4, v3, vcc dst_sel:DWORD dst_unused:UNUSED_PAD src0_sel:DWORD src1_sel:WORD_1
	s_mov_b64 s[2:3], 0
	s_branch .LBB207_651
.LBB207_647:
	s_mov_b64 s[2:3], -1
                                        ; implicit-def: $vgpr3
	s_branch .LBB207_669
.LBB207_648:
	s_mov_b64 s[2:3], -1
                                        ; implicit-def: $vgpr3
	s_branch .LBB207_657
.LBB207_649:
	s_mov_b64 s[2:3], -1
                                        ; implicit-def: $vgpr3
	s_branch .LBB207_654
.LBB207_650:
	s_mov_b64 s[2:3], -1
                                        ; implicit-def: $vgpr3
.LBB207_651:
	s_andn2_b64 vcc, exec, s[2:3]
	s_cbranch_vccnz .LBB207_653
; %bb.652:
	global_load_dword v3, v[1:2], off
	s_movk_i32 s2, 0x7fff
	v_mov_b32_e32 v4, 0x7fc0
	s_waitcnt vmcnt(0)
	v_bfe_u32 v5, v3, 16, 1
	v_cmp_o_f32_e32 vcc, v3, v3
	v_add3_u32 v3, v3, v5, s2
	v_cndmask_b32_sdwa v3, v4, v3, vcc dst_sel:DWORD dst_unused:UNUSED_PAD src0_sel:DWORD src1_sel:WORD_1
.LBB207_653:
	s_mov_b64 s[2:3], 0
.LBB207_654:
	s_andn2_b64 vcc, exec, s[2:3]
	s_cbranch_vccnz .LBB207_656
; %bb.655:
	global_load_dword v3, v[1:2], off
	s_movk_i32 s2, 0x7fff
	v_mov_b32_e32 v5, 0x7fc0
	s_waitcnt vmcnt(0)
	v_cvt_f32_f16_e32 v4, v3
	v_cmp_o_f16_e32 vcc, v3, v3
	v_bfe_u32 v3, v4, 16, 1
	v_add3_u32 v3, v4, v3, s2
	v_cndmask_b32_sdwa v3, v5, v3, vcc dst_sel:DWORD dst_unused:UNUSED_PAD src0_sel:DWORD src1_sel:WORD_1
.LBB207_656:
	s_mov_b64 s[2:3], 0
.LBB207_657:
	s_andn2_b64 vcc, exec, s[2:3]
	s_cbranch_vccnz .LBB207_668
; %bb.658:
	s_cmp_lt_i32 s12, 6
	s_cbranch_scc1 .LBB207_661
; %bb.659:
	s_cmp_gt_i32 s12, 6
	s_cbranch_scc0 .LBB207_662
; %bb.660:
	global_load_dwordx2 v[3:4], v[1:2], off
	s_movk_i32 s2, 0x7fff
	s_waitcnt vmcnt(0)
	v_cvt_f32_f64_e32 v3, v[3:4]
	v_mov_b32_e32 v4, 0x7fc0
	v_bfe_u32 v5, v3, 16, 1
	v_cmp_o_f32_e32 vcc, v3, v3
	v_add3_u32 v3, v3, v5, s2
	v_cndmask_b32_sdwa v3, v4, v3, vcc dst_sel:DWORD dst_unused:UNUSED_PAD src0_sel:DWORD src1_sel:WORD_1
	s_mov_b64 s[2:3], 0
	s_branch .LBB207_663
.LBB207_661:
	s_mov_b64 s[2:3], -1
                                        ; implicit-def: $vgpr3
	s_branch .LBB207_666
.LBB207_662:
	s_mov_b64 s[2:3], -1
                                        ; implicit-def: $vgpr3
.LBB207_663:
	s_andn2_b64 vcc, exec, s[2:3]
	s_cbranch_vccnz .LBB207_665
; %bb.664:
	global_load_dword v3, v[1:2], off
	s_movk_i32 s2, 0x7fff
	v_mov_b32_e32 v4, 0x7fc0
	s_waitcnt vmcnt(0)
	v_bfe_u32 v5, v3, 16, 1
	v_cmp_o_f32_e32 vcc, v3, v3
	v_add3_u32 v3, v3, v5, s2
	v_cndmask_b32_sdwa v3, v4, v3, vcc dst_sel:DWORD dst_unused:UNUSED_PAD src0_sel:DWORD src1_sel:WORD_1
.LBB207_665:
	s_mov_b64 s[2:3], 0
.LBB207_666:
	s_andn2_b64 vcc, exec, s[2:3]
	s_cbranch_vccnz .LBB207_668
; %bb.667:
	global_load_ushort v3, v[1:2], off
	s_movk_i32 s2, 0x7fff
	v_mov_b32_e32 v5, 0x7fc0
	s_waitcnt vmcnt(0)
	v_cvt_f32_f16_e32 v4, v3
	v_cmp_o_f16_e32 vcc, v3, v3
	v_bfe_u32 v3, v4, 16, 1
	v_add3_u32 v3, v4, v3, s2
	v_cndmask_b32_sdwa v3, v5, v3, vcc dst_sel:DWORD dst_unused:UNUSED_PAD src0_sel:DWORD src1_sel:WORD_1
.LBB207_668:
	s_mov_b64 s[2:3], 0
.LBB207_669:
	s_andn2_b64 vcc, exec, s[2:3]
	s_cbranch_vccnz .LBB207_689
; %bb.670:
	s_cmp_lt_i32 s12, 2
	s_cbranch_scc1 .LBB207_674
; %bb.671:
	s_cmp_lt_i32 s12, 3
	s_cbranch_scc1 .LBB207_675
; %bb.672:
	s_cmp_gt_i32 s12, 3
	s_cbranch_scc0 .LBB207_676
; %bb.673:
	global_load_dwordx2 v[3:4], v[1:2], off
	s_movk_i32 s2, 0x7fff
	s_waitcnt vmcnt(0)
	v_xor_b32_e32 v6, v3, v4
	v_ffbh_i32_e32 v5, v4
	v_ashrrev_i32_e32 v6, 31, v6
	v_add_u32_e32 v5, -1, v5
	v_add_u32_e32 v6, 32, v6
	v_min_u32_e32 v5, v5, v6
	v_lshlrev_b64 v[3:4], v5, v[3:4]
	v_min_u32_e32 v3, 1, v3
	v_or_b32_e32 v3, v4, v3
	v_cvt_f32_i32_e32 v3, v3
	v_sub_u32_e32 v4, 32, v5
	v_ldexp_f32 v3, v3, v4
	v_bfe_u32 v4, v3, 16, 1
	v_add3_u32 v3, v3, v4, s2
	v_lshrrev_b32_e32 v3, 16, v3
	s_mov_b64 s[2:3], 0
	s_branch .LBB207_677
.LBB207_674:
	s_mov_b64 s[2:3], -1
                                        ; implicit-def: $vgpr3
	s_branch .LBB207_683
.LBB207_675:
	s_mov_b64 s[2:3], -1
                                        ; implicit-def: $vgpr3
	s_branch .LBB207_680
.LBB207_676:
	s_mov_b64 s[2:3], -1
                                        ; implicit-def: $vgpr3
.LBB207_677:
	s_andn2_b64 vcc, exec, s[2:3]
	s_cbranch_vccnz .LBB207_679
; %bb.678:
	global_load_dword v3, v[1:2], off
	s_movk_i32 s2, 0x7fff
	s_waitcnt vmcnt(0)
	v_cvt_f32_i32_e32 v3, v3
	v_bfe_u32 v4, v3, 16, 1
	v_add3_u32 v3, v3, v4, s2
	v_lshrrev_b32_e32 v3, 16, v3
.LBB207_679:
	s_mov_b64 s[2:3], 0
.LBB207_680:
	s_andn2_b64 vcc, exec, s[2:3]
	s_cbranch_vccnz .LBB207_682
; %bb.681:
	global_load_sshort v3, v[1:2], off
	s_movk_i32 s2, 0x7fff
	s_waitcnt vmcnt(0)
	v_cvt_f32_i32_e32 v3, v3
	v_bfe_u32 v4, v3, 16, 1
	v_add3_u32 v3, v3, v4, s2
	v_lshrrev_b32_e32 v3, 16, v3
.LBB207_682:
	s_mov_b64 s[2:3], 0
.LBB207_683:
	s_andn2_b64 vcc, exec, s[2:3]
	s_cbranch_vccnz .LBB207_689
; %bb.684:
	s_cmp_gt_i32 s12, 0
	s_cbranch_scc0 .LBB207_686
; %bb.685:
	global_load_sbyte v3, v[1:2], off
	s_movk_i32 s2, 0x7fff
	s_waitcnt vmcnt(0)
	v_cvt_f32_i32_e32 v3, v3
	v_bfe_u32 v4, v3, 16, 1
	v_add3_u32 v3, v3, v4, s2
	v_lshrrev_b32_e32 v3, 16, v3
	s_mov_b64 s[2:3], 0
	s_branch .LBB207_687
.LBB207_686:
	s_mov_b64 s[2:3], -1
                                        ; implicit-def: $vgpr3
.LBB207_687:
	s_andn2_b64 vcc, exec, s[2:3]
	s_cbranch_vccnz .LBB207_689
; %bb.688:
	global_load_ubyte v1, v[1:2], off
	s_movk_i32 s2, 0x7fff
	s_waitcnt vmcnt(0)
	v_cvt_f32_ubyte0_e32 v1, v1
	v_bfe_u32 v2, v1, 16, 1
	v_add3_u32 v1, v1, v2, s2
	v_lshrrev_b32_e32 v3, 16, v1
.LBB207_689:
	s_mov_b64 s[2:3], -1
.LBB207_690:
	s_andn2_b64 vcc, exec, s[2:3]
	s_cbranch_vccnz .LBB207_698
; %bb.691:
	s_waitcnt vmcnt(0)
	v_lshlrev_b32_e32 v1, 16, v3
	v_cmp_eq_f32_e32 vcc, s76, v1
	v_cndmask_b32_e64 v2, 0, 1, vcc
	v_cmp_neq_f32_e32 vcc, s76, v1
	v_cndmask_b32_e64 v1, 0, 1, vcc
	v_cndmask_b32_e64 v1, v1, v2, s[0:1]
	v_and_b32_e32 v1, 1, v1
	v_cmp_eq_u32_e64 s[2:3], 1, v1
	v_mov_b32_e32 v1, s25
	s_and_b32 s16, s75, 0xff
	v_add_co_u32_e32 v0, vcc, s24, v0
	s_cmp_lt_i32 s16, 11
	v_addc_co_u32_e32 v1, vcc, 0, v1, vcc
	s_cbranch_scc1 .LBB207_699
; %bb.692:
	s_and_b32 s17, 0xffff, s16
	s_cmp_gt_i32 s17, 25
	s_cbranch_scc0 .LBB207_700
; %bb.693:
	s_cmp_gt_i32 s17, 28
	s_cbranch_scc0 .LBB207_701
; %bb.694:
	;; [unrolled: 3-line block ×4, first 2 shown]
	s_mov_b64 s[12:13], 0
	s_mov_b64 s[6:7], -1
	s_cmp_eq_u32 s17, 46
	s_mov_b64 s[10:11], 0
	s_cbranch_scc0 .LBB207_704
; %bb.697:
	v_cndmask_b32_e64 v2, 0, 1.0, s[2:3]
	v_bfe_u32 v3, v2, 16, 1
	s_movk_i32 s6, 0x7fff
	v_add3_u32 v2, v2, v3, s6
	v_lshrrev_b32_e32 v2, 16, v2
	global_store_dword v[0:1], v2, off
	s_mov_b64 s[10:11], -1
	s_mov_b64 s[6:7], 0
	s_branch .LBB207_704
.LBB207_698:
	s_mov_b64 s[10:11], 0
	s_mov_b64 s[6:7], s[66:67]
	s_branch .LBB207_815
.LBB207_699:
	s_mov_b64 s[12:13], -1
	s_mov_b64 s[10:11], 0
	s_mov_b64 s[6:7], s[66:67]
	s_branch .LBB207_773
.LBB207_700:
	s_mov_b64 s[12:13], -1
	s_mov_b64 s[10:11], 0
	s_mov_b64 s[6:7], s[66:67]
	s_branch .LBB207_731
.LBB207_701:
	s_mov_b64 s[12:13], -1
	s_mov_b64 s[10:11], 0
	s_mov_b64 s[6:7], s[66:67]
	s_branch .LBB207_714
.LBB207_702:
	s_mov_b64 s[12:13], -1
	s_mov_b64 s[10:11], 0
	s_mov_b64 s[6:7], s[66:67]
	s_branch .LBB207_710
.LBB207_703:
	s_mov_b64 s[12:13], -1
	s_mov_b64 s[10:11], 0
	s_mov_b64 s[6:7], s[66:67]
.LBB207_704:
	s_and_b64 vcc, exec, s[12:13]
	s_cbranch_vccz .LBB207_709
; %bb.705:
	s_cmp_eq_u32 s17, 44
	s_mov_b64 s[6:7], -1
	s_cbranch_scc0 .LBB207_709
; %bb.706:
	v_cndmask_b32_e64 v3, 0, 1.0, s[2:3]
	v_lshrrev_b32_e32 v2, 23, v3
	s_movk_i32 s6, 0xff
	v_cmp_ne_u32_e32 vcc, s6, v2
	v_mov_b32_e32 v4, 0xff
	s_and_saveexec_b64 s[10:11], vcc
; %bb.707:
	s_mov_b32 s6, 0x3fffff
	v_and_b32_e32 v4, 0x400000, v3
	v_and_or_b32 v3, v3, s6, v2
	v_cmp_ne_u32_e32 vcc, 0, v4
	v_cmp_ne_u32_e64 s[6:7], 0, v3
	s_and_b64 s[6:7], vcc, s[6:7]
	v_cndmask_b32_e64 v3, 0, 1, s[6:7]
	v_add_u32_e32 v4, v2, v3
; %bb.708:
	s_or_b64 exec, exec, s[10:11]
	s_mov_b64 s[10:11], -1
	s_mov_b64 s[6:7], 0
	global_store_byte v[0:1], v4, off
.LBB207_709:
	s_mov_b64 s[12:13], 0
.LBB207_710:
	s_and_b64 vcc, exec, s[12:13]
	s_cbranch_vccz .LBB207_713
; %bb.711:
	s_cmp_eq_u32 s17, 29
	s_mov_b64 s[6:7], -1
	s_cbranch_scc0 .LBB207_713
; %bb.712:
	s_mov_b32 s6, 0
	v_cndmask_b32_e64 v2, 0, 1, s[2:3]
	v_mov_b32_e32 v3, s6
	global_store_dwordx2 v[0:1], v[2:3], off
	s_mov_b64 s[10:11], -1
	s_mov_b64 s[6:7], 0
.LBB207_713:
	s_mov_b64 s[12:13], 0
.LBB207_714:
	s_and_b64 vcc, exec, s[12:13]
	s_cbranch_vccz .LBB207_730
; %bb.715:
	s_cmp_lt_i32 s17, 27
	s_mov_b64 s[10:11], -1
	s_cbranch_scc1 .LBB207_721
; %bb.716:
	s_cmp_gt_i32 s17, 27
	s_cbranch_scc0 .LBB207_718
; %bb.717:
	v_cndmask_b32_e64 v2, 0, 1, s[2:3]
	s_mov_b64 s[10:11], 0
	global_store_dword v[0:1], v2, off
.LBB207_718:
	s_andn2_b64 vcc, exec, s[10:11]
	s_cbranch_vccnz .LBB207_720
; %bb.719:
	v_cndmask_b32_e64 v2, 0, 1, s[2:3]
	global_store_short v[0:1], v2, off
.LBB207_720:
	s_mov_b64 s[10:11], 0
.LBB207_721:
	s_andn2_b64 vcc, exec, s[10:11]
	s_cbranch_vccnz .LBB207_729
; %bb.722:
	v_cndmask_b32_e64 v3, 0, 1.0, s[2:3]
	s_mov_b32 s10, 0x43800000
	v_cmp_gt_u32_e32 vcc, s10, v3
	v_mov_b32_e32 v4, 0x80
	s_and_saveexec_b64 s[10:11], vcc
	s_cbranch_execz .LBB207_728
; %bb.723:
	s_mov_b32 s12, 0x3bffffff
	v_cmp_lt_u32_e32 vcc, s12, v3
	s_mov_b64 s[12:13], 0
                                        ; implicit-def: $vgpr2
	s_and_saveexec_b64 s[14:15], vcc
	s_xor_b64 s[14:15], exec, s[14:15]
	s_cbranch_execz .LBB207_845
; %bb.724:
	v_bfe_u32 v2, v3, 20, 1
	s_mov_b32 s18, 0x487ffff
	v_add3_u32 v2, v3, v2, s18
	s_mov_b64 s[12:13], exec
	v_lshrrev_b32_e32 v2, 20, v2
                                        ; implicit-def: $vgpr3
	s_andn2_saveexec_b64 s[14:15], s[14:15]
	s_cbranch_execnz .LBB207_846
.LBB207_725:
	s_or_b64 exec, exec, s[14:15]
	v_mov_b32_e32 v4, 0
	s_and_saveexec_b64 s[14:15], s[12:13]
.LBB207_726:
	v_mov_b32_e32 v4, v2
.LBB207_727:
	s_or_b64 exec, exec, s[14:15]
.LBB207_728:
	s_or_b64 exec, exec, s[10:11]
	global_store_byte v[0:1], v4, off
.LBB207_729:
	s_mov_b64 s[10:11], -1
.LBB207_730:
	s_mov_b64 s[12:13], 0
.LBB207_731:
	s_and_b64 vcc, exec, s[12:13]
	s_cbranch_vccz .LBB207_772
; %bb.732:
	s_cmp_gt_i32 s17, 22
	s_mov_b64 s[12:13], -1
	s_cbranch_scc0 .LBB207_764
; %bb.733:
	s_cmp_lt_i32 s17, 24
	s_mov_b64 s[10:11], -1
	s_cbranch_scc1 .LBB207_753
; %bb.734:
	s_cmp_gt_i32 s17, 24
	s_cbranch_scc0 .LBB207_742
; %bb.735:
	v_cndmask_b32_e64 v3, 0, 1.0, s[2:3]
	s_mov_b32 s10, 0x47800000
	v_cmp_gt_u32_e32 vcc, s10, v3
	v_mov_b32_e32 v4, 0x80
	s_and_saveexec_b64 s[10:11], vcc
	s_cbranch_execz .LBB207_741
; %bb.736:
	s_mov_b32 s12, 0x37ffffff
	v_cmp_lt_u32_e32 vcc, s12, v3
	s_mov_b64 s[12:13], 0
                                        ; implicit-def: $vgpr2
	s_and_saveexec_b64 s[14:15], vcc
	s_xor_b64 s[14:15], exec, s[14:15]
	s_cbranch_execz .LBB207_848
; %bb.737:
	v_bfe_u32 v2, v3, 21, 1
	s_mov_b32 s18, 0x88fffff
	v_add3_u32 v2, v3, v2, s18
	s_mov_b64 s[12:13], exec
	v_lshrrev_b32_e32 v2, 21, v2
                                        ; implicit-def: $vgpr3
	s_andn2_saveexec_b64 s[14:15], s[14:15]
	s_cbranch_execnz .LBB207_849
.LBB207_738:
	s_or_b64 exec, exec, s[14:15]
	v_mov_b32_e32 v4, 0
	s_and_saveexec_b64 s[14:15], s[12:13]
.LBB207_739:
	v_mov_b32_e32 v4, v2
.LBB207_740:
	s_or_b64 exec, exec, s[14:15]
.LBB207_741:
	s_or_b64 exec, exec, s[10:11]
	s_mov_b64 s[10:11], 0
	global_store_byte v[0:1], v4, off
.LBB207_742:
	s_and_b64 vcc, exec, s[10:11]
	s_cbranch_vccz .LBB207_752
; %bb.743:
	v_cndmask_b32_e64 v2, 0, 1.0, s[2:3]
	s_mov_b32 s10, 0x43f00000
	v_cmp_gt_u32_e32 vcc, s10, v2
                                        ; implicit-def: $vgpr3
	s_and_saveexec_b64 s[10:11], vcc
	s_xor_b64 s[10:11], exec, s[10:11]
	s_cbranch_execz .LBB207_749
; %bb.744:
	s_mov_b32 s12, 0x3c7fffff
	v_cmp_lt_u32_e32 vcc, s12, v2
                                        ; implicit-def: $vgpr3
	s_and_saveexec_b64 s[12:13], vcc
	s_xor_b64 s[12:13], exec, s[12:13]
; %bb.745:
	v_bfe_u32 v3, v2, 20, 1
	s_mov_b32 s14, 0x407ffff
	v_add3_u32 v2, v2, v3, s14
	v_lshrrev_b32_e32 v3, 20, v2
	v_and_b32_e32 v2, 0xff00000, v2
	s_mov_b32 s14, 0x7f00000
	v_mov_b32_e32 v4, 0x7e
	v_cmp_ne_u32_e32 vcc, s14, v2
	v_cndmask_b32_e32 v3, v4, v3, vcc
                                        ; implicit-def: $vgpr2
; %bb.746:
	s_andn2_saveexec_b64 s[12:13], s[12:13]
; %bb.747:
	v_add_f32_e32 v3, 0x46800000, v2
; %bb.748:
	s_or_b64 exec, exec, s[12:13]
                                        ; implicit-def: $vgpr2
.LBB207_749:
	s_andn2_saveexec_b64 s[10:11], s[10:11]
; %bb.750:
	s_mov_b32 s12, 0x7f800000
	v_mov_b32_e32 v3, 0x7e
	v_mov_b32_e32 v4, 0x7f
	v_cmp_lt_u32_e32 vcc, s12, v2
	v_cndmask_b32_e32 v3, v3, v4, vcc
; %bb.751:
	s_or_b64 exec, exec, s[10:11]
	global_store_byte v[0:1], v3, off
.LBB207_752:
	s_mov_b64 s[10:11], 0
.LBB207_753:
	s_andn2_b64 vcc, exec, s[10:11]
	s_cbranch_vccnz .LBB207_763
; %bb.754:
	v_cndmask_b32_e64 v2, 0, 1.0, s[2:3]
	s_mov_b32 s10, 0x47800000
	v_cmp_gt_u32_e32 vcc, s10, v2
                                        ; implicit-def: $vgpr3
	s_and_saveexec_b64 s[10:11], vcc
	s_xor_b64 s[10:11], exec, s[10:11]
	s_cbranch_execz .LBB207_760
; %bb.755:
	s_mov_b32 s12, 0x387fffff
	v_cmp_lt_u32_e32 vcc, s12, v2
                                        ; implicit-def: $vgpr3
	s_and_saveexec_b64 s[12:13], vcc
	s_xor_b64 s[12:13], exec, s[12:13]
; %bb.756:
	v_bfe_u32 v3, v2, 21, 1
	s_mov_b32 s14, 0x80fffff
	v_add3_u32 v2, v2, v3, s14
	v_lshrrev_b32_e32 v3, 21, v2
                                        ; implicit-def: $vgpr2
; %bb.757:
	s_andn2_saveexec_b64 s[12:13], s[12:13]
; %bb.758:
	v_add_f32_e32 v3, 0x43000000, v2
; %bb.759:
	s_or_b64 exec, exec, s[12:13]
                                        ; implicit-def: $vgpr2
.LBB207_760:
	s_andn2_saveexec_b64 s[10:11], s[10:11]
; %bb.761:
	s_mov_b32 s12, 0x7f800000
	v_mov_b32_e32 v3, 0x7c
	v_mov_b32_e32 v4, 0x7f
	v_cmp_lt_u32_e32 vcc, s12, v2
	v_cndmask_b32_e32 v3, v3, v4, vcc
; %bb.762:
	s_or_b64 exec, exec, s[10:11]
	global_store_byte v[0:1], v3, off
.LBB207_763:
	s_mov_b64 s[12:13], 0
	s_mov_b64 s[10:11], -1
.LBB207_764:
	s_andn2_b64 vcc, exec, s[12:13]
	s_cbranch_vccnz .LBB207_772
; %bb.765:
	s_cmp_gt_i32 s17, 14
	s_mov_b64 s[12:13], -1
	s_cbranch_scc0 .LBB207_769
; %bb.766:
	s_cmp_eq_u32 s17, 15
	s_mov_b64 s[6:7], -1
	s_cbranch_scc0 .LBB207_768
; %bb.767:
	v_cndmask_b32_e64 v2, 0, 1.0, s[2:3]
	v_bfe_u32 v3, v2, 16, 1
	s_movk_i32 s6, 0x7fff
	v_add3_u32 v2, v2, v3, s6
	global_store_short_d16_hi v[0:1], v2, off
	s_mov_b64 s[10:11], -1
	s_mov_b64 s[6:7], 0
.LBB207_768:
	s_mov_b64 s[12:13], 0
.LBB207_769:
	s_and_b64 vcc, exec, s[12:13]
	s_cbranch_vccz .LBB207_772
; %bb.770:
	s_cmp_eq_u32 s17, 11
	s_mov_b64 s[6:7], -1
	s_cbranch_scc0 .LBB207_772
; %bb.771:
	v_cndmask_b32_e64 v2, 0, 1, s[2:3]
	s_mov_b64 s[10:11], -1
	s_mov_b64 s[6:7], 0
	global_store_byte v[0:1], v2, off
.LBB207_772:
	s_mov_b64 s[12:13], 0
.LBB207_773:
	s_and_b64 vcc, exec, s[12:13]
	s_cbranch_vccz .LBB207_812
; %bb.774:
	s_and_b32 s12, 0xffff, s16
	s_cmp_lt_i32 s12, 5
	s_mov_b64 s[10:11], -1
	s_cbranch_scc1 .LBB207_795
; %bb.775:
	s_cmp_lt_i32 s12, 8
	s_cbranch_scc1 .LBB207_785
; %bb.776:
	s_cmp_lt_i32 s12, 9
	s_cbranch_scc1 .LBB207_782
; %bb.777:
	s_cmp_gt_i32 s12, 9
	s_cbranch_scc0 .LBB207_779
; %bb.778:
	v_cndmask_b32_e64 v2, 0, 1, s[2:3]
	v_cvt_f64_u32_e32 v[2:3], v2
	v_mov_b32_e32 v4, 0
	v_mov_b32_e32 v5, v4
	s_mov_b64 s[10:11], 0
	global_store_dwordx4 v[0:1], v[2:5], off
.LBB207_779:
	s_andn2_b64 vcc, exec, s[10:11]
	s_cbranch_vccnz .LBB207_781
; %bb.780:
	v_cndmask_b32_e64 v2, 0, 1.0, s[2:3]
	v_mov_b32_e32 v3, 0
	global_store_dwordx2 v[0:1], v[2:3], off
.LBB207_781:
	s_mov_b64 s[10:11], 0
.LBB207_782:
	s_andn2_b64 vcc, exec, s[10:11]
	s_cbranch_vccnz .LBB207_784
; %bb.783:
	v_cndmask_b32_e64 v2, 0, 1.0, s[2:3]
	v_cvt_f16_f32_e32 v2, v2
	global_store_dword v[0:1], v2, off
.LBB207_784:
	s_mov_b64 s[10:11], 0
.LBB207_785:
	s_andn2_b64 vcc, exec, s[10:11]
	s_cbranch_vccnz .LBB207_794
; %bb.786:
	s_cmp_lt_i32 s12, 6
	s_mov_b64 s[10:11], -1
	s_cbranch_scc1 .LBB207_792
; %bb.787:
	s_cmp_gt_i32 s12, 6
	s_cbranch_scc0 .LBB207_789
; %bb.788:
	v_cndmask_b32_e64 v2, 0, 1, s[2:3]
	v_cvt_f64_u32_e32 v[2:3], v2
	s_mov_b64 s[10:11], 0
	global_store_dwordx2 v[0:1], v[2:3], off
.LBB207_789:
	s_andn2_b64 vcc, exec, s[10:11]
	s_cbranch_vccnz .LBB207_791
; %bb.790:
	v_cndmask_b32_e64 v2, 0, 1.0, s[2:3]
	global_store_dword v[0:1], v2, off
.LBB207_791:
	s_mov_b64 s[10:11], 0
.LBB207_792:
	s_andn2_b64 vcc, exec, s[10:11]
	s_cbranch_vccnz .LBB207_794
; %bb.793:
	v_cndmask_b32_e64 v2, 0, 1.0, s[2:3]
	v_cvt_f16_f32_e32 v2, v2
	global_store_short v[0:1], v2, off
.LBB207_794:
	s_mov_b64 s[10:11], 0
.LBB207_795:
	s_andn2_b64 vcc, exec, s[10:11]
	s_cbranch_vccnz .LBB207_811
; %bb.796:
	s_cmp_lt_i32 s12, 2
	s_mov_b64 s[10:11], -1
	s_cbranch_scc1 .LBB207_806
; %bb.797:
	s_cmp_lt_i32 s12, 3
	s_cbranch_scc1 .LBB207_803
; %bb.798:
	s_cmp_gt_i32 s12, 3
	s_cbranch_scc0 .LBB207_800
; %bb.799:
	s_mov_b32 s10, 0
	v_cndmask_b32_e64 v2, 0, 1, s[2:3]
	v_mov_b32_e32 v3, s10
	s_mov_b64 s[10:11], 0
	global_store_dwordx2 v[0:1], v[2:3], off
.LBB207_800:
	s_andn2_b64 vcc, exec, s[10:11]
	s_cbranch_vccnz .LBB207_802
; %bb.801:
	v_cndmask_b32_e64 v2, 0, 1, s[2:3]
	global_store_dword v[0:1], v2, off
.LBB207_802:
	s_mov_b64 s[10:11], 0
.LBB207_803:
	s_andn2_b64 vcc, exec, s[10:11]
	s_cbranch_vccnz .LBB207_805
; %bb.804:
	v_cndmask_b32_e64 v2, 0, 1, s[2:3]
	global_store_short v[0:1], v2, off
.LBB207_805:
	s_mov_b64 s[10:11], 0
.LBB207_806:
	s_andn2_b64 vcc, exec, s[10:11]
	s_cbranch_vccnz .LBB207_811
; %bb.807:
	s_mov_b64 s[10:11], -1
	s_cmp_gt_i32 s12, 0
	v_cndmask_b32_e64 v2, 0, 1, s[2:3]
	s_cbranch_scc0 .LBB207_809
; %bb.808:
	s_mov_b64 s[10:11], 0
	global_store_byte v[0:1], v2, off
.LBB207_809:
	s_andn2_b64 vcc, exec, s[10:11]
	s_cbranch_vccnz .LBB207_811
; %bb.810:
	global_store_byte v[0:1], v2, off
.LBB207_811:
	s_mov_b64 s[10:11], -1
.LBB207_812:
	s_andn2_b64 vcc, exec, s[10:11]
	s_cbranch_vccnz .LBB207_814
; %bb.813:
	v_add_u32_e32 v8, 0x80, v8
	s_mov_b64 s[10:11], -1
	s_branch .LBB207_816
.LBB207_814:
	s_mov_b64 s[10:11], 0
.LBB207_815:
                                        ; implicit-def: $vgpr8
.LBB207_816:
	s_andn2_b64 s[2:3], s[66:67], exec
	s_and_b64 s[6:7], s[6:7], exec
	s_or_b64 s[6:7], s[2:3], s[6:7]
	s_andn2_b64 s[2:3], s[64:65], exec
	s_and_b64 s[8:9], s[8:9], exec
	s_or_b64 s[2:3], s[2:3], s[8:9]
	s_orn2_b64 s[14:15], s[10:11], exec
.LBB207_817:
	s_or_b64 exec, exec, s[70:71]
	s_mov_b64 s[10:11], 0
	s_mov_b64 s[8:9], 0
	;; [unrolled: 1-line block ×3, first 2 shown]
                                        ; implicit-def: $vgpr1_vgpr2
                                        ; implicit-def: $vgpr0
                                        ; implicit-def: $vgpr3
	s_and_saveexec_b64 s[70:71], s[14:15]
	s_cbranch_execz .LBB207_916
; %bb.818:
	v_cmp_gt_i32_e32 vcc, s72, v8
	s_mov_b64 s[14:15], s[2:3]
	s_mov_b64 s[16:17], 0
                                        ; implicit-def: $vgpr1_vgpr2
                                        ; implicit-def: $vgpr0
                                        ; implicit-def: $vgpr3
	s_and_saveexec_b64 s[72:73], vcc
	s_cbranch_execz .LBB207_915
; %bb.819:
	s_andn2_b64 vcc, exec, s[46:47]
	s_cbranch_vccnz .LBB207_824
; %bb.820:
	s_andn2_b64 vcc, exec, s[56:57]
	s_cbranch_vccnz .LBB207_825
; %bb.821:
	s_add_i32 s79, s78, 1
	s_cmp_eq_u32 s74, 2
	s_cbranch_scc1 .LBB207_826
; %bb.822:
	s_and_b32 s78, s79, 28
	v_mov_b32_e32 v2, 0
	s_mov_b32 s80, 0
	s_mov_b64 s[56:57], s[34:35]
	v_mov_b32_e32 v0, 0
	v_mov_b32_e32 v1, v8
.LBB207_823:                            ; =>This Inner Loop Header: Depth=1
	s_load_dwordx8 s[16:23], s[56:57], 0x4
	s_load_dwordx4 s[40:43], s[56:57], 0x24
	s_load_dwordx8 s[8:15], s[54:55], 0x0
	s_add_u32 s56, s56, 48
	s_addc_u32 s57, s57, 0
	s_waitcnt vmcnt(0) lgkmcnt(0)
	v_mul_hi_u32 v3, s17, v1
	s_add_i32 s80, s80, 4
	s_add_u32 s54, s54, 32
	s_addc_u32 s55, s55, 0
	v_add_u32_e32 v3, v1, v3
	v_lshrrev_b32_e32 v3, s18, v3
	v_mul_lo_u32 v4, v3, s16
	v_mul_hi_u32 v5, s20, v3
	s_cmp_eq_u32 s78, s80
	v_sub_u32_e32 v1, v1, v4
	v_add_u32_e32 v4, v3, v5
	v_mul_lo_u32 v5, v1, s8
	v_mul_lo_u32 v6, v1, s9
	v_lshrrev_b32_e32 v1, s21, v4
	v_mul_lo_u32 v4, v1, s19
	v_mul_hi_u32 v7, s23, v1
	v_sub_u32_e32 v3, v3, v4
	v_add_u32_e32 v4, v1, v7
	v_lshrrev_b32_e32 v4, s40, v4
	v_mul_hi_u32 v9, s42, v4
	v_mul_lo_u32 v10, v4, s22
	v_mul_lo_u32 v7, v3, s10
	;; [unrolled: 1-line block ×3, first 2 shown]
	v_sub_u32_e32 v10, v1, v10
	v_add_u32_e32 v1, v4, v9
	v_lshrrev_b32_e32 v1, s43, v1
	v_mul_lo_u32 v9, v1, s41
	v_mul_lo_u32 v11, v10, s12
	;; [unrolled: 1-line block ×3, first 2 shown]
	v_add3_u32 v0, v5, v0, v7
	v_sub_u32_e32 v4, v4, v9
	v_mul_lo_u32 v9, v4, s14
	v_mul_lo_u32 v4, v4, s15
	v_add3_u32 v2, v6, v2, v3
	v_add3_u32 v0, v11, v0, v9
	;; [unrolled: 1-line block ×3, first 2 shown]
	s_cbranch_scc0 .LBB207_823
	s_branch .LBB207_827
.LBB207_824:
	s_mov_b64 s[8:9], -1
                                        ; implicit-def: $vgpr0
                                        ; implicit-def: $vgpr2
	s_branch .LBB207_831
.LBB207_825:
	v_mov_b32_e32 v0, 0
	v_mov_b32_e32 v2, 0
	s_branch .LBB207_830
.LBB207_826:
	s_mov_b32 s78, 0
	v_mov_b32_e32 v0, 0
	v_mov_b32_e32 v2, 0
	;; [unrolled: 1-line block ×3, first 2 shown]
.LBB207_827:
	s_and_b32 s12, s79, 3
	s_cmp_eq_u32 s12, 0
	s_cbranch_scc1 .LBB207_830
; %bb.828:
	s_lshl_b32 s8, s78, 3
	s_add_u32 s8, s34, s8
	s_addc_u32 s9, s35, 0
	s_add_u32 s8, s8, 0xc4
	s_addc_u32 s9, s9, 0
	s_mul_i32 s10, s78, 12
	s_add_u32 s10, s34, s10
	s_addc_u32 s11, s35, 0
.LBB207_829:                            ; =>This Inner Loop Header: Depth=1
	s_load_dwordx2 s[14:15], s[10:11], 0x4
	s_load_dword s13, s[10:11], 0xc
	s_load_dwordx2 s[16:17], s[8:9], 0x0
	s_add_u32 s10, s10, 12
	s_addc_u32 s11, s11, 0
	s_waitcnt vmcnt(0) lgkmcnt(0)
	v_mul_hi_u32 v3, s15, v1
	s_add_u32 s8, s8, 8
	s_addc_u32 s9, s9, 0
	s_add_i32 s12, s12, -1
	v_add_u32_e32 v3, v1, v3
	v_lshrrev_b32_e32 v4, s13, v3
	v_mul_lo_u32 v3, v4, s14
	s_cmp_lg_u32 s12, 0
	v_sub_u32_e32 v3, v1, v3
	v_mad_u64_u32 v[0:1], s[14:15], v3, s16, v[0:1]
	v_mad_u64_u32 v[2:3], s[14:15], v3, s17, v[2:3]
	v_mov_b32_e32 v1, v4
	s_cbranch_scc1 .LBB207_829
.LBB207_830:
	s_mov_b64 s[8:9], 0
.LBB207_831:
	s_andn2_b64 vcc, exec, s[8:9]
	s_cbranch_vccnz .LBB207_834
; %bb.832:
	v_mul_hi_u32 v0, s29, v8
	s_andn2_b64 vcc, exec, s[52:53]
	v_add_u32_e32 v0, v8, v0
	v_lshrrev_b32_e32 v1, s30, v0
	v_mul_lo_u32 v0, v1, s28
	v_sub_u32_e32 v2, v8, v0
	v_mul_lo_u32 v0, v2, s36
	v_mul_lo_u32 v2, v2, s37
	s_cbranch_vccnz .LBB207_834
; %bb.833:
	s_waitcnt vmcnt(0)
	v_mul_hi_u32 v3, s50, v1
	v_add_u32_e32 v3, v1, v3
	v_lshrrev_b32_e32 v3, s51, v3
	v_mul_lo_u32 v3, v3, s31
	v_sub_u32_e32 v3, v1, v3
	v_mad_u64_u32 v[0:1], s[8:9], v3, s38, v[0:1]
	v_mad_u64_u32 v[2:3], s[8:9], v3, s39, v[2:3]
.LBB207_834:
	s_waitcnt vmcnt(0)
	v_mov_b32_e32 v3, s27
	s_and_b32 s18, 0xffff, s77
	v_add_co_u32_e32 v1, vcc, s26, v2
	s_cmp_lt_i32 s18, 11
	v_addc_co_u32_e32 v2, vcc, 0, v3, vcc
	s_cbranch_scc1 .LBB207_841
; %bb.835:
	s_cmp_gt_i32 s18, 25
	s_mov_b64 s[10:11], 0
	s_cbranch_scc0 .LBB207_842
; %bb.836:
	s_cmp_gt_i32 s18, 28
	s_cbranch_scc0 .LBB207_843
; %bb.837:
	s_cmp_gt_i32 s18, 43
	;; [unrolled: 3-line block ×3, first 2 shown]
	s_cbranch_scc0 .LBB207_847
; %bb.839:
	s_cmp_eq_u32 s18, 46
	s_mov_b64 s[14:15], 0
	s_cbranch_scc0 .LBB207_850
; %bb.840:
	global_load_dword v3, v[1:2], off
	s_mov_b64 s[8:9], 0
	s_mov_b64 s[12:13], -1
	s_branch .LBB207_851
.LBB207_841:
	s_mov_b64 s[14:15], -1
	s_mov_b64 s[12:13], 0
	s_mov_b64 s[10:11], 0
	;; [unrolled: 1-line block ×3, first 2 shown]
                                        ; implicit-def: $vgpr3
	s_branch .LBB207_914
.LBB207_842:
	s_mov_b64 s[14:15], -1
	s_mov_b64 s[12:13], 0
	s_mov_b64 s[8:9], s[2:3]
                                        ; implicit-def: $vgpr3
	s_branch .LBB207_880
.LBB207_843:
	s_mov_b64 s[14:15], -1
	s_mov_b64 s[12:13], 0
	s_mov_b64 s[8:9], s[2:3]
                                        ; implicit-def: $vgpr3
	s_branch .LBB207_861
.LBB207_844:
	s_mov_b64 s[14:15], -1
	s_mov_b64 s[12:13], 0
	s_mov_b64 s[8:9], s[2:3]
                                        ; implicit-def: $vgpr3
	s_branch .LBB207_856
.LBB207_845:
	s_andn2_saveexec_b64 s[14:15], s[14:15]
	s_cbranch_execz .LBB207_725
.LBB207_846:
	v_add_f32_e32 v2, 0x46000000, v3
	v_and_b32_e32 v2, 0xff, v2
	v_cmp_ne_u32_e32 vcc, 0, v2
	s_andn2_b64 s[12:13], s[12:13], exec
	s_and_b64 s[18:19], vcc, exec
	s_or_b64 s[12:13], s[12:13], s[18:19]
	s_or_b64 exec, exec, s[14:15]
	v_mov_b32_e32 v4, 0
	s_and_saveexec_b64 s[14:15], s[12:13]
	s_cbranch_execnz .LBB207_726
	s_branch .LBB207_727
.LBB207_847:
	s_mov_b64 s[14:15], -1
	s_mov_b64 s[12:13], 0
	s_mov_b64 s[8:9], s[2:3]
                                        ; implicit-def: $vgpr3
	s_branch .LBB207_851
.LBB207_848:
	s_andn2_saveexec_b64 s[14:15], s[14:15]
	s_cbranch_execz .LBB207_738
.LBB207_849:
	v_add_f32_e32 v2, 0x42800000, v3
	v_and_b32_e32 v2, 0xff, v2
	v_cmp_ne_u32_e32 vcc, 0, v2
	s_andn2_b64 s[12:13], s[12:13], exec
	s_and_b64 s[18:19], vcc, exec
	s_or_b64 s[12:13], s[12:13], s[18:19]
	s_or_b64 exec, exec, s[14:15]
	v_mov_b32_e32 v4, 0
	s_and_saveexec_b64 s[14:15], s[12:13]
	s_cbranch_execnz .LBB207_739
	s_branch .LBB207_740
.LBB207_850:
	s_mov_b64 s[8:9], -1
                                        ; implicit-def: $vgpr3
	s_mov_b64 s[12:13], 0
.LBB207_851:
	s_and_b64 vcc, exec, s[14:15]
	s_cbranch_vccz .LBB207_855
; %bb.852:
	s_cmp_eq_u32 s18, 44
	s_cbranch_scc0 .LBB207_854
; %bb.853:
	global_load_ubyte v3, v[1:2], off
	s_movk_i32 s12, 0xff
	v_mov_b32_e32 v4, 0x7f800001
	v_mov_b32_e32 v5, 0x400000
	;; [unrolled: 1-line block ×3, first 2 shown]
	s_mov_b64 s[8:9], 0
	s_waitcnt vmcnt(0)
	v_lshlrev_b32_e32 v7, 23, v3
	v_cmp_ne_u32_e32 vcc, s12, v3
	v_cndmask_b32_e32 v4, v4, v7, vcc
	v_cmp_ne_u32_e32 vcc, 0, v3
	v_cndmask_b32_e32 v3, v5, v4, vcc
	v_add_u32_e32 v4, 0x7fff, v3
	v_cmp_o_f32_e32 vcc, v3, v3
	v_cndmask_b32_sdwa v3, v6, v4, vcc dst_sel:DWORD dst_unused:UNUSED_PAD src0_sel:DWORD src1_sel:WORD_1
	s_mov_b64 s[12:13], -1
	s_branch .LBB207_855
.LBB207_854:
	s_mov_b64 s[8:9], -1
                                        ; implicit-def: $vgpr3
.LBB207_855:
	s_mov_b64 s[14:15], 0
.LBB207_856:
	s_and_b64 vcc, exec, s[14:15]
	s_cbranch_vccz .LBB207_860
; %bb.857:
	s_cmp_eq_u32 s18, 29
	s_cbranch_scc0 .LBB207_859
; %bb.858:
	global_load_dwordx2 v[3:4], v[1:2], off
	s_movk_i32 s12, 0x7fff
	s_mov_b64 s[8:9], 0
	s_mov_b64 s[14:15], 0
	s_waitcnt vmcnt(0)
	v_ffbh_u32_e32 v5, v4
	v_min_u32_e32 v5, 32, v5
	v_lshlrev_b64 v[3:4], v5, v[3:4]
	v_min_u32_e32 v3, 1, v3
	v_or_b32_e32 v3, v4, v3
	v_cvt_f32_u32_e32 v3, v3
	v_sub_u32_e32 v4, 32, v5
	v_ldexp_f32 v3, v3, v4
	v_bfe_u32 v4, v3, 16, 1
	v_add3_u32 v3, v3, v4, s12
	v_lshrrev_b32_e32 v3, 16, v3
	s_mov_b64 s[12:13], -1
	s_branch .LBB207_861
.LBB207_859:
	s_mov_b64 s[8:9], -1
                                        ; implicit-def: $vgpr3
.LBB207_860:
	s_mov_b64 s[14:15], 0
.LBB207_861:
	s_and_b64 vcc, exec, s[14:15]
	s_cbranch_vccz .LBB207_879
; %bb.862:
	s_cmp_lt_i32 s18, 27
	s_cbranch_scc1 .LBB207_865
; %bb.863:
	s_cmp_gt_i32 s18, 27
	s_cbranch_scc0 .LBB207_866
; %bb.864:
	global_load_dword v3, v[1:2], off
	s_movk_i32 s12, 0x7fff
	s_waitcnt vmcnt(0)
	v_cvt_f32_u32_e32 v3, v3
	v_bfe_u32 v4, v3, 16, 1
	v_add3_u32 v3, v3, v4, s12
	v_lshrrev_b32_e32 v3, 16, v3
	s_mov_b64 s[12:13], 0
	s_branch .LBB207_867
.LBB207_865:
	s_mov_b64 s[12:13], -1
                                        ; implicit-def: $vgpr3
	s_branch .LBB207_870
.LBB207_866:
	s_mov_b64 s[12:13], -1
                                        ; implicit-def: $vgpr3
.LBB207_867:
	s_andn2_b64 vcc, exec, s[12:13]
	s_cbranch_vccnz .LBB207_869
; %bb.868:
	global_load_ushort v3, v[1:2], off
	s_movk_i32 s12, 0x7fff
	s_waitcnt vmcnt(0)
	v_cvt_f32_u32_e32 v3, v3
	v_bfe_u32 v4, v3, 16, 1
	v_add3_u32 v3, v3, v4, s12
	v_lshrrev_b32_e32 v3, 16, v3
.LBB207_869:
	s_mov_b64 s[12:13], 0
.LBB207_870:
	s_andn2_b64 vcc, exec, s[12:13]
	s_cbranch_vccnz .LBB207_878
; %bb.871:
	global_load_ubyte v3, v[1:2], off
	s_movk_i32 s12, 0x7f
	s_waitcnt vmcnt(0)
	v_cmp_lt_i16_e32 vcc, s12, v3
	s_mov_b64 s[12:13], 0
	s_and_saveexec_b64 s[14:15], vcc
	s_xor_b64 s[14:15], exec, s[14:15]
	s_cbranch_execz .LBB207_892
; %bb.872:
	s_movk_i32 s12, 0x80
	v_cmp_eq_u16_e32 vcc, s12, v3
	s_mov_b64 s[12:13], -1
	s_and_saveexec_b64 s[16:17], vcc
; %bb.873:
	s_xor_b64 s[12:13], exec, -1
; %bb.874:
	s_or_b64 exec, exec, s[16:17]
	s_and_b64 s[12:13], s[12:13], exec
	s_or_saveexec_b64 s[14:15], s[14:15]
	v_mov_b32_e32 v4, 0x7f800001
	s_xor_b64 exec, exec, s[14:15]
	s_cbranch_execnz .LBB207_893
.LBB207_875:
	s_or_b64 exec, exec, s[14:15]
	s_and_saveexec_b64 s[14:15], s[12:13]
	s_cbranch_execz .LBB207_877
.LBB207_876:
	v_lshlrev_b32_e32 v4, 24, v3
	v_and_b32_e32 v3, 0xffff, v3
	v_and_b32_e32 v5, 7, v3
	v_ffbh_u32_e32 v7, v5
	v_min_u32_e32 v7, 32, v7
	v_subrev_u32_e32 v8, 28, v7
	v_bfe_u32 v6, v3, 3, 4
	v_lshlrev_b32_e32 v3, v8, v3
	v_sub_u32_e32 v7, 29, v7
	v_and_b32_e32 v3, 7, v3
	v_cmp_eq_u32_e32 vcc, 0, v6
	v_cndmask_b32_e32 v6, v6, v7, vcc
	v_cndmask_b32_e32 v3, v5, v3, vcc
	v_mov_b32_e32 v5, 0x3b800000
	v_lshlrev_b32_e32 v3, 20, v3
	v_and_b32_e32 v4, 0x80000000, v4
	v_lshl_add_u32 v5, v6, 23, v5
	v_or3_b32 v4, v4, v5, v3
.LBB207_877:
	s_or_b64 exec, exec, s[14:15]
	v_bfe_u32 v3, v4, 16, 1
	s_movk_i32 s12, 0x7fff
	v_add3_u32 v3, v4, v3, s12
	v_cmp_o_f32_e32 vcc, v4, v4
	v_mov_b32_e32 v4, 0x7fc0
	v_cndmask_b32_sdwa v3, v4, v3, vcc dst_sel:DWORD dst_unused:UNUSED_PAD src0_sel:DWORD src1_sel:WORD_1
.LBB207_878:
	s_mov_b64 s[12:13], -1
.LBB207_879:
	s_mov_b64 s[14:15], 0
.LBB207_880:
	s_and_b64 vcc, exec, s[14:15]
	s_cbranch_vccz .LBB207_913
; %bb.881:
	s_cmp_gt_i32 s18, 22
	s_cbranch_scc0 .LBB207_891
; %bb.882:
	s_cmp_lt_i32 s18, 24
	s_cbranch_scc1 .LBB207_894
; %bb.883:
	s_cmp_gt_i32 s18, 24
	s_cbranch_scc0 .LBB207_895
; %bb.884:
	global_load_ubyte v3, v[1:2], off
	s_movk_i32 s10, 0x7f
	s_waitcnt vmcnt(0)
	v_cmp_lt_i16_e32 vcc, s10, v3
	s_mov_b64 s[10:11], 0
	s_and_saveexec_b64 s[12:13], vcc
	s_xor_b64 s[12:13], exec, s[12:13]
	s_cbranch_execz .LBB207_907
; %bb.885:
	s_movk_i32 s10, 0x80
	v_cmp_eq_u16_e32 vcc, s10, v3
	s_mov_b64 s[10:11], -1
	s_and_saveexec_b64 s[14:15], vcc
; %bb.886:
	s_xor_b64 s[10:11], exec, -1
; %bb.887:
	s_or_b64 exec, exec, s[14:15]
	s_and_b64 s[10:11], s[10:11], exec
	s_or_saveexec_b64 s[12:13], s[12:13]
	v_mov_b32_e32 v4, 0x7f800001
	s_xor_b64 exec, exec, s[12:13]
	s_cbranch_execnz .LBB207_908
.LBB207_888:
	s_or_b64 exec, exec, s[12:13]
	s_and_saveexec_b64 s[12:13], s[10:11]
	s_cbranch_execz .LBB207_890
.LBB207_889:
	v_lshlrev_b32_e32 v4, 24, v3
	v_and_b32_e32 v3, 0xffff, v3
	v_and_b32_e32 v5, 3, v3
	v_ffbh_u32_e32 v7, v5
	v_min_u32_e32 v7, 32, v7
	v_subrev_u32_e32 v8, 29, v7
	v_bfe_u32 v6, v3, 2, 5
	v_lshlrev_b32_e32 v3, v8, v3
	v_sub_u32_e32 v7, 30, v7
	v_and_b32_e32 v3, 3, v3
	v_cmp_eq_u32_e32 vcc, 0, v6
	v_cndmask_b32_e32 v6, v6, v7, vcc
	v_cndmask_b32_e32 v3, v5, v3, vcc
	v_mov_b32_e32 v5, 0x37800000
	v_lshlrev_b32_e32 v3, 21, v3
	v_and_b32_e32 v4, 0x80000000, v4
	v_lshl_add_u32 v5, v6, 23, v5
	v_or3_b32 v4, v4, v5, v3
.LBB207_890:
	s_or_b64 exec, exec, s[12:13]
	v_bfe_u32 v3, v4, 16, 1
	s_movk_i32 s10, 0x7fff
	v_add3_u32 v3, v4, v3, s10
	v_cmp_o_f32_e32 vcc, v4, v4
	v_mov_b32_e32 v4, 0x7fc0
	v_cndmask_b32_sdwa v3, v4, v3, vcc dst_sel:DWORD dst_unused:UNUSED_PAD src0_sel:DWORD src1_sel:WORD_1
	s_mov_b64 s[10:11], 0
	s_branch .LBB207_896
.LBB207_891:
	s_mov_b64 s[10:11], -1
                                        ; implicit-def: $vgpr3
	s_branch .LBB207_902
.LBB207_892:
	s_or_saveexec_b64 s[14:15], s[14:15]
	v_mov_b32_e32 v4, 0x7f800001
	s_xor_b64 exec, exec, s[14:15]
	s_cbranch_execz .LBB207_875
.LBB207_893:
	v_cmp_ne_u16_e32 vcc, 0, v3
	s_andn2_b64 s[12:13], s[12:13], exec
	s_and_b64 s[16:17], vcc, exec
	v_mov_b32_e32 v4, 0
	s_or_b64 s[12:13], s[12:13], s[16:17]
	s_or_b64 exec, exec, s[14:15]
	s_and_saveexec_b64 s[14:15], s[12:13]
	s_cbranch_execnz .LBB207_876
	s_branch .LBB207_877
.LBB207_894:
	s_mov_b64 s[10:11], -1
                                        ; implicit-def: $vgpr3
	s_branch .LBB207_899
.LBB207_895:
	s_mov_b64 s[10:11], -1
                                        ; implicit-def: $vgpr3
.LBB207_896:
	s_and_b64 vcc, exec, s[10:11]
	s_cbranch_vccz .LBB207_898
; %bb.897:
	global_load_ubyte v3, v[1:2], off
	s_mov_b32 s10, 0x7f800000
	s_brev_b32 s11, 1
	s_movk_i32 s12, 0x7fff
	s_waitcnt vmcnt(0)
	v_lshlrev_b32_e32 v3, 24, v3
	v_and_b32_e32 v4, 0x7f000000, v3
	v_ffbh_u32_e32 v5, v4
	v_min_u32_e32 v5, 32, v5
	v_sub_u32_e64 v5, v5, 4 clamp
	v_lshlrev_b32_e32 v7, v5, v4
	v_lshlrev_b32_e32 v5, 23, v5
	v_lshrrev_b32_e32 v7, 4, v7
	v_add_u32_e32 v6, 0x1000000, v4
	v_sub_u32_e32 v5, v7, v5
	v_ashrrev_i32_e32 v6, 8, v6
	v_add_u32_e32 v5, 0x3c000000, v5
	v_and_or_b32 v5, v6, s10, v5
	v_cmp_ne_u32_e32 vcc, 0, v4
	v_cndmask_b32_e32 v4, 0, v5, vcc
	v_and_or_b32 v3, v3, s11, v4
	v_bfe_u32 v4, v4, 16, 1
	v_add3_u32 v4, v3, v4, s12
	v_cmp_o_f32_e32 vcc, v3, v3
	v_mov_b32_e32 v3, 0x7fc0
	v_cndmask_b32_sdwa v3, v3, v4, vcc dst_sel:DWORD dst_unused:UNUSED_PAD src0_sel:DWORD src1_sel:WORD_1
.LBB207_898:
	s_mov_b64 s[10:11], 0
.LBB207_899:
	s_andn2_b64 vcc, exec, s[10:11]
	s_cbranch_vccnz .LBB207_901
; %bb.900:
	global_load_ubyte v3, v[1:2], off
	s_movk_i32 s10, 0x7f00
	s_brev_b32 s11, 16
	s_brev_b32 s12, 1
	s_movk_i32 s13, 0x7fff
	s_waitcnt vmcnt(0)
	v_lshlrev_b16_e32 v4, 8, v3
	v_lshlrev_b32_e32 v3, 25, v3
	v_lshrrev_b32_e32 v5, 4, v3
	v_and_or_b32 v6, v4, s10, 0.5
	v_or_b32_e32 v5, 0x70000000, v5
	v_add_f32_e32 v6, -0.5, v6
	v_mul_f32_e32 v5, 0x7800000, v5
	v_cmp_gt_u32_e32 vcc, s11, v3
	v_bfe_i32 v4, v4, 0, 16
	v_cndmask_b32_e32 v3, v5, v6, vcc
	v_and_or_b32 v4, v4, s12, v3
	v_bfe_u32 v3, v3, 16, 1
	v_add3_u32 v3, v4, v3, s13
	v_cmp_o_f32_e32 vcc, v4, v4
	v_mov_b32_e32 v4, 0x7fc0
	v_cndmask_b32_sdwa v3, v4, v3, vcc dst_sel:DWORD dst_unused:UNUSED_PAD src0_sel:DWORD src1_sel:WORD_1
.LBB207_901:
	s_mov_b64 s[10:11], 0
	s_mov_b64 s[12:13], -1
.LBB207_902:
	s_andn2_b64 vcc, exec, s[10:11]
	s_mov_b64 s[10:11], 0
	s_cbranch_vccnz .LBB207_913
; %bb.903:
	s_cmp_gt_i32 s18, 14
	s_cbranch_scc0 .LBB207_906
; %bb.904:
	s_cmp_eq_u32 s18, 15
	s_cbranch_scc0 .LBB207_909
; %bb.905:
	global_load_ushort v3, v[1:2], off
	s_mov_b64 s[8:9], 0
	s_mov_b64 s[12:13], -1
	s_branch .LBB207_910
.LBB207_906:
	s_mov_b64 s[14:15], -1
                                        ; implicit-def: $vgpr3
	s_branch .LBB207_911
.LBB207_907:
	s_or_saveexec_b64 s[12:13], s[12:13]
	v_mov_b32_e32 v4, 0x7f800001
	s_xor_b64 exec, exec, s[12:13]
	s_cbranch_execz .LBB207_888
.LBB207_908:
	v_cmp_ne_u16_e32 vcc, 0, v3
	s_andn2_b64 s[10:11], s[10:11], exec
	s_and_b64 s[14:15], vcc, exec
	v_mov_b32_e32 v4, 0
	s_or_b64 s[10:11], s[10:11], s[14:15]
	s_or_b64 exec, exec, s[12:13]
	s_and_saveexec_b64 s[12:13], s[10:11]
	s_cbranch_execnz .LBB207_889
	s_branch .LBB207_890
.LBB207_909:
	s_mov_b64 s[8:9], -1
                                        ; implicit-def: $vgpr3
.LBB207_910:
	s_mov_b64 s[14:15], 0
.LBB207_911:
	s_and_b64 vcc, exec, s[14:15]
	s_cbranch_vccz .LBB207_913
; %bb.912:
	s_cmp_lg_u32 s18, 11
	s_cselect_b64 s[14:15], -1, 0
	s_andn2_b64 s[8:9], s[8:9], exec
	s_and_b64 s[14:15], s[14:15], exec
	s_mov_b64 s[10:11], -1
	s_or_b64 s[8:9], s[8:9], s[14:15]
.LBB207_913:
	s_mov_b64 s[14:15], 0
.LBB207_914:
	s_and_b64 s[16:17], s[14:15], exec
	s_andn2_b64 s[14:15], s[2:3], exec
	s_and_b64 s[8:9], s[8:9], exec
	s_and_b64 s[12:13], s[12:13], exec
	s_and_b64 s[10:11], s[10:11], exec
	s_or_b64 s[14:15], s[14:15], s[8:9]
.LBB207_915:
	s_or_b64 exec, exec, s[72:73]
	s_andn2_b64 s[2:3], s[2:3], exec
	s_and_b64 s[14:15], s[14:15], exec
	s_and_b64 s[12:13], s[12:13], exec
	;; [unrolled: 1-line block ×4, first 2 shown]
	s_or_b64 s[2:3], s[2:3], s[14:15]
.LBB207_916:
	s_or_b64 exec, exec, s[70:71]
	s_andn2_b64 s[14:15], s[66:67], exec
	s_and_b64 s[6:7], s[6:7], exec
	s_or_b64 s[66:67], s[14:15], s[6:7]
	s_and_b64 s[6:7], s[10:11], exec
	s_andn2_b64 s[10:11], s[64:65], exec
	s_and_b64 s[2:3], s[2:3], exec
	s_and_b64 s[12:13], s[12:13], exec
	;; [unrolled: 1-line block ×3, first 2 shown]
	s_or_b64 s[64:65], s[10:11], s[2:3]
.LBB207_917:
	s_or_b64 exec, exec, s[68:69]
	s_andn2_b64 s[2:3], s[58:59], exec
	s_and_b64 s[10:11], s[66:67], exec
	s_or_b64 s[58:59], s[2:3], s[10:11]
	s_and_b64 s[66:67], s[6:7], exec
	s_andn2_b64 s[2:3], s[60:61], exec
	s_and_b64 s[6:7], s[64:65], exec
	s_and_b64 s[10:11], s[12:13], exec
	;; [unrolled: 1-line block ×3, first 2 shown]
	s_or_b64 s[60:61], s[2:3], s[6:7]
	s_or_b64 exec, exec, s[62:63]
	s_mov_b64 s[2:3], 0
	s_and_saveexec_b64 s[6:7], s[60:61]
	s_cbranch_execz .LBB207_274
.LBB207_918:
	s_mov_b64 s[2:3], exec
	s_andn2_b64 s[66:67], s[66:67], exec
	s_trap 2
	s_or_b64 exec, exec, s[6:7]
	s_and_saveexec_b64 s[6:7], s[66:67]
	s_xor_b64 s[6:7], exec, s[6:7]
	s_cbranch_execnz .LBB207_275
.LBB207_919:
	s_or_b64 exec, exec, s[6:7]
	s_and_saveexec_b64 s[6:7], s[8:9]
	s_cbranch_execz .LBB207_965
.LBB207_920:
	s_sext_i32_i16 s8, s77
	s_cmp_lt_i32 s8, 5
	s_cbranch_scc1 .LBB207_925
; %bb.921:
	s_cmp_lt_i32 s8, 8
	s_cbranch_scc1 .LBB207_926
; %bb.922:
	s_cmp_lt_i32 s8, 9
	s_cbranch_scc1 .LBB207_927
; %bb.923:
	s_cmp_gt_i32 s8, 9
	s_cbranch_scc0 .LBB207_928
; %bb.924:
	global_load_dwordx2 v[3:4], v[1:2], off
	s_movk_i32 s8, 0x7fff
	s_waitcnt vmcnt(0)
	v_cvt_f32_f64_e32 v3, v[3:4]
	v_mov_b32_e32 v4, 0x7fc0
	v_bfe_u32 v5, v3, 16, 1
	v_cmp_o_f32_e32 vcc, v3, v3
	v_add3_u32 v3, v3, v5, s8
	v_cndmask_b32_sdwa v3, v4, v3, vcc dst_sel:DWORD dst_unused:UNUSED_PAD src0_sel:DWORD src1_sel:WORD_1
	s_mov_b64 s[8:9], 0
	s_branch .LBB207_929
.LBB207_925:
                                        ; implicit-def: $vgpr3
	s_branch .LBB207_946
.LBB207_926:
                                        ; implicit-def: $vgpr3
	s_branch .LBB207_935
.LBB207_927:
	s_mov_b64 s[8:9], -1
                                        ; implicit-def: $vgpr3
	s_branch .LBB207_932
.LBB207_928:
	s_mov_b64 s[8:9], -1
                                        ; implicit-def: $vgpr3
.LBB207_929:
	s_andn2_b64 vcc, exec, s[8:9]
	s_cbranch_vccnz .LBB207_931
; %bb.930:
	global_load_dword v3, v[1:2], off
	s_movk_i32 s8, 0x7fff
	v_mov_b32_e32 v4, 0x7fc0
	s_waitcnt vmcnt(0)
	v_bfe_u32 v5, v3, 16, 1
	v_cmp_o_f32_e32 vcc, v3, v3
	v_add3_u32 v3, v3, v5, s8
	v_cndmask_b32_sdwa v3, v4, v3, vcc dst_sel:DWORD dst_unused:UNUSED_PAD src0_sel:DWORD src1_sel:WORD_1
.LBB207_931:
	s_mov_b64 s[8:9], 0
.LBB207_932:
	s_andn2_b64 vcc, exec, s[8:9]
	s_cbranch_vccnz .LBB207_934
; %bb.933:
	global_load_dword v3, v[1:2], off
	s_movk_i32 s8, 0x7fff
	v_mov_b32_e32 v5, 0x7fc0
	s_waitcnt vmcnt(0)
	v_cvt_f32_f16_e32 v4, v3
	v_cmp_o_f16_e32 vcc, v3, v3
	v_bfe_u32 v3, v4, 16, 1
	v_add3_u32 v3, v4, v3, s8
	v_cndmask_b32_sdwa v3, v5, v3, vcc dst_sel:DWORD dst_unused:UNUSED_PAD src0_sel:DWORD src1_sel:WORD_1
.LBB207_934:
	s_cbranch_execnz .LBB207_945
.LBB207_935:
	s_sext_i32_i16 s8, s77
	s_cmp_lt_i32 s8, 6
	s_cbranch_scc1 .LBB207_938
; %bb.936:
	s_cmp_gt_i32 s8, 6
	s_cbranch_scc0 .LBB207_939
; %bb.937:
	global_load_dwordx2 v[3:4], v[1:2], off
	s_movk_i32 s8, 0x7fff
	s_waitcnt vmcnt(0)
	v_cvt_f32_f64_e32 v3, v[3:4]
	v_mov_b32_e32 v4, 0x7fc0
	v_bfe_u32 v5, v3, 16, 1
	v_cmp_o_f32_e32 vcc, v3, v3
	v_add3_u32 v3, v3, v5, s8
	v_cndmask_b32_sdwa v3, v4, v3, vcc dst_sel:DWORD dst_unused:UNUSED_PAD src0_sel:DWORD src1_sel:WORD_1
	s_mov_b64 s[8:9], 0
	s_branch .LBB207_940
.LBB207_938:
	s_mov_b64 s[8:9], -1
                                        ; implicit-def: $vgpr3
	s_branch .LBB207_943
.LBB207_939:
	s_mov_b64 s[8:9], -1
                                        ; implicit-def: $vgpr3
.LBB207_940:
	s_andn2_b64 vcc, exec, s[8:9]
	s_cbranch_vccnz .LBB207_942
; %bb.941:
	global_load_dword v3, v[1:2], off
	s_movk_i32 s8, 0x7fff
	v_mov_b32_e32 v4, 0x7fc0
	s_waitcnt vmcnt(0)
	v_bfe_u32 v5, v3, 16, 1
	v_cmp_o_f32_e32 vcc, v3, v3
	v_add3_u32 v3, v3, v5, s8
	v_cndmask_b32_sdwa v3, v4, v3, vcc dst_sel:DWORD dst_unused:UNUSED_PAD src0_sel:DWORD src1_sel:WORD_1
.LBB207_942:
	s_mov_b64 s[8:9], 0
.LBB207_943:
	s_andn2_b64 vcc, exec, s[8:9]
	s_cbranch_vccnz .LBB207_945
; %bb.944:
	global_load_ushort v3, v[1:2], off
	s_movk_i32 s8, 0x7fff
	v_mov_b32_e32 v5, 0x7fc0
	s_waitcnt vmcnt(0)
	v_cvt_f32_f16_e32 v4, v3
	v_cmp_o_f16_e32 vcc, v3, v3
	v_bfe_u32 v3, v4, 16, 1
	v_add3_u32 v3, v4, v3, s8
	v_cndmask_b32_sdwa v3, v5, v3, vcc dst_sel:DWORD dst_unused:UNUSED_PAD src0_sel:DWORD src1_sel:WORD_1
.LBB207_945:
	s_cbranch_execnz .LBB207_964
.LBB207_946:
	s_sext_i32_i16 s8, s77
	s_cmp_lt_i32 s8, 2
	s_cbranch_scc1 .LBB207_950
; %bb.947:
	s_cmp_lt_i32 s8, 3
	s_cbranch_scc1 .LBB207_951
; %bb.948:
	s_cmp_gt_i32 s8, 3
	s_cbranch_scc0 .LBB207_952
; %bb.949:
	global_load_dwordx2 v[3:4], v[1:2], off
	s_movk_i32 s8, 0x7fff
	s_waitcnt vmcnt(0)
	v_xor_b32_e32 v6, v3, v4
	v_ffbh_i32_e32 v5, v4
	v_ashrrev_i32_e32 v6, 31, v6
	v_add_u32_e32 v5, -1, v5
	v_add_u32_e32 v6, 32, v6
	v_min_u32_e32 v5, v5, v6
	v_lshlrev_b64 v[3:4], v5, v[3:4]
	v_min_u32_e32 v3, 1, v3
	v_or_b32_e32 v3, v4, v3
	v_cvt_f32_i32_e32 v3, v3
	v_sub_u32_e32 v4, 32, v5
	v_ldexp_f32 v3, v3, v4
	v_bfe_u32 v4, v3, 16, 1
	v_add3_u32 v3, v3, v4, s8
	v_lshrrev_b32_e32 v3, 16, v3
	s_mov_b64 s[8:9], 0
	s_branch .LBB207_953
.LBB207_950:
                                        ; implicit-def: $vgpr3
	s_branch .LBB207_959
.LBB207_951:
	s_mov_b64 s[8:9], -1
                                        ; implicit-def: $vgpr3
	s_branch .LBB207_956
.LBB207_952:
	s_mov_b64 s[8:9], -1
                                        ; implicit-def: $vgpr3
.LBB207_953:
	s_andn2_b64 vcc, exec, s[8:9]
	s_cbranch_vccnz .LBB207_955
; %bb.954:
	global_load_dword v3, v[1:2], off
	s_movk_i32 s8, 0x7fff
	s_waitcnt vmcnt(0)
	v_cvt_f32_i32_e32 v3, v3
	v_bfe_u32 v4, v3, 16, 1
	v_add3_u32 v3, v3, v4, s8
	v_lshrrev_b32_e32 v3, 16, v3
.LBB207_955:
	s_mov_b64 s[8:9], 0
.LBB207_956:
	s_andn2_b64 vcc, exec, s[8:9]
	s_cbranch_vccnz .LBB207_958
; %bb.957:
	global_load_sshort v3, v[1:2], off
	s_movk_i32 s8, 0x7fff
	s_waitcnt vmcnt(0)
	v_cvt_f32_i32_e32 v3, v3
	v_bfe_u32 v4, v3, 16, 1
	v_add3_u32 v3, v3, v4, s8
	v_lshrrev_b32_e32 v3, 16, v3
.LBB207_958:
	s_cbranch_execnz .LBB207_964
.LBB207_959:
	s_sext_i32_i16 s8, s77
	s_cmp_gt_i32 s8, 0
	s_cbranch_scc0 .LBB207_961
; %bb.960:
	global_load_sbyte v3, v[1:2], off
	s_movk_i32 s8, 0x7fff
	s_waitcnt vmcnt(0)
	v_cvt_f32_i32_e32 v3, v3
	v_bfe_u32 v4, v3, 16, 1
	v_add3_u32 v3, v3, v4, s8
	v_lshrrev_b32_e32 v3, 16, v3
	s_mov_b64 s[8:9], 0
	s_branch .LBB207_962
.LBB207_961:
	s_mov_b64 s[8:9], -1
                                        ; implicit-def: $vgpr3
.LBB207_962:
	s_andn2_b64 vcc, exec, s[8:9]
	s_cbranch_vccnz .LBB207_964
; %bb.963:
	global_load_ubyte v1, v[1:2], off
	s_movk_i32 s8, 0x7fff
	s_waitcnt vmcnt(0)
	v_cvt_f32_ubyte0_e32 v1, v1
	v_bfe_u32 v2, v1, 16, 1
	v_add3_u32 v1, v1, v2, s8
	v_lshrrev_b32_e32 v3, 16, v1
.LBB207_964:
	s_or_b64 s[10:11], s[10:11], exec
.LBB207_965:
	s_or_b64 exec, exec, s[6:7]
	s_mov_b64 s[14:15], 0
	s_mov_b64 s[12:13], 0
                                        ; implicit-def: $sgpr6_sgpr7
                                        ; implicit-def: $sgpr18
                                        ; implicit-def: $vgpr1_vgpr2
	s_and_saveexec_b64 s[8:9], s[10:11]
	s_cbranch_execz .LBB207_1040
; %bb.966:
	s_waitcnt vmcnt(0)
	v_lshlrev_b32_e32 v1, 16, v3
	v_cmp_eq_f32_e32 vcc, s76, v1
	v_cndmask_b32_e64 v2, 0, 1, vcc
	v_cmp_neq_f32_e32 vcc, s76, v1
	v_cndmask_b32_e64 v1, 0, 1, vcc
	v_cndmask_b32_e64 v1, v1, v2, s[0:1]
	v_and_b32_e32 v1, 1, v1
	v_cmp_eq_u32_e64 s[6:7], 1, v1
	v_mov_b32_e32 v2, s25
	s_and_b32 s18, s75, 0xff
	v_add_co_u32_e32 v1, vcc, s24, v0
	s_cmp_lt_i32 s18, 11
	v_addc_co_u32_e32 v2, vcc, 0, v2, vcc
	s_cbranch_scc1 .LBB207_1043
; %bb.967:
	s_and_b32 s19, 0xffff, s18
	s_mov_b64 s[12:13], -1
	s_cmp_gt_i32 s19, 25
	s_mov_b64 s[0:1], s[58:59]
	s_cbranch_scc0 .LBB207_1000
; %bb.968:
	s_mov_b64 s[10:11], -1
	s_cmp_gt_i32 s19, 28
	s_mov_b64 s[0:1], s[58:59]
	s_cbranch_scc0 .LBB207_984
; %bb.969:
	s_cmp_gt_i32 s19, 43
	s_mov_b64 s[0:1], s[58:59]
	s_cbranch_scc0 .LBB207_980
; %bb.970:
	s_cmp_gt_i32 s19, 45
	s_mov_b64 s[0:1], s[58:59]
	s_cbranch_scc0 .LBB207_974
; %bb.971:
	s_cmp_eq_u32 s19, 46
	s_mov_b64 s[0:1], -1
	s_cbranch_scc0 .LBB207_973
; %bb.972:
	v_cndmask_b32_e64 v0, 0, 1.0, s[6:7]
	v_bfe_u32 v3, v0, 16, 1
	s_movk_i32 s0, 0x7fff
	v_add3_u32 v0, v0, v3, s0
	v_lshrrev_b32_e32 v0, 16, v0
	global_store_dword v[1:2], v0, off
	s_mov_b64 s[0:1], 0
.LBB207_973:
	s_mov_b64 s[10:11], 0
.LBB207_974:
	s_and_b64 vcc, exec, s[10:11]
	s_cbranch_vccz .LBB207_979
; %bb.975:
	s_cmp_eq_u32 s19, 44
	s_mov_b64 s[0:1], -1
	s_cbranch_scc0 .LBB207_979
; %bb.976:
	v_cndmask_b32_e64 v3, 0, 1.0, s[6:7]
	v_lshrrev_b32_e32 v0, 23, v3
	s_movk_i32 s0, 0xff
	v_cmp_ne_u32_e32 vcc, s0, v0
	v_mov_b32_e32 v4, 0xff
	s_and_saveexec_b64 s[10:11], vcc
; %bb.977:
	s_mov_b32 s0, 0x3fffff
	v_and_b32_e32 v4, 0x400000, v3
	v_and_or_b32 v3, v3, s0, v0
	v_cmp_ne_u32_e32 vcc, 0, v4
	v_cmp_ne_u32_e64 s[0:1], 0, v3
	s_and_b64 s[0:1], vcc, s[0:1]
	v_cndmask_b32_e64 v3, 0, 1, s[0:1]
	v_add_u32_e32 v4, v0, v3
; %bb.978:
	s_or_b64 exec, exec, s[10:11]
	s_mov_b64 s[0:1], 0
	global_store_byte v[1:2], v4, off
.LBB207_979:
	s_mov_b64 s[10:11], 0
.LBB207_980:
	s_and_b64 vcc, exec, s[10:11]
	s_cbranch_vccz .LBB207_983
; %bb.981:
	s_cmp_eq_u32 s19, 29
	s_mov_b64 s[0:1], -1
	s_cbranch_scc0 .LBB207_983
; %bb.982:
	s_mov_b32 s0, 0
	v_cndmask_b32_e64 v3, 0, 1, s[6:7]
	v_mov_b32_e32 v4, s0
	global_store_dwordx2 v[1:2], v[3:4], off
	s_mov_b64 s[0:1], 0
.LBB207_983:
	s_mov_b64 s[10:11], 0
.LBB207_984:
	s_and_b64 vcc, exec, s[10:11]
	s_cbranch_vccz .LBB207_999
; %bb.985:
	s_cmp_lt_i32 s19, 27
	s_mov_b64 s[10:11], -1
	s_cbranch_scc1 .LBB207_991
; %bb.986:
	s_cmp_gt_i32 s19, 27
	s_cbranch_scc0 .LBB207_988
; %bb.987:
	v_cndmask_b32_e64 v0, 0, 1, s[6:7]
	s_mov_b64 s[10:11], 0
	global_store_dword v[1:2], v0, off
.LBB207_988:
	s_andn2_b64 vcc, exec, s[10:11]
	s_cbranch_vccnz .LBB207_990
; %bb.989:
	v_cndmask_b32_e64 v0, 0, 1, s[6:7]
	global_store_short v[1:2], v0, off
.LBB207_990:
	s_mov_b64 s[10:11], 0
.LBB207_991:
	s_andn2_b64 vcc, exec, s[10:11]
	s_cbranch_vccnz .LBB207_999
; %bb.992:
	v_cndmask_b32_e64 v3, 0, 1.0, s[6:7]
	s_mov_b32 s10, 0x43800000
	v_cmp_gt_u32_e32 vcc, s10, v3
	v_mov_b32_e32 v4, 0x80
	s_and_saveexec_b64 s[10:11], vcc
	s_cbranch_execz .LBB207_998
; %bb.993:
	s_mov_b32 s12, 0x3bffffff
	v_cmp_lt_u32_e32 vcc, s12, v3
	s_mov_b64 s[12:13], 0
                                        ; implicit-def: $vgpr0
	s_and_saveexec_b64 s[14:15], vcc
	s_xor_b64 s[14:15], exec, s[14:15]
	s_cbranch_execz .LBB207_1156
; %bb.994:
	v_bfe_u32 v0, v3, 20, 1
	s_mov_b32 s16, 0x487ffff
	v_add3_u32 v0, v3, v0, s16
	s_mov_b64 s[12:13], exec
	v_lshrrev_b32_e32 v0, 20, v0
                                        ; implicit-def: $vgpr3
	s_andn2_saveexec_b64 s[14:15], s[14:15]
	s_cbranch_execnz .LBB207_1157
.LBB207_995:
	s_or_b64 exec, exec, s[14:15]
	v_mov_b32_e32 v4, 0
	s_and_saveexec_b64 s[14:15], s[12:13]
.LBB207_996:
	v_mov_b32_e32 v4, v0
.LBB207_997:
	s_or_b64 exec, exec, s[14:15]
.LBB207_998:
	s_or_b64 exec, exec, s[10:11]
	global_store_byte v[1:2], v4, off
.LBB207_999:
	s_mov_b64 s[12:13], 0
.LBB207_1000:
	s_mov_b64 s[10:11], 0
	s_and_b64 vcc, exec, s[12:13]
	s_cbranch_vccz .LBB207_1044
; %bb.1001:
	s_cmp_gt_i32 s19, 22
	s_mov_b64 s[12:13], -1
	s_cbranch_scc0 .LBB207_1033
; %bb.1002:
	s_cmp_lt_i32 s19, 24
	s_cbranch_scc1 .LBB207_1022
; %bb.1003:
	s_cmp_gt_i32 s19, 24
	s_cbranch_scc0 .LBB207_1011
; %bb.1004:
	v_cndmask_b32_e64 v3, 0, 1.0, s[6:7]
	s_mov_b32 s12, 0x47800000
	v_cmp_gt_u32_e32 vcc, s12, v3
	v_mov_b32_e32 v4, 0x80
	s_and_saveexec_b64 s[12:13], vcc
	s_cbranch_execz .LBB207_1010
; %bb.1005:
	s_mov_b32 s14, 0x37ffffff
	v_cmp_lt_u32_e32 vcc, s14, v3
	s_mov_b64 s[14:15], 0
                                        ; implicit-def: $vgpr0
	s_and_saveexec_b64 s[16:17], vcc
	s_xor_b64 s[16:17], exec, s[16:17]
	s_cbranch_execz .LBB207_1281
; %bb.1006:
	v_bfe_u32 v0, v3, 21, 1
	s_mov_b32 s20, 0x88fffff
	v_add3_u32 v0, v3, v0, s20
	s_mov_b64 s[14:15], exec
	v_lshrrev_b32_e32 v0, 21, v0
                                        ; implicit-def: $vgpr3
	s_andn2_saveexec_b64 s[16:17], s[16:17]
	s_cbranch_execnz .LBB207_1282
.LBB207_1007:
	s_or_b64 exec, exec, s[16:17]
	v_mov_b32_e32 v4, 0
	s_and_saveexec_b64 s[16:17], s[14:15]
.LBB207_1008:
	v_mov_b32_e32 v4, v0
.LBB207_1009:
	s_or_b64 exec, exec, s[16:17]
.LBB207_1010:
	s_or_b64 exec, exec, s[12:13]
	s_mov_b64 s[12:13], 0
	global_store_byte v[1:2], v4, off
.LBB207_1011:
	s_and_b64 vcc, exec, s[12:13]
	s_cbranch_vccz .LBB207_1021
; %bb.1012:
	v_cndmask_b32_e64 v0, 0, 1.0, s[6:7]
	s_mov_b32 s12, 0x43f00000
	v_cmp_gt_u32_e32 vcc, s12, v0
                                        ; implicit-def: $vgpr3
	s_and_saveexec_b64 s[12:13], vcc
	s_xor_b64 s[12:13], exec, s[12:13]
	s_cbranch_execz .LBB207_1018
; %bb.1013:
	s_mov_b32 s14, 0x3c7fffff
	v_cmp_lt_u32_e32 vcc, s14, v0
                                        ; implicit-def: $vgpr3
	s_and_saveexec_b64 s[14:15], vcc
	s_xor_b64 s[14:15], exec, s[14:15]
; %bb.1014:
	v_bfe_u32 v3, v0, 20, 1
	s_mov_b32 s16, 0x407ffff
	v_add3_u32 v0, v0, v3, s16
	v_lshrrev_b32_e32 v3, 20, v0
	v_and_b32_e32 v0, 0xff00000, v0
	s_mov_b32 s16, 0x7f00000
	v_mov_b32_e32 v4, 0x7e
	v_cmp_ne_u32_e32 vcc, s16, v0
	v_cndmask_b32_e32 v3, v4, v3, vcc
                                        ; implicit-def: $vgpr0
; %bb.1015:
	s_andn2_saveexec_b64 s[14:15], s[14:15]
; %bb.1016:
	v_add_f32_e32 v3, 0x46800000, v0
; %bb.1017:
	s_or_b64 exec, exec, s[14:15]
                                        ; implicit-def: $vgpr0
.LBB207_1018:
	s_andn2_saveexec_b64 s[12:13], s[12:13]
; %bb.1019:
	s_mov_b32 s14, 0x7f800000
	v_mov_b32_e32 v3, 0x7e
	v_mov_b32_e32 v4, 0x7f
	v_cmp_lt_u32_e32 vcc, s14, v0
	v_cndmask_b32_e32 v3, v3, v4, vcc
; %bb.1020:
	s_or_b64 exec, exec, s[12:13]
	global_store_byte v[1:2], v3, off
.LBB207_1021:
	s_mov_b64 s[12:13], 0
.LBB207_1022:
	s_andn2_b64 vcc, exec, s[12:13]
	s_cbranch_vccnz .LBB207_1032
; %bb.1023:
	v_cndmask_b32_e64 v0, 0, 1.0, s[6:7]
	s_mov_b32 s12, 0x47800000
	v_cmp_gt_u32_e32 vcc, s12, v0
                                        ; implicit-def: $vgpr3
	s_and_saveexec_b64 s[12:13], vcc
	s_xor_b64 s[12:13], exec, s[12:13]
	s_cbranch_execz .LBB207_1029
; %bb.1024:
	s_mov_b32 s14, 0x387fffff
	v_cmp_lt_u32_e32 vcc, s14, v0
                                        ; implicit-def: $vgpr3
	s_and_saveexec_b64 s[14:15], vcc
	s_xor_b64 s[14:15], exec, s[14:15]
; %bb.1025:
	v_bfe_u32 v3, v0, 21, 1
	s_mov_b32 s16, 0x80fffff
	v_add3_u32 v0, v0, v3, s16
	v_lshrrev_b32_e32 v3, 21, v0
                                        ; implicit-def: $vgpr0
; %bb.1026:
	s_andn2_saveexec_b64 s[14:15], s[14:15]
; %bb.1027:
	v_add_f32_e32 v3, 0x43000000, v0
; %bb.1028:
	s_or_b64 exec, exec, s[14:15]
                                        ; implicit-def: $vgpr0
.LBB207_1029:
	s_andn2_saveexec_b64 s[12:13], s[12:13]
; %bb.1030:
	s_mov_b32 s14, 0x7f800000
	v_mov_b32_e32 v3, 0x7c
	v_mov_b32_e32 v4, 0x7f
	v_cmp_lt_u32_e32 vcc, s14, v0
	v_cndmask_b32_e32 v3, v3, v4, vcc
; %bb.1031:
	s_or_b64 exec, exec, s[12:13]
	global_store_byte v[1:2], v3, off
.LBB207_1032:
	s_mov_b64 s[12:13], 0
.LBB207_1033:
	s_andn2_b64 vcc, exec, s[12:13]
	s_mov_b64 s[14:15], 0
	s_cbranch_vccnz .LBB207_1045
; %bb.1034:
	s_cmp_gt_i32 s19, 14
	s_mov_b64 s[12:13], -1
	s_cbranch_scc0 .LBB207_1038
; %bb.1035:
	s_cmp_eq_u32 s19, 15
	s_mov_b64 s[0:1], -1
	s_cbranch_scc0 .LBB207_1037
; %bb.1036:
	v_cndmask_b32_e64 v0, 0, 1.0, s[6:7]
	v_bfe_u32 v3, v0, 16, 1
	s_movk_i32 s0, 0x7fff
	v_add3_u32 v0, v0, v3, s0
	global_store_short_d16_hi v[1:2], v0, off
	s_mov_b64 s[0:1], 0
.LBB207_1037:
	s_mov_b64 s[12:13], 0
.LBB207_1038:
	s_and_b64 vcc, exec, s[12:13]
	s_cbranch_vccz .LBB207_1045
; %bb.1039:
	s_cmp_lg_u32 s19, 11
	s_cselect_b64 s[12:13], -1, 0
	s_andn2_b64 s[0:1], s[0:1], exec
	s_and_b64 s[12:13], s[12:13], exec
	s_mov_b64 s[14:15], -1
	s_or_b64 s[0:1], s[0:1], s[12:13]
	s_branch .LBB207_1045
.LBB207_1040:
	s_or_b64 exec, exec, s[8:9]
	s_and_saveexec_b64 s[0:1], s[58:59]
	s_cbranch_execnz .LBB207_1046
.LBB207_1041:
	s_or_b64 exec, exec, s[0:1]
	s_and_saveexec_b64 s[0:1], s[14:15]
	s_xor_b64 s[0:1], exec, s[0:1]
	s_cbranch_execz .LBB207_1047
.LBB207_1042:
	v_cndmask_b32_e64 v0, 0, 1, s[6:7]
	global_store_byte v[1:2], v0, off
	s_or_b64 exec, exec, s[0:1]
	s_and_saveexec_b64 s[0:1], s[12:13]
	s_xor_b64 s[0:1], exec, s[0:1]
	s_cbranch_execz .LBB207_1085
	s_branch .LBB207_1048
.LBB207_1043:
	s_mov_b64 s[10:11], -1
	s_mov_b64 s[0:1], s[58:59]
	s_branch .LBB207_1045
.LBB207_1044:
	s_mov_b64 s[14:15], 0
.LBB207_1045:
	s_and_b64 s[12:13], s[10:11], exec
	s_andn2_b64 s[10:11], s[58:59], exec
	s_and_b64 s[0:1], s[0:1], exec
	s_and_b64 s[14:15], s[14:15], exec
	s_or_b64 s[58:59], s[10:11], s[0:1]
	s_or_b64 exec, exec, s[8:9]
	s_and_saveexec_b64 s[0:1], s[58:59]
	s_cbranch_execz .LBB207_1041
.LBB207_1046:
	s_or_b64 s[2:3], s[2:3], exec
	s_andn2_b64 s[14:15], s[14:15], exec
	s_trap 2
	s_or_b64 exec, exec, s[0:1]
	s_and_saveexec_b64 s[0:1], s[14:15]
	s_xor_b64 s[0:1], exec, s[0:1]
	s_cbranch_execnz .LBB207_1042
.LBB207_1047:
	s_or_b64 exec, exec, s[0:1]
	s_and_saveexec_b64 s[0:1], s[12:13]
	s_xor_b64 s[0:1], exec, s[0:1]
	s_cbranch_execz .LBB207_1085
.LBB207_1048:
	s_sext_i32_i16 s10, s18
	s_cmp_lt_i32 s10, 5
	s_mov_b64 s[8:9], -1
	s_cbranch_scc1 .LBB207_1069
; %bb.1049:
	s_cmp_lt_i32 s10, 8
	s_cbranch_scc1 .LBB207_1059
; %bb.1050:
	s_cmp_lt_i32 s10, 9
	s_cbranch_scc1 .LBB207_1056
; %bb.1051:
	s_cmp_gt_i32 s10, 9
	s_cbranch_scc0 .LBB207_1053
; %bb.1052:
	v_cndmask_b32_e64 v0, 0, 1, s[6:7]
	s_waitcnt vmcnt(0)
	v_cvt_f64_u32_e32 v[3:4], v0
	v_mov_b32_e32 v5, 0
	v_mov_b32_e32 v6, v5
	s_mov_b64 s[8:9], 0
	global_store_dwordx4 v[1:2], v[3:6], off
.LBB207_1053:
	s_andn2_b64 vcc, exec, s[8:9]
	s_cbranch_vccnz .LBB207_1055
; %bb.1054:
	s_waitcnt vmcnt(0)
	v_cndmask_b32_e64 v3, 0, 1.0, s[6:7]
	v_mov_b32_e32 v4, 0
	global_store_dwordx2 v[1:2], v[3:4], off
.LBB207_1055:
	s_mov_b64 s[8:9], 0
.LBB207_1056:
	s_andn2_b64 vcc, exec, s[8:9]
	s_cbranch_vccnz .LBB207_1058
; %bb.1057:
	v_cndmask_b32_e64 v0, 0, 1.0, s[6:7]
	v_cvt_f16_f32_e32 v0, v0
	global_store_dword v[1:2], v0, off
.LBB207_1058:
	s_mov_b64 s[8:9], 0
.LBB207_1059:
	s_andn2_b64 vcc, exec, s[8:9]
	s_cbranch_vccnz .LBB207_1068
; %bb.1060:
	s_sext_i32_i16 s10, s18
	s_cmp_lt_i32 s10, 6
	s_mov_b64 s[8:9], -1
	s_cbranch_scc1 .LBB207_1066
; %bb.1061:
	s_cmp_gt_i32 s10, 6
	s_cbranch_scc0 .LBB207_1063
; %bb.1062:
	v_cndmask_b32_e64 v0, 0, 1, s[6:7]
	s_waitcnt vmcnt(0)
	v_cvt_f64_u32_e32 v[3:4], v0
	s_mov_b64 s[8:9], 0
	global_store_dwordx2 v[1:2], v[3:4], off
.LBB207_1063:
	s_andn2_b64 vcc, exec, s[8:9]
	s_cbranch_vccnz .LBB207_1065
; %bb.1064:
	v_cndmask_b32_e64 v0, 0, 1.0, s[6:7]
	global_store_dword v[1:2], v0, off
.LBB207_1065:
	s_mov_b64 s[8:9], 0
.LBB207_1066:
	s_andn2_b64 vcc, exec, s[8:9]
	s_cbranch_vccnz .LBB207_1068
; %bb.1067:
	v_cndmask_b32_e64 v0, 0, 1.0, s[6:7]
	v_cvt_f16_f32_e32 v0, v0
	global_store_short v[1:2], v0, off
.LBB207_1068:
	s_mov_b64 s[8:9], 0
.LBB207_1069:
	s_andn2_b64 vcc, exec, s[8:9]
	s_cbranch_vccnz .LBB207_1085
; %bb.1070:
	s_sext_i32_i16 s10, s18
	s_cmp_lt_i32 s10, 2
	s_mov_b64 s[8:9], -1
	s_cbranch_scc1 .LBB207_1080
; %bb.1071:
	s_cmp_lt_i32 s10, 3
	s_cbranch_scc1 .LBB207_1077
; %bb.1072:
	s_cmp_gt_i32 s10, 3
	s_cbranch_scc0 .LBB207_1074
; %bb.1073:
	s_mov_b32 s8, 0
	s_waitcnt vmcnt(0)
	v_cndmask_b32_e64 v3, 0, 1, s[6:7]
	v_mov_b32_e32 v4, s8
	s_mov_b64 s[8:9], 0
	global_store_dwordx2 v[1:2], v[3:4], off
.LBB207_1074:
	s_andn2_b64 vcc, exec, s[8:9]
	s_cbranch_vccnz .LBB207_1076
; %bb.1075:
	v_cndmask_b32_e64 v0, 0, 1, s[6:7]
	global_store_dword v[1:2], v0, off
.LBB207_1076:
	s_mov_b64 s[8:9], 0
.LBB207_1077:
	s_andn2_b64 vcc, exec, s[8:9]
	s_cbranch_vccnz .LBB207_1079
; %bb.1078:
	v_cndmask_b32_e64 v0, 0, 1, s[6:7]
	global_store_short v[1:2], v0, off
.LBB207_1079:
	s_mov_b64 s[8:9], 0
.LBB207_1080:
	s_andn2_b64 vcc, exec, s[8:9]
	s_cbranch_vccnz .LBB207_1085
; %bb.1081:
	s_sext_i32_i16 s8, s18
	s_cmp_gt_i32 s8, 0
	s_mov_b64 s[8:9], -1
	s_cbranch_scc0 .LBB207_1083
; %bb.1082:
	v_cndmask_b32_e64 v0, 0, 1, s[6:7]
	s_mov_b64 s[8:9], 0
	global_store_byte v[1:2], v0, off
.LBB207_1083:
	s_andn2_b64 vcc, exec, s[8:9]
	s_cbranch_vccnz .LBB207_1085
; %bb.1084:
	v_cndmask_b32_e64 v0, 0, 1, s[6:7]
	global_store_byte v[1:2], v0, off
.LBB207_1085:
	s_or_b64 exec, exec, s[0:1]
	s_and_b64 s[6:7], s[2:3], exec
                                        ; implicit-def: $vgpr15
                                        ; implicit-def: $vgpr8
.LBB207_1086:
	s_or_saveexec_b64 s[28:29], s[48:49]
	s_mov_b64 s[0:1], 0
                                        ; implicit-def: $sgpr2_sgpr3
                                        ; implicit-def: $vgpr0_vgpr1
                                        ; implicit-def: $sgpr20
	s_xor_b64 exec, exec, s[28:29]
	s_cbranch_execz .LBB207_2090
; %bb.1087:
	v_cndmask_b32_e64 v0, 0, 1, s[46:47]
	v_cmp_ne_u32_e64 s[0:1], 1, v0
	s_andn2_b64 vcc, exec, s[46:47]
	s_cbranch_vccnz .LBB207_1093
; %bb.1088:
	s_cmp_lg_u32 s33, 0
	s_mov_b32 s36, 0
	s_cbranch_scc0 .LBB207_1094
; %bb.1089:
	s_min_u32 s37, s74, 15
	s_add_i32 s37, s37, 1
	s_cmp_eq_u32 s74, 2
	s_cbranch_scc1 .LBB207_1095
; %bb.1090:
	s_and_b32 s36, s37, 28
	s_add_u32 s2, s34, 0xc4
	s_addc_u32 s3, s35, 0
	v_mov_b32_e32 v13, 0
	s_mov_b32 s38, 0
	s_mov_b64 s[30:31], s[34:35]
	v_mov_b32_e32 v6, 0
	v_mov_b32_e32 v0, v8
.LBB207_1091:                           ; =>This Inner Loop Header: Depth=1
	s_load_dwordx8 s[16:23], s[30:31], 0x4
	s_load_dwordx4 s[24:27], s[30:31], 0x24
	s_load_dwordx8 s[8:15], s[2:3], 0x0
	s_add_u32 s30, s30, 48
	s_addc_u32 s31, s31, 0
	s_waitcnt lgkmcnt(0)
	v_mul_hi_u32 v1, s17, v0
	s_add_i32 s38, s38, 4
	s_add_u32 s2, s2, 32
	s_addc_u32 s3, s3, 0
	v_add_u32_e32 v1, v0, v1
	v_lshrrev_b32_e32 v1, s18, v1
	v_mul_lo_u32 v2, v1, s16
	s_waitcnt vmcnt(0)
	v_mul_hi_u32 v3, s20, v1
	s_cmp_lg_u32 s36, s38
	v_sub_u32_e32 v0, v0, v2
	v_add_u32_e32 v2, v1, v3
	v_mul_lo_u32 v3, v0, s8
	v_mul_lo_u32 v4, v0, s9
	v_lshrrev_b32_e32 v0, s21, v2
	v_mul_lo_u32 v2, v0, s19
	v_mul_hi_u32 v5, s23, v0
	v_sub_u32_e32 v1, v1, v2
	v_add_u32_e32 v2, v0, v5
	v_lshrrev_b32_e32 v2, s24, v2
	v_mul_hi_u32 v7, s26, v2
	v_mul_lo_u32 v9, v2, s22
	v_mul_lo_u32 v5, v1, s10
	;; [unrolled: 1-line block ×3, first 2 shown]
	v_sub_u32_e32 v9, v0, v9
	v_add_u32_e32 v0, v2, v7
	v_lshrrev_b32_e32 v0, s27, v0
	v_mul_lo_u32 v7, v0, s25
	v_mul_lo_u32 v10, v9, s12
	;; [unrolled: 1-line block ×3, first 2 shown]
	v_add3_u32 v3, v3, v6, v5
	v_sub_u32_e32 v2, v2, v7
	v_mul_lo_u32 v7, v2, s14
	v_mul_lo_u32 v2, v2, s15
	v_add3_u32 v1, v4, v13, v1
	v_add3_u32 v6, v10, v3, v7
	;; [unrolled: 1-line block ×3, first 2 shown]
	s_cbranch_scc1 .LBB207_1091
; %bb.1092:
	s_and_b32 s10, s37, 3
	s_cmp_eq_u32 s10, 0
	s_cbranch_scc0 .LBB207_1096
	s_branch .LBB207_1098
.LBB207_1093:
                                        ; implicit-def: $vgpr6
                                        ; implicit-def: $vgpr13
	s_branch .LBB207_1099
.LBB207_1094:
	v_mov_b32_e32 v6, 0
	v_mov_b32_e32 v13, 0
	s_branch .LBB207_1098
.LBB207_1095:
	v_mov_b32_e32 v6, 0
	v_mov_b32_e32 v13, 0
	;; [unrolled: 1-line block ×3, first 2 shown]
	s_and_b32 s10, s37, 3
	s_cmp_eq_u32 s10, 0
	s_cbranch_scc1 .LBB207_1098
.LBB207_1096:
	s_lshl_b32 s2, s36, 3
	s_add_u32 s2, s34, s2
	s_addc_u32 s3, s35, 0
	s_add_u32 s2, s2, 0xc4
	s_addc_u32 s3, s3, 0
	s_mul_i32 s8, s36, 12
	s_add_u32 s8, s34, s8
	s_addc_u32 s9, s35, 0
.LBB207_1097:                           ; =>This Inner Loop Header: Depth=1
	s_load_dwordx2 s[12:13], s[8:9], 0x4
	s_load_dword s11, s[8:9], 0xc
	s_load_dwordx2 s[14:15], s[2:3], 0x0
	s_add_u32 s8, s8, 12
	s_addc_u32 s9, s9, 0
	s_waitcnt lgkmcnt(0)
	v_mul_hi_u32 v1, s13, v0
	s_add_u32 s2, s2, 8
	s_addc_u32 s3, s3, 0
	s_add_i32 s10, s10, -1
	v_add_u32_e32 v1, v0, v1
	v_lshrrev_b32_e32 v1, s11, v1
	v_mul_lo_u32 v2, v1, s12
	s_cmp_lg_u32 s10, 0
	v_sub_u32_e32 v0, v0, v2
	v_mad_u64_u32 v[6:7], s[12:13], v0, s14, v[6:7]
	v_mad_u64_u32 v[13:14], s[12:13], v0, s15, v[13:14]
	v_mov_b32_e32 v0, v1
	s_cbranch_scc1 .LBB207_1097
.LBB207_1098:
	s_cbranch_execnz .LBB207_1101
.LBB207_1099:
	s_load_dwordx4 s[8:11], s[34:35], 0x4
	s_load_dwordx2 s[2:3], s[34:35], 0xc4
	s_cmp_lt_u32 s33, 2
	s_waitcnt lgkmcnt(0)
	v_mul_hi_u32 v0, s9, v8
	v_add_u32_e32 v0, v8, v0
	v_lshrrev_b32_e32 v0, s10, v0
	v_mul_lo_u32 v1, v0, s8
	v_sub_u32_e32 v1, v8, v1
	v_mul_lo_u32 v6, v1, s2
	v_mul_lo_u32 v13, v1, s3
	s_cbranch_scc1 .LBB207_1101
; %bb.1100:
	s_load_dwordx4 s[8:11], s[34:35], 0x10
	s_load_dwordx2 s[2:3], s[34:35], 0xcc
	s_waitcnt lgkmcnt(0)
	v_mul_hi_u32 v1, s9, v0
	v_add_u32_e32 v1, v0, v1
	v_lshrrev_b32_e32 v1, s10, v1
	v_mul_lo_u32 v1, v1, s8
	v_sub_u32_e32 v0, v0, v1
	v_mad_u64_u32 v[6:7], s[8:9], v0, s2, v[6:7]
	v_mad_u64_u32 v[13:14], s[2:3], v0, s3, v[13:14]
.LBB207_1101:
	s_and_b64 vcc, exec, s[0:1]
	v_add_u32_e32 v0, 0x80, v8
	s_cbranch_vccnz .LBB207_1107
; %bb.1102:
	s_cmp_lg_u32 s33, 0
	s_mov_b32 s36, 0
	s_cbranch_scc0 .LBB207_1108
; %bb.1103:
	s_min_u32 s37, s74, 15
	s_add_i32 s37, s37, 1
	s_cmp_eq_u32 s74, 2
	s_cbranch_scc1 .LBB207_1109
; %bb.1104:
	s_and_b32 s36, s37, 28
	s_add_u32 s2, s34, 0xc4
	s_addc_u32 s3, s35, 0
	v_mov_b32_e32 v11, 0
	s_mov_b32 s38, 0
	s_mov_b64 s[30:31], s[34:35]
	v_mov_b32_e32 v4, 0
	v_mov_b32_e32 v1, v0
.LBB207_1105:                           ; =>This Inner Loop Header: Depth=1
	s_load_dwordx8 s[16:23], s[30:31], 0x4
	s_load_dwordx4 s[24:27], s[30:31], 0x24
	s_load_dwordx8 s[8:15], s[2:3], 0x0
	s_add_u32 s30, s30, 48
	s_addc_u32 s31, s31, 0
	s_waitcnt lgkmcnt(0)
	v_mul_hi_u32 v2, s17, v1
	s_add_i32 s38, s38, 4
	s_add_u32 s2, s2, 32
	s_addc_u32 s3, s3, 0
	v_add_u32_e32 v2, v1, v2
	v_lshrrev_b32_e32 v2, s18, v2
	s_waitcnt vmcnt(0)
	v_mul_lo_u32 v3, v2, s16
	v_mul_hi_u32 v5, s20, v2
	s_cmp_lg_u32 s36, s38
	v_sub_u32_e32 v1, v1, v3
	v_add_u32_e32 v3, v2, v5
	v_mul_lo_u32 v5, v1, s8
	v_mul_lo_u32 v7, v1, s9
	v_lshrrev_b32_e32 v1, s21, v3
	v_mul_lo_u32 v3, v1, s19
	v_mul_hi_u32 v9, s23, v1
	v_sub_u32_e32 v2, v2, v3
	v_add_u32_e32 v3, v1, v9
	v_lshrrev_b32_e32 v3, s24, v3
	v_mul_hi_u32 v10, s26, v3
	v_mul_lo_u32 v12, v3, s22
	v_mul_lo_u32 v9, v2, s10
	;; [unrolled: 1-line block ×3, first 2 shown]
	v_sub_u32_e32 v12, v1, v12
	v_add_u32_e32 v1, v3, v10
	v_lshrrev_b32_e32 v1, s27, v1
	v_mul_lo_u32 v10, v1, s25
	v_mul_lo_u32 v14, v12, s12
	;; [unrolled: 1-line block ×3, first 2 shown]
	v_add3_u32 v4, v5, v4, v9
	v_sub_u32_e32 v3, v3, v10
	v_mul_lo_u32 v10, v3, s14
	v_mul_lo_u32 v3, v3, s15
	v_add3_u32 v2, v7, v11, v2
	v_add3_u32 v4, v14, v4, v10
	;; [unrolled: 1-line block ×3, first 2 shown]
	s_cbranch_scc1 .LBB207_1105
; %bb.1106:
	s_and_b32 s10, s37, 3
	s_cmp_eq_u32 s10, 0
	s_cbranch_scc0 .LBB207_1110
	s_branch .LBB207_1112
.LBB207_1107:
                                        ; implicit-def: $vgpr4
                                        ; implicit-def: $vgpr11
	s_branch .LBB207_1113
.LBB207_1108:
	v_mov_b32_e32 v4, 0
	v_mov_b32_e32 v11, 0
	s_branch .LBB207_1112
.LBB207_1109:
	v_mov_b32_e32 v4, 0
	v_mov_b32_e32 v11, 0
	;; [unrolled: 1-line block ×3, first 2 shown]
	s_and_b32 s10, s37, 3
	s_cmp_eq_u32 s10, 0
	s_cbranch_scc1 .LBB207_1112
.LBB207_1110:
	s_lshl_b32 s2, s36, 3
	s_add_u32 s2, s34, s2
	s_addc_u32 s3, s35, 0
	s_add_u32 s2, s2, 0xc4
	s_addc_u32 s3, s3, 0
	s_mul_i32 s8, s36, 12
	s_add_u32 s8, s34, s8
	s_addc_u32 s9, s35, 0
.LBB207_1111:                           ; =>This Inner Loop Header: Depth=1
	s_load_dwordx2 s[12:13], s[8:9], 0x4
	s_load_dword s11, s[8:9], 0xc
	s_load_dwordx2 s[14:15], s[2:3], 0x0
	s_add_u32 s8, s8, 12
	s_addc_u32 s9, s9, 0
	s_waitcnt lgkmcnt(0)
	v_mul_hi_u32 v2, s13, v1
	s_add_u32 s2, s2, 8
	s_addc_u32 s3, s3, 0
	s_add_i32 s10, s10, -1
	v_add_u32_e32 v2, v1, v2
	v_lshrrev_b32_e32 v2, s11, v2
	s_waitcnt vmcnt(0)
	v_mul_lo_u32 v3, v2, s12
	s_cmp_lg_u32 s10, 0
	v_sub_u32_e32 v1, v1, v3
	v_mad_u64_u32 v[4:5], s[12:13], v1, s14, v[4:5]
	v_mad_u64_u32 v[11:12], s[12:13], v1, s15, v[11:12]
	v_mov_b32_e32 v1, v2
	s_cbranch_scc1 .LBB207_1111
.LBB207_1112:
	s_cbranch_execnz .LBB207_1115
.LBB207_1113:
	s_load_dwordx4 s[8:11], s[34:35], 0x4
	s_load_dwordx2 s[2:3], s[34:35], 0xc4
	s_cmp_lt_u32 s33, 2
	s_waitcnt lgkmcnt(0)
	v_mul_hi_u32 v1, s9, v0
	v_add_u32_e32 v1, v0, v1
	v_lshrrev_b32_e32 v1, s10, v1
	v_mul_lo_u32 v2, v1, s8
	v_sub_u32_e32 v0, v0, v2
	v_mul_lo_u32 v4, v0, s2
	v_mul_lo_u32 v11, v0, s3
	s_cbranch_scc1 .LBB207_1115
; %bb.1114:
	s_load_dwordx4 s[8:11], s[34:35], 0x10
	s_load_dwordx2 s[2:3], s[34:35], 0xcc
	s_waitcnt lgkmcnt(0)
	v_mul_hi_u32 v0, s9, v1
	v_add_u32_e32 v0, v1, v0
	v_lshrrev_b32_e32 v0, s10, v0
	v_mul_lo_u32 v0, v0, s8
	v_sub_u32_e32 v0, v1, v0
	v_mad_u64_u32 v[4:5], s[8:9], v0, s2, v[4:5]
	v_mad_u64_u32 v[11:12], s[2:3], v0, s3, v[11:12]
.LBB207_1115:
	s_and_b64 vcc, exec, s[0:1]
	v_add_u32_e32 v0, 0x100, v8
	s_cbranch_vccnz .LBB207_1121
; %bb.1116:
	s_cmp_lg_u32 s33, 0
	s_mov_b32 s36, 0
	s_cbranch_scc0 .LBB207_1122
; %bb.1117:
	s_min_u32 s37, s74, 15
	s_add_i32 s37, s37, 1
	s_cmp_eq_u32 s74, 2
	s_cbranch_scc1 .LBB207_1123
; %bb.1118:
	s_and_b32 s36, s37, 28
	s_add_u32 s2, s34, 0xc4
	s_addc_u32 s3, s35, 0
	v_mov_b32_e32 v9, 0
	s_mov_b32 s38, 0
	s_mov_b64 s[30:31], s[34:35]
	v_mov_b32_e32 v2, 0
	v_mov_b32_e32 v1, v0
.LBB207_1119:                           ; =>This Inner Loop Header: Depth=1
	s_load_dwordx8 s[16:23], s[30:31], 0x4
	s_load_dwordx4 s[24:27], s[30:31], 0x24
	s_load_dwordx8 s[8:15], s[2:3], 0x0
	s_add_u32 s30, s30, 48
	s_addc_u32 s31, s31, 0
	s_waitcnt vmcnt(0) lgkmcnt(0)
	v_mul_hi_u32 v3, s17, v1
	s_add_i32 s38, s38, 4
	s_add_u32 s2, s2, 32
	s_addc_u32 s3, s3, 0
	v_add_u32_e32 v3, v1, v3
	v_lshrrev_b32_e32 v3, s18, v3
	v_mul_lo_u32 v5, v3, s16
	v_mul_hi_u32 v7, s20, v3
	s_cmp_lg_u32 s36, s38
	v_sub_u32_e32 v1, v1, v5
	v_add_u32_e32 v5, v3, v7
	v_mul_lo_u32 v7, v1, s8
	v_mul_lo_u32 v8, v1, s9
	v_lshrrev_b32_e32 v1, s21, v5
	v_mul_lo_u32 v5, v1, s19
	v_mul_hi_u32 v10, s23, v1
	v_sub_u32_e32 v3, v3, v5
	v_add_u32_e32 v5, v1, v10
	v_lshrrev_b32_e32 v5, s24, v5
	v_mul_hi_u32 v12, s26, v5
	v_mul_lo_u32 v14, v5, s22
	v_mul_lo_u32 v10, v3, s10
	;; [unrolled: 1-line block ×3, first 2 shown]
	v_sub_u32_e32 v14, v1, v14
	v_add_u32_e32 v1, v5, v12
	v_lshrrev_b32_e32 v1, s27, v1
	v_mul_lo_u32 v12, v1, s25
	v_mul_lo_u32 v16, v14, s12
	;; [unrolled: 1-line block ×3, first 2 shown]
	v_add3_u32 v2, v7, v2, v10
	v_sub_u32_e32 v5, v5, v12
	v_mul_lo_u32 v12, v5, s14
	v_mul_lo_u32 v5, v5, s15
	v_add3_u32 v3, v8, v9, v3
	v_add3_u32 v2, v16, v2, v12
	v_add3_u32 v9, v14, v3, v5
	s_cbranch_scc1 .LBB207_1119
; %bb.1120:
	s_and_b32 s10, s37, 3
	s_cmp_eq_u32 s10, 0
	s_cbranch_scc0 .LBB207_1124
	s_branch .LBB207_1126
.LBB207_1121:
                                        ; implicit-def: $vgpr2
                                        ; implicit-def: $vgpr9
	s_branch .LBB207_1127
.LBB207_1122:
	v_mov_b32_e32 v2, 0
	v_mov_b32_e32 v9, 0
	s_branch .LBB207_1126
.LBB207_1123:
	v_mov_b32_e32 v2, 0
	v_mov_b32_e32 v9, 0
	;; [unrolled: 1-line block ×3, first 2 shown]
	s_and_b32 s10, s37, 3
	s_cmp_eq_u32 s10, 0
	s_cbranch_scc1 .LBB207_1126
.LBB207_1124:
	s_lshl_b32 s2, s36, 3
	s_add_u32 s2, s34, s2
	s_addc_u32 s3, s35, 0
	s_add_u32 s2, s2, 0xc4
	s_addc_u32 s3, s3, 0
	s_mul_i32 s8, s36, 12
	s_add_u32 s8, s34, s8
	s_addc_u32 s9, s35, 0
.LBB207_1125:                           ; =>This Inner Loop Header: Depth=1
	s_load_dwordx2 s[12:13], s[8:9], 0x4
	s_load_dword s11, s[8:9], 0xc
	s_load_dwordx2 s[14:15], s[2:3], 0x0
	s_add_u32 s8, s8, 12
	s_addc_u32 s9, s9, 0
	s_waitcnt vmcnt(0) lgkmcnt(0)
	v_mul_hi_u32 v3, s13, v1
	s_add_u32 s2, s2, 8
	s_addc_u32 s3, s3, 0
	s_add_i32 s10, s10, -1
	v_add_u32_e32 v3, v1, v3
	v_lshrrev_b32_e32 v5, s11, v3
	v_mul_lo_u32 v3, v5, s12
	s_cmp_lg_u32 s10, 0
	v_sub_u32_e32 v1, v1, v3
	v_mad_u64_u32 v[2:3], s[12:13], v1, s14, v[2:3]
	v_mad_u64_u32 v[9:10], s[12:13], v1, s15, v[9:10]
	v_mov_b32_e32 v1, v5
	s_cbranch_scc1 .LBB207_1125
.LBB207_1126:
	s_cbranch_execnz .LBB207_1129
.LBB207_1127:
	s_load_dwordx4 s[8:11], s[34:35], 0x4
	s_load_dwordx2 s[2:3], s[34:35], 0xc4
	s_cmp_lt_u32 s33, 2
	s_waitcnt lgkmcnt(0)
	v_mul_hi_u32 v1, s9, v0
	v_add_u32_e32 v1, v0, v1
	v_lshrrev_b32_e32 v1, s10, v1
	v_mul_lo_u32 v2, v1, s8
	v_sub_u32_e32 v0, v0, v2
	v_mul_lo_u32 v2, v0, s2
	v_mul_lo_u32 v9, v0, s3
	s_cbranch_scc1 .LBB207_1129
; %bb.1128:
	s_load_dwordx4 s[8:11], s[34:35], 0x10
	s_load_dwordx2 s[2:3], s[34:35], 0xcc
	s_waitcnt lgkmcnt(0)
	v_mul_hi_u32 v0, s9, v1
	v_add_u32_e32 v0, v1, v0
	v_lshrrev_b32_e32 v0, s10, v0
	v_mul_lo_u32 v0, v0, s8
	v_sub_u32_e32 v0, v1, v0
	s_waitcnt vmcnt(0)
	v_mad_u64_u32 v[2:3], s[8:9], v0, s2, v[2:3]
	v_mad_u64_u32 v[9:10], s[2:3], v0, s3, v[9:10]
.LBB207_1129:
	s_and_b64 vcc, exec, s[0:1]
	s_cbranch_vccnz .LBB207_1135
; %bb.1130:
	s_cmp_lg_u32 s33, 0
	s_mov_b32 s30, 0
	s_cbranch_scc0 .LBB207_1136
; %bb.1131:
	s_min_u32 s31, s74, 15
	s_add_i32 s31, s31, 1
	s_cmp_eq_u32 s74, 2
	s_cbranch_scc1 .LBB207_1137
; %bb.1132:
	s_and_b32 s30, s31, 28
	s_add_u32 s24, s34, 0xc4
	s_addc_u32 s25, s35, 0
	v_mov_b32_e32 v7, 0
	s_mov_b32 s36, 0
	s_mov_b64 s[26:27], s[34:35]
	v_mov_b32_e32 v0, 0
	v_mov_b32_e32 v1, v15
.LBB207_1133:                           ; =>This Inner Loop Header: Depth=1
	s_load_dwordx8 s[16:23], s[26:27], 0x4
	s_load_dwordx4 s[0:3], s[26:27], 0x24
	s_load_dwordx8 s[8:15], s[24:25], 0x0
	s_add_u32 s26, s26, 48
	s_addc_u32 s27, s27, 0
	s_waitcnt vmcnt(0) lgkmcnt(0)
	v_mul_hi_u32 v3, s17, v1
	s_add_i32 s36, s36, 4
	s_add_u32 s24, s24, 32
	s_addc_u32 s25, s25, 0
	v_add_u32_e32 v3, v1, v3
	v_lshrrev_b32_e32 v3, s18, v3
	v_mul_lo_u32 v5, v3, s16
	v_mul_hi_u32 v8, s20, v3
	s_cmp_lg_u32 s30, s36
	v_sub_u32_e32 v1, v1, v5
	v_add_u32_e32 v5, v3, v8
	v_mul_lo_u32 v8, v1, s8
	v_mul_lo_u32 v10, v1, s9
	v_lshrrev_b32_e32 v1, s21, v5
	v_mul_lo_u32 v5, v1, s19
	v_mul_hi_u32 v12, s23, v1
	v_sub_u32_e32 v3, v3, v5
	v_add_u32_e32 v5, v1, v12
	v_lshrrev_b32_e32 v5, s0, v5
	v_mul_hi_u32 v14, s2, v5
	v_mul_lo_u32 v16, v5, s22
	v_mul_lo_u32 v12, v3, s10
	;; [unrolled: 1-line block ×3, first 2 shown]
	v_sub_u32_e32 v16, v1, v16
	v_add_u32_e32 v1, v5, v14
	v_lshrrev_b32_e32 v1, s3, v1
	v_mul_lo_u32 v14, v1, s1
	v_mul_lo_u32 v17, v16, s12
	;; [unrolled: 1-line block ×3, first 2 shown]
	v_add3_u32 v0, v8, v0, v12
	v_sub_u32_e32 v5, v5, v14
	v_mul_lo_u32 v14, v5, s14
	v_mul_lo_u32 v5, v5, s15
	v_add3_u32 v3, v10, v7, v3
	v_add3_u32 v0, v17, v0, v14
	;; [unrolled: 1-line block ×3, first 2 shown]
	s_cbranch_scc1 .LBB207_1133
; %bb.1134:
	s_and_b32 s8, s31, 3
	s_cmp_eq_u32 s8, 0
	s_cbranch_scc0 .LBB207_1138
	s_branch .LBB207_1140
.LBB207_1135:
                                        ; implicit-def: $vgpr0
                                        ; implicit-def: $vgpr7
	s_branch .LBB207_1141
.LBB207_1136:
	v_mov_b32_e32 v0, 0
	v_mov_b32_e32 v7, 0
	s_branch .LBB207_1140
.LBB207_1137:
	v_mov_b32_e32 v0, 0
	v_mov_b32_e32 v7, 0
	;; [unrolled: 1-line block ×3, first 2 shown]
	s_and_b32 s8, s31, 3
	s_cmp_eq_u32 s8, 0
	s_cbranch_scc1 .LBB207_1140
.LBB207_1138:
	s_lshl_b32 s0, s30, 3
	s_add_u32 s0, s34, s0
	s_addc_u32 s1, s35, 0
	s_add_u32 s0, s0, 0xc4
	s_addc_u32 s1, s1, 0
	s_mul_i32 s2, s30, 12
	s_add_u32 s2, s34, s2
	s_addc_u32 s3, s35, 0
.LBB207_1139:                           ; =>This Inner Loop Header: Depth=1
	s_load_dwordx2 s[10:11], s[2:3], 0x4
	s_load_dword s9, s[2:3], 0xc
	s_load_dwordx2 s[12:13], s[0:1], 0x0
	s_add_u32 s2, s2, 12
	s_addc_u32 s3, s3, 0
	s_waitcnt vmcnt(0) lgkmcnt(0)
	v_mul_hi_u32 v3, s11, v1
	s_add_u32 s0, s0, 8
	s_addc_u32 s1, s1, 0
	s_add_i32 s8, s8, -1
	v_add_u32_e32 v3, v1, v3
	v_lshrrev_b32_e32 v3, s9, v3
	v_mul_lo_u32 v5, v3, s10
	s_cmp_lg_u32 s8, 0
	v_sub_u32_e32 v5, v1, v5
	v_mad_u64_u32 v[0:1], s[10:11], v5, s12, v[0:1]
	v_mad_u64_u32 v[7:8], s[10:11], v5, s13, v[7:8]
	v_mov_b32_e32 v1, v3
	s_cbranch_scc1 .LBB207_1139
.LBB207_1140:
	s_cbranch_execnz .LBB207_1143
.LBB207_1141:
	s_load_dwordx4 s[0:3], s[34:35], 0x4
	s_load_dwordx2 s[8:9], s[34:35], 0xc4
	s_cmp_lt_u32 s33, 2
	s_waitcnt lgkmcnt(0)
	v_mul_hi_u32 v0, s1, v15
	v_add_u32_e32 v0, v15, v0
	v_lshrrev_b32_e32 v1, s2, v0
	v_mul_lo_u32 v0, v1, s0
	s_waitcnt vmcnt(0)
	v_sub_u32_e32 v3, v15, v0
	v_mul_lo_u32 v0, v3, s8
	v_mul_lo_u32 v7, v3, s9
	s_cbranch_scc1 .LBB207_1143
; %bb.1142:
	s_load_dwordx4 s[0:3], s[34:35], 0x10
	s_load_dwordx2 s[8:9], s[34:35], 0xcc
	s_waitcnt lgkmcnt(0)
	v_mul_hi_u32 v3, s1, v1
	v_add_u32_e32 v3, v1, v3
	v_lshrrev_b32_e32 v3, s2, v3
	v_mul_lo_u32 v3, v3, s0
	v_sub_u32_e32 v3, v1, v3
	v_mad_u64_u32 v[0:1], s[0:1], v3, s8, v[0:1]
	v_mad_u64_u32 v[7:8], s[0:1], v3, s9, v[7:8]
.LBB207_1143:
	s_load_dwordx4 s[8:11], s[34:35], 0x148
	s_load_dword s16, s[4:5], 0x168
	s_waitcnt lgkmcnt(0)
	v_mov_b32_e32 v1, s11
	s_bfe_u32 s17, s16, 0x80008
	v_add_co_u32_e32 v12, vcc, s10, v13
	s_cmp_lt_i32 s17, 11
	v_addc_co_u32_e32 v13, vcc, 0, v1, vcc
	s_cbranch_scc1 .LBB207_1150
; %bb.1144:
	s_and_b32 s18, 0xffff, s17
	s_cmp_gt_i32 s18, 25
	s_mov_b64 s[2:3], 0
	s_cbranch_scc0 .LBB207_1152
; %bb.1145:
	s_cmp_gt_i32 s18, 28
	s_cbranch_scc0 .LBB207_1153
; %bb.1146:
	s_cmp_gt_i32 s18, 43
	s_cbranch_scc0 .LBB207_1154
; %bb.1147:
	s_cmp_gt_i32 s18, 45
	s_cbranch_scc0 .LBB207_1155
; %bb.1148:
	s_cmp_eq_u32 s18, 46
	s_mov_b64 s[12:13], 0
	s_cbranch_scc0 .LBB207_1158
; %bb.1149:
	global_load_dword v1, v[12:13], off
	s_mov_b64 s[0:1], 0
	s_mov_b64 s[4:5], -1
	s_branch .LBB207_1159
.LBB207_1150:
	s_mov_b64 s[4:5], 0
                                        ; implicit-def: $vgpr1
	s_mov_b64 s[12:13], s[6:7]
	s_cbranch_execnz .LBB207_1222
.LBB207_1151:
	s_andn2_b64 vcc, exec, s[4:5]
	s_cbranch_vccz .LBB207_1267
	s_branch .LBB207_2088
.LBB207_1152:
	s_mov_b64 s[4:5], 0
	s_mov_b64 s[0:1], 0
                                        ; implicit-def: $vgpr1
	s_cbranch_execnz .LBB207_1187
	s_branch .LBB207_1218
.LBB207_1153:
	s_mov_b64 s[12:13], -1
	s_mov_b64 s[4:5], 0
	s_mov_b64 s[0:1], 0
                                        ; implicit-def: $vgpr1
	s_branch .LBB207_1168
.LBB207_1154:
	s_mov_b64 s[4:5], 0
	s_mov_b64 s[0:1], 0
                                        ; implicit-def: $vgpr1
	s_cbranch_execnz .LBB207_1164
	s_branch .LBB207_1167
.LBB207_1155:
	s_mov_b64 s[12:13], -1
	s_mov_b64 s[4:5], 0
	s_mov_b64 s[0:1], 0
                                        ; implicit-def: $vgpr1
	s_branch .LBB207_1159
.LBB207_1156:
	s_andn2_saveexec_b64 s[14:15], s[14:15]
	s_cbranch_execz .LBB207_995
.LBB207_1157:
	v_add_f32_e32 v0, 0x46000000, v3
	v_and_b32_e32 v0, 0xff, v0
	v_cmp_ne_u32_e32 vcc, 0, v0
	s_andn2_b64 s[12:13], s[12:13], exec
	s_and_b64 s[16:17], vcc, exec
	s_or_b64 s[12:13], s[12:13], s[16:17]
	s_or_b64 exec, exec, s[14:15]
	v_mov_b32_e32 v4, 0
	s_and_saveexec_b64 s[14:15], s[12:13]
	s_cbranch_execnz .LBB207_996
	s_branch .LBB207_997
.LBB207_1158:
	s_mov_b64 s[0:1], -1
                                        ; implicit-def: $vgpr1
	s_mov_b64 s[4:5], 0
.LBB207_1159:
	s_and_b64 vcc, exec, s[12:13]
	s_cbranch_vccz .LBB207_1162
; %bb.1160:
	s_cmp_eq_u32 s18, 44
	s_cbranch_scc0 .LBB207_1163
; %bb.1161:
	global_load_ubyte v1, v[12:13], off
	s_movk_i32 s4, 0xff
	s_waitcnt vmcnt(1)
	v_mov_b32_e32 v3, 0x7f800001
	v_mov_b32_e32 v5, 0x400000
	;; [unrolled: 1-line block ×3, first 2 shown]
	s_mov_b64 s[0:1], 0
	s_waitcnt vmcnt(0)
	v_lshlrev_b32_e32 v10, 23, v1
	v_cmp_ne_u32_e32 vcc, s4, v1
	v_cndmask_b32_e32 v3, v3, v10, vcc
	v_cmp_ne_u32_e32 vcc, 0, v1
	v_cndmask_b32_e32 v1, v5, v3, vcc
	v_add_u32_e32 v3, 0x7fff, v1
	v_cmp_o_f32_e32 vcc, v1, v1
	v_cndmask_b32_sdwa v1, v8, v3, vcc dst_sel:DWORD dst_unused:UNUSED_PAD src0_sel:DWORD src1_sel:WORD_1
	s_mov_b64 s[4:5], -1
.LBB207_1162:
	s_branch .LBB207_1167
.LBB207_1163:
	s_mov_b64 s[0:1], -1
                                        ; implicit-def: $vgpr1
	s_branch .LBB207_1167
.LBB207_1164:
	s_cmp_eq_u32 s18, 29
	s_cbranch_scc0 .LBB207_1166
; %bb.1165:
	global_load_dwordx2 v[14:15], v[12:13], off
	s_movk_i32 s4, 0x7fff
	s_mov_b64 s[0:1], 0
	s_mov_b64 s[12:13], 0
	s_waitcnt vmcnt(0)
	v_ffbh_u32_e32 v1, v15
	v_min_u32_e32 v1, 32, v1
	v_lshlrev_b64 v[14:15], v1, v[14:15]
	v_sub_u32_e32 v1, 32, v1
	v_min_u32_e32 v3, 1, v14
	v_or_b32_e32 v3, v15, v3
	v_cvt_f32_u32_e32 v3, v3
	v_ldexp_f32 v1, v3, v1
	v_bfe_u32 v3, v1, 16, 1
	v_add3_u32 v1, v1, v3, s4
	v_lshrrev_b32_e32 v1, 16, v1
	s_mov_b64 s[4:5], -1
	s_branch .LBB207_1168
.LBB207_1166:
	s_mov_b64 s[0:1], -1
                                        ; implicit-def: $vgpr1
.LBB207_1167:
	s_mov_b64 s[12:13], 0
.LBB207_1168:
	s_and_b64 vcc, exec, s[12:13]
	s_cbranch_vccz .LBB207_1186
; %bb.1169:
	s_cmp_lt_i32 s18, 27
	s_cbranch_scc1 .LBB207_1172
; %bb.1170:
	s_cmp_gt_i32 s18, 27
	s_cbranch_scc0 .LBB207_1173
; %bb.1171:
	global_load_dword v1, v[12:13], off
	s_movk_i32 s4, 0x7fff
	s_waitcnt vmcnt(0)
	v_cvt_f32_u32_e32 v1, v1
	v_bfe_u32 v3, v1, 16, 1
	v_add3_u32 v1, v1, v3, s4
	v_lshrrev_b32_e32 v1, 16, v1
	s_mov_b64 s[4:5], 0
	s_branch .LBB207_1174
.LBB207_1172:
	s_mov_b64 s[4:5], -1
                                        ; implicit-def: $vgpr1
	s_branch .LBB207_1177
.LBB207_1173:
	s_mov_b64 s[4:5], -1
                                        ; implicit-def: $vgpr1
.LBB207_1174:
	s_andn2_b64 vcc, exec, s[4:5]
	s_cbranch_vccnz .LBB207_1176
; %bb.1175:
	global_load_ushort v1, v[12:13], off
	s_movk_i32 s4, 0x7fff
	s_waitcnt vmcnt(0)
	v_cvt_f32_u32_e32 v1, v1
	v_bfe_u32 v3, v1, 16, 1
	v_add3_u32 v1, v1, v3, s4
	v_lshrrev_b32_e32 v1, 16, v1
.LBB207_1176:
	s_mov_b64 s[4:5], 0
.LBB207_1177:
	s_andn2_b64 vcc, exec, s[4:5]
	s_cbranch_vccnz .LBB207_1185
; %bb.1178:
	global_load_ubyte v1, v[12:13], off
	s_movk_i32 s4, 0x7f
	s_waitcnt vmcnt(0)
	v_cmp_lt_i16_e32 vcc, s4, v1
	s_mov_b64 s[4:5], 0
	s_and_saveexec_b64 s[12:13], vcc
	s_xor_b64 s[12:13], exec, s[12:13]
	s_cbranch_execz .LBB207_1198
; %bb.1179:
	s_movk_i32 s4, 0x80
	v_cmp_eq_u16_e32 vcc, s4, v1
	s_mov_b64 s[4:5], -1
	s_and_saveexec_b64 s[14:15], vcc
; %bb.1180:
	s_xor_b64 s[4:5], exec, -1
; %bb.1181:
	s_or_b64 exec, exec, s[14:15]
	s_and_b64 s[4:5], s[4:5], exec
	s_or_saveexec_b64 s[12:13], s[12:13]
	v_mov_b32_e32 v3, 0x7f800001
	s_xor_b64 exec, exec, s[12:13]
	s_cbranch_execnz .LBB207_1199
.LBB207_1182:
	s_or_b64 exec, exec, s[12:13]
	s_and_saveexec_b64 s[12:13], s[4:5]
	s_cbranch_execz .LBB207_1184
.LBB207_1183:
	v_lshlrev_b32_e32 v3, 24, v1
	v_and_b32_e32 v1, 0xffff, v1
	v_and_b32_e32 v5, 7, v1
	v_ffbh_u32_e32 v10, v5
	v_min_u32_e32 v10, 32, v10
	v_subrev_u32_e32 v14, 28, v10
	v_bfe_u32 v8, v1, 3, 4
	v_lshlrev_b32_e32 v1, v14, v1
	v_sub_u32_e32 v10, 29, v10
	v_and_b32_e32 v1, 7, v1
	v_cmp_eq_u32_e32 vcc, 0, v8
	v_cndmask_b32_e32 v8, v8, v10, vcc
	v_cndmask_b32_e32 v1, v5, v1, vcc
	v_mov_b32_e32 v5, 0x3b800000
	v_lshlrev_b32_e32 v1, 20, v1
	v_and_b32_e32 v3, 0x80000000, v3
	v_lshl_add_u32 v5, v8, 23, v5
	v_or3_b32 v3, v3, v5, v1
.LBB207_1184:
	s_or_b64 exec, exec, s[12:13]
	v_bfe_u32 v1, v3, 16, 1
	s_movk_i32 s4, 0x7fff
	v_add3_u32 v1, v3, v1, s4
	v_cmp_o_f32_e32 vcc, v3, v3
	v_mov_b32_e32 v3, 0x7fc0
	v_cndmask_b32_sdwa v1, v3, v1, vcc dst_sel:DWORD dst_unused:UNUSED_PAD src0_sel:DWORD src1_sel:WORD_1
.LBB207_1185:
	s_mov_b64 s[4:5], -1
.LBB207_1186:
	s_branch .LBB207_1218
.LBB207_1187:
	s_cmp_gt_i32 s18, 22
	s_cbranch_scc0 .LBB207_1197
; %bb.1188:
	s_cmp_lt_i32 s18, 24
	s_cbranch_scc1 .LBB207_1200
; %bb.1189:
	s_cmp_gt_i32 s18, 24
	s_cbranch_scc0 .LBB207_1201
; %bb.1190:
	global_load_ubyte v1, v[12:13], off
	s_movk_i32 s2, 0x7f
	s_waitcnt vmcnt(0)
	v_cmp_lt_i16_e32 vcc, s2, v1
	s_mov_b64 s[2:3], 0
	s_and_saveexec_b64 s[4:5], vcc
	s_xor_b64 s[4:5], exec, s[4:5]
	s_cbranch_execz .LBB207_1212
; %bb.1191:
	s_movk_i32 s2, 0x80
	v_cmp_eq_u16_e32 vcc, s2, v1
	s_mov_b64 s[2:3], -1
	s_and_saveexec_b64 s[12:13], vcc
; %bb.1192:
	s_xor_b64 s[2:3], exec, -1
; %bb.1193:
	s_or_b64 exec, exec, s[12:13]
	s_and_b64 s[2:3], s[2:3], exec
	s_or_saveexec_b64 s[4:5], s[4:5]
	v_mov_b32_e32 v3, 0x7f800001
	s_xor_b64 exec, exec, s[4:5]
	s_cbranch_execnz .LBB207_1213
.LBB207_1194:
	s_or_b64 exec, exec, s[4:5]
	s_and_saveexec_b64 s[4:5], s[2:3]
	s_cbranch_execz .LBB207_1196
.LBB207_1195:
	v_lshlrev_b32_e32 v3, 24, v1
	v_and_b32_e32 v1, 0xffff, v1
	v_and_b32_e32 v5, 3, v1
	v_ffbh_u32_e32 v10, v5
	v_min_u32_e32 v10, 32, v10
	v_subrev_u32_e32 v14, 29, v10
	v_bfe_u32 v8, v1, 2, 5
	v_lshlrev_b32_e32 v1, v14, v1
	v_sub_u32_e32 v10, 30, v10
	v_and_b32_e32 v1, 3, v1
	v_cmp_eq_u32_e32 vcc, 0, v8
	v_cndmask_b32_e32 v8, v8, v10, vcc
	v_cndmask_b32_e32 v1, v5, v1, vcc
	v_mov_b32_e32 v5, 0x37800000
	v_lshlrev_b32_e32 v1, 21, v1
	v_and_b32_e32 v3, 0x80000000, v3
	v_lshl_add_u32 v5, v8, 23, v5
	v_or3_b32 v3, v3, v5, v1
.LBB207_1196:
	s_or_b64 exec, exec, s[4:5]
	v_bfe_u32 v1, v3, 16, 1
	s_movk_i32 s2, 0x7fff
	v_add3_u32 v1, v3, v1, s2
	v_cmp_o_f32_e32 vcc, v3, v3
	v_mov_b32_e32 v3, 0x7fc0
	v_cndmask_b32_sdwa v1, v3, v1, vcc dst_sel:DWORD dst_unused:UNUSED_PAD src0_sel:DWORD src1_sel:WORD_1
	s_mov_b64 s[2:3], 0
	s_branch .LBB207_1202
.LBB207_1197:
                                        ; implicit-def: $vgpr1
	s_mov_b64 s[2:3], 0
	s_branch .LBB207_1208
.LBB207_1198:
	s_or_saveexec_b64 s[12:13], s[12:13]
	v_mov_b32_e32 v3, 0x7f800001
	s_xor_b64 exec, exec, s[12:13]
	s_cbranch_execz .LBB207_1182
.LBB207_1199:
	v_cmp_ne_u16_e32 vcc, 0, v1
	s_andn2_b64 s[4:5], s[4:5], exec
	s_and_b64 s[14:15], vcc, exec
	v_mov_b32_e32 v3, 0
	s_or_b64 s[4:5], s[4:5], s[14:15]
	s_or_b64 exec, exec, s[12:13]
	s_and_saveexec_b64 s[12:13], s[4:5]
	s_cbranch_execnz .LBB207_1183
	s_branch .LBB207_1184
.LBB207_1200:
	s_mov_b64 s[2:3], -1
                                        ; implicit-def: $vgpr1
	s_branch .LBB207_1205
.LBB207_1201:
	s_mov_b64 s[2:3], -1
                                        ; implicit-def: $vgpr1
.LBB207_1202:
	s_and_b64 vcc, exec, s[2:3]
	s_cbranch_vccz .LBB207_1204
; %bb.1203:
	global_load_ubyte v1, v[12:13], off
	s_mov_b32 s2, 0x7f800000
	s_brev_b32 s3, 1
	s_movk_i32 s4, 0x7fff
	s_waitcnt vmcnt(0)
	v_lshlrev_b32_e32 v1, 24, v1
	v_and_b32_e32 v3, 0x7f000000, v1
	v_ffbh_u32_e32 v5, v3
	v_min_u32_e32 v5, 32, v5
	v_sub_u32_e64 v5, v5, 4 clamp
	v_lshlrev_b32_e32 v10, v5, v3
	v_lshlrev_b32_e32 v5, 23, v5
	v_lshrrev_b32_e32 v10, 4, v10
	v_add_u32_e32 v8, 0x1000000, v3
	v_sub_u32_e32 v5, v10, v5
	v_ashrrev_i32_e32 v8, 8, v8
	v_add_u32_e32 v5, 0x3c000000, v5
	v_and_or_b32 v5, v8, s2, v5
	v_cmp_ne_u32_e32 vcc, 0, v3
	v_cndmask_b32_e32 v3, 0, v5, vcc
	v_and_or_b32 v1, v1, s3, v3
	v_bfe_u32 v3, v3, 16, 1
	v_add3_u32 v3, v1, v3, s4
	v_cmp_o_f32_e32 vcc, v1, v1
	v_mov_b32_e32 v1, 0x7fc0
	v_cndmask_b32_sdwa v1, v1, v3, vcc dst_sel:DWORD dst_unused:UNUSED_PAD src0_sel:DWORD src1_sel:WORD_1
.LBB207_1204:
	s_mov_b64 s[2:3], 0
.LBB207_1205:
	s_andn2_b64 vcc, exec, s[2:3]
	s_cbranch_vccnz .LBB207_1207
; %bb.1206:
	global_load_ubyte v1, v[12:13], off
	s_movk_i32 s2, 0x7f00
	s_brev_b32 s3, 16
	s_brev_b32 s4, 1
	s_movk_i32 s5, 0x7fff
	s_waitcnt vmcnt(0)
	v_lshlrev_b16_e32 v3, 8, v1
	v_lshlrev_b32_e32 v1, 25, v1
	v_lshrrev_b32_e32 v5, 4, v1
	v_and_or_b32 v8, v3, s2, 0.5
	v_or_b32_e32 v5, 0x70000000, v5
	v_add_f32_e32 v8, -0.5, v8
	v_mul_f32_e32 v5, 0x7800000, v5
	v_cmp_gt_u32_e32 vcc, s3, v1
	v_bfe_i32 v3, v3, 0, 16
	v_cndmask_b32_e32 v1, v5, v8, vcc
	v_and_or_b32 v3, v3, s4, v1
	v_bfe_u32 v1, v1, 16, 1
	v_add3_u32 v1, v3, v1, s5
	v_cmp_o_f32_e32 vcc, v3, v3
	v_mov_b32_e32 v3, 0x7fc0
	v_cndmask_b32_sdwa v1, v3, v1, vcc dst_sel:DWORD dst_unused:UNUSED_PAD src0_sel:DWORD src1_sel:WORD_1
.LBB207_1207:
	s_mov_b64 s[4:5], -1
	s_mov_b64 s[2:3], 0
	s_cbranch_execnz .LBB207_1218
.LBB207_1208:
	s_cmp_gt_i32 s18, 14
	s_cbranch_scc0 .LBB207_1211
; %bb.1209:
	s_cmp_eq_u32 s18, 15
	s_cbranch_scc0 .LBB207_1214
; %bb.1210:
	global_load_ushort v1, v[12:13], off
	s_mov_b64 s[0:1], 0
	s_mov_b64 s[4:5], -1
	s_branch .LBB207_1215
.LBB207_1211:
	s_mov_b64 s[12:13], -1
                                        ; implicit-def: $vgpr1
	s_branch .LBB207_1216
.LBB207_1212:
	s_or_saveexec_b64 s[4:5], s[4:5]
	v_mov_b32_e32 v3, 0x7f800001
	s_xor_b64 exec, exec, s[4:5]
	s_cbranch_execz .LBB207_1194
.LBB207_1213:
	v_cmp_ne_u16_e32 vcc, 0, v1
	s_andn2_b64 s[2:3], s[2:3], exec
	s_and_b64 s[12:13], vcc, exec
	v_mov_b32_e32 v3, 0
	s_or_b64 s[2:3], s[2:3], s[12:13]
	s_or_b64 exec, exec, s[4:5]
	s_and_saveexec_b64 s[4:5], s[2:3]
	s_cbranch_execnz .LBB207_1195
	s_branch .LBB207_1196
.LBB207_1214:
	s_mov_b64 s[0:1], -1
                                        ; implicit-def: $vgpr1
.LBB207_1215:
	s_mov_b64 s[12:13], 0
.LBB207_1216:
	s_and_b64 vcc, exec, s[12:13]
	s_cbranch_vccz .LBB207_1218
; %bb.1217:
	s_cmp_lg_u32 s18, 11
	s_mov_b64 s[2:3], -1
	s_cselect_b64 s[0:1], -1, 0
.LBB207_1218:
	s_and_b64 vcc, exec, s[0:1]
	s_mov_b64 s[12:13], s[6:7]
	s_cbranch_vccnz .LBB207_1279
; %bb.1219:
	s_andn2_b64 vcc, exec, s[2:3]
	s_cbranch_vccnz .LBB207_1221
.LBB207_1220:
	global_load_ubyte v1, v[12:13], off
	s_mov_b64 s[4:5], -1
	s_waitcnt vmcnt(0)
	v_cmp_ne_u16_e32 vcc, 0, v1
	v_cndmask_b32_e64 v1, 0, 1.0, vcc
	v_lshrrev_b32_e32 v1, 16, v1
.LBB207_1221:
	s_branch .LBB207_1151
.LBB207_1222:
	s_and_b32 s2, 0xffff, s17
	s_cmp_lt_i32 s2, 5
	s_cbranch_scc1 .LBB207_1227
; %bb.1223:
	s_cmp_lt_i32 s2, 8
	s_cbranch_scc1 .LBB207_1228
; %bb.1224:
	;; [unrolled: 3-line block ×3, first 2 shown]
	s_cmp_gt_i32 s2, 9
	s_cbranch_scc0 .LBB207_1230
; %bb.1226:
	global_load_dwordx2 v[14:15], v[12:13], off
	s_movk_i32 s0, 0x7fff
	s_waitcnt vmcnt(1)
	v_mov_b32_e32 v3, 0x7fc0
	s_waitcnt vmcnt(0)
	v_cvt_f32_f64_e32 v1, v[14:15]
	v_bfe_u32 v5, v1, 16, 1
	v_cmp_o_f32_e32 vcc, v1, v1
	v_add3_u32 v1, v1, v5, s0
	v_cndmask_b32_sdwa v1, v3, v1, vcc dst_sel:DWORD dst_unused:UNUSED_PAD src0_sel:DWORD src1_sel:WORD_1
	s_mov_b64 s[0:1], 0
	s_branch .LBB207_1231
.LBB207_1227:
                                        ; implicit-def: $vgpr1
	s_branch .LBB207_1248
.LBB207_1228:
                                        ; implicit-def: $vgpr1
	s_branch .LBB207_1237
.LBB207_1229:
	s_mov_b64 s[0:1], -1
                                        ; implicit-def: $vgpr1
	s_branch .LBB207_1234
.LBB207_1230:
	s_mov_b64 s[0:1], -1
                                        ; implicit-def: $vgpr1
.LBB207_1231:
	s_andn2_b64 vcc, exec, s[0:1]
	s_cbranch_vccnz .LBB207_1233
; %bb.1232:
	global_load_dword v1, v[12:13], off
	s_movk_i32 s0, 0x7fff
	s_waitcnt vmcnt(1)
	v_mov_b32_e32 v3, 0x7fc0
	s_waitcnt vmcnt(0)
	v_bfe_u32 v5, v1, 16, 1
	v_cmp_o_f32_e32 vcc, v1, v1
	v_add3_u32 v1, v1, v5, s0
	v_cndmask_b32_sdwa v1, v3, v1, vcc dst_sel:DWORD dst_unused:UNUSED_PAD src0_sel:DWORD src1_sel:WORD_1
.LBB207_1233:
	s_mov_b64 s[0:1], 0
.LBB207_1234:
	s_andn2_b64 vcc, exec, s[0:1]
	s_cbranch_vccnz .LBB207_1236
; %bb.1235:
	global_load_dword v1, v[12:13], off
	s_movk_i32 s0, 0x7fff
	v_mov_b32_e32 v5, 0x7fc0
	s_waitcnt vmcnt(0)
	v_cvt_f32_f16_e32 v3, v1
	v_cmp_o_f16_e32 vcc, v1, v1
	v_bfe_u32 v1, v3, 16, 1
	v_add3_u32 v1, v3, v1, s0
	v_cndmask_b32_sdwa v1, v5, v1, vcc dst_sel:DWORD dst_unused:UNUSED_PAD src0_sel:DWORD src1_sel:WORD_1
.LBB207_1236:
	s_cbranch_execnz .LBB207_1247
.LBB207_1237:
	s_cmp_lt_i32 s2, 6
	s_cbranch_scc1 .LBB207_1240
; %bb.1238:
	s_cmp_gt_i32 s2, 6
	s_cbranch_scc0 .LBB207_1241
; %bb.1239:
	global_load_dwordx2 v[14:15], v[12:13], off
	s_movk_i32 s0, 0x7fff
	s_waitcnt vmcnt(1)
	v_mov_b32_e32 v3, 0x7fc0
	s_waitcnt vmcnt(0)
	v_cvt_f32_f64_e32 v1, v[14:15]
	v_bfe_u32 v5, v1, 16, 1
	v_cmp_o_f32_e32 vcc, v1, v1
	v_add3_u32 v1, v1, v5, s0
	v_cndmask_b32_sdwa v1, v3, v1, vcc dst_sel:DWORD dst_unused:UNUSED_PAD src0_sel:DWORD src1_sel:WORD_1
	s_mov_b64 s[0:1], 0
	s_branch .LBB207_1242
.LBB207_1240:
	s_mov_b64 s[0:1], -1
                                        ; implicit-def: $vgpr1
	s_branch .LBB207_1245
.LBB207_1241:
	s_mov_b64 s[0:1], -1
                                        ; implicit-def: $vgpr1
.LBB207_1242:
	s_andn2_b64 vcc, exec, s[0:1]
	s_cbranch_vccnz .LBB207_1244
; %bb.1243:
	global_load_dword v1, v[12:13], off
	s_movk_i32 s0, 0x7fff
	s_waitcnt vmcnt(1)
	v_mov_b32_e32 v3, 0x7fc0
	s_waitcnt vmcnt(0)
	v_bfe_u32 v5, v1, 16, 1
	v_cmp_o_f32_e32 vcc, v1, v1
	v_add3_u32 v1, v1, v5, s0
	v_cndmask_b32_sdwa v1, v3, v1, vcc dst_sel:DWORD dst_unused:UNUSED_PAD src0_sel:DWORD src1_sel:WORD_1
.LBB207_1244:
	s_mov_b64 s[0:1], 0
.LBB207_1245:
	s_andn2_b64 vcc, exec, s[0:1]
	s_cbranch_vccnz .LBB207_1247
; %bb.1246:
	global_load_ushort v1, v[12:13], off
	s_movk_i32 s0, 0x7fff
	v_mov_b32_e32 v5, 0x7fc0
	s_waitcnt vmcnt(0)
	v_cvt_f32_f16_e32 v3, v1
	v_cmp_o_f16_e32 vcc, v1, v1
	v_bfe_u32 v1, v3, 16, 1
	v_add3_u32 v1, v3, v1, s0
	v_cndmask_b32_sdwa v1, v5, v1, vcc dst_sel:DWORD dst_unused:UNUSED_PAD src0_sel:DWORD src1_sel:WORD_1
.LBB207_1247:
	s_cbranch_execnz .LBB207_1266
.LBB207_1248:
	s_cmp_lt_i32 s2, 2
	s_cbranch_scc1 .LBB207_1252
; %bb.1249:
	s_cmp_lt_i32 s2, 3
	s_cbranch_scc1 .LBB207_1253
; %bb.1250:
	s_cmp_gt_i32 s2, 3
	s_cbranch_scc0 .LBB207_1254
; %bb.1251:
	global_load_dwordx2 v[14:15], v[12:13], off
	s_movk_i32 s0, 0x7fff
	s_waitcnt vmcnt(0)
	v_xor_b32_e32 v3, v14, v15
	v_ffbh_i32_e32 v1, v15
	v_ashrrev_i32_e32 v3, 31, v3
	v_add_u32_e32 v1, -1, v1
	v_add_u32_e32 v3, 32, v3
	v_min_u32_e32 v1, v1, v3
	v_lshlrev_b64 v[14:15], v1, v[14:15]
	v_sub_u32_e32 v1, 32, v1
	v_min_u32_e32 v3, 1, v14
	v_or_b32_e32 v3, v15, v3
	v_cvt_f32_i32_e32 v3, v3
	v_ldexp_f32 v1, v3, v1
	v_bfe_u32 v3, v1, 16, 1
	v_add3_u32 v1, v1, v3, s0
	v_lshrrev_b32_e32 v1, 16, v1
	s_mov_b64 s[0:1], 0
	s_branch .LBB207_1255
.LBB207_1252:
                                        ; implicit-def: $vgpr1
	s_branch .LBB207_1261
.LBB207_1253:
	s_mov_b64 s[0:1], -1
                                        ; implicit-def: $vgpr1
	s_branch .LBB207_1258
.LBB207_1254:
	s_mov_b64 s[0:1], -1
                                        ; implicit-def: $vgpr1
.LBB207_1255:
	s_andn2_b64 vcc, exec, s[0:1]
	s_cbranch_vccnz .LBB207_1257
; %bb.1256:
	global_load_dword v1, v[12:13], off
	s_movk_i32 s0, 0x7fff
	s_waitcnt vmcnt(0)
	v_cvt_f32_i32_e32 v1, v1
	v_bfe_u32 v3, v1, 16, 1
	v_add3_u32 v1, v1, v3, s0
	v_lshrrev_b32_e32 v1, 16, v1
.LBB207_1257:
	s_mov_b64 s[0:1], 0
.LBB207_1258:
	s_andn2_b64 vcc, exec, s[0:1]
	s_cbranch_vccnz .LBB207_1260
; %bb.1259:
	global_load_sshort v1, v[12:13], off
	s_movk_i32 s0, 0x7fff
	s_waitcnt vmcnt(0)
	v_cvt_f32_i32_e32 v1, v1
	v_bfe_u32 v3, v1, 16, 1
	v_add3_u32 v1, v1, v3, s0
	v_lshrrev_b32_e32 v1, 16, v1
.LBB207_1260:
	s_cbranch_execnz .LBB207_1266
.LBB207_1261:
	s_cmp_gt_i32 s2, 0
	s_cbranch_scc0 .LBB207_1263
; %bb.1262:
	global_load_sbyte v1, v[12:13], off
	s_movk_i32 s0, 0x7fff
	s_waitcnt vmcnt(0)
	v_cvt_f32_i32_e32 v1, v1
	v_bfe_u32 v3, v1, 16, 1
	v_add3_u32 v1, v1, v3, s0
	v_lshrrev_b32_e32 v1, 16, v1
	s_mov_b64 s[0:1], 0
	s_branch .LBB207_1264
.LBB207_1263:
	s_mov_b64 s[0:1], -1
                                        ; implicit-def: $vgpr1
.LBB207_1264:
	s_andn2_b64 vcc, exec, s[0:1]
	s_cbranch_vccnz .LBB207_1266
; %bb.1265:
	global_load_ubyte v1, v[12:13], off
	s_movk_i32 s0, 0x7fff
	s_waitcnt vmcnt(0)
	v_cvt_f32_ubyte0_e32 v1, v1
	v_bfe_u32 v3, v1, 16, 1
	v_add3_u32 v1, v1, v3, s0
	v_lshrrev_b32_e32 v1, 16, v1
.LBB207_1266:
.LBB207_1267:
	s_lshr_b32 s0, s16, 8
	s_waitcnt vmcnt(0)
	v_mov_b32_e32 v3, s11
	s_and_b32 s18, s0, 0xff
	v_add_co_u32_e32 v10, vcc, s10, v11
	s_cmp_lt_i32 s18, 11
	v_addc_co_u32_e32 v11, vcc, 0, v3, vcc
	s_cbranch_scc1 .LBB207_1274
; %bb.1268:
	s_and_b32 s19, 0xffff, s18
	s_cmp_gt_i32 s19, 25
	s_mov_b64 s[2:3], 0
	s_cbranch_scc0 .LBB207_1276
; %bb.1269:
	s_cmp_gt_i32 s19, 28
	s_cbranch_scc0 .LBB207_1277
; %bb.1270:
	s_cmp_gt_i32 s19, 43
	;; [unrolled: 3-line block ×3, first 2 shown]
	s_cbranch_scc0 .LBB207_1280
; %bb.1272:
	s_cmp_eq_u32 s19, 46
	s_mov_b64 s[14:15], 0
	s_cbranch_scc0 .LBB207_1283
; %bb.1273:
	global_load_dword v3, v[10:11], off
	s_mov_b64 s[0:1], 0
	s_mov_b64 s[4:5], -1
	s_branch .LBB207_1284
.LBB207_1274:
	s_mov_b64 s[4:5], 0
                                        ; implicit-def: $vgpr3
	s_cbranch_execnz .LBB207_1349
.LBB207_1275:
	s_andn2_b64 vcc, exec, s[4:5]
	s_cbranch_vccnz .LBB207_2088
	s_branch .LBB207_1396
.LBB207_1276:
	s_mov_b64 s[4:5], 0
	s_mov_b64 s[0:1], 0
                                        ; implicit-def: $vgpr3
	s_cbranch_execnz .LBB207_1313
	s_branch .LBB207_1345
.LBB207_1277:
	s_mov_b64 s[14:15], -1
	s_mov_b64 s[4:5], 0
	s_mov_b64 s[0:1], 0
                                        ; implicit-def: $vgpr3
	s_branch .LBB207_1294
.LBB207_1278:
	s_mov_b64 s[14:15], -1
	s_mov_b64 s[4:5], 0
	s_mov_b64 s[0:1], 0
                                        ; implicit-def: $vgpr3
	s_branch .LBB207_1289
.LBB207_1279:
	s_or_b64 s[12:13], s[6:7], exec
	s_trap 2
	s_cbranch_execz .LBB207_1220
	s_branch .LBB207_1221
.LBB207_1280:
	s_mov_b64 s[14:15], -1
	s_mov_b64 s[4:5], 0
	s_mov_b64 s[0:1], 0
                                        ; implicit-def: $vgpr3
	s_branch .LBB207_1284
.LBB207_1281:
	s_andn2_saveexec_b64 s[16:17], s[16:17]
	s_cbranch_execz .LBB207_1007
.LBB207_1282:
	v_add_f32_e32 v0, 0x42800000, v3
	v_and_b32_e32 v0, 0xff, v0
	v_cmp_ne_u32_e32 vcc, 0, v0
	s_andn2_b64 s[14:15], s[14:15], exec
	s_and_b64 s[20:21], vcc, exec
	s_or_b64 s[14:15], s[14:15], s[20:21]
	s_or_b64 exec, exec, s[16:17]
	v_mov_b32_e32 v4, 0
	s_and_saveexec_b64 s[16:17], s[14:15]
	s_cbranch_execnz .LBB207_1008
	s_branch .LBB207_1009
.LBB207_1283:
	s_mov_b64 s[0:1], -1
                                        ; implicit-def: $vgpr3
	s_mov_b64 s[4:5], 0
.LBB207_1284:
	s_and_b64 vcc, exec, s[14:15]
	s_cbranch_vccz .LBB207_1288
; %bb.1285:
	s_cmp_eq_u32 s19, 44
	s_cbranch_scc0 .LBB207_1287
; %bb.1286:
	global_load_ubyte v3, v[10:11], off
	s_movk_i32 s4, 0xff
	v_mov_b32_e32 v5, 0x7f800001
	v_mov_b32_e32 v8, 0x400000
	;; [unrolled: 1-line block ×3, first 2 shown]
	s_mov_b64 s[0:1], 0
	s_waitcnt vmcnt(0)
	v_lshlrev_b32_e32 v13, 23, v3
	v_cmp_ne_u32_e32 vcc, s4, v3
	v_cndmask_b32_e32 v5, v5, v13, vcc
	v_cmp_ne_u32_e32 vcc, 0, v3
	v_cndmask_b32_e32 v3, v8, v5, vcc
	v_add_u32_e32 v5, 0x7fff, v3
	v_cmp_o_f32_e32 vcc, v3, v3
	v_cndmask_b32_sdwa v3, v12, v5, vcc dst_sel:DWORD dst_unused:UNUSED_PAD src0_sel:DWORD src1_sel:WORD_1
	s_mov_b64 s[4:5], -1
	s_branch .LBB207_1288
.LBB207_1287:
	s_mov_b64 s[0:1], -1
                                        ; implicit-def: $vgpr3
.LBB207_1288:
	s_mov_b64 s[14:15], 0
.LBB207_1289:
	s_and_b64 vcc, exec, s[14:15]
	s_cbranch_vccz .LBB207_1293
; %bb.1290:
	s_cmp_eq_u32 s19, 29
	s_cbranch_scc0 .LBB207_1292
; %bb.1291:
	global_load_dwordx2 v[12:13], v[10:11], off
	s_movk_i32 s4, 0x7fff
	s_mov_b64 s[0:1], 0
	s_mov_b64 s[14:15], 0
	s_waitcnt vmcnt(0)
	v_ffbh_u32_e32 v3, v13
	v_min_u32_e32 v3, 32, v3
	v_lshlrev_b64 v[12:13], v3, v[12:13]
	v_sub_u32_e32 v3, 32, v3
	v_min_u32_e32 v5, 1, v12
	v_or_b32_e32 v5, v13, v5
	v_cvt_f32_u32_e32 v5, v5
	v_ldexp_f32 v3, v5, v3
	v_bfe_u32 v5, v3, 16, 1
	v_add3_u32 v3, v3, v5, s4
	v_lshrrev_b32_e32 v3, 16, v3
	s_mov_b64 s[4:5], -1
	s_branch .LBB207_1294
.LBB207_1292:
	s_mov_b64 s[0:1], -1
                                        ; implicit-def: $vgpr3
.LBB207_1293:
	s_mov_b64 s[14:15], 0
.LBB207_1294:
	s_and_b64 vcc, exec, s[14:15]
	s_cbranch_vccz .LBB207_1312
; %bb.1295:
	s_cmp_lt_i32 s19, 27
	s_cbranch_scc1 .LBB207_1298
; %bb.1296:
	s_cmp_gt_i32 s19, 27
	s_cbranch_scc0 .LBB207_1299
; %bb.1297:
	global_load_dword v3, v[10:11], off
	s_movk_i32 s4, 0x7fff
	s_waitcnt vmcnt(0)
	v_cvt_f32_u32_e32 v3, v3
	v_bfe_u32 v5, v3, 16, 1
	v_add3_u32 v3, v3, v5, s4
	v_lshrrev_b32_e32 v3, 16, v3
	s_mov_b64 s[4:5], 0
	s_branch .LBB207_1300
.LBB207_1298:
	s_mov_b64 s[4:5], -1
                                        ; implicit-def: $vgpr3
	s_branch .LBB207_1303
.LBB207_1299:
	s_mov_b64 s[4:5], -1
                                        ; implicit-def: $vgpr3
.LBB207_1300:
	s_andn2_b64 vcc, exec, s[4:5]
	s_cbranch_vccnz .LBB207_1302
; %bb.1301:
	global_load_ushort v3, v[10:11], off
	s_movk_i32 s4, 0x7fff
	s_waitcnt vmcnt(0)
	v_cvt_f32_u32_e32 v3, v3
	v_bfe_u32 v5, v3, 16, 1
	v_add3_u32 v3, v3, v5, s4
	v_lshrrev_b32_e32 v3, 16, v3
.LBB207_1302:
	s_mov_b64 s[4:5], 0
.LBB207_1303:
	s_andn2_b64 vcc, exec, s[4:5]
	s_cbranch_vccnz .LBB207_1311
; %bb.1304:
	global_load_ubyte v3, v[10:11], off
	s_movk_i32 s4, 0x7f
	s_waitcnt vmcnt(0)
	v_cmp_lt_i16_e32 vcc, s4, v3
	s_mov_b64 s[4:5], 0
	s_and_saveexec_b64 s[14:15], vcc
	s_xor_b64 s[14:15], exec, s[14:15]
	s_cbranch_execz .LBB207_1324
; %bb.1305:
	s_movk_i32 s4, 0x80
	v_cmp_eq_u16_e32 vcc, s4, v3
	s_mov_b64 s[4:5], -1
	s_and_saveexec_b64 s[16:17], vcc
; %bb.1306:
	s_xor_b64 s[4:5], exec, -1
; %bb.1307:
	s_or_b64 exec, exec, s[16:17]
	s_and_b64 s[4:5], s[4:5], exec
	s_or_saveexec_b64 s[14:15], s[14:15]
	v_mov_b32_e32 v5, 0x7f800001
	s_xor_b64 exec, exec, s[14:15]
	s_cbranch_execnz .LBB207_1325
.LBB207_1308:
	s_or_b64 exec, exec, s[14:15]
	s_and_saveexec_b64 s[14:15], s[4:5]
	s_cbranch_execz .LBB207_1310
.LBB207_1309:
	v_lshlrev_b32_e32 v5, 24, v3
	v_and_b32_e32 v3, 0xffff, v3
	v_and_b32_e32 v8, 7, v3
	v_ffbh_u32_e32 v13, v8
	v_min_u32_e32 v13, 32, v13
	v_subrev_u32_e32 v14, 28, v13
	v_bfe_u32 v12, v3, 3, 4
	v_lshlrev_b32_e32 v3, v14, v3
	v_sub_u32_e32 v13, 29, v13
	v_and_b32_e32 v3, 7, v3
	v_cmp_eq_u32_e32 vcc, 0, v12
	v_cndmask_b32_e32 v12, v12, v13, vcc
	v_cndmask_b32_e32 v3, v8, v3, vcc
	v_mov_b32_e32 v8, 0x3b800000
	v_lshlrev_b32_e32 v3, 20, v3
	v_and_b32_e32 v5, 0x80000000, v5
	v_lshl_add_u32 v8, v12, 23, v8
	v_or3_b32 v5, v5, v8, v3
.LBB207_1310:
	s_or_b64 exec, exec, s[14:15]
	v_bfe_u32 v3, v5, 16, 1
	s_movk_i32 s4, 0x7fff
	v_add3_u32 v3, v5, v3, s4
	v_cmp_o_f32_e32 vcc, v5, v5
	v_mov_b32_e32 v5, 0x7fc0
	v_cndmask_b32_sdwa v3, v5, v3, vcc dst_sel:DWORD dst_unused:UNUSED_PAD src0_sel:DWORD src1_sel:WORD_1
.LBB207_1311:
	s_mov_b64 s[4:5], -1
.LBB207_1312:
	s_branch .LBB207_1345
.LBB207_1313:
	s_cmp_gt_i32 s19, 22
	s_cbranch_scc0 .LBB207_1323
; %bb.1314:
	s_cmp_lt_i32 s19, 24
	s_cbranch_scc1 .LBB207_1326
; %bb.1315:
	s_cmp_gt_i32 s19, 24
	s_cbranch_scc0 .LBB207_1327
; %bb.1316:
	global_load_ubyte v3, v[10:11], off
	s_movk_i32 s2, 0x7f
	s_waitcnt vmcnt(0)
	v_cmp_lt_i16_e32 vcc, s2, v3
	s_mov_b64 s[2:3], 0
	s_and_saveexec_b64 s[4:5], vcc
	s_xor_b64 s[4:5], exec, s[4:5]
	s_cbranch_execz .LBB207_1339
; %bb.1317:
	s_movk_i32 s2, 0x80
	v_cmp_eq_u16_e32 vcc, s2, v3
	s_mov_b64 s[2:3], -1
	s_and_saveexec_b64 s[14:15], vcc
; %bb.1318:
	s_xor_b64 s[2:3], exec, -1
; %bb.1319:
	s_or_b64 exec, exec, s[14:15]
	s_and_b64 s[2:3], s[2:3], exec
	s_or_saveexec_b64 s[4:5], s[4:5]
	v_mov_b32_e32 v5, 0x7f800001
	s_xor_b64 exec, exec, s[4:5]
	s_cbranch_execnz .LBB207_1340
.LBB207_1320:
	s_or_b64 exec, exec, s[4:5]
	s_and_saveexec_b64 s[4:5], s[2:3]
	s_cbranch_execz .LBB207_1322
.LBB207_1321:
	v_lshlrev_b32_e32 v5, 24, v3
	v_and_b32_e32 v3, 0xffff, v3
	v_and_b32_e32 v8, 3, v3
	v_ffbh_u32_e32 v13, v8
	v_min_u32_e32 v13, 32, v13
	v_subrev_u32_e32 v14, 29, v13
	v_bfe_u32 v12, v3, 2, 5
	v_lshlrev_b32_e32 v3, v14, v3
	v_sub_u32_e32 v13, 30, v13
	v_and_b32_e32 v3, 3, v3
	v_cmp_eq_u32_e32 vcc, 0, v12
	v_cndmask_b32_e32 v12, v12, v13, vcc
	v_cndmask_b32_e32 v3, v8, v3, vcc
	v_mov_b32_e32 v8, 0x37800000
	v_lshlrev_b32_e32 v3, 21, v3
	v_and_b32_e32 v5, 0x80000000, v5
	v_lshl_add_u32 v8, v12, 23, v8
	v_or3_b32 v5, v5, v8, v3
.LBB207_1322:
	s_or_b64 exec, exec, s[4:5]
	v_bfe_u32 v3, v5, 16, 1
	s_movk_i32 s2, 0x7fff
	v_add3_u32 v3, v5, v3, s2
	v_cmp_o_f32_e32 vcc, v5, v5
	v_mov_b32_e32 v5, 0x7fc0
	v_cndmask_b32_sdwa v3, v5, v3, vcc dst_sel:DWORD dst_unused:UNUSED_PAD src0_sel:DWORD src1_sel:WORD_1
	s_mov_b64 s[2:3], 0
	s_branch .LBB207_1328
.LBB207_1323:
	s_mov_b64 s[2:3], -1
                                        ; implicit-def: $vgpr3
	s_branch .LBB207_1334
.LBB207_1324:
	s_or_saveexec_b64 s[14:15], s[14:15]
	v_mov_b32_e32 v5, 0x7f800001
	s_xor_b64 exec, exec, s[14:15]
	s_cbranch_execz .LBB207_1308
.LBB207_1325:
	v_cmp_ne_u16_e32 vcc, 0, v3
	s_andn2_b64 s[4:5], s[4:5], exec
	s_and_b64 s[16:17], vcc, exec
	v_mov_b32_e32 v5, 0
	s_or_b64 s[4:5], s[4:5], s[16:17]
	s_or_b64 exec, exec, s[14:15]
	s_and_saveexec_b64 s[14:15], s[4:5]
	s_cbranch_execnz .LBB207_1309
	s_branch .LBB207_1310
.LBB207_1326:
	s_mov_b64 s[2:3], -1
                                        ; implicit-def: $vgpr3
	s_branch .LBB207_1331
.LBB207_1327:
	s_mov_b64 s[2:3], -1
                                        ; implicit-def: $vgpr3
.LBB207_1328:
	s_and_b64 vcc, exec, s[2:3]
	s_cbranch_vccz .LBB207_1330
; %bb.1329:
	global_load_ubyte v3, v[10:11], off
	s_mov_b32 s2, 0x7f800000
	s_brev_b32 s3, 1
	s_movk_i32 s4, 0x7fff
	s_waitcnt vmcnt(0)
	v_lshlrev_b32_e32 v3, 24, v3
	v_and_b32_e32 v5, 0x7f000000, v3
	v_ffbh_u32_e32 v8, v5
	v_min_u32_e32 v8, 32, v8
	v_sub_u32_e64 v8, v8, 4 clamp
	v_lshlrev_b32_e32 v13, v8, v5
	v_lshlrev_b32_e32 v8, 23, v8
	v_lshrrev_b32_e32 v13, 4, v13
	v_add_u32_e32 v12, 0x1000000, v5
	v_sub_u32_e32 v8, v13, v8
	v_ashrrev_i32_e32 v12, 8, v12
	v_add_u32_e32 v8, 0x3c000000, v8
	v_and_or_b32 v8, v12, s2, v8
	v_cmp_ne_u32_e32 vcc, 0, v5
	v_cndmask_b32_e32 v5, 0, v8, vcc
	v_and_or_b32 v3, v3, s3, v5
	v_bfe_u32 v5, v5, 16, 1
	v_add3_u32 v5, v3, v5, s4
	v_cmp_o_f32_e32 vcc, v3, v3
	v_mov_b32_e32 v3, 0x7fc0
	v_cndmask_b32_sdwa v3, v3, v5, vcc dst_sel:DWORD dst_unused:UNUSED_PAD src0_sel:DWORD src1_sel:WORD_1
.LBB207_1330:
	s_mov_b64 s[2:3], 0
.LBB207_1331:
	s_andn2_b64 vcc, exec, s[2:3]
	s_cbranch_vccnz .LBB207_1333
; %bb.1332:
	global_load_ubyte v3, v[10:11], off
	s_movk_i32 s2, 0x7f00
	s_brev_b32 s3, 16
	s_brev_b32 s4, 1
	s_movk_i32 s5, 0x7fff
	s_waitcnt vmcnt(0)
	v_lshlrev_b16_e32 v5, 8, v3
	v_lshlrev_b32_e32 v3, 25, v3
	v_lshrrev_b32_e32 v8, 4, v3
	v_and_or_b32 v12, v5, s2, 0.5
	v_or_b32_e32 v8, 0x70000000, v8
	v_add_f32_e32 v12, -0.5, v12
	v_mul_f32_e32 v8, 0x7800000, v8
	v_cmp_gt_u32_e32 vcc, s3, v3
	v_bfe_i32 v5, v5, 0, 16
	v_cndmask_b32_e32 v3, v8, v12, vcc
	v_and_or_b32 v5, v5, s4, v3
	v_bfe_u32 v3, v3, 16, 1
	v_add3_u32 v3, v5, v3, s5
	v_cmp_o_f32_e32 vcc, v5, v5
	v_mov_b32_e32 v5, 0x7fc0
	v_cndmask_b32_sdwa v3, v5, v3, vcc dst_sel:DWORD dst_unused:UNUSED_PAD src0_sel:DWORD src1_sel:WORD_1
.LBB207_1333:
	s_mov_b64 s[2:3], 0
	s_mov_b64 s[4:5], -1
.LBB207_1334:
	s_andn2_b64 vcc, exec, s[2:3]
	s_mov_b64 s[2:3], 0
	s_cbranch_vccnz .LBB207_1345
; %bb.1335:
	s_cmp_gt_i32 s19, 14
	s_cbranch_scc0 .LBB207_1338
; %bb.1336:
	s_cmp_eq_u32 s19, 15
	s_cbranch_scc0 .LBB207_1341
; %bb.1337:
	global_load_ushort v3, v[10:11], off
	s_mov_b64 s[0:1], 0
	s_mov_b64 s[4:5], -1
	s_branch .LBB207_1342
.LBB207_1338:
	s_mov_b64 s[14:15], -1
                                        ; implicit-def: $vgpr3
	s_branch .LBB207_1343
.LBB207_1339:
	s_or_saveexec_b64 s[4:5], s[4:5]
	v_mov_b32_e32 v5, 0x7f800001
	s_xor_b64 exec, exec, s[4:5]
	s_cbranch_execz .LBB207_1320
.LBB207_1340:
	v_cmp_ne_u16_e32 vcc, 0, v3
	s_andn2_b64 s[2:3], s[2:3], exec
	s_and_b64 s[14:15], vcc, exec
	v_mov_b32_e32 v5, 0
	s_or_b64 s[2:3], s[2:3], s[14:15]
	s_or_b64 exec, exec, s[4:5]
	s_and_saveexec_b64 s[4:5], s[2:3]
	s_cbranch_execnz .LBB207_1321
	s_branch .LBB207_1322
.LBB207_1341:
	s_mov_b64 s[0:1], -1
                                        ; implicit-def: $vgpr3
.LBB207_1342:
	s_mov_b64 s[14:15], 0
.LBB207_1343:
	s_and_b64 vcc, exec, s[14:15]
	s_cbranch_vccz .LBB207_1345
; %bb.1344:
	s_cmp_lg_u32 s19, 11
	s_mov_b64 s[2:3], -1
	s_cselect_b64 s[0:1], -1, 0
.LBB207_1345:
	s_and_b64 vcc, exec, s[0:1]
	s_cbranch_vccnz .LBB207_1408
; %bb.1346:
	s_andn2_b64 vcc, exec, s[2:3]
	s_cbranch_vccnz .LBB207_1348
.LBB207_1347:
	global_load_ubyte v3, v[10:11], off
	s_mov_b64 s[4:5], -1
	s_waitcnt vmcnt(0)
	v_cmp_ne_u16_e32 vcc, 0, v3
	v_cndmask_b32_e64 v3, 0, 1.0, vcc
	v_lshrrev_b32_e32 v3, 16, v3
.LBB207_1348:
	s_branch .LBB207_1275
.LBB207_1349:
	s_and_b32 s2, 0xffff, s18
	s_cmp_lt_i32 s2, 5
	s_cbranch_scc1 .LBB207_1354
; %bb.1350:
	s_cmp_lt_i32 s2, 8
	s_cbranch_scc1 .LBB207_1355
; %bb.1351:
	;; [unrolled: 3-line block ×3, first 2 shown]
	s_cmp_gt_i32 s2, 9
	s_cbranch_scc0 .LBB207_1357
; %bb.1353:
	global_load_dwordx2 v[12:13], v[10:11], off
	s_movk_i32 s0, 0x7fff
	v_mov_b32_e32 v5, 0x7fc0
	s_waitcnt vmcnt(0)
	v_cvt_f32_f64_e32 v3, v[12:13]
	v_bfe_u32 v8, v3, 16, 1
	v_cmp_o_f32_e32 vcc, v3, v3
	v_add3_u32 v3, v3, v8, s0
	v_cndmask_b32_sdwa v3, v5, v3, vcc dst_sel:DWORD dst_unused:UNUSED_PAD src0_sel:DWORD src1_sel:WORD_1
	s_mov_b64 s[0:1], 0
	s_branch .LBB207_1358
.LBB207_1354:
                                        ; implicit-def: $vgpr3
	s_branch .LBB207_1376
.LBB207_1355:
	s_mov_b64 s[0:1], -1
                                        ; implicit-def: $vgpr3
	s_branch .LBB207_1364
.LBB207_1356:
	s_mov_b64 s[0:1], -1
                                        ; implicit-def: $vgpr3
	s_branch .LBB207_1361
.LBB207_1357:
	s_mov_b64 s[0:1], -1
                                        ; implicit-def: $vgpr3
.LBB207_1358:
	s_andn2_b64 vcc, exec, s[0:1]
	s_cbranch_vccnz .LBB207_1360
; %bb.1359:
	global_load_dword v3, v[10:11], off
	s_movk_i32 s0, 0x7fff
	v_mov_b32_e32 v5, 0x7fc0
	s_waitcnt vmcnt(0)
	v_bfe_u32 v8, v3, 16, 1
	v_cmp_o_f32_e32 vcc, v3, v3
	v_add3_u32 v3, v3, v8, s0
	v_cndmask_b32_sdwa v3, v5, v3, vcc dst_sel:DWORD dst_unused:UNUSED_PAD src0_sel:DWORD src1_sel:WORD_1
.LBB207_1360:
	s_mov_b64 s[0:1], 0
.LBB207_1361:
	s_andn2_b64 vcc, exec, s[0:1]
	s_cbranch_vccnz .LBB207_1363
; %bb.1362:
	global_load_dword v3, v[10:11], off
	s_movk_i32 s0, 0x7fff
	v_mov_b32_e32 v8, 0x7fc0
	s_waitcnt vmcnt(0)
	v_cvt_f32_f16_e32 v5, v3
	v_cmp_o_f16_e32 vcc, v3, v3
	v_bfe_u32 v3, v5, 16, 1
	v_add3_u32 v3, v5, v3, s0
	v_cndmask_b32_sdwa v3, v8, v3, vcc dst_sel:DWORD dst_unused:UNUSED_PAD src0_sel:DWORD src1_sel:WORD_1
.LBB207_1363:
	s_mov_b64 s[0:1], 0
.LBB207_1364:
	s_andn2_b64 vcc, exec, s[0:1]
	s_cbranch_vccnz .LBB207_1375
; %bb.1365:
	s_cmp_lt_i32 s2, 6
	s_cbranch_scc1 .LBB207_1368
; %bb.1366:
	s_cmp_gt_i32 s2, 6
	s_cbranch_scc0 .LBB207_1369
; %bb.1367:
	global_load_dwordx2 v[12:13], v[10:11], off
	s_movk_i32 s0, 0x7fff
	v_mov_b32_e32 v5, 0x7fc0
	s_waitcnt vmcnt(0)
	v_cvt_f32_f64_e32 v3, v[12:13]
	v_bfe_u32 v8, v3, 16, 1
	v_cmp_o_f32_e32 vcc, v3, v3
	v_add3_u32 v3, v3, v8, s0
	v_cndmask_b32_sdwa v3, v5, v3, vcc dst_sel:DWORD dst_unused:UNUSED_PAD src0_sel:DWORD src1_sel:WORD_1
	s_mov_b64 s[0:1], 0
	s_branch .LBB207_1370
.LBB207_1368:
	s_mov_b64 s[0:1], -1
                                        ; implicit-def: $vgpr3
	s_branch .LBB207_1373
.LBB207_1369:
	s_mov_b64 s[0:1], -1
                                        ; implicit-def: $vgpr3
.LBB207_1370:
	s_andn2_b64 vcc, exec, s[0:1]
	s_cbranch_vccnz .LBB207_1372
; %bb.1371:
	global_load_dword v3, v[10:11], off
	s_movk_i32 s0, 0x7fff
	v_mov_b32_e32 v5, 0x7fc0
	s_waitcnt vmcnt(0)
	v_bfe_u32 v8, v3, 16, 1
	v_cmp_o_f32_e32 vcc, v3, v3
	v_add3_u32 v3, v3, v8, s0
	v_cndmask_b32_sdwa v3, v5, v3, vcc dst_sel:DWORD dst_unused:UNUSED_PAD src0_sel:DWORD src1_sel:WORD_1
.LBB207_1372:
	s_mov_b64 s[0:1], 0
.LBB207_1373:
	s_andn2_b64 vcc, exec, s[0:1]
	s_cbranch_vccnz .LBB207_1375
; %bb.1374:
	global_load_ushort v3, v[10:11], off
	s_movk_i32 s0, 0x7fff
	v_mov_b32_e32 v8, 0x7fc0
	s_waitcnt vmcnt(0)
	v_cvt_f32_f16_e32 v5, v3
	v_cmp_o_f16_e32 vcc, v3, v3
	v_bfe_u32 v3, v5, 16, 1
	v_add3_u32 v3, v5, v3, s0
	v_cndmask_b32_sdwa v3, v8, v3, vcc dst_sel:DWORD dst_unused:UNUSED_PAD src0_sel:DWORD src1_sel:WORD_1
.LBB207_1375:
	s_cbranch_execnz .LBB207_1395
.LBB207_1376:
	s_cmp_lt_i32 s2, 2
	s_cbranch_scc1 .LBB207_1380
; %bb.1377:
	s_cmp_lt_i32 s2, 3
	s_cbranch_scc1 .LBB207_1381
; %bb.1378:
	s_cmp_gt_i32 s2, 3
	s_cbranch_scc0 .LBB207_1382
; %bb.1379:
	global_load_dwordx2 v[12:13], v[10:11], off
	s_movk_i32 s0, 0x7fff
	s_waitcnt vmcnt(0)
	v_xor_b32_e32 v5, v12, v13
	v_ffbh_i32_e32 v3, v13
	v_ashrrev_i32_e32 v5, 31, v5
	v_add_u32_e32 v3, -1, v3
	v_add_u32_e32 v5, 32, v5
	v_min_u32_e32 v3, v3, v5
	v_lshlrev_b64 v[12:13], v3, v[12:13]
	v_sub_u32_e32 v3, 32, v3
	v_min_u32_e32 v5, 1, v12
	v_or_b32_e32 v5, v13, v5
	v_cvt_f32_i32_e32 v5, v5
	v_ldexp_f32 v3, v5, v3
	v_bfe_u32 v5, v3, 16, 1
	v_add3_u32 v3, v3, v5, s0
	v_lshrrev_b32_e32 v3, 16, v3
	s_mov_b64 s[0:1], 0
	s_branch .LBB207_1383
.LBB207_1380:
	s_mov_b64 s[0:1], -1
                                        ; implicit-def: $vgpr3
	s_branch .LBB207_1389
.LBB207_1381:
	s_mov_b64 s[0:1], -1
                                        ; implicit-def: $vgpr3
	s_branch .LBB207_1386
.LBB207_1382:
	s_mov_b64 s[0:1], -1
                                        ; implicit-def: $vgpr3
.LBB207_1383:
	s_andn2_b64 vcc, exec, s[0:1]
	s_cbranch_vccnz .LBB207_1385
; %bb.1384:
	global_load_dword v3, v[10:11], off
	s_movk_i32 s0, 0x7fff
	s_waitcnt vmcnt(0)
	v_cvt_f32_i32_e32 v3, v3
	v_bfe_u32 v5, v3, 16, 1
	v_add3_u32 v3, v3, v5, s0
	v_lshrrev_b32_e32 v3, 16, v3
.LBB207_1385:
	s_mov_b64 s[0:1], 0
.LBB207_1386:
	s_andn2_b64 vcc, exec, s[0:1]
	s_cbranch_vccnz .LBB207_1388
; %bb.1387:
	global_load_sshort v3, v[10:11], off
	s_movk_i32 s0, 0x7fff
	s_waitcnt vmcnt(0)
	v_cvt_f32_i32_e32 v3, v3
	v_bfe_u32 v5, v3, 16, 1
	v_add3_u32 v3, v3, v5, s0
	v_lshrrev_b32_e32 v3, 16, v3
.LBB207_1388:
	s_mov_b64 s[0:1], 0
.LBB207_1389:
	s_andn2_b64 vcc, exec, s[0:1]
	s_cbranch_vccnz .LBB207_1395
; %bb.1390:
	s_cmp_gt_i32 s2, 0
	s_cbranch_scc0 .LBB207_1392
; %bb.1391:
	global_load_sbyte v3, v[10:11], off
	s_movk_i32 s0, 0x7fff
	s_waitcnt vmcnt(0)
	v_cvt_f32_i32_e32 v3, v3
	v_bfe_u32 v5, v3, 16, 1
	v_add3_u32 v3, v3, v5, s0
	v_lshrrev_b32_e32 v3, 16, v3
	s_mov_b64 s[0:1], 0
	s_branch .LBB207_1393
.LBB207_1392:
	s_mov_b64 s[0:1], -1
                                        ; implicit-def: $vgpr3
.LBB207_1393:
	s_andn2_b64 vcc, exec, s[0:1]
	s_cbranch_vccnz .LBB207_1395
; %bb.1394:
	global_load_ubyte v3, v[10:11], off
	s_movk_i32 s0, 0x7fff
	s_waitcnt vmcnt(0)
	v_cvt_f32_ubyte0_e32 v3, v3
	v_bfe_u32 v5, v3, 16, 1
	v_add3_u32 v3, v3, v5, s0
	v_lshrrev_b32_e32 v3, 16, v3
.LBB207_1395:
.LBB207_1396:
	v_mov_b32_e32 v5, s11
	v_add_co_u32_e32 v8, vcc, s10, v9
	s_cmp_lt_i32 s18, 11
	v_addc_co_u32_e32 v9, vcc, 0, v5, vcc
	s_cbranch_scc1 .LBB207_1403
; %bb.1397:
	s_and_b32 s19, 0xffff, s18
	s_cmp_gt_i32 s19, 25
	s_mov_b64 s[2:3], 0
	s_cbranch_scc0 .LBB207_1405
; %bb.1398:
	s_cmp_gt_i32 s19, 28
	s_cbranch_scc0 .LBB207_1406
; %bb.1399:
	s_cmp_gt_i32 s19, 43
	;; [unrolled: 3-line block ×3, first 2 shown]
	s_cbranch_scc0 .LBB207_1409
; %bb.1401:
	s_cmp_eq_u32 s19, 46
	s_mov_b64 s[14:15], 0
	s_cbranch_scc0 .LBB207_1410
; %bb.1402:
	global_load_dword v10, v[8:9], off
	s_mov_b64 s[0:1], 0
	s_mov_b64 s[4:5], -1
	s_branch .LBB207_1411
.LBB207_1403:
	s_mov_b64 s[4:5], 0
                                        ; implicit-def: $vgpr10
	s_cbranch_execnz .LBB207_1477
.LBB207_1404:
	s_andn2_b64 vcc, exec, s[4:5]
	s_cbranch_vccnz .LBB207_2088
	s_branch .LBB207_1525
.LBB207_1405:
	s_mov_b64 s[14:15], -1
	s_mov_b64 s[4:5], 0
	s_mov_b64 s[0:1], 0
                                        ; implicit-def: $vgpr10
	s_branch .LBB207_1440
.LBB207_1406:
	s_mov_b64 s[14:15], -1
	s_mov_b64 s[4:5], 0
	s_mov_b64 s[0:1], 0
                                        ; implicit-def: $vgpr10
	s_branch .LBB207_1421
.LBB207_1407:
	s_mov_b64 s[14:15], -1
	s_mov_b64 s[4:5], 0
	s_mov_b64 s[0:1], 0
                                        ; implicit-def: $vgpr10
	s_branch .LBB207_1416
.LBB207_1408:
	s_trap 2
	s_or_b64 s[12:13], s[12:13], exec
	s_cbranch_execz .LBB207_1347
	s_branch .LBB207_1348
.LBB207_1409:
	s_mov_b64 s[14:15], -1
	s_mov_b64 s[4:5], 0
	s_mov_b64 s[0:1], 0
                                        ; implicit-def: $vgpr10
	s_branch .LBB207_1411
.LBB207_1410:
	s_mov_b64 s[0:1], -1
                                        ; implicit-def: $vgpr10
	s_mov_b64 s[4:5], 0
.LBB207_1411:
	s_and_b64 vcc, exec, s[14:15]
	s_cbranch_vccz .LBB207_1415
; %bb.1412:
	s_cmp_eq_u32 s19, 44
	s_cbranch_scc0 .LBB207_1414
; %bb.1413:
	global_load_ubyte v5, v[8:9], off
	s_movk_i32 s4, 0xff
	s_waitcnt vmcnt(1)
	v_mov_b32_e32 v10, 0x7f800001
	v_mov_b32_e32 v11, 0x400000
	;; [unrolled: 1-line block ×3, first 2 shown]
	s_mov_b64 s[0:1], 0
	s_waitcnt vmcnt(0)
	v_lshlrev_b32_e32 v13, 23, v5
	v_cmp_ne_u32_e32 vcc, s4, v5
	v_cndmask_b32_e32 v10, v10, v13, vcc
	v_cmp_ne_u32_e32 vcc, 0, v5
	v_cndmask_b32_e32 v5, v11, v10, vcc
	v_add_u32_e32 v10, 0x7fff, v5
	v_cmp_o_f32_e32 vcc, v5, v5
	v_cndmask_b32_sdwa v10, v12, v10, vcc dst_sel:DWORD dst_unused:UNUSED_PAD src0_sel:DWORD src1_sel:WORD_1
	s_mov_b64 s[4:5], -1
	s_branch .LBB207_1415
.LBB207_1414:
	s_mov_b64 s[0:1], -1
                                        ; implicit-def: $vgpr10
.LBB207_1415:
	s_mov_b64 s[14:15], 0
.LBB207_1416:
	s_and_b64 vcc, exec, s[14:15]
	s_cbranch_vccz .LBB207_1420
; %bb.1417:
	s_cmp_eq_u32 s19, 29
	s_cbranch_scc0 .LBB207_1419
; %bb.1418:
	global_load_dwordx2 v[10:11], v[8:9], off
	s_movk_i32 s4, 0x7fff
	s_mov_b64 s[0:1], 0
	s_mov_b64 s[14:15], 0
	s_waitcnt vmcnt(0)
	v_ffbh_u32_e32 v5, v11
	v_min_u32_e32 v5, 32, v5
	v_lshlrev_b64 v[10:11], v5, v[10:11]
	v_sub_u32_e32 v5, 32, v5
	v_min_u32_e32 v10, 1, v10
	v_or_b32_e32 v10, v11, v10
	v_cvt_f32_u32_e32 v10, v10
	v_ldexp_f32 v5, v10, v5
	v_bfe_u32 v10, v5, 16, 1
	v_add3_u32 v5, v5, v10, s4
	v_lshrrev_b32_e32 v10, 16, v5
	s_mov_b64 s[4:5], -1
	s_branch .LBB207_1421
.LBB207_1419:
	s_mov_b64 s[0:1], -1
                                        ; implicit-def: $vgpr10
.LBB207_1420:
	s_mov_b64 s[14:15], 0
.LBB207_1421:
	s_and_b64 vcc, exec, s[14:15]
	s_cbranch_vccz .LBB207_1439
; %bb.1422:
	s_cmp_lt_i32 s19, 27
	s_cbranch_scc1 .LBB207_1425
; %bb.1423:
	s_cmp_gt_i32 s19, 27
	s_cbranch_scc0 .LBB207_1426
; %bb.1424:
	global_load_dword v5, v[8:9], off
	s_movk_i32 s4, 0x7fff
	s_waitcnt vmcnt(0)
	v_cvt_f32_u32_e32 v5, v5
	v_bfe_u32 v10, v5, 16, 1
	v_add3_u32 v5, v5, v10, s4
	v_lshrrev_b32_e32 v10, 16, v5
	s_mov_b64 s[4:5], 0
	s_branch .LBB207_1427
.LBB207_1425:
	s_mov_b64 s[4:5], -1
                                        ; implicit-def: $vgpr10
	s_branch .LBB207_1430
.LBB207_1426:
	s_mov_b64 s[4:5], -1
                                        ; implicit-def: $vgpr10
.LBB207_1427:
	s_andn2_b64 vcc, exec, s[4:5]
	s_cbranch_vccnz .LBB207_1429
; %bb.1428:
	global_load_ushort v5, v[8:9], off
	s_movk_i32 s4, 0x7fff
	s_waitcnt vmcnt(0)
	v_cvt_f32_u32_e32 v5, v5
	v_bfe_u32 v10, v5, 16, 1
	v_add3_u32 v5, v5, v10, s4
	v_lshrrev_b32_e32 v10, 16, v5
.LBB207_1429:
	s_mov_b64 s[4:5], 0
.LBB207_1430:
	s_andn2_b64 vcc, exec, s[4:5]
	s_cbranch_vccnz .LBB207_1438
; %bb.1431:
	global_load_ubyte v5, v[8:9], off
	s_movk_i32 s4, 0x7f
	s_waitcnt vmcnt(0)
	v_cmp_lt_i16_e32 vcc, s4, v5
	s_mov_b64 s[4:5], 0
	s_and_saveexec_b64 s[14:15], vcc
	s_xor_b64 s[14:15], exec, s[14:15]
	s_cbranch_execz .LBB207_1452
; %bb.1432:
	s_movk_i32 s4, 0x80
	v_cmp_eq_u16_e32 vcc, s4, v5
	s_mov_b64 s[4:5], -1
	s_and_saveexec_b64 s[16:17], vcc
; %bb.1433:
	s_xor_b64 s[4:5], exec, -1
; %bb.1434:
	s_or_b64 exec, exec, s[16:17]
	s_and_b64 s[4:5], s[4:5], exec
	s_or_saveexec_b64 s[14:15], s[14:15]
	v_mov_b32_e32 v10, 0x7f800001
	s_xor_b64 exec, exec, s[14:15]
	s_cbranch_execnz .LBB207_1453
.LBB207_1435:
	s_or_b64 exec, exec, s[14:15]
	s_and_saveexec_b64 s[14:15], s[4:5]
	s_cbranch_execz .LBB207_1437
.LBB207_1436:
	v_lshlrev_b32_e32 v10, 24, v5
	v_and_b32_e32 v5, 0xffff, v5
	v_and_b32_e32 v11, 7, v5
	v_ffbh_u32_e32 v13, v11
	v_min_u32_e32 v13, 32, v13
	v_subrev_u32_e32 v14, 28, v13
	v_bfe_u32 v12, v5, 3, 4
	v_lshlrev_b32_e32 v5, v14, v5
	v_sub_u32_e32 v13, 29, v13
	v_and_b32_e32 v5, 7, v5
	v_cmp_eq_u32_e32 vcc, 0, v12
	v_cndmask_b32_e32 v12, v12, v13, vcc
	v_cndmask_b32_e32 v5, v11, v5, vcc
	v_mov_b32_e32 v11, 0x3b800000
	v_lshlrev_b32_e32 v5, 20, v5
	v_and_b32_e32 v10, 0x80000000, v10
	v_lshl_add_u32 v11, v12, 23, v11
	v_or3_b32 v10, v10, v11, v5
.LBB207_1437:
	s_or_b64 exec, exec, s[14:15]
	v_bfe_u32 v5, v10, 16, 1
	s_movk_i32 s4, 0x7fff
	v_add3_u32 v5, v10, v5, s4
	v_cmp_o_f32_e32 vcc, v10, v10
	v_mov_b32_e32 v10, 0x7fc0
	v_cndmask_b32_sdwa v10, v10, v5, vcc dst_sel:DWORD dst_unused:UNUSED_PAD src0_sel:DWORD src1_sel:WORD_1
.LBB207_1438:
	s_mov_b64 s[4:5], -1
.LBB207_1439:
	s_mov_b64 s[14:15], 0
.LBB207_1440:
	s_and_b64 vcc, exec, s[14:15]
	s_cbranch_vccz .LBB207_1473
; %bb.1441:
	s_cmp_gt_i32 s19, 22
	s_cbranch_scc0 .LBB207_1451
; %bb.1442:
	s_cmp_lt_i32 s19, 24
	s_cbranch_scc1 .LBB207_1454
; %bb.1443:
	s_cmp_gt_i32 s19, 24
	s_cbranch_scc0 .LBB207_1455
; %bb.1444:
	global_load_ubyte v5, v[8:9], off
	s_movk_i32 s2, 0x7f
	s_waitcnt vmcnt(0)
	v_cmp_lt_i16_e32 vcc, s2, v5
	s_mov_b64 s[2:3], 0
	s_and_saveexec_b64 s[4:5], vcc
	s_xor_b64 s[4:5], exec, s[4:5]
	s_cbranch_execz .LBB207_1467
; %bb.1445:
	s_movk_i32 s2, 0x80
	v_cmp_eq_u16_e32 vcc, s2, v5
	s_mov_b64 s[2:3], -1
	s_and_saveexec_b64 s[14:15], vcc
; %bb.1446:
	s_xor_b64 s[2:3], exec, -1
; %bb.1447:
	s_or_b64 exec, exec, s[14:15]
	s_and_b64 s[2:3], s[2:3], exec
	s_or_saveexec_b64 s[4:5], s[4:5]
	v_mov_b32_e32 v10, 0x7f800001
	s_xor_b64 exec, exec, s[4:5]
	s_cbranch_execnz .LBB207_1468
.LBB207_1448:
	s_or_b64 exec, exec, s[4:5]
	s_and_saveexec_b64 s[4:5], s[2:3]
	s_cbranch_execz .LBB207_1450
.LBB207_1449:
	v_lshlrev_b32_e32 v10, 24, v5
	v_and_b32_e32 v5, 0xffff, v5
	v_and_b32_e32 v11, 3, v5
	v_ffbh_u32_e32 v13, v11
	v_min_u32_e32 v13, 32, v13
	v_subrev_u32_e32 v14, 29, v13
	v_bfe_u32 v12, v5, 2, 5
	v_lshlrev_b32_e32 v5, v14, v5
	v_sub_u32_e32 v13, 30, v13
	v_and_b32_e32 v5, 3, v5
	v_cmp_eq_u32_e32 vcc, 0, v12
	v_cndmask_b32_e32 v12, v12, v13, vcc
	v_cndmask_b32_e32 v5, v11, v5, vcc
	v_mov_b32_e32 v11, 0x37800000
	v_lshlrev_b32_e32 v5, 21, v5
	v_and_b32_e32 v10, 0x80000000, v10
	v_lshl_add_u32 v11, v12, 23, v11
	v_or3_b32 v10, v10, v11, v5
.LBB207_1450:
	s_or_b64 exec, exec, s[4:5]
	v_bfe_u32 v5, v10, 16, 1
	s_movk_i32 s2, 0x7fff
	v_add3_u32 v5, v10, v5, s2
	v_cmp_o_f32_e32 vcc, v10, v10
	v_mov_b32_e32 v10, 0x7fc0
	v_cndmask_b32_sdwa v10, v10, v5, vcc dst_sel:DWORD dst_unused:UNUSED_PAD src0_sel:DWORD src1_sel:WORD_1
	s_mov_b64 s[2:3], 0
	s_branch .LBB207_1456
.LBB207_1451:
	s_mov_b64 s[2:3], -1
                                        ; implicit-def: $vgpr10
	s_branch .LBB207_1462
.LBB207_1452:
	s_or_saveexec_b64 s[14:15], s[14:15]
	v_mov_b32_e32 v10, 0x7f800001
	s_xor_b64 exec, exec, s[14:15]
	s_cbranch_execz .LBB207_1435
.LBB207_1453:
	v_cmp_ne_u16_e32 vcc, 0, v5
	s_andn2_b64 s[4:5], s[4:5], exec
	s_and_b64 s[16:17], vcc, exec
	v_mov_b32_e32 v10, 0
	s_or_b64 s[4:5], s[4:5], s[16:17]
	s_or_b64 exec, exec, s[14:15]
	s_and_saveexec_b64 s[14:15], s[4:5]
	s_cbranch_execnz .LBB207_1436
	s_branch .LBB207_1437
.LBB207_1454:
	s_mov_b64 s[2:3], -1
                                        ; implicit-def: $vgpr10
	s_branch .LBB207_1459
.LBB207_1455:
	s_mov_b64 s[2:3], -1
                                        ; implicit-def: $vgpr10
.LBB207_1456:
	s_and_b64 vcc, exec, s[2:3]
	s_cbranch_vccz .LBB207_1458
; %bb.1457:
	global_load_ubyte v5, v[8:9], off
	s_mov_b32 s2, 0x7f800000
	s_brev_b32 s3, 1
	s_movk_i32 s4, 0x7fff
	s_waitcnt vmcnt(0)
	v_lshlrev_b32_e32 v5, 24, v5
	v_and_b32_e32 v10, 0x7f000000, v5
	v_ffbh_u32_e32 v11, v10
	v_min_u32_e32 v11, 32, v11
	v_sub_u32_e64 v11, v11, 4 clamp
	v_lshlrev_b32_e32 v13, v11, v10
	v_lshlrev_b32_e32 v11, 23, v11
	v_lshrrev_b32_e32 v13, 4, v13
	v_add_u32_e32 v12, 0x1000000, v10
	v_sub_u32_e32 v11, v13, v11
	v_ashrrev_i32_e32 v12, 8, v12
	v_add_u32_e32 v11, 0x3c000000, v11
	v_and_or_b32 v11, v12, s2, v11
	v_cmp_ne_u32_e32 vcc, 0, v10
	v_cndmask_b32_e32 v10, 0, v11, vcc
	v_and_or_b32 v5, v5, s3, v10
	v_bfe_u32 v10, v10, 16, 1
	v_add3_u32 v10, v5, v10, s4
	v_cmp_o_f32_e32 vcc, v5, v5
	v_mov_b32_e32 v5, 0x7fc0
	v_cndmask_b32_sdwa v10, v5, v10, vcc dst_sel:DWORD dst_unused:UNUSED_PAD src0_sel:DWORD src1_sel:WORD_1
.LBB207_1458:
	s_mov_b64 s[2:3], 0
.LBB207_1459:
	s_andn2_b64 vcc, exec, s[2:3]
	s_cbranch_vccnz .LBB207_1461
; %bb.1460:
	global_load_ubyte v5, v[8:9], off
	s_movk_i32 s2, 0x7f00
	s_brev_b32 s3, 16
	s_brev_b32 s4, 1
	s_movk_i32 s5, 0x7fff
	s_waitcnt vmcnt(0)
	v_lshlrev_b16_e32 v10, 8, v5
	v_lshlrev_b32_e32 v5, 25, v5
	v_lshrrev_b32_e32 v11, 4, v5
	v_and_or_b32 v12, v10, s2, 0.5
	v_or_b32_e32 v11, 0x70000000, v11
	v_add_f32_e32 v12, -0.5, v12
	v_mul_f32_e32 v11, 0x7800000, v11
	v_cmp_gt_u32_e32 vcc, s3, v5
	v_bfe_i32 v10, v10, 0, 16
	v_cndmask_b32_e32 v5, v11, v12, vcc
	v_and_or_b32 v10, v10, s4, v5
	v_bfe_u32 v5, v5, 16, 1
	v_add3_u32 v5, v10, v5, s5
	v_cmp_o_f32_e32 vcc, v10, v10
	v_mov_b32_e32 v10, 0x7fc0
	v_cndmask_b32_sdwa v10, v10, v5, vcc dst_sel:DWORD dst_unused:UNUSED_PAD src0_sel:DWORD src1_sel:WORD_1
.LBB207_1461:
	s_mov_b64 s[2:3], 0
	s_mov_b64 s[4:5], -1
.LBB207_1462:
	s_andn2_b64 vcc, exec, s[2:3]
	s_mov_b64 s[2:3], 0
	s_cbranch_vccnz .LBB207_1473
; %bb.1463:
	s_cmp_gt_i32 s19, 14
	s_cbranch_scc0 .LBB207_1466
; %bb.1464:
	s_cmp_eq_u32 s19, 15
	s_cbranch_scc0 .LBB207_1469
; %bb.1465:
	global_load_ushort v10, v[8:9], off
	s_mov_b64 s[0:1], 0
	s_mov_b64 s[4:5], -1
	s_branch .LBB207_1470
.LBB207_1466:
	s_mov_b64 s[14:15], -1
                                        ; implicit-def: $vgpr10
	s_branch .LBB207_1471
.LBB207_1467:
	s_or_saveexec_b64 s[4:5], s[4:5]
	v_mov_b32_e32 v10, 0x7f800001
	s_xor_b64 exec, exec, s[4:5]
	s_cbranch_execz .LBB207_1448
.LBB207_1468:
	v_cmp_ne_u16_e32 vcc, 0, v5
	s_andn2_b64 s[2:3], s[2:3], exec
	s_and_b64 s[14:15], vcc, exec
	v_mov_b32_e32 v10, 0
	s_or_b64 s[2:3], s[2:3], s[14:15]
	s_or_b64 exec, exec, s[4:5]
	s_and_saveexec_b64 s[4:5], s[2:3]
	s_cbranch_execnz .LBB207_1449
	s_branch .LBB207_1450
.LBB207_1469:
	s_mov_b64 s[0:1], -1
                                        ; implicit-def: $vgpr10
.LBB207_1470:
	s_mov_b64 s[14:15], 0
.LBB207_1471:
	s_and_b64 vcc, exec, s[14:15]
	s_cbranch_vccz .LBB207_1473
; %bb.1472:
	s_cmp_lg_u32 s19, 11
	s_mov_b64 s[2:3], -1
	s_cselect_b64 s[0:1], -1, 0
.LBB207_1473:
	s_and_b64 vcc, exec, s[0:1]
	s_cbranch_vccnz .LBB207_1536
; %bb.1474:
	s_andn2_b64 vcc, exec, s[2:3]
	s_cbranch_vccnz .LBB207_1476
.LBB207_1475:
	global_load_ubyte v5, v[8:9], off
	s_mov_b64 s[4:5], -1
	s_waitcnt vmcnt(0)
	v_cmp_ne_u16_e32 vcc, 0, v5
	v_cndmask_b32_e64 v5, 0, 1.0, vcc
	v_lshrrev_b32_e32 v10, 16, v5
.LBB207_1476:
	s_branch .LBB207_1404
.LBB207_1477:
	s_and_b32 s2, 0xffff, s18
	s_cmp_lt_i32 s2, 5
	s_cbranch_scc1 .LBB207_1482
; %bb.1478:
	s_cmp_lt_i32 s2, 8
	s_cbranch_scc1 .LBB207_1483
; %bb.1479:
	;; [unrolled: 3-line block ×3, first 2 shown]
	s_cmp_gt_i32 s2, 9
	s_cbranch_scc0 .LBB207_1485
; %bb.1481:
	global_load_dwordx2 v[10:11], v[8:9], off
	s_movk_i32 s0, 0x7fff
	s_waitcnt vmcnt(0)
	v_cvt_f32_f64_e32 v5, v[10:11]
	v_mov_b32_e32 v10, 0x7fc0
	v_bfe_u32 v11, v5, 16, 1
	v_cmp_o_f32_e32 vcc, v5, v5
	v_add3_u32 v5, v5, v11, s0
	v_cndmask_b32_sdwa v10, v10, v5, vcc dst_sel:DWORD dst_unused:UNUSED_PAD src0_sel:DWORD src1_sel:WORD_1
	s_mov_b64 s[0:1], 0
	s_branch .LBB207_1486
.LBB207_1482:
	s_mov_b64 s[0:1], -1
                                        ; implicit-def: $vgpr10
	s_branch .LBB207_1504
.LBB207_1483:
	s_mov_b64 s[0:1], -1
                                        ; implicit-def: $vgpr10
	s_branch .LBB207_1492
.LBB207_1484:
	s_mov_b64 s[0:1], -1
                                        ; implicit-def: $vgpr10
	s_branch .LBB207_1489
.LBB207_1485:
	s_mov_b64 s[0:1], -1
                                        ; implicit-def: $vgpr10
.LBB207_1486:
	s_andn2_b64 vcc, exec, s[0:1]
	s_cbranch_vccnz .LBB207_1488
; %bb.1487:
	global_load_dword v5, v[8:9], off
	s_movk_i32 s0, 0x7fff
	s_waitcnt vmcnt(1)
	v_mov_b32_e32 v10, 0x7fc0
	s_waitcnt vmcnt(0)
	v_bfe_u32 v11, v5, 16, 1
	v_cmp_o_f32_e32 vcc, v5, v5
	v_add3_u32 v5, v5, v11, s0
	v_cndmask_b32_sdwa v10, v10, v5, vcc dst_sel:DWORD dst_unused:UNUSED_PAD src0_sel:DWORD src1_sel:WORD_1
.LBB207_1488:
	s_mov_b64 s[0:1], 0
.LBB207_1489:
	s_andn2_b64 vcc, exec, s[0:1]
	s_cbranch_vccnz .LBB207_1491
; %bb.1490:
	global_load_dword v5, v[8:9], off
	s_movk_i32 s0, 0x7fff
	v_mov_b32_e32 v11, 0x7fc0
	s_waitcnt vmcnt(0)
	v_cvt_f32_f16_e32 v10, v5
	v_cmp_o_f16_e32 vcc, v5, v5
	v_bfe_u32 v5, v10, 16, 1
	v_add3_u32 v5, v10, v5, s0
	v_cndmask_b32_sdwa v10, v11, v5, vcc dst_sel:DWORD dst_unused:UNUSED_PAD src0_sel:DWORD src1_sel:WORD_1
.LBB207_1491:
	s_mov_b64 s[0:1], 0
.LBB207_1492:
	s_andn2_b64 vcc, exec, s[0:1]
	s_cbranch_vccnz .LBB207_1503
; %bb.1493:
	s_cmp_lt_i32 s2, 6
	s_cbranch_scc1 .LBB207_1496
; %bb.1494:
	s_cmp_gt_i32 s2, 6
	s_cbranch_scc0 .LBB207_1497
; %bb.1495:
	global_load_dwordx2 v[10:11], v[8:9], off
	s_movk_i32 s0, 0x7fff
	s_waitcnt vmcnt(0)
	v_cvt_f32_f64_e32 v5, v[10:11]
	v_mov_b32_e32 v10, 0x7fc0
	v_bfe_u32 v11, v5, 16, 1
	v_cmp_o_f32_e32 vcc, v5, v5
	v_add3_u32 v5, v5, v11, s0
	v_cndmask_b32_sdwa v10, v10, v5, vcc dst_sel:DWORD dst_unused:UNUSED_PAD src0_sel:DWORD src1_sel:WORD_1
	s_mov_b64 s[0:1], 0
	s_branch .LBB207_1498
.LBB207_1496:
	s_mov_b64 s[0:1], -1
                                        ; implicit-def: $vgpr10
	s_branch .LBB207_1501
.LBB207_1497:
	s_mov_b64 s[0:1], -1
                                        ; implicit-def: $vgpr10
.LBB207_1498:
	s_andn2_b64 vcc, exec, s[0:1]
	s_cbranch_vccnz .LBB207_1500
; %bb.1499:
	global_load_dword v5, v[8:9], off
	s_movk_i32 s0, 0x7fff
	s_waitcnt vmcnt(1)
	v_mov_b32_e32 v10, 0x7fc0
	s_waitcnt vmcnt(0)
	v_bfe_u32 v11, v5, 16, 1
	v_cmp_o_f32_e32 vcc, v5, v5
	v_add3_u32 v5, v5, v11, s0
	v_cndmask_b32_sdwa v10, v10, v5, vcc dst_sel:DWORD dst_unused:UNUSED_PAD src0_sel:DWORD src1_sel:WORD_1
.LBB207_1500:
	s_mov_b64 s[0:1], 0
.LBB207_1501:
	s_andn2_b64 vcc, exec, s[0:1]
	s_cbranch_vccnz .LBB207_1503
; %bb.1502:
	global_load_ushort v5, v[8:9], off
	s_movk_i32 s0, 0x7fff
	v_mov_b32_e32 v11, 0x7fc0
	s_waitcnt vmcnt(0)
	v_cvt_f32_f16_e32 v10, v5
	v_cmp_o_f16_e32 vcc, v5, v5
	v_bfe_u32 v5, v10, 16, 1
	v_add3_u32 v5, v10, v5, s0
	v_cndmask_b32_sdwa v10, v11, v5, vcc dst_sel:DWORD dst_unused:UNUSED_PAD src0_sel:DWORD src1_sel:WORD_1
.LBB207_1503:
	s_mov_b64 s[0:1], 0
.LBB207_1504:
	s_andn2_b64 vcc, exec, s[0:1]
	s_cbranch_vccnz .LBB207_1524
; %bb.1505:
	s_cmp_lt_i32 s2, 2
	s_cbranch_scc1 .LBB207_1509
; %bb.1506:
	s_cmp_lt_i32 s2, 3
	s_cbranch_scc1 .LBB207_1510
; %bb.1507:
	s_cmp_gt_i32 s2, 3
	s_cbranch_scc0 .LBB207_1511
; %bb.1508:
	global_load_dwordx2 v[10:11], v[8:9], off
	s_movk_i32 s0, 0x7fff
	s_waitcnt vmcnt(0)
	v_xor_b32_e32 v12, v10, v11
	v_ffbh_i32_e32 v5, v11
	v_ashrrev_i32_e32 v12, 31, v12
	v_add_u32_e32 v5, -1, v5
	v_add_u32_e32 v12, 32, v12
	v_min_u32_e32 v5, v5, v12
	v_lshlrev_b64 v[10:11], v5, v[10:11]
	v_sub_u32_e32 v5, 32, v5
	v_min_u32_e32 v10, 1, v10
	v_or_b32_e32 v10, v11, v10
	v_cvt_f32_i32_e32 v10, v10
	v_ldexp_f32 v5, v10, v5
	v_bfe_u32 v10, v5, 16, 1
	v_add3_u32 v5, v5, v10, s0
	v_lshrrev_b32_e32 v10, 16, v5
	s_mov_b64 s[0:1], 0
	s_branch .LBB207_1512
.LBB207_1509:
	s_mov_b64 s[0:1], -1
                                        ; implicit-def: $vgpr10
	s_branch .LBB207_1518
.LBB207_1510:
	s_mov_b64 s[0:1], -1
                                        ; implicit-def: $vgpr10
	s_branch .LBB207_1515
.LBB207_1511:
	s_mov_b64 s[0:1], -1
                                        ; implicit-def: $vgpr10
.LBB207_1512:
	s_andn2_b64 vcc, exec, s[0:1]
	s_cbranch_vccnz .LBB207_1514
; %bb.1513:
	global_load_dword v5, v[8:9], off
	s_movk_i32 s0, 0x7fff
	s_waitcnt vmcnt(0)
	v_cvt_f32_i32_e32 v5, v5
	v_bfe_u32 v10, v5, 16, 1
	v_add3_u32 v5, v5, v10, s0
	v_lshrrev_b32_e32 v10, 16, v5
.LBB207_1514:
	s_mov_b64 s[0:1], 0
.LBB207_1515:
	s_andn2_b64 vcc, exec, s[0:1]
	s_cbranch_vccnz .LBB207_1517
; %bb.1516:
	global_load_sshort v5, v[8:9], off
	s_movk_i32 s0, 0x7fff
	s_waitcnt vmcnt(0)
	v_cvt_f32_i32_e32 v5, v5
	v_bfe_u32 v10, v5, 16, 1
	v_add3_u32 v5, v5, v10, s0
	v_lshrrev_b32_e32 v10, 16, v5
.LBB207_1517:
	s_mov_b64 s[0:1], 0
.LBB207_1518:
	s_andn2_b64 vcc, exec, s[0:1]
	s_cbranch_vccnz .LBB207_1524
; %bb.1519:
	s_cmp_gt_i32 s2, 0
	s_cbranch_scc0 .LBB207_1521
; %bb.1520:
	global_load_sbyte v5, v[8:9], off
	s_movk_i32 s0, 0x7fff
	s_waitcnt vmcnt(0)
	v_cvt_f32_i32_e32 v5, v5
	v_bfe_u32 v10, v5, 16, 1
	v_add3_u32 v5, v5, v10, s0
	v_lshrrev_b32_e32 v10, 16, v5
	s_mov_b64 s[0:1], 0
	s_branch .LBB207_1522
.LBB207_1521:
	s_mov_b64 s[0:1], -1
                                        ; implicit-def: $vgpr10
.LBB207_1522:
	s_andn2_b64 vcc, exec, s[0:1]
	s_cbranch_vccnz .LBB207_1524
; %bb.1523:
	global_load_ubyte v5, v[8:9], off
	s_movk_i32 s0, 0x7fff
	s_waitcnt vmcnt(0)
	v_cvt_f32_ubyte0_e32 v5, v5
	v_bfe_u32 v8, v5, 16, 1
	v_add3_u32 v5, v5, v8, s0
	v_lshrrev_b32_e32 v10, 16, v5
.LBB207_1524:
.LBB207_1525:
	v_mov_b32_e32 v5, s11
	v_add_co_u32_e32 v7, vcc, s10, v7
	s_cmp_lt_i32 s18, 11
	v_addc_co_u32_e32 v8, vcc, 0, v5, vcc
	s_cbranch_scc1 .LBB207_1532
; %bb.1526:
	s_and_b32 s16, 0xffff, s18
	s_cmp_gt_i32 s16, 25
	s_mov_b64 s[2:3], 0
	s_cbranch_scc0 .LBB207_1533
; %bb.1527:
	s_cmp_gt_i32 s16, 28
	s_cbranch_scc0 .LBB207_1534
; %bb.1528:
	s_cmp_gt_i32 s16, 43
	;; [unrolled: 3-line block ×3, first 2 shown]
	s_cbranch_scc0 .LBB207_1537
; %bb.1530:
	s_cmp_eq_u32 s16, 46
	s_mov_b64 s[10:11], 0
	s_cbranch_scc0 .LBB207_1538
; %bb.1531:
	global_load_dword v9, v[7:8], off
	s_mov_b64 s[0:1], 0
	s_mov_b64 s[4:5], -1
	s_branch .LBB207_1539
.LBB207_1532:
	s_mov_b64 s[0:1], -1
	s_mov_b64 s[4:5], 0
                                        ; implicit-def: $vgpr9
	s_branch .LBB207_1605
.LBB207_1533:
	s_mov_b64 s[10:11], -1
	s_mov_b64 s[4:5], 0
	s_mov_b64 s[0:1], 0
                                        ; implicit-def: $vgpr9
	s_branch .LBB207_1568
.LBB207_1534:
	s_mov_b64 s[10:11], -1
	s_mov_b64 s[4:5], 0
	s_mov_b64 s[0:1], 0
                                        ; implicit-def: $vgpr9
	s_branch .LBB207_1549
.LBB207_1535:
	s_mov_b64 s[10:11], -1
	s_mov_b64 s[4:5], 0
	s_mov_b64 s[0:1], 0
                                        ; implicit-def: $vgpr9
	s_branch .LBB207_1544
.LBB207_1536:
	s_trap 2
	s_or_b64 s[12:13], s[12:13], exec
	s_cbranch_execz .LBB207_1475
	s_branch .LBB207_1476
.LBB207_1537:
	s_mov_b64 s[10:11], -1
	s_mov_b64 s[4:5], 0
	s_mov_b64 s[0:1], 0
                                        ; implicit-def: $vgpr9
	s_branch .LBB207_1539
.LBB207_1538:
	s_mov_b64 s[0:1], -1
                                        ; implicit-def: $vgpr9
	s_mov_b64 s[4:5], 0
.LBB207_1539:
	s_and_b64 vcc, exec, s[10:11]
	s_cbranch_vccz .LBB207_1543
; %bb.1540:
	s_cmp_eq_u32 s16, 44
	s_cbranch_scc0 .LBB207_1542
; %bb.1541:
	global_load_ubyte v5, v[7:8], off
	s_movk_i32 s4, 0xff
	s_waitcnt vmcnt(1)
	v_mov_b32_e32 v9, 0x7f800001
	v_mov_b32_e32 v11, 0x400000
	;; [unrolled: 1-line block ×3, first 2 shown]
	s_mov_b64 s[0:1], 0
	s_waitcnt vmcnt(0)
	v_lshlrev_b32_e32 v13, 23, v5
	v_cmp_ne_u32_e32 vcc, s4, v5
	v_cndmask_b32_e32 v9, v9, v13, vcc
	v_cmp_ne_u32_e32 vcc, 0, v5
	v_cndmask_b32_e32 v5, v11, v9, vcc
	v_add_u32_e32 v9, 0x7fff, v5
	v_cmp_o_f32_e32 vcc, v5, v5
	v_cndmask_b32_sdwa v9, v12, v9, vcc dst_sel:DWORD dst_unused:UNUSED_PAD src0_sel:DWORD src1_sel:WORD_1
	s_mov_b64 s[4:5], -1
	s_branch .LBB207_1543
.LBB207_1542:
	s_mov_b64 s[0:1], -1
                                        ; implicit-def: $vgpr9
.LBB207_1543:
	s_mov_b64 s[10:11], 0
.LBB207_1544:
	s_and_b64 vcc, exec, s[10:11]
	s_cbranch_vccz .LBB207_1548
; %bb.1545:
	s_cmp_eq_u32 s16, 29
	s_cbranch_scc0 .LBB207_1547
; %bb.1546:
	global_load_dwordx2 v[11:12], v[7:8], off
	s_movk_i32 s4, 0x7fff
	s_mov_b64 s[0:1], 0
	s_mov_b64 s[10:11], 0
	s_waitcnt vmcnt(0)
	v_ffbh_u32_e32 v5, v12
	v_min_u32_e32 v5, 32, v5
	v_lshlrev_b64 v[11:12], v5, v[11:12]
	v_sub_u32_e32 v5, 32, v5
	v_min_u32_e32 v9, 1, v11
	v_or_b32_e32 v9, v12, v9
	v_cvt_f32_u32_e32 v9, v9
	v_ldexp_f32 v5, v9, v5
	v_bfe_u32 v9, v5, 16, 1
	v_add3_u32 v5, v5, v9, s4
	v_lshrrev_b32_e32 v9, 16, v5
	s_mov_b64 s[4:5], -1
	s_branch .LBB207_1549
.LBB207_1547:
	s_mov_b64 s[0:1], -1
                                        ; implicit-def: $vgpr9
.LBB207_1548:
	s_mov_b64 s[10:11], 0
.LBB207_1549:
	s_and_b64 vcc, exec, s[10:11]
	s_cbranch_vccz .LBB207_1567
; %bb.1550:
	s_cmp_lt_i32 s16, 27
	s_cbranch_scc1 .LBB207_1553
; %bb.1551:
	s_cmp_gt_i32 s16, 27
	s_cbranch_scc0 .LBB207_1554
; %bb.1552:
	global_load_dword v5, v[7:8], off
	s_movk_i32 s4, 0x7fff
	s_waitcnt vmcnt(0)
	v_cvt_f32_u32_e32 v5, v5
	v_bfe_u32 v9, v5, 16, 1
	v_add3_u32 v5, v5, v9, s4
	v_lshrrev_b32_e32 v9, 16, v5
	s_mov_b64 s[4:5], 0
	s_branch .LBB207_1555
.LBB207_1553:
	s_mov_b64 s[4:5], -1
                                        ; implicit-def: $vgpr9
	s_branch .LBB207_1558
.LBB207_1554:
	s_mov_b64 s[4:5], -1
                                        ; implicit-def: $vgpr9
.LBB207_1555:
	s_andn2_b64 vcc, exec, s[4:5]
	s_cbranch_vccnz .LBB207_1557
; %bb.1556:
	global_load_ushort v5, v[7:8], off
	s_movk_i32 s4, 0x7fff
	s_waitcnt vmcnt(0)
	v_cvt_f32_u32_e32 v5, v5
	v_bfe_u32 v9, v5, 16, 1
	v_add3_u32 v5, v5, v9, s4
	v_lshrrev_b32_e32 v9, 16, v5
.LBB207_1557:
	s_mov_b64 s[4:5], 0
.LBB207_1558:
	s_andn2_b64 vcc, exec, s[4:5]
	s_cbranch_vccnz .LBB207_1566
; %bb.1559:
	global_load_ubyte v5, v[7:8], off
	s_movk_i32 s4, 0x7f
	s_waitcnt vmcnt(0)
	v_cmp_lt_i16_e32 vcc, s4, v5
	s_mov_b64 s[4:5], 0
	s_and_saveexec_b64 s[10:11], vcc
	s_xor_b64 s[10:11], exec, s[10:11]
	s_cbranch_execz .LBB207_1580
; %bb.1560:
	s_movk_i32 s4, 0x80
	v_cmp_eq_u16_e32 vcc, s4, v5
	s_mov_b64 s[4:5], -1
	s_and_saveexec_b64 s[14:15], vcc
; %bb.1561:
	s_xor_b64 s[4:5], exec, -1
; %bb.1562:
	s_or_b64 exec, exec, s[14:15]
	s_and_b64 s[4:5], s[4:5], exec
	s_or_saveexec_b64 s[10:11], s[10:11]
	v_mov_b32_e32 v9, 0x7f800001
	s_xor_b64 exec, exec, s[10:11]
	s_cbranch_execnz .LBB207_1581
.LBB207_1563:
	s_or_b64 exec, exec, s[10:11]
	s_and_saveexec_b64 s[10:11], s[4:5]
	s_cbranch_execz .LBB207_1565
.LBB207_1564:
	v_lshlrev_b32_e32 v9, 24, v5
	v_and_b32_e32 v5, 0xffff, v5
	v_and_b32_e32 v11, 7, v5
	v_ffbh_u32_e32 v13, v11
	v_min_u32_e32 v13, 32, v13
	v_subrev_u32_e32 v14, 28, v13
	v_bfe_u32 v12, v5, 3, 4
	v_lshlrev_b32_e32 v5, v14, v5
	v_sub_u32_e32 v13, 29, v13
	v_and_b32_e32 v5, 7, v5
	v_cmp_eq_u32_e32 vcc, 0, v12
	v_cndmask_b32_e32 v12, v12, v13, vcc
	v_cndmask_b32_e32 v5, v11, v5, vcc
	v_mov_b32_e32 v11, 0x3b800000
	v_lshlrev_b32_e32 v5, 20, v5
	v_and_b32_e32 v9, 0x80000000, v9
	v_lshl_add_u32 v11, v12, 23, v11
	v_or3_b32 v9, v9, v11, v5
.LBB207_1565:
	s_or_b64 exec, exec, s[10:11]
	v_bfe_u32 v5, v9, 16, 1
	s_movk_i32 s4, 0x7fff
	v_add3_u32 v5, v9, v5, s4
	v_cmp_o_f32_e32 vcc, v9, v9
	v_mov_b32_e32 v9, 0x7fc0
	v_cndmask_b32_sdwa v9, v9, v5, vcc dst_sel:DWORD dst_unused:UNUSED_PAD src0_sel:DWORD src1_sel:WORD_1
.LBB207_1566:
	s_mov_b64 s[4:5], -1
.LBB207_1567:
	s_mov_b64 s[10:11], 0
.LBB207_1568:
	s_and_b64 vcc, exec, s[10:11]
	s_cbranch_vccz .LBB207_1601
; %bb.1569:
	s_cmp_gt_i32 s16, 22
	s_cbranch_scc0 .LBB207_1579
; %bb.1570:
	s_cmp_lt_i32 s16, 24
	s_cbranch_scc1 .LBB207_1582
; %bb.1571:
	s_cmp_gt_i32 s16, 24
	s_cbranch_scc0 .LBB207_1583
; %bb.1572:
	global_load_ubyte v5, v[7:8], off
	s_movk_i32 s2, 0x7f
	s_waitcnt vmcnt(0)
	v_cmp_lt_i16_e32 vcc, s2, v5
	s_mov_b64 s[2:3], 0
	s_and_saveexec_b64 s[4:5], vcc
	s_xor_b64 s[4:5], exec, s[4:5]
	s_cbranch_execz .LBB207_1595
; %bb.1573:
	s_movk_i32 s2, 0x80
	v_cmp_eq_u16_e32 vcc, s2, v5
	s_mov_b64 s[2:3], -1
	s_and_saveexec_b64 s[10:11], vcc
; %bb.1574:
	s_xor_b64 s[2:3], exec, -1
; %bb.1575:
	s_or_b64 exec, exec, s[10:11]
	s_and_b64 s[2:3], s[2:3], exec
	s_or_saveexec_b64 s[4:5], s[4:5]
	v_mov_b32_e32 v9, 0x7f800001
	s_xor_b64 exec, exec, s[4:5]
	s_cbranch_execnz .LBB207_1596
.LBB207_1576:
	s_or_b64 exec, exec, s[4:5]
	s_and_saveexec_b64 s[4:5], s[2:3]
	s_cbranch_execz .LBB207_1578
.LBB207_1577:
	v_lshlrev_b32_e32 v9, 24, v5
	v_and_b32_e32 v5, 0xffff, v5
	v_and_b32_e32 v11, 3, v5
	v_ffbh_u32_e32 v13, v11
	v_min_u32_e32 v13, 32, v13
	v_subrev_u32_e32 v14, 29, v13
	v_bfe_u32 v12, v5, 2, 5
	v_lshlrev_b32_e32 v5, v14, v5
	v_sub_u32_e32 v13, 30, v13
	v_and_b32_e32 v5, 3, v5
	v_cmp_eq_u32_e32 vcc, 0, v12
	v_cndmask_b32_e32 v12, v12, v13, vcc
	v_cndmask_b32_e32 v5, v11, v5, vcc
	v_mov_b32_e32 v11, 0x37800000
	v_lshlrev_b32_e32 v5, 21, v5
	v_and_b32_e32 v9, 0x80000000, v9
	v_lshl_add_u32 v11, v12, 23, v11
	v_or3_b32 v9, v9, v11, v5
.LBB207_1578:
	s_or_b64 exec, exec, s[4:5]
	v_bfe_u32 v5, v9, 16, 1
	s_movk_i32 s2, 0x7fff
	v_add3_u32 v5, v9, v5, s2
	v_cmp_o_f32_e32 vcc, v9, v9
	v_mov_b32_e32 v9, 0x7fc0
	v_cndmask_b32_sdwa v9, v9, v5, vcc dst_sel:DWORD dst_unused:UNUSED_PAD src0_sel:DWORD src1_sel:WORD_1
	s_mov_b64 s[2:3], 0
	s_branch .LBB207_1584
.LBB207_1579:
	s_mov_b64 s[2:3], -1
                                        ; implicit-def: $vgpr9
	s_branch .LBB207_1590
.LBB207_1580:
	s_or_saveexec_b64 s[10:11], s[10:11]
	v_mov_b32_e32 v9, 0x7f800001
	s_xor_b64 exec, exec, s[10:11]
	s_cbranch_execz .LBB207_1563
.LBB207_1581:
	v_cmp_ne_u16_e32 vcc, 0, v5
	s_andn2_b64 s[4:5], s[4:5], exec
	s_and_b64 s[14:15], vcc, exec
	v_mov_b32_e32 v9, 0
	s_or_b64 s[4:5], s[4:5], s[14:15]
	s_or_b64 exec, exec, s[10:11]
	s_and_saveexec_b64 s[10:11], s[4:5]
	s_cbranch_execnz .LBB207_1564
	s_branch .LBB207_1565
.LBB207_1582:
	s_mov_b64 s[2:3], -1
                                        ; implicit-def: $vgpr9
	s_branch .LBB207_1587
.LBB207_1583:
	s_mov_b64 s[2:3], -1
                                        ; implicit-def: $vgpr9
.LBB207_1584:
	s_and_b64 vcc, exec, s[2:3]
	s_cbranch_vccz .LBB207_1586
; %bb.1585:
	global_load_ubyte v5, v[7:8], off
	s_mov_b32 s2, 0x7f800000
	s_brev_b32 s3, 1
	s_movk_i32 s4, 0x7fff
	s_waitcnt vmcnt(0)
	v_lshlrev_b32_e32 v5, 24, v5
	v_and_b32_e32 v9, 0x7f000000, v5
	v_ffbh_u32_e32 v11, v9
	v_min_u32_e32 v11, 32, v11
	v_sub_u32_e64 v11, v11, 4 clamp
	v_lshlrev_b32_e32 v13, v11, v9
	v_lshlrev_b32_e32 v11, 23, v11
	v_lshrrev_b32_e32 v13, 4, v13
	v_add_u32_e32 v12, 0x1000000, v9
	v_sub_u32_e32 v11, v13, v11
	v_ashrrev_i32_e32 v12, 8, v12
	v_add_u32_e32 v11, 0x3c000000, v11
	v_and_or_b32 v11, v12, s2, v11
	v_cmp_ne_u32_e32 vcc, 0, v9
	v_cndmask_b32_e32 v9, 0, v11, vcc
	v_and_or_b32 v5, v5, s3, v9
	v_bfe_u32 v9, v9, 16, 1
	v_add3_u32 v9, v5, v9, s4
	v_cmp_o_f32_e32 vcc, v5, v5
	v_mov_b32_e32 v5, 0x7fc0
	v_cndmask_b32_sdwa v9, v5, v9, vcc dst_sel:DWORD dst_unused:UNUSED_PAD src0_sel:DWORD src1_sel:WORD_1
.LBB207_1586:
	s_mov_b64 s[2:3], 0
.LBB207_1587:
	s_andn2_b64 vcc, exec, s[2:3]
	s_cbranch_vccnz .LBB207_1589
; %bb.1588:
	global_load_ubyte v5, v[7:8], off
	s_movk_i32 s2, 0x7f00
	s_brev_b32 s3, 16
	s_brev_b32 s4, 1
	s_movk_i32 s5, 0x7fff
	s_waitcnt vmcnt(0)
	v_lshlrev_b16_e32 v9, 8, v5
	v_lshlrev_b32_e32 v5, 25, v5
	v_lshrrev_b32_e32 v11, 4, v5
	v_and_or_b32 v12, v9, s2, 0.5
	v_or_b32_e32 v11, 0x70000000, v11
	v_add_f32_e32 v12, -0.5, v12
	v_mul_f32_e32 v11, 0x7800000, v11
	v_cmp_gt_u32_e32 vcc, s3, v5
	v_bfe_i32 v9, v9, 0, 16
	v_cndmask_b32_e32 v5, v11, v12, vcc
	v_and_or_b32 v9, v9, s4, v5
	v_bfe_u32 v5, v5, 16, 1
	v_add3_u32 v5, v9, v5, s5
	v_cmp_o_f32_e32 vcc, v9, v9
	v_mov_b32_e32 v9, 0x7fc0
	v_cndmask_b32_sdwa v9, v9, v5, vcc dst_sel:DWORD dst_unused:UNUSED_PAD src0_sel:DWORD src1_sel:WORD_1
.LBB207_1589:
	s_mov_b64 s[2:3], 0
	s_mov_b64 s[4:5], -1
.LBB207_1590:
	s_andn2_b64 vcc, exec, s[2:3]
	s_mov_b64 s[2:3], 0
	s_cbranch_vccnz .LBB207_1601
; %bb.1591:
	s_cmp_gt_i32 s16, 14
	s_cbranch_scc0 .LBB207_1594
; %bb.1592:
	s_cmp_eq_u32 s16, 15
	s_cbranch_scc0 .LBB207_1597
; %bb.1593:
	global_load_ushort v9, v[7:8], off
	s_mov_b64 s[0:1], 0
	s_mov_b64 s[4:5], -1
	s_branch .LBB207_1598
.LBB207_1594:
	s_mov_b64 s[10:11], -1
                                        ; implicit-def: $vgpr9
	s_branch .LBB207_1599
.LBB207_1595:
	s_or_saveexec_b64 s[4:5], s[4:5]
	v_mov_b32_e32 v9, 0x7f800001
	s_xor_b64 exec, exec, s[4:5]
	s_cbranch_execz .LBB207_1576
.LBB207_1596:
	v_cmp_ne_u16_e32 vcc, 0, v5
	s_andn2_b64 s[2:3], s[2:3], exec
	s_and_b64 s[10:11], vcc, exec
	v_mov_b32_e32 v9, 0
	s_or_b64 s[2:3], s[2:3], s[10:11]
	s_or_b64 exec, exec, s[4:5]
	s_and_saveexec_b64 s[4:5], s[2:3]
	s_cbranch_execnz .LBB207_1577
	s_branch .LBB207_1578
.LBB207_1597:
	s_mov_b64 s[0:1], -1
                                        ; implicit-def: $vgpr9
.LBB207_1598:
	s_mov_b64 s[10:11], 0
.LBB207_1599:
	s_and_b64 vcc, exec, s[10:11]
	s_cbranch_vccz .LBB207_1601
; %bb.1600:
	s_cmp_lg_u32 s16, 11
	s_mov_b64 s[2:3], -1
	s_cselect_b64 s[0:1], -1, 0
.LBB207_1601:
	s_and_b64 vcc, exec, s[0:1]
	s_cbranch_vccnz .LBB207_2134
; %bb.1602:
	s_andn2_b64 vcc, exec, s[2:3]
	s_cbranch_vccnz .LBB207_1604
.LBB207_1603:
	global_load_ubyte v5, v[7:8], off
	s_mov_b64 s[4:5], -1
	s_waitcnt vmcnt(0)
	v_cmp_ne_u16_e32 vcc, 0, v5
	v_cndmask_b32_e64 v5, 0, 1.0, vcc
	v_lshrrev_b32_e32 v9, 16, v5
.LBB207_1604:
	s_mov_b64 s[0:1], 0
.LBB207_1605:
	s_and_b64 vcc, exec, s[0:1]
	s_cbranch_vccz .LBB207_1654
; %bb.1606:
	s_and_b32 s2, 0xffff, s18
	s_cmp_lt_i32 s2, 5
	s_cbranch_scc1 .LBB207_1611
; %bb.1607:
	s_cmp_lt_i32 s2, 8
	s_cbranch_scc1 .LBB207_1612
; %bb.1608:
	;; [unrolled: 3-line block ×3, first 2 shown]
	s_cmp_gt_i32 s2, 9
	s_cbranch_scc0 .LBB207_1614
; %bb.1610:
	global_load_dwordx2 v[11:12], v[7:8], off
	s_movk_i32 s0, 0x7fff
	s_waitcnt vmcnt(1)
	v_mov_b32_e32 v9, 0x7fc0
	s_waitcnt vmcnt(0)
	v_cvt_f32_f64_e32 v5, v[11:12]
	v_bfe_u32 v11, v5, 16, 1
	v_cmp_o_f32_e32 vcc, v5, v5
	v_add3_u32 v5, v5, v11, s0
	v_cndmask_b32_sdwa v9, v9, v5, vcc dst_sel:DWORD dst_unused:UNUSED_PAD src0_sel:DWORD src1_sel:WORD_1
	s_mov_b64 s[0:1], 0
	s_branch .LBB207_1615
.LBB207_1611:
	s_mov_b64 s[0:1], -1
                                        ; implicit-def: $vgpr9
	s_branch .LBB207_1633
.LBB207_1612:
	s_mov_b64 s[0:1], -1
                                        ; implicit-def: $vgpr9
	s_branch .LBB207_1621
.LBB207_1613:
	s_mov_b64 s[0:1], -1
                                        ; implicit-def: $vgpr9
	s_branch .LBB207_1618
.LBB207_1614:
	s_mov_b64 s[0:1], -1
                                        ; implicit-def: $vgpr9
.LBB207_1615:
	s_andn2_b64 vcc, exec, s[0:1]
	s_cbranch_vccnz .LBB207_1617
; %bb.1616:
	global_load_dword v5, v[7:8], off
	s_movk_i32 s0, 0x7fff
	s_waitcnt vmcnt(1)
	v_mov_b32_e32 v9, 0x7fc0
	s_waitcnt vmcnt(0)
	v_bfe_u32 v11, v5, 16, 1
	v_cmp_o_f32_e32 vcc, v5, v5
	v_add3_u32 v5, v5, v11, s0
	v_cndmask_b32_sdwa v9, v9, v5, vcc dst_sel:DWORD dst_unused:UNUSED_PAD src0_sel:DWORD src1_sel:WORD_1
.LBB207_1617:
	s_mov_b64 s[0:1], 0
.LBB207_1618:
	s_andn2_b64 vcc, exec, s[0:1]
	s_cbranch_vccnz .LBB207_1620
; %bb.1619:
	global_load_dword v5, v[7:8], off
	s_movk_i32 s0, 0x7fff
	v_mov_b32_e32 v11, 0x7fc0
	s_waitcnt vmcnt(0)
	v_cvt_f32_f16_e32 v9, v5
	v_cmp_o_f16_e32 vcc, v5, v5
	v_bfe_u32 v5, v9, 16, 1
	v_add3_u32 v5, v9, v5, s0
	v_cndmask_b32_sdwa v9, v11, v5, vcc dst_sel:DWORD dst_unused:UNUSED_PAD src0_sel:DWORD src1_sel:WORD_1
.LBB207_1620:
	s_mov_b64 s[0:1], 0
.LBB207_1621:
	s_andn2_b64 vcc, exec, s[0:1]
	s_cbranch_vccnz .LBB207_1632
; %bb.1622:
	s_cmp_lt_i32 s2, 6
	s_cbranch_scc1 .LBB207_1625
; %bb.1623:
	s_cmp_gt_i32 s2, 6
	s_cbranch_scc0 .LBB207_1626
; %bb.1624:
	global_load_dwordx2 v[11:12], v[7:8], off
	s_movk_i32 s0, 0x7fff
	s_waitcnt vmcnt(1)
	v_mov_b32_e32 v9, 0x7fc0
	s_waitcnt vmcnt(0)
	v_cvt_f32_f64_e32 v5, v[11:12]
	v_bfe_u32 v11, v5, 16, 1
	v_cmp_o_f32_e32 vcc, v5, v5
	v_add3_u32 v5, v5, v11, s0
	v_cndmask_b32_sdwa v9, v9, v5, vcc dst_sel:DWORD dst_unused:UNUSED_PAD src0_sel:DWORD src1_sel:WORD_1
	s_mov_b64 s[0:1], 0
	s_branch .LBB207_1627
.LBB207_1625:
	s_mov_b64 s[0:1], -1
                                        ; implicit-def: $vgpr9
	s_branch .LBB207_1630
.LBB207_1626:
	s_mov_b64 s[0:1], -1
                                        ; implicit-def: $vgpr9
.LBB207_1627:
	s_andn2_b64 vcc, exec, s[0:1]
	s_cbranch_vccnz .LBB207_1629
; %bb.1628:
	global_load_dword v5, v[7:8], off
	s_movk_i32 s0, 0x7fff
	s_waitcnt vmcnt(1)
	v_mov_b32_e32 v9, 0x7fc0
	s_waitcnt vmcnt(0)
	v_bfe_u32 v11, v5, 16, 1
	v_cmp_o_f32_e32 vcc, v5, v5
	v_add3_u32 v5, v5, v11, s0
	v_cndmask_b32_sdwa v9, v9, v5, vcc dst_sel:DWORD dst_unused:UNUSED_PAD src0_sel:DWORD src1_sel:WORD_1
.LBB207_1629:
	s_mov_b64 s[0:1], 0
.LBB207_1630:
	s_andn2_b64 vcc, exec, s[0:1]
	s_cbranch_vccnz .LBB207_1632
; %bb.1631:
	global_load_ushort v5, v[7:8], off
	s_movk_i32 s0, 0x7fff
	v_mov_b32_e32 v11, 0x7fc0
	s_waitcnt vmcnt(0)
	v_cvt_f32_f16_e32 v9, v5
	v_cmp_o_f16_e32 vcc, v5, v5
	v_bfe_u32 v5, v9, 16, 1
	v_add3_u32 v5, v9, v5, s0
	v_cndmask_b32_sdwa v9, v11, v5, vcc dst_sel:DWORD dst_unused:UNUSED_PAD src0_sel:DWORD src1_sel:WORD_1
.LBB207_1632:
	s_mov_b64 s[0:1], 0
.LBB207_1633:
	s_andn2_b64 vcc, exec, s[0:1]
	s_cbranch_vccnz .LBB207_1653
; %bb.1634:
	s_cmp_lt_i32 s2, 2
	s_cbranch_scc1 .LBB207_1638
; %bb.1635:
	s_cmp_lt_i32 s2, 3
	s_cbranch_scc1 .LBB207_1639
; %bb.1636:
	s_cmp_gt_i32 s2, 3
	s_cbranch_scc0 .LBB207_1640
; %bb.1637:
	global_load_dwordx2 v[11:12], v[7:8], off
	s_movk_i32 s0, 0x7fff
	s_waitcnt vmcnt(0)
	v_xor_b32_e32 v9, v11, v12
	v_ffbh_i32_e32 v5, v12
	v_ashrrev_i32_e32 v9, 31, v9
	v_add_u32_e32 v5, -1, v5
	v_add_u32_e32 v9, 32, v9
	v_min_u32_e32 v5, v5, v9
	v_lshlrev_b64 v[11:12], v5, v[11:12]
	v_sub_u32_e32 v5, 32, v5
	v_min_u32_e32 v9, 1, v11
	v_or_b32_e32 v9, v12, v9
	v_cvt_f32_i32_e32 v9, v9
	v_ldexp_f32 v5, v9, v5
	v_bfe_u32 v9, v5, 16, 1
	v_add3_u32 v5, v5, v9, s0
	v_lshrrev_b32_e32 v9, 16, v5
	s_mov_b64 s[0:1], 0
	s_branch .LBB207_1641
.LBB207_1638:
	s_mov_b64 s[0:1], -1
                                        ; implicit-def: $vgpr9
	s_branch .LBB207_1647
.LBB207_1639:
	s_mov_b64 s[0:1], -1
                                        ; implicit-def: $vgpr9
	s_branch .LBB207_1644
.LBB207_1640:
	s_mov_b64 s[0:1], -1
                                        ; implicit-def: $vgpr9
.LBB207_1641:
	s_andn2_b64 vcc, exec, s[0:1]
	s_cbranch_vccnz .LBB207_1643
; %bb.1642:
	global_load_dword v5, v[7:8], off
	s_movk_i32 s0, 0x7fff
	s_waitcnt vmcnt(0)
	v_cvt_f32_i32_e32 v5, v5
	v_bfe_u32 v9, v5, 16, 1
	v_add3_u32 v5, v5, v9, s0
	v_lshrrev_b32_e32 v9, 16, v5
.LBB207_1643:
	s_mov_b64 s[0:1], 0
.LBB207_1644:
	s_andn2_b64 vcc, exec, s[0:1]
	s_cbranch_vccnz .LBB207_1646
; %bb.1645:
	global_load_sshort v5, v[7:8], off
	s_movk_i32 s0, 0x7fff
	s_waitcnt vmcnt(0)
	v_cvt_f32_i32_e32 v5, v5
	v_bfe_u32 v9, v5, 16, 1
	v_add3_u32 v5, v5, v9, s0
	v_lshrrev_b32_e32 v9, 16, v5
.LBB207_1646:
	s_mov_b64 s[0:1], 0
.LBB207_1647:
	s_andn2_b64 vcc, exec, s[0:1]
	s_cbranch_vccnz .LBB207_1653
; %bb.1648:
	s_cmp_gt_i32 s2, 0
	s_cbranch_scc0 .LBB207_1650
; %bb.1649:
	global_load_sbyte v5, v[7:8], off
	s_movk_i32 s0, 0x7fff
	s_waitcnt vmcnt(0)
	v_cvt_f32_i32_e32 v5, v5
	v_bfe_u32 v9, v5, 16, 1
	v_add3_u32 v5, v5, v9, s0
	v_lshrrev_b32_e32 v9, 16, v5
	s_mov_b64 s[0:1], 0
	s_branch .LBB207_1651
.LBB207_1650:
	s_mov_b64 s[0:1], -1
                                        ; implicit-def: $vgpr9
.LBB207_1651:
	s_andn2_b64 vcc, exec, s[0:1]
	s_cbranch_vccnz .LBB207_1653
; %bb.1652:
	global_load_ubyte v5, v[7:8], off
	s_movk_i32 s0, 0x7fff
	s_waitcnt vmcnt(0)
	v_cvt_f32_ubyte0_e32 v5, v5
	v_bfe_u32 v7, v5, 16, 1
	v_add3_u32 v5, v5, v7, s0
	v_lshrrev_b32_e32 v9, 16, v5
.LBB207_1653:
	s_mov_b64 s[4:5], -1
.LBB207_1654:
	s_andn2_b64 vcc, exec, s[4:5]
	s_cbranch_vccnz .LBB207_2088
; %bb.1655:
	s_load_dwordx2 s[2:3], s[34:35], 0x158
	s_load_dword s4, s[34:35], 0x160
	v_lshlrev_b32_e32 v1, 16, v1
	s_waitcnt lgkmcnt(0)
	s_cmp_eq_u32 s2, 0
	s_cselect_b64 s[0:1], -1, 0
	s_lshl_b32 s21, s3, 16
	v_cmp_eq_f32_e32 vcc, s21, v1
	v_cndmask_b32_e64 v5, 0, 1, vcc
	v_cmp_neq_f32_e32 vcc, s21, v1
	v_cndmask_b32_e64 v1, 0, 1, vcc
	v_cndmask_b32_e64 v1, v1, v5, s[0:1]
	v_and_b32_e32 v1, 1, v1
	s_and_b32 s20, s4, 0xff
	v_cmp_eq_u32_e64 s[2:3], 1, v1
	v_mov_b32_e32 v1, s9
	v_add_co_u32_e32 v5, vcc, s8, v6
	s_cmp_lt_i32 s20, 11
	v_addc_co_u32_e32 v6, vcc, 0, v1, vcc
	s_cbranch_scc1 .LBB207_1733
; %bb.1656:
	s_and_b32 s22, 0xffff, s20
	s_mov_b64 s[16:17], -1
	s_mov_b64 s[10:11], 0
	s_cmp_gt_i32 s22, 25
	s_mov_b64 s[14:15], 0
	s_mov_b64 s[4:5], 0
	s_cbranch_scc0 .LBB207_1689
; %bb.1657:
	s_cmp_gt_i32 s22, 28
	s_cbranch_scc0 .LBB207_1672
; %bb.1658:
	s_cmp_gt_i32 s22, 43
	;; [unrolled: 3-line block ×3, first 2 shown]
	s_cbranch_scc0 .LBB207_1662
; %bb.1660:
	s_mov_b64 s[4:5], -1
	s_mov_b64 s[16:17], 0
	s_cmp_eq_u32 s22, 46
	s_cbranch_scc0 .LBB207_1662
; %bb.1661:
	v_cndmask_b32_e64 v1, 0, 1.0, s[2:3]
	v_bfe_u32 v7, v1, 16, 1
	s_movk_i32 s4, 0x7fff
	v_add3_u32 v1, v1, v7, s4
	v_lshrrev_b32_e32 v1, 16, v1
	global_store_dword v[5:6], v1, off
	s_mov_b64 s[4:5], 0
	s_mov_b64 s[14:15], -1
.LBB207_1662:
	s_and_b64 vcc, exec, s[16:17]
	s_cbranch_vccz .LBB207_1667
; %bb.1663:
	s_cmp_eq_u32 s22, 44
	s_mov_b64 s[4:5], -1
	s_cbranch_scc0 .LBB207_1667
; %bb.1664:
	v_cndmask_b32_e64 v7, 0, 1.0, s[2:3]
	v_lshrrev_b32_e32 v1, 23, v7
	s_movk_i32 s4, 0xff
	v_cmp_ne_u32_e32 vcc, s4, v1
	v_mov_b32_e32 v8, 0xff
	s_and_saveexec_b64 s[14:15], vcc
; %bb.1665:
	s_mov_b32 s4, 0x3fffff
	v_and_b32_e32 v8, 0x400000, v7
	v_and_or_b32 v7, v7, s4, v1
	v_cmp_ne_u32_e32 vcc, 0, v8
	v_cmp_ne_u32_e64 s[4:5], 0, v7
	s_and_b64 s[4:5], vcc, s[4:5]
	v_cndmask_b32_e64 v7, 0, 1, s[4:5]
	v_add_u32_e32 v8, v1, v7
; %bb.1666:
	s_or_b64 exec, exec, s[14:15]
	s_mov_b64 s[4:5], 0
	s_mov_b64 s[14:15], -1
	global_store_byte v[5:6], v8, off
.LBB207_1667:
	s_mov_b64 s[16:17], 0
.LBB207_1668:
	s_and_b64 vcc, exec, s[16:17]
	s_cbranch_vccz .LBB207_1671
; %bb.1669:
	s_cmp_eq_u32 s22, 29
	s_mov_b64 s[4:5], -1
	s_cbranch_scc0 .LBB207_1671
; %bb.1670:
	s_mov_b32 s4, 0
	v_cndmask_b32_e64 v7, 0, 1, s[2:3]
	v_mov_b32_e32 v8, s4
	global_store_dwordx2 v[5:6], v[7:8], off
	s_mov_b64 s[4:5], 0
	s_mov_b64 s[14:15], -1
.LBB207_1671:
	s_mov_b64 s[16:17], 0
.LBB207_1672:
	s_and_b64 vcc, exec, s[16:17]
	s_cbranch_vccz .LBB207_1688
; %bb.1673:
	s_cmp_lt_i32 s22, 27
	s_mov_b64 s[14:15], -1
	s_cbranch_scc1 .LBB207_1679
; %bb.1674:
	s_cmp_gt_i32 s22, 27
	s_cbranch_scc0 .LBB207_1676
; %bb.1675:
	v_cndmask_b32_e64 v1, 0, 1, s[2:3]
	s_mov_b64 s[14:15], 0
	global_store_dword v[5:6], v1, off
.LBB207_1676:
	s_andn2_b64 vcc, exec, s[14:15]
	s_cbranch_vccnz .LBB207_1678
; %bb.1677:
	v_cndmask_b32_e64 v1, 0, 1, s[2:3]
	global_store_short v[5:6], v1, off
.LBB207_1678:
	s_mov_b64 s[14:15], 0
.LBB207_1679:
	s_andn2_b64 vcc, exec, s[14:15]
	s_cbranch_vccnz .LBB207_1687
; %bb.1680:
	v_cndmask_b32_e64 v7, 0, 1.0, s[2:3]
	s_mov_b32 s14, 0x43800000
	v_cmp_gt_u32_e32 vcc, s14, v7
	v_mov_b32_e32 v8, 0x80
	s_and_saveexec_b64 s[14:15], vcc
	s_cbranch_execz .LBB207_1686
; %bb.1681:
	s_mov_b32 s16, 0x3bffffff
	v_cmp_lt_u32_e32 vcc, s16, v7
	s_mov_b64 s[16:17], 0
                                        ; implicit-def: $vgpr1
	s_and_saveexec_b64 s[18:19], vcc
	s_xor_b64 s[18:19], exec, s[18:19]
	s_cbranch_execz .LBB207_2135
; %bb.1682:
	v_bfe_u32 v1, v7, 20, 1
	s_mov_b32 s23, 0x487ffff
	v_add3_u32 v1, v7, v1, s23
	s_mov_b64 s[16:17], exec
	v_lshrrev_b32_e32 v1, 20, v1
                                        ; implicit-def: $vgpr7
	s_andn2_saveexec_b64 s[18:19], s[18:19]
	s_cbranch_execnz .LBB207_2136
.LBB207_1683:
	s_or_b64 exec, exec, s[18:19]
	v_mov_b32_e32 v8, 0
	s_and_saveexec_b64 s[18:19], s[16:17]
.LBB207_1684:
	v_mov_b32_e32 v8, v1
.LBB207_1685:
	s_or_b64 exec, exec, s[18:19]
.LBB207_1686:
	s_or_b64 exec, exec, s[14:15]
	global_store_byte v[5:6], v8, off
.LBB207_1687:
	s_mov_b64 s[14:15], -1
.LBB207_1688:
	s_mov_b64 s[16:17], 0
.LBB207_1689:
	s_and_b64 vcc, exec, s[16:17]
	s_cbranch_vccz .LBB207_1729
; %bb.1690:
	s_cmp_gt_i32 s22, 22
	s_mov_b64 s[10:11], -1
	s_cbranch_scc0 .LBB207_1722
; %bb.1691:
	s_cmp_lt_i32 s22, 24
	s_cbranch_scc1 .LBB207_1711
; %bb.1692:
	s_cmp_gt_i32 s22, 24
	s_cbranch_scc0 .LBB207_1700
; %bb.1693:
	v_cndmask_b32_e64 v7, 0, 1.0, s[2:3]
	s_mov_b32 s10, 0x47800000
	v_cmp_gt_u32_e32 vcc, s10, v7
	v_mov_b32_e32 v8, 0x80
	s_and_saveexec_b64 s[10:11], vcc
	s_cbranch_execz .LBB207_1699
; %bb.1694:
	s_mov_b32 s14, 0x37ffffff
	v_cmp_lt_u32_e32 vcc, s14, v7
	s_mov_b64 s[14:15], 0
                                        ; implicit-def: $vgpr1
	s_and_saveexec_b64 s[16:17], vcc
	s_xor_b64 s[16:17], exec, s[16:17]
	s_cbranch_execz .LBB207_2138
; %bb.1695:
	v_bfe_u32 v1, v7, 21, 1
	s_mov_b32 s18, 0x88fffff
	v_add3_u32 v1, v7, v1, s18
	s_mov_b64 s[14:15], exec
	v_lshrrev_b32_e32 v1, 21, v1
                                        ; implicit-def: $vgpr7
	s_andn2_saveexec_b64 s[16:17], s[16:17]
	s_cbranch_execnz .LBB207_2139
.LBB207_1696:
	s_or_b64 exec, exec, s[16:17]
	v_mov_b32_e32 v8, 0
	s_and_saveexec_b64 s[16:17], s[14:15]
.LBB207_1697:
	v_mov_b32_e32 v8, v1
.LBB207_1698:
	s_or_b64 exec, exec, s[16:17]
.LBB207_1699:
	s_or_b64 exec, exec, s[10:11]
	s_mov_b64 s[10:11], 0
	global_store_byte v[5:6], v8, off
.LBB207_1700:
	s_and_b64 vcc, exec, s[10:11]
	s_cbranch_vccz .LBB207_1710
; %bb.1701:
	v_cndmask_b32_e64 v1, 0, 1.0, s[2:3]
	s_mov_b32 s10, 0x43f00000
	v_cmp_gt_u32_e32 vcc, s10, v1
                                        ; implicit-def: $vgpr7
	s_and_saveexec_b64 s[10:11], vcc
	s_xor_b64 s[10:11], exec, s[10:11]
	s_cbranch_execz .LBB207_1707
; %bb.1702:
	s_mov_b32 s14, 0x3c7fffff
	v_cmp_lt_u32_e32 vcc, s14, v1
                                        ; implicit-def: $vgpr7
	s_and_saveexec_b64 s[14:15], vcc
	s_xor_b64 s[14:15], exec, s[14:15]
; %bb.1703:
	v_bfe_u32 v7, v1, 20, 1
	s_mov_b32 s16, 0x407ffff
	v_add3_u32 v1, v1, v7, s16
	v_lshrrev_b32_e32 v7, 20, v1
	v_and_b32_e32 v1, 0xff00000, v1
	s_mov_b32 s16, 0x7f00000
	v_mov_b32_e32 v8, 0x7e
	v_cmp_ne_u32_e32 vcc, s16, v1
	v_cndmask_b32_e32 v7, v8, v7, vcc
                                        ; implicit-def: $vgpr1
; %bb.1704:
	s_andn2_saveexec_b64 s[14:15], s[14:15]
; %bb.1705:
	v_add_f32_e32 v7, 0x46800000, v1
; %bb.1706:
	s_or_b64 exec, exec, s[14:15]
                                        ; implicit-def: $vgpr1
.LBB207_1707:
	s_andn2_saveexec_b64 s[10:11], s[10:11]
; %bb.1708:
	s_mov_b32 s14, 0x7f800000
	v_mov_b32_e32 v7, 0x7e
	v_mov_b32_e32 v8, 0x7f
	v_cmp_lt_u32_e32 vcc, s14, v1
	v_cndmask_b32_e32 v7, v7, v8, vcc
; %bb.1709:
	s_or_b64 exec, exec, s[10:11]
	global_store_byte v[5:6], v7, off
.LBB207_1710:
	s_mov_b64 s[10:11], 0
.LBB207_1711:
	s_andn2_b64 vcc, exec, s[10:11]
	s_cbranch_vccnz .LBB207_1721
; %bb.1712:
	v_cndmask_b32_e64 v1, 0, 1.0, s[2:3]
	s_mov_b32 s10, 0x47800000
	v_cmp_gt_u32_e32 vcc, s10, v1
                                        ; implicit-def: $vgpr7
	s_and_saveexec_b64 s[10:11], vcc
	s_xor_b64 s[10:11], exec, s[10:11]
	s_cbranch_execz .LBB207_1718
; %bb.1713:
	s_mov_b32 s14, 0x387fffff
	v_cmp_lt_u32_e32 vcc, s14, v1
                                        ; implicit-def: $vgpr7
	s_and_saveexec_b64 s[14:15], vcc
	s_xor_b64 s[14:15], exec, s[14:15]
; %bb.1714:
	v_bfe_u32 v7, v1, 21, 1
	s_mov_b32 s16, 0x80fffff
	v_add3_u32 v1, v1, v7, s16
	v_lshrrev_b32_e32 v7, 21, v1
                                        ; implicit-def: $vgpr1
; %bb.1715:
	s_andn2_saveexec_b64 s[14:15], s[14:15]
; %bb.1716:
	v_add_f32_e32 v7, 0x43000000, v1
; %bb.1717:
	s_or_b64 exec, exec, s[14:15]
                                        ; implicit-def: $vgpr1
.LBB207_1718:
	s_andn2_saveexec_b64 s[10:11], s[10:11]
; %bb.1719:
	s_mov_b32 s14, 0x7f800000
	v_mov_b32_e32 v7, 0x7c
	v_mov_b32_e32 v8, 0x7f
	v_cmp_lt_u32_e32 vcc, s14, v1
	v_cndmask_b32_e32 v7, v7, v8, vcc
; %bb.1720:
	s_or_b64 exec, exec, s[10:11]
	global_store_byte v[5:6], v7, off
.LBB207_1721:
	s_mov_b64 s[10:11], 0
	s_mov_b64 s[14:15], -1
.LBB207_1722:
	s_andn2_b64 vcc, exec, s[10:11]
	s_mov_b64 s[10:11], 0
	s_cbranch_vccnz .LBB207_1729
; %bb.1723:
	s_cmp_gt_i32 s22, 14
	s_mov_b64 s[16:17], -1
	s_cbranch_scc0 .LBB207_1727
; %bb.1724:
	s_cmp_eq_u32 s22, 15
	s_mov_b64 s[4:5], -1
	s_cbranch_scc0 .LBB207_1726
; %bb.1725:
	v_cndmask_b32_e64 v1, 0, 1.0, s[2:3]
	v_bfe_u32 v7, v1, 16, 1
	s_movk_i32 s4, 0x7fff
	v_add3_u32 v1, v1, v7, s4
	global_store_short_d16_hi v[5:6], v1, off
	s_mov_b64 s[4:5], 0
	s_mov_b64 s[14:15], -1
.LBB207_1726:
	s_mov_b64 s[16:17], 0
.LBB207_1727:
	s_and_b64 vcc, exec, s[16:17]
	s_cbranch_vccz .LBB207_1729
; %bb.1728:
	s_cmp_lg_u32 s22, 11
	s_mov_b64 s[10:11], -1
	s_cselect_b64 s[4:5], -1, 0
.LBB207_1729:
	s_and_b64 vcc, exec, s[4:5]
	s_cbranch_vccnz .LBB207_2137
; %bb.1730:
	s_andn2_b64 vcc, exec, s[10:11]
	s_cbranch_vccnz .LBB207_1732
.LBB207_1731:
	v_cndmask_b32_e64 v1, 0, 1, s[2:3]
	s_mov_b64 s[14:15], -1
	global_store_byte v[5:6], v1, off
.LBB207_1732:
	s_mov_b64 s[4:5], 0
	s_branch .LBB207_1734
.LBB207_1733:
	s_mov_b64 s[4:5], -1
	s_mov_b64 s[14:15], 0
.LBB207_1734:
	s_and_b64 vcc, exec, s[4:5]
	s_cbranch_vccz .LBB207_1773
; %bb.1735:
	s_and_b32 s10, 0xffff, s20
	s_cmp_lt_i32 s10, 5
	s_mov_b64 s[4:5], -1
	s_cbranch_scc1 .LBB207_1756
; %bb.1736:
	s_cmp_lt_i32 s10, 8
	s_cbranch_scc1 .LBB207_1746
; %bb.1737:
	s_cmp_lt_i32 s10, 9
	s_cbranch_scc1 .LBB207_1743
; %bb.1738:
	s_cmp_gt_i32 s10, 9
	s_cbranch_scc0 .LBB207_1740
; %bb.1739:
	v_cndmask_b32_e64 v1, 0, 1, s[2:3]
	v_cvt_f64_u32_e32 v[11:12], v1
	v_mov_b32_e32 v13, 0
	v_mov_b32_e32 v14, v13
	s_mov_b64 s[4:5], 0
	global_store_dwordx4 v[5:6], v[11:14], off
.LBB207_1740:
	s_andn2_b64 vcc, exec, s[4:5]
	s_cbranch_vccnz .LBB207_1742
; %bb.1741:
	v_cndmask_b32_e64 v7, 0, 1.0, s[2:3]
	v_mov_b32_e32 v8, 0
	global_store_dwordx2 v[5:6], v[7:8], off
.LBB207_1742:
	s_mov_b64 s[4:5], 0
.LBB207_1743:
	s_andn2_b64 vcc, exec, s[4:5]
	s_cbranch_vccnz .LBB207_1745
; %bb.1744:
	v_cndmask_b32_e64 v1, 0, 1.0, s[2:3]
	v_cvt_f16_f32_e32 v1, v1
	global_store_dword v[5:6], v1, off
.LBB207_1745:
	s_mov_b64 s[4:5], 0
.LBB207_1746:
	s_andn2_b64 vcc, exec, s[4:5]
	s_cbranch_vccnz .LBB207_1755
; %bb.1747:
	s_cmp_lt_i32 s10, 6
	s_mov_b64 s[4:5], -1
	s_cbranch_scc1 .LBB207_1753
; %bb.1748:
	s_cmp_gt_i32 s10, 6
	s_cbranch_scc0 .LBB207_1750
; %bb.1749:
	v_cndmask_b32_e64 v1, 0, 1, s[2:3]
	v_cvt_f64_u32_e32 v[7:8], v1
	s_mov_b64 s[4:5], 0
	global_store_dwordx2 v[5:6], v[7:8], off
.LBB207_1750:
	s_andn2_b64 vcc, exec, s[4:5]
	s_cbranch_vccnz .LBB207_1752
; %bb.1751:
	v_cndmask_b32_e64 v1, 0, 1.0, s[2:3]
	global_store_dword v[5:6], v1, off
.LBB207_1752:
	s_mov_b64 s[4:5], 0
.LBB207_1753:
	s_andn2_b64 vcc, exec, s[4:5]
	s_cbranch_vccnz .LBB207_1755
; %bb.1754:
	v_cndmask_b32_e64 v1, 0, 1.0, s[2:3]
	v_cvt_f16_f32_e32 v1, v1
	global_store_short v[5:6], v1, off
.LBB207_1755:
	s_mov_b64 s[4:5], 0
.LBB207_1756:
	s_andn2_b64 vcc, exec, s[4:5]
	s_cbranch_vccnz .LBB207_1772
; %bb.1757:
	s_cmp_lt_i32 s10, 2
	s_mov_b64 s[4:5], -1
	s_cbranch_scc1 .LBB207_1767
; %bb.1758:
	s_cmp_lt_i32 s10, 3
	s_cbranch_scc1 .LBB207_1764
; %bb.1759:
	s_cmp_gt_i32 s10, 3
	s_cbranch_scc0 .LBB207_1761
; %bb.1760:
	s_mov_b32 s4, 0
	v_cndmask_b32_e64 v7, 0, 1, s[2:3]
	v_mov_b32_e32 v8, s4
	global_store_dwordx2 v[5:6], v[7:8], off
	s_mov_b64 s[4:5], 0
.LBB207_1761:
	s_andn2_b64 vcc, exec, s[4:5]
	s_cbranch_vccnz .LBB207_1763
; %bb.1762:
	v_cndmask_b32_e64 v1, 0, 1, s[2:3]
	global_store_dword v[5:6], v1, off
.LBB207_1763:
	s_mov_b64 s[4:5], 0
.LBB207_1764:
	s_andn2_b64 vcc, exec, s[4:5]
	s_cbranch_vccnz .LBB207_1766
; %bb.1765:
	v_cndmask_b32_e64 v1, 0, 1, s[2:3]
	global_store_short v[5:6], v1, off
.LBB207_1766:
	s_mov_b64 s[4:5], 0
.LBB207_1767:
	s_andn2_b64 vcc, exec, s[4:5]
	s_cbranch_vccnz .LBB207_1772
; %bb.1768:
	s_mov_b64 s[4:5], -1
	s_cmp_gt_i32 s10, 0
	v_cndmask_b32_e64 v1, 0, 1, s[2:3]
	s_cbranch_scc0 .LBB207_1770
; %bb.1769:
	global_store_byte v[5:6], v1, off
	s_mov_b64 s[4:5], 0
.LBB207_1770:
	s_andn2_b64 vcc, exec, s[4:5]
	s_cbranch_vccnz .LBB207_1772
; %bb.1771:
	global_store_byte v[5:6], v1, off
.LBB207_1772:
	s_mov_b64 s[14:15], -1
.LBB207_1773:
	s_andn2_b64 vcc, exec, s[14:15]
	s_cbranch_vccnz .LBB207_2088
; %bb.1774:
	s_waitcnt vmcnt(0)
	v_lshlrev_b32_e32 v1, 16, v3
	v_cmp_eq_f32_e32 vcc, s21, v1
	v_cndmask_b32_e64 v3, 0, 1, vcc
	v_cmp_neq_f32_e32 vcc, s21, v1
	v_cndmask_b32_e64 v1, 0, 1, vcc
	v_cndmask_b32_e64 v1, v1, v3, s[0:1]
	v_and_b32_e32 v1, 1, v1
	v_cmp_eq_u32_e64 s[2:3], 1, v1
	v_mov_b32_e32 v1, s9
	s_and_b32 s22, 0xffff, s20
	v_add_co_u32_e32 v3, vcc, s8, v4
	s_cmp_lt_i32 s22, 11
	v_addc_co_u32_e32 v4, vcc, 0, v1, vcc
	s_cbranch_scc1 .LBB207_1852
; %bb.1775:
	s_mov_b64 s[16:17], -1
	s_mov_b64 s[10:11], 0
	s_cmp_gt_i32 s22, 25
	s_mov_b64 s[14:15], 0
	s_mov_b64 s[4:5], 0
	s_cbranch_scc0 .LBB207_1808
; %bb.1776:
	s_cmp_gt_i32 s22, 28
	s_cbranch_scc0 .LBB207_1791
; %bb.1777:
	s_cmp_gt_i32 s22, 43
	;; [unrolled: 3-line block ×3, first 2 shown]
	s_cbranch_scc0 .LBB207_1781
; %bb.1779:
	s_mov_b64 s[4:5], -1
	s_mov_b64 s[16:17], 0
	s_cmp_eq_u32 s22, 46
	s_cbranch_scc0 .LBB207_1781
; %bb.1780:
	v_cndmask_b32_e64 v1, 0, 1.0, s[2:3]
	v_bfe_u32 v5, v1, 16, 1
	s_movk_i32 s4, 0x7fff
	v_add3_u32 v1, v1, v5, s4
	v_lshrrev_b32_e32 v1, 16, v1
	global_store_dword v[3:4], v1, off
	s_mov_b64 s[4:5], 0
	s_mov_b64 s[14:15], -1
.LBB207_1781:
	s_and_b64 vcc, exec, s[16:17]
	s_cbranch_vccz .LBB207_1786
; %bb.1782:
	s_cmp_eq_u32 s22, 44
	s_mov_b64 s[4:5], -1
	s_cbranch_scc0 .LBB207_1786
; %bb.1783:
	v_cndmask_b32_e64 v5, 0, 1.0, s[2:3]
	v_lshrrev_b32_e32 v1, 23, v5
	s_movk_i32 s4, 0xff
	v_cmp_ne_u32_e32 vcc, s4, v1
	v_mov_b32_e32 v6, 0xff
	s_and_saveexec_b64 s[14:15], vcc
; %bb.1784:
	s_mov_b32 s4, 0x3fffff
	v_and_b32_e32 v6, 0x400000, v5
	v_and_or_b32 v5, v5, s4, v1
	v_cmp_ne_u32_e32 vcc, 0, v6
	v_cmp_ne_u32_e64 s[4:5], 0, v5
	s_and_b64 s[4:5], vcc, s[4:5]
	v_cndmask_b32_e64 v5, 0, 1, s[4:5]
	v_add_u32_e32 v6, v1, v5
; %bb.1785:
	s_or_b64 exec, exec, s[14:15]
	s_mov_b64 s[4:5], 0
	s_mov_b64 s[14:15], -1
	global_store_byte v[3:4], v6, off
.LBB207_1786:
	s_mov_b64 s[16:17], 0
.LBB207_1787:
	s_and_b64 vcc, exec, s[16:17]
	s_cbranch_vccz .LBB207_1790
; %bb.1788:
	s_cmp_eq_u32 s22, 29
	s_mov_b64 s[4:5], -1
	s_cbranch_scc0 .LBB207_1790
; %bb.1789:
	s_mov_b32 s4, 0
	v_cndmask_b32_e64 v5, 0, 1, s[2:3]
	v_mov_b32_e32 v6, s4
	global_store_dwordx2 v[3:4], v[5:6], off
	s_mov_b64 s[4:5], 0
	s_mov_b64 s[14:15], -1
.LBB207_1790:
	s_mov_b64 s[16:17], 0
.LBB207_1791:
	s_and_b64 vcc, exec, s[16:17]
	s_cbranch_vccz .LBB207_1807
; %bb.1792:
	s_cmp_lt_i32 s22, 27
	s_mov_b64 s[14:15], -1
	s_cbranch_scc1 .LBB207_1798
; %bb.1793:
	s_cmp_gt_i32 s22, 27
	s_cbranch_scc0 .LBB207_1795
; %bb.1794:
	v_cndmask_b32_e64 v1, 0, 1, s[2:3]
	s_mov_b64 s[14:15], 0
	global_store_dword v[3:4], v1, off
.LBB207_1795:
	s_andn2_b64 vcc, exec, s[14:15]
	s_cbranch_vccnz .LBB207_1797
; %bb.1796:
	v_cndmask_b32_e64 v1, 0, 1, s[2:3]
	global_store_short v[3:4], v1, off
.LBB207_1797:
	s_mov_b64 s[14:15], 0
.LBB207_1798:
	s_andn2_b64 vcc, exec, s[14:15]
	s_cbranch_vccnz .LBB207_1806
; %bb.1799:
	v_cndmask_b32_e64 v5, 0, 1.0, s[2:3]
	s_mov_b32 s14, 0x43800000
	v_cmp_gt_u32_e32 vcc, s14, v5
	v_mov_b32_e32 v6, 0x80
	s_and_saveexec_b64 s[14:15], vcc
	s_cbranch_execz .LBB207_1805
; %bb.1800:
	s_mov_b32 s16, 0x3bffffff
	v_cmp_lt_u32_e32 vcc, s16, v5
	s_mov_b64 s[16:17], 0
                                        ; implicit-def: $vgpr1
	s_and_saveexec_b64 s[18:19], vcc
	s_xor_b64 s[18:19], exec, s[18:19]
	s_cbranch_execz .LBB207_2140
; %bb.1801:
	v_bfe_u32 v1, v5, 20, 1
	s_mov_b32 s23, 0x487ffff
	v_add3_u32 v1, v5, v1, s23
	s_mov_b64 s[16:17], exec
	v_lshrrev_b32_e32 v1, 20, v1
                                        ; implicit-def: $vgpr5
	s_andn2_saveexec_b64 s[18:19], s[18:19]
	s_cbranch_execnz .LBB207_2141
.LBB207_1802:
	s_or_b64 exec, exec, s[18:19]
	v_mov_b32_e32 v6, 0
	s_and_saveexec_b64 s[18:19], s[16:17]
.LBB207_1803:
	v_mov_b32_e32 v6, v1
.LBB207_1804:
	s_or_b64 exec, exec, s[18:19]
.LBB207_1805:
	s_or_b64 exec, exec, s[14:15]
	global_store_byte v[3:4], v6, off
.LBB207_1806:
	s_mov_b64 s[14:15], -1
.LBB207_1807:
	s_mov_b64 s[16:17], 0
.LBB207_1808:
	s_and_b64 vcc, exec, s[16:17]
	s_cbranch_vccz .LBB207_1848
; %bb.1809:
	s_cmp_gt_i32 s22, 22
	s_mov_b64 s[10:11], -1
	s_cbranch_scc0 .LBB207_1841
; %bb.1810:
	s_cmp_lt_i32 s22, 24
	s_cbranch_scc1 .LBB207_1830
; %bb.1811:
	s_cmp_gt_i32 s22, 24
	s_cbranch_scc0 .LBB207_1819
; %bb.1812:
	v_cndmask_b32_e64 v5, 0, 1.0, s[2:3]
	s_mov_b32 s10, 0x47800000
	v_cmp_gt_u32_e32 vcc, s10, v5
	v_mov_b32_e32 v6, 0x80
	s_and_saveexec_b64 s[10:11], vcc
	s_cbranch_execz .LBB207_1818
; %bb.1813:
	s_mov_b32 s14, 0x37ffffff
	v_cmp_lt_u32_e32 vcc, s14, v5
	s_mov_b64 s[14:15], 0
                                        ; implicit-def: $vgpr1
	s_and_saveexec_b64 s[16:17], vcc
	s_xor_b64 s[16:17], exec, s[16:17]
	s_cbranch_execz .LBB207_2143
; %bb.1814:
	v_bfe_u32 v1, v5, 21, 1
	s_mov_b32 s18, 0x88fffff
	v_add3_u32 v1, v5, v1, s18
	s_mov_b64 s[14:15], exec
	v_lshrrev_b32_e32 v1, 21, v1
                                        ; implicit-def: $vgpr5
	s_andn2_saveexec_b64 s[16:17], s[16:17]
	s_cbranch_execnz .LBB207_2144
.LBB207_1815:
	s_or_b64 exec, exec, s[16:17]
	v_mov_b32_e32 v6, 0
	s_and_saveexec_b64 s[16:17], s[14:15]
.LBB207_1816:
	v_mov_b32_e32 v6, v1
.LBB207_1817:
	s_or_b64 exec, exec, s[16:17]
.LBB207_1818:
	s_or_b64 exec, exec, s[10:11]
	s_mov_b64 s[10:11], 0
	global_store_byte v[3:4], v6, off
.LBB207_1819:
	s_and_b64 vcc, exec, s[10:11]
	s_cbranch_vccz .LBB207_1829
; %bb.1820:
	v_cndmask_b32_e64 v1, 0, 1.0, s[2:3]
	s_mov_b32 s10, 0x43f00000
	v_cmp_gt_u32_e32 vcc, s10, v1
                                        ; implicit-def: $vgpr5
	s_and_saveexec_b64 s[10:11], vcc
	s_xor_b64 s[10:11], exec, s[10:11]
	s_cbranch_execz .LBB207_1826
; %bb.1821:
	s_mov_b32 s14, 0x3c7fffff
	v_cmp_lt_u32_e32 vcc, s14, v1
                                        ; implicit-def: $vgpr5
	s_and_saveexec_b64 s[14:15], vcc
	s_xor_b64 s[14:15], exec, s[14:15]
; %bb.1822:
	v_bfe_u32 v5, v1, 20, 1
	s_mov_b32 s16, 0x407ffff
	v_add3_u32 v1, v1, v5, s16
	v_lshrrev_b32_e32 v5, 20, v1
	v_and_b32_e32 v1, 0xff00000, v1
	s_mov_b32 s16, 0x7f00000
	v_mov_b32_e32 v6, 0x7e
	v_cmp_ne_u32_e32 vcc, s16, v1
	v_cndmask_b32_e32 v5, v6, v5, vcc
                                        ; implicit-def: $vgpr1
; %bb.1823:
	s_andn2_saveexec_b64 s[14:15], s[14:15]
; %bb.1824:
	v_add_f32_e32 v5, 0x46800000, v1
; %bb.1825:
	s_or_b64 exec, exec, s[14:15]
                                        ; implicit-def: $vgpr1
.LBB207_1826:
	s_andn2_saveexec_b64 s[10:11], s[10:11]
; %bb.1827:
	s_mov_b32 s14, 0x7f800000
	v_mov_b32_e32 v5, 0x7e
	v_mov_b32_e32 v6, 0x7f
	v_cmp_lt_u32_e32 vcc, s14, v1
	v_cndmask_b32_e32 v5, v5, v6, vcc
; %bb.1828:
	s_or_b64 exec, exec, s[10:11]
	global_store_byte v[3:4], v5, off
.LBB207_1829:
	s_mov_b64 s[10:11], 0
.LBB207_1830:
	s_andn2_b64 vcc, exec, s[10:11]
	s_cbranch_vccnz .LBB207_1840
; %bb.1831:
	v_cndmask_b32_e64 v1, 0, 1.0, s[2:3]
	s_mov_b32 s10, 0x47800000
	v_cmp_gt_u32_e32 vcc, s10, v1
                                        ; implicit-def: $vgpr5
	s_and_saveexec_b64 s[10:11], vcc
	s_xor_b64 s[10:11], exec, s[10:11]
	s_cbranch_execz .LBB207_1837
; %bb.1832:
	s_mov_b32 s14, 0x387fffff
	v_cmp_lt_u32_e32 vcc, s14, v1
                                        ; implicit-def: $vgpr5
	s_and_saveexec_b64 s[14:15], vcc
	s_xor_b64 s[14:15], exec, s[14:15]
; %bb.1833:
	v_bfe_u32 v5, v1, 21, 1
	s_mov_b32 s16, 0x80fffff
	v_add3_u32 v1, v1, v5, s16
	v_lshrrev_b32_e32 v5, 21, v1
                                        ; implicit-def: $vgpr1
; %bb.1834:
	s_andn2_saveexec_b64 s[14:15], s[14:15]
; %bb.1835:
	v_add_f32_e32 v5, 0x43000000, v1
; %bb.1836:
	s_or_b64 exec, exec, s[14:15]
                                        ; implicit-def: $vgpr1
.LBB207_1837:
	s_andn2_saveexec_b64 s[10:11], s[10:11]
; %bb.1838:
	s_mov_b32 s14, 0x7f800000
	v_mov_b32_e32 v5, 0x7c
	v_mov_b32_e32 v6, 0x7f
	v_cmp_lt_u32_e32 vcc, s14, v1
	v_cndmask_b32_e32 v5, v5, v6, vcc
; %bb.1839:
	s_or_b64 exec, exec, s[10:11]
	global_store_byte v[3:4], v5, off
.LBB207_1840:
	s_mov_b64 s[10:11], 0
	s_mov_b64 s[14:15], -1
.LBB207_1841:
	s_andn2_b64 vcc, exec, s[10:11]
	s_mov_b64 s[10:11], 0
	s_cbranch_vccnz .LBB207_1848
; %bb.1842:
	s_cmp_gt_i32 s22, 14
	s_mov_b64 s[16:17], -1
	s_cbranch_scc0 .LBB207_1846
; %bb.1843:
	s_cmp_eq_u32 s22, 15
	s_mov_b64 s[4:5], -1
	s_cbranch_scc0 .LBB207_1845
; %bb.1844:
	v_cndmask_b32_e64 v1, 0, 1.0, s[2:3]
	v_bfe_u32 v5, v1, 16, 1
	s_movk_i32 s4, 0x7fff
	v_add3_u32 v1, v1, v5, s4
	global_store_short_d16_hi v[3:4], v1, off
	s_mov_b64 s[4:5], 0
	s_mov_b64 s[14:15], -1
.LBB207_1845:
	s_mov_b64 s[16:17], 0
.LBB207_1846:
	s_and_b64 vcc, exec, s[16:17]
	s_cbranch_vccz .LBB207_1848
; %bb.1847:
	s_cmp_lg_u32 s22, 11
	s_mov_b64 s[10:11], -1
	s_cselect_b64 s[4:5], -1, 0
.LBB207_1848:
	s_and_b64 vcc, exec, s[4:5]
	s_cbranch_vccnz .LBB207_2142
; %bb.1849:
	s_andn2_b64 vcc, exec, s[10:11]
	s_cbranch_vccnz .LBB207_1851
.LBB207_1850:
	v_cndmask_b32_e64 v1, 0, 1, s[2:3]
	s_mov_b64 s[14:15], -1
	global_store_byte v[3:4], v1, off
.LBB207_1851:
	s_mov_b64 s[4:5], 0
	s_branch .LBB207_1853
.LBB207_1852:
	s_mov_b64 s[4:5], -1
	s_mov_b64 s[14:15], 0
.LBB207_1853:
	s_and_b64 vcc, exec, s[4:5]
	s_cbranch_vccz .LBB207_1892
; %bb.1854:
	s_cmp_lt_i32 s22, 5
	s_mov_b64 s[4:5], -1
	s_cbranch_scc1 .LBB207_1875
; %bb.1855:
	s_cmp_lt_i32 s22, 8
	s_cbranch_scc1 .LBB207_1865
; %bb.1856:
	s_cmp_lt_i32 s22, 9
	s_cbranch_scc1 .LBB207_1862
; %bb.1857:
	s_cmp_gt_i32 s22, 9
	s_cbranch_scc0 .LBB207_1859
; %bb.1858:
	v_cndmask_b32_e64 v1, 0, 1, s[2:3]
	v_cvt_f64_u32_e32 v[5:6], v1
	v_mov_b32_e32 v7, 0
	v_mov_b32_e32 v8, v7
	s_mov_b64 s[4:5], 0
	global_store_dwordx4 v[3:4], v[5:8], off
.LBB207_1859:
	s_andn2_b64 vcc, exec, s[4:5]
	s_cbranch_vccnz .LBB207_1861
; %bb.1860:
	v_cndmask_b32_e64 v5, 0, 1.0, s[2:3]
	v_mov_b32_e32 v6, 0
	global_store_dwordx2 v[3:4], v[5:6], off
.LBB207_1861:
	s_mov_b64 s[4:5], 0
.LBB207_1862:
	s_andn2_b64 vcc, exec, s[4:5]
	s_cbranch_vccnz .LBB207_1864
; %bb.1863:
	v_cndmask_b32_e64 v1, 0, 1.0, s[2:3]
	v_cvt_f16_f32_e32 v1, v1
	global_store_dword v[3:4], v1, off
.LBB207_1864:
	s_mov_b64 s[4:5], 0
.LBB207_1865:
	s_andn2_b64 vcc, exec, s[4:5]
	s_cbranch_vccnz .LBB207_1874
; %bb.1866:
	s_cmp_lt_i32 s22, 6
	s_mov_b64 s[4:5], -1
	s_cbranch_scc1 .LBB207_1872
; %bb.1867:
	s_cmp_gt_i32 s22, 6
	s_cbranch_scc0 .LBB207_1869
; %bb.1868:
	v_cndmask_b32_e64 v1, 0, 1, s[2:3]
	v_cvt_f64_u32_e32 v[5:6], v1
	s_mov_b64 s[4:5], 0
	global_store_dwordx2 v[3:4], v[5:6], off
.LBB207_1869:
	s_andn2_b64 vcc, exec, s[4:5]
	s_cbranch_vccnz .LBB207_1871
; %bb.1870:
	v_cndmask_b32_e64 v1, 0, 1.0, s[2:3]
	global_store_dword v[3:4], v1, off
.LBB207_1871:
	s_mov_b64 s[4:5], 0
.LBB207_1872:
	s_andn2_b64 vcc, exec, s[4:5]
	s_cbranch_vccnz .LBB207_1874
; %bb.1873:
	v_cndmask_b32_e64 v1, 0, 1.0, s[2:3]
	v_cvt_f16_f32_e32 v1, v1
	global_store_short v[3:4], v1, off
.LBB207_1874:
	s_mov_b64 s[4:5], 0
.LBB207_1875:
	s_andn2_b64 vcc, exec, s[4:5]
	s_cbranch_vccnz .LBB207_1891
; %bb.1876:
	s_cmp_lt_i32 s22, 2
	s_mov_b64 s[4:5], -1
	s_cbranch_scc1 .LBB207_1886
; %bb.1877:
	s_cmp_lt_i32 s22, 3
	s_cbranch_scc1 .LBB207_1883
; %bb.1878:
	s_cmp_gt_i32 s22, 3
	s_cbranch_scc0 .LBB207_1880
; %bb.1879:
	s_mov_b32 s4, 0
	v_cndmask_b32_e64 v5, 0, 1, s[2:3]
	v_mov_b32_e32 v6, s4
	global_store_dwordx2 v[3:4], v[5:6], off
	s_mov_b64 s[4:5], 0
.LBB207_1880:
	s_andn2_b64 vcc, exec, s[4:5]
	s_cbranch_vccnz .LBB207_1882
; %bb.1881:
	v_cndmask_b32_e64 v1, 0, 1, s[2:3]
	global_store_dword v[3:4], v1, off
.LBB207_1882:
	s_mov_b64 s[4:5], 0
.LBB207_1883:
	s_andn2_b64 vcc, exec, s[4:5]
	s_cbranch_vccnz .LBB207_1885
; %bb.1884:
	v_cndmask_b32_e64 v1, 0, 1, s[2:3]
	global_store_short v[3:4], v1, off
.LBB207_1885:
	s_mov_b64 s[4:5], 0
.LBB207_1886:
	s_andn2_b64 vcc, exec, s[4:5]
	s_cbranch_vccnz .LBB207_1891
; %bb.1887:
	s_mov_b64 s[4:5], -1
	s_cmp_gt_i32 s22, 0
	v_cndmask_b32_e64 v1, 0, 1, s[2:3]
	s_cbranch_scc0 .LBB207_1889
; %bb.1888:
	global_store_byte v[3:4], v1, off
	s_mov_b64 s[4:5], 0
.LBB207_1889:
	s_andn2_b64 vcc, exec, s[4:5]
	s_cbranch_vccnz .LBB207_1891
; %bb.1890:
	global_store_byte v[3:4], v1, off
.LBB207_1891:
	s_mov_b64 s[14:15], -1
.LBB207_1892:
	s_andn2_b64 vcc, exec, s[14:15]
	s_cbranch_vccnz .LBB207_2088
; %bb.1893:
	v_lshlrev_b32_e32 v1, 16, v10
	v_cmp_eq_f32_e32 vcc, s21, v1
	v_cndmask_b32_e64 v3, 0, 1, vcc
	v_cmp_neq_f32_e32 vcc, s21, v1
	v_cndmask_b32_e64 v1, 0, 1, vcc
	v_cndmask_b32_e64 v1, v1, v3, s[0:1]
	v_and_b32_e32 v1, 1, v1
	v_cmp_eq_u32_e64 s[2:3], 1, v1
	v_mov_b32_e32 v3, s9
	v_add_co_u32_e32 v1, vcc, s8, v2
	s_cmp_lt_i32 s22, 11
	v_addc_co_u32_e32 v2, vcc, 0, v3, vcc
	s_cbranch_scc1 .LBB207_1971
; %bb.1894:
	s_mov_b64 s[16:17], -1
	s_mov_b64 s[10:11], 0
	s_cmp_gt_i32 s22, 25
	s_mov_b64 s[14:15], 0
	s_mov_b64 s[4:5], 0
	s_cbranch_scc0 .LBB207_1927
; %bb.1895:
	s_cmp_gt_i32 s22, 28
	s_cbranch_scc0 .LBB207_1910
; %bb.1896:
	s_cmp_gt_i32 s22, 43
	;; [unrolled: 3-line block ×3, first 2 shown]
	s_cbranch_scc0 .LBB207_1900
; %bb.1898:
	s_mov_b64 s[4:5], -1
	s_mov_b64 s[16:17], 0
	s_cmp_eq_u32 s22, 46
	s_cbranch_scc0 .LBB207_1900
; %bb.1899:
	v_cndmask_b32_e64 v3, 0, 1.0, s[2:3]
	v_bfe_u32 v4, v3, 16, 1
	s_movk_i32 s4, 0x7fff
	v_add3_u32 v3, v3, v4, s4
	v_lshrrev_b32_e32 v3, 16, v3
	global_store_dword v[1:2], v3, off
	s_mov_b64 s[4:5], 0
	s_mov_b64 s[14:15], -1
.LBB207_1900:
	s_and_b64 vcc, exec, s[16:17]
	s_cbranch_vccz .LBB207_1905
; %bb.1901:
	s_cmp_eq_u32 s22, 44
	s_mov_b64 s[4:5], -1
	s_cbranch_scc0 .LBB207_1905
; %bb.1902:
	v_cndmask_b32_e64 v4, 0, 1.0, s[2:3]
	v_lshrrev_b32_e32 v3, 23, v4
	s_movk_i32 s4, 0xff
	v_cmp_ne_u32_e32 vcc, s4, v3
	v_mov_b32_e32 v5, 0xff
	s_and_saveexec_b64 s[14:15], vcc
; %bb.1903:
	s_mov_b32 s4, 0x3fffff
	v_and_b32_e32 v5, 0x400000, v4
	v_and_or_b32 v4, v4, s4, v3
	v_cmp_ne_u32_e32 vcc, 0, v5
	v_cmp_ne_u32_e64 s[4:5], 0, v4
	s_and_b64 s[4:5], vcc, s[4:5]
	v_cndmask_b32_e64 v4, 0, 1, s[4:5]
	v_add_u32_e32 v5, v3, v4
; %bb.1904:
	s_or_b64 exec, exec, s[14:15]
	s_mov_b64 s[4:5], 0
	s_mov_b64 s[14:15], -1
	global_store_byte v[1:2], v5, off
.LBB207_1905:
	s_mov_b64 s[16:17], 0
.LBB207_1906:
	s_and_b64 vcc, exec, s[16:17]
	s_cbranch_vccz .LBB207_1909
; %bb.1907:
	s_cmp_eq_u32 s22, 29
	s_mov_b64 s[4:5], -1
	s_cbranch_scc0 .LBB207_1909
; %bb.1908:
	s_mov_b32 s4, 0
	v_cndmask_b32_e64 v3, 0, 1, s[2:3]
	v_mov_b32_e32 v4, s4
	global_store_dwordx2 v[1:2], v[3:4], off
	s_mov_b64 s[4:5], 0
	s_mov_b64 s[14:15], -1
.LBB207_1909:
	s_mov_b64 s[16:17], 0
.LBB207_1910:
	s_and_b64 vcc, exec, s[16:17]
	s_cbranch_vccz .LBB207_1926
; %bb.1911:
	s_cmp_lt_i32 s22, 27
	s_mov_b64 s[14:15], -1
	s_cbranch_scc1 .LBB207_1917
; %bb.1912:
	s_cmp_gt_i32 s22, 27
	s_cbranch_scc0 .LBB207_1914
; %bb.1913:
	v_cndmask_b32_e64 v3, 0, 1, s[2:3]
	s_mov_b64 s[14:15], 0
	global_store_dword v[1:2], v3, off
.LBB207_1914:
	s_andn2_b64 vcc, exec, s[14:15]
	s_cbranch_vccnz .LBB207_1916
; %bb.1915:
	v_cndmask_b32_e64 v3, 0, 1, s[2:3]
	global_store_short v[1:2], v3, off
.LBB207_1916:
	s_mov_b64 s[14:15], 0
.LBB207_1917:
	s_andn2_b64 vcc, exec, s[14:15]
	s_cbranch_vccnz .LBB207_1925
; %bb.1918:
	v_cndmask_b32_e64 v4, 0, 1.0, s[2:3]
	s_mov_b32 s14, 0x43800000
	v_cmp_gt_u32_e32 vcc, s14, v4
	v_mov_b32_e32 v5, 0x80
	s_and_saveexec_b64 s[14:15], vcc
	s_cbranch_execz .LBB207_1924
; %bb.1919:
	s_mov_b32 s16, 0x3bffffff
	v_cmp_lt_u32_e32 vcc, s16, v4
	s_mov_b64 s[16:17], 0
                                        ; implicit-def: $vgpr3
	s_and_saveexec_b64 s[18:19], vcc
	s_xor_b64 s[18:19], exec, s[18:19]
	s_cbranch_execz .LBB207_2145
; %bb.1920:
	v_bfe_u32 v3, v4, 20, 1
	s_mov_b32 s23, 0x487ffff
	v_add3_u32 v3, v4, v3, s23
	s_mov_b64 s[16:17], exec
	v_lshrrev_b32_e32 v3, 20, v3
                                        ; implicit-def: $vgpr4
	s_andn2_saveexec_b64 s[18:19], s[18:19]
	s_cbranch_execnz .LBB207_2146
.LBB207_1921:
	s_or_b64 exec, exec, s[18:19]
	v_mov_b32_e32 v5, 0
	s_and_saveexec_b64 s[18:19], s[16:17]
.LBB207_1922:
	v_mov_b32_e32 v5, v3
.LBB207_1923:
	s_or_b64 exec, exec, s[18:19]
.LBB207_1924:
	s_or_b64 exec, exec, s[14:15]
	global_store_byte v[1:2], v5, off
.LBB207_1925:
	s_mov_b64 s[14:15], -1
.LBB207_1926:
	s_mov_b64 s[16:17], 0
.LBB207_1927:
	s_and_b64 vcc, exec, s[16:17]
	s_cbranch_vccz .LBB207_1967
; %bb.1928:
	s_cmp_gt_i32 s22, 22
	s_mov_b64 s[10:11], -1
	s_cbranch_scc0 .LBB207_1960
; %bb.1929:
	s_cmp_lt_i32 s22, 24
	s_cbranch_scc1 .LBB207_1949
; %bb.1930:
	s_cmp_gt_i32 s22, 24
	s_cbranch_scc0 .LBB207_1938
; %bb.1931:
	v_cndmask_b32_e64 v4, 0, 1.0, s[2:3]
	s_mov_b32 s10, 0x47800000
	v_cmp_gt_u32_e32 vcc, s10, v4
	v_mov_b32_e32 v5, 0x80
	s_and_saveexec_b64 s[10:11], vcc
	s_cbranch_execz .LBB207_1937
; %bb.1932:
	s_mov_b32 s14, 0x37ffffff
	v_cmp_lt_u32_e32 vcc, s14, v4
	s_mov_b64 s[14:15], 0
                                        ; implicit-def: $vgpr3
	s_and_saveexec_b64 s[16:17], vcc
	s_xor_b64 s[16:17], exec, s[16:17]
	s_cbranch_execz .LBB207_2148
; %bb.1933:
	v_bfe_u32 v3, v4, 21, 1
	s_mov_b32 s18, 0x88fffff
	v_add3_u32 v3, v4, v3, s18
	s_mov_b64 s[14:15], exec
	v_lshrrev_b32_e32 v3, 21, v3
                                        ; implicit-def: $vgpr4
	s_andn2_saveexec_b64 s[16:17], s[16:17]
	s_cbranch_execnz .LBB207_2149
.LBB207_1934:
	s_or_b64 exec, exec, s[16:17]
	v_mov_b32_e32 v5, 0
	s_and_saveexec_b64 s[16:17], s[14:15]
.LBB207_1935:
	v_mov_b32_e32 v5, v3
.LBB207_1936:
	s_or_b64 exec, exec, s[16:17]
.LBB207_1937:
	s_or_b64 exec, exec, s[10:11]
	s_mov_b64 s[10:11], 0
	global_store_byte v[1:2], v5, off
.LBB207_1938:
	s_and_b64 vcc, exec, s[10:11]
	s_cbranch_vccz .LBB207_1948
; %bb.1939:
	v_cndmask_b32_e64 v3, 0, 1.0, s[2:3]
	s_mov_b32 s10, 0x43f00000
	v_cmp_gt_u32_e32 vcc, s10, v3
                                        ; implicit-def: $vgpr4
	s_and_saveexec_b64 s[10:11], vcc
	s_xor_b64 s[10:11], exec, s[10:11]
	s_cbranch_execz .LBB207_1945
; %bb.1940:
	s_mov_b32 s14, 0x3c7fffff
	v_cmp_lt_u32_e32 vcc, s14, v3
                                        ; implicit-def: $vgpr4
	s_and_saveexec_b64 s[14:15], vcc
	s_xor_b64 s[14:15], exec, s[14:15]
; %bb.1941:
	v_bfe_u32 v4, v3, 20, 1
	s_mov_b32 s16, 0x407ffff
	v_add3_u32 v3, v3, v4, s16
	v_lshrrev_b32_e32 v4, 20, v3
	v_and_b32_e32 v3, 0xff00000, v3
	s_mov_b32 s16, 0x7f00000
	v_mov_b32_e32 v5, 0x7e
	v_cmp_ne_u32_e32 vcc, s16, v3
	v_cndmask_b32_e32 v4, v5, v4, vcc
                                        ; implicit-def: $vgpr3
; %bb.1942:
	s_andn2_saveexec_b64 s[14:15], s[14:15]
; %bb.1943:
	v_add_f32_e32 v4, 0x46800000, v3
; %bb.1944:
	s_or_b64 exec, exec, s[14:15]
                                        ; implicit-def: $vgpr3
.LBB207_1945:
	s_andn2_saveexec_b64 s[10:11], s[10:11]
; %bb.1946:
	s_mov_b32 s14, 0x7f800000
	v_mov_b32_e32 v4, 0x7e
	v_mov_b32_e32 v5, 0x7f
	v_cmp_lt_u32_e32 vcc, s14, v3
	v_cndmask_b32_e32 v4, v4, v5, vcc
; %bb.1947:
	s_or_b64 exec, exec, s[10:11]
	global_store_byte v[1:2], v4, off
.LBB207_1948:
	s_mov_b64 s[10:11], 0
.LBB207_1949:
	s_andn2_b64 vcc, exec, s[10:11]
	s_cbranch_vccnz .LBB207_1959
; %bb.1950:
	v_cndmask_b32_e64 v3, 0, 1.0, s[2:3]
	s_mov_b32 s10, 0x47800000
	v_cmp_gt_u32_e32 vcc, s10, v3
                                        ; implicit-def: $vgpr4
	s_and_saveexec_b64 s[10:11], vcc
	s_xor_b64 s[10:11], exec, s[10:11]
	s_cbranch_execz .LBB207_1956
; %bb.1951:
	s_mov_b32 s14, 0x387fffff
	v_cmp_lt_u32_e32 vcc, s14, v3
                                        ; implicit-def: $vgpr4
	s_and_saveexec_b64 s[14:15], vcc
	s_xor_b64 s[14:15], exec, s[14:15]
; %bb.1952:
	v_bfe_u32 v4, v3, 21, 1
	s_mov_b32 s16, 0x80fffff
	v_add3_u32 v3, v3, v4, s16
	v_lshrrev_b32_e32 v4, 21, v3
                                        ; implicit-def: $vgpr3
; %bb.1953:
	s_andn2_saveexec_b64 s[14:15], s[14:15]
; %bb.1954:
	v_add_f32_e32 v4, 0x43000000, v3
; %bb.1955:
	s_or_b64 exec, exec, s[14:15]
                                        ; implicit-def: $vgpr3
.LBB207_1956:
	s_andn2_saveexec_b64 s[10:11], s[10:11]
; %bb.1957:
	s_mov_b32 s14, 0x7f800000
	v_mov_b32_e32 v4, 0x7c
	v_mov_b32_e32 v5, 0x7f
	v_cmp_lt_u32_e32 vcc, s14, v3
	v_cndmask_b32_e32 v4, v4, v5, vcc
; %bb.1958:
	s_or_b64 exec, exec, s[10:11]
	global_store_byte v[1:2], v4, off
.LBB207_1959:
	s_mov_b64 s[10:11], 0
	s_mov_b64 s[14:15], -1
.LBB207_1960:
	s_andn2_b64 vcc, exec, s[10:11]
	s_mov_b64 s[10:11], 0
	s_cbranch_vccnz .LBB207_1967
; %bb.1961:
	s_cmp_gt_i32 s22, 14
	s_mov_b64 s[16:17], -1
	s_cbranch_scc0 .LBB207_1965
; %bb.1962:
	s_cmp_eq_u32 s22, 15
	s_mov_b64 s[4:5], -1
	s_cbranch_scc0 .LBB207_1964
; %bb.1963:
	v_cndmask_b32_e64 v3, 0, 1.0, s[2:3]
	v_bfe_u32 v4, v3, 16, 1
	s_movk_i32 s4, 0x7fff
	v_add3_u32 v3, v3, v4, s4
	global_store_short_d16_hi v[1:2], v3, off
	s_mov_b64 s[4:5], 0
	s_mov_b64 s[14:15], -1
.LBB207_1964:
	s_mov_b64 s[16:17], 0
.LBB207_1965:
	s_and_b64 vcc, exec, s[16:17]
	s_cbranch_vccz .LBB207_1967
; %bb.1966:
	s_cmp_lg_u32 s22, 11
	s_mov_b64 s[10:11], -1
	s_cselect_b64 s[4:5], -1, 0
.LBB207_1967:
	s_and_b64 vcc, exec, s[4:5]
	s_cbranch_vccnz .LBB207_2147
; %bb.1968:
	s_andn2_b64 vcc, exec, s[10:11]
	s_cbranch_vccnz .LBB207_1970
.LBB207_1969:
	v_cndmask_b32_e64 v3, 0, 1, s[2:3]
	s_mov_b64 s[14:15], -1
	global_store_byte v[1:2], v3, off
.LBB207_1970:
	s_mov_b64 s[4:5], 0
	s_branch .LBB207_1972
.LBB207_1971:
	s_mov_b64 s[4:5], -1
	s_mov_b64 s[14:15], 0
.LBB207_1972:
	s_and_b64 vcc, exec, s[4:5]
	s_cbranch_vccz .LBB207_2011
; %bb.1973:
	s_cmp_lt_i32 s22, 5
	s_mov_b64 s[4:5], -1
	s_cbranch_scc1 .LBB207_1994
; %bb.1974:
	s_cmp_lt_i32 s22, 8
	s_cbranch_scc1 .LBB207_1984
; %bb.1975:
	s_cmp_lt_i32 s22, 9
	s_cbranch_scc1 .LBB207_1981
; %bb.1976:
	s_cmp_gt_i32 s22, 9
	s_cbranch_scc0 .LBB207_1978
; %bb.1977:
	v_cndmask_b32_e64 v3, 0, 1, s[2:3]
	v_cvt_f64_u32_e32 v[3:4], v3
	v_mov_b32_e32 v5, 0
	v_mov_b32_e32 v6, v5
	s_mov_b64 s[4:5], 0
	global_store_dwordx4 v[1:2], v[3:6], off
.LBB207_1978:
	s_andn2_b64 vcc, exec, s[4:5]
	s_cbranch_vccnz .LBB207_1980
; %bb.1979:
	v_cndmask_b32_e64 v3, 0, 1.0, s[2:3]
	v_mov_b32_e32 v4, 0
	global_store_dwordx2 v[1:2], v[3:4], off
.LBB207_1980:
	s_mov_b64 s[4:5], 0
.LBB207_1981:
	s_andn2_b64 vcc, exec, s[4:5]
	s_cbranch_vccnz .LBB207_1983
; %bb.1982:
	v_cndmask_b32_e64 v3, 0, 1.0, s[2:3]
	v_cvt_f16_f32_e32 v3, v3
	global_store_dword v[1:2], v3, off
.LBB207_1983:
	s_mov_b64 s[4:5], 0
.LBB207_1984:
	s_andn2_b64 vcc, exec, s[4:5]
	s_cbranch_vccnz .LBB207_1993
; %bb.1985:
	s_cmp_lt_i32 s22, 6
	s_mov_b64 s[4:5], -1
	s_cbranch_scc1 .LBB207_1991
; %bb.1986:
	s_cmp_gt_i32 s22, 6
	s_cbranch_scc0 .LBB207_1988
; %bb.1987:
	v_cndmask_b32_e64 v3, 0, 1, s[2:3]
	v_cvt_f64_u32_e32 v[3:4], v3
	s_mov_b64 s[4:5], 0
	global_store_dwordx2 v[1:2], v[3:4], off
.LBB207_1988:
	s_andn2_b64 vcc, exec, s[4:5]
	s_cbranch_vccnz .LBB207_1990
; %bb.1989:
	v_cndmask_b32_e64 v3, 0, 1.0, s[2:3]
	global_store_dword v[1:2], v3, off
.LBB207_1990:
	s_mov_b64 s[4:5], 0
.LBB207_1991:
	s_andn2_b64 vcc, exec, s[4:5]
	s_cbranch_vccnz .LBB207_1993
; %bb.1992:
	v_cndmask_b32_e64 v3, 0, 1.0, s[2:3]
	v_cvt_f16_f32_e32 v3, v3
	global_store_short v[1:2], v3, off
.LBB207_1993:
	s_mov_b64 s[4:5], 0
.LBB207_1994:
	s_andn2_b64 vcc, exec, s[4:5]
	s_cbranch_vccnz .LBB207_2010
; %bb.1995:
	s_cmp_lt_i32 s22, 2
	s_mov_b64 s[4:5], -1
	s_cbranch_scc1 .LBB207_2005
; %bb.1996:
	s_cmp_lt_i32 s22, 3
	s_cbranch_scc1 .LBB207_2002
; %bb.1997:
	s_cmp_gt_i32 s22, 3
	s_cbranch_scc0 .LBB207_1999
; %bb.1998:
	s_mov_b32 s4, 0
	v_cndmask_b32_e64 v3, 0, 1, s[2:3]
	v_mov_b32_e32 v4, s4
	global_store_dwordx2 v[1:2], v[3:4], off
	s_mov_b64 s[4:5], 0
.LBB207_1999:
	s_andn2_b64 vcc, exec, s[4:5]
	s_cbranch_vccnz .LBB207_2001
; %bb.2000:
	v_cndmask_b32_e64 v3, 0, 1, s[2:3]
	global_store_dword v[1:2], v3, off
.LBB207_2001:
	s_mov_b64 s[4:5], 0
.LBB207_2002:
	s_andn2_b64 vcc, exec, s[4:5]
	s_cbranch_vccnz .LBB207_2004
; %bb.2003:
	v_cndmask_b32_e64 v3, 0, 1, s[2:3]
	global_store_short v[1:2], v3, off
.LBB207_2004:
	s_mov_b64 s[4:5], 0
.LBB207_2005:
	s_andn2_b64 vcc, exec, s[4:5]
	s_cbranch_vccnz .LBB207_2010
; %bb.2006:
	s_cmp_gt_i32 s22, 0
	s_mov_b64 s[4:5], -1
	s_cbranch_scc0 .LBB207_2008
; %bb.2007:
	v_cndmask_b32_e64 v3, 0, 1, s[2:3]
	global_store_byte v[1:2], v3, off
	s_mov_b64 s[4:5], 0
.LBB207_2008:
	s_andn2_b64 vcc, exec, s[4:5]
	s_cbranch_vccnz .LBB207_2010
; %bb.2009:
	v_cndmask_b32_e64 v3, 0, 1, s[2:3]
	global_store_byte v[1:2], v3, off
.LBB207_2010:
	s_mov_b64 s[14:15], -1
.LBB207_2011:
	s_andn2_b64 vcc, exec, s[14:15]
	s_cbranch_vccnz .LBB207_2088
; %bb.2012:
	v_lshlrev_b32_e32 v1, 16, v9
	v_cmp_eq_f32_e32 vcc, s21, v1
	v_cndmask_b32_e64 v2, 0, 1, vcc
	v_cmp_neq_f32_e32 vcc, s21, v1
	v_cndmask_b32_e64 v1, 0, 1, vcc
	v_cndmask_b32_e64 v1, v1, v2, s[0:1]
	v_and_b32_e32 v1, 1, v1
	v_cmp_eq_u32_e64 s[2:3], 1, v1
	v_mov_b32_e32 v1, s9
	v_add_co_u32_e32 v0, vcc, s8, v0
	s_cmp_lt_i32 s22, 11
	v_addc_co_u32_e32 v1, vcc, 0, v1, vcc
	s_cbranch_scc1 .LBB207_2133
; %bb.2013:
	s_mov_b64 s[8:9], -1
	s_mov_b64 s[4:5], 0
	s_cmp_gt_i32 s22, 25
	s_mov_b64 s[0:1], 0
	s_cbranch_scc0 .LBB207_2046
; %bb.2014:
	s_cmp_gt_i32 s22, 28
	s_cbranch_scc0 .LBB207_2030
; %bb.2015:
	s_cmp_gt_i32 s22, 43
	s_cbranch_scc0 .LBB207_2026
; %bb.2016:
	s_cmp_gt_i32 s22, 45
	s_cbranch_scc0 .LBB207_2020
; %bb.2017:
	s_cmp_eq_u32 s22, 46
	s_mov_b64 s[0:1], -1
	s_cbranch_scc0 .LBB207_2019
; %bb.2018:
	v_cndmask_b32_e64 v2, 0, 1.0, s[2:3]
	v_bfe_u32 v3, v2, 16, 1
	s_movk_i32 s0, 0x7fff
	v_add3_u32 v2, v2, v3, s0
	v_lshrrev_b32_e32 v2, 16, v2
	global_store_dword v[0:1], v2, off
	s_mov_b64 s[0:1], 0
.LBB207_2019:
	s_mov_b64 s[8:9], 0
.LBB207_2020:
	s_and_b64 vcc, exec, s[8:9]
	s_cbranch_vccz .LBB207_2025
; %bb.2021:
	s_cmp_eq_u32 s22, 44
	s_mov_b64 s[0:1], -1
	s_cbranch_scc0 .LBB207_2025
; %bb.2022:
	v_cndmask_b32_e64 v3, 0, 1.0, s[2:3]
	v_lshrrev_b32_e32 v2, 23, v3
	s_movk_i32 s0, 0xff
	v_cmp_ne_u32_e32 vcc, s0, v2
	v_mov_b32_e32 v4, 0xff
	s_and_saveexec_b64 s[8:9], vcc
; %bb.2023:
	s_mov_b32 s0, 0x3fffff
	v_and_b32_e32 v4, 0x400000, v3
	v_and_or_b32 v3, v3, s0, v2
	v_cmp_ne_u32_e32 vcc, 0, v4
	v_cmp_ne_u32_e64 s[0:1], 0, v3
	s_and_b64 s[0:1], vcc, s[0:1]
	v_cndmask_b32_e64 v3, 0, 1, s[0:1]
	v_add_u32_e32 v4, v2, v3
; %bb.2024:
	s_or_b64 exec, exec, s[8:9]
	s_mov_b64 s[0:1], 0
	global_store_byte v[0:1], v4, off
.LBB207_2025:
	s_mov_b64 s[8:9], 0
.LBB207_2026:
	s_and_b64 vcc, exec, s[8:9]
	s_cbranch_vccz .LBB207_2029
; %bb.2027:
	s_cmp_eq_u32 s22, 29
	s_mov_b64 s[0:1], -1
	s_cbranch_scc0 .LBB207_2029
; %bb.2028:
	s_mov_b32 s0, 0
	v_cndmask_b32_e64 v2, 0, 1, s[2:3]
	v_mov_b32_e32 v3, s0
	global_store_dwordx2 v[0:1], v[2:3], off
	s_mov_b64 s[0:1], 0
.LBB207_2029:
	s_mov_b64 s[8:9], 0
.LBB207_2030:
	s_and_b64 vcc, exec, s[8:9]
	s_cbranch_vccz .LBB207_2045
; %bb.2031:
	s_cmp_lt_i32 s22, 27
	s_mov_b64 s[8:9], -1
	s_cbranch_scc1 .LBB207_2037
; %bb.2032:
	s_cmp_gt_i32 s22, 27
	s_cbranch_scc0 .LBB207_2034
; %bb.2033:
	v_cndmask_b32_e64 v2, 0, 1, s[2:3]
	global_store_dword v[0:1], v2, off
	s_mov_b64 s[8:9], 0
.LBB207_2034:
	s_andn2_b64 vcc, exec, s[8:9]
	s_cbranch_vccnz .LBB207_2036
; %bb.2035:
	v_cndmask_b32_e64 v2, 0, 1, s[2:3]
	global_store_short v[0:1], v2, off
.LBB207_2036:
	s_mov_b64 s[8:9], 0
.LBB207_2037:
	s_andn2_b64 vcc, exec, s[8:9]
	s_cbranch_vccnz .LBB207_2045
; %bb.2038:
	v_cndmask_b32_e64 v3, 0, 1.0, s[2:3]
	s_mov_b32 s8, 0x43800000
	v_cmp_gt_u32_e32 vcc, s8, v3
	v_mov_b32_e32 v4, 0x80
	s_and_saveexec_b64 s[8:9], vcc
	s_cbranch_execz .LBB207_2044
; %bb.2039:
	s_mov_b32 s10, 0x3bffffff
	v_cmp_lt_u32_e32 vcc, s10, v3
	s_mov_b64 s[10:11], 0
                                        ; implicit-def: $vgpr2
	s_and_saveexec_b64 s[14:15], vcc
	s_xor_b64 s[14:15], exec, s[14:15]
	s_cbranch_execz .LBB207_2150
; %bb.2040:
	v_bfe_u32 v2, v3, 20, 1
	s_mov_b32 s16, 0x487ffff
	v_add3_u32 v2, v3, v2, s16
	s_mov_b64 s[10:11], exec
	v_lshrrev_b32_e32 v2, 20, v2
                                        ; implicit-def: $vgpr3
	s_andn2_saveexec_b64 s[14:15], s[14:15]
	s_cbranch_execnz .LBB207_2151
.LBB207_2041:
	s_or_b64 exec, exec, s[14:15]
	v_mov_b32_e32 v4, 0
	s_and_saveexec_b64 s[14:15], s[10:11]
.LBB207_2042:
	v_mov_b32_e32 v4, v2
.LBB207_2043:
	s_or_b64 exec, exec, s[14:15]
.LBB207_2044:
	s_or_b64 exec, exec, s[8:9]
	global_store_byte v[0:1], v4, off
.LBB207_2045:
	s_mov_b64 s[8:9], 0
.LBB207_2046:
	s_and_b64 vcc, exec, s[8:9]
	s_cbranch_vccz .LBB207_2086
; %bb.2047:
	s_cmp_gt_i32 s22, 22
	s_mov_b64 s[4:5], -1
	s_cbranch_scc0 .LBB207_2079
; %bb.2048:
	s_cmp_lt_i32 s22, 24
	s_cbranch_scc1 .LBB207_2068
; %bb.2049:
	s_cmp_gt_i32 s22, 24
	s_cbranch_scc0 .LBB207_2057
; %bb.2050:
	v_cndmask_b32_e64 v3, 0, 1.0, s[2:3]
	s_mov_b32 s4, 0x47800000
	v_cmp_gt_u32_e32 vcc, s4, v3
	v_mov_b32_e32 v4, 0x80
	s_and_saveexec_b64 s[4:5], vcc
	s_cbranch_execz .LBB207_2056
; %bb.2051:
	s_mov_b32 s8, 0x37ffffff
	v_cmp_lt_u32_e32 vcc, s8, v3
	s_mov_b64 s[8:9], 0
                                        ; implicit-def: $vgpr2
	s_and_saveexec_b64 s[10:11], vcc
	s_xor_b64 s[10:11], exec, s[10:11]
	s_cbranch_execz .LBB207_2153
; %bb.2052:
	v_bfe_u32 v2, v3, 21, 1
	s_mov_b32 s14, 0x88fffff
	v_add3_u32 v2, v3, v2, s14
	s_mov_b64 s[8:9], exec
	v_lshrrev_b32_e32 v2, 21, v2
                                        ; implicit-def: $vgpr3
	s_andn2_saveexec_b64 s[10:11], s[10:11]
	s_cbranch_execnz .LBB207_2154
.LBB207_2053:
	s_or_b64 exec, exec, s[10:11]
	v_mov_b32_e32 v4, 0
	s_and_saveexec_b64 s[10:11], s[8:9]
.LBB207_2054:
	v_mov_b32_e32 v4, v2
.LBB207_2055:
	s_or_b64 exec, exec, s[10:11]
.LBB207_2056:
	s_or_b64 exec, exec, s[4:5]
	s_mov_b64 s[4:5], 0
	global_store_byte v[0:1], v4, off
.LBB207_2057:
	s_and_b64 vcc, exec, s[4:5]
	s_cbranch_vccz .LBB207_2067
; %bb.2058:
	v_cndmask_b32_e64 v2, 0, 1.0, s[2:3]
	s_mov_b32 s4, 0x43f00000
	v_cmp_gt_u32_e32 vcc, s4, v2
                                        ; implicit-def: $vgpr3
	s_and_saveexec_b64 s[4:5], vcc
	s_xor_b64 s[4:5], exec, s[4:5]
	s_cbranch_execz .LBB207_2064
; %bb.2059:
	s_mov_b32 s8, 0x3c7fffff
	v_cmp_lt_u32_e32 vcc, s8, v2
                                        ; implicit-def: $vgpr3
	s_and_saveexec_b64 s[8:9], vcc
	s_xor_b64 s[8:9], exec, s[8:9]
; %bb.2060:
	v_bfe_u32 v3, v2, 20, 1
	s_mov_b32 s10, 0x407ffff
	v_add3_u32 v2, v2, v3, s10
	v_lshrrev_b32_e32 v3, 20, v2
	v_and_b32_e32 v2, 0xff00000, v2
	s_mov_b32 s10, 0x7f00000
	v_mov_b32_e32 v4, 0x7e
	v_cmp_ne_u32_e32 vcc, s10, v2
	v_cndmask_b32_e32 v3, v4, v3, vcc
                                        ; implicit-def: $vgpr2
; %bb.2061:
	s_andn2_saveexec_b64 s[8:9], s[8:9]
; %bb.2062:
	v_add_f32_e32 v3, 0x46800000, v2
; %bb.2063:
	s_or_b64 exec, exec, s[8:9]
                                        ; implicit-def: $vgpr2
.LBB207_2064:
	s_andn2_saveexec_b64 s[4:5], s[4:5]
; %bb.2065:
	s_mov_b32 s8, 0x7f800000
	v_mov_b32_e32 v3, 0x7e
	v_mov_b32_e32 v4, 0x7f
	v_cmp_lt_u32_e32 vcc, s8, v2
	v_cndmask_b32_e32 v3, v3, v4, vcc
; %bb.2066:
	s_or_b64 exec, exec, s[4:5]
	global_store_byte v[0:1], v3, off
.LBB207_2067:
	s_mov_b64 s[4:5], 0
.LBB207_2068:
	s_andn2_b64 vcc, exec, s[4:5]
	s_cbranch_vccnz .LBB207_2078
; %bb.2069:
	v_cndmask_b32_e64 v2, 0, 1.0, s[2:3]
	s_mov_b32 s4, 0x47800000
	v_cmp_gt_u32_e32 vcc, s4, v2
                                        ; implicit-def: $vgpr3
	s_and_saveexec_b64 s[4:5], vcc
	s_xor_b64 s[4:5], exec, s[4:5]
	s_cbranch_execz .LBB207_2075
; %bb.2070:
	s_mov_b32 s8, 0x387fffff
	v_cmp_lt_u32_e32 vcc, s8, v2
                                        ; implicit-def: $vgpr3
	s_and_saveexec_b64 s[8:9], vcc
	s_xor_b64 s[8:9], exec, s[8:9]
; %bb.2071:
	v_bfe_u32 v3, v2, 21, 1
	s_mov_b32 s10, 0x80fffff
	v_add3_u32 v2, v2, v3, s10
	v_lshrrev_b32_e32 v3, 21, v2
                                        ; implicit-def: $vgpr2
; %bb.2072:
	s_andn2_saveexec_b64 s[8:9], s[8:9]
; %bb.2073:
	v_add_f32_e32 v3, 0x43000000, v2
; %bb.2074:
	s_or_b64 exec, exec, s[8:9]
                                        ; implicit-def: $vgpr2
.LBB207_2075:
	s_andn2_saveexec_b64 s[4:5], s[4:5]
; %bb.2076:
	s_mov_b32 s8, 0x7f800000
	v_mov_b32_e32 v3, 0x7c
	v_mov_b32_e32 v4, 0x7f
	v_cmp_lt_u32_e32 vcc, s8, v2
	v_cndmask_b32_e32 v3, v3, v4, vcc
; %bb.2077:
	s_or_b64 exec, exec, s[4:5]
	global_store_byte v[0:1], v3, off
.LBB207_2078:
	s_mov_b64 s[4:5], 0
.LBB207_2079:
	s_andn2_b64 vcc, exec, s[4:5]
	s_mov_b64 s[4:5], 0
	s_cbranch_vccnz .LBB207_2086
; %bb.2080:
	s_cmp_gt_i32 s22, 14
	s_mov_b64 s[8:9], -1
	s_cbranch_scc0 .LBB207_2084
; %bb.2081:
	s_cmp_eq_u32 s22, 15
	s_mov_b64 s[0:1], -1
	s_cbranch_scc0 .LBB207_2083
; %bb.2082:
	v_cndmask_b32_e64 v2, 0, 1.0, s[2:3]
	v_bfe_u32 v3, v2, 16, 1
	s_movk_i32 s0, 0x7fff
	v_add3_u32 v2, v2, v3, s0
	global_store_short_d16_hi v[0:1], v2, off
	s_mov_b64 s[0:1], 0
.LBB207_2083:
	s_mov_b64 s[8:9], 0
.LBB207_2084:
	s_and_b64 vcc, exec, s[8:9]
	s_cbranch_vccz .LBB207_2086
; %bb.2085:
	s_cmp_lg_u32 s22, 11
	s_mov_b64 s[4:5], -1
	s_cselect_b64 s[0:1], -1, 0
.LBB207_2086:
	s_and_b64 vcc, exec, s[0:1]
	s_cbranch_vccnz .LBB207_2152
.LBB207_2087:
	s_mov_b64 s[0:1], 0
	s_branch .LBB207_2089
.LBB207_2088:
	s_mov_b64 s[0:1], 0
	s_mov_b64 s[4:5], 0
                                        ; implicit-def: $sgpr2_sgpr3
                                        ; implicit-def: $vgpr0_vgpr1
                                        ; implicit-def: $sgpr20
.LBB207_2089:
	s_and_b64 s[44:45], s[4:5], exec
	s_andn2_b64 s[4:5], s[6:7], exec
	s_and_b64 s[6:7], s[12:13], exec
	s_and_b64 s[0:1], s[0:1], exec
	s_or_b64 s[6:7], s[4:5], s[6:7]
.LBB207_2090:
	s_or_b64 exec, exec, s[28:29]
	s_and_saveexec_b64 s[4:5], s[6:7]
	s_cbranch_execz .LBB207_2093
; %bb.2091:
	; divergent unreachable
	s_or_b64 exec, exec, s[4:5]
	s_and_saveexec_b64 s[4:5], s[44:45]
	s_xor_b64 s[4:5], exec, s[4:5]
	s_cbranch_execnz .LBB207_2094
.LBB207_2092:
	s_or_b64 exec, exec, s[4:5]
	s_and_saveexec_b64 s[4:5], s[0:1]
	s_cbranch_execnz .LBB207_2095
	s_branch .LBB207_2132
.LBB207_2093:
	s_or_b64 exec, exec, s[4:5]
	s_and_saveexec_b64 s[4:5], s[44:45]
	s_xor_b64 s[4:5], exec, s[4:5]
	s_cbranch_execz .LBB207_2092
.LBB207_2094:
	v_cndmask_b32_e64 v2, 0, 1, s[2:3]
	s_waitcnt vmcnt(0)
	global_store_byte v[0:1], v2, off
	s_or_b64 exec, exec, s[4:5]
	s_and_saveexec_b64 s[4:5], s[0:1]
	s_cbranch_execz .LBB207_2132
.LBB207_2095:
	s_sext_i32_i16 s4, s20
	s_cmp_lt_i32 s4, 5
	s_mov_b64 s[0:1], -1
	s_cbranch_scc1 .LBB207_2116
; %bb.2096:
	s_cmp_lt_i32 s4, 8
	s_cbranch_scc1 .LBB207_2106
; %bb.2097:
	s_cmp_lt_i32 s4, 9
	s_cbranch_scc1 .LBB207_2103
; %bb.2098:
	s_cmp_gt_i32 s4, 9
	s_cbranch_scc0 .LBB207_2100
; %bb.2099:
	v_cndmask_b32_e64 v2, 0, 1, s[2:3]
	s_waitcnt vmcnt(0)
	v_cvt_f64_u32_e32 v[2:3], v2
	v_mov_b32_e32 v4, 0
	v_mov_b32_e32 v5, v4
	s_mov_b64 s[0:1], 0
	global_store_dwordx4 v[0:1], v[2:5], off
.LBB207_2100:
	s_andn2_b64 vcc, exec, s[0:1]
	s_cbranch_vccnz .LBB207_2102
; %bb.2101:
	v_cndmask_b32_e64 v2, 0, 1.0, s[2:3]
	s_waitcnt vmcnt(0)
	v_mov_b32_e32 v3, 0
	global_store_dwordx2 v[0:1], v[2:3], off
.LBB207_2102:
	s_mov_b64 s[0:1], 0
.LBB207_2103:
	s_andn2_b64 vcc, exec, s[0:1]
	s_cbranch_vccnz .LBB207_2105
; %bb.2104:
	v_cndmask_b32_e64 v2, 0, 1.0, s[2:3]
	v_cvt_f16_f32_e32 v2, v2
	s_waitcnt vmcnt(0)
	global_store_dword v[0:1], v2, off
.LBB207_2105:
	s_mov_b64 s[0:1], 0
.LBB207_2106:
	s_andn2_b64 vcc, exec, s[0:1]
	s_cbranch_vccnz .LBB207_2115
; %bb.2107:
	s_sext_i32_i16 s4, s20
	s_cmp_lt_i32 s4, 6
	s_mov_b64 s[0:1], -1
	s_cbranch_scc1 .LBB207_2113
; %bb.2108:
	s_cmp_gt_i32 s4, 6
	s_cbranch_scc0 .LBB207_2110
; %bb.2109:
	v_cndmask_b32_e64 v2, 0, 1, s[2:3]
	s_waitcnt vmcnt(0)
	v_cvt_f64_u32_e32 v[2:3], v2
	s_mov_b64 s[0:1], 0
	global_store_dwordx2 v[0:1], v[2:3], off
.LBB207_2110:
	s_andn2_b64 vcc, exec, s[0:1]
	s_cbranch_vccnz .LBB207_2112
; %bb.2111:
	v_cndmask_b32_e64 v2, 0, 1.0, s[2:3]
	s_waitcnt vmcnt(0)
	global_store_dword v[0:1], v2, off
.LBB207_2112:
	s_mov_b64 s[0:1], 0
.LBB207_2113:
	s_andn2_b64 vcc, exec, s[0:1]
	s_cbranch_vccnz .LBB207_2115
; %bb.2114:
	v_cndmask_b32_e64 v2, 0, 1.0, s[2:3]
	v_cvt_f16_f32_e32 v2, v2
	s_waitcnt vmcnt(0)
	global_store_short v[0:1], v2, off
.LBB207_2115:
	s_mov_b64 s[0:1], 0
.LBB207_2116:
	s_andn2_b64 vcc, exec, s[0:1]
	s_cbranch_vccnz .LBB207_2132
; %bb.2117:
	s_sext_i32_i16 s4, s20
	s_cmp_lt_i32 s4, 2
	s_mov_b64 s[0:1], -1
	s_cbranch_scc1 .LBB207_2127
; %bb.2118:
	s_cmp_lt_i32 s4, 3
	s_cbranch_scc1 .LBB207_2124
; %bb.2119:
	s_cmp_gt_i32 s4, 3
	s_cbranch_scc0 .LBB207_2121
; %bb.2120:
	s_mov_b32 s0, 0
	v_cndmask_b32_e64 v2, 0, 1, s[2:3]
	s_waitcnt vmcnt(0)
	v_mov_b32_e32 v3, s0
	global_store_dwordx2 v[0:1], v[2:3], off
	s_mov_b64 s[0:1], 0
.LBB207_2121:
	s_andn2_b64 vcc, exec, s[0:1]
	s_cbranch_vccnz .LBB207_2123
; %bb.2122:
	v_cndmask_b32_e64 v2, 0, 1, s[2:3]
	s_waitcnt vmcnt(0)
	global_store_dword v[0:1], v2, off
.LBB207_2123:
	s_mov_b64 s[0:1], 0
.LBB207_2124:
	s_andn2_b64 vcc, exec, s[0:1]
	s_cbranch_vccnz .LBB207_2126
; %bb.2125:
	v_cndmask_b32_e64 v2, 0, 1, s[2:3]
	s_waitcnt vmcnt(0)
	global_store_short v[0:1], v2, off
.LBB207_2126:
	s_mov_b64 s[0:1], 0
.LBB207_2127:
	s_andn2_b64 vcc, exec, s[0:1]
	s_cbranch_vccnz .LBB207_2132
; %bb.2128:
	s_sext_i32_i16 s0, s20
	s_cmp_gt_i32 s0, 0
	s_mov_b64 s[0:1], -1
	s_cbranch_scc0 .LBB207_2130
; %bb.2129:
	v_cndmask_b32_e64 v2, 0, 1, s[2:3]
	s_waitcnt vmcnt(0)
	global_store_byte v[0:1], v2, off
	s_mov_b64 s[0:1], 0
.LBB207_2130:
	s_andn2_b64 vcc, exec, s[0:1]
	s_cbranch_vccnz .LBB207_2132
; %bb.2131:
	v_cndmask_b32_e64 v2, 0, 1, s[2:3]
	s_waitcnt vmcnt(0)
	global_store_byte v[0:1], v2, off
	s_endpgm
.LBB207_2132:
	s_endpgm
.LBB207_2133:
	s_mov_b64 s[4:5], 0
	s_mov_b64 s[0:1], -1
	s_branch .LBB207_2089
.LBB207_2134:
	s_trap 2
	s_or_b64 s[12:13], s[12:13], exec
	s_cbranch_execz .LBB207_1603
	s_branch .LBB207_1604
.LBB207_2135:
	s_andn2_saveexec_b64 s[18:19], s[18:19]
	s_cbranch_execz .LBB207_1683
.LBB207_2136:
	v_add_f32_e32 v1, 0x46000000, v7
	v_and_b32_e32 v1, 0xff, v1
	v_cmp_ne_u32_e32 vcc, 0, v1
	s_andn2_b64 s[16:17], s[16:17], exec
	s_and_b64 s[24:25], vcc, exec
	s_or_b64 s[16:17], s[16:17], s[24:25]
	s_or_b64 exec, exec, s[18:19]
	v_mov_b32_e32 v8, 0
	s_and_saveexec_b64 s[18:19], s[16:17]
	s_cbranch_execnz .LBB207_1684
	s_branch .LBB207_1685
.LBB207_2137:
	s_trap 2
	s_or_b64 s[12:13], s[12:13], exec
	s_cbranch_execz .LBB207_1731
	s_branch .LBB207_1732
.LBB207_2138:
	s_andn2_saveexec_b64 s[16:17], s[16:17]
	s_cbranch_execz .LBB207_1696
.LBB207_2139:
	v_add_f32_e32 v1, 0x42800000, v7
	v_and_b32_e32 v1, 0xff, v1
	v_cmp_ne_u32_e32 vcc, 0, v1
	s_andn2_b64 s[14:15], s[14:15], exec
	s_and_b64 s[18:19], vcc, exec
	s_or_b64 s[14:15], s[14:15], s[18:19]
	s_or_b64 exec, exec, s[16:17]
	v_mov_b32_e32 v8, 0
	s_and_saveexec_b64 s[16:17], s[14:15]
	s_cbranch_execnz .LBB207_1697
	s_branch .LBB207_1698
.LBB207_2140:
	s_andn2_saveexec_b64 s[18:19], s[18:19]
	s_cbranch_execz .LBB207_1802
.LBB207_2141:
	v_add_f32_e32 v1, 0x46000000, v5
	v_and_b32_e32 v1, 0xff, v1
	v_cmp_ne_u32_e32 vcc, 0, v1
	s_andn2_b64 s[16:17], s[16:17], exec
	s_and_b64 s[24:25], vcc, exec
	s_or_b64 s[16:17], s[16:17], s[24:25]
	s_or_b64 exec, exec, s[18:19]
	v_mov_b32_e32 v6, 0
	s_and_saveexec_b64 s[18:19], s[16:17]
	s_cbranch_execnz .LBB207_1803
	s_branch .LBB207_1804
.LBB207_2142:
	s_trap 2
	s_or_b64 s[12:13], s[12:13], exec
	s_cbranch_execz .LBB207_1850
	s_branch .LBB207_1851
.LBB207_2143:
	s_andn2_saveexec_b64 s[16:17], s[16:17]
	s_cbranch_execz .LBB207_1815
.LBB207_2144:
	v_add_f32_e32 v1, 0x42800000, v5
	v_and_b32_e32 v1, 0xff, v1
	v_cmp_ne_u32_e32 vcc, 0, v1
	s_andn2_b64 s[14:15], s[14:15], exec
	s_and_b64 s[18:19], vcc, exec
	s_or_b64 s[14:15], s[14:15], s[18:19]
	s_or_b64 exec, exec, s[16:17]
	v_mov_b32_e32 v6, 0
	s_and_saveexec_b64 s[16:17], s[14:15]
	s_cbranch_execnz .LBB207_1816
	s_branch .LBB207_1817
.LBB207_2145:
	s_andn2_saveexec_b64 s[18:19], s[18:19]
	s_cbranch_execz .LBB207_1921
.LBB207_2146:
	v_add_f32_e32 v3, 0x46000000, v4
	v_and_b32_e32 v3, 0xff, v3
	v_cmp_ne_u32_e32 vcc, 0, v3
	s_andn2_b64 s[16:17], s[16:17], exec
	s_and_b64 s[24:25], vcc, exec
	s_or_b64 s[16:17], s[16:17], s[24:25]
	s_or_b64 exec, exec, s[18:19]
	v_mov_b32_e32 v5, 0
	s_and_saveexec_b64 s[18:19], s[16:17]
	s_cbranch_execnz .LBB207_1922
	s_branch .LBB207_1923
.LBB207_2147:
	s_trap 2
	s_or_b64 s[12:13], s[12:13], exec
	s_cbranch_execz .LBB207_1969
	s_branch .LBB207_1970
.LBB207_2148:
	s_andn2_saveexec_b64 s[16:17], s[16:17]
	s_cbranch_execz .LBB207_1934
.LBB207_2149:
	v_add_f32_e32 v3, 0x42800000, v4
	v_and_b32_e32 v3, 0xff, v3
	v_cmp_ne_u32_e32 vcc, 0, v3
	s_andn2_b64 s[14:15], s[14:15], exec
	s_and_b64 s[18:19], vcc, exec
	s_or_b64 s[14:15], s[14:15], s[18:19]
	s_or_b64 exec, exec, s[16:17]
	v_mov_b32_e32 v5, 0
	s_and_saveexec_b64 s[16:17], s[14:15]
	s_cbranch_execnz .LBB207_1935
	s_branch .LBB207_1936
.LBB207_2150:
	s_andn2_saveexec_b64 s[14:15], s[14:15]
	s_cbranch_execz .LBB207_2041
.LBB207_2151:
	v_add_f32_e32 v2, 0x46000000, v3
	v_and_b32_e32 v2, 0xff, v2
	v_cmp_ne_u32_e32 vcc, 0, v2
	s_andn2_b64 s[10:11], s[10:11], exec
	s_and_b64 s[16:17], vcc, exec
	s_or_b64 s[10:11], s[10:11], s[16:17]
	s_or_b64 exec, exec, s[14:15]
	v_mov_b32_e32 v4, 0
	s_and_saveexec_b64 s[14:15], s[10:11]
	s_cbranch_execnz .LBB207_2042
	s_branch .LBB207_2043
.LBB207_2152:
	s_mov_b64 s[4:5], 0
	s_or_b64 s[12:13], s[12:13], exec
	s_trap 2
	s_branch .LBB207_2087
.LBB207_2153:
	s_andn2_saveexec_b64 s[10:11], s[10:11]
	s_cbranch_execz .LBB207_2053
.LBB207_2154:
	v_add_f32_e32 v2, 0x42800000, v3
	v_and_b32_e32 v2, 0xff, v2
	v_cmp_ne_u32_e32 vcc, 0, v2
	s_andn2_b64 s[8:9], s[8:9], exec
	s_and_b64 s[14:15], vcc, exec
	s_or_b64 s[8:9], s[8:9], s[14:15]
	s_or_b64 exec, exec, s[10:11]
	v_mov_b32_e32 v4, 0
	s_and_saveexec_b64 s[10:11], s[8:9]
	s_cbranch_execnz .LBB207_2054
	s_branch .LBB207_2055
	.section	.rodata,"a",@progbits
	.p2align	6, 0x0
	.amdhsa_kernel _ZN2at6native32elementwise_kernel_manual_unrollILi128ELi4EZNS0_15gpu_kernel_implINS0_13AUnaryFunctorIN3c108BFloat16ES5_bNS0_12_GLOBAL__N_116CompareEqFunctorIS5_EEEEEEvRNS_18TensorIteratorBaseERKT_EUlibE0_EEviT1_
		.amdhsa_group_segment_fixed_size 0
		.amdhsa_private_segment_fixed_size 0
		.amdhsa_kernarg_size 368
		.amdhsa_user_sgpr_count 6
		.amdhsa_user_sgpr_private_segment_buffer 1
		.amdhsa_user_sgpr_dispatch_ptr 0
		.amdhsa_user_sgpr_queue_ptr 0
		.amdhsa_user_sgpr_kernarg_segment_ptr 1
		.amdhsa_user_sgpr_dispatch_id 0
		.amdhsa_user_sgpr_flat_scratch_init 0
		.amdhsa_user_sgpr_private_segment_size 0
		.amdhsa_uses_dynamic_stack 0
		.amdhsa_system_sgpr_private_segment_wavefront_offset 0
		.amdhsa_system_sgpr_workgroup_id_x 1
		.amdhsa_system_sgpr_workgroup_id_y 0
		.amdhsa_system_sgpr_workgroup_id_z 0
		.amdhsa_system_sgpr_workgroup_info 0
		.amdhsa_system_vgpr_workitem_id 0
		.amdhsa_next_free_vgpr 18
		.amdhsa_next_free_sgpr 81
		.amdhsa_reserve_vcc 1
		.amdhsa_reserve_flat_scratch 0
		.amdhsa_float_round_mode_32 0
		.amdhsa_float_round_mode_16_64 0
		.amdhsa_float_denorm_mode_32 3
		.amdhsa_float_denorm_mode_16_64 3
		.amdhsa_dx10_clamp 1
		.amdhsa_ieee_mode 1
		.amdhsa_fp16_overflow 0
		.amdhsa_exception_fp_ieee_invalid_op 0
		.amdhsa_exception_fp_denorm_src 0
		.amdhsa_exception_fp_ieee_div_zero 0
		.amdhsa_exception_fp_ieee_overflow 0
		.amdhsa_exception_fp_ieee_underflow 0
		.amdhsa_exception_fp_ieee_inexact 0
		.amdhsa_exception_int_div_zero 0
	.end_amdhsa_kernel
	.section	.text._ZN2at6native32elementwise_kernel_manual_unrollILi128ELi4EZNS0_15gpu_kernel_implINS0_13AUnaryFunctorIN3c108BFloat16ES5_bNS0_12_GLOBAL__N_116CompareEqFunctorIS5_EEEEEEvRNS_18TensorIteratorBaseERKT_EUlibE0_EEviT1_,"axG",@progbits,_ZN2at6native32elementwise_kernel_manual_unrollILi128ELi4EZNS0_15gpu_kernel_implINS0_13AUnaryFunctorIN3c108BFloat16ES5_bNS0_12_GLOBAL__N_116CompareEqFunctorIS5_EEEEEEvRNS_18TensorIteratorBaseERKT_EUlibE0_EEviT1_,comdat
.Lfunc_end207:
	.size	_ZN2at6native32elementwise_kernel_manual_unrollILi128ELi4EZNS0_15gpu_kernel_implINS0_13AUnaryFunctorIN3c108BFloat16ES5_bNS0_12_GLOBAL__N_116CompareEqFunctorIS5_EEEEEEvRNS_18TensorIteratorBaseERKT_EUlibE0_EEviT1_, .Lfunc_end207-_ZN2at6native32elementwise_kernel_manual_unrollILi128ELi4EZNS0_15gpu_kernel_implINS0_13AUnaryFunctorIN3c108BFloat16ES5_bNS0_12_GLOBAL__N_116CompareEqFunctorIS5_EEEEEEvRNS_18TensorIteratorBaseERKT_EUlibE0_EEviT1_
                                        ; -- End function
	.set _ZN2at6native32elementwise_kernel_manual_unrollILi128ELi4EZNS0_15gpu_kernel_implINS0_13AUnaryFunctorIN3c108BFloat16ES5_bNS0_12_GLOBAL__N_116CompareEqFunctorIS5_EEEEEEvRNS_18TensorIteratorBaseERKT_EUlibE0_EEviT1_.num_vgpr, 18
	.set _ZN2at6native32elementwise_kernel_manual_unrollILi128ELi4EZNS0_15gpu_kernel_implINS0_13AUnaryFunctorIN3c108BFloat16ES5_bNS0_12_GLOBAL__N_116CompareEqFunctorIS5_EEEEEEvRNS_18TensorIteratorBaseERKT_EUlibE0_EEviT1_.num_agpr, 0
	.set _ZN2at6native32elementwise_kernel_manual_unrollILi128ELi4EZNS0_15gpu_kernel_implINS0_13AUnaryFunctorIN3c108BFloat16ES5_bNS0_12_GLOBAL__N_116CompareEqFunctorIS5_EEEEEEvRNS_18TensorIteratorBaseERKT_EUlibE0_EEviT1_.numbered_sgpr, 81
	.set _ZN2at6native32elementwise_kernel_manual_unrollILi128ELi4EZNS0_15gpu_kernel_implINS0_13AUnaryFunctorIN3c108BFloat16ES5_bNS0_12_GLOBAL__N_116CompareEqFunctorIS5_EEEEEEvRNS_18TensorIteratorBaseERKT_EUlibE0_EEviT1_.num_named_barrier, 0
	.set _ZN2at6native32elementwise_kernel_manual_unrollILi128ELi4EZNS0_15gpu_kernel_implINS0_13AUnaryFunctorIN3c108BFloat16ES5_bNS0_12_GLOBAL__N_116CompareEqFunctorIS5_EEEEEEvRNS_18TensorIteratorBaseERKT_EUlibE0_EEviT1_.private_seg_size, 0
	.set _ZN2at6native32elementwise_kernel_manual_unrollILi128ELi4EZNS0_15gpu_kernel_implINS0_13AUnaryFunctorIN3c108BFloat16ES5_bNS0_12_GLOBAL__N_116CompareEqFunctorIS5_EEEEEEvRNS_18TensorIteratorBaseERKT_EUlibE0_EEviT1_.uses_vcc, 1
	.set _ZN2at6native32elementwise_kernel_manual_unrollILi128ELi4EZNS0_15gpu_kernel_implINS0_13AUnaryFunctorIN3c108BFloat16ES5_bNS0_12_GLOBAL__N_116CompareEqFunctorIS5_EEEEEEvRNS_18TensorIteratorBaseERKT_EUlibE0_EEviT1_.uses_flat_scratch, 0
	.set _ZN2at6native32elementwise_kernel_manual_unrollILi128ELi4EZNS0_15gpu_kernel_implINS0_13AUnaryFunctorIN3c108BFloat16ES5_bNS0_12_GLOBAL__N_116CompareEqFunctorIS5_EEEEEEvRNS_18TensorIteratorBaseERKT_EUlibE0_EEviT1_.has_dyn_sized_stack, 0
	.set _ZN2at6native32elementwise_kernel_manual_unrollILi128ELi4EZNS0_15gpu_kernel_implINS0_13AUnaryFunctorIN3c108BFloat16ES5_bNS0_12_GLOBAL__N_116CompareEqFunctorIS5_EEEEEEvRNS_18TensorIteratorBaseERKT_EUlibE0_EEviT1_.has_recursion, 0
	.set _ZN2at6native32elementwise_kernel_manual_unrollILi128ELi4EZNS0_15gpu_kernel_implINS0_13AUnaryFunctorIN3c108BFloat16ES5_bNS0_12_GLOBAL__N_116CompareEqFunctorIS5_EEEEEEvRNS_18TensorIteratorBaseERKT_EUlibE0_EEviT1_.has_indirect_call, 0
	.section	.AMDGPU.csdata,"",@progbits
; Kernel info:
; codeLenInByte = 41508
; TotalNumSgprs: 85
; NumVgprs: 18
; ScratchSize: 0
; MemoryBound: 0
; FloatMode: 240
; IeeeMode: 1
; LDSByteSize: 0 bytes/workgroup (compile time only)
; SGPRBlocks: 10
; VGPRBlocks: 4
; NumSGPRsForWavesPerEU: 85
; NumVGPRsForWavesPerEU: 18
; Occupancy: 9
; WaveLimiterHint : 1
; COMPUTE_PGM_RSRC2:SCRATCH_EN: 0
; COMPUTE_PGM_RSRC2:USER_SGPR: 6
; COMPUTE_PGM_RSRC2:TRAP_HANDLER: 0
; COMPUTE_PGM_RSRC2:TGID_X_EN: 1
; COMPUTE_PGM_RSRC2:TGID_Y_EN: 0
; COMPUTE_PGM_RSRC2:TGID_Z_EN: 0
; COMPUTE_PGM_RSRC2:TIDIG_COMP_CNT: 0
	.section	.text._ZN2at6native29vectorized_elementwise_kernelILi16ENS0_13BinaryFunctorIbbbNS0_12_GLOBAL__N_116CompareEqFunctorIbEEEESt5arrayIPcLm3EEEEviT0_T1_,"axG",@progbits,_ZN2at6native29vectorized_elementwise_kernelILi16ENS0_13BinaryFunctorIbbbNS0_12_GLOBAL__N_116CompareEqFunctorIbEEEESt5arrayIPcLm3EEEEviT0_T1_,comdat
	.globl	_ZN2at6native29vectorized_elementwise_kernelILi16ENS0_13BinaryFunctorIbbbNS0_12_GLOBAL__N_116CompareEqFunctorIbEEEESt5arrayIPcLm3EEEEviT0_T1_ ; -- Begin function _ZN2at6native29vectorized_elementwise_kernelILi16ENS0_13BinaryFunctorIbbbNS0_12_GLOBAL__N_116CompareEqFunctorIbEEEESt5arrayIPcLm3EEEEviT0_T1_
	.p2align	8
	.type	_ZN2at6native29vectorized_elementwise_kernelILi16ENS0_13BinaryFunctorIbbbNS0_12_GLOBAL__N_116CompareEqFunctorIbEEEESt5arrayIPcLm3EEEEviT0_T1_,@function
_ZN2at6native29vectorized_elementwise_kernelILi16ENS0_13BinaryFunctorIbbbNS0_12_GLOBAL__N_116CompareEqFunctorIbEEEESt5arrayIPcLm3EEEEviT0_T1_: ; @_ZN2at6native29vectorized_elementwise_kernelILi16ENS0_13BinaryFunctorIbbbNS0_12_GLOBAL__N_116CompareEqFunctorIbEEEESt5arrayIPcLm3EEEEviT0_T1_
; %bb.0:
	s_load_dwordx2 s[14:15], s[4:5], 0x0
	s_load_dwordx4 s[16:19], s[4:5], 0x8
	s_load_dwordx2 s[20:21], s[4:5], 0x18
	s_lshl_b32 s33, s6, 12
	s_mov_b64 s[0:1], -1
	s_waitcnt lgkmcnt(0)
	s_sub_i32 s14, s14, s33
	s_cmpk_gt_i32 s14, 0xfff
	s_cbranch_scc0 .LBB208_2
; %bb.1:
	s_ashr_i32 s2, s33, 31
	s_add_u32 s0, s18, s33
	s_addc_u32 s1, s19, s2
	v_lshlrev_b32_e32 v9, 4, v0
	global_load_dwordx4 v[1:4], v9, s[0:1]
	s_add_u32 s0, s20, s33
	s_addc_u32 s1, s21, s2
	global_load_dwordx4 v[5:8], v9, s[0:1]
	v_mov_b32_e32 v10, 0
	s_cmp_eq_u32 s15, 0
	s_movk_i32 s44, 0xff
	s_cselect_b64 s[24:25], -1, 0
	s_add_u32 s22, s16, s33
	s_addc_u32 s23, s17, s2
	s_waitcnt vmcnt(1)
	v_cmp_ne_u16_sdwa s[8:9], v1, v10 src0_sel:BYTE_0 src1_sel:DWORD
	v_and_b32_sdwa v11, v2, s44 dst_sel:DWORD dst_unused:UNUSED_PAD src0_sel:WORD_1 src1_sel:DWORD
	v_and_b32_sdwa v12, v1, s44 dst_sel:DWORD dst_unused:UNUSED_PAD src0_sel:WORD_1 src1_sel:DWORD
	s_waitcnt vmcnt(0)
	v_cmp_ne_u16_sdwa s[46:47], v5, v10 src0_sel:BYTE_0 src1_sel:DWORD
	v_cmp_ne_u16_sdwa s[6:7], v1, v10 src0_sel:BYTE_3 src1_sel:DWORD
	v_cmp_ne_u16_sdwa s[10:11], v1, v10 src0_sel:BYTE_1 src1_sel:DWORD
	v_cmp_ne_u16_sdwa s[28:29], v2, v10 src0_sel:BYTE_1 src1_sel:DWORD
	v_cmp_ne_u16_sdwa s[42:43], v4, v10 src0_sel:BYTE_1 src1_sel:DWORD
	v_and_b32_sdwa v1, v6, s44 dst_sel:DWORD dst_unused:UNUSED_PAD src0_sel:WORD_1 src1_sel:DWORD
	v_cmp_ne_u16_sdwa s[54:55], v6, v10 src0_sel:BYTE_1 src1_sel:DWORD
	s_xor_b64 s[46:47], s[8:9], s[46:47]
	v_cmp_ne_u16_sdwa s[8:9], v8, v10 src0_sel:BYTE_1 src1_sel:DWORD
	v_cmp_ne_u16_sdwa s[26:27], v2, v10 src0_sel:BYTE_0 src1_sel:DWORD
	v_cmp_ne_u16_e64 s[0:1], 0, v11
	v_cmp_ne_u16_sdwa s[52:53], v6, v10 src0_sel:BYTE_0 src1_sel:DWORD
	s_xor_b64 s[28:29], s[28:29], s[54:55]
	s_xor_b64 s[42:43], s[42:43], s[8:9]
	v_cmp_ne_u16_e64 s[8:9], 0, v1
	v_cmp_ne_u16_sdwa s[12:13], v2, v10 src0_sel:BYTE_3 src1_sel:DWORD
	v_cmp_ne_u16_sdwa s[50:51], v6, v10 src0_sel:BYTE_3 src1_sel:DWORD
	s_xor_b64 s[26:27], s[26:27], s[52:53]
	s_xor_b64 s[0:1], s[0:1], s[8:9]
	;; [unrolled: 1-line block ×3, first 2 shown]
	v_and_b32_sdwa v13, v4, s44 dst_sel:DWORD dst_unused:UNUSED_PAD src0_sel:WORD_1 src1_sel:DWORD
	v_and_b32_sdwa v14, v3, s44 dst_sel:DWORD dst_unused:UNUSED_PAD src0_sel:WORD_1 src1_sel:DWORD
	v_cmp_ne_u16_sdwa s[30:31], v3, v10 src0_sel:BYTE_3 src1_sel:DWORD
	v_cmp_ne_u16_sdwa s[34:35], v3, v10 src0_sel:BYTE_0 src1_sel:DWORD
	v_cmp_ne_u16_sdwa s[36:37], v3, v10 src0_sel:BYTE_1 src1_sel:DWORD
	v_cmp_ne_u16_sdwa s[38:39], v4, v10 src0_sel:BYTE_3 src1_sel:DWORD
	v_cmp_ne_u16_sdwa s[40:41], v4, v10 src0_sel:BYTE_0 src1_sel:DWORD
	v_and_b32_sdwa v2, v5, s44 dst_sel:DWORD dst_unused:UNUSED_PAD src0_sel:WORD_1 src1_sel:DWORD
	v_and_b32_sdwa v3, v8, s44 dst_sel:DWORD dst_unused:UNUSED_PAD src0_sel:WORD_1 src1_sel:DWORD
	;; [unrolled: 1-line block ×3, first 2 shown]
	v_cmp_ne_u16_sdwa s[44:45], v5, v10 src0_sel:BYTE_3 src1_sel:DWORD
	v_cmp_ne_u16_sdwa s[48:49], v5, v10 src0_sel:BYTE_1 src1_sel:DWORD
	s_xor_b64 s[50:51], s[12:13], s[50:51]
	v_cndmask_b32_e64 v1, 0, 1, s[8:9]
	s_xor_b64 s[8:9], s[24:25], s[26:27]
	v_cmp_ne_u16_sdwa s[12:13], v8, v10 src0_sel:BYTE_3 src1_sel:DWORD
	s_xor_b64 s[48:49], s[10:11], s[48:49]
	s_xor_b64 s[44:45], s[6:7], s[44:45]
	v_cmp_ne_u16_e64 s[6:7], 0, v2
	v_cndmask_b32_e64 v2, 0, 1, s[8:9]
	s_xor_b64 s[8:9], s[24:25], s[50:51]
	v_cmp_ne_u16_sdwa s[10:11], v8, v10 src0_sel:BYTE_0 src1_sel:DWORD
	s_xor_b64 s[38:39], s[38:39], s[12:13]
	v_cmp_ne_u16_e64 s[12:13], 0, v3
	v_cndmask_b32_e64 v3, 0, 1, s[8:9]
	s_xor_b64 s[8:9], s[24:25], s[48:49]
	v_cmp_ne_u16_e32 vcc, 0, v12
	s_xor_b64 s[40:41], s[40:41], s[10:11]
	v_cmp_ne_u16_e64 s[10:11], 0, v4
	v_cndmask_b32_e64 v4, 0, 1, s[8:9]
	s_xor_b64 s[8:9], s[24:25], s[46:47]
	s_xor_b64 s[6:7], vcc, s[6:7]
	v_cndmask_b32_e64 v5, 0, 1, s[8:9]
	s_xor_b64 s[8:9], s[24:25], s[44:45]
	s_xor_b64 s[0:1], s[24:25], s[0:1]
	v_cmp_ne_u16_sdwa s[56:57], v7, v10 src0_sel:BYTE_3 src1_sel:DWORD
	v_cmp_ne_u16_sdwa s[54:55], v7, v10 src0_sel:BYTE_0 src1_sel:DWORD
	v_cmp_ne_u16_sdwa s[52:53], v7, v10 src0_sel:BYTE_1 src1_sel:DWORD
	v_cndmask_b32_e64 v6, 0, 1, s[8:9]
	v_cndmask_b32_e64 v7, 0, 1, s[0:1]
	s_xor_b64 s[0:1], s[24:25], s[6:7]
	v_cmp_ne_u16_e64 s[2:3], 0, v14
	v_lshlrev_b16_e32 v1, 8, v1
	v_lshlrev_b16_e32 v3, 8, v3
	;; [unrolled: 1-line block ×4, first 2 shown]
	v_cndmask_b32_e64 v8, 0, 1, s[0:1]
	v_or_b32_e32 v1, v2, v1
	v_or_b32_sdwa v2, v7, v3 dst_sel:WORD_1 dst_unused:UNUSED_PAD src0_sel:DWORD src1_sel:DWORD
	v_or_b32_e32 v3, v5, v4
	v_or_b32_sdwa v4, v8, v6 dst_sel:WORD_1 dst_unused:UNUSED_PAD src0_sel:DWORD src1_sel:DWORD
	s_xor_b64 s[2:3], s[2:3], s[10:11]
	s_xor_b64 s[10:11], s[24:25], s[42:43]
	v_cmp_ne_u16_e64 s[4:5], 0, v13
	v_or_b32_sdwa v2, v1, v2 dst_sel:DWORD dst_unused:UNUSED_PAD src0_sel:WORD_0 src1_sel:DWORD
	v_or_b32_sdwa v1, v3, v4 dst_sel:DWORD dst_unused:UNUSED_PAD src0_sel:WORD_0 src1_sel:DWORD
	v_cndmask_b32_e64 v3, 0, 1, s[10:11]
	s_xor_b64 s[10:11], s[24:25], s[40:41]
	s_xor_b64 s[0:1], s[4:5], s[12:13]
	v_lshlrev_b16_e32 v3, 8, v3
	v_cndmask_b32_e64 v4, 0, 1, s[10:11]
	s_xor_b64 s[10:11], s[24:25], s[38:39]
	v_or_b32_e32 v3, v4, v3
	v_cndmask_b32_e64 v4, 0, 1, s[10:11]
	s_xor_b64 s[0:1], s[24:25], s[0:1]
	s_xor_b64 s[4:5], s[36:37], s[52:53]
	v_lshlrev_b16_e32 v4, 8, v4
	v_cndmask_b32_e64 v5, 0, 1, s[0:1]
	s_xor_b64 s[6:7], s[34:35], s[54:55]
	v_or_b32_sdwa v4, v5, v4 dst_sel:WORD_1 dst_unused:UNUSED_PAD src0_sel:DWORD src1_sel:DWORD
	s_xor_b64 s[0:1], s[24:25], s[4:5]
	s_xor_b64 s[8:9], s[30:31], s[56:57]
	v_or_b32_sdwa v4, v3, v4 dst_sel:DWORD dst_unused:UNUSED_PAD src0_sel:WORD_0 src1_sel:DWORD
	v_cndmask_b32_e64 v3, 0, 1, s[0:1]
	s_xor_b64 s[0:1], s[24:25], s[6:7]
	v_lshlrev_b16_e32 v3, 8, v3
	v_cndmask_b32_e64 v5, 0, 1, s[0:1]
	s_xor_b64 s[0:1], s[24:25], s[8:9]
	v_or_b32_e32 v3, v5, v3
	v_cndmask_b32_e64 v5, 0, 1, s[0:1]
	s_xor_b64 s[0:1], s[24:25], s[2:3]
	v_lshlrev_b16_e32 v5, 8, v5
	v_cndmask_b32_e64 v6, 0, 1, s[0:1]
	v_or_b32_sdwa v5, v6, v5 dst_sel:WORD_1 dst_unused:UNUSED_PAD src0_sel:DWORD src1_sel:DWORD
	v_or_b32_sdwa v3, v3, v5 dst_sel:DWORD dst_unused:UNUSED_PAD src0_sel:WORD_0 src1_sel:DWORD
	global_store_dwordx4 v9, v[1:4], s[22:23]
	s_mov_b64 s[0:1], 0
.LBB208_2:
	s_andn2_b64 vcc, exec, s[0:1]
	s_cbranch_vccnz .LBB208_52
; %bb.3:
	v_cmp_gt_i32_e32 vcc, s14, v0
	s_mov_b64 s[4:5], 0
	v_or_b32_e32 v1, s33, v0
	s_mov_b64 s[6:7], 0
	v_mov_b32_e32 v2, v0
	s_and_saveexec_b64 s[8:9], vcc
	s_cbranch_execz .LBB208_5
; %bb.4:
	global_load_ubyte v2, v1, s[18:19]
	global_load_ubyte v3, v1, s[20:21]
	s_waitcnt vmcnt(1)
	v_cmp_ne_u16_e64 s[0:1], 0, v2
	s_waitcnt vmcnt(0)
	v_cmp_ne_u16_e64 s[2:3], 0, v3
	s_xor_b64 s[0:1], s[0:1], s[2:3]
	v_or_b32_e32 v2, 0x100, v0
	s_and_b64 s[6:7], s[0:1], exec
.LBB208_5:
	s_or_b64 exec, exec, s[8:9]
	v_cmp_gt_i32_e64 s[0:1], s14, v2
	s_and_saveexec_b64 s[8:9], s[0:1]
	s_cbranch_execz .LBB208_7
; %bb.6:
	v_add_u32_e32 v3, s33, v2
	global_load_ubyte v4, v3, s[18:19]
	global_load_ubyte v5, v3, s[20:21]
	v_add_u32_e32 v2, 0x100, v2
	s_waitcnt vmcnt(1)
	v_cmp_ne_u16_e64 s[0:1], 0, v4
	s_waitcnt vmcnt(0)
	v_cmp_ne_u16_e64 s[2:3], 0, v5
	s_xor_b64 s[0:1], s[0:1], s[2:3]
	s_and_b64 s[4:5], s[0:1], exec
.LBB208_7:
	s_or_b64 exec, exec, s[8:9]
	v_cmp_gt_i32_e64 s[0:1], s14, v2
	s_mov_b64 s[8:9], 0
	s_mov_b64 s[10:11], 0
	s_and_saveexec_b64 s[12:13], s[0:1]
	s_cbranch_execz .LBB208_9
; %bb.8:
	v_add_u32_e32 v3, s33, v2
	global_load_ubyte v4, v3, s[18:19]
	global_load_ubyte v5, v3, s[20:21]
	v_add_u32_e32 v2, 0x100, v2
	s_waitcnt vmcnt(1)
	v_cmp_ne_u16_e64 s[0:1], 0, v4
	s_waitcnt vmcnt(0)
	v_cmp_ne_u16_e64 s[2:3], 0, v5
	s_xor_b64 s[0:1], s[0:1], s[2:3]
	s_and_b64 s[10:11], s[0:1], exec
.LBB208_9:
	s_or_b64 exec, exec, s[12:13]
	v_cmp_gt_i32_e64 s[0:1], s14, v2
	s_and_saveexec_b64 s[12:13], s[0:1]
	s_cbranch_execz .LBB208_11
; %bb.10:
	v_add_u32_e32 v3, s33, v2
	global_load_ubyte v4, v3, s[18:19]
	global_load_ubyte v5, v3, s[20:21]
	v_add_u32_e32 v2, 0x100, v2
	s_waitcnt vmcnt(1)
	v_cmp_ne_u16_e64 s[0:1], 0, v4
	s_waitcnt vmcnt(0)
	v_cmp_ne_u16_e64 s[2:3], 0, v5
	s_xor_b64 s[0:1], s[0:1], s[2:3]
	s_and_b64 s[8:9], s[0:1], exec
.LBB208_11:
	s_or_b64 exec, exec, s[12:13]
	v_cmp_gt_i32_e64 s[0:1], s14, v2
	s_mov_b64 s[12:13], 0
	s_mov_b64 s[22:23], 0
	s_and_saveexec_b64 s[24:25], s[0:1]
	s_cbranch_execz .LBB208_13
; %bb.12:
	v_add_u32_e32 v3, s33, v2
	global_load_ubyte v4, v3, s[18:19]
	global_load_ubyte v5, v3, s[20:21]
	v_add_u32_e32 v2, 0x100, v2
	s_waitcnt vmcnt(1)
	v_cmp_ne_u16_e64 s[0:1], 0, v4
	s_waitcnt vmcnt(0)
	v_cmp_ne_u16_e64 s[2:3], 0, v5
	s_xor_b64 s[0:1], s[0:1], s[2:3]
	s_and_b64 s[22:23], s[0:1], exec
.LBB208_13:
	;; [unrolled: 34-line block ×7, first 2 shown]
	s_or_b64 exec, exec, s[46:47]
	v_cmp_gt_i32_e64 s[0:1], s14, v2
	s_and_saveexec_b64 s[46:47], s[0:1]
	s_cbranch_execz .LBB208_35
; %bb.34:
	v_add_u32_e32 v2, s33, v2
	global_load_ubyte v3, v2, s[18:19]
	global_load_ubyte v4, v2, s[20:21]
	s_waitcnt vmcnt(1)
	v_cmp_ne_u16_e64 s[0:1], 0, v3
	s_waitcnt vmcnt(0)
	v_cmp_ne_u16_e64 s[2:3], 0, v4
	s_xor_b64 s[0:1], s[0:1], s[2:3]
	s_and_b64 s[42:43], s[0:1], exec
.LBB208_35:
	s_or_b64 exec, exec, s[46:47]
	s_cmp_eq_u32 s15, 0
	s_cselect_b64 s[2:3], -1, 0
	s_xor_b64 s[0:1], s[2:3], s[6:7]
	v_cndmask_b32_e64 v2, 0, 1, s[0:1]
	s_xor_b64 s[0:1], s[2:3], s[4:5]
	v_cndmask_b32_e64 v3, 0, 1, s[0:1]
	v_cndmask_b32_e32 v2, 0, v2, vcc
	v_lshlrev_b16_e32 v3, 8, v3
	v_or_b32_e32 v6, 0x100, v0
	v_or_b32_e32 v3, v2, v3
	v_and_b32_e32 v3, 0xffff, v3
	v_cmp_gt_i32_e64 s[0:1], s14, v6
	v_cndmask_b32_e64 v2, v2, v3, s[0:1]
	s_xor_b64 s[0:1], s[2:3], s[10:11]
	v_or_b32_e32 v3, 0x200, v0
	v_cndmask_b32_e64 v4, 0, 1, s[0:1]
	v_lshl_or_b32 v4, v4, 16, v2
	v_cmp_gt_i32_e64 s[0:1], s14, v3
	v_cndmask_b32_e64 v2, v2, v4, s[0:1]
	s_xor_b64 s[0:1], s[2:3], s[8:9]
	s_movk_i32 s5, 0xff
	v_cndmask_b32_e64 v5, 0, 1, s[0:1]
	v_and_b32_sdwa v3, v2, s5 dst_sel:DWORD dst_unused:UNUSED_PAD src0_sel:WORD_1 src1_sel:DWORD
	v_lshlrev_b16_e32 v5, 8, v5
	s_mov_b32 s4, 0xffff
	v_or_b32_e32 v4, 0x300, v0
	v_or_b32_sdwa v3, v3, v5 dst_sel:WORD_1 dst_unused:UNUSED_PAD src0_sel:DWORD src1_sel:DWORD
	v_and_or_b32 v3, v2, s4, v3
	v_cmp_gt_i32_e64 s[0:1], s14, v4
	v_cndmask_b32_e64 v5, v2, v3, s[0:1]
	s_xor_b64 s[0:1], s[2:3], s[22:23]
	v_cndmask_b32_e64 v2, 0, 1, s[0:1]
	v_or_b32_e32 v3, 0x400, v0
	v_and_b32_e32 v2, 0xffff, v2
	v_cmp_gt_i32_e64 s[0:1], s14, v3
	v_cndmask_b32_e64 v2, 0, v2, s[0:1]
	s_xor_b64 s[0:1], s[2:3], s[12:13]
	v_cndmask_b32_e64 v4, 0, 1, s[0:1]
	v_lshlrev_b16_e32 v4, 8, v4
	v_or_b32_e32 v3, 0x500, v0
	v_or_b32_sdwa v4, v2, v4 dst_sel:DWORD dst_unused:UNUSED_PAD src0_sel:BYTE_0 src1_sel:DWORD
	v_and_b32_e32 v4, 0xffff, v4
	v_cmp_gt_i32_e64 s[0:1], s14, v3
	s_movk_i32 s6, 0xff00
	v_cndmask_b32_e64 v2, v2, v4, s[0:1]
	s_xor_b64 s[0:1], s[2:3], s[26:27]
	v_and_b32_sdwa v3, v2, s6 dst_sel:DWORD dst_unused:UNUSED_PAD src0_sel:WORD_1 src1_sel:DWORD
	v_cndmask_b32_e64 v4, 0, 1, s[0:1]
	v_or_b32_sdwa v3, v4, v3 dst_sel:WORD_1 dst_unused:UNUSED_PAD src0_sel:DWORD src1_sel:DWORD
	v_or_b32_e32 v4, 0x600, v0
	v_and_or_b32 v3, v2, s4, v3
	v_cmp_gt_i32_e64 s[0:1], s14, v4
	v_cndmask_b32_e64 v2, v2, v3, s[0:1]
	s_xor_b64 s[0:1], s[2:3], s[24:25]
	v_cndmask_b32_e64 v7, 0, 1, s[0:1]
	v_and_b32_sdwa v3, v2, s5 dst_sel:DWORD dst_unused:UNUSED_PAD src0_sel:WORD_1 src1_sel:DWORD
	v_lshlrev_b16_e32 v7, 8, v7
	v_or_b32_e32 v4, 0x700, v0
	v_or_b32_sdwa v3, v3, v7 dst_sel:WORD_1 dst_unused:UNUSED_PAD src0_sel:DWORD src1_sel:DWORD
	v_and_or_b32 v3, v2, s4, v3
	v_cmp_gt_i32_e64 s[0:1], s14, v4
	v_cndmask_b32_e64 v4, v2, v3, s[0:1]
	v_or_b32_e32 v2, 0x800, v0
	s_xor_b64 s[0:1], s[2:3], s[30:31]
	v_cndmask_b32_e64 v3, 0, 1, s[0:1]
	v_cmp_gt_i32_e64 s[0:1], s14, v2
	v_cndmask_b32_e64 v2, 0, v3, s[0:1]
	s_xor_b64 s[0:1], s[2:3], s[28:29]
	v_cndmask_b32_e64 v7, 0, 1, s[0:1]
	v_lshlrev_b16_e32 v7, 8, v7
	v_or_b32_e32 v3, 0x900, v0
	v_or_b32_e32 v7, v2, v7
	v_and_b32_e32 v7, 0xffff, v7
	v_cmp_gt_i32_e64 s[0:1], s14, v3
	v_cndmask_b32_e64 v2, v2, v7, s[0:1]
	s_xor_b64 s[0:1], s[2:3], s[36:37]
	v_cndmask_b32_e64 v7, 0, 1, s[0:1]
	v_or_b32_e32 v3, 0xa00, v0
	v_lshlrev_b32_e32 v7, 16, v7
	s_movk_i32 s0, 0x1ff
	v_and_or_b32 v7, v2, s0, v7
	v_cmp_gt_i32_e64 s[0:1], s14, v3
	v_cndmask_b32_e64 v2, v2, v7, s[0:1]
	s_xor_b64 s[0:1], s[2:3], s[34:35]
	v_cndmask_b32_e64 v8, 0, 1, s[0:1]
	v_and_b32_sdwa v3, v2, s5 dst_sel:DWORD dst_unused:UNUSED_PAD src0_sel:WORD_1 src1_sel:DWORD
	v_lshlrev_b16_e32 v8, 8, v8
	v_or_b32_e32 v7, 0xb00, v0
	v_or_b32_sdwa v3, v3, v8 dst_sel:WORD_1 dst_unused:UNUSED_PAD src0_sel:DWORD src1_sel:DWORD
	v_and_or_b32 v3, v2, s4, v3
	v_cmp_gt_i32_e64 s[0:1], s14, v7
	v_cndmask_b32_e64 v3, v2, v3, s[0:1]
	v_or_b32_e32 v2, 0xc00, v0
	s_xor_b64 s[0:1], s[2:3], s[40:41]
	v_cndmask_b32_e64 v7, 0, 1, s[0:1]
	v_cmp_gt_i32_e64 s[0:1], s14, v2
	v_cndmask_b32_e64 v2, 0, v7, s[0:1]
	s_xor_b64 s[0:1], s[2:3], s[38:39]
	v_cndmask_b32_e64 v8, 0, 1, s[0:1]
	v_lshlrev_b16_e32 v8, 8, v8
	v_or_b32_e32 v7, 0xd00, v0
	v_or_b32_sdwa v8, v2, v8 dst_sel:DWORD dst_unused:UNUSED_PAD src0_sel:BYTE_0 src1_sel:DWORD
	v_and_b32_e32 v8, 0xffff, v8
	v_cmp_gt_i32_e64 s[0:1], s14, v7
	v_cndmask_b32_e64 v2, v2, v8, s[0:1]
	s_xor_b64 s[0:1], s[2:3], s[44:45]
	v_and_b32_sdwa v7, v2, s6 dst_sel:DWORD dst_unused:UNUSED_PAD src0_sel:WORD_1 src1_sel:DWORD
	v_cndmask_b32_e64 v8, 0, 1, s[0:1]
	v_or_b32_sdwa v7, v8, v7 dst_sel:WORD_1 dst_unused:UNUSED_PAD src0_sel:DWORD src1_sel:DWORD
	v_or_b32_e32 v8, 0xe00, v0
	v_and_or_b32 v7, v2, s4, v7
	v_cmp_gt_i32_e64 s[0:1], s14, v8
	v_cndmask_b32_e64 v2, v2, v7, s[0:1]
	s_xor_b64 s[0:1], s[2:3], s[42:43]
	v_cndmask_b32_e64 v9, 0, 1, s[0:1]
	v_and_b32_sdwa v7, v2, s5 dst_sel:DWORD dst_unused:UNUSED_PAD src0_sel:WORD_1 src1_sel:DWORD
	v_lshlrev_b16_e32 v9, 8, v9
	v_or_b32_e32 v8, 0xf00, v0
	v_or_b32_sdwa v7, v7, v9 dst_sel:WORD_1 dst_unused:UNUSED_PAD src0_sel:DWORD src1_sel:DWORD
	v_and_or_b32 v7, v2, s4, v7
	v_cmp_gt_i32_e64 s[0:1], s14, v8
	v_cndmask_b32_e64 v2, v2, v7, s[0:1]
	s_and_saveexec_b64 s[0:1], vcc
	s_cbranch_execnz .LBB208_53
; %bb.36:
	s_or_b64 exec, exec, s[0:1]
	v_cmp_gt_i32_e32 vcc, s14, v0
	s_and_saveexec_b64 s[0:1], vcc
	s_cbranch_execnz .LBB208_54
.LBB208_37:
	s_or_b64 exec, exec, s[0:1]
	v_cmp_gt_i32_e32 vcc, s14, v0
	s_and_saveexec_b64 s[0:1], vcc
	s_cbranch_execnz .LBB208_55
.LBB208_38:
	s_or_b64 exec, exec, s[0:1]
	v_cmp_gt_i32_e32 vcc, s14, v0
	s_and_saveexec_b64 s[0:1], vcc
	s_cbranch_execnz .LBB208_56
.LBB208_39:
	s_or_b64 exec, exec, s[0:1]
	v_cmp_gt_i32_e32 vcc, s14, v0
	s_and_saveexec_b64 s[0:1], vcc
	s_cbranch_execnz .LBB208_57
.LBB208_40:
	s_or_b64 exec, exec, s[0:1]
	v_cmp_gt_i32_e32 vcc, s14, v0
	s_and_saveexec_b64 s[0:1], vcc
	s_cbranch_execnz .LBB208_58
.LBB208_41:
	s_or_b64 exec, exec, s[0:1]
	v_cmp_gt_i32_e32 vcc, s14, v0
	s_and_saveexec_b64 s[0:1], vcc
	s_cbranch_execnz .LBB208_59
.LBB208_42:
	s_or_b64 exec, exec, s[0:1]
	v_cmp_gt_i32_e32 vcc, s14, v0
	s_and_saveexec_b64 s[0:1], vcc
	s_cbranch_execnz .LBB208_60
.LBB208_43:
	s_or_b64 exec, exec, s[0:1]
	v_cmp_gt_i32_e32 vcc, s14, v0
	s_and_saveexec_b64 s[0:1], vcc
	s_cbranch_execnz .LBB208_61
.LBB208_44:
	s_or_b64 exec, exec, s[0:1]
	v_cmp_gt_i32_e32 vcc, s14, v0
	s_and_saveexec_b64 s[0:1], vcc
	s_cbranch_execnz .LBB208_62
.LBB208_45:
	s_or_b64 exec, exec, s[0:1]
	v_cmp_gt_i32_e32 vcc, s14, v0
	s_and_saveexec_b64 s[0:1], vcc
	s_cbranch_execnz .LBB208_63
.LBB208_46:
	s_or_b64 exec, exec, s[0:1]
	v_cmp_gt_i32_e32 vcc, s14, v0
	s_and_saveexec_b64 s[0:1], vcc
	s_cbranch_execnz .LBB208_64
.LBB208_47:
	s_or_b64 exec, exec, s[0:1]
	v_cmp_gt_i32_e32 vcc, s14, v0
	s_and_saveexec_b64 s[0:1], vcc
	s_cbranch_execnz .LBB208_65
.LBB208_48:
	s_or_b64 exec, exec, s[0:1]
	v_cmp_gt_i32_e32 vcc, s14, v0
	s_and_saveexec_b64 s[0:1], vcc
	s_cbranch_execnz .LBB208_66
.LBB208_49:
	s_or_b64 exec, exec, s[0:1]
	v_cmp_gt_i32_e32 vcc, s14, v0
	s_and_saveexec_b64 s[0:1], vcc
	s_cbranch_execnz .LBB208_67
.LBB208_50:
	s_or_b64 exec, exec, s[0:1]
	v_cmp_gt_i32_e32 vcc, s14, v0
	s_and_saveexec_b64 s[0:1], vcc
	s_cbranch_execz .LBB208_52
.LBB208_51:
	v_lshrrev_b32_e32 v1, 24, v2
	v_add_u32_e32 v0, s33, v0
	global_store_byte v0, v1, s[16:17]
.LBB208_52:
	s_endpgm
.LBB208_53:
	v_mov_b32_e32 v0, v6
	global_store_byte v1, v5, s[16:17]
	s_or_b64 exec, exec, s[0:1]
	v_cmp_gt_i32_e32 vcc, s14, v0
	s_and_saveexec_b64 s[0:1], vcc
	s_cbranch_execz .LBB208_37
.LBB208_54:
	v_lshrrev_b32_e32 v1, 8, v5
	v_add_u32_e32 v6, s33, v0
	v_add_u32_e32 v0, 0x100, v0
	global_store_byte v6, v1, s[16:17]
	s_or_b64 exec, exec, s[0:1]
	v_cmp_gt_i32_e32 vcc, s14, v0
	s_and_saveexec_b64 s[0:1], vcc
	s_cbranch_execz .LBB208_38
.LBB208_55:
	v_add_u32_e32 v1, s33, v0
	v_add_u32_e32 v0, 0x100, v0
	global_store_byte_d16_hi v1, v5, s[16:17]
	s_or_b64 exec, exec, s[0:1]
	v_cmp_gt_i32_e32 vcc, s14, v0
	s_and_saveexec_b64 s[0:1], vcc
	s_cbranch_execz .LBB208_39
.LBB208_56:
	v_lshrrev_b32_e32 v1, 24, v5
	v_add_u32_e32 v5, s33, v0
	v_add_u32_e32 v0, 0x100, v0
	global_store_byte v5, v1, s[16:17]
	s_or_b64 exec, exec, s[0:1]
	v_cmp_gt_i32_e32 vcc, s14, v0
	s_and_saveexec_b64 s[0:1], vcc
	s_cbranch_execz .LBB208_40
.LBB208_57:
	v_add_u32_e32 v1, s33, v0
	v_add_u32_e32 v0, 0x100, v0
	global_store_byte v1, v4, s[16:17]
	s_or_b64 exec, exec, s[0:1]
	v_cmp_gt_i32_e32 vcc, s14, v0
	s_and_saveexec_b64 s[0:1], vcc
	s_cbranch_execz .LBB208_41
.LBB208_58:
	v_lshrrev_b32_e32 v1, 8, v4
	v_add_u32_e32 v5, s33, v0
	v_add_u32_e32 v0, 0x100, v0
	global_store_byte v5, v1, s[16:17]
	s_or_b64 exec, exec, s[0:1]
	v_cmp_gt_i32_e32 vcc, s14, v0
	s_and_saveexec_b64 s[0:1], vcc
	s_cbranch_execz .LBB208_42
.LBB208_59:
	v_add_u32_e32 v1, s33, v0
	v_add_u32_e32 v0, 0x100, v0
	global_store_byte_d16_hi v1, v4, s[16:17]
	s_or_b64 exec, exec, s[0:1]
	v_cmp_gt_i32_e32 vcc, s14, v0
	s_and_saveexec_b64 s[0:1], vcc
	s_cbranch_execz .LBB208_43
.LBB208_60:
	v_lshrrev_b32_e32 v1, 24, v4
	v_add_u32_e32 v4, s33, v0
	v_add_u32_e32 v0, 0x100, v0
	global_store_byte v4, v1, s[16:17]
	s_or_b64 exec, exec, s[0:1]
	v_cmp_gt_i32_e32 vcc, s14, v0
	s_and_saveexec_b64 s[0:1], vcc
	s_cbranch_execz .LBB208_44
.LBB208_61:
	v_add_u32_e32 v1, s33, v0
	v_add_u32_e32 v0, 0x100, v0
	global_store_byte v1, v3, s[16:17]
	s_or_b64 exec, exec, s[0:1]
	v_cmp_gt_i32_e32 vcc, s14, v0
	s_and_saveexec_b64 s[0:1], vcc
	s_cbranch_execz .LBB208_45
.LBB208_62:
	v_lshrrev_b32_e32 v1, 8, v3
	v_add_u32_e32 v4, s33, v0
	v_add_u32_e32 v0, 0x100, v0
	global_store_byte v4, v1, s[16:17]
	s_or_b64 exec, exec, s[0:1]
	v_cmp_gt_i32_e32 vcc, s14, v0
	s_and_saveexec_b64 s[0:1], vcc
	s_cbranch_execz .LBB208_46
.LBB208_63:
	v_add_u32_e32 v1, s33, v0
	v_add_u32_e32 v0, 0x100, v0
	global_store_byte_d16_hi v1, v3, s[16:17]
	s_or_b64 exec, exec, s[0:1]
	v_cmp_gt_i32_e32 vcc, s14, v0
	s_and_saveexec_b64 s[0:1], vcc
	s_cbranch_execz .LBB208_47
.LBB208_64:
	v_lshrrev_b32_e32 v1, 24, v3
	v_add_u32_e32 v3, s33, v0
	v_add_u32_e32 v0, 0x100, v0
	global_store_byte v3, v1, s[16:17]
	s_or_b64 exec, exec, s[0:1]
	v_cmp_gt_i32_e32 vcc, s14, v0
	s_and_saveexec_b64 s[0:1], vcc
	s_cbranch_execz .LBB208_48
.LBB208_65:
	v_add_u32_e32 v1, s33, v0
	v_add_u32_e32 v0, 0x100, v0
	global_store_byte v1, v2, s[16:17]
	s_or_b64 exec, exec, s[0:1]
	v_cmp_gt_i32_e32 vcc, s14, v0
	s_and_saveexec_b64 s[0:1], vcc
	s_cbranch_execz .LBB208_49
.LBB208_66:
	v_lshrrev_b32_e32 v1, 8, v2
	v_add_u32_e32 v3, s33, v0
	v_add_u32_e32 v0, 0x100, v0
	global_store_byte v3, v1, s[16:17]
	s_or_b64 exec, exec, s[0:1]
	v_cmp_gt_i32_e32 vcc, s14, v0
	s_and_saveexec_b64 s[0:1], vcc
	s_cbranch_execz .LBB208_50
.LBB208_67:
	v_add_u32_e32 v1, s33, v0
	v_add_u32_e32 v0, 0x100, v0
	global_store_byte_d16_hi v1, v2, s[16:17]
	s_or_b64 exec, exec, s[0:1]
	v_cmp_gt_i32_e32 vcc, s14, v0
	s_and_saveexec_b64 s[0:1], vcc
	s_cbranch_execnz .LBB208_51
	s_branch .LBB208_52
	.section	.rodata,"a",@progbits
	.p2align	6, 0x0
	.amdhsa_kernel _ZN2at6native29vectorized_elementwise_kernelILi16ENS0_13BinaryFunctorIbbbNS0_12_GLOBAL__N_116CompareEqFunctorIbEEEESt5arrayIPcLm3EEEEviT0_T1_
		.amdhsa_group_segment_fixed_size 0
		.amdhsa_private_segment_fixed_size 0
		.amdhsa_kernarg_size 32
		.amdhsa_user_sgpr_count 6
		.amdhsa_user_sgpr_private_segment_buffer 1
		.amdhsa_user_sgpr_dispatch_ptr 0
		.amdhsa_user_sgpr_queue_ptr 0
		.amdhsa_user_sgpr_kernarg_segment_ptr 1
		.amdhsa_user_sgpr_dispatch_id 0
		.amdhsa_user_sgpr_flat_scratch_init 0
		.amdhsa_user_sgpr_private_segment_size 0
		.amdhsa_uses_dynamic_stack 0
		.amdhsa_system_sgpr_private_segment_wavefront_offset 0
		.amdhsa_system_sgpr_workgroup_id_x 1
		.amdhsa_system_sgpr_workgroup_id_y 0
		.amdhsa_system_sgpr_workgroup_id_z 0
		.amdhsa_system_sgpr_workgroup_info 0
		.amdhsa_system_vgpr_workitem_id 0
		.amdhsa_next_free_vgpr 15
		.amdhsa_next_free_sgpr 58
		.amdhsa_reserve_vcc 1
		.amdhsa_reserve_flat_scratch 0
		.amdhsa_float_round_mode_32 0
		.amdhsa_float_round_mode_16_64 0
		.amdhsa_float_denorm_mode_32 3
		.amdhsa_float_denorm_mode_16_64 3
		.amdhsa_dx10_clamp 1
		.amdhsa_ieee_mode 1
		.amdhsa_fp16_overflow 0
		.amdhsa_exception_fp_ieee_invalid_op 0
		.amdhsa_exception_fp_denorm_src 0
		.amdhsa_exception_fp_ieee_div_zero 0
		.amdhsa_exception_fp_ieee_overflow 0
		.amdhsa_exception_fp_ieee_underflow 0
		.amdhsa_exception_fp_ieee_inexact 0
		.amdhsa_exception_int_div_zero 0
	.end_amdhsa_kernel
	.section	.text._ZN2at6native29vectorized_elementwise_kernelILi16ENS0_13BinaryFunctorIbbbNS0_12_GLOBAL__N_116CompareEqFunctorIbEEEESt5arrayIPcLm3EEEEviT0_T1_,"axG",@progbits,_ZN2at6native29vectorized_elementwise_kernelILi16ENS0_13BinaryFunctorIbbbNS0_12_GLOBAL__N_116CompareEqFunctorIbEEEESt5arrayIPcLm3EEEEviT0_T1_,comdat
.Lfunc_end208:
	.size	_ZN2at6native29vectorized_elementwise_kernelILi16ENS0_13BinaryFunctorIbbbNS0_12_GLOBAL__N_116CompareEqFunctorIbEEEESt5arrayIPcLm3EEEEviT0_T1_, .Lfunc_end208-_ZN2at6native29vectorized_elementwise_kernelILi16ENS0_13BinaryFunctorIbbbNS0_12_GLOBAL__N_116CompareEqFunctorIbEEEESt5arrayIPcLm3EEEEviT0_T1_
                                        ; -- End function
	.set _ZN2at6native29vectorized_elementwise_kernelILi16ENS0_13BinaryFunctorIbbbNS0_12_GLOBAL__N_116CompareEqFunctorIbEEEESt5arrayIPcLm3EEEEviT0_T1_.num_vgpr, 15
	.set _ZN2at6native29vectorized_elementwise_kernelILi16ENS0_13BinaryFunctorIbbbNS0_12_GLOBAL__N_116CompareEqFunctorIbEEEESt5arrayIPcLm3EEEEviT0_T1_.num_agpr, 0
	.set _ZN2at6native29vectorized_elementwise_kernelILi16ENS0_13BinaryFunctorIbbbNS0_12_GLOBAL__N_116CompareEqFunctorIbEEEESt5arrayIPcLm3EEEEviT0_T1_.numbered_sgpr, 58
	.set _ZN2at6native29vectorized_elementwise_kernelILi16ENS0_13BinaryFunctorIbbbNS0_12_GLOBAL__N_116CompareEqFunctorIbEEEESt5arrayIPcLm3EEEEviT0_T1_.num_named_barrier, 0
	.set _ZN2at6native29vectorized_elementwise_kernelILi16ENS0_13BinaryFunctorIbbbNS0_12_GLOBAL__N_116CompareEqFunctorIbEEEESt5arrayIPcLm3EEEEviT0_T1_.private_seg_size, 0
	.set _ZN2at6native29vectorized_elementwise_kernelILi16ENS0_13BinaryFunctorIbbbNS0_12_GLOBAL__N_116CompareEqFunctorIbEEEESt5arrayIPcLm3EEEEviT0_T1_.uses_vcc, 1
	.set _ZN2at6native29vectorized_elementwise_kernelILi16ENS0_13BinaryFunctorIbbbNS0_12_GLOBAL__N_116CompareEqFunctorIbEEEESt5arrayIPcLm3EEEEviT0_T1_.uses_flat_scratch, 0
	.set _ZN2at6native29vectorized_elementwise_kernelILi16ENS0_13BinaryFunctorIbbbNS0_12_GLOBAL__N_116CompareEqFunctorIbEEEESt5arrayIPcLm3EEEEviT0_T1_.has_dyn_sized_stack, 0
	.set _ZN2at6native29vectorized_elementwise_kernelILi16ENS0_13BinaryFunctorIbbbNS0_12_GLOBAL__N_116CompareEqFunctorIbEEEESt5arrayIPcLm3EEEEviT0_T1_.has_recursion, 0
	.set _ZN2at6native29vectorized_elementwise_kernelILi16ENS0_13BinaryFunctorIbbbNS0_12_GLOBAL__N_116CompareEqFunctorIbEEEESt5arrayIPcLm3EEEEviT0_T1_.has_indirect_call, 0
	.section	.AMDGPU.csdata,"",@progbits
; Kernel info:
; codeLenInByte = 3836
; TotalNumSgprs: 62
; NumVgprs: 15
; ScratchSize: 0
; MemoryBound: 0
; FloatMode: 240
; IeeeMode: 1
; LDSByteSize: 0 bytes/workgroup (compile time only)
; SGPRBlocks: 7
; VGPRBlocks: 3
; NumSGPRsForWavesPerEU: 62
; NumVGPRsForWavesPerEU: 15
; Occupancy: 10
; WaveLimiterHint : 0
; COMPUTE_PGM_RSRC2:SCRATCH_EN: 0
; COMPUTE_PGM_RSRC2:USER_SGPR: 6
; COMPUTE_PGM_RSRC2:TRAP_HANDLER: 0
; COMPUTE_PGM_RSRC2:TGID_X_EN: 1
; COMPUTE_PGM_RSRC2:TGID_Y_EN: 0
; COMPUTE_PGM_RSRC2:TGID_Z_EN: 0
; COMPUTE_PGM_RSRC2:TIDIG_COMP_CNT: 0
	.section	.text._ZN2at6native29vectorized_elementwise_kernelILi8ENS0_13BinaryFunctorIbbbNS0_12_GLOBAL__N_116CompareEqFunctorIbEEEESt5arrayIPcLm3EEEEviT0_T1_,"axG",@progbits,_ZN2at6native29vectorized_elementwise_kernelILi8ENS0_13BinaryFunctorIbbbNS0_12_GLOBAL__N_116CompareEqFunctorIbEEEESt5arrayIPcLm3EEEEviT0_T1_,comdat
	.globl	_ZN2at6native29vectorized_elementwise_kernelILi8ENS0_13BinaryFunctorIbbbNS0_12_GLOBAL__N_116CompareEqFunctorIbEEEESt5arrayIPcLm3EEEEviT0_T1_ ; -- Begin function _ZN2at6native29vectorized_elementwise_kernelILi8ENS0_13BinaryFunctorIbbbNS0_12_GLOBAL__N_116CompareEqFunctorIbEEEESt5arrayIPcLm3EEEEviT0_T1_
	.p2align	8
	.type	_ZN2at6native29vectorized_elementwise_kernelILi8ENS0_13BinaryFunctorIbbbNS0_12_GLOBAL__N_116CompareEqFunctorIbEEEESt5arrayIPcLm3EEEEviT0_T1_,@function
_ZN2at6native29vectorized_elementwise_kernelILi8ENS0_13BinaryFunctorIbbbNS0_12_GLOBAL__N_116CompareEqFunctorIbEEEESt5arrayIPcLm3EEEEviT0_T1_: ; @_ZN2at6native29vectorized_elementwise_kernelILi8ENS0_13BinaryFunctorIbbbNS0_12_GLOBAL__N_116CompareEqFunctorIbEEEESt5arrayIPcLm3EEEEviT0_T1_
; %bb.0:
	s_load_dwordx2 s[40:41], s[4:5], 0x0
	s_load_dwordx4 s[36:39], s[4:5], 0x8
	s_load_dwordx2 s[42:43], s[4:5], 0x18
	s_lshl_b32 s33, s6, 12
	s_mov_b64 s[0:1], -1
	s_waitcnt lgkmcnt(0)
	s_sub_i32 s40, s40, s33
	s_cmpk_gt_i32 s40, 0xfff
	s_cbranch_scc0 .LBB209_2
; %bb.1:
	s_ashr_i32 s46, s33, 31
	s_add_u32 s0, s38, s33
	s_addc_u32 s1, s39, s46
	v_lshlrev_b32_e32 v9, 3, v0
	global_load_dwordx2 v[1:2], v9, s[0:1]
	global_load_dwordx2 v[3:4], v9, s[0:1] offset:2048
	s_add_u32 s0, s42, s33
	s_addc_u32 s1, s43, s46
	global_load_dwordx2 v[5:6], v9, s[0:1]
	global_load_dwordx2 v[7:8], v9, s[0:1] offset:2048
	v_mov_b32_e32 v10, 0
	s_mov_b32 s28, 0xffffff
	s_cmp_eq_u32 s41, 0
	s_cselect_b64 s[44:45], -1, 0
	s_waitcnt vmcnt(3)
	v_and_b32_e32 v14, 0xff0000, v2
	v_cmp_lt_u32_e64 s[2:3], s28, v2
	s_waitcnt vmcnt(2)
	v_cmp_ne_u32_sdwa s[50:51], v4, v10 src0_sel:BYTE_0 src1_sel:DWORD
	v_and_b32_e32 v15, 0xff00, v4
	v_and_b32_e32 v16, 0xff0000, v4
	v_cmp_lt_u32_e32 vcc, s28, v4
	s_waitcnt vmcnt(1)
	v_and_b32_e32 v4, 0xff0000, v6
	v_cmp_lt_u32_e64 s[24:25], s28, v6
	v_cmp_ne_u32_sdwa s[30:31], v1, v10 src0_sel:BYTE_0 src1_sel:DWORD
	v_and_b32_e32 v11, 0xff00, v1
	v_and_b32_e32 v12, 0xff0000, v1
	v_cmp_ne_u32_sdwa s[34:35], v2, v10 src0_sel:BYTE_0 src1_sel:DWORD
	v_and_b32_e32 v13, 0xff00, v2
	v_cmp_lt_u32_e64 s[0:1], s28, v1
	v_and_b32_e32 v1, 0xff00, v3
	v_and_b32_e32 v2, 0xff0000, v3
	v_cmp_ne_u32_e64 s[12:13], 0, v14
	s_xor_b64 s[62:63], s[2:3], s[24:25]
	v_cmp_ne_u32_e64 s[2:3], 0, v4
	v_cmp_ne_u32_e64 s[14:15], 0, v1
	;; [unrolled: 1-line block ×3, first 2 shown]
	v_cmp_ne_u32_sdwa s[52:53], v5, v10 src0_sel:BYTE_0 src1_sel:DWORD
	v_and_b32_e32 v1, 0xff00, v5
	v_and_b32_e32 v2, 0xff0000, v5
	v_cmp_lt_u32_e64 s[22:23], s28, v5
	s_waitcnt vmcnt(0)
	v_and_b32_e32 v5, 0xff00, v7
	s_xor_b64 s[2:3], s[12:13], s[2:3]
	v_cmp_ne_u32_e64 s[6:7], 0, v11
	v_cmp_ne_u32_e64 s[8:9], 0, v12
	v_cmp_ne_u32_sdwa s[54:55], v6, v10 src0_sel:BYTE_0 src1_sel:DWORD
	v_and_b32_e32 v11, 0xff0000, v8
	s_xor_b64 s[52:53], s[30:31], s[52:53]
	s_xor_b64 s[60:61], s[0:1], s[22:23]
	v_cmp_ne_u32_e64 s[0:1], 0, v2
	v_cmp_ne_u32_e64 s[24:25], 0, v5
	s_xor_b64 s[2:3], s[44:45], s[2:3]
	v_cmp_ne_u32_sdwa s[48:49], v3, v10 src0_sel:BYTE_0 src1_sel:DWORD
	v_cmp_lt_u32_e64 s[4:5], s28, v3
	v_and_b32_e32 v3, 0xff00, v6
	v_and_b32_e32 v6, 0xff0000, v7
	s_xor_b64 s[54:55], s[34:35], s[54:55]
	s_xor_b64 s[34:35], s[44:45], s[52:53]
	;; [unrolled: 1-line block ×3, first 2 shown]
	v_cmp_ne_u32_e64 s[0:1], 0, v11
	v_cndmask_b32_e64 v11, 0, 1, s[2:3]
	s_xor_b64 s[2:3], s[14:15], s[24:25]
	v_cmp_ne_u32_e64 s[22:23], 0, v3
	v_cndmask_b32_e64 v3, 0, 1, s[34:35]
	v_cmp_ne_u32_e64 s[34:35], 0, v6
	s_xor_b64 s[2:3], s[44:45], s[2:3]
	v_cndmask_b32_e64 v12, 0, 1, s[2:3]
	s_xor_b64 s[2:3], s[16:17], s[34:35]
	v_cmp_lt_u32_e64 s[26:27], s28, v7
	s_xor_b64 s[2:3], s[44:45], s[2:3]
	v_cmp_ne_u32_e64 s[10:11], 0, v13
	v_cndmask_b32_e64 v13, 0, 1, s[2:3]
	s_xor_b64 s[2:3], s[4:5], s[26:27]
	v_cmp_ne_u32_sdwa s[58:59], v8, v10 src0_sel:BYTE_0 src1_sel:DWORD
	s_xor_b64 s[2:3], s[44:45], s[2:3]
	v_cmp_ne_u32_e64 s[20:21], 0, v16
	v_cmp_ne_u32_sdwa s[56:57], v7, v10 src0_sel:BYTE_0 src1_sel:DWORD
	v_and_b32_e32 v10, 0xff00, v8
	v_cmp_ne_u32_e64 s[30:31], 0, v1
	s_xor_b64 s[10:11], s[10:11], s[22:23]
	s_xor_b64 s[8:9], s[44:45], s[8:9]
	v_cndmask_b32_e64 v14, 0, 1, s[2:3]
	s_xor_b64 s[2:3], s[50:51], s[58:59]
	v_cmp_ne_u32_e64 s[18:19], 0, v15
	v_cmp_lt_u32_e64 s[28:29], s28, v8
	s_xor_b64 s[48:49], s[48:49], s[56:57]
	s_xor_b64 s[30:31], s[6:7], s[30:31]
	v_cmp_ne_u32_e64 s[6:7], 0, v10
	s_xor_b64 s[52:53], s[44:45], s[60:61]
	s_xor_b64 s[12:13], s[44:45], s[62:63]
	v_cndmask_b32_e64 v8, 0, 1, s[8:9]
	s_xor_b64 s[8:9], s[44:45], s[10:11]
	s_xor_b64 s[2:3], s[44:45], s[2:3]
	s_xor_b64 s[0:1], s[20:21], s[0:1]
	v_cndmask_b32_e64 v5, 0, 1, s[52:53]
	s_xor_b64 s[52:53], s[44:45], s[54:55]
	v_cndmask_b32_e64 v6, 0, 1, s[12:13]
	s_xor_b64 s[12:13], s[44:45], s[48:49]
	v_cndmask_b32_e64 v10, 0, 1, s[8:9]
	v_cndmask_b32_e64 v2, 0, 1, s[2:3]
	s_xor_b64 s[2:3], s[18:19], s[6:7]
	s_xor_b64 s[0:1], s[44:45], s[0:1]
	v_cndmask_b32_e64 v4, 0, 1, s[52:53]
	v_cndmask_b32_e64 v1, 0, 1, s[12:13]
	s_xor_b64 s[12:13], s[44:45], s[30:31]
	s_xor_b64 s[2:3], s[44:45], s[2:3]
	v_cndmask_b32_e64 v16, 0, 1, s[0:1]
	s_xor_b64 s[0:1], vcc, s[28:29]
	v_lshlrev_b16_e32 v10, 8, v10
	v_lshlrev_b16_e32 v6, 8, v6
	v_cndmask_b32_e64 v7, 0, 1, s[12:13]
	v_cndmask_b32_e64 v15, 0, 1, s[2:3]
	s_xor_b64 s[0:1], s[44:45], s[0:1]
	v_or_b32_e32 v4, v4, v10
	v_or_b32_sdwa v6, v11, v6 dst_sel:WORD_1 dst_unused:UNUSED_PAD src0_sel:DWORD src1_sel:DWORD
	v_cndmask_b32_e64 v17, 0, 1, s[0:1]
	v_lshlrev_b16_e32 v15, 8, v15
	v_lshlrev_b16_e32 v12, 8, v12
	v_or_b32_sdwa v4, v4, v6 dst_sel:DWORD dst_unused:UNUSED_PAD src0_sel:WORD_0 src1_sel:DWORD
	v_lshlrev_b16_e32 v6, 8, v7
	v_lshlrev_b16_e32 v5, 8, v5
	v_or_b32_e32 v2, v2, v15
	v_lshlrev_b16_e32 v15, 8, v17
	v_or_b32_e32 v1, v1, v12
	;; [unrolled: 2-line block ×3, first 2 shown]
	v_or_b32_sdwa v5, v8, v5 dst_sel:WORD_1 dst_unused:UNUSED_PAD src0_sel:DWORD src1_sel:DWORD
	s_add_u32 s0, s36, s33
	v_or_b32_sdwa v15, v16, v15 dst_sel:WORD_1 dst_unused:UNUSED_PAD src0_sel:DWORD src1_sel:DWORD
	v_or_b32_sdwa v12, v13, v12 dst_sel:WORD_1 dst_unused:UNUSED_PAD src0_sel:DWORD src1_sel:DWORD
	v_or_b32_sdwa v3, v3, v5 dst_sel:DWORD dst_unused:UNUSED_PAD src0_sel:WORD_0 src1_sel:DWORD
	s_addc_u32 s1, s37, s46
	v_or_b32_sdwa v2, v2, v15 dst_sel:DWORD dst_unused:UNUSED_PAD src0_sel:WORD_0 src1_sel:DWORD
	v_or_b32_sdwa v1, v1, v12 dst_sel:DWORD dst_unused:UNUSED_PAD src0_sel:WORD_0 src1_sel:DWORD
	global_store_dwordx2 v9, v[3:4], s[0:1]
	global_store_dwordx2 v9, v[1:2], s[0:1] offset:2048
	s_mov_b64 s[0:1], 0
.LBB209_2:
	s_andn2_b64 vcc, exec, s[0:1]
	s_cbranch_vccnz .LBB209_52
; %bb.3:
	v_cmp_gt_i32_e32 vcc, s40, v0
	s_mov_b64 s[4:5], 0
	v_or_b32_e32 v1, s33, v0
	s_mov_b64 s[6:7], 0
	v_mov_b32_e32 v2, v0
	s_and_saveexec_b64 s[8:9], vcc
	s_cbranch_execz .LBB209_5
; %bb.4:
	global_load_ubyte v2, v1, s[38:39]
	global_load_ubyte v3, v1, s[42:43]
	s_waitcnt vmcnt(1)
	v_cmp_ne_u16_e64 s[0:1], 0, v2
	s_waitcnt vmcnt(0)
	v_cmp_ne_u16_e64 s[2:3], 0, v3
	s_xor_b64 s[0:1], s[0:1], s[2:3]
	v_or_b32_e32 v2, 0x100, v0
	s_and_b64 s[6:7], s[0:1], exec
.LBB209_5:
	s_or_b64 exec, exec, s[8:9]
	v_cmp_gt_i32_e64 s[0:1], s40, v2
	s_and_saveexec_b64 s[8:9], s[0:1]
	s_cbranch_execz .LBB209_7
; %bb.6:
	v_add_u32_e32 v3, s33, v2
	global_load_ubyte v4, v3, s[38:39]
	global_load_ubyte v5, v3, s[42:43]
	v_add_u32_e32 v2, 0x100, v2
	s_waitcnt vmcnt(1)
	v_cmp_ne_u16_e64 s[0:1], 0, v4
	s_waitcnt vmcnt(0)
	v_cmp_ne_u16_e64 s[2:3], 0, v5
	s_xor_b64 s[0:1], s[0:1], s[2:3]
	s_and_b64 s[4:5], s[0:1], exec
.LBB209_7:
	s_or_b64 exec, exec, s[8:9]
	v_cmp_gt_i32_e64 s[0:1], s40, v2
	s_mov_b64 s[8:9], 0
	s_mov_b64 s[10:11], 0
	s_and_saveexec_b64 s[12:13], s[0:1]
	s_cbranch_execz .LBB209_9
; %bb.8:
	v_add_u32_e32 v3, s33, v2
	global_load_ubyte v4, v3, s[38:39]
	global_load_ubyte v5, v3, s[42:43]
	v_add_u32_e32 v2, 0x100, v2
	s_waitcnt vmcnt(1)
	v_cmp_ne_u16_e64 s[0:1], 0, v4
	s_waitcnt vmcnt(0)
	v_cmp_ne_u16_e64 s[2:3], 0, v5
	s_xor_b64 s[0:1], s[0:1], s[2:3]
	s_and_b64 s[10:11], s[0:1], exec
.LBB209_9:
	s_or_b64 exec, exec, s[12:13]
	v_cmp_gt_i32_e64 s[0:1], s40, v2
	s_and_saveexec_b64 s[12:13], s[0:1]
	s_cbranch_execz .LBB209_11
; %bb.10:
	v_add_u32_e32 v3, s33, v2
	global_load_ubyte v4, v3, s[38:39]
	global_load_ubyte v5, v3, s[42:43]
	v_add_u32_e32 v2, 0x100, v2
	s_waitcnt vmcnt(1)
	v_cmp_ne_u16_e64 s[0:1], 0, v4
	s_waitcnt vmcnt(0)
	v_cmp_ne_u16_e64 s[2:3], 0, v5
	s_xor_b64 s[0:1], s[0:1], s[2:3]
	s_and_b64 s[8:9], s[0:1], exec
.LBB209_11:
	s_or_b64 exec, exec, s[12:13]
	v_cmp_gt_i32_e64 s[0:1], s40, v2
	s_mov_b64 s[12:13], 0
	s_mov_b64 s[14:15], 0
	s_and_saveexec_b64 s[16:17], s[0:1]
	s_cbranch_execz .LBB209_13
; %bb.12:
	v_add_u32_e32 v3, s33, v2
	global_load_ubyte v4, v3, s[38:39]
	global_load_ubyte v5, v3, s[42:43]
	v_add_u32_e32 v2, 0x100, v2
	s_waitcnt vmcnt(1)
	v_cmp_ne_u16_e64 s[0:1], 0, v4
	s_waitcnt vmcnt(0)
	v_cmp_ne_u16_e64 s[2:3], 0, v5
	s_xor_b64 s[0:1], s[0:1], s[2:3]
	s_and_b64 s[14:15], s[0:1], exec
.LBB209_13:
	;; [unrolled: 34-line block ×7, first 2 shown]
	s_or_b64 exec, exec, s[46:47]
	v_cmp_gt_i32_e64 s[0:1], s40, v2
	s_and_saveexec_b64 s[46:47], s[0:1]
	s_cbranch_execz .LBB209_35
; %bb.34:
	v_add_u32_e32 v2, s33, v2
	global_load_ubyte v3, v2, s[38:39]
	global_load_ubyte v4, v2, s[42:43]
	s_waitcnt vmcnt(1)
	v_cmp_ne_u16_e64 s[0:1], 0, v3
	s_waitcnt vmcnt(0)
	v_cmp_ne_u16_e64 s[2:3], 0, v4
	s_xor_b64 s[0:1], s[0:1], s[2:3]
	s_and_b64 s[34:35], s[0:1], exec
.LBB209_35:
	s_or_b64 exec, exec, s[46:47]
	s_cmp_eq_u32 s41, 0
	s_cselect_b64 s[2:3], -1, 0
	s_xor_b64 s[0:1], s[2:3], s[6:7]
	v_cndmask_b32_e64 v2, 0, 1, s[0:1]
	s_xor_b64 s[0:1], s[2:3], s[4:5]
	v_cndmask_b32_e64 v3, 0, 1, s[0:1]
	v_cndmask_b32_e32 v2, 0, v2, vcc
	v_lshlrev_b16_e32 v3, 8, v3
	v_or_b32_e32 v6, 0x100, v0
	v_or_b32_e32 v3, v2, v3
	v_and_b32_e32 v3, 0xffff, v3
	v_cmp_gt_i32_e64 s[0:1], s40, v6
	v_cndmask_b32_e64 v2, v2, v3, s[0:1]
	s_xor_b64 s[0:1], s[2:3], s[10:11]
	v_or_b32_e32 v3, 0x200, v0
	v_cndmask_b32_e64 v4, 0, 1, s[0:1]
	v_lshl_or_b32 v4, v4, 16, v2
	v_cmp_gt_i32_e64 s[0:1], s40, v3
	v_cndmask_b32_e64 v2, v2, v4, s[0:1]
	s_xor_b64 s[0:1], s[2:3], s[8:9]
	s_movk_i32 s5, 0xff
	v_cndmask_b32_e64 v5, 0, 1, s[0:1]
	v_and_b32_sdwa v3, v2, s5 dst_sel:DWORD dst_unused:UNUSED_PAD src0_sel:WORD_1 src1_sel:DWORD
	v_lshlrev_b16_e32 v5, 8, v5
	s_mov_b32 s4, 0xffff
	v_or_b32_e32 v4, 0x300, v0
	v_or_b32_sdwa v3, v3, v5 dst_sel:WORD_1 dst_unused:UNUSED_PAD src0_sel:DWORD src1_sel:DWORD
	v_and_or_b32 v3, v2, s4, v3
	v_cmp_gt_i32_e64 s[0:1], s40, v4
	v_cndmask_b32_e64 v5, v2, v3, s[0:1]
	s_xor_b64 s[0:1], s[2:3], s[14:15]
	v_cndmask_b32_e64 v2, 0, 1, s[0:1]
	v_or_b32_e32 v3, 0x400, v0
	v_and_b32_e32 v2, 0xffff, v2
	v_cmp_gt_i32_e64 s[0:1], s40, v3
	v_cndmask_b32_e64 v2, 0, v2, s[0:1]
	s_xor_b64 s[0:1], s[2:3], s[12:13]
	v_cndmask_b32_e64 v4, 0, 1, s[0:1]
	v_lshlrev_b16_e32 v4, 8, v4
	v_or_b32_e32 v3, 0x500, v0
	v_or_b32_sdwa v4, v2, v4 dst_sel:DWORD dst_unused:UNUSED_PAD src0_sel:BYTE_0 src1_sel:DWORD
	v_and_b32_e32 v4, 0xffff, v4
	v_cmp_gt_i32_e64 s[0:1], s40, v3
	s_movk_i32 s6, 0xff00
	v_cndmask_b32_e64 v2, v2, v4, s[0:1]
	s_xor_b64 s[0:1], s[2:3], s[18:19]
	v_and_b32_sdwa v3, v2, s6 dst_sel:DWORD dst_unused:UNUSED_PAD src0_sel:WORD_1 src1_sel:DWORD
	v_cndmask_b32_e64 v4, 0, 1, s[0:1]
	v_or_b32_sdwa v3, v4, v3 dst_sel:WORD_1 dst_unused:UNUSED_PAD src0_sel:DWORD src1_sel:DWORD
	v_or_b32_e32 v4, 0x600, v0
	v_and_or_b32 v3, v2, s4, v3
	v_cmp_gt_i32_e64 s[0:1], s40, v4
	v_cndmask_b32_e64 v2, v2, v3, s[0:1]
	s_xor_b64 s[0:1], s[2:3], s[16:17]
	v_cndmask_b32_e64 v7, 0, 1, s[0:1]
	v_and_b32_sdwa v3, v2, s5 dst_sel:DWORD dst_unused:UNUSED_PAD src0_sel:WORD_1 src1_sel:DWORD
	v_lshlrev_b16_e32 v7, 8, v7
	v_or_b32_e32 v4, 0x700, v0
	v_or_b32_sdwa v3, v3, v7 dst_sel:WORD_1 dst_unused:UNUSED_PAD src0_sel:DWORD src1_sel:DWORD
	v_and_or_b32 v3, v2, s4, v3
	v_cmp_gt_i32_e64 s[0:1], s40, v4
	v_cndmask_b32_e64 v4, v2, v3, s[0:1]
	v_or_b32_e32 v2, 0x800, v0
	s_xor_b64 s[0:1], s[2:3], s[22:23]
	v_cndmask_b32_e64 v3, 0, 1, s[0:1]
	v_cmp_gt_i32_e64 s[0:1], s40, v2
	v_cndmask_b32_e64 v2, 0, v3, s[0:1]
	s_xor_b64 s[0:1], s[2:3], s[20:21]
	v_cndmask_b32_e64 v7, 0, 1, s[0:1]
	v_lshlrev_b16_e32 v7, 8, v7
	v_or_b32_e32 v3, 0x900, v0
	v_or_b32_e32 v7, v2, v7
	v_and_b32_e32 v7, 0xffff, v7
	v_cmp_gt_i32_e64 s[0:1], s40, v3
	v_cndmask_b32_e64 v2, v2, v7, s[0:1]
	s_xor_b64 s[0:1], s[2:3], s[26:27]
	v_cndmask_b32_e64 v7, 0, 1, s[0:1]
	v_or_b32_e32 v3, 0xa00, v0
	v_lshlrev_b32_e32 v7, 16, v7
	s_movk_i32 s0, 0x1ff
	v_and_or_b32 v7, v2, s0, v7
	v_cmp_gt_i32_e64 s[0:1], s40, v3
	v_cndmask_b32_e64 v2, v2, v7, s[0:1]
	s_xor_b64 s[0:1], s[2:3], s[24:25]
	v_cndmask_b32_e64 v8, 0, 1, s[0:1]
	v_and_b32_sdwa v3, v2, s5 dst_sel:DWORD dst_unused:UNUSED_PAD src0_sel:WORD_1 src1_sel:DWORD
	v_lshlrev_b16_e32 v8, 8, v8
	v_or_b32_e32 v7, 0xb00, v0
	v_or_b32_sdwa v3, v3, v8 dst_sel:WORD_1 dst_unused:UNUSED_PAD src0_sel:DWORD src1_sel:DWORD
	v_and_or_b32 v3, v2, s4, v3
	v_cmp_gt_i32_e64 s[0:1], s40, v7
	v_cndmask_b32_e64 v3, v2, v3, s[0:1]
	v_or_b32_e32 v2, 0xc00, v0
	s_xor_b64 s[0:1], s[2:3], s[30:31]
	v_cndmask_b32_e64 v7, 0, 1, s[0:1]
	v_cmp_gt_i32_e64 s[0:1], s40, v2
	v_cndmask_b32_e64 v2, 0, v7, s[0:1]
	s_xor_b64 s[0:1], s[2:3], s[28:29]
	v_cndmask_b32_e64 v8, 0, 1, s[0:1]
	v_lshlrev_b16_e32 v8, 8, v8
	v_or_b32_e32 v7, 0xd00, v0
	v_or_b32_sdwa v8, v2, v8 dst_sel:DWORD dst_unused:UNUSED_PAD src0_sel:BYTE_0 src1_sel:DWORD
	v_and_b32_e32 v8, 0xffff, v8
	v_cmp_gt_i32_e64 s[0:1], s40, v7
	v_cndmask_b32_e64 v2, v2, v8, s[0:1]
	s_xor_b64 s[0:1], s[2:3], s[44:45]
	v_and_b32_sdwa v7, v2, s6 dst_sel:DWORD dst_unused:UNUSED_PAD src0_sel:WORD_1 src1_sel:DWORD
	v_cndmask_b32_e64 v8, 0, 1, s[0:1]
	v_or_b32_sdwa v7, v8, v7 dst_sel:WORD_1 dst_unused:UNUSED_PAD src0_sel:DWORD src1_sel:DWORD
	v_or_b32_e32 v8, 0xe00, v0
	v_and_or_b32 v7, v2, s4, v7
	v_cmp_gt_i32_e64 s[0:1], s40, v8
	v_cndmask_b32_e64 v2, v2, v7, s[0:1]
	s_xor_b64 s[0:1], s[2:3], s[34:35]
	v_cndmask_b32_e64 v9, 0, 1, s[0:1]
	v_and_b32_sdwa v7, v2, s5 dst_sel:DWORD dst_unused:UNUSED_PAD src0_sel:WORD_1 src1_sel:DWORD
	v_lshlrev_b16_e32 v9, 8, v9
	v_or_b32_e32 v8, 0xf00, v0
	v_or_b32_sdwa v7, v7, v9 dst_sel:WORD_1 dst_unused:UNUSED_PAD src0_sel:DWORD src1_sel:DWORD
	v_and_or_b32 v7, v2, s4, v7
	v_cmp_gt_i32_e64 s[0:1], s40, v8
	v_cndmask_b32_e64 v2, v2, v7, s[0:1]
	s_and_saveexec_b64 s[0:1], vcc
	s_cbranch_execnz .LBB209_53
; %bb.36:
	s_or_b64 exec, exec, s[0:1]
	v_cmp_gt_i32_e32 vcc, s40, v0
	s_and_saveexec_b64 s[0:1], vcc
	s_cbranch_execnz .LBB209_54
.LBB209_37:
	s_or_b64 exec, exec, s[0:1]
	v_cmp_gt_i32_e32 vcc, s40, v0
	s_and_saveexec_b64 s[0:1], vcc
	s_cbranch_execnz .LBB209_55
.LBB209_38:
	s_or_b64 exec, exec, s[0:1]
	v_cmp_gt_i32_e32 vcc, s40, v0
	s_and_saveexec_b64 s[0:1], vcc
	s_cbranch_execnz .LBB209_56
.LBB209_39:
	s_or_b64 exec, exec, s[0:1]
	v_cmp_gt_i32_e32 vcc, s40, v0
	s_and_saveexec_b64 s[0:1], vcc
	s_cbranch_execnz .LBB209_57
.LBB209_40:
	s_or_b64 exec, exec, s[0:1]
	v_cmp_gt_i32_e32 vcc, s40, v0
	s_and_saveexec_b64 s[0:1], vcc
	s_cbranch_execnz .LBB209_58
.LBB209_41:
	s_or_b64 exec, exec, s[0:1]
	v_cmp_gt_i32_e32 vcc, s40, v0
	s_and_saveexec_b64 s[0:1], vcc
	s_cbranch_execnz .LBB209_59
.LBB209_42:
	s_or_b64 exec, exec, s[0:1]
	v_cmp_gt_i32_e32 vcc, s40, v0
	s_and_saveexec_b64 s[0:1], vcc
	s_cbranch_execnz .LBB209_60
.LBB209_43:
	s_or_b64 exec, exec, s[0:1]
	v_cmp_gt_i32_e32 vcc, s40, v0
	s_and_saveexec_b64 s[0:1], vcc
	s_cbranch_execnz .LBB209_61
.LBB209_44:
	s_or_b64 exec, exec, s[0:1]
	v_cmp_gt_i32_e32 vcc, s40, v0
	s_and_saveexec_b64 s[0:1], vcc
	s_cbranch_execnz .LBB209_62
.LBB209_45:
	s_or_b64 exec, exec, s[0:1]
	v_cmp_gt_i32_e32 vcc, s40, v0
	s_and_saveexec_b64 s[0:1], vcc
	s_cbranch_execnz .LBB209_63
.LBB209_46:
	s_or_b64 exec, exec, s[0:1]
	v_cmp_gt_i32_e32 vcc, s40, v0
	s_and_saveexec_b64 s[0:1], vcc
	s_cbranch_execnz .LBB209_64
.LBB209_47:
	s_or_b64 exec, exec, s[0:1]
	v_cmp_gt_i32_e32 vcc, s40, v0
	s_and_saveexec_b64 s[0:1], vcc
	s_cbranch_execnz .LBB209_65
.LBB209_48:
	s_or_b64 exec, exec, s[0:1]
	v_cmp_gt_i32_e32 vcc, s40, v0
	s_and_saveexec_b64 s[0:1], vcc
	s_cbranch_execnz .LBB209_66
.LBB209_49:
	s_or_b64 exec, exec, s[0:1]
	v_cmp_gt_i32_e32 vcc, s40, v0
	s_and_saveexec_b64 s[0:1], vcc
	s_cbranch_execnz .LBB209_67
.LBB209_50:
	s_or_b64 exec, exec, s[0:1]
	v_cmp_gt_i32_e32 vcc, s40, v0
	s_and_saveexec_b64 s[0:1], vcc
	s_cbranch_execz .LBB209_52
.LBB209_51:
	v_lshrrev_b32_e32 v1, 24, v2
	v_add_u32_e32 v0, s33, v0
	global_store_byte v0, v1, s[36:37]
.LBB209_52:
	s_endpgm
.LBB209_53:
	v_mov_b32_e32 v0, v6
	global_store_byte v1, v5, s[36:37]
	s_or_b64 exec, exec, s[0:1]
	v_cmp_gt_i32_e32 vcc, s40, v0
	s_and_saveexec_b64 s[0:1], vcc
	s_cbranch_execz .LBB209_37
.LBB209_54:
	v_lshrrev_b32_e32 v1, 8, v5
	v_add_u32_e32 v6, s33, v0
	v_add_u32_e32 v0, 0x100, v0
	global_store_byte v6, v1, s[36:37]
	s_or_b64 exec, exec, s[0:1]
	v_cmp_gt_i32_e32 vcc, s40, v0
	s_and_saveexec_b64 s[0:1], vcc
	s_cbranch_execz .LBB209_38
.LBB209_55:
	v_add_u32_e32 v1, s33, v0
	v_add_u32_e32 v0, 0x100, v0
	global_store_byte_d16_hi v1, v5, s[36:37]
	s_or_b64 exec, exec, s[0:1]
	v_cmp_gt_i32_e32 vcc, s40, v0
	s_and_saveexec_b64 s[0:1], vcc
	s_cbranch_execz .LBB209_39
.LBB209_56:
	v_lshrrev_b32_e32 v1, 24, v5
	v_add_u32_e32 v5, s33, v0
	v_add_u32_e32 v0, 0x100, v0
	global_store_byte v5, v1, s[36:37]
	s_or_b64 exec, exec, s[0:1]
	v_cmp_gt_i32_e32 vcc, s40, v0
	s_and_saveexec_b64 s[0:1], vcc
	s_cbranch_execz .LBB209_40
.LBB209_57:
	v_add_u32_e32 v1, s33, v0
	v_add_u32_e32 v0, 0x100, v0
	global_store_byte v1, v4, s[36:37]
	s_or_b64 exec, exec, s[0:1]
	v_cmp_gt_i32_e32 vcc, s40, v0
	s_and_saveexec_b64 s[0:1], vcc
	s_cbranch_execz .LBB209_41
.LBB209_58:
	v_lshrrev_b32_e32 v1, 8, v4
	v_add_u32_e32 v5, s33, v0
	v_add_u32_e32 v0, 0x100, v0
	global_store_byte v5, v1, s[36:37]
	s_or_b64 exec, exec, s[0:1]
	v_cmp_gt_i32_e32 vcc, s40, v0
	s_and_saveexec_b64 s[0:1], vcc
	s_cbranch_execz .LBB209_42
.LBB209_59:
	v_add_u32_e32 v1, s33, v0
	v_add_u32_e32 v0, 0x100, v0
	global_store_byte_d16_hi v1, v4, s[36:37]
	s_or_b64 exec, exec, s[0:1]
	v_cmp_gt_i32_e32 vcc, s40, v0
	s_and_saveexec_b64 s[0:1], vcc
	s_cbranch_execz .LBB209_43
.LBB209_60:
	v_lshrrev_b32_e32 v1, 24, v4
	v_add_u32_e32 v4, s33, v0
	v_add_u32_e32 v0, 0x100, v0
	global_store_byte v4, v1, s[36:37]
	s_or_b64 exec, exec, s[0:1]
	v_cmp_gt_i32_e32 vcc, s40, v0
	s_and_saveexec_b64 s[0:1], vcc
	s_cbranch_execz .LBB209_44
.LBB209_61:
	v_add_u32_e32 v1, s33, v0
	v_add_u32_e32 v0, 0x100, v0
	global_store_byte v1, v3, s[36:37]
	s_or_b64 exec, exec, s[0:1]
	v_cmp_gt_i32_e32 vcc, s40, v0
	s_and_saveexec_b64 s[0:1], vcc
	s_cbranch_execz .LBB209_45
.LBB209_62:
	v_lshrrev_b32_e32 v1, 8, v3
	v_add_u32_e32 v4, s33, v0
	v_add_u32_e32 v0, 0x100, v0
	global_store_byte v4, v1, s[36:37]
	s_or_b64 exec, exec, s[0:1]
	v_cmp_gt_i32_e32 vcc, s40, v0
	s_and_saveexec_b64 s[0:1], vcc
	s_cbranch_execz .LBB209_46
.LBB209_63:
	v_add_u32_e32 v1, s33, v0
	v_add_u32_e32 v0, 0x100, v0
	global_store_byte_d16_hi v1, v3, s[36:37]
	s_or_b64 exec, exec, s[0:1]
	v_cmp_gt_i32_e32 vcc, s40, v0
	s_and_saveexec_b64 s[0:1], vcc
	s_cbranch_execz .LBB209_47
.LBB209_64:
	v_lshrrev_b32_e32 v1, 24, v3
	v_add_u32_e32 v3, s33, v0
	v_add_u32_e32 v0, 0x100, v0
	global_store_byte v3, v1, s[36:37]
	s_or_b64 exec, exec, s[0:1]
	v_cmp_gt_i32_e32 vcc, s40, v0
	s_and_saveexec_b64 s[0:1], vcc
	s_cbranch_execz .LBB209_48
.LBB209_65:
	v_add_u32_e32 v1, s33, v0
	v_add_u32_e32 v0, 0x100, v0
	global_store_byte v1, v2, s[36:37]
	s_or_b64 exec, exec, s[0:1]
	v_cmp_gt_i32_e32 vcc, s40, v0
	s_and_saveexec_b64 s[0:1], vcc
	s_cbranch_execz .LBB209_49
.LBB209_66:
	v_lshrrev_b32_e32 v1, 8, v2
	v_add_u32_e32 v3, s33, v0
	v_add_u32_e32 v0, 0x100, v0
	global_store_byte v3, v1, s[36:37]
	s_or_b64 exec, exec, s[0:1]
	v_cmp_gt_i32_e32 vcc, s40, v0
	s_and_saveexec_b64 s[0:1], vcc
	s_cbranch_execz .LBB209_50
.LBB209_67:
	v_add_u32_e32 v1, s33, v0
	v_add_u32_e32 v0, 0x100, v0
	global_store_byte_d16_hi v1, v2, s[36:37]
	s_or_b64 exec, exec, s[0:1]
	v_cmp_gt_i32_e32 vcc, s40, v0
	s_and_saveexec_b64 s[0:1], vcc
	s_cbranch_execnz .LBB209_51
	s_branch .LBB209_52
	.section	.rodata,"a",@progbits
	.p2align	6, 0x0
	.amdhsa_kernel _ZN2at6native29vectorized_elementwise_kernelILi8ENS0_13BinaryFunctorIbbbNS0_12_GLOBAL__N_116CompareEqFunctorIbEEEESt5arrayIPcLm3EEEEviT0_T1_
		.amdhsa_group_segment_fixed_size 0
		.amdhsa_private_segment_fixed_size 0
		.amdhsa_kernarg_size 32
		.amdhsa_user_sgpr_count 6
		.amdhsa_user_sgpr_private_segment_buffer 1
		.amdhsa_user_sgpr_dispatch_ptr 0
		.amdhsa_user_sgpr_queue_ptr 0
		.amdhsa_user_sgpr_kernarg_segment_ptr 1
		.amdhsa_user_sgpr_dispatch_id 0
		.amdhsa_user_sgpr_flat_scratch_init 0
		.amdhsa_user_sgpr_private_segment_size 0
		.amdhsa_uses_dynamic_stack 0
		.amdhsa_system_sgpr_private_segment_wavefront_offset 0
		.amdhsa_system_sgpr_workgroup_id_x 1
		.amdhsa_system_sgpr_workgroup_id_y 0
		.amdhsa_system_sgpr_workgroup_id_z 0
		.amdhsa_system_sgpr_workgroup_info 0
		.amdhsa_system_vgpr_workitem_id 0
		.amdhsa_next_free_vgpr 18
		.amdhsa_next_free_sgpr 64
		.amdhsa_reserve_vcc 1
		.amdhsa_reserve_flat_scratch 0
		.amdhsa_float_round_mode_32 0
		.amdhsa_float_round_mode_16_64 0
		.amdhsa_float_denorm_mode_32 3
		.amdhsa_float_denorm_mode_16_64 3
		.amdhsa_dx10_clamp 1
		.amdhsa_ieee_mode 1
		.amdhsa_fp16_overflow 0
		.amdhsa_exception_fp_ieee_invalid_op 0
		.amdhsa_exception_fp_denorm_src 0
		.amdhsa_exception_fp_ieee_div_zero 0
		.amdhsa_exception_fp_ieee_overflow 0
		.amdhsa_exception_fp_ieee_underflow 0
		.amdhsa_exception_fp_ieee_inexact 0
		.amdhsa_exception_int_div_zero 0
	.end_amdhsa_kernel
	.section	.text._ZN2at6native29vectorized_elementwise_kernelILi8ENS0_13BinaryFunctorIbbbNS0_12_GLOBAL__N_116CompareEqFunctorIbEEEESt5arrayIPcLm3EEEEviT0_T1_,"axG",@progbits,_ZN2at6native29vectorized_elementwise_kernelILi8ENS0_13BinaryFunctorIbbbNS0_12_GLOBAL__N_116CompareEqFunctorIbEEEESt5arrayIPcLm3EEEEviT0_T1_,comdat
.Lfunc_end209:
	.size	_ZN2at6native29vectorized_elementwise_kernelILi8ENS0_13BinaryFunctorIbbbNS0_12_GLOBAL__N_116CompareEqFunctorIbEEEESt5arrayIPcLm3EEEEviT0_T1_, .Lfunc_end209-_ZN2at6native29vectorized_elementwise_kernelILi8ENS0_13BinaryFunctorIbbbNS0_12_GLOBAL__N_116CompareEqFunctorIbEEEESt5arrayIPcLm3EEEEviT0_T1_
                                        ; -- End function
	.set _ZN2at6native29vectorized_elementwise_kernelILi8ENS0_13BinaryFunctorIbbbNS0_12_GLOBAL__N_116CompareEqFunctorIbEEEESt5arrayIPcLm3EEEEviT0_T1_.num_vgpr, 18
	.set _ZN2at6native29vectorized_elementwise_kernelILi8ENS0_13BinaryFunctorIbbbNS0_12_GLOBAL__N_116CompareEqFunctorIbEEEESt5arrayIPcLm3EEEEviT0_T1_.num_agpr, 0
	.set _ZN2at6native29vectorized_elementwise_kernelILi8ENS0_13BinaryFunctorIbbbNS0_12_GLOBAL__N_116CompareEqFunctorIbEEEESt5arrayIPcLm3EEEEviT0_T1_.numbered_sgpr, 64
	.set _ZN2at6native29vectorized_elementwise_kernelILi8ENS0_13BinaryFunctorIbbbNS0_12_GLOBAL__N_116CompareEqFunctorIbEEEESt5arrayIPcLm3EEEEviT0_T1_.num_named_barrier, 0
	.set _ZN2at6native29vectorized_elementwise_kernelILi8ENS0_13BinaryFunctorIbbbNS0_12_GLOBAL__N_116CompareEqFunctorIbEEEESt5arrayIPcLm3EEEEviT0_T1_.private_seg_size, 0
	.set _ZN2at6native29vectorized_elementwise_kernelILi8ENS0_13BinaryFunctorIbbbNS0_12_GLOBAL__N_116CompareEqFunctorIbEEEESt5arrayIPcLm3EEEEviT0_T1_.uses_vcc, 1
	.set _ZN2at6native29vectorized_elementwise_kernelILi8ENS0_13BinaryFunctorIbbbNS0_12_GLOBAL__N_116CompareEqFunctorIbEEEESt5arrayIPcLm3EEEEviT0_T1_.uses_flat_scratch, 0
	.set _ZN2at6native29vectorized_elementwise_kernelILi8ENS0_13BinaryFunctorIbbbNS0_12_GLOBAL__N_116CompareEqFunctorIbEEEESt5arrayIPcLm3EEEEviT0_T1_.has_dyn_sized_stack, 0
	.set _ZN2at6native29vectorized_elementwise_kernelILi8ENS0_13BinaryFunctorIbbbNS0_12_GLOBAL__N_116CompareEqFunctorIbEEEESt5arrayIPcLm3EEEEviT0_T1_.has_recursion, 0
	.set _ZN2at6native29vectorized_elementwise_kernelILi8ENS0_13BinaryFunctorIbbbNS0_12_GLOBAL__N_116CompareEqFunctorIbEEEESt5arrayIPcLm3EEEEviT0_T1_.has_indirect_call, 0
	.section	.AMDGPU.csdata,"",@progbits
; Kernel info:
; codeLenInByte = 3936
; TotalNumSgprs: 68
; NumVgprs: 18
; ScratchSize: 0
; MemoryBound: 0
; FloatMode: 240
; IeeeMode: 1
; LDSByteSize: 0 bytes/workgroup (compile time only)
; SGPRBlocks: 8
; VGPRBlocks: 4
; NumSGPRsForWavesPerEU: 68
; NumVGPRsForWavesPerEU: 18
; Occupancy: 10
; WaveLimiterHint : 1
; COMPUTE_PGM_RSRC2:SCRATCH_EN: 0
; COMPUTE_PGM_RSRC2:USER_SGPR: 6
; COMPUTE_PGM_RSRC2:TRAP_HANDLER: 0
; COMPUTE_PGM_RSRC2:TGID_X_EN: 1
; COMPUTE_PGM_RSRC2:TGID_Y_EN: 0
; COMPUTE_PGM_RSRC2:TGID_Z_EN: 0
; COMPUTE_PGM_RSRC2:TIDIG_COMP_CNT: 0
	.section	.text._ZN2at6native29vectorized_elementwise_kernelILi4ENS0_13BinaryFunctorIbbbNS0_12_GLOBAL__N_116CompareEqFunctorIbEEEESt5arrayIPcLm3EEEEviT0_T1_,"axG",@progbits,_ZN2at6native29vectorized_elementwise_kernelILi4ENS0_13BinaryFunctorIbbbNS0_12_GLOBAL__N_116CompareEqFunctorIbEEEESt5arrayIPcLm3EEEEviT0_T1_,comdat
	.globl	_ZN2at6native29vectorized_elementwise_kernelILi4ENS0_13BinaryFunctorIbbbNS0_12_GLOBAL__N_116CompareEqFunctorIbEEEESt5arrayIPcLm3EEEEviT0_T1_ ; -- Begin function _ZN2at6native29vectorized_elementwise_kernelILi4ENS0_13BinaryFunctorIbbbNS0_12_GLOBAL__N_116CompareEqFunctorIbEEEESt5arrayIPcLm3EEEEviT0_T1_
	.p2align	8
	.type	_ZN2at6native29vectorized_elementwise_kernelILi4ENS0_13BinaryFunctorIbbbNS0_12_GLOBAL__N_116CompareEqFunctorIbEEEESt5arrayIPcLm3EEEEviT0_T1_,@function
_ZN2at6native29vectorized_elementwise_kernelILi4ENS0_13BinaryFunctorIbbbNS0_12_GLOBAL__N_116CompareEqFunctorIbEEEESt5arrayIPcLm3EEEEviT0_T1_: ; @_ZN2at6native29vectorized_elementwise_kernelILi4ENS0_13BinaryFunctorIbbbNS0_12_GLOBAL__N_116CompareEqFunctorIbEEEESt5arrayIPcLm3EEEEviT0_T1_
; %bb.0:
	s_load_dwordx2 s[34:35], s[4:5], 0x0
	s_load_dwordx4 s[36:39], s[4:5], 0x8
	s_load_dwordx2 s[40:41], s[4:5], 0x18
	s_lshl_b32 s33, s6, 12
	s_mov_b64 s[0:1], -1
	s_waitcnt lgkmcnt(0)
	s_sub_i32 s34, s34, s33
	s_cmpk_gt_i32 s34, 0xfff
	s_cbranch_scc0 .LBB210_2
; %bb.1:
	s_ashr_i32 s44, s33, 31
	s_add_u32 s0, s38, s33
	s_addc_u32 s1, s39, s44
	v_lshlrev_b32_e32 v1, 2, v0
	global_load_dword v2, v1, s[0:1]
	global_load_dword v3, v1, s[0:1] offset:1024
	global_load_dword v4, v1, s[0:1] offset:2048
	;; [unrolled: 1-line block ×3, first 2 shown]
	s_add_u32 s0, s40, s33
	s_addc_u32 s1, s41, s44
	global_load_dword v6, v1, s[0:1]
	global_load_dword v7, v1, s[0:1] offset:1024
	global_load_dword v8, v1, s[0:1] offset:2048
	;; [unrolled: 1-line block ×3, first 2 shown]
	v_mov_b32_e32 v10, 0
	s_mov_b32 s28, 0xffffff
	s_cmp_eq_u32 s35, 0
	s_cselect_b64 s[42:43], -1, 0
	s_waitcnt vmcnt(7)
	v_cmp_ne_u32_sdwa s[30:31], v2, v10 src0_sel:BYTE_0 src1_sel:DWORD
	v_and_b32_e32 v11, 0xff00, v2
	v_and_b32_e32 v12, 0xff0000, v2
	v_cmp_lt_u32_e32 vcc, s28, v2
	s_waitcnt vmcnt(6)
	v_cmp_ne_u32_sdwa s[46:47], v3, v10 src0_sel:BYTE_0 src1_sel:DWORD
	v_and_b32_e32 v2, 0xff00, v3
	v_and_b32_e32 v13, 0xff0000, v3
	v_cmp_lt_u32_e64 s[0:1], s28, v3
	s_waitcnt vmcnt(5)
	v_cmp_ne_u32_sdwa s[48:49], v4, v10 src0_sel:BYTE_0 src1_sel:DWORD
	v_and_b32_e32 v3, 0xff00, v4
	v_and_b32_e32 v14, 0xff0000, v4
	v_cmp_lt_u32_e64 s[2:3], s28, v4
	;; [unrolled: 5-line block ×3, first 2 shown]
	s_waitcnt vmcnt(2)
	v_cmp_ne_u32_sdwa s[54:55], v7, v10 src0_sel:BYTE_0 src1_sel:DWORD
	v_and_b32_e32 v5, 0xff0000, v7
	v_cmp_lt_u32_e64 s[24:25], s28, v7
	v_cmp_ne_u32_e64 s[12:13], 0, v13
	s_xor_b64 s[46:47], s[46:47], s[54:55]
	s_xor_b64 s[54:55], s[0:1], s[24:25]
	v_cmp_ne_u32_e64 s[0:1], 0, v5
	v_cmp_ne_u32_e64 s[14:15], 0, v3
	v_cmp_ne_u32_sdwa s[52:53], v6, v10 src0_sel:BYTE_0 src1_sel:DWORD
	v_and_b32_e32 v3, 0xff0000, v6
	v_cmp_lt_u32_e64 s[22:23], s28, v6
	s_xor_b64 s[0:1], s[12:13], s[0:1]
	v_cmp_ne_u32_e64 s[8:9], 0, v12
	v_cmp_ne_u32_e64 s[10:11], 0, v2
	;; [unrolled: 1-line block ×3, first 2 shown]
	v_and_b32_e32 v2, 0xff00, v6
	v_and_b32_e32 v4, 0xff00, v7
	s_waitcnt vmcnt(1)
	v_cmp_ne_u32_sdwa s[56:57], v8, v10 src0_sel:BYTE_0 src1_sel:DWORD
	v_and_b32_e32 v6, 0xff00, v8
	v_and_b32_e32 v7, 0xff0000, v8
	v_cmp_lt_u32_e64 s[26:27], s28, v8
	s_waitcnt vmcnt(0)
	v_and_b32_e32 v8, 0xff00, v9
	s_xor_b64 s[52:53], s[30:31], s[52:53]
	s_xor_b64 s[60:61], vcc, s[22:23]
	v_cmp_ne_u32_e32 vcc, 0, v3
	s_xor_b64 s[0:1], s[42:43], s[0:1]
	s_xor_b64 s[24:25], s[42:43], s[52:53]
	s_xor_b64 s[52:53], s[8:9], vcc
	v_cmp_ne_u32_e32 vcc, 0, v8
	v_cndmask_b32_e64 v8, 0, 1, s[0:1]
	s_xor_b64 s[0:1], s[42:43], s[54:55]
	v_cmp_ne_u32_sdwa s[58:59], v9, v10 src0_sel:BYTE_0 src1_sel:DWORD
	v_and_b32_e32 v10, 0xff0000, v9
	v_cmp_lt_u32_e64 s[28:29], s28, v9
	v_cndmask_b32_e64 v9, 0, 1, s[0:1]
	s_xor_b64 s[0:1], s[48:49], s[56:57]
	v_cmp_ne_u32_e64 s[30:31], 0, v2
	v_cndmask_b32_e64 v2, 0, 1, s[24:25]
	v_cmp_ne_u32_e64 s[24:25], 0, v6
	s_xor_b64 s[8:9], s[42:43], s[60:61]
	s_xor_b64 s[0:1], s[42:43], s[0:1]
	v_cmp_ne_u32_e64 s[6:7], 0, v11
	v_cndmask_b32_e64 v3, 0, 1, s[8:9]
	v_cmp_ne_u32_e64 s[8:9], 0, v10
	v_cndmask_b32_e64 v10, 0, 1, s[0:1]
	s_xor_b64 s[0:1], s[14:15], s[24:25]
	v_cmp_ne_u32_e64 s[16:17], 0, v14
	s_xor_b64 s[30:31], s[6:7], s[30:31]
	v_cmp_ne_u32_e64 s[6:7], 0, v7
	s_xor_b64 s[0:1], s[42:43], s[0:1]
	v_cndmask_b32_e64 v11, 0, 1, s[0:1]
	s_xor_b64 s[0:1], s[16:17], s[6:7]
	s_xor_b64 s[0:1], s[42:43], s[0:1]
	v_cndmask_b32_e64 v12, 0, 1, s[0:1]
	s_xor_b64 s[0:1], s[2:3], s[26:27]
	;; [unrolled: 3-line block ×3, first 2 shown]
	s_xor_b64 s[0:1], s[42:43], s[0:1]
	v_cndmask_b32_e64 v14, 0, 1, s[0:1]
	s_xor_b64 s[0:1], s[18:19], vcc
	v_cmp_ne_u32_e64 s[20:21], 0, v15
	s_xor_b64 s[0:1], s[42:43], s[0:1]
	v_cmp_ne_u32_e64 s[22:23], 0, v4
	v_cndmask_b32_e64 v15, 0, 1, s[0:1]
	s_xor_b64 s[0:1], s[20:21], s[8:9]
	s_xor_b64 s[10:11], s[10:11], s[22:23]
	;; [unrolled: 1-line block ×5, first 2 shown]
	v_cndmask_b32_e64 v16, 0, 1, s[0:1]
	s_xor_b64 s[0:1], s[4:5], s[28:29]
	s_xor_b64 s[46:47], s[42:43], s[46:47]
	v_cndmask_b32_e64 v5, 0, 1, s[12:13]
	s_xor_b64 s[12:13], s[42:43], s[52:53]
	v_cndmask_b32_e64 v7, 0, 1, s[10:11]
	;; [unrolled: 2-line block ×3, first 2 shown]
	v_cndmask_b32_e64 v6, 0, 1, s[12:13]
	v_cndmask_b32_e64 v17, 0, 1, s[0:1]
	v_lshlrev_b16_e32 v15, 8, v15
	v_lshlrev_b16_e32 v11, 8, v11
	;; [unrolled: 1-line block ×5, first 2 shown]
	v_or_b32_e32 v14, v14, v15
	v_lshlrev_b16_e32 v15, 8, v17
	v_or_b32_e32 v10, v10, v11
	v_lshlrev_b16_e32 v11, 8, v13
	;; [unrolled: 2-line block ×3, first 2 shown]
	v_or_b32_e32 v2, v2, v5
	v_or_b32_sdwa v3, v6, v3 dst_sel:WORD_1 dst_unused:UNUSED_PAD src0_sel:DWORD src1_sel:DWORD
	s_add_u32 s0, s36, s33
	v_or_b32_sdwa v15, v16, v15 dst_sel:WORD_1 dst_unused:UNUSED_PAD src0_sel:DWORD src1_sel:DWORD
	v_or_b32_sdwa v11, v12, v11 dst_sel:WORD_1 dst_unused:UNUSED_PAD src0_sel:DWORD src1_sel:DWORD
	;; [unrolled: 1-line block ×3, first 2 shown]
	v_or_b32_sdwa v2, v2, v3 dst_sel:DWORD dst_unused:UNUSED_PAD src0_sel:WORD_0 src1_sel:DWORD
	s_addc_u32 s1, s37, s44
	v_or_b32_sdwa v14, v14, v15 dst_sel:DWORD dst_unused:UNUSED_PAD src0_sel:WORD_0 src1_sel:DWORD
	v_or_b32_sdwa v10, v10, v11 dst_sel:DWORD dst_unused:UNUSED_PAD src0_sel:WORD_0 src1_sel:DWORD
	;; [unrolled: 1-line block ×3, first 2 shown]
	global_store_dword v1, v2, s[0:1]
	global_store_dword v1, v4, s[0:1] offset:1024
	global_store_dword v1, v10, s[0:1] offset:2048
	;; [unrolled: 1-line block ×3, first 2 shown]
	s_mov_b64 s[0:1], 0
.LBB210_2:
	s_andn2_b64 vcc, exec, s[0:1]
	s_cbranch_vccnz .LBB210_52
; %bb.3:
	v_cmp_gt_i32_e32 vcc, s34, v0
	s_mov_b64 s[4:5], 0
	v_or_b32_e32 v1, s33, v0
	s_mov_b64 s[6:7], 0
	v_mov_b32_e32 v2, v0
	s_and_saveexec_b64 s[8:9], vcc
	s_cbranch_execz .LBB210_5
; %bb.4:
	global_load_ubyte v2, v1, s[38:39]
	global_load_ubyte v3, v1, s[40:41]
	s_waitcnt vmcnt(1)
	v_cmp_ne_u16_e64 s[0:1], 0, v2
	s_waitcnt vmcnt(0)
	v_cmp_ne_u16_e64 s[2:3], 0, v3
	s_xor_b64 s[0:1], s[0:1], s[2:3]
	v_or_b32_e32 v2, 0x100, v0
	s_and_b64 s[6:7], s[0:1], exec
.LBB210_5:
	s_or_b64 exec, exec, s[8:9]
	v_cmp_gt_i32_e64 s[0:1], s34, v2
	s_and_saveexec_b64 s[8:9], s[0:1]
	s_cbranch_execz .LBB210_7
; %bb.6:
	v_add_u32_e32 v3, s33, v2
	global_load_ubyte v4, v3, s[38:39]
	global_load_ubyte v5, v3, s[40:41]
	v_add_u32_e32 v2, 0x100, v2
	s_waitcnt vmcnt(1)
	v_cmp_ne_u16_e64 s[0:1], 0, v4
	s_waitcnt vmcnt(0)
	v_cmp_ne_u16_e64 s[2:3], 0, v5
	s_xor_b64 s[0:1], s[0:1], s[2:3]
	s_and_b64 s[4:5], s[0:1], exec
.LBB210_7:
	s_or_b64 exec, exec, s[8:9]
	v_cmp_gt_i32_e64 s[0:1], s34, v2
	s_mov_b64 s[8:9], 0
	s_mov_b64 s[10:11], 0
	s_and_saveexec_b64 s[12:13], s[0:1]
	s_cbranch_execz .LBB210_9
; %bb.8:
	v_add_u32_e32 v3, s33, v2
	global_load_ubyte v4, v3, s[38:39]
	global_load_ubyte v5, v3, s[40:41]
	v_add_u32_e32 v2, 0x100, v2
	s_waitcnt vmcnt(1)
	v_cmp_ne_u16_e64 s[0:1], 0, v4
	s_waitcnt vmcnt(0)
	v_cmp_ne_u16_e64 s[2:3], 0, v5
	s_xor_b64 s[0:1], s[0:1], s[2:3]
	s_and_b64 s[10:11], s[0:1], exec
.LBB210_9:
	s_or_b64 exec, exec, s[12:13]
	v_cmp_gt_i32_e64 s[0:1], s34, v2
	s_and_saveexec_b64 s[12:13], s[0:1]
	s_cbranch_execz .LBB210_11
; %bb.10:
	v_add_u32_e32 v3, s33, v2
	global_load_ubyte v4, v3, s[38:39]
	global_load_ubyte v5, v3, s[40:41]
	v_add_u32_e32 v2, 0x100, v2
	s_waitcnt vmcnt(1)
	v_cmp_ne_u16_e64 s[0:1], 0, v4
	s_waitcnt vmcnt(0)
	v_cmp_ne_u16_e64 s[2:3], 0, v5
	s_xor_b64 s[0:1], s[0:1], s[2:3]
	s_and_b64 s[8:9], s[0:1], exec
.LBB210_11:
	s_or_b64 exec, exec, s[12:13]
	v_cmp_gt_i32_e64 s[0:1], s34, v2
	s_mov_b64 s[12:13], 0
	s_mov_b64 s[14:15], 0
	s_and_saveexec_b64 s[16:17], s[0:1]
	s_cbranch_execz .LBB210_13
; %bb.12:
	v_add_u32_e32 v3, s33, v2
	global_load_ubyte v4, v3, s[38:39]
	global_load_ubyte v5, v3, s[40:41]
	v_add_u32_e32 v2, 0x100, v2
	s_waitcnt vmcnt(1)
	v_cmp_ne_u16_e64 s[0:1], 0, v4
	s_waitcnt vmcnt(0)
	v_cmp_ne_u16_e64 s[2:3], 0, v5
	s_xor_b64 s[0:1], s[0:1], s[2:3]
	s_and_b64 s[14:15], s[0:1], exec
.LBB210_13:
	;; [unrolled: 34-line block ×7, first 2 shown]
	s_or_b64 exec, exec, s[46:47]
	v_cmp_gt_i32_e64 s[0:1], s34, v2
	s_and_saveexec_b64 s[46:47], s[0:1]
	s_cbranch_execz .LBB210_35
; %bb.34:
	v_add_u32_e32 v2, s33, v2
	global_load_ubyte v3, v2, s[38:39]
	global_load_ubyte v4, v2, s[40:41]
	s_waitcnt vmcnt(1)
	v_cmp_ne_u16_e64 s[0:1], 0, v3
	s_waitcnt vmcnt(0)
	v_cmp_ne_u16_e64 s[2:3], 0, v4
	s_xor_b64 s[0:1], s[0:1], s[2:3]
	s_and_b64 s[42:43], s[0:1], exec
.LBB210_35:
	s_or_b64 exec, exec, s[46:47]
	s_cmp_eq_u32 s35, 0
	s_cselect_b64 s[2:3], -1, 0
	s_xor_b64 s[0:1], s[2:3], s[6:7]
	v_cndmask_b32_e64 v2, 0, 1, s[0:1]
	s_xor_b64 s[0:1], s[2:3], s[4:5]
	v_cndmask_b32_e64 v3, 0, 1, s[0:1]
	v_cndmask_b32_e32 v2, 0, v2, vcc
	v_lshlrev_b16_e32 v3, 8, v3
	v_or_b32_e32 v6, 0x100, v0
	v_or_b32_e32 v3, v2, v3
	v_and_b32_e32 v3, 0xffff, v3
	v_cmp_gt_i32_e64 s[0:1], s34, v6
	v_cndmask_b32_e64 v2, v2, v3, s[0:1]
	s_xor_b64 s[0:1], s[2:3], s[10:11]
	v_or_b32_e32 v3, 0x200, v0
	v_cndmask_b32_e64 v4, 0, 1, s[0:1]
	v_lshl_or_b32 v4, v4, 16, v2
	v_cmp_gt_i32_e64 s[0:1], s34, v3
	v_cndmask_b32_e64 v2, v2, v4, s[0:1]
	s_xor_b64 s[0:1], s[2:3], s[8:9]
	s_movk_i32 s5, 0xff
	v_cndmask_b32_e64 v5, 0, 1, s[0:1]
	v_and_b32_sdwa v3, v2, s5 dst_sel:DWORD dst_unused:UNUSED_PAD src0_sel:WORD_1 src1_sel:DWORD
	v_lshlrev_b16_e32 v5, 8, v5
	s_mov_b32 s4, 0xffff
	v_or_b32_e32 v4, 0x300, v0
	v_or_b32_sdwa v3, v3, v5 dst_sel:WORD_1 dst_unused:UNUSED_PAD src0_sel:DWORD src1_sel:DWORD
	v_and_or_b32 v3, v2, s4, v3
	v_cmp_gt_i32_e64 s[0:1], s34, v4
	v_cndmask_b32_e64 v5, v2, v3, s[0:1]
	s_xor_b64 s[0:1], s[2:3], s[14:15]
	v_cndmask_b32_e64 v2, 0, 1, s[0:1]
	v_or_b32_e32 v3, 0x400, v0
	v_and_b32_e32 v2, 0xffff, v2
	v_cmp_gt_i32_e64 s[0:1], s34, v3
	v_cndmask_b32_e64 v2, 0, v2, s[0:1]
	s_xor_b64 s[0:1], s[2:3], s[12:13]
	v_cndmask_b32_e64 v4, 0, 1, s[0:1]
	v_lshlrev_b16_e32 v4, 8, v4
	v_or_b32_e32 v3, 0x500, v0
	v_or_b32_sdwa v4, v2, v4 dst_sel:DWORD dst_unused:UNUSED_PAD src0_sel:BYTE_0 src1_sel:DWORD
	v_and_b32_e32 v4, 0xffff, v4
	v_cmp_gt_i32_e64 s[0:1], s34, v3
	s_movk_i32 s6, 0xff00
	v_cndmask_b32_e64 v2, v2, v4, s[0:1]
	s_xor_b64 s[0:1], s[2:3], s[18:19]
	v_and_b32_sdwa v3, v2, s6 dst_sel:DWORD dst_unused:UNUSED_PAD src0_sel:WORD_1 src1_sel:DWORD
	v_cndmask_b32_e64 v4, 0, 1, s[0:1]
	v_or_b32_sdwa v3, v4, v3 dst_sel:WORD_1 dst_unused:UNUSED_PAD src0_sel:DWORD src1_sel:DWORD
	v_or_b32_e32 v4, 0x600, v0
	v_and_or_b32 v3, v2, s4, v3
	v_cmp_gt_i32_e64 s[0:1], s34, v4
	v_cndmask_b32_e64 v2, v2, v3, s[0:1]
	s_xor_b64 s[0:1], s[2:3], s[16:17]
	v_cndmask_b32_e64 v7, 0, 1, s[0:1]
	v_and_b32_sdwa v3, v2, s5 dst_sel:DWORD dst_unused:UNUSED_PAD src0_sel:WORD_1 src1_sel:DWORD
	v_lshlrev_b16_e32 v7, 8, v7
	v_or_b32_e32 v4, 0x700, v0
	v_or_b32_sdwa v3, v3, v7 dst_sel:WORD_1 dst_unused:UNUSED_PAD src0_sel:DWORD src1_sel:DWORD
	v_and_or_b32 v3, v2, s4, v3
	v_cmp_gt_i32_e64 s[0:1], s34, v4
	v_cndmask_b32_e64 v4, v2, v3, s[0:1]
	v_or_b32_e32 v2, 0x800, v0
	s_xor_b64 s[0:1], s[2:3], s[22:23]
	v_cndmask_b32_e64 v3, 0, 1, s[0:1]
	v_cmp_gt_i32_e64 s[0:1], s34, v2
	v_cndmask_b32_e64 v2, 0, v3, s[0:1]
	s_xor_b64 s[0:1], s[2:3], s[20:21]
	v_cndmask_b32_e64 v7, 0, 1, s[0:1]
	v_lshlrev_b16_e32 v7, 8, v7
	v_or_b32_e32 v3, 0x900, v0
	v_or_b32_e32 v7, v2, v7
	v_and_b32_e32 v7, 0xffff, v7
	v_cmp_gt_i32_e64 s[0:1], s34, v3
	v_cndmask_b32_e64 v2, v2, v7, s[0:1]
	s_xor_b64 s[0:1], s[2:3], s[26:27]
	v_cndmask_b32_e64 v7, 0, 1, s[0:1]
	v_or_b32_e32 v3, 0xa00, v0
	v_lshlrev_b32_e32 v7, 16, v7
	s_movk_i32 s0, 0x1ff
	v_and_or_b32 v7, v2, s0, v7
	v_cmp_gt_i32_e64 s[0:1], s34, v3
	v_cndmask_b32_e64 v2, v2, v7, s[0:1]
	s_xor_b64 s[0:1], s[2:3], s[24:25]
	v_cndmask_b32_e64 v8, 0, 1, s[0:1]
	v_and_b32_sdwa v3, v2, s5 dst_sel:DWORD dst_unused:UNUSED_PAD src0_sel:WORD_1 src1_sel:DWORD
	v_lshlrev_b16_e32 v8, 8, v8
	v_or_b32_e32 v7, 0xb00, v0
	v_or_b32_sdwa v3, v3, v8 dst_sel:WORD_1 dst_unused:UNUSED_PAD src0_sel:DWORD src1_sel:DWORD
	v_and_or_b32 v3, v2, s4, v3
	v_cmp_gt_i32_e64 s[0:1], s34, v7
	v_cndmask_b32_e64 v3, v2, v3, s[0:1]
	v_or_b32_e32 v2, 0xc00, v0
	s_xor_b64 s[0:1], s[2:3], s[30:31]
	v_cndmask_b32_e64 v7, 0, 1, s[0:1]
	v_cmp_gt_i32_e64 s[0:1], s34, v2
	v_cndmask_b32_e64 v2, 0, v7, s[0:1]
	s_xor_b64 s[0:1], s[2:3], s[28:29]
	v_cndmask_b32_e64 v8, 0, 1, s[0:1]
	v_lshlrev_b16_e32 v8, 8, v8
	v_or_b32_e32 v7, 0xd00, v0
	v_or_b32_sdwa v8, v2, v8 dst_sel:DWORD dst_unused:UNUSED_PAD src0_sel:BYTE_0 src1_sel:DWORD
	v_and_b32_e32 v8, 0xffff, v8
	v_cmp_gt_i32_e64 s[0:1], s34, v7
	v_cndmask_b32_e64 v2, v2, v8, s[0:1]
	s_xor_b64 s[0:1], s[2:3], s[44:45]
	v_and_b32_sdwa v7, v2, s6 dst_sel:DWORD dst_unused:UNUSED_PAD src0_sel:WORD_1 src1_sel:DWORD
	v_cndmask_b32_e64 v8, 0, 1, s[0:1]
	v_or_b32_sdwa v7, v8, v7 dst_sel:WORD_1 dst_unused:UNUSED_PAD src0_sel:DWORD src1_sel:DWORD
	v_or_b32_e32 v8, 0xe00, v0
	v_and_or_b32 v7, v2, s4, v7
	v_cmp_gt_i32_e64 s[0:1], s34, v8
	v_cndmask_b32_e64 v2, v2, v7, s[0:1]
	s_xor_b64 s[0:1], s[2:3], s[42:43]
	v_cndmask_b32_e64 v9, 0, 1, s[0:1]
	v_and_b32_sdwa v7, v2, s5 dst_sel:DWORD dst_unused:UNUSED_PAD src0_sel:WORD_1 src1_sel:DWORD
	v_lshlrev_b16_e32 v9, 8, v9
	v_or_b32_e32 v8, 0xf00, v0
	v_or_b32_sdwa v7, v7, v9 dst_sel:WORD_1 dst_unused:UNUSED_PAD src0_sel:DWORD src1_sel:DWORD
	v_and_or_b32 v7, v2, s4, v7
	v_cmp_gt_i32_e64 s[0:1], s34, v8
	v_cndmask_b32_e64 v2, v2, v7, s[0:1]
	s_and_saveexec_b64 s[0:1], vcc
	s_cbranch_execnz .LBB210_53
; %bb.36:
	s_or_b64 exec, exec, s[0:1]
	v_cmp_gt_i32_e32 vcc, s34, v0
	s_and_saveexec_b64 s[0:1], vcc
	s_cbranch_execnz .LBB210_54
.LBB210_37:
	s_or_b64 exec, exec, s[0:1]
	v_cmp_gt_i32_e32 vcc, s34, v0
	s_and_saveexec_b64 s[0:1], vcc
	s_cbranch_execnz .LBB210_55
.LBB210_38:
	s_or_b64 exec, exec, s[0:1]
	v_cmp_gt_i32_e32 vcc, s34, v0
	s_and_saveexec_b64 s[0:1], vcc
	s_cbranch_execnz .LBB210_56
.LBB210_39:
	s_or_b64 exec, exec, s[0:1]
	v_cmp_gt_i32_e32 vcc, s34, v0
	s_and_saveexec_b64 s[0:1], vcc
	s_cbranch_execnz .LBB210_57
.LBB210_40:
	s_or_b64 exec, exec, s[0:1]
	v_cmp_gt_i32_e32 vcc, s34, v0
	s_and_saveexec_b64 s[0:1], vcc
	s_cbranch_execnz .LBB210_58
.LBB210_41:
	s_or_b64 exec, exec, s[0:1]
	v_cmp_gt_i32_e32 vcc, s34, v0
	s_and_saveexec_b64 s[0:1], vcc
	s_cbranch_execnz .LBB210_59
.LBB210_42:
	s_or_b64 exec, exec, s[0:1]
	v_cmp_gt_i32_e32 vcc, s34, v0
	s_and_saveexec_b64 s[0:1], vcc
	s_cbranch_execnz .LBB210_60
.LBB210_43:
	s_or_b64 exec, exec, s[0:1]
	v_cmp_gt_i32_e32 vcc, s34, v0
	s_and_saveexec_b64 s[0:1], vcc
	s_cbranch_execnz .LBB210_61
.LBB210_44:
	s_or_b64 exec, exec, s[0:1]
	v_cmp_gt_i32_e32 vcc, s34, v0
	s_and_saveexec_b64 s[0:1], vcc
	s_cbranch_execnz .LBB210_62
.LBB210_45:
	s_or_b64 exec, exec, s[0:1]
	v_cmp_gt_i32_e32 vcc, s34, v0
	s_and_saveexec_b64 s[0:1], vcc
	s_cbranch_execnz .LBB210_63
.LBB210_46:
	s_or_b64 exec, exec, s[0:1]
	v_cmp_gt_i32_e32 vcc, s34, v0
	s_and_saveexec_b64 s[0:1], vcc
	s_cbranch_execnz .LBB210_64
.LBB210_47:
	s_or_b64 exec, exec, s[0:1]
	v_cmp_gt_i32_e32 vcc, s34, v0
	s_and_saveexec_b64 s[0:1], vcc
	s_cbranch_execnz .LBB210_65
.LBB210_48:
	s_or_b64 exec, exec, s[0:1]
	v_cmp_gt_i32_e32 vcc, s34, v0
	s_and_saveexec_b64 s[0:1], vcc
	s_cbranch_execnz .LBB210_66
.LBB210_49:
	s_or_b64 exec, exec, s[0:1]
	v_cmp_gt_i32_e32 vcc, s34, v0
	s_and_saveexec_b64 s[0:1], vcc
	s_cbranch_execnz .LBB210_67
.LBB210_50:
	s_or_b64 exec, exec, s[0:1]
	v_cmp_gt_i32_e32 vcc, s34, v0
	s_and_saveexec_b64 s[0:1], vcc
	s_cbranch_execz .LBB210_52
.LBB210_51:
	v_lshrrev_b32_e32 v1, 24, v2
	v_add_u32_e32 v0, s33, v0
	global_store_byte v0, v1, s[36:37]
.LBB210_52:
	s_endpgm
.LBB210_53:
	v_mov_b32_e32 v0, v6
	global_store_byte v1, v5, s[36:37]
	s_or_b64 exec, exec, s[0:1]
	v_cmp_gt_i32_e32 vcc, s34, v0
	s_and_saveexec_b64 s[0:1], vcc
	s_cbranch_execz .LBB210_37
.LBB210_54:
	v_lshrrev_b32_e32 v1, 8, v5
	v_add_u32_e32 v6, s33, v0
	v_add_u32_e32 v0, 0x100, v0
	global_store_byte v6, v1, s[36:37]
	s_or_b64 exec, exec, s[0:1]
	v_cmp_gt_i32_e32 vcc, s34, v0
	s_and_saveexec_b64 s[0:1], vcc
	s_cbranch_execz .LBB210_38
.LBB210_55:
	v_add_u32_e32 v1, s33, v0
	v_add_u32_e32 v0, 0x100, v0
	global_store_byte_d16_hi v1, v5, s[36:37]
	s_or_b64 exec, exec, s[0:1]
	v_cmp_gt_i32_e32 vcc, s34, v0
	s_and_saveexec_b64 s[0:1], vcc
	s_cbranch_execz .LBB210_39
.LBB210_56:
	v_lshrrev_b32_e32 v1, 24, v5
	v_add_u32_e32 v5, s33, v0
	v_add_u32_e32 v0, 0x100, v0
	global_store_byte v5, v1, s[36:37]
	s_or_b64 exec, exec, s[0:1]
	v_cmp_gt_i32_e32 vcc, s34, v0
	s_and_saveexec_b64 s[0:1], vcc
	s_cbranch_execz .LBB210_40
.LBB210_57:
	v_add_u32_e32 v1, s33, v0
	v_add_u32_e32 v0, 0x100, v0
	global_store_byte v1, v4, s[36:37]
	s_or_b64 exec, exec, s[0:1]
	v_cmp_gt_i32_e32 vcc, s34, v0
	s_and_saveexec_b64 s[0:1], vcc
	s_cbranch_execz .LBB210_41
.LBB210_58:
	v_lshrrev_b32_e32 v1, 8, v4
	v_add_u32_e32 v5, s33, v0
	v_add_u32_e32 v0, 0x100, v0
	global_store_byte v5, v1, s[36:37]
	s_or_b64 exec, exec, s[0:1]
	v_cmp_gt_i32_e32 vcc, s34, v0
	s_and_saveexec_b64 s[0:1], vcc
	s_cbranch_execz .LBB210_42
.LBB210_59:
	v_add_u32_e32 v1, s33, v0
	v_add_u32_e32 v0, 0x100, v0
	global_store_byte_d16_hi v1, v4, s[36:37]
	s_or_b64 exec, exec, s[0:1]
	v_cmp_gt_i32_e32 vcc, s34, v0
	s_and_saveexec_b64 s[0:1], vcc
	s_cbranch_execz .LBB210_43
.LBB210_60:
	v_lshrrev_b32_e32 v1, 24, v4
	v_add_u32_e32 v4, s33, v0
	v_add_u32_e32 v0, 0x100, v0
	global_store_byte v4, v1, s[36:37]
	s_or_b64 exec, exec, s[0:1]
	v_cmp_gt_i32_e32 vcc, s34, v0
	s_and_saveexec_b64 s[0:1], vcc
	s_cbranch_execz .LBB210_44
.LBB210_61:
	v_add_u32_e32 v1, s33, v0
	v_add_u32_e32 v0, 0x100, v0
	global_store_byte v1, v3, s[36:37]
	s_or_b64 exec, exec, s[0:1]
	v_cmp_gt_i32_e32 vcc, s34, v0
	s_and_saveexec_b64 s[0:1], vcc
	s_cbranch_execz .LBB210_45
.LBB210_62:
	v_lshrrev_b32_e32 v1, 8, v3
	v_add_u32_e32 v4, s33, v0
	v_add_u32_e32 v0, 0x100, v0
	global_store_byte v4, v1, s[36:37]
	s_or_b64 exec, exec, s[0:1]
	v_cmp_gt_i32_e32 vcc, s34, v0
	s_and_saveexec_b64 s[0:1], vcc
	s_cbranch_execz .LBB210_46
.LBB210_63:
	v_add_u32_e32 v1, s33, v0
	v_add_u32_e32 v0, 0x100, v0
	global_store_byte_d16_hi v1, v3, s[36:37]
	s_or_b64 exec, exec, s[0:1]
	v_cmp_gt_i32_e32 vcc, s34, v0
	s_and_saveexec_b64 s[0:1], vcc
	s_cbranch_execz .LBB210_47
.LBB210_64:
	v_lshrrev_b32_e32 v1, 24, v3
	v_add_u32_e32 v3, s33, v0
	v_add_u32_e32 v0, 0x100, v0
	global_store_byte v3, v1, s[36:37]
	s_or_b64 exec, exec, s[0:1]
	v_cmp_gt_i32_e32 vcc, s34, v0
	s_and_saveexec_b64 s[0:1], vcc
	s_cbranch_execz .LBB210_48
.LBB210_65:
	v_add_u32_e32 v1, s33, v0
	v_add_u32_e32 v0, 0x100, v0
	global_store_byte v1, v2, s[36:37]
	s_or_b64 exec, exec, s[0:1]
	v_cmp_gt_i32_e32 vcc, s34, v0
	s_and_saveexec_b64 s[0:1], vcc
	s_cbranch_execz .LBB210_49
.LBB210_66:
	v_lshrrev_b32_e32 v1, 8, v2
	v_add_u32_e32 v3, s33, v0
	v_add_u32_e32 v0, 0x100, v0
	global_store_byte v3, v1, s[36:37]
	s_or_b64 exec, exec, s[0:1]
	v_cmp_gt_i32_e32 vcc, s34, v0
	s_and_saveexec_b64 s[0:1], vcc
	s_cbranch_execz .LBB210_50
.LBB210_67:
	v_add_u32_e32 v1, s33, v0
	v_add_u32_e32 v0, 0x100, v0
	global_store_byte_d16_hi v1, v2, s[36:37]
	s_or_b64 exec, exec, s[0:1]
	v_cmp_gt_i32_e32 vcc, s34, v0
	s_and_saveexec_b64 s[0:1], vcc
	s_cbranch_execnz .LBB210_51
	s_branch .LBB210_52
	.section	.rodata,"a",@progbits
	.p2align	6, 0x0
	.amdhsa_kernel _ZN2at6native29vectorized_elementwise_kernelILi4ENS0_13BinaryFunctorIbbbNS0_12_GLOBAL__N_116CompareEqFunctorIbEEEESt5arrayIPcLm3EEEEviT0_T1_
		.amdhsa_group_segment_fixed_size 0
		.amdhsa_private_segment_fixed_size 0
		.amdhsa_kernarg_size 32
		.amdhsa_user_sgpr_count 6
		.amdhsa_user_sgpr_private_segment_buffer 1
		.amdhsa_user_sgpr_dispatch_ptr 0
		.amdhsa_user_sgpr_queue_ptr 0
		.amdhsa_user_sgpr_kernarg_segment_ptr 1
		.amdhsa_user_sgpr_dispatch_id 0
		.amdhsa_user_sgpr_flat_scratch_init 0
		.amdhsa_user_sgpr_private_segment_size 0
		.amdhsa_uses_dynamic_stack 0
		.amdhsa_system_sgpr_private_segment_wavefront_offset 0
		.amdhsa_system_sgpr_workgroup_id_x 1
		.amdhsa_system_sgpr_workgroup_id_y 0
		.amdhsa_system_sgpr_workgroup_id_z 0
		.amdhsa_system_sgpr_workgroup_info 0
		.amdhsa_system_vgpr_workitem_id 0
		.amdhsa_next_free_vgpr 18
		.amdhsa_next_free_sgpr 62
		.amdhsa_reserve_vcc 1
		.amdhsa_reserve_flat_scratch 0
		.amdhsa_float_round_mode_32 0
		.amdhsa_float_round_mode_16_64 0
		.amdhsa_float_denorm_mode_32 3
		.amdhsa_float_denorm_mode_16_64 3
		.amdhsa_dx10_clamp 1
		.amdhsa_ieee_mode 1
		.amdhsa_fp16_overflow 0
		.amdhsa_exception_fp_ieee_invalid_op 0
		.amdhsa_exception_fp_denorm_src 0
		.amdhsa_exception_fp_ieee_div_zero 0
		.amdhsa_exception_fp_ieee_overflow 0
		.amdhsa_exception_fp_ieee_underflow 0
		.amdhsa_exception_fp_ieee_inexact 0
		.amdhsa_exception_int_div_zero 0
	.end_amdhsa_kernel
	.section	.text._ZN2at6native29vectorized_elementwise_kernelILi4ENS0_13BinaryFunctorIbbbNS0_12_GLOBAL__N_116CompareEqFunctorIbEEEESt5arrayIPcLm3EEEEviT0_T1_,"axG",@progbits,_ZN2at6native29vectorized_elementwise_kernelILi4ENS0_13BinaryFunctorIbbbNS0_12_GLOBAL__N_116CompareEqFunctorIbEEEESt5arrayIPcLm3EEEEviT0_T1_,comdat
.Lfunc_end210:
	.size	_ZN2at6native29vectorized_elementwise_kernelILi4ENS0_13BinaryFunctorIbbbNS0_12_GLOBAL__N_116CompareEqFunctorIbEEEESt5arrayIPcLm3EEEEviT0_T1_, .Lfunc_end210-_ZN2at6native29vectorized_elementwise_kernelILi4ENS0_13BinaryFunctorIbbbNS0_12_GLOBAL__N_116CompareEqFunctorIbEEEESt5arrayIPcLm3EEEEviT0_T1_
                                        ; -- End function
	.set _ZN2at6native29vectorized_elementwise_kernelILi4ENS0_13BinaryFunctorIbbbNS0_12_GLOBAL__N_116CompareEqFunctorIbEEEESt5arrayIPcLm3EEEEviT0_T1_.num_vgpr, 18
	.set _ZN2at6native29vectorized_elementwise_kernelILi4ENS0_13BinaryFunctorIbbbNS0_12_GLOBAL__N_116CompareEqFunctorIbEEEESt5arrayIPcLm3EEEEviT0_T1_.num_agpr, 0
	.set _ZN2at6native29vectorized_elementwise_kernelILi4ENS0_13BinaryFunctorIbbbNS0_12_GLOBAL__N_116CompareEqFunctorIbEEEESt5arrayIPcLm3EEEEviT0_T1_.numbered_sgpr, 62
	.set _ZN2at6native29vectorized_elementwise_kernelILi4ENS0_13BinaryFunctorIbbbNS0_12_GLOBAL__N_116CompareEqFunctorIbEEEESt5arrayIPcLm3EEEEviT0_T1_.num_named_barrier, 0
	.set _ZN2at6native29vectorized_elementwise_kernelILi4ENS0_13BinaryFunctorIbbbNS0_12_GLOBAL__N_116CompareEqFunctorIbEEEESt5arrayIPcLm3EEEEviT0_T1_.private_seg_size, 0
	.set _ZN2at6native29vectorized_elementwise_kernelILi4ENS0_13BinaryFunctorIbbbNS0_12_GLOBAL__N_116CompareEqFunctorIbEEEESt5arrayIPcLm3EEEEviT0_T1_.uses_vcc, 1
	.set _ZN2at6native29vectorized_elementwise_kernelILi4ENS0_13BinaryFunctorIbbbNS0_12_GLOBAL__N_116CompareEqFunctorIbEEEESt5arrayIPcLm3EEEEviT0_T1_.uses_flat_scratch, 0
	.set _ZN2at6native29vectorized_elementwise_kernelILi4ENS0_13BinaryFunctorIbbbNS0_12_GLOBAL__N_116CompareEqFunctorIbEEEESt5arrayIPcLm3EEEEviT0_T1_.has_dyn_sized_stack, 0
	.set _ZN2at6native29vectorized_elementwise_kernelILi4ENS0_13BinaryFunctorIbbbNS0_12_GLOBAL__N_116CompareEqFunctorIbEEEESt5arrayIPcLm3EEEEviT0_T1_.has_recursion, 0
	.set _ZN2at6native29vectorized_elementwise_kernelILi4ENS0_13BinaryFunctorIbbbNS0_12_GLOBAL__N_116CompareEqFunctorIbEEEESt5arrayIPcLm3EEEEviT0_T1_.has_indirect_call, 0
	.section	.AMDGPU.csdata,"",@progbits
; Kernel info:
; codeLenInByte = 3988
; TotalNumSgprs: 66
; NumVgprs: 18
; ScratchSize: 0
; MemoryBound: 0
; FloatMode: 240
; IeeeMode: 1
; LDSByteSize: 0 bytes/workgroup (compile time only)
; SGPRBlocks: 8
; VGPRBlocks: 4
; NumSGPRsForWavesPerEU: 66
; NumVGPRsForWavesPerEU: 18
; Occupancy: 10
; WaveLimiterHint : 1
; COMPUTE_PGM_RSRC2:SCRATCH_EN: 0
; COMPUTE_PGM_RSRC2:USER_SGPR: 6
; COMPUTE_PGM_RSRC2:TRAP_HANDLER: 0
; COMPUTE_PGM_RSRC2:TGID_X_EN: 1
; COMPUTE_PGM_RSRC2:TGID_Y_EN: 0
; COMPUTE_PGM_RSRC2:TGID_Z_EN: 0
; COMPUTE_PGM_RSRC2:TIDIG_COMP_CNT: 0
	.section	.text._ZN2at6native29vectorized_elementwise_kernelILi2ENS0_13BinaryFunctorIbbbNS0_12_GLOBAL__N_116CompareEqFunctorIbEEEESt5arrayIPcLm3EEEEviT0_T1_,"axG",@progbits,_ZN2at6native29vectorized_elementwise_kernelILi2ENS0_13BinaryFunctorIbbbNS0_12_GLOBAL__N_116CompareEqFunctorIbEEEESt5arrayIPcLm3EEEEviT0_T1_,comdat
	.globl	_ZN2at6native29vectorized_elementwise_kernelILi2ENS0_13BinaryFunctorIbbbNS0_12_GLOBAL__N_116CompareEqFunctorIbEEEESt5arrayIPcLm3EEEEviT0_T1_ ; -- Begin function _ZN2at6native29vectorized_elementwise_kernelILi2ENS0_13BinaryFunctorIbbbNS0_12_GLOBAL__N_116CompareEqFunctorIbEEEESt5arrayIPcLm3EEEEviT0_T1_
	.p2align	8
	.type	_ZN2at6native29vectorized_elementwise_kernelILi2ENS0_13BinaryFunctorIbbbNS0_12_GLOBAL__N_116CompareEqFunctorIbEEEESt5arrayIPcLm3EEEEviT0_T1_,@function
_ZN2at6native29vectorized_elementwise_kernelILi2ENS0_13BinaryFunctorIbbbNS0_12_GLOBAL__N_116CompareEqFunctorIbEEEESt5arrayIPcLm3EEEEviT0_T1_: ; @_ZN2at6native29vectorized_elementwise_kernelILi2ENS0_13BinaryFunctorIbbbNS0_12_GLOBAL__N_116CompareEqFunctorIbEEEESt5arrayIPcLm3EEEEviT0_T1_
; %bb.0:
	s_load_dwordx2 s[22:23], s[4:5], 0x0
	s_load_dwordx4 s[24:27], s[4:5], 0x8
	s_load_dwordx2 s[28:29], s[4:5], 0x18
	s_lshl_b32 s33, s6, 12
	s_mov_b64 s[0:1], -1
	s_waitcnt lgkmcnt(0)
	s_sub_i32 s22, s22, s33
	s_cmpk_gt_i32 s22, 0xfff
	s_cbranch_scc0 .LBB211_2
; %bb.1:
	s_ashr_i32 s58, s33, 31
	s_add_u32 s0, s26, s33
	s_addc_u32 s1, s27, s58
	v_lshlrev_b32_e32 v1, 1, v0
	global_load_ushort v2, v1, s[0:1]
	global_load_ushort v3, v1, s[0:1] offset:512
	global_load_ushort v4, v1, s[0:1] offset:1024
	;; [unrolled: 1-line block ×7, first 2 shown]
	s_add_u32 s0, s28, s33
	s_addc_u32 s1, s29, s58
	global_load_ushort v10, v1, s[0:1]
	global_load_ushort v11, v1, s[0:1] offset:512
	global_load_ushort v12, v1, s[0:1] offset:1024
	;; [unrolled: 1-line block ×7, first 2 shown]
	s_movk_i32 s59, 0xff
	s_cmp_eq_u32 s23, 0
	v_mov_b32_e32 v18, 0
	s_cselect_b64 s[30:31], -1, 0
	s_waitcnt vmcnt(15)
	v_cmp_lt_u16_e32 vcc, s59, v2
	s_waitcnt vmcnt(14)
	v_cmp_lt_u16_e64 s[0:1], s59, v3
	s_waitcnt vmcnt(13)
	v_cmp_ne_u16_sdwa s[36:37], v4, v18 src0_sel:BYTE_0 src1_sel:DWORD
	s_waitcnt vmcnt(7)
	v_cmp_lt_u16_e64 s[14:15], s59, v10
	s_waitcnt vmcnt(6)
	v_cmp_lt_u16_e64 s[16:17], s59, v11
	v_cmp_lt_u16_e64 s[8:9], s59, v7
	s_xor_b64 s[16:17], s[0:1], s[16:17]
	s_waitcnt vmcnt(5)
	v_cmp_ne_u16_sdwa s[52:53], v12, v18 src0_sel:BYTE_0 src1_sel:DWORD
	s_waitcnt vmcnt(2)
	v_cmp_lt_u16_e64 s[0:1], s59, v15
	s_xor_b64 s[0:1], s[8:9], s[0:1]
	v_cmp_ne_u16_sdwa s[20:21], v2, v18 src0_sel:BYTE_0 src1_sel:DWORD
	v_cmp_ne_u16_sdwa s[34:35], v3, v18 src0_sel:BYTE_0 src1_sel:DWORD
	;; [unrolled: 1-line block ×5, first 2 shown]
	s_xor_b64 s[14:15], vcc, s[14:15]
	s_xor_b64 s[36:37], s[36:37], s[52:53]
	s_waitcnt vmcnt(1)
	v_cmp_ne_u16_sdwa s[52:53], v16, v18 src0_sel:BYTE_0 src1_sel:DWORD
	s_xor_b64 s[0:1], s[30:31], s[0:1]
	v_cmp_lt_u16_e64 s[2:3], s59, v4
	v_cmp_lt_u16_e64 s[18:19], s59, v12
	v_cmp_ne_u16_sdwa s[54:55], v13, v18 src0_sel:BYTE_0 src1_sel:DWORD
	s_xor_b64 s[48:49], s[20:21], s[48:49]
	v_cmp_lt_u16_e64 s[20:21], s59, v13
	s_xor_b64 s[34:35], s[34:35], s[50:51]
	s_xor_b64 s[14:15], s[30:31], s[14:15]
	v_cndmask_b32_e64 v13, 0, 1, s[0:1]
	s_xor_b64 s[0:1], s[44:45], s[52:53]
	v_cmp_lt_u16_e64 s[10:11], s59, v8
	s_xor_b64 s[18:19], s[2:3], s[18:19]
	v_cmp_lt_u16_e64 s[2:3], s59, v16
	v_cndmask_b32_e64 v3, 0, 1, s[14:15]
	s_xor_b64 s[14:15], s[30:31], s[34:35]
	s_xor_b64 s[0:1], s[30:31], s[0:1]
	v_cmp_ne_u16_sdwa s[38:39], v5, v18 src0_sel:BYTE_0 src1_sel:DWORD
	v_cmp_ne_u16_sdwa s[56:57], v14, v18 src0_sel:BYTE_0 src1_sel:DWORD
	v_cmp_lt_u16_e32 vcc, s59, v14
	v_cndmask_b32_e64 v4, 0, 1, s[14:15]
	s_xor_b64 s[14:15], s[30:31], s[16:17]
	v_cndmask_b32_e64 v14, 0, 1, s[0:1]
	s_xor_b64 s[0:1], s[10:11], s[2:3]
	v_cmp_lt_u16_e64 s[4:5], s59, v5
	v_cmp_lt_u16_e64 s[6:7], s59, v6
	v_cmp_ne_u16_sdwa s[46:47], v9, v18 src0_sel:BYTE_0 src1_sel:DWORD
	s_xor_b64 s[38:39], s[38:39], s[54:55]
	s_waitcnt vmcnt(0)
	v_cmp_ne_u16_sdwa s[54:55], v17, v18 src0_sel:BYTE_0 src1_sel:DWORD
	v_cndmask_b32_e64 v5, 0, 1, s[14:15]
	s_xor_b64 s[14:15], s[30:31], s[36:37]
	s_xor_b64 s[0:1], s[30:31], s[0:1]
	v_cmp_ne_u16_sdwa s[40:41], v6, v18 src0_sel:BYTE_0 src1_sel:DWORD
	v_cmp_ne_u16_sdwa s[50:51], v15, v18 src0_sel:BYTE_0 src1_sel:DWORD
	s_xor_b64 s[6:7], s[6:7], vcc
	v_cndmask_b32_e64 v6, 0, 1, s[14:15]
	s_xor_b64 s[14:15], s[30:31], s[18:19]
	v_cndmask_b32_e64 v15, 0, 1, s[0:1]
	s_xor_b64 s[0:1], s[46:47], s[54:55]
	v_cmp_ne_u16_sdwa s[42:43], v7, v18 src0_sel:BYTE_0 src1_sel:DWORD
	v_cmp_lt_u16_e64 s[12:13], s59, v9
	s_xor_b64 s[20:21], s[4:5], s[20:21]
	v_cmp_lt_u16_e64 s[4:5], s59, v17
	v_cndmask_b32_e64 v7, 0, 1, s[14:15]
	s_xor_b64 s[14:15], s[30:31], s[38:39]
	s_xor_b64 s[6:7], s[30:31], s[6:7]
	;; [unrolled: 1-line block ×4, first 2 shown]
	v_cndmask_b32_e64 v8, 0, 1, s[14:15]
	s_xor_b64 s[14:15], s[30:31], s[20:21]
	v_cndmask_b32_e64 v11, 0, 1, s[6:7]
	s_xor_b64 s[6:7], s[42:43], s[50:51]
	;; [unrolled: 2-line block ×3, first 2 shown]
	s_xor_b64 s[48:49], s[30:31], s[48:49]
	v_cndmask_b32_e64 v9, 0, 1, s[14:15]
	s_xor_b64 s[14:15], s[30:31], s[40:41]
	s_xor_b64 s[6:7], s[30:31], s[6:7]
	;; [unrolled: 1-line block ×3, first 2 shown]
	v_cndmask_b32_e64 v2, 0, 1, s[48:49]
	v_cndmask_b32_e64 v17, 0, 1, s[0:1]
	v_lshlrev_b16_e32 v3, 8, v3
	s_add_u32 s0, s24, s33
	v_cndmask_b32_e64 v10, 0, 1, s[14:15]
	v_cndmask_b32_e64 v12, 0, 1, s[6:7]
	v_lshlrev_b16_e32 v17, 8, v17
	v_lshlrev_b16_e32 v15, 8, v15
	;; [unrolled: 1-line block ×7, first 2 shown]
	v_or_b32_e32 v2, v2, v3
	s_addc_u32 s1, s25, s58
	v_or_b32_e32 v16, v16, v17
	v_or_b32_e32 v14, v14, v15
	;; [unrolled: 1-line block ×7, first 2 shown]
	global_store_short v1, v2, s[0:1]
	global_store_short v1, v4, s[0:1] offset:512
	global_store_short v1, v6, s[0:1] offset:1024
	;; [unrolled: 1-line block ×7, first 2 shown]
	s_mov_b64 s[0:1], 0
.LBB211_2:
	s_andn2_b64 vcc, exec, s[0:1]
	s_cbranch_vccnz .LBB211_52
; %bb.3:
	v_cmp_gt_i32_e32 vcc, s22, v0
	s_mov_b64 s[4:5], 0
	v_or_b32_e32 v1, s33, v0
	s_mov_b64 s[6:7], 0
	v_mov_b32_e32 v2, v0
	s_and_saveexec_b64 s[8:9], vcc
	s_cbranch_execz .LBB211_5
; %bb.4:
	global_load_ubyte v2, v1, s[26:27]
	global_load_ubyte v3, v1, s[28:29]
	s_waitcnt vmcnt(1)
	v_cmp_ne_u16_e64 s[0:1], 0, v2
	s_waitcnt vmcnt(0)
	v_cmp_ne_u16_e64 s[2:3], 0, v3
	s_xor_b64 s[0:1], s[0:1], s[2:3]
	v_or_b32_e32 v2, 0x100, v0
	s_and_b64 s[6:7], s[0:1], exec
.LBB211_5:
	s_or_b64 exec, exec, s[8:9]
	v_cmp_gt_i32_e64 s[0:1], s22, v2
	s_and_saveexec_b64 s[8:9], s[0:1]
	s_cbranch_execz .LBB211_7
; %bb.6:
	v_add_u32_e32 v3, s33, v2
	global_load_ubyte v4, v3, s[26:27]
	global_load_ubyte v5, v3, s[28:29]
	v_add_u32_e32 v2, 0x100, v2
	s_waitcnt vmcnt(1)
	v_cmp_ne_u16_e64 s[0:1], 0, v4
	s_waitcnt vmcnt(0)
	v_cmp_ne_u16_e64 s[2:3], 0, v5
	s_xor_b64 s[0:1], s[0:1], s[2:3]
	s_and_b64 s[4:5], s[0:1], exec
.LBB211_7:
	s_or_b64 exec, exec, s[8:9]
	v_cmp_gt_i32_e64 s[0:1], s22, v2
	s_mov_b64 s[8:9], 0
	s_mov_b64 s[10:11], 0
	s_and_saveexec_b64 s[12:13], s[0:1]
	s_cbranch_execz .LBB211_9
; %bb.8:
	v_add_u32_e32 v3, s33, v2
	global_load_ubyte v4, v3, s[26:27]
	global_load_ubyte v5, v3, s[28:29]
	v_add_u32_e32 v2, 0x100, v2
	s_waitcnt vmcnt(1)
	v_cmp_ne_u16_e64 s[0:1], 0, v4
	s_waitcnt vmcnt(0)
	v_cmp_ne_u16_e64 s[2:3], 0, v5
	s_xor_b64 s[0:1], s[0:1], s[2:3]
	s_and_b64 s[10:11], s[0:1], exec
.LBB211_9:
	s_or_b64 exec, exec, s[12:13]
	v_cmp_gt_i32_e64 s[0:1], s22, v2
	s_and_saveexec_b64 s[12:13], s[0:1]
	s_cbranch_execz .LBB211_11
; %bb.10:
	v_add_u32_e32 v3, s33, v2
	global_load_ubyte v4, v3, s[26:27]
	global_load_ubyte v5, v3, s[28:29]
	v_add_u32_e32 v2, 0x100, v2
	s_waitcnt vmcnt(1)
	v_cmp_ne_u16_e64 s[0:1], 0, v4
	s_waitcnt vmcnt(0)
	v_cmp_ne_u16_e64 s[2:3], 0, v5
	s_xor_b64 s[0:1], s[0:1], s[2:3]
	s_and_b64 s[8:9], s[0:1], exec
.LBB211_11:
	s_or_b64 exec, exec, s[12:13]
	v_cmp_gt_i32_e64 s[0:1], s22, v2
	s_mov_b64 s[12:13], 0
	s_mov_b64 s[14:15], 0
	s_and_saveexec_b64 s[16:17], s[0:1]
	s_cbranch_execz .LBB211_13
; %bb.12:
	v_add_u32_e32 v3, s33, v2
	global_load_ubyte v4, v3, s[26:27]
	global_load_ubyte v5, v3, s[28:29]
	v_add_u32_e32 v2, 0x100, v2
	s_waitcnt vmcnt(1)
	v_cmp_ne_u16_e64 s[0:1], 0, v4
	s_waitcnt vmcnt(0)
	v_cmp_ne_u16_e64 s[2:3], 0, v5
	s_xor_b64 s[0:1], s[0:1], s[2:3]
	s_and_b64 s[14:15], s[0:1], exec
.LBB211_13:
	;; [unrolled: 34-line block ×7, first 2 shown]
	s_or_b64 exec, exec, s[46:47]
	v_cmp_gt_i32_e64 s[0:1], s22, v2
	s_and_saveexec_b64 s[46:47], s[0:1]
	s_cbranch_execz .LBB211_35
; %bb.34:
	v_add_u32_e32 v2, s33, v2
	global_load_ubyte v3, v2, s[26:27]
	global_load_ubyte v4, v2, s[28:29]
	s_waitcnt vmcnt(1)
	v_cmp_ne_u16_e64 s[0:1], 0, v3
	s_waitcnt vmcnt(0)
	v_cmp_ne_u16_e64 s[2:3], 0, v4
	s_xor_b64 s[0:1], s[0:1], s[2:3]
	s_and_b64 s[42:43], s[0:1], exec
.LBB211_35:
	s_or_b64 exec, exec, s[46:47]
	s_cmp_eq_u32 s23, 0
	s_cselect_b64 s[2:3], -1, 0
	s_xor_b64 s[0:1], s[2:3], s[6:7]
	v_cndmask_b32_e64 v2, 0, 1, s[0:1]
	s_xor_b64 s[0:1], s[2:3], s[4:5]
	v_cndmask_b32_e64 v3, 0, 1, s[0:1]
	v_cndmask_b32_e32 v2, 0, v2, vcc
	v_lshlrev_b16_e32 v3, 8, v3
	v_or_b32_e32 v6, 0x100, v0
	v_or_b32_e32 v3, v2, v3
	v_and_b32_e32 v3, 0xffff, v3
	v_cmp_gt_i32_e64 s[0:1], s22, v6
	v_cndmask_b32_e64 v2, v2, v3, s[0:1]
	s_xor_b64 s[0:1], s[2:3], s[10:11]
	v_or_b32_e32 v3, 0x200, v0
	v_cndmask_b32_e64 v4, 0, 1, s[0:1]
	v_lshl_or_b32 v4, v4, 16, v2
	v_cmp_gt_i32_e64 s[0:1], s22, v3
	v_cndmask_b32_e64 v2, v2, v4, s[0:1]
	s_xor_b64 s[0:1], s[2:3], s[8:9]
	s_movk_i32 s5, 0xff
	v_cndmask_b32_e64 v5, 0, 1, s[0:1]
	v_and_b32_sdwa v3, v2, s5 dst_sel:DWORD dst_unused:UNUSED_PAD src0_sel:WORD_1 src1_sel:DWORD
	v_lshlrev_b16_e32 v5, 8, v5
	s_mov_b32 s4, 0xffff
	v_or_b32_e32 v4, 0x300, v0
	v_or_b32_sdwa v3, v3, v5 dst_sel:WORD_1 dst_unused:UNUSED_PAD src0_sel:DWORD src1_sel:DWORD
	v_and_or_b32 v3, v2, s4, v3
	v_cmp_gt_i32_e64 s[0:1], s22, v4
	v_cndmask_b32_e64 v5, v2, v3, s[0:1]
	s_xor_b64 s[0:1], s[2:3], s[14:15]
	v_cndmask_b32_e64 v2, 0, 1, s[0:1]
	v_or_b32_e32 v3, 0x400, v0
	v_and_b32_e32 v2, 0xffff, v2
	v_cmp_gt_i32_e64 s[0:1], s22, v3
	v_cndmask_b32_e64 v2, 0, v2, s[0:1]
	s_xor_b64 s[0:1], s[2:3], s[12:13]
	v_cndmask_b32_e64 v4, 0, 1, s[0:1]
	v_lshlrev_b16_e32 v4, 8, v4
	v_or_b32_e32 v3, 0x500, v0
	v_or_b32_sdwa v4, v2, v4 dst_sel:DWORD dst_unused:UNUSED_PAD src0_sel:BYTE_0 src1_sel:DWORD
	v_and_b32_e32 v4, 0xffff, v4
	v_cmp_gt_i32_e64 s[0:1], s22, v3
	s_movk_i32 s6, 0xff00
	v_cndmask_b32_e64 v2, v2, v4, s[0:1]
	s_xor_b64 s[0:1], s[2:3], s[18:19]
	v_and_b32_sdwa v3, v2, s6 dst_sel:DWORD dst_unused:UNUSED_PAD src0_sel:WORD_1 src1_sel:DWORD
	v_cndmask_b32_e64 v4, 0, 1, s[0:1]
	v_or_b32_sdwa v3, v4, v3 dst_sel:WORD_1 dst_unused:UNUSED_PAD src0_sel:DWORD src1_sel:DWORD
	v_or_b32_e32 v4, 0x600, v0
	v_and_or_b32 v3, v2, s4, v3
	v_cmp_gt_i32_e64 s[0:1], s22, v4
	v_cndmask_b32_e64 v2, v2, v3, s[0:1]
	s_xor_b64 s[0:1], s[2:3], s[16:17]
	v_cndmask_b32_e64 v7, 0, 1, s[0:1]
	v_and_b32_sdwa v3, v2, s5 dst_sel:DWORD dst_unused:UNUSED_PAD src0_sel:WORD_1 src1_sel:DWORD
	v_lshlrev_b16_e32 v7, 8, v7
	v_or_b32_e32 v4, 0x700, v0
	v_or_b32_sdwa v3, v3, v7 dst_sel:WORD_1 dst_unused:UNUSED_PAD src0_sel:DWORD src1_sel:DWORD
	v_and_or_b32 v3, v2, s4, v3
	v_cmp_gt_i32_e64 s[0:1], s22, v4
	v_cndmask_b32_e64 v4, v2, v3, s[0:1]
	v_or_b32_e32 v2, 0x800, v0
	s_xor_b64 s[0:1], s[2:3], s[30:31]
	v_cndmask_b32_e64 v3, 0, 1, s[0:1]
	v_cmp_gt_i32_e64 s[0:1], s22, v2
	v_cndmask_b32_e64 v2, 0, v3, s[0:1]
	s_xor_b64 s[0:1], s[2:3], s[20:21]
	v_cndmask_b32_e64 v7, 0, 1, s[0:1]
	v_lshlrev_b16_e32 v7, 8, v7
	v_or_b32_e32 v3, 0x900, v0
	v_or_b32_e32 v7, v2, v7
	v_and_b32_e32 v7, 0xffff, v7
	v_cmp_gt_i32_e64 s[0:1], s22, v3
	v_cndmask_b32_e64 v2, v2, v7, s[0:1]
	s_xor_b64 s[0:1], s[2:3], s[36:37]
	v_cndmask_b32_e64 v7, 0, 1, s[0:1]
	v_or_b32_e32 v3, 0xa00, v0
	v_lshlrev_b32_e32 v7, 16, v7
	s_movk_i32 s0, 0x1ff
	v_and_or_b32 v7, v2, s0, v7
	v_cmp_gt_i32_e64 s[0:1], s22, v3
	v_cndmask_b32_e64 v2, v2, v7, s[0:1]
	s_xor_b64 s[0:1], s[2:3], s[34:35]
	v_cndmask_b32_e64 v8, 0, 1, s[0:1]
	v_and_b32_sdwa v3, v2, s5 dst_sel:DWORD dst_unused:UNUSED_PAD src0_sel:WORD_1 src1_sel:DWORD
	v_lshlrev_b16_e32 v8, 8, v8
	v_or_b32_e32 v7, 0xb00, v0
	v_or_b32_sdwa v3, v3, v8 dst_sel:WORD_1 dst_unused:UNUSED_PAD src0_sel:DWORD src1_sel:DWORD
	v_and_or_b32 v3, v2, s4, v3
	v_cmp_gt_i32_e64 s[0:1], s22, v7
	v_cndmask_b32_e64 v3, v2, v3, s[0:1]
	v_or_b32_e32 v2, 0xc00, v0
	s_xor_b64 s[0:1], s[2:3], s[40:41]
	v_cndmask_b32_e64 v7, 0, 1, s[0:1]
	v_cmp_gt_i32_e64 s[0:1], s22, v2
	v_cndmask_b32_e64 v2, 0, v7, s[0:1]
	s_xor_b64 s[0:1], s[2:3], s[38:39]
	v_cndmask_b32_e64 v8, 0, 1, s[0:1]
	v_lshlrev_b16_e32 v8, 8, v8
	v_or_b32_e32 v7, 0xd00, v0
	v_or_b32_sdwa v8, v2, v8 dst_sel:DWORD dst_unused:UNUSED_PAD src0_sel:BYTE_0 src1_sel:DWORD
	v_and_b32_e32 v8, 0xffff, v8
	v_cmp_gt_i32_e64 s[0:1], s22, v7
	v_cndmask_b32_e64 v2, v2, v8, s[0:1]
	s_xor_b64 s[0:1], s[2:3], s[44:45]
	v_and_b32_sdwa v7, v2, s6 dst_sel:DWORD dst_unused:UNUSED_PAD src0_sel:WORD_1 src1_sel:DWORD
	v_cndmask_b32_e64 v8, 0, 1, s[0:1]
	v_or_b32_sdwa v7, v8, v7 dst_sel:WORD_1 dst_unused:UNUSED_PAD src0_sel:DWORD src1_sel:DWORD
	v_or_b32_e32 v8, 0xe00, v0
	v_and_or_b32 v7, v2, s4, v7
	v_cmp_gt_i32_e64 s[0:1], s22, v8
	v_cndmask_b32_e64 v2, v2, v7, s[0:1]
	s_xor_b64 s[0:1], s[2:3], s[42:43]
	v_cndmask_b32_e64 v9, 0, 1, s[0:1]
	v_and_b32_sdwa v7, v2, s5 dst_sel:DWORD dst_unused:UNUSED_PAD src0_sel:WORD_1 src1_sel:DWORD
	v_lshlrev_b16_e32 v9, 8, v9
	v_or_b32_e32 v8, 0xf00, v0
	v_or_b32_sdwa v7, v7, v9 dst_sel:WORD_1 dst_unused:UNUSED_PAD src0_sel:DWORD src1_sel:DWORD
	v_and_or_b32 v7, v2, s4, v7
	v_cmp_gt_i32_e64 s[0:1], s22, v8
	v_cndmask_b32_e64 v2, v2, v7, s[0:1]
	s_and_saveexec_b64 s[0:1], vcc
	s_cbranch_execnz .LBB211_53
; %bb.36:
	s_or_b64 exec, exec, s[0:1]
	v_cmp_gt_i32_e32 vcc, s22, v0
	s_and_saveexec_b64 s[0:1], vcc
	s_cbranch_execnz .LBB211_54
.LBB211_37:
	s_or_b64 exec, exec, s[0:1]
	v_cmp_gt_i32_e32 vcc, s22, v0
	s_and_saveexec_b64 s[0:1], vcc
	s_cbranch_execnz .LBB211_55
.LBB211_38:
	s_or_b64 exec, exec, s[0:1]
	v_cmp_gt_i32_e32 vcc, s22, v0
	s_and_saveexec_b64 s[0:1], vcc
	s_cbranch_execnz .LBB211_56
.LBB211_39:
	s_or_b64 exec, exec, s[0:1]
	v_cmp_gt_i32_e32 vcc, s22, v0
	s_and_saveexec_b64 s[0:1], vcc
	s_cbranch_execnz .LBB211_57
.LBB211_40:
	s_or_b64 exec, exec, s[0:1]
	v_cmp_gt_i32_e32 vcc, s22, v0
	s_and_saveexec_b64 s[0:1], vcc
	s_cbranch_execnz .LBB211_58
.LBB211_41:
	s_or_b64 exec, exec, s[0:1]
	v_cmp_gt_i32_e32 vcc, s22, v0
	s_and_saveexec_b64 s[0:1], vcc
	s_cbranch_execnz .LBB211_59
.LBB211_42:
	s_or_b64 exec, exec, s[0:1]
	v_cmp_gt_i32_e32 vcc, s22, v0
	s_and_saveexec_b64 s[0:1], vcc
	s_cbranch_execnz .LBB211_60
.LBB211_43:
	s_or_b64 exec, exec, s[0:1]
	v_cmp_gt_i32_e32 vcc, s22, v0
	s_and_saveexec_b64 s[0:1], vcc
	s_cbranch_execnz .LBB211_61
.LBB211_44:
	s_or_b64 exec, exec, s[0:1]
	v_cmp_gt_i32_e32 vcc, s22, v0
	s_and_saveexec_b64 s[0:1], vcc
	s_cbranch_execnz .LBB211_62
.LBB211_45:
	s_or_b64 exec, exec, s[0:1]
	v_cmp_gt_i32_e32 vcc, s22, v0
	s_and_saveexec_b64 s[0:1], vcc
	s_cbranch_execnz .LBB211_63
.LBB211_46:
	s_or_b64 exec, exec, s[0:1]
	v_cmp_gt_i32_e32 vcc, s22, v0
	s_and_saveexec_b64 s[0:1], vcc
	s_cbranch_execnz .LBB211_64
.LBB211_47:
	s_or_b64 exec, exec, s[0:1]
	v_cmp_gt_i32_e32 vcc, s22, v0
	s_and_saveexec_b64 s[0:1], vcc
	s_cbranch_execnz .LBB211_65
.LBB211_48:
	s_or_b64 exec, exec, s[0:1]
	v_cmp_gt_i32_e32 vcc, s22, v0
	s_and_saveexec_b64 s[0:1], vcc
	s_cbranch_execnz .LBB211_66
.LBB211_49:
	s_or_b64 exec, exec, s[0:1]
	v_cmp_gt_i32_e32 vcc, s22, v0
	s_and_saveexec_b64 s[0:1], vcc
	s_cbranch_execnz .LBB211_67
.LBB211_50:
	s_or_b64 exec, exec, s[0:1]
	v_cmp_gt_i32_e32 vcc, s22, v0
	s_and_saveexec_b64 s[0:1], vcc
	s_cbranch_execz .LBB211_52
.LBB211_51:
	v_lshrrev_b32_e32 v1, 24, v2
	v_add_u32_e32 v0, s33, v0
	global_store_byte v0, v1, s[24:25]
.LBB211_52:
	s_endpgm
.LBB211_53:
	v_mov_b32_e32 v0, v6
	global_store_byte v1, v5, s[24:25]
	s_or_b64 exec, exec, s[0:1]
	v_cmp_gt_i32_e32 vcc, s22, v0
	s_and_saveexec_b64 s[0:1], vcc
	s_cbranch_execz .LBB211_37
.LBB211_54:
	v_lshrrev_b32_e32 v1, 8, v5
	v_add_u32_e32 v6, s33, v0
	v_add_u32_e32 v0, 0x100, v0
	global_store_byte v6, v1, s[24:25]
	s_or_b64 exec, exec, s[0:1]
	v_cmp_gt_i32_e32 vcc, s22, v0
	s_and_saveexec_b64 s[0:1], vcc
	s_cbranch_execz .LBB211_38
.LBB211_55:
	v_add_u32_e32 v1, s33, v0
	v_add_u32_e32 v0, 0x100, v0
	global_store_byte_d16_hi v1, v5, s[24:25]
	s_or_b64 exec, exec, s[0:1]
	v_cmp_gt_i32_e32 vcc, s22, v0
	s_and_saveexec_b64 s[0:1], vcc
	s_cbranch_execz .LBB211_39
.LBB211_56:
	v_lshrrev_b32_e32 v1, 24, v5
	v_add_u32_e32 v5, s33, v0
	v_add_u32_e32 v0, 0x100, v0
	global_store_byte v5, v1, s[24:25]
	s_or_b64 exec, exec, s[0:1]
	v_cmp_gt_i32_e32 vcc, s22, v0
	s_and_saveexec_b64 s[0:1], vcc
	s_cbranch_execz .LBB211_40
.LBB211_57:
	v_add_u32_e32 v1, s33, v0
	v_add_u32_e32 v0, 0x100, v0
	global_store_byte v1, v4, s[24:25]
	s_or_b64 exec, exec, s[0:1]
	v_cmp_gt_i32_e32 vcc, s22, v0
	s_and_saveexec_b64 s[0:1], vcc
	s_cbranch_execz .LBB211_41
.LBB211_58:
	v_lshrrev_b32_e32 v1, 8, v4
	v_add_u32_e32 v5, s33, v0
	v_add_u32_e32 v0, 0x100, v0
	global_store_byte v5, v1, s[24:25]
	s_or_b64 exec, exec, s[0:1]
	v_cmp_gt_i32_e32 vcc, s22, v0
	s_and_saveexec_b64 s[0:1], vcc
	s_cbranch_execz .LBB211_42
.LBB211_59:
	v_add_u32_e32 v1, s33, v0
	v_add_u32_e32 v0, 0x100, v0
	global_store_byte_d16_hi v1, v4, s[24:25]
	s_or_b64 exec, exec, s[0:1]
	v_cmp_gt_i32_e32 vcc, s22, v0
	s_and_saveexec_b64 s[0:1], vcc
	s_cbranch_execz .LBB211_43
.LBB211_60:
	v_lshrrev_b32_e32 v1, 24, v4
	v_add_u32_e32 v4, s33, v0
	v_add_u32_e32 v0, 0x100, v0
	global_store_byte v4, v1, s[24:25]
	s_or_b64 exec, exec, s[0:1]
	v_cmp_gt_i32_e32 vcc, s22, v0
	s_and_saveexec_b64 s[0:1], vcc
	s_cbranch_execz .LBB211_44
.LBB211_61:
	v_add_u32_e32 v1, s33, v0
	v_add_u32_e32 v0, 0x100, v0
	global_store_byte v1, v3, s[24:25]
	s_or_b64 exec, exec, s[0:1]
	v_cmp_gt_i32_e32 vcc, s22, v0
	s_and_saveexec_b64 s[0:1], vcc
	s_cbranch_execz .LBB211_45
.LBB211_62:
	v_lshrrev_b32_e32 v1, 8, v3
	v_add_u32_e32 v4, s33, v0
	v_add_u32_e32 v0, 0x100, v0
	global_store_byte v4, v1, s[24:25]
	s_or_b64 exec, exec, s[0:1]
	v_cmp_gt_i32_e32 vcc, s22, v0
	s_and_saveexec_b64 s[0:1], vcc
	s_cbranch_execz .LBB211_46
.LBB211_63:
	v_add_u32_e32 v1, s33, v0
	v_add_u32_e32 v0, 0x100, v0
	global_store_byte_d16_hi v1, v3, s[24:25]
	s_or_b64 exec, exec, s[0:1]
	v_cmp_gt_i32_e32 vcc, s22, v0
	s_and_saveexec_b64 s[0:1], vcc
	s_cbranch_execz .LBB211_47
.LBB211_64:
	v_lshrrev_b32_e32 v1, 24, v3
	v_add_u32_e32 v3, s33, v0
	v_add_u32_e32 v0, 0x100, v0
	global_store_byte v3, v1, s[24:25]
	s_or_b64 exec, exec, s[0:1]
	v_cmp_gt_i32_e32 vcc, s22, v0
	s_and_saveexec_b64 s[0:1], vcc
	s_cbranch_execz .LBB211_48
.LBB211_65:
	v_add_u32_e32 v1, s33, v0
	v_add_u32_e32 v0, 0x100, v0
	global_store_byte v1, v2, s[24:25]
	s_or_b64 exec, exec, s[0:1]
	v_cmp_gt_i32_e32 vcc, s22, v0
	s_and_saveexec_b64 s[0:1], vcc
	s_cbranch_execz .LBB211_49
.LBB211_66:
	v_lshrrev_b32_e32 v1, 8, v2
	v_add_u32_e32 v3, s33, v0
	v_add_u32_e32 v0, 0x100, v0
	global_store_byte v3, v1, s[24:25]
	s_or_b64 exec, exec, s[0:1]
	v_cmp_gt_i32_e32 vcc, s22, v0
	s_and_saveexec_b64 s[0:1], vcc
	s_cbranch_execz .LBB211_50
.LBB211_67:
	v_add_u32_e32 v1, s33, v0
	v_add_u32_e32 v0, 0x100, v0
	global_store_byte_d16_hi v1, v2, s[24:25]
	s_or_b64 exec, exec, s[0:1]
	v_cmp_gt_i32_e32 vcc, s22, v0
	s_and_saveexec_b64 s[0:1], vcc
	s_cbranch_execnz .LBB211_51
	s_branch .LBB211_52
	.section	.rodata,"a",@progbits
	.p2align	6, 0x0
	.amdhsa_kernel _ZN2at6native29vectorized_elementwise_kernelILi2ENS0_13BinaryFunctorIbbbNS0_12_GLOBAL__N_116CompareEqFunctorIbEEEESt5arrayIPcLm3EEEEviT0_T1_
		.amdhsa_group_segment_fixed_size 0
		.amdhsa_private_segment_fixed_size 0
		.amdhsa_kernarg_size 32
		.amdhsa_user_sgpr_count 6
		.amdhsa_user_sgpr_private_segment_buffer 1
		.amdhsa_user_sgpr_dispatch_ptr 0
		.amdhsa_user_sgpr_queue_ptr 0
		.amdhsa_user_sgpr_kernarg_segment_ptr 1
		.amdhsa_user_sgpr_dispatch_id 0
		.amdhsa_user_sgpr_flat_scratch_init 0
		.amdhsa_user_sgpr_private_segment_size 0
		.amdhsa_uses_dynamic_stack 0
		.amdhsa_system_sgpr_private_segment_wavefront_offset 0
		.amdhsa_system_sgpr_workgroup_id_x 1
		.amdhsa_system_sgpr_workgroup_id_y 0
		.amdhsa_system_sgpr_workgroup_id_z 0
		.amdhsa_system_sgpr_workgroup_info 0
		.amdhsa_system_vgpr_workitem_id 0
		.amdhsa_next_free_vgpr 19
		.amdhsa_next_free_sgpr 60
		.amdhsa_reserve_vcc 1
		.amdhsa_reserve_flat_scratch 0
		.amdhsa_float_round_mode_32 0
		.amdhsa_float_round_mode_16_64 0
		.amdhsa_float_denorm_mode_32 3
		.amdhsa_float_denorm_mode_16_64 3
		.amdhsa_dx10_clamp 1
		.amdhsa_ieee_mode 1
		.amdhsa_fp16_overflow 0
		.amdhsa_exception_fp_ieee_invalid_op 0
		.amdhsa_exception_fp_denorm_src 0
		.amdhsa_exception_fp_ieee_div_zero 0
		.amdhsa_exception_fp_ieee_overflow 0
		.amdhsa_exception_fp_ieee_underflow 0
		.amdhsa_exception_fp_ieee_inexact 0
		.amdhsa_exception_int_div_zero 0
	.end_amdhsa_kernel
	.section	.text._ZN2at6native29vectorized_elementwise_kernelILi2ENS0_13BinaryFunctorIbbbNS0_12_GLOBAL__N_116CompareEqFunctorIbEEEESt5arrayIPcLm3EEEEviT0_T1_,"axG",@progbits,_ZN2at6native29vectorized_elementwise_kernelILi2ENS0_13BinaryFunctorIbbbNS0_12_GLOBAL__N_116CompareEqFunctorIbEEEESt5arrayIPcLm3EEEEviT0_T1_,comdat
.Lfunc_end211:
	.size	_ZN2at6native29vectorized_elementwise_kernelILi2ENS0_13BinaryFunctorIbbbNS0_12_GLOBAL__N_116CompareEqFunctorIbEEEESt5arrayIPcLm3EEEEviT0_T1_, .Lfunc_end211-_ZN2at6native29vectorized_elementwise_kernelILi2ENS0_13BinaryFunctorIbbbNS0_12_GLOBAL__N_116CompareEqFunctorIbEEEESt5arrayIPcLm3EEEEviT0_T1_
                                        ; -- End function
	.set _ZN2at6native29vectorized_elementwise_kernelILi2ENS0_13BinaryFunctorIbbbNS0_12_GLOBAL__N_116CompareEqFunctorIbEEEESt5arrayIPcLm3EEEEviT0_T1_.num_vgpr, 19
	.set _ZN2at6native29vectorized_elementwise_kernelILi2ENS0_13BinaryFunctorIbbbNS0_12_GLOBAL__N_116CompareEqFunctorIbEEEESt5arrayIPcLm3EEEEviT0_T1_.num_agpr, 0
	.set _ZN2at6native29vectorized_elementwise_kernelILi2ENS0_13BinaryFunctorIbbbNS0_12_GLOBAL__N_116CompareEqFunctorIbEEEESt5arrayIPcLm3EEEEviT0_T1_.numbered_sgpr, 60
	.set _ZN2at6native29vectorized_elementwise_kernelILi2ENS0_13BinaryFunctorIbbbNS0_12_GLOBAL__N_116CompareEqFunctorIbEEEESt5arrayIPcLm3EEEEviT0_T1_.num_named_barrier, 0
	.set _ZN2at6native29vectorized_elementwise_kernelILi2ENS0_13BinaryFunctorIbbbNS0_12_GLOBAL__N_116CompareEqFunctorIbEEEESt5arrayIPcLm3EEEEviT0_T1_.private_seg_size, 0
	.set _ZN2at6native29vectorized_elementwise_kernelILi2ENS0_13BinaryFunctorIbbbNS0_12_GLOBAL__N_116CompareEqFunctorIbEEEESt5arrayIPcLm3EEEEviT0_T1_.uses_vcc, 1
	.set _ZN2at6native29vectorized_elementwise_kernelILi2ENS0_13BinaryFunctorIbbbNS0_12_GLOBAL__N_116CompareEqFunctorIbEEEESt5arrayIPcLm3EEEEviT0_T1_.uses_flat_scratch, 0
	.set _ZN2at6native29vectorized_elementwise_kernelILi2ENS0_13BinaryFunctorIbbbNS0_12_GLOBAL__N_116CompareEqFunctorIbEEEESt5arrayIPcLm3EEEEviT0_T1_.has_dyn_sized_stack, 0
	.set _ZN2at6native29vectorized_elementwise_kernelILi2ENS0_13BinaryFunctorIbbbNS0_12_GLOBAL__N_116CompareEqFunctorIbEEEESt5arrayIPcLm3EEEEviT0_T1_.has_recursion, 0
	.set _ZN2at6native29vectorized_elementwise_kernelILi2ENS0_13BinaryFunctorIbbbNS0_12_GLOBAL__N_116CompareEqFunctorIbEEEESt5arrayIPcLm3EEEEviT0_T1_.has_indirect_call, 0
	.section	.AMDGPU.csdata,"",@progbits
; Kernel info:
; codeLenInByte = 3916
; TotalNumSgprs: 64
; NumVgprs: 19
; ScratchSize: 0
; MemoryBound: 0
; FloatMode: 240
; IeeeMode: 1
; LDSByteSize: 0 bytes/workgroup (compile time only)
; SGPRBlocks: 7
; VGPRBlocks: 4
; NumSGPRsForWavesPerEU: 64
; NumVGPRsForWavesPerEU: 19
; Occupancy: 10
; WaveLimiterHint : 1
; COMPUTE_PGM_RSRC2:SCRATCH_EN: 0
; COMPUTE_PGM_RSRC2:USER_SGPR: 6
; COMPUTE_PGM_RSRC2:TRAP_HANDLER: 0
; COMPUTE_PGM_RSRC2:TGID_X_EN: 1
; COMPUTE_PGM_RSRC2:TGID_Y_EN: 0
; COMPUTE_PGM_RSRC2:TGID_Z_EN: 0
; COMPUTE_PGM_RSRC2:TIDIG_COMP_CNT: 0
	.section	.text._ZN2at6native27unrolled_elementwise_kernelINS0_13BinaryFunctorIbbbNS0_12_GLOBAL__N_116CompareEqFunctorIbEEEESt5arrayIPcLm3EELi4E23TrivialOffsetCalculatorILi2EjESA_ILi1EjENS0_6memory15LoadWithoutCastENSD_16StoreWithoutCastEEEviT_T0_T2_T3_T4_T5_,"axG",@progbits,_ZN2at6native27unrolled_elementwise_kernelINS0_13BinaryFunctorIbbbNS0_12_GLOBAL__N_116CompareEqFunctorIbEEEESt5arrayIPcLm3EELi4E23TrivialOffsetCalculatorILi2EjESA_ILi1EjENS0_6memory15LoadWithoutCastENSD_16StoreWithoutCastEEEviT_T0_T2_T3_T4_T5_,comdat
	.globl	_ZN2at6native27unrolled_elementwise_kernelINS0_13BinaryFunctorIbbbNS0_12_GLOBAL__N_116CompareEqFunctorIbEEEESt5arrayIPcLm3EELi4E23TrivialOffsetCalculatorILi2EjESA_ILi1EjENS0_6memory15LoadWithoutCastENSD_16StoreWithoutCastEEEviT_T0_T2_T3_T4_T5_ ; -- Begin function _ZN2at6native27unrolled_elementwise_kernelINS0_13BinaryFunctorIbbbNS0_12_GLOBAL__N_116CompareEqFunctorIbEEEESt5arrayIPcLm3EELi4E23TrivialOffsetCalculatorILi2EjESA_ILi1EjENS0_6memory15LoadWithoutCastENSD_16StoreWithoutCastEEEviT_T0_T2_T3_T4_T5_
	.p2align	8
	.type	_ZN2at6native27unrolled_elementwise_kernelINS0_13BinaryFunctorIbbbNS0_12_GLOBAL__N_116CompareEqFunctorIbEEEESt5arrayIPcLm3EELi4E23TrivialOffsetCalculatorILi2EjESA_ILi1EjENS0_6memory15LoadWithoutCastENSD_16StoreWithoutCastEEEviT_T0_T2_T3_T4_T5_,@function
_ZN2at6native27unrolled_elementwise_kernelINS0_13BinaryFunctorIbbbNS0_12_GLOBAL__N_116CompareEqFunctorIbEEEESt5arrayIPcLm3EELi4E23TrivialOffsetCalculatorILi2EjESA_ILi1EjENS0_6memory15LoadWithoutCastENSD_16StoreWithoutCastEEEviT_T0_T2_T3_T4_T5_: ; @_ZN2at6native27unrolled_elementwise_kernelINS0_13BinaryFunctorIbbbNS0_12_GLOBAL__N_116CompareEqFunctorIbEEEESt5arrayIPcLm3EELi4E23TrivialOffsetCalculatorILi2EjESA_ILi1EjENS0_6memory15LoadWithoutCastENSD_16StoreWithoutCastEEEviT_T0_T2_T3_T4_T5_
; %bb.0:
	s_load_dwordx2 s[12:13], s[4:5], 0x0
	s_load_dwordx4 s[8:11], s[4:5], 0x8
	s_load_dwordx2 s[14:15], s[4:5], 0x18
	s_lshl_b32 s22, s6, 10
	s_mov_b64 s[4:5], 0
	s_waitcnt lgkmcnt(0)
	s_sub_i32 s12, s12, s22
	v_cmp_gt_i32_e32 vcc, s12, v0
	v_or_b32_e32 v1, s22, v0
	s_mov_b64 s[6:7], 0
	v_mov_b32_e32 v2, v0
	s_and_saveexec_b64 s[16:17], vcc
	s_cbranch_execz .LBB212_2
; %bb.1:
	global_load_ubyte v2, v1, s[10:11]
	global_load_ubyte v3, v1, s[14:15]
	s_waitcnt vmcnt(1)
	v_cmp_ne_u16_e64 s[0:1], 0, v2
	s_waitcnt vmcnt(0)
	v_cmp_ne_u16_e64 s[2:3], 0, v3
	s_xor_b64 s[0:1], s[0:1], s[2:3]
	v_or_b32_e32 v2, 0x100, v0
	s_and_b64 s[6:7], s[0:1], exec
.LBB212_2:
	s_or_b64 exec, exec, s[16:17]
	v_cmp_gt_i32_e64 s[0:1], s12, v2
	s_and_saveexec_b64 s[16:17], s[0:1]
	s_cbranch_execz .LBB212_4
; %bb.3:
	v_add_u32_e32 v3, s22, v2
	global_load_ubyte v4, v3, s[10:11]
	global_load_ubyte v5, v3, s[14:15]
	v_add_u32_e32 v2, 0x100, v2
	s_waitcnt vmcnt(1)
	v_cmp_ne_u16_e64 s[0:1], 0, v4
	s_waitcnt vmcnt(0)
	v_cmp_ne_u16_e64 s[2:3], 0, v5
	s_xor_b64 s[0:1], s[0:1], s[2:3]
	s_and_b64 s[4:5], s[0:1], exec
.LBB212_4:
	s_or_b64 exec, exec, s[16:17]
	v_cmp_gt_i32_e64 s[0:1], s12, v2
	s_mov_b64 s[16:17], 0
	s_mov_b64 s[18:19], 0
	s_and_saveexec_b64 s[20:21], s[0:1]
	s_cbranch_execz .LBB212_6
; %bb.5:
	v_add_u32_e32 v3, s22, v2
	global_load_ubyte v4, v3, s[10:11]
	global_load_ubyte v5, v3, s[14:15]
	v_add_u32_e32 v2, 0x100, v2
	s_waitcnt vmcnt(1)
	v_cmp_ne_u16_e64 s[0:1], 0, v4
	s_waitcnt vmcnt(0)
	v_cmp_ne_u16_e64 s[2:3], 0, v5
	s_xor_b64 s[0:1], s[0:1], s[2:3]
	s_and_b64 s[18:19], s[0:1], exec
.LBB212_6:
	s_or_b64 exec, exec, s[20:21]
	v_cmp_gt_i32_e64 s[0:1], s12, v2
	s_and_saveexec_b64 s[20:21], s[0:1]
	s_cbranch_execz .LBB212_8
; %bb.7:
	v_add_u32_e32 v2, s22, v2
	global_load_ubyte v3, v2, s[10:11]
	global_load_ubyte v4, v2, s[14:15]
	s_waitcnt vmcnt(1)
	v_cmp_ne_u16_e64 s[0:1], 0, v3
	s_waitcnt vmcnt(0)
	v_cmp_ne_u16_e64 s[2:3], 0, v4
	s_xor_b64 s[0:1], s[0:1], s[2:3]
	s_and_b64 s[16:17], s[0:1], exec
.LBB212_8:
	s_or_b64 exec, exec, s[20:21]
	s_cmp_eq_u32 s13, 0
	s_cselect_b64 s[2:3], -1, 0
	s_xor_b64 s[0:1], s[2:3], s[6:7]
	v_cndmask_b32_e64 v2, 0, 1, s[0:1]
	s_xor_b64 s[0:1], s[2:3], s[4:5]
	v_cndmask_b32_e64 v4, 0, 1, s[0:1]
	v_cndmask_b32_e32 v2, 0, v2, vcc
	v_lshlrev_b16_e32 v4, 8, v4
	v_or_b32_e32 v3, 0x100, v0
	v_or_b32_e32 v4, v2, v4
	v_and_b32_e32 v4, 0xffff, v4
	v_cmp_gt_i32_e64 s[0:1], s12, v3
	v_cndmask_b32_e64 v2, v2, v4, s[0:1]
	s_xor_b64 s[0:1], s[2:3], s[18:19]
	v_cndmask_b32_e64 v5, 0, 1, s[0:1]
	v_or_b32_e32 v4, 0x200, v0
	v_lshlrev_b32_e32 v5, 16, v5
	v_or_b32_e32 v5, v2, v5
	v_cmp_gt_i32_e64 s[0:1], s12, v4
	v_cndmask_b32_e64 v2, v2, v5, s[0:1]
	s_movk_i32 s0, 0xff
	v_and_b32_sdwa v4, v2, s0 dst_sel:DWORD dst_unused:UNUSED_PAD src0_sel:WORD_1 src1_sel:DWORD
	s_xor_b64 s[0:1], s[2:3], s[16:17]
	v_cndmask_b32_e64 v6, 0, 1, s[0:1]
	v_lshlrev_b16_e32 v6, 8, v6
	s_mov_b32 s4, 0xffff
	v_or_b32_e32 v5, 0x300, v0
	v_or_b32_sdwa v4, v4, v6 dst_sel:WORD_1 dst_unused:UNUSED_PAD src0_sel:DWORD src1_sel:DWORD
	v_and_or_b32 v4, v2, s4, v4
	v_cmp_gt_i32_e64 s[0:1], s12, v5
	v_cndmask_b32_e64 v2, v2, v4, s[0:1]
	s_and_saveexec_b64 s[0:1], vcc
	s_cbranch_execnz .LBB212_13
; %bb.9:
	s_or_b64 exec, exec, s[0:1]
	v_cmp_gt_i32_e32 vcc, s12, v0
	s_and_saveexec_b64 s[0:1], vcc
	s_cbranch_execnz .LBB212_14
.LBB212_10:
	s_or_b64 exec, exec, s[0:1]
	v_cmp_gt_i32_e32 vcc, s12, v0
	s_and_saveexec_b64 s[0:1], vcc
	s_cbranch_execnz .LBB212_15
.LBB212_11:
	s_or_b64 exec, exec, s[0:1]
	v_cmp_gt_i32_e32 vcc, s12, v0
	s_and_saveexec_b64 s[0:1], vcc
	s_cbranch_execnz .LBB212_16
.LBB212_12:
	s_endpgm
.LBB212_13:
	v_mov_b32_e32 v0, v3
	global_store_byte v1, v2, s[8:9]
	s_or_b64 exec, exec, s[0:1]
	v_cmp_gt_i32_e32 vcc, s12, v0
	s_and_saveexec_b64 s[0:1], vcc
	s_cbranch_execz .LBB212_10
.LBB212_14:
	v_add_u32_e32 v1, 0x100, v0
	v_add_u32_e32 v0, s22, v0
	v_lshrrev_b32_e32 v3, 8, v2
	global_store_byte v0, v3, s[8:9]
	v_mov_b32_e32 v0, v1
	s_or_b64 exec, exec, s[0:1]
	v_cmp_gt_i32_e32 vcc, s12, v0
	s_and_saveexec_b64 s[0:1], vcc
	s_cbranch_execz .LBB212_11
.LBB212_15:
	v_add_u32_e32 v1, 0x100, v0
	v_add_u32_e32 v0, s22, v0
	global_store_byte_d16_hi v0, v2, s[8:9]
	v_mov_b32_e32 v0, v1
	s_or_b64 exec, exec, s[0:1]
	v_cmp_gt_i32_e32 vcc, s12, v0
	s_and_saveexec_b64 s[0:1], vcc
	s_cbranch_execz .LBB212_12
.LBB212_16:
	v_add_u32_e32 v0, s22, v0
	v_lshrrev_b32_e32 v1, 24, v2
	global_store_byte v0, v1, s[8:9]
	s_endpgm
	.section	.rodata,"a",@progbits
	.p2align	6, 0x0
	.amdhsa_kernel _ZN2at6native27unrolled_elementwise_kernelINS0_13BinaryFunctorIbbbNS0_12_GLOBAL__N_116CompareEqFunctorIbEEEESt5arrayIPcLm3EELi4E23TrivialOffsetCalculatorILi2EjESA_ILi1EjENS0_6memory15LoadWithoutCastENSD_16StoreWithoutCastEEEviT_T0_T2_T3_T4_T5_
		.amdhsa_group_segment_fixed_size 0
		.amdhsa_private_segment_fixed_size 0
		.amdhsa_kernarg_size 36
		.amdhsa_user_sgpr_count 6
		.amdhsa_user_sgpr_private_segment_buffer 1
		.amdhsa_user_sgpr_dispatch_ptr 0
		.amdhsa_user_sgpr_queue_ptr 0
		.amdhsa_user_sgpr_kernarg_segment_ptr 1
		.amdhsa_user_sgpr_dispatch_id 0
		.amdhsa_user_sgpr_flat_scratch_init 0
		.amdhsa_user_sgpr_private_segment_size 0
		.amdhsa_uses_dynamic_stack 0
		.amdhsa_system_sgpr_private_segment_wavefront_offset 0
		.amdhsa_system_sgpr_workgroup_id_x 1
		.amdhsa_system_sgpr_workgroup_id_y 0
		.amdhsa_system_sgpr_workgroup_id_z 0
		.amdhsa_system_sgpr_workgroup_info 0
		.amdhsa_system_vgpr_workitem_id 0
		.amdhsa_next_free_vgpr 7
		.amdhsa_next_free_sgpr 23
		.amdhsa_reserve_vcc 1
		.amdhsa_reserve_flat_scratch 0
		.amdhsa_float_round_mode_32 0
		.amdhsa_float_round_mode_16_64 0
		.amdhsa_float_denorm_mode_32 3
		.amdhsa_float_denorm_mode_16_64 3
		.amdhsa_dx10_clamp 1
		.amdhsa_ieee_mode 1
		.amdhsa_fp16_overflow 0
		.amdhsa_exception_fp_ieee_invalid_op 0
		.amdhsa_exception_fp_denorm_src 0
		.amdhsa_exception_fp_ieee_div_zero 0
		.amdhsa_exception_fp_ieee_overflow 0
		.amdhsa_exception_fp_ieee_underflow 0
		.amdhsa_exception_fp_ieee_inexact 0
		.amdhsa_exception_int_div_zero 0
	.end_amdhsa_kernel
	.section	.text._ZN2at6native27unrolled_elementwise_kernelINS0_13BinaryFunctorIbbbNS0_12_GLOBAL__N_116CompareEqFunctorIbEEEESt5arrayIPcLm3EELi4E23TrivialOffsetCalculatorILi2EjESA_ILi1EjENS0_6memory15LoadWithoutCastENSD_16StoreWithoutCastEEEviT_T0_T2_T3_T4_T5_,"axG",@progbits,_ZN2at6native27unrolled_elementwise_kernelINS0_13BinaryFunctorIbbbNS0_12_GLOBAL__N_116CompareEqFunctorIbEEEESt5arrayIPcLm3EELi4E23TrivialOffsetCalculatorILi2EjESA_ILi1EjENS0_6memory15LoadWithoutCastENSD_16StoreWithoutCastEEEviT_T0_T2_T3_T4_T5_,comdat
.Lfunc_end212:
	.size	_ZN2at6native27unrolled_elementwise_kernelINS0_13BinaryFunctorIbbbNS0_12_GLOBAL__N_116CompareEqFunctorIbEEEESt5arrayIPcLm3EELi4E23TrivialOffsetCalculatorILi2EjESA_ILi1EjENS0_6memory15LoadWithoutCastENSD_16StoreWithoutCastEEEviT_T0_T2_T3_T4_T5_, .Lfunc_end212-_ZN2at6native27unrolled_elementwise_kernelINS0_13BinaryFunctorIbbbNS0_12_GLOBAL__N_116CompareEqFunctorIbEEEESt5arrayIPcLm3EELi4E23TrivialOffsetCalculatorILi2EjESA_ILi1EjENS0_6memory15LoadWithoutCastENSD_16StoreWithoutCastEEEviT_T0_T2_T3_T4_T5_
                                        ; -- End function
	.set _ZN2at6native27unrolled_elementwise_kernelINS0_13BinaryFunctorIbbbNS0_12_GLOBAL__N_116CompareEqFunctorIbEEEESt5arrayIPcLm3EELi4E23TrivialOffsetCalculatorILi2EjESA_ILi1EjENS0_6memory15LoadWithoutCastENSD_16StoreWithoutCastEEEviT_T0_T2_T3_T4_T5_.num_vgpr, 7
	.set _ZN2at6native27unrolled_elementwise_kernelINS0_13BinaryFunctorIbbbNS0_12_GLOBAL__N_116CompareEqFunctorIbEEEESt5arrayIPcLm3EELi4E23TrivialOffsetCalculatorILi2EjESA_ILi1EjENS0_6memory15LoadWithoutCastENSD_16StoreWithoutCastEEEviT_T0_T2_T3_T4_T5_.num_agpr, 0
	.set _ZN2at6native27unrolled_elementwise_kernelINS0_13BinaryFunctorIbbbNS0_12_GLOBAL__N_116CompareEqFunctorIbEEEESt5arrayIPcLm3EELi4E23TrivialOffsetCalculatorILi2EjESA_ILi1EjENS0_6memory15LoadWithoutCastENSD_16StoreWithoutCastEEEviT_T0_T2_T3_T4_T5_.numbered_sgpr, 23
	.set _ZN2at6native27unrolled_elementwise_kernelINS0_13BinaryFunctorIbbbNS0_12_GLOBAL__N_116CompareEqFunctorIbEEEESt5arrayIPcLm3EELi4E23TrivialOffsetCalculatorILi2EjESA_ILi1EjENS0_6memory15LoadWithoutCastENSD_16StoreWithoutCastEEEviT_T0_T2_T3_T4_T5_.num_named_barrier, 0
	.set _ZN2at6native27unrolled_elementwise_kernelINS0_13BinaryFunctorIbbbNS0_12_GLOBAL__N_116CompareEqFunctorIbEEEESt5arrayIPcLm3EELi4E23TrivialOffsetCalculatorILi2EjESA_ILi1EjENS0_6memory15LoadWithoutCastENSD_16StoreWithoutCastEEEviT_T0_T2_T3_T4_T5_.private_seg_size, 0
	.set _ZN2at6native27unrolled_elementwise_kernelINS0_13BinaryFunctorIbbbNS0_12_GLOBAL__N_116CompareEqFunctorIbEEEESt5arrayIPcLm3EELi4E23TrivialOffsetCalculatorILi2EjESA_ILi1EjENS0_6memory15LoadWithoutCastENSD_16StoreWithoutCastEEEviT_T0_T2_T3_T4_T5_.uses_vcc, 1
	.set _ZN2at6native27unrolled_elementwise_kernelINS0_13BinaryFunctorIbbbNS0_12_GLOBAL__N_116CompareEqFunctorIbEEEESt5arrayIPcLm3EELi4E23TrivialOffsetCalculatorILi2EjESA_ILi1EjENS0_6memory15LoadWithoutCastENSD_16StoreWithoutCastEEEviT_T0_T2_T3_T4_T5_.uses_flat_scratch, 0
	.set _ZN2at6native27unrolled_elementwise_kernelINS0_13BinaryFunctorIbbbNS0_12_GLOBAL__N_116CompareEqFunctorIbEEEESt5arrayIPcLm3EELi4E23TrivialOffsetCalculatorILi2EjESA_ILi1EjENS0_6memory15LoadWithoutCastENSD_16StoreWithoutCastEEEviT_T0_T2_T3_T4_T5_.has_dyn_sized_stack, 0
	.set _ZN2at6native27unrolled_elementwise_kernelINS0_13BinaryFunctorIbbbNS0_12_GLOBAL__N_116CompareEqFunctorIbEEEESt5arrayIPcLm3EELi4E23TrivialOffsetCalculatorILi2EjESA_ILi1EjENS0_6memory15LoadWithoutCastENSD_16StoreWithoutCastEEEviT_T0_T2_T3_T4_T5_.has_recursion, 0
	.set _ZN2at6native27unrolled_elementwise_kernelINS0_13BinaryFunctorIbbbNS0_12_GLOBAL__N_116CompareEqFunctorIbEEEESt5arrayIPcLm3EELi4E23TrivialOffsetCalculatorILi2EjESA_ILi1EjENS0_6memory15LoadWithoutCastENSD_16StoreWithoutCastEEEviT_T0_T2_T3_T4_T5_.has_indirect_call, 0
	.section	.AMDGPU.csdata,"",@progbits
; Kernel info:
; codeLenInByte = 752
; TotalNumSgprs: 27
; NumVgprs: 7
; ScratchSize: 0
; MemoryBound: 0
; FloatMode: 240
; IeeeMode: 1
; LDSByteSize: 0 bytes/workgroup (compile time only)
; SGPRBlocks: 3
; VGPRBlocks: 1
; NumSGPRsForWavesPerEU: 27
; NumVGPRsForWavesPerEU: 7
; Occupancy: 10
; WaveLimiterHint : 0
; COMPUTE_PGM_RSRC2:SCRATCH_EN: 0
; COMPUTE_PGM_RSRC2:USER_SGPR: 6
; COMPUTE_PGM_RSRC2:TRAP_HANDLER: 0
; COMPUTE_PGM_RSRC2:TGID_X_EN: 1
; COMPUTE_PGM_RSRC2:TGID_Y_EN: 0
; COMPUTE_PGM_RSRC2:TGID_Z_EN: 0
; COMPUTE_PGM_RSRC2:TIDIG_COMP_CNT: 0
	.section	.text._ZN2at6native32elementwise_kernel_manual_unrollILi128ELi8EZNS0_22gpu_kernel_impl_nocastINS0_13BinaryFunctorIbbbNS0_12_GLOBAL__N_116CompareEqFunctorIbEEEEEEvRNS_18TensorIteratorBaseERKT_EUlibE_EEviT1_,"axG",@progbits,_ZN2at6native32elementwise_kernel_manual_unrollILi128ELi8EZNS0_22gpu_kernel_impl_nocastINS0_13BinaryFunctorIbbbNS0_12_GLOBAL__N_116CompareEqFunctorIbEEEEEEvRNS_18TensorIteratorBaseERKT_EUlibE_EEviT1_,comdat
	.globl	_ZN2at6native32elementwise_kernel_manual_unrollILi128ELi8EZNS0_22gpu_kernel_impl_nocastINS0_13BinaryFunctorIbbbNS0_12_GLOBAL__N_116CompareEqFunctorIbEEEEEEvRNS_18TensorIteratorBaseERKT_EUlibE_EEviT1_ ; -- Begin function _ZN2at6native32elementwise_kernel_manual_unrollILi128ELi8EZNS0_22gpu_kernel_impl_nocastINS0_13BinaryFunctorIbbbNS0_12_GLOBAL__N_116CompareEqFunctorIbEEEEEEvRNS_18TensorIteratorBaseERKT_EUlibE_EEviT1_
	.p2align	8
	.type	_ZN2at6native32elementwise_kernel_manual_unrollILi128ELi8EZNS0_22gpu_kernel_impl_nocastINS0_13BinaryFunctorIbbbNS0_12_GLOBAL__N_116CompareEqFunctorIbEEEEEEvRNS_18TensorIteratorBaseERKT_EUlibE_EEviT1_,@function
_ZN2at6native32elementwise_kernel_manual_unrollILi128ELi8EZNS0_22gpu_kernel_impl_nocastINS0_13BinaryFunctorIbbbNS0_12_GLOBAL__N_116CompareEqFunctorIbEEEEEEvRNS_18TensorIteratorBaseERKT_EUlibE_EEviT1_: ; @_ZN2at6native32elementwise_kernel_manual_unrollILi128ELi8EZNS0_22gpu_kernel_impl_nocastINS0_13BinaryFunctorIbbbNS0_12_GLOBAL__N_116CompareEqFunctorIbEEEEEEvRNS_18TensorIteratorBaseERKT_EUlibE_EEviT1_
; %bb.0:
	s_load_dword s38, s[4:5], 0x0
	s_load_dword s33, s[4:5], 0x8
	s_add_u32 s2, s4, 8
	s_addc_u32 s3, s5, 0
	v_lshl_or_b32 v31, s6, 10, v0
	v_or_b32_e32 v41, 0x380, v31
	s_waitcnt lgkmcnt(0)
	s_add_i32 s36, s33, -1
	s_cmp_gt_u32 s36, 1
	v_cmp_le_i32_e32 vcc, s38, v41
	s_cselect_b64 s[16:17], -1, 0
	s_and_saveexec_b64 s[0:1], vcc
	s_xor_b64 s[18:19], exec, s[0:1]
	s_cbranch_execz .LBB213_106
; %bb.1:
	s_load_dwordx4 s[12:15], s[2:3], 0x4
	s_load_dwordx2 s[26:27], s[2:3], 0x14
	s_load_dwordx4 s[8:11], s[2:3], 0xc4
	s_load_dwordx2 s[24:25], s[2:3], 0xd4
	s_load_dword s0, s[2:3], 0x1a0
	s_cmp_lg_u32 s33, 0
	s_load_dwordx2 s[22:23], s[2:3], 0x198
	s_load_dwordx4 s[4:7], s[2:3], 0x188
	s_cselect_b64 s[30:31], -1, 0
	s_min_u32 s37, s36, 15
	s_cmp_gt_u32 s33, 1
	s_cselect_b64 s[28:29], -1, 0
	s_waitcnt lgkmcnt(0)
	s_cmp_eq_u32 s0, 0
	s_cselect_b64 s[20:21], -1, 0
	v_cmp_gt_i32_e32 vcc, s38, v31
	s_and_saveexec_b64 s[34:35], vcc
	s_cbranch_execnz .LBB213_9
; %bb.2:
	s_or_b64 exec, exec, s[34:35]
	v_cmp_gt_i32_e32 vcc, s38, v31
	s_and_saveexec_b64 s[34:35], vcc
	s_cbranch_execnz .LBB213_21
.LBB213_3:
	s_or_b64 exec, exec, s[34:35]
	v_cmp_gt_i32_e32 vcc, s38, v31
	s_and_saveexec_b64 s[34:35], vcc
	s_cbranch_execnz .LBB213_33
.LBB213_4:
	s_or_b64 exec, exec, s[34:35]
	v_cmp_gt_i32_e32 vcc, s38, v31
	s_and_saveexec_b64 s[34:35], vcc
	s_cbranch_execnz .LBB213_45
.LBB213_5:
	s_or_b64 exec, exec, s[34:35]
	v_cmp_gt_i32_e32 vcc, s38, v31
	s_and_saveexec_b64 s[34:35], vcc
	s_cbranch_execnz .LBB213_57
.LBB213_6:
	s_or_b64 exec, exec, s[34:35]
	v_cmp_gt_i32_e32 vcc, s38, v31
	s_and_saveexec_b64 s[34:35], vcc
	s_cbranch_execnz .LBB213_69
.LBB213_7:
	s_or_b64 exec, exec, s[34:35]
	v_cmp_gt_i32_e32 vcc, s38, v31
	s_and_saveexec_b64 s[34:35], vcc
	s_cbranch_execnz .LBB213_81
.LBB213_8:
	s_or_b64 exec, exec, s[34:35]
	v_cmp_gt_i32_e32 vcc, s38, v31
	s_and_saveexec_b64 s[34:35], vcc
	s_cbranch_execnz .LBB213_93
	s_branch .LBB213_105
.LBB213_9:
	s_andn2_b64 vcc, exec, s[16:17]
	s_cbranch_vccnz .LBB213_15
; %bb.10:
	s_andn2_b64 vcc, exec, s[30:31]
	s_cbranch_vccnz .LBB213_16
; %bb.11:
	s_add_i32 s0, s37, 1
	s_and_b32 s39, s0, 30
	s_add_u32 s0, s2, 0xffffffe8
	s_addc_u32 s1, s3, -1
	v_mov_b32_e32 v2, 0
	v_mov_b32_e32 v4, 0
	;; [unrolled: 1-line block ×4, first 2 shown]
.LBB213_12:                             ; =>This Inner Loop Header: Depth=1
	s_load_dwordx4 s[40:43], s[0:1], 0x1c
	s_load_dwordx2 s[48:49], s[0:1], 0x2c
	s_load_dwordx2 s[50:51], s[0:1], 0xec
	s_load_dwordx4 s[44:47], s[0:1], 0xdc
	s_add_u32 s0, s0, 24
	s_waitcnt lgkmcnt(0)
	v_mul_hi_u32 v3, s41, v1
	s_addc_u32 s1, s1, 0
	s_add_i32 s39, s39, -2
	s_cmp_lg_u32 s39, 0
	v_add_u32_e32 v3, v1, v3
	v_lshrrev_b32_e32 v3, s42, v3
	v_mul_lo_u32 v5, v3, s40
	v_mul_hi_u32 v6, s48, v3
	v_sub_u32_e32 v5, v1, v5
	v_add_u32_e32 v1, v3, v6
	v_lshrrev_b32_e32 v1, s49, v1
	v_mul_lo_u32 v8, v1, s43
	v_mul_lo_u32 v6, v5, s44
	;; [unrolled: 1-line block ×4, first 2 shown]
	v_sub_u32_e32 v3, v3, v8
	v_mul_lo_u32 v8, v3, s47
	v_mul_lo_u32 v9, v3, s50
	;; [unrolled: 1-line block ×3, first 2 shown]
	v_add3_u32 v0, v6, v0, v8
	v_add3_u32 v4, v7, v4, v9
	;; [unrolled: 1-line block ×3, first 2 shown]
	s_cbranch_scc1 .LBB213_12
; %bb.13:
	s_bitcmp1_b32 s37, 0
	s_cselect_b64 s[40:41], -1, 0
	s_and_b64 vcc, exec, s[40:41]
	s_cbranch_vccnz .LBB213_17
; %bb.14:
	s_load_dwordx2 s[40:41], s[0:1], 0x1c
	s_load_dword s39, s[0:1], 0x24
	s_load_dwordx2 s[42:43], s[0:1], 0xdc
	s_waitcnt lgkmcnt(0)
	v_mul_hi_u32 v3, s41, v1
	v_add_u32_e32 v3, v1, v3
	v_lshrrev_b32_e32 v3, s39, v3
	v_mul_lo_u32 v3, v3, s40
	s_load_dword s39, s[0:1], 0xe4
	v_sub_u32_e32 v3, v1, v3
	v_mad_u64_u32 v[0:1], s[0:1], v3, s42, v[0:1]
	v_mad_u64_u32 v[4:5], s[0:1], v3, s43, v[4:5]
	s_waitcnt lgkmcnt(0)
	v_mad_u64_u32 v[2:3], s[0:1], v3, s39, v[2:3]
	s_cbranch_execz .LBB213_18
	s_branch .LBB213_20
.LBB213_15:
                                        ; implicit-def: $vgpr0
                                        ; implicit-def: $vgpr4
                                        ; implicit-def: $vgpr2
	s_branch .LBB213_18
.LBB213_16:
	v_mov_b32_e32 v0, 0
	v_mov_b32_e32 v4, 0
	v_mov_b32_e32 v2, 0
.LBB213_17:
	s_cbranch_execnz .LBB213_20
.LBB213_18:
	v_mul_hi_u32 v0, s13, v31
	s_andn2_b64 vcc, exec, s[28:29]
	v_add_u32_e32 v0, v31, v0
	v_lshrrev_b32_e32 v1, s14, v0
	v_mul_lo_u32 v0, v1, s12
	v_sub_u32_e32 v2, v31, v0
	v_mul_lo_u32 v0, v2, s8
	v_mul_lo_u32 v4, v2, s9
	;; [unrolled: 1-line block ×3, first 2 shown]
	s_cbranch_vccnz .LBB213_20
; %bb.19:
	v_mul_hi_u32 v3, s26, v1
	v_add_u32_e32 v3, v1, v3
	v_lshrrev_b32_e32 v3, s27, v3
	v_mul_lo_u32 v3, v3, s15
	v_sub_u32_e32 v3, v1, v3
	v_mad_u64_u32 v[0:1], s[0:1], v3, s11, v[0:1]
	v_mad_u64_u32 v[4:5], s[0:1], v3, s24, v[4:5]
	;; [unrolled: 1-line block ×3, first 2 shown]
.LBB213_20:
	global_load_ubyte v1, v4, s[6:7]
	global_load_ubyte v3, v2, s[22:23]
	v_add_u32_e32 v31, 0x80, v31
	s_waitcnt vmcnt(1)
	v_cmp_ne_u16_e32 vcc, 0, v1
	s_waitcnt vmcnt(0)
	v_cmp_ne_u16_e64 s[0:1], 0, v3
	s_xor_b64 s[0:1], vcc, s[0:1]
	s_xor_b64 s[0:1], s[20:21], s[0:1]
	v_cndmask_b32_e64 v1, 0, 1, s[0:1]
	global_store_byte v0, v1, s[4:5]
	s_or_b64 exec, exec, s[34:35]
	v_cmp_gt_i32_e32 vcc, s38, v31
	s_and_saveexec_b64 s[34:35], vcc
	s_cbranch_execz .LBB213_3
.LBB213_21:
	s_andn2_b64 vcc, exec, s[16:17]
	s_cbranch_vccnz .LBB213_27
; %bb.22:
	s_andn2_b64 vcc, exec, s[30:31]
	s_cbranch_vccnz .LBB213_28
; %bb.23:
	s_add_i32 s0, s37, 1
	s_and_b32 s39, s0, 30
	s_add_u32 s0, s2, 0xffffffe8
	s_addc_u32 s1, s3, -1
	v_mov_b32_e32 v2, 0
	v_mov_b32_e32 v4, 0
	;; [unrolled: 1-line block ×4, first 2 shown]
.LBB213_24:                             ; =>This Inner Loop Header: Depth=1
	s_load_dwordx4 s[40:43], s[0:1], 0x1c
	s_load_dwordx2 s[48:49], s[0:1], 0x2c
	s_load_dwordx2 s[50:51], s[0:1], 0xec
	s_load_dwordx4 s[44:47], s[0:1], 0xdc
	s_add_u32 s0, s0, 24
	s_waitcnt lgkmcnt(0)
	v_mul_hi_u32 v3, s41, v1
	s_addc_u32 s1, s1, 0
	s_add_i32 s39, s39, -2
	s_cmp_eq_u32 s39, 0
	v_add_u32_e32 v3, v1, v3
	v_lshrrev_b32_e32 v3, s42, v3
	v_mul_lo_u32 v5, v3, s40
	v_mul_hi_u32 v6, s48, v3
	v_sub_u32_e32 v5, v1, v5
	v_add_u32_e32 v1, v3, v6
	v_lshrrev_b32_e32 v1, s49, v1
	v_mul_lo_u32 v8, v1, s43
	v_mul_lo_u32 v6, v5, s44
	;; [unrolled: 1-line block ×4, first 2 shown]
	v_sub_u32_e32 v3, v3, v8
	v_mul_lo_u32 v8, v3, s47
	v_mul_lo_u32 v9, v3, s50
	;; [unrolled: 1-line block ×3, first 2 shown]
	v_add3_u32 v0, v6, v0, v8
	v_add3_u32 v4, v7, v4, v9
	;; [unrolled: 1-line block ×3, first 2 shown]
	s_cbranch_scc0 .LBB213_24
; %bb.25:
	s_bitcmp1_b32 s37, 0
	s_cselect_b64 s[40:41], -1, 0
	s_and_b64 vcc, exec, s[40:41]
	s_cbranch_vccnz .LBB213_29
; %bb.26:
	s_load_dwordx2 s[40:41], s[0:1], 0x1c
	s_load_dword s39, s[0:1], 0x24
	s_load_dwordx2 s[42:43], s[0:1], 0xdc
	s_waitcnt lgkmcnt(0)
	v_mul_hi_u32 v3, s41, v1
	v_add_u32_e32 v3, v1, v3
	v_lshrrev_b32_e32 v3, s39, v3
	v_mul_lo_u32 v3, v3, s40
	s_load_dword s39, s[0:1], 0xe4
	v_sub_u32_e32 v3, v1, v3
	v_mad_u64_u32 v[0:1], s[0:1], v3, s42, v[0:1]
	v_mad_u64_u32 v[4:5], s[0:1], v3, s43, v[4:5]
	s_waitcnt lgkmcnt(0)
	v_mad_u64_u32 v[2:3], s[0:1], v3, s39, v[2:3]
	s_branch .LBB213_29
.LBB213_27:
                                        ; implicit-def: $vgpr0
                                        ; implicit-def: $vgpr4
                                        ; implicit-def: $vgpr2
	s_branch .LBB213_30
.LBB213_28:
	v_mov_b32_e32 v0, 0
	v_mov_b32_e32 v4, 0
	v_mov_b32_e32 v2, 0
.LBB213_29:
	s_cbranch_execnz .LBB213_32
.LBB213_30:
	v_mul_hi_u32 v0, s13, v31
	s_andn2_b64 vcc, exec, s[28:29]
	v_add_u32_e32 v0, v31, v0
	v_lshrrev_b32_e32 v1, s14, v0
	v_mul_lo_u32 v0, v1, s12
	v_sub_u32_e32 v2, v31, v0
	v_mul_lo_u32 v0, v2, s8
	v_mul_lo_u32 v4, v2, s9
	;; [unrolled: 1-line block ×3, first 2 shown]
	s_cbranch_vccnz .LBB213_32
; %bb.31:
	v_mul_hi_u32 v3, s26, v1
	v_add_u32_e32 v3, v1, v3
	v_lshrrev_b32_e32 v3, s27, v3
	v_mul_lo_u32 v3, v3, s15
	v_sub_u32_e32 v3, v1, v3
	v_mad_u64_u32 v[0:1], s[0:1], v3, s11, v[0:1]
	v_mad_u64_u32 v[4:5], s[0:1], v3, s24, v[4:5]
	;; [unrolled: 1-line block ×3, first 2 shown]
.LBB213_32:
	global_load_ubyte v1, v4, s[6:7]
	global_load_ubyte v3, v2, s[22:23]
	v_add_u32_e32 v31, 0x80, v31
	s_waitcnt vmcnt(1)
	v_cmp_ne_u16_e32 vcc, 0, v1
	s_waitcnt vmcnt(0)
	v_cmp_ne_u16_e64 s[0:1], 0, v3
	s_xor_b64 s[0:1], vcc, s[0:1]
	s_xor_b64 s[0:1], s[20:21], s[0:1]
	v_cndmask_b32_e64 v1, 0, 1, s[0:1]
	global_store_byte v0, v1, s[4:5]
	s_or_b64 exec, exec, s[34:35]
	v_cmp_gt_i32_e32 vcc, s38, v31
	s_and_saveexec_b64 s[34:35], vcc
	s_cbranch_execz .LBB213_4
.LBB213_33:
	s_andn2_b64 vcc, exec, s[16:17]
	s_cbranch_vccnz .LBB213_39
; %bb.34:
	s_andn2_b64 vcc, exec, s[30:31]
	s_cbranch_vccnz .LBB213_40
; %bb.35:
	s_add_i32 s0, s37, 1
	s_and_b32 s39, s0, 30
	s_add_u32 s0, s2, 0xffffffe8
	s_addc_u32 s1, s3, -1
	v_mov_b32_e32 v2, 0
	v_mov_b32_e32 v4, 0
	;; [unrolled: 1-line block ×4, first 2 shown]
.LBB213_36:                             ; =>This Inner Loop Header: Depth=1
	s_load_dwordx4 s[40:43], s[0:1], 0x1c
	s_load_dwordx2 s[48:49], s[0:1], 0x2c
	s_load_dwordx2 s[50:51], s[0:1], 0xec
	s_load_dwordx4 s[44:47], s[0:1], 0xdc
	s_add_u32 s0, s0, 24
	s_waitcnt lgkmcnt(0)
	v_mul_hi_u32 v3, s41, v1
	s_addc_u32 s1, s1, 0
	s_add_i32 s39, s39, -2
	s_cmp_eq_u32 s39, 0
	v_add_u32_e32 v3, v1, v3
	v_lshrrev_b32_e32 v3, s42, v3
	v_mul_lo_u32 v5, v3, s40
	v_mul_hi_u32 v6, s48, v3
	v_sub_u32_e32 v5, v1, v5
	v_add_u32_e32 v1, v3, v6
	v_lshrrev_b32_e32 v1, s49, v1
	v_mul_lo_u32 v8, v1, s43
	v_mul_lo_u32 v6, v5, s44
	;; [unrolled: 1-line block ×4, first 2 shown]
	v_sub_u32_e32 v3, v3, v8
	v_mul_lo_u32 v8, v3, s47
	v_mul_lo_u32 v9, v3, s50
	;; [unrolled: 1-line block ×3, first 2 shown]
	v_add3_u32 v0, v6, v0, v8
	v_add3_u32 v4, v7, v4, v9
	;; [unrolled: 1-line block ×3, first 2 shown]
	s_cbranch_scc0 .LBB213_36
; %bb.37:
	s_bitcmp1_b32 s37, 0
	s_cselect_b64 s[40:41], -1, 0
	s_and_b64 vcc, exec, s[40:41]
	s_cbranch_vccnz .LBB213_41
; %bb.38:
	s_load_dwordx2 s[40:41], s[0:1], 0x1c
	s_load_dword s39, s[0:1], 0x24
	s_load_dwordx2 s[42:43], s[0:1], 0xdc
	s_waitcnt lgkmcnt(0)
	v_mul_hi_u32 v3, s41, v1
	v_add_u32_e32 v3, v1, v3
	v_lshrrev_b32_e32 v3, s39, v3
	v_mul_lo_u32 v3, v3, s40
	s_load_dword s39, s[0:1], 0xe4
	v_sub_u32_e32 v3, v1, v3
	v_mad_u64_u32 v[0:1], s[0:1], v3, s42, v[0:1]
	v_mad_u64_u32 v[4:5], s[0:1], v3, s43, v[4:5]
	s_waitcnt lgkmcnt(0)
	v_mad_u64_u32 v[2:3], s[0:1], v3, s39, v[2:3]
	s_branch .LBB213_41
.LBB213_39:
                                        ; implicit-def: $vgpr0
                                        ; implicit-def: $vgpr4
                                        ; implicit-def: $vgpr2
	s_branch .LBB213_42
.LBB213_40:
	v_mov_b32_e32 v0, 0
	v_mov_b32_e32 v4, 0
	;; [unrolled: 1-line block ×3, first 2 shown]
.LBB213_41:
	s_cbranch_execnz .LBB213_44
.LBB213_42:
	v_mul_hi_u32 v0, s13, v31
	s_andn2_b64 vcc, exec, s[28:29]
	v_add_u32_e32 v0, v31, v0
	v_lshrrev_b32_e32 v1, s14, v0
	v_mul_lo_u32 v0, v1, s12
	v_sub_u32_e32 v2, v31, v0
	v_mul_lo_u32 v0, v2, s8
	v_mul_lo_u32 v4, v2, s9
	;; [unrolled: 1-line block ×3, first 2 shown]
	s_cbranch_vccnz .LBB213_44
; %bb.43:
	v_mul_hi_u32 v3, s26, v1
	v_add_u32_e32 v3, v1, v3
	v_lshrrev_b32_e32 v3, s27, v3
	v_mul_lo_u32 v3, v3, s15
	v_sub_u32_e32 v3, v1, v3
	v_mad_u64_u32 v[0:1], s[0:1], v3, s11, v[0:1]
	v_mad_u64_u32 v[4:5], s[0:1], v3, s24, v[4:5]
	;; [unrolled: 1-line block ×3, first 2 shown]
.LBB213_44:
	global_load_ubyte v1, v4, s[6:7]
	global_load_ubyte v3, v2, s[22:23]
	v_add_u32_e32 v31, 0x80, v31
	s_waitcnt vmcnt(1)
	v_cmp_ne_u16_e32 vcc, 0, v1
	s_waitcnt vmcnt(0)
	v_cmp_ne_u16_e64 s[0:1], 0, v3
	s_xor_b64 s[0:1], vcc, s[0:1]
	s_xor_b64 s[0:1], s[20:21], s[0:1]
	v_cndmask_b32_e64 v1, 0, 1, s[0:1]
	global_store_byte v0, v1, s[4:5]
	s_or_b64 exec, exec, s[34:35]
	v_cmp_gt_i32_e32 vcc, s38, v31
	s_and_saveexec_b64 s[34:35], vcc
	s_cbranch_execz .LBB213_5
.LBB213_45:
	s_andn2_b64 vcc, exec, s[16:17]
	s_cbranch_vccnz .LBB213_51
; %bb.46:
	s_andn2_b64 vcc, exec, s[30:31]
	s_cbranch_vccnz .LBB213_52
; %bb.47:
	s_add_i32 s0, s37, 1
	s_and_b32 s39, s0, 30
	s_add_u32 s0, s2, 0xffffffe8
	s_addc_u32 s1, s3, -1
	v_mov_b32_e32 v2, 0
	v_mov_b32_e32 v4, 0
	;; [unrolled: 1-line block ×4, first 2 shown]
.LBB213_48:                             ; =>This Inner Loop Header: Depth=1
	s_load_dwordx4 s[40:43], s[0:1], 0x1c
	s_load_dwordx2 s[48:49], s[0:1], 0x2c
	s_load_dwordx2 s[50:51], s[0:1], 0xec
	s_load_dwordx4 s[44:47], s[0:1], 0xdc
	s_add_u32 s0, s0, 24
	s_waitcnt lgkmcnt(0)
	v_mul_hi_u32 v3, s41, v1
	s_addc_u32 s1, s1, 0
	s_add_i32 s39, s39, -2
	s_cmp_eq_u32 s39, 0
	v_add_u32_e32 v3, v1, v3
	v_lshrrev_b32_e32 v3, s42, v3
	v_mul_lo_u32 v5, v3, s40
	v_mul_hi_u32 v6, s48, v3
	v_sub_u32_e32 v5, v1, v5
	v_add_u32_e32 v1, v3, v6
	v_lshrrev_b32_e32 v1, s49, v1
	v_mul_lo_u32 v8, v1, s43
	v_mul_lo_u32 v6, v5, s44
	;; [unrolled: 1-line block ×4, first 2 shown]
	v_sub_u32_e32 v3, v3, v8
	v_mul_lo_u32 v8, v3, s47
	v_mul_lo_u32 v9, v3, s50
	;; [unrolled: 1-line block ×3, first 2 shown]
	v_add3_u32 v0, v6, v0, v8
	v_add3_u32 v4, v7, v4, v9
	;; [unrolled: 1-line block ×3, first 2 shown]
	s_cbranch_scc0 .LBB213_48
; %bb.49:
	s_bitcmp1_b32 s37, 0
	s_cselect_b64 s[40:41], -1, 0
	s_and_b64 vcc, exec, s[40:41]
	s_cbranch_vccnz .LBB213_53
; %bb.50:
	s_load_dwordx2 s[40:41], s[0:1], 0x1c
	s_load_dword s39, s[0:1], 0x24
	s_load_dwordx2 s[42:43], s[0:1], 0xdc
	s_waitcnt lgkmcnt(0)
	v_mul_hi_u32 v3, s41, v1
	v_add_u32_e32 v3, v1, v3
	v_lshrrev_b32_e32 v3, s39, v3
	v_mul_lo_u32 v3, v3, s40
	s_load_dword s39, s[0:1], 0xe4
	v_sub_u32_e32 v3, v1, v3
	v_mad_u64_u32 v[0:1], s[0:1], v3, s42, v[0:1]
	v_mad_u64_u32 v[4:5], s[0:1], v3, s43, v[4:5]
	s_waitcnt lgkmcnt(0)
	v_mad_u64_u32 v[2:3], s[0:1], v3, s39, v[2:3]
	s_branch .LBB213_53
.LBB213_51:
                                        ; implicit-def: $vgpr0
                                        ; implicit-def: $vgpr4
                                        ; implicit-def: $vgpr2
	s_branch .LBB213_54
.LBB213_52:
	v_mov_b32_e32 v0, 0
	v_mov_b32_e32 v4, 0
	;; [unrolled: 1-line block ×3, first 2 shown]
.LBB213_53:
	s_cbranch_execnz .LBB213_56
.LBB213_54:
	v_mul_hi_u32 v0, s13, v31
	s_andn2_b64 vcc, exec, s[28:29]
	v_add_u32_e32 v0, v31, v0
	v_lshrrev_b32_e32 v1, s14, v0
	v_mul_lo_u32 v0, v1, s12
	v_sub_u32_e32 v2, v31, v0
	v_mul_lo_u32 v0, v2, s8
	v_mul_lo_u32 v4, v2, s9
	;; [unrolled: 1-line block ×3, first 2 shown]
	s_cbranch_vccnz .LBB213_56
; %bb.55:
	v_mul_hi_u32 v3, s26, v1
	v_add_u32_e32 v3, v1, v3
	v_lshrrev_b32_e32 v3, s27, v3
	v_mul_lo_u32 v3, v3, s15
	v_sub_u32_e32 v3, v1, v3
	v_mad_u64_u32 v[0:1], s[0:1], v3, s11, v[0:1]
	v_mad_u64_u32 v[4:5], s[0:1], v3, s24, v[4:5]
	;; [unrolled: 1-line block ×3, first 2 shown]
.LBB213_56:
	global_load_ubyte v1, v4, s[6:7]
	global_load_ubyte v3, v2, s[22:23]
	v_add_u32_e32 v31, 0x80, v31
	s_waitcnt vmcnt(1)
	v_cmp_ne_u16_e32 vcc, 0, v1
	s_waitcnt vmcnt(0)
	v_cmp_ne_u16_e64 s[0:1], 0, v3
	s_xor_b64 s[0:1], vcc, s[0:1]
	s_xor_b64 s[0:1], s[20:21], s[0:1]
	v_cndmask_b32_e64 v1, 0, 1, s[0:1]
	global_store_byte v0, v1, s[4:5]
	s_or_b64 exec, exec, s[34:35]
	v_cmp_gt_i32_e32 vcc, s38, v31
	s_and_saveexec_b64 s[34:35], vcc
	s_cbranch_execz .LBB213_6
.LBB213_57:
	s_andn2_b64 vcc, exec, s[16:17]
	s_cbranch_vccnz .LBB213_63
; %bb.58:
	s_andn2_b64 vcc, exec, s[30:31]
	s_cbranch_vccnz .LBB213_64
; %bb.59:
	s_add_i32 s0, s37, 1
	s_and_b32 s39, s0, 30
	s_add_u32 s0, s2, 0xffffffe8
	s_addc_u32 s1, s3, -1
	v_mov_b32_e32 v2, 0
	v_mov_b32_e32 v4, 0
	v_mov_b32_e32 v0, 0
	v_mov_b32_e32 v1, v31
.LBB213_60:                             ; =>This Inner Loop Header: Depth=1
	s_load_dwordx4 s[40:43], s[0:1], 0x1c
	s_load_dwordx2 s[48:49], s[0:1], 0x2c
	s_load_dwordx2 s[50:51], s[0:1], 0xec
	s_load_dwordx4 s[44:47], s[0:1], 0xdc
	s_add_u32 s0, s0, 24
	s_waitcnt lgkmcnt(0)
	v_mul_hi_u32 v3, s41, v1
	s_addc_u32 s1, s1, 0
	s_add_i32 s39, s39, -2
	s_cmp_eq_u32 s39, 0
	v_add_u32_e32 v3, v1, v3
	v_lshrrev_b32_e32 v3, s42, v3
	v_mul_lo_u32 v5, v3, s40
	v_mul_hi_u32 v6, s48, v3
	v_sub_u32_e32 v5, v1, v5
	v_add_u32_e32 v1, v3, v6
	v_lshrrev_b32_e32 v1, s49, v1
	v_mul_lo_u32 v8, v1, s43
	v_mul_lo_u32 v6, v5, s44
	v_mul_lo_u32 v7, v5, s45
	v_mul_lo_u32 v5, v5, s46
	v_sub_u32_e32 v3, v3, v8
	v_mul_lo_u32 v8, v3, s47
	v_mul_lo_u32 v9, v3, s50
	;; [unrolled: 1-line block ×3, first 2 shown]
	v_add3_u32 v0, v6, v0, v8
	v_add3_u32 v4, v7, v4, v9
	;; [unrolled: 1-line block ×3, first 2 shown]
	s_cbranch_scc0 .LBB213_60
; %bb.61:
	s_bitcmp1_b32 s37, 0
	s_cselect_b64 s[40:41], -1, 0
	s_and_b64 vcc, exec, s[40:41]
	s_cbranch_vccnz .LBB213_65
; %bb.62:
	s_load_dwordx2 s[40:41], s[0:1], 0x1c
	s_load_dword s39, s[0:1], 0x24
	s_load_dwordx2 s[42:43], s[0:1], 0xdc
	s_waitcnt lgkmcnt(0)
	v_mul_hi_u32 v3, s41, v1
	v_add_u32_e32 v3, v1, v3
	v_lshrrev_b32_e32 v3, s39, v3
	v_mul_lo_u32 v3, v3, s40
	s_load_dword s39, s[0:1], 0xe4
	v_sub_u32_e32 v3, v1, v3
	v_mad_u64_u32 v[0:1], s[0:1], v3, s42, v[0:1]
	v_mad_u64_u32 v[4:5], s[0:1], v3, s43, v[4:5]
	s_waitcnt lgkmcnt(0)
	v_mad_u64_u32 v[2:3], s[0:1], v3, s39, v[2:3]
	s_branch .LBB213_65
.LBB213_63:
                                        ; implicit-def: $vgpr0
                                        ; implicit-def: $vgpr4
                                        ; implicit-def: $vgpr2
	s_branch .LBB213_66
.LBB213_64:
	v_mov_b32_e32 v0, 0
	v_mov_b32_e32 v4, 0
	;; [unrolled: 1-line block ×3, first 2 shown]
.LBB213_65:
	s_cbranch_execnz .LBB213_68
.LBB213_66:
	v_mul_hi_u32 v0, s13, v31
	s_andn2_b64 vcc, exec, s[28:29]
	v_add_u32_e32 v0, v31, v0
	v_lshrrev_b32_e32 v1, s14, v0
	v_mul_lo_u32 v0, v1, s12
	v_sub_u32_e32 v2, v31, v0
	v_mul_lo_u32 v0, v2, s8
	v_mul_lo_u32 v4, v2, s9
	;; [unrolled: 1-line block ×3, first 2 shown]
	s_cbranch_vccnz .LBB213_68
; %bb.67:
	v_mul_hi_u32 v3, s26, v1
	v_add_u32_e32 v3, v1, v3
	v_lshrrev_b32_e32 v3, s27, v3
	v_mul_lo_u32 v3, v3, s15
	v_sub_u32_e32 v3, v1, v3
	v_mad_u64_u32 v[0:1], s[0:1], v3, s11, v[0:1]
	v_mad_u64_u32 v[4:5], s[0:1], v3, s24, v[4:5]
	;; [unrolled: 1-line block ×3, first 2 shown]
.LBB213_68:
	global_load_ubyte v1, v4, s[6:7]
	global_load_ubyte v3, v2, s[22:23]
	v_add_u32_e32 v31, 0x80, v31
	s_waitcnt vmcnt(1)
	v_cmp_ne_u16_e32 vcc, 0, v1
	s_waitcnt vmcnt(0)
	v_cmp_ne_u16_e64 s[0:1], 0, v3
	s_xor_b64 s[0:1], vcc, s[0:1]
	s_xor_b64 s[0:1], s[20:21], s[0:1]
	v_cndmask_b32_e64 v1, 0, 1, s[0:1]
	global_store_byte v0, v1, s[4:5]
	s_or_b64 exec, exec, s[34:35]
	v_cmp_gt_i32_e32 vcc, s38, v31
	s_and_saveexec_b64 s[34:35], vcc
	s_cbranch_execz .LBB213_7
.LBB213_69:
	s_andn2_b64 vcc, exec, s[16:17]
	s_cbranch_vccnz .LBB213_75
; %bb.70:
	s_andn2_b64 vcc, exec, s[30:31]
	s_cbranch_vccnz .LBB213_76
; %bb.71:
	s_add_i32 s0, s37, 1
	s_and_b32 s39, s0, 30
	s_add_u32 s0, s2, 0xffffffe8
	s_addc_u32 s1, s3, -1
	v_mov_b32_e32 v2, 0
	v_mov_b32_e32 v4, 0
	;; [unrolled: 1-line block ×4, first 2 shown]
.LBB213_72:                             ; =>This Inner Loop Header: Depth=1
	s_load_dwordx4 s[40:43], s[0:1], 0x1c
	s_load_dwordx2 s[48:49], s[0:1], 0x2c
	s_load_dwordx2 s[50:51], s[0:1], 0xec
	s_load_dwordx4 s[44:47], s[0:1], 0xdc
	s_add_u32 s0, s0, 24
	s_waitcnt lgkmcnt(0)
	v_mul_hi_u32 v3, s41, v1
	s_addc_u32 s1, s1, 0
	s_add_i32 s39, s39, -2
	s_cmp_eq_u32 s39, 0
	v_add_u32_e32 v3, v1, v3
	v_lshrrev_b32_e32 v3, s42, v3
	v_mul_lo_u32 v5, v3, s40
	v_mul_hi_u32 v6, s48, v3
	v_sub_u32_e32 v5, v1, v5
	v_add_u32_e32 v1, v3, v6
	v_lshrrev_b32_e32 v1, s49, v1
	v_mul_lo_u32 v8, v1, s43
	v_mul_lo_u32 v6, v5, s44
	;; [unrolled: 1-line block ×4, first 2 shown]
	v_sub_u32_e32 v3, v3, v8
	v_mul_lo_u32 v8, v3, s47
	v_mul_lo_u32 v9, v3, s50
	;; [unrolled: 1-line block ×3, first 2 shown]
	v_add3_u32 v0, v6, v0, v8
	v_add3_u32 v4, v7, v4, v9
	;; [unrolled: 1-line block ×3, first 2 shown]
	s_cbranch_scc0 .LBB213_72
; %bb.73:
	s_bitcmp1_b32 s37, 0
	s_cselect_b64 s[40:41], -1, 0
	s_and_b64 vcc, exec, s[40:41]
	s_cbranch_vccnz .LBB213_77
; %bb.74:
	s_load_dwordx2 s[40:41], s[0:1], 0x1c
	s_load_dword s39, s[0:1], 0x24
	s_load_dwordx2 s[42:43], s[0:1], 0xdc
	s_waitcnt lgkmcnt(0)
	v_mul_hi_u32 v3, s41, v1
	v_add_u32_e32 v3, v1, v3
	v_lshrrev_b32_e32 v3, s39, v3
	v_mul_lo_u32 v3, v3, s40
	s_load_dword s39, s[0:1], 0xe4
	v_sub_u32_e32 v3, v1, v3
	v_mad_u64_u32 v[0:1], s[0:1], v3, s42, v[0:1]
	v_mad_u64_u32 v[4:5], s[0:1], v3, s43, v[4:5]
	s_waitcnt lgkmcnt(0)
	v_mad_u64_u32 v[2:3], s[0:1], v3, s39, v[2:3]
	s_branch .LBB213_77
.LBB213_75:
                                        ; implicit-def: $vgpr0
                                        ; implicit-def: $vgpr4
                                        ; implicit-def: $vgpr2
	s_branch .LBB213_78
.LBB213_76:
	v_mov_b32_e32 v0, 0
	v_mov_b32_e32 v4, 0
	;; [unrolled: 1-line block ×3, first 2 shown]
.LBB213_77:
	s_cbranch_execnz .LBB213_80
.LBB213_78:
	v_mul_hi_u32 v0, s13, v31
	s_andn2_b64 vcc, exec, s[28:29]
	v_add_u32_e32 v0, v31, v0
	v_lshrrev_b32_e32 v1, s14, v0
	v_mul_lo_u32 v0, v1, s12
	v_sub_u32_e32 v2, v31, v0
	v_mul_lo_u32 v0, v2, s8
	v_mul_lo_u32 v4, v2, s9
	;; [unrolled: 1-line block ×3, first 2 shown]
	s_cbranch_vccnz .LBB213_80
; %bb.79:
	v_mul_hi_u32 v3, s26, v1
	v_add_u32_e32 v3, v1, v3
	v_lshrrev_b32_e32 v3, s27, v3
	v_mul_lo_u32 v3, v3, s15
	v_sub_u32_e32 v3, v1, v3
	v_mad_u64_u32 v[0:1], s[0:1], v3, s11, v[0:1]
	v_mad_u64_u32 v[4:5], s[0:1], v3, s24, v[4:5]
	;; [unrolled: 1-line block ×3, first 2 shown]
.LBB213_80:
	global_load_ubyte v1, v4, s[6:7]
	global_load_ubyte v3, v2, s[22:23]
	v_add_u32_e32 v31, 0x80, v31
	s_waitcnt vmcnt(1)
	v_cmp_ne_u16_e32 vcc, 0, v1
	s_waitcnt vmcnt(0)
	v_cmp_ne_u16_e64 s[0:1], 0, v3
	s_xor_b64 s[0:1], vcc, s[0:1]
	s_xor_b64 s[0:1], s[20:21], s[0:1]
	v_cndmask_b32_e64 v1, 0, 1, s[0:1]
	global_store_byte v0, v1, s[4:5]
	s_or_b64 exec, exec, s[34:35]
	v_cmp_gt_i32_e32 vcc, s38, v31
	s_and_saveexec_b64 s[34:35], vcc
	s_cbranch_execz .LBB213_8
.LBB213_81:
	s_andn2_b64 vcc, exec, s[16:17]
	s_cbranch_vccnz .LBB213_87
; %bb.82:
	s_andn2_b64 vcc, exec, s[30:31]
	s_cbranch_vccnz .LBB213_88
; %bb.83:
	s_add_i32 s0, s37, 1
	s_and_b32 s39, s0, 30
	s_add_u32 s0, s2, 0xffffffe8
	s_addc_u32 s1, s3, -1
	v_mov_b32_e32 v2, 0
	v_mov_b32_e32 v4, 0
	;; [unrolled: 1-line block ×4, first 2 shown]
.LBB213_84:                             ; =>This Inner Loop Header: Depth=1
	s_load_dwordx4 s[40:43], s[0:1], 0x1c
	s_load_dwordx2 s[48:49], s[0:1], 0x2c
	s_load_dwordx2 s[50:51], s[0:1], 0xec
	s_load_dwordx4 s[44:47], s[0:1], 0xdc
	s_add_u32 s0, s0, 24
	s_waitcnt lgkmcnt(0)
	v_mul_hi_u32 v3, s41, v1
	s_addc_u32 s1, s1, 0
	s_add_i32 s39, s39, -2
	s_cmp_eq_u32 s39, 0
	v_add_u32_e32 v3, v1, v3
	v_lshrrev_b32_e32 v3, s42, v3
	v_mul_lo_u32 v5, v3, s40
	v_mul_hi_u32 v6, s48, v3
	v_sub_u32_e32 v5, v1, v5
	v_add_u32_e32 v1, v3, v6
	v_lshrrev_b32_e32 v1, s49, v1
	v_mul_lo_u32 v8, v1, s43
	v_mul_lo_u32 v6, v5, s44
	;; [unrolled: 1-line block ×4, first 2 shown]
	v_sub_u32_e32 v3, v3, v8
	v_mul_lo_u32 v8, v3, s47
	v_mul_lo_u32 v9, v3, s50
	;; [unrolled: 1-line block ×3, first 2 shown]
	v_add3_u32 v0, v6, v0, v8
	v_add3_u32 v4, v7, v4, v9
	;; [unrolled: 1-line block ×3, first 2 shown]
	s_cbranch_scc0 .LBB213_84
; %bb.85:
	s_bitcmp1_b32 s37, 0
	s_cselect_b64 s[40:41], -1, 0
	s_and_b64 vcc, exec, s[40:41]
	s_cbranch_vccnz .LBB213_89
; %bb.86:
	s_load_dwordx2 s[40:41], s[0:1], 0x1c
	s_load_dword s39, s[0:1], 0x24
	s_load_dwordx2 s[42:43], s[0:1], 0xdc
	s_waitcnt lgkmcnt(0)
	v_mul_hi_u32 v3, s41, v1
	v_add_u32_e32 v3, v1, v3
	v_lshrrev_b32_e32 v3, s39, v3
	v_mul_lo_u32 v3, v3, s40
	s_load_dword s39, s[0:1], 0xe4
	v_sub_u32_e32 v3, v1, v3
	v_mad_u64_u32 v[0:1], s[0:1], v3, s42, v[0:1]
	v_mad_u64_u32 v[4:5], s[0:1], v3, s43, v[4:5]
	s_waitcnt lgkmcnt(0)
	v_mad_u64_u32 v[2:3], s[0:1], v3, s39, v[2:3]
	s_branch .LBB213_89
.LBB213_87:
                                        ; implicit-def: $vgpr0
                                        ; implicit-def: $vgpr4
                                        ; implicit-def: $vgpr2
	s_branch .LBB213_90
.LBB213_88:
	v_mov_b32_e32 v0, 0
	v_mov_b32_e32 v4, 0
	v_mov_b32_e32 v2, 0
.LBB213_89:
	s_cbranch_execnz .LBB213_92
.LBB213_90:
	v_mul_hi_u32 v0, s13, v31
	s_andn2_b64 vcc, exec, s[28:29]
	v_add_u32_e32 v0, v31, v0
	v_lshrrev_b32_e32 v1, s14, v0
	v_mul_lo_u32 v0, v1, s12
	v_sub_u32_e32 v2, v31, v0
	v_mul_lo_u32 v0, v2, s8
	v_mul_lo_u32 v4, v2, s9
	;; [unrolled: 1-line block ×3, first 2 shown]
	s_cbranch_vccnz .LBB213_92
; %bb.91:
	v_mul_hi_u32 v3, s26, v1
	v_add_u32_e32 v3, v1, v3
	v_lshrrev_b32_e32 v3, s27, v3
	v_mul_lo_u32 v3, v3, s15
	v_sub_u32_e32 v3, v1, v3
	v_mad_u64_u32 v[0:1], s[0:1], v3, s11, v[0:1]
	v_mad_u64_u32 v[4:5], s[0:1], v3, s24, v[4:5]
	;; [unrolled: 1-line block ×3, first 2 shown]
.LBB213_92:
	global_load_ubyte v1, v4, s[6:7]
	global_load_ubyte v3, v2, s[22:23]
	v_add_u32_e32 v31, 0x80, v31
	s_waitcnt vmcnt(1)
	v_cmp_ne_u16_e32 vcc, 0, v1
	s_waitcnt vmcnt(0)
	v_cmp_ne_u16_e64 s[0:1], 0, v3
	s_xor_b64 s[0:1], vcc, s[0:1]
	s_xor_b64 s[0:1], s[20:21], s[0:1]
	v_cndmask_b32_e64 v1, 0, 1, s[0:1]
	global_store_byte v0, v1, s[4:5]
	s_or_b64 exec, exec, s[34:35]
	v_cmp_gt_i32_e32 vcc, s38, v31
	s_and_saveexec_b64 s[34:35], vcc
	s_cbranch_execz .LBB213_105
.LBB213_93:
	s_andn2_b64 vcc, exec, s[16:17]
	s_cbranch_vccnz .LBB213_99
; %bb.94:
	s_andn2_b64 vcc, exec, s[30:31]
	s_cbranch_vccnz .LBB213_100
; %bb.95:
	s_add_i32 s0, s37, 1
	s_and_b32 s30, s0, 30
	s_add_u32 s0, s2, 0xffffffe8
	s_addc_u32 s1, s3, -1
	v_mov_b32_e32 v2, 0
	v_mov_b32_e32 v4, 0
	;; [unrolled: 1-line block ×4, first 2 shown]
.LBB213_96:                             ; =>This Inner Loop Header: Depth=1
	s_load_dwordx4 s[40:43], s[0:1], 0x1c
	s_load_dwordx2 s[38:39], s[0:1], 0x2c
	s_load_dwordx2 s[48:49], s[0:1], 0xec
	s_load_dwordx4 s[44:47], s[0:1], 0xdc
	s_add_u32 s0, s0, 24
	s_waitcnt lgkmcnt(0)
	v_mul_hi_u32 v3, s41, v1
	s_addc_u32 s1, s1, 0
	s_add_i32 s30, s30, -2
	s_cmp_eq_u32 s30, 0
	v_add_u32_e32 v3, v1, v3
	v_lshrrev_b32_e32 v3, s42, v3
	v_mul_lo_u32 v5, v3, s40
	v_mul_hi_u32 v6, s38, v3
	v_sub_u32_e32 v5, v1, v5
	v_add_u32_e32 v1, v3, v6
	v_lshrrev_b32_e32 v1, s39, v1
	v_mul_lo_u32 v8, v1, s43
	v_mul_lo_u32 v6, v5, s44
	;; [unrolled: 1-line block ×4, first 2 shown]
	v_sub_u32_e32 v3, v3, v8
	v_mul_lo_u32 v8, v3, s47
	v_mul_lo_u32 v9, v3, s48
	;; [unrolled: 1-line block ×3, first 2 shown]
	v_add3_u32 v0, v6, v0, v8
	v_add3_u32 v4, v7, v4, v9
	;; [unrolled: 1-line block ×3, first 2 shown]
	s_cbranch_scc0 .LBB213_96
; %bb.97:
	s_bitcmp1_b32 s37, 0
	s_cselect_b64 s[30:31], -1, 0
	s_and_b64 vcc, exec, s[30:31]
	s_cbranch_vccnz .LBB213_101
; %bb.98:
	s_load_dwordx2 s[30:31], s[0:1], 0x1c
	s_load_dword s37, s[0:1], 0x24
	s_load_dwordx2 s[38:39], s[0:1], 0xdc
	s_waitcnt lgkmcnt(0)
	v_mul_hi_u32 v3, s31, v1
	v_add_u32_e32 v3, v1, v3
	v_lshrrev_b32_e32 v3, s37, v3
	v_mul_lo_u32 v3, v3, s30
	s_load_dword s30, s[0:1], 0xe4
	v_sub_u32_e32 v3, v1, v3
	v_mad_u64_u32 v[0:1], s[0:1], v3, s38, v[0:1]
	v_mad_u64_u32 v[4:5], s[0:1], v3, s39, v[4:5]
	s_waitcnt lgkmcnt(0)
	v_mad_u64_u32 v[2:3], s[0:1], v3, s30, v[2:3]
	s_branch .LBB213_101
.LBB213_99:
                                        ; implicit-def: $vgpr0
                                        ; implicit-def: $vgpr4
                                        ; implicit-def: $vgpr2
	s_branch .LBB213_102
.LBB213_100:
	v_mov_b32_e32 v0, 0
	v_mov_b32_e32 v4, 0
	;; [unrolled: 1-line block ×3, first 2 shown]
.LBB213_101:
	s_cbranch_execnz .LBB213_104
.LBB213_102:
	v_mul_hi_u32 v0, s13, v31
	s_andn2_b64 vcc, exec, s[28:29]
	v_add_u32_e32 v0, v31, v0
	v_lshrrev_b32_e32 v1, s14, v0
	v_mul_lo_u32 v0, v1, s12
	v_sub_u32_e32 v2, v31, v0
	v_mul_lo_u32 v0, v2, s8
	v_mul_lo_u32 v4, v2, s9
	;; [unrolled: 1-line block ×3, first 2 shown]
	s_cbranch_vccnz .LBB213_104
; %bb.103:
	v_mul_hi_u32 v3, s26, v1
	v_add_u32_e32 v3, v1, v3
	v_lshrrev_b32_e32 v3, s27, v3
	v_mul_lo_u32 v3, v3, s15
	v_sub_u32_e32 v3, v1, v3
	v_mad_u64_u32 v[0:1], s[0:1], v3, s11, v[0:1]
	v_mad_u64_u32 v[4:5], s[0:1], v3, s24, v[4:5]
	;; [unrolled: 1-line block ×3, first 2 shown]
.LBB213_104:
	global_load_ubyte v1, v4, s[6:7]
	global_load_ubyte v3, v2, s[22:23]
	s_waitcnt vmcnt(1)
	v_cmp_ne_u16_e32 vcc, 0, v1
	s_waitcnt vmcnt(0)
	v_cmp_ne_u16_e64 s[0:1], 0, v3
	s_xor_b64 s[0:1], vcc, s[0:1]
	s_xor_b64 s[0:1], s[20:21], s[0:1]
	v_cndmask_b32_e64 v1, 0, 1, s[0:1]
	global_store_byte v0, v1, s[4:5]
.LBB213_105:
	s_or_b64 exec, exec, s[34:35]
                                        ; implicit-def: $vgpr41
                                        ; implicit-def: $vgpr31
.LBB213_106:
	s_andn2_saveexec_b64 s[0:1], s[18:19]
	s_cbranch_execz .LBB213_113
; %bb.107:
	v_cndmask_b32_e64 v0, 0, 1, s[16:17]
	v_cmp_ne_u32_e64 s[0:1], 1, v0
	s_andn2_b64 vcc, exec, s[16:17]
	s_cbranch_vccnz .LBB213_114
; %bb.108:
	s_cmp_lg_u32 s33, 0
	s_cbranch_scc0 .LBB213_115
; %bb.109:
	s_min_u32 s6, s36, 15
	s_add_i32 s4, s6, 1
	s_and_b32 s7, s4, 30
	s_add_u32 s4, s2, 0xffffffe8
	s_addc_u32 s5, s3, -1
	v_mov_b32_e32 v2, 0
	v_mov_b32_e32 v4, 0
	;; [unrolled: 1-line block ×4, first 2 shown]
.LBB213_110:                            ; =>This Inner Loop Header: Depth=1
	s_load_dwordx4 s[8:11], s[4:5], 0x1c
	s_load_dwordx2 s[16:17], s[4:5], 0x2c
	s_load_dwordx2 s[18:19], s[4:5], 0xec
	s_load_dwordx4 s[12:15], s[4:5], 0xdc
	s_add_u32 s4, s4, 24
	s_waitcnt lgkmcnt(0)
	v_mul_hi_u32 v3, s9, v1
	s_addc_u32 s5, s5, 0
	s_add_i32 s7, s7, -2
	s_cmp_lg_u32 s7, 0
	v_add_u32_e32 v3, v1, v3
	v_lshrrev_b32_e32 v3, s10, v3
	v_mul_lo_u32 v5, v3, s8
	v_mul_hi_u32 v6, s16, v3
	v_sub_u32_e32 v5, v1, v5
	v_add_u32_e32 v1, v3, v6
	v_lshrrev_b32_e32 v1, s17, v1
	v_mul_lo_u32 v8, v1, s11
	v_mul_lo_u32 v6, v5, s12
	;; [unrolled: 1-line block ×4, first 2 shown]
	v_sub_u32_e32 v3, v3, v8
	v_mul_lo_u32 v8, v3, s15
	v_mul_lo_u32 v9, v3, s18
	;; [unrolled: 1-line block ×3, first 2 shown]
	v_add3_u32 v0, v6, v0, v8
	v_add3_u32 v4, v7, v4, v9
	;; [unrolled: 1-line block ×3, first 2 shown]
	s_cbranch_scc1 .LBB213_110
; %bb.111:
	s_bitcmp1_b32 s6, 0
	s_cselect_b64 s[6:7], -1, 0
	s_and_b64 vcc, exec, s[6:7]
	s_cbranch_vccnz .LBB213_116
; %bb.112:
	s_load_dwordx2 s[6:7], s[4:5], 0x1c
	s_load_dword s10, s[4:5], 0x24
	s_load_dwordx2 s[8:9], s[4:5], 0xdc
	s_waitcnt lgkmcnt(0)
	v_mul_hi_u32 v3, s7, v1
	v_add_u32_e32 v3, v1, v3
	v_lshrrev_b32_e32 v3, s10, v3
	v_mul_lo_u32 v3, v3, s6
	s_load_dword s6, s[4:5], 0xe4
	v_sub_u32_e32 v3, v1, v3
	v_mad_u64_u32 v[0:1], s[4:5], v3, s8, v[0:1]
	v_mad_u64_u32 v[4:5], s[4:5], v3, s9, v[4:5]
	s_waitcnt lgkmcnt(0)
	v_mad_u64_u32 v[2:3], s[4:5], v3, s6, v[2:3]
	s_cbranch_execz .LBB213_117
	s_branch .LBB213_119
.LBB213_113:
	s_endpgm
.LBB213_114:
                                        ; implicit-def: $vgpr0
                                        ; implicit-def: $vgpr4
                                        ; implicit-def: $vgpr2
	s_branch .LBB213_117
.LBB213_115:
	v_mov_b32_e32 v0, 0
	v_mov_b32_e32 v4, 0
	;; [unrolled: 1-line block ×3, first 2 shown]
.LBB213_116:
	s_cbranch_execnz .LBB213_119
.LBB213_117:
	s_load_dwordx4 s[4:7], s[2:3], 0x4
	s_load_dwordx4 s[8:11], s[2:3], 0xc4
	s_cmp_lt_u32 s33, 2
	s_waitcnt lgkmcnt(0)
	v_mul_hi_u32 v0, s5, v31
	v_add_u32_e32 v0, v31, v0
	v_lshrrev_b32_e32 v1, s6, v0
	v_mul_lo_u32 v0, v1, s4
	v_sub_u32_e32 v2, v31, v0
	v_mul_lo_u32 v0, v2, s8
	v_mul_lo_u32 v4, v2, s9
	;; [unrolled: 1-line block ×3, first 2 shown]
	s_cbranch_scc1 .LBB213_119
; %bb.118:
	s_load_dwordx4 s[4:7], s[2:3], 0x10
	s_load_dwordx4 s[8:11], s[2:3], 0xd0
	s_waitcnt lgkmcnt(0)
	v_mul_hi_u32 v3, s5, v1
	v_add_u32_e32 v3, v1, v3
	v_lshrrev_b32_e32 v3, s6, v3
	v_mul_lo_u32 v3, v3, s4
	v_sub_u32_e32 v3, v1, v3
	v_mad_u64_u32 v[0:1], s[4:5], v3, s8, v[0:1]
	v_mad_u64_u32 v[4:5], s[4:5], v3, s9, v[4:5]
	;; [unrolled: 1-line block ×3, first 2 shown]
.LBB213_119:
	s_and_b64 vcc, exec, s[0:1]
	v_add_u32_e32 v1, 0x80, v31
	s_cbranch_vccnz .LBB213_125
; %bb.120:
	s_cmp_lg_u32 s33, 0
	s_cbranch_scc0 .LBB213_126
; %bb.121:
	s_min_u32 s6, s36, 15
	s_add_i32 s4, s6, 1
	s_and_b32 s7, s4, 30
	s_add_u32 s4, s2, 0xffffffe8
	s_addc_u32 s5, s3, -1
	v_mov_b32_e32 v7, 0
	v_mov_b32_e32 v9, 0
	;; [unrolled: 1-line block ×4, first 2 shown]
.LBB213_122:                            ; =>This Inner Loop Header: Depth=1
	s_load_dwordx4 s[8:11], s[4:5], 0x1c
	s_load_dwordx2 s[16:17], s[4:5], 0x2c
	s_load_dwordx2 s[18:19], s[4:5], 0xec
	s_load_dwordx4 s[12:15], s[4:5], 0xdc
	s_add_u32 s4, s4, 24
	s_waitcnt lgkmcnt(0)
	v_mul_hi_u32 v6, s9, v3
	s_addc_u32 s5, s5, 0
	s_add_i32 s7, s7, -2
	s_cmp_lg_u32 s7, 0
	v_add_u32_e32 v6, v3, v6
	v_lshrrev_b32_e32 v6, s10, v6
	v_mul_lo_u32 v8, v6, s8
	v_mul_hi_u32 v10, s16, v6
	v_sub_u32_e32 v8, v3, v8
	v_add_u32_e32 v3, v6, v10
	v_lshrrev_b32_e32 v3, s17, v3
	v_mul_lo_u32 v12, v3, s11
	v_mul_lo_u32 v10, v8, s12
	;; [unrolled: 1-line block ×4, first 2 shown]
	v_sub_u32_e32 v6, v6, v12
	v_mul_lo_u32 v12, v6, s15
	v_mul_lo_u32 v13, v6, s18
	;; [unrolled: 1-line block ×3, first 2 shown]
	v_add3_u32 v5, v10, v5, v12
	v_add3_u32 v9, v11, v9, v13
	;; [unrolled: 1-line block ×3, first 2 shown]
	s_cbranch_scc1 .LBB213_122
; %bb.123:
	s_bitcmp1_b32 s6, 0
	s_cselect_b64 s[6:7], -1, 0
	s_and_b64 vcc, exec, s[6:7]
	s_cbranch_vccnz .LBB213_127
; %bb.124:
	s_load_dwordx2 s[6:7], s[4:5], 0x1c
	s_load_dword s10, s[4:5], 0x24
	s_load_dwordx2 s[8:9], s[4:5], 0xdc
	s_waitcnt lgkmcnt(0)
	v_mul_hi_u32 v6, s7, v3
	v_add_u32_e32 v6, v3, v6
	v_lshrrev_b32_e32 v6, s10, v6
	v_mul_lo_u32 v6, v6, s6
	s_load_dword s6, s[4:5], 0xe4
	v_sub_u32_e32 v3, v3, v6
	v_mad_u64_u32 v[5:6], s[4:5], v3, s8, v[5:6]
	v_mad_u64_u32 v[9:10], s[4:5], v3, s9, v[9:10]
	s_waitcnt lgkmcnt(0)
	v_mad_u64_u32 v[7:8], s[4:5], v3, s6, v[7:8]
	s_cbranch_execz .LBB213_128
	s_branch .LBB213_130
.LBB213_125:
                                        ; implicit-def: $vgpr5
                                        ; implicit-def: $vgpr9
                                        ; implicit-def: $vgpr7
	s_branch .LBB213_128
.LBB213_126:
	v_mov_b32_e32 v5, 0
	v_mov_b32_e32 v9, 0
	;; [unrolled: 1-line block ×3, first 2 shown]
.LBB213_127:
	s_cbranch_execnz .LBB213_130
.LBB213_128:
	s_load_dwordx4 s[4:7], s[2:3], 0x4
	s_load_dwordx4 s[8:11], s[2:3], 0xc4
	s_cmp_lt_u32 s33, 2
	s_waitcnt lgkmcnt(0)
	v_mul_hi_u32 v3, s5, v1
	v_add_u32_e32 v3, v1, v3
	v_lshrrev_b32_e32 v3, s6, v3
	v_mul_lo_u32 v5, v3, s4
	v_sub_u32_e32 v1, v1, v5
	v_mul_lo_u32 v5, v1, s8
	v_mul_lo_u32 v9, v1, s9
	;; [unrolled: 1-line block ×3, first 2 shown]
	s_cbranch_scc1 .LBB213_130
; %bb.129:
	s_load_dwordx4 s[4:7], s[2:3], 0x10
	s_load_dwordx4 s[8:11], s[2:3], 0xd0
	s_waitcnt lgkmcnt(0)
	v_mul_hi_u32 v1, s5, v3
	v_add_u32_e32 v1, v3, v1
	v_lshrrev_b32_e32 v1, s6, v1
	v_mul_lo_u32 v1, v1, s4
	v_sub_u32_e32 v1, v3, v1
	v_mad_u64_u32 v[5:6], s[4:5], v1, s8, v[5:6]
	v_mad_u64_u32 v[9:10], s[4:5], v1, s9, v[9:10]
	;; [unrolled: 1-line block ×3, first 2 shown]
.LBB213_130:
	s_and_b64 vcc, exec, s[0:1]
	v_add_u32_e32 v1, 0x100, v31
	s_cbranch_vccnz .LBB213_136
; %bb.131:
	s_cmp_lg_u32 s33, 0
	s_cbranch_scc0 .LBB213_137
; %bb.132:
	s_min_u32 s6, s36, 15
	s_add_i32 s4, s6, 1
	s_and_b32 s7, s4, 30
	s_add_u32 s4, s2, 0xffffffe8
	s_addc_u32 s5, s3, -1
	v_mov_b32_e32 v12, 0
	v_mov_b32_e32 v14, 0
	;; [unrolled: 1-line block ×4, first 2 shown]
.LBB213_133:                            ; =>This Inner Loop Header: Depth=1
	s_load_dwordx4 s[8:11], s[4:5], 0x1c
	s_load_dwordx2 s[16:17], s[4:5], 0x2c
	s_load_dwordx2 s[18:19], s[4:5], 0xec
	s_load_dwordx4 s[12:15], s[4:5], 0xdc
	s_add_u32 s4, s4, 24
	s_waitcnt lgkmcnt(0)
	v_mul_hi_u32 v6, s9, v3
	s_addc_u32 s5, s5, 0
	s_add_i32 s7, s7, -2
	s_cmp_lg_u32 s7, 0
	v_add_u32_e32 v6, v3, v6
	v_lshrrev_b32_e32 v6, s10, v6
	v_mul_lo_u32 v8, v6, s8
	v_mul_hi_u32 v11, s16, v6
	v_sub_u32_e32 v8, v3, v8
	v_add_u32_e32 v3, v6, v11
	v_lshrrev_b32_e32 v3, s17, v3
	v_mul_lo_u32 v15, v3, s11
	v_mul_lo_u32 v11, v8, s12
	;; [unrolled: 1-line block ×4, first 2 shown]
	v_sub_u32_e32 v6, v6, v15
	v_mul_lo_u32 v15, v6, s15
	v_mul_lo_u32 v16, v6, s18
	;; [unrolled: 1-line block ×3, first 2 shown]
	v_add3_u32 v10, v11, v10, v15
	v_add3_u32 v14, v13, v14, v16
	;; [unrolled: 1-line block ×3, first 2 shown]
	s_cbranch_scc1 .LBB213_133
; %bb.134:
	s_bitcmp1_b32 s6, 0
	s_cselect_b64 s[6:7], -1, 0
	s_and_b64 vcc, exec, s[6:7]
	s_cbranch_vccnz .LBB213_138
; %bb.135:
	s_load_dwordx2 s[6:7], s[4:5], 0x1c
	s_load_dword s10, s[4:5], 0x24
	s_load_dwordx2 s[8:9], s[4:5], 0xdc
	s_waitcnt lgkmcnt(0)
	v_mul_hi_u32 v6, s7, v3
	v_add_u32_e32 v6, v3, v6
	v_lshrrev_b32_e32 v6, s10, v6
	v_mul_lo_u32 v6, v6, s6
	s_load_dword s6, s[4:5], 0xe4
	v_sub_u32_e32 v3, v3, v6
	v_mad_u64_u32 v[10:11], s[4:5], v3, s8, v[10:11]
	v_mad_u64_u32 v[14:15], s[4:5], v3, s9, v[14:15]
	s_waitcnt lgkmcnt(0)
	v_mad_u64_u32 v[12:13], s[4:5], v3, s6, v[12:13]
	s_cbranch_execz .LBB213_139
	s_branch .LBB213_141
.LBB213_136:
                                        ; implicit-def: $vgpr10
                                        ; implicit-def: $vgpr14
                                        ; implicit-def: $vgpr12
	s_branch .LBB213_139
.LBB213_137:
	v_mov_b32_e32 v10, 0
	v_mov_b32_e32 v14, 0
	v_mov_b32_e32 v12, 0
.LBB213_138:
	s_cbranch_execnz .LBB213_141
.LBB213_139:
	s_load_dwordx4 s[4:7], s[2:3], 0x4
	s_load_dwordx4 s[8:11], s[2:3], 0xc4
	s_cmp_lt_u32 s33, 2
	s_waitcnt lgkmcnt(0)
	v_mul_hi_u32 v3, s5, v1
	v_add_u32_e32 v3, v1, v3
	v_lshrrev_b32_e32 v3, s6, v3
	v_mul_lo_u32 v6, v3, s4
	v_sub_u32_e32 v1, v1, v6
	v_mul_lo_u32 v10, v1, s8
	v_mul_lo_u32 v14, v1, s9
	;; [unrolled: 1-line block ×3, first 2 shown]
	s_cbranch_scc1 .LBB213_141
; %bb.140:
	s_load_dwordx4 s[4:7], s[2:3], 0x10
	s_load_dwordx4 s[8:11], s[2:3], 0xd0
	s_waitcnt lgkmcnt(0)
	v_mul_hi_u32 v1, s5, v3
	v_add_u32_e32 v1, v3, v1
	v_lshrrev_b32_e32 v1, s6, v1
	v_mul_lo_u32 v1, v1, s4
	v_sub_u32_e32 v1, v3, v1
	v_mad_u64_u32 v[10:11], s[4:5], v1, s8, v[10:11]
	v_mad_u64_u32 v[14:15], s[4:5], v1, s9, v[14:15]
	;; [unrolled: 1-line block ×3, first 2 shown]
.LBB213_141:
	s_and_b64 vcc, exec, s[0:1]
	v_add_u32_e32 v1, 0x180, v31
	s_cbranch_vccnz .LBB213_147
; %bb.142:
	s_cmp_lg_u32 s33, 0
	s_cbranch_scc0 .LBB213_148
; %bb.143:
	s_min_u32 s6, s36, 15
	s_add_i32 s4, s6, 1
	s_and_b32 s7, s4, 30
	s_add_u32 s4, s2, 0xffffffe8
	s_addc_u32 s5, s3, -1
	v_mov_b32_e32 v19, 0
	v_mov_b32_e32 v17, 0
	;; [unrolled: 1-line block ×4, first 2 shown]
.LBB213_144:                            ; =>This Inner Loop Header: Depth=1
	s_load_dwordx4 s[8:11], s[4:5], 0x1c
	s_load_dwordx2 s[16:17], s[4:5], 0x2c
	s_load_dwordx2 s[18:19], s[4:5], 0xec
	s_load_dwordx4 s[12:15], s[4:5], 0xdc
	s_add_u32 s4, s4, 24
	s_waitcnt lgkmcnt(0)
	v_mul_hi_u32 v6, s9, v3
	s_addc_u32 s5, s5, 0
	s_add_i32 s7, s7, -2
	s_cmp_lg_u32 s7, 0
	v_add_u32_e32 v6, v3, v6
	v_lshrrev_b32_e32 v6, s10, v6
	v_mul_lo_u32 v8, v6, s8
	v_mul_hi_u32 v11, s16, v6
	v_sub_u32_e32 v8, v3, v8
	v_add_u32_e32 v3, v6, v11
	v_lshrrev_b32_e32 v3, s17, v3
	v_mul_lo_u32 v16, v3, s11
	v_mul_lo_u32 v11, v8, s12
	;; [unrolled: 1-line block ×4, first 2 shown]
	v_sub_u32_e32 v6, v6, v16
	v_mul_lo_u32 v16, v6, s15
	v_mul_lo_u32 v18, v6, s18
	;; [unrolled: 1-line block ×3, first 2 shown]
	v_add3_u32 v15, v11, v15, v16
	v_add3_u32 v17, v13, v17, v18
	;; [unrolled: 1-line block ×3, first 2 shown]
	s_cbranch_scc1 .LBB213_144
; %bb.145:
	s_bitcmp1_b32 s6, 0
	s_cselect_b64 s[6:7], -1, 0
	s_and_b64 vcc, exec, s[6:7]
	s_cbranch_vccnz .LBB213_149
; %bb.146:
	s_load_dwordx2 s[6:7], s[4:5], 0x1c
	s_load_dword s10, s[4:5], 0x24
	s_load_dwordx2 s[8:9], s[4:5], 0xdc
	s_waitcnt lgkmcnt(0)
	v_mul_hi_u32 v6, s7, v3
	v_add_u32_e32 v6, v3, v6
	v_lshrrev_b32_e32 v6, s10, v6
	v_mul_lo_u32 v6, v6, s6
	s_load_dword s6, s[4:5], 0xe4
	v_sub_u32_e32 v3, v3, v6
	v_mad_u64_u32 v[15:16], s[4:5], v3, s8, v[15:16]
	v_mad_u64_u32 v[17:18], s[4:5], v3, s9, v[17:18]
	s_waitcnt lgkmcnt(0)
	v_mad_u64_u32 v[19:20], s[4:5], v3, s6, v[19:20]
	s_cbranch_execz .LBB213_150
	s_branch .LBB213_152
.LBB213_147:
                                        ; implicit-def: $vgpr15
                                        ; implicit-def: $vgpr17
                                        ; implicit-def: $vgpr19
	s_branch .LBB213_150
.LBB213_148:
	v_mov_b32_e32 v15, 0
	v_mov_b32_e32 v17, 0
	;; [unrolled: 1-line block ×3, first 2 shown]
.LBB213_149:
	s_cbranch_execnz .LBB213_152
.LBB213_150:
	s_load_dwordx4 s[4:7], s[2:3], 0x4
	s_load_dwordx4 s[8:11], s[2:3], 0xc4
	s_cmp_lt_u32 s33, 2
	s_waitcnt lgkmcnt(0)
	v_mul_hi_u32 v3, s5, v1
	v_add_u32_e32 v3, v1, v3
	v_lshrrev_b32_e32 v3, s6, v3
	v_mul_lo_u32 v6, v3, s4
	v_sub_u32_e32 v1, v1, v6
	v_mul_lo_u32 v15, v1, s8
	v_mul_lo_u32 v17, v1, s9
	;; [unrolled: 1-line block ×3, first 2 shown]
	s_cbranch_scc1 .LBB213_152
; %bb.151:
	s_load_dwordx4 s[4:7], s[2:3], 0x10
	s_load_dwordx4 s[8:11], s[2:3], 0xd0
	s_waitcnt lgkmcnt(0)
	v_mul_hi_u32 v1, s5, v3
	v_add_u32_e32 v1, v3, v1
	v_lshrrev_b32_e32 v1, s6, v1
	v_mul_lo_u32 v1, v1, s4
	v_sub_u32_e32 v1, v3, v1
	v_mad_u64_u32 v[15:16], s[4:5], v1, s8, v[15:16]
	v_mad_u64_u32 v[17:18], s[4:5], v1, s9, v[17:18]
	;; [unrolled: 1-line block ×3, first 2 shown]
.LBB213_152:
	s_and_b64 vcc, exec, s[0:1]
	v_add_u32_e32 v1, 0x200, v31
	s_cbranch_vccnz .LBB213_158
; %bb.153:
	s_cmp_lg_u32 s33, 0
	s_cbranch_scc0 .LBB213_159
; %bb.154:
	s_min_u32 s6, s36, 15
	s_add_i32 s4, s6, 1
	s_and_b32 s7, s4, 30
	s_add_u32 s4, s2, 0xffffffe8
	s_addc_u32 s5, s3, -1
	v_mov_b32_e32 v24, 0
	v_mov_b32_e32 v22, 0
	;; [unrolled: 1-line block ×4, first 2 shown]
.LBB213_155:                            ; =>This Inner Loop Header: Depth=1
	s_load_dwordx4 s[8:11], s[4:5], 0x1c
	s_load_dwordx2 s[16:17], s[4:5], 0x2c
	s_load_dwordx2 s[18:19], s[4:5], 0xec
	s_load_dwordx4 s[12:15], s[4:5], 0xdc
	s_add_u32 s4, s4, 24
	s_waitcnt lgkmcnt(0)
	v_mul_hi_u32 v6, s9, v3
	s_addc_u32 s5, s5, 0
	s_add_i32 s7, s7, -2
	s_cmp_lg_u32 s7, 0
	v_add_u32_e32 v6, v3, v6
	v_lshrrev_b32_e32 v6, s10, v6
	v_mul_lo_u32 v8, v6, s8
	v_mul_hi_u32 v11, s16, v6
	v_sub_u32_e32 v8, v3, v8
	v_add_u32_e32 v3, v6, v11
	v_lshrrev_b32_e32 v3, s17, v3
	v_mul_lo_u32 v16, v3, s11
	v_mul_lo_u32 v11, v8, s12
	;; [unrolled: 1-line block ×4, first 2 shown]
	v_sub_u32_e32 v6, v6, v16
	v_mul_lo_u32 v16, v6, s15
	v_mul_lo_u32 v18, v6, s18
	;; [unrolled: 1-line block ×3, first 2 shown]
	v_add3_u32 v20, v11, v20, v16
	v_add3_u32 v22, v13, v22, v18
	;; [unrolled: 1-line block ×3, first 2 shown]
	s_cbranch_scc1 .LBB213_155
; %bb.156:
	s_bitcmp1_b32 s6, 0
	s_cselect_b64 s[6:7], -1, 0
	s_and_b64 vcc, exec, s[6:7]
	s_cbranch_vccnz .LBB213_160
; %bb.157:
	s_load_dwordx2 s[6:7], s[4:5], 0x1c
	s_load_dword s10, s[4:5], 0x24
	s_load_dwordx2 s[8:9], s[4:5], 0xdc
	s_waitcnt lgkmcnt(0)
	v_mul_hi_u32 v6, s7, v3
	v_add_u32_e32 v6, v3, v6
	v_lshrrev_b32_e32 v6, s10, v6
	v_mul_lo_u32 v6, v6, s6
	s_load_dword s6, s[4:5], 0xe4
	v_sub_u32_e32 v3, v3, v6
	v_mad_u64_u32 v[20:21], s[4:5], v3, s8, v[20:21]
	v_mad_u64_u32 v[22:23], s[4:5], v3, s9, v[22:23]
	s_waitcnt lgkmcnt(0)
	v_mad_u64_u32 v[24:25], s[4:5], v3, s6, v[24:25]
	s_cbranch_execz .LBB213_161
	s_branch .LBB213_163
.LBB213_158:
                                        ; implicit-def: $vgpr20
                                        ; implicit-def: $vgpr22
                                        ; implicit-def: $vgpr24
	s_branch .LBB213_161
.LBB213_159:
	v_mov_b32_e32 v20, 0
	v_mov_b32_e32 v22, 0
	;; [unrolled: 1-line block ×3, first 2 shown]
.LBB213_160:
	s_cbranch_execnz .LBB213_163
.LBB213_161:
	s_load_dwordx4 s[4:7], s[2:3], 0x4
	s_load_dwordx4 s[8:11], s[2:3], 0xc4
	s_cmp_lt_u32 s33, 2
	s_waitcnt lgkmcnt(0)
	v_mul_hi_u32 v3, s5, v1
	v_add_u32_e32 v3, v1, v3
	v_lshrrev_b32_e32 v3, s6, v3
	v_mul_lo_u32 v6, v3, s4
	v_sub_u32_e32 v1, v1, v6
	v_mul_lo_u32 v20, v1, s8
	v_mul_lo_u32 v22, v1, s9
	;; [unrolled: 1-line block ×3, first 2 shown]
	s_cbranch_scc1 .LBB213_163
; %bb.162:
	s_load_dwordx4 s[4:7], s[2:3], 0x10
	s_load_dwordx4 s[8:11], s[2:3], 0xd0
	s_waitcnt lgkmcnt(0)
	v_mul_hi_u32 v1, s5, v3
	v_add_u32_e32 v1, v3, v1
	v_lshrrev_b32_e32 v1, s6, v1
	v_mul_lo_u32 v1, v1, s4
	v_sub_u32_e32 v1, v3, v1
	v_mad_u64_u32 v[20:21], s[4:5], v1, s8, v[20:21]
	v_mad_u64_u32 v[22:23], s[4:5], v1, s9, v[22:23]
	;; [unrolled: 1-line block ×3, first 2 shown]
.LBB213_163:
	s_and_b64 vcc, exec, s[0:1]
	v_add_u32_e32 v1, 0x280, v31
	s_cbranch_vccnz .LBB213_169
; %bb.164:
	s_cmp_lg_u32 s33, 0
	s_cbranch_scc0 .LBB213_170
; %bb.165:
	s_min_u32 s6, s36, 15
	s_add_i32 s4, s6, 1
	s_and_b32 s7, s4, 30
	s_add_u32 s4, s2, 0xffffffe8
	s_addc_u32 s5, s3, -1
	v_mov_b32_e32 v27, 0
	v_mov_b32_e32 v29, 0
	;; [unrolled: 1-line block ×4, first 2 shown]
.LBB213_166:                            ; =>This Inner Loop Header: Depth=1
	s_load_dwordx4 s[8:11], s[4:5], 0x1c
	s_load_dwordx2 s[16:17], s[4:5], 0x2c
	s_load_dwordx2 s[18:19], s[4:5], 0xec
	s_load_dwordx4 s[12:15], s[4:5], 0xdc
	s_add_u32 s4, s4, 24
	s_waitcnt lgkmcnt(0)
	v_mul_hi_u32 v6, s9, v3
	s_addc_u32 s5, s5, 0
	s_add_i32 s7, s7, -2
	s_cmp_lg_u32 s7, 0
	v_add_u32_e32 v6, v3, v6
	v_lshrrev_b32_e32 v6, s10, v6
	v_mul_lo_u32 v8, v6, s8
	v_mul_hi_u32 v11, s16, v6
	v_sub_u32_e32 v8, v3, v8
	v_add_u32_e32 v3, v6, v11
	v_lshrrev_b32_e32 v3, s17, v3
	v_mul_lo_u32 v16, v3, s11
	v_mul_lo_u32 v11, v8, s12
	;; [unrolled: 1-line block ×4, first 2 shown]
	v_sub_u32_e32 v6, v6, v16
	v_mul_lo_u32 v16, v6, s15
	v_mul_lo_u32 v18, v6, s18
	;; [unrolled: 1-line block ×3, first 2 shown]
	v_add3_u32 v25, v11, v25, v16
	v_add3_u32 v29, v13, v29, v18
	;; [unrolled: 1-line block ×3, first 2 shown]
	s_cbranch_scc1 .LBB213_166
; %bb.167:
	s_bitcmp1_b32 s6, 0
	s_cselect_b64 s[6:7], -1, 0
	s_and_b64 vcc, exec, s[6:7]
	s_cbranch_vccnz .LBB213_171
; %bb.168:
	s_load_dwordx2 s[6:7], s[4:5], 0x1c
	s_load_dword s10, s[4:5], 0x24
	s_load_dwordx2 s[8:9], s[4:5], 0xdc
	s_waitcnt lgkmcnt(0)
	v_mul_hi_u32 v6, s7, v3
	v_add_u32_e32 v6, v3, v6
	v_lshrrev_b32_e32 v6, s10, v6
	v_mul_lo_u32 v6, v6, s6
	s_load_dword s6, s[4:5], 0xe4
	v_sub_u32_e32 v3, v3, v6
	v_mad_u64_u32 v[25:26], s[4:5], v3, s8, v[25:26]
	v_mad_u64_u32 v[29:30], s[4:5], v3, s9, v[29:30]
	s_waitcnt lgkmcnt(0)
	v_mad_u64_u32 v[27:28], s[4:5], v3, s6, v[27:28]
	s_cbranch_execz .LBB213_172
	s_branch .LBB213_174
.LBB213_169:
                                        ; implicit-def: $vgpr25
                                        ; implicit-def: $vgpr29
                                        ; implicit-def: $vgpr27
	s_branch .LBB213_172
.LBB213_170:
	v_mov_b32_e32 v25, 0
	v_mov_b32_e32 v29, 0
	;; [unrolled: 1-line block ×3, first 2 shown]
.LBB213_171:
	s_cbranch_execnz .LBB213_174
.LBB213_172:
	s_load_dwordx4 s[4:7], s[2:3], 0x4
	s_load_dwordx4 s[8:11], s[2:3], 0xc4
	s_cmp_lt_u32 s33, 2
	s_waitcnt lgkmcnt(0)
	v_mul_hi_u32 v3, s5, v1
	v_add_u32_e32 v3, v1, v3
	v_lshrrev_b32_e32 v3, s6, v3
	v_mul_lo_u32 v6, v3, s4
	v_sub_u32_e32 v1, v1, v6
	v_mul_lo_u32 v25, v1, s8
	v_mul_lo_u32 v29, v1, s9
	v_mul_lo_u32 v27, v1, s10
	s_cbranch_scc1 .LBB213_174
; %bb.173:
	s_load_dwordx4 s[4:7], s[2:3], 0x10
	s_load_dwordx4 s[8:11], s[2:3], 0xd0
	s_waitcnt lgkmcnt(0)
	v_mul_hi_u32 v1, s5, v3
	v_add_u32_e32 v1, v3, v1
	v_lshrrev_b32_e32 v1, s6, v1
	v_mul_lo_u32 v1, v1, s4
	v_sub_u32_e32 v1, v3, v1
	v_mad_u64_u32 v[25:26], s[4:5], v1, s8, v[25:26]
	v_mad_u64_u32 v[29:30], s[4:5], v1, s9, v[29:30]
	;; [unrolled: 1-line block ×3, first 2 shown]
.LBB213_174:
	s_and_b64 vcc, exec, s[0:1]
	v_add_u32_e32 v1, 0x300, v31
	s_cbranch_vccnz .LBB213_180
; %bb.175:
	s_cmp_lg_u32 s33, 0
	s_cbranch_scc0 .LBB213_181
; %bb.176:
	s_min_u32 s6, s36, 15
	s_add_i32 s4, s6, 1
	s_and_b32 s7, s4, 30
	s_add_u32 s4, s2, 0xffffffe8
	s_addc_u32 s5, s3, -1
	v_mov_b32_e32 v32, 0
	v_mov_b32_e32 v34, 0
	v_mov_b32_e32 v30, 0
	v_mov_b32_e32 v3, v1
.LBB213_177:                            ; =>This Inner Loop Header: Depth=1
	s_load_dwordx4 s[8:11], s[4:5], 0x1c
	s_load_dwordx2 s[16:17], s[4:5], 0x2c
	s_load_dwordx2 s[18:19], s[4:5], 0xec
	s_load_dwordx4 s[12:15], s[4:5], 0xdc
	s_add_u32 s4, s4, 24
	s_waitcnt lgkmcnt(0)
	v_mul_hi_u32 v6, s9, v3
	s_addc_u32 s5, s5, 0
	s_add_i32 s7, s7, -2
	s_cmp_lg_u32 s7, 0
	v_add_u32_e32 v6, v3, v6
	v_lshrrev_b32_e32 v6, s10, v6
	v_mul_lo_u32 v8, v6, s8
	v_mul_hi_u32 v11, s16, v6
	v_sub_u32_e32 v8, v3, v8
	v_add_u32_e32 v3, v6, v11
	v_lshrrev_b32_e32 v3, s17, v3
	v_mul_lo_u32 v16, v3, s11
	v_mul_lo_u32 v11, v8, s12
	v_mul_lo_u32 v13, v8, s13
	v_mul_lo_u32 v8, v8, s14
	v_sub_u32_e32 v6, v6, v16
	v_mul_lo_u32 v16, v6, s15
	v_mul_lo_u32 v18, v6, s18
	;; [unrolled: 1-line block ×3, first 2 shown]
	v_add3_u32 v30, v11, v30, v16
	v_add3_u32 v34, v13, v34, v18
	;; [unrolled: 1-line block ×3, first 2 shown]
	s_cbranch_scc1 .LBB213_177
; %bb.178:
	s_bitcmp1_b32 s6, 0
	s_cselect_b64 s[6:7], -1, 0
	s_and_b64 vcc, exec, s[6:7]
	s_cbranch_vccnz .LBB213_182
; %bb.179:
	s_load_dwordx2 s[6:7], s[4:5], 0x1c
	s_load_dword s10, s[4:5], 0x24
	s_load_dwordx2 s[8:9], s[4:5], 0xdc
	s_waitcnt lgkmcnt(0)
	v_mul_hi_u32 v6, s7, v3
	v_add_u32_e32 v6, v3, v6
	v_lshrrev_b32_e32 v6, s10, v6
	v_mul_lo_u32 v6, v6, s6
	s_load_dword s6, s[4:5], 0xe4
	v_sub_u32_e32 v3, v3, v6
	v_mad_u64_u32 v[30:31], s[4:5], v3, s8, v[30:31]
	v_mad_u64_u32 v[34:35], s[4:5], v3, s9, v[34:35]
	s_waitcnt lgkmcnt(0)
	v_mad_u64_u32 v[32:33], s[4:5], v3, s6, v[32:33]
	s_cbranch_execz .LBB213_183
	s_branch .LBB213_185
.LBB213_180:
                                        ; implicit-def: $vgpr30
                                        ; implicit-def: $vgpr34
                                        ; implicit-def: $vgpr32
	s_branch .LBB213_183
.LBB213_181:
	v_mov_b32_e32 v30, 0
	v_mov_b32_e32 v34, 0
	;; [unrolled: 1-line block ×3, first 2 shown]
.LBB213_182:
	s_cbranch_execnz .LBB213_185
.LBB213_183:
	s_load_dwordx4 s[4:7], s[2:3], 0x4
	s_load_dwordx4 s[8:11], s[2:3], 0xc4
	s_cmp_lt_u32 s33, 2
	s_waitcnt lgkmcnt(0)
	v_mul_hi_u32 v3, s5, v1
	v_add_u32_e32 v3, v1, v3
	v_lshrrev_b32_e32 v3, s6, v3
	v_mul_lo_u32 v6, v3, s4
	v_sub_u32_e32 v1, v1, v6
	v_mul_lo_u32 v30, v1, s8
	v_mul_lo_u32 v34, v1, s9
	;; [unrolled: 1-line block ×3, first 2 shown]
	s_cbranch_scc1 .LBB213_185
; %bb.184:
	s_load_dwordx4 s[4:7], s[2:3], 0x10
	s_load_dwordx4 s[8:11], s[2:3], 0xd0
	s_waitcnt lgkmcnt(0)
	v_mul_hi_u32 v1, s5, v3
	v_add_u32_e32 v1, v3, v1
	v_lshrrev_b32_e32 v1, s6, v1
	v_mul_lo_u32 v1, v1, s4
	v_sub_u32_e32 v1, v3, v1
	v_mad_u64_u32 v[30:31], s[4:5], v1, s8, v[30:31]
	v_mad_u64_u32 v[34:35], s[4:5], v1, s9, v[34:35]
	;; [unrolled: 1-line block ×3, first 2 shown]
.LBB213_185:
	s_and_b64 vcc, exec, s[0:1]
	s_cbranch_vccnz .LBB213_191
; %bb.186:
	s_cmp_lg_u32 s33, 0
	s_cbranch_scc0 .LBB213_192
; %bb.187:
	s_min_u32 s4, s36, 15
	s_add_i32 s0, s4, 1
	s_and_b32 s5, s0, 30
	s_add_u32 s0, s2, 0xffffffe8
	s_addc_u32 s1, s3, -1
	v_mov_b32_e32 v37, 0
	v_mov_b32_e32 v39, 0
	v_mov_b32_e32 v35, 0
	v_mov_b32_e32 v1, v41
.LBB213_188:                            ; =>This Inner Loop Header: Depth=1
	s_load_dwordx4 s[8:11], s[0:1], 0x1c
	s_load_dwordx2 s[6:7], s[0:1], 0x2c
	s_load_dwordx2 s[16:17], s[0:1], 0xec
	s_load_dwordx4 s[12:15], s[0:1], 0xdc
	s_add_u32 s0, s0, 24
	s_waitcnt lgkmcnt(0)
	v_mul_hi_u32 v3, s9, v1
	s_addc_u32 s1, s1, 0
	s_add_i32 s5, s5, -2
	s_cmp_lg_u32 s5, 0
	v_add_u32_e32 v3, v1, v3
	v_lshrrev_b32_e32 v3, s10, v3
	v_mul_lo_u32 v6, v3, s8
	v_mul_hi_u32 v8, s6, v3
	v_sub_u32_e32 v6, v1, v6
	v_add_u32_e32 v1, v3, v8
	v_lshrrev_b32_e32 v1, s7, v1
	v_mul_lo_u32 v13, v1, s11
	v_mul_lo_u32 v8, v6, s12
	;; [unrolled: 1-line block ×4, first 2 shown]
	v_sub_u32_e32 v3, v3, v13
	v_mul_lo_u32 v13, v3, s15
	v_mul_lo_u32 v16, v3, s16
	;; [unrolled: 1-line block ×3, first 2 shown]
	v_add3_u32 v35, v8, v35, v13
	v_add3_u32 v39, v11, v39, v16
	;; [unrolled: 1-line block ×3, first 2 shown]
	s_cbranch_scc1 .LBB213_188
; %bb.189:
	s_bitcmp1_b32 s4, 0
	s_cselect_b64 s[4:5], -1, 0
	s_and_b64 vcc, exec, s[4:5]
	s_cbranch_vccnz .LBB213_193
; %bb.190:
	s_load_dwordx2 s[4:5], s[0:1], 0x1c
	s_load_dword s8, s[0:1], 0x24
	s_load_dwordx2 s[6:7], s[0:1], 0xdc
	s_waitcnt lgkmcnt(0)
	v_mul_hi_u32 v3, s5, v1
	v_add_u32_e32 v3, v1, v3
	v_lshrrev_b32_e32 v3, s8, v3
	v_mul_lo_u32 v3, v3, s4
	s_load_dword s4, s[0:1], 0xe4
	v_sub_u32_e32 v1, v1, v3
	v_mad_u64_u32 v[35:36], s[0:1], v1, s6, v[35:36]
	v_mad_u64_u32 v[39:40], s[0:1], v1, s7, v[39:40]
	s_waitcnt lgkmcnt(0)
	v_mad_u64_u32 v[37:38], s[0:1], v1, s4, v[37:38]
	s_cbranch_execz .LBB213_194
	s_branch .LBB213_196
.LBB213_191:
                                        ; implicit-def: $vgpr35
                                        ; implicit-def: $vgpr39
                                        ; implicit-def: $vgpr37
	s_branch .LBB213_194
.LBB213_192:
	v_mov_b32_e32 v35, 0
	v_mov_b32_e32 v39, 0
	;; [unrolled: 1-line block ×3, first 2 shown]
.LBB213_193:
	s_cbranch_execnz .LBB213_196
.LBB213_194:
	s_load_dwordx4 s[4:7], s[2:3], 0x4
	s_load_dwordx4 s[8:11], s[2:3], 0xc4
	s_cmp_lt_u32 s33, 2
	s_waitcnt lgkmcnt(0)
	v_mul_hi_u32 v1, s5, v41
	v_add_u32_e32 v1, v41, v1
	v_lshrrev_b32_e32 v1, s6, v1
	v_mul_lo_u32 v3, v1, s4
	v_sub_u32_e32 v3, v41, v3
	v_mul_lo_u32 v35, v3, s8
	v_mul_lo_u32 v39, v3, s9
	;; [unrolled: 1-line block ×3, first 2 shown]
	s_cbranch_scc1 .LBB213_196
; %bb.195:
	s_load_dwordx4 s[4:7], s[2:3], 0x10
	s_load_dwordx4 s[8:11], s[2:3], 0xd0
	s_waitcnt lgkmcnt(0)
	v_mul_hi_u32 v3, s5, v1
	v_add_u32_e32 v3, v1, v3
	v_lshrrev_b32_e32 v3, s6, v3
	v_mul_lo_u32 v3, v3, s4
	v_sub_u32_e32 v1, v1, v3
	v_mad_u64_u32 v[35:36], s[0:1], v1, s8, v[35:36]
	v_mad_u64_u32 v[39:40], s[0:1], v1, s9, v[39:40]
	;; [unrolled: 1-line block ×3, first 2 shown]
.LBB213_196:
	s_load_dwordx4 s[36:39], s[2:3], 0x188
	s_load_dwordx2 s[0:1], s[2:3], 0x198
	s_waitcnt lgkmcnt(0)
	global_load_ubyte v1, v4, s[38:39]
	s_nop 0
	global_load_ubyte v3, v2, s[0:1]
	global_load_ubyte v6, v9, s[38:39]
	;; [unrolled: 1-line block ×7, first 2 shown]
                                        ; kill: killed $vgpr19
                                        ; kill: killed $vgpr4
                                        ; kill: killed $vgpr9
                                        ; kill: killed $vgpr2
                                        ; kill: killed $vgpr14
                                        ; kill: killed $vgpr7
                                        ; kill: killed $vgpr17
                                        ; kill: killed $vgpr12
	global_load_ubyte v2, v22, s[38:39]
	global_load_ubyte v4, v24, s[0:1]
	;; [unrolled: 1-line block ×8, first 2 shown]
	s_load_dword s0, s[2:3], 0x1a0
	s_waitcnt lgkmcnt(0)
	s_cmp_eq_u32 s0, 0
	s_cselect_b64 s[30:31], -1, 0
	s_waitcnt vmcnt(15)
	v_cmp_ne_u16_e32 vcc, 0, v1
	s_waitcnt vmcnt(14)
	v_cmp_ne_u16_e64 s[0:1], 0, v3
	s_waitcnt vmcnt(13)
	v_cmp_ne_u16_e64 s[2:3], 0, v6
	;; [unrolled: 2-line block ×3, first 2 shown]
	s_xor_b64 s[0:1], vcc, s[0:1]
	s_waitcnt vmcnt(11)
	v_cmp_ne_u16_e64 s[6:7], 0, v11
	s_waitcnt vmcnt(10)
	v_cmp_ne_u16_e64 s[8:9], 0, v13
	s_xor_b64 s[2:3], s[2:3], s[4:5]
	s_xor_b64 s[0:1], s[30:31], s[0:1]
	s_waitcnt vmcnt(9)
	v_cmp_ne_u16_e64 s[10:11], 0, v16
	s_waitcnt vmcnt(8)
	v_cmp_ne_u16_e64 s[12:13], 0, v18
	s_xor_b64 s[4:5], s[6:7], s[8:9]
	v_cndmask_b32_e64 v1, 0, 1, s[0:1]
	s_xor_b64 s[0:1], s[30:31], s[2:3]
	s_xor_b64 s[6:7], s[10:11], s[12:13]
	s_waitcnt vmcnt(7)
	v_cmp_ne_u16_e64 s[14:15], 0, v2
	s_waitcnt vmcnt(6)
	v_cmp_ne_u16_e64 s[16:17], 0, v4
	v_cndmask_b32_e64 v2, 0, 1, s[0:1]
	s_xor_b64 s[0:1], s[30:31], s[4:5]
	s_waitcnt vmcnt(5)
	v_cmp_ne_u16_e64 s[18:19], 0, v7
	s_waitcnt vmcnt(4)
	v_cmp_ne_u16_e64 s[20:21], 0, v9
	s_xor_b64 s[8:9], s[14:15], s[16:17]
	v_cndmask_b32_e64 v3, 0, 1, s[0:1]
	s_xor_b64 s[0:1], s[30:31], s[6:7]
	s_waitcnt vmcnt(3)
	v_cmp_ne_u16_e64 s[22:23], 0, v12
	s_waitcnt vmcnt(2)
	v_cmp_ne_u16_e64 s[24:25], 0, v14
	s_xor_b64 s[10:11], s[18:19], s[20:21]
	;; [unrolled: 7-line block ×3, first 2 shown]
	v_cndmask_b32_e64 v6, 0, 1, s[0:1]
	s_xor_b64 s[0:1], s[30:31], s[10:11]
	s_xor_b64 s[14:15], s[26:27], s[28:29]
	v_cndmask_b32_e64 v7, 0, 1, s[0:1]
	s_xor_b64 s[0:1], s[30:31], s[12:13]
	v_cndmask_b32_e64 v8, 0, 1, s[0:1]
	;; [unrolled: 2-line block ×3, first 2 shown]
	global_store_byte v0, v1, s[36:37]
	global_store_byte v5, v2, s[36:37]
	;; [unrolled: 1-line block ×8, first 2 shown]
	s_endpgm
	.section	.rodata,"a",@progbits
	.p2align	6, 0x0
	.amdhsa_kernel _ZN2at6native32elementwise_kernel_manual_unrollILi128ELi8EZNS0_22gpu_kernel_impl_nocastINS0_13BinaryFunctorIbbbNS0_12_GLOBAL__N_116CompareEqFunctorIbEEEEEEvRNS_18TensorIteratorBaseERKT_EUlibE_EEviT1_
		.amdhsa_group_segment_fixed_size 0
		.amdhsa_private_segment_fixed_size 0
		.amdhsa_kernarg_size 432
		.amdhsa_user_sgpr_count 6
		.amdhsa_user_sgpr_private_segment_buffer 1
		.amdhsa_user_sgpr_dispatch_ptr 0
		.amdhsa_user_sgpr_queue_ptr 0
		.amdhsa_user_sgpr_kernarg_segment_ptr 1
		.amdhsa_user_sgpr_dispatch_id 0
		.amdhsa_user_sgpr_flat_scratch_init 0
		.amdhsa_user_sgpr_private_segment_size 0
		.amdhsa_uses_dynamic_stack 0
		.amdhsa_system_sgpr_private_segment_wavefront_offset 0
		.amdhsa_system_sgpr_workgroup_id_x 1
		.amdhsa_system_sgpr_workgroup_id_y 0
		.amdhsa_system_sgpr_workgroup_id_z 0
		.amdhsa_system_sgpr_workgroup_info 0
		.amdhsa_system_vgpr_workitem_id 0
		.amdhsa_next_free_vgpr 42
		.amdhsa_next_free_sgpr 52
		.amdhsa_reserve_vcc 1
		.amdhsa_reserve_flat_scratch 0
		.amdhsa_float_round_mode_32 0
		.amdhsa_float_round_mode_16_64 0
		.amdhsa_float_denorm_mode_32 3
		.amdhsa_float_denorm_mode_16_64 3
		.amdhsa_dx10_clamp 1
		.amdhsa_ieee_mode 1
		.amdhsa_fp16_overflow 0
		.amdhsa_exception_fp_ieee_invalid_op 0
		.amdhsa_exception_fp_denorm_src 0
		.amdhsa_exception_fp_ieee_div_zero 0
		.amdhsa_exception_fp_ieee_overflow 0
		.amdhsa_exception_fp_ieee_underflow 0
		.amdhsa_exception_fp_ieee_inexact 0
		.amdhsa_exception_int_div_zero 0
	.end_amdhsa_kernel
	.section	.text._ZN2at6native32elementwise_kernel_manual_unrollILi128ELi8EZNS0_22gpu_kernel_impl_nocastINS0_13BinaryFunctorIbbbNS0_12_GLOBAL__N_116CompareEqFunctorIbEEEEEEvRNS_18TensorIteratorBaseERKT_EUlibE_EEviT1_,"axG",@progbits,_ZN2at6native32elementwise_kernel_manual_unrollILi128ELi8EZNS0_22gpu_kernel_impl_nocastINS0_13BinaryFunctorIbbbNS0_12_GLOBAL__N_116CompareEqFunctorIbEEEEEEvRNS_18TensorIteratorBaseERKT_EUlibE_EEviT1_,comdat
.Lfunc_end213:
	.size	_ZN2at6native32elementwise_kernel_manual_unrollILi128ELi8EZNS0_22gpu_kernel_impl_nocastINS0_13BinaryFunctorIbbbNS0_12_GLOBAL__N_116CompareEqFunctorIbEEEEEEvRNS_18TensorIteratorBaseERKT_EUlibE_EEviT1_, .Lfunc_end213-_ZN2at6native32elementwise_kernel_manual_unrollILi128ELi8EZNS0_22gpu_kernel_impl_nocastINS0_13BinaryFunctorIbbbNS0_12_GLOBAL__N_116CompareEqFunctorIbEEEEEEvRNS_18TensorIteratorBaseERKT_EUlibE_EEviT1_
                                        ; -- End function
	.set _ZN2at6native32elementwise_kernel_manual_unrollILi128ELi8EZNS0_22gpu_kernel_impl_nocastINS0_13BinaryFunctorIbbbNS0_12_GLOBAL__N_116CompareEqFunctorIbEEEEEEvRNS_18TensorIteratorBaseERKT_EUlibE_EEviT1_.num_vgpr, 42
	.set _ZN2at6native32elementwise_kernel_manual_unrollILi128ELi8EZNS0_22gpu_kernel_impl_nocastINS0_13BinaryFunctorIbbbNS0_12_GLOBAL__N_116CompareEqFunctorIbEEEEEEvRNS_18TensorIteratorBaseERKT_EUlibE_EEviT1_.num_agpr, 0
	.set _ZN2at6native32elementwise_kernel_manual_unrollILi128ELi8EZNS0_22gpu_kernel_impl_nocastINS0_13BinaryFunctorIbbbNS0_12_GLOBAL__N_116CompareEqFunctorIbEEEEEEvRNS_18TensorIteratorBaseERKT_EUlibE_EEviT1_.numbered_sgpr, 52
	.set _ZN2at6native32elementwise_kernel_manual_unrollILi128ELi8EZNS0_22gpu_kernel_impl_nocastINS0_13BinaryFunctorIbbbNS0_12_GLOBAL__N_116CompareEqFunctorIbEEEEEEvRNS_18TensorIteratorBaseERKT_EUlibE_EEviT1_.num_named_barrier, 0
	.set _ZN2at6native32elementwise_kernel_manual_unrollILi128ELi8EZNS0_22gpu_kernel_impl_nocastINS0_13BinaryFunctorIbbbNS0_12_GLOBAL__N_116CompareEqFunctorIbEEEEEEvRNS_18TensorIteratorBaseERKT_EUlibE_EEviT1_.private_seg_size, 0
	.set _ZN2at6native32elementwise_kernel_manual_unrollILi128ELi8EZNS0_22gpu_kernel_impl_nocastINS0_13BinaryFunctorIbbbNS0_12_GLOBAL__N_116CompareEqFunctorIbEEEEEEvRNS_18TensorIteratorBaseERKT_EUlibE_EEviT1_.uses_vcc, 1
	.set _ZN2at6native32elementwise_kernel_manual_unrollILi128ELi8EZNS0_22gpu_kernel_impl_nocastINS0_13BinaryFunctorIbbbNS0_12_GLOBAL__N_116CompareEqFunctorIbEEEEEEvRNS_18TensorIteratorBaseERKT_EUlibE_EEviT1_.uses_flat_scratch, 0
	.set _ZN2at6native32elementwise_kernel_manual_unrollILi128ELi8EZNS0_22gpu_kernel_impl_nocastINS0_13BinaryFunctorIbbbNS0_12_GLOBAL__N_116CompareEqFunctorIbEEEEEEvRNS_18TensorIteratorBaseERKT_EUlibE_EEviT1_.has_dyn_sized_stack, 0
	.set _ZN2at6native32elementwise_kernel_manual_unrollILi128ELi8EZNS0_22gpu_kernel_impl_nocastINS0_13BinaryFunctorIbbbNS0_12_GLOBAL__N_116CompareEqFunctorIbEEEEEEvRNS_18TensorIteratorBaseERKT_EUlibE_EEviT1_.has_recursion, 0
	.set _ZN2at6native32elementwise_kernel_manual_unrollILi128ELi8EZNS0_22gpu_kernel_impl_nocastINS0_13BinaryFunctorIbbbNS0_12_GLOBAL__N_116CompareEqFunctorIbEEEEEEvRNS_18TensorIteratorBaseERKT_EUlibE_EEviT1_.has_indirect_call, 0
	.section	.AMDGPU.csdata,"",@progbits
; Kernel info:
; codeLenInByte = 9640
; TotalNumSgprs: 56
; NumVgprs: 42
; ScratchSize: 0
; MemoryBound: 0
; FloatMode: 240
; IeeeMode: 1
; LDSByteSize: 0 bytes/workgroup (compile time only)
; SGPRBlocks: 6
; VGPRBlocks: 10
; NumSGPRsForWavesPerEU: 56
; NumVGPRsForWavesPerEU: 42
; Occupancy: 5
; WaveLimiterHint : 1
; COMPUTE_PGM_RSRC2:SCRATCH_EN: 0
; COMPUTE_PGM_RSRC2:USER_SGPR: 6
; COMPUTE_PGM_RSRC2:TRAP_HANDLER: 0
; COMPUTE_PGM_RSRC2:TGID_X_EN: 1
; COMPUTE_PGM_RSRC2:TGID_Y_EN: 0
; COMPUTE_PGM_RSRC2:TGID_Z_EN: 0
; COMPUTE_PGM_RSRC2:TIDIG_COMP_CNT: 0
	.section	.text._ZN2at6native32elementwise_kernel_manual_unrollILi128ELi4EZNS0_15gpu_kernel_implINS0_13BinaryFunctorIbbbNS0_12_GLOBAL__N_116CompareEqFunctorIbEEEEEEvRNS_18TensorIteratorBaseERKT_EUlibE_EEviT1_,"axG",@progbits,_ZN2at6native32elementwise_kernel_manual_unrollILi128ELi4EZNS0_15gpu_kernel_implINS0_13BinaryFunctorIbbbNS0_12_GLOBAL__N_116CompareEqFunctorIbEEEEEEvRNS_18TensorIteratorBaseERKT_EUlibE_EEviT1_,comdat
	.globl	_ZN2at6native32elementwise_kernel_manual_unrollILi128ELi4EZNS0_15gpu_kernel_implINS0_13BinaryFunctorIbbbNS0_12_GLOBAL__N_116CompareEqFunctorIbEEEEEEvRNS_18TensorIteratorBaseERKT_EUlibE_EEviT1_ ; -- Begin function _ZN2at6native32elementwise_kernel_manual_unrollILi128ELi4EZNS0_15gpu_kernel_implINS0_13BinaryFunctorIbbbNS0_12_GLOBAL__N_116CompareEqFunctorIbEEEEEEvRNS_18TensorIteratorBaseERKT_EUlibE_EEviT1_
	.p2align	8
	.type	_ZN2at6native32elementwise_kernel_manual_unrollILi128ELi4EZNS0_15gpu_kernel_implINS0_13BinaryFunctorIbbbNS0_12_GLOBAL__N_116CompareEqFunctorIbEEEEEEvRNS_18TensorIteratorBaseERKT_EUlibE_EEviT1_,@function
_ZN2at6native32elementwise_kernel_manual_unrollILi128ELi4EZNS0_15gpu_kernel_implINS0_13BinaryFunctorIbbbNS0_12_GLOBAL__N_116CompareEqFunctorIbEEEEEEvRNS_18TensorIteratorBaseERKT_EUlibE_EEviT1_: ; @_ZN2at6native32elementwise_kernel_manual_unrollILi128ELi4EZNS0_15gpu_kernel_implINS0_13BinaryFunctorIbbbNS0_12_GLOBAL__N_116CompareEqFunctorIbEEEEEEvRNS_18TensorIteratorBaseERKT_EUlibE_EEviT1_
; %bb.0:
	s_load_dword s33, s[4:5], 0x30
	s_load_dword s52, s[4:5], 0x0
	s_load_dwordx4 s[8:11], s[4:5], 0x8
	s_load_dwordx2 s[2:3], s[4:5], 0x18
	s_load_dwordx4 s[12:15], s[4:5], 0x20
	v_lshl_or_b32 v2, s6, 9, v0
	v_or_b32_e32 v0, 0x180, v2
	s_waitcnt lgkmcnt(0)
	s_lshr_b32 s59, s33, 8
	s_lshr_b32 s58, s33, 16
	v_cmp_le_i32_e32 vcc, s52, v0
	s_mov_b64 s[4:5], 0
	s_mov_b64 s[16:17], 0
	s_and_saveexec_b64 s[0:1], vcc
	s_xor_b64 s[6:7], exec, s[0:1]
	s_cbranch_execz .LBB214_1391
; %bb.1:
	s_cmp_eq_u32 s15, 0
	s_cselect_b64 s[16:17], -1, 0
	v_cmp_gt_i32_e32 vcc, s52, v2
	s_mov_b64 s[26:27], -1
	s_mov_b64 s[28:29], 0
	s_mov_b64 s[22:23], 0
	;; [unrolled: 1-line block ×4, first 2 shown]
	s_and_saveexec_b64 s[24:25], vcc
	s_cbranch_execz .LBB214_344
; %bb.2:
	v_mul_lo_u32 v0, v2, s13
	v_mov_b32_e32 v1, s11
	s_and_b32 s26, s59, 0xff
	s_cmp_lt_i32 s26, 11
	v_ashrrev_i32_e32 v3, 31, v0
	v_add_co_u32_e32 v0, vcc, s10, v0
	v_addc_co_u32_e32 v1, vcc, v1, v3, vcc
	s_cbranch_scc1 .LBB214_9
; %bb.3:
	s_and_b32 s27, 0xffff, s26
	s_cmp_gt_i32 s27, 25
	s_cbranch_scc0 .LBB214_18
; %bb.4:
	s_cmp_gt_i32 s27, 28
	s_cbranch_scc0 .LBB214_20
; %bb.5:
	;; [unrolled: 3-line block ×4, first 2 shown]
	s_cmp_eq_u32 s27, 46
	s_cbranch_scc0 .LBB214_26
; %bb.8:
	global_load_dword v3, v[0:1], off
	s_mov_b64 s[0:1], -1
	s_waitcnt vmcnt(0)
	v_and_b32_e32 v3, 0x7fff7fff, v3
	v_cmp_ne_u32_e64 s[18:19], 0, v3
	s_branch .LBB214_28
.LBB214_9:
                                        ; implicit-def: $sgpr18_sgpr19
	s_mov_b64 s[0:1], 0
	s_cbranch_execnz .LBB214_74
.LBB214_10:
	s_andn2_b64 vcc, exec, s[0:1]
	s_cbranch_vccnz .LBB214_121
.LBB214_11:
	v_mul_lo_u32 v0, v2, s14
	v_mov_b32_e32 v1, s3
	s_and_b32 s30, s58, 0xff
	s_cmp_lt_i32 s30, 11
	v_ashrrev_i32_e32 v3, 31, v0
	v_add_co_u32_e32 v0, vcc, s2, v0
	v_addc_co_u32_e32 v1, vcc, v1, v3, vcc
	s_cbranch_scc1 .LBB214_19
; %bb.12:
	s_and_b32 s31, 0xffff, s30
	s_cmp_gt_i32 s31, 25
	s_cbranch_scc0 .LBB214_21
; %bb.13:
	s_cmp_gt_i32 s31, 28
	s_cbranch_scc0 .LBB214_23
; %bb.14:
	;; [unrolled: 3-line block ×4, first 2 shown]
	s_cmp_eq_u32 s31, 46
	s_mov_b64 s[22:23], 0
	s_cbranch_scc0 .LBB214_123
; %bb.17:
	global_load_dword v3, v[0:1], off
	s_mov_b64 s[0:1], -1
	s_mov_b64 s[20:21], 0
	s_waitcnt vmcnt(0)
	v_and_b32_e32 v3, 0x7fff7fff, v3
	v_cmp_ne_u32_e64 s[26:27], 0, v3
	s_branch .LBB214_125
.LBB214_18:
	s_mov_b64 s[0:1], 0
                                        ; implicit-def: $sgpr18_sgpr19
	s_cbranch_execnz .LBB214_49
	s_branch .LBB214_73
.LBB214_19:
	s_mov_b64 s[20:21], 0
                                        ; implicit-def: $sgpr26_sgpr27
	s_mov_b64 s[0:1], 0
	s_cbranch_execnz .LBB214_172
	s_branch .LBB214_220
.LBB214_20:
	s_mov_b64 s[20:21], -1
	s_mov_b64 s[0:1], 0
                                        ; implicit-def: $sgpr18_sgpr19
	s_branch .LBB214_36
.LBB214_21:
	s_mov_b64 s[22:23], -1
	s_mov_b64 s[20:21], 0
	s_mov_b64 s[0:1], 0
                                        ; implicit-def: $sgpr26_sgpr27
	s_branch .LBB214_146
.LBB214_22:
	s_mov_b64 s[20:21], -1
	s_mov_b64 s[0:1], 0
                                        ; implicit-def: $sgpr18_sgpr19
	s_branch .LBB214_31
.LBB214_23:
	s_mov_b64 s[22:23], -1
	s_mov_b64 s[20:21], 0
	s_mov_b64 s[0:1], 0
                                        ; implicit-def: $sgpr26_sgpr27
	s_branch .LBB214_133
.LBB214_24:
	s_mov_b64 s[20:21], -1
	s_branch .LBB214_27
.LBB214_25:
	s_mov_b64 s[22:23], -1
	s_mov_b64 s[20:21], 0
	s_mov_b64 s[0:1], 0
                                        ; implicit-def: $sgpr26_sgpr27
	s_branch .LBB214_128
.LBB214_26:
	s_mov_b64 s[22:23], -1
.LBB214_27:
	s_mov_b64 s[0:1], 0
                                        ; implicit-def: $sgpr18_sgpr19
.LBB214_28:
	s_and_b64 vcc, exec, s[20:21]
	s_cbranch_vccz .LBB214_30
; %bb.29:
	s_cmp_eq_u32 s27, 44
	s_mov_b64 s[22:23], -1
	s_cselect_b64 s[0:1], -1, 0
	s_or_b64 s[18:19], s[18:19], exec
.LBB214_30:
	s_mov_b64 s[20:21], 0
.LBB214_31:
	s_and_b64 vcc, exec, s[20:21]
	s_cbranch_vccz .LBB214_35
; %bb.32:
	s_cmp_eq_u32 s27, 29
	s_cbranch_scc0 .LBB214_34
; %bb.33:
	global_load_dwordx2 v[3:4], v[0:1], off
	s_mov_b64 s[22:23], 0
	s_mov_b64 s[0:1], -1
	s_mov_b64 s[20:21], 0
	s_waitcnt vmcnt(0)
	v_cmp_ne_u64_e64 s[18:19], 0, v[3:4]
	s_branch .LBB214_36
.LBB214_34:
	s_mov_b64 s[22:23], -1
                                        ; implicit-def: $sgpr18_sgpr19
.LBB214_35:
	s_mov_b64 s[20:21], 0
.LBB214_36:
	s_and_b64 vcc, exec, s[20:21]
	s_cbranch_vccz .LBB214_48
; %bb.37:
	s_cmp_lt_i32 s27, 27
	s_cbranch_scc1 .LBB214_40
; %bb.38:
	s_cmp_gt_i32 s27, 27
	s_cbranch_scc0 .LBB214_41
; %bb.39:
	global_load_dword v3, v[0:1], off
	s_mov_b64 s[0:1], 0
	s_waitcnt vmcnt(0)
	v_cmp_ne_u32_e64 s[18:19], 0, v3
	s_branch .LBB214_42
.LBB214_40:
	s_mov_b64 s[0:1], -1
                                        ; implicit-def: $sgpr18_sgpr19
	s_branch .LBB214_45
.LBB214_41:
	s_mov_b64 s[0:1], -1
                                        ; implicit-def: $sgpr18_sgpr19
.LBB214_42:
	s_andn2_b64 vcc, exec, s[0:1]
	s_cbranch_vccnz .LBB214_44
; %bb.43:
	global_load_ushort v3, v[0:1], off
	s_andn2_b64 s[0:1], s[18:19], exec
	s_waitcnt vmcnt(0)
	v_cmp_ne_u16_e32 vcc, 0, v3
	s_and_b64 s[18:19], vcc, exec
	s_or_b64 s[18:19], s[0:1], s[18:19]
.LBB214_44:
	s_mov_b64 s[0:1], 0
.LBB214_45:
	s_andn2_b64 vcc, exec, s[0:1]
	s_cbranch_vccnz .LBB214_47
; %bb.46:
	global_load_ubyte v3, v[0:1], off
	s_andn2_b64 s[0:1], s[18:19], exec
	s_waitcnt vmcnt(0)
	v_cmp_ne_u16_e32 vcc, 0, v3
	s_and_b64 s[18:19], vcc, exec
	s_or_b64 s[18:19], s[0:1], s[18:19]
.LBB214_47:
	s_mov_b64 s[0:1], -1
.LBB214_48:
	s_branch .LBB214_73
.LBB214_49:
	s_cmp_gt_i32 s27, 22
	s_cbranch_scc0 .LBB214_53
; %bb.50:
	s_cmp_lt_i32 s27, 24
	s_cbranch_scc1 .LBB214_54
; %bb.51:
	s_cmp_gt_i32 s27, 24
	s_cbranch_scc0 .LBB214_55
; %bb.52:
	global_load_ubyte v3, v[0:1], off
	s_mov_b64 s[0:1], 0
	s_waitcnt vmcnt(0)
	v_cmp_ne_u16_e64 s[18:19], 0, v3
	s_branch .LBB214_56
.LBB214_53:
	s_mov_b64 s[20:21], -1
                                        ; implicit-def: $sgpr18_sgpr19
	s_branch .LBB214_62
.LBB214_54:
	s_mov_b64 s[0:1], -1
                                        ; implicit-def: $sgpr18_sgpr19
	s_branch .LBB214_59
.LBB214_55:
	s_mov_b64 s[0:1], -1
                                        ; implicit-def: $sgpr18_sgpr19
.LBB214_56:
	s_andn2_b64 vcc, exec, s[0:1]
	s_cbranch_vccnz .LBB214_58
; %bb.57:
	global_load_ubyte v3, v[0:1], off
	s_andn2_b64 s[0:1], s[18:19], exec
	s_waitcnt vmcnt(0)
	v_and_b32_e32 v3, 0x7f, v3
	v_cmp_ne_u16_e32 vcc, 0, v3
	s_and_b64 s[18:19], vcc, exec
	s_or_b64 s[18:19], s[0:1], s[18:19]
.LBB214_58:
	s_mov_b64 s[0:1], 0
.LBB214_59:
	s_andn2_b64 vcc, exec, s[0:1]
	s_cbranch_vccnz .LBB214_61
; %bb.60:
	global_load_ubyte v3, v[0:1], off
	s_movk_i32 s0, 0x7f00
	s_brev_b32 s1, 16
	s_waitcnt vmcnt(0)
	v_lshlrev_b32_e32 v4, 8, v3
	v_lshlrev_b32_e32 v3, 25, v3
	v_lshrrev_b32_e32 v5, 4, v3
	v_and_or_b32 v4, v4, s0, 0.5
	v_or_b32_e32 v5, 0x70000000, v5
	v_add_f32_e32 v4, -0.5, v4
	v_mul_f32_e32 v5, 0x7800000, v5
	v_cmp_gt_u32_e32 vcc, s1, v3
	v_cndmask_b32_e32 v3, v5, v4, vcc
	v_cmp_neq_f32_e32 vcc, 0, v3
	s_andn2_b64 s[0:1], s[18:19], exec
	s_and_b64 s[18:19], vcc, exec
	s_or_b64 s[18:19], s[0:1], s[18:19]
.LBB214_61:
	s_mov_b64 s[20:21], 0
	s_mov_b64 s[0:1], -1
.LBB214_62:
	s_andn2_b64 vcc, exec, s[20:21]
	s_cbranch_vccnz .LBB214_73
; %bb.63:
	s_cmp_gt_i32 s27, 14
	s_cbranch_scc0 .LBB214_66
; %bb.64:
	s_cmp_eq_u32 s27, 15
	s_cbranch_scc0 .LBB214_67
; %bb.65:
	global_load_ushort v3, v[0:1], off
	s_mov_b64 s[0:1], -1
	s_mov_b64 s[22:23], 0
	s_waitcnt vmcnt(0)
	v_and_b32_e32 v3, 0x7fff, v3
	v_cmp_ne_u16_e64 s[18:19], 0, v3
	s_branch .LBB214_68
.LBB214_66:
	s_mov_b64 s[20:21], -1
                                        ; implicit-def: $sgpr18_sgpr19
	s_branch .LBB214_69
.LBB214_67:
	s_mov_b64 s[22:23], -1
                                        ; implicit-def: $sgpr18_sgpr19
.LBB214_68:
	s_mov_b64 s[20:21], 0
.LBB214_69:
	s_and_b64 vcc, exec, s[20:21]
	s_cbranch_vccz .LBB214_73
; %bb.70:
	s_cmp_eq_u32 s27, 11
	s_cbranch_scc0 .LBB214_72
; %bb.71:
	global_load_ubyte v3, v[0:1], off
	s_mov_b64 s[0:1], -1
	s_mov_b64 s[22:23], 0
	s_waitcnt vmcnt(0)
	v_cmp_ne_u16_e64 s[18:19], 0, v3
	s_branch .LBB214_73
.LBB214_72:
	s_mov_b64 s[22:23], -1
                                        ; implicit-def: $sgpr18_sgpr19
.LBB214_73:
	s_branch .LBB214_10
.LBB214_74:
	s_and_b32 s26, 0xffff, s26
	s_cmp_lt_i32 s26, 5
	s_cbranch_scc1 .LBB214_79
; %bb.75:
	s_cmp_lt_i32 s26, 8
	s_cbranch_scc1 .LBB214_80
; %bb.76:
	;; [unrolled: 3-line block ×3, first 2 shown]
	s_cmp_gt_i32 s26, 9
	s_cbranch_scc0 .LBB214_82
; %bb.78:
	global_load_dwordx4 v[3:6], v[0:1], off
	s_mov_b64 s[20:21], 0
	s_waitcnt vmcnt(0)
	v_cmp_neq_f64_e32 vcc, 0, v[3:4]
	v_cmp_neq_f64_e64 s[0:1], 0, v[5:6]
	s_or_b64 s[18:19], vcc, s[0:1]
	s_branch .LBB214_83
.LBB214_79:
                                        ; implicit-def: $sgpr18_sgpr19
	s_branch .LBB214_101
.LBB214_80:
	s_mov_b64 s[0:1], -1
                                        ; implicit-def: $sgpr18_sgpr19
	s_branch .LBB214_89
.LBB214_81:
	s_mov_b64 s[0:1], -1
                                        ; implicit-def: $sgpr18_sgpr19
	s_branch .LBB214_86
.LBB214_82:
	s_mov_b64 s[20:21], -1
                                        ; implicit-def: $sgpr18_sgpr19
.LBB214_83:
	s_andn2_b64 vcc, exec, s[20:21]
	s_cbranch_vccnz .LBB214_85
; %bb.84:
	global_load_dwordx2 v[3:4], v[0:1], off
	s_andn2_b64 s[0:1], s[18:19], exec
	s_waitcnt vmcnt(0)
	v_or_b32_e32 v3, v3, v4
	v_and_b32_e32 v3, 0x7fffffff, v3
	v_cmp_ne_u32_e32 vcc, 0, v3
	s_and_b64 s[18:19], vcc, exec
	s_or_b64 s[18:19], s[0:1], s[18:19]
.LBB214_85:
	s_mov_b64 s[0:1], 0
.LBB214_86:
	s_andn2_b64 vcc, exec, s[0:1]
	s_cbranch_vccnz .LBB214_88
; %bb.87:
	global_load_dword v3, v[0:1], off
	s_andn2_b64 s[0:1], s[18:19], exec
	s_waitcnt vmcnt(0)
	v_and_b32_e32 v3, 0x7fff7fff, v3
	v_cmp_ne_u32_e32 vcc, 0, v3
	s_and_b64 s[18:19], vcc, exec
	s_or_b64 s[18:19], s[0:1], s[18:19]
.LBB214_88:
	s_mov_b64 s[0:1], 0
.LBB214_89:
	s_andn2_b64 vcc, exec, s[0:1]
	s_cbranch_vccnz .LBB214_100
; %bb.90:
	s_cmp_lt_i32 s26, 6
	s_cbranch_scc1 .LBB214_93
; %bb.91:
	s_cmp_gt_i32 s26, 6
	s_cbranch_scc0 .LBB214_94
; %bb.92:
	global_load_dwordx2 v[3:4], v[0:1], off
	s_mov_b64 s[0:1], 0
	s_waitcnt vmcnt(0)
	v_cmp_neq_f64_e64 s[18:19], 0, v[3:4]
	s_branch .LBB214_95
.LBB214_93:
	s_mov_b64 s[0:1], -1
                                        ; implicit-def: $sgpr18_sgpr19
	s_branch .LBB214_98
.LBB214_94:
	s_mov_b64 s[0:1], -1
                                        ; implicit-def: $sgpr18_sgpr19
.LBB214_95:
	s_andn2_b64 vcc, exec, s[0:1]
	s_cbranch_vccnz .LBB214_97
; %bb.96:
	global_load_dword v3, v[0:1], off
	s_andn2_b64 s[0:1], s[18:19], exec
	s_waitcnt vmcnt(0)
	v_cmp_neq_f32_e32 vcc, 0, v3
	s_and_b64 s[18:19], vcc, exec
	s_or_b64 s[18:19], s[0:1], s[18:19]
.LBB214_97:
	s_mov_b64 s[0:1], 0
.LBB214_98:
	s_andn2_b64 vcc, exec, s[0:1]
	s_cbranch_vccnz .LBB214_100
; %bb.99:
	global_load_ushort v3, v[0:1], off
	s_andn2_b64 s[0:1], s[18:19], exec
	s_waitcnt vmcnt(0)
	v_and_b32_e32 v3, 0x7fff, v3
	v_cmp_ne_u16_e32 vcc, 0, v3
	s_and_b64 s[18:19], vcc, exec
	s_or_b64 s[18:19], s[0:1], s[18:19]
.LBB214_100:
	s_cbranch_execnz .LBB214_120
.LBB214_101:
	s_cmp_lt_i32 s26, 2
	s_cbranch_scc1 .LBB214_105
; %bb.102:
	s_cmp_lt_i32 s26, 3
	s_cbranch_scc1 .LBB214_106
; %bb.103:
	s_cmp_gt_i32 s26, 3
	s_cbranch_scc0 .LBB214_107
; %bb.104:
	global_load_dwordx2 v[3:4], v[0:1], off
	s_mov_b64 s[0:1], 0
	s_waitcnt vmcnt(0)
	v_cmp_ne_u64_e64 s[18:19], 0, v[3:4]
	s_branch .LBB214_108
.LBB214_105:
	s_mov_b64 s[0:1], -1
                                        ; implicit-def: $sgpr18_sgpr19
	s_branch .LBB214_114
.LBB214_106:
	s_mov_b64 s[0:1], -1
                                        ; implicit-def: $sgpr18_sgpr19
	s_branch .LBB214_111
.LBB214_107:
	s_mov_b64 s[0:1], -1
                                        ; implicit-def: $sgpr18_sgpr19
.LBB214_108:
	s_andn2_b64 vcc, exec, s[0:1]
	s_cbranch_vccnz .LBB214_110
; %bb.109:
	global_load_dword v3, v[0:1], off
	s_andn2_b64 s[0:1], s[18:19], exec
	s_waitcnt vmcnt(0)
	v_cmp_ne_u32_e32 vcc, 0, v3
	s_and_b64 s[18:19], vcc, exec
	s_or_b64 s[18:19], s[0:1], s[18:19]
.LBB214_110:
	s_mov_b64 s[0:1], 0
.LBB214_111:
	s_andn2_b64 vcc, exec, s[0:1]
	s_cbranch_vccnz .LBB214_113
; %bb.112:
	global_load_ushort v3, v[0:1], off
	s_andn2_b64 s[0:1], s[18:19], exec
	s_waitcnt vmcnt(0)
	v_cmp_ne_u16_e32 vcc, 0, v3
	s_and_b64 s[18:19], vcc, exec
	s_or_b64 s[18:19], s[0:1], s[18:19]
.LBB214_113:
	s_mov_b64 s[0:1], 0
.LBB214_114:
	s_andn2_b64 vcc, exec, s[0:1]
	s_cbranch_vccnz .LBB214_120
; %bb.115:
	s_cmp_gt_i32 s26, 0
	s_cbranch_scc0 .LBB214_117
; %bb.116:
	global_load_ubyte v3, v[0:1], off
	s_mov_b64 s[0:1], 0
	s_waitcnt vmcnt(0)
	v_cmp_ne_u16_e64 s[18:19], 0, v3
	s_branch .LBB214_118
.LBB214_117:
	s_mov_b64 s[0:1], -1
                                        ; implicit-def: $sgpr18_sgpr19
.LBB214_118:
	s_andn2_b64 vcc, exec, s[0:1]
	s_cbranch_vccnz .LBB214_120
; %bb.119:
	global_load_ubyte v0, v[0:1], off
	s_andn2_b64 s[0:1], s[18:19], exec
	s_waitcnt vmcnt(0)
	v_cmp_ne_u16_e32 vcc, 0, v0
	s_and_b64 s[18:19], vcc, exec
	s_or_b64 s[18:19], s[0:1], s[18:19]
.LBB214_120:
	s_branch .LBB214_11
.LBB214_121:
	s_mov_b64 s[0:1], 0
	s_mov_b64 s[20:21], 0
	;; [unrolled: 1-line block ×3, first 2 shown]
                                        ; implicit-def: $vgpr2
	s_branch .LBB214_343
.LBB214_122:
	s_mov_b64 s[22:23], -1
	s_mov_b64 s[20:21], 0
	s_branch .LBB214_124
.LBB214_123:
	s_mov_b64 s[20:21], -1
.LBB214_124:
	s_mov_b64 s[0:1], 0
                                        ; implicit-def: $sgpr26_sgpr27
.LBB214_125:
	s_and_b64 vcc, exec, s[22:23]
	s_cbranch_vccz .LBB214_127
; %bb.126:
	s_cmp_eq_u32 s31, 44
	s_mov_b64 s[20:21], -1
	s_cselect_b64 s[0:1], -1, 0
	s_or_b64 s[26:27], s[26:27], exec
.LBB214_127:
	s_mov_b64 s[22:23], 0
.LBB214_128:
	s_and_b64 vcc, exec, s[22:23]
	s_cbranch_vccz .LBB214_132
; %bb.129:
	s_cmp_eq_u32 s31, 29
	s_cbranch_scc0 .LBB214_131
; %bb.130:
	global_load_dwordx2 v[3:4], v[0:1], off
	s_mov_b64 s[20:21], 0
	s_mov_b64 s[0:1], -1
	s_mov_b64 s[22:23], 0
	s_waitcnt vmcnt(0)
	v_cmp_ne_u64_e64 s[26:27], 0, v[3:4]
	s_branch .LBB214_133
.LBB214_131:
	s_mov_b64 s[20:21], -1
                                        ; implicit-def: $sgpr26_sgpr27
.LBB214_132:
	s_mov_b64 s[22:23], 0
.LBB214_133:
	s_and_b64 vcc, exec, s[22:23]
	s_cbranch_vccz .LBB214_145
; %bb.134:
	s_cmp_lt_i32 s31, 27
	s_cbranch_scc1 .LBB214_137
; %bb.135:
	s_cmp_gt_i32 s31, 27
	s_cbranch_scc0 .LBB214_138
; %bb.136:
	global_load_dword v3, v[0:1], off
	s_mov_b64 s[0:1], 0
	s_waitcnt vmcnt(0)
	v_cmp_ne_u32_e64 s[26:27], 0, v3
	s_branch .LBB214_139
.LBB214_137:
	s_mov_b64 s[0:1], -1
                                        ; implicit-def: $sgpr26_sgpr27
	s_branch .LBB214_142
.LBB214_138:
	s_mov_b64 s[0:1], -1
                                        ; implicit-def: $sgpr26_sgpr27
.LBB214_139:
	s_andn2_b64 vcc, exec, s[0:1]
	s_cbranch_vccnz .LBB214_141
; %bb.140:
	global_load_ushort v3, v[0:1], off
	s_andn2_b64 s[0:1], s[26:27], exec
	s_waitcnt vmcnt(0)
	v_cmp_ne_u16_e32 vcc, 0, v3
	s_and_b64 s[22:23], vcc, exec
	s_or_b64 s[26:27], s[0:1], s[22:23]
.LBB214_141:
	s_mov_b64 s[0:1], 0
.LBB214_142:
	s_andn2_b64 vcc, exec, s[0:1]
	s_cbranch_vccnz .LBB214_144
; %bb.143:
	global_load_ubyte v3, v[0:1], off
	s_andn2_b64 s[0:1], s[26:27], exec
	s_waitcnt vmcnt(0)
	v_cmp_ne_u16_e32 vcc, 0, v3
	s_and_b64 s[22:23], vcc, exec
	s_or_b64 s[26:27], s[0:1], s[22:23]
.LBB214_144:
	s_mov_b64 s[0:1], -1
.LBB214_145:
	s_mov_b64 s[22:23], 0
.LBB214_146:
	s_and_b64 vcc, exec, s[22:23]
	s_cbranch_vccz .LBB214_171
; %bb.147:
	s_cmp_gt_i32 s31, 22
	s_cbranch_scc0 .LBB214_151
; %bb.148:
	s_cmp_lt_i32 s31, 24
	s_cbranch_scc1 .LBB214_152
; %bb.149:
	s_cmp_gt_i32 s31, 24
	s_cbranch_scc0 .LBB214_153
; %bb.150:
	global_load_ubyte v3, v[0:1], off
	s_mov_b64 s[0:1], 0
	s_waitcnt vmcnt(0)
	v_cmp_ne_u16_e64 s[26:27], 0, v3
	s_branch .LBB214_154
.LBB214_151:
	s_mov_b64 s[22:23], -1
                                        ; implicit-def: $sgpr26_sgpr27
	s_branch .LBB214_160
.LBB214_152:
	s_mov_b64 s[0:1], -1
                                        ; implicit-def: $sgpr26_sgpr27
	s_branch .LBB214_157
.LBB214_153:
	s_mov_b64 s[0:1], -1
                                        ; implicit-def: $sgpr26_sgpr27
.LBB214_154:
	s_andn2_b64 vcc, exec, s[0:1]
	s_cbranch_vccnz .LBB214_156
; %bb.155:
	global_load_ubyte v3, v[0:1], off
	s_andn2_b64 s[0:1], s[26:27], exec
	s_waitcnt vmcnt(0)
	v_and_b32_e32 v3, 0x7f, v3
	v_cmp_ne_u16_e32 vcc, 0, v3
	s_and_b64 s[22:23], vcc, exec
	s_or_b64 s[26:27], s[0:1], s[22:23]
.LBB214_156:
	s_mov_b64 s[0:1], 0
.LBB214_157:
	s_andn2_b64 vcc, exec, s[0:1]
	s_cbranch_vccnz .LBB214_159
; %bb.158:
	global_load_ubyte v3, v[0:1], off
	s_movk_i32 s0, 0x7f00
	s_brev_b32 s1, 16
	s_waitcnt vmcnt(0)
	v_lshlrev_b32_e32 v4, 8, v3
	v_lshlrev_b32_e32 v3, 25, v3
	v_lshrrev_b32_e32 v5, 4, v3
	v_and_or_b32 v4, v4, s0, 0.5
	v_or_b32_e32 v5, 0x70000000, v5
	v_add_f32_e32 v4, -0.5, v4
	v_mul_f32_e32 v5, 0x7800000, v5
	v_cmp_gt_u32_e32 vcc, s1, v3
	v_cndmask_b32_e32 v3, v5, v4, vcc
	v_cmp_neq_f32_e32 vcc, 0, v3
	s_andn2_b64 s[0:1], s[26:27], exec
	s_and_b64 s[22:23], vcc, exec
	s_or_b64 s[26:27], s[0:1], s[22:23]
.LBB214_159:
	s_mov_b64 s[22:23], 0
	s_mov_b64 s[0:1], -1
.LBB214_160:
	s_andn2_b64 vcc, exec, s[22:23]
	s_cbranch_vccnz .LBB214_171
; %bb.161:
	s_cmp_gt_i32 s31, 14
	s_cbranch_scc0 .LBB214_164
; %bb.162:
	s_cmp_eq_u32 s31, 15
	s_cbranch_scc0 .LBB214_165
; %bb.163:
	global_load_ushort v3, v[0:1], off
	s_mov_b64 s[0:1], -1
	s_mov_b64 s[20:21], 0
	s_waitcnt vmcnt(0)
	v_and_b32_e32 v3, 0x7fff, v3
	v_cmp_ne_u16_e64 s[26:27], 0, v3
	s_branch .LBB214_166
.LBB214_164:
	s_mov_b64 s[22:23], -1
                                        ; implicit-def: $sgpr26_sgpr27
	s_branch .LBB214_167
.LBB214_165:
	s_mov_b64 s[20:21], -1
                                        ; implicit-def: $sgpr26_sgpr27
.LBB214_166:
	s_mov_b64 s[22:23], 0
.LBB214_167:
	s_and_b64 vcc, exec, s[22:23]
	s_cbranch_vccz .LBB214_171
; %bb.168:
	s_cmp_eq_u32 s31, 11
	s_cbranch_scc0 .LBB214_170
; %bb.169:
	global_load_ubyte v3, v[0:1], off
	s_mov_b64 s[0:1], -1
	s_mov_b64 s[20:21], 0
	s_waitcnt vmcnt(0)
	v_cmp_ne_u16_e64 s[26:27], 0, v3
	s_branch .LBB214_171
.LBB214_170:
	s_mov_b64 s[20:21], -1
                                        ; implicit-def: $sgpr26_sgpr27
.LBB214_171:
	s_branch .LBB214_220
.LBB214_172:
	s_and_b32 s30, 0xffff, s30
	s_cmp_lt_i32 s30, 5
	s_cbranch_scc1 .LBB214_177
; %bb.173:
	s_cmp_lt_i32 s30, 8
	s_cbranch_scc1 .LBB214_178
; %bb.174:
	;; [unrolled: 3-line block ×3, first 2 shown]
	s_cmp_gt_i32 s30, 9
	s_cbranch_scc0 .LBB214_180
; %bb.176:
	global_load_dwordx4 v[3:6], v[0:1], off
	s_mov_b64 s[22:23], 0
	s_waitcnt vmcnt(0)
	v_cmp_neq_f64_e32 vcc, 0, v[3:4]
	v_cmp_neq_f64_e64 s[0:1], 0, v[5:6]
	s_or_b64 s[26:27], vcc, s[0:1]
	s_branch .LBB214_181
.LBB214_177:
	s_mov_b64 s[0:1], -1
                                        ; implicit-def: $sgpr26_sgpr27
	s_branch .LBB214_199
.LBB214_178:
	s_mov_b64 s[0:1], -1
                                        ; implicit-def: $sgpr26_sgpr27
	s_branch .LBB214_187
.LBB214_179:
	s_mov_b64 s[0:1], -1
                                        ; implicit-def: $sgpr26_sgpr27
	s_branch .LBB214_184
.LBB214_180:
	s_mov_b64 s[22:23], -1
                                        ; implicit-def: $sgpr26_sgpr27
.LBB214_181:
	s_andn2_b64 vcc, exec, s[22:23]
	s_cbranch_vccnz .LBB214_183
; %bb.182:
	global_load_dwordx2 v[3:4], v[0:1], off
	s_andn2_b64 s[0:1], s[26:27], exec
	s_waitcnt vmcnt(0)
	v_or_b32_e32 v3, v3, v4
	v_and_b32_e32 v3, 0x7fffffff, v3
	v_cmp_ne_u32_e32 vcc, 0, v3
	s_and_b64 s[22:23], vcc, exec
	s_or_b64 s[26:27], s[0:1], s[22:23]
.LBB214_183:
	s_mov_b64 s[0:1], 0
.LBB214_184:
	s_andn2_b64 vcc, exec, s[0:1]
	s_cbranch_vccnz .LBB214_186
; %bb.185:
	global_load_dword v3, v[0:1], off
	s_andn2_b64 s[0:1], s[26:27], exec
	s_waitcnt vmcnt(0)
	v_and_b32_e32 v3, 0x7fff7fff, v3
	v_cmp_ne_u32_e32 vcc, 0, v3
	s_and_b64 s[22:23], vcc, exec
	s_or_b64 s[26:27], s[0:1], s[22:23]
.LBB214_186:
	s_mov_b64 s[0:1], 0
.LBB214_187:
	s_andn2_b64 vcc, exec, s[0:1]
	s_cbranch_vccnz .LBB214_198
; %bb.188:
	s_cmp_lt_i32 s30, 6
	s_cbranch_scc1 .LBB214_191
; %bb.189:
	s_cmp_gt_i32 s30, 6
	s_cbranch_scc0 .LBB214_192
; %bb.190:
	global_load_dwordx2 v[3:4], v[0:1], off
	s_mov_b64 s[0:1], 0
	s_waitcnt vmcnt(0)
	v_cmp_neq_f64_e64 s[26:27], 0, v[3:4]
	s_branch .LBB214_193
.LBB214_191:
	s_mov_b64 s[0:1], -1
                                        ; implicit-def: $sgpr26_sgpr27
	s_branch .LBB214_196
.LBB214_192:
	s_mov_b64 s[0:1], -1
                                        ; implicit-def: $sgpr26_sgpr27
.LBB214_193:
	s_andn2_b64 vcc, exec, s[0:1]
	s_cbranch_vccnz .LBB214_195
; %bb.194:
	global_load_dword v3, v[0:1], off
	s_andn2_b64 s[0:1], s[26:27], exec
	s_waitcnt vmcnt(0)
	v_cmp_neq_f32_e32 vcc, 0, v3
	s_and_b64 s[22:23], vcc, exec
	s_or_b64 s[26:27], s[0:1], s[22:23]
.LBB214_195:
	s_mov_b64 s[0:1], 0
.LBB214_196:
	s_andn2_b64 vcc, exec, s[0:1]
	s_cbranch_vccnz .LBB214_198
; %bb.197:
	global_load_ushort v3, v[0:1], off
	s_andn2_b64 s[0:1], s[26:27], exec
	s_waitcnt vmcnt(0)
	v_and_b32_e32 v3, 0x7fff, v3
	v_cmp_ne_u16_e32 vcc, 0, v3
	s_and_b64 s[22:23], vcc, exec
	s_or_b64 s[26:27], s[0:1], s[22:23]
.LBB214_198:
	s_mov_b64 s[0:1], 0
.LBB214_199:
	s_andn2_b64 vcc, exec, s[0:1]
	s_cbranch_vccnz .LBB214_219
; %bb.200:
	s_cmp_lt_i32 s30, 2
	s_cbranch_scc1 .LBB214_204
; %bb.201:
	s_cmp_lt_i32 s30, 3
	s_cbranch_scc1 .LBB214_205
; %bb.202:
	s_cmp_gt_i32 s30, 3
	s_cbranch_scc0 .LBB214_206
; %bb.203:
	global_load_dwordx2 v[3:4], v[0:1], off
	s_mov_b64 s[0:1], 0
	s_waitcnt vmcnt(0)
	v_cmp_ne_u64_e64 s[26:27], 0, v[3:4]
	s_branch .LBB214_207
.LBB214_204:
	s_mov_b64 s[0:1], -1
                                        ; implicit-def: $sgpr26_sgpr27
	s_branch .LBB214_213
.LBB214_205:
	s_mov_b64 s[0:1], -1
                                        ; implicit-def: $sgpr26_sgpr27
	s_branch .LBB214_210
.LBB214_206:
	s_mov_b64 s[0:1], -1
                                        ; implicit-def: $sgpr26_sgpr27
.LBB214_207:
	s_andn2_b64 vcc, exec, s[0:1]
	s_cbranch_vccnz .LBB214_209
; %bb.208:
	global_load_dword v3, v[0:1], off
	s_andn2_b64 s[0:1], s[26:27], exec
	s_waitcnt vmcnt(0)
	v_cmp_ne_u32_e32 vcc, 0, v3
	s_and_b64 s[22:23], vcc, exec
	s_or_b64 s[26:27], s[0:1], s[22:23]
.LBB214_209:
	s_mov_b64 s[0:1], 0
.LBB214_210:
	s_andn2_b64 vcc, exec, s[0:1]
	s_cbranch_vccnz .LBB214_212
; %bb.211:
	global_load_ushort v3, v[0:1], off
	s_andn2_b64 s[0:1], s[26:27], exec
	s_waitcnt vmcnt(0)
	v_cmp_ne_u16_e32 vcc, 0, v3
	s_and_b64 s[22:23], vcc, exec
	s_or_b64 s[26:27], s[0:1], s[22:23]
.LBB214_212:
	s_mov_b64 s[0:1], 0
.LBB214_213:
	s_andn2_b64 vcc, exec, s[0:1]
	s_cbranch_vccnz .LBB214_219
; %bb.214:
	s_cmp_gt_i32 s30, 0
	s_cbranch_scc0 .LBB214_216
; %bb.215:
	global_load_ubyte v3, v[0:1], off
	s_mov_b64 s[0:1], 0
	s_waitcnt vmcnt(0)
	v_cmp_ne_u16_e64 s[26:27], 0, v3
	s_branch .LBB214_217
.LBB214_216:
	s_mov_b64 s[0:1], -1
                                        ; implicit-def: $sgpr26_sgpr27
.LBB214_217:
	s_andn2_b64 vcc, exec, s[0:1]
	s_cbranch_vccnz .LBB214_219
; %bb.218:
	global_load_ubyte v0, v[0:1], off
	s_andn2_b64 s[0:1], s[26:27], exec
	s_waitcnt vmcnt(0)
	v_cmp_ne_u16_e32 vcc, 0, v0
	s_and_b64 s[22:23], vcc, exec
	s_or_b64 s[26:27], s[0:1], s[22:23]
.LBB214_219:
	s_mov_b64 s[0:1], -1
.LBB214_220:
	s_mov_b64 s[22:23], 0
	s_andn2_b64 vcc, exec, s[0:1]
	s_mov_b64 s[0:1], 0
	s_mov_b64 s[30:31], 0
	s_cbranch_vccnz .LBB214_343
; %bb.221:
	v_mul_lo_u32 v0, v2, s12
	s_xor_b64 s[0:1], s[18:19], s[26:27]
	v_mov_b32_e32 v1, s9
	s_xor_b64 s[18:19], s[16:17], s[0:1]
	v_ashrrev_i32_e32 v3, 31, v0
	s_and_b32 s34, s33, 0xff
	v_add_co_u32_e32 v0, vcc, s8, v0
	s_cmp_lt_i32 s34, 11
	v_addc_co_u32_e32 v1, vcc, v1, v3, vcc
	s_cbranch_scc1 .LBB214_228
; %bb.222:
	s_and_b32 s35, 0xffff, s34
	s_cmp_gt_i32 s35, 25
	s_cbranch_scc0 .LBB214_229
; %bb.223:
	s_cmp_gt_i32 s35, 28
	s_cbranch_scc0 .LBB214_230
; %bb.224:
	;; [unrolled: 3-line block ×4, first 2 shown]
	s_mov_b64 s[20:21], 0
	s_mov_b64 s[0:1], -1
	s_cmp_eq_u32 s35, 46
	s_mov_b64 s[26:27], 0
	s_cbranch_scc0 .LBB214_233
; %bb.227:
	v_cndmask_b32_e64 v3, 0, 1.0, s[18:19]
	v_bfe_u32 v4, v3, 16, 1
	s_movk_i32 s0, 0x7fff
	v_add3_u32 v3, v3, v4, s0
	v_lshrrev_b32_e32 v3, 16, v3
	global_store_dword v[0:1], v3, off
	s_mov_b64 s[26:27], -1
	s_mov_b64 s[0:1], 0
	s_branch .LBB214_233
.LBB214_228:
	s_mov_b64 s[20:21], -1
	s_mov_b64 s[0:1], 0
	s_mov_b64 s[26:27], 0
	s_branch .LBB214_302
.LBB214_229:
	s_mov_b64 s[20:21], -1
	s_mov_b64 s[0:1], 0
	s_mov_b64 s[26:27], 0
	s_branch .LBB214_260
.LBB214_230:
	s_mov_b64 s[20:21], -1
	s_mov_b64 s[0:1], 0
	s_mov_b64 s[26:27], 0
	s_branch .LBB214_243
.LBB214_231:
	s_mov_b64 s[20:21], -1
	s_mov_b64 s[0:1], 0
	s_mov_b64 s[26:27], 0
	s_branch .LBB214_239
.LBB214_232:
	s_mov_b64 s[20:21], -1
	s_mov_b64 s[0:1], 0
	s_mov_b64 s[26:27], 0
.LBB214_233:
	s_and_b64 vcc, exec, s[20:21]
	s_cbranch_vccz .LBB214_238
; %bb.234:
	s_cmp_eq_u32 s35, 44
	s_mov_b64 s[0:1], -1
	s_cbranch_scc0 .LBB214_238
; %bb.235:
	v_cndmask_b32_e64 v4, 0, 1.0, s[18:19]
	v_lshrrev_b32_e32 v3, 23, v4
	s_movk_i32 s0, 0xff
	v_cmp_ne_u32_e32 vcc, s0, v3
	v_mov_b32_e32 v5, 0xff
	s_and_saveexec_b64 s[20:21], vcc
; %bb.236:
	s_mov_b32 s0, 0x3fffff
	v_and_b32_e32 v5, 0x400000, v4
	v_and_or_b32 v4, v4, s0, v3
	v_cmp_ne_u32_e32 vcc, 0, v5
	v_cmp_ne_u32_e64 s[0:1], 0, v4
	s_and_b64 s[0:1], vcc, s[0:1]
	v_cndmask_b32_e64 v4, 0, 1, s[0:1]
	v_add_u32_e32 v5, v3, v4
; %bb.237:
	s_or_b64 exec, exec, s[20:21]
	s_mov_b64 s[26:27], -1
	s_mov_b64 s[0:1], 0
	global_store_byte v[0:1], v5, off
.LBB214_238:
	s_mov_b64 s[20:21], 0
.LBB214_239:
	s_and_b64 vcc, exec, s[20:21]
	s_cbranch_vccz .LBB214_242
; %bb.240:
	s_cmp_eq_u32 s35, 29
	s_mov_b64 s[0:1], -1
	s_cbranch_scc0 .LBB214_242
; %bb.241:
	s_mov_b32 s0, 0
	v_cndmask_b32_e64 v3, 0, 1, s[18:19]
	v_mov_b32_e32 v4, s0
	global_store_dwordx2 v[0:1], v[3:4], off
	s_mov_b64 s[26:27], -1
	s_mov_b64 s[0:1], 0
.LBB214_242:
	s_mov_b64 s[20:21], 0
.LBB214_243:
	s_and_b64 vcc, exec, s[20:21]
	s_cbranch_vccz .LBB214_259
; %bb.244:
	s_cmp_lt_i32 s35, 27
	s_mov_b64 s[20:21], -1
	s_cbranch_scc1 .LBB214_250
; %bb.245:
	s_cmp_gt_i32 s35, 27
	s_cbranch_scc0 .LBB214_247
; %bb.246:
	v_cndmask_b32_e64 v3, 0, 1, s[18:19]
	s_mov_b64 s[20:21], 0
	global_store_dword v[0:1], v3, off
.LBB214_247:
	s_andn2_b64 vcc, exec, s[20:21]
	s_cbranch_vccnz .LBB214_249
; %bb.248:
	v_cndmask_b32_e64 v3, 0, 1, s[18:19]
	global_store_short v[0:1], v3, off
.LBB214_249:
	s_mov_b64 s[20:21], 0
.LBB214_250:
	s_andn2_b64 vcc, exec, s[20:21]
	s_cbranch_vccnz .LBB214_258
; %bb.251:
	v_cndmask_b32_e64 v4, 0, 1.0, s[18:19]
	s_mov_b32 s20, 0x43800000
	v_cmp_gt_u32_e32 vcc, s20, v4
	v_mov_b32_e32 v5, 0x80
	s_and_saveexec_b64 s[20:21], vcc
	s_cbranch_execz .LBB214_257
; %bb.252:
	s_mov_b32 s26, 0x3bffffff
	v_cmp_lt_u32_e32 vcc, s26, v4
	s_mov_b64 s[26:27], 0
                                        ; implicit-def: $vgpr3
	s_and_saveexec_b64 s[30:31], vcc
	s_xor_b64 s[30:31], exec, s[30:31]
	s_cbranch_execz .LBB214_373
; %bb.253:
	v_bfe_u32 v3, v4, 20, 1
	s_mov_b32 s36, 0x487ffff
	v_add3_u32 v3, v4, v3, s36
	s_mov_b64 s[26:27], exec
	v_lshrrev_b32_e32 v3, 20, v3
                                        ; implicit-def: $vgpr4
	s_andn2_saveexec_b64 s[30:31], s[30:31]
	s_cbranch_execnz .LBB214_374
.LBB214_254:
	s_or_b64 exec, exec, s[30:31]
	v_mov_b32_e32 v5, 0
	s_and_saveexec_b64 s[30:31], s[26:27]
.LBB214_255:
	v_mov_b32_e32 v5, v3
.LBB214_256:
	s_or_b64 exec, exec, s[30:31]
.LBB214_257:
	s_or_b64 exec, exec, s[20:21]
	global_store_byte v[0:1], v5, off
.LBB214_258:
	s_mov_b64 s[26:27], -1
.LBB214_259:
	s_mov_b64 s[20:21], 0
.LBB214_260:
	s_and_b64 vcc, exec, s[20:21]
	s_cbranch_vccz .LBB214_301
; %bb.261:
	s_cmp_gt_i32 s35, 22
	s_mov_b64 s[20:21], -1
	s_cbranch_scc0 .LBB214_293
; %bb.262:
	s_cmp_lt_i32 s35, 24
	s_cbranch_scc1 .LBB214_282
; %bb.263:
	s_cmp_gt_i32 s35, 24
	s_cbranch_scc0 .LBB214_271
; %bb.264:
	v_cndmask_b32_e64 v4, 0, 1.0, s[18:19]
	s_mov_b32 s20, 0x47800000
	v_cmp_gt_u32_e32 vcc, s20, v4
	v_mov_b32_e32 v5, 0x80
	s_and_saveexec_b64 s[20:21], vcc
	s_cbranch_execz .LBB214_270
; %bb.265:
	s_mov_b32 s26, 0x37ffffff
	v_cmp_lt_u32_e32 vcc, s26, v4
	s_mov_b64 s[26:27], 0
                                        ; implicit-def: $vgpr3
	s_and_saveexec_b64 s[30:31], vcc
	s_xor_b64 s[30:31], exec, s[30:31]
	s_cbranch_execz .LBB214_473
; %bb.266:
	v_bfe_u32 v3, v4, 21, 1
	s_mov_b32 s36, 0x88fffff
	v_add3_u32 v3, v4, v3, s36
	s_mov_b64 s[26:27], exec
	v_lshrrev_b32_e32 v3, 21, v3
                                        ; implicit-def: $vgpr4
	s_andn2_saveexec_b64 s[30:31], s[30:31]
	s_cbranch_execnz .LBB214_474
.LBB214_267:
	s_or_b64 exec, exec, s[30:31]
	v_mov_b32_e32 v5, 0
	s_and_saveexec_b64 s[30:31], s[26:27]
.LBB214_268:
	v_mov_b32_e32 v5, v3
.LBB214_269:
	s_or_b64 exec, exec, s[30:31]
.LBB214_270:
	s_or_b64 exec, exec, s[20:21]
	s_mov_b64 s[20:21], 0
	global_store_byte v[0:1], v5, off
.LBB214_271:
	s_and_b64 vcc, exec, s[20:21]
	s_cbranch_vccz .LBB214_281
; %bb.272:
	v_cndmask_b32_e64 v3, 0, 1.0, s[18:19]
	s_mov_b32 s20, 0x43f00000
	v_cmp_gt_u32_e32 vcc, s20, v3
                                        ; implicit-def: $vgpr4
	s_and_saveexec_b64 s[20:21], vcc
	s_xor_b64 s[20:21], exec, s[20:21]
	s_cbranch_execz .LBB214_278
; %bb.273:
	s_mov_b32 s26, 0x3c7fffff
	v_cmp_lt_u32_e32 vcc, s26, v3
                                        ; implicit-def: $vgpr4
	s_and_saveexec_b64 s[26:27], vcc
	s_xor_b64 s[26:27], exec, s[26:27]
; %bb.274:
	v_bfe_u32 v4, v3, 20, 1
	s_mov_b32 s30, 0x407ffff
	v_add3_u32 v3, v3, v4, s30
	v_lshrrev_b32_e32 v4, 20, v3
	v_and_b32_e32 v3, 0xff00000, v3
	s_mov_b32 s30, 0x7f00000
	v_mov_b32_e32 v5, 0x7e
	v_cmp_ne_u32_e32 vcc, s30, v3
	v_cndmask_b32_e32 v4, v5, v4, vcc
                                        ; implicit-def: $vgpr3
; %bb.275:
	s_andn2_saveexec_b64 s[26:27], s[26:27]
; %bb.276:
	v_add_f32_e32 v4, 0x46800000, v3
; %bb.277:
	s_or_b64 exec, exec, s[26:27]
                                        ; implicit-def: $vgpr3
.LBB214_278:
	s_andn2_saveexec_b64 s[20:21], s[20:21]
; %bb.279:
	s_mov_b32 s26, 0x7f800000
	v_mov_b32_e32 v4, 0x7e
	v_mov_b32_e32 v5, 0x7f
	v_cmp_lt_u32_e32 vcc, s26, v3
	v_cndmask_b32_e32 v4, v4, v5, vcc
; %bb.280:
	s_or_b64 exec, exec, s[20:21]
	global_store_byte v[0:1], v4, off
.LBB214_281:
	s_mov_b64 s[20:21], 0
.LBB214_282:
	s_andn2_b64 vcc, exec, s[20:21]
	s_cbranch_vccnz .LBB214_292
; %bb.283:
	v_cndmask_b32_e64 v3, 0, 1.0, s[18:19]
	s_mov_b32 s20, 0x47800000
	v_cmp_gt_u32_e32 vcc, s20, v3
                                        ; implicit-def: $vgpr4
	s_and_saveexec_b64 s[20:21], vcc
	s_xor_b64 s[20:21], exec, s[20:21]
	s_cbranch_execz .LBB214_289
; %bb.284:
	s_mov_b32 s26, 0x387fffff
	v_cmp_lt_u32_e32 vcc, s26, v3
                                        ; implicit-def: $vgpr4
	s_and_saveexec_b64 s[26:27], vcc
	s_xor_b64 s[26:27], exec, s[26:27]
; %bb.285:
	v_bfe_u32 v4, v3, 21, 1
	s_mov_b32 s30, 0x80fffff
	v_add3_u32 v3, v3, v4, s30
	v_lshrrev_b32_e32 v4, 21, v3
                                        ; implicit-def: $vgpr3
; %bb.286:
	s_andn2_saveexec_b64 s[26:27], s[26:27]
; %bb.287:
	v_add_f32_e32 v4, 0x43000000, v3
; %bb.288:
	s_or_b64 exec, exec, s[26:27]
                                        ; implicit-def: $vgpr3
.LBB214_289:
	s_andn2_saveexec_b64 s[20:21], s[20:21]
; %bb.290:
	s_mov_b32 s26, 0x7f800000
	v_mov_b32_e32 v4, 0x7c
	v_mov_b32_e32 v5, 0x7f
	v_cmp_lt_u32_e32 vcc, s26, v3
	v_cndmask_b32_e32 v4, v4, v5, vcc
; %bb.291:
	s_or_b64 exec, exec, s[20:21]
	global_store_byte v[0:1], v4, off
.LBB214_292:
	s_mov_b64 s[20:21], 0
	s_mov_b64 s[26:27], -1
.LBB214_293:
	s_andn2_b64 vcc, exec, s[20:21]
	s_cbranch_vccnz .LBB214_301
; %bb.294:
	s_cmp_gt_i32 s35, 14
	s_mov_b64 s[20:21], -1
	s_cbranch_scc0 .LBB214_298
; %bb.295:
	s_cmp_eq_u32 s35, 15
	s_mov_b64 s[0:1], -1
	s_cbranch_scc0 .LBB214_297
; %bb.296:
	v_cndmask_b32_e64 v3, 0, 1.0, s[18:19]
	v_bfe_u32 v4, v3, 16, 1
	s_movk_i32 s0, 0x7fff
	v_add3_u32 v3, v3, v4, s0
	global_store_short_d16_hi v[0:1], v3, off
	s_mov_b64 s[26:27], -1
	s_mov_b64 s[0:1], 0
.LBB214_297:
	s_mov_b64 s[20:21], 0
.LBB214_298:
	s_and_b64 vcc, exec, s[20:21]
	s_cbranch_vccz .LBB214_301
; %bb.299:
	s_cmp_eq_u32 s35, 11
	s_mov_b64 s[0:1], -1
	s_cbranch_scc0 .LBB214_301
; %bb.300:
	v_cndmask_b32_e64 v3, 0, 1, s[18:19]
	s_mov_b64 s[26:27], -1
	s_mov_b64 s[0:1], 0
	global_store_byte v[0:1], v3, off
.LBB214_301:
	s_mov_b64 s[20:21], 0
.LBB214_302:
	s_and_b64 vcc, exec, s[20:21]
	s_cbranch_vccz .LBB214_341
; %bb.303:
	s_and_b32 s26, 0xffff, s34
	s_cmp_lt_i32 s26, 5
	s_mov_b64 s[20:21], -1
	s_cbranch_scc1 .LBB214_324
; %bb.304:
	s_cmp_lt_i32 s26, 8
	s_cbranch_scc1 .LBB214_314
; %bb.305:
	s_cmp_lt_i32 s26, 9
	s_cbranch_scc1 .LBB214_311
; %bb.306:
	s_cmp_gt_i32 s26, 9
	s_cbranch_scc0 .LBB214_308
; %bb.307:
	v_cndmask_b32_e64 v3, 0, 1, s[18:19]
	v_cvt_f64_u32_e32 v[3:4], v3
	v_mov_b32_e32 v5, 0
	v_mov_b32_e32 v6, v5
	s_mov_b64 s[20:21], 0
	global_store_dwordx4 v[0:1], v[3:6], off
.LBB214_308:
	s_andn2_b64 vcc, exec, s[20:21]
	s_cbranch_vccnz .LBB214_310
; %bb.309:
	v_cndmask_b32_e64 v3, 0, 1.0, s[18:19]
	v_mov_b32_e32 v4, 0
	global_store_dwordx2 v[0:1], v[3:4], off
.LBB214_310:
	s_mov_b64 s[20:21], 0
.LBB214_311:
	s_andn2_b64 vcc, exec, s[20:21]
	s_cbranch_vccnz .LBB214_313
; %bb.312:
	v_cndmask_b32_e64 v3, 0, 1.0, s[18:19]
	v_cvt_f16_f32_e32 v3, v3
	global_store_dword v[0:1], v3, off
.LBB214_313:
	s_mov_b64 s[20:21], 0
.LBB214_314:
	s_andn2_b64 vcc, exec, s[20:21]
	s_cbranch_vccnz .LBB214_323
; %bb.315:
	s_cmp_lt_i32 s26, 6
	s_mov_b64 s[20:21], -1
	s_cbranch_scc1 .LBB214_321
; %bb.316:
	s_cmp_gt_i32 s26, 6
	s_cbranch_scc0 .LBB214_318
; %bb.317:
	v_cndmask_b32_e64 v3, 0, 1, s[18:19]
	v_cvt_f64_u32_e32 v[3:4], v3
	s_mov_b64 s[20:21], 0
	global_store_dwordx2 v[0:1], v[3:4], off
.LBB214_318:
	s_andn2_b64 vcc, exec, s[20:21]
	s_cbranch_vccnz .LBB214_320
; %bb.319:
	v_cndmask_b32_e64 v3, 0, 1.0, s[18:19]
	global_store_dword v[0:1], v3, off
.LBB214_320:
	s_mov_b64 s[20:21], 0
.LBB214_321:
	s_andn2_b64 vcc, exec, s[20:21]
	s_cbranch_vccnz .LBB214_323
; %bb.322:
	v_cndmask_b32_e64 v3, 0, 1.0, s[18:19]
	v_cvt_f16_f32_e32 v3, v3
	global_store_short v[0:1], v3, off
.LBB214_323:
	s_mov_b64 s[20:21], 0
.LBB214_324:
	s_andn2_b64 vcc, exec, s[20:21]
	s_cbranch_vccnz .LBB214_340
; %bb.325:
	s_cmp_lt_i32 s26, 2
	s_mov_b64 s[20:21], -1
	s_cbranch_scc1 .LBB214_335
; %bb.326:
	s_cmp_lt_i32 s26, 3
	s_cbranch_scc1 .LBB214_332
; %bb.327:
	s_cmp_gt_i32 s26, 3
	s_cbranch_scc0 .LBB214_329
; %bb.328:
	s_mov_b32 s20, 0
	v_cndmask_b32_e64 v3, 0, 1, s[18:19]
	v_mov_b32_e32 v4, s20
	global_store_dwordx2 v[0:1], v[3:4], off
	s_mov_b64 s[20:21], 0
.LBB214_329:
	s_andn2_b64 vcc, exec, s[20:21]
	s_cbranch_vccnz .LBB214_331
; %bb.330:
	v_cndmask_b32_e64 v3, 0, 1, s[18:19]
	global_store_dword v[0:1], v3, off
.LBB214_331:
	s_mov_b64 s[20:21], 0
.LBB214_332:
	s_andn2_b64 vcc, exec, s[20:21]
	s_cbranch_vccnz .LBB214_334
; %bb.333:
	v_cndmask_b32_e64 v3, 0, 1, s[18:19]
	global_store_short v[0:1], v3, off
.LBB214_334:
	s_mov_b64 s[20:21], 0
.LBB214_335:
	s_andn2_b64 vcc, exec, s[20:21]
	s_cbranch_vccnz .LBB214_340
; %bb.336:
	s_mov_b64 s[20:21], -1
	s_cmp_gt_i32 s26, 0
	v_cndmask_b32_e64 v3, 0, 1, s[18:19]
	s_cbranch_scc0 .LBB214_338
; %bb.337:
	global_store_byte v[0:1], v3, off
	s_mov_b64 s[20:21], 0
.LBB214_338:
	s_andn2_b64 vcc, exec, s[20:21]
	s_cbranch_vccnz .LBB214_340
; %bb.339:
	global_store_byte v[0:1], v3, off
.LBB214_340:
	s_mov_b64 s[26:27], -1
.LBB214_341:
	s_mov_b64 s[20:21], 0
	s_andn2_b64 vcc, exec, s[26:27]
	s_mov_b64 s[30:31], 0
	s_cbranch_vccnz .LBB214_343
; %bb.342:
	v_add_u32_e32 v2, 0x80, v2
	s_mov_b64 s[30:31], -1
.LBB214_343:
	s_and_b64 s[18:19], s[0:1], exec
	s_and_b64 s[20:21], s[20:21], exec
	;; [unrolled: 1-line block ×3, first 2 shown]
	s_orn2_b64 s[26:27], s[30:31], exec
.LBB214_344:
	s_or_b64 exec, exec, s[24:25]
	s_mov_b64 s[0:1], 0
	s_mov_b64 s[30:31], 0
                                        ; implicit-def: $sgpr36_sgpr37
                                        ; implicit-def: $sgpr60
                                        ; implicit-def: $vgpr0_vgpr1
	s_and_saveexec_b64 s[24:25], s[26:27]
	s_cbranch_execz .LBB214_353
; %bb.345:
	v_cmp_gt_i32_e32 vcc, s52, v2
	s_mov_b64 s[0:1], -1
	s_mov_b64 s[26:27], s[22:23]
	s_mov_b64 s[28:29], s[20:21]
	;; [unrolled: 1-line block ×3, first 2 shown]
	s_and_saveexec_b64 s[34:35], vcc
	s_cbranch_execz .LBB214_696
; %bb.346:
	v_mul_lo_u32 v0, v2, s13
	v_mov_b32_e32 v1, s11
	s_and_b32 s36, s59, 0xff
	s_cmp_lt_i32 s36, 11
	v_ashrrev_i32_e32 v3, 31, v0
	v_add_co_u32_e32 v0, vcc, s10, v0
	v_addc_co_u32_e32 v1, vcc, v1, v3, vcc
	s_cbranch_scc1 .LBB214_356
; %bb.347:
	s_and_b32 s37, 0xffff, s36
	s_cmp_gt_i32 s37, 25
	s_cbranch_scc0 .LBB214_365
; %bb.348:
	s_cmp_gt_i32 s37, 28
	s_cbranch_scc0 .LBB214_367
; %bb.349:
	s_cmp_gt_i32 s37, 43
	s_cbranch_scc0 .LBB214_369
; %bb.350:
	s_cmp_gt_i32 s37, 45
	s_cbranch_scc0 .LBB214_371
; %bb.351:
	s_cmp_eq_u32 s37, 46
	s_mov_b64 s[30:31], 0
	s_cbranch_scc0 .LBB214_375
; %bb.352:
	global_load_dword v3, v[0:1], off
	s_mov_b64 s[26:27], 0
	s_waitcnt vmcnt(0)
	v_and_b32_e32 v3, 0x7fff7fff, v3
	v_cmp_ne_u32_e64 s[28:29], 0, v3
	s_branch .LBB214_376
.LBB214_353:
	s_or_b64 exec, exec, s[24:25]
	s_mov_b64 s[24:25], 0
	s_and_saveexec_b64 s[26:27], s[22:23]
	s_cbranch_execnz .LBB214_1113
.LBB214_354:
	s_or_b64 exec, exec, s[26:27]
	s_and_saveexec_b64 s[22:23], s[28:29]
	s_xor_b64 s[22:23], exec, s[22:23]
	s_cbranch_execz .LBB214_1114
.LBB214_355:
	global_load_ubyte v3, v[0:1], off
	s_andn2_b64 s[26:27], s[36:37], exec
	s_or_b64 s[30:31], s[30:31], exec
	s_waitcnt vmcnt(0)
	v_cmp_ne_u16_e32 vcc, 0, v3
	s_and_b64 s[28:29], vcc, exec
	s_or_b64 s[36:37], s[26:27], s[28:29]
	s_or_b64 exec, exec, s[22:23]
	s_and_saveexec_b64 s[22:23], s[0:1]
	s_cbranch_execz .LBB214_1160
	s_branch .LBB214_1115
.LBB214_356:
	s_mov_b64 s[0:1], 0
                                        ; implicit-def: $sgpr28_sgpr29
	s_mov_b64 s[26:27], s[22:23]
	s_cbranch_execnz .LBB214_423
.LBB214_357:
	s_andn2_b64 vcc, exec, s[0:1]
	s_cbranch_vccnz .LBB214_471
.LBB214_358:
	v_mul_lo_u32 v0, v2, s14
	v_mov_b32_e32 v1, s3
	s_and_b32 s38, s58, 0xff
	s_cmp_lt_i32 s38, 11
	v_ashrrev_i32_e32 v3, 31, v0
	v_add_co_u32_e32 v0, vcc, s2, v0
	v_addc_co_u32_e32 v1, vcc, v1, v3, vcc
	s_cbranch_scc1 .LBB214_366
; %bb.359:
	s_and_b32 s39, 0xffff, s38
	s_cmp_gt_i32 s39, 25
	s_cbranch_scc0 .LBB214_368
; %bb.360:
	s_cmp_gt_i32 s39, 28
	s_cbranch_scc0 .LBB214_370
; %bb.361:
	;; [unrolled: 3-line block ×4, first 2 shown]
	s_cmp_eq_u32 s39, 46
	s_mov_b64 s[26:27], 0
	s_cbranch_scc0 .LBB214_475
; %bb.364:
	global_load_dword v3, v[0:1], off
	s_mov_b64 s[0:1], -1
	s_mov_b64 s[36:37], 0
	s_waitcnt vmcnt(0)
	v_and_b32_e32 v3, 0x7fff7fff, v3
	v_cmp_ne_u32_e64 s[30:31], 0, v3
	s_branch .LBB214_476
.LBB214_365:
	s_mov_b64 s[30:31], -1
	s_mov_b64 s[0:1], 0
	s_mov_b64 s[26:27], s[22:23]
                                        ; implicit-def: $sgpr28_sgpr29
	s_branch .LBB214_397
.LBB214_366:
	s_mov_b64 s[26:27], -1
	s_mov_b64 s[0:1], 0
                                        ; implicit-def: $sgpr30_sgpr31
	s_mov_b64 s[36:37], s[20:21]
	s_branch .LBB214_523
.LBB214_367:
	s_mov_b64 s[30:31], -1
	s_mov_b64 s[0:1], 0
	s_mov_b64 s[26:27], s[22:23]
                                        ; implicit-def: $sgpr28_sgpr29
	s_branch .LBB214_384
.LBB214_368:
	s_mov_b64 s[26:27], -1
	s_mov_b64 s[0:1], 0
	s_mov_b64 s[36:37], s[20:21]
                                        ; implicit-def: $sgpr30_sgpr31
	s_branch .LBB214_497
.LBB214_369:
	s_mov_b64 s[30:31], -1
	s_mov_b64 s[0:1], 0
	s_mov_b64 s[26:27], s[22:23]
                                        ; implicit-def: $sgpr28_sgpr29
	s_branch .LBB214_379
.LBB214_370:
	s_mov_b64 s[26:27], -1
	s_mov_b64 s[0:1], 0
	s_mov_b64 s[36:37], s[20:21]
                                        ; implicit-def: $sgpr30_sgpr31
	s_branch .LBB214_484
.LBB214_371:
	s_mov_b64 s[30:31], -1
	s_mov_b64 s[0:1], 0
	s_mov_b64 s[26:27], s[22:23]
                                        ; implicit-def: $sgpr28_sgpr29
	s_branch .LBB214_376
.LBB214_372:
	s_mov_b64 s[26:27], -1
	s_mov_b64 s[0:1], 0
	s_mov_b64 s[36:37], s[20:21]
                                        ; implicit-def: $sgpr30_sgpr31
	s_branch .LBB214_479
.LBB214_373:
	s_andn2_saveexec_b64 s[30:31], s[30:31]
	s_cbranch_execz .LBB214_254
.LBB214_374:
	v_add_f32_e32 v3, 0x46000000, v4
	v_and_b32_e32 v3, 0xff, v3
	v_cmp_ne_u32_e32 vcc, 0, v3
	s_andn2_b64 s[26:27], s[26:27], exec
	s_and_b64 s[36:37], vcc, exec
	s_or_b64 s[26:27], s[26:27], s[36:37]
	s_or_b64 exec, exec, s[30:31]
	v_mov_b32_e32 v5, 0
	s_and_saveexec_b64 s[30:31], s[26:27]
	s_cbranch_execnz .LBB214_255
	s_branch .LBB214_256
.LBB214_375:
	s_mov_b64 s[26:27], -1
                                        ; implicit-def: $sgpr28_sgpr29
	s_mov_b64 s[0:1], 0
.LBB214_376:
	s_and_b64 vcc, exec, s[30:31]
	s_cbranch_vccz .LBB214_378
; %bb.377:
	s_cmp_eq_u32 s37, 44
	s_cselect_b64 s[0:1], -1, 0
	s_or_b64 s[28:29], s[28:29], exec
	s_or_b64 s[26:27], s[26:27], exec
.LBB214_378:
	s_mov_b64 s[30:31], 0
.LBB214_379:
	s_and_b64 vcc, exec, s[30:31]
	s_cbranch_vccz .LBB214_383
; %bb.380:
	s_cmp_eq_u32 s37, 29
	s_cbranch_scc0 .LBB214_382
; %bb.381:
	global_load_dwordx2 v[3:4], v[0:1], off
	s_mov_b64 s[26:27], 0
	s_mov_b64 s[0:1], -1
	s_mov_b64 s[30:31], 0
	s_waitcnt vmcnt(0)
	v_cmp_ne_u64_e64 s[28:29], 0, v[3:4]
	s_branch .LBB214_384
.LBB214_382:
	s_mov_b64 s[26:27], -1
                                        ; implicit-def: $sgpr28_sgpr29
.LBB214_383:
	s_mov_b64 s[30:31], 0
.LBB214_384:
	s_and_b64 vcc, exec, s[30:31]
	s_cbranch_vccz .LBB214_396
; %bb.385:
	s_cmp_lt_i32 s37, 27
	s_cbranch_scc1 .LBB214_388
; %bb.386:
	s_cmp_gt_i32 s37, 27
	s_cbranch_scc0 .LBB214_389
; %bb.387:
	global_load_dword v3, v[0:1], off
	s_mov_b64 s[0:1], 0
	s_waitcnt vmcnt(0)
	v_cmp_ne_u32_e64 s[28:29], 0, v3
	s_branch .LBB214_390
.LBB214_388:
	s_mov_b64 s[0:1], -1
                                        ; implicit-def: $sgpr28_sgpr29
	s_branch .LBB214_393
.LBB214_389:
	s_mov_b64 s[0:1], -1
                                        ; implicit-def: $sgpr28_sgpr29
.LBB214_390:
	s_andn2_b64 vcc, exec, s[0:1]
	s_cbranch_vccnz .LBB214_392
; %bb.391:
	global_load_ushort v3, v[0:1], off
	s_andn2_b64 s[0:1], s[28:29], exec
	s_waitcnt vmcnt(0)
	v_cmp_ne_u16_e32 vcc, 0, v3
	s_and_b64 s[28:29], vcc, exec
	s_or_b64 s[28:29], s[0:1], s[28:29]
.LBB214_392:
	s_mov_b64 s[0:1], 0
.LBB214_393:
	s_andn2_b64 vcc, exec, s[0:1]
	s_cbranch_vccnz .LBB214_395
; %bb.394:
	global_load_ubyte v3, v[0:1], off
	s_andn2_b64 s[0:1], s[28:29], exec
	s_waitcnt vmcnt(0)
	v_cmp_ne_u16_e32 vcc, 0, v3
	s_and_b64 s[28:29], vcc, exec
	s_or_b64 s[28:29], s[0:1], s[28:29]
.LBB214_395:
	s_mov_b64 s[0:1], -1
.LBB214_396:
	s_mov_b64 s[30:31], 0
.LBB214_397:
	s_and_b64 vcc, exec, s[30:31]
	s_cbranch_vccz .LBB214_422
; %bb.398:
	s_cmp_gt_i32 s37, 22
	s_cbranch_scc0 .LBB214_402
; %bb.399:
	s_cmp_lt_i32 s37, 24
	s_cbranch_scc1 .LBB214_403
; %bb.400:
	s_cmp_gt_i32 s37, 24
	s_cbranch_scc0 .LBB214_404
; %bb.401:
	global_load_ubyte v3, v[0:1], off
	s_mov_b64 s[0:1], 0
	s_waitcnt vmcnt(0)
	v_cmp_ne_u16_e64 s[28:29], 0, v3
	s_branch .LBB214_405
.LBB214_402:
	s_mov_b64 s[30:31], -1
                                        ; implicit-def: $sgpr28_sgpr29
	s_branch .LBB214_411
.LBB214_403:
	s_mov_b64 s[0:1], -1
                                        ; implicit-def: $sgpr28_sgpr29
	s_branch .LBB214_408
.LBB214_404:
	s_mov_b64 s[0:1], -1
                                        ; implicit-def: $sgpr28_sgpr29
.LBB214_405:
	s_andn2_b64 vcc, exec, s[0:1]
	s_cbranch_vccnz .LBB214_407
; %bb.406:
	global_load_ubyte v3, v[0:1], off
	s_andn2_b64 s[0:1], s[28:29], exec
	s_waitcnt vmcnt(0)
	v_and_b32_e32 v3, 0x7f, v3
	v_cmp_ne_u16_e32 vcc, 0, v3
	s_and_b64 s[28:29], vcc, exec
	s_or_b64 s[28:29], s[0:1], s[28:29]
.LBB214_407:
	s_mov_b64 s[0:1], 0
.LBB214_408:
	s_andn2_b64 vcc, exec, s[0:1]
	s_cbranch_vccnz .LBB214_410
; %bb.409:
	global_load_ubyte v3, v[0:1], off
	s_movk_i32 s0, 0x7f00
	s_brev_b32 s1, 16
	s_waitcnt vmcnt(0)
	v_lshlrev_b32_e32 v4, 8, v3
	v_lshlrev_b32_e32 v3, 25, v3
	v_lshrrev_b32_e32 v5, 4, v3
	v_and_or_b32 v4, v4, s0, 0.5
	v_or_b32_e32 v5, 0x70000000, v5
	v_add_f32_e32 v4, -0.5, v4
	v_mul_f32_e32 v5, 0x7800000, v5
	v_cmp_gt_u32_e32 vcc, s1, v3
	v_cndmask_b32_e32 v3, v5, v4, vcc
	v_cmp_neq_f32_e32 vcc, 0, v3
	s_andn2_b64 s[0:1], s[28:29], exec
	s_and_b64 s[28:29], vcc, exec
	s_or_b64 s[28:29], s[0:1], s[28:29]
.LBB214_410:
	s_mov_b64 s[30:31], 0
	s_mov_b64 s[0:1], -1
.LBB214_411:
	s_andn2_b64 vcc, exec, s[30:31]
	s_cbranch_vccnz .LBB214_422
; %bb.412:
	s_cmp_gt_i32 s37, 14
	s_cbranch_scc0 .LBB214_415
; %bb.413:
	s_cmp_eq_u32 s37, 15
	s_cbranch_scc0 .LBB214_416
; %bb.414:
	global_load_ushort v3, v[0:1], off
	s_mov_b64 s[0:1], -1
	s_mov_b64 s[26:27], 0
	s_waitcnt vmcnt(0)
	v_and_b32_e32 v3, 0x7fff, v3
	v_cmp_ne_u16_e64 s[28:29], 0, v3
	s_branch .LBB214_417
.LBB214_415:
	s_mov_b64 s[30:31], -1
                                        ; implicit-def: $sgpr28_sgpr29
	s_branch .LBB214_418
.LBB214_416:
	s_mov_b64 s[26:27], -1
                                        ; implicit-def: $sgpr28_sgpr29
.LBB214_417:
	s_mov_b64 s[30:31], 0
.LBB214_418:
	s_and_b64 vcc, exec, s[30:31]
	s_cbranch_vccz .LBB214_422
; %bb.419:
	s_cmp_eq_u32 s37, 11
	s_cbranch_scc0 .LBB214_421
; %bb.420:
	global_load_ubyte v3, v[0:1], off
	s_mov_b64 s[0:1], -1
	s_mov_b64 s[26:27], 0
	s_waitcnt vmcnt(0)
	v_cmp_ne_u16_e64 s[28:29], 0, v3
	s_branch .LBB214_422
.LBB214_421:
	s_mov_b64 s[26:27], -1
                                        ; implicit-def: $sgpr28_sgpr29
.LBB214_422:
	s_branch .LBB214_357
.LBB214_423:
	s_and_b32 s36, 0xffff, s36
	s_cmp_lt_i32 s36, 5
	s_cbranch_scc1 .LBB214_428
; %bb.424:
	s_cmp_lt_i32 s36, 8
	s_cbranch_scc1 .LBB214_429
; %bb.425:
	;; [unrolled: 3-line block ×3, first 2 shown]
	s_cmp_gt_i32 s36, 9
	s_cbranch_scc0 .LBB214_431
; %bb.427:
	global_load_dwordx4 v[3:6], v[0:1], off
	s_mov_b64 s[30:31], 0
	s_waitcnt vmcnt(0)
	v_cmp_neq_f64_e32 vcc, 0, v[3:4]
	v_cmp_neq_f64_e64 s[0:1], 0, v[5:6]
	s_or_b64 s[28:29], vcc, s[0:1]
	s_branch .LBB214_432
.LBB214_428:
	s_mov_b64 s[0:1], -1
                                        ; implicit-def: $sgpr28_sgpr29
	s_branch .LBB214_450
.LBB214_429:
	s_mov_b64 s[0:1], -1
                                        ; implicit-def: $sgpr28_sgpr29
	s_branch .LBB214_438
.LBB214_430:
	s_mov_b64 s[0:1], -1
                                        ; implicit-def: $sgpr28_sgpr29
	s_branch .LBB214_435
.LBB214_431:
	s_mov_b64 s[30:31], -1
                                        ; implicit-def: $sgpr28_sgpr29
.LBB214_432:
	s_andn2_b64 vcc, exec, s[30:31]
	s_cbranch_vccnz .LBB214_434
; %bb.433:
	global_load_dwordx2 v[3:4], v[0:1], off
	s_andn2_b64 s[0:1], s[28:29], exec
	s_waitcnt vmcnt(0)
	v_or_b32_e32 v3, v3, v4
	v_and_b32_e32 v3, 0x7fffffff, v3
	v_cmp_ne_u32_e32 vcc, 0, v3
	s_and_b64 s[28:29], vcc, exec
	s_or_b64 s[28:29], s[0:1], s[28:29]
.LBB214_434:
	s_mov_b64 s[0:1], 0
.LBB214_435:
	s_andn2_b64 vcc, exec, s[0:1]
	s_cbranch_vccnz .LBB214_437
; %bb.436:
	global_load_dword v3, v[0:1], off
	s_andn2_b64 s[0:1], s[28:29], exec
	s_waitcnt vmcnt(0)
	v_and_b32_e32 v3, 0x7fff7fff, v3
	v_cmp_ne_u32_e32 vcc, 0, v3
	s_and_b64 s[28:29], vcc, exec
	s_or_b64 s[28:29], s[0:1], s[28:29]
.LBB214_437:
	s_mov_b64 s[0:1], 0
.LBB214_438:
	s_andn2_b64 vcc, exec, s[0:1]
	s_cbranch_vccnz .LBB214_449
; %bb.439:
	s_cmp_lt_i32 s36, 6
	s_cbranch_scc1 .LBB214_442
; %bb.440:
	s_cmp_gt_i32 s36, 6
	s_cbranch_scc0 .LBB214_443
; %bb.441:
	global_load_dwordx2 v[3:4], v[0:1], off
	s_mov_b64 s[0:1], 0
	s_waitcnt vmcnt(0)
	v_cmp_neq_f64_e64 s[28:29], 0, v[3:4]
	s_branch .LBB214_444
.LBB214_442:
	s_mov_b64 s[0:1], -1
                                        ; implicit-def: $sgpr28_sgpr29
	s_branch .LBB214_447
.LBB214_443:
	s_mov_b64 s[0:1], -1
                                        ; implicit-def: $sgpr28_sgpr29
.LBB214_444:
	s_andn2_b64 vcc, exec, s[0:1]
	s_cbranch_vccnz .LBB214_446
; %bb.445:
	global_load_dword v3, v[0:1], off
	s_andn2_b64 s[0:1], s[28:29], exec
	s_waitcnt vmcnt(0)
	v_cmp_neq_f32_e32 vcc, 0, v3
	s_and_b64 s[28:29], vcc, exec
	s_or_b64 s[28:29], s[0:1], s[28:29]
.LBB214_446:
	s_mov_b64 s[0:1], 0
.LBB214_447:
	s_andn2_b64 vcc, exec, s[0:1]
	s_cbranch_vccnz .LBB214_449
; %bb.448:
	global_load_ushort v3, v[0:1], off
	s_andn2_b64 s[0:1], s[28:29], exec
	s_waitcnt vmcnt(0)
	v_and_b32_e32 v3, 0x7fff, v3
	v_cmp_ne_u16_e32 vcc, 0, v3
	s_and_b64 s[28:29], vcc, exec
	s_or_b64 s[28:29], s[0:1], s[28:29]
.LBB214_449:
	s_mov_b64 s[0:1], 0
.LBB214_450:
	s_andn2_b64 vcc, exec, s[0:1]
	s_cbranch_vccnz .LBB214_470
; %bb.451:
	s_cmp_lt_i32 s36, 2
	s_cbranch_scc1 .LBB214_455
; %bb.452:
	s_cmp_lt_i32 s36, 3
	s_cbranch_scc1 .LBB214_456
; %bb.453:
	s_cmp_gt_i32 s36, 3
	s_cbranch_scc0 .LBB214_457
; %bb.454:
	global_load_dwordx2 v[3:4], v[0:1], off
	s_mov_b64 s[0:1], 0
	s_waitcnt vmcnt(0)
	v_cmp_ne_u64_e64 s[28:29], 0, v[3:4]
	s_branch .LBB214_458
.LBB214_455:
	s_mov_b64 s[0:1], -1
                                        ; implicit-def: $sgpr28_sgpr29
	s_branch .LBB214_464
.LBB214_456:
	s_mov_b64 s[0:1], -1
                                        ; implicit-def: $sgpr28_sgpr29
	s_branch .LBB214_461
.LBB214_457:
	s_mov_b64 s[0:1], -1
                                        ; implicit-def: $sgpr28_sgpr29
.LBB214_458:
	s_andn2_b64 vcc, exec, s[0:1]
	s_cbranch_vccnz .LBB214_460
; %bb.459:
	global_load_dword v3, v[0:1], off
	s_andn2_b64 s[0:1], s[28:29], exec
	s_waitcnt vmcnt(0)
	v_cmp_ne_u32_e32 vcc, 0, v3
	s_and_b64 s[28:29], vcc, exec
	s_or_b64 s[28:29], s[0:1], s[28:29]
.LBB214_460:
	s_mov_b64 s[0:1], 0
.LBB214_461:
	s_andn2_b64 vcc, exec, s[0:1]
	s_cbranch_vccnz .LBB214_463
; %bb.462:
	global_load_ushort v3, v[0:1], off
	s_andn2_b64 s[0:1], s[28:29], exec
	s_waitcnt vmcnt(0)
	v_cmp_ne_u16_e32 vcc, 0, v3
	s_and_b64 s[28:29], vcc, exec
	s_or_b64 s[28:29], s[0:1], s[28:29]
.LBB214_463:
	s_mov_b64 s[0:1], 0
.LBB214_464:
	s_andn2_b64 vcc, exec, s[0:1]
	s_cbranch_vccnz .LBB214_470
; %bb.465:
	s_cmp_gt_i32 s36, 0
	s_cbranch_scc0 .LBB214_467
; %bb.466:
	global_load_ubyte v3, v[0:1], off
	s_mov_b64 s[0:1], 0
	s_waitcnt vmcnt(0)
	v_cmp_ne_u16_e64 s[28:29], 0, v3
	s_branch .LBB214_468
.LBB214_467:
	s_mov_b64 s[0:1], -1
                                        ; implicit-def: $sgpr28_sgpr29
.LBB214_468:
	s_andn2_b64 vcc, exec, s[0:1]
	s_cbranch_vccnz .LBB214_470
; %bb.469:
	global_load_ubyte v0, v[0:1], off
	s_andn2_b64 s[0:1], s[28:29], exec
	s_waitcnt vmcnt(0)
	v_cmp_ne_u16_e32 vcc, 0, v0
	s_and_b64 s[28:29], vcc, exec
	s_or_b64 s[28:29], s[0:1], s[28:29]
.LBB214_470:
	s_branch .LBB214_358
.LBB214_471:
	s_mov_b64 s[38:39], 0
	s_mov_b64 s[0:1], s[18:19]
	;; [unrolled: 1-line block ×3, first 2 shown]
                                        ; implicit-def: $vgpr2
	s_branch .LBB214_695
.LBB214_472:
	s_mov_b64 s[26:27], -1
	s_mov_b64 s[0:1], 0
	s_mov_b64 s[36:37], s[20:21]
                                        ; implicit-def: $sgpr30_sgpr31
	s_branch .LBB214_476
.LBB214_473:
	s_andn2_saveexec_b64 s[30:31], s[30:31]
	s_cbranch_execz .LBB214_267
.LBB214_474:
	v_add_f32_e32 v3, 0x42800000, v4
	v_and_b32_e32 v3, 0xff, v3
	v_cmp_ne_u32_e32 vcc, 0, v3
	s_andn2_b64 s[26:27], s[26:27], exec
	s_and_b64 s[36:37], vcc, exec
	s_or_b64 s[26:27], s[26:27], s[36:37]
	s_or_b64 exec, exec, s[30:31]
	v_mov_b32_e32 v5, 0
	s_and_saveexec_b64 s[30:31], s[26:27]
	s_cbranch_execnz .LBB214_268
	s_branch .LBB214_269
.LBB214_475:
	s_mov_b64 s[36:37], -1
                                        ; implicit-def: $sgpr30_sgpr31
	s_mov_b64 s[0:1], 0
.LBB214_476:
	s_and_b64 vcc, exec, s[26:27]
	s_cbranch_vccz .LBB214_478
; %bb.477:
	s_cmp_eq_u32 s39, 44
	s_cselect_b64 s[0:1], -1, 0
	s_or_b64 s[30:31], s[30:31], exec
	s_or_b64 s[36:37], s[36:37], exec
.LBB214_478:
	s_mov_b64 s[26:27], 0
.LBB214_479:
	s_and_b64 vcc, exec, s[26:27]
	s_cbranch_vccz .LBB214_483
; %bb.480:
	s_cmp_eq_u32 s39, 29
	s_cbranch_scc0 .LBB214_482
; %bb.481:
	global_load_dwordx2 v[3:4], v[0:1], off
	s_mov_b64 s[36:37], 0
	s_mov_b64 s[0:1], -1
	s_mov_b64 s[26:27], 0
	s_waitcnt vmcnt(0)
	v_cmp_ne_u64_e64 s[30:31], 0, v[3:4]
	s_branch .LBB214_484
.LBB214_482:
	s_mov_b64 s[36:37], -1
                                        ; implicit-def: $sgpr30_sgpr31
.LBB214_483:
	s_mov_b64 s[26:27], 0
.LBB214_484:
	s_and_b64 vcc, exec, s[26:27]
	s_cbranch_vccz .LBB214_496
; %bb.485:
	s_cmp_lt_i32 s39, 27
	s_cbranch_scc1 .LBB214_488
; %bb.486:
	s_cmp_gt_i32 s39, 27
	s_cbranch_scc0 .LBB214_489
; %bb.487:
	global_load_dword v3, v[0:1], off
	s_mov_b64 s[0:1], 0
	s_waitcnt vmcnt(0)
	v_cmp_ne_u32_e64 s[30:31], 0, v3
	s_branch .LBB214_490
.LBB214_488:
	s_mov_b64 s[0:1], -1
                                        ; implicit-def: $sgpr30_sgpr31
	s_branch .LBB214_493
.LBB214_489:
	s_mov_b64 s[0:1], -1
                                        ; implicit-def: $sgpr30_sgpr31
.LBB214_490:
	s_andn2_b64 vcc, exec, s[0:1]
	s_cbranch_vccnz .LBB214_492
; %bb.491:
	global_load_ushort v3, v[0:1], off
	s_andn2_b64 s[0:1], s[30:31], exec
	s_waitcnt vmcnt(0)
	v_cmp_ne_u16_e32 vcc, 0, v3
	s_and_b64 s[26:27], vcc, exec
	s_or_b64 s[30:31], s[0:1], s[26:27]
.LBB214_492:
	s_mov_b64 s[0:1], 0
.LBB214_493:
	s_andn2_b64 vcc, exec, s[0:1]
	s_cbranch_vccnz .LBB214_495
; %bb.494:
	global_load_ubyte v3, v[0:1], off
	s_andn2_b64 s[0:1], s[30:31], exec
	s_waitcnt vmcnt(0)
	v_cmp_ne_u16_e32 vcc, 0, v3
	s_and_b64 s[26:27], vcc, exec
	s_or_b64 s[30:31], s[0:1], s[26:27]
.LBB214_495:
	s_mov_b64 s[0:1], -1
.LBB214_496:
	s_mov_b64 s[26:27], 0
.LBB214_497:
	s_and_b64 vcc, exec, s[26:27]
	s_cbranch_vccz .LBB214_522
; %bb.498:
	s_cmp_gt_i32 s39, 22
	s_cbranch_scc0 .LBB214_502
; %bb.499:
	s_cmp_lt_i32 s39, 24
	s_cbranch_scc1 .LBB214_503
; %bb.500:
	s_cmp_gt_i32 s39, 24
	s_cbranch_scc0 .LBB214_504
; %bb.501:
	global_load_ubyte v3, v[0:1], off
	s_mov_b64 s[0:1], 0
	s_waitcnt vmcnt(0)
	v_cmp_ne_u16_e64 s[30:31], 0, v3
	s_branch .LBB214_505
.LBB214_502:
	s_mov_b64 s[26:27], -1
                                        ; implicit-def: $sgpr30_sgpr31
	s_branch .LBB214_511
.LBB214_503:
	s_mov_b64 s[0:1], -1
                                        ; implicit-def: $sgpr30_sgpr31
	s_branch .LBB214_508
.LBB214_504:
	s_mov_b64 s[0:1], -1
                                        ; implicit-def: $sgpr30_sgpr31
.LBB214_505:
	s_andn2_b64 vcc, exec, s[0:1]
	s_cbranch_vccnz .LBB214_507
; %bb.506:
	global_load_ubyte v3, v[0:1], off
	s_andn2_b64 s[0:1], s[30:31], exec
	s_waitcnt vmcnt(0)
	v_and_b32_e32 v3, 0x7f, v3
	v_cmp_ne_u16_e32 vcc, 0, v3
	s_and_b64 s[26:27], vcc, exec
	s_or_b64 s[30:31], s[0:1], s[26:27]
.LBB214_507:
	s_mov_b64 s[0:1], 0
.LBB214_508:
	s_andn2_b64 vcc, exec, s[0:1]
	s_cbranch_vccnz .LBB214_510
; %bb.509:
	global_load_ubyte v3, v[0:1], off
	s_movk_i32 s0, 0x7f00
	s_brev_b32 s1, 16
	s_waitcnt vmcnt(0)
	v_lshlrev_b32_e32 v4, 8, v3
	v_lshlrev_b32_e32 v3, 25, v3
	v_lshrrev_b32_e32 v5, 4, v3
	v_and_or_b32 v4, v4, s0, 0.5
	v_or_b32_e32 v5, 0x70000000, v5
	v_add_f32_e32 v4, -0.5, v4
	v_mul_f32_e32 v5, 0x7800000, v5
	v_cmp_gt_u32_e32 vcc, s1, v3
	v_cndmask_b32_e32 v3, v5, v4, vcc
	v_cmp_neq_f32_e32 vcc, 0, v3
	s_andn2_b64 s[0:1], s[30:31], exec
	s_and_b64 s[26:27], vcc, exec
	s_or_b64 s[30:31], s[0:1], s[26:27]
.LBB214_510:
	s_mov_b64 s[26:27], 0
	s_mov_b64 s[0:1], -1
.LBB214_511:
	s_andn2_b64 vcc, exec, s[26:27]
	s_cbranch_vccnz .LBB214_522
; %bb.512:
	s_cmp_gt_i32 s39, 14
	s_cbranch_scc0 .LBB214_515
; %bb.513:
	s_cmp_eq_u32 s39, 15
	s_cbranch_scc0 .LBB214_516
; %bb.514:
	global_load_ushort v3, v[0:1], off
	s_mov_b64 s[0:1], -1
	s_mov_b64 s[36:37], 0
	s_waitcnt vmcnt(0)
	v_and_b32_e32 v3, 0x7fff, v3
	v_cmp_ne_u16_e64 s[30:31], 0, v3
	s_branch .LBB214_517
.LBB214_515:
	s_mov_b64 s[26:27], -1
                                        ; implicit-def: $sgpr30_sgpr31
	s_branch .LBB214_518
.LBB214_516:
	s_mov_b64 s[36:37], -1
                                        ; implicit-def: $sgpr30_sgpr31
.LBB214_517:
	s_mov_b64 s[26:27], 0
.LBB214_518:
	s_and_b64 vcc, exec, s[26:27]
	s_cbranch_vccz .LBB214_522
; %bb.519:
	s_cmp_eq_u32 s39, 11
	s_cbranch_scc0 .LBB214_521
; %bb.520:
	global_load_ubyte v3, v[0:1], off
	s_mov_b64 s[0:1], -1
	s_mov_b64 s[36:37], 0
	s_waitcnt vmcnt(0)
	v_cmp_ne_u16_e64 s[30:31], 0, v3
	s_branch .LBB214_522
.LBB214_521:
	s_mov_b64 s[36:37], -1
                                        ; implicit-def: $sgpr30_sgpr31
.LBB214_522:
	s_mov_b64 s[26:27], 0
.LBB214_523:
	s_and_b64 vcc, exec, s[26:27]
	s_cbranch_vccz .LBB214_572
; %bb.524:
	s_and_b32 s38, 0xffff, s38
	s_cmp_lt_i32 s38, 5
	s_cbranch_scc1 .LBB214_529
; %bb.525:
	s_cmp_lt_i32 s38, 8
	s_cbranch_scc1 .LBB214_530
; %bb.526:
	;; [unrolled: 3-line block ×3, first 2 shown]
	s_cmp_gt_i32 s38, 9
	s_cbranch_scc0 .LBB214_532
; %bb.528:
	global_load_dwordx4 v[3:6], v[0:1], off
	s_mov_b64 s[26:27], 0
	s_waitcnt vmcnt(0)
	v_cmp_neq_f64_e32 vcc, 0, v[3:4]
	v_cmp_neq_f64_e64 s[0:1], 0, v[5:6]
	s_or_b64 s[30:31], vcc, s[0:1]
	s_branch .LBB214_533
.LBB214_529:
	s_mov_b64 s[0:1], -1
                                        ; implicit-def: $sgpr30_sgpr31
	s_branch .LBB214_551
.LBB214_530:
	s_mov_b64 s[0:1], -1
                                        ; implicit-def: $sgpr30_sgpr31
	s_branch .LBB214_539
.LBB214_531:
	s_mov_b64 s[0:1], -1
                                        ; implicit-def: $sgpr30_sgpr31
	s_branch .LBB214_536
.LBB214_532:
	s_mov_b64 s[26:27], -1
                                        ; implicit-def: $sgpr30_sgpr31
.LBB214_533:
	s_andn2_b64 vcc, exec, s[26:27]
	s_cbranch_vccnz .LBB214_535
; %bb.534:
	global_load_dwordx2 v[3:4], v[0:1], off
	s_andn2_b64 s[0:1], s[30:31], exec
	s_waitcnt vmcnt(0)
	v_or_b32_e32 v3, v3, v4
	v_and_b32_e32 v3, 0x7fffffff, v3
	v_cmp_ne_u32_e32 vcc, 0, v3
	s_and_b64 s[26:27], vcc, exec
	s_or_b64 s[30:31], s[0:1], s[26:27]
.LBB214_535:
	s_mov_b64 s[0:1], 0
.LBB214_536:
	s_andn2_b64 vcc, exec, s[0:1]
	s_cbranch_vccnz .LBB214_538
; %bb.537:
	global_load_dword v3, v[0:1], off
	s_andn2_b64 s[0:1], s[30:31], exec
	s_waitcnt vmcnt(0)
	v_and_b32_e32 v3, 0x7fff7fff, v3
	v_cmp_ne_u32_e32 vcc, 0, v3
	s_and_b64 s[26:27], vcc, exec
	s_or_b64 s[30:31], s[0:1], s[26:27]
.LBB214_538:
	s_mov_b64 s[0:1], 0
.LBB214_539:
	s_andn2_b64 vcc, exec, s[0:1]
	s_cbranch_vccnz .LBB214_550
; %bb.540:
	s_cmp_lt_i32 s38, 6
	s_cbranch_scc1 .LBB214_543
; %bb.541:
	s_cmp_gt_i32 s38, 6
	s_cbranch_scc0 .LBB214_544
; %bb.542:
	global_load_dwordx2 v[3:4], v[0:1], off
	s_mov_b64 s[0:1], 0
	s_waitcnt vmcnt(0)
	v_cmp_neq_f64_e64 s[30:31], 0, v[3:4]
	s_branch .LBB214_545
.LBB214_543:
	s_mov_b64 s[0:1], -1
                                        ; implicit-def: $sgpr30_sgpr31
	s_branch .LBB214_548
.LBB214_544:
	s_mov_b64 s[0:1], -1
                                        ; implicit-def: $sgpr30_sgpr31
.LBB214_545:
	s_andn2_b64 vcc, exec, s[0:1]
	s_cbranch_vccnz .LBB214_547
; %bb.546:
	global_load_dword v3, v[0:1], off
	s_andn2_b64 s[0:1], s[30:31], exec
	s_waitcnt vmcnt(0)
	v_cmp_neq_f32_e32 vcc, 0, v3
	s_and_b64 s[26:27], vcc, exec
	s_or_b64 s[30:31], s[0:1], s[26:27]
.LBB214_547:
	s_mov_b64 s[0:1], 0
.LBB214_548:
	s_andn2_b64 vcc, exec, s[0:1]
	s_cbranch_vccnz .LBB214_550
; %bb.549:
	global_load_ushort v3, v[0:1], off
	s_andn2_b64 s[0:1], s[30:31], exec
	s_waitcnt vmcnt(0)
	v_and_b32_e32 v3, 0x7fff, v3
	v_cmp_ne_u16_e32 vcc, 0, v3
	s_and_b64 s[26:27], vcc, exec
	s_or_b64 s[30:31], s[0:1], s[26:27]
.LBB214_550:
	s_mov_b64 s[0:1], 0
.LBB214_551:
	s_andn2_b64 vcc, exec, s[0:1]
	s_cbranch_vccnz .LBB214_571
; %bb.552:
	s_cmp_lt_i32 s38, 2
	s_cbranch_scc1 .LBB214_556
; %bb.553:
	s_cmp_lt_i32 s38, 3
	s_cbranch_scc1 .LBB214_557
; %bb.554:
	s_cmp_gt_i32 s38, 3
	s_cbranch_scc0 .LBB214_558
; %bb.555:
	global_load_dwordx2 v[3:4], v[0:1], off
	s_mov_b64 s[0:1], 0
	s_waitcnt vmcnt(0)
	v_cmp_ne_u64_e64 s[30:31], 0, v[3:4]
	s_branch .LBB214_559
.LBB214_556:
	s_mov_b64 s[0:1], -1
                                        ; implicit-def: $sgpr30_sgpr31
	s_branch .LBB214_565
.LBB214_557:
	s_mov_b64 s[0:1], -1
                                        ; implicit-def: $sgpr30_sgpr31
	s_branch .LBB214_562
.LBB214_558:
	s_mov_b64 s[0:1], -1
                                        ; implicit-def: $sgpr30_sgpr31
.LBB214_559:
	s_andn2_b64 vcc, exec, s[0:1]
	s_cbranch_vccnz .LBB214_561
; %bb.560:
	global_load_dword v3, v[0:1], off
	s_andn2_b64 s[0:1], s[30:31], exec
	s_waitcnt vmcnt(0)
	v_cmp_ne_u32_e32 vcc, 0, v3
	s_and_b64 s[26:27], vcc, exec
	s_or_b64 s[30:31], s[0:1], s[26:27]
.LBB214_561:
	s_mov_b64 s[0:1], 0
.LBB214_562:
	s_andn2_b64 vcc, exec, s[0:1]
	s_cbranch_vccnz .LBB214_564
; %bb.563:
	global_load_ushort v3, v[0:1], off
	s_andn2_b64 s[0:1], s[30:31], exec
	s_waitcnt vmcnt(0)
	v_cmp_ne_u16_e32 vcc, 0, v3
	s_and_b64 s[26:27], vcc, exec
	s_or_b64 s[30:31], s[0:1], s[26:27]
.LBB214_564:
	s_mov_b64 s[0:1], 0
.LBB214_565:
	s_andn2_b64 vcc, exec, s[0:1]
	s_cbranch_vccnz .LBB214_571
; %bb.566:
	s_cmp_gt_i32 s38, 0
	s_cbranch_scc0 .LBB214_568
; %bb.567:
	global_load_ubyte v3, v[0:1], off
	s_mov_b64 s[0:1], 0
	s_waitcnt vmcnt(0)
	v_cmp_ne_u16_e64 s[30:31], 0, v3
	s_branch .LBB214_569
.LBB214_568:
	s_mov_b64 s[0:1], -1
                                        ; implicit-def: $sgpr30_sgpr31
.LBB214_569:
	s_andn2_b64 vcc, exec, s[0:1]
	s_cbranch_vccnz .LBB214_571
; %bb.570:
	global_load_ubyte v0, v[0:1], off
	s_andn2_b64 s[0:1], s[30:31], exec
	s_waitcnt vmcnt(0)
	v_cmp_ne_u16_e32 vcc, 0, v0
	s_and_b64 s[26:27], vcc, exec
	s_or_b64 s[30:31], s[0:1], s[26:27]
.LBB214_571:
	s_mov_b64 s[0:1], -1
.LBB214_572:
	s_mov_b64 s[26:27], 0
	s_andn2_b64 vcc, exec, s[0:1]
	s_mov_b64 s[0:1], s[18:19]
	s_mov_b64 s[38:39], 0
	s_cbranch_vccnz .LBB214_695
; %bb.573:
	v_mul_lo_u32 v0, v2, s12
	s_xor_b64 s[0:1], s[28:29], s[30:31]
	v_mov_b32_e32 v1, s9
	s_xor_b64 s[28:29], s[16:17], s[0:1]
	v_ashrrev_i32_e32 v3, 31, v0
	s_and_b32 s40, s33, 0xff
	v_add_co_u32_e32 v0, vcc, s8, v0
	s_cmp_lt_i32 s40, 11
	v_addc_co_u32_e32 v1, vcc, v1, v3, vcc
	s_cbranch_scc1 .LBB214_580
; %bb.574:
	s_and_b32 s41, 0xffff, s40
	s_cmp_gt_i32 s41, 25
	s_cbranch_scc0 .LBB214_581
; %bb.575:
	s_cmp_gt_i32 s41, 28
	s_cbranch_scc0 .LBB214_582
; %bb.576:
	;; [unrolled: 3-line block ×4, first 2 shown]
	s_mov_b64 s[36:37], 0
	s_mov_b64 s[0:1], -1
	s_cmp_eq_u32 s41, 46
	s_mov_b64 s[30:31], 0
	s_cbranch_scc0 .LBB214_585
; %bb.579:
	v_cndmask_b32_e64 v3, 0, 1.0, s[28:29]
	v_bfe_u32 v4, v3, 16, 1
	s_movk_i32 s0, 0x7fff
	v_add3_u32 v3, v3, v4, s0
	v_lshrrev_b32_e32 v3, 16, v3
	global_store_dword v[0:1], v3, off
	s_mov_b64 s[30:31], -1
	s_mov_b64 s[0:1], 0
	s_branch .LBB214_585
.LBB214_580:
	s_mov_b64 s[36:37], -1
	s_mov_b64 s[30:31], 0
	s_mov_b64 s[0:1], s[18:19]
	s_branch .LBB214_654
.LBB214_581:
	s_mov_b64 s[36:37], -1
	s_mov_b64 s[30:31], 0
	s_mov_b64 s[0:1], s[18:19]
	s_branch .LBB214_612
.LBB214_582:
	s_mov_b64 s[36:37], -1
	s_mov_b64 s[30:31], 0
	s_mov_b64 s[0:1], s[18:19]
	s_branch .LBB214_595
.LBB214_583:
	s_mov_b64 s[36:37], -1
	s_mov_b64 s[30:31], 0
	s_mov_b64 s[0:1], s[18:19]
	s_branch .LBB214_591
.LBB214_584:
	s_mov_b64 s[36:37], -1
	s_mov_b64 s[30:31], 0
	s_mov_b64 s[0:1], s[18:19]
.LBB214_585:
	s_and_b64 vcc, exec, s[36:37]
	s_cbranch_vccz .LBB214_590
; %bb.586:
	s_cmp_eq_u32 s41, 44
	s_mov_b64 s[0:1], -1
	s_cbranch_scc0 .LBB214_590
; %bb.587:
	v_cndmask_b32_e64 v4, 0, 1.0, s[28:29]
	v_lshrrev_b32_e32 v3, 23, v4
	s_movk_i32 s0, 0xff
	v_cmp_ne_u32_e32 vcc, s0, v3
	v_mov_b32_e32 v5, 0xff
	s_and_saveexec_b64 s[30:31], vcc
; %bb.588:
	s_mov_b32 s0, 0x3fffff
	v_and_b32_e32 v5, 0x400000, v4
	v_and_or_b32 v4, v4, s0, v3
	v_cmp_ne_u32_e32 vcc, 0, v5
	v_cmp_ne_u32_e64 s[0:1], 0, v4
	s_and_b64 s[0:1], vcc, s[0:1]
	v_cndmask_b32_e64 v4, 0, 1, s[0:1]
	v_add_u32_e32 v5, v3, v4
; %bb.589:
	s_or_b64 exec, exec, s[30:31]
	s_mov_b64 s[30:31], -1
	s_mov_b64 s[0:1], 0
	global_store_byte v[0:1], v5, off
.LBB214_590:
	s_mov_b64 s[36:37], 0
.LBB214_591:
	s_and_b64 vcc, exec, s[36:37]
	s_cbranch_vccz .LBB214_594
; %bb.592:
	s_cmp_eq_u32 s41, 29
	s_mov_b64 s[0:1], -1
	s_cbranch_scc0 .LBB214_594
; %bb.593:
	s_mov_b32 s0, 0
	v_cndmask_b32_e64 v3, 0, 1, s[28:29]
	v_mov_b32_e32 v4, s0
	global_store_dwordx2 v[0:1], v[3:4], off
	s_mov_b64 s[30:31], -1
	s_mov_b64 s[0:1], 0
.LBB214_594:
	s_mov_b64 s[36:37], 0
.LBB214_595:
	s_and_b64 vcc, exec, s[36:37]
	s_cbranch_vccz .LBB214_611
; %bb.596:
	s_cmp_lt_i32 s41, 27
	s_mov_b64 s[30:31], -1
	s_cbranch_scc1 .LBB214_602
; %bb.597:
	s_cmp_gt_i32 s41, 27
	s_cbranch_scc0 .LBB214_599
; %bb.598:
	v_cndmask_b32_e64 v3, 0, 1, s[28:29]
	s_mov_b64 s[30:31], 0
	global_store_dword v[0:1], v3, off
.LBB214_599:
	s_andn2_b64 vcc, exec, s[30:31]
	s_cbranch_vccnz .LBB214_601
; %bb.600:
	v_cndmask_b32_e64 v3, 0, 1, s[28:29]
	global_store_short v[0:1], v3, off
.LBB214_601:
	s_mov_b64 s[30:31], 0
.LBB214_602:
	s_andn2_b64 vcc, exec, s[30:31]
	s_cbranch_vccnz .LBB214_610
; %bb.603:
	v_cndmask_b32_e64 v4, 0, 1.0, s[28:29]
	s_mov_b32 s30, 0x43800000
	v_cmp_gt_u32_e32 vcc, s30, v4
	v_mov_b32_e32 v5, 0x80
	s_and_saveexec_b64 s[30:31], vcc
	s_cbranch_execz .LBB214_609
; %bb.604:
	s_mov_b32 s36, 0x3bffffff
	v_cmp_lt_u32_e32 vcc, s36, v4
	s_mov_b64 s[36:37], 0
                                        ; implicit-def: $vgpr3
	s_and_saveexec_b64 s[38:39], vcc
	s_xor_b64 s[38:39], exec, s[38:39]
	s_cbranch_execz .LBB214_710
; %bb.605:
	v_bfe_u32 v3, v4, 20, 1
	s_mov_b32 s42, 0x487ffff
	v_add3_u32 v3, v4, v3, s42
	s_mov_b64 s[36:37], exec
	v_lshrrev_b32_e32 v3, 20, v3
                                        ; implicit-def: $vgpr4
	s_andn2_saveexec_b64 s[38:39], s[38:39]
	s_cbranch_execnz .LBB214_711
.LBB214_606:
	s_or_b64 exec, exec, s[38:39]
	v_mov_b32_e32 v5, 0
	s_and_saveexec_b64 s[38:39], s[36:37]
.LBB214_607:
	v_mov_b32_e32 v5, v3
.LBB214_608:
	s_or_b64 exec, exec, s[38:39]
.LBB214_609:
	s_or_b64 exec, exec, s[30:31]
	global_store_byte v[0:1], v5, off
.LBB214_610:
	s_mov_b64 s[30:31], -1
.LBB214_611:
	s_mov_b64 s[36:37], 0
.LBB214_612:
	s_and_b64 vcc, exec, s[36:37]
	s_cbranch_vccz .LBB214_653
; %bb.613:
	s_cmp_gt_i32 s41, 22
	s_mov_b64 s[36:37], -1
	s_cbranch_scc0 .LBB214_645
; %bb.614:
	s_cmp_lt_i32 s41, 24
	s_mov_b64 s[30:31], -1
	s_cbranch_scc1 .LBB214_634
; %bb.615:
	s_cmp_gt_i32 s41, 24
	s_cbranch_scc0 .LBB214_623
; %bb.616:
	v_cndmask_b32_e64 v4, 0, 1.0, s[28:29]
	s_mov_b32 s30, 0x47800000
	v_cmp_gt_u32_e32 vcc, s30, v4
	v_mov_b32_e32 v5, 0x80
	s_and_saveexec_b64 s[30:31], vcc
	s_cbranch_execz .LBB214_622
; %bb.617:
	s_mov_b32 s36, 0x37ffffff
	v_cmp_lt_u32_e32 vcc, s36, v4
	s_mov_b64 s[36:37], 0
                                        ; implicit-def: $vgpr3
	s_and_saveexec_b64 s[38:39], vcc
	s_xor_b64 s[38:39], exec, s[38:39]
	s_cbranch_execz .LBB214_823
; %bb.618:
	v_bfe_u32 v3, v4, 21, 1
	s_mov_b32 s42, 0x88fffff
	v_add3_u32 v3, v4, v3, s42
	s_mov_b64 s[36:37], exec
	v_lshrrev_b32_e32 v3, 21, v3
                                        ; implicit-def: $vgpr4
	s_andn2_saveexec_b64 s[38:39], s[38:39]
	s_cbranch_execnz .LBB214_824
.LBB214_619:
	s_or_b64 exec, exec, s[38:39]
	v_mov_b32_e32 v5, 0
	s_and_saveexec_b64 s[38:39], s[36:37]
.LBB214_620:
	v_mov_b32_e32 v5, v3
.LBB214_621:
	s_or_b64 exec, exec, s[38:39]
.LBB214_622:
	s_or_b64 exec, exec, s[30:31]
	s_mov_b64 s[30:31], 0
	global_store_byte v[0:1], v5, off
.LBB214_623:
	s_and_b64 vcc, exec, s[30:31]
	s_cbranch_vccz .LBB214_633
; %bb.624:
	v_cndmask_b32_e64 v3, 0, 1.0, s[28:29]
	s_mov_b32 s30, 0x43f00000
	v_cmp_gt_u32_e32 vcc, s30, v3
                                        ; implicit-def: $vgpr4
	s_and_saveexec_b64 s[30:31], vcc
	s_xor_b64 s[30:31], exec, s[30:31]
	s_cbranch_execz .LBB214_630
; %bb.625:
	s_mov_b32 s36, 0x3c7fffff
	v_cmp_lt_u32_e32 vcc, s36, v3
                                        ; implicit-def: $vgpr4
	s_and_saveexec_b64 s[36:37], vcc
	s_xor_b64 s[36:37], exec, s[36:37]
; %bb.626:
	v_bfe_u32 v4, v3, 20, 1
	s_mov_b32 s38, 0x407ffff
	v_add3_u32 v3, v3, v4, s38
	v_lshrrev_b32_e32 v4, 20, v3
	v_and_b32_e32 v3, 0xff00000, v3
	s_mov_b32 s38, 0x7f00000
	v_mov_b32_e32 v5, 0x7e
	v_cmp_ne_u32_e32 vcc, s38, v3
	v_cndmask_b32_e32 v4, v5, v4, vcc
                                        ; implicit-def: $vgpr3
; %bb.627:
	s_andn2_saveexec_b64 s[36:37], s[36:37]
; %bb.628:
	v_add_f32_e32 v4, 0x46800000, v3
; %bb.629:
	s_or_b64 exec, exec, s[36:37]
                                        ; implicit-def: $vgpr3
.LBB214_630:
	s_andn2_saveexec_b64 s[30:31], s[30:31]
; %bb.631:
	s_mov_b32 s36, 0x7f800000
	v_mov_b32_e32 v4, 0x7e
	v_mov_b32_e32 v5, 0x7f
	v_cmp_lt_u32_e32 vcc, s36, v3
	v_cndmask_b32_e32 v4, v4, v5, vcc
; %bb.632:
	s_or_b64 exec, exec, s[30:31]
	global_store_byte v[0:1], v4, off
.LBB214_633:
	s_mov_b64 s[30:31], 0
.LBB214_634:
	s_andn2_b64 vcc, exec, s[30:31]
	s_cbranch_vccnz .LBB214_644
; %bb.635:
	v_cndmask_b32_e64 v3, 0, 1.0, s[28:29]
	s_mov_b32 s30, 0x47800000
	v_cmp_gt_u32_e32 vcc, s30, v3
                                        ; implicit-def: $vgpr4
	s_and_saveexec_b64 s[30:31], vcc
	s_xor_b64 s[30:31], exec, s[30:31]
	s_cbranch_execz .LBB214_641
; %bb.636:
	s_mov_b32 s36, 0x387fffff
	v_cmp_lt_u32_e32 vcc, s36, v3
                                        ; implicit-def: $vgpr4
	s_and_saveexec_b64 s[36:37], vcc
	s_xor_b64 s[36:37], exec, s[36:37]
; %bb.637:
	v_bfe_u32 v4, v3, 21, 1
	s_mov_b32 s38, 0x80fffff
	v_add3_u32 v3, v3, v4, s38
	v_lshrrev_b32_e32 v4, 21, v3
                                        ; implicit-def: $vgpr3
; %bb.638:
	s_andn2_saveexec_b64 s[36:37], s[36:37]
; %bb.639:
	v_add_f32_e32 v4, 0x43000000, v3
; %bb.640:
	s_or_b64 exec, exec, s[36:37]
                                        ; implicit-def: $vgpr3
.LBB214_641:
	s_andn2_saveexec_b64 s[30:31], s[30:31]
; %bb.642:
	s_mov_b32 s36, 0x7f800000
	v_mov_b32_e32 v4, 0x7c
	v_mov_b32_e32 v5, 0x7f
	v_cmp_lt_u32_e32 vcc, s36, v3
	v_cndmask_b32_e32 v4, v4, v5, vcc
; %bb.643:
	s_or_b64 exec, exec, s[30:31]
	global_store_byte v[0:1], v4, off
.LBB214_644:
	s_mov_b64 s[36:37], 0
	s_mov_b64 s[30:31], -1
.LBB214_645:
	s_andn2_b64 vcc, exec, s[36:37]
	s_cbranch_vccnz .LBB214_653
; %bb.646:
	s_cmp_gt_i32 s41, 14
	s_mov_b64 s[36:37], -1
	s_cbranch_scc0 .LBB214_650
; %bb.647:
	s_cmp_eq_u32 s41, 15
	s_mov_b64 s[0:1], -1
	s_cbranch_scc0 .LBB214_649
; %bb.648:
	v_cndmask_b32_e64 v3, 0, 1.0, s[28:29]
	v_bfe_u32 v4, v3, 16, 1
	s_movk_i32 s0, 0x7fff
	v_add3_u32 v3, v3, v4, s0
	global_store_short_d16_hi v[0:1], v3, off
	s_mov_b64 s[30:31], -1
	s_mov_b64 s[0:1], 0
.LBB214_649:
	s_mov_b64 s[36:37], 0
.LBB214_650:
	s_and_b64 vcc, exec, s[36:37]
	s_cbranch_vccz .LBB214_653
; %bb.651:
	s_cmp_eq_u32 s41, 11
	s_mov_b64 s[0:1], -1
	s_cbranch_scc0 .LBB214_653
; %bb.652:
	v_cndmask_b32_e64 v3, 0, 1, s[28:29]
	s_mov_b64 s[30:31], -1
	s_mov_b64 s[0:1], 0
	global_store_byte v[0:1], v3, off
.LBB214_653:
	s_mov_b64 s[36:37], 0
.LBB214_654:
	s_and_b64 vcc, exec, s[36:37]
	s_cbranch_vccz .LBB214_693
; %bb.655:
	s_and_b32 s36, 0xffff, s40
	s_cmp_lt_i32 s36, 5
	s_mov_b64 s[30:31], -1
	s_cbranch_scc1 .LBB214_676
; %bb.656:
	s_cmp_lt_i32 s36, 8
	s_cbranch_scc1 .LBB214_666
; %bb.657:
	s_cmp_lt_i32 s36, 9
	s_cbranch_scc1 .LBB214_663
; %bb.658:
	s_cmp_gt_i32 s36, 9
	s_cbranch_scc0 .LBB214_660
; %bb.659:
	v_cndmask_b32_e64 v3, 0, 1, s[28:29]
	v_cvt_f64_u32_e32 v[3:4], v3
	v_mov_b32_e32 v5, 0
	v_mov_b32_e32 v6, v5
	s_mov_b64 s[30:31], 0
	global_store_dwordx4 v[0:1], v[3:6], off
.LBB214_660:
	s_andn2_b64 vcc, exec, s[30:31]
	s_cbranch_vccnz .LBB214_662
; %bb.661:
	v_cndmask_b32_e64 v3, 0, 1.0, s[28:29]
	v_mov_b32_e32 v4, 0
	global_store_dwordx2 v[0:1], v[3:4], off
.LBB214_662:
	s_mov_b64 s[30:31], 0
.LBB214_663:
	s_andn2_b64 vcc, exec, s[30:31]
	s_cbranch_vccnz .LBB214_665
; %bb.664:
	v_cndmask_b32_e64 v3, 0, 1.0, s[28:29]
	v_cvt_f16_f32_e32 v3, v3
	global_store_dword v[0:1], v3, off
.LBB214_665:
	s_mov_b64 s[30:31], 0
.LBB214_666:
	s_andn2_b64 vcc, exec, s[30:31]
	s_cbranch_vccnz .LBB214_675
; %bb.667:
	s_cmp_lt_i32 s36, 6
	s_mov_b64 s[30:31], -1
	s_cbranch_scc1 .LBB214_673
; %bb.668:
	s_cmp_gt_i32 s36, 6
	s_cbranch_scc0 .LBB214_670
; %bb.669:
	v_cndmask_b32_e64 v3, 0, 1, s[28:29]
	v_cvt_f64_u32_e32 v[3:4], v3
	s_mov_b64 s[30:31], 0
	global_store_dwordx2 v[0:1], v[3:4], off
.LBB214_670:
	s_andn2_b64 vcc, exec, s[30:31]
	s_cbranch_vccnz .LBB214_672
; %bb.671:
	v_cndmask_b32_e64 v3, 0, 1.0, s[28:29]
	global_store_dword v[0:1], v3, off
.LBB214_672:
	s_mov_b64 s[30:31], 0
.LBB214_673:
	s_andn2_b64 vcc, exec, s[30:31]
	s_cbranch_vccnz .LBB214_675
; %bb.674:
	v_cndmask_b32_e64 v3, 0, 1.0, s[28:29]
	v_cvt_f16_f32_e32 v3, v3
	global_store_short v[0:1], v3, off
.LBB214_675:
	s_mov_b64 s[30:31], 0
.LBB214_676:
	s_andn2_b64 vcc, exec, s[30:31]
	s_cbranch_vccnz .LBB214_692
; %bb.677:
	s_cmp_lt_i32 s36, 2
	s_mov_b64 s[30:31], -1
	s_cbranch_scc1 .LBB214_687
; %bb.678:
	s_cmp_lt_i32 s36, 3
	s_cbranch_scc1 .LBB214_684
; %bb.679:
	s_cmp_gt_i32 s36, 3
	s_cbranch_scc0 .LBB214_681
; %bb.680:
	s_mov_b32 s30, 0
	v_cndmask_b32_e64 v3, 0, 1, s[28:29]
	v_mov_b32_e32 v4, s30
	s_mov_b64 s[30:31], 0
	global_store_dwordx2 v[0:1], v[3:4], off
.LBB214_681:
	s_andn2_b64 vcc, exec, s[30:31]
	s_cbranch_vccnz .LBB214_683
; %bb.682:
	v_cndmask_b32_e64 v3, 0, 1, s[28:29]
	global_store_dword v[0:1], v3, off
.LBB214_683:
	s_mov_b64 s[30:31], 0
.LBB214_684:
	s_andn2_b64 vcc, exec, s[30:31]
	s_cbranch_vccnz .LBB214_686
; %bb.685:
	v_cndmask_b32_e64 v3, 0, 1, s[28:29]
	global_store_short v[0:1], v3, off
.LBB214_686:
	s_mov_b64 s[30:31], 0
.LBB214_687:
	s_andn2_b64 vcc, exec, s[30:31]
	s_cbranch_vccnz .LBB214_692
; %bb.688:
	s_mov_b64 s[30:31], -1
	s_cmp_gt_i32 s36, 0
	v_cndmask_b32_e64 v3, 0, 1, s[28:29]
	s_cbranch_scc0 .LBB214_690
; %bb.689:
	s_mov_b64 s[30:31], 0
	global_store_byte v[0:1], v3, off
.LBB214_690:
	s_andn2_b64 vcc, exec, s[30:31]
	s_cbranch_vccnz .LBB214_692
; %bb.691:
	global_store_byte v[0:1], v3, off
.LBB214_692:
	s_mov_b64 s[30:31], -1
.LBB214_693:
	s_mov_b64 s[36:37], 0
	s_andn2_b64 vcc, exec, s[30:31]
	s_mov_b64 s[38:39], 0
	s_cbranch_vccnz .LBB214_695
; %bb.694:
	v_add_u32_e32 v2, 0x80, v2
	s_mov_b64 s[38:39], -1
.LBB214_695:
	s_andn2_b64 s[28:29], s[18:19], exec
	s_and_b64 s[0:1], s[0:1], exec
	s_or_b64 s[30:31], s[28:29], s[0:1]
	s_andn2_b64 s[0:1], s[20:21], exec
	s_and_b64 s[28:29], s[36:37], exec
	s_or_b64 s[28:29], s[0:1], s[28:29]
	;; [unrolled: 3-line block ×3, first 2 shown]
	s_orn2_b64 s[0:1], s[38:39], exec
.LBB214_696:
	s_or_b64 exec, exec, s[34:35]
	s_mov_b64 s[38:39], 0
	s_mov_b64 s[40:41], 0
	;; [unrolled: 1-line block ×3, first 2 shown]
                                        ; implicit-def: $sgpr36_sgpr37
                                        ; implicit-def: $sgpr60
                                        ; implicit-def: $vgpr0_vgpr1
	s_and_saveexec_b64 s[34:35], s[0:1]
	s_cbranch_execz .LBB214_1112
; %bb.697:
	v_cmp_gt_i32_e32 vcc, s52, v2
	s_mov_b64 s[50:51], -1
	s_mov_b64 s[0:1], s[26:27]
	s_mov_b64 s[40:41], s[28:29]
	s_mov_b64 s[44:45], s[30:31]
	s_and_saveexec_b64 s[36:37], vcc
	s_cbranch_execz .LBB214_1046
; %bb.698:
	v_mul_lo_u32 v0, v2, s13
	v_mov_b32_e32 v1, s11
	s_and_b32 s44, s59, 0xff
	s_cmp_lt_i32 s44, 11
	v_ashrrev_i32_e32 v3, 31, v0
	v_add_co_u32_e32 v0, vcc, s10, v0
	v_addc_co_u32_e32 v1, vcc, v1, v3, vcc
	s_cbranch_scc1 .LBB214_705
; %bb.699:
	s_and_b32 s45, 0xffff, s44
	s_cmp_gt_i32 s45, 25
	s_cbranch_scc0 .LBB214_706
; %bb.700:
	s_cmp_gt_i32 s45, 28
	s_cbranch_scc0 .LBB214_707
; %bb.701:
	;; [unrolled: 3-line block ×4, first 2 shown]
	s_cmp_eq_u32 s45, 46
	s_cbranch_scc0 .LBB214_712
; %bb.704:
	global_load_dword v3, v[0:1], off
	s_mov_b64 s[0:1], -1
	s_waitcnt vmcnt(0)
	v_and_b32_e32 v3, 0x7fff7fff, v3
	v_cmp_ne_u32_e64 s[40:41], 0, v3
	s_branch .LBB214_713
.LBB214_705:
	s_mov_b64 s[42:43], -1
	s_mov_b64 s[0:1], 0
                                        ; implicit-def: $sgpr40_sgpr41
	s_mov_b64 s[38:39], s[26:27]
	s_branch .LBB214_760
.LBB214_706:
	s_mov_b64 s[42:43], -1
	s_mov_b64 s[0:1], 0
	s_mov_b64 s[38:39], s[26:27]
                                        ; implicit-def: $sgpr40_sgpr41
	s_branch .LBB214_734
.LBB214_707:
	s_mov_b64 s[42:43], -1
	s_mov_b64 s[0:1], 0
	s_mov_b64 s[38:39], s[26:27]
                                        ; implicit-def: $sgpr40_sgpr41
	s_branch .LBB214_721
.LBB214_708:
	s_mov_b64 s[42:43], -1
	s_mov_b64 s[0:1], 0
	s_mov_b64 s[38:39], s[26:27]
                                        ; implicit-def: $sgpr40_sgpr41
	s_branch .LBB214_716
.LBB214_709:
	s_mov_b64 s[42:43], -1
	s_mov_b64 s[0:1], 0
	s_mov_b64 s[38:39], s[26:27]
                                        ; implicit-def: $sgpr40_sgpr41
	s_branch .LBB214_713
.LBB214_710:
	s_andn2_saveexec_b64 s[38:39], s[38:39]
	s_cbranch_execz .LBB214_606
.LBB214_711:
	v_add_f32_e32 v3, 0x46000000, v4
	v_and_b32_e32 v3, 0xff, v3
	v_cmp_ne_u32_e32 vcc, 0, v3
	s_andn2_b64 s[36:37], s[36:37], exec
	s_and_b64 s[42:43], vcc, exec
	s_or_b64 s[36:37], s[36:37], s[42:43]
	s_or_b64 exec, exec, s[38:39]
	v_mov_b32_e32 v5, 0
	s_and_saveexec_b64 s[38:39], s[36:37]
	s_cbranch_execnz .LBB214_607
	s_branch .LBB214_608
.LBB214_712:
	s_mov_b64 s[38:39], -1
                                        ; implicit-def: $sgpr40_sgpr41
	s_mov_b64 s[0:1], 0
.LBB214_713:
	s_and_b64 vcc, exec, s[42:43]
	s_cbranch_vccz .LBB214_715
; %bb.714:
	s_cmp_eq_u32 s45, 44
	s_cselect_b64 s[0:1], -1, 0
	s_or_b64 s[40:41], s[40:41], exec
	s_or_b64 s[38:39], s[38:39], exec
.LBB214_715:
	s_mov_b64 s[42:43], 0
.LBB214_716:
	s_and_b64 vcc, exec, s[42:43]
	s_cbranch_vccz .LBB214_720
; %bb.717:
	s_cmp_eq_u32 s45, 29
	s_cbranch_scc0 .LBB214_719
; %bb.718:
	global_load_dwordx2 v[3:4], v[0:1], off
	s_mov_b64 s[38:39], 0
	s_mov_b64 s[0:1], -1
	s_mov_b64 s[42:43], 0
	s_waitcnt vmcnt(0)
	v_cmp_ne_u64_e64 s[40:41], 0, v[3:4]
	s_branch .LBB214_721
.LBB214_719:
	s_mov_b64 s[38:39], -1
                                        ; implicit-def: $sgpr40_sgpr41
.LBB214_720:
	s_mov_b64 s[42:43], 0
.LBB214_721:
	s_and_b64 vcc, exec, s[42:43]
	s_cbranch_vccz .LBB214_733
; %bb.722:
	s_cmp_lt_i32 s45, 27
	s_cbranch_scc1 .LBB214_725
; %bb.723:
	s_cmp_gt_i32 s45, 27
	s_cbranch_scc0 .LBB214_726
; %bb.724:
	global_load_dword v3, v[0:1], off
	s_mov_b64 s[0:1], 0
	s_waitcnt vmcnt(0)
	v_cmp_ne_u32_e64 s[40:41], 0, v3
	s_branch .LBB214_727
.LBB214_725:
	s_mov_b64 s[0:1], -1
                                        ; implicit-def: $sgpr40_sgpr41
	s_branch .LBB214_730
.LBB214_726:
	s_mov_b64 s[0:1], -1
                                        ; implicit-def: $sgpr40_sgpr41
.LBB214_727:
	s_andn2_b64 vcc, exec, s[0:1]
	s_cbranch_vccnz .LBB214_729
; %bb.728:
	global_load_ushort v3, v[0:1], off
	s_andn2_b64 s[0:1], s[40:41], exec
	s_waitcnt vmcnt(0)
	v_cmp_ne_u16_e32 vcc, 0, v3
	s_and_b64 s[40:41], vcc, exec
	s_or_b64 s[40:41], s[0:1], s[40:41]
.LBB214_729:
	s_mov_b64 s[0:1], 0
.LBB214_730:
	s_andn2_b64 vcc, exec, s[0:1]
	s_cbranch_vccnz .LBB214_732
; %bb.731:
	global_load_ubyte v3, v[0:1], off
	s_andn2_b64 s[0:1], s[40:41], exec
	s_waitcnt vmcnt(0)
	v_cmp_ne_u16_e32 vcc, 0, v3
	s_and_b64 s[40:41], vcc, exec
	s_or_b64 s[40:41], s[0:1], s[40:41]
.LBB214_732:
	s_mov_b64 s[0:1], -1
.LBB214_733:
	s_mov_b64 s[42:43], 0
.LBB214_734:
	s_and_b64 vcc, exec, s[42:43]
	s_cbranch_vccz .LBB214_759
; %bb.735:
	s_cmp_gt_i32 s45, 22
	s_cbranch_scc0 .LBB214_739
; %bb.736:
	s_cmp_lt_i32 s45, 24
	s_cbranch_scc1 .LBB214_740
; %bb.737:
	s_cmp_gt_i32 s45, 24
	s_cbranch_scc0 .LBB214_741
; %bb.738:
	global_load_ubyte v3, v[0:1], off
	s_mov_b64 s[0:1], 0
	s_waitcnt vmcnt(0)
	v_cmp_ne_u16_e64 s[40:41], 0, v3
	s_branch .LBB214_742
.LBB214_739:
	s_mov_b64 s[42:43], -1
                                        ; implicit-def: $sgpr40_sgpr41
	s_branch .LBB214_748
.LBB214_740:
	s_mov_b64 s[0:1], -1
                                        ; implicit-def: $sgpr40_sgpr41
	s_branch .LBB214_745
.LBB214_741:
	s_mov_b64 s[0:1], -1
                                        ; implicit-def: $sgpr40_sgpr41
.LBB214_742:
	s_andn2_b64 vcc, exec, s[0:1]
	s_cbranch_vccnz .LBB214_744
; %bb.743:
	global_load_ubyte v3, v[0:1], off
	s_andn2_b64 s[0:1], s[40:41], exec
	s_waitcnt vmcnt(0)
	v_and_b32_e32 v3, 0x7f, v3
	v_cmp_ne_u16_e32 vcc, 0, v3
	s_and_b64 s[40:41], vcc, exec
	s_or_b64 s[40:41], s[0:1], s[40:41]
.LBB214_744:
	s_mov_b64 s[0:1], 0
.LBB214_745:
	s_andn2_b64 vcc, exec, s[0:1]
	s_cbranch_vccnz .LBB214_747
; %bb.746:
	global_load_ubyte v3, v[0:1], off
	s_movk_i32 s0, 0x7f00
	s_brev_b32 s1, 16
	s_waitcnt vmcnt(0)
	v_lshlrev_b32_e32 v4, 8, v3
	v_lshlrev_b32_e32 v3, 25, v3
	v_lshrrev_b32_e32 v5, 4, v3
	v_and_or_b32 v4, v4, s0, 0.5
	v_or_b32_e32 v5, 0x70000000, v5
	v_add_f32_e32 v4, -0.5, v4
	v_mul_f32_e32 v5, 0x7800000, v5
	v_cmp_gt_u32_e32 vcc, s1, v3
	v_cndmask_b32_e32 v3, v5, v4, vcc
	v_cmp_neq_f32_e32 vcc, 0, v3
	s_andn2_b64 s[0:1], s[40:41], exec
	s_and_b64 s[40:41], vcc, exec
	s_or_b64 s[40:41], s[0:1], s[40:41]
.LBB214_747:
	s_mov_b64 s[42:43], 0
	s_mov_b64 s[0:1], -1
.LBB214_748:
	s_andn2_b64 vcc, exec, s[42:43]
	s_cbranch_vccnz .LBB214_759
; %bb.749:
	s_cmp_gt_i32 s45, 14
	s_cbranch_scc0 .LBB214_752
; %bb.750:
	s_cmp_eq_u32 s45, 15
	s_cbranch_scc0 .LBB214_753
; %bb.751:
	global_load_ushort v3, v[0:1], off
	s_mov_b64 s[0:1], -1
	s_mov_b64 s[38:39], 0
	s_waitcnt vmcnt(0)
	v_and_b32_e32 v3, 0x7fff, v3
	v_cmp_ne_u16_e64 s[40:41], 0, v3
	s_branch .LBB214_754
.LBB214_752:
	s_mov_b64 s[42:43], -1
                                        ; implicit-def: $sgpr40_sgpr41
	s_branch .LBB214_755
.LBB214_753:
	s_mov_b64 s[38:39], -1
                                        ; implicit-def: $sgpr40_sgpr41
.LBB214_754:
	s_mov_b64 s[42:43], 0
.LBB214_755:
	s_and_b64 vcc, exec, s[42:43]
	s_cbranch_vccz .LBB214_759
; %bb.756:
	s_cmp_eq_u32 s45, 11
	s_cbranch_scc0 .LBB214_758
; %bb.757:
	global_load_ubyte v3, v[0:1], off
	s_mov_b64 s[0:1], -1
	s_mov_b64 s[38:39], 0
	s_waitcnt vmcnt(0)
	v_cmp_ne_u16_e64 s[40:41], 0, v3
	s_branch .LBB214_759
.LBB214_758:
	s_mov_b64 s[38:39], -1
                                        ; implicit-def: $sgpr40_sgpr41
.LBB214_759:
	s_mov_b64 s[42:43], 0
.LBB214_760:
	s_and_b64 vcc, exec, s[42:43]
	s_cbranch_vccz .LBB214_809
; %bb.761:
	s_and_b32 s44, 0xffff, s44
	s_cmp_lt_i32 s44, 5
	s_cbranch_scc1 .LBB214_766
; %bb.762:
	s_cmp_lt_i32 s44, 8
	s_cbranch_scc1 .LBB214_767
; %bb.763:
	;; [unrolled: 3-line block ×3, first 2 shown]
	s_cmp_gt_i32 s44, 9
	s_cbranch_scc0 .LBB214_769
; %bb.765:
	global_load_dwordx4 v[3:6], v[0:1], off
	s_mov_b64 s[42:43], 0
	s_waitcnt vmcnt(0)
	v_cmp_neq_f64_e32 vcc, 0, v[3:4]
	v_cmp_neq_f64_e64 s[0:1], 0, v[5:6]
	s_or_b64 s[40:41], vcc, s[0:1]
	s_branch .LBB214_770
.LBB214_766:
	s_mov_b64 s[0:1], -1
                                        ; implicit-def: $sgpr40_sgpr41
	s_branch .LBB214_788
.LBB214_767:
	s_mov_b64 s[0:1], -1
                                        ; implicit-def: $sgpr40_sgpr41
	s_branch .LBB214_776
.LBB214_768:
	s_mov_b64 s[0:1], -1
                                        ; implicit-def: $sgpr40_sgpr41
	s_branch .LBB214_773
.LBB214_769:
	s_mov_b64 s[42:43], -1
                                        ; implicit-def: $sgpr40_sgpr41
.LBB214_770:
	s_andn2_b64 vcc, exec, s[42:43]
	s_cbranch_vccnz .LBB214_772
; %bb.771:
	global_load_dwordx2 v[3:4], v[0:1], off
	s_andn2_b64 s[0:1], s[40:41], exec
	s_waitcnt vmcnt(0)
	v_or_b32_e32 v3, v3, v4
	v_and_b32_e32 v3, 0x7fffffff, v3
	v_cmp_ne_u32_e32 vcc, 0, v3
	s_and_b64 s[40:41], vcc, exec
	s_or_b64 s[40:41], s[0:1], s[40:41]
.LBB214_772:
	s_mov_b64 s[0:1], 0
.LBB214_773:
	s_andn2_b64 vcc, exec, s[0:1]
	s_cbranch_vccnz .LBB214_775
; %bb.774:
	global_load_dword v3, v[0:1], off
	s_andn2_b64 s[0:1], s[40:41], exec
	s_waitcnt vmcnt(0)
	v_and_b32_e32 v3, 0x7fff7fff, v3
	v_cmp_ne_u32_e32 vcc, 0, v3
	s_and_b64 s[40:41], vcc, exec
	s_or_b64 s[40:41], s[0:1], s[40:41]
.LBB214_775:
	s_mov_b64 s[0:1], 0
.LBB214_776:
	s_andn2_b64 vcc, exec, s[0:1]
	s_cbranch_vccnz .LBB214_787
; %bb.777:
	s_cmp_lt_i32 s44, 6
	s_cbranch_scc1 .LBB214_780
; %bb.778:
	s_cmp_gt_i32 s44, 6
	s_cbranch_scc0 .LBB214_781
; %bb.779:
	global_load_dwordx2 v[3:4], v[0:1], off
	s_mov_b64 s[0:1], 0
	s_waitcnt vmcnt(0)
	v_cmp_neq_f64_e64 s[40:41], 0, v[3:4]
	s_branch .LBB214_782
.LBB214_780:
	s_mov_b64 s[0:1], -1
                                        ; implicit-def: $sgpr40_sgpr41
	s_branch .LBB214_785
.LBB214_781:
	s_mov_b64 s[0:1], -1
                                        ; implicit-def: $sgpr40_sgpr41
.LBB214_782:
	s_andn2_b64 vcc, exec, s[0:1]
	s_cbranch_vccnz .LBB214_784
; %bb.783:
	global_load_dword v3, v[0:1], off
	s_andn2_b64 s[0:1], s[40:41], exec
	s_waitcnt vmcnt(0)
	v_cmp_neq_f32_e32 vcc, 0, v3
	s_and_b64 s[40:41], vcc, exec
	s_or_b64 s[40:41], s[0:1], s[40:41]
.LBB214_784:
	s_mov_b64 s[0:1], 0
.LBB214_785:
	s_andn2_b64 vcc, exec, s[0:1]
	s_cbranch_vccnz .LBB214_787
; %bb.786:
	global_load_ushort v3, v[0:1], off
	s_andn2_b64 s[0:1], s[40:41], exec
	s_waitcnt vmcnt(0)
	v_and_b32_e32 v3, 0x7fff, v3
	v_cmp_ne_u16_e32 vcc, 0, v3
	s_and_b64 s[40:41], vcc, exec
	s_or_b64 s[40:41], s[0:1], s[40:41]
.LBB214_787:
	s_mov_b64 s[0:1], 0
.LBB214_788:
	s_andn2_b64 vcc, exec, s[0:1]
	s_cbranch_vccnz .LBB214_808
; %bb.789:
	s_cmp_lt_i32 s44, 2
	s_cbranch_scc1 .LBB214_793
; %bb.790:
	s_cmp_lt_i32 s44, 3
	s_cbranch_scc1 .LBB214_794
; %bb.791:
	s_cmp_gt_i32 s44, 3
	s_cbranch_scc0 .LBB214_795
; %bb.792:
	global_load_dwordx2 v[3:4], v[0:1], off
	s_mov_b64 s[0:1], 0
	s_waitcnt vmcnt(0)
	v_cmp_ne_u64_e64 s[40:41], 0, v[3:4]
	s_branch .LBB214_796
.LBB214_793:
	s_mov_b64 s[0:1], -1
                                        ; implicit-def: $sgpr40_sgpr41
	s_branch .LBB214_802
.LBB214_794:
	s_mov_b64 s[0:1], -1
                                        ; implicit-def: $sgpr40_sgpr41
	s_branch .LBB214_799
.LBB214_795:
	s_mov_b64 s[0:1], -1
                                        ; implicit-def: $sgpr40_sgpr41
.LBB214_796:
	s_andn2_b64 vcc, exec, s[0:1]
	s_cbranch_vccnz .LBB214_798
; %bb.797:
	global_load_dword v3, v[0:1], off
	s_andn2_b64 s[0:1], s[40:41], exec
	s_waitcnt vmcnt(0)
	v_cmp_ne_u32_e32 vcc, 0, v3
	s_and_b64 s[40:41], vcc, exec
	s_or_b64 s[40:41], s[0:1], s[40:41]
.LBB214_798:
	s_mov_b64 s[0:1], 0
.LBB214_799:
	s_andn2_b64 vcc, exec, s[0:1]
	s_cbranch_vccnz .LBB214_801
; %bb.800:
	global_load_ushort v3, v[0:1], off
	s_andn2_b64 s[0:1], s[40:41], exec
	s_waitcnt vmcnt(0)
	v_cmp_ne_u16_e32 vcc, 0, v3
	s_and_b64 s[40:41], vcc, exec
	s_or_b64 s[40:41], s[0:1], s[40:41]
.LBB214_801:
	s_mov_b64 s[0:1], 0
.LBB214_802:
	s_andn2_b64 vcc, exec, s[0:1]
	s_cbranch_vccnz .LBB214_808
; %bb.803:
	s_cmp_gt_i32 s44, 0
	s_cbranch_scc0 .LBB214_805
; %bb.804:
	global_load_ubyte v3, v[0:1], off
	s_mov_b64 s[0:1], 0
	s_waitcnt vmcnt(0)
	v_cmp_ne_u16_e64 s[40:41], 0, v3
	s_branch .LBB214_806
.LBB214_805:
	s_mov_b64 s[0:1], -1
                                        ; implicit-def: $sgpr40_sgpr41
.LBB214_806:
	s_andn2_b64 vcc, exec, s[0:1]
	s_cbranch_vccnz .LBB214_808
; %bb.807:
	global_load_ubyte v0, v[0:1], off
	s_andn2_b64 s[0:1], s[40:41], exec
	s_waitcnt vmcnt(0)
	v_cmp_ne_u16_e32 vcc, 0, v0
	s_and_b64 s[40:41], vcc, exec
	s_or_b64 s[40:41], s[0:1], s[40:41]
.LBB214_808:
	s_mov_b64 s[0:1], -1
.LBB214_809:
	s_andn2_b64 vcc, exec, s[0:1]
	s_cbranch_vccnz .LBB214_817
; %bb.810:
	v_mul_lo_u32 v0, v2, s14
	v_mov_b32_e32 v1, s3
	s_and_b32 s46, s58, 0xff
	s_cmp_lt_i32 s46, 11
	v_ashrrev_i32_e32 v3, 31, v0
	v_add_co_u32_e32 v0, vcc, s2, v0
	v_addc_co_u32_e32 v1, vcc, v1, v3, vcc
	s_cbranch_scc1 .LBB214_818
; %bb.811:
	s_and_b32 s47, 0xffff, s46
	s_cmp_gt_i32 s47, 25
	s_cbranch_scc0 .LBB214_819
; %bb.812:
	s_cmp_gt_i32 s47, 28
	s_cbranch_scc0 .LBB214_820
; %bb.813:
	;; [unrolled: 3-line block ×4, first 2 shown]
	s_cmp_eq_u32 s47, 46
	s_mov_b64 s[38:39], 0
	s_cbranch_scc0 .LBB214_825
; %bb.816:
	global_load_dword v3, v[0:1], off
	s_mov_b64 s[0:1], -1
	s_mov_b64 s[42:43], 0
	s_waitcnt vmcnt(0)
	v_and_b32_e32 v3, 0x7fff7fff, v3
	v_cmp_ne_u32_e64 s[44:45], 0, v3
	s_branch .LBB214_826
.LBB214_817:
	s_mov_b64 s[46:47], 0
	s_mov_b64 s[0:1], s[30:31]
	;; [unrolled: 1-line block ×3, first 2 shown]
                                        ; implicit-def: $vgpr2
	s_branch .LBB214_1045
.LBB214_818:
	s_mov_b64 s[38:39], -1
	s_mov_b64 s[0:1], 0
                                        ; implicit-def: $sgpr44_sgpr45
	s_mov_b64 s[42:43], s[28:29]
	s_branch .LBB214_873
.LBB214_819:
	s_mov_b64 s[38:39], -1
	s_mov_b64 s[0:1], 0
	s_mov_b64 s[42:43], s[28:29]
                                        ; implicit-def: $sgpr44_sgpr45
	s_branch .LBB214_847
.LBB214_820:
	s_mov_b64 s[38:39], -1
	s_mov_b64 s[0:1], 0
	s_mov_b64 s[42:43], s[28:29]
                                        ; implicit-def: $sgpr44_sgpr45
	s_branch .LBB214_834
.LBB214_821:
	s_mov_b64 s[38:39], -1
	s_mov_b64 s[0:1], 0
	s_mov_b64 s[42:43], s[28:29]
                                        ; implicit-def: $sgpr44_sgpr45
	s_branch .LBB214_829
.LBB214_822:
	s_mov_b64 s[38:39], -1
	s_mov_b64 s[0:1], 0
	s_mov_b64 s[42:43], s[28:29]
                                        ; implicit-def: $sgpr44_sgpr45
	s_branch .LBB214_826
.LBB214_823:
	s_andn2_saveexec_b64 s[38:39], s[38:39]
	s_cbranch_execz .LBB214_619
.LBB214_824:
	v_add_f32_e32 v3, 0x42800000, v4
	v_and_b32_e32 v3, 0xff, v3
	v_cmp_ne_u32_e32 vcc, 0, v3
	s_andn2_b64 s[36:37], s[36:37], exec
	s_and_b64 s[42:43], vcc, exec
	s_or_b64 s[36:37], s[36:37], s[42:43]
	s_or_b64 exec, exec, s[38:39]
	v_mov_b32_e32 v5, 0
	s_and_saveexec_b64 s[38:39], s[36:37]
	s_cbranch_execnz .LBB214_620
	s_branch .LBB214_621
.LBB214_825:
	s_mov_b64 s[42:43], -1
                                        ; implicit-def: $sgpr44_sgpr45
	s_mov_b64 s[0:1], 0
.LBB214_826:
	s_and_b64 vcc, exec, s[38:39]
	s_cbranch_vccz .LBB214_828
; %bb.827:
	s_cmp_eq_u32 s47, 44
	s_cselect_b64 s[0:1], -1, 0
	s_or_b64 s[44:45], s[44:45], exec
	s_or_b64 s[42:43], s[42:43], exec
.LBB214_828:
	s_mov_b64 s[38:39], 0
.LBB214_829:
	s_and_b64 vcc, exec, s[38:39]
	s_cbranch_vccz .LBB214_833
; %bb.830:
	s_cmp_eq_u32 s47, 29
	s_cbranch_scc0 .LBB214_832
; %bb.831:
	global_load_dwordx2 v[3:4], v[0:1], off
	s_mov_b64 s[42:43], 0
	s_mov_b64 s[0:1], -1
	s_mov_b64 s[38:39], 0
	s_waitcnt vmcnt(0)
	v_cmp_ne_u64_e64 s[44:45], 0, v[3:4]
	s_branch .LBB214_834
.LBB214_832:
	s_mov_b64 s[42:43], -1
                                        ; implicit-def: $sgpr44_sgpr45
.LBB214_833:
	s_mov_b64 s[38:39], 0
.LBB214_834:
	s_and_b64 vcc, exec, s[38:39]
	s_cbranch_vccz .LBB214_846
; %bb.835:
	s_cmp_lt_i32 s47, 27
	s_cbranch_scc1 .LBB214_838
; %bb.836:
	s_cmp_gt_i32 s47, 27
	s_cbranch_scc0 .LBB214_839
; %bb.837:
	global_load_dword v3, v[0:1], off
	s_mov_b64 s[0:1], 0
	s_waitcnt vmcnt(0)
	v_cmp_ne_u32_e64 s[44:45], 0, v3
	s_branch .LBB214_840
.LBB214_838:
	s_mov_b64 s[0:1], -1
                                        ; implicit-def: $sgpr44_sgpr45
	s_branch .LBB214_843
.LBB214_839:
	s_mov_b64 s[0:1], -1
                                        ; implicit-def: $sgpr44_sgpr45
.LBB214_840:
	s_andn2_b64 vcc, exec, s[0:1]
	s_cbranch_vccnz .LBB214_842
; %bb.841:
	global_load_ushort v3, v[0:1], off
	s_andn2_b64 s[0:1], s[44:45], exec
	s_waitcnt vmcnt(0)
	v_cmp_ne_u16_e32 vcc, 0, v3
	s_and_b64 s[38:39], vcc, exec
	s_or_b64 s[44:45], s[0:1], s[38:39]
.LBB214_842:
	s_mov_b64 s[0:1], 0
.LBB214_843:
	s_andn2_b64 vcc, exec, s[0:1]
	s_cbranch_vccnz .LBB214_845
; %bb.844:
	global_load_ubyte v3, v[0:1], off
	s_andn2_b64 s[0:1], s[44:45], exec
	s_waitcnt vmcnt(0)
	v_cmp_ne_u16_e32 vcc, 0, v3
	s_and_b64 s[38:39], vcc, exec
	s_or_b64 s[44:45], s[0:1], s[38:39]
.LBB214_845:
	s_mov_b64 s[0:1], -1
.LBB214_846:
	s_mov_b64 s[38:39], 0
.LBB214_847:
	s_and_b64 vcc, exec, s[38:39]
	s_cbranch_vccz .LBB214_872
; %bb.848:
	s_cmp_gt_i32 s47, 22
	s_cbranch_scc0 .LBB214_852
; %bb.849:
	s_cmp_lt_i32 s47, 24
	s_cbranch_scc1 .LBB214_853
; %bb.850:
	s_cmp_gt_i32 s47, 24
	s_cbranch_scc0 .LBB214_854
; %bb.851:
	global_load_ubyte v3, v[0:1], off
	s_mov_b64 s[0:1], 0
	s_waitcnt vmcnt(0)
	v_cmp_ne_u16_e64 s[44:45], 0, v3
	s_branch .LBB214_855
.LBB214_852:
	s_mov_b64 s[38:39], -1
                                        ; implicit-def: $sgpr44_sgpr45
	s_branch .LBB214_861
.LBB214_853:
	s_mov_b64 s[0:1], -1
                                        ; implicit-def: $sgpr44_sgpr45
	s_branch .LBB214_858
.LBB214_854:
	s_mov_b64 s[0:1], -1
                                        ; implicit-def: $sgpr44_sgpr45
.LBB214_855:
	s_andn2_b64 vcc, exec, s[0:1]
	s_cbranch_vccnz .LBB214_857
; %bb.856:
	global_load_ubyte v3, v[0:1], off
	s_andn2_b64 s[0:1], s[44:45], exec
	s_waitcnt vmcnt(0)
	v_and_b32_e32 v3, 0x7f, v3
	v_cmp_ne_u16_e32 vcc, 0, v3
	s_and_b64 s[38:39], vcc, exec
	s_or_b64 s[44:45], s[0:1], s[38:39]
.LBB214_857:
	s_mov_b64 s[0:1], 0
.LBB214_858:
	s_andn2_b64 vcc, exec, s[0:1]
	s_cbranch_vccnz .LBB214_860
; %bb.859:
	global_load_ubyte v3, v[0:1], off
	s_movk_i32 s0, 0x7f00
	s_brev_b32 s1, 16
	s_waitcnt vmcnt(0)
	v_lshlrev_b32_e32 v4, 8, v3
	v_lshlrev_b32_e32 v3, 25, v3
	v_lshrrev_b32_e32 v5, 4, v3
	v_and_or_b32 v4, v4, s0, 0.5
	v_or_b32_e32 v5, 0x70000000, v5
	v_add_f32_e32 v4, -0.5, v4
	v_mul_f32_e32 v5, 0x7800000, v5
	v_cmp_gt_u32_e32 vcc, s1, v3
	v_cndmask_b32_e32 v3, v5, v4, vcc
	v_cmp_neq_f32_e32 vcc, 0, v3
	s_andn2_b64 s[0:1], s[44:45], exec
	s_and_b64 s[38:39], vcc, exec
	s_or_b64 s[44:45], s[0:1], s[38:39]
.LBB214_860:
	s_mov_b64 s[38:39], 0
	s_mov_b64 s[0:1], -1
.LBB214_861:
	s_andn2_b64 vcc, exec, s[38:39]
	s_cbranch_vccnz .LBB214_872
; %bb.862:
	s_cmp_gt_i32 s47, 14
	s_cbranch_scc0 .LBB214_865
; %bb.863:
	s_cmp_eq_u32 s47, 15
	s_cbranch_scc0 .LBB214_866
; %bb.864:
	global_load_ushort v3, v[0:1], off
	s_mov_b64 s[0:1], -1
	s_mov_b64 s[42:43], 0
	s_waitcnt vmcnt(0)
	v_and_b32_e32 v3, 0x7fff, v3
	v_cmp_ne_u16_e64 s[44:45], 0, v3
	s_branch .LBB214_867
.LBB214_865:
	s_mov_b64 s[38:39], -1
                                        ; implicit-def: $sgpr44_sgpr45
	s_branch .LBB214_868
.LBB214_866:
	s_mov_b64 s[42:43], -1
                                        ; implicit-def: $sgpr44_sgpr45
.LBB214_867:
	s_mov_b64 s[38:39], 0
.LBB214_868:
	s_and_b64 vcc, exec, s[38:39]
	s_cbranch_vccz .LBB214_872
; %bb.869:
	s_cmp_eq_u32 s47, 11
	s_cbranch_scc0 .LBB214_871
; %bb.870:
	global_load_ubyte v3, v[0:1], off
	s_mov_b64 s[0:1], -1
	s_mov_b64 s[42:43], 0
	s_waitcnt vmcnt(0)
	v_cmp_ne_u16_e64 s[44:45], 0, v3
	s_branch .LBB214_872
.LBB214_871:
	s_mov_b64 s[42:43], -1
                                        ; implicit-def: $sgpr44_sgpr45
.LBB214_872:
	s_mov_b64 s[38:39], 0
.LBB214_873:
	s_and_b64 vcc, exec, s[38:39]
	s_cbranch_vccz .LBB214_922
; %bb.874:
	s_and_b32 s46, 0xffff, s46
	s_cmp_lt_i32 s46, 5
	s_cbranch_scc1 .LBB214_879
; %bb.875:
	s_cmp_lt_i32 s46, 8
	s_cbranch_scc1 .LBB214_880
; %bb.876:
	;; [unrolled: 3-line block ×3, first 2 shown]
	s_cmp_gt_i32 s46, 9
	s_cbranch_scc0 .LBB214_882
; %bb.878:
	global_load_dwordx4 v[3:6], v[0:1], off
	s_mov_b64 s[38:39], 0
	s_waitcnt vmcnt(0)
	v_cmp_neq_f64_e32 vcc, 0, v[3:4]
	v_cmp_neq_f64_e64 s[0:1], 0, v[5:6]
	s_or_b64 s[44:45], vcc, s[0:1]
	s_branch .LBB214_883
.LBB214_879:
	s_mov_b64 s[0:1], -1
                                        ; implicit-def: $sgpr44_sgpr45
	s_branch .LBB214_901
.LBB214_880:
	s_mov_b64 s[0:1], -1
                                        ; implicit-def: $sgpr44_sgpr45
	s_branch .LBB214_889
.LBB214_881:
	s_mov_b64 s[0:1], -1
                                        ; implicit-def: $sgpr44_sgpr45
	s_branch .LBB214_886
.LBB214_882:
	s_mov_b64 s[38:39], -1
                                        ; implicit-def: $sgpr44_sgpr45
.LBB214_883:
	s_andn2_b64 vcc, exec, s[38:39]
	s_cbranch_vccnz .LBB214_885
; %bb.884:
	global_load_dwordx2 v[3:4], v[0:1], off
	s_andn2_b64 s[0:1], s[44:45], exec
	s_waitcnt vmcnt(0)
	v_or_b32_e32 v3, v3, v4
	v_and_b32_e32 v3, 0x7fffffff, v3
	v_cmp_ne_u32_e32 vcc, 0, v3
	s_and_b64 s[38:39], vcc, exec
	s_or_b64 s[44:45], s[0:1], s[38:39]
.LBB214_885:
	s_mov_b64 s[0:1], 0
.LBB214_886:
	s_andn2_b64 vcc, exec, s[0:1]
	s_cbranch_vccnz .LBB214_888
; %bb.887:
	global_load_dword v3, v[0:1], off
	s_andn2_b64 s[0:1], s[44:45], exec
	s_waitcnt vmcnt(0)
	v_and_b32_e32 v3, 0x7fff7fff, v3
	v_cmp_ne_u32_e32 vcc, 0, v3
	s_and_b64 s[38:39], vcc, exec
	s_or_b64 s[44:45], s[0:1], s[38:39]
.LBB214_888:
	s_mov_b64 s[0:1], 0
.LBB214_889:
	s_andn2_b64 vcc, exec, s[0:1]
	s_cbranch_vccnz .LBB214_900
; %bb.890:
	s_cmp_lt_i32 s46, 6
	s_cbranch_scc1 .LBB214_893
; %bb.891:
	s_cmp_gt_i32 s46, 6
	s_cbranch_scc0 .LBB214_894
; %bb.892:
	global_load_dwordx2 v[3:4], v[0:1], off
	s_mov_b64 s[0:1], 0
	s_waitcnt vmcnt(0)
	v_cmp_neq_f64_e64 s[44:45], 0, v[3:4]
	s_branch .LBB214_895
.LBB214_893:
	s_mov_b64 s[0:1], -1
                                        ; implicit-def: $sgpr44_sgpr45
	s_branch .LBB214_898
.LBB214_894:
	s_mov_b64 s[0:1], -1
                                        ; implicit-def: $sgpr44_sgpr45
.LBB214_895:
	s_andn2_b64 vcc, exec, s[0:1]
	s_cbranch_vccnz .LBB214_897
; %bb.896:
	global_load_dword v3, v[0:1], off
	s_andn2_b64 s[0:1], s[44:45], exec
	s_waitcnt vmcnt(0)
	v_cmp_neq_f32_e32 vcc, 0, v3
	s_and_b64 s[38:39], vcc, exec
	s_or_b64 s[44:45], s[0:1], s[38:39]
.LBB214_897:
	s_mov_b64 s[0:1], 0
.LBB214_898:
	s_andn2_b64 vcc, exec, s[0:1]
	s_cbranch_vccnz .LBB214_900
; %bb.899:
	global_load_ushort v3, v[0:1], off
	s_andn2_b64 s[0:1], s[44:45], exec
	s_waitcnt vmcnt(0)
	v_and_b32_e32 v3, 0x7fff, v3
	v_cmp_ne_u16_e32 vcc, 0, v3
	s_and_b64 s[38:39], vcc, exec
	s_or_b64 s[44:45], s[0:1], s[38:39]
.LBB214_900:
	s_mov_b64 s[0:1], 0
.LBB214_901:
	s_andn2_b64 vcc, exec, s[0:1]
	s_cbranch_vccnz .LBB214_921
; %bb.902:
	s_cmp_lt_i32 s46, 2
	s_cbranch_scc1 .LBB214_906
; %bb.903:
	s_cmp_lt_i32 s46, 3
	s_cbranch_scc1 .LBB214_907
; %bb.904:
	s_cmp_gt_i32 s46, 3
	s_cbranch_scc0 .LBB214_908
; %bb.905:
	global_load_dwordx2 v[3:4], v[0:1], off
	s_mov_b64 s[0:1], 0
	s_waitcnt vmcnt(0)
	v_cmp_ne_u64_e64 s[44:45], 0, v[3:4]
	s_branch .LBB214_909
.LBB214_906:
	s_mov_b64 s[0:1], -1
                                        ; implicit-def: $sgpr44_sgpr45
	s_branch .LBB214_915
.LBB214_907:
	s_mov_b64 s[0:1], -1
                                        ; implicit-def: $sgpr44_sgpr45
	s_branch .LBB214_912
.LBB214_908:
	s_mov_b64 s[0:1], -1
                                        ; implicit-def: $sgpr44_sgpr45
.LBB214_909:
	s_andn2_b64 vcc, exec, s[0:1]
	s_cbranch_vccnz .LBB214_911
; %bb.910:
	global_load_dword v3, v[0:1], off
	s_andn2_b64 s[0:1], s[44:45], exec
	s_waitcnt vmcnt(0)
	v_cmp_ne_u32_e32 vcc, 0, v3
	s_and_b64 s[38:39], vcc, exec
	s_or_b64 s[44:45], s[0:1], s[38:39]
.LBB214_911:
	s_mov_b64 s[0:1], 0
.LBB214_912:
	s_andn2_b64 vcc, exec, s[0:1]
	s_cbranch_vccnz .LBB214_914
; %bb.913:
	global_load_ushort v3, v[0:1], off
	s_andn2_b64 s[0:1], s[44:45], exec
	s_waitcnt vmcnt(0)
	v_cmp_ne_u16_e32 vcc, 0, v3
	s_and_b64 s[38:39], vcc, exec
	s_or_b64 s[44:45], s[0:1], s[38:39]
.LBB214_914:
	s_mov_b64 s[0:1], 0
.LBB214_915:
	s_andn2_b64 vcc, exec, s[0:1]
	s_cbranch_vccnz .LBB214_921
; %bb.916:
	s_cmp_gt_i32 s46, 0
	s_cbranch_scc0 .LBB214_918
; %bb.917:
	global_load_ubyte v3, v[0:1], off
	s_mov_b64 s[0:1], 0
	s_waitcnt vmcnt(0)
	v_cmp_ne_u16_e64 s[44:45], 0, v3
	s_branch .LBB214_919
.LBB214_918:
	s_mov_b64 s[0:1], -1
                                        ; implicit-def: $sgpr44_sgpr45
.LBB214_919:
	s_andn2_b64 vcc, exec, s[0:1]
	s_cbranch_vccnz .LBB214_921
; %bb.920:
	global_load_ubyte v0, v[0:1], off
	s_andn2_b64 s[0:1], s[44:45], exec
	s_waitcnt vmcnt(0)
	v_cmp_ne_u16_e32 vcc, 0, v0
	s_and_b64 s[38:39], vcc, exec
	s_or_b64 s[44:45], s[0:1], s[38:39]
.LBB214_921:
	s_mov_b64 s[0:1], -1
.LBB214_922:
	s_mov_b64 s[38:39], 0
	s_andn2_b64 vcc, exec, s[0:1]
	s_mov_b64 s[0:1], s[30:31]
	s_mov_b64 s[46:47], 0
	s_cbranch_vccnz .LBB214_1045
; %bb.923:
	v_mul_lo_u32 v0, v2, s12
	s_xor_b64 s[0:1], s[40:41], s[44:45]
	v_mov_b32_e32 v1, s9
	s_xor_b64 s[40:41], s[16:17], s[0:1]
	v_ashrrev_i32_e32 v3, 31, v0
	s_and_b32 s48, s33, 0xff
	v_add_co_u32_e32 v0, vcc, s8, v0
	s_cmp_lt_i32 s48, 11
	v_addc_co_u32_e32 v1, vcc, v1, v3, vcc
	s_cbranch_scc1 .LBB214_930
; %bb.924:
	s_and_b32 s49, 0xffff, s48
	s_cmp_gt_i32 s49, 25
	s_cbranch_scc0 .LBB214_931
; %bb.925:
	s_cmp_gt_i32 s49, 28
	s_cbranch_scc0 .LBB214_932
; %bb.926:
	;; [unrolled: 3-line block ×4, first 2 shown]
	s_mov_b64 s[42:43], 0
	s_mov_b64 s[0:1], -1
	s_cmp_eq_u32 s49, 46
	s_mov_b64 s[44:45], 0
	s_cbranch_scc0 .LBB214_935
; %bb.929:
	v_cndmask_b32_e64 v3, 0, 1.0, s[40:41]
	v_bfe_u32 v4, v3, 16, 1
	s_movk_i32 s0, 0x7fff
	v_add3_u32 v3, v3, v4, s0
	v_lshrrev_b32_e32 v3, 16, v3
	global_store_dword v[0:1], v3, off
	s_mov_b64 s[44:45], -1
	s_mov_b64 s[0:1], 0
	s_branch .LBB214_935
.LBB214_930:
	s_mov_b64 s[42:43], -1
	s_mov_b64 s[44:45], 0
	s_mov_b64 s[0:1], s[30:31]
	s_branch .LBB214_1004
.LBB214_931:
	s_mov_b64 s[42:43], -1
	s_mov_b64 s[44:45], 0
	s_mov_b64 s[0:1], s[30:31]
	s_branch .LBB214_962
.LBB214_932:
	s_mov_b64 s[42:43], -1
	s_mov_b64 s[44:45], 0
	s_mov_b64 s[0:1], s[30:31]
	s_branch .LBB214_945
.LBB214_933:
	s_mov_b64 s[42:43], -1
	s_mov_b64 s[44:45], 0
	s_mov_b64 s[0:1], s[30:31]
	s_branch .LBB214_941
.LBB214_934:
	s_mov_b64 s[42:43], -1
	s_mov_b64 s[44:45], 0
	s_mov_b64 s[0:1], s[30:31]
.LBB214_935:
	s_and_b64 vcc, exec, s[42:43]
	s_cbranch_vccz .LBB214_940
; %bb.936:
	s_cmp_eq_u32 s49, 44
	s_mov_b64 s[0:1], -1
	s_cbranch_scc0 .LBB214_940
; %bb.937:
	v_cndmask_b32_e64 v4, 0, 1.0, s[40:41]
	v_lshrrev_b32_e32 v3, 23, v4
	s_movk_i32 s0, 0xff
	v_cmp_ne_u32_e32 vcc, s0, v3
	v_mov_b32_e32 v5, 0xff
	s_and_saveexec_b64 s[42:43], vcc
; %bb.938:
	s_mov_b32 s0, 0x3fffff
	v_and_b32_e32 v5, 0x400000, v4
	v_and_or_b32 v4, v4, s0, v3
	v_cmp_ne_u32_e32 vcc, 0, v5
	v_cmp_ne_u32_e64 s[0:1], 0, v4
	s_and_b64 s[0:1], vcc, s[0:1]
	v_cndmask_b32_e64 v4, 0, 1, s[0:1]
	v_add_u32_e32 v5, v3, v4
; %bb.939:
	s_or_b64 exec, exec, s[42:43]
	s_mov_b64 s[44:45], -1
	s_mov_b64 s[0:1], 0
	global_store_byte v[0:1], v5, off
.LBB214_940:
	s_mov_b64 s[42:43], 0
.LBB214_941:
	s_and_b64 vcc, exec, s[42:43]
	s_cbranch_vccz .LBB214_944
; %bb.942:
	s_cmp_eq_u32 s49, 29
	s_mov_b64 s[0:1], -1
	s_cbranch_scc0 .LBB214_944
; %bb.943:
	s_mov_b32 s0, 0
	v_cndmask_b32_e64 v3, 0, 1, s[40:41]
	v_mov_b32_e32 v4, s0
	global_store_dwordx2 v[0:1], v[3:4], off
	s_mov_b64 s[44:45], -1
	s_mov_b64 s[0:1], 0
.LBB214_944:
	s_mov_b64 s[42:43], 0
.LBB214_945:
	s_and_b64 vcc, exec, s[42:43]
	s_cbranch_vccz .LBB214_961
; %bb.946:
	s_cmp_lt_i32 s49, 27
	s_mov_b64 s[42:43], -1
	s_cbranch_scc1 .LBB214_952
; %bb.947:
	s_cmp_gt_i32 s49, 27
	s_cbranch_scc0 .LBB214_949
; %bb.948:
	v_cndmask_b32_e64 v3, 0, 1, s[40:41]
	s_mov_b64 s[42:43], 0
	global_store_dword v[0:1], v3, off
.LBB214_949:
	s_andn2_b64 vcc, exec, s[42:43]
	s_cbranch_vccnz .LBB214_951
; %bb.950:
	v_cndmask_b32_e64 v3, 0, 1, s[40:41]
	global_store_short v[0:1], v3, off
.LBB214_951:
	s_mov_b64 s[42:43], 0
.LBB214_952:
	s_andn2_b64 vcc, exec, s[42:43]
	s_cbranch_vccnz .LBB214_960
; %bb.953:
	v_cndmask_b32_e64 v4, 0, 1.0, s[40:41]
	s_mov_b32 s42, 0x43800000
	v_cmp_gt_u32_e32 vcc, s42, v4
	v_mov_b32_e32 v5, 0x80
	s_and_saveexec_b64 s[42:43], vcc
	s_cbranch_execz .LBB214_959
; %bb.954:
	s_mov_b32 s44, 0x3bffffff
	v_cmp_lt_u32_e32 vcc, s44, v4
	s_mov_b64 s[44:45], 0
                                        ; implicit-def: $vgpr3
	s_and_saveexec_b64 s[46:47], vcc
	s_xor_b64 s[46:47], exec, s[46:47]
	s_cbranch_execz .LBB214_1060
; %bb.955:
	v_bfe_u32 v3, v4, 20, 1
	s_mov_b32 s50, 0x487ffff
	v_add3_u32 v3, v4, v3, s50
	s_mov_b64 s[44:45], exec
	v_lshrrev_b32_e32 v3, 20, v3
                                        ; implicit-def: $vgpr4
	s_andn2_saveexec_b64 s[46:47], s[46:47]
	s_cbranch_execnz .LBB214_1061
.LBB214_956:
	s_or_b64 exec, exec, s[46:47]
	v_mov_b32_e32 v5, 0
	s_and_saveexec_b64 s[46:47], s[44:45]
.LBB214_957:
	v_mov_b32_e32 v5, v3
.LBB214_958:
	s_or_b64 exec, exec, s[46:47]
.LBB214_959:
	s_or_b64 exec, exec, s[42:43]
	global_store_byte v[0:1], v5, off
.LBB214_960:
	s_mov_b64 s[44:45], -1
.LBB214_961:
	s_mov_b64 s[42:43], 0
.LBB214_962:
	s_and_b64 vcc, exec, s[42:43]
	s_cbranch_vccz .LBB214_1003
; %bb.963:
	s_cmp_gt_i32 s49, 22
	s_mov_b64 s[42:43], -1
	s_cbranch_scc0 .LBB214_995
; %bb.964:
	s_cmp_lt_i32 s49, 24
	s_cbranch_scc1 .LBB214_984
; %bb.965:
	s_cmp_gt_i32 s49, 24
	s_cbranch_scc0 .LBB214_973
; %bb.966:
	v_cndmask_b32_e64 v4, 0, 1.0, s[40:41]
	s_mov_b32 s42, 0x47800000
	v_cmp_gt_u32_e32 vcc, s42, v4
	v_mov_b32_e32 v5, 0x80
	s_and_saveexec_b64 s[42:43], vcc
	s_cbranch_execz .LBB214_972
; %bb.967:
	s_mov_b32 s44, 0x37ffffff
	v_cmp_lt_u32_e32 vcc, s44, v4
	s_mov_b64 s[44:45], 0
                                        ; implicit-def: $vgpr3
	s_and_saveexec_b64 s[46:47], vcc
	s_xor_b64 s[46:47], exec, s[46:47]
	s_cbranch_execz .LBB214_1957
; %bb.968:
	v_bfe_u32 v3, v4, 21, 1
	s_mov_b32 s50, 0x88fffff
	v_add3_u32 v3, v4, v3, s50
	s_mov_b64 s[44:45], exec
	v_lshrrev_b32_e32 v3, 21, v3
                                        ; implicit-def: $vgpr4
	s_andn2_saveexec_b64 s[46:47], s[46:47]
	s_cbranch_execnz .LBB214_1958
.LBB214_969:
	s_or_b64 exec, exec, s[46:47]
	v_mov_b32_e32 v5, 0
	s_and_saveexec_b64 s[46:47], s[44:45]
.LBB214_970:
	v_mov_b32_e32 v5, v3
.LBB214_971:
	s_or_b64 exec, exec, s[46:47]
.LBB214_972:
	s_or_b64 exec, exec, s[42:43]
	s_mov_b64 s[42:43], 0
	global_store_byte v[0:1], v5, off
.LBB214_973:
	s_and_b64 vcc, exec, s[42:43]
	s_cbranch_vccz .LBB214_983
; %bb.974:
	v_cndmask_b32_e64 v3, 0, 1.0, s[40:41]
	s_mov_b32 s42, 0x43f00000
	v_cmp_gt_u32_e32 vcc, s42, v3
                                        ; implicit-def: $vgpr4
	s_and_saveexec_b64 s[42:43], vcc
	s_xor_b64 s[42:43], exec, s[42:43]
	s_cbranch_execz .LBB214_980
; %bb.975:
	s_mov_b32 s44, 0x3c7fffff
	v_cmp_lt_u32_e32 vcc, s44, v3
                                        ; implicit-def: $vgpr4
	s_and_saveexec_b64 s[44:45], vcc
	s_xor_b64 s[44:45], exec, s[44:45]
; %bb.976:
	v_bfe_u32 v4, v3, 20, 1
	s_mov_b32 s46, 0x407ffff
	v_add3_u32 v3, v3, v4, s46
	v_lshrrev_b32_e32 v4, 20, v3
	v_and_b32_e32 v3, 0xff00000, v3
	s_mov_b32 s46, 0x7f00000
	v_mov_b32_e32 v5, 0x7e
	v_cmp_ne_u32_e32 vcc, s46, v3
	v_cndmask_b32_e32 v4, v5, v4, vcc
                                        ; implicit-def: $vgpr3
; %bb.977:
	s_andn2_saveexec_b64 s[44:45], s[44:45]
; %bb.978:
	v_add_f32_e32 v4, 0x46800000, v3
; %bb.979:
	s_or_b64 exec, exec, s[44:45]
                                        ; implicit-def: $vgpr3
.LBB214_980:
	s_andn2_saveexec_b64 s[42:43], s[42:43]
; %bb.981:
	s_mov_b32 s44, 0x7f800000
	v_mov_b32_e32 v4, 0x7e
	v_mov_b32_e32 v5, 0x7f
	v_cmp_lt_u32_e32 vcc, s44, v3
	v_cndmask_b32_e32 v4, v4, v5, vcc
; %bb.982:
	s_or_b64 exec, exec, s[42:43]
	global_store_byte v[0:1], v4, off
.LBB214_983:
	s_mov_b64 s[42:43], 0
.LBB214_984:
	s_andn2_b64 vcc, exec, s[42:43]
	s_cbranch_vccnz .LBB214_994
; %bb.985:
	v_cndmask_b32_e64 v3, 0, 1.0, s[40:41]
	s_mov_b32 s42, 0x47800000
	v_cmp_gt_u32_e32 vcc, s42, v3
                                        ; implicit-def: $vgpr4
	s_and_saveexec_b64 s[42:43], vcc
	s_xor_b64 s[42:43], exec, s[42:43]
	s_cbranch_execz .LBB214_991
; %bb.986:
	s_mov_b32 s44, 0x387fffff
	v_cmp_lt_u32_e32 vcc, s44, v3
                                        ; implicit-def: $vgpr4
	s_and_saveexec_b64 s[44:45], vcc
	s_xor_b64 s[44:45], exec, s[44:45]
; %bb.987:
	v_bfe_u32 v4, v3, 21, 1
	s_mov_b32 s46, 0x80fffff
	v_add3_u32 v3, v3, v4, s46
	v_lshrrev_b32_e32 v4, 21, v3
                                        ; implicit-def: $vgpr3
; %bb.988:
	s_andn2_saveexec_b64 s[44:45], s[44:45]
; %bb.989:
	v_add_f32_e32 v4, 0x43000000, v3
; %bb.990:
	s_or_b64 exec, exec, s[44:45]
                                        ; implicit-def: $vgpr3
.LBB214_991:
	s_andn2_saveexec_b64 s[42:43], s[42:43]
; %bb.992:
	s_mov_b32 s44, 0x7f800000
	v_mov_b32_e32 v4, 0x7c
	v_mov_b32_e32 v5, 0x7f
	v_cmp_lt_u32_e32 vcc, s44, v3
	v_cndmask_b32_e32 v4, v4, v5, vcc
; %bb.993:
	s_or_b64 exec, exec, s[42:43]
	global_store_byte v[0:1], v4, off
.LBB214_994:
	s_mov_b64 s[42:43], 0
	s_mov_b64 s[44:45], -1
.LBB214_995:
	s_andn2_b64 vcc, exec, s[42:43]
	s_cbranch_vccnz .LBB214_1003
; %bb.996:
	s_cmp_gt_i32 s49, 14
	s_mov_b64 s[42:43], -1
	s_cbranch_scc0 .LBB214_1000
; %bb.997:
	s_cmp_eq_u32 s49, 15
	s_mov_b64 s[0:1], -1
	s_cbranch_scc0 .LBB214_999
; %bb.998:
	v_cndmask_b32_e64 v3, 0, 1.0, s[40:41]
	v_bfe_u32 v4, v3, 16, 1
	s_movk_i32 s0, 0x7fff
	v_add3_u32 v3, v3, v4, s0
	global_store_short_d16_hi v[0:1], v3, off
	s_mov_b64 s[44:45], -1
	s_mov_b64 s[0:1], 0
.LBB214_999:
	s_mov_b64 s[42:43], 0
.LBB214_1000:
	s_and_b64 vcc, exec, s[42:43]
	s_cbranch_vccz .LBB214_1003
; %bb.1001:
	s_cmp_eq_u32 s49, 11
	s_mov_b64 s[0:1], -1
	s_cbranch_scc0 .LBB214_1003
; %bb.1002:
	v_cndmask_b32_e64 v3, 0, 1, s[40:41]
	s_mov_b64 s[44:45], -1
	s_mov_b64 s[0:1], 0
	global_store_byte v[0:1], v3, off
.LBB214_1003:
	s_mov_b64 s[42:43], 0
.LBB214_1004:
	s_and_b64 vcc, exec, s[42:43]
	s_cbranch_vccz .LBB214_1043
; %bb.1005:
	s_and_b32 s44, 0xffff, s48
	s_cmp_lt_i32 s44, 5
	s_mov_b64 s[42:43], -1
	s_cbranch_scc1 .LBB214_1026
; %bb.1006:
	s_cmp_lt_i32 s44, 8
	s_cbranch_scc1 .LBB214_1016
; %bb.1007:
	s_cmp_lt_i32 s44, 9
	s_cbranch_scc1 .LBB214_1013
; %bb.1008:
	s_cmp_gt_i32 s44, 9
	s_cbranch_scc0 .LBB214_1010
; %bb.1009:
	v_cndmask_b32_e64 v3, 0, 1, s[40:41]
	v_cvt_f64_u32_e32 v[3:4], v3
	v_mov_b32_e32 v5, 0
	v_mov_b32_e32 v6, v5
	s_mov_b64 s[42:43], 0
	global_store_dwordx4 v[0:1], v[3:6], off
.LBB214_1010:
	s_andn2_b64 vcc, exec, s[42:43]
	s_cbranch_vccnz .LBB214_1012
; %bb.1011:
	v_cndmask_b32_e64 v3, 0, 1.0, s[40:41]
	v_mov_b32_e32 v4, 0
	global_store_dwordx2 v[0:1], v[3:4], off
.LBB214_1012:
	s_mov_b64 s[42:43], 0
.LBB214_1013:
	s_andn2_b64 vcc, exec, s[42:43]
	s_cbranch_vccnz .LBB214_1015
; %bb.1014:
	v_cndmask_b32_e64 v3, 0, 1.0, s[40:41]
	v_cvt_f16_f32_e32 v3, v3
	global_store_dword v[0:1], v3, off
.LBB214_1015:
	s_mov_b64 s[42:43], 0
.LBB214_1016:
	s_andn2_b64 vcc, exec, s[42:43]
	s_cbranch_vccnz .LBB214_1025
; %bb.1017:
	s_cmp_lt_i32 s44, 6
	s_mov_b64 s[42:43], -1
	s_cbranch_scc1 .LBB214_1023
; %bb.1018:
	s_cmp_gt_i32 s44, 6
	s_cbranch_scc0 .LBB214_1020
; %bb.1019:
	v_cndmask_b32_e64 v3, 0, 1, s[40:41]
	v_cvt_f64_u32_e32 v[3:4], v3
	s_mov_b64 s[42:43], 0
	global_store_dwordx2 v[0:1], v[3:4], off
.LBB214_1020:
	s_andn2_b64 vcc, exec, s[42:43]
	s_cbranch_vccnz .LBB214_1022
; %bb.1021:
	v_cndmask_b32_e64 v3, 0, 1.0, s[40:41]
	global_store_dword v[0:1], v3, off
.LBB214_1022:
	s_mov_b64 s[42:43], 0
.LBB214_1023:
	s_andn2_b64 vcc, exec, s[42:43]
	s_cbranch_vccnz .LBB214_1025
; %bb.1024:
	v_cndmask_b32_e64 v3, 0, 1.0, s[40:41]
	v_cvt_f16_f32_e32 v3, v3
	global_store_short v[0:1], v3, off
.LBB214_1025:
	s_mov_b64 s[42:43], 0
.LBB214_1026:
	s_andn2_b64 vcc, exec, s[42:43]
	s_cbranch_vccnz .LBB214_1042
; %bb.1027:
	s_cmp_lt_i32 s44, 2
	s_mov_b64 s[42:43], -1
	s_cbranch_scc1 .LBB214_1037
; %bb.1028:
	s_cmp_lt_i32 s44, 3
	s_cbranch_scc1 .LBB214_1034
; %bb.1029:
	s_cmp_gt_i32 s44, 3
	s_cbranch_scc0 .LBB214_1031
; %bb.1030:
	s_mov_b32 s42, 0
	v_cndmask_b32_e64 v3, 0, 1, s[40:41]
	v_mov_b32_e32 v4, s42
	s_mov_b64 s[42:43], 0
	global_store_dwordx2 v[0:1], v[3:4], off
.LBB214_1031:
	s_andn2_b64 vcc, exec, s[42:43]
	s_cbranch_vccnz .LBB214_1033
; %bb.1032:
	v_cndmask_b32_e64 v3, 0, 1, s[40:41]
	global_store_dword v[0:1], v3, off
.LBB214_1033:
	s_mov_b64 s[42:43], 0
.LBB214_1034:
	s_andn2_b64 vcc, exec, s[42:43]
	s_cbranch_vccnz .LBB214_1036
; %bb.1035:
	v_cndmask_b32_e64 v3, 0, 1, s[40:41]
	global_store_short v[0:1], v3, off
.LBB214_1036:
	s_mov_b64 s[42:43], 0
.LBB214_1037:
	s_andn2_b64 vcc, exec, s[42:43]
	s_cbranch_vccnz .LBB214_1042
; %bb.1038:
	s_mov_b64 s[42:43], -1
	s_cmp_gt_i32 s44, 0
	v_cndmask_b32_e64 v3, 0, 1, s[40:41]
	s_cbranch_scc0 .LBB214_1040
; %bb.1039:
	s_mov_b64 s[42:43], 0
	global_store_byte v[0:1], v3, off
.LBB214_1040:
	s_andn2_b64 vcc, exec, s[42:43]
	s_cbranch_vccnz .LBB214_1042
; %bb.1041:
	global_store_byte v[0:1], v3, off
.LBB214_1042:
	s_mov_b64 s[44:45], -1
.LBB214_1043:
	s_mov_b64 s[42:43], 0
	s_andn2_b64 vcc, exec, s[44:45]
	s_mov_b64 s[46:47], 0
	s_cbranch_vccnz .LBB214_1045
; %bb.1044:
	v_add_u32_e32 v2, 0x80, v2
	s_mov_b64 s[46:47], -1
.LBB214_1045:
	s_andn2_b64 s[40:41], s[30:31], exec
	s_and_b64 s[0:1], s[0:1], exec
	s_or_b64 s[44:45], s[40:41], s[0:1]
	s_andn2_b64 s[0:1], s[28:29], exec
	s_and_b64 s[40:41], s[42:43], exec
	s_or_b64 s[40:41], s[0:1], s[40:41]
	;; [unrolled: 3-line block ×3, first 2 shown]
	s_orn2_b64 s[50:51], s[46:47], exec
.LBB214_1046:
	s_or_b64 exec, exec, s[36:37]
	s_mov_b64 s[46:47], 0
	s_mov_b64 s[48:49], 0
	;; [unrolled: 1-line block ×3, first 2 shown]
                                        ; implicit-def: $sgpr36_sgpr37
                                        ; implicit-def: $sgpr60
                                        ; implicit-def: $vgpr0_vgpr1
	s_and_saveexec_b64 s[38:39], s[50:51]
	s_cbranch_execz .LBB214_1111
; %bb.1047:
	v_cmp_gt_i32_e32 vcc, s52, v2
	s_mov_b64 s[50:51], 0
	s_mov_b64 s[52:53], s[0:1]
	;; [unrolled: 1-line block ×4, first 2 shown]
                                        ; implicit-def: $sgpr36_sgpr37
                                        ; implicit-def: $sgpr60
                                        ; implicit-def: $vgpr0_vgpr1
	s_and_saveexec_b64 s[42:43], vcc
	s_cbranch_execz .LBB214_1110
; %bb.1048:
	v_mul_lo_u32 v0, v2, s13
	v_mov_b32_e32 v1, s11
	s_and_b32 s60, s59, 0xff
	s_cmp_lt_i32 s60, 11
	v_ashrrev_i32_e32 v3, 31, v0
	v_add_co_u32_e32 v0, vcc, s10, v0
	v_addc_co_u32_e32 v1, vcc, v1, v3, vcc
	s_cbranch_scc1 .LBB214_1055
; %bb.1049:
	s_and_b32 s54, 0xffff, s60
	s_cmp_gt_i32 s54, 25
	s_cbranch_scc0 .LBB214_1056
; %bb.1050:
	s_cmp_gt_i32 s54, 28
	s_cbranch_scc0 .LBB214_1057
; %bb.1051:
	s_cmp_gt_i32 s54, 43
	s_cbranch_scc0 .LBB214_1058
; %bb.1052:
	s_cmp_gt_i32 s54, 45
	s_cbranch_scc0 .LBB214_1059
; %bb.1053:
	s_cmp_eq_u32 s54, 46
	s_mov_b64 s[52:53], 0
	s_cbranch_scc0 .LBB214_1062
; %bb.1054:
	global_load_dword v3, v[0:1], off
	s_mov_b64 s[50:51], -1
	s_waitcnt vmcnt(0)
	v_and_b32_e32 v3, 0x7fff7fff, v3
	v_cmp_ne_u32_e64 s[36:37], 0, v3
	s_branch .LBB214_1064
.LBB214_1055:
	s_mov_b64 s[52:53], -1
                                        ; implicit-def: $sgpr36_sgpr37
	s_mov_b64 s[46:47], s[0:1]
	s_branch .LBB214_1109
.LBB214_1056:
	s_mov_b64 s[52:53], -1
	s_mov_b64 s[46:47], s[0:1]
                                        ; implicit-def: $sgpr36_sgpr37
	s_branch .LBB214_1085
.LBB214_1057:
	s_mov_b64 s[52:53], -1
	s_mov_b64 s[46:47], s[0:1]
                                        ; implicit-def: $sgpr36_sgpr37
	s_branch .LBB214_1072
.LBB214_1058:
	s_mov_b64 s[52:53], -1
	s_mov_b64 s[46:47], s[0:1]
                                        ; implicit-def: $sgpr36_sgpr37
	s_branch .LBB214_1067
.LBB214_1059:
	s_mov_b64 s[52:53], -1
	s_mov_b64 s[46:47], s[0:1]
	s_branch .LBB214_1063
.LBB214_1060:
	s_andn2_saveexec_b64 s[46:47], s[46:47]
	s_cbranch_execz .LBB214_956
.LBB214_1061:
	v_add_f32_e32 v3, 0x46000000, v4
	v_and_b32_e32 v3, 0xff, v3
	v_cmp_ne_u32_e32 vcc, 0, v3
	s_andn2_b64 s[44:45], s[44:45], exec
	s_and_b64 s[50:51], vcc, exec
	s_or_b64 s[44:45], s[44:45], s[50:51]
	s_or_b64 exec, exec, s[46:47]
	v_mov_b32_e32 v5, 0
	s_and_saveexec_b64 s[46:47], s[44:45]
	s_cbranch_execnz .LBB214_957
	s_branch .LBB214_958
.LBB214_1062:
	s_mov_b64 s[46:47], -1
.LBB214_1063:
                                        ; implicit-def: $sgpr36_sgpr37
.LBB214_1064:
	s_and_b64 vcc, exec, s[52:53]
	s_cbranch_vccz .LBB214_1066
; %bb.1065:
	s_cmp_lg_u32 s54, 44
	s_cselect_b64 s[52:53], -1, 0
	s_andn2_b64 s[46:47], s[46:47], exec
	s_and_b64 s[52:53], s[52:53], exec
	s_mov_b64 s[50:51], -1
	s_or_b64 s[36:37], s[36:37], exec
	s_or_b64 s[46:47], s[46:47], s[52:53]
.LBB214_1066:
	s_mov_b64 s[52:53], 0
.LBB214_1067:
	s_and_b64 vcc, exec, s[52:53]
	s_cbranch_vccz .LBB214_1071
; %bb.1068:
	s_cmp_eq_u32 s54, 29
	s_cbranch_scc0 .LBB214_1070
; %bb.1069:
	global_load_dwordx2 v[3:4], v[0:1], off
	s_mov_b64 s[46:47], 0
	s_mov_b64 s[50:51], -1
	s_mov_b64 s[52:53], 0
	s_waitcnt vmcnt(0)
	v_cmp_ne_u64_e64 s[36:37], 0, v[3:4]
	s_branch .LBB214_1072
.LBB214_1070:
	s_mov_b64 s[46:47], -1
                                        ; implicit-def: $sgpr36_sgpr37
.LBB214_1071:
	s_mov_b64 s[52:53], 0
.LBB214_1072:
	s_and_b64 vcc, exec, s[52:53]
	s_cbranch_vccz .LBB214_1084
; %bb.1073:
	s_cmp_lt_i32 s54, 27
	s_cbranch_scc1 .LBB214_1076
; %bb.1074:
	s_cmp_gt_i32 s54, 27
	s_cbranch_scc0 .LBB214_1077
; %bb.1075:
	global_load_dword v3, v[0:1], off
	s_mov_b64 s[50:51], 0
	s_waitcnt vmcnt(0)
	v_cmp_ne_u32_e64 s[36:37], 0, v3
	s_branch .LBB214_1078
.LBB214_1076:
	s_mov_b64 s[50:51], -1
                                        ; implicit-def: $sgpr36_sgpr37
	s_branch .LBB214_1081
.LBB214_1077:
	s_mov_b64 s[50:51], -1
                                        ; implicit-def: $sgpr36_sgpr37
.LBB214_1078:
	s_andn2_b64 vcc, exec, s[50:51]
	s_cbranch_vccnz .LBB214_1080
; %bb.1079:
	global_load_ushort v3, v[0:1], off
	s_andn2_b64 s[36:37], s[36:37], exec
	s_waitcnt vmcnt(0)
	v_cmp_ne_u16_e32 vcc, 0, v3
	s_and_b64 s[50:51], vcc, exec
	s_or_b64 s[36:37], s[36:37], s[50:51]
.LBB214_1080:
	s_mov_b64 s[50:51], 0
.LBB214_1081:
	s_andn2_b64 vcc, exec, s[50:51]
	s_cbranch_vccnz .LBB214_1083
; %bb.1082:
	global_load_ubyte v3, v[0:1], off
	s_andn2_b64 s[36:37], s[36:37], exec
	s_waitcnt vmcnt(0)
	v_cmp_ne_u16_e32 vcc, 0, v3
	s_and_b64 s[50:51], vcc, exec
	s_or_b64 s[36:37], s[36:37], s[50:51]
.LBB214_1083:
	s_mov_b64 s[50:51], -1
.LBB214_1084:
	s_mov_b64 s[52:53], 0
.LBB214_1085:
	s_and_b64 vcc, exec, s[52:53]
	s_cbranch_vccz .LBB214_1108
; %bb.1086:
	s_cmp_gt_i32 s54, 22
	s_cbranch_scc0 .LBB214_1090
; %bb.1087:
	s_cmp_lt_i32 s54, 24
	s_cbranch_scc1 .LBB214_1091
; %bb.1088:
	s_cmp_gt_i32 s54, 24
	s_cbranch_scc0 .LBB214_1092
; %bb.1089:
	global_load_ubyte v3, v[0:1], off
	s_waitcnt vmcnt(0)
	v_cmp_ne_u16_e64 s[36:37], 0, v3
	s_branch .LBB214_1093
.LBB214_1090:
	s_mov_b64 s[48:49], -1
                                        ; implicit-def: $sgpr36_sgpr37
	s_branch .LBB214_1099
.LBB214_1091:
	s_mov_b64 s[48:49], -1
                                        ; implicit-def: $sgpr36_sgpr37
	s_branch .LBB214_1096
.LBB214_1092:
	s_mov_b64 s[48:49], -1
                                        ; implicit-def: $sgpr36_sgpr37
.LBB214_1093:
	s_andn2_b64 vcc, exec, s[48:49]
	s_cbranch_vccnz .LBB214_1095
; %bb.1094:
	global_load_ubyte v3, v[0:1], off
	s_andn2_b64 s[36:37], s[36:37], exec
	s_waitcnt vmcnt(0)
	v_and_b32_e32 v3, 0x7f, v3
	v_cmp_ne_u16_e32 vcc, 0, v3
	s_and_b64 s[48:49], vcc, exec
	s_or_b64 s[36:37], s[36:37], s[48:49]
.LBB214_1095:
	s_mov_b64 s[48:49], 0
.LBB214_1096:
	s_andn2_b64 vcc, exec, s[48:49]
	s_cbranch_vccnz .LBB214_1098
; %bb.1097:
	global_load_ubyte v3, v[0:1], off
	s_movk_i32 s48, 0x7f00
	s_brev_b32 s49, 16
	s_andn2_b64 s[36:37], s[36:37], exec
	s_waitcnt vmcnt(0)
	v_lshlrev_b32_e32 v4, 8, v3
	v_lshlrev_b32_e32 v3, 25, v3
	v_lshrrev_b32_e32 v5, 4, v3
	v_and_or_b32 v4, v4, s48, 0.5
	v_or_b32_e32 v5, 0x70000000, v5
	v_add_f32_e32 v4, -0.5, v4
	v_mul_f32_e32 v5, 0x7800000, v5
	v_cmp_gt_u32_e32 vcc, s49, v3
	v_cndmask_b32_e32 v3, v5, v4, vcc
	v_cmp_neq_f32_e32 vcc, 0, v3
	s_and_b64 s[48:49], vcc, exec
	s_or_b64 s[36:37], s[36:37], s[48:49]
.LBB214_1098:
	s_mov_b64 s[48:49], 0
	s_mov_b64 s[50:51], -1
.LBB214_1099:
	s_andn2_b64 vcc, exec, s[48:49]
	s_mov_b64 s[48:49], 0
	s_cbranch_vccnz .LBB214_1108
; %bb.1100:
	s_cmp_gt_i32 s54, 14
	s_cbranch_scc0 .LBB214_1103
; %bb.1101:
	s_cmp_eq_u32 s54, 15
	s_cbranch_scc0 .LBB214_1104
; %bb.1102:
	global_load_ushort v3, v[0:1], off
	s_mov_b64 s[46:47], 0
	s_mov_b64 s[50:51], -1
	s_waitcnt vmcnt(0)
	v_and_b32_e32 v3, 0x7fff, v3
	v_cmp_ne_u16_e64 s[36:37], 0, v3
	s_branch .LBB214_1105
.LBB214_1103:
	s_mov_b64 s[52:53], -1
                                        ; implicit-def: $sgpr36_sgpr37
	s_branch .LBB214_1106
.LBB214_1104:
	s_mov_b64 s[46:47], -1
                                        ; implicit-def: $sgpr36_sgpr37
.LBB214_1105:
	s_mov_b64 s[52:53], 0
.LBB214_1106:
	s_and_b64 vcc, exec, s[52:53]
	s_cbranch_vccz .LBB214_1108
; %bb.1107:
	s_cmp_lg_u32 s54, 11
	s_cselect_b64 s[52:53], -1, 0
	s_andn2_b64 s[46:47], s[46:47], exec
	s_and_b64 s[52:53], s[52:53], exec
	s_mov_b64 s[48:49], -1
	s_or_b64 s[46:47], s[46:47], s[52:53]
.LBB214_1108:
	s_mov_b64 s[52:53], 0
.LBB214_1109:
	s_and_b64 s[56:57], s[50:51], exec
	s_and_b64 s[50:51], s[48:49], exec
	s_andn2_b64 s[48:49], s[0:1], exec
	s_and_b64 s[46:47], s[46:47], exec
	s_and_b64 s[54:55], s[52:53], exec
	s_or_b64 s[52:53], s[48:49], s[46:47]
.LBB214_1110:
	s_or_b64 exec, exec, s[42:43]
	s_and_b64 s[46:47], s[50:51], exec
	s_andn2_b64 s[0:1], s[0:1], exec
	s_and_b64 s[50:51], s[52:53], exec
	s_and_b64 s[42:43], s[56:57], exec
	;; [unrolled: 1-line block ×3, first 2 shown]
	s_or_b64 s[0:1], s[0:1], s[50:51]
.LBB214_1111:
	s_or_b64 exec, exec, s[38:39]
	s_andn2_b64 s[30:31], s[30:31], exec
	s_and_b64 s[38:39], s[44:45], exec
	s_or_b64 s[30:31], s[30:31], s[38:39]
	s_andn2_b64 s[28:29], s[28:29], exec
	s_and_b64 s[38:39], s[40:41], exec
	s_andn2_b64 s[26:27], s[26:27], exec
	s_and_b64 s[0:1], s[0:1], exec
	s_or_b64 s[28:29], s[28:29], s[38:39]
	s_and_b64 s[42:43], s[42:43], exec
	s_and_b64 s[40:41], s[48:49], exec
	s_and_b64 s[38:39], s[46:47], exec
	s_or_b64 s[26:27], s[26:27], s[0:1]
.LBB214_1112:
	s_or_b64 exec, exec, s[34:35]
	s_andn2_b64 s[0:1], s[18:19], exec
	s_and_b64 s[18:19], s[30:31], exec
	s_or_b64 s[18:19], s[0:1], s[18:19]
	s_andn2_b64 s[0:1], s[20:21], exec
	s_and_b64 s[20:21], s[28:29], exec
	s_andn2_b64 s[22:23], s[22:23], exec
	s_and_b64 s[26:27], s[26:27], exec
	s_or_b64 s[20:21], s[0:1], s[20:21]
	s_and_b64 s[30:31], s[42:43], exec
	s_and_b64 s[0:1], s[40:41], exec
	s_and_b64 s[28:29], s[38:39], exec
	s_or_b64 s[22:23], s[22:23], s[26:27]
	s_or_b64 exec, exec, s[24:25]
	s_mov_b64 s[24:25], 0
	s_and_saveexec_b64 s[26:27], s[22:23]
	s_cbranch_execz .LBB214_354
.LBB214_1113:
	s_mov_b64 s[24:25], exec
	s_andn2_b64 s[30:31], s[30:31], exec
	s_andn2_b64 s[28:29], s[28:29], exec
	s_trap 2
	s_or_b64 exec, exec, s[26:27]
	s_and_saveexec_b64 s[22:23], s[28:29]
	s_xor_b64 s[22:23], exec, s[22:23]
	s_cbranch_execnz .LBB214_355
.LBB214_1114:
	s_or_b64 exec, exec, s[22:23]
	s_and_saveexec_b64 s[22:23], s[0:1]
	s_cbranch_execz .LBB214_1160
.LBB214_1115:
	s_sext_i32_i16 s0, s60
	s_cmp_lt_i32 s0, 5
	s_cbranch_scc1 .LBB214_1120
; %bb.1116:
	s_cmp_lt_i32 s0, 8
	s_cbranch_scc1 .LBB214_1121
; %bb.1117:
	;; [unrolled: 3-line block ×3, first 2 shown]
	s_cmp_gt_i32 s0, 9
	s_cbranch_scc0 .LBB214_1123
; %bb.1119:
	global_load_dwordx4 v[3:6], v[0:1], off
	s_mov_b64 s[26:27], 0
	s_waitcnt vmcnt(0)
	v_cmp_neq_f64_e32 vcc, 0, v[3:4]
	v_cmp_neq_f64_e64 s[0:1], 0, v[5:6]
	s_or_b64 s[0:1], vcc, s[0:1]
	s_branch .LBB214_1124
.LBB214_1120:
                                        ; implicit-def: $sgpr0_sgpr1
	s_branch .LBB214_1141
.LBB214_1121:
                                        ; implicit-def: $sgpr0_sgpr1
	s_branch .LBB214_1130
.LBB214_1122:
	s_mov_b64 s[26:27], -1
                                        ; implicit-def: $sgpr0_sgpr1
	s_branch .LBB214_1127
.LBB214_1123:
	s_mov_b64 s[26:27], -1
                                        ; implicit-def: $sgpr0_sgpr1
.LBB214_1124:
	s_andn2_b64 vcc, exec, s[26:27]
	s_cbranch_vccnz .LBB214_1126
; %bb.1125:
	global_load_dwordx2 v[3:4], v[0:1], off
	s_andn2_b64 s[0:1], s[0:1], exec
	s_waitcnt vmcnt(0)
	v_or_b32_e32 v3, v3, v4
	v_and_b32_e32 v3, 0x7fffffff, v3
	v_cmp_ne_u32_e32 vcc, 0, v3
	s_and_b64 s[26:27], vcc, exec
	s_or_b64 s[0:1], s[0:1], s[26:27]
.LBB214_1126:
	s_mov_b64 s[26:27], 0
.LBB214_1127:
	s_andn2_b64 vcc, exec, s[26:27]
	s_cbranch_vccnz .LBB214_1129
; %bb.1128:
	global_load_dword v3, v[0:1], off
	s_andn2_b64 s[0:1], s[0:1], exec
	s_waitcnt vmcnt(0)
	v_and_b32_e32 v3, 0x7fff7fff, v3
	v_cmp_ne_u32_e32 vcc, 0, v3
	s_and_b64 s[26:27], vcc, exec
	s_or_b64 s[0:1], s[0:1], s[26:27]
.LBB214_1129:
	s_cbranch_execnz .LBB214_1140
.LBB214_1130:
	s_sext_i32_i16 s0, s60
	s_cmp_lt_i32 s0, 6
	s_cbranch_scc1 .LBB214_1133
; %bb.1131:
	s_cmp_gt_i32 s0, 6
	s_cbranch_scc0 .LBB214_1134
; %bb.1132:
	global_load_dwordx2 v[3:4], v[0:1], off
	s_mov_b64 s[26:27], 0
	s_waitcnt vmcnt(0)
	v_cmp_neq_f64_e64 s[0:1], 0, v[3:4]
	s_branch .LBB214_1135
.LBB214_1133:
	s_mov_b64 s[26:27], -1
                                        ; implicit-def: $sgpr0_sgpr1
	s_branch .LBB214_1138
.LBB214_1134:
	s_mov_b64 s[26:27], -1
                                        ; implicit-def: $sgpr0_sgpr1
.LBB214_1135:
	s_andn2_b64 vcc, exec, s[26:27]
	s_cbranch_vccnz .LBB214_1137
; %bb.1136:
	global_load_dword v3, v[0:1], off
	s_andn2_b64 s[0:1], s[0:1], exec
	s_waitcnt vmcnt(0)
	v_cmp_neq_f32_e32 vcc, 0, v3
	s_and_b64 s[26:27], vcc, exec
	s_or_b64 s[0:1], s[0:1], s[26:27]
.LBB214_1137:
	s_mov_b64 s[26:27], 0
.LBB214_1138:
	s_andn2_b64 vcc, exec, s[26:27]
	s_cbranch_vccnz .LBB214_1140
; %bb.1139:
	global_load_ushort v3, v[0:1], off
	s_andn2_b64 s[0:1], s[0:1], exec
	s_waitcnt vmcnt(0)
	v_and_b32_e32 v3, 0x7fff, v3
	v_cmp_ne_u16_e32 vcc, 0, v3
	s_and_b64 s[26:27], vcc, exec
	s_or_b64 s[0:1], s[0:1], s[26:27]
.LBB214_1140:
	s_cbranch_execnz .LBB214_1159
.LBB214_1141:
	s_sext_i32_i16 s0, s60
	s_cmp_lt_i32 s0, 2
	s_cbranch_scc1 .LBB214_1145
; %bb.1142:
	s_cmp_lt_i32 s0, 3
	s_cbranch_scc1 .LBB214_1146
; %bb.1143:
	s_cmp_gt_i32 s0, 3
	s_cbranch_scc0 .LBB214_1147
; %bb.1144:
	global_load_dwordx2 v[3:4], v[0:1], off
	s_mov_b64 s[26:27], 0
	s_waitcnt vmcnt(0)
	v_cmp_ne_u64_e64 s[0:1], 0, v[3:4]
	s_branch .LBB214_1148
.LBB214_1145:
                                        ; implicit-def: $sgpr0_sgpr1
	s_branch .LBB214_1154
.LBB214_1146:
	s_mov_b64 s[26:27], -1
                                        ; implicit-def: $sgpr0_sgpr1
	s_branch .LBB214_1151
.LBB214_1147:
	s_mov_b64 s[26:27], -1
                                        ; implicit-def: $sgpr0_sgpr1
.LBB214_1148:
	s_andn2_b64 vcc, exec, s[26:27]
	s_cbranch_vccnz .LBB214_1150
; %bb.1149:
	global_load_dword v3, v[0:1], off
	s_andn2_b64 s[0:1], s[0:1], exec
	s_waitcnt vmcnt(0)
	v_cmp_ne_u32_e32 vcc, 0, v3
	s_and_b64 s[26:27], vcc, exec
	s_or_b64 s[0:1], s[0:1], s[26:27]
.LBB214_1150:
	s_mov_b64 s[26:27], 0
.LBB214_1151:
	s_andn2_b64 vcc, exec, s[26:27]
	s_cbranch_vccnz .LBB214_1153
; %bb.1152:
	global_load_ushort v3, v[0:1], off
	s_andn2_b64 s[0:1], s[0:1], exec
	s_waitcnt vmcnt(0)
	v_cmp_ne_u16_e32 vcc, 0, v3
	s_and_b64 s[26:27], vcc, exec
	s_or_b64 s[0:1], s[0:1], s[26:27]
.LBB214_1153:
	s_cbranch_execnz .LBB214_1159
.LBB214_1154:
	s_sext_i32_i16 s0, s60
	s_cmp_gt_i32 s0, 0
	s_cbranch_scc0 .LBB214_1156
; %bb.1155:
	global_load_ubyte v3, v[0:1], off
	s_mov_b64 s[26:27], 0
	s_waitcnt vmcnt(0)
	v_cmp_ne_u16_e64 s[0:1], 0, v3
	s_branch .LBB214_1157
.LBB214_1156:
	s_mov_b64 s[26:27], -1
                                        ; implicit-def: $sgpr0_sgpr1
.LBB214_1157:
	s_andn2_b64 vcc, exec, s[26:27]
	s_cbranch_vccnz .LBB214_1159
; %bb.1158:
	global_load_ubyte v0, v[0:1], off
	s_andn2_b64 s[0:1], s[0:1], exec
	s_waitcnt vmcnt(0)
	v_cmp_ne_u16_e32 vcc, 0, v0
	s_and_b64 s[26:27], vcc, exec
	s_or_b64 s[0:1], s[0:1], s[26:27]
.LBB214_1159:
	s_andn2_b64 s[26:27], s[36:37], exec
	s_and_b64 s[0:1], s[0:1], exec
	s_or_b64 s[36:37], s[26:27], s[0:1]
	s_or_b64 s[30:31], s[30:31], exec
.LBB214_1160:
	s_or_b64 exec, exec, s[22:23]
	s_mov_b64 s[38:39], 0
	s_mov_b64 s[34:35], 0
	;; [unrolled: 1-line block ×3, first 2 shown]
                                        ; implicit-def: $sgpr22_sgpr23
                                        ; implicit-def: $sgpr40
                                        ; implicit-def: $vgpr0_vgpr1
	s_and_saveexec_b64 s[0:1], s[30:31]
	s_cbranch_execz .LBB214_1168
; %bb.1161:
	v_mul_lo_u32 v0, v2, s14
	v_mov_b32_e32 v1, s3
	s_and_b32 s40, s58, 0xff
	s_cmp_lt_i32 s40, 11
	v_ashrrev_i32_e32 v3, 31, v0
	v_add_co_u32_e32 v0, vcc, s2, v0
	v_addc_co_u32_e32 v1, vcc, v1, v3, vcc
	s_cbranch_scc1 .LBB214_1171
; %bb.1162:
	s_and_b32 s38, 0xffff, s40
	s_cmp_gt_i32 s38, 25
	s_mov_b64 s[30:31], 0
	s_cbranch_scc0 .LBB214_1172
; %bb.1163:
	s_cmp_gt_i32 s38, 28
	s_cbranch_scc0 .LBB214_1173
; %bb.1164:
	s_cmp_gt_i32 s38, 43
	;; [unrolled: 3-line block ×3, first 2 shown]
	s_cbranch_scc0 .LBB214_1175
; %bb.1166:
	s_cmp_eq_u32 s38, 46
	s_cbranch_scc0 .LBB214_1176
; %bb.1167:
	global_load_dword v3, v[0:1], off
	s_mov_b64 s[26:27], 0
	s_mov_b64 s[28:29], -1
	s_waitcnt vmcnt(0)
	v_and_b32_e32 v3, 0x7fff7fff, v3
	v_cmp_ne_u32_e64 s[22:23], 0, v3
	s_branch .LBB214_1178
.LBB214_1168:
	s_or_b64 exec, exec, s[0:1]
	s_and_saveexec_b64 s[0:1], s[20:21]
	s_cbranch_execnz .LBB214_1223
.LBB214_1169:
	s_or_b64 exec, exec, s[0:1]
	s_and_saveexec_b64 s[0:1], s[38:39]
	s_xor_b64 s[0:1], exec, s[0:1]
	s_cbranch_execz .LBB214_1224
.LBB214_1170:
	global_load_ubyte v3, v[0:1], off
	s_andn2_b64 s[20:21], s[22:23], exec
	s_or_b64 s[28:29], s[28:29], exec
	s_waitcnt vmcnt(0)
	v_cmp_ne_u16_e32 vcc, 0, v3
	s_and_b64 s[22:23], vcc, exec
	s_or_b64 s[22:23], s[20:21], s[22:23]
	s_or_b64 exec, exec, s[0:1]
	s_and_saveexec_b64 s[20:21], s[34:35]
	s_cbranch_execz .LBB214_1270
	s_branch .LBB214_1225
.LBB214_1171:
	s_mov_b64 s[34:35], -1
                                        ; implicit-def: $sgpr22_sgpr23
	s_mov_b64 s[30:31], 0
	s_mov_b64 s[26:27], s[20:21]
	s_branch .LBB214_1222
.LBB214_1172:
	s_mov_b64 s[26:27], s[20:21]
                                        ; implicit-def: $sgpr22_sgpr23
	s_cbranch_execnz .LBB214_1199
	s_branch .LBB214_1221
.LBB214_1173:
	s_mov_b64 s[34:35], -1
	s_mov_b64 s[26:27], s[20:21]
                                        ; implicit-def: $sgpr22_sgpr23
	s_branch .LBB214_1186
.LBB214_1174:
	s_mov_b64 s[34:35], -1
	s_mov_b64 s[26:27], s[20:21]
                                        ; implicit-def: $sgpr22_sgpr23
	s_branch .LBB214_1181
.LBB214_1175:
	s_mov_b64 s[34:35], -1
	s_mov_b64 s[26:27], s[20:21]
	s_branch .LBB214_1177
.LBB214_1176:
	s_mov_b64 s[26:27], -1
.LBB214_1177:
                                        ; implicit-def: $sgpr22_sgpr23
.LBB214_1178:
	s_and_b64 vcc, exec, s[34:35]
	s_cbranch_vccz .LBB214_1180
; %bb.1179:
	s_cmp_lg_u32 s38, 44
	s_cselect_b64 s[34:35], -1, 0
	s_andn2_b64 s[26:27], s[26:27], exec
	s_and_b64 s[34:35], s[34:35], exec
	s_mov_b64 s[28:29], -1
	s_or_b64 s[22:23], s[22:23], exec
	s_or_b64 s[26:27], s[26:27], s[34:35]
.LBB214_1180:
	s_mov_b64 s[34:35], 0
.LBB214_1181:
	s_and_b64 vcc, exec, s[34:35]
	s_cbranch_vccz .LBB214_1185
; %bb.1182:
	s_cmp_eq_u32 s38, 29
	s_cbranch_scc0 .LBB214_1184
; %bb.1183:
	global_load_dwordx2 v[3:4], v[0:1], off
	s_mov_b64 s[26:27], 0
	s_mov_b64 s[28:29], -1
	s_mov_b64 s[34:35], 0
	s_waitcnt vmcnt(0)
	v_cmp_ne_u64_e64 s[22:23], 0, v[3:4]
	s_branch .LBB214_1186
.LBB214_1184:
	s_mov_b64 s[26:27], -1
                                        ; implicit-def: $sgpr22_sgpr23
.LBB214_1185:
	s_mov_b64 s[34:35], 0
.LBB214_1186:
	s_and_b64 vcc, exec, s[34:35]
	s_cbranch_vccz .LBB214_1198
; %bb.1187:
	s_cmp_lt_i32 s38, 27
	s_cbranch_scc1 .LBB214_1190
; %bb.1188:
	s_cmp_gt_i32 s38, 27
	s_cbranch_scc0 .LBB214_1191
; %bb.1189:
	global_load_dword v3, v[0:1], off
	s_mov_b64 s[28:29], 0
	s_waitcnt vmcnt(0)
	v_cmp_ne_u32_e64 s[22:23], 0, v3
	s_branch .LBB214_1192
.LBB214_1190:
	s_mov_b64 s[28:29], -1
                                        ; implicit-def: $sgpr22_sgpr23
	s_branch .LBB214_1195
.LBB214_1191:
	s_mov_b64 s[28:29], -1
                                        ; implicit-def: $sgpr22_sgpr23
.LBB214_1192:
	s_andn2_b64 vcc, exec, s[28:29]
	s_cbranch_vccnz .LBB214_1194
; %bb.1193:
	global_load_ushort v3, v[0:1], off
	s_andn2_b64 s[22:23], s[22:23], exec
	s_waitcnt vmcnt(0)
	v_cmp_ne_u16_e32 vcc, 0, v3
	s_and_b64 s[28:29], vcc, exec
	s_or_b64 s[22:23], s[22:23], s[28:29]
.LBB214_1194:
	s_mov_b64 s[28:29], 0
.LBB214_1195:
	s_andn2_b64 vcc, exec, s[28:29]
	s_cbranch_vccnz .LBB214_1197
; %bb.1196:
	global_load_ubyte v3, v[0:1], off
	s_andn2_b64 s[22:23], s[22:23], exec
	s_waitcnt vmcnt(0)
	v_cmp_ne_u16_e32 vcc, 0, v3
	s_and_b64 s[28:29], vcc, exec
	s_or_b64 s[22:23], s[22:23], s[28:29]
.LBB214_1197:
	s_mov_b64 s[28:29], -1
.LBB214_1198:
	s_branch .LBB214_1221
.LBB214_1199:
	s_cmp_gt_i32 s38, 22
	s_cbranch_scc0 .LBB214_1203
; %bb.1200:
	s_cmp_lt_i32 s38, 24
	s_cbranch_scc1 .LBB214_1204
; %bb.1201:
	s_cmp_gt_i32 s38, 24
	s_cbranch_scc0 .LBB214_1205
; %bb.1202:
	global_load_ubyte v3, v[0:1], off
	s_mov_b64 s[28:29], 0
	s_waitcnt vmcnt(0)
	v_cmp_ne_u16_e64 s[22:23], 0, v3
	s_branch .LBB214_1206
.LBB214_1203:
	s_mov_b64 s[30:31], -1
                                        ; implicit-def: $sgpr22_sgpr23
	s_branch .LBB214_1212
.LBB214_1204:
	s_mov_b64 s[28:29], -1
                                        ; implicit-def: $sgpr22_sgpr23
	s_branch .LBB214_1209
.LBB214_1205:
	s_mov_b64 s[28:29], -1
                                        ; implicit-def: $sgpr22_sgpr23
.LBB214_1206:
	s_andn2_b64 vcc, exec, s[28:29]
	s_cbranch_vccnz .LBB214_1208
; %bb.1207:
	global_load_ubyte v3, v[0:1], off
	s_andn2_b64 s[22:23], s[22:23], exec
	s_waitcnt vmcnt(0)
	v_and_b32_e32 v3, 0x7f, v3
	v_cmp_ne_u16_e32 vcc, 0, v3
	s_and_b64 s[28:29], vcc, exec
	s_or_b64 s[22:23], s[22:23], s[28:29]
.LBB214_1208:
	s_mov_b64 s[28:29], 0
.LBB214_1209:
	s_andn2_b64 vcc, exec, s[28:29]
	s_cbranch_vccnz .LBB214_1211
; %bb.1210:
	global_load_ubyte v3, v[0:1], off
	s_movk_i32 s28, 0x7f00
	s_brev_b32 s29, 16
	s_andn2_b64 s[22:23], s[22:23], exec
	s_waitcnt vmcnt(0)
	v_lshlrev_b32_e32 v4, 8, v3
	v_lshlrev_b32_e32 v3, 25, v3
	v_lshrrev_b32_e32 v5, 4, v3
	v_and_or_b32 v4, v4, s28, 0.5
	v_or_b32_e32 v5, 0x70000000, v5
	v_add_f32_e32 v4, -0.5, v4
	v_mul_f32_e32 v5, 0x7800000, v5
	v_cmp_gt_u32_e32 vcc, s29, v3
	v_cndmask_b32_e32 v3, v5, v4, vcc
	v_cmp_neq_f32_e32 vcc, 0, v3
	s_and_b64 s[28:29], vcc, exec
	s_or_b64 s[22:23], s[22:23], s[28:29]
.LBB214_1211:
	s_mov_b64 s[28:29], -1
.LBB214_1212:
	s_andn2_b64 vcc, exec, s[30:31]
	s_mov_b64 s[30:31], 0
	s_cbranch_vccnz .LBB214_1221
; %bb.1213:
	s_cmp_gt_i32 s38, 14
	s_cbranch_scc0 .LBB214_1216
; %bb.1214:
	s_cmp_eq_u32 s38, 15
	s_cbranch_scc0 .LBB214_1217
; %bb.1215:
	global_load_ushort v3, v[0:1], off
	s_mov_b64 s[26:27], 0
	s_mov_b64 s[28:29], -1
	s_waitcnt vmcnt(0)
	v_and_b32_e32 v3, 0x7fff, v3
	v_cmp_ne_u16_e64 s[22:23], 0, v3
	s_branch .LBB214_1218
.LBB214_1216:
	s_mov_b64 s[34:35], -1
                                        ; implicit-def: $sgpr22_sgpr23
	s_branch .LBB214_1219
.LBB214_1217:
	s_mov_b64 s[26:27], -1
                                        ; implicit-def: $sgpr22_sgpr23
.LBB214_1218:
	s_mov_b64 s[34:35], 0
.LBB214_1219:
	s_and_b64 vcc, exec, s[34:35]
	s_cbranch_vccz .LBB214_1221
; %bb.1220:
	s_cmp_lg_u32 s38, 11
	s_cselect_b64 s[34:35], -1, 0
	s_andn2_b64 s[26:27], s[26:27], exec
	s_and_b64 s[34:35], s[34:35], exec
	s_mov_b64 s[30:31], -1
	s_or_b64 s[26:27], s[26:27], s[34:35]
.LBB214_1221:
	s_mov_b64 s[34:35], 0
.LBB214_1222:
	s_andn2_b64 s[20:21], s[20:21], exec
	s_and_b64 s[26:27], s[26:27], exec
	s_and_b64 s[28:29], s[28:29], exec
	;; [unrolled: 1-line block ×4, first 2 shown]
	s_or_b64 s[20:21], s[20:21], s[26:27]
	s_or_b64 exec, exec, s[0:1]
	s_and_saveexec_b64 s[0:1], s[20:21]
	s_cbranch_execz .LBB214_1169
.LBB214_1223:
	s_or_b64 s[24:25], s[24:25], exec
	s_andn2_b64 s[28:29], s[28:29], exec
	s_andn2_b64 s[38:39], s[38:39], exec
	s_trap 2
	s_or_b64 exec, exec, s[0:1]
	s_and_saveexec_b64 s[0:1], s[38:39]
	s_xor_b64 s[0:1], exec, s[0:1]
	s_cbranch_execnz .LBB214_1170
.LBB214_1224:
	s_or_b64 exec, exec, s[0:1]
	s_and_saveexec_b64 s[20:21], s[34:35]
	s_cbranch_execz .LBB214_1270
.LBB214_1225:
	s_sext_i32_i16 s0, s40
	s_cmp_lt_i32 s0, 5
	s_cbranch_scc1 .LBB214_1230
; %bb.1226:
	s_cmp_lt_i32 s0, 8
	s_cbranch_scc1 .LBB214_1231
; %bb.1227:
	;; [unrolled: 3-line block ×3, first 2 shown]
	s_cmp_gt_i32 s0, 9
	s_cbranch_scc0 .LBB214_1233
; %bb.1229:
	global_load_dwordx4 v[3:6], v[0:1], off
	s_mov_b64 s[26:27], 0
	s_waitcnt vmcnt(0)
	v_cmp_neq_f64_e32 vcc, 0, v[3:4]
	v_cmp_neq_f64_e64 s[0:1], 0, v[5:6]
	s_or_b64 s[0:1], vcc, s[0:1]
	s_branch .LBB214_1234
.LBB214_1230:
                                        ; implicit-def: $sgpr0_sgpr1
	s_branch .LBB214_1251
.LBB214_1231:
                                        ; implicit-def: $sgpr0_sgpr1
	s_branch .LBB214_1240
.LBB214_1232:
	s_mov_b64 s[26:27], -1
                                        ; implicit-def: $sgpr0_sgpr1
	s_branch .LBB214_1237
.LBB214_1233:
	s_mov_b64 s[26:27], -1
                                        ; implicit-def: $sgpr0_sgpr1
.LBB214_1234:
	s_andn2_b64 vcc, exec, s[26:27]
	s_cbranch_vccnz .LBB214_1236
; %bb.1235:
	global_load_dwordx2 v[3:4], v[0:1], off
	s_andn2_b64 s[0:1], s[0:1], exec
	s_waitcnt vmcnt(0)
	v_or_b32_e32 v3, v3, v4
	v_and_b32_e32 v3, 0x7fffffff, v3
	v_cmp_ne_u32_e32 vcc, 0, v3
	s_and_b64 s[26:27], vcc, exec
	s_or_b64 s[0:1], s[0:1], s[26:27]
.LBB214_1236:
	s_mov_b64 s[26:27], 0
.LBB214_1237:
	s_andn2_b64 vcc, exec, s[26:27]
	s_cbranch_vccnz .LBB214_1239
; %bb.1238:
	global_load_dword v3, v[0:1], off
	s_andn2_b64 s[0:1], s[0:1], exec
	s_waitcnt vmcnt(0)
	v_and_b32_e32 v3, 0x7fff7fff, v3
	v_cmp_ne_u32_e32 vcc, 0, v3
	s_and_b64 s[26:27], vcc, exec
	s_or_b64 s[0:1], s[0:1], s[26:27]
.LBB214_1239:
	s_cbranch_execnz .LBB214_1250
.LBB214_1240:
	s_sext_i32_i16 s0, s40
	s_cmp_lt_i32 s0, 6
	s_cbranch_scc1 .LBB214_1243
; %bb.1241:
	s_cmp_gt_i32 s0, 6
	s_cbranch_scc0 .LBB214_1244
; %bb.1242:
	global_load_dwordx2 v[3:4], v[0:1], off
	s_mov_b64 s[26:27], 0
	s_waitcnt vmcnt(0)
	v_cmp_neq_f64_e64 s[0:1], 0, v[3:4]
	s_branch .LBB214_1245
.LBB214_1243:
	s_mov_b64 s[26:27], -1
                                        ; implicit-def: $sgpr0_sgpr1
	s_branch .LBB214_1248
.LBB214_1244:
	s_mov_b64 s[26:27], -1
                                        ; implicit-def: $sgpr0_sgpr1
.LBB214_1245:
	s_andn2_b64 vcc, exec, s[26:27]
	s_cbranch_vccnz .LBB214_1247
; %bb.1246:
	global_load_dword v3, v[0:1], off
	s_andn2_b64 s[0:1], s[0:1], exec
	s_waitcnt vmcnt(0)
	v_cmp_neq_f32_e32 vcc, 0, v3
	s_and_b64 s[26:27], vcc, exec
	s_or_b64 s[0:1], s[0:1], s[26:27]
.LBB214_1247:
	s_mov_b64 s[26:27], 0
.LBB214_1248:
	s_andn2_b64 vcc, exec, s[26:27]
	s_cbranch_vccnz .LBB214_1250
; %bb.1249:
	global_load_ushort v3, v[0:1], off
	s_andn2_b64 s[0:1], s[0:1], exec
	s_waitcnt vmcnt(0)
	v_and_b32_e32 v3, 0x7fff, v3
	v_cmp_ne_u16_e32 vcc, 0, v3
	s_and_b64 s[26:27], vcc, exec
	s_or_b64 s[0:1], s[0:1], s[26:27]
.LBB214_1250:
	s_cbranch_execnz .LBB214_1269
.LBB214_1251:
	s_sext_i32_i16 s0, s40
	s_cmp_lt_i32 s0, 2
	s_cbranch_scc1 .LBB214_1255
; %bb.1252:
	s_cmp_lt_i32 s0, 3
	s_cbranch_scc1 .LBB214_1256
; %bb.1253:
	s_cmp_gt_i32 s0, 3
	s_cbranch_scc0 .LBB214_1257
; %bb.1254:
	global_load_dwordx2 v[3:4], v[0:1], off
	s_mov_b64 s[26:27], 0
	s_waitcnt vmcnt(0)
	v_cmp_ne_u64_e64 s[0:1], 0, v[3:4]
	s_branch .LBB214_1258
.LBB214_1255:
                                        ; implicit-def: $sgpr0_sgpr1
	s_branch .LBB214_1264
.LBB214_1256:
	s_mov_b64 s[26:27], -1
                                        ; implicit-def: $sgpr0_sgpr1
	s_branch .LBB214_1261
.LBB214_1257:
	s_mov_b64 s[26:27], -1
                                        ; implicit-def: $sgpr0_sgpr1
.LBB214_1258:
	s_andn2_b64 vcc, exec, s[26:27]
	s_cbranch_vccnz .LBB214_1260
; %bb.1259:
	global_load_dword v3, v[0:1], off
	s_andn2_b64 s[0:1], s[0:1], exec
	s_waitcnt vmcnt(0)
	v_cmp_ne_u32_e32 vcc, 0, v3
	s_and_b64 s[26:27], vcc, exec
	s_or_b64 s[0:1], s[0:1], s[26:27]
.LBB214_1260:
	s_mov_b64 s[26:27], 0
.LBB214_1261:
	s_andn2_b64 vcc, exec, s[26:27]
	s_cbranch_vccnz .LBB214_1263
; %bb.1262:
	global_load_ushort v3, v[0:1], off
	s_andn2_b64 s[0:1], s[0:1], exec
	s_waitcnt vmcnt(0)
	v_cmp_ne_u16_e32 vcc, 0, v3
	s_and_b64 s[26:27], vcc, exec
	s_or_b64 s[0:1], s[0:1], s[26:27]
.LBB214_1263:
	s_cbranch_execnz .LBB214_1269
.LBB214_1264:
	s_sext_i32_i16 s0, s40
	s_cmp_gt_i32 s0, 0
	s_cbranch_scc0 .LBB214_1266
; %bb.1265:
	global_load_ubyte v3, v[0:1], off
	s_mov_b64 s[26:27], 0
	s_waitcnt vmcnt(0)
	v_cmp_ne_u16_e64 s[0:1], 0, v3
	s_branch .LBB214_1267
.LBB214_1266:
	s_mov_b64 s[26:27], -1
                                        ; implicit-def: $sgpr0_sgpr1
.LBB214_1267:
	s_andn2_b64 vcc, exec, s[26:27]
	s_cbranch_vccnz .LBB214_1269
; %bb.1268:
	global_load_ubyte v0, v[0:1], off
	s_andn2_b64 s[0:1], s[0:1], exec
	s_waitcnt vmcnt(0)
	v_cmp_ne_u16_e32 vcc, 0, v0
	s_and_b64 s[26:27], vcc, exec
	s_or_b64 s[0:1], s[0:1], s[26:27]
.LBB214_1269:
	s_andn2_b64 s[22:23], s[22:23], exec
	s_and_b64 s[0:1], s[0:1], exec
	s_or_b64 s[22:23], s[22:23], s[0:1]
	s_or_b64 s[28:29], s[28:29], exec
.LBB214_1270:
	s_or_b64 exec, exec, s[20:21]
	s_mov_b64 s[34:35], 0
	s_mov_b64 s[30:31], 0
                                        ; implicit-def: $sgpr20_sgpr21
                                        ; implicit-def: $sgpr38
                                        ; implicit-def: $vgpr0_vgpr1
	s_and_saveexec_b64 s[26:27], s[28:29]
	s_cbranch_execz .LBB214_1345
; %bb.1271:
	v_mul_lo_u32 v0, v2, s12
	s_xor_b64 s[0:1], s[36:37], s[22:23]
	v_mov_b32_e32 v1, s9
	s_xor_b64 s[20:21], s[16:17], s[0:1]
	v_ashrrev_i32_e32 v2, 31, v0
	s_and_b32 s38, s33, 0xff
	v_add_co_u32_e32 v0, vcc, s8, v0
	s_cmp_lt_i32 s38, 11
	v_addc_co_u32_e32 v1, vcc, v1, v2, vcc
	s_cbranch_scc1 .LBB214_1348
; %bb.1272:
	s_and_b32 s34, 0xffff, s38
	s_mov_b64 s[22:23], -1
	s_cmp_gt_i32 s34, 25
	s_mov_b64 s[0:1], s[18:19]
	s_cbranch_scc0 .LBB214_1305
; %bb.1273:
	s_mov_b64 s[16:17], -1
	s_cmp_gt_i32 s34, 28
	s_mov_b64 s[0:1], s[18:19]
	s_cbranch_scc0 .LBB214_1289
; %bb.1274:
	s_cmp_gt_i32 s34, 43
	s_mov_b64 s[0:1], s[18:19]
	s_cbranch_scc0 .LBB214_1285
; %bb.1275:
	;; [unrolled: 4-line block ×3, first 2 shown]
	s_cmp_eq_u32 s34, 46
	s_mov_b64 s[0:1], -1
	s_cbranch_scc0 .LBB214_1278
; %bb.1277:
	v_cndmask_b32_e64 v2, 0, 1.0, s[20:21]
	v_bfe_u32 v3, v2, 16, 1
	s_movk_i32 s0, 0x7fff
	v_add3_u32 v2, v2, v3, s0
	v_lshrrev_b32_e32 v2, 16, v2
	global_store_dword v[0:1], v2, off
	s_mov_b64 s[0:1], 0
.LBB214_1278:
	s_mov_b64 s[16:17], 0
.LBB214_1279:
	s_and_b64 vcc, exec, s[16:17]
	s_cbranch_vccz .LBB214_1284
; %bb.1280:
	s_cmp_eq_u32 s34, 44
	s_mov_b64 s[0:1], -1
	s_cbranch_scc0 .LBB214_1284
; %bb.1281:
	v_cndmask_b32_e64 v3, 0, 1.0, s[20:21]
	v_lshrrev_b32_e32 v2, 23, v3
	s_movk_i32 s0, 0xff
	v_cmp_ne_u32_e32 vcc, s0, v2
	v_mov_b32_e32 v4, 0xff
	s_and_saveexec_b64 s[16:17], vcc
; %bb.1282:
	s_mov_b32 s0, 0x3fffff
	v_and_b32_e32 v4, 0x400000, v3
	v_and_or_b32 v3, v3, s0, v2
	v_cmp_ne_u32_e32 vcc, 0, v4
	v_cmp_ne_u32_e64 s[0:1], 0, v3
	s_and_b64 s[0:1], vcc, s[0:1]
	v_cndmask_b32_e64 v3, 0, 1, s[0:1]
	v_add_u32_e32 v4, v2, v3
; %bb.1283:
	s_or_b64 exec, exec, s[16:17]
	s_mov_b64 s[0:1], 0
	global_store_byte v[0:1], v4, off
.LBB214_1284:
	s_mov_b64 s[16:17], 0
.LBB214_1285:
	s_and_b64 vcc, exec, s[16:17]
	s_cbranch_vccz .LBB214_1288
; %bb.1286:
	s_cmp_eq_u32 s34, 29
	s_mov_b64 s[0:1], -1
	s_cbranch_scc0 .LBB214_1288
; %bb.1287:
	s_mov_b32 s0, 0
	v_cndmask_b32_e64 v2, 0, 1, s[20:21]
	v_mov_b32_e32 v3, s0
	global_store_dwordx2 v[0:1], v[2:3], off
	s_mov_b64 s[0:1], 0
.LBB214_1288:
	s_mov_b64 s[16:17], 0
.LBB214_1289:
	s_and_b64 vcc, exec, s[16:17]
	s_cbranch_vccz .LBB214_1304
; %bb.1290:
	s_cmp_lt_i32 s34, 27
	s_mov_b64 s[16:17], -1
	s_cbranch_scc1 .LBB214_1296
; %bb.1291:
	s_cmp_gt_i32 s34, 27
	v_cndmask_b32_e64 v2, 0, 1, s[20:21]
	s_cbranch_scc0 .LBB214_1293
; %bb.1292:
	s_mov_b64 s[16:17], 0
	global_store_dword v[0:1], v2, off
.LBB214_1293:
	s_andn2_b64 vcc, exec, s[16:17]
	s_cbranch_vccnz .LBB214_1295
; %bb.1294:
	global_store_short v[0:1], v2, off
.LBB214_1295:
	s_mov_b64 s[16:17], 0
.LBB214_1296:
	s_andn2_b64 vcc, exec, s[16:17]
	s_cbranch_vccnz .LBB214_1304
; %bb.1297:
	v_cndmask_b32_e64 v3, 0, 1.0, s[20:21]
	s_mov_b32 s16, 0x43800000
	v_cmp_gt_u32_e32 vcc, s16, v3
	v_mov_b32_e32 v4, 0x80
	s_and_saveexec_b64 s[16:17], vcc
	s_cbranch_execz .LBB214_1303
; %bb.1298:
	s_mov_b32 s22, 0x3bffffff
	v_cmp_lt_u32_e32 vcc, s22, v3
	s_mov_b64 s[22:23], 0
                                        ; implicit-def: $vgpr2
	s_and_saveexec_b64 s[28:29], vcc
	s_xor_b64 s[28:29], exec, s[28:29]
	s_cbranch_execz .LBB214_1405
; %bb.1299:
	v_bfe_u32 v2, v3, 20, 1
	s_mov_b32 s30, 0x487ffff
	v_add3_u32 v2, v3, v2, s30
	s_mov_b64 s[22:23], exec
	v_lshrrev_b32_e32 v2, 20, v2
                                        ; implicit-def: $vgpr3
	s_andn2_saveexec_b64 s[28:29], s[28:29]
	s_cbranch_execnz .LBB214_1406
.LBB214_1300:
	s_or_b64 exec, exec, s[28:29]
	v_mov_b32_e32 v4, 0
	s_and_saveexec_b64 s[28:29], s[22:23]
.LBB214_1301:
	v_mov_b32_e32 v4, v2
.LBB214_1302:
	s_or_b64 exec, exec, s[28:29]
.LBB214_1303:
	s_or_b64 exec, exec, s[16:17]
	global_store_byte v[0:1], v4, off
.LBB214_1304:
	s_mov_b64 s[22:23], 0
.LBB214_1305:
	s_mov_b64 s[16:17], 0
	s_and_b64 vcc, exec, s[22:23]
	s_cbranch_vccz .LBB214_1349
; %bb.1306:
	s_cmp_gt_i32 s34, 22
	s_mov_b64 s[22:23], -1
	s_cbranch_scc0 .LBB214_1338
; %bb.1307:
	s_cmp_lt_i32 s34, 24
	s_cbranch_scc1 .LBB214_1327
; %bb.1308:
	s_cmp_gt_i32 s34, 24
	s_cbranch_scc0 .LBB214_1316
; %bb.1309:
	v_cndmask_b32_e64 v3, 0, 1.0, s[20:21]
	s_mov_b32 s22, 0x47800000
	v_cmp_gt_u32_e32 vcc, s22, v3
	v_mov_b32_e32 v4, 0x80
	s_and_saveexec_b64 s[22:23], vcc
	s_cbranch_execz .LBB214_1315
; %bb.1310:
	s_mov_b32 s28, 0x37ffffff
	v_cmp_lt_u32_e32 vcc, s28, v3
	s_mov_b64 s[28:29], 0
                                        ; implicit-def: $vgpr2
	s_and_saveexec_b64 s[30:31], vcc
	s_xor_b64 s[30:31], exec, s[30:31]
	s_cbranch_execz .LBB214_1512
; %bb.1311:
	v_bfe_u32 v2, v3, 21, 1
	s_mov_b32 s35, 0x88fffff
	v_add3_u32 v2, v3, v2, s35
	s_mov_b64 s[28:29], exec
	v_lshrrev_b32_e32 v2, 21, v2
                                        ; implicit-def: $vgpr3
	s_andn2_saveexec_b64 s[30:31], s[30:31]
	s_cbranch_execnz .LBB214_1513
.LBB214_1312:
	s_or_b64 exec, exec, s[30:31]
	v_mov_b32_e32 v4, 0
	s_and_saveexec_b64 s[30:31], s[28:29]
.LBB214_1313:
	v_mov_b32_e32 v4, v2
.LBB214_1314:
	s_or_b64 exec, exec, s[30:31]
.LBB214_1315:
	s_or_b64 exec, exec, s[22:23]
	s_mov_b64 s[22:23], 0
	global_store_byte v[0:1], v4, off
.LBB214_1316:
	s_and_b64 vcc, exec, s[22:23]
	s_cbranch_vccz .LBB214_1326
; %bb.1317:
	v_cndmask_b32_e64 v2, 0, 1.0, s[20:21]
	s_mov_b32 s22, 0x43f00000
	v_cmp_gt_u32_e32 vcc, s22, v2
                                        ; implicit-def: $vgpr3
	s_and_saveexec_b64 s[22:23], vcc
	s_xor_b64 s[22:23], exec, s[22:23]
	s_cbranch_execz .LBB214_1323
; %bb.1318:
	s_mov_b32 s28, 0x3c7fffff
	v_cmp_lt_u32_e32 vcc, s28, v2
                                        ; implicit-def: $vgpr3
	s_and_saveexec_b64 s[28:29], vcc
	s_xor_b64 s[28:29], exec, s[28:29]
; %bb.1319:
	v_bfe_u32 v3, v2, 20, 1
	s_mov_b32 s30, 0x407ffff
	v_add3_u32 v2, v2, v3, s30
	v_lshrrev_b32_e32 v3, 20, v2
	v_and_b32_e32 v2, 0xff00000, v2
	s_mov_b32 s30, 0x7f00000
	v_mov_b32_e32 v4, 0x7e
	v_cmp_ne_u32_e32 vcc, s30, v2
	v_cndmask_b32_e32 v3, v4, v3, vcc
                                        ; implicit-def: $vgpr2
; %bb.1320:
	s_andn2_saveexec_b64 s[28:29], s[28:29]
; %bb.1321:
	v_add_f32_e32 v3, 0x46800000, v2
; %bb.1322:
	s_or_b64 exec, exec, s[28:29]
                                        ; implicit-def: $vgpr2
.LBB214_1323:
	s_andn2_saveexec_b64 s[22:23], s[22:23]
; %bb.1324:
	s_mov_b32 s28, 0x7f800000
	v_mov_b32_e32 v3, 0x7e
	v_mov_b32_e32 v4, 0x7f
	v_cmp_lt_u32_e32 vcc, s28, v2
	v_cndmask_b32_e32 v3, v3, v4, vcc
; %bb.1325:
	s_or_b64 exec, exec, s[22:23]
	global_store_byte v[0:1], v3, off
.LBB214_1326:
	s_mov_b64 s[22:23], 0
.LBB214_1327:
	s_andn2_b64 vcc, exec, s[22:23]
	s_cbranch_vccnz .LBB214_1337
; %bb.1328:
	v_cndmask_b32_e64 v2, 0, 1.0, s[20:21]
	s_mov_b32 s22, 0x47800000
	v_cmp_gt_u32_e32 vcc, s22, v2
                                        ; implicit-def: $vgpr3
	s_and_saveexec_b64 s[22:23], vcc
	s_xor_b64 s[22:23], exec, s[22:23]
	s_cbranch_execz .LBB214_1334
; %bb.1329:
	s_mov_b32 s28, 0x387fffff
	v_cmp_lt_u32_e32 vcc, s28, v2
                                        ; implicit-def: $vgpr3
	s_and_saveexec_b64 s[28:29], vcc
	s_xor_b64 s[28:29], exec, s[28:29]
; %bb.1330:
	v_bfe_u32 v3, v2, 21, 1
	s_mov_b32 s30, 0x80fffff
	v_add3_u32 v2, v2, v3, s30
	v_lshrrev_b32_e32 v3, 21, v2
                                        ; implicit-def: $vgpr2
; %bb.1331:
	s_andn2_saveexec_b64 s[28:29], s[28:29]
; %bb.1332:
	v_add_f32_e32 v3, 0x43000000, v2
; %bb.1333:
	s_or_b64 exec, exec, s[28:29]
                                        ; implicit-def: $vgpr2
.LBB214_1334:
	s_andn2_saveexec_b64 s[22:23], s[22:23]
; %bb.1335:
	s_mov_b32 s28, 0x7f800000
	v_mov_b32_e32 v3, 0x7c
	v_mov_b32_e32 v4, 0x7f
	v_cmp_lt_u32_e32 vcc, s28, v2
	v_cndmask_b32_e32 v3, v3, v4, vcc
; %bb.1336:
	s_or_b64 exec, exec, s[22:23]
	global_store_byte v[0:1], v3, off
.LBB214_1337:
	s_mov_b64 s[22:23], 0
.LBB214_1338:
	s_andn2_b64 vcc, exec, s[22:23]
	s_mov_b64 s[22:23], 0
	s_cbranch_vccnz .LBB214_1350
; %bb.1339:
	s_cmp_gt_i32 s34, 14
	s_mov_b64 s[28:29], -1
	s_cbranch_scc0 .LBB214_1343
; %bb.1340:
	s_cmp_eq_u32 s34, 15
	s_mov_b64 s[0:1], -1
	s_cbranch_scc0 .LBB214_1342
; %bb.1341:
	v_cndmask_b32_e64 v2, 0, 1.0, s[20:21]
	v_bfe_u32 v3, v2, 16, 1
	s_movk_i32 s0, 0x7fff
	v_add3_u32 v2, v2, v3, s0
	global_store_short_d16_hi v[0:1], v2, off
	s_mov_b64 s[0:1], 0
.LBB214_1342:
	s_mov_b64 s[28:29], 0
.LBB214_1343:
	s_and_b64 vcc, exec, s[28:29]
	s_cbranch_vccz .LBB214_1350
; %bb.1344:
	s_cmp_lg_u32 s34, 11
	s_cselect_b64 s[28:29], -1, 0
	s_andn2_b64 s[0:1], s[0:1], exec
	s_and_b64 s[28:29], s[28:29], exec
	s_mov_b64 s[22:23], -1
	s_or_b64 s[0:1], s[0:1], s[28:29]
	s_branch .LBB214_1350
.LBB214_1345:
	s_or_b64 exec, exec, s[26:27]
	s_and_saveexec_b64 s[0:1], s[18:19]
	s_cbranch_execnz .LBB214_1351
.LBB214_1346:
	s_or_b64 exec, exec, s[0:1]
	s_and_saveexec_b64 s[0:1], s[34:35]
	s_xor_b64 s[0:1], exec, s[0:1]
	s_cbranch_execz .LBB214_1352
.LBB214_1347:
	v_cndmask_b32_e64 v2, 0, 1, s[20:21]
	global_store_byte v[0:1], v2, off
	s_or_b64 exec, exec, s[0:1]
	s_and_saveexec_b64 s[0:1], s[30:31]
	s_xor_b64 s[0:1], exec, s[0:1]
	s_cbranch_execz .LBB214_1390
	s_branch .LBB214_1353
.LBB214_1348:
	s_mov_b64 s[22:23], 0
	s_mov_b64 s[16:17], -1
	s_mov_b64 s[0:1], s[18:19]
	s_branch .LBB214_1350
.LBB214_1349:
	s_mov_b64 s[22:23], 0
.LBB214_1350:
	s_and_b64 s[30:31], s[16:17], exec
	s_andn2_b64 s[16:17], s[18:19], exec
	s_and_b64 s[0:1], s[0:1], exec
	s_and_b64 s[34:35], s[22:23], exec
	s_or_b64 s[18:19], s[16:17], s[0:1]
	s_or_b64 exec, exec, s[26:27]
	s_and_saveexec_b64 s[0:1], s[18:19]
	s_cbranch_execz .LBB214_1346
.LBB214_1351:
	s_or_b64 s[24:25], s[24:25], exec
	s_andn2_b64 s[34:35], s[34:35], exec
	s_trap 2
	s_or_b64 exec, exec, s[0:1]
	s_and_saveexec_b64 s[0:1], s[34:35]
	s_xor_b64 s[0:1], exec, s[0:1]
	s_cbranch_execnz .LBB214_1347
.LBB214_1352:
	s_or_b64 exec, exec, s[0:1]
	s_and_saveexec_b64 s[0:1], s[30:31]
	s_xor_b64 s[0:1], exec, s[0:1]
	s_cbranch_execz .LBB214_1390
.LBB214_1353:
	s_sext_i32_i16 s18, s38
	s_cmp_lt_i32 s18, 5
	s_mov_b64 s[16:17], -1
	s_cbranch_scc1 .LBB214_1374
; %bb.1354:
	s_cmp_lt_i32 s18, 8
	s_cbranch_scc1 .LBB214_1364
; %bb.1355:
	s_cmp_lt_i32 s18, 9
	s_cbranch_scc1 .LBB214_1361
; %bb.1356:
	s_cmp_gt_i32 s18, 9
	s_cbranch_scc0 .LBB214_1358
; %bb.1357:
	v_cndmask_b32_e64 v2, 0, 1, s[20:21]
	v_cvt_f64_u32_e32 v[2:3], v2
	v_mov_b32_e32 v4, 0
	v_mov_b32_e32 v5, v4
	s_mov_b64 s[16:17], 0
	global_store_dwordx4 v[0:1], v[2:5], off
.LBB214_1358:
	s_andn2_b64 vcc, exec, s[16:17]
	s_cbranch_vccnz .LBB214_1360
; %bb.1359:
	v_cndmask_b32_e64 v2, 0, 1.0, s[20:21]
	v_mov_b32_e32 v3, 0
	global_store_dwordx2 v[0:1], v[2:3], off
.LBB214_1360:
	s_mov_b64 s[16:17], 0
.LBB214_1361:
	s_andn2_b64 vcc, exec, s[16:17]
	s_cbranch_vccnz .LBB214_1363
; %bb.1362:
	v_cndmask_b32_e64 v2, 0, 1.0, s[20:21]
	v_cvt_f16_f32_e32 v2, v2
	global_store_dword v[0:1], v2, off
.LBB214_1363:
	s_mov_b64 s[16:17], 0
.LBB214_1364:
	s_andn2_b64 vcc, exec, s[16:17]
	s_cbranch_vccnz .LBB214_1373
; %bb.1365:
	s_sext_i32_i16 s18, s38
	s_cmp_lt_i32 s18, 6
	s_mov_b64 s[16:17], -1
	s_cbranch_scc1 .LBB214_1371
; %bb.1366:
	s_cmp_gt_i32 s18, 6
	s_cbranch_scc0 .LBB214_1368
; %bb.1367:
	v_cndmask_b32_e64 v2, 0, 1, s[20:21]
	v_cvt_f64_u32_e32 v[2:3], v2
	s_mov_b64 s[16:17], 0
	global_store_dwordx2 v[0:1], v[2:3], off
.LBB214_1368:
	s_andn2_b64 vcc, exec, s[16:17]
	s_cbranch_vccnz .LBB214_1370
; %bb.1369:
	v_cndmask_b32_e64 v2, 0, 1.0, s[20:21]
	global_store_dword v[0:1], v2, off
.LBB214_1370:
	s_mov_b64 s[16:17], 0
.LBB214_1371:
	s_andn2_b64 vcc, exec, s[16:17]
	s_cbranch_vccnz .LBB214_1373
; %bb.1372:
	v_cndmask_b32_e64 v2, 0, 1.0, s[20:21]
	v_cvt_f16_f32_e32 v2, v2
	global_store_short v[0:1], v2, off
.LBB214_1373:
	s_mov_b64 s[16:17], 0
.LBB214_1374:
	s_andn2_b64 vcc, exec, s[16:17]
	s_cbranch_vccnz .LBB214_1390
; %bb.1375:
	s_sext_i32_i16 s18, s38
	s_cmp_lt_i32 s18, 2
	s_mov_b64 s[16:17], -1
	s_cbranch_scc1 .LBB214_1385
; %bb.1376:
	s_cmp_lt_i32 s18, 3
	s_cbranch_scc1 .LBB214_1382
; %bb.1377:
	s_cmp_gt_i32 s18, 3
	s_cbranch_scc0 .LBB214_1379
; %bb.1378:
	s_mov_b32 s16, 0
	v_cndmask_b32_e64 v2, 0, 1, s[20:21]
	v_mov_b32_e32 v3, s16
	s_mov_b64 s[16:17], 0
	global_store_dwordx2 v[0:1], v[2:3], off
.LBB214_1379:
	s_andn2_b64 vcc, exec, s[16:17]
	s_cbranch_vccnz .LBB214_1381
; %bb.1380:
	v_cndmask_b32_e64 v2, 0, 1, s[20:21]
	global_store_dword v[0:1], v2, off
.LBB214_1381:
	s_mov_b64 s[16:17], 0
.LBB214_1382:
	s_andn2_b64 vcc, exec, s[16:17]
	s_cbranch_vccnz .LBB214_1384
; %bb.1383:
	v_cndmask_b32_e64 v2, 0, 1, s[20:21]
	global_store_short v[0:1], v2, off
.LBB214_1384:
	s_mov_b64 s[16:17], 0
.LBB214_1385:
	s_andn2_b64 vcc, exec, s[16:17]
	s_cbranch_vccnz .LBB214_1390
; %bb.1386:
	s_sext_i32_i16 s18, s38
	s_mov_b64 s[16:17], -1
	s_cmp_gt_i32 s18, 0
	v_cndmask_b32_e64 v2, 0, 1, s[20:21]
	s_cbranch_scc0 .LBB214_1388
; %bb.1387:
	s_mov_b64 s[16:17], 0
	global_store_byte v[0:1], v2, off
.LBB214_1388:
	s_andn2_b64 vcc, exec, s[16:17]
	s_cbranch_vccnz .LBB214_1390
; %bb.1389:
	global_store_byte v[0:1], v2, off
.LBB214_1390:
	s_or_b64 exec, exec, s[0:1]
	s_and_b64 s[16:17], s[24:25], exec
                                        ; implicit-def: $vgpr2
.LBB214_1391:
	s_or_saveexec_b64 s[6:7], s[6:7]
	s_mov_b64 s[0:1], 0
                                        ; implicit-def: $sgpr20_sgpr21
                                        ; implicit-def: $sgpr38
                                        ; implicit-def: $vgpr0_vgpr1
	s_xor_b64 exec, exec, s[6:7]
	s_cbranch_execz .LBB214_2717
; %bb.1392:
	v_mul_lo_u32 v3, s13, v2
	v_mov_b32_e32 v1, s11
	s_and_b32 s38, s59, 0xff
	s_cmp_lt_i32 s38, 11
	v_ashrrev_i32_e32 v4, 31, v3
	v_add_co_u32_e32 v0, vcc, s10, v3
	v_addc_co_u32_e32 v1, vcc, v1, v4, vcc
	s_cbranch_scc1 .LBB214_1399
; %bb.1393:
	s_and_b32 s24, 0xffff, s38
	s_cmp_gt_i32 s24, 25
	s_mov_b64 s[22:23], 0
	s_cbranch_scc0 .LBB214_1401
; %bb.1394:
	s_cmp_gt_i32 s24, 28
	s_cbranch_scc0 .LBB214_1402
; %bb.1395:
	s_cmp_gt_i32 s24, 43
	;; [unrolled: 3-line block ×3, first 2 shown]
	s_cbranch_scc0 .LBB214_1404
; %bb.1397:
	s_cmp_eq_u32 s24, 46
	s_mov_b64 s[18:19], 0
	s_cbranch_scc0 .LBB214_1407
; %bb.1398:
	global_load_dword v4, v[0:1], off
	s_mov_b64 s[20:21], -1
	s_waitcnt vmcnt(0)
	v_and_b32_e32 v4, 0x7fff7fff, v4
	v_cmp_ne_u32_e64 s[4:5], 0, v4
	s_branch .LBB214_1408
.LBB214_1399:
	s_mov_b64 s[20:21], 0
                                        ; implicit-def: $sgpr4_sgpr5
	s_mov_b64 s[18:19], s[16:17]
	s_cbranch_execnz .LBB214_1453
.LBB214_1400:
	s_andn2_b64 vcc, exec, s[20:21]
	s_cbranch_vccz .LBB214_1498
	s_branch .LBB214_2715
.LBB214_1401:
	s_mov_b64 s[20:21], 0
                                        ; implicit-def: $sgpr4_sgpr5
	s_cbranch_execnz .LBB214_1428
	s_branch .LBB214_1449
.LBB214_1402:
	s_mov_b64 s[18:19], -1
	s_mov_b64 s[20:21], 0
                                        ; implicit-def: $sgpr4_sgpr5
	s_branch .LBB214_1415
.LBB214_1403:
	s_mov_b64 s[20:21], 0
                                        ; implicit-def: $sgpr4_sgpr5
	s_cbranch_execnz .LBB214_1411
	s_branch .LBB214_1414
.LBB214_1404:
	s_mov_b64 s[18:19], -1
	s_mov_b64 s[20:21], 0
                                        ; implicit-def: $sgpr4_sgpr5
	s_branch .LBB214_1408
.LBB214_1405:
	s_andn2_saveexec_b64 s[28:29], s[28:29]
	s_cbranch_execz .LBB214_1300
.LBB214_1406:
	v_add_f32_e32 v2, 0x46000000, v3
	v_and_b32_e32 v2, 0xff, v2
	v_cmp_ne_u32_e32 vcc, 0, v2
	s_andn2_b64 s[22:23], s[22:23], exec
	s_and_b64 s[30:31], vcc, exec
	s_or_b64 s[22:23], s[22:23], s[30:31]
	s_or_b64 exec, exec, s[28:29]
	v_mov_b32_e32 v4, 0
	s_and_saveexec_b64 s[28:29], s[22:23]
	s_cbranch_execnz .LBB214_1301
	s_branch .LBB214_1302
.LBB214_1407:
	s_mov_b64 s[0:1], -1
                                        ; implicit-def: $sgpr4_sgpr5
	s_mov_b64 s[20:21], 0
.LBB214_1408:
	s_and_b64 vcc, exec, s[18:19]
	s_cbranch_vccz .LBB214_1410
; %bb.1409:
	s_cmp_lg_u32 s24, 44
	s_mov_b64 s[20:21], -1
	s_cselect_b64 s[0:1], -1, 0
	s_or_b64 s[4:5], s[4:5], exec
.LBB214_1410:
	s_branch .LBB214_1414
.LBB214_1411:
	s_cmp_eq_u32 s24, 29
	s_cbranch_scc0 .LBB214_1413
; %bb.1412:
	global_load_dwordx2 v[4:5], v[0:1], off
	s_mov_b64 s[0:1], 0
	s_mov_b64 s[20:21], -1
	s_mov_b64 s[18:19], 0
	s_waitcnt vmcnt(0)
	v_cmp_ne_u64_e64 s[4:5], 0, v[4:5]
	s_branch .LBB214_1415
.LBB214_1413:
	s_mov_b64 s[0:1], -1
                                        ; implicit-def: $sgpr4_sgpr5
.LBB214_1414:
	s_mov_b64 s[18:19], 0
.LBB214_1415:
	s_and_b64 vcc, exec, s[18:19]
	s_cbranch_vccz .LBB214_1427
; %bb.1416:
	s_cmp_lt_i32 s24, 27
	s_cbranch_scc1 .LBB214_1419
; %bb.1417:
	s_cmp_gt_i32 s24, 27
	s_cbranch_scc0 .LBB214_1420
; %bb.1418:
	global_load_dword v4, v[0:1], off
	s_mov_b64 s[18:19], 0
	s_waitcnt vmcnt(0)
	v_cmp_ne_u32_e64 s[4:5], 0, v4
	s_branch .LBB214_1421
.LBB214_1419:
	s_mov_b64 s[18:19], -1
                                        ; implicit-def: $sgpr4_sgpr5
	s_branch .LBB214_1424
.LBB214_1420:
	s_mov_b64 s[18:19], -1
                                        ; implicit-def: $sgpr4_sgpr5
.LBB214_1421:
	s_andn2_b64 vcc, exec, s[18:19]
	s_cbranch_vccnz .LBB214_1423
; %bb.1422:
	global_load_ushort v4, v[0:1], off
	s_andn2_b64 s[4:5], s[4:5], exec
	s_waitcnt vmcnt(0)
	v_cmp_ne_u16_e32 vcc, 0, v4
	s_and_b64 s[18:19], vcc, exec
	s_or_b64 s[4:5], s[4:5], s[18:19]
.LBB214_1423:
	s_mov_b64 s[18:19], 0
.LBB214_1424:
	s_andn2_b64 vcc, exec, s[18:19]
	s_cbranch_vccnz .LBB214_1426
; %bb.1425:
	global_load_ubyte v4, v[0:1], off
	s_andn2_b64 s[4:5], s[4:5], exec
	s_waitcnt vmcnt(0)
	v_cmp_ne_u16_e32 vcc, 0, v4
	s_and_b64 s[18:19], vcc, exec
	s_or_b64 s[4:5], s[4:5], s[18:19]
.LBB214_1426:
	s_mov_b64 s[20:21], -1
.LBB214_1427:
	s_branch .LBB214_1449
.LBB214_1428:
	s_cmp_gt_i32 s24, 22
	s_cbranch_scc0 .LBB214_1432
; %bb.1429:
	s_cmp_lt_i32 s24, 24
	s_cbranch_scc1 .LBB214_1433
; %bb.1430:
	s_cmp_gt_i32 s24, 24
	s_cbranch_scc0 .LBB214_1434
; %bb.1431:
	global_load_ubyte v4, v[0:1], off
	s_mov_b64 s[18:19], 0
	s_waitcnt vmcnt(0)
	v_cmp_ne_u16_e64 s[4:5], 0, v4
	s_branch .LBB214_1435
.LBB214_1432:
                                        ; implicit-def: $sgpr4_sgpr5
	s_branch .LBB214_1441
.LBB214_1433:
	s_mov_b64 s[18:19], -1
                                        ; implicit-def: $sgpr4_sgpr5
	s_branch .LBB214_1438
.LBB214_1434:
	s_mov_b64 s[18:19], -1
                                        ; implicit-def: $sgpr4_sgpr5
.LBB214_1435:
	s_andn2_b64 vcc, exec, s[18:19]
	s_cbranch_vccnz .LBB214_1437
; %bb.1436:
	global_load_ubyte v4, v[0:1], off
	s_andn2_b64 s[4:5], s[4:5], exec
	s_waitcnt vmcnt(0)
	v_and_b32_e32 v4, 0x7f, v4
	v_cmp_ne_u16_e32 vcc, 0, v4
	s_and_b64 s[18:19], vcc, exec
	s_or_b64 s[4:5], s[4:5], s[18:19]
.LBB214_1437:
	s_mov_b64 s[18:19], 0
.LBB214_1438:
	s_andn2_b64 vcc, exec, s[18:19]
	s_cbranch_vccnz .LBB214_1440
; %bb.1439:
	global_load_ubyte v4, v[0:1], off
	s_movk_i32 s18, 0x7f00
	s_brev_b32 s19, 16
	s_andn2_b64 s[4:5], s[4:5], exec
	s_waitcnt vmcnt(0)
	v_lshlrev_b32_e32 v5, 8, v4
	v_lshlrev_b32_e32 v4, 25, v4
	v_lshrrev_b32_e32 v6, 4, v4
	v_and_or_b32 v5, v5, s18, 0.5
	v_or_b32_e32 v6, 0x70000000, v6
	v_add_f32_e32 v5, -0.5, v5
	v_mul_f32_e32 v6, 0x7800000, v6
	v_cmp_gt_u32_e32 vcc, s19, v4
	v_cndmask_b32_e32 v4, v6, v5, vcc
	v_cmp_neq_f32_e32 vcc, 0, v4
	s_and_b64 s[18:19], vcc, exec
	s_or_b64 s[4:5], s[4:5], s[18:19]
.LBB214_1440:
	s_mov_b64 s[20:21], -1
	s_cbranch_execnz .LBB214_1449
.LBB214_1441:
	s_cmp_gt_i32 s24, 14
	s_cbranch_scc0 .LBB214_1444
; %bb.1442:
	s_cmp_eq_u32 s24, 15
	s_cbranch_scc0 .LBB214_1445
; %bb.1443:
	global_load_ushort v4, v[0:1], off
	s_mov_b64 s[0:1], 0
	s_mov_b64 s[20:21], -1
	s_waitcnt vmcnt(0)
	v_and_b32_e32 v4, 0x7fff, v4
	v_cmp_ne_u16_e64 s[4:5], 0, v4
	s_branch .LBB214_1446
.LBB214_1444:
	s_mov_b64 s[18:19], -1
                                        ; implicit-def: $sgpr4_sgpr5
	s_branch .LBB214_1447
.LBB214_1445:
	s_mov_b64 s[0:1], -1
                                        ; implicit-def: $sgpr4_sgpr5
.LBB214_1446:
	s_mov_b64 s[18:19], 0
.LBB214_1447:
	s_and_b64 vcc, exec, s[18:19]
	s_cbranch_vccz .LBB214_1449
; %bb.1448:
	s_cmp_lg_u32 s24, 11
	s_mov_b64 s[22:23], -1
	s_cselect_b64 s[0:1], -1, 0
.LBB214_1449:
	s_and_b64 vcc, exec, s[0:1]
	s_mov_b64 s[18:19], s[16:17]
	s_cbranch_vccnz .LBB214_1510
; %bb.1450:
	s_andn2_b64 vcc, exec, s[22:23]
	s_cbranch_vccnz .LBB214_1452
.LBB214_1451:
	global_load_ubyte v4, v[0:1], off
	s_andn2_b64 s[0:1], s[4:5], exec
	s_mov_b64 s[20:21], -1
	s_waitcnt vmcnt(0)
	v_cmp_ne_u16_e32 vcc, 0, v4
	s_and_b64 s[4:5], vcc, exec
	s_or_b64 s[4:5], s[0:1], s[4:5]
.LBB214_1452:
	s_branch .LBB214_1400
.LBB214_1453:
	s_and_b32 s22, 0xffff, s38
	s_cmp_lt_i32 s22, 5
	s_cbranch_scc1 .LBB214_1458
; %bb.1454:
	s_cmp_lt_i32 s22, 8
	s_cbranch_scc1 .LBB214_1459
; %bb.1455:
	s_cmp_lt_i32 s22, 9
	s_cbranch_scc1 .LBB214_1460
; %bb.1456:
	s_cmp_gt_i32 s22, 9
	s_cbranch_scc0 .LBB214_1461
; %bb.1457:
	global_load_dwordx4 v[4:7], v[0:1], off
	s_mov_b64 s[20:21], 0
	s_waitcnt vmcnt(0)
	v_cmp_neq_f64_e32 vcc, 0, v[4:5]
	v_cmp_neq_f64_e64 s[0:1], 0, v[6:7]
	s_or_b64 s[4:5], vcc, s[0:1]
	s_branch .LBB214_1462
.LBB214_1458:
                                        ; implicit-def: $sgpr4_sgpr5
	s_branch .LBB214_1479
.LBB214_1459:
                                        ; implicit-def: $sgpr4_sgpr5
	s_branch .LBB214_1468
.LBB214_1460:
	s_mov_b64 s[0:1], -1
                                        ; implicit-def: $sgpr4_sgpr5
	s_branch .LBB214_1465
.LBB214_1461:
	s_mov_b64 s[20:21], -1
                                        ; implicit-def: $sgpr4_sgpr5
.LBB214_1462:
	s_andn2_b64 vcc, exec, s[20:21]
	s_cbranch_vccnz .LBB214_1464
; %bb.1463:
	global_load_dwordx2 v[4:5], v[0:1], off
	s_andn2_b64 s[0:1], s[4:5], exec
	s_waitcnt vmcnt(0)
	v_or_b32_e32 v4, v4, v5
	v_and_b32_e32 v4, 0x7fffffff, v4
	v_cmp_ne_u32_e32 vcc, 0, v4
	s_and_b64 s[4:5], vcc, exec
	s_or_b64 s[4:5], s[0:1], s[4:5]
.LBB214_1464:
	s_mov_b64 s[0:1], 0
.LBB214_1465:
	s_andn2_b64 vcc, exec, s[0:1]
	s_cbranch_vccnz .LBB214_1467
; %bb.1466:
	global_load_dword v4, v[0:1], off
	s_andn2_b64 s[0:1], s[4:5], exec
	s_waitcnt vmcnt(0)
	v_and_b32_e32 v4, 0x7fff7fff, v4
	v_cmp_ne_u32_e32 vcc, 0, v4
	s_and_b64 s[4:5], vcc, exec
	s_or_b64 s[4:5], s[0:1], s[4:5]
.LBB214_1467:
	s_cbranch_execnz .LBB214_1478
.LBB214_1468:
	s_cmp_lt_i32 s22, 6
	s_cbranch_scc1 .LBB214_1471
; %bb.1469:
	s_cmp_gt_i32 s22, 6
	s_cbranch_scc0 .LBB214_1472
; %bb.1470:
	global_load_dwordx2 v[4:5], v[0:1], off
	s_mov_b64 s[0:1], 0
	s_waitcnt vmcnt(0)
	v_cmp_neq_f64_e64 s[4:5], 0, v[4:5]
	s_branch .LBB214_1473
.LBB214_1471:
	s_mov_b64 s[0:1], -1
                                        ; implicit-def: $sgpr4_sgpr5
	s_branch .LBB214_1476
.LBB214_1472:
	s_mov_b64 s[0:1], -1
                                        ; implicit-def: $sgpr4_sgpr5
.LBB214_1473:
	s_andn2_b64 vcc, exec, s[0:1]
	s_cbranch_vccnz .LBB214_1475
; %bb.1474:
	global_load_dword v4, v[0:1], off
	s_andn2_b64 s[0:1], s[4:5], exec
	s_waitcnt vmcnt(0)
	v_cmp_neq_f32_e32 vcc, 0, v4
	s_and_b64 s[4:5], vcc, exec
	s_or_b64 s[4:5], s[0:1], s[4:5]
.LBB214_1475:
	s_mov_b64 s[0:1], 0
.LBB214_1476:
	s_andn2_b64 vcc, exec, s[0:1]
	s_cbranch_vccnz .LBB214_1478
; %bb.1477:
	global_load_ushort v4, v[0:1], off
	s_andn2_b64 s[0:1], s[4:5], exec
	s_waitcnt vmcnt(0)
	v_and_b32_e32 v4, 0x7fff, v4
	v_cmp_ne_u16_e32 vcc, 0, v4
	s_and_b64 s[4:5], vcc, exec
	s_or_b64 s[4:5], s[0:1], s[4:5]
.LBB214_1478:
	s_cbranch_execnz .LBB214_1497
.LBB214_1479:
	s_cmp_lt_i32 s22, 2
	s_cbranch_scc1 .LBB214_1483
; %bb.1480:
	s_cmp_lt_i32 s22, 3
	s_cbranch_scc1 .LBB214_1484
; %bb.1481:
	s_cmp_gt_i32 s22, 3
	s_cbranch_scc0 .LBB214_1485
; %bb.1482:
	global_load_dwordx2 v[4:5], v[0:1], off
	s_mov_b64 s[0:1], 0
	s_waitcnt vmcnt(0)
	v_cmp_ne_u64_e64 s[4:5], 0, v[4:5]
	s_branch .LBB214_1486
.LBB214_1483:
                                        ; implicit-def: $sgpr4_sgpr5
	s_branch .LBB214_1492
.LBB214_1484:
	s_mov_b64 s[0:1], -1
                                        ; implicit-def: $sgpr4_sgpr5
	s_branch .LBB214_1489
.LBB214_1485:
	s_mov_b64 s[0:1], -1
                                        ; implicit-def: $sgpr4_sgpr5
.LBB214_1486:
	s_andn2_b64 vcc, exec, s[0:1]
	s_cbranch_vccnz .LBB214_1488
; %bb.1487:
	global_load_dword v4, v[0:1], off
	s_andn2_b64 s[0:1], s[4:5], exec
	s_waitcnt vmcnt(0)
	v_cmp_ne_u32_e32 vcc, 0, v4
	s_and_b64 s[4:5], vcc, exec
	s_or_b64 s[4:5], s[0:1], s[4:5]
.LBB214_1488:
	s_mov_b64 s[0:1], 0
.LBB214_1489:
	s_andn2_b64 vcc, exec, s[0:1]
	s_cbranch_vccnz .LBB214_1491
; %bb.1490:
	global_load_ushort v4, v[0:1], off
	s_andn2_b64 s[0:1], s[4:5], exec
	s_waitcnt vmcnt(0)
	v_cmp_ne_u16_e32 vcc, 0, v4
	s_and_b64 s[4:5], vcc, exec
	s_or_b64 s[4:5], s[0:1], s[4:5]
.LBB214_1491:
	s_cbranch_execnz .LBB214_1497
.LBB214_1492:
	s_cmp_gt_i32 s22, 0
	s_cbranch_scc0 .LBB214_1494
; %bb.1493:
	global_load_ubyte v4, v[0:1], off
	s_mov_b64 s[0:1], 0
	s_waitcnt vmcnt(0)
	v_cmp_ne_u16_e64 s[4:5], 0, v4
	s_branch .LBB214_1495
.LBB214_1494:
	s_mov_b64 s[0:1], -1
                                        ; implicit-def: $sgpr4_sgpr5
.LBB214_1495:
	s_andn2_b64 vcc, exec, s[0:1]
	s_cbranch_vccnz .LBB214_1497
; %bb.1496:
	global_load_ubyte v0, v[0:1], off
	s_andn2_b64 s[0:1], s[4:5], exec
	s_waitcnt vmcnt(0)
	v_cmp_ne_u16_e32 vcc, 0, v0
	s_and_b64 s[4:5], vcc, exec
	s_or_b64 s[4:5], s[0:1], s[4:5]
.LBB214_1497:
.LBB214_1498:
	v_mul_lo_u32 v4, s14, v2
	v_mov_b32_e32 v1, s3
	s_and_b32 s39, s58, 0xff
	s_cmp_lt_i32 s39, 11
	v_ashrrev_i32_e32 v5, 31, v4
	v_add_co_u32_e32 v0, vcc, s2, v4
	v_addc_co_u32_e32 v1, vcc, v1, v5, vcc
	s_cbranch_scc1 .LBB214_1505
; %bb.1499:
	s_and_b32 s28, 0xffff, s39
	s_cmp_gt_i32 s28, 25
	s_mov_b64 s[24:25], 0
	s_cbranch_scc0 .LBB214_1507
; %bb.1500:
	s_cmp_gt_i32 s28, 28
	s_cbranch_scc0 .LBB214_1508
; %bb.1501:
	s_cmp_gt_i32 s28, 43
	;; [unrolled: 3-line block ×3, first 2 shown]
	s_cbranch_scc0 .LBB214_1511
; %bb.1503:
	s_cmp_eq_u32 s28, 46
	s_mov_b64 s[26:27], 0
	s_cbranch_scc0 .LBB214_1514
; %bb.1504:
	global_load_dword v5, v[0:1], off
	s_mov_b64 s[0:1], 0
	s_mov_b64 s[20:21], -1
	s_waitcnt vmcnt(0)
	v_and_b32_e32 v5, 0x7fff7fff, v5
	v_cmp_ne_u32_e64 s[22:23], 0, v5
	s_branch .LBB214_1515
.LBB214_1505:
	s_mov_b64 s[20:21], 0
                                        ; implicit-def: $sgpr22_sgpr23
	s_cbranch_execnz .LBB214_1562
.LBB214_1506:
	s_andn2_b64 vcc, exec, s[20:21]
	s_cbranch_vccnz .LBB214_2715
	s_branch .LBB214_1609
.LBB214_1507:
	s_mov_b64 s[20:21], 0
	s_mov_b64 s[0:1], 0
                                        ; implicit-def: $sgpr22_sgpr23
	s_cbranch_execnz .LBB214_1536
	s_branch .LBB214_1558
.LBB214_1508:
	s_mov_b64 s[26:27], -1
	s_mov_b64 s[20:21], 0
	s_mov_b64 s[0:1], 0
                                        ; implicit-def: $sgpr22_sgpr23
	s_branch .LBB214_1523
.LBB214_1509:
	s_mov_b64 s[26:27], -1
	s_mov_b64 s[20:21], 0
	s_mov_b64 s[0:1], 0
                                        ; implicit-def: $sgpr22_sgpr23
	s_branch .LBB214_1518
.LBB214_1510:
	s_mov_b64 s[20:21], 0
	s_or_b64 s[18:19], s[16:17], exec
	s_trap 2
	s_cbranch_execz .LBB214_1451
	s_branch .LBB214_1452
.LBB214_1511:
	s_mov_b64 s[26:27], -1
	s_mov_b64 s[20:21], 0
	s_mov_b64 s[0:1], 0
                                        ; implicit-def: $sgpr22_sgpr23
	s_branch .LBB214_1515
.LBB214_1512:
	s_andn2_saveexec_b64 s[30:31], s[30:31]
	s_cbranch_execz .LBB214_1312
.LBB214_1513:
	v_add_f32_e32 v2, 0x42800000, v3
	v_and_b32_e32 v2, 0xff, v2
	v_cmp_ne_u32_e32 vcc, 0, v2
	s_andn2_b64 s[28:29], s[28:29], exec
	s_and_b64 s[36:37], vcc, exec
	s_or_b64 s[28:29], s[28:29], s[36:37]
	s_or_b64 exec, exec, s[30:31]
	v_mov_b32_e32 v4, 0
	s_and_saveexec_b64 s[30:31], s[28:29]
	s_cbranch_execnz .LBB214_1313
	s_branch .LBB214_1314
.LBB214_1514:
	s_mov_b64 s[0:1], -1
                                        ; implicit-def: $sgpr22_sgpr23
	s_mov_b64 s[20:21], 0
.LBB214_1515:
	s_and_b64 vcc, exec, s[26:27]
	s_cbranch_vccz .LBB214_1517
; %bb.1516:
	s_cmp_lg_u32 s28, 44
	s_mov_b64 s[20:21], -1
	s_cselect_b64 s[0:1], -1, 0
	s_or_b64 s[22:23], s[22:23], exec
.LBB214_1517:
	s_mov_b64 s[26:27], 0
.LBB214_1518:
	s_and_b64 vcc, exec, s[26:27]
	s_cbranch_vccz .LBB214_1522
; %bb.1519:
	s_cmp_eq_u32 s28, 29
	s_cbranch_scc0 .LBB214_1521
; %bb.1520:
	global_load_dwordx2 v[5:6], v[0:1], off
	s_mov_b64 s[0:1], 0
	s_mov_b64 s[20:21], -1
	s_mov_b64 s[26:27], 0
	s_waitcnt vmcnt(0)
	v_cmp_ne_u64_e64 s[22:23], 0, v[5:6]
	s_branch .LBB214_1523
.LBB214_1521:
	s_mov_b64 s[0:1], -1
                                        ; implicit-def: $sgpr22_sgpr23
.LBB214_1522:
	s_mov_b64 s[26:27], 0
.LBB214_1523:
	s_and_b64 vcc, exec, s[26:27]
	s_cbranch_vccz .LBB214_1535
; %bb.1524:
	s_cmp_lt_i32 s28, 27
	s_cbranch_scc1 .LBB214_1527
; %bb.1525:
	s_cmp_gt_i32 s28, 27
	s_cbranch_scc0 .LBB214_1528
; %bb.1526:
	global_load_dword v5, v[0:1], off
	s_mov_b64 s[20:21], 0
	s_waitcnt vmcnt(0)
	v_cmp_ne_u32_e64 s[22:23], 0, v5
	s_branch .LBB214_1529
.LBB214_1527:
	s_mov_b64 s[20:21], -1
                                        ; implicit-def: $sgpr22_sgpr23
	s_branch .LBB214_1532
.LBB214_1528:
	s_mov_b64 s[20:21], -1
                                        ; implicit-def: $sgpr22_sgpr23
.LBB214_1529:
	s_andn2_b64 vcc, exec, s[20:21]
	s_cbranch_vccnz .LBB214_1531
; %bb.1530:
	global_load_ushort v5, v[0:1], off
	s_andn2_b64 s[20:21], s[22:23], exec
	s_waitcnt vmcnt(0)
	v_cmp_ne_u16_e32 vcc, 0, v5
	s_and_b64 s[22:23], vcc, exec
	s_or_b64 s[22:23], s[20:21], s[22:23]
.LBB214_1531:
	s_mov_b64 s[20:21], 0
.LBB214_1532:
	s_andn2_b64 vcc, exec, s[20:21]
	s_cbranch_vccnz .LBB214_1534
; %bb.1533:
	global_load_ubyte v5, v[0:1], off
	s_andn2_b64 s[20:21], s[22:23], exec
	s_waitcnt vmcnt(0)
	v_cmp_ne_u16_e32 vcc, 0, v5
	s_and_b64 s[22:23], vcc, exec
	s_or_b64 s[22:23], s[20:21], s[22:23]
.LBB214_1534:
	s_mov_b64 s[20:21], -1
.LBB214_1535:
	s_branch .LBB214_1558
.LBB214_1536:
	s_cmp_gt_i32 s28, 22
	s_cbranch_scc0 .LBB214_1540
; %bb.1537:
	s_cmp_lt_i32 s28, 24
	s_cbranch_scc1 .LBB214_1541
; %bb.1538:
	s_cmp_gt_i32 s28, 24
	s_cbranch_scc0 .LBB214_1542
; %bb.1539:
	global_load_ubyte v5, v[0:1], off
	s_mov_b64 s[20:21], 0
	s_waitcnt vmcnt(0)
	v_cmp_ne_u16_e64 s[22:23], 0, v5
	s_branch .LBB214_1543
.LBB214_1540:
	s_mov_b64 s[24:25], -1
                                        ; implicit-def: $sgpr22_sgpr23
	s_branch .LBB214_1549
.LBB214_1541:
	s_mov_b64 s[20:21], -1
                                        ; implicit-def: $sgpr22_sgpr23
	s_branch .LBB214_1546
.LBB214_1542:
	s_mov_b64 s[20:21], -1
                                        ; implicit-def: $sgpr22_sgpr23
.LBB214_1543:
	s_andn2_b64 vcc, exec, s[20:21]
	s_cbranch_vccnz .LBB214_1545
; %bb.1544:
	global_load_ubyte v5, v[0:1], off
	s_andn2_b64 s[20:21], s[22:23], exec
	s_waitcnt vmcnt(0)
	v_and_b32_e32 v5, 0x7f, v5
	v_cmp_ne_u16_e32 vcc, 0, v5
	s_and_b64 s[22:23], vcc, exec
	s_or_b64 s[22:23], s[20:21], s[22:23]
.LBB214_1545:
	s_mov_b64 s[20:21], 0
.LBB214_1546:
	s_andn2_b64 vcc, exec, s[20:21]
	s_cbranch_vccnz .LBB214_1548
; %bb.1547:
	global_load_ubyte v5, v[0:1], off
	s_movk_i32 s20, 0x7f00
	s_brev_b32 s21, 16
	s_waitcnt vmcnt(0)
	v_lshlrev_b32_e32 v6, 8, v5
	v_lshlrev_b32_e32 v5, 25, v5
	v_lshrrev_b32_e32 v7, 4, v5
	v_and_or_b32 v6, v6, s20, 0.5
	v_or_b32_e32 v7, 0x70000000, v7
	v_add_f32_e32 v6, -0.5, v6
	v_mul_f32_e32 v7, 0x7800000, v7
	v_cmp_gt_u32_e32 vcc, s21, v5
	v_cndmask_b32_e32 v5, v7, v6, vcc
	v_cmp_neq_f32_e32 vcc, 0, v5
	s_andn2_b64 s[20:21], s[22:23], exec
	s_and_b64 s[22:23], vcc, exec
	s_or_b64 s[22:23], s[20:21], s[22:23]
.LBB214_1548:
	s_mov_b64 s[20:21], -1
.LBB214_1549:
	s_andn2_b64 vcc, exec, s[24:25]
	s_mov_b64 s[24:25], 0
	s_cbranch_vccnz .LBB214_1558
; %bb.1550:
	s_cmp_gt_i32 s28, 14
	s_cbranch_scc0 .LBB214_1553
; %bb.1551:
	s_cmp_eq_u32 s28, 15
	s_cbranch_scc0 .LBB214_1554
; %bb.1552:
	global_load_ushort v5, v[0:1], off
	s_mov_b64 s[0:1], 0
	s_mov_b64 s[20:21], -1
	s_waitcnt vmcnt(0)
	v_and_b32_e32 v5, 0x7fff, v5
	v_cmp_ne_u16_e64 s[22:23], 0, v5
	s_branch .LBB214_1555
.LBB214_1553:
	s_mov_b64 s[26:27], -1
                                        ; implicit-def: $sgpr22_sgpr23
	s_branch .LBB214_1556
.LBB214_1554:
	s_mov_b64 s[0:1], -1
                                        ; implicit-def: $sgpr22_sgpr23
.LBB214_1555:
	s_mov_b64 s[26:27], 0
.LBB214_1556:
	s_and_b64 vcc, exec, s[26:27]
	s_cbranch_vccz .LBB214_1558
; %bb.1557:
	s_cmp_lg_u32 s28, 11
	s_mov_b64 s[24:25], -1
	s_cselect_b64 s[0:1], -1, 0
.LBB214_1558:
	s_and_b64 vcc, exec, s[0:1]
	s_cbranch_vccnz .LBB214_1621
; %bb.1559:
	s_andn2_b64 vcc, exec, s[24:25]
	s_cbranch_vccnz .LBB214_1561
.LBB214_1560:
	global_load_ubyte v5, v[0:1], off
	s_andn2_b64 s[0:1], s[22:23], exec
	s_mov_b64 s[20:21], -1
	s_waitcnt vmcnt(0)
	v_cmp_ne_u16_e32 vcc, 0, v5
	s_and_b64 s[22:23], vcc, exec
	s_or_b64 s[22:23], s[0:1], s[22:23]
.LBB214_1561:
	s_branch .LBB214_1506
.LBB214_1562:
	s_and_b32 s24, 0xffff, s39
	s_cmp_lt_i32 s24, 5
	s_cbranch_scc1 .LBB214_1567
; %bb.1563:
	s_cmp_lt_i32 s24, 8
	s_cbranch_scc1 .LBB214_1568
; %bb.1564:
	;; [unrolled: 3-line block ×3, first 2 shown]
	s_cmp_gt_i32 s24, 9
	s_cbranch_scc0 .LBB214_1570
; %bb.1566:
	global_load_dwordx4 v[5:8], v[0:1], off
	s_mov_b64 s[20:21], 0
	s_waitcnt vmcnt(0)
	v_cmp_neq_f64_e32 vcc, 0, v[5:6]
	v_cmp_neq_f64_e64 s[0:1], 0, v[7:8]
	s_or_b64 s[22:23], vcc, s[0:1]
	s_branch .LBB214_1571
.LBB214_1567:
                                        ; implicit-def: $sgpr22_sgpr23
	s_branch .LBB214_1589
.LBB214_1568:
	s_mov_b64 s[0:1], -1
                                        ; implicit-def: $sgpr22_sgpr23
	s_branch .LBB214_1577
.LBB214_1569:
	s_mov_b64 s[0:1], -1
                                        ; implicit-def: $sgpr22_sgpr23
	s_branch .LBB214_1574
.LBB214_1570:
	s_mov_b64 s[20:21], -1
                                        ; implicit-def: $sgpr22_sgpr23
.LBB214_1571:
	s_andn2_b64 vcc, exec, s[20:21]
	s_cbranch_vccnz .LBB214_1573
; %bb.1572:
	global_load_dwordx2 v[5:6], v[0:1], off
	s_andn2_b64 s[0:1], s[22:23], exec
	s_waitcnt vmcnt(0)
	v_or_b32_e32 v5, v5, v6
	v_and_b32_e32 v5, 0x7fffffff, v5
	v_cmp_ne_u32_e32 vcc, 0, v5
	s_and_b64 s[20:21], vcc, exec
	s_or_b64 s[22:23], s[0:1], s[20:21]
.LBB214_1573:
	s_mov_b64 s[0:1], 0
.LBB214_1574:
	s_andn2_b64 vcc, exec, s[0:1]
	s_cbranch_vccnz .LBB214_1576
; %bb.1575:
	global_load_dword v5, v[0:1], off
	s_andn2_b64 s[0:1], s[22:23], exec
	s_waitcnt vmcnt(0)
	v_and_b32_e32 v5, 0x7fff7fff, v5
	v_cmp_ne_u32_e32 vcc, 0, v5
	s_and_b64 s[20:21], vcc, exec
	s_or_b64 s[22:23], s[0:1], s[20:21]
.LBB214_1576:
	s_mov_b64 s[0:1], 0
.LBB214_1577:
	s_andn2_b64 vcc, exec, s[0:1]
	s_cbranch_vccnz .LBB214_1588
; %bb.1578:
	s_cmp_lt_i32 s24, 6
	s_cbranch_scc1 .LBB214_1581
; %bb.1579:
	s_cmp_gt_i32 s24, 6
	s_cbranch_scc0 .LBB214_1582
; %bb.1580:
	global_load_dwordx2 v[5:6], v[0:1], off
	s_mov_b64 s[0:1], 0
	s_waitcnt vmcnt(0)
	v_cmp_neq_f64_e64 s[22:23], 0, v[5:6]
	s_branch .LBB214_1583
.LBB214_1581:
	s_mov_b64 s[0:1], -1
                                        ; implicit-def: $sgpr22_sgpr23
	s_branch .LBB214_1586
.LBB214_1582:
	s_mov_b64 s[0:1], -1
                                        ; implicit-def: $sgpr22_sgpr23
.LBB214_1583:
	s_andn2_b64 vcc, exec, s[0:1]
	s_cbranch_vccnz .LBB214_1585
; %bb.1584:
	global_load_dword v5, v[0:1], off
	s_andn2_b64 s[0:1], s[22:23], exec
	s_waitcnt vmcnt(0)
	v_cmp_neq_f32_e32 vcc, 0, v5
	s_and_b64 s[20:21], vcc, exec
	s_or_b64 s[22:23], s[0:1], s[20:21]
.LBB214_1585:
	s_mov_b64 s[0:1], 0
.LBB214_1586:
	s_andn2_b64 vcc, exec, s[0:1]
	s_cbranch_vccnz .LBB214_1588
; %bb.1587:
	global_load_ushort v5, v[0:1], off
	s_andn2_b64 s[0:1], s[22:23], exec
	s_waitcnt vmcnt(0)
	v_and_b32_e32 v5, 0x7fff, v5
	v_cmp_ne_u16_e32 vcc, 0, v5
	s_and_b64 s[20:21], vcc, exec
	s_or_b64 s[22:23], s[0:1], s[20:21]
.LBB214_1588:
	s_cbranch_execnz .LBB214_1608
.LBB214_1589:
	s_cmp_lt_i32 s24, 2
	s_cbranch_scc1 .LBB214_1593
; %bb.1590:
	s_cmp_lt_i32 s24, 3
	s_cbranch_scc1 .LBB214_1594
; %bb.1591:
	s_cmp_gt_i32 s24, 3
	s_cbranch_scc0 .LBB214_1595
; %bb.1592:
	global_load_dwordx2 v[5:6], v[0:1], off
	s_mov_b64 s[0:1], 0
	s_waitcnt vmcnt(0)
	v_cmp_ne_u64_e64 s[22:23], 0, v[5:6]
	s_branch .LBB214_1596
.LBB214_1593:
	s_mov_b64 s[0:1], -1
                                        ; implicit-def: $sgpr22_sgpr23
	s_branch .LBB214_1602
.LBB214_1594:
	s_mov_b64 s[0:1], -1
                                        ; implicit-def: $sgpr22_sgpr23
	s_branch .LBB214_1599
.LBB214_1595:
	s_mov_b64 s[0:1], -1
                                        ; implicit-def: $sgpr22_sgpr23
.LBB214_1596:
	s_andn2_b64 vcc, exec, s[0:1]
	s_cbranch_vccnz .LBB214_1598
; %bb.1597:
	global_load_dword v5, v[0:1], off
	s_andn2_b64 s[0:1], s[22:23], exec
	s_waitcnt vmcnt(0)
	v_cmp_ne_u32_e32 vcc, 0, v5
	s_and_b64 s[20:21], vcc, exec
	s_or_b64 s[22:23], s[0:1], s[20:21]
.LBB214_1598:
	s_mov_b64 s[0:1], 0
.LBB214_1599:
	s_andn2_b64 vcc, exec, s[0:1]
	s_cbranch_vccnz .LBB214_1601
; %bb.1600:
	global_load_ushort v5, v[0:1], off
	s_andn2_b64 s[0:1], s[22:23], exec
	s_waitcnt vmcnt(0)
	v_cmp_ne_u16_e32 vcc, 0, v5
	s_and_b64 s[20:21], vcc, exec
	s_or_b64 s[22:23], s[0:1], s[20:21]
.LBB214_1601:
	s_mov_b64 s[0:1], 0
.LBB214_1602:
	s_andn2_b64 vcc, exec, s[0:1]
	s_cbranch_vccnz .LBB214_1608
; %bb.1603:
	s_cmp_gt_i32 s24, 0
	s_cbranch_scc0 .LBB214_1605
; %bb.1604:
	global_load_ubyte v5, v[0:1], off
	s_mov_b64 s[0:1], 0
	s_waitcnt vmcnt(0)
	v_cmp_ne_u16_e64 s[22:23], 0, v5
	s_branch .LBB214_1606
.LBB214_1605:
	s_mov_b64 s[0:1], -1
                                        ; implicit-def: $sgpr22_sgpr23
.LBB214_1606:
	s_andn2_b64 vcc, exec, s[0:1]
	s_cbranch_vccnz .LBB214_1608
; %bb.1607:
	global_load_ubyte v0, v[0:1], off
	s_andn2_b64 s[0:1], s[22:23], exec
	s_waitcnt vmcnt(0)
	v_cmp_ne_u16_e32 vcc, 0, v0
	s_and_b64 s[20:21], vcc, exec
	s_or_b64 s[22:23], s[0:1], s[20:21]
.LBB214_1608:
.LBB214_1609:
	s_lshl_b32 s13, s13, 7
	v_add_u32_e32 v3, s13, v3
	v_ashrrev_i32_e32 v1, 31, v3
	v_mov_b32_e32 v5, s11
	v_add_co_u32_e32 v0, vcc, s10, v3
	s_cmp_lt_i32 s38, 11
	v_addc_co_u32_e32 v1, vcc, v5, v1, vcc
	s_cbranch_scc1 .LBB214_1616
; %bb.1610:
	s_and_b32 s30, 0xffff, s38
	s_cmp_gt_i32 s30, 25
	s_mov_b64 s[26:27], 0
	s_cbranch_scc0 .LBB214_1618
; %bb.1611:
	s_cmp_gt_i32 s30, 28
	s_cbranch_scc0 .LBB214_1619
; %bb.1612:
	s_cmp_gt_i32 s30, 43
	;; [unrolled: 3-line block ×3, first 2 shown]
	s_cbranch_scc0 .LBB214_1622
; %bb.1614:
	s_cmp_eq_u32 s30, 46
	s_mov_b64 s[28:29], 0
	s_cbranch_scc0 .LBB214_1623
; %bb.1615:
	global_load_dword v5, v[0:1], off
	s_mov_b64 s[0:1], 0
	s_mov_b64 s[24:25], -1
	s_waitcnt vmcnt(0)
	v_and_b32_e32 v5, 0x7fff7fff, v5
	v_cmp_ne_u32_e64 s[20:21], 0, v5
	s_branch .LBB214_1624
.LBB214_1616:
	s_mov_b64 s[24:25], 0
                                        ; implicit-def: $sgpr20_sgpr21
	s_cbranch_execnz .LBB214_1672
.LBB214_1617:
	s_andn2_b64 vcc, exec, s[24:25]
	s_cbranch_vccnz .LBB214_2715
	s_branch .LBB214_1720
.LBB214_1618:
	s_mov_b64 s[28:29], -1
	s_mov_b64 s[24:25], 0
	s_mov_b64 s[0:1], 0
                                        ; implicit-def: $sgpr20_sgpr21
	s_branch .LBB214_1645
.LBB214_1619:
	s_mov_b64 s[28:29], -1
	s_mov_b64 s[24:25], 0
	s_mov_b64 s[0:1], 0
                                        ; implicit-def: $sgpr20_sgpr21
	s_branch .LBB214_1632
.LBB214_1620:
	s_mov_b64 s[28:29], -1
	s_mov_b64 s[24:25], 0
	s_mov_b64 s[0:1], 0
                                        ; implicit-def: $sgpr20_sgpr21
	s_branch .LBB214_1627
.LBB214_1621:
	s_trap 2
	s_mov_b64 s[20:21], 0
	s_or_b64 s[18:19], s[18:19], exec
	s_cbranch_execz .LBB214_1560
	s_branch .LBB214_1561
.LBB214_1622:
	s_mov_b64 s[28:29], -1
	s_mov_b64 s[24:25], 0
	s_mov_b64 s[0:1], 0
                                        ; implicit-def: $sgpr20_sgpr21
	s_branch .LBB214_1624
.LBB214_1623:
	s_mov_b64 s[0:1], -1
                                        ; implicit-def: $sgpr20_sgpr21
	s_mov_b64 s[24:25], 0
.LBB214_1624:
	s_and_b64 vcc, exec, s[28:29]
	s_cbranch_vccz .LBB214_1626
; %bb.1625:
	s_cmp_lg_u32 s30, 44
	s_mov_b64 s[24:25], -1
	s_cselect_b64 s[0:1], -1, 0
	s_or_b64 s[20:21], s[20:21], exec
.LBB214_1626:
	s_mov_b64 s[28:29], 0
.LBB214_1627:
	s_and_b64 vcc, exec, s[28:29]
	s_cbranch_vccz .LBB214_1631
; %bb.1628:
	s_cmp_eq_u32 s30, 29
	s_cbranch_scc0 .LBB214_1630
; %bb.1629:
	global_load_dwordx2 v[5:6], v[0:1], off
	s_mov_b64 s[0:1], 0
	s_mov_b64 s[24:25], -1
	s_mov_b64 s[28:29], 0
	s_waitcnt vmcnt(0)
	v_cmp_ne_u64_e64 s[20:21], 0, v[5:6]
	s_branch .LBB214_1632
.LBB214_1630:
	s_mov_b64 s[0:1], -1
                                        ; implicit-def: $sgpr20_sgpr21
.LBB214_1631:
	s_mov_b64 s[28:29], 0
.LBB214_1632:
	s_and_b64 vcc, exec, s[28:29]
	s_cbranch_vccz .LBB214_1644
; %bb.1633:
	s_cmp_lt_i32 s30, 27
	s_cbranch_scc1 .LBB214_1636
; %bb.1634:
	s_cmp_gt_i32 s30, 27
	s_cbranch_scc0 .LBB214_1637
; %bb.1635:
	global_load_dword v5, v[0:1], off
	s_mov_b64 s[24:25], 0
	s_waitcnt vmcnt(0)
	v_cmp_ne_u32_e64 s[20:21], 0, v5
	s_branch .LBB214_1638
.LBB214_1636:
	s_mov_b64 s[24:25], -1
                                        ; implicit-def: $sgpr20_sgpr21
	s_branch .LBB214_1641
.LBB214_1637:
	s_mov_b64 s[24:25], -1
                                        ; implicit-def: $sgpr20_sgpr21
.LBB214_1638:
	s_andn2_b64 vcc, exec, s[24:25]
	s_cbranch_vccnz .LBB214_1640
; %bb.1639:
	global_load_ushort v5, v[0:1], off
	s_andn2_b64 s[20:21], s[20:21], exec
	s_waitcnt vmcnt(0)
	v_cmp_ne_u16_e32 vcc, 0, v5
	s_and_b64 s[24:25], vcc, exec
	s_or_b64 s[20:21], s[20:21], s[24:25]
.LBB214_1640:
	s_mov_b64 s[24:25], 0
.LBB214_1641:
	s_andn2_b64 vcc, exec, s[24:25]
	s_cbranch_vccnz .LBB214_1643
; %bb.1642:
	global_load_ubyte v5, v[0:1], off
	s_andn2_b64 s[20:21], s[20:21], exec
	s_waitcnt vmcnt(0)
	v_cmp_ne_u16_e32 vcc, 0, v5
	s_and_b64 s[24:25], vcc, exec
	s_or_b64 s[20:21], s[20:21], s[24:25]
.LBB214_1643:
	s_mov_b64 s[24:25], -1
.LBB214_1644:
	s_mov_b64 s[28:29], 0
.LBB214_1645:
	s_and_b64 vcc, exec, s[28:29]
	s_cbranch_vccz .LBB214_1668
; %bb.1646:
	s_cmp_gt_i32 s30, 22
	s_cbranch_scc0 .LBB214_1650
; %bb.1647:
	s_cmp_lt_i32 s30, 24
	s_cbranch_scc1 .LBB214_1651
; %bb.1648:
	s_cmp_gt_i32 s30, 24
	s_cbranch_scc0 .LBB214_1652
; %bb.1649:
	global_load_ubyte v5, v[0:1], off
	s_mov_b64 s[24:25], 0
	s_waitcnt vmcnt(0)
	v_cmp_ne_u16_e64 s[20:21], 0, v5
	s_branch .LBB214_1653
.LBB214_1650:
	s_mov_b64 s[26:27], -1
                                        ; implicit-def: $sgpr20_sgpr21
	s_branch .LBB214_1659
.LBB214_1651:
	s_mov_b64 s[24:25], -1
                                        ; implicit-def: $sgpr20_sgpr21
	s_branch .LBB214_1656
.LBB214_1652:
	s_mov_b64 s[24:25], -1
                                        ; implicit-def: $sgpr20_sgpr21
.LBB214_1653:
	s_andn2_b64 vcc, exec, s[24:25]
	s_cbranch_vccnz .LBB214_1655
; %bb.1654:
	global_load_ubyte v5, v[0:1], off
	s_andn2_b64 s[20:21], s[20:21], exec
	s_waitcnt vmcnt(0)
	v_and_b32_e32 v5, 0x7f, v5
	v_cmp_ne_u16_e32 vcc, 0, v5
	s_and_b64 s[24:25], vcc, exec
	s_or_b64 s[20:21], s[20:21], s[24:25]
.LBB214_1655:
	s_mov_b64 s[24:25], 0
.LBB214_1656:
	s_andn2_b64 vcc, exec, s[24:25]
	s_cbranch_vccnz .LBB214_1658
; %bb.1657:
	global_load_ubyte v5, v[0:1], off
	s_movk_i32 s24, 0x7f00
	s_brev_b32 s25, 16
	s_andn2_b64 s[20:21], s[20:21], exec
	s_waitcnt vmcnt(0)
	v_lshlrev_b32_e32 v6, 8, v5
	v_lshlrev_b32_e32 v5, 25, v5
	v_lshrrev_b32_e32 v7, 4, v5
	v_and_or_b32 v6, v6, s24, 0.5
	v_or_b32_e32 v7, 0x70000000, v7
	v_add_f32_e32 v6, -0.5, v6
	v_mul_f32_e32 v7, 0x7800000, v7
	v_cmp_gt_u32_e32 vcc, s25, v5
	v_cndmask_b32_e32 v5, v7, v6, vcc
	v_cmp_neq_f32_e32 vcc, 0, v5
	s_and_b64 s[24:25], vcc, exec
	s_or_b64 s[20:21], s[20:21], s[24:25]
.LBB214_1658:
	s_mov_b64 s[24:25], -1
.LBB214_1659:
	s_andn2_b64 vcc, exec, s[26:27]
	s_mov_b64 s[26:27], 0
	s_cbranch_vccnz .LBB214_1668
; %bb.1660:
	s_cmp_gt_i32 s30, 14
	s_cbranch_scc0 .LBB214_1663
; %bb.1661:
	s_cmp_eq_u32 s30, 15
	s_cbranch_scc0 .LBB214_1664
; %bb.1662:
	global_load_ushort v5, v[0:1], off
	s_mov_b64 s[0:1], 0
	s_mov_b64 s[24:25], -1
	s_waitcnt vmcnt(0)
	v_and_b32_e32 v5, 0x7fff, v5
	v_cmp_ne_u16_e64 s[20:21], 0, v5
	s_branch .LBB214_1665
.LBB214_1663:
	s_mov_b64 s[28:29], -1
                                        ; implicit-def: $sgpr20_sgpr21
	s_branch .LBB214_1666
.LBB214_1664:
	s_mov_b64 s[0:1], -1
                                        ; implicit-def: $sgpr20_sgpr21
.LBB214_1665:
	s_mov_b64 s[28:29], 0
.LBB214_1666:
	s_and_b64 vcc, exec, s[28:29]
	s_cbranch_vccz .LBB214_1668
; %bb.1667:
	s_cmp_lg_u32 s30, 11
	s_mov_b64 s[26:27], -1
	s_cselect_b64 s[0:1], -1, 0
.LBB214_1668:
	s_and_b64 vcc, exec, s[0:1]
	s_cbranch_vccnz .LBB214_1731
; %bb.1669:
	s_andn2_b64 vcc, exec, s[26:27]
	s_cbranch_vccnz .LBB214_1671
.LBB214_1670:
	global_load_ubyte v5, v[0:1], off
	s_andn2_b64 s[0:1], s[20:21], exec
	s_mov_b64 s[24:25], -1
	s_waitcnt vmcnt(0)
	v_cmp_ne_u16_e32 vcc, 0, v5
	s_and_b64 s[20:21], vcc, exec
	s_or_b64 s[20:21], s[0:1], s[20:21]
.LBB214_1671:
	s_branch .LBB214_1617
.LBB214_1672:
	s_and_b32 s26, 0xffff, s38
	s_cmp_lt_i32 s26, 5
	s_cbranch_scc1 .LBB214_1677
; %bb.1673:
	s_cmp_lt_i32 s26, 8
	s_cbranch_scc1 .LBB214_1678
; %bb.1674:
	;; [unrolled: 3-line block ×3, first 2 shown]
	s_cmp_gt_i32 s26, 9
	s_cbranch_scc0 .LBB214_1680
; %bb.1676:
	global_load_dwordx4 v[5:8], v[0:1], off
	s_mov_b64 s[24:25], 0
	s_waitcnt vmcnt(0)
	v_cmp_neq_f64_e32 vcc, 0, v[5:6]
	v_cmp_neq_f64_e64 s[0:1], 0, v[7:8]
	s_or_b64 s[20:21], vcc, s[0:1]
	s_branch .LBB214_1681
.LBB214_1677:
	s_mov_b64 s[0:1], -1
                                        ; implicit-def: $sgpr20_sgpr21
	s_branch .LBB214_1699
.LBB214_1678:
	s_mov_b64 s[0:1], -1
                                        ; implicit-def: $sgpr20_sgpr21
	s_branch .LBB214_1687
.LBB214_1679:
	s_mov_b64 s[0:1], -1
                                        ; implicit-def: $sgpr20_sgpr21
	s_branch .LBB214_1684
.LBB214_1680:
	s_mov_b64 s[24:25], -1
                                        ; implicit-def: $sgpr20_sgpr21
.LBB214_1681:
	s_andn2_b64 vcc, exec, s[24:25]
	s_cbranch_vccnz .LBB214_1683
; %bb.1682:
	global_load_dwordx2 v[5:6], v[0:1], off
	s_andn2_b64 s[0:1], s[20:21], exec
	s_waitcnt vmcnt(0)
	v_or_b32_e32 v5, v5, v6
	v_and_b32_e32 v5, 0x7fffffff, v5
	v_cmp_ne_u32_e32 vcc, 0, v5
	s_and_b64 s[20:21], vcc, exec
	s_or_b64 s[20:21], s[0:1], s[20:21]
.LBB214_1683:
	s_mov_b64 s[0:1], 0
.LBB214_1684:
	s_andn2_b64 vcc, exec, s[0:1]
	s_cbranch_vccnz .LBB214_1686
; %bb.1685:
	global_load_dword v5, v[0:1], off
	s_andn2_b64 s[0:1], s[20:21], exec
	s_waitcnt vmcnt(0)
	v_and_b32_e32 v5, 0x7fff7fff, v5
	v_cmp_ne_u32_e32 vcc, 0, v5
	s_and_b64 s[20:21], vcc, exec
	s_or_b64 s[20:21], s[0:1], s[20:21]
.LBB214_1686:
	s_mov_b64 s[0:1], 0
.LBB214_1687:
	s_andn2_b64 vcc, exec, s[0:1]
	s_cbranch_vccnz .LBB214_1698
; %bb.1688:
	s_cmp_lt_i32 s26, 6
	s_cbranch_scc1 .LBB214_1691
; %bb.1689:
	s_cmp_gt_i32 s26, 6
	s_cbranch_scc0 .LBB214_1692
; %bb.1690:
	global_load_dwordx2 v[5:6], v[0:1], off
	s_mov_b64 s[0:1], 0
	s_waitcnt vmcnt(0)
	v_cmp_neq_f64_e64 s[20:21], 0, v[5:6]
	s_branch .LBB214_1693
.LBB214_1691:
	s_mov_b64 s[0:1], -1
                                        ; implicit-def: $sgpr20_sgpr21
	s_branch .LBB214_1696
.LBB214_1692:
	s_mov_b64 s[0:1], -1
                                        ; implicit-def: $sgpr20_sgpr21
.LBB214_1693:
	s_andn2_b64 vcc, exec, s[0:1]
	s_cbranch_vccnz .LBB214_1695
; %bb.1694:
	global_load_dword v5, v[0:1], off
	s_andn2_b64 s[0:1], s[20:21], exec
	s_waitcnt vmcnt(0)
	v_cmp_neq_f32_e32 vcc, 0, v5
	s_and_b64 s[20:21], vcc, exec
	s_or_b64 s[20:21], s[0:1], s[20:21]
.LBB214_1695:
	s_mov_b64 s[0:1], 0
.LBB214_1696:
	s_andn2_b64 vcc, exec, s[0:1]
	s_cbranch_vccnz .LBB214_1698
; %bb.1697:
	global_load_ushort v5, v[0:1], off
	s_andn2_b64 s[0:1], s[20:21], exec
	s_waitcnt vmcnt(0)
	v_and_b32_e32 v5, 0x7fff, v5
	v_cmp_ne_u16_e32 vcc, 0, v5
	s_and_b64 s[20:21], vcc, exec
	s_or_b64 s[20:21], s[0:1], s[20:21]
.LBB214_1698:
	s_mov_b64 s[0:1], 0
.LBB214_1699:
	s_andn2_b64 vcc, exec, s[0:1]
	s_cbranch_vccnz .LBB214_1719
; %bb.1700:
	s_cmp_lt_i32 s26, 2
	s_cbranch_scc1 .LBB214_1704
; %bb.1701:
	s_cmp_lt_i32 s26, 3
	s_cbranch_scc1 .LBB214_1705
; %bb.1702:
	s_cmp_gt_i32 s26, 3
	s_cbranch_scc0 .LBB214_1706
; %bb.1703:
	global_load_dwordx2 v[5:6], v[0:1], off
	s_mov_b64 s[0:1], 0
	s_waitcnt vmcnt(0)
	v_cmp_ne_u64_e64 s[20:21], 0, v[5:6]
	s_branch .LBB214_1707
.LBB214_1704:
	s_mov_b64 s[0:1], -1
                                        ; implicit-def: $sgpr20_sgpr21
	s_branch .LBB214_1713
.LBB214_1705:
	s_mov_b64 s[0:1], -1
                                        ; implicit-def: $sgpr20_sgpr21
	s_branch .LBB214_1710
.LBB214_1706:
	s_mov_b64 s[0:1], -1
                                        ; implicit-def: $sgpr20_sgpr21
.LBB214_1707:
	s_andn2_b64 vcc, exec, s[0:1]
	s_cbranch_vccnz .LBB214_1709
; %bb.1708:
	global_load_dword v5, v[0:1], off
	s_andn2_b64 s[0:1], s[20:21], exec
	s_waitcnt vmcnt(0)
	v_cmp_ne_u32_e32 vcc, 0, v5
	s_and_b64 s[20:21], vcc, exec
	s_or_b64 s[20:21], s[0:1], s[20:21]
.LBB214_1709:
	s_mov_b64 s[0:1], 0
.LBB214_1710:
	s_andn2_b64 vcc, exec, s[0:1]
	s_cbranch_vccnz .LBB214_1712
; %bb.1711:
	global_load_ushort v5, v[0:1], off
	s_andn2_b64 s[0:1], s[20:21], exec
	s_waitcnt vmcnt(0)
	v_cmp_ne_u16_e32 vcc, 0, v5
	s_and_b64 s[20:21], vcc, exec
	s_or_b64 s[20:21], s[0:1], s[20:21]
.LBB214_1712:
	s_mov_b64 s[0:1], 0
.LBB214_1713:
	s_andn2_b64 vcc, exec, s[0:1]
	s_cbranch_vccnz .LBB214_1719
; %bb.1714:
	s_cmp_gt_i32 s26, 0
	s_cbranch_scc0 .LBB214_1716
; %bb.1715:
	global_load_ubyte v5, v[0:1], off
	s_mov_b64 s[0:1], 0
	s_waitcnt vmcnt(0)
	v_cmp_ne_u16_e64 s[20:21], 0, v5
	s_branch .LBB214_1717
.LBB214_1716:
	s_mov_b64 s[0:1], -1
                                        ; implicit-def: $sgpr20_sgpr21
.LBB214_1717:
	s_andn2_b64 vcc, exec, s[0:1]
	s_cbranch_vccnz .LBB214_1719
; %bb.1718:
	global_load_ubyte v0, v[0:1], off
	s_andn2_b64 s[0:1], s[20:21], exec
	s_waitcnt vmcnt(0)
	v_cmp_ne_u16_e32 vcc, 0, v0
	s_and_b64 s[20:21], vcc, exec
	s_or_b64 s[20:21], s[0:1], s[20:21]
.LBB214_1719:
.LBB214_1720:
	s_lshl_b32 s14, s14, 7
	v_add_u32_e32 v4, s14, v4
	v_ashrrev_i32_e32 v1, 31, v4
	v_mov_b32_e32 v5, s3
	v_add_co_u32_e32 v0, vcc, s2, v4
	s_cmp_lt_i32 s39, 11
	v_addc_co_u32_e32 v1, vcc, v5, v1, vcc
	s_cbranch_scc1 .LBB214_1727
; %bb.1721:
	s_and_b32 s34, 0xffff, s39
	s_cmp_gt_i32 s34, 25
	s_mov_b64 s[28:29], 0
	s_cbranch_scc0 .LBB214_1728
; %bb.1722:
	s_cmp_gt_i32 s34, 28
	s_cbranch_scc0 .LBB214_1729
; %bb.1723:
	s_cmp_gt_i32 s34, 43
	;; [unrolled: 3-line block ×3, first 2 shown]
	s_cbranch_scc0 .LBB214_1732
; %bb.1725:
	s_cmp_eq_u32 s34, 46
	s_mov_b64 s[30:31], 0
	s_cbranch_scc0 .LBB214_1733
; %bb.1726:
	global_load_dword v5, v[0:1], off
	s_mov_b64 s[0:1], 0
	s_mov_b64 s[24:25], -1
	s_waitcnt vmcnt(0)
	v_and_b32_e32 v5, 0x7fff7fff, v5
	v_cmp_ne_u32_e64 s[26:27], 0, v5
	s_branch .LBB214_1734
.LBB214_1727:
	s_mov_b64 s[0:1], -1
	s_mov_b64 s[24:25], 0
                                        ; implicit-def: $sgpr26_sgpr27
	s_branch .LBB214_1782
.LBB214_1728:
	s_mov_b64 s[30:31], -1
	s_mov_b64 s[24:25], 0
	s_mov_b64 s[0:1], 0
                                        ; implicit-def: $sgpr26_sgpr27
	s_branch .LBB214_1755
.LBB214_1729:
	s_mov_b64 s[30:31], -1
	s_mov_b64 s[24:25], 0
	s_mov_b64 s[0:1], 0
                                        ; implicit-def: $sgpr26_sgpr27
	s_branch .LBB214_1742
.LBB214_1730:
	s_mov_b64 s[30:31], -1
	s_mov_b64 s[24:25], 0
	s_mov_b64 s[0:1], 0
                                        ; implicit-def: $sgpr26_sgpr27
	s_branch .LBB214_1737
.LBB214_1731:
	s_trap 2
	s_mov_b64 s[24:25], 0
	s_or_b64 s[18:19], s[18:19], exec
	s_cbranch_execz .LBB214_1670
	s_branch .LBB214_1671
.LBB214_1732:
	s_mov_b64 s[30:31], -1
	s_mov_b64 s[24:25], 0
	s_mov_b64 s[0:1], 0
                                        ; implicit-def: $sgpr26_sgpr27
	s_branch .LBB214_1734
.LBB214_1733:
	s_mov_b64 s[0:1], -1
                                        ; implicit-def: $sgpr26_sgpr27
	s_mov_b64 s[24:25], 0
.LBB214_1734:
	s_and_b64 vcc, exec, s[30:31]
	s_cbranch_vccz .LBB214_1736
; %bb.1735:
	s_cmp_lg_u32 s34, 44
	s_mov_b64 s[24:25], -1
	s_cselect_b64 s[0:1], -1, 0
	s_or_b64 s[26:27], s[26:27], exec
.LBB214_1736:
	s_mov_b64 s[30:31], 0
.LBB214_1737:
	s_and_b64 vcc, exec, s[30:31]
	s_cbranch_vccz .LBB214_1741
; %bb.1738:
	s_cmp_eq_u32 s34, 29
	s_cbranch_scc0 .LBB214_1740
; %bb.1739:
	global_load_dwordx2 v[5:6], v[0:1], off
	s_mov_b64 s[0:1], 0
	s_mov_b64 s[24:25], -1
	s_mov_b64 s[30:31], 0
	s_waitcnt vmcnt(0)
	v_cmp_ne_u64_e64 s[26:27], 0, v[5:6]
	s_branch .LBB214_1742
.LBB214_1740:
	s_mov_b64 s[0:1], -1
                                        ; implicit-def: $sgpr26_sgpr27
.LBB214_1741:
	s_mov_b64 s[30:31], 0
.LBB214_1742:
	s_and_b64 vcc, exec, s[30:31]
	s_cbranch_vccz .LBB214_1754
; %bb.1743:
	s_cmp_lt_i32 s34, 27
	s_cbranch_scc1 .LBB214_1746
; %bb.1744:
	s_cmp_gt_i32 s34, 27
	s_cbranch_scc0 .LBB214_1747
; %bb.1745:
	global_load_dword v5, v[0:1], off
	s_mov_b64 s[24:25], 0
	s_waitcnt vmcnt(0)
	v_cmp_ne_u32_e64 s[26:27], 0, v5
	s_branch .LBB214_1748
.LBB214_1746:
	s_mov_b64 s[24:25], -1
                                        ; implicit-def: $sgpr26_sgpr27
	s_branch .LBB214_1751
.LBB214_1747:
	s_mov_b64 s[24:25], -1
                                        ; implicit-def: $sgpr26_sgpr27
.LBB214_1748:
	s_andn2_b64 vcc, exec, s[24:25]
	s_cbranch_vccnz .LBB214_1750
; %bb.1749:
	global_load_ushort v5, v[0:1], off
	s_andn2_b64 s[24:25], s[26:27], exec
	s_waitcnt vmcnt(0)
	v_cmp_ne_u16_e32 vcc, 0, v5
	s_and_b64 s[26:27], vcc, exec
	s_or_b64 s[26:27], s[24:25], s[26:27]
.LBB214_1750:
	s_mov_b64 s[24:25], 0
.LBB214_1751:
	s_andn2_b64 vcc, exec, s[24:25]
	s_cbranch_vccnz .LBB214_1753
; %bb.1752:
	global_load_ubyte v5, v[0:1], off
	s_andn2_b64 s[24:25], s[26:27], exec
	s_waitcnt vmcnt(0)
	v_cmp_ne_u16_e32 vcc, 0, v5
	s_and_b64 s[26:27], vcc, exec
	s_or_b64 s[26:27], s[24:25], s[26:27]
.LBB214_1753:
	s_mov_b64 s[24:25], -1
.LBB214_1754:
	s_mov_b64 s[30:31], 0
.LBB214_1755:
	s_and_b64 vcc, exec, s[30:31]
	s_cbranch_vccz .LBB214_1778
; %bb.1756:
	s_cmp_gt_i32 s34, 22
	s_cbranch_scc0 .LBB214_1760
; %bb.1757:
	s_cmp_lt_i32 s34, 24
	s_cbranch_scc1 .LBB214_1761
; %bb.1758:
	s_cmp_gt_i32 s34, 24
	s_cbranch_scc0 .LBB214_1762
; %bb.1759:
	global_load_ubyte v5, v[0:1], off
	s_mov_b64 s[24:25], 0
	s_waitcnt vmcnt(0)
	v_cmp_ne_u16_e64 s[26:27], 0, v5
	s_branch .LBB214_1763
.LBB214_1760:
	s_mov_b64 s[28:29], -1
                                        ; implicit-def: $sgpr26_sgpr27
	s_branch .LBB214_1769
.LBB214_1761:
	s_mov_b64 s[24:25], -1
                                        ; implicit-def: $sgpr26_sgpr27
	s_branch .LBB214_1766
.LBB214_1762:
	s_mov_b64 s[24:25], -1
                                        ; implicit-def: $sgpr26_sgpr27
.LBB214_1763:
	s_andn2_b64 vcc, exec, s[24:25]
	s_cbranch_vccnz .LBB214_1765
; %bb.1764:
	global_load_ubyte v5, v[0:1], off
	s_andn2_b64 s[24:25], s[26:27], exec
	s_waitcnt vmcnt(0)
	v_and_b32_e32 v5, 0x7f, v5
	v_cmp_ne_u16_e32 vcc, 0, v5
	s_and_b64 s[26:27], vcc, exec
	s_or_b64 s[26:27], s[24:25], s[26:27]
.LBB214_1765:
	s_mov_b64 s[24:25], 0
.LBB214_1766:
	s_andn2_b64 vcc, exec, s[24:25]
	s_cbranch_vccnz .LBB214_1768
; %bb.1767:
	global_load_ubyte v5, v[0:1], off
	s_movk_i32 s24, 0x7f00
	s_brev_b32 s25, 16
	s_waitcnt vmcnt(0)
	v_lshlrev_b32_e32 v6, 8, v5
	v_lshlrev_b32_e32 v5, 25, v5
	v_lshrrev_b32_e32 v7, 4, v5
	v_and_or_b32 v6, v6, s24, 0.5
	v_or_b32_e32 v7, 0x70000000, v7
	v_add_f32_e32 v6, -0.5, v6
	v_mul_f32_e32 v7, 0x7800000, v7
	v_cmp_gt_u32_e32 vcc, s25, v5
	v_cndmask_b32_e32 v5, v7, v6, vcc
	v_cmp_neq_f32_e32 vcc, 0, v5
	s_andn2_b64 s[24:25], s[26:27], exec
	s_and_b64 s[26:27], vcc, exec
	s_or_b64 s[26:27], s[24:25], s[26:27]
.LBB214_1768:
	s_mov_b64 s[24:25], -1
.LBB214_1769:
	s_andn2_b64 vcc, exec, s[28:29]
	s_mov_b64 s[28:29], 0
	s_cbranch_vccnz .LBB214_1778
; %bb.1770:
	s_cmp_gt_i32 s34, 14
	s_cbranch_scc0 .LBB214_1773
; %bb.1771:
	s_cmp_eq_u32 s34, 15
	s_cbranch_scc0 .LBB214_1774
; %bb.1772:
	global_load_ushort v5, v[0:1], off
	s_mov_b64 s[0:1], 0
	s_mov_b64 s[24:25], -1
	s_waitcnt vmcnt(0)
	v_and_b32_e32 v5, 0x7fff, v5
	v_cmp_ne_u16_e64 s[26:27], 0, v5
	s_branch .LBB214_1775
.LBB214_1773:
	s_mov_b64 s[30:31], -1
                                        ; implicit-def: $sgpr26_sgpr27
	s_branch .LBB214_1776
.LBB214_1774:
	s_mov_b64 s[0:1], -1
                                        ; implicit-def: $sgpr26_sgpr27
.LBB214_1775:
	s_mov_b64 s[30:31], 0
.LBB214_1776:
	s_and_b64 vcc, exec, s[30:31]
	s_cbranch_vccz .LBB214_1778
; %bb.1777:
	s_cmp_lg_u32 s34, 11
	s_mov_b64 s[28:29], -1
	s_cselect_b64 s[0:1], -1, 0
.LBB214_1778:
	s_and_b64 vcc, exec, s[0:1]
	s_cbranch_vccnz .LBB214_1843
; %bb.1779:
	s_andn2_b64 vcc, exec, s[28:29]
	s_cbranch_vccnz .LBB214_1781
.LBB214_1780:
	global_load_ubyte v5, v[0:1], off
	s_andn2_b64 s[0:1], s[26:27], exec
	s_mov_b64 s[24:25], -1
	s_waitcnt vmcnt(0)
	v_cmp_ne_u16_e32 vcc, 0, v5
	s_and_b64 s[26:27], vcc, exec
	s_or_b64 s[26:27], s[0:1], s[26:27]
.LBB214_1781:
	s_mov_b64 s[0:1], 0
.LBB214_1782:
	s_and_b64 vcc, exec, s[0:1]
	s_cbranch_vccz .LBB214_1831
; %bb.1783:
	s_and_b32 s28, 0xffff, s39
	s_cmp_lt_i32 s28, 5
	s_cbranch_scc1 .LBB214_1788
; %bb.1784:
	s_cmp_lt_i32 s28, 8
	s_cbranch_scc1 .LBB214_1789
; %bb.1785:
	;; [unrolled: 3-line block ×3, first 2 shown]
	s_cmp_gt_i32 s28, 9
	s_cbranch_scc0 .LBB214_1791
; %bb.1787:
	global_load_dwordx4 v[5:8], v[0:1], off
	s_mov_b64 s[24:25], 0
	s_waitcnt vmcnt(0)
	v_cmp_neq_f64_e32 vcc, 0, v[5:6]
	v_cmp_neq_f64_e64 s[0:1], 0, v[7:8]
	s_or_b64 s[26:27], vcc, s[0:1]
	s_branch .LBB214_1792
.LBB214_1788:
	s_mov_b64 s[0:1], -1
                                        ; implicit-def: $sgpr26_sgpr27
	s_branch .LBB214_1810
.LBB214_1789:
	s_mov_b64 s[0:1], -1
                                        ; implicit-def: $sgpr26_sgpr27
	s_branch .LBB214_1798
.LBB214_1790:
	s_mov_b64 s[0:1], -1
                                        ; implicit-def: $sgpr26_sgpr27
	s_branch .LBB214_1795
.LBB214_1791:
	s_mov_b64 s[24:25], -1
                                        ; implicit-def: $sgpr26_sgpr27
.LBB214_1792:
	s_andn2_b64 vcc, exec, s[24:25]
	s_cbranch_vccnz .LBB214_1794
; %bb.1793:
	global_load_dwordx2 v[5:6], v[0:1], off
	s_andn2_b64 s[0:1], s[26:27], exec
	s_waitcnt vmcnt(0)
	v_or_b32_e32 v5, v5, v6
	v_and_b32_e32 v5, 0x7fffffff, v5
	v_cmp_ne_u32_e32 vcc, 0, v5
	s_and_b64 s[24:25], vcc, exec
	s_or_b64 s[26:27], s[0:1], s[24:25]
.LBB214_1794:
	s_mov_b64 s[0:1], 0
.LBB214_1795:
	s_andn2_b64 vcc, exec, s[0:1]
	s_cbranch_vccnz .LBB214_1797
; %bb.1796:
	global_load_dword v5, v[0:1], off
	s_andn2_b64 s[0:1], s[26:27], exec
	s_waitcnt vmcnt(0)
	v_and_b32_e32 v5, 0x7fff7fff, v5
	v_cmp_ne_u32_e32 vcc, 0, v5
	s_and_b64 s[24:25], vcc, exec
	s_or_b64 s[26:27], s[0:1], s[24:25]
.LBB214_1797:
	s_mov_b64 s[0:1], 0
.LBB214_1798:
	s_andn2_b64 vcc, exec, s[0:1]
	s_cbranch_vccnz .LBB214_1809
; %bb.1799:
	s_cmp_lt_i32 s28, 6
	s_cbranch_scc1 .LBB214_1802
; %bb.1800:
	s_cmp_gt_i32 s28, 6
	s_cbranch_scc0 .LBB214_1803
; %bb.1801:
	global_load_dwordx2 v[5:6], v[0:1], off
	s_mov_b64 s[0:1], 0
	s_waitcnt vmcnt(0)
	v_cmp_neq_f64_e64 s[26:27], 0, v[5:6]
	s_branch .LBB214_1804
.LBB214_1802:
	s_mov_b64 s[0:1], -1
                                        ; implicit-def: $sgpr26_sgpr27
	s_branch .LBB214_1807
.LBB214_1803:
	s_mov_b64 s[0:1], -1
                                        ; implicit-def: $sgpr26_sgpr27
.LBB214_1804:
	s_andn2_b64 vcc, exec, s[0:1]
	s_cbranch_vccnz .LBB214_1806
; %bb.1805:
	global_load_dword v5, v[0:1], off
	s_andn2_b64 s[0:1], s[26:27], exec
	s_waitcnt vmcnt(0)
	v_cmp_neq_f32_e32 vcc, 0, v5
	s_and_b64 s[24:25], vcc, exec
	s_or_b64 s[26:27], s[0:1], s[24:25]
.LBB214_1806:
	s_mov_b64 s[0:1], 0
.LBB214_1807:
	s_andn2_b64 vcc, exec, s[0:1]
	s_cbranch_vccnz .LBB214_1809
; %bb.1808:
	global_load_ushort v5, v[0:1], off
	s_andn2_b64 s[0:1], s[26:27], exec
	s_waitcnt vmcnt(0)
	v_and_b32_e32 v5, 0x7fff, v5
	v_cmp_ne_u16_e32 vcc, 0, v5
	s_and_b64 s[24:25], vcc, exec
	s_or_b64 s[26:27], s[0:1], s[24:25]
.LBB214_1809:
	s_mov_b64 s[0:1], 0
.LBB214_1810:
	s_andn2_b64 vcc, exec, s[0:1]
	s_cbranch_vccnz .LBB214_1830
; %bb.1811:
	s_cmp_lt_i32 s28, 2
	s_cbranch_scc1 .LBB214_1815
; %bb.1812:
	s_cmp_lt_i32 s28, 3
	s_cbranch_scc1 .LBB214_1816
; %bb.1813:
	s_cmp_gt_i32 s28, 3
	s_cbranch_scc0 .LBB214_1817
; %bb.1814:
	global_load_dwordx2 v[5:6], v[0:1], off
	s_mov_b64 s[0:1], 0
	s_waitcnt vmcnt(0)
	v_cmp_ne_u64_e64 s[26:27], 0, v[5:6]
	s_branch .LBB214_1818
.LBB214_1815:
	s_mov_b64 s[0:1], -1
                                        ; implicit-def: $sgpr26_sgpr27
	s_branch .LBB214_1824
.LBB214_1816:
	s_mov_b64 s[0:1], -1
                                        ; implicit-def: $sgpr26_sgpr27
	s_branch .LBB214_1821
.LBB214_1817:
	s_mov_b64 s[0:1], -1
                                        ; implicit-def: $sgpr26_sgpr27
.LBB214_1818:
	s_andn2_b64 vcc, exec, s[0:1]
	s_cbranch_vccnz .LBB214_1820
; %bb.1819:
	global_load_dword v5, v[0:1], off
	s_andn2_b64 s[0:1], s[26:27], exec
	s_waitcnt vmcnt(0)
	v_cmp_ne_u32_e32 vcc, 0, v5
	s_and_b64 s[24:25], vcc, exec
	s_or_b64 s[26:27], s[0:1], s[24:25]
.LBB214_1820:
	s_mov_b64 s[0:1], 0
.LBB214_1821:
	s_andn2_b64 vcc, exec, s[0:1]
	s_cbranch_vccnz .LBB214_1823
; %bb.1822:
	global_load_ushort v5, v[0:1], off
	s_andn2_b64 s[0:1], s[26:27], exec
	s_waitcnt vmcnt(0)
	v_cmp_ne_u16_e32 vcc, 0, v5
	s_and_b64 s[24:25], vcc, exec
	s_or_b64 s[26:27], s[0:1], s[24:25]
.LBB214_1823:
	s_mov_b64 s[0:1], 0
.LBB214_1824:
	s_andn2_b64 vcc, exec, s[0:1]
	s_cbranch_vccnz .LBB214_1830
; %bb.1825:
	s_cmp_gt_i32 s28, 0
	s_cbranch_scc0 .LBB214_1827
; %bb.1826:
	global_load_ubyte v5, v[0:1], off
	s_mov_b64 s[0:1], 0
	s_waitcnt vmcnt(0)
	v_cmp_ne_u16_e64 s[26:27], 0, v5
	s_branch .LBB214_1828
.LBB214_1827:
	s_mov_b64 s[0:1], -1
                                        ; implicit-def: $sgpr26_sgpr27
.LBB214_1828:
	s_andn2_b64 vcc, exec, s[0:1]
	s_cbranch_vccnz .LBB214_1830
; %bb.1829:
	global_load_ubyte v0, v[0:1], off
	s_andn2_b64 s[0:1], s[26:27], exec
	s_waitcnt vmcnt(0)
	v_cmp_ne_u16_e32 vcc, 0, v0
	s_and_b64 s[24:25], vcc, exec
	s_or_b64 s[26:27], s[0:1], s[24:25]
.LBB214_1830:
	s_mov_b64 s[24:25], -1
.LBB214_1831:
	s_andn2_b64 vcc, exec, s[24:25]
	s_cbranch_vccnz .LBB214_2715
; %bb.1832:
	v_add_u32_e32 v3, s13, v3
	v_ashrrev_i32_e32 v1, 31, v3
	v_mov_b32_e32 v5, s11
	v_add_co_u32_e32 v0, vcc, s10, v3
	s_cmp_lt_i32 s38, 11
	v_addc_co_u32_e32 v1, vcc, v5, v1, vcc
	s_cbranch_scc1 .LBB214_1839
; %bb.1833:
	s_and_b32 s36, 0xffff, s38
	s_cmp_gt_i32 s36, 25
	s_mov_b64 s[30:31], 0
	s_cbranch_scc0 .LBB214_1840
; %bb.1834:
	s_cmp_gt_i32 s36, 28
	s_cbranch_scc0 .LBB214_1841
; %bb.1835:
	s_cmp_gt_i32 s36, 43
	s_cbranch_scc0 .LBB214_1842
; %bb.1836:
	s_cmp_gt_i32 s36, 45
	s_cbranch_scc0 .LBB214_1844
; %bb.1837:
	s_cmp_eq_u32 s36, 46
	s_mov_b64 s[34:35], 0
	s_cbranch_scc0 .LBB214_1845
; %bb.1838:
	global_load_dword v5, v[0:1], off
	s_mov_b64 s[0:1], 0
	s_mov_b64 s[28:29], -1
	s_waitcnt vmcnt(0)
	v_and_b32_e32 v5, 0x7fff7fff, v5
	v_cmp_ne_u32_e64 s[24:25], 0, v5
	s_branch .LBB214_1846
.LBB214_1839:
	s_mov_b64 s[0:1], -1
	s_mov_b64 s[28:29], 0
                                        ; implicit-def: $sgpr24_sgpr25
	s_branch .LBB214_1894
.LBB214_1840:
	s_mov_b64 s[34:35], -1
	s_mov_b64 s[28:29], 0
	s_mov_b64 s[0:1], 0
                                        ; implicit-def: $sgpr24_sgpr25
	s_branch .LBB214_1867
.LBB214_1841:
	s_mov_b64 s[34:35], -1
	s_mov_b64 s[28:29], 0
	s_mov_b64 s[0:1], 0
                                        ; implicit-def: $sgpr24_sgpr25
	s_branch .LBB214_1854
.LBB214_1842:
	s_mov_b64 s[34:35], -1
	s_mov_b64 s[28:29], 0
	s_mov_b64 s[0:1], 0
                                        ; implicit-def: $sgpr24_sgpr25
	s_branch .LBB214_1849
.LBB214_1843:
	s_trap 2
	s_mov_b64 s[24:25], 0
	s_or_b64 s[18:19], s[18:19], exec
	s_cbranch_execz .LBB214_1780
	s_branch .LBB214_1781
.LBB214_1844:
	s_mov_b64 s[34:35], -1
	s_mov_b64 s[28:29], 0
	s_mov_b64 s[0:1], 0
                                        ; implicit-def: $sgpr24_sgpr25
	s_branch .LBB214_1846
.LBB214_1845:
	s_mov_b64 s[0:1], -1
                                        ; implicit-def: $sgpr24_sgpr25
	s_mov_b64 s[28:29], 0
.LBB214_1846:
	s_and_b64 vcc, exec, s[34:35]
	s_cbranch_vccz .LBB214_1848
; %bb.1847:
	s_cmp_lg_u32 s36, 44
	s_mov_b64 s[28:29], -1
	s_cselect_b64 s[0:1], -1, 0
	s_or_b64 s[24:25], s[24:25], exec
.LBB214_1848:
	s_mov_b64 s[34:35], 0
.LBB214_1849:
	s_and_b64 vcc, exec, s[34:35]
	s_cbranch_vccz .LBB214_1853
; %bb.1850:
	s_cmp_eq_u32 s36, 29
	s_cbranch_scc0 .LBB214_1852
; %bb.1851:
	global_load_dwordx2 v[5:6], v[0:1], off
	s_mov_b64 s[0:1], 0
	s_mov_b64 s[28:29], -1
	s_mov_b64 s[34:35], 0
	s_waitcnt vmcnt(0)
	v_cmp_ne_u64_e64 s[24:25], 0, v[5:6]
	s_branch .LBB214_1854
.LBB214_1852:
	s_mov_b64 s[0:1], -1
                                        ; implicit-def: $sgpr24_sgpr25
.LBB214_1853:
	s_mov_b64 s[34:35], 0
.LBB214_1854:
	s_and_b64 vcc, exec, s[34:35]
	s_cbranch_vccz .LBB214_1866
; %bb.1855:
	s_cmp_lt_i32 s36, 27
	s_cbranch_scc1 .LBB214_1858
; %bb.1856:
	s_cmp_gt_i32 s36, 27
	s_cbranch_scc0 .LBB214_1859
; %bb.1857:
	global_load_dword v5, v[0:1], off
	s_mov_b64 s[28:29], 0
	s_waitcnt vmcnt(0)
	v_cmp_ne_u32_e64 s[24:25], 0, v5
	s_branch .LBB214_1860
.LBB214_1858:
	s_mov_b64 s[28:29], -1
                                        ; implicit-def: $sgpr24_sgpr25
	s_branch .LBB214_1863
.LBB214_1859:
	s_mov_b64 s[28:29], -1
                                        ; implicit-def: $sgpr24_sgpr25
.LBB214_1860:
	s_andn2_b64 vcc, exec, s[28:29]
	s_cbranch_vccnz .LBB214_1862
; %bb.1861:
	global_load_ushort v5, v[0:1], off
	s_andn2_b64 s[24:25], s[24:25], exec
	s_waitcnt vmcnt(0)
	v_cmp_ne_u16_e32 vcc, 0, v5
	s_and_b64 s[28:29], vcc, exec
	s_or_b64 s[24:25], s[24:25], s[28:29]
.LBB214_1862:
	s_mov_b64 s[28:29], 0
.LBB214_1863:
	s_andn2_b64 vcc, exec, s[28:29]
	s_cbranch_vccnz .LBB214_1865
; %bb.1864:
	global_load_ubyte v5, v[0:1], off
	s_andn2_b64 s[24:25], s[24:25], exec
	s_waitcnt vmcnt(0)
	v_cmp_ne_u16_e32 vcc, 0, v5
	s_and_b64 s[28:29], vcc, exec
	s_or_b64 s[24:25], s[24:25], s[28:29]
.LBB214_1865:
	s_mov_b64 s[28:29], -1
.LBB214_1866:
	s_mov_b64 s[34:35], 0
.LBB214_1867:
	s_and_b64 vcc, exec, s[34:35]
	s_cbranch_vccz .LBB214_1890
; %bb.1868:
	s_cmp_gt_i32 s36, 22
	s_cbranch_scc0 .LBB214_1872
; %bb.1869:
	s_cmp_lt_i32 s36, 24
	s_cbranch_scc1 .LBB214_1873
; %bb.1870:
	s_cmp_gt_i32 s36, 24
	s_cbranch_scc0 .LBB214_1874
; %bb.1871:
	global_load_ubyte v5, v[0:1], off
	s_mov_b64 s[28:29], 0
	s_waitcnt vmcnt(0)
	v_cmp_ne_u16_e64 s[24:25], 0, v5
	s_branch .LBB214_1875
.LBB214_1872:
	s_mov_b64 s[30:31], -1
                                        ; implicit-def: $sgpr24_sgpr25
	s_branch .LBB214_1881
.LBB214_1873:
	s_mov_b64 s[28:29], -1
                                        ; implicit-def: $sgpr24_sgpr25
	s_branch .LBB214_1878
.LBB214_1874:
	s_mov_b64 s[28:29], -1
                                        ; implicit-def: $sgpr24_sgpr25
.LBB214_1875:
	s_andn2_b64 vcc, exec, s[28:29]
	s_cbranch_vccnz .LBB214_1877
; %bb.1876:
	global_load_ubyte v5, v[0:1], off
	s_andn2_b64 s[24:25], s[24:25], exec
	s_waitcnt vmcnt(0)
	v_and_b32_e32 v5, 0x7f, v5
	v_cmp_ne_u16_e32 vcc, 0, v5
	s_and_b64 s[28:29], vcc, exec
	s_or_b64 s[24:25], s[24:25], s[28:29]
.LBB214_1877:
	s_mov_b64 s[28:29], 0
.LBB214_1878:
	s_andn2_b64 vcc, exec, s[28:29]
	s_cbranch_vccnz .LBB214_1880
; %bb.1879:
	global_load_ubyte v5, v[0:1], off
	s_movk_i32 s28, 0x7f00
	s_brev_b32 s29, 16
	s_andn2_b64 s[24:25], s[24:25], exec
	s_waitcnt vmcnt(0)
	v_lshlrev_b32_e32 v6, 8, v5
	v_lshlrev_b32_e32 v5, 25, v5
	v_lshrrev_b32_e32 v7, 4, v5
	v_and_or_b32 v6, v6, s28, 0.5
	v_or_b32_e32 v7, 0x70000000, v7
	v_add_f32_e32 v6, -0.5, v6
	v_mul_f32_e32 v7, 0x7800000, v7
	v_cmp_gt_u32_e32 vcc, s29, v5
	v_cndmask_b32_e32 v5, v7, v6, vcc
	v_cmp_neq_f32_e32 vcc, 0, v5
	s_and_b64 s[28:29], vcc, exec
	s_or_b64 s[24:25], s[24:25], s[28:29]
.LBB214_1880:
	s_mov_b64 s[28:29], -1
.LBB214_1881:
	s_andn2_b64 vcc, exec, s[30:31]
	s_mov_b64 s[30:31], 0
	s_cbranch_vccnz .LBB214_1890
; %bb.1882:
	s_cmp_gt_i32 s36, 14
	s_cbranch_scc0 .LBB214_1885
; %bb.1883:
	s_cmp_eq_u32 s36, 15
	s_cbranch_scc0 .LBB214_1886
; %bb.1884:
	global_load_ushort v5, v[0:1], off
	s_mov_b64 s[0:1], 0
	s_mov_b64 s[28:29], -1
	s_waitcnt vmcnt(0)
	v_and_b32_e32 v5, 0x7fff, v5
	v_cmp_ne_u16_e64 s[24:25], 0, v5
	s_branch .LBB214_1887
.LBB214_1885:
	s_mov_b64 s[34:35], -1
                                        ; implicit-def: $sgpr24_sgpr25
	s_branch .LBB214_1888
.LBB214_1886:
	s_mov_b64 s[0:1], -1
                                        ; implicit-def: $sgpr24_sgpr25
.LBB214_1887:
	s_mov_b64 s[34:35], 0
.LBB214_1888:
	s_and_b64 vcc, exec, s[34:35]
	s_cbranch_vccz .LBB214_1890
; %bb.1889:
	s_cmp_lg_u32 s36, 11
	s_mov_b64 s[30:31], -1
	s_cselect_b64 s[0:1], -1, 0
.LBB214_1890:
	s_and_b64 vcc, exec, s[0:1]
	s_cbranch_vccnz .LBB214_1955
; %bb.1891:
	s_andn2_b64 vcc, exec, s[30:31]
	s_cbranch_vccnz .LBB214_1893
.LBB214_1892:
	global_load_ubyte v5, v[0:1], off
	s_andn2_b64 s[0:1], s[24:25], exec
	s_mov_b64 s[28:29], -1
	s_waitcnt vmcnt(0)
	v_cmp_ne_u16_e32 vcc, 0, v5
	s_and_b64 s[24:25], vcc, exec
	s_or_b64 s[24:25], s[0:1], s[24:25]
.LBB214_1893:
	s_mov_b64 s[0:1], 0
.LBB214_1894:
	s_and_b64 vcc, exec, s[0:1]
	s_cbranch_vccz .LBB214_1943
; %bb.1895:
	s_and_b32 s30, 0xffff, s38
	s_cmp_lt_i32 s30, 5
	s_cbranch_scc1 .LBB214_1900
; %bb.1896:
	s_cmp_lt_i32 s30, 8
	s_cbranch_scc1 .LBB214_1901
; %bb.1897:
	;; [unrolled: 3-line block ×3, first 2 shown]
	s_cmp_gt_i32 s30, 9
	s_cbranch_scc0 .LBB214_1903
; %bb.1899:
	global_load_dwordx4 v[5:8], v[0:1], off
	s_mov_b64 s[28:29], 0
	s_waitcnt vmcnt(0)
	v_cmp_neq_f64_e32 vcc, 0, v[5:6]
	v_cmp_neq_f64_e64 s[0:1], 0, v[7:8]
	s_or_b64 s[24:25], vcc, s[0:1]
	s_branch .LBB214_1904
.LBB214_1900:
	s_mov_b64 s[0:1], -1
                                        ; implicit-def: $sgpr24_sgpr25
	s_branch .LBB214_1922
.LBB214_1901:
	s_mov_b64 s[0:1], -1
                                        ; implicit-def: $sgpr24_sgpr25
	s_branch .LBB214_1910
.LBB214_1902:
	s_mov_b64 s[0:1], -1
                                        ; implicit-def: $sgpr24_sgpr25
	s_branch .LBB214_1907
.LBB214_1903:
	s_mov_b64 s[28:29], -1
                                        ; implicit-def: $sgpr24_sgpr25
.LBB214_1904:
	s_andn2_b64 vcc, exec, s[28:29]
	s_cbranch_vccnz .LBB214_1906
; %bb.1905:
	global_load_dwordx2 v[5:6], v[0:1], off
	s_andn2_b64 s[0:1], s[24:25], exec
	s_waitcnt vmcnt(0)
	v_or_b32_e32 v5, v5, v6
	v_and_b32_e32 v5, 0x7fffffff, v5
	v_cmp_ne_u32_e32 vcc, 0, v5
	s_and_b64 s[24:25], vcc, exec
	s_or_b64 s[24:25], s[0:1], s[24:25]
.LBB214_1906:
	s_mov_b64 s[0:1], 0
.LBB214_1907:
	s_andn2_b64 vcc, exec, s[0:1]
	s_cbranch_vccnz .LBB214_1909
; %bb.1908:
	global_load_dword v5, v[0:1], off
	s_andn2_b64 s[0:1], s[24:25], exec
	s_waitcnt vmcnt(0)
	v_and_b32_e32 v5, 0x7fff7fff, v5
	v_cmp_ne_u32_e32 vcc, 0, v5
	s_and_b64 s[24:25], vcc, exec
	s_or_b64 s[24:25], s[0:1], s[24:25]
.LBB214_1909:
	s_mov_b64 s[0:1], 0
.LBB214_1910:
	s_andn2_b64 vcc, exec, s[0:1]
	s_cbranch_vccnz .LBB214_1921
; %bb.1911:
	s_cmp_lt_i32 s30, 6
	s_cbranch_scc1 .LBB214_1914
; %bb.1912:
	s_cmp_gt_i32 s30, 6
	s_cbranch_scc0 .LBB214_1915
; %bb.1913:
	global_load_dwordx2 v[5:6], v[0:1], off
	s_mov_b64 s[0:1], 0
	s_waitcnt vmcnt(0)
	v_cmp_neq_f64_e64 s[24:25], 0, v[5:6]
	s_branch .LBB214_1916
.LBB214_1914:
	s_mov_b64 s[0:1], -1
                                        ; implicit-def: $sgpr24_sgpr25
	s_branch .LBB214_1919
.LBB214_1915:
	s_mov_b64 s[0:1], -1
                                        ; implicit-def: $sgpr24_sgpr25
.LBB214_1916:
	s_andn2_b64 vcc, exec, s[0:1]
	s_cbranch_vccnz .LBB214_1918
; %bb.1917:
	global_load_dword v5, v[0:1], off
	s_andn2_b64 s[0:1], s[24:25], exec
	s_waitcnt vmcnt(0)
	v_cmp_neq_f32_e32 vcc, 0, v5
	s_and_b64 s[24:25], vcc, exec
	s_or_b64 s[24:25], s[0:1], s[24:25]
.LBB214_1918:
	s_mov_b64 s[0:1], 0
.LBB214_1919:
	s_andn2_b64 vcc, exec, s[0:1]
	s_cbranch_vccnz .LBB214_1921
; %bb.1920:
	global_load_ushort v5, v[0:1], off
	s_andn2_b64 s[0:1], s[24:25], exec
	s_waitcnt vmcnt(0)
	v_and_b32_e32 v5, 0x7fff, v5
	v_cmp_ne_u16_e32 vcc, 0, v5
	s_and_b64 s[24:25], vcc, exec
	s_or_b64 s[24:25], s[0:1], s[24:25]
.LBB214_1921:
	s_mov_b64 s[0:1], 0
.LBB214_1922:
	s_andn2_b64 vcc, exec, s[0:1]
	s_cbranch_vccnz .LBB214_1942
; %bb.1923:
	s_cmp_lt_i32 s30, 2
	s_cbranch_scc1 .LBB214_1927
; %bb.1924:
	s_cmp_lt_i32 s30, 3
	s_cbranch_scc1 .LBB214_1928
; %bb.1925:
	s_cmp_gt_i32 s30, 3
	s_cbranch_scc0 .LBB214_1929
; %bb.1926:
	global_load_dwordx2 v[5:6], v[0:1], off
	s_mov_b64 s[0:1], 0
	s_waitcnt vmcnt(0)
	v_cmp_ne_u64_e64 s[24:25], 0, v[5:6]
	s_branch .LBB214_1930
.LBB214_1927:
	s_mov_b64 s[0:1], -1
                                        ; implicit-def: $sgpr24_sgpr25
	s_branch .LBB214_1936
.LBB214_1928:
	s_mov_b64 s[0:1], -1
                                        ; implicit-def: $sgpr24_sgpr25
	s_branch .LBB214_1933
.LBB214_1929:
	s_mov_b64 s[0:1], -1
                                        ; implicit-def: $sgpr24_sgpr25
.LBB214_1930:
	s_andn2_b64 vcc, exec, s[0:1]
	s_cbranch_vccnz .LBB214_1932
; %bb.1931:
	global_load_dword v5, v[0:1], off
	s_andn2_b64 s[0:1], s[24:25], exec
	s_waitcnt vmcnt(0)
	v_cmp_ne_u32_e32 vcc, 0, v5
	s_and_b64 s[24:25], vcc, exec
	s_or_b64 s[24:25], s[0:1], s[24:25]
.LBB214_1932:
	s_mov_b64 s[0:1], 0
.LBB214_1933:
	s_andn2_b64 vcc, exec, s[0:1]
	s_cbranch_vccnz .LBB214_1935
; %bb.1934:
	global_load_ushort v5, v[0:1], off
	s_andn2_b64 s[0:1], s[24:25], exec
	s_waitcnt vmcnt(0)
	v_cmp_ne_u16_e32 vcc, 0, v5
	s_and_b64 s[24:25], vcc, exec
	s_or_b64 s[24:25], s[0:1], s[24:25]
.LBB214_1935:
	s_mov_b64 s[0:1], 0
.LBB214_1936:
	s_andn2_b64 vcc, exec, s[0:1]
	s_cbranch_vccnz .LBB214_1942
; %bb.1937:
	s_cmp_gt_i32 s30, 0
	s_cbranch_scc0 .LBB214_1939
; %bb.1938:
	global_load_ubyte v5, v[0:1], off
	s_mov_b64 s[0:1], 0
	s_waitcnt vmcnt(0)
	v_cmp_ne_u16_e64 s[24:25], 0, v5
	s_branch .LBB214_1940
.LBB214_1939:
	s_mov_b64 s[0:1], -1
                                        ; implicit-def: $sgpr24_sgpr25
.LBB214_1940:
	s_andn2_b64 vcc, exec, s[0:1]
	s_cbranch_vccnz .LBB214_1942
; %bb.1941:
	global_load_ubyte v0, v[0:1], off
	s_andn2_b64 s[0:1], s[24:25], exec
	s_waitcnt vmcnt(0)
	v_cmp_ne_u16_e32 vcc, 0, v0
	s_and_b64 s[24:25], vcc, exec
	s_or_b64 s[24:25], s[0:1], s[24:25]
.LBB214_1942:
	s_mov_b64 s[28:29], -1
.LBB214_1943:
	s_andn2_b64 vcc, exec, s[28:29]
	s_cbranch_vccnz .LBB214_2715
; %bb.1944:
	v_add_u32_e32 v4, s14, v4
	v_ashrrev_i32_e32 v1, 31, v4
	v_mov_b32_e32 v5, s3
	v_add_co_u32_e32 v0, vcc, s2, v4
	s_cmp_lt_i32 s39, 11
	v_addc_co_u32_e32 v1, vcc, v5, v1, vcc
	s_cbranch_scc1 .LBB214_1951
; %bb.1945:
	s_and_b32 s40, 0xffff, s39
	s_cmp_gt_i32 s40, 25
	s_mov_b64 s[34:35], 0
	s_cbranch_scc0 .LBB214_1952
; %bb.1946:
	s_cmp_gt_i32 s40, 28
	s_cbranch_scc0 .LBB214_1953
; %bb.1947:
	s_cmp_gt_i32 s40, 43
	s_cbranch_scc0 .LBB214_1954
; %bb.1948:
	s_cmp_gt_i32 s40, 45
	s_cbranch_scc0 .LBB214_1956
; %bb.1949:
	s_cmp_eq_u32 s40, 46
	s_mov_b64 s[36:37], 0
	s_cbranch_scc0 .LBB214_1959
; %bb.1950:
	global_load_dword v5, v[0:1], off
	s_mov_b64 s[0:1], 0
	s_mov_b64 s[30:31], -1
	s_waitcnt vmcnt(0)
	v_and_b32_e32 v5, 0x7fff7fff, v5
	v_cmp_ne_u32_e64 s[28:29], 0, v5
	s_branch .LBB214_1960
.LBB214_1951:
	s_mov_b64 s[0:1], -1
	s_mov_b64 s[30:31], 0
                                        ; implicit-def: $sgpr28_sgpr29
	s_branch .LBB214_2008
.LBB214_1952:
	s_mov_b64 s[36:37], -1
	s_mov_b64 s[30:31], 0
	s_mov_b64 s[0:1], 0
                                        ; implicit-def: $sgpr28_sgpr29
	s_branch .LBB214_1981
.LBB214_1953:
	s_mov_b64 s[36:37], -1
	s_mov_b64 s[30:31], 0
	s_mov_b64 s[0:1], 0
                                        ; implicit-def: $sgpr28_sgpr29
	s_branch .LBB214_1968
.LBB214_1954:
	s_mov_b64 s[36:37], -1
	s_mov_b64 s[30:31], 0
	s_mov_b64 s[0:1], 0
                                        ; implicit-def: $sgpr28_sgpr29
	s_branch .LBB214_1963
.LBB214_1955:
	s_trap 2
	s_mov_b64 s[28:29], 0
	s_or_b64 s[18:19], s[18:19], exec
	s_cbranch_execz .LBB214_1892
	s_branch .LBB214_1893
.LBB214_1956:
	s_mov_b64 s[36:37], -1
	s_mov_b64 s[30:31], 0
	s_mov_b64 s[0:1], 0
                                        ; implicit-def: $sgpr28_sgpr29
	s_branch .LBB214_1960
.LBB214_1957:
	s_andn2_saveexec_b64 s[46:47], s[46:47]
	s_cbranch_execz .LBB214_969
.LBB214_1958:
	v_add_f32_e32 v3, 0x42800000, v4
	v_and_b32_e32 v3, 0xff, v3
	v_cmp_ne_u32_e32 vcc, 0, v3
	s_andn2_b64 s[44:45], s[44:45], exec
	s_and_b64 s[50:51], vcc, exec
	s_or_b64 s[44:45], s[44:45], s[50:51]
	s_or_b64 exec, exec, s[46:47]
	v_mov_b32_e32 v5, 0
	s_and_saveexec_b64 s[46:47], s[44:45]
	s_cbranch_execnz .LBB214_970
	s_branch .LBB214_971
.LBB214_1959:
	s_mov_b64 s[0:1], -1
                                        ; implicit-def: $sgpr28_sgpr29
	s_mov_b64 s[30:31], 0
.LBB214_1960:
	s_and_b64 vcc, exec, s[36:37]
	s_cbranch_vccz .LBB214_1962
; %bb.1961:
	s_cmp_lg_u32 s40, 44
	s_mov_b64 s[30:31], -1
	s_cselect_b64 s[0:1], -1, 0
	s_or_b64 s[28:29], s[28:29], exec
.LBB214_1962:
	s_mov_b64 s[36:37], 0
.LBB214_1963:
	s_and_b64 vcc, exec, s[36:37]
	s_cbranch_vccz .LBB214_1967
; %bb.1964:
	s_cmp_eq_u32 s40, 29
	s_cbranch_scc0 .LBB214_1966
; %bb.1965:
	global_load_dwordx2 v[5:6], v[0:1], off
	s_mov_b64 s[0:1], 0
	s_mov_b64 s[30:31], -1
	s_mov_b64 s[36:37], 0
	s_waitcnt vmcnt(0)
	v_cmp_ne_u64_e64 s[28:29], 0, v[5:6]
	s_branch .LBB214_1968
.LBB214_1966:
	s_mov_b64 s[0:1], -1
                                        ; implicit-def: $sgpr28_sgpr29
.LBB214_1967:
	s_mov_b64 s[36:37], 0
.LBB214_1968:
	s_and_b64 vcc, exec, s[36:37]
	s_cbranch_vccz .LBB214_1980
; %bb.1969:
	s_cmp_lt_i32 s40, 27
	s_cbranch_scc1 .LBB214_1972
; %bb.1970:
	s_cmp_gt_i32 s40, 27
	s_cbranch_scc0 .LBB214_1973
; %bb.1971:
	global_load_dword v5, v[0:1], off
	s_mov_b64 s[30:31], 0
	s_waitcnt vmcnt(0)
	v_cmp_ne_u32_e64 s[28:29], 0, v5
	s_branch .LBB214_1974
.LBB214_1972:
	s_mov_b64 s[30:31], -1
                                        ; implicit-def: $sgpr28_sgpr29
	s_branch .LBB214_1977
.LBB214_1973:
	s_mov_b64 s[30:31], -1
                                        ; implicit-def: $sgpr28_sgpr29
.LBB214_1974:
	s_andn2_b64 vcc, exec, s[30:31]
	s_cbranch_vccnz .LBB214_1976
; %bb.1975:
	global_load_ushort v5, v[0:1], off
	s_andn2_b64 s[28:29], s[28:29], exec
	s_waitcnt vmcnt(0)
	v_cmp_ne_u16_e32 vcc, 0, v5
	s_and_b64 s[30:31], vcc, exec
	s_or_b64 s[28:29], s[28:29], s[30:31]
.LBB214_1976:
	s_mov_b64 s[30:31], 0
.LBB214_1977:
	s_andn2_b64 vcc, exec, s[30:31]
	s_cbranch_vccnz .LBB214_1979
; %bb.1978:
	global_load_ubyte v5, v[0:1], off
	s_andn2_b64 s[28:29], s[28:29], exec
	s_waitcnt vmcnt(0)
	v_cmp_ne_u16_e32 vcc, 0, v5
	s_and_b64 s[30:31], vcc, exec
	s_or_b64 s[28:29], s[28:29], s[30:31]
.LBB214_1979:
	s_mov_b64 s[30:31], -1
.LBB214_1980:
	s_mov_b64 s[36:37], 0
.LBB214_1981:
	s_and_b64 vcc, exec, s[36:37]
	s_cbranch_vccz .LBB214_2004
; %bb.1982:
	s_cmp_gt_i32 s40, 22
	s_cbranch_scc0 .LBB214_1986
; %bb.1983:
	s_cmp_lt_i32 s40, 24
	s_cbranch_scc1 .LBB214_1987
; %bb.1984:
	s_cmp_gt_i32 s40, 24
	s_cbranch_scc0 .LBB214_1988
; %bb.1985:
	global_load_ubyte v5, v[0:1], off
	s_mov_b64 s[30:31], 0
	s_waitcnt vmcnt(0)
	v_cmp_ne_u16_e64 s[28:29], 0, v5
	s_branch .LBB214_1989
.LBB214_1986:
	s_mov_b64 s[34:35], -1
                                        ; implicit-def: $sgpr28_sgpr29
	s_branch .LBB214_1995
.LBB214_1987:
	s_mov_b64 s[30:31], -1
                                        ; implicit-def: $sgpr28_sgpr29
	s_branch .LBB214_1992
.LBB214_1988:
	s_mov_b64 s[30:31], -1
                                        ; implicit-def: $sgpr28_sgpr29
.LBB214_1989:
	s_andn2_b64 vcc, exec, s[30:31]
	s_cbranch_vccnz .LBB214_1991
; %bb.1990:
	global_load_ubyte v5, v[0:1], off
	s_andn2_b64 s[28:29], s[28:29], exec
	s_waitcnt vmcnt(0)
	v_and_b32_e32 v5, 0x7f, v5
	v_cmp_ne_u16_e32 vcc, 0, v5
	s_and_b64 s[30:31], vcc, exec
	s_or_b64 s[28:29], s[28:29], s[30:31]
.LBB214_1991:
	s_mov_b64 s[30:31], 0
.LBB214_1992:
	s_andn2_b64 vcc, exec, s[30:31]
	s_cbranch_vccnz .LBB214_1994
; %bb.1993:
	global_load_ubyte v5, v[0:1], off
	s_movk_i32 s30, 0x7f00
	s_brev_b32 s31, 16
	s_andn2_b64 s[28:29], s[28:29], exec
	s_waitcnt vmcnt(0)
	v_lshlrev_b32_e32 v6, 8, v5
	v_lshlrev_b32_e32 v5, 25, v5
	v_lshrrev_b32_e32 v7, 4, v5
	v_and_or_b32 v6, v6, s30, 0.5
	v_or_b32_e32 v7, 0x70000000, v7
	v_add_f32_e32 v6, -0.5, v6
	v_mul_f32_e32 v7, 0x7800000, v7
	v_cmp_gt_u32_e32 vcc, s31, v5
	v_cndmask_b32_e32 v5, v7, v6, vcc
	v_cmp_neq_f32_e32 vcc, 0, v5
	s_and_b64 s[30:31], vcc, exec
	s_or_b64 s[28:29], s[28:29], s[30:31]
.LBB214_1994:
	s_mov_b64 s[30:31], -1
.LBB214_1995:
	s_andn2_b64 vcc, exec, s[34:35]
	s_mov_b64 s[34:35], 0
	s_cbranch_vccnz .LBB214_2004
; %bb.1996:
	s_cmp_gt_i32 s40, 14
	s_cbranch_scc0 .LBB214_1999
; %bb.1997:
	s_cmp_eq_u32 s40, 15
	s_cbranch_scc0 .LBB214_2000
; %bb.1998:
	global_load_ushort v5, v[0:1], off
	s_mov_b64 s[0:1], 0
	s_mov_b64 s[30:31], -1
	s_waitcnt vmcnt(0)
	v_and_b32_e32 v5, 0x7fff, v5
	v_cmp_ne_u16_e64 s[28:29], 0, v5
	s_branch .LBB214_2001
.LBB214_1999:
	s_mov_b64 s[36:37], -1
                                        ; implicit-def: $sgpr28_sgpr29
	s_branch .LBB214_2002
.LBB214_2000:
	s_mov_b64 s[0:1], -1
                                        ; implicit-def: $sgpr28_sgpr29
.LBB214_2001:
	s_mov_b64 s[36:37], 0
.LBB214_2002:
	s_and_b64 vcc, exec, s[36:37]
	s_cbranch_vccz .LBB214_2004
; %bb.2003:
	s_cmp_lg_u32 s40, 11
	s_mov_b64 s[34:35], -1
	s_cselect_b64 s[0:1], -1, 0
.LBB214_2004:
	s_and_b64 vcc, exec, s[0:1]
	s_cbranch_vccnz .LBB214_2069
; %bb.2005:
	s_andn2_b64 vcc, exec, s[34:35]
	s_cbranch_vccnz .LBB214_2007
.LBB214_2006:
	global_load_ubyte v5, v[0:1], off
	s_andn2_b64 s[0:1], s[28:29], exec
	s_mov_b64 s[30:31], -1
	s_waitcnt vmcnt(0)
	v_cmp_ne_u16_e32 vcc, 0, v5
	s_and_b64 s[28:29], vcc, exec
	s_or_b64 s[28:29], s[0:1], s[28:29]
.LBB214_2007:
	s_mov_b64 s[0:1], 0
.LBB214_2008:
	s_and_b64 vcc, exec, s[0:1]
	s_cbranch_vccz .LBB214_2057
; %bb.2009:
	s_and_b32 s34, 0xffff, s39
	s_cmp_lt_i32 s34, 5
	s_cbranch_scc1 .LBB214_2014
; %bb.2010:
	s_cmp_lt_i32 s34, 8
	s_cbranch_scc1 .LBB214_2015
; %bb.2011:
	;; [unrolled: 3-line block ×3, first 2 shown]
	s_cmp_gt_i32 s34, 9
	s_cbranch_scc0 .LBB214_2017
; %bb.2013:
	global_load_dwordx4 v[5:8], v[0:1], off
	s_mov_b64 s[30:31], 0
	s_waitcnt vmcnt(0)
	v_cmp_neq_f64_e32 vcc, 0, v[5:6]
	v_cmp_neq_f64_e64 s[0:1], 0, v[7:8]
	s_or_b64 s[28:29], vcc, s[0:1]
	s_branch .LBB214_2018
.LBB214_2014:
	s_mov_b64 s[0:1], -1
                                        ; implicit-def: $sgpr28_sgpr29
	s_branch .LBB214_2036
.LBB214_2015:
	s_mov_b64 s[0:1], -1
                                        ; implicit-def: $sgpr28_sgpr29
	s_branch .LBB214_2024
.LBB214_2016:
	s_mov_b64 s[0:1], -1
                                        ; implicit-def: $sgpr28_sgpr29
	s_branch .LBB214_2021
.LBB214_2017:
	s_mov_b64 s[30:31], -1
                                        ; implicit-def: $sgpr28_sgpr29
.LBB214_2018:
	s_andn2_b64 vcc, exec, s[30:31]
	s_cbranch_vccnz .LBB214_2020
; %bb.2019:
	global_load_dwordx2 v[5:6], v[0:1], off
	s_andn2_b64 s[0:1], s[28:29], exec
	s_waitcnt vmcnt(0)
	v_or_b32_e32 v5, v5, v6
	v_and_b32_e32 v5, 0x7fffffff, v5
	v_cmp_ne_u32_e32 vcc, 0, v5
	s_and_b64 s[28:29], vcc, exec
	s_or_b64 s[28:29], s[0:1], s[28:29]
.LBB214_2020:
	s_mov_b64 s[0:1], 0
.LBB214_2021:
	s_andn2_b64 vcc, exec, s[0:1]
	s_cbranch_vccnz .LBB214_2023
; %bb.2022:
	global_load_dword v5, v[0:1], off
	s_andn2_b64 s[0:1], s[28:29], exec
	s_waitcnt vmcnt(0)
	v_and_b32_e32 v5, 0x7fff7fff, v5
	v_cmp_ne_u32_e32 vcc, 0, v5
	s_and_b64 s[28:29], vcc, exec
	s_or_b64 s[28:29], s[0:1], s[28:29]
.LBB214_2023:
	s_mov_b64 s[0:1], 0
.LBB214_2024:
	s_andn2_b64 vcc, exec, s[0:1]
	s_cbranch_vccnz .LBB214_2035
; %bb.2025:
	s_cmp_lt_i32 s34, 6
	s_cbranch_scc1 .LBB214_2028
; %bb.2026:
	s_cmp_gt_i32 s34, 6
	s_cbranch_scc0 .LBB214_2029
; %bb.2027:
	global_load_dwordx2 v[5:6], v[0:1], off
	s_mov_b64 s[0:1], 0
	s_waitcnt vmcnt(0)
	v_cmp_neq_f64_e64 s[28:29], 0, v[5:6]
	s_branch .LBB214_2030
.LBB214_2028:
	s_mov_b64 s[0:1], -1
                                        ; implicit-def: $sgpr28_sgpr29
	s_branch .LBB214_2033
.LBB214_2029:
	s_mov_b64 s[0:1], -1
                                        ; implicit-def: $sgpr28_sgpr29
.LBB214_2030:
	s_andn2_b64 vcc, exec, s[0:1]
	s_cbranch_vccnz .LBB214_2032
; %bb.2031:
	global_load_dword v5, v[0:1], off
	s_andn2_b64 s[0:1], s[28:29], exec
	s_waitcnt vmcnt(0)
	v_cmp_neq_f32_e32 vcc, 0, v5
	s_and_b64 s[28:29], vcc, exec
	s_or_b64 s[28:29], s[0:1], s[28:29]
.LBB214_2032:
	s_mov_b64 s[0:1], 0
.LBB214_2033:
	s_andn2_b64 vcc, exec, s[0:1]
	s_cbranch_vccnz .LBB214_2035
; %bb.2034:
	global_load_ushort v5, v[0:1], off
	s_andn2_b64 s[0:1], s[28:29], exec
	s_waitcnt vmcnt(0)
	v_and_b32_e32 v5, 0x7fff, v5
	v_cmp_ne_u16_e32 vcc, 0, v5
	s_and_b64 s[28:29], vcc, exec
	s_or_b64 s[28:29], s[0:1], s[28:29]
.LBB214_2035:
	s_mov_b64 s[0:1], 0
.LBB214_2036:
	s_andn2_b64 vcc, exec, s[0:1]
	s_cbranch_vccnz .LBB214_2056
; %bb.2037:
	s_cmp_lt_i32 s34, 2
	s_cbranch_scc1 .LBB214_2041
; %bb.2038:
	s_cmp_lt_i32 s34, 3
	s_cbranch_scc1 .LBB214_2042
; %bb.2039:
	s_cmp_gt_i32 s34, 3
	s_cbranch_scc0 .LBB214_2043
; %bb.2040:
	global_load_dwordx2 v[5:6], v[0:1], off
	s_mov_b64 s[0:1], 0
	s_waitcnt vmcnt(0)
	v_cmp_ne_u64_e64 s[28:29], 0, v[5:6]
	s_branch .LBB214_2044
.LBB214_2041:
	s_mov_b64 s[0:1], -1
                                        ; implicit-def: $sgpr28_sgpr29
	s_branch .LBB214_2050
.LBB214_2042:
	s_mov_b64 s[0:1], -1
                                        ; implicit-def: $sgpr28_sgpr29
	s_branch .LBB214_2047
.LBB214_2043:
	s_mov_b64 s[0:1], -1
                                        ; implicit-def: $sgpr28_sgpr29
.LBB214_2044:
	s_andn2_b64 vcc, exec, s[0:1]
	s_cbranch_vccnz .LBB214_2046
; %bb.2045:
	global_load_dword v5, v[0:1], off
	s_andn2_b64 s[0:1], s[28:29], exec
	s_waitcnt vmcnt(0)
	v_cmp_ne_u32_e32 vcc, 0, v5
	s_and_b64 s[28:29], vcc, exec
	s_or_b64 s[28:29], s[0:1], s[28:29]
.LBB214_2046:
	s_mov_b64 s[0:1], 0
.LBB214_2047:
	s_andn2_b64 vcc, exec, s[0:1]
	s_cbranch_vccnz .LBB214_2049
; %bb.2048:
	global_load_ushort v5, v[0:1], off
	s_andn2_b64 s[0:1], s[28:29], exec
	s_waitcnt vmcnt(0)
	v_cmp_ne_u16_e32 vcc, 0, v5
	s_and_b64 s[28:29], vcc, exec
	s_or_b64 s[28:29], s[0:1], s[28:29]
.LBB214_2049:
	s_mov_b64 s[0:1], 0
.LBB214_2050:
	s_andn2_b64 vcc, exec, s[0:1]
	s_cbranch_vccnz .LBB214_2056
; %bb.2051:
	s_cmp_gt_i32 s34, 0
	s_cbranch_scc0 .LBB214_2053
; %bb.2052:
	global_load_ubyte v5, v[0:1], off
	s_mov_b64 s[0:1], 0
	s_waitcnt vmcnt(0)
	v_cmp_ne_u16_e64 s[28:29], 0, v5
	s_branch .LBB214_2054
.LBB214_2053:
	s_mov_b64 s[0:1], -1
                                        ; implicit-def: $sgpr28_sgpr29
.LBB214_2054:
	s_andn2_b64 vcc, exec, s[0:1]
	s_cbranch_vccnz .LBB214_2056
; %bb.2055:
	global_load_ubyte v0, v[0:1], off
	s_andn2_b64 s[0:1], s[28:29], exec
	s_waitcnt vmcnt(0)
	v_cmp_ne_u16_e32 vcc, 0, v0
	s_and_b64 s[28:29], vcc, exec
	s_or_b64 s[28:29], s[0:1], s[28:29]
.LBB214_2056:
	s_mov_b64 s[30:31], -1
.LBB214_2057:
	s_andn2_b64 vcc, exec, s[30:31]
	s_cbranch_vccnz .LBB214_2715
; %bb.2058:
	v_add_u32_e32 v0, s13, v3
	v_ashrrev_i32_e32 v1, 31, v0
	v_mov_b32_e32 v3, s11
	v_add_co_u32_e32 v0, vcc, s10, v0
	s_cmp_lt_i32 s38, 11
	v_addc_co_u32_e32 v1, vcc, v3, v1, vcc
	s_cbranch_scc1 .LBB214_2065
; %bb.2059:
	s_and_b32 s13, 0xffff, s38
	s_cmp_gt_i32 s13, 25
	s_mov_b64 s[34:35], 0
	s_cbranch_scc0 .LBB214_2066
; %bb.2060:
	s_cmp_gt_i32 s13, 28
	s_cbranch_scc0 .LBB214_2067
; %bb.2061:
	s_cmp_gt_i32 s13, 43
	;; [unrolled: 3-line block ×3, first 2 shown]
	s_cbranch_scc0 .LBB214_2070
; %bb.2063:
	s_cmp_eq_u32 s13, 46
	s_mov_b64 s[36:37], 0
	s_cbranch_scc0 .LBB214_2071
; %bb.2064:
	global_load_dword v3, v[0:1], off
	s_mov_b64 s[0:1], 0
	s_mov_b64 s[30:31], -1
	s_waitcnt vmcnt(0)
	v_and_b32_e32 v3, 0x7fff7fff, v3
	v_cmp_ne_u32_e64 s[10:11], 0, v3
	s_branch .LBB214_2072
.LBB214_2065:
	s_mov_b64 s[0:1], -1
	s_mov_b64 s[30:31], 0
                                        ; implicit-def: $sgpr10_sgpr11
	s_branch .LBB214_2120
.LBB214_2066:
	s_mov_b64 s[36:37], -1
	s_mov_b64 s[30:31], 0
	s_mov_b64 s[0:1], 0
                                        ; implicit-def: $sgpr10_sgpr11
	s_branch .LBB214_2093
.LBB214_2067:
	s_mov_b64 s[36:37], -1
	s_mov_b64 s[30:31], 0
	s_mov_b64 s[0:1], 0
                                        ; implicit-def: $sgpr10_sgpr11
	s_branch .LBB214_2080
.LBB214_2068:
	s_mov_b64 s[36:37], -1
	s_mov_b64 s[30:31], 0
	s_mov_b64 s[0:1], 0
                                        ; implicit-def: $sgpr10_sgpr11
	s_branch .LBB214_2075
.LBB214_2069:
	s_trap 2
	s_mov_b64 s[30:31], 0
	s_or_b64 s[18:19], s[18:19], exec
	s_cbranch_execz .LBB214_2006
	s_branch .LBB214_2007
.LBB214_2070:
	s_mov_b64 s[36:37], -1
	s_mov_b64 s[30:31], 0
	s_mov_b64 s[0:1], 0
                                        ; implicit-def: $sgpr10_sgpr11
	s_branch .LBB214_2072
.LBB214_2071:
	s_mov_b64 s[0:1], -1
                                        ; implicit-def: $sgpr10_sgpr11
	s_mov_b64 s[30:31], 0
.LBB214_2072:
	s_and_b64 vcc, exec, s[36:37]
	s_cbranch_vccz .LBB214_2074
; %bb.2073:
	s_cmp_lg_u32 s13, 44
	s_mov_b64 s[30:31], -1
	s_cselect_b64 s[0:1], -1, 0
	s_or_b64 s[10:11], s[10:11], exec
.LBB214_2074:
	s_mov_b64 s[36:37], 0
.LBB214_2075:
	s_and_b64 vcc, exec, s[36:37]
	s_cbranch_vccz .LBB214_2079
; %bb.2076:
	s_cmp_eq_u32 s13, 29
	s_cbranch_scc0 .LBB214_2078
; %bb.2077:
	global_load_dwordx2 v[5:6], v[0:1], off
	s_mov_b64 s[0:1], 0
	s_mov_b64 s[30:31], -1
	s_mov_b64 s[36:37], 0
	s_waitcnt vmcnt(0)
	v_cmp_ne_u64_e64 s[10:11], 0, v[5:6]
	s_branch .LBB214_2080
.LBB214_2078:
	s_mov_b64 s[0:1], -1
                                        ; implicit-def: $sgpr10_sgpr11
.LBB214_2079:
	s_mov_b64 s[36:37], 0
.LBB214_2080:
	s_and_b64 vcc, exec, s[36:37]
	s_cbranch_vccz .LBB214_2092
; %bb.2081:
	s_cmp_lt_i32 s13, 27
	s_cbranch_scc1 .LBB214_2084
; %bb.2082:
	s_cmp_gt_i32 s13, 27
	s_cbranch_scc0 .LBB214_2085
; %bb.2083:
	global_load_dword v3, v[0:1], off
	s_mov_b64 s[30:31], 0
	s_waitcnt vmcnt(0)
	v_cmp_ne_u32_e64 s[10:11], 0, v3
	s_branch .LBB214_2086
.LBB214_2084:
	s_mov_b64 s[30:31], -1
                                        ; implicit-def: $sgpr10_sgpr11
	s_branch .LBB214_2089
.LBB214_2085:
	s_mov_b64 s[30:31], -1
                                        ; implicit-def: $sgpr10_sgpr11
.LBB214_2086:
	s_andn2_b64 vcc, exec, s[30:31]
	s_cbranch_vccnz .LBB214_2088
; %bb.2087:
	global_load_ushort v3, v[0:1], off
	s_andn2_b64 s[10:11], s[10:11], exec
	s_waitcnt vmcnt(0)
	v_cmp_ne_u16_e32 vcc, 0, v3
	s_and_b64 s[30:31], vcc, exec
	s_or_b64 s[10:11], s[10:11], s[30:31]
.LBB214_2088:
	s_mov_b64 s[30:31], 0
.LBB214_2089:
	s_andn2_b64 vcc, exec, s[30:31]
	s_cbranch_vccnz .LBB214_2091
; %bb.2090:
	global_load_ubyte v3, v[0:1], off
	s_andn2_b64 s[10:11], s[10:11], exec
	s_waitcnt vmcnt(0)
	v_cmp_ne_u16_e32 vcc, 0, v3
	s_and_b64 s[30:31], vcc, exec
	s_or_b64 s[10:11], s[10:11], s[30:31]
.LBB214_2091:
	s_mov_b64 s[30:31], -1
.LBB214_2092:
	s_mov_b64 s[36:37], 0
.LBB214_2093:
	s_and_b64 vcc, exec, s[36:37]
	s_cbranch_vccz .LBB214_2116
; %bb.2094:
	s_cmp_gt_i32 s13, 22
	s_cbranch_scc0 .LBB214_2098
; %bb.2095:
	s_cmp_lt_i32 s13, 24
	s_cbranch_scc1 .LBB214_2099
; %bb.2096:
	s_cmp_gt_i32 s13, 24
	s_cbranch_scc0 .LBB214_2100
; %bb.2097:
	global_load_ubyte v3, v[0:1], off
	s_mov_b64 s[30:31], 0
	s_waitcnt vmcnt(0)
	v_cmp_ne_u16_e64 s[10:11], 0, v3
	s_branch .LBB214_2101
.LBB214_2098:
	s_mov_b64 s[34:35], -1
                                        ; implicit-def: $sgpr10_sgpr11
	s_branch .LBB214_2107
.LBB214_2099:
	s_mov_b64 s[30:31], -1
                                        ; implicit-def: $sgpr10_sgpr11
	s_branch .LBB214_2104
.LBB214_2100:
	s_mov_b64 s[30:31], -1
                                        ; implicit-def: $sgpr10_sgpr11
.LBB214_2101:
	s_andn2_b64 vcc, exec, s[30:31]
	s_cbranch_vccnz .LBB214_2103
; %bb.2102:
	global_load_ubyte v3, v[0:1], off
	s_andn2_b64 s[10:11], s[10:11], exec
	s_waitcnt vmcnt(0)
	v_and_b32_e32 v3, 0x7f, v3
	v_cmp_ne_u16_e32 vcc, 0, v3
	s_and_b64 s[30:31], vcc, exec
	s_or_b64 s[10:11], s[10:11], s[30:31]
.LBB214_2103:
	s_mov_b64 s[30:31], 0
.LBB214_2104:
	s_andn2_b64 vcc, exec, s[30:31]
	s_cbranch_vccnz .LBB214_2106
; %bb.2105:
	global_load_ubyte v3, v[0:1], off
	s_movk_i32 s30, 0x7f00
	s_brev_b32 s31, 16
	s_andn2_b64 s[10:11], s[10:11], exec
	s_waitcnt vmcnt(0)
	v_lshlrev_b32_e32 v5, 8, v3
	v_lshlrev_b32_e32 v3, 25, v3
	v_lshrrev_b32_e32 v6, 4, v3
	v_and_or_b32 v5, v5, s30, 0.5
	v_or_b32_e32 v6, 0x70000000, v6
	v_add_f32_e32 v5, -0.5, v5
	v_mul_f32_e32 v6, 0x7800000, v6
	v_cmp_gt_u32_e32 vcc, s31, v3
	v_cndmask_b32_e32 v3, v6, v5, vcc
	v_cmp_neq_f32_e32 vcc, 0, v3
	s_and_b64 s[30:31], vcc, exec
	s_or_b64 s[10:11], s[10:11], s[30:31]
.LBB214_2106:
	s_mov_b64 s[30:31], -1
.LBB214_2107:
	s_andn2_b64 vcc, exec, s[34:35]
	s_mov_b64 s[34:35], 0
	s_cbranch_vccnz .LBB214_2116
; %bb.2108:
	s_cmp_gt_i32 s13, 14
	s_cbranch_scc0 .LBB214_2111
; %bb.2109:
	s_cmp_eq_u32 s13, 15
	s_cbranch_scc0 .LBB214_2112
; %bb.2110:
	global_load_ushort v3, v[0:1], off
	s_mov_b64 s[0:1], 0
	s_mov_b64 s[30:31], -1
	s_waitcnt vmcnt(0)
	v_and_b32_e32 v3, 0x7fff, v3
	v_cmp_ne_u16_e64 s[10:11], 0, v3
	s_branch .LBB214_2113
.LBB214_2111:
	s_mov_b64 s[36:37], -1
                                        ; implicit-def: $sgpr10_sgpr11
	s_branch .LBB214_2114
.LBB214_2112:
	s_mov_b64 s[0:1], -1
                                        ; implicit-def: $sgpr10_sgpr11
.LBB214_2113:
	s_mov_b64 s[36:37], 0
.LBB214_2114:
	s_and_b64 vcc, exec, s[36:37]
	s_cbranch_vccz .LBB214_2116
; %bb.2115:
	s_cmp_lg_u32 s13, 11
	s_mov_b64 s[34:35], -1
	s_cselect_b64 s[0:1], -1, 0
.LBB214_2116:
	s_and_b64 vcc, exec, s[0:1]
	s_cbranch_vccnz .LBB214_2181
; %bb.2117:
	s_andn2_b64 vcc, exec, s[34:35]
	s_cbranch_vccnz .LBB214_2119
.LBB214_2118:
	global_load_ubyte v3, v[0:1], off
	s_andn2_b64 s[0:1], s[10:11], exec
	s_mov_b64 s[30:31], -1
	s_waitcnt vmcnt(0)
	v_cmp_ne_u16_e32 vcc, 0, v3
	s_and_b64 s[10:11], vcc, exec
	s_or_b64 s[10:11], s[0:1], s[10:11]
.LBB214_2119:
	s_mov_b64 s[0:1], 0
.LBB214_2120:
	s_and_b64 vcc, exec, s[0:1]
	s_cbranch_vccz .LBB214_2169
; %bb.2121:
	s_and_b32 s13, 0xffff, s38
	s_cmp_lt_i32 s13, 5
	s_cbranch_scc1 .LBB214_2126
; %bb.2122:
	s_cmp_lt_i32 s13, 8
	s_cbranch_scc1 .LBB214_2127
; %bb.2123:
	;; [unrolled: 3-line block ×3, first 2 shown]
	s_cmp_gt_i32 s13, 9
	s_cbranch_scc0 .LBB214_2129
; %bb.2125:
	global_load_dwordx4 v[5:8], v[0:1], off
	s_mov_b64 s[30:31], 0
	s_waitcnt vmcnt(0)
	v_cmp_neq_f64_e32 vcc, 0, v[5:6]
	v_cmp_neq_f64_e64 s[0:1], 0, v[7:8]
	s_or_b64 s[10:11], vcc, s[0:1]
	s_branch .LBB214_2130
.LBB214_2126:
	s_mov_b64 s[0:1], -1
                                        ; implicit-def: $sgpr10_sgpr11
	s_branch .LBB214_2148
.LBB214_2127:
	s_mov_b64 s[0:1], -1
                                        ; implicit-def: $sgpr10_sgpr11
	s_branch .LBB214_2136
.LBB214_2128:
	s_mov_b64 s[0:1], -1
                                        ; implicit-def: $sgpr10_sgpr11
	s_branch .LBB214_2133
.LBB214_2129:
	s_mov_b64 s[30:31], -1
                                        ; implicit-def: $sgpr10_sgpr11
.LBB214_2130:
	s_andn2_b64 vcc, exec, s[30:31]
	s_cbranch_vccnz .LBB214_2132
; %bb.2131:
	global_load_dwordx2 v[5:6], v[0:1], off
	s_andn2_b64 s[0:1], s[10:11], exec
	s_waitcnt vmcnt(0)
	v_or_b32_e32 v3, v5, v6
	v_and_b32_e32 v3, 0x7fffffff, v3
	v_cmp_ne_u32_e32 vcc, 0, v3
	s_and_b64 s[10:11], vcc, exec
	s_or_b64 s[10:11], s[0:1], s[10:11]
.LBB214_2132:
	s_mov_b64 s[0:1], 0
.LBB214_2133:
	s_andn2_b64 vcc, exec, s[0:1]
	s_cbranch_vccnz .LBB214_2135
; %bb.2134:
	global_load_dword v3, v[0:1], off
	s_andn2_b64 s[0:1], s[10:11], exec
	s_waitcnt vmcnt(0)
	v_and_b32_e32 v3, 0x7fff7fff, v3
	v_cmp_ne_u32_e32 vcc, 0, v3
	s_and_b64 s[10:11], vcc, exec
	s_or_b64 s[10:11], s[0:1], s[10:11]
.LBB214_2135:
	s_mov_b64 s[0:1], 0
.LBB214_2136:
	s_andn2_b64 vcc, exec, s[0:1]
	s_cbranch_vccnz .LBB214_2147
; %bb.2137:
	s_cmp_lt_i32 s13, 6
	s_cbranch_scc1 .LBB214_2140
; %bb.2138:
	s_cmp_gt_i32 s13, 6
	s_cbranch_scc0 .LBB214_2141
; %bb.2139:
	global_load_dwordx2 v[5:6], v[0:1], off
	s_mov_b64 s[0:1], 0
	s_waitcnt vmcnt(0)
	v_cmp_neq_f64_e64 s[10:11], 0, v[5:6]
	s_branch .LBB214_2142
.LBB214_2140:
	s_mov_b64 s[0:1], -1
                                        ; implicit-def: $sgpr10_sgpr11
	s_branch .LBB214_2145
.LBB214_2141:
	s_mov_b64 s[0:1], -1
                                        ; implicit-def: $sgpr10_sgpr11
.LBB214_2142:
	s_andn2_b64 vcc, exec, s[0:1]
	s_cbranch_vccnz .LBB214_2144
; %bb.2143:
	global_load_dword v3, v[0:1], off
	s_andn2_b64 s[0:1], s[10:11], exec
	s_waitcnt vmcnt(0)
	v_cmp_neq_f32_e32 vcc, 0, v3
	s_and_b64 s[10:11], vcc, exec
	s_or_b64 s[10:11], s[0:1], s[10:11]
.LBB214_2144:
	s_mov_b64 s[0:1], 0
.LBB214_2145:
	s_andn2_b64 vcc, exec, s[0:1]
	s_cbranch_vccnz .LBB214_2147
; %bb.2146:
	global_load_ushort v3, v[0:1], off
	s_andn2_b64 s[0:1], s[10:11], exec
	s_waitcnt vmcnt(0)
	v_and_b32_e32 v3, 0x7fff, v3
	v_cmp_ne_u16_e32 vcc, 0, v3
	s_and_b64 s[10:11], vcc, exec
	s_or_b64 s[10:11], s[0:1], s[10:11]
.LBB214_2147:
	s_mov_b64 s[0:1], 0
.LBB214_2148:
	s_andn2_b64 vcc, exec, s[0:1]
	s_cbranch_vccnz .LBB214_2168
; %bb.2149:
	s_cmp_lt_i32 s13, 2
	s_cbranch_scc1 .LBB214_2153
; %bb.2150:
	s_cmp_lt_i32 s13, 3
	s_cbranch_scc1 .LBB214_2154
; %bb.2151:
	s_cmp_gt_i32 s13, 3
	s_cbranch_scc0 .LBB214_2155
; %bb.2152:
	global_load_dwordx2 v[5:6], v[0:1], off
	s_mov_b64 s[0:1], 0
	s_waitcnt vmcnt(0)
	v_cmp_ne_u64_e64 s[10:11], 0, v[5:6]
	s_branch .LBB214_2156
.LBB214_2153:
	s_mov_b64 s[0:1], -1
                                        ; implicit-def: $sgpr10_sgpr11
	s_branch .LBB214_2162
.LBB214_2154:
	s_mov_b64 s[0:1], -1
                                        ; implicit-def: $sgpr10_sgpr11
	s_branch .LBB214_2159
.LBB214_2155:
	s_mov_b64 s[0:1], -1
                                        ; implicit-def: $sgpr10_sgpr11
.LBB214_2156:
	s_andn2_b64 vcc, exec, s[0:1]
	s_cbranch_vccnz .LBB214_2158
; %bb.2157:
	global_load_dword v3, v[0:1], off
	s_andn2_b64 s[0:1], s[10:11], exec
	s_waitcnt vmcnt(0)
	v_cmp_ne_u32_e32 vcc, 0, v3
	s_and_b64 s[10:11], vcc, exec
	s_or_b64 s[10:11], s[0:1], s[10:11]
.LBB214_2158:
	s_mov_b64 s[0:1], 0
.LBB214_2159:
	s_andn2_b64 vcc, exec, s[0:1]
	s_cbranch_vccnz .LBB214_2161
; %bb.2160:
	global_load_ushort v3, v[0:1], off
	s_andn2_b64 s[0:1], s[10:11], exec
	s_waitcnt vmcnt(0)
	v_cmp_ne_u16_e32 vcc, 0, v3
	s_and_b64 s[10:11], vcc, exec
	s_or_b64 s[10:11], s[0:1], s[10:11]
.LBB214_2161:
	s_mov_b64 s[0:1], 0
.LBB214_2162:
	s_andn2_b64 vcc, exec, s[0:1]
	s_cbranch_vccnz .LBB214_2168
; %bb.2163:
	s_cmp_gt_i32 s13, 0
	s_cbranch_scc0 .LBB214_2165
; %bb.2164:
	global_load_ubyte v3, v[0:1], off
	s_mov_b64 s[0:1], 0
	s_waitcnt vmcnt(0)
	v_cmp_ne_u16_e64 s[10:11], 0, v3
	s_branch .LBB214_2166
.LBB214_2165:
	s_mov_b64 s[0:1], -1
                                        ; implicit-def: $sgpr10_sgpr11
.LBB214_2166:
	s_andn2_b64 vcc, exec, s[0:1]
	s_cbranch_vccnz .LBB214_2168
; %bb.2167:
	global_load_ubyte v0, v[0:1], off
	s_andn2_b64 s[0:1], s[10:11], exec
	s_waitcnt vmcnt(0)
	v_cmp_ne_u16_e32 vcc, 0, v0
	s_and_b64 s[10:11], vcc, exec
	s_or_b64 s[10:11], s[0:1], s[10:11]
.LBB214_2168:
	s_mov_b64 s[30:31], -1
.LBB214_2169:
	s_andn2_b64 vcc, exec, s[30:31]
	s_cbranch_vccnz .LBB214_2715
; %bb.2170:
	v_add_u32_e32 v0, s14, v4
	v_ashrrev_i32_e32 v1, 31, v0
	v_mov_b32_e32 v3, s3
	v_add_co_u32_e32 v0, vcc, s2, v0
	s_cmp_lt_i32 s39, 11
	v_addc_co_u32_e32 v1, vcc, v3, v1, vcc
	s_cbranch_scc1 .LBB214_2177
; %bb.2171:
	s_and_b32 s13, 0xffff, s39
	s_cmp_gt_i32 s13, 25
	s_mov_b64 s[34:35], 0
	s_cbranch_scc0 .LBB214_2178
; %bb.2172:
	s_cmp_gt_i32 s13, 28
	s_cbranch_scc0 .LBB214_2179
; %bb.2173:
	s_cmp_gt_i32 s13, 43
	;; [unrolled: 3-line block ×3, first 2 shown]
	s_cbranch_scc0 .LBB214_2182
; %bb.2175:
	s_cmp_eq_u32 s13, 46
	s_mov_b64 s[36:37], 0
	s_cbranch_scc0 .LBB214_2183
; %bb.2176:
	global_load_dword v3, v[0:1], off
	s_mov_b64 s[0:1], 0
	s_mov_b64 s[30:31], -1
	s_waitcnt vmcnt(0)
	v_and_b32_e32 v3, 0x7fff7fff, v3
	v_cmp_ne_u32_e64 s[2:3], 0, v3
	s_branch .LBB214_2184
.LBB214_2177:
	s_mov_b64 s[0:1], -1
	s_mov_b64 s[30:31], 0
                                        ; implicit-def: $sgpr2_sgpr3
	s_branch .LBB214_2232
.LBB214_2178:
	s_mov_b64 s[36:37], -1
	s_mov_b64 s[30:31], 0
	s_mov_b64 s[0:1], 0
                                        ; implicit-def: $sgpr2_sgpr3
	s_branch .LBB214_2205
.LBB214_2179:
	s_mov_b64 s[36:37], -1
	s_mov_b64 s[30:31], 0
	s_mov_b64 s[0:1], 0
                                        ; implicit-def: $sgpr2_sgpr3
	s_branch .LBB214_2192
.LBB214_2180:
	s_mov_b64 s[36:37], -1
	s_mov_b64 s[30:31], 0
	s_mov_b64 s[0:1], 0
                                        ; implicit-def: $sgpr2_sgpr3
	s_branch .LBB214_2187
.LBB214_2181:
	s_trap 2
	s_mov_b64 s[30:31], 0
	s_or_b64 s[18:19], s[18:19], exec
	s_cbranch_execz .LBB214_2118
	s_branch .LBB214_2119
.LBB214_2182:
	s_mov_b64 s[36:37], -1
	s_mov_b64 s[30:31], 0
	s_mov_b64 s[0:1], 0
                                        ; implicit-def: $sgpr2_sgpr3
	s_branch .LBB214_2184
.LBB214_2183:
	s_mov_b64 s[0:1], -1
                                        ; implicit-def: $sgpr2_sgpr3
	s_mov_b64 s[30:31], 0
.LBB214_2184:
	s_and_b64 vcc, exec, s[36:37]
	s_cbranch_vccz .LBB214_2186
; %bb.2185:
	s_cmp_lg_u32 s13, 44
	s_mov_b64 s[30:31], -1
	s_cselect_b64 s[0:1], -1, 0
	s_or_b64 s[2:3], s[2:3], exec
.LBB214_2186:
	s_mov_b64 s[36:37], 0
.LBB214_2187:
	s_and_b64 vcc, exec, s[36:37]
	s_cbranch_vccz .LBB214_2191
; %bb.2188:
	s_cmp_eq_u32 s13, 29
	s_cbranch_scc0 .LBB214_2190
; %bb.2189:
	global_load_dwordx2 v[3:4], v[0:1], off
	s_mov_b64 s[0:1], 0
	s_mov_b64 s[30:31], -1
	s_mov_b64 s[36:37], 0
	s_waitcnt vmcnt(0)
	v_cmp_ne_u64_e64 s[2:3], 0, v[3:4]
	s_branch .LBB214_2192
.LBB214_2190:
	s_mov_b64 s[0:1], -1
                                        ; implicit-def: $sgpr2_sgpr3
.LBB214_2191:
	s_mov_b64 s[36:37], 0
.LBB214_2192:
	s_and_b64 vcc, exec, s[36:37]
	s_cbranch_vccz .LBB214_2204
; %bb.2193:
	s_cmp_lt_i32 s13, 27
	s_cbranch_scc1 .LBB214_2196
; %bb.2194:
	s_cmp_gt_i32 s13, 27
	s_cbranch_scc0 .LBB214_2197
; %bb.2195:
	global_load_dword v3, v[0:1], off
	s_mov_b64 s[30:31], 0
	s_waitcnt vmcnt(0)
	v_cmp_ne_u32_e64 s[2:3], 0, v3
	s_branch .LBB214_2198
.LBB214_2196:
	s_mov_b64 s[30:31], -1
                                        ; implicit-def: $sgpr2_sgpr3
	s_branch .LBB214_2201
.LBB214_2197:
	s_mov_b64 s[30:31], -1
                                        ; implicit-def: $sgpr2_sgpr3
.LBB214_2198:
	s_andn2_b64 vcc, exec, s[30:31]
	s_cbranch_vccnz .LBB214_2200
; %bb.2199:
	global_load_ushort v3, v[0:1], off
	s_andn2_b64 s[2:3], s[2:3], exec
	s_waitcnt vmcnt(0)
	v_cmp_ne_u16_e32 vcc, 0, v3
	s_and_b64 s[30:31], vcc, exec
	s_or_b64 s[2:3], s[2:3], s[30:31]
.LBB214_2200:
	s_mov_b64 s[30:31], 0
.LBB214_2201:
	s_andn2_b64 vcc, exec, s[30:31]
	s_cbranch_vccnz .LBB214_2203
; %bb.2202:
	global_load_ubyte v3, v[0:1], off
	s_andn2_b64 s[2:3], s[2:3], exec
	s_waitcnt vmcnt(0)
	v_cmp_ne_u16_e32 vcc, 0, v3
	s_and_b64 s[30:31], vcc, exec
	s_or_b64 s[2:3], s[2:3], s[30:31]
.LBB214_2203:
	s_mov_b64 s[30:31], -1
.LBB214_2204:
	s_mov_b64 s[36:37], 0
.LBB214_2205:
	s_and_b64 vcc, exec, s[36:37]
	s_cbranch_vccz .LBB214_2228
; %bb.2206:
	s_cmp_gt_i32 s13, 22
	s_cbranch_scc0 .LBB214_2210
; %bb.2207:
	s_cmp_lt_i32 s13, 24
	s_cbranch_scc1 .LBB214_2211
; %bb.2208:
	s_cmp_gt_i32 s13, 24
	s_cbranch_scc0 .LBB214_2212
; %bb.2209:
	global_load_ubyte v3, v[0:1], off
	s_mov_b64 s[30:31], 0
	s_waitcnt vmcnt(0)
	v_cmp_ne_u16_e64 s[2:3], 0, v3
	s_branch .LBB214_2213
.LBB214_2210:
	s_mov_b64 s[34:35], -1
                                        ; implicit-def: $sgpr2_sgpr3
	s_branch .LBB214_2219
.LBB214_2211:
	s_mov_b64 s[30:31], -1
                                        ; implicit-def: $sgpr2_sgpr3
	s_branch .LBB214_2216
.LBB214_2212:
	s_mov_b64 s[30:31], -1
                                        ; implicit-def: $sgpr2_sgpr3
.LBB214_2213:
	s_andn2_b64 vcc, exec, s[30:31]
	s_cbranch_vccnz .LBB214_2215
; %bb.2214:
	global_load_ubyte v3, v[0:1], off
	s_andn2_b64 s[2:3], s[2:3], exec
	s_waitcnt vmcnt(0)
	v_and_b32_e32 v3, 0x7f, v3
	v_cmp_ne_u16_e32 vcc, 0, v3
	s_and_b64 s[30:31], vcc, exec
	s_or_b64 s[2:3], s[2:3], s[30:31]
.LBB214_2215:
	s_mov_b64 s[30:31], 0
.LBB214_2216:
	s_andn2_b64 vcc, exec, s[30:31]
	s_cbranch_vccnz .LBB214_2218
; %bb.2217:
	global_load_ubyte v3, v[0:1], off
	s_movk_i32 s14, 0x7f00
	s_brev_b32 s30, 16
	s_andn2_b64 s[2:3], s[2:3], exec
	s_waitcnt vmcnt(0)
	v_lshlrev_b32_e32 v4, 8, v3
	v_lshlrev_b32_e32 v3, 25, v3
	v_lshrrev_b32_e32 v5, 4, v3
	v_and_or_b32 v4, v4, s14, 0.5
	v_or_b32_e32 v5, 0x70000000, v5
	v_add_f32_e32 v4, -0.5, v4
	v_mul_f32_e32 v5, 0x7800000, v5
	v_cmp_gt_u32_e32 vcc, s30, v3
	v_cndmask_b32_e32 v3, v5, v4, vcc
	v_cmp_neq_f32_e32 vcc, 0, v3
	s_and_b64 s[30:31], vcc, exec
	s_or_b64 s[2:3], s[2:3], s[30:31]
.LBB214_2218:
	s_mov_b64 s[30:31], -1
.LBB214_2219:
	s_andn2_b64 vcc, exec, s[34:35]
	s_mov_b64 s[34:35], 0
	s_cbranch_vccnz .LBB214_2228
; %bb.2220:
	s_cmp_gt_i32 s13, 14
	s_cbranch_scc0 .LBB214_2223
; %bb.2221:
	s_cmp_eq_u32 s13, 15
	s_cbranch_scc0 .LBB214_2224
; %bb.2222:
	global_load_ushort v3, v[0:1], off
	s_mov_b64 s[0:1], 0
	s_mov_b64 s[30:31], -1
	s_waitcnt vmcnt(0)
	v_and_b32_e32 v3, 0x7fff, v3
	v_cmp_ne_u16_e64 s[2:3], 0, v3
	s_branch .LBB214_2225
.LBB214_2223:
	s_mov_b64 s[36:37], -1
                                        ; implicit-def: $sgpr2_sgpr3
	s_branch .LBB214_2226
.LBB214_2224:
	s_mov_b64 s[0:1], -1
                                        ; implicit-def: $sgpr2_sgpr3
.LBB214_2225:
	s_mov_b64 s[36:37], 0
.LBB214_2226:
	s_and_b64 vcc, exec, s[36:37]
	s_cbranch_vccz .LBB214_2228
; %bb.2227:
	s_cmp_lg_u32 s13, 11
	s_mov_b64 s[34:35], -1
	s_cselect_b64 s[0:1], -1, 0
.LBB214_2228:
	s_and_b64 vcc, exec, s[0:1]
	s_cbranch_vccnz .LBB214_2761
; %bb.2229:
	s_andn2_b64 vcc, exec, s[34:35]
	s_cbranch_vccnz .LBB214_2231
.LBB214_2230:
	global_load_ubyte v3, v[0:1], off
	s_andn2_b64 s[0:1], s[2:3], exec
	s_mov_b64 s[30:31], -1
	s_waitcnt vmcnt(0)
	v_cmp_ne_u16_e32 vcc, 0, v3
	s_and_b64 s[2:3], vcc, exec
	s_or_b64 s[2:3], s[0:1], s[2:3]
.LBB214_2231:
	s_mov_b64 s[0:1], 0
.LBB214_2232:
	s_and_b64 vcc, exec, s[0:1]
	s_cbranch_vccz .LBB214_2281
; %bb.2233:
	s_and_b32 s13, 0xffff, s39
	s_cmp_lt_i32 s13, 5
	s_cbranch_scc1 .LBB214_2238
; %bb.2234:
	s_cmp_lt_i32 s13, 8
	s_cbranch_scc1 .LBB214_2239
; %bb.2235:
	s_cmp_lt_i32 s13, 9
	s_cbranch_scc1 .LBB214_2240
; %bb.2236:
	s_cmp_gt_i32 s13, 9
	s_cbranch_scc0 .LBB214_2241
; %bb.2237:
	global_load_dwordx4 v[3:6], v[0:1], off
	s_mov_b64 s[30:31], 0
	s_waitcnt vmcnt(0)
	v_cmp_neq_f64_e32 vcc, 0, v[3:4]
	v_cmp_neq_f64_e64 s[0:1], 0, v[5:6]
	s_or_b64 s[2:3], vcc, s[0:1]
	s_branch .LBB214_2242
.LBB214_2238:
	s_mov_b64 s[0:1], -1
                                        ; implicit-def: $sgpr2_sgpr3
	s_branch .LBB214_2260
.LBB214_2239:
	s_mov_b64 s[0:1], -1
                                        ; implicit-def: $sgpr2_sgpr3
	s_branch .LBB214_2248
.LBB214_2240:
	s_mov_b64 s[0:1], -1
                                        ; implicit-def: $sgpr2_sgpr3
	s_branch .LBB214_2245
.LBB214_2241:
	s_mov_b64 s[30:31], -1
                                        ; implicit-def: $sgpr2_sgpr3
.LBB214_2242:
	s_andn2_b64 vcc, exec, s[30:31]
	s_cbranch_vccnz .LBB214_2244
; %bb.2243:
	global_load_dwordx2 v[3:4], v[0:1], off
	s_andn2_b64 s[0:1], s[2:3], exec
	s_waitcnt vmcnt(0)
	v_or_b32_e32 v3, v3, v4
	v_and_b32_e32 v3, 0x7fffffff, v3
	v_cmp_ne_u32_e32 vcc, 0, v3
	s_and_b64 s[2:3], vcc, exec
	s_or_b64 s[2:3], s[0:1], s[2:3]
.LBB214_2244:
	s_mov_b64 s[0:1], 0
.LBB214_2245:
	s_andn2_b64 vcc, exec, s[0:1]
	s_cbranch_vccnz .LBB214_2247
; %bb.2246:
	global_load_dword v3, v[0:1], off
	s_andn2_b64 s[0:1], s[2:3], exec
	s_waitcnt vmcnt(0)
	v_and_b32_e32 v3, 0x7fff7fff, v3
	v_cmp_ne_u32_e32 vcc, 0, v3
	s_and_b64 s[2:3], vcc, exec
	s_or_b64 s[2:3], s[0:1], s[2:3]
.LBB214_2247:
	s_mov_b64 s[0:1], 0
.LBB214_2248:
	s_andn2_b64 vcc, exec, s[0:1]
	s_cbranch_vccnz .LBB214_2259
; %bb.2249:
	s_cmp_lt_i32 s13, 6
	s_cbranch_scc1 .LBB214_2252
; %bb.2250:
	s_cmp_gt_i32 s13, 6
	s_cbranch_scc0 .LBB214_2253
; %bb.2251:
	global_load_dwordx2 v[3:4], v[0:1], off
	s_mov_b64 s[0:1], 0
	s_waitcnt vmcnt(0)
	v_cmp_neq_f64_e64 s[2:3], 0, v[3:4]
	s_branch .LBB214_2254
.LBB214_2252:
	s_mov_b64 s[0:1], -1
                                        ; implicit-def: $sgpr2_sgpr3
	s_branch .LBB214_2257
.LBB214_2253:
	s_mov_b64 s[0:1], -1
                                        ; implicit-def: $sgpr2_sgpr3
.LBB214_2254:
	s_andn2_b64 vcc, exec, s[0:1]
	s_cbranch_vccnz .LBB214_2256
; %bb.2255:
	global_load_dword v3, v[0:1], off
	s_andn2_b64 s[0:1], s[2:3], exec
	s_waitcnt vmcnt(0)
	v_cmp_neq_f32_e32 vcc, 0, v3
	s_and_b64 s[2:3], vcc, exec
	s_or_b64 s[2:3], s[0:1], s[2:3]
.LBB214_2256:
	s_mov_b64 s[0:1], 0
.LBB214_2257:
	s_andn2_b64 vcc, exec, s[0:1]
	s_cbranch_vccnz .LBB214_2259
; %bb.2258:
	global_load_ushort v3, v[0:1], off
	s_andn2_b64 s[0:1], s[2:3], exec
	s_waitcnt vmcnt(0)
	v_and_b32_e32 v3, 0x7fff, v3
	v_cmp_ne_u16_e32 vcc, 0, v3
	s_and_b64 s[2:3], vcc, exec
	s_or_b64 s[2:3], s[0:1], s[2:3]
.LBB214_2259:
	s_mov_b64 s[0:1], 0
.LBB214_2260:
	s_andn2_b64 vcc, exec, s[0:1]
	s_cbranch_vccnz .LBB214_2280
; %bb.2261:
	s_cmp_lt_i32 s13, 2
	s_cbranch_scc1 .LBB214_2265
; %bb.2262:
	s_cmp_lt_i32 s13, 3
	s_cbranch_scc1 .LBB214_2266
; %bb.2263:
	s_cmp_gt_i32 s13, 3
	s_cbranch_scc0 .LBB214_2267
; %bb.2264:
	global_load_dwordx2 v[3:4], v[0:1], off
	s_mov_b64 s[0:1], 0
	s_waitcnt vmcnt(0)
	v_cmp_ne_u64_e64 s[2:3], 0, v[3:4]
	s_branch .LBB214_2268
.LBB214_2265:
	s_mov_b64 s[0:1], -1
                                        ; implicit-def: $sgpr2_sgpr3
	s_branch .LBB214_2274
.LBB214_2266:
	s_mov_b64 s[0:1], -1
                                        ; implicit-def: $sgpr2_sgpr3
	s_branch .LBB214_2271
.LBB214_2267:
	s_mov_b64 s[0:1], -1
                                        ; implicit-def: $sgpr2_sgpr3
.LBB214_2268:
	s_andn2_b64 vcc, exec, s[0:1]
	s_cbranch_vccnz .LBB214_2270
; %bb.2269:
	global_load_dword v3, v[0:1], off
	s_andn2_b64 s[0:1], s[2:3], exec
	s_waitcnt vmcnt(0)
	v_cmp_ne_u32_e32 vcc, 0, v3
	s_and_b64 s[2:3], vcc, exec
	s_or_b64 s[2:3], s[0:1], s[2:3]
.LBB214_2270:
	s_mov_b64 s[0:1], 0
.LBB214_2271:
	s_andn2_b64 vcc, exec, s[0:1]
	s_cbranch_vccnz .LBB214_2273
; %bb.2272:
	global_load_ushort v3, v[0:1], off
	s_andn2_b64 s[0:1], s[2:3], exec
	s_waitcnt vmcnt(0)
	v_cmp_ne_u16_e32 vcc, 0, v3
	s_and_b64 s[2:3], vcc, exec
	s_or_b64 s[2:3], s[0:1], s[2:3]
.LBB214_2273:
	s_mov_b64 s[0:1], 0
.LBB214_2274:
	s_andn2_b64 vcc, exec, s[0:1]
	s_cbranch_vccnz .LBB214_2280
; %bb.2275:
	s_cmp_gt_i32 s13, 0
	s_cbranch_scc0 .LBB214_2277
; %bb.2276:
	global_load_ubyte v3, v[0:1], off
	s_mov_b64 s[0:1], 0
	s_waitcnt vmcnt(0)
	v_cmp_ne_u16_e64 s[2:3], 0, v3
	s_branch .LBB214_2278
.LBB214_2277:
	s_mov_b64 s[0:1], -1
                                        ; implicit-def: $sgpr2_sgpr3
.LBB214_2278:
	s_andn2_b64 vcc, exec, s[0:1]
	s_cbranch_vccnz .LBB214_2280
; %bb.2279:
	global_load_ubyte v0, v[0:1], off
	s_andn2_b64 s[0:1], s[2:3], exec
	s_waitcnt vmcnt(0)
	v_cmp_ne_u16_e32 vcc, 0, v0
	s_and_b64 s[2:3], vcc, exec
	s_or_b64 s[2:3], s[0:1], s[2:3]
.LBB214_2280:
	s_mov_b64 s[30:31], -1
.LBB214_2281:
	s_andn2_b64 vcc, exec, s[30:31]
	s_cbranch_vccnz .LBB214_2715
; %bb.2282:
	v_mul_lo_u32 v2, s12, v2
	s_cmp_eq_u32 s15, 0
	s_cselect_b64 s[14:15], -1, 0
	s_xor_b64 s[0:1], s[4:5], s[22:23]
	s_xor_b64 s[4:5], s[14:15], s[0:1]
	v_ashrrev_i32_e32 v1, 31, v2
	v_mov_b32_e32 v3, s9
	s_and_b32 s38, s33, 0xff
	v_add_co_u32_e32 v0, vcc, s8, v2
	s_cmp_lt_i32 s38, 11
	v_addc_co_u32_e32 v1, vcc, v3, v1, vcc
	s_cbranch_scc1 .LBB214_2360
; %bb.2283:
	s_and_b32 s13, 0xffff, s38
	s_mov_b64 s[34:35], -1
	s_mov_b64 s[22:23], 0
	s_cmp_gt_i32 s13, 25
	s_mov_b64 s[30:31], 0
	s_mov_b64 s[0:1], 0
	s_cbranch_scc0 .LBB214_2316
; %bb.2284:
	s_cmp_gt_i32 s13, 28
	s_cbranch_scc0 .LBB214_2299
; %bb.2285:
	s_cmp_gt_i32 s13, 43
	;; [unrolled: 3-line block ×3, first 2 shown]
	s_cbranch_scc0 .LBB214_2289
; %bb.2287:
	s_mov_b64 s[0:1], -1
	s_mov_b64 s[34:35], 0
	s_cmp_eq_u32 s13, 46
	s_cbranch_scc0 .LBB214_2289
; %bb.2288:
	v_cndmask_b32_e64 v3, 0, 1.0, s[4:5]
	v_bfe_u32 v4, v3, 16, 1
	s_movk_i32 s0, 0x7fff
	v_add3_u32 v3, v3, v4, s0
	v_lshrrev_b32_e32 v3, 16, v3
	global_store_dword v[0:1], v3, off
	s_mov_b64 s[0:1], 0
	s_mov_b64 s[30:31], -1
.LBB214_2289:
	s_and_b64 vcc, exec, s[34:35]
	s_cbranch_vccz .LBB214_2294
; %bb.2290:
	s_cmp_eq_u32 s13, 44
	s_mov_b64 s[0:1], -1
	s_cbranch_scc0 .LBB214_2294
; %bb.2291:
	v_cndmask_b32_e64 v4, 0, 1.0, s[4:5]
	v_lshrrev_b32_e32 v3, 23, v4
	s_movk_i32 s0, 0xff
	v_cmp_ne_u32_e32 vcc, s0, v3
	v_mov_b32_e32 v5, 0xff
	s_and_saveexec_b64 s[30:31], vcc
; %bb.2292:
	s_mov_b32 s0, 0x3fffff
	v_and_b32_e32 v5, 0x400000, v4
	v_and_or_b32 v4, v4, s0, v3
	v_cmp_ne_u32_e32 vcc, 0, v5
	v_cmp_ne_u32_e64 s[0:1], 0, v4
	s_and_b64 s[0:1], vcc, s[0:1]
	v_cndmask_b32_e64 v4, 0, 1, s[0:1]
	v_add_u32_e32 v5, v3, v4
; %bb.2293:
	s_or_b64 exec, exec, s[30:31]
	s_mov_b64 s[0:1], 0
	s_mov_b64 s[30:31], -1
	global_store_byte v[0:1], v5, off
.LBB214_2294:
	s_mov_b64 s[34:35], 0
.LBB214_2295:
	s_and_b64 vcc, exec, s[34:35]
	s_cbranch_vccz .LBB214_2298
; %bb.2296:
	s_cmp_eq_u32 s13, 29
	s_mov_b64 s[0:1], -1
	s_cbranch_scc0 .LBB214_2298
; %bb.2297:
	s_mov_b32 s0, 0
	v_cndmask_b32_e64 v3, 0, 1, s[4:5]
	v_mov_b32_e32 v4, s0
	global_store_dwordx2 v[0:1], v[3:4], off
	s_mov_b64 s[0:1], 0
	s_mov_b64 s[30:31], -1
.LBB214_2298:
	s_mov_b64 s[34:35], 0
.LBB214_2299:
	s_and_b64 vcc, exec, s[34:35]
	s_cbranch_vccz .LBB214_2315
; %bb.2300:
	s_cmp_lt_i32 s13, 27
	s_mov_b64 s[30:31], -1
	s_cbranch_scc1 .LBB214_2306
; %bb.2301:
	s_cmp_gt_i32 s13, 27
	s_cbranch_scc0 .LBB214_2303
; %bb.2302:
	v_cndmask_b32_e64 v3, 0, 1, s[4:5]
	s_mov_b64 s[30:31], 0
	global_store_dword v[0:1], v3, off
.LBB214_2303:
	s_andn2_b64 vcc, exec, s[30:31]
	s_cbranch_vccnz .LBB214_2305
; %bb.2304:
	v_cndmask_b32_e64 v3, 0, 1, s[4:5]
	global_store_short v[0:1], v3, off
.LBB214_2305:
	s_mov_b64 s[30:31], 0
.LBB214_2306:
	s_andn2_b64 vcc, exec, s[30:31]
	s_cbranch_vccnz .LBB214_2314
; %bb.2307:
	v_cndmask_b32_e64 v4, 0, 1.0, s[4:5]
	s_mov_b32 s30, 0x43800000
	v_cmp_gt_u32_e32 vcc, s30, v4
	v_mov_b32_e32 v5, 0x80
	s_and_saveexec_b64 s[30:31], vcc
	s_cbranch_execz .LBB214_2313
; %bb.2308:
	s_mov_b32 s33, 0x3bffffff
	v_cmp_lt_u32_e32 vcc, s33, v4
	s_mov_b64 s[34:35], 0
                                        ; implicit-def: $vgpr3
	s_and_saveexec_b64 s[36:37], vcc
	s_xor_b64 s[36:37], exec, s[36:37]
	s_cbranch_execz .LBB214_2762
; %bb.2309:
	v_bfe_u32 v3, v4, 20, 1
	s_mov_b32 s33, 0x487ffff
	v_add3_u32 v3, v4, v3, s33
	s_mov_b64 s[34:35], exec
	v_lshrrev_b32_e32 v3, 20, v3
                                        ; implicit-def: $vgpr4
	s_andn2_saveexec_b64 s[36:37], s[36:37]
	s_cbranch_execnz .LBB214_2763
.LBB214_2310:
	s_or_b64 exec, exec, s[36:37]
	v_mov_b32_e32 v5, 0
	s_and_saveexec_b64 s[36:37], s[34:35]
.LBB214_2311:
	v_mov_b32_e32 v5, v3
.LBB214_2312:
	s_or_b64 exec, exec, s[36:37]
.LBB214_2313:
	s_or_b64 exec, exec, s[30:31]
	global_store_byte v[0:1], v5, off
.LBB214_2314:
	s_mov_b64 s[30:31], -1
.LBB214_2315:
	s_mov_b64 s[34:35], 0
.LBB214_2316:
	s_and_b64 vcc, exec, s[34:35]
	s_cbranch_vccz .LBB214_2356
; %bb.2317:
	s_cmp_gt_i32 s13, 22
	s_mov_b64 s[22:23], -1
	s_cbranch_scc0 .LBB214_2349
; %bb.2318:
	s_cmp_lt_i32 s13, 24
	s_cbranch_scc1 .LBB214_2338
; %bb.2319:
	s_cmp_gt_i32 s13, 24
	s_cbranch_scc0 .LBB214_2327
; %bb.2320:
	v_cndmask_b32_e64 v4, 0, 1.0, s[4:5]
	s_mov_b32 s22, 0x47800000
	v_cmp_gt_u32_e32 vcc, s22, v4
	v_mov_b32_e32 v5, 0x80
	s_and_saveexec_b64 s[22:23], vcc
	s_cbranch_execz .LBB214_2326
; %bb.2321:
	s_mov_b32 s30, 0x37ffffff
	v_cmp_lt_u32_e32 vcc, s30, v4
	s_mov_b64 s[30:31], 0
                                        ; implicit-def: $vgpr3
	s_and_saveexec_b64 s[34:35], vcc
	s_xor_b64 s[34:35], exec, s[34:35]
	s_cbranch_execz .LBB214_2765
; %bb.2322:
	v_bfe_u32 v3, v4, 21, 1
	s_mov_b32 s33, 0x88fffff
	v_add3_u32 v3, v4, v3, s33
	s_mov_b64 s[30:31], exec
	v_lshrrev_b32_e32 v3, 21, v3
                                        ; implicit-def: $vgpr4
	s_andn2_saveexec_b64 s[34:35], s[34:35]
	s_cbranch_execnz .LBB214_2766
.LBB214_2323:
	s_or_b64 exec, exec, s[34:35]
	v_mov_b32_e32 v5, 0
	s_and_saveexec_b64 s[34:35], s[30:31]
.LBB214_2324:
	v_mov_b32_e32 v5, v3
.LBB214_2325:
	s_or_b64 exec, exec, s[34:35]
.LBB214_2326:
	s_or_b64 exec, exec, s[22:23]
	s_mov_b64 s[22:23], 0
	global_store_byte v[0:1], v5, off
.LBB214_2327:
	s_and_b64 vcc, exec, s[22:23]
	s_cbranch_vccz .LBB214_2337
; %bb.2328:
	v_cndmask_b32_e64 v3, 0, 1.0, s[4:5]
	s_mov_b32 s22, 0x43f00000
	v_cmp_gt_u32_e32 vcc, s22, v3
                                        ; implicit-def: $vgpr4
	s_and_saveexec_b64 s[22:23], vcc
	s_xor_b64 s[22:23], exec, s[22:23]
	s_cbranch_execz .LBB214_2334
; %bb.2329:
	s_mov_b32 s30, 0x3c7fffff
	v_cmp_lt_u32_e32 vcc, s30, v3
                                        ; implicit-def: $vgpr4
	s_and_saveexec_b64 s[30:31], vcc
	s_xor_b64 s[30:31], exec, s[30:31]
; %bb.2330:
	v_bfe_u32 v4, v3, 20, 1
	s_mov_b32 s33, 0x407ffff
	v_add3_u32 v3, v3, v4, s33
	v_lshrrev_b32_e32 v4, 20, v3
	v_and_b32_e32 v3, 0xff00000, v3
	s_mov_b32 s33, 0x7f00000
	v_mov_b32_e32 v5, 0x7e
	v_cmp_ne_u32_e32 vcc, s33, v3
	v_cndmask_b32_e32 v4, v5, v4, vcc
                                        ; implicit-def: $vgpr3
; %bb.2331:
	s_andn2_saveexec_b64 s[30:31], s[30:31]
; %bb.2332:
	v_add_f32_e32 v4, 0x46800000, v3
; %bb.2333:
	s_or_b64 exec, exec, s[30:31]
                                        ; implicit-def: $vgpr3
.LBB214_2334:
	s_andn2_saveexec_b64 s[22:23], s[22:23]
; %bb.2335:
	s_mov_b32 s30, 0x7f800000
	v_mov_b32_e32 v4, 0x7e
	v_mov_b32_e32 v5, 0x7f
	v_cmp_lt_u32_e32 vcc, s30, v3
	v_cndmask_b32_e32 v4, v4, v5, vcc
; %bb.2336:
	s_or_b64 exec, exec, s[22:23]
	global_store_byte v[0:1], v4, off
.LBB214_2337:
	s_mov_b64 s[22:23], 0
.LBB214_2338:
	s_andn2_b64 vcc, exec, s[22:23]
	s_cbranch_vccnz .LBB214_2348
; %bb.2339:
	v_cndmask_b32_e64 v3, 0, 1.0, s[4:5]
	s_mov_b32 s22, 0x47800000
	v_cmp_gt_u32_e32 vcc, s22, v3
                                        ; implicit-def: $vgpr4
	s_and_saveexec_b64 s[22:23], vcc
	s_xor_b64 s[22:23], exec, s[22:23]
	s_cbranch_execz .LBB214_2345
; %bb.2340:
	s_mov_b32 s30, 0x387fffff
	v_cmp_lt_u32_e32 vcc, s30, v3
                                        ; implicit-def: $vgpr4
	s_and_saveexec_b64 s[30:31], vcc
	s_xor_b64 s[30:31], exec, s[30:31]
; %bb.2341:
	v_bfe_u32 v4, v3, 21, 1
	s_mov_b32 s33, 0x80fffff
	v_add3_u32 v3, v3, v4, s33
	v_lshrrev_b32_e32 v4, 21, v3
                                        ; implicit-def: $vgpr3
; %bb.2342:
	s_andn2_saveexec_b64 s[30:31], s[30:31]
; %bb.2343:
	v_add_f32_e32 v4, 0x43000000, v3
; %bb.2344:
	s_or_b64 exec, exec, s[30:31]
                                        ; implicit-def: $vgpr3
.LBB214_2345:
	s_andn2_saveexec_b64 s[22:23], s[22:23]
; %bb.2346:
	s_mov_b32 s30, 0x7f800000
	v_mov_b32_e32 v4, 0x7c
	v_mov_b32_e32 v5, 0x7f
	v_cmp_lt_u32_e32 vcc, s30, v3
	v_cndmask_b32_e32 v4, v4, v5, vcc
; %bb.2347:
	s_or_b64 exec, exec, s[22:23]
	global_store_byte v[0:1], v4, off
.LBB214_2348:
	s_mov_b64 s[22:23], 0
	s_mov_b64 s[30:31], -1
.LBB214_2349:
	s_andn2_b64 vcc, exec, s[22:23]
	s_mov_b64 s[22:23], 0
	s_cbranch_vccnz .LBB214_2356
; %bb.2350:
	s_cmp_gt_i32 s13, 14
	s_mov_b64 s[34:35], -1
	s_cbranch_scc0 .LBB214_2354
; %bb.2351:
	s_cmp_eq_u32 s13, 15
	s_mov_b64 s[0:1], -1
	s_cbranch_scc0 .LBB214_2353
; %bb.2352:
	v_cndmask_b32_e64 v3, 0, 1.0, s[4:5]
	v_bfe_u32 v4, v3, 16, 1
	s_movk_i32 s0, 0x7fff
	v_add3_u32 v3, v3, v4, s0
	global_store_short_d16_hi v[0:1], v3, off
	s_mov_b64 s[0:1], 0
	s_mov_b64 s[30:31], -1
.LBB214_2353:
	s_mov_b64 s[34:35], 0
.LBB214_2354:
	s_and_b64 vcc, exec, s[34:35]
	s_cbranch_vccz .LBB214_2356
; %bb.2355:
	s_cmp_lg_u32 s13, 11
	s_mov_b64 s[22:23], -1
	s_cselect_b64 s[0:1], -1, 0
.LBB214_2356:
	s_and_b64 vcc, exec, s[0:1]
	s_cbranch_vccnz .LBB214_2764
; %bb.2357:
	s_andn2_b64 vcc, exec, s[22:23]
	s_cbranch_vccnz .LBB214_2359
.LBB214_2358:
	v_cndmask_b32_e64 v3, 0, 1, s[4:5]
	s_mov_b64 s[30:31], -1
	global_store_byte v[0:1], v3, off
.LBB214_2359:
	s_mov_b64 s[0:1], 0
	s_branch .LBB214_2361
.LBB214_2360:
	s_mov_b64 s[0:1], -1
	s_mov_b64 s[30:31], 0
.LBB214_2361:
	s_and_b64 vcc, exec, s[0:1]
	s_cbranch_vccz .LBB214_2400
; %bb.2362:
	s_and_b32 s13, 0xffff, s38
	s_cmp_lt_i32 s13, 5
	s_mov_b64 s[0:1], -1
	s_cbranch_scc1 .LBB214_2383
; %bb.2363:
	s_cmp_lt_i32 s13, 8
	s_cbranch_scc1 .LBB214_2373
; %bb.2364:
	s_cmp_lt_i32 s13, 9
	s_cbranch_scc1 .LBB214_2370
; %bb.2365:
	s_cmp_gt_i32 s13, 9
	s_cbranch_scc0 .LBB214_2367
; %bb.2366:
	v_cndmask_b32_e64 v3, 0, 1, s[4:5]
	v_cvt_f64_u32_e32 v[3:4], v3
	v_mov_b32_e32 v5, 0
	v_mov_b32_e32 v6, v5
	s_mov_b64 s[0:1], 0
	global_store_dwordx4 v[0:1], v[3:6], off
.LBB214_2367:
	s_andn2_b64 vcc, exec, s[0:1]
	s_cbranch_vccnz .LBB214_2369
; %bb.2368:
	v_cndmask_b32_e64 v3, 0, 1.0, s[4:5]
	v_mov_b32_e32 v4, 0
	global_store_dwordx2 v[0:1], v[3:4], off
.LBB214_2369:
	s_mov_b64 s[0:1], 0
.LBB214_2370:
	s_andn2_b64 vcc, exec, s[0:1]
	s_cbranch_vccnz .LBB214_2372
; %bb.2371:
	v_cndmask_b32_e64 v3, 0, 1.0, s[4:5]
	v_cvt_f16_f32_e32 v3, v3
	global_store_dword v[0:1], v3, off
.LBB214_2372:
	s_mov_b64 s[0:1], 0
.LBB214_2373:
	s_andn2_b64 vcc, exec, s[0:1]
	s_cbranch_vccnz .LBB214_2382
; %bb.2374:
	s_cmp_lt_i32 s13, 6
	s_mov_b64 s[0:1], -1
	s_cbranch_scc1 .LBB214_2380
; %bb.2375:
	s_cmp_gt_i32 s13, 6
	s_cbranch_scc0 .LBB214_2377
; %bb.2376:
	v_cndmask_b32_e64 v3, 0, 1, s[4:5]
	v_cvt_f64_u32_e32 v[3:4], v3
	s_mov_b64 s[0:1], 0
	global_store_dwordx2 v[0:1], v[3:4], off
.LBB214_2377:
	s_andn2_b64 vcc, exec, s[0:1]
	s_cbranch_vccnz .LBB214_2379
; %bb.2378:
	v_cndmask_b32_e64 v3, 0, 1.0, s[4:5]
	global_store_dword v[0:1], v3, off
.LBB214_2379:
	s_mov_b64 s[0:1], 0
.LBB214_2380:
	s_andn2_b64 vcc, exec, s[0:1]
	s_cbranch_vccnz .LBB214_2382
; %bb.2381:
	v_cndmask_b32_e64 v3, 0, 1.0, s[4:5]
	v_cvt_f16_f32_e32 v3, v3
	global_store_short v[0:1], v3, off
.LBB214_2382:
	s_mov_b64 s[0:1], 0
.LBB214_2383:
	s_andn2_b64 vcc, exec, s[0:1]
	s_cbranch_vccnz .LBB214_2399
; %bb.2384:
	s_cmp_lt_i32 s13, 2
	s_mov_b64 s[0:1], -1
	s_cbranch_scc1 .LBB214_2394
; %bb.2385:
	s_cmp_lt_i32 s13, 3
	s_cbranch_scc1 .LBB214_2391
; %bb.2386:
	s_cmp_gt_i32 s13, 3
	s_cbranch_scc0 .LBB214_2388
; %bb.2387:
	s_mov_b32 s0, 0
	v_cndmask_b32_e64 v3, 0, 1, s[4:5]
	v_mov_b32_e32 v4, s0
	global_store_dwordx2 v[0:1], v[3:4], off
	s_mov_b64 s[0:1], 0
.LBB214_2388:
	s_andn2_b64 vcc, exec, s[0:1]
	s_cbranch_vccnz .LBB214_2390
; %bb.2389:
	v_cndmask_b32_e64 v3, 0, 1, s[4:5]
	global_store_dword v[0:1], v3, off
.LBB214_2390:
	s_mov_b64 s[0:1], 0
.LBB214_2391:
	s_andn2_b64 vcc, exec, s[0:1]
	s_cbranch_vccnz .LBB214_2393
; %bb.2392:
	v_cndmask_b32_e64 v3, 0, 1, s[4:5]
	global_store_short v[0:1], v3, off
.LBB214_2393:
	s_mov_b64 s[0:1], 0
.LBB214_2394:
	s_andn2_b64 vcc, exec, s[0:1]
	s_cbranch_vccnz .LBB214_2399
; %bb.2395:
	s_mov_b64 s[0:1], -1
	s_cmp_gt_i32 s13, 0
	v_cndmask_b32_e64 v3, 0, 1, s[4:5]
	s_cbranch_scc0 .LBB214_2397
; %bb.2396:
	global_store_byte v[0:1], v3, off
	s_mov_b64 s[0:1], 0
.LBB214_2397:
	s_andn2_b64 vcc, exec, s[0:1]
	s_cbranch_vccnz .LBB214_2399
; %bb.2398:
	global_store_byte v[0:1], v3, off
.LBB214_2399:
	s_mov_b64 s[30:31], -1
.LBB214_2400:
	s_andn2_b64 vcc, exec, s[30:31]
	s_cbranch_vccnz .LBB214_2715
; %bb.2401:
	s_lshl_b32 s30, s12, 7
	s_xor_b64 s[0:1], s[20:21], s[26:27]
	v_add_u32_e32 v2, s30, v2
	s_xor_b64 s[4:5], s[14:15], s[0:1]
	v_ashrrev_i32_e32 v1, 31, v2
	v_mov_b32_e32 v3, s9
	v_add_co_u32_e32 v0, vcc, s8, v2
	s_cmp_lt_i32 s38, 11
	v_addc_co_u32_e32 v1, vcc, v3, v1, vcc
	s_cbranch_scc1 .LBB214_2479
; %bb.2402:
	s_and_b32 s31, 0xffff, s38
	s_mov_b64 s[22:23], -1
	s_mov_b64 s[12:13], 0
	s_cmp_gt_i32 s31, 25
	s_mov_b64 s[20:21], 0
	s_mov_b64 s[0:1], 0
	s_cbranch_scc0 .LBB214_2435
; %bb.2403:
	s_cmp_gt_i32 s31, 28
	s_cbranch_scc0 .LBB214_2418
; %bb.2404:
	s_cmp_gt_i32 s31, 43
	;; [unrolled: 3-line block ×3, first 2 shown]
	s_cbranch_scc0 .LBB214_2408
; %bb.2406:
	s_mov_b64 s[0:1], -1
	s_mov_b64 s[22:23], 0
	s_cmp_eq_u32 s31, 46
	s_cbranch_scc0 .LBB214_2408
; %bb.2407:
	v_cndmask_b32_e64 v3, 0, 1.0, s[4:5]
	v_bfe_u32 v4, v3, 16, 1
	s_movk_i32 s0, 0x7fff
	v_add3_u32 v3, v3, v4, s0
	v_lshrrev_b32_e32 v3, 16, v3
	global_store_dword v[0:1], v3, off
	s_mov_b64 s[0:1], 0
	s_mov_b64 s[20:21], -1
.LBB214_2408:
	s_and_b64 vcc, exec, s[22:23]
	s_cbranch_vccz .LBB214_2413
; %bb.2409:
	s_cmp_eq_u32 s31, 44
	s_mov_b64 s[0:1], -1
	s_cbranch_scc0 .LBB214_2413
; %bb.2410:
	v_cndmask_b32_e64 v4, 0, 1.0, s[4:5]
	v_lshrrev_b32_e32 v3, 23, v4
	s_movk_i32 s0, 0xff
	v_cmp_ne_u32_e32 vcc, s0, v3
	v_mov_b32_e32 v5, 0xff
	s_and_saveexec_b64 s[20:21], vcc
; %bb.2411:
	s_mov_b32 s0, 0x3fffff
	v_and_b32_e32 v5, 0x400000, v4
	v_and_or_b32 v4, v4, s0, v3
	v_cmp_ne_u32_e32 vcc, 0, v5
	v_cmp_ne_u32_e64 s[0:1], 0, v4
	s_and_b64 s[0:1], vcc, s[0:1]
	v_cndmask_b32_e64 v4, 0, 1, s[0:1]
	v_add_u32_e32 v5, v3, v4
; %bb.2412:
	s_or_b64 exec, exec, s[20:21]
	s_mov_b64 s[0:1], 0
	s_mov_b64 s[20:21], -1
	global_store_byte v[0:1], v5, off
.LBB214_2413:
	s_mov_b64 s[22:23], 0
.LBB214_2414:
	s_and_b64 vcc, exec, s[22:23]
	s_cbranch_vccz .LBB214_2417
; %bb.2415:
	s_cmp_eq_u32 s31, 29
	s_mov_b64 s[0:1], -1
	s_cbranch_scc0 .LBB214_2417
; %bb.2416:
	s_mov_b32 s0, 0
	v_cndmask_b32_e64 v3, 0, 1, s[4:5]
	v_mov_b32_e32 v4, s0
	global_store_dwordx2 v[0:1], v[3:4], off
	s_mov_b64 s[0:1], 0
	s_mov_b64 s[20:21], -1
.LBB214_2417:
	s_mov_b64 s[22:23], 0
.LBB214_2418:
	s_and_b64 vcc, exec, s[22:23]
	s_cbranch_vccz .LBB214_2434
; %bb.2419:
	s_cmp_lt_i32 s31, 27
	s_mov_b64 s[20:21], -1
	s_cbranch_scc1 .LBB214_2425
; %bb.2420:
	s_cmp_gt_i32 s31, 27
	s_cbranch_scc0 .LBB214_2422
; %bb.2421:
	v_cndmask_b32_e64 v3, 0, 1, s[4:5]
	s_mov_b64 s[20:21], 0
	global_store_dword v[0:1], v3, off
.LBB214_2422:
	s_andn2_b64 vcc, exec, s[20:21]
	s_cbranch_vccnz .LBB214_2424
; %bb.2423:
	v_cndmask_b32_e64 v3, 0, 1, s[4:5]
	global_store_short v[0:1], v3, off
.LBB214_2424:
	s_mov_b64 s[20:21], 0
.LBB214_2425:
	s_andn2_b64 vcc, exec, s[20:21]
	s_cbranch_vccnz .LBB214_2433
; %bb.2426:
	v_cndmask_b32_e64 v4, 0, 1.0, s[4:5]
	s_mov_b32 s20, 0x43800000
	v_cmp_gt_u32_e32 vcc, s20, v4
	v_mov_b32_e32 v5, 0x80
	s_and_saveexec_b64 s[20:21], vcc
	s_cbranch_execz .LBB214_2432
; %bb.2427:
	s_mov_b32 s22, 0x3bffffff
	v_cmp_lt_u32_e32 vcc, s22, v4
	s_mov_b64 s[22:23], 0
                                        ; implicit-def: $vgpr3
	s_and_saveexec_b64 s[26:27], vcc
	s_xor_b64 s[26:27], exec, s[26:27]
	s_cbranch_execz .LBB214_2767
; %bb.2428:
	v_bfe_u32 v3, v4, 20, 1
	s_mov_b32 s33, 0x487ffff
	v_add3_u32 v3, v4, v3, s33
	s_mov_b64 s[22:23], exec
	v_lshrrev_b32_e32 v3, 20, v3
                                        ; implicit-def: $vgpr4
	s_andn2_saveexec_b64 s[26:27], s[26:27]
	s_cbranch_execnz .LBB214_2768
.LBB214_2429:
	s_or_b64 exec, exec, s[26:27]
	v_mov_b32_e32 v5, 0
	s_and_saveexec_b64 s[26:27], s[22:23]
.LBB214_2430:
	v_mov_b32_e32 v5, v3
.LBB214_2431:
	s_or_b64 exec, exec, s[26:27]
.LBB214_2432:
	s_or_b64 exec, exec, s[20:21]
	global_store_byte v[0:1], v5, off
.LBB214_2433:
	s_mov_b64 s[20:21], -1
.LBB214_2434:
	s_mov_b64 s[22:23], 0
.LBB214_2435:
	s_and_b64 vcc, exec, s[22:23]
	s_cbranch_vccz .LBB214_2475
; %bb.2436:
	s_cmp_gt_i32 s31, 22
	s_mov_b64 s[12:13], -1
	s_cbranch_scc0 .LBB214_2468
; %bb.2437:
	s_cmp_lt_i32 s31, 24
	s_cbranch_scc1 .LBB214_2457
; %bb.2438:
	s_cmp_gt_i32 s31, 24
	s_cbranch_scc0 .LBB214_2446
; %bb.2439:
	v_cndmask_b32_e64 v4, 0, 1.0, s[4:5]
	s_mov_b32 s12, 0x47800000
	v_cmp_gt_u32_e32 vcc, s12, v4
	v_mov_b32_e32 v5, 0x80
	s_and_saveexec_b64 s[12:13], vcc
	s_cbranch_execz .LBB214_2445
; %bb.2440:
	s_mov_b32 s20, 0x37ffffff
	v_cmp_lt_u32_e32 vcc, s20, v4
	s_mov_b64 s[20:21], 0
                                        ; implicit-def: $vgpr3
	s_and_saveexec_b64 s[22:23], vcc
	s_xor_b64 s[22:23], exec, s[22:23]
	s_cbranch_execz .LBB214_2770
; %bb.2441:
	v_bfe_u32 v3, v4, 21, 1
	s_mov_b32 s26, 0x88fffff
	v_add3_u32 v3, v4, v3, s26
	s_mov_b64 s[20:21], exec
	v_lshrrev_b32_e32 v3, 21, v3
                                        ; implicit-def: $vgpr4
	s_andn2_saveexec_b64 s[22:23], s[22:23]
	s_cbranch_execnz .LBB214_2771
.LBB214_2442:
	s_or_b64 exec, exec, s[22:23]
	v_mov_b32_e32 v5, 0
	s_and_saveexec_b64 s[22:23], s[20:21]
.LBB214_2443:
	v_mov_b32_e32 v5, v3
.LBB214_2444:
	s_or_b64 exec, exec, s[22:23]
.LBB214_2445:
	s_or_b64 exec, exec, s[12:13]
	s_mov_b64 s[12:13], 0
	global_store_byte v[0:1], v5, off
.LBB214_2446:
	s_and_b64 vcc, exec, s[12:13]
	s_cbranch_vccz .LBB214_2456
; %bb.2447:
	v_cndmask_b32_e64 v3, 0, 1.0, s[4:5]
	s_mov_b32 s12, 0x43f00000
	v_cmp_gt_u32_e32 vcc, s12, v3
                                        ; implicit-def: $vgpr4
	s_and_saveexec_b64 s[12:13], vcc
	s_xor_b64 s[12:13], exec, s[12:13]
	s_cbranch_execz .LBB214_2453
; %bb.2448:
	s_mov_b32 s20, 0x3c7fffff
	v_cmp_lt_u32_e32 vcc, s20, v3
                                        ; implicit-def: $vgpr4
	s_and_saveexec_b64 s[20:21], vcc
	s_xor_b64 s[20:21], exec, s[20:21]
; %bb.2449:
	v_bfe_u32 v4, v3, 20, 1
	s_mov_b32 s22, 0x407ffff
	v_add3_u32 v3, v3, v4, s22
	v_lshrrev_b32_e32 v4, 20, v3
	v_and_b32_e32 v3, 0xff00000, v3
	s_mov_b32 s22, 0x7f00000
	v_mov_b32_e32 v5, 0x7e
	v_cmp_ne_u32_e32 vcc, s22, v3
	v_cndmask_b32_e32 v4, v5, v4, vcc
                                        ; implicit-def: $vgpr3
; %bb.2450:
	s_andn2_saveexec_b64 s[20:21], s[20:21]
; %bb.2451:
	v_add_f32_e32 v4, 0x46800000, v3
; %bb.2452:
	s_or_b64 exec, exec, s[20:21]
                                        ; implicit-def: $vgpr3
.LBB214_2453:
	s_andn2_saveexec_b64 s[12:13], s[12:13]
; %bb.2454:
	s_mov_b32 s20, 0x7f800000
	v_mov_b32_e32 v4, 0x7e
	v_mov_b32_e32 v5, 0x7f
	v_cmp_lt_u32_e32 vcc, s20, v3
	v_cndmask_b32_e32 v4, v4, v5, vcc
; %bb.2455:
	s_or_b64 exec, exec, s[12:13]
	global_store_byte v[0:1], v4, off
.LBB214_2456:
	s_mov_b64 s[12:13], 0
.LBB214_2457:
	s_andn2_b64 vcc, exec, s[12:13]
	s_cbranch_vccnz .LBB214_2467
; %bb.2458:
	v_cndmask_b32_e64 v3, 0, 1.0, s[4:5]
	s_mov_b32 s12, 0x47800000
	v_cmp_gt_u32_e32 vcc, s12, v3
                                        ; implicit-def: $vgpr4
	s_and_saveexec_b64 s[12:13], vcc
	s_xor_b64 s[12:13], exec, s[12:13]
	s_cbranch_execz .LBB214_2464
; %bb.2459:
	s_mov_b32 s20, 0x387fffff
	v_cmp_lt_u32_e32 vcc, s20, v3
                                        ; implicit-def: $vgpr4
	s_and_saveexec_b64 s[20:21], vcc
	s_xor_b64 s[20:21], exec, s[20:21]
; %bb.2460:
	v_bfe_u32 v4, v3, 21, 1
	s_mov_b32 s22, 0x80fffff
	v_add3_u32 v3, v3, v4, s22
	v_lshrrev_b32_e32 v4, 21, v3
                                        ; implicit-def: $vgpr3
; %bb.2461:
	s_andn2_saveexec_b64 s[20:21], s[20:21]
; %bb.2462:
	v_add_f32_e32 v4, 0x43000000, v3
; %bb.2463:
	s_or_b64 exec, exec, s[20:21]
                                        ; implicit-def: $vgpr3
.LBB214_2464:
	s_andn2_saveexec_b64 s[12:13], s[12:13]
; %bb.2465:
	s_mov_b32 s20, 0x7f800000
	v_mov_b32_e32 v4, 0x7c
	v_mov_b32_e32 v5, 0x7f
	v_cmp_lt_u32_e32 vcc, s20, v3
	v_cndmask_b32_e32 v4, v4, v5, vcc
; %bb.2466:
	s_or_b64 exec, exec, s[12:13]
	global_store_byte v[0:1], v4, off
.LBB214_2467:
	s_mov_b64 s[12:13], 0
	s_mov_b64 s[20:21], -1
.LBB214_2468:
	s_andn2_b64 vcc, exec, s[12:13]
	s_mov_b64 s[12:13], 0
	s_cbranch_vccnz .LBB214_2475
; %bb.2469:
	s_cmp_gt_i32 s31, 14
	s_mov_b64 s[22:23], -1
	s_cbranch_scc0 .LBB214_2473
; %bb.2470:
	s_cmp_eq_u32 s31, 15
	s_mov_b64 s[0:1], -1
	s_cbranch_scc0 .LBB214_2472
; %bb.2471:
	v_cndmask_b32_e64 v3, 0, 1.0, s[4:5]
	v_bfe_u32 v4, v3, 16, 1
	s_movk_i32 s0, 0x7fff
	v_add3_u32 v3, v3, v4, s0
	global_store_short_d16_hi v[0:1], v3, off
	s_mov_b64 s[0:1], 0
	s_mov_b64 s[20:21], -1
.LBB214_2472:
	s_mov_b64 s[22:23], 0
.LBB214_2473:
	s_and_b64 vcc, exec, s[22:23]
	s_cbranch_vccz .LBB214_2475
; %bb.2474:
	s_cmp_lg_u32 s31, 11
	s_mov_b64 s[12:13], -1
	s_cselect_b64 s[0:1], -1, 0
.LBB214_2475:
	s_and_b64 vcc, exec, s[0:1]
	s_cbranch_vccnz .LBB214_2769
; %bb.2476:
	s_andn2_b64 vcc, exec, s[12:13]
	s_cbranch_vccnz .LBB214_2478
.LBB214_2477:
	v_cndmask_b32_e64 v3, 0, 1, s[4:5]
	s_mov_b64 s[20:21], -1
	global_store_byte v[0:1], v3, off
.LBB214_2478:
	s_mov_b64 s[0:1], 0
	s_branch .LBB214_2480
.LBB214_2479:
	s_mov_b64 s[0:1], -1
	s_mov_b64 s[20:21], 0
.LBB214_2480:
	s_and_b64 vcc, exec, s[0:1]
	s_cbranch_vccz .LBB214_2519
; %bb.2481:
	s_and_b32 s12, 0xffff, s38
	s_cmp_lt_i32 s12, 5
	s_mov_b64 s[0:1], -1
	s_cbranch_scc1 .LBB214_2502
; %bb.2482:
	s_cmp_lt_i32 s12, 8
	s_cbranch_scc1 .LBB214_2492
; %bb.2483:
	s_cmp_lt_i32 s12, 9
	s_cbranch_scc1 .LBB214_2489
; %bb.2484:
	s_cmp_gt_i32 s12, 9
	s_cbranch_scc0 .LBB214_2486
; %bb.2485:
	v_cndmask_b32_e64 v3, 0, 1, s[4:5]
	v_cvt_f64_u32_e32 v[3:4], v3
	v_mov_b32_e32 v5, 0
	v_mov_b32_e32 v6, v5
	s_mov_b64 s[0:1], 0
	global_store_dwordx4 v[0:1], v[3:6], off
.LBB214_2486:
	s_andn2_b64 vcc, exec, s[0:1]
	s_cbranch_vccnz .LBB214_2488
; %bb.2487:
	v_cndmask_b32_e64 v3, 0, 1.0, s[4:5]
	v_mov_b32_e32 v4, 0
	global_store_dwordx2 v[0:1], v[3:4], off
.LBB214_2488:
	s_mov_b64 s[0:1], 0
.LBB214_2489:
	s_andn2_b64 vcc, exec, s[0:1]
	s_cbranch_vccnz .LBB214_2491
; %bb.2490:
	v_cndmask_b32_e64 v3, 0, 1.0, s[4:5]
	v_cvt_f16_f32_e32 v3, v3
	global_store_dword v[0:1], v3, off
.LBB214_2491:
	s_mov_b64 s[0:1], 0
.LBB214_2492:
	s_andn2_b64 vcc, exec, s[0:1]
	s_cbranch_vccnz .LBB214_2501
; %bb.2493:
	s_cmp_lt_i32 s12, 6
	s_mov_b64 s[0:1], -1
	s_cbranch_scc1 .LBB214_2499
; %bb.2494:
	s_cmp_gt_i32 s12, 6
	s_cbranch_scc0 .LBB214_2496
; %bb.2495:
	v_cndmask_b32_e64 v3, 0, 1, s[4:5]
	v_cvt_f64_u32_e32 v[3:4], v3
	s_mov_b64 s[0:1], 0
	global_store_dwordx2 v[0:1], v[3:4], off
.LBB214_2496:
	s_andn2_b64 vcc, exec, s[0:1]
	s_cbranch_vccnz .LBB214_2498
; %bb.2497:
	v_cndmask_b32_e64 v3, 0, 1.0, s[4:5]
	global_store_dword v[0:1], v3, off
.LBB214_2498:
	s_mov_b64 s[0:1], 0
.LBB214_2499:
	s_andn2_b64 vcc, exec, s[0:1]
	s_cbranch_vccnz .LBB214_2501
; %bb.2500:
	v_cndmask_b32_e64 v3, 0, 1.0, s[4:5]
	v_cvt_f16_f32_e32 v3, v3
	global_store_short v[0:1], v3, off
.LBB214_2501:
	s_mov_b64 s[0:1], 0
.LBB214_2502:
	s_andn2_b64 vcc, exec, s[0:1]
	s_cbranch_vccnz .LBB214_2518
; %bb.2503:
	s_cmp_lt_i32 s12, 2
	s_mov_b64 s[0:1], -1
	s_cbranch_scc1 .LBB214_2513
; %bb.2504:
	s_cmp_lt_i32 s12, 3
	s_cbranch_scc1 .LBB214_2510
; %bb.2505:
	s_cmp_gt_i32 s12, 3
	s_cbranch_scc0 .LBB214_2507
; %bb.2506:
	s_mov_b32 s0, 0
	v_cndmask_b32_e64 v3, 0, 1, s[4:5]
	v_mov_b32_e32 v4, s0
	global_store_dwordx2 v[0:1], v[3:4], off
	s_mov_b64 s[0:1], 0
.LBB214_2507:
	s_andn2_b64 vcc, exec, s[0:1]
	s_cbranch_vccnz .LBB214_2509
; %bb.2508:
	v_cndmask_b32_e64 v3, 0, 1, s[4:5]
	global_store_dword v[0:1], v3, off
.LBB214_2509:
	s_mov_b64 s[0:1], 0
.LBB214_2510:
	s_andn2_b64 vcc, exec, s[0:1]
	s_cbranch_vccnz .LBB214_2512
; %bb.2511:
	v_cndmask_b32_e64 v3, 0, 1, s[4:5]
	global_store_short v[0:1], v3, off
.LBB214_2512:
	s_mov_b64 s[0:1], 0
.LBB214_2513:
	s_andn2_b64 vcc, exec, s[0:1]
	s_cbranch_vccnz .LBB214_2518
; %bb.2514:
	s_mov_b64 s[0:1], -1
	s_cmp_gt_i32 s12, 0
	v_cndmask_b32_e64 v3, 0, 1, s[4:5]
	s_cbranch_scc0 .LBB214_2516
; %bb.2515:
	global_store_byte v[0:1], v3, off
	s_mov_b64 s[0:1], 0
.LBB214_2516:
	s_andn2_b64 vcc, exec, s[0:1]
	s_cbranch_vccnz .LBB214_2518
; %bb.2517:
	global_store_byte v[0:1], v3, off
.LBB214_2518:
	s_mov_b64 s[20:21], -1
.LBB214_2519:
	s_andn2_b64 vcc, exec, s[20:21]
	s_cbranch_vccnz .LBB214_2715
; %bb.2520:
	s_xor_b64 s[0:1], s[24:25], s[28:29]
	v_add_u32_e32 v2, s30, v2
	s_xor_b64 s[4:5], s[14:15], s[0:1]
	v_ashrrev_i32_e32 v1, 31, v2
	v_mov_b32_e32 v3, s9
	v_add_co_u32_e32 v0, vcc, s8, v2
	s_cmp_lt_i32 s38, 11
	v_addc_co_u32_e32 v1, vcc, v3, v1, vcc
	s_cbranch_scc1 .LBB214_2598
; %bb.2521:
	s_and_b32 s26, 0xffff, s38
	s_mov_b64 s[22:23], -1
	s_mov_b64 s[12:13], 0
	s_cmp_gt_i32 s26, 25
	s_mov_b64 s[20:21], 0
	s_mov_b64 s[0:1], 0
	s_cbranch_scc0 .LBB214_2554
; %bb.2522:
	s_cmp_gt_i32 s26, 28
	s_cbranch_scc0 .LBB214_2537
; %bb.2523:
	s_cmp_gt_i32 s26, 43
	;; [unrolled: 3-line block ×3, first 2 shown]
	s_cbranch_scc0 .LBB214_2527
; %bb.2525:
	s_mov_b64 s[0:1], -1
	s_mov_b64 s[22:23], 0
	s_cmp_eq_u32 s26, 46
	s_cbranch_scc0 .LBB214_2527
; %bb.2526:
	v_cndmask_b32_e64 v3, 0, 1.0, s[4:5]
	v_bfe_u32 v4, v3, 16, 1
	s_movk_i32 s0, 0x7fff
	v_add3_u32 v3, v3, v4, s0
	v_lshrrev_b32_e32 v3, 16, v3
	global_store_dword v[0:1], v3, off
	s_mov_b64 s[0:1], 0
	s_mov_b64 s[20:21], -1
.LBB214_2527:
	s_and_b64 vcc, exec, s[22:23]
	s_cbranch_vccz .LBB214_2532
; %bb.2528:
	s_cmp_eq_u32 s26, 44
	s_mov_b64 s[0:1], -1
	s_cbranch_scc0 .LBB214_2532
; %bb.2529:
	v_cndmask_b32_e64 v4, 0, 1.0, s[4:5]
	v_lshrrev_b32_e32 v3, 23, v4
	s_movk_i32 s0, 0xff
	v_cmp_ne_u32_e32 vcc, s0, v3
	v_mov_b32_e32 v5, 0xff
	s_and_saveexec_b64 s[20:21], vcc
; %bb.2530:
	s_mov_b32 s0, 0x3fffff
	v_and_b32_e32 v5, 0x400000, v4
	v_and_or_b32 v4, v4, s0, v3
	v_cmp_ne_u32_e32 vcc, 0, v5
	v_cmp_ne_u32_e64 s[0:1], 0, v4
	s_and_b64 s[0:1], vcc, s[0:1]
	v_cndmask_b32_e64 v4, 0, 1, s[0:1]
	v_add_u32_e32 v5, v3, v4
; %bb.2531:
	s_or_b64 exec, exec, s[20:21]
	s_mov_b64 s[0:1], 0
	s_mov_b64 s[20:21], -1
	global_store_byte v[0:1], v5, off
.LBB214_2532:
	s_mov_b64 s[22:23], 0
.LBB214_2533:
	s_and_b64 vcc, exec, s[22:23]
	s_cbranch_vccz .LBB214_2536
; %bb.2534:
	s_cmp_eq_u32 s26, 29
	s_mov_b64 s[0:1], -1
	s_cbranch_scc0 .LBB214_2536
; %bb.2535:
	s_mov_b32 s0, 0
	v_cndmask_b32_e64 v3, 0, 1, s[4:5]
	v_mov_b32_e32 v4, s0
	global_store_dwordx2 v[0:1], v[3:4], off
	s_mov_b64 s[0:1], 0
	s_mov_b64 s[20:21], -1
.LBB214_2536:
	s_mov_b64 s[22:23], 0
.LBB214_2537:
	s_and_b64 vcc, exec, s[22:23]
	s_cbranch_vccz .LBB214_2553
; %bb.2538:
	s_cmp_lt_i32 s26, 27
	s_mov_b64 s[20:21], -1
	s_cbranch_scc1 .LBB214_2544
; %bb.2539:
	s_cmp_gt_i32 s26, 27
	s_cbranch_scc0 .LBB214_2541
; %bb.2540:
	v_cndmask_b32_e64 v3, 0, 1, s[4:5]
	s_mov_b64 s[20:21], 0
	global_store_dword v[0:1], v3, off
.LBB214_2541:
	s_andn2_b64 vcc, exec, s[20:21]
	s_cbranch_vccnz .LBB214_2543
; %bb.2542:
	v_cndmask_b32_e64 v3, 0, 1, s[4:5]
	global_store_short v[0:1], v3, off
.LBB214_2543:
	s_mov_b64 s[20:21], 0
.LBB214_2544:
	s_andn2_b64 vcc, exec, s[20:21]
	s_cbranch_vccnz .LBB214_2552
; %bb.2545:
	v_cndmask_b32_e64 v4, 0, 1.0, s[4:5]
	s_mov_b32 s20, 0x43800000
	v_cmp_gt_u32_e32 vcc, s20, v4
	v_mov_b32_e32 v5, 0x80
	s_and_saveexec_b64 s[20:21], vcc
	s_cbranch_execz .LBB214_2551
; %bb.2546:
	s_mov_b32 s22, 0x3bffffff
	v_cmp_lt_u32_e32 vcc, s22, v4
	s_mov_b64 s[22:23], 0
                                        ; implicit-def: $vgpr3
	s_and_saveexec_b64 s[24:25], vcc
	s_xor_b64 s[24:25], exec, s[24:25]
	s_cbranch_execz .LBB214_2772
; %bb.2547:
	v_bfe_u32 v3, v4, 20, 1
	s_mov_b32 s27, 0x487ffff
	v_add3_u32 v3, v4, v3, s27
	s_mov_b64 s[22:23], exec
	v_lshrrev_b32_e32 v3, 20, v3
                                        ; implicit-def: $vgpr4
	s_andn2_saveexec_b64 s[24:25], s[24:25]
	s_cbranch_execnz .LBB214_2773
.LBB214_2548:
	s_or_b64 exec, exec, s[24:25]
	v_mov_b32_e32 v5, 0
	s_and_saveexec_b64 s[24:25], s[22:23]
.LBB214_2549:
	v_mov_b32_e32 v5, v3
.LBB214_2550:
	s_or_b64 exec, exec, s[24:25]
.LBB214_2551:
	s_or_b64 exec, exec, s[20:21]
	global_store_byte v[0:1], v5, off
.LBB214_2552:
	s_mov_b64 s[20:21], -1
.LBB214_2553:
	s_mov_b64 s[22:23], 0
.LBB214_2554:
	s_and_b64 vcc, exec, s[22:23]
	s_cbranch_vccz .LBB214_2594
; %bb.2555:
	s_cmp_gt_i32 s26, 22
	s_mov_b64 s[12:13], -1
	s_cbranch_scc0 .LBB214_2587
; %bb.2556:
	s_cmp_lt_i32 s26, 24
	s_cbranch_scc1 .LBB214_2576
; %bb.2557:
	s_cmp_gt_i32 s26, 24
	s_cbranch_scc0 .LBB214_2565
; %bb.2558:
	v_cndmask_b32_e64 v4, 0, 1.0, s[4:5]
	s_mov_b32 s12, 0x47800000
	v_cmp_gt_u32_e32 vcc, s12, v4
	v_mov_b32_e32 v5, 0x80
	s_and_saveexec_b64 s[12:13], vcc
	s_cbranch_execz .LBB214_2564
; %bb.2559:
	s_mov_b32 s20, 0x37ffffff
	v_cmp_lt_u32_e32 vcc, s20, v4
	s_mov_b64 s[20:21], 0
                                        ; implicit-def: $vgpr3
	s_and_saveexec_b64 s[22:23], vcc
	s_xor_b64 s[22:23], exec, s[22:23]
	s_cbranch_execz .LBB214_2775
; %bb.2560:
	v_bfe_u32 v3, v4, 21, 1
	s_mov_b32 s24, 0x88fffff
	v_add3_u32 v3, v4, v3, s24
	s_mov_b64 s[20:21], exec
	v_lshrrev_b32_e32 v3, 21, v3
                                        ; implicit-def: $vgpr4
	s_andn2_saveexec_b64 s[22:23], s[22:23]
	s_cbranch_execnz .LBB214_2776
.LBB214_2561:
	s_or_b64 exec, exec, s[22:23]
	v_mov_b32_e32 v5, 0
	s_and_saveexec_b64 s[22:23], s[20:21]
.LBB214_2562:
	v_mov_b32_e32 v5, v3
.LBB214_2563:
	s_or_b64 exec, exec, s[22:23]
.LBB214_2564:
	s_or_b64 exec, exec, s[12:13]
	s_mov_b64 s[12:13], 0
	global_store_byte v[0:1], v5, off
.LBB214_2565:
	s_and_b64 vcc, exec, s[12:13]
	s_cbranch_vccz .LBB214_2575
; %bb.2566:
	v_cndmask_b32_e64 v3, 0, 1.0, s[4:5]
	s_mov_b32 s12, 0x43f00000
	v_cmp_gt_u32_e32 vcc, s12, v3
                                        ; implicit-def: $vgpr4
	s_and_saveexec_b64 s[12:13], vcc
	s_xor_b64 s[12:13], exec, s[12:13]
	s_cbranch_execz .LBB214_2572
; %bb.2567:
	s_mov_b32 s20, 0x3c7fffff
	v_cmp_lt_u32_e32 vcc, s20, v3
                                        ; implicit-def: $vgpr4
	s_and_saveexec_b64 s[20:21], vcc
	s_xor_b64 s[20:21], exec, s[20:21]
; %bb.2568:
	v_bfe_u32 v4, v3, 20, 1
	s_mov_b32 s22, 0x407ffff
	v_add3_u32 v3, v3, v4, s22
	v_lshrrev_b32_e32 v4, 20, v3
	v_and_b32_e32 v3, 0xff00000, v3
	s_mov_b32 s22, 0x7f00000
	v_mov_b32_e32 v5, 0x7e
	v_cmp_ne_u32_e32 vcc, s22, v3
	v_cndmask_b32_e32 v4, v5, v4, vcc
                                        ; implicit-def: $vgpr3
; %bb.2569:
	s_andn2_saveexec_b64 s[20:21], s[20:21]
; %bb.2570:
	v_add_f32_e32 v4, 0x46800000, v3
; %bb.2571:
	s_or_b64 exec, exec, s[20:21]
                                        ; implicit-def: $vgpr3
.LBB214_2572:
	s_andn2_saveexec_b64 s[12:13], s[12:13]
; %bb.2573:
	s_mov_b32 s20, 0x7f800000
	v_mov_b32_e32 v4, 0x7e
	v_mov_b32_e32 v5, 0x7f
	v_cmp_lt_u32_e32 vcc, s20, v3
	v_cndmask_b32_e32 v4, v4, v5, vcc
; %bb.2574:
	s_or_b64 exec, exec, s[12:13]
	global_store_byte v[0:1], v4, off
.LBB214_2575:
	s_mov_b64 s[12:13], 0
.LBB214_2576:
	s_andn2_b64 vcc, exec, s[12:13]
	s_cbranch_vccnz .LBB214_2586
; %bb.2577:
	v_cndmask_b32_e64 v3, 0, 1.0, s[4:5]
	s_mov_b32 s12, 0x47800000
	v_cmp_gt_u32_e32 vcc, s12, v3
                                        ; implicit-def: $vgpr4
	s_and_saveexec_b64 s[12:13], vcc
	s_xor_b64 s[12:13], exec, s[12:13]
	s_cbranch_execz .LBB214_2583
; %bb.2578:
	s_mov_b32 s20, 0x387fffff
	v_cmp_lt_u32_e32 vcc, s20, v3
                                        ; implicit-def: $vgpr4
	s_and_saveexec_b64 s[20:21], vcc
	s_xor_b64 s[20:21], exec, s[20:21]
; %bb.2579:
	v_bfe_u32 v4, v3, 21, 1
	s_mov_b32 s22, 0x80fffff
	v_add3_u32 v3, v3, v4, s22
	v_lshrrev_b32_e32 v4, 21, v3
                                        ; implicit-def: $vgpr3
; %bb.2580:
	s_andn2_saveexec_b64 s[20:21], s[20:21]
; %bb.2581:
	v_add_f32_e32 v4, 0x43000000, v3
; %bb.2582:
	s_or_b64 exec, exec, s[20:21]
                                        ; implicit-def: $vgpr3
.LBB214_2583:
	s_andn2_saveexec_b64 s[12:13], s[12:13]
; %bb.2584:
	s_mov_b32 s20, 0x7f800000
	v_mov_b32_e32 v4, 0x7c
	v_mov_b32_e32 v5, 0x7f
	v_cmp_lt_u32_e32 vcc, s20, v3
	v_cndmask_b32_e32 v4, v4, v5, vcc
; %bb.2585:
	s_or_b64 exec, exec, s[12:13]
	global_store_byte v[0:1], v4, off
.LBB214_2586:
	s_mov_b64 s[12:13], 0
	s_mov_b64 s[20:21], -1
.LBB214_2587:
	s_andn2_b64 vcc, exec, s[12:13]
	s_mov_b64 s[12:13], 0
	s_cbranch_vccnz .LBB214_2594
; %bb.2588:
	s_cmp_gt_i32 s26, 14
	s_mov_b64 s[22:23], -1
	s_cbranch_scc0 .LBB214_2592
; %bb.2589:
	s_cmp_eq_u32 s26, 15
	s_mov_b64 s[0:1], -1
	s_cbranch_scc0 .LBB214_2591
; %bb.2590:
	v_cndmask_b32_e64 v3, 0, 1.0, s[4:5]
	v_bfe_u32 v4, v3, 16, 1
	s_movk_i32 s0, 0x7fff
	v_add3_u32 v3, v3, v4, s0
	global_store_short_d16_hi v[0:1], v3, off
	s_mov_b64 s[0:1], 0
	s_mov_b64 s[20:21], -1
.LBB214_2591:
	s_mov_b64 s[22:23], 0
.LBB214_2592:
	s_and_b64 vcc, exec, s[22:23]
	s_cbranch_vccz .LBB214_2594
; %bb.2593:
	s_cmp_lg_u32 s26, 11
	s_mov_b64 s[12:13], -1
	s_cselect_b64 s[0:1], -1, 0
.LBB214_2594:
	s_and_b64 vcc, exec, s[0:1]
	s_cbranch_vccnz .LBB214_2774
; %bb.2595:
	s_andn2_b64 vcc, exec, s[12:13]
	s_cbranch_vccnz .LBB214_2597
.LBB214_2596:
	v_cndmask_b32_e64 v3, 0, 1, s[4:5]
	s_mov_b64 s[20:21], -1
	global_store_byte v[0:1], v3, off
.LBB214_2597:
	s_mov_b64 s[0:1], 0
	s_branch .LBB214_2599
.LBB214_2598:
	s_mov_b64 s[0:1], -1
	s_mov_b64 s[20:21], 0
.LBB214_2599:
	s_and_b64 vcc, exec, s[0:1]
	s_cbranch_vccz .LBB214_2638
; %bb.2600:
	s_and_b32 s12, 0xffff, s38
	s_cmp_lt_i32 s12, 5
	s_mov_b64 s[0:1], -1
	s_cbranch_scc1 .LBB214_2621
; %bb.2601:
	s_cmp_lt_i32 s12, 8
	s_cbranch_scc1 .LBB214_2611
; %bb.2602:
	s_cmp_lt_i32 s12, 9
	s_cbranch_scc1 .LBB214_2608
; %bb.2603:
	s_cmp_gt_i32 s12, 9
	s_cbranch_scc0 .LBB214_2605
; %bb.2604:
	v_cndmask_b32_e64 v3, 0, 1, s[4:5]
	v_cvt_f64_u32_e32 v[3:4], v3
	v_mov_b32_e32 v5, 0
	v_mov_b32_e32 v6, v5
	s_mov_b64 s[0:1], 0
	global_store_dwordx4 v[0:1], v[3:6], off
.LBB214_2605:
	s_andn2_b64 vcc, exec, s[0:1]
	s_cbranch_vccnz .LBB214_2607
; %bb.2606:
	v_cndmask_b32_e64 v3, 0, 1.0, s[4:5]
	v_mov_b32_e32 v4, 0
	global_store_dwordx2 v[0:1], v[3:4], off
.LBB214_2607:
	s_mov_b64 s[0:1], 0
.LBB214_2608:
	s_andn2_b64 vcc, exec, s[0:1]
	s_cbranch_vccnz .LBB214_2610
; %bb.2609:
	v_cndmask_b32_e64 v3, 0, 1.0, s[4:5]
	v_cvt_f16_f32_e32 v3, v3
	global_store_dword v[0:1], v3, off
.LBB214_2610:
	s_mov_b64 s[0:1], 0
.LBB214_2611:
	s_andn2_b64 vcc, exec, s[0:1]
	s_cbranch_vccnz .LBB214_2620
; %bb.2612:
	s_cmp_lt_i32 s12, 6
	s_mov_b64 s[0:1], -1
	s_cbranch_scc1 .LBB214_2618
; %bb.2613:
	s_cmp_gt_i32 s12, 6
	s_cbranch_scc0 .LBB214_2615
; %bb.2614:
	v_cndmask_b32_e64 v3, 0, 1, s[4:5]
	v_cvt_f64_u32_e32 v[3:4], v3
	s_mov_b64 s[0:1], 0
	global_store_dwordx2 v[0:1], v[3:4], off
.LBB214_2615:
	s_andn2_b64 vcc, exec, s[0:1]
	s_cbranch_vccnz .LBB214_2617
; %bb.2616:
	v_cndmask_b32_e64 v3, 0, 1.0, s[4:5]
	global_store_dword v[0:1], v3, off
.LBB214_2617:
	s_mov_b64 s[0:1], 0
.LBB214_2618:
	s_andn2_b64 vcc, exec, s[0:1]
	s_cbranch_vccnz .LBB214_2620
; %bb.2619:
	v_cndmask_b32_e64 v3, 0, 1.0, s[4:5]
	v_cvt_f16_f32_e32 v3, v3
	global_store_short v[0:1], v3, off
.LBB214_2620:
	s_mov_b64 s[0:1], 0
.LBB214_2621:
	s_andn2_b64 vcc, exec, s[0:1]
	s_cbranch_vccnz .LBB214_2637
; %bb.2622:
	s_cmp_lt_i32 s12, 2
	s_mov_b64 s[0:1], -1
	s_cbranch_scc1 .LBB214_2632
; %bb.2623:
	s_cmp_lt_i32 s12, 3
	s_cbranch_scc1 .LBB214_2629
; %bb.2624:
	s_cmp_gt_i32 s12, 3
	s_cbranch_scc0 .LBB214_2626
; %bb.2625:
	s_mov_b32 s0, 0
	v_cndmask_b32_e64 v3, 0, 1, s[4:5]
	v_mov_b32_e32 v4, s0
	global_store_dwordx2 v[0:1], v[3:4], off
	s_mov_b64 s[0:1], 0
.LBB214_2626:
	s_andn2_b64 vcc, exec, s[0:1]
	s_cbranch_vccnz .LBB214_2628
; %bb.2627:
	v_cndmask_b32_e64 v3, 0, 1, s[4:5]
	global_store_dword v[0:1], v3, off
.LBB214_2628:
	s_mov_b64 s[0:1], 0
.LBB214_2629:
	s_andn2_b64 vcc, exec, s[0:1]
	s_cbranch_vccnz .LBB214_2631
; %bb.2630:
	v_cndmask_b32_e64 v3, 0, 1, s[4:5]
	global_store_short v[0:1], v3, off
.LBB214_2631:
	s_mov_b64 s[0:1], 0
.LBB214_2632:
	s_andn2_b64 vcc, exec, s[0:1]
	s_cbranch_vccnz .LBB214_2637
; %bb.2633:
	s_mov_b64 s[0:1], -1
	s_cmp_gt_i32 s12, 0
	v_cndmask_b32_e64 v3, 0, 1, s[4:5]
	s_cbranch_scc0 .LBB214_2635
; %bb.2634:
	global_store_byte v[0:1], v3, off
	s_mov_b64 s[0:1], 0
.LBB214_2635:
	s_andn2_b64 vcc, exec, s[0:1]
	s_cbranch_vccnz .LBB214_2637
; %bb.2636:
	global_store_byte v[0:1], v3, off
.LBB214_2637:
	s_mov_b64 s[20:21], -1
.LBB214_2638:
	s_andn2_b64 vcc, exec, s[20:21]
	s_cbranch_vccnz .LBB214_2715
; %bb.2639:
	s_xor_b64 s[0:1], s[10:11], s[2:3]
	v_add_u32_e32 v0, s30, v2
	s_xor_b64 s[20:21], s[14:15], s[0:1]
	v_ashrrev_i32_e32 v1, 31, v0
	v_mov_b32_e32 v2, s9
	v_add_co_u32_e32 v0, vcc, s8, v0
	s_cmp_lt_i32 s38, 11
	v_addc_co_u32_e32 v1, vcc, v2, v1, vcc
	s_cbranch_scc1 .LBB214_2760
; %bb.2640:
	s_and_b32 s12, 0xffff, s38
	s_mov_b64 s[4:5], -1
	s_mov_b64 s[2:3], 0
	s_cmp_gt_i32 s12, 25
	s_mov_b64 s[0:1], 0
	s_cbranch_scc0 .LBB214_2673
; %bb.2641:
	s_cmp_gt_i32 s12, 28
	s_cbranch_scc0 .LBB214_2657
; %bb.2642:
	s_cmp_gt_i32 s12, 43
	;; [unrolled: 3-line block ×3, first 2 shown]
	s_cbranch_scc0 .LBB214_2647
; %bb.2644:
	s_cmp_eq_u32 s12, 46
	s_mov_b64 s[0:1], -1
	s_cbranch_scc0 .LBB214_2646
; %bb.2645:
	v_cndmask_b32_e64 v2, 0, 1.0, s[20:21]
	v_bfe_u32 v3, v2, 16, 1
	s_movk_i32 s0, 0x7fff
	v_add3_u32 v2, v2, v3, s0
	v_lshrrev_b32_e32 v2, 16, v2
	global_store_dword v[0:1], v2, off
	s_mov_b64 s[0:1], 0
.LBB214_2646:
	s_mov_b64 s[4:5], 0
.LBB214_2647:
	s_and_b64 vcc, exec, s[4:5]
	s_cbranch_vccz .LBB214_2652
; %bb.2648:
	s_cmp_eq_u32 s12, 44
	s_mov_b64 s[0:1], -1
	s_cbranch_scc0 .LBB214_2652
; %bb.2649:
	v_cndmask_b32_e64 v3, 0, 1.0, s[20:21]
	v_lshrrev_b32_e32 v2, 23, v3
	s_movk_i32 s0, 0xff
	v_cmp_ne_u32_e32 vcc, s0, v2
	v_mov_b32_e32 v4, 0xff
	s_and_saveexec_b64 s[4:5], vcc
; %bb.2650:
	s_mov_b32 s0, 0x3fffff
	v_and_b32_e32 v4, 0x400000, v3
	v_and_or_b32 v3, v3, s0, v2
	v_cmp_ne_u32_e32 vcc, 0, v4
	v_cmp_ne_u32_e64 s[0:1], 0, v3
	s_and_b64 s[0:1], vcc, s[0:1]
	v_cndmask_b32_e64 v3, 0, 1, s[0:1]
	v_add_u32_e32 v4, v2, v3
; %bb.2651:
	s_or_b64 exec, exec, s[4:5]
	s_mov_b64 s[0:1], 0
	global_store_byte v[0:1], v4, off
.LBB214_2652:
	s_mov_b64 s[4:5], 0
.LBB214_2653:
	s_and_b64 vcc, exec, s[4:5]
	s_cbranch_vccz .LBB214_2656
; %bb.2654:
	s_cmp_eq_u32 s12, 29
	s_mov_b64 s[0:1], -1
	s_cbranch_scc0 .LBB214_2656
; %bb.2655:
	s_mov_b32 s0, 0
	v_cndmask_b32_e64 v2, 0, 1, s[20:21]
	v_mov_b32_e32 v3, s0
	global_store_dwordx2 v[0:1], v[2:3], off
	s_mov_b64 s[0:1], 0
.LBB214_2656:
	s_mov_b64 s[4:5], 0
.LBB214_2657:
	s_and_b64 vcc, exec, s[4:5]
	s_cbranch_vccz .LBB214_2672
; %bb.2658:
	s_cmp_lt_i32 s12, 27
	s_mov_b64 s[4:5], -1
	s_cbranch_scc1 .LBB214_2664
; %bb.2659:
	s_cmp_gt_i32 s12, 27
	v_cndmask_b32_e64 v2, 0, 1, s[20:21]
	s_cbranch_scc0 .LBB214_2661
; %bb.2660:
	global_store_dword v[0:1], v2, off
	s_mov_b64 s[4:5], 0
.LBB214_2661:
	s_andn2_b64 vcc, exec, s[4:5]
	s_cbranch_vccnz .LBB214_2663
; %bb.2662:
	global_store_short v[0:1], v2, off
.LBB214_2663:
	s_mov_b64 s[4:5], 0
.LBB214_2664:
	s_andn2_b64 vcc, exec, s[4:5]
	s_cbranch_vccnz .LBB214_2672
; %bb.2665:
	v_cndmask_b32_e64 v3, 0, 1.0, s[20:21]
	s_mov_b32 s4, 0x43800000
	v_cmp_gt_u32_e32 vcc, s4, v3
	v_mov_b32_e32 v4, 0x80
	s_and_saveexec_b64 s[4:5], vcc
	s_cbranch_execz .LBB214_2671
; %bb.2666:
	s_mov_b32 s8, 0x3bffffff
	v_cmp_lt_u32_e32 vcc, s8, v3
	s_mov_b64 s[8:9], 0
                                        ; implicit-def: $vgpr2
	s_and_saveexec_b64 s[10:11], vcc
	s_xor_b64 s[10:11], exec, s[10:11]
	s_cbranch_execz .LBB214_2777
; %bb.2667:
	v_bfe_u32 v2, v3, 20, 1
	s_mov_b32 s13, 0x487ffff
	v_add3_u32 v2, v3, v2, s13
	s_mov_b64 s[8:9], exec
	v_lshrrev_b32_e32 v2, 20, v2
                                        ; implicit-def: $vgpr3
	s_andn2_saveexec_b64 s[10:11], s[10:11]
	s_cbranch_execnz .LBB214_2778
.LBB214_2668:
	s_or_b64 exec, exec, s[10:11]
	v_mov_b32_e32 v4, 0
	s_and_saveexec_b64 s[10:11], s[8:9]
.LBB214_2669:
	v_mov_b32_e32 v4, v2
.LBB214_2670:
	s_or_b64 exec, exec, s[10:11]
.LBB214_2671:
	s_or_b64 exec, exec, s[4:5]
	global_store_byte v[0:1], v4, off
.LBB214_2672:
	s_mov_b64 s[4:5], 0
.LBB214_2673:
	s_and_b64 vcc, exec, s[4:5]
	s_cbranch_vccz .LBB214_2713
; %bb.2674:
	s_cmp_gt_i32 s12, 22
	s_mov_b64 s[2:3], -1
	s_cbranch_scc0 .LBB214_2706
; %bb.2675:
	s_cmp_lt_i32 s12, 24
	s_cbranch_scc1 .LBB214_2695
; %bb.2676:
	s_cmp_gt_i32 s12, 24
	s_cbranch_scc0 .LBB214_2684
; %bb.2677:
	v_cndmask_b32_e64 v3, 0, 1.0, s[20:21]
	s_mov_b32 s2, 0x47800000
	v_cmp_gt_u32_e32 vcc, s2, v3
	v_mov_b32_e32 v4, 0x80
	s_and_saveexec_b64 s[2:3], vcc
	s_cbranch_execz .LBB214_2683
; %bb.2678:
	s_mov_b32 s4, 0x37ffffff
	v_cmp_lt_u32_e32 vcc, s4, v3
	s_mov_b64 s[4:5], 0
                                        ; implicit-def: $vgpr2
	s_and_saveexec_b64 s[8:9], vcc
	s_xor_b64 s[8:9], exec, s[8:9]
	s_cbranch_execz .LBB214_2780
; %bb.2679:
	v_bfe_u32 v2, v3, 21, 1
	s_mov_b32 s10, 0x88fffff
	v_add3_u32 v2, v3, v2, s10
	s_mov_b64 s[4:5], exec
	v_lshrrev_b32_e32 v2, 21, v2
                                        ; implicit-def: $vgpr3
	s_andn2_saveexec_b64 s[8:9], s[8:9]
	s_cbranch_execnz .LBB214_2781
.LBB214_2680:
	s_or_b64 exec, exec, s[8:9]
	v_mov_b32_e32 v4, 0
	s_and_saveexec_b64 s[8:9], s[4:5]
.LBB214_2681:
	v_mov_b32_e32 v4, v2
.LBB214_2682:
	s_or_b64 exec, exec, s[8:9]
.LBB214_2683:
	s_or_b64 exec, exec, s[2:3]
	s_mov_b64 s[2:3], 0
	global_store_byte v[0:1], v4, off
.LBB214_2684:
	s_and_b64 vcc, exec, s[2:3]
	s_cbranch_vccz .LBB214_2694
; %bb.2685:
	v_cndmask_b32_e64 v2, 0, 1.0, s[20:21]
	s_mov_b32 s2, 0x43f00000
	v_cmp_gt_u32_e32 vcc, s2, v2
                                        ; implicit-def: $vgpr3
	s_and_saveexec_b64 s[2:3], vcc
	s_xor_b64 s[2:3], exec, s[2:3]
	s_cbranch_execz .LBB214_2691
; %bb.2686:
	s_mov_b32 s4, 0x3c7fffff
	v_cmp_lt_u32_e32 vcc, s4, v2
                                        ; implicit-def: $vgpr3
	s_and_saveexec_b64 s[4:5], vcc
	s_xor_b64 s[4:5], exec, s[4:5]
; %bb.2687:
	v_bfe_u32 v3, v2, 20, 1
	s_mov_b32 s8, 0x407ffff
	v_add3_u32 v2, v2, v3, s8
	v_lshrrev_b32_e32 v3, 20, v2
	v_and_b32_e32 v2, 0xff00000, v2
	s_mov_b32 s8, 0x7f00000
	v_mov_b32_e32 v4, 0x7e
	v_cmp_ne_u32_e32 vcc, s8, v2
	v_cndmask_b32_e32 v3, v4, v3, vcc
                                        ; implicit-def: $vgpr2
; %bb.2688:
	s_andn2_saveexec_b64 s[4:5], s[4:5]
; %bb.2689:
	v_add_f32_e32 v3, 0x46800000, v2
; %bb.2690:
	s_or_b64 exec, exec, s[4:5]
                                        ; implicit-def: $vgpr2
.LBB214_2691:
	s_andn2_saveexec_b64 s[2:3], s[2:3]
; %bb.2692:
	s_mov_b32 s4, 0x7f800000
	v_mov_b32_e32 v3, 0x7e
	v_mov_b32_e32 v4, 0x7f
	v_cmp_lt_u32_e32 vcc, s4, v2
	v_cndmask_b32_e32 v3, v3, v4, vcc
; %bb.2693:
	s_or_b64 exec, exec, s[2:3]
	global_store_byte v[0:1], v3, off
.LBB214_2694:
	s_mov_b64 s[2:3], 0
.LBB214_2695:
	s_andn2_b64 vcc, exec, s[2:3]
	s_cbranch_vccnz .LBB214_2705
; %bb.2696:
	v_cndmask_b32_e64 v2, 0, 1.0, s[20:21]
	s_mov_b32 s2, 0x47800000
	v_cmp_gt_u32_e32 vcc, s2, v2
                                        ; implicit-def: $vgpr3
	s_and_saveexec_b64 s[2:3], vcc
	s_xor_b64 s[2:3], exec, s[2:3]
	s_cbranch_execz .LBB214_2702
; %bb.2697:
	s_mov_b32 s4, 0x387fffff
	v_cmp_lt_u32_e32 vcc, s4, v2
                                        ; implicit-def: $vgpr3
	s_and_saveexec_b64 s[4:5], vcc
	s_xor_b64 s[4:5], exec, s[4:5]
; %bb.2698:
	v_bfe_u32 v3, v2, 21, 1
	s_mov_b32 s8, 0x80fffff
	v_add3_u32 v2, v2, v3, s8
	v_lshrrev_b32_e32 v3, 21, v2
                                        ; implicit-def: $vgpr2
; %bb.2699:
	s_andn2_saveexec_b64 s[4:5], s[4:5]
; %bb.2700:
	v_add_f32_e32 v3, 0x43000000, v2
; %bb.2701:
	s_or_b64 exec, exec, s[4:5]
                                        ; implicit-def: $vgpr2
.LBB214_2702:
	s_andn2_saveexec_b64 s[2:3], s[2:3]
; %bb.2703:
	s_mov_b32 s4, 0x7f800000
	v_mov_b32_e32 v3, 0x7c
	v_mov_b32_e32 v4, 0x7f
	v_cmp_lt_u32_e32 vcc, s4, v2
	v_cndmask_b32_e32 v3, v3, v4, vcc
; %bb.2704:
	s_or_b64 exec, exec, s[2:3]
	global_store_byte v[0:1], v3, off
.LBB214_2705:
	s_mov_b64 s[2:3], 0
.LBB214_2706:
	s_andn2_b64 vcc, exec, s[2:3]
	s_mov_b64 s[2:3], 0
	s_cbranch_vccnz .LBB214_2713
; %bb.2707:
	s_cmp_gt_i32 s12, 14
	s_mov_b64 s[4:5], -1
	s_cbranch_scc0 .LBB214_2711
; %bb.2708:
	s_cmp_eq_u32 s12, 15
	s_mov_b64 s[0:1], -1
	s_cbranch_scc0 .LBB214_2710
; %bb.2709:
	v_cndmask_b32_e64 v2, 0, 1.0, s[20:21]
	v_bfe_u32 v3, v2, 16, 1
	s_movk_i32 s0, 0x7fff
	v_add3_u32 v2, v2, v3, s0
	global_store_short_d16_hi v[0:1], v2, off
	s_mov_b64 s[0:1], 0
.LBB214_2710:
	s_mov_b64 s[4:5], 0
.LBB214_2711:
	s_and_b64 vcc, exec, s[4:5]
	s_cbranch_vccz .LBB214_2713
; %bb.2712:
	s_cmp_lg_u32 s12, 11
	s_mov_b64 s[2:3], -1
	s_cselect_b64 s[0:1], -1, 0
.LBB214_2713:
	s_and_b64 vcc, exec, s[0:1]
	s_cbranch_vccnz .LBB214_2779
.LBB214_2714:
	s_mov_b64 s[0:1], 0
	s_branch .LBB214_2716
.LBB214_2715:
	s_mov_b64 s[0:1], 0
	s_mov_b64 s[2:3], 0
                                        ; implicit-def: $sgpr20_sgpr21
                                        ; implicit-def: $sgpr38
                                        ; implicit-def: $vgpr0_vgpr1
.LBB214_2716:
	s_and_b64 s[4:5], s[2:3], exec
	s_andn2_b64 s[2:3], s[16:17], exec
	s_and_b64 s[8:9], s[18:19], exec
	s_and_b64 s[0:1], s[0:1], exec
	s_or_b64 s[16:17], s[2:3], s[8:9]
.LBB214_2717:
	s_or_b64 exec, exec, s[6:7]
	s_and_saveexec_b64 s[2:3], s[16:17]
	s_cbranch_execz .LBB214_2720
; %bb.2718:
	; divergent unreachable
	s_or_b64 exec, exec, s[2:3]
	s_and_saveexec_b64 s[2:3], s[4:5]
	s_xor_b64 s[2:3], exec, s[2:3]
	s_cbranch_execnz .LBB214_2721
.LBB214_2719:
	s_or_b64 exec, exec, s[2:3]
	s_and_saveexec_b64 s[2:3], s[0:1]
	s_cbranch_execnz .LBB214_2722
	s_branch .LBB214_2759
.LBB214_2720:
	s_or_b64 exec, exec, s[2:3]
	s_and_saveexec_b64 s[2:3], s[4:5]
	s_xor_b64 s[2:3], exec, s[2:3]
	s_cbranch_execz .LBB214_2719
.LBB214_2721:
	v_cndmask_b32_e64 v2, 0, 1, s[20:21]
	global_store_byte v[0:1], v2, off
	s_or_b64 exec, exec, s[2:3]
	s_and_saveexec_b64 s[2:3], s[0:1]
	s_cbranch_execz .LBB214_2759
.LBB214_2722:
	s_sext_i32_i16 s2, s38
	s_cmp_lt_i32 s2, 5
	s_mov_b64 s[0:1], -1
	s_cbranch_scc1 .LBB214_2743
; %bb.2723:
	s_cmp_lt_i32 s2, 8
	s_cbranch_scc1 .LBB214_2733
; %bb.2724:
	s_cmp_lt_i32 s2, 9
	s_cbranch_scc1 .LBB214_2730
; %bb.2725:
	s_cmp_gt_i32 s2, 9
	s_cbranch_scc0 .LBB214_2727
; %bb.2726:
	v_cndmask_b32_e64 v2, 0, 1, s[20:21]
	v_cvt_f64_u32_e32 v[2:3], v2
	v_mov_b32_e32 v4, 0
	v_mov_b32_e32 v5, v4
	s_mov_b64 s[0:1], 0
	global_store_dwordx4 v[0:1], v[2:5], off
.LBB214_2727:
	s_andn2_b64 vcc, exec, s[0:1]
	s_cbranch_vccnz .LBB214_2729
; %bb.2728:
	v_cndmask_b32_e64 v2, 0, 1.0, s[20:21]
	v_mov_b32_e32 v3, 0
	global_store_dwordx2 v[0:1], v[2:3], off
.LBB214_2729:
	s_mov_b64 s[0:1], 0
.LBB214_2730:
	s_andn2_b64 vcc, exec, s[0:1]
	s_cbranch_vccnz .LBB214_2732
; %bb.2731:
	v_cndmask_b32_e64 v2, 0, 1.0, s[20:21]
	v_cvt_f16_f32_e32 v2, v2
	global_store_dword v[0:1], v2, off
.LBB214_2732:
	s_mov_b64 s[0:1], 0
.LBB214_2733:
	s_andn2_b64 vcc, exec, s[0:1]
	s_cbranch_vccnz .LBB214_2742
; %bb.2734:
	s_sext_i32_i16 s2, s38
	s_cmp_lt_i32 s2, 6
	s_mov_b64 s[0:1], -1
	s_cbranch_scc1 .LBB214_2740
; %bb.2735:
	s_cmp_gt_i32 s2, 6
	s_cbranch_scc0 .LBB214_2737
; %bb.2736:
	v_cndmask_b32_e64 v2, 0, 1, s[20:21]
	v_cvt_f64_u32_e32 v[2:3], v2
	s_mov_b64 s[0:1], 0
	global_store_dwordx2 v[0:1], v[2:3], off
.LBB214_2737:
	s_andn2_b64 vcc, exec, s[0:1]
	s_cbranch_vccnz .LBB214_2739
; %bb.2738:
	v_cndmask_b32_e64 v2, 0, 1.0, s[20:21]
	global_store_dword v[0:1], v2, off
.LBB214_2739:
	s_mov_b64 s[0:1], 0
.LBB214_2740:
	s_andn2_b64 vcc, exec, s[0:1]
	s_cbranch_vccnz .LBB214_2742
; %bb.2741:
	v_cndmask_b32_e64 v2, 0, 1.0, s[20:21]
	v_cvt_f16_f32_e32 v2, v2
	global_store_short v[0:1], v2, off
.LBB214_2742:
	s_mov_b64 s[0:1], 0
.LBB214_2743:
	s_andn2_b64 vcc, exec, s[0:1]
	s_cbranch_vccnz .LBB214_2759
; %bb.2744:
	s_sext_i32_i16 s2, s38
	s_cmp_lt_i32 s2, 2
	s_mov_b64 s[0:1], -1
	s_cbranch_scc1 .LBB214_2754
; %bb.2745:
	s_cmp_lt_i32 s2, 3
	s_cbranch_scc1 .LBB214_2751
; %bb.2746:
	s_cmp_gt_i32 s2, 3
	s_cbranch_scc0 .LBB214_2748
; %bb.2747:
	s_mov_b32 s0, 0
	v_cndmask_b32_e64 v2, 0, 1, s[20:21]
	v_mov_b32_e32 v3, s0
	global_store_dwordx2 v[0:1], v[2:3], off
	s_mov_b64 s[0:1], 0
.LBB214_2748:
	s_andn2_b64 vcc, exec, s[0:1]
	s_cbranch_vccnz .LBB214_2750
; %bb.2749:
	v_cndmask_b32_e64 v2, 0, 1, s[20:21]
	global_store_dword v[0:1], v2, off
.LBB214_2750:
	s_mov_b64 s[0:1], 0
.LBB214_2751:
	s_andn2_b64 vcc, exec, s[0:1]
	s_cbranch_vccnz .LBB214_2753
; %bb.2752:
	v_cndmask_b32_e64 v2, 0, 1, s[20:21]
	global_store_short v[0:1], v2, off
.LBB214_2753:
	s_mov_b64 s[0:1], 0
.LBB214_2754:
	s_andn2_b64 vcc, exec, s[0:1]
	s_cbranch_vccnz .LBB214_2759
; %bb.2755:
	s_sext_i32_i16 s2, s38
	s_mov_b64 s[0:1], -1
	s_cmp_gt_i32 s2, 0
	v_cndmask_b32_e64 v2, 0, 1, s[20:21]
	s_cbranch_scc0 .LBB214_2757
; %bb.2756:
	global_store_byte v[0:1], v2, off
	s_mov_b64 s[0:1], 0
.LBB214_2757:
	s_andn2_b64 vcc, exec, s[0:1]
	s_cbranch_vccnz .LBB214_2759
; %bb.2758:
	global_store_byte v[0:1], v2, off
	s_endpgm
.LBB214_2759:
	s_endpgm
.LBB214_2760:
	s_mov_b64 s[2:3], 0
	s_mov_b64 s[0:1], -1
	s_branch .LBB214_2716
.LBB214_2761:
	s_trap 2
	s_mov_b64 s[30:31], 0
	s_or_b64 s[18:19], s[18:19], exec
	s_cbranch_execz .LBB214_2230
	s_branch .LBB214_2231
.LBB214_2762:
	s_andn2_saveexec_b64 s[36:37], s[36:37]
	s_cbranch_execz .LBB214_2310
.LBB214_2763:
	v_add_f32_e32 v3, 0x46000000, v4
	v_and_b32_e32 v3, 0xff, v3
	v_cmp_ne_u32_e32 vcc, 0, v3
	s_andn2_b64 s[34:35], s[34:35], exec
	s_and_b64 s[40:41], vcc, exec
	s_or_b64 s[34:35], s[34:35], s[40:41]
	s_or_b64 exec, exec, s[36:37]
	v_mov_b32_e32 v5, 0
	s_and_saveexec_b64 s[36:37], s[34:35]
	s_cbranch_execnz .LBB214_2311
	s_branch .LBB214_2312
.LBB214_2764:
	s_trap 2
	s_or_b64 s[18:19], s[18:19], exec
	s_cbranch_execz .LBB214_2358
	s_branch .LBB214_2359
.LBB214_2765:
	s_andn2_saveexec_b64 s[34:35], s[34:35]
	s_cbranch_execz .LBB214_2323
.LBB214_2766:
	v_add_f32_e32 v3, 0x42800000, v4
	v_and_b32_e32 v3, 0xff, v3
	v_cmp_ne_u32_e32 vcc, 0, v3
	s_andn2_b64 s[30:31], s[30:31], exec
	s_and_b64 s[36:37], vcc, exec
	s_or_b64 s[30:31], s[30:31], s[36:37]
	s_or_b64 exec, exec, s[34:35]
	v_mov_b32_e32 v5, 0
	s_and_saveexec_b64 s[34:35], s[30:31]
	s_cbranch_execnz .LBB214_2324
	s_branch .LBB214_2325
.LBB214_2767:
	s_andn2_saveexec_b64 s[26:27], s[26:27]
	s_cbranch_execz .LBB214_2429
.LBB214_2768:
	v_add_f32_e32 v3, 0x46000000, v4
	v_and_b32_e32 v3, 0xff, v3
	v_cmp_ne_u32_e32 vcc, 0, v3
	s_andn2_b64 s[22:23], s[22:23], exec
	s_and_b64 s[34:35], vcc, exec
	s_or_b64 s[22:23], s[22:23], s[34:35]
	s_or_b64 exec, exec, s[26:27]
	v_mov_b32_e32 v5, 0
	s_and_saveexec_b64 s[26:27], s[22:23]
	s_cbranch_execnz .LBB214_2430
	s_branch .LBB214_2431
.LBB214_2769:
	s_trap 2
	s_or_b64 s[18:19], s[18:19], exec
	s_cbranch_execz .LBB214_2477
	s_branch .LBB214_2478
.LBB214_2770:
	s_andn2_saveexec_b64 s[22:23], s[22:23]
	s_cbranch_execz .LBB214_2442
.LBB214_2771:
	v_add_f32_e32 v3, 0x42800000, v4
	v_and_b32_e32 v3, 0xff, v3
	v_cmp_ne_u32_e32 vcc, 0, v3
	s_andn2_b64 s[20:21], s[20:21], exec
	s_and_b64 s[26:27], vcc, exec
	s_or_b64 s[20:21], s[20:21], s[26:27]
	s_or_b64 exec, exec, s[22:23]
	v_mov_b32_e32 v5, 0
	s_and_saveexec_b64 s[22:23], s[20:21]
	s_cbranch_execnz .LBB214_2443
	s_branch .LBB214_2444
.LBB214_2772:
	s_andn2_saveexec_b64 s[24:25], s[24:25]
	s_cbranch_execz .LBB214_2548
.LBB214_2773:
	v_add_f32_e32 v3, 0x46000000, v4
	v_and_b32_e32 v3, 0xff, v3
	v_cmp_ne_u32_e32 vcc, 0, v3
	s_andn2_b64 s[22:23], s[22:23], exec
	s_and_b64 s[28:29], vcc, exec
	s_or_b64 s[22:23], s[22:23], s[28:29]
	s_or_b64 exec, exec, s[24:25]
	v_mov_b32_e32 v5, 0
	s_and_saveexec_b64 s[24:25], s[22:23]
	s_cbranch_execnz .LBB214_2549
	s_branch .LBB214_2550
.LBB214_2774:
	s_trap 2
	s_or_b64 s[18:19], s[18:19], exec
	s_cbranch_execz .LBB214_2596
	s_branch .LBB214_2597
.LBB214_2775:
	s_andn2_saveexec_b64 s[22:23], s[22:23]
	s_cbranch_execz .LBB214_2561
.LBB214_2776:
	v_add_f32_e32 v3, 0x42800000, v4
	v_and_b32_e32 v3, 0xff, v3
	v_cmp_ne_u32_e32 vcc, 0, v3
	s_andn2_b64 s[20:21], s[20:21], exec
	s_and_b64 s[24:25], vcc, exec
	s_or_b64 s[20:21], s[20:21], s[24:25]
	s_or_b64 exec, exec, s[22:23]
	v_mov_b32_e32 v5, 0
	s_and_saveexec_b64 s[22:23], s[20:21]
	s_cbranch_execnz .LBB214_2562
	s_branch .LBB214_2563
.LBB214_2777:
	s_andn2_saveexec_b64 s[10:11], s[10:11]
	s_cbranch_execz .LBB214_2668
.LBB214_2778:
	v_add_f32_e32 v2, 0x46000000, v3
	v_and_b32_e32 v2, 0xff, v2
	v_cmp_ne_u32_e32 vcc, 0, v2
	s_andn2_b64 s[8:9], s[8:9], exec
	s_and_b64 s[14:15], vcc, exec
	s_or_b64 s[8:9], s[8:9], s[14:15]
	s_or_b64 exec, exec, s[10:11]
	v_mov_b32_e32 v4, 0
	s_and_saveexec_b64 s[10:11], s[8:9]
	s_cbranch_execnz .LBB214_2669
	s_branch .LBB214_2670
.LBB214_2779:
	s_mov_b64 s[2:3], 0
	s_or_b64 s[18:19], s[18:19], exec
	s_trap 2
	s_branch .LBB214_2714
.LBB214_2780:
	s_andn2_saveexec_b64 s[8:9], s[8:9]
	s_cbranch_execz .LBB214_2680
.LBB214_2781:
	v_add_f32_e32 v2, 0x42800000, v3
	v_and_b32_e32 v2, 0xff, v2
	v_cmp_ne_u32_e32 vcc, 0, v2
	s_andn2_b64 s[4:5], s[4:5], exec
	s_and_b64 s[10:11], vcc, exec
	s_or_b64 s[4:5], s[4:5], s[10:11]
	s_or_b64 exec, exec, s[8:9]
	v_mov_b32_e32 v4, 0
	s_and_saveexec_b64 s[8:9], s[4:5]
	s_cbranch_execnz .LBB214_2681
	s_branch .LBB214_2682
	.section	.rodata,"a",@progbits
	.p2align	6, 0x0
	.amdhsa_kernel _ZN2at6native32elementwise_kernel_manual_unrollILi128ELi4EZNS0_15gpu_kernel_implINS0_13BinaryFunctorIbbbNS0_12_GLOBAL__N_116CompareEqFunctorIbEEEEEEvRNS_18TensorIteratorBaseERKT_EUlibE_EEviT1_
		.amdhsa_group_segment_fixed_size 0
		.amdhsa_private_segment_fixed_size 0
		.amdhsa_kernarg_size 56
		.amdhsa_user_sgpr_count 6
		.amdhsa_user_sgpr_private_segment_buffer 1
		.amdhsa_user_sgpr_dispatch_ptr 0
		.amdhsa_user_sgpr_queue_ptr 0
		.amdhsa_user_sgpr_kernarg_segment_ptr 1
		.amdhsa_user_sgpr_dispatch_id 0
		.amdhsa_user_sgpr_flat_scratch_init 0
		.amdhsa_user_sgpr_private_segment_size 0
		.amdhsa_uses_dynamic_stack 0
		.amdhsa_system_sgpr_private_segment_wavefront_offset 0
		.amdhsa_system_sgpr_workgroup_id_x 1
		.amdhsa_system_sgpr_workgroup_id_y 0
		.amdhsa_system_sgpr_workgroup_id_z 0
		.amdhsa_system_sgpr_workgroup_info 0
		.amdhsa_system_vgpr_workitem_id 0
		.amdhsa_next_free_vgpr 9
		.amdhsa_next_free_sgpr 61
		.amdhsa_reserve_vcc 1
		.amdhsa_reserve_flat_scratch 0
		.amdhsa_float_round_mode_32 0
		.amdhsa_float_round_mode_16_64 0
		.amdhsa_float_denorm_mode_32 3
		.amdhsa_float_denorm_mode_16_64 3
		.amdhsa_dx10_clamp 1
		.amdhsa_ieee_mode 1
		.amdhsa_fp16_overflow 0
		.amdhsa_exception_fp_ieee_invalid_op 0
		.amdhsa_exception_fp_denorm_src 0
		.amdhsa_exception_fp_ieee_div_zero 0
		.amdhsa_exception_fp_ieee_overflow 0
		.amdhsa_exception_fp_ieee_underflow 0
		.amdhsa_exception_fp_ieee_inexact 0
		.amdhsa_exception_int_div_zero 0
	.end_amdhsa_kernel
	.section	.text._ZN2at6native32elementwise_kernel_manual_unrollILi128ELi4EZNS0_15gpu_kernel_implINS0_13BinaryFunctorIbbbNS0_12_GLOBAL__N_116CompareEqFunctorIbEEEEEEvRNS_18TensorIteratorBaseERKT_EUlibE_EEviT1_,"axG",@progbits,_ZN2at6native32elementwise_kernel_manual_unrollILi128ELi4EZNS0_15gpu_kernel_implINS0_13BinaryFunctorIbbbNS0_12_GLOBAL__N_116CompareEqFunctorIbEEEEEEvRNS_18TensorIteratorBaseERKT_EUlibE_EEviT1_,comdat
.Lfunc_end214:
	.size	_ZN2at6native32elementwise_kernel_manual_unrollILi128ELi4EZNS0_15gpu_kernel_implINS0_13BinaryFunctorIbbbNS0_12_GLOBAL__N_116CompareEqFunctorIbEEEEEEvRNS_18TensorIteratorBaseERKT_EUlibE_EEviT1_, .Lfunc_end214-_ZN2at6native32elementwise_kernel_manual_unrollILi128ELi4EZNS0_15gpu_kernel_implINS0_13BinaryFunctorIbbbNS0_12_GLOBAL__N_116CompareEqFunctorIbEEEEEEvRNS_18TensorIteratorBaseERKT_EUlibE_EEviT1_
                                        ; -- End function
	.set _ZN2at6native32elementwise_kernel_manual_unrollILi128ELi4EZNS0_15gpu_kernel_implINS0_13BinaryFunctorIbbbNS0_12_GLOBAL__N_116CompareEqFunctorIbEEEEEEvRNS_18TensorIteratorBaseERKT_EUlibE_EEviT1_.num_vgpr, 9
	.set _ZN2at6native32elementwise_kernel_manual_unrollILi128ELi4EZNS0_15gpu_kernel_implINS0_13BinaryFunctorIbbbNS0_12_GLOBAL__N_116CompareEqFunctorIbEEEEEEvRNS_18TensorIteratorBaseERKT_EUlibE_EEviT1_.num_agpr, 0
	.set _ZN2at6native32elementwise_kernel_manual_unrollILi128ELi4EZNS0_15gpu_kernel_implINS0_13BinaryFunctorIbbbNS0_12_GLOBAL__N_116CompareEqFunctorIbEEEEEEvRNS_18TensorIteratorBaseERKT_EUlibE_EEviT1_.numbered_sgpr, 61
	.set _ZN2at6native32elementwise_kernel_manual_unrollILi128ELi4EZNS0_15gpu_kernel_implINS0_13BinaryFunctorIbbbNS0_12_GLOBAL__N_116CompareEqFunctorIbEEEEEEvRNS_18TensorIteratorBaseERKT_EUlibE_EEviT1_.num_named_barrier, 0
	.set _ZN2at6native32elementwise_kernel_manual_unrollILi128ELi4EZNS0_15gpu_kernel_implINS0_13BinaryFunctorIbbbNS0_12_GLOBAL__N_116CompareEqFunctorIbEEEEEEvRNS_18TensorIteratorBaseERKT_EUlibE_EEviT1_.private_seg_size, 0
	.set _ZN2at6native32elementwise_kernel_manual_unrollILi128ELi4EZNS0_15gpu_kernel_implINS0_13BinaryFunctorIbbbNS0_12_GLOBAL__N_116CompareEqFunctorIbEEEEEEvRNS_18TensorIteratorBaseERKT_EUlibE_EEviT1_.uses_vcc, 1
	.set _ZN2at6native32elementwise_kernel_manual_unrollILi128ELi4EZNS0_15gpu_kernel_implINS0_13BinaryFunctorIbbbNS0_12_GLOBAL__N_116CompareEqFunctorIbEEEEEEvRNS_18TensorIteratorBaseERKT_EUlibE_EEviT1_.uses_flat_scratch, 0
	.set _ZN2at6native32elementwise_kernel_manual_unrollILi128ELi4EZNS0_15gpu_kernel_implINS0_13BinaryFunctorIbbbNS0_12_GLOBAL__N_116CompareEqFunctorIbEEEEEEvRNS_18TensorIteratorBaseERKT_EUlibE_EEviT1_.has_dyn_sized_stack, 0
	.set _ZN2at6native32elementwise_kernel_manual_unrollILi128ELi4EZNS0_15gpu_kernel_implINS0_13BinaryFunctorIbbbNS0_12_GLOBAL__N_116CompareEqFunctorIbEEEEEEvRNS_18TensorIteratorBaseERKT_EUlibE_EEviT1_.has_recursion, 0
	.set _ZN2at6native32elementwise_kernel_manual_unrollILi128ELi4EZNS0_15gpu_kernel_implINS0_13BinaryFunctorIbbbNS0_12_GLOBAL__N_116CompareEqFunctorIbEEEEEEvRNS_18TensorIteratorBaseERKT_EUlibE_EEviT1_.has_indirect_call, 0
	.section	.AMDGPU.csdata,"",@progbits
; Kernel info:
; codeLenInByte = 38872
; TotalNumSgprs: 65
; NumVgprs: 9
; ScratchSize: 0
; MemoryBound: 1
; FloatMode: 240
; IeeeMode: 1
; LDSByteSize: 0 bytes/workgroup (compile time only)
; SGPRBlocks: 8
; VGPRBlocks: 2
; NumSGPRsForWavesPerEU: 65
; NumVGPRsForWavesPerEU: 9
; Occupancy: 10
; WaveLimiterHint : 0
; COMPUTE_PGM_RSRC2:SCRATCH_EN: 0
; COMPUTE_PGM_RSRC2:USER_SGPR: 6
; COMPUTE_PGM_RSRC2:TRAP_HANDLER: 0
; COMPUTE_PGM_RSRC2:TGID_X_EN: 1
; COMPUTE_PGM_RSRC2:TGID_Y_EN: 0
; COMPUTE_PGM_RSRC2:TGID_Z_EN: 0
; COMPUTE_PGM_RSRC2:TIDIG_COMP_CNT: 0
	.section	.text._ZN2at6native32elementwise_kernel_manual_unrollILi128ELi4EZNS0_15gpu_kernel_implINS0_13BinaryFunctorIbbbNS0_12_GLOBAL__N_116CompareEqFunctorIbEEEEEEvRNS_18TensorIteratorBaseERKT_EUlibE0_EEviT1_,"axG",@progbits,_ZN2at6native32elementwise_kernel_manual_unrollILi128ELi4EZNS0_15gpu_kernel_implINS0_13BinaryFunctorIbbbNS0_12_GLOBAL__N_116CompareEqFunctorIbEEEEEEvRNS_18TensorIteratorBaseERKT_EUlibE0_EEviT1_,comdat
	.globl	_ZN2at6native32elementwise_kernel_manual_unrollILi128ELi4EZNS0_15gpu_kernel_implINS0_13BinaryFunctorIbbbNS0_12_GLOBAL__N_116CompareEqFunctorIbEEEEEEvRNS_18TensorIteratorBaseERKT_EUlibE0_EEviT1_ ; -- Begin function _ZN2at6native32elementwise_kernel_manual_unrollILi128ELi4EZNS0_15gpu_kernel_implINS0_13BinaryFunctorIbbbNS0_12_GLOBAL__N_116CompareEqFunctorIbEEEEEEvRNS_18TensorIteratorBaseERKT_EUlibE0_EEviT1_
	.p2align	8
	.type	_ZN2at6native32elementwise_kernel_manual_unrollILi128ELi4EZNS0_15gpu_kernel_implINS0_13BinaryFunctorIbbbNS0_12_GLOBAL__N_116CompareEqFunctorIbEEEEEEvRNS_18TensorIteratorBaseERKT_EUlibE0_EEviT1_,@function
_ZN2at6native32elementwise_kernel_manual_unrollILi128ELi4EZNS0_15gpu_kernel_implINS0_13BinaryFunctorIbbbNS0_12_GLOBAL__N_116CompareEqFunctorIbEEEEEEvRNS_18TensorIteratorBaseERKT_EUlibE0_EEviT1_: ; @_ZN2at6native32elementwise_kernel_manual_unrollILi128ELi4EZNS0_15gpu_kernel_implINS0_13BinaryFunctorIbbbNS0_12_GLOBAL__N_116CompareEqFunctorIbEEEEEEvRNS_18TensorIteratorBaseERKT_EUlibE0_EEviT1_
; %bb.0:
	s_load_dword s72, s[4:5], 0x0
	s_load_dword s33, s[4:5], 0x8
	s_add_u32 s2, s4, 8
	s_addc_u32 s3, s5, 0
	v_lshl_or_b32 v8, s6, 9, v0
	v_or_b32_e32 v23, 0x180, v8
	s_waitcnt lgkmcnt(0)
	s_add_i32 s74, s33, -1
	s_cmp_gt_u32 s74, 1
	v_cmp_le_i32_e32 vcc, s72, v23
	s_cselect_b64 s[24:25], -1, 0
	s_mov_b64 s[6:7], 0
	s_mov_b64 s[12:13], 0
	s_and_saveexec_b64 s[0:1], vcc
	s_xor_b64 s[26:27], exec, s[0:1]
	s_cbranch_execz .LBB215_1436
; %bb.1:
	s_cmp_lg_u32 s33, 0
	s_load_dwordx4 s[16:19], s[2:3], 0x4
	s_load_dwordx2 s[34:35], s[2:3], 0x14
	s_load_dwordx8 s[8:15], s[2:3], 0x188
	s_load_dwordx4 s[20:23], s[2:3], 0xc4
	s_load_dwordx2 s[30:31], s[2:3], 0xd4
	s_cselect_b64 s[38:39], -1, 0
	s_min_u32 s77, s74, 15
	s_cmp_gt_u32 s33, 1
	s_cselect_b64 s[36:37], -1, 0
	s_waitcnt lgkmcnt(0)
	s_lshr_b32 s76, s15, 8
	s_lshr_b32 s75, s15, 16
	s_cmp_eq_u32 s14, 0
	s_cselect_b64 s[28:29], -1, 0
	v_cmp_gt_i32_e32 vcc, s72, v8
	s_mov_b64 s[48:49], -1
	s_mov_b64 s[50:51], 0
	s_mov_b64 s[44:45], 0
	;; [unrolled: 1-line block ×4, first 2 shown]
	s_and_saveexec_b64 s[46:47], vcc
	s_cbranch_execz .LBB215_355
; %bb.2:
	s_andn2_b64 vcc, exec, s[24:25]
	s_cbranch_vccnz .LBB215_8
; %bb.3:
	s_andn2_b64 vcc, exec, s[38:39]
	s_cbranch_vccnz .LBB215_9
; %bb.4:
	s_add_i32 s0, s77, 1
	s_and_b32 s14, s0, 30
	s_add_u32 s0, s2, 0xffffffe8
	s_addc_u32 s1, s3, -1
	v_mov_b32_e32 v2, 0
	v_mov_b32_e32 v4, 0
	v_mov_b32_e32 v0, 0
	v_mov_b32_e32 v1, v8
.LBB215_5:                              ; =>This Inner Loop Header: Depth=1
	s_load_dwordx4 s[40:43], s[0:1], 0x1c
	s_load_dwordx2 s[44:45], s[0:1], 0x2c
	s_load_dwordx2 s[48:49], s[0:1], 0xec
	s_load_dwordx4 s[52:55], s[0:1], 0xdc
	s_add_u32 s0, s0, 24
	s_waitcnt lgkmcnt(0)
	v_mul_hi_u32 v3, s41, v1
	s_addc_u32 s1, s1, 0
	s_add_i32 s14, s14, -2
	s_cmp_lg_u32 s14, 0
	v_add_u32_e32 v3, v1, v3
	v_lshrrev_b32_e32 v3, s42, v3
	v_mul_lo_u32 v5, v3, s40
	v_mul_hi_u32 v6, s44, v3
	v_sub_u32_e32 v5, v1, v5
	v_add_u32_e32 v1, v3, v6
	v_lshrrev_b32_e32 v1, s45, v1
	v_mul_lo_u32 v9, v1, s43
	v_mul_lo_u32 v6, v5, s52
	v_mul_lo_u32 v7, v5, s53
	v_mul_lo_u32 v5, v5, s54
	v_sub_u32_e32 v3, v3, v9
	v_mul_lo_u32 v9, v3, s55
	v_mul_lo_u32 v10, v3, s48
	;; [unrolled: 1-line block ×3, first 2 shown]
	v_add3_u32 v0, v6, v0, v9
	v_add3_u32 v4, v7, v4, v10
	;; [unrolled: 1-line block ×3, first 2 shown]
	s_cbranch_scc1 .LBB215_5
; %bb.6:
	s_bitcmp1_b32 s77, 0
	s_cselect_b64 s[40:41], -1, 0
	s_and_b64 vcc, exec, s[40:41]
	s_cbranch_vccnz .LBB215_10
; %bb.7:
	s_load_dwordx2 s[40:41], s[0:1], 0x1c
	s_load_dword s14, s[0:1], 0x24
	s_load_dwordx2 s[42:43], s[0:1], 0xdc
	s_waitcnt lgkmcnt(0)
	v_mul_hi_u32 v3, s41, v1
	v_add_u32_e32 v3, v1, v3
	v_lshrrev_b32_e32 v3, s14, v3
	v_mul_lo_u32 v3, v3, s40
	s_load_dword s14, s[0:1], 0xe4
	v_sub_u32_e32 v3, v1, v3
	v_mad_u64_u32 v[0:1], s[0:1], v3, s42, v[0:1]
	v_mad_u64_u32 v[4:5], s[0:1], v3, s43, v[4:5]
	s_waitcnt lgkmcnt(0)
	v_mad_u64_u32 v[2:3], s[0:1], v3, s14, v[2:3]
	s_cbranch_execz .LBB215_11
	s_branch .LBB215_13
.LBB215_8:
                                        ; implicit-def: $vgpr0
                                        ; implicit-def: $vgpr4
                                        ; implicit-def: $vgpr2
	s_branch .LBB215_11
.LBB215_9:
	v_mov_b32_e32 v0, 0
	v_mov_b32_e32 v4, 0
	;; [unrolled: 1-line block ×3, first 2 shown]
.LBB215_10:
	s_cbranch_execnz .LBB215_13
.LBB215_11:
	v_mul_hi_u32 v0, s17, v8
	s_andn2_b64 vcc, exec, s[36:37]
	v_add_u32_e32 v0, v8, v0
	v_lshrrev_b32_e32 v1, s18, v0
	v_mul_lo_u32 v0, v1, s16
	v_sub_u32_e32 v2, v8, v0
	v_mul_lo_u32 v0, v2, s20
	v_mul_lo_u32 v4, v2, s21
	;; [unrolled: 1-line block ×3, first 2 shown]
	s_cbranch_vccnz .LBB215_13
; %bb.12:
	v_mul_hi_u32 v3, s34, v1
	v_add_u32_e32 v3, v1, v3
	v_lshrrev_b32_e32 v3, s35, v3
	v_mul_lo_u32 v3, v3, s19
	v_sub_u32_e32 v3, v1, v3
	v_mad_u64_u32 v[0:1], s[0:1], v3, s23, v[0:1]
	v_mad_u64_u32 v[4:5], s[0:1], v3, s30, v[4:5]
	;; [unrolled: 1-line block ×3, first 2 shown]
.LBB215_13:
	v_mov_b32_e32 v1, s11
	s_and_b32 s14, s76, 0xff
	v_add_co_u32_e32 v3, vcc, s10, v4
	s_cmp_lt_i32 s14, 11
	v_addc_co_u32_e32 v4, vcc, 0, v1, vcc
	s_cbranch_scc1 .LBB215_20
; %bb.14:
	s_and_b32 s48, 0xffff, s14
	s_cmp_gt_i32 s48, 25
	s_cbranch_scc0 .LBB215_29
; %bb.15:
	s_cmp_gt_i32 s48, 28
	s_cbranch_scc0 .LBB215_31
; %bb.16:
	;; [unrolled: 3-line block ×4, first 2 shown]
	s_cmp_eq_u32 s48, 46
	s_mov_b64 s[42:43], 0
	s_cbranch_scc0 .LBB215_37
; %bb.19:
	global_load_dword v1, v[3:4], off
	s_mov_b64 s[0:1], -1
	s_mov_b64 s[44:45], 0
	s_waitcnt vmcnt(0)
	v_and_b32_e32 v1, 0x7fff7fff, v1
	v_cmp_ne_u32_e64 s[40:41], 0, v1
	s_branch .LBB215_39
.LBB215_20:
	s_mov_b64 s[44:45], 0
                                        ; implicit-def: $sgpr40_sgpr41
	s_mov_b64 s[0:1], 0
	s_cbranch_execnz .LBB215_85
.LBB215_21:
	s_andn2_b64 vcc, exec, s[0:1]
	s_cbranch_vccnz .LBB215_132
.LBB215_22:
	v_mov_b32_e32 v3, s13
	s_and_b32 s14, s75, 0xff
	v_add_co_u32_e32 v1, vcc, s12, v2
	s_cmp_lt_i32 s14, 11
	v_addc_co_u32_e32 v2, vcc, 0, v3, vcc
	s_cbranch_scc1 .LBB215_30
; %bb.23:
	s_and_b32 s52, 0xffff, s14
	s_cmp_gt_i32 s52, 25
	s_cbranch_scc0 .LBB215_32
; %bb.24:
	s_cmp_gt_i32 s52, 28
	s_cbranch_scc0 .LBB215_34
; %bb.25:
	;; [unrolled: 3-line block ×4, first 2 shown]
	s_cmp_eq_u32 s52, 46
	s_mov_b64 s[44:45], 0
	s_cbranch_scc0 .LBB215_134
; %bb.28:
	global_load_dword v3, v[1:2], off
	s_mov_b64 s[0:1], -1
	s_mov_b64 s[42:43], 0
	s_waitcnt vmcnt(0)
	v_and_b32_e32 v3, 0x7fff7fff, v3
	v_cmp_ne_u32_e64 s[48:49], 0, v3
	s_branch .LBB215_136
.LBB215_29:
	s_mov_b64 s[44:45], 0
	s_mov_b64 s[0:1], 0
                                        ; implicit-def: $sgpr40_sgpr41
	s_cbranch_execnz .LBB215_60
	s_branch .LBB215_84
.LBB215_30:
	s_mov_b64 s[42:43], 0
                                        ; implicit-def: $sgpr48_sgpr49
	s_mov_b64 s[0:1], 0
	s_cbranch_execnz .LBB215_183
	s_branch .LBB215_231
.LBB215_31:
	s_mov_b64 s[42:43], -1
	s_mov_b64 s[44:45], 0
	s_mov_b64 s[0:1], 0
                                        ; implicit-def: $sgpr40_sgpr41
	s_branch .LBB215_47
.LBB215_32:
	s_mov_b64 s[44:45], -1
	s_mov_b64 s[42:43], 0
	s_mov_b64 s[0:1], 0
                                        ; implicit-def: $sgpr48_sgpr49
	s_branch .LBB215_157
.LBB215_33:
	s_mov_b64 s[42:43], -1
	s_mov_b64 s[44:45], 0
	s_mov_b64 s[0:1], 0
                                        ; implicit-def: $sgpr40_sgpr41
	s_branch .LBB215_42
.LBB215_34:
	s_mov_b64 s[44:45], -1
	s_mov_b64 s[42:43], 0
	s_mov_b64 s[0:1], 0
                                        ; implicit-def: $sgpr48_sgpr49
	s_branch .LBB215_144
.LBB215_35:
	s_mov_b64 s[42:43], -1
	s_mov_b64 s[44:45], 0
	s_branch .LBB215_38
.LBB215_36:
	s_mov_b64 s[44:45], -1
	s_mov_b64 s[42:43], 0
	s_mov_b64 s[0:1], 0
                                        ; implicit-def: $sgpr48_sgpr49
	s_branch .LBB215_139
.LBB215_37:
	s_mov_b64 s[44:45], -1
.LBB215_38:
	s_mov_b64 s[0:1], 0
                                        ; implicit-def: $sgpr40_sgpr41
.LBB215_39:
	s_and_b64 vcc, exec, s[42:43]
	s_cbranch_vccz .LBB215_41
; %bb.40:
	s_cmp_eq_u32 s48, 44
	s_mov_b64 s[44:45], -1
	s_cselect_b64 s[0:1], -1, 0
	s_or_b64 s[40:41], s[40:41], exec
.LBB215_41:
	s_mov_b64 s[42:43], 0
.LBB215_42:
	s_and_b64 vcc, exec, s[42:43]
	s_cbranch_vccz .LBB215_46
; %bb.43:
	s_cmp_eq_u32 s48, 29
	s_cbranch_scc0 .LBB215_45
; %bb.44:
	global_load_dwordx2 v[5:6], v[3:4], off
	s_mov_b64 s[44:45], 0
	s_mov_b64 s[0:1], -1
	s_mov_b64 s[42:43], 0
	s_waitcnt vmcnt(0)
	v_cmp_ne_u64_e64 s[40:41], 0, v[5:6]
	s_branch .LBB215_47
.LBB215_45:
	s_mov_b64 s[44:45], -1
                                        ; implicit-def: $sgpr40_sgpr41
.LBB215_46:
	s_mov_b64 s[42:43], 0
.LBB215_47:
	s_and_b64 vcc, exec, s[42:43]
	s_cbranch_vccz .LBB215_59
; %bb.48:
	s_cmp_lt_i32 s48, 27
	s_cbranch_scc1 .LBB215_51
; %bb.49:
	s_cmp_gt_i32 s48, 27
	s_cbranch_scc0 .LBB215_52
; %bb.50:
	global_load_dword v1, v[3:4], off
	s_mov_b64 s[0:1], 0
	s_waitcnt vmcnt(0)
	v_cmp_ne_u32_e64 s[40:41], 0, v1
	s_branch .LBB215_53
.LBB215_51:
	s_mov_b64 s[0:1], -1
                                        ; implicit-def: $sgpr40_sgpr41
	s_branch .LBB215_56
.LBB215_52:
	s_mov_b64 s[0:1], -1
                                        ; implicit-def: $sgpr40_sgpr41
.LBB215_53:
	s_andn2_b64 vcc, exec, s[0:1]
	s_cbranch_vccnz .LBB215_55
; %bb.54:
	global_load_ushort v1, v[3:4], off
	s_andn2_b64 s[0:1], s[40:41], exec
	s_waitcnt vmcnt(0)
	v_cmp_ne_u16_e32 vcc, 0, v1
	s_and_b64 s[40:41], vcc, exec
	s_or_b64 s[40:41], s[0:1], s[40:41]
.LBB215_55:
	s_mov_b64 s[0:1], 0
.LBB215_56:
	s_andn2_b64 vcc, exec, s[0:1]
	s_cbranch_vccnz .LBB215_58
; %bb.57:
	global_load_ubyte v1, v[3:4], off
	s_andn2_b64 s[0:1], s[40:41], exec
	s_waitcnt vmcnt(0)
	v_cmp_ne_u16_e32 vcc, 0, v1
	s_and_b64 s[40:41], vcc, exec
	s_or_b64 s[40:41], s[0:1], s[40:41]
.LBB215_58:
	s_mov_b64 s[0:1], -1
.LBB215_59:
	s_branch .LBB215_84
.LBB215_60:
	s_cmp_gt_i32 s48, 22
	s_cbranch_scc0 .LBB215_64
; %bb.61:
	s_cmp_lt_i32 s48, 24
	s_cbranch_scc1 .LBB215_65
; %bb.62:
	s_cmp_gt_i32 s48, 24
	s_cbranch_scc0 .LBB215_66
; %bb.63:
	global_load_ubyte v1, v[3:4], off
	s_mov_b64 s[0:1], 0
	s_waitcnt vmcnt(0)
	v_cmp_ne_u16_e64 s[40:41], 0, v1
	s_branch .LBB215_67
.LBB215_64:
	s_mov_b64 s[42:43], -1
                                        ; implicit-def: $sgpr40_sgpr41
	s_branch .LBB215_73
.LBB215_65:
	s_mov_b64 s[0:1], -1
                                        ; implicit-def: $sgpr40_sgpr41
	s_branch .LBB215_70
.LBB215_66:
	s_mov_b64 s[0:1], -1
                                        ; implicit-def: $sgpr40_sgpr41
.LBB215_67:
	s_andn2_b64 vcc, exec, s[0:1]
	s_cbranch_vccnz .LBB215_69
; %bb.68:
	global_load_ubyte v1, v[3:4], off
	s_andn2_b64 s[0:1], s[40:41], exec
	s_waitcnt vmcnt(0)
	v_and_b32_e32 v1, 0x7f, v1
	v_cmp_ne_u16_e32 vcc, 0, v1
	s_and_b64 s[40:41], vcc, exec
	s_or_b64 s[40:41], s[0:1], s[40:41]
.LBB215_69:
	s_mov_b64 s[0:1], 0
.LBB215_70:
	s_andn2_b64 vcc, exec, s[0:1]
	s_cbranch_vccnz .LBB215_72
; %bb.71:
	global_load_ubyte v1, v[3:4], off
	s_movk_i32 s0, 0x7f00
	s_brev_b32 s1, 16
	s_waitcnt vmcnt(0)
	v_lshlrev_b32_e32 v5, 8, v1
	v_lshlrev_b32_e32 v1, 25, v1
	v_lshrrev_b32_e32 v6, 4, v1
	v_and_or_b32 v5, v5, s0, 0.5
	v_or_b32_e32 v6, 0x70000000, v6
	v_add_f32_e32 v5, -0.5, v5
	v_mul_f32_e32 v6, 0x7800000, v6
	v_cmp_gt_u32_e32 vcc, s1, v1
	v_cndmask_b32_e32 v1, v6, v5, vcc
	v_cmp_neq_f32_e32 vcc, 0, v1
	s_andn2_b64 s[0:1], s[40:41], exec
	s_and_b64 s[40:41], vcc, exec
	s_or_b64 s[40:41], s[0:1], s[40:41]
.LBB215_72:
	s_mov_b64 s[42:43], 0
	s_mov_b64 s[0:1], -1
.LBB215_73:
	s_andn2_b64 vcc, exec, s[42:43]
	s_cbranch_vccnz .LBB215_84
; %bb.74:
	s_cmp_gt_i32 s48, 14
	s_cbranch_scc0 .LBB215_77
; %bb.75:
	s_cmp_eq_u32 s48, 15
	s_cbranch_scc0 .LBB215_78
; %bb.76:
	global_load_ushort v1, v[3:4], off
	s_mov_b64 s[0:1], -1
	s_mov_b64 s[44:45], 0
	s_waitcnt vmcnt(0)
	v_and_b32_e32 v1, 0x7fff, v1
	v_cmp_ne_u16_e64 s[40:41], 0, v1
	s_branch .LBB215_79
.LBB215_77:
	s_mov_b64 s[42:43], -1
                                        ; implicit-def: $sgpr40_sgpr41
	s_branch .LBB215_80
.LBB215_78:
	s_mov_b64 s[44:45], -1
                                        ; implicit-def: $sgpr40_sgpr41
.LBB215_79:
	s_mov_b64 s[42:43], 0
.LBB215_80:
	s_and_b64 vcc, exec, s[42:43]
	s_cbranch_vccz .LBB215_84
; %bb.81:
	s_cmp_eq_u32 s48, 11
	s_cbranch_scc0 .LBB215_83
; %bb.82:
	global_load_ubyte v1, v[3:4], off
	s_mov_b64 s[0:1], -1
	s_mov_b64 s[44:45], 0
	s_waitcnt vmcnt(0)
	v_cmp_ne_u16_e64 s[40:41], 0, v1
	s_branch .LBB215_84
.LBB215_83:
	s_mov_b64 s[44:45], -1
                                        ; implicit-def: $sgpr40_sgpr41
.LBB215_84:
	s_branch .LBB215_21
.LBB215_85:
	s_and_b32 s14, 0xffff, s14
	s_cmp_lt_i32 s14, 5
	s_cbranch_scc1 .LBB215_90
; %bb.86:
	s_cmp_lt_i32 s14, 8
	s_cbranch_scc1 .LBB215_91
; %bb.87:
	;; [unrolled: 3-line block ×3, first 2 shown]
	s_cmp_gt_i32 s14, 9
	s_cbranch_scc0 .LBB215_93
; %bb.89:
	global_load_dwordx4 v[9:12], v[3:4], off
	s_mov_b64 s[42:43], 0
	s_waitcnt vmcnt(0)
	v_cmp_neq_f64_e32 vcc, 0, v[9:10]
	v_cmp_neq_f64_e64 s[0:1], 0, v[11:12]
	s_or_b64 s[40:41], vcc, s[0:1]
	s_branch .LBB215_94
.LBB215_90:
                                        ; implicit-def: $sgpr40_sgpr41
	s_branch .LBB215_112
.LBB215_91:
	s_mov_b64 s[0:1], -1
                                        ; implicit-def: $sgpr40_sgpr41
	s_branch .LBB215_100
.LBB215_92:
	s_mov_b64 s[0:1], -1
                                        ; implicit-def: $sgpr40_sgpr41
	s_branch .LBB215_97
.LBB215_93:
	s_mov_b64 s[42:43], -1
                                        ; implicit-def: $sgpr40_sgpr41
.LBB215_94:
	s_andn2_b64 vcc, exec, s[42:43]
	s_cbranch_vccnz .LBB215_96
; %bb.95:
	global_load_dwordx2 v[5:6], v[3:4], off
	s_andn2_b64 s[0:1], s[40:41], exec
	s_waitcnt vmcnt(0)
	v_or_b32_e32 v1, v5, v6
	v_and_b32_e32 v1, 0x7fffffff, v1
	v_cmp_ne_u32_e32 vcc, 0, v1
	s_and_b64 s[40:41], vcc, exec
	s_or_b64 s[40:41], s[0:1], s[40:41]
.LBB215_96:
	s_mov_b64 s[0:1], 0
.LBB215_97:
	s_andn2_b64 vcc, exec, s[0:1]
	s_cbranch_vccnz .LBB215_99
; %bb.98:
	global_load_dword v1, v[3:4], off
	s_andn2_b64 s[0:1], s[40:41], exec
	s_waitcnt vmcnt(0)
	v_and_b32_e32 v1, 0x7fff7fff, v1
	v_cmp_ne_u32_e32 vcc, 0, v1
	s_and_b64 s[40:41], vcc, exec
	s_or_b64 s[40:41], s[0:1], s[40:41]
.LBB215_99:
	s_mov_b64 s[0:1], 0
.LBB215_100:
	s_andn2_b64 vcc, exec, s[0:1]
	s_cbranch_vccnz .LBB215_111
; %bb.101:
	s_cmp_lt_i32 s14, 6
	s_cbranch_scc1 .LBB215_104
; %bb.102:
	s_cmp_gt_i32 s14, 6
	s_cbranch_scc0 .LBB215_105
; %bb.103:
	global_load_dwordx2 v[5:6], v[3:4], off
	s_mov_b64 s[0:1], 0
	s_waitcnt vmcnt(0)
	v_cmp_neq_f64_e64 s[40:41], 0, v[5:6]
	s_branch .LBB215_106
.LBB215_104:
	s_mov_b64 s[0:1], -1
                                        ; implicit-def: $sgpr40_sgpr41
	s_branch .LBB215_109
.LBB215_105:
	s_mov_b64 s[0:1], -1
                                        ; implicit-def: $sgpr40_sgpr41
.LBB215_106:
	s_andn2_b64 vcc, exec, s[0:1]
	s_cbranch_vccnz .LBB215_108
; %bb.107:
	global_load_dword v1, v[3:4], off
	s_andn2_b64 s[0:1], s[40:41], exec
	s_waitcnt vmcnt(0)
	v_cmp_neq_f32_e32 vcc, 0, v1
	s_and_b64 s[40:41], vcc, exec
	s_or_b64 s[40:41], s[0:1], s[40:41]
.LBB215_108:
	s_mov_b64 s[0:1], 0
.LBB215_109:
	s_andn2_b64 vcc, exec, s[0:1]
	s_cbranch_vccnz .LBB215_111
; %bb.110:
	global_load_ushort v1, v[3:4], off
	s_andn2_b64 s[0:1], s[40:41], exec
	s_waitcnt vmcnt(0)
	v_and_b32_e32 v1, 0x7fff, v1
	v_cmp_ne_u16_e32 vcc, 0, v1
	s_and_b64 s[40:41], vcc, exec
	s_or_b64 s[40:41], s[0:1], s[40:41]
.LBB215_111:
	s_cbranch_execnz .LBB215_131
.LBB215_112:
	s_cmp_lt_i32 s14, 2
	s_cbranch_scc1 .LBB215_116
; %bb.113:
	s_cmp_lt_i32 s14, 3
	s_cbranch_scc1 .LBB215_117
; %bb.114:
	s_cmp_gt_i32 s14, 3
	s_cbranch_scc0 .LBB215_118
; %bb.115:
	global_load_dwordx2 v[5:6], v[3:4], off
	s_mov_b64 s[0:1], 0
	s_waitcnt vmcnt(0)
	v_cmp_ne_u64_e64 s[40:41], 0, v[5:6]
	s_branch .LBB215_119
.LBB215_116:
	s_mov_b64 s[0:1], -1
                                        ; implicit-def: $sgpr40_sgpr41
	s_branch .LBB215_125
.LBB215_117:
	s_mov_b64 s[0:1], -1
                                        ; implicit-def: $sgpr40_sgpr41
	s_branch .LBB215_122
.LBB215_118:
	s_mov_b64 s[0:1], -1
                                        ; implicit-def: $sgpr40_sgpr41
.LBB215_119:
	s_andn2_b64 vcc, exec, s[0:1]
	s_cbranch_vccnz .LBB215_121
; %bb.120:
	global_load_dword v1, v[3:4], off
	s_andn2_b64 s[0:1], s[40:41], exec
	s_waitcnt vmcnt(0)
	v_cmp_ne_u32_e32 vcc, 0, v1
	s_and_b64 s[40:41], vcc, exec
	s_or_b64 s[40:41], s[0:1], s[40:41]
.LBB215_121:
	s_mov_b64 s[0:1], 0
.LBB215_122:
	s_andn2_b64 vcc, exec, s[0:1]
	s_cbranch_vccnz .LBB215_124
; %bb.123:
	global_load_ushort v1, v[3:4], off
	s_andn2_b64 s[0:1], s[40:41], exec
	s_waitcnt vmcnt(0)
	v_cmp_ne_u16_e32 vcc, 0, v1
	s_and_b64 s[40:41], vcc, exec
	s_or_b64 s[40:41], s[0:1], s[40:41]
.LBB215_124:
	s_mov_b64 s[0:1], 0
.LBB215_125:
	s_andn2_b64 vcc, exec, s[0:1]
	s_cbranch_vccnz .LBB215_131
; %bb.126:
	s_cmp_gt_i32 s14, 0
	s_cbranch_scc0 .LBB215_128
; %bb.127:
	global_load_ubyte v1, v[3:4], off
	s_mov_b64 s[0:1], 0
	s_waitcnt vmcnt(0)
	v_cmp_ne_u16_e64 s[40:41], 0, v1
	s_branch .LBB215_129
.LBB215_128:
	s_mov_b64 s[0:1], -1
                                        ; implicit-def: $sgpr40_sgpr41
.LBB215_129:
	s_andn2_b64 vcc, exec, s[0:1]
	s_cbranch_vccnz .LBB215_131
; %bb.130:
	global_load_ubyte v1, v[3:4], off
	s_andn2_b64 s[0:1], s[40:41], exec
	s_waitcnt vmcnt(0)
	v_cmp_ne_u16_e32 vcc, 0, v1
	s_and_b64 s[40:41], vcc, exec
	s_or_b64 s[40:41], s[0:1], s[40:41]
.LBB215_131:
	s_branch .LBB215_22
.LBB215_132:
	s_mov_b64 s[0:1], 0
	s_mov_b64 s[42:43], 0
	;; [unrolled: 1-line block ×3, first 2 shown]
                                        ; implicit-def: $vgpr8
	s_branch .LBB215_354
.LBB215_133:
	s_mov_b64 s[44:45], -1
	s_mov_b64 s[42:43], 0
	s_branch .LBB215_135
.LBB215_134:
	s_mov_b64 s[42:43], -1
.LBB215_135:
	s_mov_b64 s[0:1], 0
                                        ; implicit-def: $sgpr48_sgpr49
.LBB215_136:
	s_and_b64 vcc, exec, s[44:45]
	s_cbranch_vccz .LBB215_138
; %bb.137:
	s_cmp_eq_u32 s52, 44
	s_mov_b64 s[42:43], -1
	s_cselect_b64 s[0:1], -1, 0
	s_or_b64 s[48:49], s[48:49], exec
.LBB215_138:
	s_mov_b64 s[44:45], 0
.LBB215_139:
	s_and_b64 vcc, exec, s[44:45]
	s_cbranch_vccz .LBB215_143
; %bb.140:
	s_cmp_eq_u32 s52, 29
	s_cbranch_scc0 .LBB215_142
; %bb.141:
	global_load_dwordx2 v[3:4], v[1:2], off
	s_mov_b64 s[42:43], 0
	s_mov_b64 s[0:1], -1
	s_mov_b64 s[44:45], 0
	s_waitcnt vmcnt(0)
	v_cmp_ne_u64_e64 s[48:49], 0, v[3:4]
	s_branch .LBB215_144
.LBB215_142:
	s_mov_b64 s[42:43], -1
                                        ; implicit-def: $sgpr48_sgpr49
.LBB215_143:
	s_mov_b64 s[44:45], 0
.LBB215_144:
	s_and_b64 vcc, exec, s[44:45]
	s_cbranch_vccz .LBB215_156
; %bb.145:
	s_cmp_lt_i32 s52, 27
	s_cbranch_scc1 .LBB215_148
; %bb.146:
	s_cmp_gt_i32 s52, 27
	s_cbranch_scc0 .LBB215_149
; %bb.147:
	global_load_dword v3, v[1:2], off
	s_mov_b64 s[0:1], 0
	s_waitcnt vmcnt(0)
	v_cmp_ne_u32_e64 s[48:49], 0, v3
	s_branch .LBB215_150
.LBB215_148:
	s_mov_b64 s[0:1], -1
                                        ; implicit-def: $sgpr48_sgpr49
	s_branch .LBB215_153
.LBB215_149:
	s_mov_b64 s[0:1], -1
                                        ; implicit-def: $sgpr48_sgpr49
.LBB215_150:
	s_andn2_b64 vcc, exec, s[0:1]
	s_cbranch_vccnz .LBB215_152
; %bb.151:
	global_load_ushort v3, v[1:2], off
	s_andn2_b64 s[0:1], s[48:49], exec
	s_waitcnt vmcnt(0)
	v_cmp_ne_u16_e32 vcc, 0, v3
	s_and_b64 s[44:45], vcc, exec
	s_or_b64 s[48:49], s[0:1], s[44:45]
.LBB215_152:
	s_mov_b64 s[0:1], 0
.LBB215_153:
	s_andn2_b64 vcc, exec, s[0:1]
	s_cbranch_vccnz .LBB215_155
; %bb.154:
	global_load_ubyte v3, v[1:2], off
	s_andn2_b64 s[0:1], s[48:49], exec
	s_waitcnt vmcnt(0)
	v_cmp_ne_u16_e32 vcc, 0, v3
	s_and_b64 s[44:45], vcc, exec
	s_or_b64 s[48:49], s[0:1], s[44:45]
.LBB215_155:
	s_mov_b64 s[0:1], -1
.LBB215_156:
	s_mov_b64 s[44:45], 0
.LBB215_157:
	s_and_b64 vcc, exec, s[44:45]
	s_cbranch_vccz .LBB215_182
; %bb.158:
	s_cmp_gt_i32 s52, 22
	s_cbranch_scc0 .LBB215_162
; %bb.159:
	s_cmp_lt_i32 s52, 24
	s_cbranch_scc1 .LBB215_163
; %bb.160:
	s_cmp_gt_i32 s52, 24
	s_cbranch_scc0 .LBB215_164
; %bb.161:
	global_load_ubyte v3, v[1:2], off
	s_mov_b64 s[0:1], 0
	s_waitcnt vmcnt(0)
	v_cmp_ne_u16_e64 s[48:49], 0, v3
	s_branch .LBB215_165
.LBB215_162:
	s_mov_b64 s[44:45], -1
                                        ; implicit-def: $sgpr48_sgpr49
	s_branch .LBB215_171
.LBB215_163:
	s_mov_b64 s[0:1], -1
                                        ; implicit-def: $sgpr48_sgpr49
	s_branch .LBB215_168
.LBB215_164:
	s_mov_b64 s[0:1], -1
                                        ; implicit-def: $sgpr48_sgpr49
.LBB215_165:
	s_andn2_b64 vcc, exec, s[0:1]
	s_cbranch_vccnz .LBB215_167
; %bb.166:
	global_load_ubyte v3, v[1:2], off
	s_andn2_b64 s[0:1], s[48:49], exec
	s_waitcnt vmcnt(0)
	v_and_b32_e32 v3, 0x7f, v3
	v_cmp_ne_u16_e32 vcc, 0, v3
	s_and_b64 s[44:45], vcc, exec
	s_or_b64 s[48:49], s[0:1], s[44:45]
.LBB215_167:
	s_mov_b64 s[0:1], 0
.LBB215_168:
	s_andn2_b64 vcc, exec, s[0:1]
	s_cbranch_vccnz .LBB215_170
; %bb.169:
	global_load_ubyte v3, v[1:2], off
	s_movk_i32 s0, 0x7f00
	s_brev_b32 s1, 16
	s_waitcnt vmcnt(0)
	v_lshlrev_b32_e32 v4, 8, v3
	v_lshlrev_b32_e32 v3, 25, v3
	v_lshrrev_b32_e32 v5, 4, v3
	v_and_or_b32 v4, v4, s0, 0.5
	v_or_b32_e32 v5, 0x70000000, v5
	v_add_f32_e32 v4, -0.5, v4
	v_mul_f32_e32 v5, 0x7800000, v5
	v_cmp_gt_u32_e32 vcc, s1, v3
	v_cndmask_b32_e32 v3, v5, v4, vcc
	v_cmp_neq_f32_e32 vcc, 0, v3
	s_andn2_b64 s[0:1], s[48:49], exec
	s_and_b64 s[44:45], vcc, exec
	s_or_b64 s[48:49], s[0:1], s[44:45]
.LBB215_170:
	s_mov_b64 s[44:45], 0
	s_mov_b64 s[0:1], -1
.LBB215_171:
	s_andn2_b64 vcc, exec, s[44:45]
	s_cbranch_vccnz .LBB215_182
; %bb.172:
	s_cmp_gt_i32 s52, 14
	s_cbranch_scc0 .LBB215_175
; %bb.173:
	s_cmp_eq_u32 s52, 15
	s_cbranch_scc0 .LBB215_176
; %bb.174:
	global_load_ushort v3, v[1:2], off
	s_mov_b64 s[0:1], -1
	s_mov_b64 s[42:43], 0
	s_waitcnt vmcnt(0)
	v_and_b32_e32 v3, 0x7fff, v3
	v_cmp_ne_u16_e64 s[48:49], 0, v3
	s_branch .LBB215_177
.LBB215_175:
	s_mov_b64 s[44:45], -1
                                        ; implicit-def: $sgpr48_sgpr49
	s_branch .LBB215_178
.LBB215_176:
	s_mov_b64 s[42:43], -1
                                        ; implicit-def: $sgpr48_sgpr49
.LBB215_177:
	s_mov_b64 s[44:45], 0
.LBB215_178:
	s_and_b64 vcc, exec, s[44:45]
	s_cbranch_vccz .LBB215_182
; %bb.179:
	s_cmp_eq_u32 s52, 11
	s_cbranch_scc0 .LBB215_181
; %bb.180:
	global_load_ubyte v3, v[1:2], off
	s_mov_b64 s[0:1], -1
	s_mov_b64 s[42:43], 0
	s_waitcnt vmcnt(0)
	v_cmp_ne_u16_e64 s[48:49], 0, v3
	s_branch .LBB215_182
.LBB215_181:
	s_mov_b64 s[42:43], -1
                                        ; implicit-def: $sgpr48_sgpr49
.LBB215_182:
	s_branch .LBB215_231
.LBB215_183:
	s_and_b32 s14, 0xffff, s14
	s_cmp_lt_i32 s14, 5
	s_cbranch_scc1 .LBB215_188
; %bb.184:
	s_cmp_lt_i32 s14, 8
	s_cbranch_scc1 .LBB215_189
; %bb.185:
	;; [unrolled: 3-line block ×3, first 2 shown]
	s_cmp_gt_i32 s14, 9
	s_cbranch_scc0 .LBB215_191
; %bb.187:
	global_load_dwordx4 v[3:6], v[1:2], off
	s_mov_b64 s[44:45], 0
	s_waitcnt vmcnt(0)
	v_cmp_neq_f64_e32 vcc, 0, v[3:4]
	v_cmp_neq_f64_e64 s[0:1], 0, v[5:6]
	s_or_b64 s[48:49], vcc, s[0:1]
	s_branch .LBB215_192
.LBB215_188:
	s_mov_b64 s[0:1], -1
                                        ; implicit-def: $sgpr48_sgpr49
	s_branch .LBB215_210
.LBB215_189:
	s_mov_b64 s[0:1], -1
                                        ; implicit-def: $sgpr48_sgpr49
	s_branch .LBB215_198
.LBB215_190:
	s_mov_b64 s[0:1], -1
                                        ; implicit-def: $sgpr48_sgpr49
	s_branch .LBB215_195
.LBB215_191:
	s_mov_b64 s[44:45], -1
                                        ; implicit-def: $sgpr48_sgpr49
.LBB215_192:
	s_andn2_b64 vcc, exec, s[44:45]
	s_cbranch_vccnz .LBB215_194
; %bb.193:
	global_load_dwordx2 v[3:4], v[1:2], off
	s_andn2_b64 s[0:1], s[48:49], exec
	s_waitcnt vmcnt(0)
	v_or_b32_e32 v3, v3, v4
	v_and_b32_e32 v3, 0x7fffffff, v3
	v_cmp_ne_u32_e32 vcc, 0, v3
	s_and_b64 s[44:45], vcc, exec
	s_or_b64 s[48:49], s[0:1], s[44:45]
.LBB215_194:
	s_mov_b64 s[0:1], 0
.LBB215_195:
	s_andn2_b64 vcc, exec, s[0:1]
	s_cbranch_vccnz .LBB215_197
; %bb.196:
	global_load_dword v3, v[1:2], off
	s_andn2_b64 s[0:1], s[48:49], exec
	s_waitcnt vmcnt(0)
	v_and_b32_e32 v3, 0x7fff7fff, v3
	v_cmp_ne_u32_e32 vcc, 0, v3
	s_and_b64 s[44:45], vcc, exec
	s_or_b64 s[48:49], s[0:1], s[44:45]
.LBB215_197:
	s_mov_b64 s[0:1], 0
.LBB215_198:
	s_andn2_b64 vcc, exec, s[0:1]
	s_cbranch_vccnz .LBB215_209
; %bb.199:
	s_cmp_lt_i32 s14, 6
	s_cbranch_scc1 .LBB215_202
; %bb.200:
	s_cmp_gt_i32 s14, 6
	s_cbranch_scc0 .LBB215_203
; %bb.201:
	global_load_dwordx2 v[3:4], v[1:2], off
	s_mov_b64 s[0:1], 0
	s_waitcnt vmcnt(0)
	v_cmp_neq_f64_e64 s[48:49], 0, v[3:4]
	s_branch .LBB215_204
.LBB215_202:
	s_mov_b64 s[0:1], -1
                                        ; implicit-def: $sgpr48_sgpr49
	s_branch .LBB215_207
.LBB215_203:
	s_mov_b64 s[0:1], -1
                                        ; implicit-def: $sgpr48_sgpr49
.LBB215_204:
	s_andn2_b64 vcc, exec, s[0:1]
	s_cbranch_vccnz .LBB215_206
; %bb.205:
	global_load_dword v3, v[1:2], off
	s_andn2_b64 s[0:1], s[48:49], exec
	s_waitcnt vmcnt(0)
	v_cmp_neq_f32_e32 vcc, 0, v3
	s_and_b64 s[44:45], vcc, exec
	s_or_b64 s[48:49], s[0:1], s[44:45]
.LBB215_206:
	s_mov_b64 s[0:1], 0
.LBB215_207:
	s_andn2_b64 vcc, exec, s[0:1]
	s_cbranch_vccnz .LBB215_209
; %bb.208:
	global_load_ushort v3, v[1:2], off
	s_andn2_b64 s[0:1], s[48:49], exec
	s_waitcnt vmcnt(0)
	v_and_b32_e32 v3, 0x7fff, v3
	v_cmp_ne_u16_e32 vcc, 0, v3
	s_and_b64 s[44:45], vcc, exec
	s_or_b64 s[48:49], s[0:1], s[44:45]
.LBB215_209:
	s_mov_b64 s[0:1], 0
.LBB215_210:
	s_andn2_b64 vcc, exec, s[0:1]
	s_cbranch_vccnz .LBB215_230
; %bb.211:
	s_cmp_lt_i32 s14, 2
	s_cbranch_scc1 .LBB215_215
; %bb.212:
	s_cmp_lt_i32 s14, 3
	s_cbranch_scc1 .LBB215_216
; %bb.213:
	s_cmp_gt_i32 s14, 3
	s_cbranch_scc0 .LBB215_217
; %bb.214:
	global_load_dwordx2 v[3:4], v[1:2], off
	s_mov_b64 s[0:1], 0
	s_waitcnt vmcnt(0)
	v_cmp_ne_u64_e64 s[48:49], 0, v[3:4]
	s_branch .LBB215_218
.LBB215_215:
	s_mov_b64 s[0:1], -1
                                        ; implicit-def: $sgpr48_sgpr49
	s_branch .LBB215_224
.LBB215_216:
	s_mov_b64 s[0:1], -1
                                        ; implicit-def: $sgpr48_sgpr49
	s_branch .LBB215_221
.LBB215_217:
	s_mov_b64 s[0:1], -1
                                        ; implicit-def: $sgpr48_sgpr49
.LBB215_218:
	s_andn2_b64 vcc, exec, s[0:1]
	s_cbranch_vccnz .LBB215_220
; %bb.219:
	global_load_dword v3, v[1:2], off
	s_andn2_b64 s[0:1], s[48:49], exec
	s_waitcnt vmcnt(0)
	v_cmp_ne_u32_e32 vcc, 0, v3
	s_and_b64 s[44:45], vcc, exec
	s_or_b64 s[48:49], s[0:1], s[44:45]
.LBB215_220:
	s_mov_b64 s[0:1], 0
.LBB215_221:
	s_andn2_b64 vcc, exec, s[0:1]
	s_cbranch_vccnz .LBB215_223
; %bb.222:
	global_load_ushort v3, v[1:2], off
	s_andn2_b64 s[0:1], s[48:49], exec
	s_waitcnt vmcnt(0)
	v_cmp_ne_u16_e32 vcc, 0, v3
	s_and_b64 s[44:45], vcc, exec
	s_or_b64 s[48:49], s[0:1], s[44:45]
.LBB215_223:
	s_mov_b64 s[0:1], 0
.LBB215_224:
	s_andn2_b64 vcc, exec, s[0:1]
	s_cbranch_vccnz .LBB215_230
; %bb.225:
	s_cmp_gt_i32 s14, 0
	s_cbranch_scc0 .LBB215_227
; %bb.226:
	global_load_ubyte v3, v[1:2], off
	s_mov_b64 s[0:1], 0
	s_waitcnt vmcnt(0)
	v_cmp_ne_u16_e64 s[48:49], 0, v3
	s_branch .LBB215_228
.LBB215_227:
	s_mov_b64 s[0:1], -1
                                        ; implicit-def: $sgpr48_sgpr49
.LBB215_228:
	s_andn2_b64 vcc, exec, s[0:1]
	s_cbranch_vccnz .LBB215_230
; %bb.229:
	global_load_ubyte v1, v[1:2], off
	s_andn2_b64 s[0:1], s[48:49], exec
	s_waitcnt vmcnt(0)
	v_cmp_ne_u16_e32 vcc, 0, v1
	s_and_b64 s[44:45], vcc, exec
	s_or_b64 s[48:49], s[0:1], s[44:45]
.LBB215_230:
	s_mov_b64 s[0:1], -1
.LBB215_231:
	s_mov_b64 s[44:45], 0
	s_andn2_b64 vcc, exec, s[0:1]
	s_mov_b64 s[0:1], 0
	s_mov_b64 s[52:53], 0
	s_cbranch_vccnz .LBB215_354
; %bb.232:
	s_xor_b64 s[0:1], s[40:41], s[48:49]
	s_xor_b64 s[40:41], s[28:29], s[0:1]
	v_mov_b32_e32 v1, s9
	s_and_b32 s14, s15, 0xff
	v_add_co_u32_e32 v0, vcc, s8, v0
	s_cmp_lt_i32 s14, 11
	v_addc_co_u32_e32 v1, vcc, 0, v1, vcc
	s_cbranch_scc1 .LBB215_239
; %bb.233:
	s_and_b32 s54, 0xffff, s14
	s_cmp_gt_i32 s54, 25
	s_cbranch_scc0 .LBB215_240
; %bb.234:
	s_cmp_gt_i32 s54, 28
	s_cbranch_scc0 .LBB215_241
; %bb.235:
	;; [unrolled: 3-line block ×4, first 2 shown]
	s_mov_b64 s[42:43], 0
	s_mov_b64 s[0:1], -1
	s_cmp_eq_u32 s54, 46
	s_mov_b64 s[48:49], 0
	s_cbranch_scc0 .LBB215_244
; %bb.238:
	v_cndmask_b32_e64 v2, 0, 1.0, s[40:41]
	v_bfe_u32 v3, v2, 16, 1
	s_movk_i32 s0, 0x7fff
	v_add3_u32 v2, v2, v3, s0
	v_lshrrev_b32_e32 v2, 16, v2
	global_store_dword v[0:1], v2, off
	s_mov_b64 s[48:49], -1
	s_mov_b64 s[0:1], 0
	s_branch .LBB215_244
.LBB215_239:
	s_mov_b64 s[42:43], -1
	s_mov_b64 s[0:1], 0
	s_mov_b64 s[48:49], 0
	s_branch .LBB215_313
.LBB215_240:
	s_mov_b64 s[42:43], -1
	s_mov_b64 s[0:1], 0
	s_mov_b64 s[48:49], 0
	s_branch .LBB215_271
.LBB215_241:
	s_mov_b64 s[42:43], -1
	s_mov_b64 s[0:1], 0
	s_mov_b64 s[48:49], 0
	s_branch .LBB215_254
.LBB215_242:
	s_mov_b64 s[42:43], -1
	s_mov_b64 s[0:1], 0
	s_mov_b64 s[48:49], 0
	s_branch .LBB215_250
.LBB215_243:
	s_mov_b64 s[42:43], -1
	s_mov_b64 s[0:1], 0
	s_mov_b64 s[48:49], 0
.LBB215_244:
	s_and_b64 vcc, exec, s[42:43]
	s_cbranch_vccz .LBB215_249
; %bb.245:
	s_cmp_eq_u32 s54, 44
	s_mov_b64 s[0:1], -1
	s_cbranch_scc0 .LBB215_249
; %bb.246:
	v_cndmask_b32_e64 v3, 0, 1.0, s[40:41]
	v_lshrrev_b32_e32 v2, 23, v3
	s_movk_i32 s0, 0xff
	v_cmp_ne_u32_e32 vcc, s0, v2
	v_mov_b32_e32 v4, 0xff
	s_and_saveexec_b64 s[42:43], vcc
; %bb.247:
	s_mov_b32 s0, 0x3fffff
	v_and_b32_e32 v4, 0x400000, v3
	v_and_or_b32 v3, v3, s0, v2
	v_cmp_ne_u32_e32 vcc, 0, v4
	v_cmp_ne_u32_e64 s[0:1], 0, v3
	s_and_b64 s[0:1], vcc, s[0:1]
	v_cndmask_b32_e64 v3, 0, 1, s[0:1]
	v_add_u32_e32 v4, v2, v3
; %bb.248:
	s_or_b64 exec, exec, s[42:43]
	s_mov_b64 s[48:49], -1
	s_mov_b64 s[0:1], 0
	global_store_byte v[0:1], v4, off
.LBB215_249:
	s_mov_b64 s[42:43], 0
.LBB215_250:
	s_and_b64 vcc, exec, s[42:43]
	s_cbranch_vccz .LBB215_253
; %bb.251:
	s_cmp_eq_u32 s54, 29
	s_mov_b64 s[0:1], -1
	s_cbranch_scc0 .LBB215_253
; %bb.252:
	s_mov_b32 s0, 0
	v_cndmask_b32_e64 v2, 0, 1, s[40:41]
	v_mov_b32_e32 v3, s0
	global_store_dwordx2 v[0:1], v[2:3], off
	s_mov_b64 s[48:49], -1
	s_mov_b64 s[0:1], 0
.LBB215_253:
	s_mov_b64 s[42:43], 0
.LBB215_254:
	s_and_b64 vcc, exec, s[42:43]
	s_cbranch_vccz .LBB215_270
; %bb.255:
	s_cmp_lt_i32 s54, 27
	s_mov_b64 s[42:43], -1
	s_cbranch_scc1 .LBB215_261
; %bb.256:
	s_cmp_gt_i32 s54, 27
	s_cbranch_scc0 .LBB215_258
; %bb.257:
	v_cndmask_b32_e64 v2, 0, 1, s[40:41]
	s_mov_b64 s[42:43], 0
	global_store_dword v[0:1], v2, off
.LBB215_258:
	s_andn2_b64 vcc, exec, s[42:43]
	s_cbranch_vccnz .LBB215_260
; %bb.259:
	v_cndmask_b32_e64 v2, 0, 1, s[40:41]
	global_store_short v[0:1], v2, off
.LBB215_260:
	s_mov_b64 s[42:43], 0
.LBB215_261:
	s_andn2_b64 vcc, exec, s[42:43]
	s_cbranch_vccnz .LBB215_269
; %bb.262:
	v_cndmask_b32_e64 v3, 0, 1.0, s[40:41]
	s_mov_b32 s42, 0x43800000
	v_cmp_gt_u32_e32 vcc, s42, v3
	v_mov_b32_e32 v4, 0x80
	s_and_saveexec_b64 s[42:43], vcc
	s_cbranch_execz .LBB215_268
; %bb.263:
	s_mov_b32 s48, 0x3bffffff
	v_cmp_lt_u32_e32 vcc, s48, v3
	s_mov_b64 s[48:49], 0
                                        ; implicit-def: $vgpr2
	s_and_saveexec_b64 s[52:53], vcc
	s_xor_b64 s[52:53], exec, s[52:53]
	s_cbranch_execz .LBB215_395
; %bb.264:
	v_bfe_u32 v2, v3, 20, 1
	s_mov_b32 s55, 0x487ffff
	v_add3_u32 v2, v3, v2, s55
	s_mov_b64 s[48:49], exec
	v_lshrrev_b32_e32 v2, 20, v2
                                        ; implicit-def: $vgpr3
	s_andn2_saveexec_b64 s[52:53], s[52:53]
	s_cbranch_execnz .LBB215_396
.LBB215_265:
	s_or_b64 exec, exec, s[52:53]
	v_mov_b32_e32 v4, 0
	s_and_saveexec_b64 s[52:53], s[48:49]
.LBB215_266:
	v_mov_b32_e32 v4, v2
.LBB215_267:
	s_or_b64 exec, exec, s[52:53]
.LBB215_268:
	s_or_b64 exec, exec, s[42:43]
	global_store_byte v[0:1], v4, off
.LBB215_269:
	s_mov_b64 s[48:49], -1
.LBB215_270:
	s_mov_b64 s[42:43], 0
.LBB215_271:
	s_and_b64 vcc, exec, s[42:43]
	s_cbranch_vccz .LBB215_312
; %bb.272:
	s_cmp_gt_i32 s54, 22
	s_mov_b64 s[42:43], -1
	s_cbranch_scc0 .LBB215_304
; %bb.273:
	s_cmp_lt_i32 s54, 24
	s_cbranch_scc1 .LBB215_293
; %bb.274:
	s_cmp_gt_i32 s54, 24
	s_cbranch_scc0 .LBB215_282
; %bb.275:
	v_cndmask_b32_e64 v3, 0, 1.0, s[40:41]
	s_mov_b32 s42, 0x47800000
	v_cmp_gt_u32_e32 vcc, s42, v3
	v_mov_b32_e32 v4, 0x80
	s_and_saveexec_b64 s[42:43], vcc
	s_cbranch_execz .LBB215_281
; %bb.276:
	s_mov_b32 s48, 0x37ffffff
	v_cmp_lt_u32_e32 vcc, s48, v3
	s_mov_b64 s[48:49], 0
                                        ; implicit-def: $vgpr2
	s_and_saveexec_b64 s[52:53], vcc
	s_xor_b64 s[52:53], exec, s[52:53]
	s_cbranch_execz .LBB215_495
; %bb.277:
	v_bfe_u32 v2, v3, 21, 1
	s_mov_b32 s55, 0x88fffff
	v_add3_u32 v2, v3, v2, s55
	s_mov_b64 s[48:49], exec
	v_lshrrev_b32_e32 v2, 21, v2
                                        ; implicit-def: $vgpr3
	s_andn2_saveexec_b64 s[52:53], s[52:53]
	s_cbranch_execnz .LBB215_496
.LBB215_278:
	s_or_b64 exec, exec, s[52:53]
	v_mov_b32_e32 v4, 0
	s_and_saveexec_b64 s[52:53], s[48:49]
.LBB215_279:
	v_mov_b32_e32 v4, v2
.LBB215_280:
	s_or_b64 exec, exec, s[52:53]
.LBB215_281:
	s_or_b64 exec, exec, s[42:43]
	s_mov_b64 s[42:43], 0
	global_store_byte v[0:1], v4, off
.LBB215_282:
	s_and_b64 vcc, exec, s[42:43]
	s_cbranch_vccz .LBB215_292
; %bb.283:
	v_cndmask_b32_e64 v2, 0, 1.0, s[40:41]
	s_mov_b32 s42, 0x43f00000
	v_cmp_gt_u32_e32 vcc, s42, v2
                                        ; implicit-def: $vgpr3
	s_and_saveexec_b64 s[42:43], vcc
	s_xor_b64 s[42:43], exec, s[42:43]
	s_cbranch_execz .LBB215_289
; %bb.284:
	s_mov_b32 s48, 0x3c7fffff
	v_cmp_lt_u32_e32 vcc, s48, v2
                                        ; implicit-def: $vgpr3
	s_and_saveexec_b64 s[48:49], vcc
	s_xor_b64 s[48:49], exec, s[48:49]
; %bb.285:
	v_bfe_u32 v3, v2, 20, 1
	s_mov_b32 s52, 0x407ffff
	v_add3_u32 v2, v2, v3, s52
	v_lshrrev_b32_e32 v3, 20, v2
	v_and_b32_e32 v2, 0xff00000, v2
	s_mov_b32 s52, 0x7f00000
	v_mov_b32_e32 v4, 0x7e
	v_cmp_ne_u32_e32 vcc, s52, v2
	v_cndmask_b32_e32 v3, v4, v3, vcc
                                        ; implicit-def: $vgpr2
; %bb.286:
	s_andn2_saveexec_b64 s[48:49], s[48:49]
; %bb.287:
	v_add_f32_e32 v3, 0x46800000, v2
; %bb.288:
	s_or_b64 exec, exec, s[48:49]
                                        ; implicit-def: $vgpr2
.LBB215_289:
	s_andn2_saveexec_b64 s[42:43], s[42:43]
; %bb.290:
	s_mov_b32 s48, 0x7f800000
	v_mov_b32_e32 v3, 0x7e
	v_mov_b32_e32 v4, 0x7f
	v_cmp_lt_u32_e32 vcc, s48, v2
	v_cndmask_b32_e32 v3, v3, v4, vcc
; %bb.291:
	s_or_b64 exec, exec, s[42:43]
	global_store_byte v[0:1], v3, off
.LBB215_292:
	s_mov_b64 s[42:43], 0
.LBB215_293:
	s_andn2_b64 vcc, exec, s[42:43]
	s_cbranch_vccnz .LBB215_303
; %bb.294:
	v_cndmask_b32_e64 v2, 0, 1.0, s[40:41]
	s_mov_b32 s42, 0x47800000
	v_cmp_gt_u32_e32 vcc, s42, v2
                                        ; implicit-def: $vgpr3
	s_and_saveexec_b64 s[42:43], vcc
	s_xor_b64 s[42:43], exec, s[42:43]
	s_cbranch_execz .LBB215_300
; %bb.295:
	s_mov_b32 s48, 0x387fffff
	v_cmp_lt_u32_e32 vcc, s48, v2
                                        ; implicit-def: $vgpr3
	s_and_saveexec_b64 s[48:49], vcc
	s_xor_b64 s[48:49], exec, s[48:49]
; %bb.296:
	v_bfe_u32 v3, v2, 21, 1
	s_mov_b32 s52, 0x80fffff
	v_add3_u32 v2, v2, v3, s52
	v_lshrrev_b32_e32 v3, 21, v2
                                        ; implicit-def: $vgpr2
; %bb.297:
	s_andn2_saveexec_b64 s[48:49], s[48:49]
; %bb.298:
	v_add_f32_e32 v3, 0x43000000, v2
; %bb.299:
	s_or_b64 exec, exec, s[48:49]
                                        ; implicit-def: $vgpr2
.LBB215_300:
	s_andn2_saveexec_b64 s[42:43], s[42:43]
; %bb.301:
	s_mov_b32 s48, 0x7f800000
	v_mov_b32_e32 v3, 0x7c
	v_mov_b32_e32 v4, 0x7f
	v_cmp_lt_u32_e32 vcc, s48, v2
	v_cndmask_b32_e32 v3, v3, v4, vcc
; %bb.302:
	s_or_b64 exec, exec, s[42:43]
	global_store_byte v[0:1], v3, off
.LBB215_303:
	s_mov_b64 s[42:43], 0
	s_mov_b64 s[48:49], -1
.LBB215_304:
	s_andn2_b64 vcc, exec, s[42:43]
	s_cbranch_vccnz .LBB215_312
; %bb.305:
	s_cmp_gt_i32 s54, 14
	s_mov_b64 s[42:43], -1
	s_cbranch_scc0 .LBB215_309
; %bb.306:
	s_cmp_eq_u32 s54, 15
	s_mov_b64 s[0:1], -1
	s_cbranch_scc0 .LBB215_308
; %bb.307:
	v_cndmask_b32_e64 v2, 0, 1.0, s[40:41]
	v_bfe_u32 v3, v2, 16, 1
	s_movk_i32 s0, 0x7fff
	v_add3_u32 v2, v2, v3, s0
	global_store_short_d16_hi v[0:1], v2, off
	s_mov_b64 s[48:49], -1
	s_mov_b64 s[0:1], 0
.LBB215_308:
	s_mov_b64 s[42:43], 0
.LBB215_309:
	s_and_b64 vcc, exec, s[42:43]
	s_cbranch_vccz .LBB215_312
; %bb.310:
	s_cmp_eq_u32 s54, 11
	s_mov_b64 s[0:1], -1
	s_cbranch_scc0 .LBB215_312
; %bb.311:
	v_cndmask_b32_e64 v2, 0, 1, s[40:41]
	s_mov_b64 s[48:49], -1
	s_mov_b64 s[0:1], 0
	global_store_byte v[0:1], v2, off
.LBB215_312:
	s_mov_b64 s[42:43], 0
.LBB215_313:
	s_and_b64 vcc, exec, s[42:43]
	s_cbranch_vccz .LBB215_352
; %bb.314:
	s_and_b32 s14, 0xffff, s14
	s_cmp_lt_i32 s14, 5
	s_mov_b64 s[42:43], -1
	s_cbranch_scc1 .LBB215_335
; %bb.315:
	s_cmp_lt_i32 s14, 8
	s_cbranch_scc1 .LBB215_325
; %bb.316:
	s_cmp_lt_i32 s14, 9
	s_cbranch_scc1 .LBB215_322
; %bb.317:
	s_cmp_gt_i32 s14, 9
	s_cbranch_scc0 .LBB215_319
; %bb.318:
	v_cndmask_b32_e64 v2, 0, 1, s[40:41]
	v_cvt_f64_u32_e32 v[2:3], v2
	v_mov_b32_e32 v4, 0
	v_mov_b32_e32 v5, v4
	s_mov_b64 s[42:43], 0
	global_store_dwordx4 v[0:1], v[2:5], off
.LBB215_319:
	s_andn2_b64 vcc, exec, s[42:43]
	s_cbranch_vccnz .LBB215_321
; %bb.320:
	v_cndmask_b32_e64 v2, 0, 1.0, s[40:41]
	v_mov_b32_e32 v3, 0
	global_store_dwordx2 v[0:1], v[2:3], off
.LBB215_321:
	s_mov_b64 s[42:43], 0
.LBB215_322:
	s_andn2_b64 vcc, exec, s[42:43]
	s_cbranch_vccnz .LBB215_324
; %bb.323:
	v_cndmask_b32_e64 v2, 0, 1.0, s[40:41]
	v_cvt_f16_f32_e32 v2, v2
	global_store_dword v[0:1], v2, off
.LBB215_324:
	s_mov_b64 s[42:43], 0
.LBB215_325:
	s_andn2_b64 vcc, exec, s[42:43]
	s_cbranch_vccnz .LBB215_334
; %bb.326:
	s_cmp_lt_i32 s14, 6
	s_mov_b64 s[42:43], -1
	s_cbranch_scc1 .LBB215_332
; %bb.327:
	s_cmp_gt_i32 s14, 6
	s_cbranch_scc0 .LBB215_329
; %bb.328:
	v_cndmask_b32_e64 v2, 0, 1, s[40:41]
	v_cvt_f64_u32_e32 v[2:3], v2
	s_mov_b64 s[42:43], 0
	global_store_dwordx2 v[0:1], v[2:3], off
.LBB215_329:
	s_andn2_b64 vcc, exec, s[42:43]
	s_cbranch_vccnz .LBB215_331
; %bb.330:
	v_cndmask_b32_e64 v2, 0, 1.0, s[40:41]
	global_store_dword v[0:1], v2, off
.LBB215_331:
	s_mov_b64 s[42:43], 0
.LBB215_332:
	s_andn2_b64 vcc, exec, s[42:43]
	s_cbranch_vccnz .LBB215_334
; %bb.333:
	v_cndmask_b32_e64 v2, 0, 1.0, s[40:41]
	v_cvt_f16_f32_e32 v2, v2
	global_store_short v[0:1], v2, off
.LBB215_334:
	s_mov_b64 s[42:43], 0
.LBB215_335:
	s_andn2_b64 vcc, exec, s[42:43]
	s_cbranch_vccnz .LBB215_351
; %bb.336:
	s_cmp_lt_i32 s14, 2
	s_mov_b64 s[42:43], -1
	s_cbranch_scc1 .LBB215_346
; %bb.337:
	s_cmp_lt_i32 s14, 3
	s_cbranch_scc1 .LBB215_343
; %bb.338:
	s_cmp_gt_i32 s14, 3
	s_cbranch_scc0 .LBB215_340
; %bb.339:
	s_mov_b32 s42, 0
	v_cndmask_b32_e64 v2, 0, 1, s[40:41]
	v_mov_b32_e32 v3, s42
	global_store_dwordx2 v[0:1], v[2:3], off
	s_mov_b64 s[42:43], 0
.LBB215_340:
	s_andn2_b64 vcc, exec, s[42:43]
	s_cbranch_vccnz .LBB215_342
; %bb.341:
	v_cndmask_b32_e64 v2, 0, 1, s[40:41]
	global_store_dword v[0:1], v2, off
.LBB215_342:
	s_mov_b64 s[42:43], 0
.LBB215_343:
	s_andn2_b64 vcc, exec, s[42:43]
	s_cbranch_vccnz .LBB215_345
; %bb.344:
	v_cndmask_b32_e64 v2, 0, 1, s[40:41]
	global_store_short v[0:1], v2, off
.LBB215_345:
	s_mov_b64 s[42:43], 0
.LBB215_346:
	s_andn2_b64 vcc, exec, s[42:43]
	s_cbranch_vccnz .LBB215_351
; %bb.347:
	s_cmp_gt_i32 s14, 0
	s_mov_b64 s[42:43], -1
	s_cbranch_scc0 .LBB215_349
; %bb.348:
	v_cndmask_b32_e64 v2, 0, 1, s[40:41]
	global_store_byte v[0:1], v2, off
	s_mov_b64 s[42:43], 0
.LBB215_349:
	s_andn2_b64 vcc, exec, s[42:43]
	s_cbranch_vccnz .LBB215_351
; %bb.350:
	v_cndmask_b32_e64 v2, 0, 1, s[40:41]
	global_store_byte v[0:1], v2, off
.LBB215_351:
	s_mov_b64 s[48:49], -1
.LBB215_352:
	s_mov_b64 s[42:43], 0
	s_andn2_b64 vcc, exec, s[48:49]
	s_mov_b64 s[52:53], 0
	s_cbranch_vccnz .LBB215_354
; %bb.353:
	v_add_u32_e32 v8, 0x80, v8
	s_mov_b64 s[52:53], -1
.LBB215_354:
	s_and_b64 s[40:41], s[0:1], exec
	s_and_b64 s[42:43], s[42:43], exec
	;; [unrolled: 1-line block ×3, first 2 shown]
	s_orn2_b64 s[48:49], s[52:53], exec
.LBB215_355:
	s_or_b64 exec, exec, s[46:47]
	s_mov_b64 s[0:1], 0
	s_mov_b64 s[52:53], 0
                                        ; implicit-def: $sgpr56_sgpr57
                                        ; implicit-def: $sgpr14
                                        ; implicit-def: $vgpr3_vgpr4
                                        ; implicit-def: $vgpr0
                                        ; implicit-def: $vgpr2
	s_and_saveexec_b64 s[46:47], s[48:49]
	s_cbranch_execz .LBB215_363
; %bb.356:
	v_cmp_gt_i32_e32 vcc, s72, v8
	s_mov_b64 s[0:1], -1
	s_mov_b64 s[48:49], s[44:45]
	s_mov_b64 s[50:51], s[42:43]
	;; [unrolled: 1-line block ×3, first 2 shown]
	s_and_saveexec_b64 s[54:55], vcc
	s_cbranch_execz .LBB215_718
; %bb.357:
	s_andn2_b64 vcc, exec, s[24:25]
	s_cbranch_vccnz .LBB215_366
; %bb.358:
	s_andn2_b64 vcc, exec, s[38:39]
	s_cbranch_vccnz .LBB215_367
; %bb.359:
	s_add_i32 s0, s77, 1
	s_and_b32 s14, s0, 30
	s_add_u32 s0, s2, 0xffffffe8
	s_addc_u32 s1, s3, -1
	v_mov_b32_e32 v2, 0
	v_mov_b32_e32 v4, 0
	;; [unrolled: 1-line block ×4, first 2 shown]
.LBB215_360:                            ; =>This Inner Loop Header: Depth=1
	s_load_dwordx4 s[48:51], s[0:1], 0x1c
	s_load_dwordx2 s[52:53], s[0:1], 0x2c
	s_load_dwordx2 s[60:61], s[0:1], 0xec
	s_load_dwordx4 s[56:59], s[0:1], 0xdc
	s_add_u32 s0, s0, 24
	s_waitcnt lgkmcnt(0)
	v_mul_hi_u32 v3, s49, v1
	s_addc_u32 s1, s1, 0
	s_add_i32 s14, s14, -2
	s_cmp_eq_u32 s14, 0
	v_add_u32_e32 v3, v1, v3
	v_lshrrev_b32_e32 v3, s50, v3
	v_mul_lo_u32 v5, v3, s48
	v_mul_hi_u32 v6, s52, v3
	v_sub_u32_e32 v5, v1, v5
	v_add_u32_e32 v1, v3, v6
	v_lshrrev_b32_e32 v1, s53, v1
	v_mul_lo_u32 v9, v1, s51
	v_mul_lo_u32 v6, v5, s56
	;; [unrolled: 1-line block ×4, first 2 shown]
	v_sub_u32_e32 v3, v3, v9
	v_mul_lo_u32 v9, v3, s59
	v_mul_lo_u32 v10, v3, s60
	;; [unrolled: 1-line block ×3, first 2 shown]
	v_add3_u32 v0, v6, v0, v9
	v_add3_u32 v4, v7, v4, v10
	;; [unrolled: 1-line block ×3, first 2 shown]
	s_cbranch_scc0 .LBB215_360
; %bb.361:
	s_bitcmp1_b32 s77, 0
	s_cselect_b64 s[48:49], -1, 0
	s_and_b64 vcc, exec, s[48:49]
	s_cbranch_vccnz .LBB215_368
; %bb.362:
	s_load_dwordx2 s[48:49], s[0:1], 0x1c
	s_load_dword s14, s[0:1], 0x24
	s_load_dwordx2 s[50:51], s[0:1], 0xdc
	s_waitcnt lgkmcnt(0)
	v_mul_hi_u32 v3, s49, v1
	v_add_u32_e32 v3, v1, v3
	v_lshrrev_b32_e32 v3, s14, v3
	v_mul_lo_u32 v3, v3, s48
	s_load_dword s14, s[0:1], 0xe4
	v_sub_u32_e32 v3, v1, v3
	v_mad_u64_u32 v[0:1], s[0:1], v3, s50, v[0:1]
	v_mad_u64_u32 v[4:5], s[0:1], v3, s51, v[4:5]
	s_waitcnt lgkmcnt(0)
	v_mad_u64_u32 v[2:3], s[0:1], v3, s14, v[2:3]
	s_branch .LBB215_368
.LBB215_363:
	s_or_b64 exec, exec, s[46:47]
	s_mov_b64 s[10:11], 0
	s_and_saveexec_b64 s[16:17], s[44:45]
	s_cbranch_execnz .LBB215_1158
.LBB215_364:
	s_or_b64 exec, exec, s[16:17]
	s_and_saveexec_b64 s[16:17], s[50:51]
	s_xor_b64 s[16:17], exec, s[16:17]
	s_cbranch_execz .LBB215_1159
.LBB215_365:
	global_load_ubyte v1, v[3:4], off
	s_andn2_b64 s[18:19], s[56:57], exec
	s_or_b64 s[52:53], s[52:53], exec
	s_waitcnt vmcnt(0)
	v_cmp_ne_u16_e32 vcc, 0, v1
	s_and_b64 s[20:21], vcc, exec
	s_or_b64 s[56:57], s[18:19], s[20:21]
	s_or_b64 exec, exec, s[16:17]
	s_and_saveexec_b64 s[16:17], s[0:1]
	s_cbranch_execz .LBB215_1205
	s_branch .LBB215_1160
.LBB215_366:
                                        ; implicit-def: $vgpr0
                                        ; implicit-def: $vgpr4
                                        ; implicit-def: $vgpr2
	s_andn2_b64 vcc, exec, s[0:1]
	s_cbranch_vccz .LBB215_369
	s_branch .LBB215_371
.LBB215_367:
	v_mov_b32_e32 v0, 0
	v_mov_b32_e32 v4, 0
	;; [unrolled: 1-line block ×3, first 2 shown]
.LBB215_368:
	s_cbranch_execnz .LBB215_371
.LBB215_369:
	v_mul_hi_u32 v0, s17, v8
	s_andn2_b64 vcc, exec, s[36:37]
	v_add_u32_e32 v0, v8, v0
	v_lshrrev_b32_e32 v1, s18, v0
	v_mul_lo_u32 v0, v1, s16
	v_sub_u32_e32 v2, v8, v0
	v_mul_lo_u32 v0, v2, s20
	v_mul_lo_u32 v4, v2, s21
	;; [unrolled: 1-line block ×3, first 2 shown]
	s_cbranch_vccnz .LBB215_371
; %bb.370:
	v_mul_hi_u32 v3, s34, v1
	v_add_u32_e32 v3, v1, v3
	v_lshrrev_b32_e32 v3, s35, v3
	v_mul_lo_u32 v3, v3, s19
	v_sub_u32_e32 v3, v1, v3
	v_mad_u64_u32 v[0:1], s[0:1], v3, s23, v[0:1]
	v_mad_u64_u32 v[4:5], s[0:1], v3, s30, v[4:5]
	v_mad_u64_u32 v[2:3], s[0:1], v3, s31, v[2:3]
.LBB215_371:
	v_mov_b32_e32 v1, s11
	s_and_b32 s14, s76, 0xff
	v_add_co_u32_e32 v3, vcc, s10, v4
	s_cmp_lt_i32 s14, 11
	v_addc_co_u32_e32 v4, vcc, 0, v1, vcc
	s_cbranch_scc1 .LBB215_378
; %bb.372:
	s_and_b32 s56, 0xffff, s14
	s_cmp_gt_i32 s56, 25
	s_cbranch_scc0 .LBB215_387
; %bb.373:
	s_cmp_gt_i32 s56, 28
	s_cbranch_scc0 .LBB215_389
; %bb.374:
	;; [unrolled: 3-line block ×4, first 2 shown]
	s_cmp_eq_u32 s56, 46
	s_mov_b64 s[52:53], 0
	s_cbranch_scc0 .LBB215_397
; %bb.377:
	global_load_dword v1, v[3:4], off
	s_mov_b64 s[0:1], -1
	s_mov_b64 s[48:49], 0
	s_waitcnt vmcnt(0)
	v_and_b32_e32 v1, 0x7fff7fff, v1
	v_cmp_ne_u32_e64 s[50:51], 0, v1
	s_branch .LBB215_398
.LBB215_378:
	s_mov_b64 s[0:1], 0
                                        ; implicit-def: $sgpr50_sgpr51
	s_mov_b64 s[48:49], s[44:45]
	s_cbranch_execnz .LBB215_445
.LBB215_379:
	s_andn2_b64 vcc, exec, s[0:1]
	s_cbranch_vccnz .LBB215_493
.LBB215_380:
	v_mov_b32_e32 v3, s13
	s_and_b32 s14, s75, 0xff
	v_add_co_u32_e32 v1, vcc, s12, v2
	s_cmp_lt_i32 s14, 11
	v_addc_co_u32_e32 v2, vcc, 0, v3, vcc
	s_cbranch_scc1 .LBB215_388
; %bb.381:
	s_and_b32 s58, 0xffff, s14
	s_cmp_gt_i32 s58, 25
	s_cbranch_scc0 .LBB215_390
; %bb.382:
	s_cmp_gt_i32 s58, 28
	s_cbranch_scc0 .LBB215_392
; %bb.383:
	;; [unrolled: 3-line block ×4, first 2 shown]
	s_cmp_eq_u32 s58, 46
	s_mov_b64 s[48:49], 0
	s_cbranch_scc0 .LBB215_497
; %bb.386:
	global_load_dword v3, v[1:2], off
	s_mov_b64 s[0:1], -1
	s_mov_b64 s[56:57], 0
	s_waitcnt vmcnt(0)
	v_and_b32_e32 v3, 0x7fff7fff, v3
	v_cmp_ne_u32_e64 s[52:53], 0, v3
	s_branch .LBB215_498
.LBB215_387:
	s_mov_b64 s[52:53], -1
	s_mov_b64 s[0:1], 0
	s_mov_b64 s[48:49], s[44:45]
                                        ; implicit-def: $sgpr50_sgpr51
	s_branch .LBB215_419
.LBB215_388:
	s_mov_b64 s[48:49], -1
	s_mov_b64 s[0:1], 0
                                        ; implicit-def: $sgpr52_sgpr53
	s_mov_b64 s[56:57], s[42:43]
	s_branch .LBB215_545
.LBB215_389:
	s_mov_b64 s[52:53], -1
	s_mov_b64 s[0:1], 0
	s_mov_b64 s[48:49], s[44:45]
                                        ; implicit-def: $sgpr50_sgpr51
	s_branch .LBB215_406
.LBB215_390:
	s_mov_b64 s[48:49], -1
	s_mov_b64 s[0:1], 0
	s_mov_b64 s[56:57], s[42:43]
                                        ; implicit-def: $sgpr52_sgpr53
	s_branch .LBB215_519
.LBB215_391:
	s_mov_b64 s[52:53], -1
	s_mov_b64 s[0:1], 0
	s_mov_b64 s[48:49], s[44:45]
                                        ; implicit-def: $sgpr50_sgpr51
	s_branch .LBB215_401
.LBB215_392:
	s_mov_b64 s[48:49], -1
	s_mov_b64 s[0:1], 0
	s_mov_b64 s[56:57], s[42:43]
                                        ; implicit-def: $sgpr52_sgpr53
	s_branch .LBB215_506
.LBB215_393:
	s_mov_b64 s[52:53], -1
	s_mov_b64 s[0:1], 0
	s_mov_b64 s[48:49], s[44:45]
                                        ; implicit-def: $sgpr50_sgpr51
	s_branch .LBB215_398
.LBB215_394:
	s_mov_b64 s[48:49], -1
	s_mov_b64 s[0:1], 0
	s_mov_b64 s[56:57], s[42:43]
                                        ; implicit-def: $sgpr52_sgpr53
	s_branch .LBB215_501
.LBB215_395:
	s_andn2_saveexec_b64 s[52:53], s[52:53]
	s_cbranch_execz .LBB215_265
.LBB215_396:
	v_add_f32_e32 v2, 0x46000000, v3
	v_and_b32_e32 v2, 0xff, v2
	v_cmp_ne_u32_e32 vcc, 0, v2
	s_andn2_b64 s[48:49], s[48:49], exec
	s_and_b64 s[56:57], vcc, exec
	s_or_b64 s[48:49], s[48:49], s[56:57]
	s_or_b64 exec, exec, s[52:53]
	v_mov_b32_e32 v4, 0
	s_and_saveexec_b64 s[52:53], s[48:49]
	s_cbranch_execnz .LBB215_266
	s_branch .LBB215_267
.LBB215_397:
	s_mov_b64 s[48:49], -1
                                        ; implicit-def: $sgpr50_sgpr51
	s_mov_b64 s[0:1], 0
.LBB215_398:
	s_and_b64 vcc, exec, s[52:53]
	s_cbranch_vccz .LBB215_400
; %bb.399:
	s_cmp_eq_u32 s56, 44
	s_cselect_b64 s[0:1], -1, 0
	s_or_b64 s[50:51], s[50:51], exec
	s_or_b64 s[48:49], s[48:49], exec
.LBB215_400:
	s_mov_b64 s[52:53], 0
.LBB215_401:
	s_and_b64 vcc, exec, s[52:53]
	s_cbranch_vccz .LBB215_405
; %bb.402:
	s_cmp_eq_u32 s56, 29
	s_cbranch_scc0 .LBB215_404
; %bb.403:
	global_load_dwordx2 v[5:6], v[3:4], off
	s_mov_b64 s[48:49], 0
	s_mov_b64 s[0:1], -1
	s_mov_b64 s[52:53], 0
	s_waitcnt vmcnt(0)
	v_cmp_ne_u64_e64 s[50:51], 0, v[5:6]
	s_branch .LBB215_406
.LBB215_404:
	s_mov_b64 s[48:49], -1
                                        ; implicit-def: $sgpr50_sgpr51
.LBB215_405:
	s_mov_b64 s[52:53], 0
.LBB215_406:
	s_and_b64 vcc, exec, s[52:53]
	s_cbranch_vccz .LBB215_418
; %bb.407:
	s_cmp_lt_i32 s56, 27
	s_cbranch_scc1 .LBB215_410
; %bb.408:
	s_cmp_gt_i32 s56, 27
	s_cbranch_scc0 .LBB215_411
; %bb.409:
	global_load_dword v1, v[3:4], off
	s_mov_b64 s[0:1], 0
	s_waitcnt vmcnt(0)
	v_cmp_ne_u32_e64 s[50:51], 0, v1
	s_branch .LBB215_412
.LBB215_410:
	s_mov_b64 s[0:1], -1
                                        ; implicit-def: $sgpr50_sgpr51
	s_branch .LBB215_415
.LBB215_411:
	s_mov_b64 s[0:1], -1
                                        ; implicit-def: $sgpr50_sgpr51
.LBB215_412:
	s_andn2_b64 vcc, exec, s[0:1]
	s_cbranch_vccnz .LBB215_414
; %bb.413:
	global_load_ushort v1, v[3:4], off
	s_andn2_b64 s[0:1], s[50:51], exec
	s_waitcnt vmcnt(0)
	v_cmp_ne_u16_e32 vcc, 0, v1
	s_and_b64 s[50:51], vcc, exec
	s_or_b64 s[50:51], s[0:1], s[50:51]
.LBB215_414:
	s_mov_b64 s[0:1], 0
.LBB215_415:
	s_andn2_b64 vcc, exec, s[0:1]
	s_cbranch_vccnz .LBB215_417
; %bb.416:
	global_load_ubyte v1, v[3:4], off
	s_andn2_b64 s[0:1], s[50:51], exec
	s_waitcnt vmcnt(0)
	v_cmp_ne_u16_e32 vcc, 0, v1
	s_and_b64 s[50:51], vcc, exec
	s_or_b64 s[50:51], s[0:1], s[50:51]
.LBB215_417:
	s_mov_b64 s[0:1], -1
.LBB215_418:
	s_mov_b64 s[52:53], 0
.LBB215_419:
	s_and_b64 vcc, exec, s[52:53]
	s_cbranch_vccz .LBB215_444
; %bb.420:
	s_cmp_gt_i32 s56, 22
	s_cbranch_scc0 .LBB215_424
; %bb.421:
	s_cmp_lt_i32 s56, 24
	s_cbranch_scc1 .LBB215_425
; %bb.422:
	s_cmp_gt_i32 s56, 24
	s_cbranch_scc0 .LBB215_426
; %bb.423:
	global_load_ubyte v1, v[3:4], off
	s_mov_b64 s[0:1], 0
	s_waitcnt vmcnt(0)
	v_cmp_ne_u16_e64 s[50:51], 0, v1
	s_branch .LBB215_427
.LBB215_424:
	s_mov_b64 s[52:53], -1
                                        ; implicit-def: $sgpr50_sgpr51
	s_branch .LBB215_433
.LBB215_425:
	s_mov_b64 s[0:1], -1
                                        ; implicit-def: $sgpr50_sgpr51
	s_branch .LBB215_430
.LBB215_426:
	s_mov_b64 s[0:1], -1
                                        ; implicit-def: $sgpr50_sgpr51
.LBB215_427:
	s_andn2_b64 vcc, exec, s[0:1]
	s_cbranch_vccnz .LBB215_429
; %bb.428:
	global_load_ubyte v1, v[3:4], off
	s_andn2_b64 s[0:1], s[50:51], exec
	s_waitcnt vmcnt(0)
	v_and_b32_e32 v1, 0x7f, v1
	v_cmp_ne_u16_e32 vcc, 0, v1
	s_and_b64 s[50:51], vcc, exec
	s_or_b64 s[50:51], s[0:1], s[50:51]
.LBB215_429:
	s_mov_b64 s[0:1], 0
.LBB215_430:
	s_andn2_b64 vcc, exec, s[0:1]
	s_cbranch_vccnz .LBB215_432
; %bb.431:
	global_load_ubyte v1, v[3:4], off
	s_movk_i32 s0, 0x7f00
	s_brev_b32 s1, 16
	s_waitcnt vmcnt(0)
	v_lshlrev_b32_e32 v5, 8, v1
	v_lshlrev_b32_e32 v1, 25, v1
	v_lshrrev_b32_e32 v6, 4, v1
	v_and_or_b32 v5, v5, s0, 0.5
	v_or_b32_e32 v6, 0x70000000, v6
	v_add_f32_e32 v5, -0.5, v5
	v_mul_f32_e32 v6, 0x7800000, v6
	v_cmp_gt_u32_e32 vcc, s1, v1
	v_cndmask_b32_e32 v1, v6, v5, vcc
	v_cmp_neq_f32_e32 vcc, 0, v1
	s_andn2_b64 s[0:1], s[50:51], exec
	s_and_b64 s[50:51], vcc, exec
	s_or_b64 s[50:51], s[0:1], s[50:51]
.LBB215_432:
	s_mov_b64 s[52:53], 0
	s_mov_b64 s[0:1], -1
.LBB215_433:
	s_andn2_b64 vcc, exec, s[52:53]
	s_cbranch_vccnz .LBB215_444
; %bb.434:
	s_cmp_gt_i32 s56, 14
	s_cbranch_scc0 .LBB215_437
; %bb.435:
	s_cmp_eq_u32 s56, 15
	s_cbranch_scc0 .LBB215_438
; %bb.436:
	global_load_ushort v1, v[3:4], off
	s_mov_b64 s[0:1], -1
	s_mov_b64 s[48:49], 0
	s_waitcnt vmcnt(0)
	v_and_b32_e32 v1, 0x7fff, v1
	v_cmp_ne_u16_e64 s[50:51], 0, v1
	s_branch .LBB215_439
.LBB215_437:
	s_mov_b64 s[52:53], -1
                                        ; implicit-def: $sgpr50_sgpr51
	s_branch .LBB215_440
.LBB215_438:
	s_mov_b64 s[48:49], -1
                                        ; implicit-def: $sgpr50_sgpr51
.LBB215_439:
	s_mov_b64 s[52:53], 0
.LBB215_440:
	s_and_b64 vcc, exec, s[52:53]
	s_cbranch_vccz .LBB215_444
; %bb.441:
	s_cmp_eq_u32 s56, 11
	s_cbranch_scc0 .LBB215_443
; %bb.442:
	global_load_ubyte v1, v[3:4], off
	s_mov_b64 s[0:1], -1
	s_mov_b64 s[48:49], 0
	s_waitcnt vmcnt(0)
	v_cmp_ne_u16_e64 s[50:51], 0, v1
	s_branch .LBB215_444
.LBB215_443:
	s_mov_b64 s[48:49], -1
                                        ; implicit-def: $sgpr50_sgpr51
.LBB215_444:
	s_branch .LBB215_379
.LBB215_445:
	s_and_b32 s14, 0xffff, s14
	s_cmp_lt_i32 s14, 5
	s_cbranch_scc1 .LBB215_450
; %bb.446:
	s_cmp_lt_i32 s14, 8
	s_cbranch_scc1 .LBB215_451
; %bb.447:
	s_cmp_lt_i32 s14, 9
	s_cbranch_scc1 .LBB215_452
; %bb.448:
	s_cmp_gt_i32 s14, 9
	s_cbranch_scc0 .LBB215_453
; %bb.449:
	global_load_dwordx4 v[9:12], v[3:4], off
	s_mov_b64 s[52:53], 0
	s_waitcnt vmcnt(0)
	v_cmp_neq_f64_e32 vcc, 0, v[9:10]
	v_cmp_neq_f64_e64 s[0:1], 0, v[11:12]
	s_or_b64 s[50:51], vcc, s[0:1]
	s_branch .LBB215_454
.LBB215_450:
	s_mov_b64 s[0:1], -1
                                        ; implicit-def: $sgpr50_sgpr51
	s_branch .LBB215_472
.LBB215_451:
	s_mov_b64 s[0:1], -1
                                        ; implicit-def: $sgpr50_sgpr51
	s_branch .LBB215_460
.LBB215_452:
	s_mov_b64 s[0:1], -1
                                        ; implicit-def: $sgpr50_sgpr51
	s_branch .LBB215_457
.LBB215_453:
	s_mov_b64 s[52:53], -1
                                        ; implicit-def: $sgpr50_sgpr51
.LBB215_454:
	s_andn2_b64 vcc, exec, s[52:53]
	s_cbranch_vccnz .LBB215_456
; %bb.455:
	global_load_dwordx2 v[5:6], v[3:4], off
	s_andn2_b64 s[0:1], s[50:51], exec
	s_waitcnt vmcnt(0)
	v_or_b32_e32 v1, v5, v6
	v_and_b32_e32 v1, 0x7fffffff, v1
	v_cmp_ne_u32_e32 vcc, 0, v1
	s_and_b64 s[50:51], vcc, exec
	s_or_b64 s[50:51], s[0:1], s[50:51]
.LBB215_456:
	s_mov_b64 s[0:1], 0
.LBB215_457:
	s_andn2_b64 vcc, exec, s[0:1]
	s_cbranch_vccnz .LBB215_459
; %bb.458:
	global_load_dword v1, v[3:4], off
	s_andn2_b64 s[0:1], s[50:51], exec
	s_waitcnt vmcnt(0)
	v_and_b32_e32 v1, 0x7fff7fff, v1
	v_cmp_ne_u32_e32 vcc, 0, v1
	s_and_b64 s[50:51], vcc, exec
	s_or_b64 s[50:51], s[0:1], s[50:51]
.LBB215_459:
	s_mov_b64 s[0:1], 0
.LBB215_460:
	s_andn2_b64 vcc, exec, s[0:1]
	s_cbranch_vccnz .LBB215_471
; %bb.461:
	s_cmp_lt_i32 s14, 6
	s_cbranch_scc1 .LBB215_464
; %bb.462:
	s_cmp_gt_i32 s14, 6
	s_cbranch_scc0 .LBB215_465
; %bb.463:
	global_load_dwordx2 v[5:6], v[3:4], off
	s_mov_b64 s[0:1], 0
	s_waitcnt vmcnt(0)
	v_cmp_neq_f64_e64 s[50:51], 0, v[5:6]
	s_branch .LBB215_466
.LBB215_464:
	s_mov_b64 s[0:1], -1
                                        ; implicit-def: $sgpr50_sgpr51
	s_branch .LBB215_469
.LBB215_465:
	s_mov_b64 s[0:1], -1
                                        ; implicit-def: $sgpr50_sgpr51
.LBB215_466:
	s_andn2_b64 vcc, exec, s[0:1]
	s_cbranch_vccnz .LBB215_468
; %bb.467:
	global_load_dword v1, v[3:4], off
	s_andn2_b64 s[0:1], s[50:51], exec
	s_waitcnt vmcnt(0)
	v_cmp_neq_f32_e32 vcc, 0, v1
	s_and_b64 s[50:51], vcc, exec
	s_or_b64 s[50:51], s[0:1], s[50:51]
.LBB215_468:
	s_mov_b64 s[0:1], 0
.LBB215_469:
	s_andn2_b64 vcc, exec, s[0:1]
	s_cbranch_vccnz .LBB215_471
; %bb.470:
	global_load_ushort v1, v[3:4], off
	s_andn2_b64 s[0:1], s[50:51], exec
	s_waitcnt vmcnt(0)
	v_and_b32_e32 v1, 0x7fff, v1
	v_cmp_ne_u16_e32 vcc, 0, v1
	s_and_b64 s[50:51], vcc, exec
	s_or_b64 s[50:51], s[0:1], s[50:51]
.LBB215_471:
	s_mov_b64 s[0:1], 0
.LBB215_472:
	s_andn2_b64 vcc, exec, s[0:1]
	s_cbranch_vccnz .LBB215_492
; %bb.473:
	s_cmp_lt_i32 s14, 2
	s_cbranch_scc1 .LBB215_477
; %bb.474:
	s_cmp_lt_i32 s14, 3
	s_cbranch_scc1 .LBB215_478
; %bb.475:
	s_cmp_gt_i32 s14, 3
	s_cbranch_scc0 .LBB215_479
; %bb.476:
	global_load_dwordx2 v[5:6], v[3:4], off
	s_mov_b64 s[0:1], 0
	s_waitcnt vmcnt(0)
	v_cmp_ne_u64_e64 s[50:51], 0, v[5:6]
	s_branch .LBB215_480
.LBB215_477:
	s_mov_b64 s[0:1], -1
                                        ; implicit-def: $sgpr50_sgpr51
	s_branch .LBB215_486
.LBB215_478:
	s_mov_b64 s[0:1], -1
                                        ; implicit-def: $sgpr50_sgpr51
	s_branch .LBB215_483
.LBB215_479:
	s_mov_b64 s[0:1], -1
                                        ; implicit-def: $sgpr50_sgpr51
.LBB215_480:
	s_andn2_b64 vcc, exec, s[0:1]
	s_cbranch_vccnz .LBB215_482
; %bb.481:
	global_load_dword v1, v[3:4], off
	s_andn2_b64 s[0:1], s[50:51], exec
	s_waitcnt vmcnt(0)
	v_cmp_ne_u32_e32 vcc, 0, v1
	s_and_b64 s[50:51], vcc, exec
	s_or_b64 s[50:51], s[0:1], s[50:51]
.LBB215_482:
	s_mov_b64 s[0:1], 0
.LBB215_483:
	s_andn2_b64 vcc, exec, s[0:1]
	s_cbranch_vccnz .LBB215_485
; %bb.484:
	global_load_ushort v1, v[3:4], off
	s_andn2_b64 s[0:1], s[50:51], exec
	s_waitcnt vmcnt(0)
	v_cmp_ne_u16_e32 vcc, 0, v1
	s_and_b64 s[50:51], vcc, exec
	s_or_b64 s[50:51], s[0:1], s[50:51]
.LBB215_485:
	s_mov_b64 s[0:1], 0
.LBB215_486:
	s_andn2_b64 vcc, exec, s[0:1]
	s_cbranch_vccnz .LBB215_492
; %bb.487:
	s_cmp_gt_i32 s14, 0
	s_cbranch_scc0 .LBB215_489
; %bb.488:
	global_load_ubyte v1, v[3:4], off
	s_mov_b64 s[0:1], 0
	s_waitcnt vmcnt(0)
	v_cmp_ne_u16_e64 s[50:51], 0, v1
	s_branch .LBB215_490
.LBB215_489:
	s_mov_b64 s[0:1], -1
                                        ; implicit-def: $sgpr50_sgpr51
.LBB215_490:
	s_andn2_b64 vcc, exec, s[0:1]
	s_cbranch_vccnz .LBB215_492
; %bb.491:
	global_load_ubyte v1, v[3:4], off
	s_andn2_b64 s[0:1], s[50:51], exec
	s_waitcnt vmcnt(0)
	v_cmp_ne_u16_e32 vcc, 0, v1
	s_and_b64 s[50:51], vcc, exec
	s_or_b64 s[50:51], s[0:1], s[50:51]
.LBB215_492:
	s_branch .LBB215_380
.LBB215_493:
	s_mov_b64 s[58:59], 0
	s_mov_b64 s[0:1], s[40:41]
	;; [unrolled: 1-line block ×3, first 2 shown]
                                        ; implicit-def: $vgpr8
	s_branch .LBB215_717
.LBB215_494:
	s_mov_b64 s[48:49], -1
	s_mov_b64 s[0:1], 0
	s_mov_b64 s[56:57], s[42:43]
                                        ; implicit-def: $sgpr52_sgpr53
	s_branch .LBB215_498
.LBB215_495:
	s_andn2_saveexec_b64 s[52:53], s[52:53]
	s_cbranch_execz .LBB215_278
.LBB215_496:
	v_add_f32_e32 v2, 0x42800000, v3
	v_and_b32_e32 v2, 0xff, v2
	v_cmp_ne_u32_e32 vcc, 0, v2
	s_andn2_b64 s[48:49], s[48:49], exec
	s_and_b64 s[56:57], vcc, exec
	s_or_b64 s[48:49], s[48:49], s[56:57]
	s_or_b64 exec, exec, s[52:53]
	v_mov_b32_e32 v4, 0
	s_and_saveexec_b64 s[52:53], s[48:49]
	s_cbranch_execnz .LBB215_279
	s_branch .LBB215_280
.LBB215_497:
	s_mov_b64 s[56:57], -1
                                        ; implicit-def: $sgpr52_sgpr53
	s_mov_b64 s[0:1], 0
.LBB215_498:
	s_and_b64 vcc, exec, s[48:49]
	s_cbranch_vccz .LBB215_500
; %bb.499:
	s_cmp_eq_u32 s58, 44
	s_cselect_b64 s[0:1], -1, 0
	s_or_b64 s[52:53], s[52:53], exec
	s_or_b64 s[56:57], s[56:57], exec
.LBB215_500:
	s_mov_b64 s[48:49], 0
.LBB215_501:
	s_and_b64 vcc, exec, s[48:49]
	s_cbranch_vccz .LBB215_505
; %bb.502:
	s_cmp_eq_u32 s58, 29
	s_cbranch_scc0 .LBB215_504
; %bb.503:
	global_load_dwordx2 v[3:4], v[1:2], off
	s_mov_b64 s[56:57], 0
	s_mov_b64 s[0:1], -1
	s_mov_b64 s[48:49], 0
	s_waitcnt vmcnt(0)
	v_cmp_ne_u64_e64 s[52:53], 0, v[3:4]
	s_branch .LBB215_506
.LBB215_504:
	s_mov_b64 s[56:57], -1
                                        ; implicit-def: $sgpr52_sgpr53
.LBB215_505:
	s_mov_b64 s[48:49], 0
.LBB215_506:
	s_and_b64 vcc, exec, s[48:49]
	s_cbranch_vccz .LBB215_518
; %bb.507:
	s_cmp_lt_i32 s58, 27
	s_cbranch_scc1 .LBB215_510
; %bb.508:
	s_cmp_gt_i32 s58, 27
	s_cbranch_scc0 .LBB215_511
; %bb.509:
	global_load_dword v3, v[1:2], off
	s_mov_b64 s[0:1], 0
	s_waitcnt vmcnt(0)
	v_cmp_ne_u32_e64 s[52:53], 0, v3
	s_branch .LBB215_512
.LBB215_510:
	s_mov_b64 s[0:1], -1
                                        ; implicit-def: $sgpr52_sgpr53
	s_branch .LBB215_515
.LBB215_511:
	s_mov_b64 s[0:1], -1
                                        ; implicit-def: $sgpr52_sgpr53
.LBB215_512:
	s_andn2_b64 vcc, exec, s[0:1]
	s_cbranch_vccnz .LBB215_514
; %bb.513:
	global_load_ushort v3, v[1:2], off
	s_andn2_b64 s[0:1], s[52:53], exec
	s_waitcnt vmcnt(0)
	v_cmp_ne_u16_e32 vcc, 0, v3
	s_and_b64 s[48:49], vcc, exec
	s_or_b64 s[52:53], s[0:1], s[48:49]
.LBB215_514:
	s_mov_b64 s[0:1], 0
.LBB215_515:
	s_andn2_b64 vcc, exec, s[0:1]
	s_cbranch_vccnz .LBB215_517
; %bb.516:
	global_load_ubyte v3, v[1:2], off
	s_andn2_b64 s[0:1], s[52:53], exec
	s_waitcnt vmcnt(0)
	v_cmp_ne_u16_e32 vcc, 0, v3
	s_and_b64 s[48:49], vcc, exec
	s_or_b64 s[52:53], s[0:1], s[48:49]
.LBB215_517:
	s_mov_b64 s[0:1], -1
.LBB215_518:
	s_mov_b64 s[48:49], 0
.LBB215_519:
	s_and_b64 vcc, exec, s[48:49]
	s_cbranch_vccz .LBB215_544
; %bb.520:
	s_cmp_gt_i32 s58, 22
	s_cbranch_scc0 .LBB215_524
; %bb.521:
	s_cmp_lt_i32 s58, 24
	s_cbranch_scc1 .LBB215_525
; %bb.522:
	s_cmp_gt_i32 s58, 24
	s_cbranch_scc0 .LBB215_526
; %bb.523:
	global_load_ubyte v3, v[1:2], off
	s_mov_b64 s[0:1], 0
	s_waitcnt vmcnt(0)
	v_cmp_ne_u16_e64 s[52:53], 0, v3
	s_branch .LBB215_527
.LBB215_524:
	s_mov_b64 s[48:49], -1
                                        ; implicit-def: $sgpr52_sgpr53
	s_branch .LBB215_533
.LBB215_525:
	s_mov_b64 s[0:1], -1
                                        ; implicit-def: $sgpr52_sgpr53
	s_branch .LBB215_530
.LBB215_526:
	s_mov_b64 s[0:1], -1
                                        ; implicit-def: $sgpr52_sgpr53
.LBB215_527:
	s_andn2_b64 vcc, exec, s[0:1]
	s_cbranch_vccnz .LBB215_529
; %bb.528:
	global_load_ubyte v3, v[1:2], off
	s_andn2_b64 s[0:1], s[52:53], exec
	s_waitcnt vmcnt(0)
	v_and_b32_e32 v3, 0x7f, v3
	v_cmp_ne_u16_e32 vcc, 0, v3
	s_and_b64 s[48:49], vcc, exec
	s_or_b64 s[52:53], s[0:1], s[48:49]
.LBB215_529:
	s_mov_b64 s[0:1], 0
.LBB215_530:
	s_andn2_b64 vcc, exec, s[0:1]
	s_cbranch_vccnz .LBB215_532
; %bb.531:
	global_load_ubyte v3, v[1:2], off
	s_movk_i32 s0, 0x7f00
	s_brev_b32 s1, 16
	s_waitcnt vmcnt(0)
	v_lshlrev_b32_e32 v4, 8, v3
	v_lshlrev_b32_e32 v3, 25, v3
	v_lshrrev_b32_e32 v5, 4, v3
	v_and_or_b32 v4, v4, s0, 0.5
	v_or_b32_e32 v5, 0x70000000, v5
	v_add_f32_e32 v4, -0.5, v4
	v_mul_f32_e32 v5, 0x7800000, v5
	v_cmp_gt_u32_e32 vcc, s1, v3
	v_cndmask_b32_e32 v3, v5, v4, vcc
	v_cmp_neq_f32_e32 vcc, 0, v3
	s_andn2_b64 s[0:1], s[52:53], exec
	s_and_b64 s[48:49], vcc, exec
	s_or_b64 s[52:53], s[0:1], s[48:49]
.LBB215_532:
	s_mov_b64 s[48:49], 0
	s_mov_b64 s[0:1], -1
.LBB215_533:
	s_andn2_b64 vcc, exec, s[48:49]
	s_cbranch_vccnz .LBB215_544
; %bb.534:
	s_cmp_gt_i32 s58, 14
	s_cbranch_scc0 .LBB215_537
; %bb.535:
	s_cmp_eq_u32 s58, 15
	s_cbranch_scc0 .LBB215_538
; %bb.536:
	global_load_ushort v3, v[1:2], off
	s_mov_b64 s[0:1], -1
	s_mov_b64 s[56:57], 0
	s_waitcnt vmcnt(0)
	v_and_b32_e32 v3, 0x7fff, v3
	v_cmp_ne_u16_e64 s[52:53], 0, v3
	s_branch .LBB215_539
.LBB215_537:
	s_mov_b64 s[48:49], -1
                                        ; implicit-def: $sgpr52_sgpr53
	s_branch .LBB215_540
.LBB215_538:
	s_mov_b64 s[56:57], -1
                                        ; implicit-def: $sgpr52_sgpr53
.LBB215_539:
	s_mov_b64 s[48:49], 0
.LBB215_540:
	s_and_b64 vcc, exec, s[48:49]
	s_cbranch_vccz .LBB215_544
; %bb.541:
	s_cmp_eq_u32 s58, 11
	s_cbranch_scc0 .LBB215_543
; %bb.542:
	global_load_ubyte v3, v[1:2], off
	s_mov_b64 s[0:1], -1
	s_mov_b64 s[56:57], 0
	s_waitcnt vmcnt(0)
	v_cmp_ne_u16_e64 s[52:53], 0, v3
	s_branch .LBB215_544
.LBB215_543:
	s_mov_b64 s[56:57], -1
                                        ; implicit-def: $sgpr52_sgpr53
.LBB215_544:
	s_mov_b64 s[48:49], 0
.LBB215_545:
	s_and_b64 vcc, exec, s[48:49]
	s_cbranch_vccz .LBB215_594
; %bb.546:
	s_and_b32 s14, 0xffff, s14
	s_cmp_lt_i32 s14, 5
	s_cbranch_scc1 .LBB215_551
; %bb.547:
	s_cmp_lt_i32 s14, 8
	s_cbranch_scc1 .LBB215_552
; %bb.548:
	;; [unrolled: 3-line block ×3, first 2 shown]
	s_cmp_gt_i32 s14, 9
	s_cbranch_scc0 .LBB215_554
; %bb.550:
	global_load_dwordx4 v[3:6], v[1:2], off
	s_mov_b64 s[48:49], 0
	s_waitcnt vmcnt(0)
	v_cmp_neq_f64_e32 vcc, 0, v[3:4]
	v_cmp_neq_f64_e64 s[0:1], 0, v[5:6]
	s_or_b64 s[52:53], vcc, s[0:1]
	s_branch .LBB215_555
.LBB215_551:
	s_mov_b64 s[0:1], -1
                                        ; implicit-def: $sgpr52_sgpr53
	s_branch .LBB215_573
.LBB215_552:
	s_mov_b64 s[0:1], -1
                                        ; implicit-def: $sgpr52_sgpr53
	s_branch .LBB215_561
.LBB215_553:
	s_mov_b64 s[0:1], -1
                                        ; implicit-def: $sgpr52_sgpr53
	s_branch .LBB215_558
.LBB215_554:
	s_mov_b64 s[48:49], -1
                                        ; implicit-def: $sgpr52_sgpr53
.LBB215_555:
	s_andn2_b64 vcc, exec, s[48:49]
	s_cbranch_vccnz .LBB215_557
; %bb.556:
	global_load_dwordx2 v[3:4], v[1:2], off
	s_andn2_b64 s[0:1], s[52:53], exec
	s_waitcnt vmcnt(0)
	v_or_b32_e32 v3, v3, v4
	v_and_b32_e32 v3, 0x7fffffff, v3
	v_cmp_ne_u32_e32 vcc, 0, v3
	s_and_b64 s[48:49], vcc, exec
	s_or_b64 s[52:53], s[0:1], s[48:49]
.LBB215_557:
	s_mov_b64 s[0:1], 0
.LBB215_558:
	s_andn2_b64 vcc, exec, s[0:1]
	s_cbranch_vccnz .LBB215_560
; %bb.559:
	global_load_dword v3, v[1:2], off
	s_andn2_b64 s[0:1], s[52:53], exec
	s_waitcnt vmcnt(0)
	v_and_b32_e32 v3, 0x7fff7fff, v3
	v_cmp_ne_u32_e32 vcc, 0, v3
	s_and_b64 s[48:49], vcc, exec
	s_or_b64 s[52:53], s[0:1], s[48:49]
.LBB215_560:
	s_mov_b64 s[0:1], 0
.LBB215_561:
	s_andn2_b64 vcc, exec, s[0:1]
	s_cbranch_vccnz .LBB215_572
; %bb.562:
	s_cmp_lt_i32 s14, 6
	s_cbranch_scc1 .LBB215_565
; %bb.563:
	s_cmp_gt_i32 s14, 6
	s_cbranch_scc0 .LBB215_566
; %bb.564:
	global_load_dwordx2 v[3:4], v[1:2], off
	s_mov_b64 s[0:1], 0
	s_waitcnt vmcnt(0)
	v_cmp_neq_f64_e64 s[52:53], 0, v[3:4]
	s_branch .LBB215_567
.LBB215_565:
	s_mov_b64 s[0:1], -1
                                        ; implicit-def: $sgpr52_sgpr53
	s_branch .LBB215_570
.LBB215_566:
	s_mov_b64 s[0:1], -1
                                        ; implicit-def: $sgpr52_sgpr53
.LBB215_567:
	s_andn2_b64 vcc, exec, s[0:1]
	s_cbranch_vccnz .LBB215_569
; %bb.568:
	global_load_dword v3, v[1:2], off
	s_andn2_b64 s[0:1], s[52:53], exec
	s_waitcnt vmcnt(0)
	v_cmp_neq_f32_e32 vcc, 0, v3
	s_and_b64 s[48:49], vcc, exec
	s_or_b64 s[52:53], s[0:1], s[48:49]
.LBB215_569:
	s_mov_b64 s[0:1], 0
.LBB215_570:
	s_andn2_b64 vcc, exec, s[0:1]
	s_cbranch_vccnz .LBB215_572
; %bb.571:
	global_load_ushort v3, v[1:2], off
	s_andn2_b64 s[0:1], s[52:53], exec
	s_waitcnt vmcnt(0)
	v_and_b32_e32 v3, 0x7fff, v3
	v_cmp_ne_u16_e32 vcc, 0, v3
	s_and_b64 s[48:49], vcc, exec
	s_or_b64 s[52:53], s[0:1], s[48:49]
.LBB215_572:
	s_mov_b64 s[0:1], 0
.LBB215_573:
	s_andn2_b64 vcc, exec, s[0:1]
	s_cbranch_vccnz .LBB215_593
; %bb.574:
	s_cmp_lt_i32 s14, 2
	s_cbranch_scc1 .LBB215_578
; %bb.575:
	s_cmp_lt_i32 s14, 3
	s_cbranch_scc1 .LBB215_579
; %bb.576:
	s_cmp_gt_i32 s14, 3
	s_cbranch_scc0 .LBB215_580
; %bb.577:
	global_load_dwordx2 v[3:4], v[1:2], off
	s_mov_b64 s[0:1], 0
	s_waitcnt vmcnt(0)
	v_cmp_ne_u64_e64 s[52:53], 0, v[3:4]
	s_branch .LBB215_581
.LBB215_578:
	s_mov_b64 s[0:1], -1
                                        ; implicit-def: $sgpr52_sgpr53
	s_branch .LBB215_587
.LBB215_579:
	s_mov_b64 s[0:1], -1
                                        ; implicit-def: $sgpr52_sgpr53
	s_branch .LBB215_584
.LBB215_580:
	s_mov_b64 s[0:1], -1
                                        ; implicit-def: $sgpr52_sgpr53
.LBB215_581:
	s_andn2_b64 vcc, exec, s[0:1]
	s_cbranch_vccnz .LBB215_583
; %bb.582:
	global_load_dword v3, v[1:2], off
	s_andn2_b64 s[0:1], s[52:53], exec
	s_waitcnt vmcnt(0)
	v_cmp_ne_u32_e32 vcc, 0, v3
	s_and_b64 s[48:49], vcc, exec
	s_or_b64 s[52:53], s[0:1], s[48:49]
.LBB215_583:
	s_mov_b64 s[0:1], 0
.LBB215_584:
	s_andn2_b64 vcc, exec, s[0:1]
	s_cbranch_vccnz .LBB215_586
; %bb.585:
	global_load_ushort v3, v[1:2], off
	s_andn2_b64 s[0:1], s[52:53], exec
	s_waitcnt vmcnt(0)
	v_cmp_ne_u16_e32 vcc, 0, v3
	s_and_b64 s[48:49], vcc, exec
	s_or_b64 s[52:53], s[0:1], s[48:49]
.LBB215_586:
	s_mov_b64 s[0:1], 0
.LBB215_587:
	s_andn2_b64 vcc, exec, s[0:1]
	s_cbranch_vccnz .LBB215_593
; %bb.588:
	s_cmp_gt_i32 s14, 0
	s_cbranch_scc0 .LBB215_590
; %bb.589:
	global_load_ubyte v3, v[1:2], off
	s_mov_b64 s[0:1], 0
	s_waitcnt vmcnt(0)
	v_cmp_ne_u16_e64 s[52:53], 0, v3
	s_branch .LBB215_591
.LBB215_590:
	s_mov_b64 s[0:1], -1
                                        ; implicit-def: $sgpr52_sgpr53
.LBB215_591:
	s_andn2_b64 vcc, exec, s[0:1]
	s_cbranch_vccnz .LBB215_593
; %bb.592:
	global_load_ubyte v1, v[1:2], off
	s_andn2_b64 s[0:1], s[52:53], exec
	s_waitcnt vmcnt(0)
	v_cmp_ne_u16_e32 vcc, 0, v1
	s_and_b64 s[48:49], vcc, exec
	s_or_b64 s[52:53], s[0:1], s[48:49]
.LBB215_593:
	s_mov_b64 s[0:1], -1
.LBB215_594:
	s_mov_b64 s[48:49], 0
	s_andn2_b64 vcc, exec, s[0:1]
	s_mov_b64 s[0:1], s[40:41]
	s_mov_b64 s[58:59], 0
	s_cbranch_vccnz .LBB215_717
; %bb.595:
	s_xor_b64 s[0:1], s[50:51], s[52:53]
	s_xor_b64 s[50:51], s[28:29], s[0:1]
	v_mov_b32_e32 v1, s9
	s_and_b32 s14, s15, 0xff
	v_add_co_u32_e32 v0, vcc, s8, v0
	s_cmp_lt_i32 s14, 11
	v_addc_co_u32_e32 v1, vcc, 0, v1, vcc
	s_cbranch_scc1 .LBB215_602
; %bb.596:
	s_and_b32 s60, 0xffff, s14
	s_cmp_gt_i32 s60, 25
	s_cbranch_scc0 .LBB215_603
; %bb.597:
	s_cmp_gt_i32 s60, 28
	s_cbranch_scc0 .LBB215_604
; %bb.598:
	;; [unrolled: 3-line block ×4, first 2 shown]
	s_mov_b64 s[56:57], 0
	s_mov_b64 s[0:1], -1
	s_cmp_eq_u32 s60, 46
	s_mov_b64 s[52:53], 0
	s_cbranch_scc0 .LBB215_607
; %bb.601:
	v_cndmask_b32_e64 v2, 0, 1.0, s[50:51]
	v_bfe_u32 v3, v2, 16, 1
	s_movk_i32 s0, 0x7fff
	v_add3_u32 v2, v2, v3, s0
	v_lshrrev_b32_e32 v2, 16, v2
	global_store_dword v[0:1], v2, off
	s_mov_b64 s[52:53], -1
	s_mov_b64 s[0:1], 0
	s_branch .LBB215_607
.LBB215_602:
	s_mov_b64 s[56:57], -1
	s_mov_b64 s[52:53], 0
	s_mov_b64 s[0:1], s[40:41]
	s_branch .LBB215_676
.LBB215_603:
	s_mov_b64 s[56:57], -1
	s_mov_b64 s[52:53], 0
	s_mov_b64 s[0:1], s[40:41]
	s_branch .LBB215_634
.LBB215_604:
	s_mov_b64 s[56:57], -1
	s_mov_b64 s[52:53], 0
	s_mov_b64 s[0:1], s[40:41]
	s_branch .LBB215_617
.LBB215_605:
	s_mov_b64 s[56:57], -1
	s_mov_b64 s[52:53], 0
	s_mov_b64 s[0:1], s[40:41]
	s_branch .LBB215_613
.LBB215_606:
	s_mov_b64 s[56:57], -1
	s_mov_b64 s[52:53], 0
	s_mov_b64 s[0:1], s[40:41]
.LBB215_607:
	s_and_b64 vcc, exec, s[56:57]
	s_cbranch_vccz .LBB215_612
; %bb.608:
	s_cmp_eq_u32 s60, 44
	s_mov_b64 s[0:1], -1
	s_cbranch_scc0 .LBB215_612
; %bb.609:
	v_cndmask_b32_e64 v3, 0, 1.0, s[50:51]
	v_lshrrev_b32_e32 v2, 23, v3
	s_movk_i32 s0, 0xff
	v_cmp_ne_u32_e32 vcc, s0, v2
	v_mov_b32_e32 v4, 0xff
	s_and_saveexec_b64 s[52:53], vcc
; %bb.610:
	s_mov_b32 s0, 0x3fffff
	v_and_b32_e32 v4, 0x400000, v3
	v_and_or_b32 v3, v3, s0, v2
	v_cmp_ne_u32_e32 vcc, 0, v4
	v_cmp_ne_u32_e64 s[0:1], 0, v3
	s_and_b64 s[0:1], vcc, s[0:1]
	v_cndmask_b32_e64 v3, 0, 1, s[0:1]
	v_add_u32_e32 v4, v2, v3
; %bb.611:
	s_or_b64 exec, exec, s[52:53]
	s_mov_b64 s[52:53], -1
	s_mov_b64 s[0:1], 0
	global_store_byte v[0:1], v4, off
.LBB215_612:
	s_mov_b64 s[56:57], 0
.LBB215_613:
	s_and_b64 vcc, exec, s[56:57]
	s_cbranch_vccz .LBB215_616
; %bb.614:
	s_cmp_eq_u32 s60, 29
	s_mov_b64 s[0:1], -1
	s_cbranch_scc0 .LBB215_616
; %bb.615:
	s_mov_b32 s0, 0
	v_cndmask_b32_e64 v2, 0, 1, s[50:51]
	v_mov_b32_e32 v3, s0
	global_store_dwordx2 v[0:1], v[2:3], off
	s_mov_b64 s[52:53], -1
	s_mov_b64 s[0:1], 0
.LBB215_616:
	s_mov_b64 s[56:57], 0
.LBB215_617:
	s_and_b64 vcc, exec, s[56:57]
	s_cbranch_vccz .LBB215_633
; %bb.618:
	s_cmp_lt_i32 s60, 27
	s_mov_b64 s[52:53], -1
	s_cbranch_scc1 .LBB215_624
; %bb.619:
	s_cmp_gt_i32 s60, 27
	s_cbranch_scc0 .LBB215_621
; %bb.620:
	v_cndmask_b32_e64 v2, 0, 1, s[50:51]
	s_mov_b64 s[52:53], 0
	global_store_dword v[0:1], v2, off
.LBB215_621:
	s_andn2_b64 vcc, exec, s[52:53]
	s_cbranch_vccnz .LBB215_623
; %bb.622:
	v_cndmask_b32_e64 v2, 0, 1, s[50:51]
	global_store_short v[0:1], v2, off
.LBB215_623:
	s_mov_b64 s[52:53], 0
.LBB215_624:
	s_andn2_b64 vcc, exec, s[52:53]
	s_cbranch_vccnz .LBB215_632
; %bb.625:
	v_cndmask_b32_e64 v3, 0, 1.0, s[50:51]
	s_mov_b32 s52, 0x43800000
	v_cmp_gt_u32_e32 vcc, s52, v3
	v_mov_b32_e32 v4, 0x80
	s_and_saveexec_b64 s[52:53], vcc
	s_cbranch_execz .LBB215_631
; %bb.626:
	s_mov_b32 s56, 0x3bffffff
	v_cmp_lt_u32_e32 vcc, s56, v3
	s_mov_b64 s[56:57], 0
                                        ; implicit-def: $vgpr2
	s_and_saveexec_b64 s[58:59], vcc
	s_xor_b64 s[58:59], exec, s[58:59]
	s_cbranch_execz .LBB215_744
; %bb.627:
	v_bfe_u32 v2, v3, 20, 1
	s_mov_b32 s61, 0x487ffff
	v_add3_u32 v2, v3, v2, s61
	s_mov_b64 s[56:57], exec
	v_lshrrev_b32_e32 v2, 20, v2
                                        ; implicit-def: $vgpr3
	s_andn2_saveexec_b64 s[58:59], s[58:59]
	s_cbranch_execnz .LBB215_745
.LBB215_628:
	s_or_b64 exec, exec, s[58:59]
	v_mov_b32_e32 v4, 0
	s_and_saveexec_b64 s[58:59], s[56:57]
.LBB215_629:
	v_mov_b32_e32 v4, v2
.LBB215_630:
	s_or_b64 exec, exec, s[58:59]
.LBB215_631:
	s_or_b64 exec, exec, s[52:53]
	global_store_byte v[0:1], v4, off
.LBB215_632:
	s_mov_b64 s[52:53], -1
.LBB215_633:
	s_mov_b64 s[56:57], 0
.LBB215_634:
	s_and_b64 vcc, exec, s[56:57]
	s_cbranch_vccz .LBB215_675
; %bb.635:
	s_cmp_gt_i32 s60, 22
	s_mov_b64 s[56:57], -1
	s_cbranch_scc0 .LBB215_667
; %bb.636:
	s_cmp_lt_i32 s60, 24
	s_mov_b64 s[52:53], -1
	s_cbranch_scc1 .LBB215_656
; %bb.637:
	s_cmp_gt_i32 s60, 24
	s_cbranch_scc0 .LBB215_645
; %bb.638:
	v_cndmask_b32_e64 v3, 0, 1.0, s[50:51]
	s_mov_b32 s52, 0x47800000
	v_cmp_gt_u32_e32 vcc, s52, v3
	v_mov_b32_e32 v4, 0x80
	s_and_saveexec_b64 s[52:53], vcc
	s_cbranch_execz .LBB215_644
; %bb.639:
	s_mov_b32 s56, 0x37ffffff
	v_cmp_lt_u32_e32 vcc, s56, v3
	s_mov_b64 s[56:57], 0
                                        ; implicit-def: $vgpr2
	s_and_saveexec_b64 s[58:59], vcc
	s_xor_b64 s[58:59], exec, s[58:59]
	s_cbranch_execz .LBB215_857
; %bb.640:
	v_bfe_u32 v2, v3, 21, 1
	s_mov_b32 s61, 0x88fffff
	v_add3_u32 v2, v3, v2, s61
	s_mov_b64 s[56:57], exec
	v_lshrrev_b32_e32 v2, 21, v2
                                        ; implicit-def: $vgpr3
	s_andn2_saveexec_b64 s[58:59], s[58:59]
	s_cbranch_execnz .LBB215_858
.LBB215_641:
	s_or_b64 exec, exec, s[58:59]
	v_mov_b32_e32 v4, 0
	s_and_saveexec_b64 s[58:59], s[56:57]
.LBB215_642:
	v_mov_b32_e32 v4, v2
.LBB215_643:
	s_or_b64 exec, exec, s[58:59]
.LBB215_644:
	s_or_b64 exec, exec, s[52:53]
	s_mov_b64 s[52:53], 0
	global_store_byte v[0:1], v4, off
.LBB215_645:
	s_and_b64 vcc, exec, s[52:53]
	s_cbranch_vccz .LBB215_655
; %bb.646:
	v_cndmask_b32_e64 v2, 0, 1.0, s[50:51]
	s_mov_b32 s52, 0x43f00000
	v_cmp_gt_u32_e32 vcc, s52, v2
                                        ; implicit-def: $vgpr3
	s_and_saveexec_b64 s[52:53], vcc
	s_xor_b64 s[52:53], exec, s[52:53]
	s_cbranch_execz .LBB215_652
; %bb.647:
	s_mov_b32 s56, 0x3c7fffff
	v_cmp_lt_u32_e32 vcc, s56, v2
                                        ; implicit-def: $vgpr3
	s_and_saveexec_b64 s[56:57], vcc
	s_xor_b64 s[56:57], exec, s[56:57]
; %bb.648:
	v_bfe_u32 v3, v2, 20, 1
	s_mov_b32 s58, 0x407ffff
	v_add3_u32 v2, v2, v3, s58
	v_lshrrev_b32_e32 v3, 20, v2
	v_and_b32_e32 v2, 0xff00000, v2
	s_mov_b32 s58, 0x7f00000
	v_mov_b32_e32 v4, 0x7e
	v_cmp_ne_u32_e32 vcc, s58, v2
	v_cndmask_b32_e32 v3, v4, v3, vcc
                                        ; implicit-def: $vgpr2
; %bb.649:
	s_andn2_saveexec_b64 s[56:57], s[56:57]
; %bb.650:
	v_add_f32_e32 v3, 0x46800000, v2
; %bb.651:
	s_or_b64 exec, exec, s[56:57]
                                        ; implicit-def: $vgpr2
.LBB215_652:
	s_andn2_saveexec_b64 s[52:53], s[52:53]
; %bb.653:
	s_mov_b32 s56, 0x7f800000
	v_mov_b32_e32 v3, 0x7e
	v_mov_b32_e32 v4, 0x7f
	v_cmp_lt_u32_e32 vcc, s56, v2
	v_cndmask_b32_e32 v3, v3, v4, vcc
; %bb.654:
	s_or_b64 exec, exec, s[52:53]
	global_store_byte v[0:1], v3, off
.LBB215_655:
	s_mov_b64 s[52:53], 0
.LBB215_656:
	s_andn2_b64 vcc, exec, s[52:53]
	s_cbranch_vccnz .LBB215_666
; %bb.657:
	v_cndmask_b32_e64 v2, 0, 1.0, s[50:51]
	s_mov_b32 s52, 0x47800000
	v_cmp_gt_u32_e32 vcc, s52, v2
                                        ; implicit-def: $vgpr3
	s_and_saveexec_b64 s[52:53], vcc
	s_xor_b64 s[52:53], exec, s[52:53]
	s_cbranch_execz .LBB215_663
; %bb.658:
	s_mov_b32 s56, 0x387fffff
	v_cmp_lt_u32_e32 vcc, s56, v2
                                        ; implicit-def: $vgpr3
	s_and_saveexec_b64 s[56:57], vcc
	s_xor_b64 s[56:57], exec, s[56:57]
; %bb.659:
	v_bfe_u32 v3, v2, 21, 1
	s_mov_b32 s58, 0x80fffff
	v_add3_u32 v2, v2, v3, s58
	v_lshrrev_b32_e32 v3, 21, v2
                                        ; implicit-def: $vgpr2
; %bb.660:
	s_andn2_saveexec_b64 s[56:57], s[56:57]
; %bb.661:
	v_add_f32_e32 v3, 0x43000000, v2
; %bb.662:
	s_or_b64 exec, exec, s[56:57]
                                        ; implicit-def: $vgpr2
.LBB215_663:
	s_andn2_saveexec_b64 s[52:53], s[52:53]
; %bb.664:
	s_mov_b32 s56, 0x7f800000
	v_mov_b32_e32 v3, 0x7c
	v_mov_b32_e32 v4, 0x7f
	v_cmp_lt_u32_e32 vcc, s56, v2
	v_cndmask_b32_e32 v3, v3, v4, vcc
; %bb.665:
	s_or_b64 exec, exec, s[52:53]
	global_store_byte v[0:1], v3, off
.LBB215_666:
	s_mov_b64 s[56:57], 0
	s_mov_b64 s[52:53], -1
.LBB215_667:
	s_andn2_b64 vcc, exec, s[56:57]
	s_cbranch_vccnz .LBB215_675
; %bb.668:
	s_cmp_gt_i32 s60, 14
	s_mov_b64 s[56:57], -1
	s_cbranch_scc0 .LBB215_672
; %bb.669:
	s_cmp_eq_u32 s60, 15
	s_mov_b64 s[0:1], -1
	s_cbranch_scc0 .LBB215_671
; %bb.670:
	v_cndmask_b32_e64 v2, 0, 1.0, s[50:51]
	v_bfe_u32 v3, v2, 16, 1
	s_movk_i32 s0, 0x7fff
	v_add3_u32 v2, v2, v3, s0
	global_store_short_d16_hi v[0:1], v2, off
	s_mov_b64 s[52:53], -1
	s_mov_b64 s[0:1], 0
.LBB215_671:
	s_mov_b64 s[56:57], 0
.LBB215_672:
	s_and_b64 vcc, exec, s[56:57]
	s_cbranch_vccz .LBB215_675
; %bb.673:
	s_cmp_eq_u32 s60, 11
	s_mov_b64 s[0:1], -1
	s_cbranch_scc0 .LBB215_675
; %bb.674:
	v_cndmask_b32_e64 v2, 0, 1, s[50:51]
	s_mov_b64 s[52:53], -1
	s_mov_b64 s[0:1], 0
	global_store_byte v[0:1], v2, off
.LBB215_675:
	s_mov_b64 s[56:57], 0
.LBB215_676:
	s_and_b64 vcc, exec, s[56:57]
	s_cbranch_vccz .LBB215_715
; %bb.677:
	s_and_b32 s14, 0xffff, s14
	s_cmp_lt_i32 s14, 5
	s_mov_b64 s[52:53], -1
	s_cbranch_scc1 .LBB215_698
; %bb.678:
	s_cmp_lt_i32 s14, 8
	s_cbranch_scc1 .LBB215_688
; %bb.679:
	s_cmp_lt_i32 s14, 9
	s_cbranch_scc1 .LBB215_685
; %bb.680:
	s_cmp_gt_i32 s14, 9
	s_cbranch_scc0 .LBB215_682
; %bb.681:
	v_cndmask_b32_e64 v2, 0, 1, s[50:51]
	v_cvt_f64_u32_e32 v[2:3], v2
	v_mov_b32_e32 v4, 0
	v_mov_b32_e32 v5, v4
	s_mov_b64 s[52:53], 0
	global_store_dwordx4 v[0:1], v[2:5], off
.LBB215_682:
	s_andn2_b64 vcc, exec, s[52:53]
	s_cbranch_vccnz .LBB215_684
; %bb.683:
	v_cndmask_b32_e64 v2, 0, 1.0, s[50:51]
	v_mov_b32_e32 v3, 0
	global_store_dwordx2 v[0:1], v[2:3], off
.LBB215_684:
	s_mov_b64 s[52:53], 0
.LBB215_685:
	s_andn2_b64 vcc, exec, s[52:53]
	s_cbranch_vccnz .LBB215_687
; %bb.686:
	v_cndmask_b32_e64 v2, 0, 1.0, s[50:51]
	v_cvt_f16_f32_e32 v2, v2
	global_store_dword v[0:1], v2, off
.LBB215_687:
	s_mov_b64 s[52:53], 0
.LBB215_688:
	s_andn2_b64 vcc, exec, s[52:53]
	s_cbranch_vccnz .LBB215_697
; %bb.689:
	s_cmp_lt_i32 s14, 6
	s_mov_b64 s[52:53], -1
	s_cbranch_scc1 .LBB215_695
; %bb.690:
	s_cmp_gt_i32 s14, 6
	s_cbranch_scc0 .LBB215_692
; %bb.691:
	v_cndmask_b32_e64 v2, 0, 1, s[50:51]
	v_cvt_f64_u32_e32 v[2:3], v2
	s_mov_b64 s[52:53], 0
	global_store_dwordx2 v[0:1], v[2:3], off
.LBB215_692:
	s_andn2_b64 vcc, exec, s[52:53]
	s_cbranch_vccnz .LBB215_694
; %bb.693:
	v_cndmask_b32_e64 v2, 0, 1.0, s[50:51]
	global_store_dword v[0:1], v2, off
.LBB215_694:
	s_mov_b64 s[52:53], 0
.LBB215_695:
	s_andn2_b64 vcc, exec, s[52:53]
	s_cbranch_vccnz .LBB215_697
; %bb.696:
	v_cndmask_b32_e64 v2, 0, 1.0, s[50:51]
	v_cvt_f16_f32_e32 v2, v2
	global_store_short v[0:1], v2, off
.LBB215_697:
	s_mov_b64 s[52:53], 0
.LBB215_698:
	s_andn2_b64 vcc, exec, s[52:53]
	s_cbranch_vccnz .LBB215_714
; %bb.699:
	s_cmp_lt_i32 s14, 2
	s_mov_b64 s[52:53], -1
	s_cbranch_scc1 .LBB215_709
; %bb.700:
	s_cmp_lt_i32 s14, 3
	s_cbranch_scc1 .LBB215_706
; %bb.701:
	s_cmp_gt_i32 s14, 3
	s_cbranch_scc0 .LBB215_703
; %bb.702:
	s_mov_b32 s52, 0
	v_cndmask_b32_e64 v2, 0, 1, s[50:51]
	v_mov_b32_e32 v3, s52
	s_mov_b64 s[52:53], 0
	global_store_dwordx2 v[0:1], v[2:3], off
.LBB215_703:
	s_andn2_b64 vcc, exec, s[52:53]
	s_cbranch_vccnz .LBB215_705
; %bb.704:
	v_cndmask_b32_e64 v2, 0, 1, s[50:51]
	global_store_dword v[0:1], v2, off
.LBB215_705:
	s_mov_b64 s[52:53], 0
.LBB215_706:
	s_andn2_b64 vcc, exec, s[52:53]
	s_cbranch_vccnz .LBB215_708
; %bb.707:
	v_cndmask_b32_e64 v2, 0, 1, s[50:51]
	global_store_short v[0:1], v2, off
.LBB215_708:
	s_mov_b64 s[52:53], 0
.LBB215_709:
	s_andn2_b64 vcc, exec, s[52:53]
	s_cbranch_vccnz .LBB215_714
; %bb.710:
	s_mov_b64 s[52:53], -1
	s_cmp_gt_i32 s14, 0
	v_cndmask_b32_e64 v2, 0, 1, s[50:51]
	s_cbranch_scc0 .LBB215_712
; %bb.711:
	s_mov_b64 s[52:53], 0
	global_store_byte v[0:1], v2, off
.LBB215_712:
	s_andn2_b64 vcc, exec, s[52:53]
	s_cbranch_vccnz .LBB215_714
; %bb.713:
	global_store_byte v[0:1], v2, off
.LBB215_714:
	s_mov_b64 s[52:53], -1
.LBB215_715:
	s_mov_b64 s[56:57], 0
	s_andn2_b64 vcc, exec, s[52:53]
	s_mov_b64 s[58:59], 0
	s_cbranch_vccnz .LBB215_717
; %bb.716:
	v_add_u32_e32 v8, 0x80, v8
	s_mov_b64 s[58:59], -1
.LBB215_717:
	s_andn2_b64 s[50:51], s[40:41], exec
	s_and_b64 s[0:1], s[0:1], exec
	s_or_b64 s[52:53], s[50:51], s[0:1]
	s_andn2_b64 s[0:1], s[42:43], exec
	s_and_b64 s[50:51], s[56:57], exec
	s_or_b64 s[50:51], s[0:1], s[50:51]
	;; [unrolled: 3-line block ×3, first 2 shown]
	s_orn2_b64 s[0:1], s[58:59], exec
.LBB215_718:
	s_or_b64 exec, exec, s[54:55]
	s_mov_b64 s[58:59], 0
	s_mov_b64 s[60:61], 0
	;; [unrolled: 1-line block ×3, first 2 shown]
                                        ; implicit-def: $sgpr56_sgpr57
                                        ; implicit-def: $sgpr14
                                        ; implicit-def: $vgpr3_vgpr4
                                        ; implicit-def: $vgpr0
                                        ; implicit-def: $vgpr2
	s_and_saveexec_b64 s[54:55], s[0:1]
	s_cbranch_execz .LBB215_1157
; %bb.719:
	v_cmp_gt_i32_e32 vcc, s72, v8
	s_mov_b64 s[70:71], -1
	s_mov_b64 s[0:1], s[48:49]
	s_mov_b64 s[60:61], s[50:51]
	s_mov_b64 s[62:63], s[52:53]
	s_and_saveexec_b64 s[56:57], vcc
	s_cbranch_execz .LBB215_1080
; %bb.720:
	s_andn2_b64 vcc, exec, s[24:25]
	s_cbranch_vccnz .LBB215_726
; %bb.721:
	s_andn2_b64 vcc, exec, s[38:39]
	s_cbranch_vccnz .LBB215_727
; %bb.722:
	s_add_i32 s0, s77, 1
	s_and_b32 s14, s0, 30
	s_add_u32 s0, s2, 0xffffffe8
	s_addc_u32 s1, s3, -1
	v_mov_b32_e32 v2, 0
	v_mov_b32_e32 v4, 0
	v_mov_b32_e32 v0, 0
	v_mov_b32_e32 v1, v8
.LBB215_723:                            ; =>This Inner Loop Header: Depth=1
	s_load_dwordx4 s[60:63], s[0:1], 0x1c
	s_load_dwordx2 s[58:59], s[0:1], 0x2c
	s_load_dwordx2 s[68:69], s[0:1], 0xec
	s_load_dwordx4 s[64:67], s[0:1], 0xdc
	s_add_u32 s0, s0, 24
	s_waitcnt lgkmcnt(0)
	v_mul_hi_u32 v3, s61, v1
	s_addc_u32 s1, s1, 0
	s_add_i32 s14, s14, -2
	s_cmp_eq_u32 s14, 0
	v_add_u32_e32 v3, v1, v3
	v_lshrrev_b32_e32 v3, s62, v3
	v_mul_lo_u32 v5, v3, s60
	v_mul_hi_u32 v6, s58, v3
	v_sub_u32_e32 v5, v1, v5
	v_add_u32_e32 v1, v3, v6
	v_lshrrev_b32_e32 v1, s59, v1
	v_mul_lo_u32 v9, v1, s63
	v_mul_lo_u32 v6, v5, s64
	;; [unrolled: 1-line block ×4, first 2 shown]
	v_sub_u32_e32 v3, v3, v9
	v_mul_lo_u32 v9, v3, s67
	v_mul_lo_u32 v10, v3, s68
	;; [unrolled: 1-line block ×3, first 2 shown]
	v_add3_u32 v0, v6, v0, v9
	v_add3_u32 v4, v7, v4, v10
	;; [unrolled: 1-line block ×3, first 2 shown]
	s_cbranch_scc0 .LBB215_723
; %bb.724:
	s_bitcmp1_b32 s77, 0
	s_cselect_b64 s[58:59], -1, 0
	s_and_b64 vcc, exec, s[58:59]
	s_cbranch_vccnz .LBB215_728
; %bb.725:
	s_load_dwordx2 s[58:59], s[0:1], 0x1c
	s_load_dword s14, s[0:1], 0x24
	s_load_dwordx2 s[60:61], s[0:1], 0xdc
	s_waitcnt lgkmcnt(0)
	v_mul_hi_u32 v3, s59, v1
	v_add_u32_e32 v3, v1, v3
	v_lshrrev_b32_e32 v3, s14, v3
	v_mul_lo_u32 v3, v3, s58
	s_load_dword s14, s[0:1], 0xe4
	v_sub_u32_e32 v3, v1, v3
	v_mad_u64_u32 v[0:1], s[0:1], v3, s60, v[0:1]
	v_mad_u64_u32 v[4:5], s[0:1], v3, s61, v[4:5]
	s_waitcnt lgkmcnt(0)
	v_mad_u64_u32 v[2:3], s[0:1], v3, s14, v[2:3]
	s_branch .LBB215_728
.LBB215_726:
	s_mov_b64 s[0:1], -1
                                        ; implicit-def: $vgpr0
                                        ; implicit-def: $vgpr4
                                        ; implicit-def: $vgpr2
	s_branch .LBB215_729
.LBB215_727:
	v_mov_b32_e32 v0, 0
	v_mov_b32_e32 v4, 0
	;; [unrolled: 1-line block ×3, first 2 shown]
.LBB215_728:
	s_mov_b64 s[0:1], 0
.LBB215_729:
	s_andn2_b64 vcc, exec, s[0:1]
	s_cbranch_vccnz .LBB215_732
; %bb.730:
	v_mul_hi_u32 v0, s17, v8
	s_andn2_b64 vcc, exec, s[36:37]
	v_add_u32_e32 v0, v8, v0
	v_lshrrev_b32_e32 v1, s18, v0
	v_mul_lo_u32 v0, v1, s16
	v_sub_u32_e32 v2, v8, v0
	v_mul_lo_u32 v0, v2, s20
	v_mul_lo_u32 v4, v2, s21
	;; [unrolled: 1-line block ×3, first 2 shown]
	s_cbranch_vccnz .LBB215_732
; %bb.731:
	v_mul_hi_u32 v3, s34, v1
	v_add_u32_e32 v3, v1, v3
	v_lshrrev_b32_e32 v3, s35, v3
	v_mul_lo_u32 v3, v3, s19
	v_sub_u32_e32 v3, v1, v3
	v_mad_u64_u32 v[0:1], s[0:1], v3, s23, v[0:1]
	v_mad_u64_u32 v[4:5], s[0:1], v3, s30, v[4:5]
	;; [unrolled: 1-line block ×3, first 2 shown]
.LBB215_732:
	v_mov_b32_e32 v1, s11
	s_and_b32 s14, s76, 0xff
	v_add_co_u32_e32 v3, vcc, s10, v4
	s_cmp_lt_i32 s14, 11
	v_addc_co_u32_e32 v4, vcc, 0, v1, vcc
	s_cbranch_scc1 .LBB215_739
; %bb.733:
	s_and_b32 s64, 0xffff, s14
	s_cmp_gt_i32 s64, 25
	s_cbranch_scc0 .LBB215_740
; %bb.734:
	s_cmp_gt_i32 s64, 28
	s_cbranch_scc0 .LBB215_741
; %bb.735:
	s_cmp_gt_i32 s64, 43
	s_cbranch_scc0 .LBB215_742
; %bb.736:
	s_cmp_gt_i32 s64, 45
	s_cbranch_scc0 .LBB215_743
; %bb.737:
	s_cmp_eq_u32 s64, 46
	s_mov_b64 s[62:63], 0
	s_cbranch_scc0 .LBB215_746
; %bb.738:
	global_load_dword v1, v[3:4], off
	s_mov_b64 s[0:1], -1
	s_mov_b64 s[58:59], 0
	s_waitcnt vmcnt(0)
	v_and_b32_e32 v1, 0x7fff7fff, v1
	v_cmp_ne_u32_e64 s[60:61], 0, v1
	s_branch .LBB215_747
.LBB215_739:
	s_mov_b64 s[62:63], -1
	s_mov_b64 s[0:1], 0
                                        ; implicit-def: $sgpr60_sgpr61
	s_mov_b64 s[58:59], s[48:49]
	s_branch .LBB215_794
.LBB215_740:
	s_mov_b64 s[62:63], -1
	s_mov_b64 s[0:1], 0
	s_mov_b64 s[58:59], s[48:49]
                                        ; implicit-def: $sgpr60_sgpr61
	s_branch .LBB215_768
.LBB215_741:
	s_mov_b64 s[62:63], -1
	s_mov_b64 s[0:1], 0
	s_mov_b64 s[58:59], s[48:49]
                                        ; implicit-def: $sgpr60_sgpr61
	s_branch .LBB215_755
.LBB215_742:
	s_mov_b64 s[62:63], -1
	s_mov_b64 s[0:1], 0
	s_mov_b64 s[58:59], s[48:49]
                                        ; implicit-def: $sgpr60_sgpr61
	s_branch .LBB215_750
.LBB215_743:
	s_mov_b64 s[62:63], -1
	s_mov_b64 s[0:1], 0
	s_mov_b64 s[58:59], s[48:49]
                                        ; implicit-def: $sgpr60_sgpr61
	s_branch .LBB215_747
.LBB215_744:
	s_andn2_saveexec_b64 s[58:59], s[58:59]
	s_cbranch_execz .LBB215_628
.LBB215_745:
	v_add_f32_e32 v2, 0x46000000, v3
	v_and_b32_e32 v2, 0xff, v2
	v_cmp_ne_u32_e32 vcc, 0, v2
	s_andn2_b64 s[56:57], s[56:57], exec
	s_and_b64 s[62:63], vcc, exec
	s_or_b64 s[56:57], s[56:57], s[62:63]
	s_or_b64 exec, exec, s[58:59]
	v_mov_b32_e32 v4, 0
	s_and_saveexec_b64 s[58:59], s[56:57]
	s_cbranch_execnz .LBB215_629
	s_branch .LBB215_630
.LBB215_746:
	s_mov_b64 s[58:59], -1
                                        ; implicit-def: $sgpr60_sgpr61
	s_mov_b64 s[0:1], 0
.LBB215_747:
	s_and_b64 vcc, exec, s[62:63]
	s_cbranch_vccz .LBB215_749
; %bb.748:
	s_cmp_eq_u32 s64, 44
	s_cselect_b64 s[0:1], -1, 0
	s_or_b64 s[60:61], s[60:61], exec
	s_or_b64 s[58:59], s[58:59], exec
.LBB215_749:
	s_mov_b64 s[62:63], 0
.LBB215_750:
	s_and_b64 vcc, exec, s[62:63]
	s_cbranch_vccz .LBB215_754
; %bb.751:
	s_cmp_eq_u32 s64, 29
	s_cbranch_scc0 .LBB215_753
; %bb.752:
	global_load_dwordx2 v[5:6], v[3:4], off
	s_mov_b64 s[58:59], 0
	s_mov_b64 s[0:1], -1
	s_mov_b64 s[62:63], 0
	s_waitcnt vmcnt(0)
	v_cmp_ne_u64_e64 s[60:61], 0, v[5:6]
	s_branch .LBB215_755
.LBB215_753:
	s_mov_b64 s[58:59], -1
                                        ; implicit-def: $sgpr60_sgpr61
.LBB215_754:
	s_mov_b64 s[62:63], 0
.LBB215_755:
	s_and_b64 vcc, exec, s[62:63]
	s_cbranch_vccz .LBB215_767
; %bb.756:
	s_cmp_lt_i32 s64, 27
	s_cbranch_scc1 .LBB215_759
; %bb.757:
	s_cmp_gt_i32 s64, 27
	s_cbranch_scc0 .LBB215_760
; %bb.758:
	global_load_dword v1, v[3:4], off
	s_mov_b64 s[0:1], 0
	s_waitcnt vmcnt(0)
	v_cmp_ne_u32_e64 s[60:61], 0, v1
	s_branch .LBB215_761
.LBB215_759:
	s_mov_b64 s[0:1], -1
                                        ; implicit-def: $sgpr60_sgpr61
	s_branch .LBB215_764
.LBB215_760:
	s_mov_b64 s[0:1], -1
                                        ; implicit-def: $sgpr60_sgpr61
.LBB215_761:
	s_andn2_b64 vcc, exec, s[0:1]
	s_cbranch_vccnz .LBB215_763
; %bb.762:
	global_load_ushort v1, v[3:4], off
	s_andn2_b64 s[0:1], s[60:61], exec
	s_waitcnt vmcnt(0)
	v_cmp_ne_u16_e32 vcc, 0, v1
	s_and_b64 s[60:61], vcc, exec
	s_or_b64 s[60:61], s[0:1], s[60:61]
.LBB215_763:
	s_mov_b64 s[0:1], 0
.LBB215_764:
	s_andn2_b64 vcc, exec, s[0:1]
	s_cbranch_vccnz .LBB215_766
; %bb.765:
	global_load_ubyte v1, v[3:4], off
	s_andn2_b64 s[0:1], s[60:61], exec
	s_waitcnt vmcnt(0)
	v_cmp_ne_u16_e32 vcc, 0, v1
	s_and_b64 s[60:61], vcc, exec
	s_or_b64 s[60:61], s[0:1], s[60:61]
.LBB215_766:
	s_mov_b64 s[0:1], -1
.LBB215_767:
	s_mov_b64 s[62:63], 0
.LBB215_768:
	s_and_b64 vcc, exec, s[62:63]
	s_cbranch_vccz .LBB215_793
; %bb.769:
	s_cmp_gt_i32 s64, 22
	s_cbranch_scc0 .LBB215_773
; %bb.770:
	s_cmp_lt_i32 s64, 24
	s_cbranch_scc1 .LBB215_774
; %bb.771:
	s_cmp_gt_i32 s64, 24
	s_cbranch_scc0 .LBB215_775
; %bb.772:
	global_load_ubyte v1, v[3:4], off
	s_mov_b64 s[0:1], 0
	s_waitcnt vmcnt(0)
	v_cmp_ne_u16_e64 s[60:61], 0, v1
	s_branch .LBB215_776
.LBB215_773:
	s_mov_b64 s[62:63], -1
                                        ; implicit-def: $sgpr60_sgpr61
	s_branch .LBB215_782
.LBB215_774:
	s_mov_b64 s[0:1], -1
                                        ; implicit-def: $sgpr60_sgpr61
	s_branch .LBB215_779
.LBB215_775:
	s_mov_b64 s[0:1], -1
                                        ; implicit-def: $sgpr60_sgpr61
.LBB215_776:
	s_andn2_b64 vcc, exec, s[0:1]
	s_cbranch_vccnz .LBB215_778
; %bb.777:
	global_load_ubyte v1, v[3:4], off
	s_andn2_b64 s[0:1], s[60:61], exec
	s_waitcnt vmcnt(0)
	v_and_b32_e32 v1, 0x7f, v1
	v_cmp_ne_u16_e32 vcc, 0, v1
	s_and_b64 s[60:61], vcc, exec
	s_or_b64 s[60:61], s[0:1], s[60:61]
.LBB215_778:
	s_mov_b64 s[0:1], 0
.LBB215_779:
	s_andn2_b64 vcc, exec, s[0:1]
	s_cbranch_vccnz .LBB215_781
; %bb.780:
	global_load_ubyte v1, v[3:4], off
	s_movk_i32 s0, 0x7f00
	s_brev_b32 s1, 16
	s_waitcnt vmcnt(0)
	v_lshlrev_b32_e32 v5, 8, v1
	v_lshlrev_b32_e32 v1, 25, v1
	v_lshrrev_b32_e32 v6, 4, v1
	v_and_or_b32 v5, v5, s0, 0.5
	v_or_b32_e32 v6, 0x70000000, v6
	v_add_f32_e32 v5, -0.5, v5
	v_mul_f32_e32 v6, 0x7800000, v6
	v_cmp_gt_u32_e32 vcc, s1, v1
	v_cndmask_b32_e32 v1, v6, v5, vcc
	v_cmp_neq_f32_e32 vcc, 0, v1
	s_andn2_b64 s[0:1], s[60:61], exec
	s_and_b64 s[60:61], vcc, exec
	s_or_b64 s[60:61], s[0:1], s[60:61]
.LBB215_781:
	s_mov_b64 s[62:63], 0
	s_mov_b64 s[0:1], -1
.LBB215_782:
	s_andn2_b64 vcc, exec, s[62:63]
	s_cbranch_vccnz .LBB215_793
; %bb.783:
	s_cmp_gt_i32 s64, 14
	s_cbranch_scc0 .LBB215_786
; %bb.784:
	s_cmp_eq_u32 s64, 15
	s_cbranch_scc0 .LBB215_787
; %bb.785:
	global_load_ushort v1, v[3:4], off
	s_mov_b64 s[0:1], -1
	s_mov_b64 s[58:59], 0
	s_waitcnt vmcnt(0)
	v_and_b32_e32 v1, 0x7fff, v1
	v_cmp_ne_u16_e64 s[60:61], 0, v1
	s_branch .LBB215_788
.LBB215_786:
	s_mov_b64 s[62:63], -1
                                        ; implicit-def: $sgpr60_sgpr61
	s_branch .LBB215_789
.LBB215_787:
	s_mov_b64 s[58:59], -1
                                        ; implicit-def: $sgpr60_sgpr61
.LBB215_788:
	s_mov_b64 s[62:63], 0
.LBB215_789:
	s_and_b64 vcc, exec, s[62:63]
	s_cbranch_vccz .LBB215_793
; %bb.790:
	s_cmp_eq_u32 s64, 11
	s_cbranch_scc0 .LBB215_792
; %bb.791:
	global_load_ubyte v1, v[3:4], off
	s_mov_b64 s[0:1], -1
	s_mov_b64 s[58:59], 0
	s_waitcnt vmcnt(0)
	v_cmp_ne_u16_e64 s[60:61], 0, v1
	s_branch .LBB215_793
.LBB215_792:
	s_mov_b64 s[58:59], -1
                                        ; implicit-def: $sgpr60_sgpr61
.LBB215_793:
	s_mov_b64 s[62:63], 0
.LBB215_794:
	s_and_b64 vcc, exec, s[62:63]
	s_cbranch_vccz .LBB215_843
; %bb.795:
	s_and_b32 s14, 0xffff, s14
	s_cmp_lt_i32 s14, 5
	s_cbranch_scc1 .LBB215_800
; %bb.796:
	s_cmp_lt_i32 s14, 8
	s_cbranch_scc1 .LBB215_801
; %bb.797:
	;; [unrolled: 3-line block ×3, first 2 shown]
	s_cmp_gt_i32 s14, 9
	s_cbranch_scc0 .LBB215_803
; %bb.799:
	global_load_dwordx4 v[9:12], v[3:4], off
	s_mov_b64 s[62:63], 0
	s_waitcnt vmcnt(0)
	v_cmp_neq_f64_e32 vcc, 0, v[9:10]
	v_cmp_neq_f64_e64 s[0:1], 0, v[11:12]
	s_or_b64 s[60:61], vcc, s[0:1]
	s_branch .LBB215_804
.LBB215_800:
	s_mov_b64 s[0:1], -1
                                        ; implicit-def: $sgpr60_sgpr61
	s_branch .LBB215_822
.LBB215_801:
	s_mov_b64 s[0:1], -1
                                        ; implicit-def: $sgpr60_sgpr61
	s_branch .LBB215_810
.LBB215_802:
	s_mov_b64 s[0:1], -1
                                        ; implicit-def: $sgpr60_sgpr61
	s_branch .LBB215_807
.LBB215_803:
	s_mov_b64 s[62:63], -1
                                        ; implicit-def: $sgpr60_sgpr61
.LBB215_804:
	s_andn2_b64 vcc, exec, s[62:63]
	s_cbranch_vccnz .LBB215_806
; %bb.805:
	global_load_dwordx2 v[5:6], v[3:4], off
	s_andn2_b64 s[0:1], s[60:61], exec
	s_waitcnt vmcnt(0)
	v_or_b32_e32 v1, v5, v6
	v_and_b32_e32 v1, 0x7fffffff, v1
	v_cmp_ne_u32_e32 vcc, 0, v1
	s_and_b64 s[60:61], vcc, exec
	s_or_b64 s[60:61], s[0:1], s[60:61]
.LBB215_806:
	s_mov_b64 s[0:1], 0
.LBB215_807:
	s_andn2_b64 vcc, exec, s[0:1]
	s_cbranch_vccnz .LBB215_809
; %bb.808:
	global_load_dword v1, v[3:4], off
	s_andn2_b64 s[0:1], s[60:61], exec
	s_waitcnt vmcnt(0)
	v_and_b32_e32 v1, 0x7fff7fff, v1
	v_cmp_ne_u32_e32 vcc, 0, v1
	s_and_b64 s[60:61], vcc, exec
	s_or_b64 s[60:61], s[0:1], s[60:61]
.LBB215_809:
	s_mov_b64 s[0:1], 0
.LBB215_810:
	s_andn2_b64 vcc, exec, s[0:1]
	s_cbranch_vccnz .LBB215_821
; %bb.811:
	s_cmp_lt_i32 s14, 6
	s_cbranch_scc1 .LBB215_814
; %bb.812:
	s_cmp_gt_i32 s14, 6
	s_cbranch_scc0 .LBB215_815
; %bb.813:
	global_load_dwordx2 v[5:6], v[3:4], off
	s_mov_b64 s[0:1], 0
	s_waitcnt vmcnt(0)
	v_cmp_neq_f64_e64 s[60:61], 0, v[5:6]
	s_branch .LBB215_816
.LBB215_814:
	s_mov_b64 s[0:1], -1
                                        ; implicit-def: $sgpr60_sgpr61
	s_branch .LBB215_819
.LBB215_815:
	s_mov_b64 s[0:1], -1
                                        ; implicit-def: $sgpr60_sgpr61
.LBB215_816:
	s_andn2_b64 vcc, exec, s[0:1]
	s_cbranch_vccnz .LBB215_818
; %bb.817:
	global_load_dword v1, v[3:4], off
	s_andn2_b64 s[0:1], s[60:61], exec
	s_waitcnt vmcnt(0)
	v_cmp_neq_f32_e32 vcc, 0, v1
	s_and_b64 s[60:61], vcc, exec
	s_or_b64 s[60:61], s[0:1], s[60:61]
.LBB215_818:
	s_mov_b64 s[0:1], 0
.LBB215_819:
	s_andn2_b64 vcc, exec, s[0:1]
	s_cbranch_vccnz .LBB215_821
; %bb.820:
	global_load_ushort v1, v[3:4], off
	s_andn2_b64 s[0:1], s[60:61], exec
	s_waitcnt vmcnt(0)
	v_and_b32_e32 v1, 0x7fff, v1
	v_cmp_ne_u16_e32 vcc, 0, v1
	s_and_b64 s[60:61], vcc, exec
	s_or_b64 s[60:61], s[0:1], s[60:61]
.LBB215_821:
	s_mov_b64 s[0:1], 0
.LBB215_822:
	s_andn2_b64 vcc, exec, s[0:1]
	s_cbranch_vccnz .LBB215_842
; %bb.823:
	s_cmp_lt_i32 s14, 2
	s_cbranch_scc1 .LBB215_827
; %bb.824:
	s_cmp_lt_i32 s14, 3
	s_cbranch_scc1 .LBB215_828
; %bb.825:
	s_cmp_gt_i32 s14, 3
	s_cbranch_scc0 .LBB215_829
; %bb.826:
	global_load_dwordx2 v[5:6], v[3:4], off
	s_mov_b64 s[0:1], 0
	s_waitcnt vmcnt(0)
	v_cmp_ne_u64_e64 s[60:61], 0, v[5:6]
	s_branch .LBB215_830
.LBB215_827:
	s_mov_b64 s[0:1], -1
                                        ; implicit-def: $sgpr60_sgpr61
	s_branch .LBB215_836
.LBB215_828:
	s_mov_b64 s[0:1], -1
                                        ; implicit-def: $sgpr60_sgpr61
	s_branch .LBB215_833
.LBB215_829:
	s_mov_b64 s[0:1], -1
                                        ; implicit-def: $sgpr60_sgpr61
.LBB215_830:
	s_andn2_b64 vcc, exec, s[0:1]
	s_cbranch_vccnz .LBB215_832
; %bb.831:
	global_load_dword v1, v[3:4], off
	s_andn2_b64 s[0:1], s[60:61], exec
	s_waitcnt vmcnt(0)
	v_cmp_ne_u32_e32 vcc, 0, v1
	s_and_b64 s[60:61], vcc, exec
	s_or_b64 s[60:61], s[0:1], s[60:61]
.LBB215_832:
	s_mov_b64 s[0:1], 0
.LBB215_833:
	s_andn2_b64 vcc, exec, s[0:1]
	s_cbranch_vccnz .LBB215_835
; %bb.834:
	global_load_ushort v1, v[3:4], off
	s_andn2_b64 s[0:1], s[60:61], exec
	s_waitcnt vmcnt(0)
	v_cmp_ne_u16_e32 vcc, 0, v1
	s_and_b64 s[60:61], vcc, exec
	s_or_b64 s[60:61], s[0:1], s[60:61]
.LBB215_835:
	s_mov_b64 s[0:1], 0
.LBB215_836:
	s_andn2_b64 vcc, exec, s[0:1]
	s_cbranch_vccnz .LBB215_842
; %bb.837:
	s_cmp_gt_i32 s14, 0
	s_cbranch_scc0 .LBB215_839
; %bb.838:
	global_load_ubyte v1, v[3:4], off
	s_mov_b64 s[0:1], 0
	s_waitcnt vmcnt(0)
	v_cmp_ne_u16_e64 s[60:61], 0, v1
	s_branch .LBB215_840
.LBB215_839:
	s_mov_b64 s[0:1], -1
                                        ; implicit-def: $sgpr60_sgpr61
.LBB215_840:
	s_andn2_b64 vcc, exec, s[0:1]
	s_cbranch_vccnz .LBB215_842
; %bb.841:
	global_load_ubyte v1, v[3:4], off
	s_andn2_b64 s[0:1], s[60:61], exec
	s_waitcnt vmcnt(0)
	v_cmp_ne_u16_e32 vcc, 0, v1
	s_and_b64 s[60:61], vcc, exec
	s_or_b64 s[60:61], s[0:1], s[60:61]
.LBB215_842:
	s_mov_b64 s[0:1], -1
.LBB215_843:
	s_andn2_b64 vcc, exec, s[0:1]
	s_cbranch_vccnz .LBB215_851
; %bb.844:
	v_mov_b32_e32 v3, s13
	s_and_b32 s14, s75, 0xff
	v_add_co_u32_e32 v1, vcc, s12, v2
	s_cmp_lt_i32 s14, 11
	v_addc_co_u32_e32 v2, vcc, 0, v3, vcc
	s_cbranch_scc1 .LBB215_852
; %bb.845:
	s_and_b32 s66, 0xffff, s14
	s_cmp_gt_i32 s66, 25
	s_cbranch_scc0 .LBB215_853
; %bb.846:
	s_cmp_gt_i32 s66, 28
	s_cbranch_scc0 .LBB215_854
; %bb.847:
	;; [unrolled: 3-line block ×4, first 2 shown]
	s_cmp_eq_u32 s66, 46
	s_mov_b64 s[58:59], 0
	s_cbranch_scc0 .LBB215_859
; %bb.850:
	global_load_dword v3, v[1:2], off
	s_mov_b64 s[0:1], -1
	s_mov_b64 s[64:65], 0
	s_waitcnt vmcnt(0)
	v_and_b32_e32 v3, 0x7fff7fff, v3
	v_cmp_ne_u32_e64 s[62:63], 0, v3
	s_branch .LBB215_860
.LBB215_851:
	s_mov_b64 s[66:67], 0
	s_mov_b64 s[0:1], s[52:53]
	;; [unrolled: 1-line block ×3, first 2 shown]
                                        ; implicit-def: $vgpr8
	s_branch .LBB215_1079
.LBB215_852:
	s_mov_b64 s[58:59], -1
	s_mov_b64 s[0:1], 0
                                        ; implicit-def: $sgpr62_sgpr63
	s_mov_b64 s[64:65], s[50:51]
	s_branch .LBB215_907
.LBB215_853:
	s_mov_b64 s[58:59], -1
	s_mov_b64 s[0:1], 0
	s_mov_b64 s[64:65], s[50:51]
                                        ; implicit-def: $sgpr62_sgpr63
	s_branch .LBB215_881
.LBB215_854:
	s_mov_b64 s[58:59], -1
	s_mov_b64 s[0:1], 0
	s_mov_b64 s[64:65], s[50:51]
                                        ; implicit-def: $sgpr62_sgpr63
	s_branch .LBB215_868
.LBB215_855:
	s_mov_b64 s[58:59], -1
	s_mov_b64 s[0:1], 0
	s_mov_b64 s[64:65], s[50:51]
                                        ; implicit-def: $sgpr62_sgpr63
	s_branch .LBB215_863
.LBB215_856:
	s_mov_b64 s[58:59], -1
	s_mov_b64 s[0:1], 0
	s_mov_b64 s[64:65], s[50:51]
                                        ; implicit-def: $sgpr62_sgpr63
	s_branch .LBB215_860
.LBB215_857:
	s_andn2_saveexec_b64 s[58:59], s[58:59]
	s_cbranch_execz .LBB215_641
.LBB215_858:
	v_add_f32_e32 v2, 0x42800000, v3
	v_and_b32_e32 v2, 0xff, v2
	v_cmp_ne_u32_e32 vcc, 0, v2
	s_andn2_b64 s[56:57], s[56:57], exec
	s_and_b64 s[62:63], vcc, exec
	s_or_b64 s[56:57], s[56:57], s[62:63]
	s_or_b64 exec, exec, s[58:59]
	v_mov_b32_e32 v4, 0
	s_and_saveexec_b64 s[58:59], s[56:57]
	s_cbranch_execnz .LBB215_642
	s_branch .LBB215_643
.LBB215_859:
	s_mov_b64 s[64:65], -1
                                        ; implicit-def: $sgpr62_sgpr63
	s_mov_b64 s[0:1], 0
.LBB215_860:
	s_and_b64 vcc, exec, s[58:59]
	s_cbranch_vccz .LBB215_862
; %bb.861:
	s_cmp_eq_u32 s66, 44
	s_cselect_b64 s[0:1], -1, 0
	s_or_b64 s[62:63], s[62:63], exec
	s_or_b64 s[64:65], s[64:65], exec
.LBB215_862:
	s_mov_b64 s[58:59], 0
.LBB215_863:
	s_and_b64 vcc, exec, s[58:59]
	s_cbranch_vccz .LBB215_867
; %bb.864:
	s_cmp_eq_u32 s66, 29
	s_cbranch_scc0 .LBB215_866
; %bb.865:
	global_load_dwordx2 v[3:4], v[1:2], off
	s_mov_b64 s[64:65], 0
	s_mov_b64 s[0:1], -1
	s_mov_b64 s[58:59], 0
	s_waitcnt vmcnt(0)
	v_cmp_ne_u64_e64 s[62:63], 0, v[3:4]
	s_branch .LBB215_868
.LBB215_866:
	s_mov_b64 s[64:65], -1
                                        ; implicit-def: $sgpr62_sgpr63
.LBB215_867:
	s_mov_b64 s[58:59], 0
.LBB215_868:
	s_and_b64 vcc, exec, s[58:59]
	s_cbranch_vccz .LBB215_880
; %bb.869:
	s_cmp_lt_i32 s66, 27
	s_cbranch_scc1 .LBB215_872
; %bb.870:
	s_cmp_gt_i32 s66, 27
	s_cbranch_scc0 .LBB215_873
; %bb.871:
	global_load_dword v3, v[1:2], off
	s_mov_b64 s[0:1], 0
	s_waitcnt vmcnt(0)
	v_cmp_ne_u32_e64 s[62:63], 0, v3
	s_branch .LBB215_874
.LBB215_872:
	s_mov_b64 s[0:1], -1
                                        ; implicit-def: $sgpr62_sgpr63
	s_branch .LBB215_877
.LBB215_873:
	s_mov_b64 s[0:1], -1
                                        ; implicit-def: $sgpr62_sgpr63
.LBB215_874:
	s_andn2_b64 vcc, exec, s[0:1]
	s_cbranch_vccnz .LBB215_876
; %bb.875:
	global_load_ushort v3, v[1:2], off
	s_andn2_b64 s[0:1], s[62:63], exec
	s_waitcnt vmcnt(0)
	v_cmp_ne_u16_e32 vcc, 0, v3
	s_and_b64 s[58:59], vcc, exec
	s_or_b64 s[62:63], s[0:1], s[58:59]
.LBB215_876:
	s_mov_b64 s[0:1], 0
.LBB215_877:
	s_andn2_b64 vcc, exec, s[0:1]
	s_cbranch_vccnz .LBB215_879
; %bb.878:
	global_load_ubyte v3, v[1:2], off
	s_andn2_b64 s[0:1], s[62:63], exec
	s_waitcnt vmcnt(0)
	v_cmp_ne_u16_e32 vcc, 0, v3
	s_and_b64 s[58:59], vcc, exec
	s_or_b64 s[62:63], s[0:1], s[58:59]
.LBB215_879:
	s_mov_b64 s[0:1], -1
.LBB215_880:
	s_mov_b64 s[58:59], 0
.LBB215_881:
	s_and_b64 vcc, exec, s[58:59]
	s_cbranch_vccz .LBB215_906
; %bb.882:
	s_cmp_gt_i32 s66, 22
	s_cbranch_scc0 .LBB215_886
; %bb.883:
	s_cmp_lt_i32 s66, 24
	s_cbranch_scc1 .LBB215_887
; %bb.884:
	s_cmp_gt_i32 s66, 24
	s_cbranch_scc0 .LBB215_888
; %bb.885:
	global_load_ubyte v3, v[1:2], off
	s_mov_b64 s[0:1], 0
	s_waitcnt vmcnt(0)
	v_cmp_ne_u16_e64 s[62:63], 0, v3
	s_branch .LBB215_889
.LBB215_886:
	s_mov_b64 s[58:59], -1
                                        ; implicit-def: $sgpr62_sgpr63
	s_branch .LBB215_895
.LBB215_887:
	s_mov_b64 s[0:1], -1
                                        ; implicit-def: $sgpr62_sgpr63
	s_branch .LBB215_892
.LBB215_888:
	s_mov_b64 s[0:1], -1
                                        ; implicit-def: $sgpr62_sgpr63
.LBB215_889:
	s_andn2_b64 vcc, exec, s[0:1]
	s_cbranch_vccnz .LBB215_891
; %bb.890:
	global_load_ubyte v3, v[1:2], off
	s_andn2_b64 s[0:1], s[62:63], exec
	s_waitcnt vmcnt(0)
	v_and_b32_e32 v3, 0x7f, v3
	v_cmp_ne_u16_e32 vcc, 0, v3
	s_and_b64 s[58:59], vcc, exec
	s_or_b64 s[62:63], s[0:1], s[58:59]
.LBB215_891:
	s_mov_b64 s[0:1], 0
.LBB215_892:
	s_andn2_b64 vcc, exec, s[0:1]
	s_cbranch_vccnz .LBB215_894
; %bb.893:
	global_load_ubyte v3, v[1:2], off
	s_movk_i32 s0, 0x7f00
	s_brev_b32 s1, 16
	s_waitcnt vmcnt(0)
	v_lshlrev_b32_e32 v4, 8, v3
	v_lshlrev_b32_e32 v3, 25, v3
	v_lshrrev_b32_e32 v5, 4, v3
	v_and_or_b32 v4, v4, s0, 0.5
	v_or_b32_e32 v5, 0x70000000, v5
	v_add_f32_e32 v4, -0.5, v4
	v_mul_f32_e32 v5, 0x7800000, v5
	v_cmp_gt_u32_e32 vcc, s1, v3
	v_cndmask_b32_e32 v3, v5, v4, vcc
	v_cmp_neq_f32_e32 vcc, 0, v3
	s_andn2_b64 s[0:1], s[62:63], exec
	s_and_b64 s[58:59], vcc, exec
	s_or_b64 s[62:63], s[0:1], s[58:59]
.LBB215_894:
	s_mov_b64 s[58:59], 0
	s_mov_b64 s[0:1], -1
.LBB215_895:
	s_andn2_b64 vcc, exec, s[58:59]
	s_cbranch_vccnz .LBB215_906
; %bb.896:
	s_cmp_gt_i32 s66, 14
	s_cbranch_scc0 .LBB215_899
; %bb.897:
	s_cmp_eq_u32 s66, 15
	s_cbranch_scc0 .LBB215_900
; %bb.898:
	global_load_ushort v3, v[1:2], off
	s_mov_b64 s[0:1], -1
	s_mov_b64 s[64:65], 0
	s_waitcnt vmcnt(0)
	v_and_b32_e32 v3, 0x7fff, v3
	v_cmp_ne_u16_e64 s[62:63], 0, v3
	s_branch .LBB215_901
.LBB215_899:
	s_mov_b64 s[58:59], -1
                                        ; implicit-def: $sgpr62_sgpr63
	s_branch .LBB215_902
.LBB215_900:
	s_mov_b64 s[64:65], -1
                                        ; implicit-def: $sgpr62_sgpr63
.LBB215_901:
	s_mov_b64 s[58:59], 0
.LBB215_902:
	s_and_b64 vcc, exec, s[58:59]
	s_cbranch_vccz .LBB215_906
; %bb.903:
	s_cmp_eq_u32 s66, 11
	s_cbranch_scc0 .LBB215_905
; %bb.904:
	global_load_ubyte v3, v[1:2], off
	s_mov_b64 s[0:1], -1
	s_mov_b64 s[64:65], 0
	s_waitcnt vmcnt(0)
	v_cmp_ne_u16_e64 s[62:63], 0, v3
	s_branch .LBB215_906
.LBB215_905:
	s_mov_b64 s[64:65], -1
                                        ; implicit-def: $sgpr62_sgpr63
.LBB215_906:
	s_mov_b64 s[58:59], 0
.LBB215_907:
	s_and_b64 vcc, exec, s[58:59]
	s_cbranch_vccz .LBB215_956
; %bb.908:
	s_and_b32 s14, 0xffff, s14
	s_cmp_lt_i32 s14, 5
	s_cbranch_scc1 .LBB215_913
; %bb.909:
	s_cmp_lt_i32 s14, 8
	s_cbranch_scc1 .LBB215_914
; %bb.910:
	;; [unrolled: 3-line block ×3, first 2 shown]
	s_cmp_gt_i32 s14, 9
	s_cbranch_scc0 .LBB215_916
; %bb.912:
	global_load_dwordx4 v[3:6], v[1:2], off
	s_mov_b64 s[58:59], 0
	s_waitcnt vmcnt(0)
	v_cmp_neq_f64_e32 vcc, 0, v[3:4]
	v_cmp_neq_f64_e64 s[0:1], 0, v[5:6]
	s_or_b64 s[62:63], vcc, s[0:1]
	s_branch .LBB215_917
.LBB215_913:
	s_mov_b64 s[0:1], -1
                                        ; implicit-def: $sgpr62_sgpr63
	s_branch .LBB215_935
.LBB215_914:
	s_mov_b64 s[0:1], -1
                                        ; implicit-def: $sgpr62_sgpr63
	s_branch .LBB215_923
.LBB215_915:
	s_mov_b64 s[0:1], -1
                                        ; implicit-def: $sgpr62_sgpr63
	s_branch .LBB215_920
.LBB215_916:
	s_mov_b64 s[58:59], -1
                                        ; implicit-def: $sgpr62_sgpr63
.LBB215_917:
	s_andn2_b64 vcc, exec, s[58:59]
	s_cbranch_vccnz .LBB215_919
; %bb.918:
	global_load_dwordx2 v[3:4], v[1:2], off
	s_andn2_b64 s[0:1], s[62:63], exec
	s_waitcnt vmcnt(0)
	v_or_b32_e32 v3, v3, v4
	v_and_b32_e32 v3, 0x7fffffff, v3
	v_cmp_ne_u32_e32 vcc, 0, v3
	s_and_b64 s[58:59], vcc, exec
	s_or_b64 s[62:63], s[0:1], s[58:59]
.LBB215_919:
	s_mov_b64 s[0:1], 0
.LBB215_920:
	s_andn2_b64 vcc, exec, s[0:1]
	s_cbranch_vccnz .LBB215_922
; %bb.921:
	global_load_dword v3, v[1:2], off
	s_andn2_b64 s[0:1], s[62:63], exec
	s_waitcnt vmcnt(0)
	v_and_b32_e32 v3, 0x7fff7fff, v3
	v_cmp_ne_u32_e32 vcc, 0, v3
	s_and_b64 s[58:59], vcc, exec
	s_or_b64 s[62:63], s[0:1], s[58:59]
.LBB215_922:
	s_mov_b64 s[0:1], 0
.LBB215_923:
	s_andn2_b64 vcc, exec, s[0:1]
	s_cbranch_vccnz .LBB215_934
; %bb.924:
	s_cmp_lt_i32 s14, 6
	s_cbranch_scc1 .LBB215_927
; %bb.925:
	s_cmp_gt_i32 s14, 6
	s_cbranch_scc0 .LBB215_928
; %bb.926:
	global_load_dwordx2 v[3:4], v[1:2], off
	s_mov_b64 s[0:1], 0
	s_waitcnt vmcnt(0)
	v_cmp_neq_f64_e64 s[62:63], 0, v[3:4]
	s_branch .LBB215_929
.LBB215_927:
	s_mov_b64 s[0:1], -1
                                        ; implicit-def: $sgpr62_sgpr63
	s_branch .LBB215_932
.LBB215_928:
	s_mov_b64 s[0:1], -1
                                        ; implicit-def: $sgpr62_sgpr63
.LBB215_929:
	s_andn2_b64 vcc, exec, s[0:1]
	s_cbranch_vccnz .LBB215_931
; %bb.930:
	global_load_dword v3, v[1:2], off
	s_andn2_b64 s[0:1], s[62:63], exec
	s_waitcnt vmcnt(0)
	v_cmp_neq_f32_e32 vcc, 0, v3
	s_and_b64 s[58:59], vcc, exec
	s_or_b64 s[62:63], s[0:1], s[58:59]
.LBB215_931:
	s_mov_b64 s[0:1], 0
.LBB215_932:
	s_andn2_b64 vcc, exec, s[0:1]
	s_cbranch_vccnz .LBB215_934
; %bb.933:
	global_load_ushort v3, v[1:2], off
	s_andn2_b64 s[0:1], s[62:63], exec
	s_waitcnt vmcnt(0)
	v_and_b32_e32 v3, 0x7fff, v3
	v_cmp_ne_u16_e32 vcc, 0, v3
	s_and_b64 s[58:59], vcc, exec
	s_or_b64 s[62:63], s[0:1], s[58:59]
.LBB215_934:
	s_mov_b64 s[0:1], 0
.LBB215_935:
	s_andn2_b64 vcc, exec, s[0:1]
	s_cbranch_vccnz .LBB215_955
; %bb.936:
	s_cmp_lt_i32 s14, 2
	s_cbranch_scc1 .LBB215_940
; %bb.937:
	s_cmp_lt_i32 s14, 3
	s_cbranch_scc1 .LBB215_941
; %bb.938:
	s_cmp_gt_i32 s14, 3
	s_cbranch_scc0 .LBB215_942
; %bb.939:
	global_load_dwordx2 v[3:4], v[1:2], off
	s_mov_b64 s[0:1], 0
	s_waitcnt vmcnt(0)
	v_cmp_ne_u64_e64 s[62:63], 0, v[3:4]
	s_branch .LBB215_943
.LBB215_940:
	s_mov_b64 s[0:1], -1
                                        ; implicit-def: $sgpr62_sgpr63
	s_branch .LBB215_949
.LBB215_941:
	s_mov_b64 s[0:1], -1
                                        ; implicit-def: $sgpr62_sgpr63
	s_branch .LBB215_946
.LBB215_942:
	s_mov_b64 s[0:1], -1
                                        ; implicit-def: $sgpr62_sgpr63
.LBB215_943:
	s_andn2_b64 vcc, exec, s[0:1]
	s_cbranch_vccnz .LBB215_945
; %bb.944:
	global_load_dword v3, v[1:2], off
	s_andn2_b64 s[0:1], s[62:63], exec
	s_waitcnt vmcnt(0)
	v_cmp_ne_u32_e32 vcc, 0, v3
	s_and_b64 s[58:59], vcc, exec
	s_or_b64 s[62:63], s[0:1], s[58:59]
.LBB215_945:
	s_mov_b64 s[0:1], 0
.LBB215_946:
	s_andn2_b64 vcc, exec, s[0:1]
	s_cbranch_vccnz .LBB215_948
; %bb.947:
	global_load_ushort v3, v[1:2], off
	s_andn2_b64 s[0:1], s[62:63], exec
	s_waitcnt vmcnt(0)
	v_cmp_ne_u16_e32 vcc, 0, v3
	s_and_b64 s[58:59], vcc, exec
	s_or_b64 s[62:63], s[0:1], s[58:59]
.LBB215_948:
	s_mov_b64 s[0:1], 0
.LBB215_949:
	s_andn2_b64 vcc, exec, s[0:1]
	s_cbranch_vccnz .LBB215_955
; %bb.950:
	s_cmp_gt_i32 s14, 0
	s_cbranch_scc0 .LBB215_952
; %bb.951:
	global_load_ubyte v3, v[1:2], off
	s_mov_b64 s[0:1], 0
	s_waitcnt vmcnt(0)
	v_cmp_ne_u16_e64 s[62:63], 0, v3
	s_branch .LBB215_953
.LBB215_952:
	s_mov_b64 s[0:1], -1
                                        ; implicit-def: $sgpr62_sgpr63
.LBB215_953:
	s_andn2_b64 vcc, exec, s[0:1]
	s_cbranch_vccnz .LBB215_955
; %bb.954:
	global_load_ubyte v1, v[1:2], off
	s_andn2_b64 s[0:1], s[62:63], exec
	s_waitcnt vmcnt(0)
	v_cmp_ne_u16_e32 vcc, 0, v1
	s_and_b64 s[58:59], vcc, exec
	s_or_b64 s[62:63], s[0:1], s[58:59]
.LBB215_955:
	s_mov_b64 s[0:1], -1
.LBB215_956:
	s_mov_b64 s[58:59], 0
	s_andn2_b64 vcc, exec, s[0:1]
	s_mov_b64 s[0:1], s[52:53]
	s_mov_b64 s[66:67], 0
	s_cbranch_vccnz .LBB215_1079
; %bb.957:
	s_xor_b64 s[0:1], s[60:61], s[62:63]
	s_xor_b64 s[60:61], s[28:29], s[0:1]
	v_mov_b32_e32 v1, s9
	s_and_b32 s14, s15, 0xff
	v_add_co_u32_e32 v0, vcc, s8, v0
	s_cmp_lt_i32 s14, 11
	v_addc_co_u32_e32 v1, vcc, 0, v1, vcc
	s_cbranch_scc1 .LBB215_964
; %bb.958:
	s_and_b32 s68, 0xffff, s14
	s_cmp_gt_i32 s68, 25
	s_cbranch_scc0 .LBB215_965
; %bb.959:
	s_cmp_gt_i32 s68, 28
	s_cbranch_scc0 .LBB215_966
; %bb.960:
	s_cmp_gt_i32 s68, 43
	s_cbranch_scc0 .LBB215_967
; %bb.961:
	s_cmp_gt_i32 s68, 45
	s_cbranch_scc0 .LBB215_968
; %bb.962:
	s_mov_b64 s[64:65], 0
	s_mov_b64 s[0:1], -1
	s_cmp_eq_u32 s68, 46
	s_mov_b64 s[62:63], 0
	s_cbranch_scc0 .LBB215_969
; %bb.963:
	v_cndmask_b32_e64 v2, 0, 1.0, s[60:61]
	v_bfe_u32 v3, v2, 16, 1
	s_movk_i32 s0, 0x7fff
	v_add3_u32 v2, v2, v3, s0
	v_lshrrev_b32_e32 v2, 16, v2
	global_store_dword v[0:1], v2, off
	s_mov_b64 s[62:63], -1
	s_mov_b64 s[0:1], 0
	s_branch .LBB215_969
.LBB215_964:
	s_mov_b64 s[64:65], -1
	s_mov_b64 s[62:63], 0
	s_mov_b64 s[0:1], s[52:53]
	s_branch .LBB215_1038
.LBB215_965:
	s_mov_b64 s[64:65], -1
	s_mov_b64 s[62:63], 0
	s_mov_b64 s[0:1], s[52:53]
	s_branch .LBB215_996
.LBB215_966:
	s_mov_b64 s[64:65], -1
	s_mov_b64 s[62:63], 0
	s_mov_b64 s[0:1], s[52:53]
	s_branch .LBB215_979
.LBB215_967:
	s_mov_b64 s[64:65], -1
	s_mov_b64 s[62:63], 0
	s_mov_b64 s[0:1], s[52:53]
	s_branch .LBB215_975
.LBB215_968:
	s_mov_b64 s[64:65], -1
	s_mov_b64 s[62:63], 0
	s_mov_b64 s[0:1], s[52:53]
.LBB215_969:
	s_and_b64 vcc, exec, s[64:65]
	s_cbranch_vccz .LBB215_974
; %bb.970:
	s_cmp_eq_u32 s68, 44
	s_mov_b64 s[0:1], -1
	s_cbranch_scc0 .LBB215_974
; %bb.971:
	v_cndmask_b32_e64 v3, 0, 1.0, s[60:61]
	v_lshrrev_b32_e32 v2, 23, v3
	s_movk_i32 s0, 0xff
	v_cmp_ne_u32_e32 vcc, s0, v2
	v_mov_b32_e32 v4, 0xff
	s_and_saveexec_b64 s[62:63], vcc
; %bb.972:
	s_mov_b32 s0, 0x3fffff
	v_and_b32_e32 v4, 0x400000, v3
	v_and_or_b32 v3, v3, s0, v2
	v_cmp_ne_u32_e32 vcc, 0, v4
	v_cmp_ne_u32_e64 s[0:1], 0, v3
	s_and_b64 s[0:1], vcc, s[0:1]
	v_cndmask_b32_e64 v3, 0, 1, s[0:1]
	v_add_u32_e32 v4, v2, v3
; %bb.973:
	s_or_b64 exec, exec, s[62:63]
	s_mov_b64 s[62:63], -1
	s_mov_b64 s[0:1], 0
	global_store_byte v[0:1], v4, off
.LBB215_974:
	s_mov_b64 s[64:65], 0
.LBB215_975:
	s_and_b64 vcc, exec, s[64:65]
	s_cbranch_vccz .LBB215_978
; %bb.976:
	s_cmp_eq_u32 s68, 29
	s_mov_b64 s[0:1], -1
	s_cbranch_scc0 .LBB215_978
; %bb.977:
	s_mov_b32 s0, 0
	v_cndmask_b32_e64 v2, 0, 1, s[60:61]
	v_mov_b32_e32 v3, s0
	global_store_dwordx2 v[0:1], v[2:3], off
	s_mov_b64 s[62:63], -1
	s_mov_b64 s[0:1], 0
.LBB215_978:
	s_mov_b64 s[64:65], 0
.LBB215_979:
	s_and_b64 vcc, exec, s[64:65]
	s_cbranch_vccz .LBB215_995
; %bb.980:
	s_cmp_lt_i32 s68, 27
	s_mov_b64 s[62:63], -1
	s_cbranch_scc1 .LBB215_986
; %bb.981:
	s_cmp_gt_i32 s68, 27
	s_cbranch_scc0 .LBB215_983
; %bb.982:
	v_cndmask_b32_e64 v2, 0, 1, s[60:61]
	s_mov_b64 s[62:63], 0
	global_store_dword v[0:1], v2, off
.LBB215_983:
	s_andn2_b64 vcc, exec, s[62:63]
	s_cbranch_vccnz .LBB215_985
; %bb.984:
	v_cndmask_b32_e64 v2, 0, 1, s[60:61]
	global_store_short v[0:1], v2, off
.LBB215_985:
	s_mov_b64 s[62:63], 0
.LBB215_986:
	s_andn2_b64 vcc, exec, s[62:63]
	s_cbranch_vccnz .LBB215_994
; %bb.987:
	v_cndmask_b32_e64 v3, 0, 1.0, s[60:61]
	s_mov_b32 s62, 0x43800000
	v_cmp_gt_u32_e32 vcc, s62, v3
	v_mov_b32_e32 v4, 0x80
	s_and_saveexec_b64 s[62:63], vcc
	s_cbranch_execz .LBB215_993
; %bb.988:
	s_mov_b32 s64, 0x3bffffff
	v_cmp_lt_u32_e32 vcc, s64, v3
	s_mov_b64 s[64:65], 0
                                        ; implicit-def: $vgpr2
	s_and_saveexec_b64 s[66:67], vcc
	s_xor_b64 s[66:67], exec, s[66:67]
	s_cbranch_execz .LBB215_1106
; %bb.989:
	v_bfe_u32 v2, v3, 20, 1
	s_mov_b32 s69, 0x487ffff
	v_add3_u32 v2, v3, v2, s69
	s_mov_b64 s[64:65], exec
	v_lshrrev_b32_e32 v2, 20, v2
                                        ; implicit-def: $vgpr3
	s_andn2_saveexec_b64 s[66:67], s[66:67]
	s_cbranch_execnz .LBB215_1107
.LBB215_990:
	s_or_b64 exec, exec, s[66:67]
	v_mov_b32_e32 v4, 0
	s_and_saveexec_b64 s[66:67], s[64:65]
.LBB215_991:
	v_mov_b32_e32 v4, v2
.LBB215_992:
	s_or_b64 exec, exec, s[66:67]
.LBB215_993:
	s_or_b64 exec, exec, s[62:63]
	global_store_byte v[0:1], v4, off
.LBB215_994:
	s_mov_b64 s[62:63], -1
.LBB215_995:
	s_mov_b64 s[64:65], 0
.LBB215_996:
	s_and_b64 vcc, exec, s[64:65]
	s_cbranch_vccz .LBB215_1037
; %bb.997:
	s_cmp_gt_i32 s68, 22
	s_mov_b64 s[64:65], -1
	s_cbranch_scc0 .LBB215_1029
; %bb.998:
	s_cmp_lt_i32 s68, 24
	s_mov_b64 s[62:63], -1
	s_cbranch_scc1 .LBB215_1018
; %bb.999:
	s_cmp_gt_i32 s68, 24
	s_cbranch_scc0 .LBB215_1007
; %bb.1000:
	v_cndmask_b32_e64 v3, 0, 1.0, s[60:61]
	s_mov_b32 s62, 0x47800000
	v_cmp_gt_u32_e32 vcc, s62, v3
	v_mov_b32_e32 v4, 0x80
	s_and_saveexec_b64 s[62:63], vcc
	s_cbranch_execz .LBB215_1006
; %bb.1001:
	s_mov_b32 s64, 0x37ffffff
	v_cmp_lt_u32_e32 vcc, s64, v3
	s_mov_b64 s[64:65], 0
                                        ; implicit-def: $vgpr2
	s_and_saveexec_b64 s[66:67], vcc
	s_xor_b64 s[66:67], exec, s[66:67]
	s_cbranch_execz .LBB215_2046
; %bb.1002:
	v_bfe_u32 v2, v3, 21, 1
	s_mov_b32 s69, 0x88fffff
	v_add3_u32 v2, v3, v2, s69
	s_mov_b64 s[64:65], exec
	v_lshrrev_b32_e32 v2, 21, v2
                                        ; implicit-def: $vgpr3
	s_andn2_saveexec_b64 s[66:67], s[66:67]
	s_cbranch_execnz .LBB215_2047
.LBB215_1003:
	s_or_b64 exec, exec, s[66:67]
	v_mov_b32_e32 v4, 0
	s_and_saveexec_b64 s[66:67], s[64:65]
.LBB215_1004:
	v_mov_b32_e32 v4, v2
.LBB215_1005:
	s_or_b64 exec, exec, s[66:67]
.LBB215_1006:
	s_or_b64 exec, exec, s[62:63]
	s_mov_b64 s[62:63], 0
	global_store_byte v[0:1], v4, off
.LBB215_1007:
	s_and_b64 vcc, exec, s[62:63]
	s_cbranch_vccz .LBB215_1017
; %bb.1008:
	v_cndmask_b32_e64 v2, 0, 1.0, s[60:61]
	s_mov_b32 s62, 0x43f00000
	v_cmp_gt_u32_e32 vcc, s62, v2
                                        ; implicit-def: $vgpr3
	s_and_saveexec_b64 s[62:63], vcc
	s_xor_b64 s[62:63], exec, s[62:63]
	s_cbranch_execz .LBB215_1014
; %bb.1009:
	s_mov_b32 s64, 0x3c7fffff
	v_cmp_lt_u32_e32 vcc, s64, v2
                                        ; implicit-def: $vgpr3
	s_and_saveexec_b64 s[64:65], vcc
	s_xor_b64 s[64:65], exec, s[64:65]
; %bb.1010:
	v_bfe_u32 v3, v2, 20, 1
	s_mov_b32 s66, 0x407ffff
	v_add3_u32 v2, v2, v3, s66
	v_lshrrev_b32_e32 v3, 20, v2
	v_and_b32_e32 v2, 0xff00000, v2
	s_mov_b32 s66, 0x7f00000
	v_mov_b32_e32 v4, 0x7e
	v_cmp_ne_u32_e32 vcc, s66, v2
	v_cndmask_b32_e32 v3, v4, v3, vcc
                                        ; implicit-def: $vgpr2
; %bb.1011:
	s_andn2_saveexec_b64 s[64:65], s[64:65]
; %bb.1012:
	v_add_f32_e32 v3, 0x46800000, v2
; %bb.1013:
	s_or_b64 exec, exec, s[64:65]
                                        ; implicit-def: $vgpr2
.LBB215_1014:
	s_andn2_saveexec_b64 s[62:63], s[62:63]
; %bb.1015:
	s_mov_b32 s64, 0x7f800000
	v_mov_b32_e32 v3, 0x7e
	v_mov_b32_e32 v4, 0x7f
	v_cmp_lt_u32_e32 vcc, s64, v2
	v_cndmask_b32_e32 v3, v3, v4, vcc
; %bb.1016:
	s_or_b64 exec, exec, s[62:63]
	global_store_byte v[0:1], v3, off
.LBB215_1017:
	s_mov_b64 s[62:63], 0
.LBB215_1018:
	s_andn2_b64 vcc, exec, s[62:63]
	s_cbranch_vccnz .LBB215_1028
; %bb.1019:
	v_cndmask_b32_e64 v2, 0, 1.0, s[60:61]
	s_mov_b32 s62, 0x47800000
	v_cmp_gt_u32_e32 vcc, s62, v2
                                        ; implicit-def: $vgpr3
	s_and_saveexec_b64 s[62:63], vcc
	s_xor_b64 s[62:63], exec, s[62:63]
	s_cbranch_execz .LBB215_1025
; %bb.1020:
	s_mov_b32 s64, 0x387fffff
	v_cmp_lt_u32_e32 vcc, s64, v2
                                        ; implicit-def: $vgpr3
	s_and_saveexec_b64 s[64:65], vcc
	s_xor_b64 s[64:65], exec, s[64:65]
; %bb.1021:
	v_bfe_u32 v3, v2, 21, 1
	s_mov_b32 s66, 0x80fffff
	v_add3_u32 v2, v2, v3, s66
	v_lshrrev_b32_e32 v3, 21, v2
                                        ; implicit-def: $vgpr2
; %bb.1022:
	s_andn2_saveexec_b64 s[64:65], s[64:65]
; %bb.1023:
	v_add_f32_e32 v3, 0x43000000, v2
; %bb.1024:
	s_or_b64 exec, exec, s[64:65]
                                        ; implicit-def: $vgpr2
.LBB215_1025:
	s_andn2_saveexec_b64 s[62:63], s[62:63]
; %bb.1026:
	s_mov_b32 s64, 0x7f800000
	v_mov_b32_e32 v3, 0x7c
	v_mov_b32_e32 v4, 0x7f
	v_cmp_lt_u32_e32 vcc, s64, v2
	v_cndmask_b32_e32 v3, v3, v4, vcc
; %bb.1027:
	s_or_b64 exec, exec, s[62:63]
	global_store_byte v[0:1], v3, off
.LBB215_1028:
	s_mov_b64 s[64:65], 0
	s_mov_b64 s[62:63], -1
.LBB215_1029:
	s_andn2_b64 vcc, exec, s[64:65]
	s_cbranch_vccnz .LBB215_1037
; %bb.1030:
	s_cmp_gt_i32 s68, 14
	s_mov_b64 s[64:65], -1
	s_cbranch_scc0 .LBB215_1034
; %bb.1031:
	s_cmp_eq_u32 s68, 15
	s_mov_b64 s[0:1], -1
	s_cbranch_scc0 .LBB215_1033
; %bb.1032:
	v_cndmask_b32_e64 v2, 0, 1.0, s[60:61]
	v_bfe_u32 v3, v2, 16, 1
	s_movk_i32 s0, 0x7fff
	v_add3_u32 v2, v2, v3, s0
	global_store_short_d16_hi v[0:1], v2, off
	s_mov_b64 s[62:63], -1
	s_mov_b64 s[0:1], 0
.LBB215_1033:
	s_mov_b64 s[64:65], 0
.LBB215_1034:
	s_and_b64 vcc, exec, s[64:65]
	s_cbranch_vccz .LBB215_1037
; %bb.1035:
	s_cmp_eq_u32 s68, 11
	s_mov_b64 s[0:1], -1
	s_cbranch_scc0 .LBB215_1037
; %bb.1036:
	v_cndmask_b32_e64 v2, 0, 1, s[60:61]
	s_mov_b64 s[62:63], -1
	s_mov_b64 s[0:1], 0
	global_store_byte v[0:1], v2, off
.LBB215_1037:
	s_mov_b64 s[64:65], 0
.LBB215_1038:
	s_and_b64 vcc, exec, s[64:65]
	s_cbranch_vccz .LBB215_1077
; %bb.1039:
	s_and_b32 s14, 0xffff, s14
	s_cmp_lt_i32 s14, 5
	s_mov_b64 s[62:63], -1
	s_cbranch_scc1 .LBB215_1060
; %bb.1040:
	s_cmp_lt_i32 s14, 8
	s_cbranch_scc1 .LBB215_1050
; %bb.1041:
	s_cmp_lt_i32 s14, 9
	s_cbranch_scc1 .LBB215_1047
; %bb.1042:
	s_cmp_gt_i32 s14, 9
	s_cbranch_scc0 .LBB215_1044
; %bb.1043:
	v_cndmask_b32_e64 v2, 0, 1, s[60:61]
	v_cvt_f64_u32_e32 v[2:3], v2
	v_mov_b32_e32 v4, 0
	v_mov_b32_e32 v5, v4
	s_mov_b64 s[62:63], 0
	global_store_dwordx4 v[0:1], v[2:5], off
.LBB215_1044:
	s_andn2_b64 vcc, exec, s[62:63]
	s_cbranch_vccnz .LBB215_1046
; %bb.1045:
	v_cndmask_b32_e64 v2, 0, 1.0, s[60:61]
	v_mov_b32_e32 v3, 0
	global_store_dwordx2 v[0:1], v[2:3], off
.LBB215_1046:
	s_mov_b64 s[62:63], 0
.LBB215_1047:
	s_andn2_b64 vcc, exec, s[62:63]
	s_cbranch_vccnz .LBB215_1049
; %bb.1048:
	v_cndmask_b32_e64 v2, 0, 1.0, s[60:61]
	v_cvt_f16_f32_e32 v2, v2
	global_store_dword v[0:1], v2, off
.LBB215_1049:
	s_mov_b64 s[62:63], 0
.LBB215_1050:
	s_andn2_b64 vcc, exec, s[62:63]
	s_cbranch_vccnz .LBB215_1059
; %bb.1051:
	s_cmp_lt_i32 s14, 6
	s_mov_b64 s[62:63], -1
	s_cbranch_scc1 .LBB215_1057
; %bb.1052:
	s_cmp_gt_i32 s14, 6
	s_cbranch_scc0 .LBB215_1054
; %bb.1053:
	v_cndmask_b32_e64 v2, 0, 1, s[60:61]
	v_cvt_f64_u32_e32 v[2:3], v2
	s_mov_b64 s[62:63], 0
	global_store_dwordx2 v[0:1], v[2:3], off
.LBB215_1054:
	s_andn2_b64 vcc, exec, s[62:63]
	s_cbranch_vccnz .LBB215_1056
; %bb.1055:
	v_cndmask_b32_e64 v2, 0, 1.0, s[60:61]
	global_store_dword v[0:1], v2, off
.LBB215_1056:
	s_mov_b64 s[62:63], 0
.LBB215_1057:
	s_andn2_b64 vcc, exec, s[62:63]
	s_cbranch_vccnz .LBB215_1059
; %bb.1058:
	v_cndmask_b32_e64 v2, 0, 1.0, s[60:61]
	v_cvt_f16_f32_e32 v2, v2
	global_store_short v[0:1], v2, off
.LBB215_1059:
	s_mov_b64 s[62:63], 0
.LBB215_1060:
	s_andn2_b64 vcc, exec, s[62:63]
	s_cbranch_vccnz .LBB215_1076
; %bb.1061:
	s_cmp_lt_i32 s14, 2
	s_mov_b64 s[62:63], -1
	s_cbranch_scc1 .LBB215_1071
; %bb.1062:
	s_cmp_lt_i32 s14, 3
	s_cbranch_scc1 .LBB215_1068
; %bb.1063:
	s_cmp_gt_i32 s14, 3
	s_cbranch_scc0 .LBB215_1065
; %bb.1064:
	s_mov_b32 s62, 0
	v_cndmask_b32_e64 v2, 0, 1, s[60:61]
	v_mov_b32_e32 v3, s62
	s_mov_b64 s[62:63], 0
	global_store_dwordx2 v[0:1], v[2:3], off
.LBB215_1065:
	s_andn2_b64 vcc, exec, s[62:63]
	s_cbranch_vccnz .LBB215_1067
; %bb.1066:
	v_cndmask_b32_e64 v2, 0, 1, s[60:61]
	global_store_dword v[0:1], v2, off
.LBB215_1067:
	s_mov_b64 s[62:63], 0
.LBB215_1068:
	s_andn2_b64 vcc, exec, s[62:63]
	s_cbranch_vccnz .LBB215_1070
; %bb.1069:
	v_cndmask_b32_e64 v2, 0, 1, s[60:61]
	global_store_short v[0:1], v2, off
.LBB215_1070:
	s_mov_b64 s[62:63], 0
.LBB215_1071:
	s_andn2_b64 vcc, exec, s[62:63]
	s_cbranch_vccnz .LBB215_1076
; %bb.1072:
	s_mov_b64 s[62:63], -1
	s_cmp_gt_i32 s14, 0
	v_cndmask_b32_e64 v2, 0, 1, s[60:61]
	s_cbranch_scc0 .LBB215_1074
; %bb.1073:
	s_mov_b64 s[62:63], 0
	global_store_byte v[0:1], v2, off
.LBB215_1074:
	s_andn2_b64 vcc, exec, s[62:63]
	s_cbranch_vccnz .LBB215_1076
; %bb.1075:
	global_store_byte v[0:1], v2, off
.LBB215_1076:
	s_mov_b64 s[62:63], -1
.LBB215_1077:
	s_mov_b64 s[64:65], 0
	s_andn2_b64 vcc, exec, s[62:63]
	s_mov_b64 s[66:67], 0
	s_cbranch_vccnz .LBB215_1079
; %bb.1078:
	v_add_u32_e32 v8, 0x80, v8
	s_mov_b64 s[66:67], -1
.LBB215_1079:
	s_andn2_b64 s[60:61], s[52:53], exec
	s_and_b64 s[0:1], s[0:1], exec
	s_or_b64 s[62:63], s[60:61], s[0:1]
	s_andn2_b64 s[0:1], s[50:51], exec
	s_and_b64 s[60:61], s[64:65], exec
	s_or_b64 s[60:61], s[0:1], s[60:61]
	;; [unrolled: 3-line block ×3, first 2 shown]
	s_orn2_b64 s[70:71], s[66:67], exec
.LBB215_1080:
	s_or_b64 exec, exec, s[56:57]
	s_mov_b64 s[64:65], 0
	s_mov_b64 s[66:67], 0
	;; [unrolled: 1-line block ×3, first 2 shown]
                                        ; implicit-def: $sgpr56_sgpr57
                                        ; implicit-def: $sgpr14
                                        ; implicit-def: $vgpr3_vgpr4
                                        ; implicit-def: $vgpr0
                                        ; implicit-def: $vgpr2
	s_and_saveexec_b64 s[58:59], s[70:71]
	s_cbranch_execz .LBB215_1156
; %bb.1081:
	v_cmp_gt_i32_e32 vcc, s72, v8
	s_mov_b64 s[70:71], 0
	s_mov_b64 s[72:73], s[0:1]
                                        ; implicit-def: $sgpr56_sgpr57
                                        ; implicit-def: $sgpr14
                                        ; implicit-def: $vgpr3_vgpr4
                                        ; implicit-def: $vgpr0
                                        ; implicit-def: $vgpr2
	s_and_saveexec_b64 s[64:65], vcc
	s_cbranch_execz .LBB215_1155
; %bb.1082:
	s_andn2_b64 vcc, exec, s[24:25]
	s_cbranch_vccnz .LBB215_1088
; %bb.1083:
	s_andn2_b64 vcc, exec, s[38:39]
	s_cbranch_vccnz .LBB215_1089
; %bb.1084:
	s_add_i32 s14, s77, 1
	s_and_b32 s14, s14, 30
	s_add_u32 s38, s2, 0xffffffe8
	s_addc_u32 s39, s3, -1
	v_mov_b32_e32 v2, 0
	v_mov_b32_e32 v4, 0
	;; [unrolled: 1-line block ×4, first 2 shown]
.LBB215_1085:                           ; =>This Inner Loop Header: Depth=1
	s_load_dwordx4 s[68:71], s[38:39], 0x1c
	s_load_dwordx2 s[56:57], s[38:39], 0x2c
	s_load_dwordx2 s[66:67], s[38:39], 0xec
	s_load_dwordx4 s[80:83], s[38:39], 0xdc
	s_add_u32 s38, s38, 24
	s_waitcnt lgkmcnt(0)
	v_mul_hi_u32 v3, s69, v1
	s_addc_u32 s39, s39, 0
	s_add_i32 s14, s14, -2
	s_cmp_eq_u32 s14, 0
	v_add_u32_e32 v3, v1, v3
	v_lshrrev_b32_e32 v3, s70, v3
	v_mul_lo_u32 v5, v3, s68
	v_mul_hi_u32 v6, s56, v3
	v_sub_u32_e32 v5, v1, v5
	v_add_u32_e32 v1, v3, v6
	v_lshrrev_b32_e32 v1, s57, v1
	v_mul_lo_u32 v9, v1, s71
	v_mul_lo_u32 v6, v5, s80
	;; [unrolled: 1-line block ×4, first 2 shown]
	v_sub_u32_e32 v3, v3, v9
	v_mul_lo_u32 v9, v3, s83
	v_mul_lo_u32 v10, v3, s66
	;; [unrolled: 1-line block ×3, first 2 shown]
	v_add3_u32 v0, v6, v0, v9
	v_add3_u32 v4, v7, v4, v10
	;; [unrolled: 1-line block ×3, first 2 shown]
	s_cbranch_scc0 .LBB215_1085
; %bb.1086:
	s_bitcmp1_b32 s77, 0
	s_cselect_b64 s[56:57], -1, 0
	s_and_b64 vcc, exec, s[56:57]
	s_cbranch_vccnz .LBB215_1090
; %bb.1087:
	s_load_dwordx2 s[56:57], s[38:39], 0x1c
	s_load_dword s14, s[38:39], 0x24
	s_load_dwordx2 s[66:67], s[38:39], 0xdc
	s_waitcnt lgkmcnt(0)
	v_mul_hi_u32 v3, s57, v1
	v_add_u32_e32 v3, v1, v3
	v_lshrrev_b32_e32 v3, s14, v3
	v_mul_lo_u32 v3, v3, s56
	s_load_dword s14, s[38:39], 0xe4
	v_sub_u32_e32 v3, v1, v3
	v_mad_u64_u32 v[0:1], s[38:39], v3, s66, v[0:1]
	v_mad_u64_u32 v[4:5], s[38:39], v3, s67, v[4:5]
	s_waitcnt lgkmcnt(0)
	v_mad_u64_u32 v[2:3], s[38:39], v3, s14, v[2:3]
	s_branch .LBB215_1090
.LBB215_1088:
	s_mov_b64 s[38:39], -1
                                        ; implicit-def: $vgpr0
                                        ; implicit-def: $vgpr4
                                        ; implicit-def: $vgpr2
	s_branch .LBB215_1091
.LBB215_1089:
	v_mov_b32_e32 v0, 0
	v_mov_b32_e32 v4, 0
	;; [unrolled: 1-line block ×3, first 2 shown]
.LBB215_1090:
	s_mov_b64 s[38:39], 0
.LBB215_1091:
	s_andn2_b64 vcc, exec, s[38:39]
	s_cbranch_vccnz .LBB215_1094
; %bb.1092:
	v_mul_hi_u32 v0, s17, v8
	s_andn2_b64 vcc, exec, s[36:37]
	v_add_u32_e32 v0, v8, v0
	v_lshrrev_b32_e32 v1, s18, v0
	v_mul_lo_u32 v0, v1, s16
	v_sub_u32_e32 v2, v8, v0
	v_mul_lo_u32 v0, v2, s20
	v_mul_lo_u32 v4, v2, s21
	;; [unrolled: 1-line block ×3, first 2 shown]
	s_cbranch_vccnz .LBB215_1094
; %bb.1093:
	v_mul_hi_u32 v3, s34, v1
	v_add_u32_e32 v3, v1, v3
	v_lshrrev_b32_e32 v3, s35, v3
	v_mul_lo_u32 v3, v3, s19
	v_sub_u32_e32 v3, v1, v3
	v_mad_u64_u32 v[0:1], s[16:17], v3, s23, v[0:1]
	v_mad_u64_u32 v[4:5], s[16:17], v3, s30, v[4:5]
	;; [unrolled: 1-line block ×3, first 2 shown]
.LBB215_1094:
	v_mov_b32_e32 v1, s11
	s_and_b32 s14, s76, 0xff
	v_add_co_u32_e32 v3, vcc, s10, v4
	s_cmp_lt_i32 s14, 11
	v_addc_co_u32_e32 v4, vcc, 0, v1, vcc
	s_cbranch_scc1 .LBB215_1101
; %bb.1095:
	s_and_b32 s22, 0xffff, s14
	s_cmp_gt_i32 s22, 25
	s_mov_b64 s[16:17], 0
	s_cbranch_scc0 .LBB215_1102
; %bb.1096:
	s_cmp_gt_i32 s22, 28
	s_cbranch_scc0 .LBB215_1103
; %bb.1097:
	s_cmp_gt_i32 s22, 43
	;; [unrolled: 3-line block ×3, first 2 shown]
	s_cbranch_scc0 .LBB215_1105
; %bb.1099:
	s_cmp_eq_u32 s22, 46
	s_mov_b64 s[20:21], 0
	s_cbranch_scc0 .LBB215_1108
; %bb.1100:
	global_load_dword v1, v[3:4], off
	s_mov_b64 s[10:11], 0
	s_mov_b64 s[18:19], -1
	s_waitcnt vmcnt(0)
	v_and_b32_e32 v1, 0x7fff7fff, v1
	v_cmp_ne_u32_e64 s[56:57], 0, v1
	s_branch .LBB215_1109
.LBB215_1101:
	s_mov_b64 s[20:21], -1
	s_mov_b64 s[18:19], 0
	s_mov_b64 s[16:17], 0
	;; [unrolled: 1-line block ×3, first 2 shown]
                                        ; implicit-def: $sgpr56_sgpr57
	s_branch .LBB215_1154
.LBB215_1102:
	s_mov_b64 s[20:21], -1
	s_mov_b64 s[18:19], 0
	s_mov_b64 s[10:11], s[0:1]
                                        ; implicit-def: $sgpr56_sgpr57
	s_branch .LBB215_1130
.LBB215_1103:
	s_mov_b64 s[20:21], -1
	s_mov_b64 s[18:19], 0
	s_mov_b64 s[10:11], s[0:1]
                                        ; implicit-def: $sgpr56_sgpr57
	s_branch .LBB215_1117
.LBB215_1104:
	s_mov_b64 s[20:21], -1
	s_mov_b64 s[18:19], 0
	s_mov_b64 s[10:11], s[0:1]
                                        ; implicit-def: $sgpr56_sgpr57
	s_branch .LBB215_1112
.LBB215_1105:
	s_mov_b64 s[20:21], -1
	s_mov_b64 s[18:19], 0
	s_mov_b64 s[10:11], s[0:1]
                                        ; implicit-def: $sgpr56_sgpr57
	s_branch .LBB215_1109
.LBB215_1106:
	s_andn2_saveexec_b64 s[66:67], s[66:67]
	s_cbranch_execz .LBB215_990
.LBB215_1107:
	v_add_f32_e32 v2, 0x46000000, v3
	v_and_b32_e32 v2, 0xff, v2
	v_cmp_ne_u32_e32 vcc, 0, v2
	s_andn2_b64 s[64:65], s[64:65], exec
	s_and_b64 s[70:71], vcc, exec
	s_or_b64 s[64:65], s[64:65], s[70:71]
	s_or_b64 exec, exec, s[66:67]
	v_mov_b32_e32 v4, 0
	s_and_saveexec_b64 s[66:67], s[64:65]
	s_cbranch_execnz .LBB215_991
	s_branch .LBB215_992
.LBB215_1108:
	s_mov_b64 s[10:11], -1
                                        ; implicit-def: $sgpr56_sgpr57
	s_mov_b64 s[18:19], 0
.LBB215_1109:
	s_and_b64 vcc, exec, s[20:21]
	s_cbranch_vccz .LBB215_1111
; %bb.1110:
	s_cmp_lg_u32 s22, 44
	s_cselect_b64 s[20:21], -1, 0
	s_andn2_b64 s[10:11], s[10:11], exec
	s_and_b64 s[20:21], s[20:21], exec
	s_mov_b64 s[18:19], -1
	s_or_b64 s[56:57], s[56:57], exec
	s_or_b64 s[10:11], s[10:11], s[20:21]
.LBB215_1111:
	s_mov_b64 s[20:21], 0
.LBB215_1112:
	s_and_b64 vcc, exec, s[20:21]
	s_cbranch_vccz .LBB215_1116
; %bb.1113:
	s_cmp_eq_u32 s22, 29
	s_cbranch_scc0 .LBB215_1115
; %bb.1114:
	global_load_dwordx2 v[5:6], v[3:4], off
	s_mov_b64 s[10:11], 0
	s_mov_b64 s[18:19], -1
	s_mov_b64 s[20:21], 0
	s_waitcnt vmcnt(0)
	v_cmp_ne_u64_e64 s[56:57], 0, v[5:6]
	s_branch .LBB215_1117
.LBB215_1115:
	s_mov_b64 s[10:11], -1
                                        ; implicit-def: $sgpr56_sgpr57
.LBB215_1116:
	s_mov_b64 s[20:21], 0
.LBB215_1117:
	s_and_b64 vcc, exec, s[20:21]
	s_cbranch_vccz .LBB215_1129
; %bb.1118:
	s_cmp_lt_i32 s22, 27
	s_cbranch_scc1 .LBB215_1121
; %bb.1119:
	s_cmp_gt_i32 s22, 27
	s_cbranch_scc0 .LBB215_1122
; %bb.1120:
	global_load_dword v1, v[3:4], off
	s_mov_b64 s[18:19], 0
	s_waitcnt vmcnt(0)
	v_cmp_ne_u32_e64 s[56:57], 0, v1
	s_branch .LBB215_1123
.LBB215_1121:
	s_mov_b64 s[18:19], -1
                                        ; implicit-def: $sgpr56_sgpr57
	s_branch .LBB215_1126
.LBB215_1122:
	s_mov_b64 s[18:19], -1
                                        ; implicit-def: $sgpr56_sgpr57
.LBB215_1123:
	s_andn2_b64 vcc, exec, s[18:19]
	s_cbranch_vccnz .LBB215_1125
; %bb.1124:
	global_load_ushort v1, v[3:4], off
	s_andn2_b64 s[18:19], s[56:57], exec
	s_waitcnt vmcnt(0)
	v_cmp_ne_u16_e32 vcc, 0, v1
	s_and_b64 s[20:21], vcc, exec
	s_or_b64 s[56:57], s[18:19], s[20:21]
.LBB215_1125:
	s_mov_b64 s[18:19], 0
.LBB215_1126:
	s_andn2_b64 vcc, exec, s[18:19]
	s_cbranch_vccnz .LBB215_1128
; %bb.1127:
	global_load_ubyte v1, v[3:4], off
	s_andn2_b64 s[18:19], s[56:57], exec
	s_waitcnt vmcnt(0)
	v_cmp_ne_u16_e32 vcc, 0, v1
	s_and_b64 s[20:21], vcc, exec
	s_or_b64 s[56:57], s[18:19], s[20:21]
.LBB215_1128:
	s_mov_b64 s[18:19], -1
.LBB215_1129:
	s_mov_b64 s[20:21], 0
.LBB215_1130:
	s_and_b64 vcc, exec, s[20:21]
	s_cbranch_vccz .LBB215_1153
; %bb.1131:
	s_cmp_gt_i32 s22, 22
	s_cbranch_scc0 .LBB215_1135
; %bb.1132:
	s_cmp_lt_i32 s22, 24
	s_cbranch_scc1 .LBB215_1136
; %bb.1133:
	s_cmp_gt_i32 s22, 24
	s_cbranch_scc0 .LBB215_1137
; %bb.1134:
	global_load_ubyte v1, v[3:4], off
	s_waitcnt vmcnt(0)
	v_cmp_ne_u16_e64 s[56:57], 0, v1
	s_branch .LBB215_1138
.LBB215_1135:
	s_mov_b64 s[16:17], -1
                                        ; implicit-def: $sgpr56_sgpr57
	s_branch .LBB215_1144
.LBB215_1136:
	s_mov_b64 s[16:17], -1
                                        ; implicit-def: $sgpr56_sgpr57
	s_branch .LBB215_1141
.LBB215_1137:
	s_mov_b64 s[16:17], -1
                                        ; implicit-def: $sgpr56_sgpr57
.LBB215_1138:
	s_andn2_b64 vcc, exec, s[16:17]
	s_cbranch_vccnz .LBB215_1140
; %bb.1139:
	global_load_ubyte v1, v[3:4], off
	s_andn2_b64 s[16:17], s[56:57], exec
	s_waitcnt vmcnt(0)
	v_and_b32_e32 v1, 0x7f, v1
	v_cmp_ne_u16_e32 vcc, 0, v1
	s_and_b64 s[18:19], vcc, exec
	s_or_b64 s[56:57], s[16:17], s[18:19]
.LBB215_1140:
	s_mov_b64 s[16:17], 0
.LBB215_1141:
	s_andn2_b64 vcc, exec, s[16:17]
	s_cbranch_vccnz .LBB215_1143
; %bb.1142:
	global_load_ubyte v1, v[3:4], off
	s_movk_i32 s16, 0x7f00
	s_brev_b32 s17, 16
	s_waitcnt vmcnt(0)
	v_lshlrev_b32_e32 v5, 8, v1
	v_lshlrev_b32_e32 v1, 25, v1
	v_lshrrev_b32_e32 v6, 4, v1
	v_and_or_b32 v5, v5, s16, 0.5
	v_or_b32_e32 v6, 0x70000000, v6
	v_add_f32_e32 v5, -0.5, v5
	v_mul_f32_e32 v6, 0x7800000, v6
	v_cmp_gt_u32_e32 vcc, s17, v1
	v_cndmask_b32_e32 v1, v6, v5, vcc
	v_cmp_neq_f32_e32 vcc, 0, v1
	s_andn2_b64 s[16:17], s[56:57], exec
	s_and_b64 s[18:19], vcc, exec
	s_or_b64 s[56:57], s[16:17], s[18:19]
.LBB215_1143:
	s_mov_b64 s[16:17], 0
	s_mov_b64 s[18:19], -1
.LBB215_1144:
	s_andn2_b64 vcc, exec, s[16:17]
	s_mov_b64 s[16:17], 0
	s_cbranch_vccnz .LBB215_1153
; %bb.1145:
	s_cmp_gt_i32 s22, 14
	s_cbranch_scc0 .LBB215_1148
; %bb.1146:
	s_cmp_eq_u32 s22, 15
	s_cbranch_scc0 .LBB215_1149
; %bb.1147:
	global_load_ushort v1, v[3:4], off
	s_mov_b64 s[10:11], 0
	s_mov_b64 s[18:19], -1
	s_waitcnt vmcnt(0)
	v_and_b32_e32 v1, 0x7fff, v1
	v_cmp_ne_u16_e64 s[56:57], 0, v1
	s_branch .LBB215_1150
.LBB215_1148:
	s_mov_b64 s[20:21], -1
                                        ; implicit-def: $sgpr56_sgpr57
	s_branch .LBB215_1151
.LBB215_1149:
	s_mov_b64 s[10:11], -1
                                        ; implicit-def: $sgpr56_sgpr57
.LBB215_1150:
	s_mov_b64 s[20:21], 0
.LBB215_1151:
	s_and_b64 vcc, exec, s[20:21]
	s_cbranch_vccz .LBB215_1153
; %bb.1152:
	s_cmp_lg_u32 s22, 11
	s_cselect_b64 s[20:21], -1, 0
	s_andn2_b64 s[10:11], s[10:11], exec
	s_and_b64 s[20:21], s[20:21], exec
	s_mov_b64 s[16:17], -1
	s_or_b64 s[10:11], s[10:11], s[20:21]
.LBB215_1153:
	s_mov_b64 s[20:21], 0
.LBB215_1154:
	s_and_b64 s[70:71], s[16:17], exec
	s_andn2_b64 s[16:17], s[0:1], exec
	s_and_b64 s[10:11], s[10:11], exec
	s_and_b64 s[68:69], s[18:19], exec
	;; [unrolled: 1-line block ×3, first 2 shown]
	s_or_b64 s[72:73], s[16:17], s[10:11]
.LBB215_1155:
	s_or_b64 exec, exec, s[64:65]
	s_andn2_b64 s[0:1], s[0:1], exec
	s_and_b64 s[10:11], s[72:73], exec
	s_and_b64 s[68:69], s[68:69], exec
	;; [unrolled: 1-line block ×4, first 2 shown]
	s_or_b64 s[0:1], s[0:1], s[10:11]
.LBB215_1156:
	s_or_b64 exec, exec, s[58:59]
	s_andn2_b64 s[10:11], s[52:53], exec
	s_and_b64 s[16:17], s[62:63], exec
	s_or_b64 s[52:53], s[10:11], s[16:17]
	s_andn2_b64 s[10:11], s[50:51], exec
	s_and_b64 s[16:17], s[60:61], exec
	s_or_b64 s[50:51], s[10:11], s[16:17]
	s_andn2_b64 s[10:11], s[48:49], exec
	s_and_b64 s[0:1], s[0:1], exec
	s_and_b64 s[62:63], s[68:69], exec
	s_and_b64 s[60:61], s[66:67], exec
	s_and_b64 s[58:59], s[64:65], exec
	s_or_b64 s[48:49], s[10:11], s[0:1]
.LBB215_1157:
	s_or_b64 exec, exec, s[54:55]
	s_andn2_b64 s[0:1], s[40:41], exec
	s_and_b64 s[10:11], s[52:53], exec
	s_or_b64 s[40:41], s[0:1], s[10:11]
	s_andn2_b64 s[0:1], s[42:43], exec
	s_and_b64 s[10:11], s[50:51], exec
	s_or_b64 s[42:43], s[0:1], s[10:11]
	s_andn2_b64 s[10:11], s[44:45], exec
	s_and_b64 s[16:17], s[48:49], exec
	s_and_b64 s[52:53], s[62:63], exec
	;; [unrolled: 1-line block ×4, first 2 shown]
	s_or_b64 s[44:45], s[10:11], s[16:17]
	s_or_b64 exec, exec, s[46:47]
	s_mov_b64 s[10:11], 0
	s_and_saveexec_b64 s[16:17], s[44:45]
	s_cbranch_execz .LBB215_364
.LBB215_1158:
	s_mov_b64 s[10:11], exec
	s_andn2_b64 s[52:53], s[52:53], exec
	s_andn2_b64 s[50:51], s[50:51], exec
	s_trap 2
	s_or_b64 exec, exec, s[16:17]
	s_and_saveexec_b64 s[16:17], s[50:51]
	s_xor_b64 s[16:17], exec, s[16:17]
	s_cbranch_execnz .LBB215_365
.LBB215_1159:
	s_or_b64 exec, exec, s[16:17]
	s_and_saveexec_b64 s[16:17], s[0:1]
	s_cbranch_execz .LBB215_1205
.LBB215_1160:
	s_sext_i32_i16 s0, s14
	s_cmp_lt_i32 s0, 5
	s_cbranch_scc1 .LBB215_1165
; %bb.1161:
	s_cmp_lt_i32 s0, 8
	s_cbranch_scc1 .LBB215_1166
; %bb.1162:
	;; [unrolled: 3-line block ×3, first 2 shown]
	s_cmp_gt_i32 s0, 9
	s_cbranch_scc0 .LBB215_1168
; %bb.1164:
	global_load_dwordx4 v[5:8], v[3:4], off
	s_mov_b64 s[18:19], 0
	s_waitcnt vmcnt(0)
	v_cmp_neq_f64_e32 vcc, 0, v[5:6]
	v_cmp_neq_f64_e64 s[0:1], 0, v[7:8]
	s_or_b64 s[0:1], vcc, s[0:1]
	s_branch .LBB215_1169
.LBB215_1165:
                                        ; implicit-def: $sgpr0_sgpr1
	s_branch .LBB215_1186
.LBB215_1166:
                                        ; implicit-def: $sgpr0_sgpr1
	s_branch .LBB215_1175
.LBB215_1167:
	s_mov_b64 s[18:19], -1
                                        ; implicit-def: $sgpr0_sgpr1
	s_branch .LBB215_1172
.LBB215_1168:
	s_mov_b64 s[18:19], -1
                                        ; implicit-def: $sgpr0_sgpr1
.LBB215_1169:
	s_andn2_b64 vcc, exec, s[18:19]
	s_cbranch_vccnz .LBB215_1171
; %bb.1170:
	global_load_dwordx2 v[5:6], v[3:4], off
	s_andn2_b64 s[0:1], s[0:1], exec
	s_waitcnt vmcnt(0)
	v_or_b32_e32 v1, v5, v6
	v_and_b32_e32 v1, 0x7fffffff, v1
	v_cmp_ne_u32_e32 vcc, 0, v1
	s_and_b64 s[18:19], vcc, exec
	s_or_b64 s[0:1], s[0:1], s[18:19]
.LBB215_1171:
	s_mov_b64 s[18:19], 0
.LBB215_1172:
	s_andn2_b64 vcc, exec, s[18:19]
	s_cbranch_vccnz .LBB215_1174
; %bb.1173:
	global_load_dword v1, v[3:4], off
	s_andn2_b64 s[0:1], s[0:1], exec
	s_waitcnt vmcnt(0)
	v_and_b32_e32 v1, 0x7fff7fff, v1
	v_cmp_ne_u32_e32 vcc, 0, v1
	s_and_b64 s[18:19], vcc, exec
	s_or_b64 s[0:1], s[0:1], s[18:19]
.LBB215_1174:
	s_cbranch_execnz .LBB215_1185
.LBB215_1175:
	s_sext_i32_i16 s0, s14
	s_cmp_lt_i32 s0, 6
	s_cbranch_scc1 .LBB215_1178
; %bb.1176:
	s_cmp_gt_i32 s0, 6
	s_cbranch_scc0 .LBB215_1179
; %bb.1177:
	global_load_dwordx2 v[5:6], v[3:4], off
	s_mov_b64 s[18:19], 0
	s_waitcnt vmcnt(0)
	v_cmp_neq_f64_e64 s[0:1], 0, v[5:6]
	s_branch .LBB215_1180
.LBB215_1178:
	s_mov_b64 s[18:19], -1
                                        ; implicit-def: $sgpr0_sgpr1
	s_branch .LBB215_1183
.LBB215_1179:
	s_mov_b64 s[18:19], -1
                                        ; implicit-def: $sgpr0_sgpr1
.LBB215_1180:
	s_andn2_b64 vcc, exec, s[18:19]
	s_cbranch_vccnz .LBB215_1182
; %bb.1181:
	global_load_dword v1, v[3:4], off
	s_andn2_b64 s[0:1], s[0:1], exec
	s_waitcnt vmcnt(0)
	v_cmp_neq_f32_e32 vcc, 0, v1
	s_and_b64 s[18:19], vcc, exec
	s_or_b64 s[0:1], s[0:1], s[18:19]
.LBB215_1182:
	s_mov_b64 s[18:19], 0
.LBB215_1183:
	s_andn2_b64 vcc, exec, s[18:19]
	s_cbranch_vccnz .LBB215_1185
; %bb.1184:
	global_load_ushort v1, v[3:4], off
	s_andn2_b64 s[0:1], s[0:1], exec
	s_waitcnt vmcnt(0)
	v_and_b32_e32 v1, 0x7fff, v1
	v_cmp_ne_u16_e32 vcc, 0, v1
	s_and_b64 s[18:19], vcc, exec
	s_or_b64 s[0:1], s[0:1], s[18:19]
.LBB215_1185:
	s_cbranch_execnz .LBB215_1204
.LBB215_1186:
	s_sext_i32_i16 s0, s14
	s_cmp_lt_i32 s0, 2
	s_cbranch_scc1 .LBB215_1190
; %bb.1187:
	s_cmp_lt_i32 s0, 3
	s_cbranch_scc1 .LBB215_1191
; %bb.1188:
	s_cmp_gt_i32 s0, 3
	s_cbranch_scc0 .LBB215_1192
; %bb.1189:
	global_load_dwordx2 v[5:6], v[3:4], off
	s_mov_b64 s[18:19], 0
	s_waitcnt vmcnt(0)
	v_cmp_ne_u64_e64 s[0:1], 0, v[5:6]
	s_branch .LBB215_1193
.LBB215_1190:
                                        ; implicit-def: $sgpr0_sgpr1
	s_branch .LBB215_1199
.LBB215_1191:
	s_mov_b64 s[18:19], -1
                                        ; implicit-def: $sgpr0_sgpr1
	s_branch .LBB215_1196
.LBB215_1192:
	s_mov_b64 s[18:19], -1
                                        ; implicit-def: $sgpr0_sgpr1
.LBB215_1193:
	s_andn2_b64 vcc, exec, s[18:19]
	s_cbranch_vccnz .LBB215_1195
; %bb.1194:
	global_load_dword v1, v[3:4], off
	s_andn2_b64 s[0:1], s[0:1], exec
	s_waitcnt vmcnt(0)
	v_cmp_ne_u32_e32 vcc, 0, v1
	s_and_b64 s[18:19], vcc, exec
	s_or_b64 s[0:1], s[0:1], s[18:19]
.LBB215_1195:
	s_mov_b64 s[18:19], 0
.LBB215_1196:
	s_andn2_b64 vcc, exec, s[18:19]
	s_cbranch_vccnz .LBB215_1198
; %bb.1197:
	global_load_ushort v1, v[3:4], off
	s_andn2_b64 s[0:1], s[0:1], exec
	s_waitcnt vmcnt(0)
	v_cmp_ne_u16_e32 vcc, 0, v1
	s_and_b64 s[18:19], vcc, exec
	s_or_b64 s[0:1], s[0:1], s[18:19]
.LBB215_1198:
	s_cbranch_execnz .LBB215_1204
.LBB215_1199:
	s_sext_i32_i16 s0, s14
	s_cmp_gt_i32 s0, 0
	s_cbranch_scc0 .LBB215_1201
; %bb.1200:
	global_load_ubyte v1, v[3:4], off
	s_mov_b64 s[18:19], 0
	s_waitcnt vmcnt(0)
	v_cmp_ne_u16_e64 s[0:1], 0, v1
	s_branch .LBB215_1202
.LBB215_1201:
	s_mov_b64 s[18:19], -1
                                        ; implicit-def: $sgpr0_sgpr1
.LBB215_1202:
	s_andn2_b64 vcc, exec, s[18:19]
	s_cbranch_vccnz .LBB215_1204
; %bb.1203:
	global_load_ubyte v1, v[3:4], off
	s_andn2_b64 s[0:1], s[0:1], exec
	s_waitcnt vmcnt(0)
	v_cmp_ne_u16_e32 vcc, 0, v1
	s_and_b64 s[18:19], vcc, exec
	s_or_b64 s[0:1], s[0:1], s[18:19]
.LBB215_1204:
	s_andn2_b64 s[18:19], s[56:57], exec
	s_and_b64 s[0:1], s[0:1], exec
	s_or_b64 s[56:57], s[18:19], s[0:1]
	s_or_b64 s[52:53], s[52:53], exec
.LBB215_1205:
	s_or_b64 exec, exec, s[16:17]
	s_mov_b64 s[18:19], 0
	s_mov_b64 s[22:23], 0
	;; [unrolled: 1-line block ×3, first 2 shown]
                                        ; implicit-def: $sgpr16_sgpr17
                                        ; implicit-def: $sgpr14
                                        ; implicit-def: $vgpr3_vgpr4
	s_and_saveexec_b64 s[0:1], s[52:53]
	s_cbranch_execz .LBB215_1213
; %bb.1206:
	v_mov_b32_e32 v1, s13
	s_and_b32 s14, s75, 0xff
	v_add_co_u32_e32 v3, vcc, s12, v2
	s_cmp_lt_i32 s14, 11
	v_addc_co_u32_e32 v4, vcc, 0, v1, vcc
	s_cbranch_scc1 .LBB215_1216
; %bb.1207:
	s_and_b32 s30, 0xffff, s14
	s_cmp_gt_i32 s30, 25
	s_cbranch_scc0 .LBB215_1217
; %bb.1208:
	s_cmp_gt_i32 s30, 28
	s_cbranch_scc0 .LBB215_1218
; %bb.1209:
	;; [unrolled: 3-line block ×4, first 2 shown]
	s_cmp_eq_u32 s30, 46
	s_cbranch_scc0 .LBB215_1221
; %bb.1212:
	global_load_dword v1, v[3:4], off
	s_mov_b64 s[12:13], 0
	s_mov_b64 s[20:21], -1
	s_waitcnt vmcnt(0)
	v_and_b32_e32 v1, 0x7fff7fff, v1
	v_cmp_ne_u32_e64 s[16:17], 0, v1
	s_branch .LBB215_1223
.LBB215_1213:
	s_or_b64 exec, exec, s[0:1]
	s_and_saveexec_b64 s[0:1], s[42:43]
	s_cbranch_execnz .LBB215_1268
.LBB215_1214:
	s_or_b64 exec, exec, s[0:1]
	s_and_saveexec_b64 s[0:1], s[18:19]
	s_xor_b64 s[0:1], exec, s[0:1]
	s_cbranch_execz .LBB215_1269
.LBB215_1215:
	global_load_ubyte v1, v[3:4], off
	s_andn2_b64 s[12:13], s[16:17], exec
	s_or_b64 s[20:21], s[20:21], exec
	s_waitcnt vmcnt(0)
	v_cmp_ne_u16_e32 vcc, 0, v1
	s_and_b64 s[16:17], vcc, exec
	s_or_b64 s[16:17], s[12:13], s[16:17]
	s_or_b64 exec, exec, s[0:1]
	s_and_saveexec_b64 s[12:13], s[22:23]
	s_cbranch_execz .LBB215_1315
	s_branch .LBB215_1270
.LBB215_1216:
	s_mov_b64 s[22:23], -1
                                        ; implicit-def: $sgpr16_sgpr17
	s_mov_b64 s[12:13], s[42:43]
	s_branch .LBB215_1267
.LBB215_1217:
	s_mov_b64 s[12:13], s[42:43]
                                        ; implicit-def: $sgpr16_sgpr17
	s_cbranch_execnz .LBB215_1244
	s_branch .LBB215_1266
.LBB215_1218:
	s_mov_b64 s[22:23], -1
	s_mov_b64 s[12:13], s[42:43]
                                        ; implicit-def: $sgpr16_sgpr17
	s_branch .LBB215_1231
.LBB215_1219:
	s_mov_b64 s[22:23], -1
	s_mov_b64 s[12:13], s[42:43]
                                        ; implicit-def: $sgpr16_sgpr17
	s_branch .LBB215_1226
.LBB215_1220:
	s_mov_b64 s[22:23], -1
	s_mov_b64 s[12:13], s[42:43]
	s_branch .LBB215_1222
.LBB215_1221:
	s_mov_b64 s[12:13], -1
.LBB215_1222:
                                        ; implicit-def: $sgpr16_sgpr17
.LBB215_1223:
	s_and_b64 vcc, exec, s[22:23]
	s_cbranch_vccz .LBB215_1225
; %bb.1224:
	s_cmp_lg_u32 s30, 44
	s_cselect_b64 s[22:23], -1, 0
	s_andn2_b64 s[12:13], s[12:13], exec
	s_and_b64 s[22:23], s[22:23], exec
	s_mov_b64 s[20:21], -1
	s_or_b64 s[16:17], s[16:17], exec
	s_or_b64 s[12:13], s[12:13], s[22:23]
.LBB215_1225:
	s_mov_b64 s[22:23], 0
.LBB215_1226:
	s_and_b64 vcc, exec, s[22:23]
	s_cbranch_vccz .LBB215_1230
; %bb.1227:
	s_cmp_eq_u32 s30, 29
	s_cbranch_scc0 .LBB215_1229
; %bb.1228:
	global_load_dwordx2 v[1:2], v[3:4], off
	s_mov_b64 s[12:13], 0
	s_mov_b64 s[20:21], -1
	s_mov_b64 s[22:23], 0
	s_waitcnt vmcnt(0)
	v_cmp_ne_u64_e64 s[16:17], 0, v[1:2]
	s_branch .LBB215_1231
.LBB215_1229:
	s_mov_b64 s[12:13], -1
                                        ; implicit-def: $sgpr16_sgpr17
.LBB215_1230:
	s_mov_b64 s[22:23], 0
.LBB215_1231:
	s_and_b64 vcc, exec, s[22:23]
	s_cbranch_vccz .LBB215_1243
; %bb.1232:
	s_cmp_lt_i32 s30, 27
	s_cbranch_scc1 .LBB215_1235
; %bb.1233:
	s_cmp_gt_i32 s30, 27
	s_cbranch_scc0 .LBB215_1236
; %bb.1234:
	global_load_dword v1, v[3:4], off
	s_mov_b64 s[20:21], 0
	s_waitcnt vmcnt(0)
	v_cmp_ne_u32_e64 s[16:17], 0, v1
	s_branch .LBB215_1237
.LBB215_1235:
	s_mov_b64 s[20:21], -1
                                        ; implicit-def: $sgpr16_sgpr17
	s_branch .LBB215_1240
.LBB215_1236:
	s_mov_b64 s[20:21], -1
                                        ; implicit-def: $sgpr16_sgpr17
.LBB215_1237:
	s_andn2_b64 vcc, exec, s[20:21]
	s_cbranch_vccnz .LBB215_1239
; %bb.1238:
	global_load_ushort v1, v[3:4], off
	s_andn2_b64 s[16:17], s[16:17], exec
	s_waitcnt vmcnt(0)
	v_cmp_ne_u16_e32 vcc, 0, v1
	s_and_b64 s[20:21], vcc, exec
	s_or_b64 s[16:17], s[16:17], s[20:21]
.LBB215_1239:
	s_mov_b64 s[20:21], 0
.LBB215_1240:
	s_andn2_b64 vcc, exec, s[20:21]
	s_cbranch_vccnz .LBB215_1242
; %bb.1241:
	global_load_ubyte v1, v[3:4], off
	s_andn2_b64 s[16:17], s[16:17], exec
	s_waitcnt vmcnt(0)
	v_cmp_ne_u16_e32 vcc, 0, v1
	s_and_b64 s[20:21], vcc, exec
	s_or_b64 s[16:17], s[16:17], s[20:21]
.LBB215_1242:
	s_mov_b64 s[20:21], -1
.LBB215_1243:
	s_branch .LBB215_1266
.LBB215_1244:
	s_cmp_gt_i32 s30, 22
	s_cbranch_scc0 .LBB215_1248
; %bb.1245:
	s_cmp_lt_i32 s30, 24
	s_cbranch_scc1 .LBB215_1249
; %bb.1246:
	s_cmp_gt_i32 s30, 24
	s_cbranch_scc0 .LBB215_1250
; %bb.1247:
	global_load_ubyte v1, v[3:4], off
	s_waitcnt vmcnt(0)
	v_cmp_ne_u16_e64 s[16:17], 0, v1
	s_branch .LBB215_1251
.LBB215_1248:
	s_mov_b64 s[18:19], -1
                                        ; implicit-def: $sgpr16_sgpr17
	s_branch .LBB215_1257
.LBB215_1249:
	s_mov_b64 s[18:19], -1
                                        ; implicit-def: $sgpr16_sgpr17
	s_branch .LBB215_1254
.LBB215_1250:
	s_mov_b64 s[18:19], -1
                                        ; implicit-def: $sgpr16_sgpr17
.LBB215_1251:
	s_andn2_b64 vcc, exec, s[18:19]
	s_cbranch_vccnz .LBB215_1253
; %bb.1252:
	global_load_ubyte v1, v[3:4], off
	s_andn2_b64 s[16:17], s[16:17], exec
	s_waitcnt vmcnt(0)
	v_and_b32_e32 v1, 0x7f, v1
	v_cmp_ne_u16_e32 vcc, 0, v1
	s_and_b64 s[18:19], vcc, exec
	s_or_b64 s[16:17], s[16:17], s[18:19]
.LBB215_1253:
	s_mov_b64 s[18:19], 0
.LBB215_1254:
	s_andn2_b64 vcc, exec, s[18:19]
	s_cbranch_vccnz .LBB215_1256
; %bb.1255:
	global_load_ubyte v1, v[3:4], off
	s_movk_i32 s18, 0x7f00
	s_brev_b32 s19, 16
	s_andn2_b64 s[16:17], s[16:17], exec
	s_waitcnt vmcnt(0)
	v_lshlrev_b32_e32 v2, 8, v1
	v_lshlrev_b32_e32 v1, 25, v1
	v_lshrrev_b32_e32 v5, 4, v1
	v_and_or_b32 v2, v2, s18, 0.5
	v_or_b32_e32 v5, 0x70000000, v5
	v_add_f32_e32 v2, -0.5, v2
	v_mul_f32_e32 v5, 0x7800000, v5
	v_cmp_gt_u32_e32 vcc, s19, v1
	v_cndmask_b32_e32 v1, v5, v2, vcc
	v_cmp_neq_f32_e32 vcc, 0, v1
	s_and_b64 s[18:19], vcc, exec
	s_or_b64 s[16:17], s[16:17], s[18:19]
.LBB215_1256:
	s_mov_b64 s[18:19], 0
	s_mov_b64 s[20:21], -1
.LBB215_1257:
	s_andn2_b64 vcc, exec, s[18:19]
	s_mov_b64 s[18:19], 0
	s_cbranch_vccnz .LBB215_1266
; %bb.1258:
	s_cmp_gt_i32 s30, 14
	s_cbranch_scc0 .LBB215_1261
; %bb.1259:
	s_cmp_eq_u32 s30, 15
	s_cbranch_scc0 .LBB215_1262
; %bb.1260:
	global_load_ushort v1, v[3:4], off
	s_mov_b64 s[12:13], 0
	s_mov_b64 s[20:21], -1
	s_waitcnt vmcnt(0)
	v_and_b32_e32 v1, 0x7fff, v1
	v_cmp_ne_u16_e64 s[16:17], 0, v1
	s_branch .LBB215_1263
.LBB215_1261:
	s_mov_b64 s[22:23], -1
                                        ; implicit-def: $sgpr16_sgpr17
	s_branch .LBB215_1264
.LBB215_1262:
	s_mov_b64 s[12:13], -1
                                        ; implicit-def: $sgpr16_sgpr17
.LBB215_1263:
	s_mov_b64 s[22:23], 0
.LBB215_1264:
	s_and_b64 vcc, exec, s[22:23]
	s_cbranch_vccz .LBB215_1266
; %bb.1265:
	s_cmp_lg_u32 s30, 11
	s_cselect_b64 s[22:23], -1, 0
	s_andn2_b64 s[12:13], s[12:13], exec
	s_and_b64 s[22:23], s[22:23], exec
	s_mov_b64 s[18:19], -1
	s_or_b64 s[12:13], s[12:13], s[22:23]
.LBB215_1266:
	s_mov_b64 s[22:23], 0
.LBB215_1267:
	s_andn2_b64 s[30:31], s[42:43], exec
	s_and_b64 s[12:13], s[12:13], exec
	s_and_b64 s[20:21], s[20:21], exec
	;; [unrolled: 1-line block ×4, first 2 shown]
	s_or_b64 s[42:43], s[30:31], s[12:13]
	s_or_b64 exec, exec, s[0:1]
	s_and_saveexec_b64 s[0:1], s[42:43]
	s_cbranch_execz .LBB215_1214
.LBB215_1268:
	s_or_b64 s[10:11], s[10:11], exec
	s_andn2_b64 s[20:21], s[20:21], exec
	s_andn2_b64 s[18:19], s[18:19], exec
	s_trap 2
	s_or_b64 exec, exec, s[0:1]
	s_and_saveexec_b64 s[0:1], s[18:19]
	s_xor_b64 s[0:1], exec, s[0:1]
	s_cbranch_execnz .LBB215_1215
.LBB215_1269:
	s_or_b64 exec, exec, s[0:1]
	s_and_saveexec_b64 s[12:13], s[22:23]
	s_cbranch_execz .LBB215_1315
.LBB215_1270:
	s_sext_i32_i16 s0, s14
	s_cmp_lt_i32 s0, 5
	s_cbranch_scc1 .LBB215_1275
; %bb.1271:
	s_cmp_lt_i32 s0, 8
	s_cbranch_scc1 .LBB215_1276
; %bb.1272:
	;; [unrolled: 3-line block ×3, first 2 shown]
	s_cmp_gt_i32 s0, 9
	s_cbranch_scc0 .LBB215_1278
; %bb.1274:
	global_load_dwordx4 v[5:8], v[3:4], off
	s_mov_b64 s[18:19], 0
	s_waitcnt vmcnt(0)
	v_cmp_neq_f64_e32 vcc, 0, v[5:6]
	v_cmp_neq_f64_e64 s[0:1], 0, v[7:8]
	s_or_b64 s[0:1], vcc, s[0:1]
	s_branch .LBB215_1279
.LBB215_1275:
                                        ; implicit-def: $sgpr0_sgpr1
	s_branch .LBB215_1296
.LBB215_1276:
                                        ; implicit-def: $sgpr0_sgpr1
	s_branch .LBB215_1285
.LBB215_1277:
	s_mov_b64 s[18:19], -1
                                        ; implicit-def: $sgpr0_sgpr1
	s_branch .LBB215_1282
.LBB215_1278:
	s_mov_b64 s[18:19], -1
                                        ; implicit-def: $sgpr0_sgpr1
.LBB215_1279:
	s_andn2_b64 vcc, exec, s[18:19]
	s_cbranch_vccnz .LBB215_1281
; %bb.1280:
	global_load_dwordx2 v[1:2], v[3:4], off
	s_andn2_b64 s[0:1], s[0:1], exec
	s_waitcnt vmcnt(0)
	v_or_b32_e32 v1, v1, v2
	v_and_b32_e32 v1, 0x7fffffff, v1
	v_cmp_ne_u32_e32 vcc, 0, v1
	s_and_b64 s[18:19], vcc, exec
	s_or_b64 s[0:1], s[0:1], s[18:19]
.LBB215_1281:
	s_mov_b64 s[18:19], 0
.LBB215_1282:
	s_andn2_b64 vcc, exec, s[18:19]
	s_cbranch_vccnz .LBB215_1284
; %bb.1283:
	global_load_dword v1, v[3:4], off
	s_andn2_b64 s[0:1], s[0:1], exec
	s_waitcnt vmcnt(0)
	v_and_b32_e32 v1, 0x7fff7fff, v1
	v_cmp_ne_u32_e32 vcc, 0, v1
	s_and_b64 s[18:19], vcc, exec
	s_or_b64 s[0:1], s[0:1], s[18:19]
.LBB215_1284:
	s_cbranch_execnz .LBB215_1295
.LBB215_1285:
	s_sext_i32_i16 s0, s14
	s_cmp_lt_i32 s0, 6
	s_cbranch_scc1 .LBB215_1288
; %bb.1286:
	s_cmp_gt_i32 s0, 6
	s_cbranch_scc0 .LBB215_1289
; %bb.1287:
	global_load_dwordx2 v[1:2], v[3:4], off
	s_mov_b64 s[18:19], 0
	s_waitcnt vmcnt(0)
	v_cmp_neq_f64_e64 s[0:1], 0, v[1:2]
	s_branch .LBB215_1290
.LBB215_1288:
	s_mov_b64 s[18:19], -1
                                        ; implicit-def: $sgpr0_sgpr1
	s_branch .LBB215_1293
.LBB215_1289:
	s_mov_b64 s[18:19], -1
                                        ; implicit-def: $sgpr0_sgpr1
.LBB215_1290:
	s_andn2_b64 vcc, exec, s[18:19]
	s_cbranch_vccnz .LBB215_1292
; %bb.1291:
	global_load_dword v1, v[3:4], off
	s_andn2_b64 s[0:1], s[0:1], exec
	s_waitcnt vmcnt(0)
	v_cmp_neq_f32_e32 vcc, 0, v1
	s_and_b64 s[18:19], vcc, exec
	s_or_b64 s[0:1], s[0:1], s[18:19]
.LBB215_1292:
	s_mov_b64 s[18:19], 0
.LBB215_1293:
	s_andn2_b64 vcc, exec, s[18:19]
	s_cbranch_vccnz .LBB215_1295
; %bb.1294:
	global_load_ushort v1, v[3:4], off
	s_andn2_b64 s[0:1], s[0:1], exec
	s_waitcnt vmcnt(0)
	v_and_b32_e32 v1, 0x7fff, v1
	v_cmp_ne_u16_e32 vcc, 0, v1
	s_and_b64 s[18:19], vcc, exec
	s_or_b64 s[0:1], s[0:1], s[18:19]
.LBB215_1295:
	s_cbranch_execnz .LBB215_1314
.LBB215_1296:
	s_sext_i32_i16 s0, s14
	s_cmp_lt_i32 s0, 2
	s_cbranch_scc1 .LBB215_1300
; %bb.1297:
	s_cmp_lt_i32 s0, 3
	s_cbranch_scc1 .LBB215_1301
; %bb.1298:
	s_cmp_gt_i32 s0, 3
	s_cbranch_scc0 .LBB215_1302
; %bb.1299:
	global_load_dwordx2 v[1:2], v[3:4], off
	s_mov_b64 s[18:19], 0
	s_waitcnt vmcnt(0)
	v_cmp_ne_u64_e64 s[0:1], 0, v[1:2]
	s_branch .LBB215_1303
.LBB215_1300:
                                        ; implicit-def: $sgpr0_sgpr1
	s_branch .LBB215_1309
.LBB215_1301:
	s_mov_b64 s[18:19], -1
                                        ; implicit-def: $sgpr0_sgpr1
	s_branch .LBB215_1306
.LBB215_1302:
	s_mov_b64 s[18:19], -1
                                        ; implicit-def: $sgpr0_sgpr1
.LBB215_1303:
	s_andn2_b64 vcc, exec, s[18:19]
	s_cbranch_vccnz .LBB215_1305
; %bb.1304:
	global_load_dword v1, v[3:4], off
	s_andn2_b64 s[0:1], s[0:1], exec
	s_waitcnt vmcnt(0)
	v_cmp_ne_u32_e32 vcc, 0, v1
	s_and_b64 s[18:19], vcc, exec
	s_or_b64 s[0:1], s[0:1], s[18:19]
.LBB215_1305:
	s_mov_b64 s[18:19], 0
.LBB215_1306:
	s_andn2_b64 vcc, exec, s[18:19]
	s_cbranch_vccnz .LBB215_1308
; %bb.1307:
	global_load_ushort v1, v[3:4], off
	s_andn2_b64 s[0:1], s[0:1], exec
	s_waitcnt vmcnt(0)
	v_cmp_ne_u16_e32 vcc, 0, v1
	s_and_b64 s[18:19], vcc, exec
	s_or_b64 s[0:1], s[0:1], s[18:19]
.LBB215_1308:
	s_cbranch_execnz .LBB215_1314
.LBB215_1309:
	s_sext_i32_i16 s0, s14
	s_cmp_gt_i32 s0, 0
	s_cbranch_scc0 .LBB215_1311
; %bb.1310:
	global_load_ubyte v1, v[3:4], off
	s_mov_b64 s[18:19], 0
	s_waitcnt vmcnt(0)
	v_cmp_ne_u16_e64 s[0:1], 0, v1
	s_branch .LBB215_1312
.LBB215_1311:
	s_mov_b64 s[18:19], -1
                                        ; implicit-def: $sgpr0_sgpr1
.LBB215_1312:
	s_andn2_b64 vcc, exec, s[18:19]
	s_cbranch_vccnz .LBB215_1314
; %bb.1313:
	global_load_ubyte v1, v[3:4], off
	s_andn2_b64 s[0:1], s[0:1], exec
	s_waitcnt vmcnt(0)
	v_cmp_ne_u16_e32 vcc, 0, v1
	s_and_b64 s[18:19], vcc, exec
	s_or_b64 s[0:1], s[0:1], s[18:19]
.LBB215_1314:
	s_andn2_b64 s[16:17], s[16:17], exec
	s_and_b64 s[0:1], s[0:1], exec
	s_or_b64 s[16:17], s[16:17], s[0:1]
	s_or_b64 s[20:21], s[20:21], exec
.LBB215_1315:
	s_or_b64 exec, exec, s[12:13]
	s_mov_b64 s[30:31], 0
	s_mov_b64 s[22:23], 0
                                        ; implicit-def: $sgpr12_sgpr13
                                        ; implicit-def: $sgpr34
                                        ; implicit-def: $vgpr1_vgpr2
	s_and_saveexec_b64 s[18:19], s[20:21]
	s_cbranch_execz .LBB215_1390
; %bb.1316:
	s_xor_b64 s[0:1], s[56:57], s[16:17]
	s_xor_b64 s[12:13], s[28:29], s[0:1]
	v_mov_b32_e32 v2, s9
	s_and_b32 s34, s15, 0xff
	v_add_co_u32_e32 v1, vcc, s8, v0
	s_cmp_lt_i32 s34, 11
	v_addc_co_u32_e32 v2, vcc, 0, v2, vcc
	s_cbranch_scc1 .LBB215_1393
; %bb.1317:
	s_and_b32 s22, 0xffff, s34
	s_mov_b64 s[14:15], -1
	s_cmp_gt_i32 s22, 25
	s_mov_b64 s[0:1], s[40:41]
	s_cbranch_scc0 .LBB215_1350
; %bb.1318:
	s_mov_b64 s[8:9], -1
	s_cmp_gt_i32 s22, 28
	s_mov_b64 s[0:1], s[40:41]
	s_cbranch_scc0 .LBB215_1334
; %bb.1319:
	s_cmp_gt_i32 s22, 43
	s_mov_b64 s[0:1], s[40:41]
	s_cbranch_scc0 .LBB215_1330
; %bb.1320:
	;; [unrolled: 4-line block ×3, first 2 shown]
	s_cmp_eq_u32 s22, 46
	s_mov_b64 s[0:1], -1
	s_cbranch_scc0 .LBB215_1323
; %bb.1322:
	v_cndmask_b32_e64 v0, 0, 1.0, s[12:13]
	v_bfe_u32 v3, v0, 16, 1
	s_movk_i32 s0, 0x7fff
	v_add3_u32 v0, v0, v3, s0
	v_lshrrev_b32_e32 v0, 16, v0
	global_store_dword v[1:2], v0, off
	s_mov_b64 s[0:1], 0
.LBB215_1323:
	s_mov_b64 s[8:9], 0
.LBB215_1324:
	s_and_b64 vcc, exec, s[8:9]
	s_cbranch_vccz .LBB215_1329
; %bb.1325:
	s_cmp_eq_u32 s22, 44
	s_mov_b64 s[0:1], -1
	s_cbranch_scc0 .LBB215_1329
; %bb.1326:
	v_cndmask_b32_e64 v3, 0, 1.0, s[12:13]
	v_lshrrev_b32_e32 v0, 23, v3
	s_movk_i32 s0, 0xff
	v_cmp_ne_u32_e32 vcc, s0, v0
	v_mov_b32_e32 v4, 0xff
	s_and_saveexec_b64 s[8:9], vcc
; %bb.1327:
	s_mov_b32 s0, 0x3fffff
	v_and_b32_e32 v4, 0x400000, v3
	v_and_or_b32 v3, v3, s0, v0
	v_cmp_ne_u32_e32 vcc, 0, v4
	v_cmp_ne_u32_e64 s[0:1], 0, v3
	s_and_b64 s[0:1], vcc, s[0:1]
	v_cndmask_b32_e64 v3, 0, 1, s[0:1]
	v_add_u32_e32 v4, v0, v3
; %bb.1328:
	s_or_b64 exec, exec, s[8:9]
	s_mov_b64 s[0:1], 0
	global_store_byte v[1:2], v4, off
.LBB215_1329:
	s_mov_b64 s[8:9], 0
.LBB215_1330:
	s_and_b64 vcc, exec, s[8:9]
	s_cbranch_vccz .LBB215_1333
; %bb.1331:
	s_cmp_eq_u32 s22, 29
	s_mov_b64 s[0:1], -1
	s_cbranch_scc0 .LBB215_1333
; %bb.1332:
	s_mov_b32 s0, 0
	v_cndmask_b32_e64 v3, 0, 1, s[12:13]
	v_mov_b32_e32 v4, s0
	global_store_dwordx2 v[1:2], v[3:4], off
	s_mov_b64 s[0:1], 0
.LBB215_1333:
	s_mov_b64 s[8:9], 0
.LBB215_1334:
	s_and_b64 vcc, exec, s[8:9]
	s_cbranch_vccz .LBB215_1349
; %bb.1335:
	s_cmp_lt_i32 s22, 27
	s_mov_b64 s[8:9], -1
	s_cbranch_scc1 .LBB215_1341
; %bb.1336:
	s_cmp_gt_i32 s22, 27
	s_cbranch_scc0 .LBB215_1338
; %bb.1337:
	v_cndmask_b32_e64 v0, 0, 1, s[12:13]
	s_mov_b64 s[8:9], 0
	global_store_dword v[1:2], v0, off
.LBB215_1338:
	s_andn2_b64 vcc, exec, s[8:9]
	s_cbranch_vccnz .LBB215_1340
; %bb.1339:
	v_cndmask_b32_e64 v0, 0, 1, s[12:13]
	global_store_short v[1:2], v0, off
.LBB215_1340:
	s_mov_b64 s[8:9], 0
.LBB215_1341:
	s_andn2_b64 vcc, exec, s[8:9]
	s_cbranch_vccnz .LBB215_1349
; %bb.1342:
	v_cndmask_b32_e64 v3, 0, 1.0, s[12:13]
	s_mov_b32 s8, 0x43800000
	v_cmp_gt_u32_e32 vcc, s8, v3
	v_mov_b32_e32 v4, 0x80
	s_and_saveexec_b64 s[8:9], vcc
	s_cbranch_execz .LBB215_1348
; %bb.1343:
	s_mov_b32 s14, 0x3bffffff
	v_cmp_lt_u32_e32 vcc, s14, v3
	s_mov_b64 s[14:15], 0
                                        ; implicit-def: $vgpr0
	s_and_saveexec_b64 s[16:17], vcc
	s_xor_b64 s[16:17], exec, s[16:17]
	s_cbranch_execz .LBB215_1494
; %bb.1344:
	v_bfe_u32 v0, v3, 20, 1
	s_mov_b32 s20, 0x487ffff
	v_add3_u32 v0, v3, v0, s20
	s_mov_b64 s[14:15], exec
	v_lshrrev_b32_e32 v0, 20, v0
                                        ; implicit-def: $vgpr3
	s_andn2_saveexec_b64 s[16:17], s[16:17]
	s_cbranch_execnz .LBB215_1495
.LBB215_1345:
	s_or_b64 exec, exec, s[16:17]
	v_mov_b32_e32 v4, 0
	s_and_saveexec_b64 s[16:17], s[14:15]
.LBB215_1346:
	v_mov_b32_e32 v4, v0
.LBB215_1347:
	s_or_b64 exec, exec, s[16:17]
.LBB215_1348:
	s_or_b64 exec, exec, s[8:9]
	global_store_byte v[1:2], v4, off
.LBB215_1349:
	s_mov_b64 s[14:15], 0
.LBB215_1350:
	s_mov_b64 s[8:9], 0
	s_and_b64 vcc, exec, s[14:15]
	s_cbranch_vccz .LBB215_1394
; %bb.1351:
	s_cmp_gt_i32 s22, 22
	s_mov_b64 s[14:15], -1
	s_cbranch_scc0 .LBB215_1383
; %bb.1352:
	s_cmp_lt_i32 s22, 24
	s_cbranch_scc1 .LBB215_1372
; %bb.1353:
	s_cmp_gt_i32 s22, 24
	s_cbranch_scc0 .LBB215_1361
; %bb.1354:
	v_cndmask_b32_e64 v3, 0, 1.0, s[12:13]
	s_mov_b32 s14, 0x47800000
	v_cmp_gt_u32_e32 vcc, s14, v3
	v_mov_b32_e32 v4, 0x80
	s_and_saveexec_b64 s[14:15], vcc
	s_cbranch_execz .LBB215_1360
; %bb.1355:
	s_mov_b32 s16, 0x37ffffff
	v_cmp_lt_u32_e32 vcc, s16, v3
	s_mov_b64 s[16:17], 0
                                        ; implicit-def: $vgpr0
	s_and_saveexec_b64 s[20:21], vcc
	s_xor_b64 s[20:21], exec, s[20:21]
	s_cbranch_execz .LBB215_1601
; %bb.1356:
	v_bfe_u32 v0, v3, 21, 1
	s_mov_b32 s23, 0x88fffff
	v_add3_u32 v0, v3, v0, s23
	s_mov_b64 s[16:17], exec
	v_lshrrev_b32_e32 v0, 21, v0
                                        ; implicit-def: $vgpr3
	s_andn2_saveexec_b64 s[20:21], s[20:21]
	s_cbranch_execnz .LBB215_1602
.LBB215_1357:
	s_or_b64 exec, exec, s[20:21]
	v_mov_b32_e32 v4, 0
	s_and_saveexec_b64 s[20:21], s[16:17]
.LBB215_1358:
	v_mov_b32_e32 v4, v0
.LBB215_1359:
	s_or_b64 exec, exec, s[20:21]
.LBB215_1360:
	s_or_b64 exec, exec, s[14:15]
	s_mov_b64 s[14:15], 0
	global_store_byte v[1:2], v4, off
.LBB215_1361:
	s_and_b64 vcc, exec, s[14:15]
	s_cbranch_vccz .LBB215_1371
; %bb.1362:
	v_cndmask_b32_e64 v0, 0, 1.0, s[12:13]
	s_mov_b32 s14, 0x43f00000
	v_cmp_gt_u32_e32 vcc, s14, v0
                                        ; implicit-def: $vgpr3
	s_and_saveexec_b64 s[14:15], vcc
	s_xor_b64 s[14:15], exec, s[14:15]
	s_cbranch_execz .LBB215_1368
; %bb.1363:
	s_mov_b32 s16, 0x3c7fffff
	v_cmp_lt_u32_e32 vcc, s16, v0
                                        ; implicit-def: $vgpr3
	s_and_saveexec_b64 s[16:17], vcc
	s_xor_b64 s[16:17], exec, s[16:17]
; %bb.1364:
	v_bfe_u32 v3, v0, 20, 1
	s_mov_b32 s20, 0x407ffff
	v_add3_u32 v0, v0, v3, s20
	v_lshrrev_b32_e32 v3, 20, v0
	v_and_b32_e32 v0, 0xff00000, v0
	s_mov_b32 s20, 0x7f00000
	v_mov_b32_e32 v4, 0x7e
	v_cmp_ne_u32_e32 vcc, s20, v0
	v_cndmask_b32_e32 v3, v4, v3, vcc
                                        ; implicit-def: $vgpr0
; %bb.1365:
	s_andn2_saveexec_b64 s[16:17], s[16:17]
; %bb.1366:
	v_add_f32_e32 v3, 0x46800000, v0
; %bb.1367:
	s_or_b64 exec, exec, s[16:17]
                                        ; implicit-def: $vgpr0
.LBB215_1368:
	s_andn2_saveexec_b64 s[14:15], s[14:15]
; %bb.1369:
	s_mov_b32 s16, 0x7f800000
	v_mov_b32_e32 v3, 0x7e
	v_mov_b32_e32 v4, 0x7f
	v_cmp_lt_u32_e32 vcc, s16, v0
	v_cndmask_b32_e32 v3, v3, v4, vcc
; %bb.1370:
	s_or_b64 exec, exec, s[14:15]
	global_store_byte v[1:2], v3, off
.LBB215_1371:
	s_mov_b64 s[14:15], 0
.LBB215_1372:
	s_andn2_b64 vcc, exec, s[14:15]
	s_cbranch_vccnz .LBB215_1382
; %bb.1373:
	v_cndmask_b32_e64 v0, 0, 1.0, s[12:13]
	s_mov_b32 s14, 0x47800000
	v_cmp_gt_u32_e32 vcc, s14, v0
                                        ; implicit-def: $vgpr3
	s_and_saveexec_b64 s[14:15], vcc
	s_xor_b64 s[14:15], exec, s[14:15]
	s_cbranch_execz .LBB215_1379
; %bb.1374:
	s_mov_b32 s16, 0x387fffff
	v_cmp_lt_u32_e32 vcc, s16, v0
                                        ; implicit-def: $vgpr3
	s_and_saveexec_b64 s[16:17], vcc
	s_xor_b64 s[16:17], exec, s[16:17]
; %bb.1375:
	v_bfe_u32 v3, v0, 21, 1
	s_mov_b32 s20, 0x80fffff
	v_add3_u32 v0, v0, v3, s20
	v_lshrrev_b32_e32 v3, 21, v0
                                        ; implicit-def: $vgpr0
; %bb.1376:
	s_andn2_saveexec_b64 s[16:17], s[16:17]
; %bb.1377:
	v_add_f32_e32 v3, 0x43000000, v0
; %bb.1378:
	s_or_b64 exec, exec, s[16:17]
                                        ; implicit-def: $vgpr0
.LBB215_1379:
	s_andn2_saveexec_b64 s[14:15], s[14:15]
; %bb.1380:
	s_mov_b32 s16, 0x7f800000
	v_mov_b32_e32 v3, 0x7c
	v_mov_b32_e32 v4, 0x7f
	v_cmp_lt_u32_e32 vcc, s16, v0
	v_cndmask_b32_e32 v3, v3, v4, vcc
; %bb.1381:
	s_or_b64 exec, exec, s[14:15]
	global_store_byte v[1:2], v3, off
.LBB215_1382:
	s_mov_b64 s[14:15], 0
.LBB215_1383:
	s_andn2_b64 vcc, exec, s[14:15]
	s_mov_b64 s[14:15], 0
	s_cbranch_vccnz .LBB215_1395
; %bb.1384:
	s_cmp_gt_i32 s22, 14
	s_mov_b64 s[16:17], -1
	s_cbranch_scc0 .LBB215_1388
; %bb.1385:
	s_cmp_eq_u32 s22, 15
	s_mov_b64 s[0:1], -1
	s_cbranch_scc0 .LBB215_1387
; %bb.1386:
	v_cndmask_b32_e64 v0, 0, 1.0, s[12:13]
	v_bfe_u32 v3, v0, 16, 1
	s_movk_i32 s0, 0x7fff
	v_add3_u32 v0, v0, v3, s0
	global_store_short_d16_hi v[1:2], v0, off
	s_mov_b64 s[0:1], 0
.LBB215_1387:
	s_mov_b64 s[16:17], 0
.LBB215_1388:
	s_and_b64 vcc, exec, s[16:17]
	s_cbranch_vccz .LBB215_1395
; %bb.1389:
	s_cmp_lg_u32 s22, 11
	s_cselect_b64 s[16:17], -1, 0
	s_andn2_b64 s[0:1], s[0:1], exec
	s_and_b64 s[16:17], s[16:17], exec
	s_mov_b64 s[14:15], -1
	s_or_b64 s[0:1], s[0:1], s[16:17]
	s_branch .LBB215_1395
.LBB215_1390:
	s_or_b64 exec, exec, s[18:19]
	s_and_saveexec_b64 s[0:1], s[40:41]
	s_cbranch_execnz .LBB215_1396
.LBB215_1391:
	s_or_b64 exec, exec, s[0:1]
	s_and_saveexec_b64 s[0:1], s[30:31]
	s_xor_b64 s[0:1], exec, s[0:1]
	s_cbranch_execz .LBB215_1397
.LBB215_1392:
	v_cndmask_b32_e64 v0, 0, 1, s[12:13]
	global_store_byte v[1:2], v0, off
	s_or_b64 exec, exec, s[0:1]
	s_and_saveexec_b64 s[0:1], s[22:23]
	s_xor_b64 s[0:1], exec, s[0:1]
	s_cbranch_execz .LBB215_1435
	s_branch .LBB215_1398
.LBB215_1393:
	s_mov_b64 s[14:15], 0
	s_mov_b64 s[8:9], -1
	s_mov_b64 s[0:1], s[40:41]
	s_branch .LBB215_1395
.LBB215_1394:
	s_mov_b64 s[14:15], 0
.LBB215_1395:
	s_and_b64 s[22:23], s[8:9], exec
	s_andn2_b64 s[8:9], s[40:41], exec
	s_and_b64 s[0:1], s[0:1], exec
	s_and_b64 s[30:31], s[14:15], exec
	s_or_b64 s[40:41], s[8:9], s[0:1]
	s_or_b64 exec, exec, s[18:19]
	s_and_saveexec_b64 s[0:1], s[40:41]
	s_cbranch_execz .LBB215_1391
.LBB215_1396:
	s_or_b64 s[10:11], s[10:11], exec
	s_andn2_b64 s[30:31], s[30:31], exec
	s_trap 2
	s_or_b64 exec, exec, s[0:1]
	s_and_saveexec_b64 s[0:1], s[30:31]
	s_xor_b64 s[0:1], exec, s[0:1]
	s_cbranch_execnz .LBB215_1392
.LBB215_1397:
	s_or_b64 exec, exec, s[0:1]
	s_and_saveexec_b64 s[0:1], s[22:23]
	s_xor_b64 s[0:1], exec, s[0:1]
	s_cbranch_execz .LBB215_1435
.LBB215_1398:
	s_sext_i32_i16 s14, s34
	s_cmp_lt_i32 s14, 5
	s_mov_b64 s[8:9], -1
	s_cbranch_scc1 .LBB215_1419
; %bb.1399:
	s_cmp_lt_i32 s14, 8
	s_cbranch_scc1 .LBB215_1409
; %bb.1400:
	s_cmp_lt_i32 s14, 9
	s_cbranch_scc1 .LBB215_1406
; %bb.1401:
	s_cmp_gt_i32 s14, 9
	s_cbranch_scc0 .LBB215_1403
; %bb.1402:
	v_cndmask_b32_e64 v0, 0, 1, s[12:13]
	v_cvt_f64_u32_e32 v[3:4], v0
	v_mov_b32_e32 v5, 0
	v_mov_b32_e32 v6, v5
	s_mov_b64 s[8:9], 0
	global_store_dwordx4 v[1:2], v[3:6], off
.LBB215_1403:
	s_andn2_b64 vcc, exec, s[8:9]
	s_cbranch_vccnz .LBB215_1405
; %bb.1404:
	v_cndmask_b32_e64 v3, 0, 1.0, s[12:13]
	v_mov_b32_e32 v4, 0
	global_store_dwordx2 v[1:2], v[3:4], off
.LBB215_1405:
	s_mov_b64 s[8:9], 0
.LBB215_1406:
	s_andn2_b64 vcc, exec, s[8:9]
	s_cbranch_vccnz .LBB215_1408
; %bb.1407:
	v_cndmask_b32_e64 v0, 0, 1.0, s[12:13]
	v_cvt_f16_f32_e32 v0, v0
	global_store_dword v[1:2], v0, off
.LBB215_1408:
	s_mov_b64 s[8:9], 0
.LBB215_1409:
	s_andn2_b64 vcc, exec, s[8:9]
	s_cbranch_vccnz .LBB215_1418
; %bb.1410:
	s_sext_i32_i16 s14, s34
	s_cmp_lt_i32 s14, 6
	s_mov_b64 s[8:9], -1
	s_cbranch_scc1 .LBB215_1416
; %bb.1411:
	s_cmp_gt_i32 s14, 6
	s_cbranch_scc0 .LBB215_1413
; %bb.1412:
	v_cndmask_b32_e64 v0, 0, 1, s[12:13]
	v_cvt_f64_u32_e32 v[3:4], v0
	s_mov_b64 s[8:9], 0
	global_store_dwordx2 v[1:2], v[3:4], off
.LBB215_1413:
	s_andn2_b64 vcc, exec, s[8:9]
	s_cbranch_vccnz .LBB215_1415
; %bb.1414:
	v_cndmask_b32_e64 v0, 0, 1.0, s[12:13]
	global_store_dword v[1:2], v0, off
.LBB215_1415:
	s_mov_b64 s[8:9], 0
.LBB215_1416:
	s_andn2_b64 vcc, exec, s[8:9]
	s_cbranch_vccnz .LBB215_1418
; %bb.1417:
	v_cndmask_b32_e64 v0, 0, 1.0, s[12:13]
	v_cvt_f16_f32_e32 v0, v0
	global_store_short v[1:2], v0, off
.LBB215_1418:
	s_mov_b64 s[8:9], 0
.LBB215_1419:
	s_andn2_b64 vcc, exec, s[8:9]
	s_cbranch_vccnz .LBB215_1435
; %bb.1420:
	s_sext_i32_i16 s14, s34
	s_cmp_lt_i32 s14, 2
	s_mov_b64 s[8:9], -1
	s_cbranch_scc1 .LBB215_1430
; %bb.1421:
	s_cmp_lt_i32 s14, 3
	s_cbranch_scc1 .LBB215_1427
; %bb.1422:
	s_cmp_gt_i32 s14, 3
	s_cbranch_scc0 .LBB215_1424
; %bb.1423:
	s_mov_b32 s8, 0
	v_cndmask_b32_e64 v3, 0, 1, s[12:13]
	v_mov_b32_e32 v4, s8
	s_mov_b64 s[8:9], 0
	global_store_dwordx2 v[1:2], v[3:4], off
.LBB215_1424:
	s_andn2_b64 vcc, exec, s[8:9]
	s_cbranch_vccnz .LBB215_1426
; %bb.1425:
	v_cndmask_b32_e64 v0, 0, 1, s[12:13]
	global_store_dword v[1:2], v0, off
.LBB215_1426:
	s_mov_b64 s[8:9], 0
.LBB215_1427:
	s_andn2_b64 vcc, exec, s[8:9]
	s_cbranch_vccnz .LBB215_1429
; %bb.1428:
	v_cndmask_b32_e64 v0, 0, 1, s[12:13]
	global_store_short v[1:2], v0, off
.LBB215_1429:
	s_mov_b64 s[8:9], 0
.LBB215_1430:
	s_andn2_b64 vcc, exec, s[8:9]
	s_cbranch_vccnz .LBB215_1435
; %bb.1431:
	s_sext_i32_i16 s14, s34
	s_mov_b64 s[8:9], -1
	s_cmp_gt_i32 s14, 0
	v_cndmask_b32_e64 v0, 0, 1, s[12:13]
	s_cbranch_scc0 .LBB215_1433
; %bb.1432:
	s_mov_b64 s[8:9], 0
	global_store_byte v[1:2], v0, off
.LBB215_1433:
	s_andn2_b64 vcc, exec, s[8:9]
	s_cbranch_vccnz .LBB215_1435
; %bb.1434:
	global_store_byte v[1:2], v0, off
.LBB215_1435:
	s_or_b64 exec, exec, s[0:1]
	s_and_b64 s[12:13], s[10:11], exec
                                        ; implicit-def: $vgpr23
                                        ; implicit-def: $vgpr8
.LBB215_1436:
	s_or_saveexec_b64 s[14:15], s[26:27]
	s_mov_b64 s[0:1], 0
                                        ; implicit-def: $sgpr10_sgpr11
                                        ; implicit-def: $vgpr0_vgpr1
                                        ; implicit-def: $sgpr36
	s_xor_b64 exec, exec, s[14:15]
	s_cbranch_execz .LBB215_2806
; %bb.1437:
	v_cndmask_b32_e64 v0, 0, 1, s[24:25]
	v_cmp_ne_u32_e64 s[0:1], 1, v0
	s_andn2_b64 vcc, exec, s[24:25]
	s_cbranch_vccnz .LBB215_1443
; %bb.1438:
	s_cmp_lg_u32 s33, 0
	s_cbranch_scc0 .LBB215_1444
; %bb.1439:
	s_min_u32 s8, s74, 15
	s_add_i32 s6, s8, 1
	s_and_b32 s9, s6, 30
	s_add_u32 s6, s2, 0xffffffe8
	s_addc_u32 s7, s3, -1
	v_mov_b32_e32 v19, 0
	v_mov_b32_e32 v21, 0
	;; [unrolled: 1-line block ×4, first 2 shown]
.LBB215_1440:                           ; =>This Inner Loop Header: Depth=1
	s_load_dwordx4 s[16:19], s[6:7], 0x1c
	s_load_dwordx2 s[10:11], s[6:7], 0x2c
	s_load_dwordx2 s[24:25], s[6:7], 0xec
	s_load_dwordx4 s[20:23], s[6:7], 0xdc
	s_add_u32 s6, s6, 24
	s_waitcnt lgkmcnt(0)
	v_mul_hi_u32 v1, s17, v0
	s_addc_u32 s7, s7, 0
	s_add_i32 s9, s9, -2
	s_cmp_lg_u32 s9, 0
	v_add_u32_e32 v1, v0, v1
	v_lshrrev_b32_e32 v1, s18, v1
	v_mul_lo_u32 v2, v1, s16
	v_mul_hi_u32 v3, s10, v1
	v_sub_u32_e32 v2, v0, v2
	v_add_u32_e32 v0, v1, v3
	v_lshrrev_b32_e32 v0, s11, v0
	v_mul_lo_u32 v5, v0, s19
	v_mul_lo_u32 v3, v2, s20
	;; [unrolled: 1-line block ×4, first 2 shown]
	v_sub_u32_e32 v1, v1, v5
	v_mul_lo_u32 v5, v1, s23
	v_mul_lo_u32 v7, v1, s24
	;; [unrolled: 1-line block ×3, first 2 shown]
	v_add3_u32 v6, v3, v6, v5
	v_add3_u32 v21, v4, v21, v7
	;; [unrolled: 1-line block ×3, first 2 shown]
	s_cbranch_scc1 .LBB215_1440
; %bb.1441:
	s_bitcmp1_b32 s8, 0
	s_cselect_b64 s[8:9], -1, 0
	s_and_b64 vcc, exec, s[8:9]
	s_cbranch_vccnz .LBB215_1445
; %bb.1442:
	s_load_dwordx2 s[8:9], s[6:7], 0x1c
	s_load_dword s16, s[6:7], 0x24
	s_load_dwordx2 s[10:11], s[6:7], 0xdc
	s_waitcnt lgkmcnt(0)
	v_mul_hi_u32 v1, s9, v0
	v_add_u32_e32 v1, v0, v1
	v_lshrrev_b32_e32 v1, s16, v1
	v_mul_lo_u32 v1, v1, s8
	s_load_dword s8, s[6:7], 0xe4
	v_sub_u32_e32 v0, v0, v1
	v_mad_u64_u32 v[6:7], s[6:7], v0, s10, v[6:7]
	v_mad_u64_u32 v[21:22], s[6:7], v0, s11, v[21:22]
	s_waitcnt lgkmcnt(0)
	v_mad_u64_u32 v[19:20], s[6:7], v0, s8, v[19:20]
	s_cbranch_execz .LBB215_1446
	s_branch .LBB215_1448
.LBB215_1443:
                                        ; implicit-def: $vgpr6
                                        ; implicit-def: $vgpr21
                                        ; implicit-def: $vgpr19
	s_branch .LBB215_1446
.LBB215_1444:
	v_mov_b32_e32 v6, 0
	v_mov_b32_e32 v21, 0
	;; [unrolled: 1-line block ×3, first 2 shown]
.LBB215_1445:
	s_cbranch_execnz .LBB215_1448
.LBB215_1446:
	s_load_dwordx4 s[8:11], s[2:3], 0x4
	s_load_dwordx4 s[16:19], s[2:3], 0xc4
	s_cmp_lt_u32 s33, 2
	s_waitcnt lgkmcnt(0)
	v_mul_hi_u32 v0, s9, v8
	v_add_u32_e32 v0, v8, v0
	v_lshrrev_b32_e32 v0, s10, v0
	v_mul_lo_u32 v1, v0, s8
	v_sub_u32_e32 v1, v8, v1
	v_mul_lo_u32 v6, v1, s16
	v_mul_lo_u32 v21, v1, s17
	;; [unrolled: 1-line block ×3, first 2 shown]
	s_cbranch_scc1 .LBB215_1448
; %bb.1447:
	s_load_dwordx4 s[8:11], s[2:3], 0x10
	s_load_dwordx4 s[16:19], s[2:3], 0xd0
	s_waitcnt lgkmcnt(0)
	v_mul_hi_u32 v1, s9, v0
	v_add_u32_e32 v1, v0, v1
	v_lshrrev_b32_e32 v1, s10, v1
	v_mul_lo_u32 v1, v1, s8
	v_sub_u32_e32 v0, v0, v1
	v_mad_u64_u32 v[6:7], s[6:7], v0, s16, v[6:7]
	v_mad_u64_u32 v[21:22], s[6:7], v0, s17, v[21:22]
	;; [unrolled: 1-line block ×3, first 2 shown]
.LBB215_1448:
	s_and_b64 vcc, exec, s[0:1]
	v_add_u32_e32 v0, 0x80, v8
	s_cbranch_vccnz .LBB215_1454
; %bb.1449:
	s_cmp_lg_u32 s33, 0
	s_cbranch_scc0 .LBB215_1455
; %bb.1450:
	s_min_u32 s8, s74, 15
	s_add_i32 s6, s8, 1
	s_and_b32 s9, s6, 30
	s_add_u32 s6, s2, 0xffffffe8
	s_addc_u32 s7, s3, -1
	v_mov_b32_e32 v15, 0
	v_mov_b32_e32 v17, 0
	;; [unrolled: 1-line block ×4, first 2 shown]
.LBB215_1451:                           ; =>This Inner Loop Header: Depth=1
	s_load_dwordx4 s[16:19], s[6:7], 0x1c
	s_load_dwordx2 s[10:11], s[6:7], 0x2c
	s_load_dwordx2 s[24:25], s[6:7], 0xec
	s_load_dwordx4 s[20:23], s[6:7], 0xdc
	s_add_u32 s6, s6, 24
	s_waitcnt lgkmcnt(0)
	v_mul_hi_u32 v2, s17, v1
	s_addc_u32 s7, s7, 0
	s_add_i32 s9, s9, -2
	s_cmp_lg_u32 s9, 0
	v_add_u32_e32 v2, v1, v2
	v_lshrrev_b32_e32 v2, s18, v2
	v_mul_lo_u32 v3, v2, s16
	v_mul_hi_u32 v5, s10, v2
	v_sub_u32_e32 v3, v1, v3
	v_add_u32_e32 v1, v2, v5
	v_lshrrev_b32_e32 v1, s11, v1
	v_mul_lo_u32 v9, v1, s19
	v_mul_lo_u32 v5, v3, s20
	;; [unrolled: 1-line block ×4, first 2 shown]
	v_sub_u32_e32 v2, v2, v9
	v_mul_lo_u32 v9, v2, s23
	v_mul_lo_u32 v10, v2, s24
	;; [unrolled: 1-line block ×3, first 2 shown]
	v_add3_u32 v4, v5, v4, v9
	v_add3_u32 v17, v7, v17, v10
	;; [unrolled: 1-line block ×3, first 2 shown]
	s_cbranch_scc1 .LBB215_1451
; %bb.1452:
	s_bitcmp1_b32 s8, 0
	s_cselect_b64 s[8:9], -1, 0
	s_and_b64 vcc, exec, s[8:9]
	s_cbranch_vccnz .LBB215_1456
; %bb.1453:
	s_load_dwordx2 s[8:9], s[6:7], 0x1c
	s_load_dword s16, s[6:7], 0x24
	s_load_dwordx2 s[10:11], s[6:7], 0xdc
	s_waitcnt lgkmcnt(0)
	v_mul_hi_u32 v2, s9, v1
	v_add_u32_e32 v2, v1, v2
	v_lshrrev_b32_e32 v2, s16, v2
	v_mul_lo_u32 v2, v2, s8
	s_load_dword s8, s[6:7], 0xe4
	v_sub_u32_e32 v1, v1, v2
	v_mad_u64_u32 v[4:5], s[6:7], v1, s10, v[4:5]
	v_mad_u64_u32 v[17:18], s[6:7], v1, s11, v[17:18]
	s_waitcnt lgkmcnt(0)
	v_mad_u64_u32 v[15:16], s[6:7], v1, s8, v[15:16]
	s_cbranch_execz .LBB215_1457
	s_branch .LBB215_1459
.LBB215_1454:
                                        ; implicit-def: $vgpr4
                                        ; implicit-def: $vgpr17
                                        ; implicit-def: $vgpr15
	s_branch .LBB215_1457
.LBB215_1455:
	v_mov_b32_e32 v4, 0
	v_mov_b32_e32 v17, 0
	;; [unrolled: 1-line block ×3, first 2 shown]
.LBB215_1456:
	s_cbranch_execnz .LBB215_1459
.LBB215_1457:
	s_load_dwordx4 s[8:11], s[2:3], 0x4
	s_load_dwordx4 s[16:19], s[2:3], 0xc4
	s_cmp_lt_u32 s33, 2
	s_waitcnt lgkmcnt(0)
	v_mul_hi_u32 v1, s9, v0
	v_add_u32_e32 v1, v0, v1
	v_lshrrev_b32_e32 v1, s10, v1
	v_mul_lo_u32 v2, v1, s8
	v_sub_u32_e32 v0, v0, v2
	v_mul_lo_u32 v4, v0, s16
	v_mul_lo_u32 v17, v0, s17
	v_mul_lo_u32 v15, v0, s18
	s_cbranch_scc1 .LBB215_1459
; %bb.1458:
	s_load_dwordx4 s[8:11], s[2:3], 0x10
	s_load_dwordx4 s[16:19], s[2:3], 0xd0
	s_waitcnt lgkmcnt(0)
	v_mul_hi_u32 v0, s9, v1
	v_add_u32_e32 v0, v1, v0
	v_lshrrev_b32_e32 v0, s10, v0
	v_mul_lo_u32 v0, v0, s8
	v_sub_u32_e32 v0, v1, v0
	v_mad_u64_u32 v[4:5], s[6:7], v0, s16, v[4:5]
	v_mad_u64_u32 v[17:18], s[6:7], v0, s17, v[17:18]
	;; [unrolled: 1-line block ×3, first 2 shown]
.LBB215_1459:
	s_and_b64 vcc, exec, s[0:1]
	v_add_u32_e32 v0, 0x100, v8
	s_cbranch_vccnz .LBB215_1465
; %bb.1460:
	s_cmp_lg_u32 s33, 0
	s_cbranch_scc0 .LBB215_1466
; %bb.1461:
	s_min_u32 s8, s74, 15
	s_add_i32 s6, s8, 1
	s_and_b32 s9, s6, 30
	s_add_u32 s6, s2, 0xffffffe8
	s_addc_u32 s7, s3, -1
	v_mov_b32_e32 v11, 0
	v_mov_b32_e32 v13, 0
	;; [unrolled: 1-line block ×4, first 2 shown]
.LBB215_1462:                           ; =>This Inner Loop Header: Depth=1
	s_load_dwordx4 s[16:19], s[6:7], 0x1c
	s_load_dwordx2 s[10:11], s[6:7], 0x2c
	s_load_dwordx2 s[24:25], s[6:7], 0xec
	s_load_dwordx4 s[20:23], s[6:7], 0xdc
	s_add_u32 s6, s6, 24
	s_waitcnt lgkmcnt(0)
	v_mul_hi_u32 v3, s17, v1
	s_addc_u32 s7, s7, 0
	s_add_i32 s9, s9, -2
	s_cmp_lg_u32 s9, 0
	v_add_u32_e32 v3, v1, v3
	v_lshrrev_b32_e32 v3, s18, v3
	v_mul_lo_u32 v5, v3, s16
	v_mul_hi_u32 v7, s10, v3
	v_sub_u32_e32 v5, v1, v5
	v_add_u32_e32 v1, v3, v7
	v_lshrrev_b32_e32 v1, s11, v1
	v_mul_lo_u32 v9, v1, s19
	v_mul_lo_u32 v7, v5, s20
	;; [unrolled: 1-line block ×4, first 2 shown]
	v_sub_u32_e32 v3, v3, v9
	v_mul_lo_u32 v9, v3, s23
	v_mul_lo_u32 v10, v3, s24
	;; [unrolled: 1-line block ×3, first 2 shown]
	v_add3_u32 v2, v7, v2, v9
	v_add3_u32 v13, v8, v13, v10
	;; [unrolled: 1-line block ×3, first 2 shown]
	s_cbranch_scc1 .LBB215_1462
; %bb.1463:
	s_bitcmp1_b32 s8, 0
	s_cselect_b64 s[8:9], -1, 0
	s_and_b64 vcc, exec, s[8:9]
	s_cbranch_vccnz .LBB215_1467
; %bb.1464:
	s_load_dwordx2 s[8:9], s[6:7], 0x1c
	s_load_dword s16, s[6:7], 0x24
	s_load_dwordx2 s[10:11], s[6:7], 0xdc
	s_waitcnt lgkmcnt(0)
	v_mul_hi_u32 v3, s9, v1
	v_add_u32_e32 v3, v1, v3
	v_lshrrev_b32_e32 v3, s16, v3
	v_mul_lo_u32 v3, v3, s8
	s_load_dword s8, s[6:7], 0xe4
	v_sub_u32_e32 v1, v1, v3
	v_mad_u64_u32 v[2:3], s[6:7], v1, s10, v[2:3]
	v_mad_u64_u32 v[13:14], s[6:7], v1, s11, v[13:14]
	s_waitcnt lgkmcnt(0)
	v_mad_u64_u32 v[11:12], s[6:7], v1, s8, v[11:12]
	s_cbranch_execz .LBB215_1468
	s_branch .LBB215_1470
.LBB215_1465:
                                        ; implicit-def: $vgpr2
                                        ; implicit-def: $vgpr13
                                        ; implicit-def: $vgpr11
	s_branch .LBB215_1468
.LBB215_1466:
	v_mov_b32_e32 v2, 0
	v_mov_b32_e32 v13, 0
	;; [unrolled: 1-line block ×3, first 2 shown]
.LBB215_1467:
	s_cbranch_execnz .LBB215_1470
.LBB215_1468:
	s_load_dwordx4 s[8:11], s[2:3], 0x4
	s_load_dwordx4 s[16:19], s[2:3], 0xc4
	s_cmp_lt_u32 s33, 2
	s_waitcnt lgkmcnt(0)
	v_mul_hi_u32 v1, s9, v0
	v_add_u32_e32 v1, v0, v1
	v_lshrrev_b32_e32 v1, s10, v1
	v_mul_lo_u32 v2, v1, s8
	v_sub_u32_e32 v0, v0, v2
	v_mul_lo_u32 v2, v0, s16
	v_mul_lo_u32 v13, v0, s17
	;; [unrolled: 1-line block ×3, first 2 shown]
	s_cbranch_scc1 .LBB215_1470
; %bb.1469:
	s_load_dwordx4 s[8:11], s[2:3], 0x10
	s_load_dwordx4 s[16:19], s[2:3], 0xd0
	s_waitcnt lgkmcnt(0)
	v_mul_hi_u32 v0, s9, v1
	v_add_u32_e32 v0, v1, v0
	v_lshrrev_b32_e32 v0, s10, v0
	v_mul_lo_u32 v0, v0, s8
	v_sub_u32_e32 v0, v1, v0
	v_mad_u64_u32 v[2:3], s[6:7], v0, s16, v[2:3]
	v_mad_u64_u32 v[13:14], s[6:7], v0, s17, v[13:14]
	;; [unrolled: 1-line block ×3, first 2 shown]
.LBB215_1470:
	s_and_b64 vcc, exec, s[0:1]
	s_cbranch_vccnz .LBB215_1476
; %bb.1471:
	s_cmp_lg_u32 s33, 0
	s_cbranch_scc0 .LBB215_1477
; %bb.1472:
	s_min_u32 s6, s74, 15
	s_add_i32 s0, s6, 1
	s_and_b32 s7, s0, 30
	s_add_u32 s0, s2, 0xffffffe8
	s_addc_u32 s1, s3, -1
	v_mov_b32_e32 v7, 0
	v_mov_b32_e32 v9, 0
	;; [unrolled: 1-line block ×4, first 2 shown]
.LBB215_1473:                           ; =>This Inner Loop Header: Depth=1
	s_load_dwordx4 s[8:11], s[0:1], 0x1c
	s_load_dwordx2 s[20:21], s[0:1], 0x2c
	s_load_dwordx2 s[22:23], s[0:1], 0xec
	s_load_dwordx4 s[16:19], s[0:1], 0xdc
	s_add_u32 s0, s0, 24
	s_waitcnt lgkmcnt(0)
	v_mul_hi_u32 v3, s9, v1
	s_addc_u32 s1, s1, 0
	s_add_i32 s7, s7, -2
	s_cmp_lg_u32 s7, 0
	v_add_u32_e32 v3, v1, v3
	v_lshrrev_b32_e32 v3, s10, v3
	v_mul_lo_u32 v5, v3, s8
	v_mul_hi_u32 v8, s20, v3
	v_sub_u32_e32 v5, v1, v5
	v_add_u32_e32 v1, v3, v8
	v_lshrrev_b32_e32 v1, s21, v1
	v_mul_lo_u32 v12, v1, s11
	v_mul_lo_u32 v8, v5, s16
	;; [unrolled: 1-line block ×4, first 2 shown]
	v_sub_u32_e32 v3, v3, v12
	v_mul_lo_u32 v12, v3, s19
	v_mul_lo_u32 v14, v3, s22
	;; [unrolled: 1-line block ×3, first 2 shown]
	v_add3_u32 v0, v8, v0, v12
	v_add3_u32 v9, v10, v9, v14
	;; [unrolled: 1-line block ×3, first 2 shown]
	s_cbranch_scc1 .LBB215_1473
; %bb.1474:
	s_bitcmp1_b32 s6, 0
	s_cselect_b64 s[6:7], -1, 0
	s_and_b64 vcc, exec, s[6:7]
	s_cbranch_vccnz .LBB215_1478
; %bb.1475:
	s_load_dwordx2 s[6:7], s[0:1], 0x1c
	s_load_dword s10, s[0:1], 0x24
	s_load_dwordx2 s[8:9], s[0:1], 0xdc
	s_waitcnt lgkmcnt(0)
	v_mul_hi_u32 v3, s7, v1
	v_add_u32_e32 v3, v1, v3
	v_lshrrev_b32_e32 v3, s10, v3
	v_mul_lo_u32 v3, v3, s6
	s_load_dword s6, s[0:1], 0xe4
	v_sub_u32_e32 v3, v1, v3
	v_mad_u64_u32 v[0:1], s[0:1], v3, s8, v[0:1]
	v_mad_u64_u32 v[9:10], s[0:1], v3, s9, v[9:10]
	s_waitcnt lgkmcnt(0)
	v_mad_u64_u32 v[7:8], s[0:1], v3, s6, v[7:8]
	s_cbranch_execz .LBB215_1479
	s_branch .LBB215_1481
.LBB215_1476:
                                        ; implicit-def: $vgpr0
                                        ; implicit-def: $vgpr9
                                        ; implicit-def: $vgpr7
	s_branch .LBB215_1479
.LBB215_1477:
	v_mov_b32_e32 v0, 0
	v_mov_b32_e32 v9, 0
	;; [unrolled: 1-line block ×3, first 2 shown]
.LBB215_1478:
	s_cbranch_execnz .LBB215_1481
.LBB215_1479:
	s_load_dwordx4 s[8:11], s[2:3], 0x4
	s_load_dwordx4 s[16:19], s[2:3], 0xc4
	s_cmp_lt_u32 s33, 2
	s_waitcnt lgkmcnt(0)
	v_mul_hi_u32 v0, s9, v23
	v_add_u32_e32 v0, v23, v0
	v_lshrrev_b32_e32 v1, s10, v0
	v_mul_lo_u32 v0, v1, s8
	v_sub_u32_e32 v3, v23, v0
	v_mul_lo_u32 v0, v3, s16
	v_mul_lo_u32 v9, v3, s17
	;; [unrolled: 1-line block ×3, first 2 shown]
	s_cbranch_scc1 .LBB215_1481
; %bb.1480:
	s_load_dwordx4 s[8:11], s[2:3], 0x10
	s_load_dwordx4 s[16:19], s[2:3], 0xd0
	s_waitcnt lgkmcnt(0)
	v_mul_hi_u32 v3, s9, v1
	v_add_u32_e32 v3, v1, v3
	v_lshrrev_b32_e32 v3, s10, v3
	v_mul_lo_u32 v3, v3, s8
	v_sub_u32_e32 v3, v1, v3
	v_mad_u64_u32 v[0:1], s[0:1], v3, s16, v[0:1]
	v_mad_u64_u32 v[9:10], s[0:1], v3, s17, v[9:10]
	;; [unrolled: 1-line block ×3, first 2 shown]
.LBB215_1481:
	s_load_dwordx4 s[8:11], s[2:3], 0x188
	s_load_dword s28, s[4:5], 0x1ac
	s_waitcnt lgkmcnt(0)
	v_mov_b32_e32 v1, s11
	s_bfe_u32 s20, s28, 0x80008
	v_add_co_u32_e32 v20, vcc, s10, v21
	s_cmp_lt_i32 s20, 11
	v_addc_co_u32_e32 v21, vcc, 0, v1, vcc
	s_cbranch_scc1 .LBB215_1488
; %bb.1482:
	s_and_b32 s21, 0xffff, s20
	s_cmp_gt_i32 s21, 25
	s_mov_b64 s[18:19], 0
	s_cbranch_scc0 .LBB215_1490
; %bb.1483:
	s_cmp_gt_i32 s21, 28
	s_cbranch_scc0 .LBB215_1491
; %bb.1484:
	s_cmp_gt_i32 s21, 43
	;; [unrolled: 3-line block ×3, first 2 shown]
	s_cbranch_scc0 .LBB215_1493
; %bb.1486:
	s_cmp_eq_u32 s21, 46
	s_mov_b64 s[4:5], 0
	s_cbranch_scc0 .LBB215_1496
; %bb.1487:
	global_load_dword v1, v[20:21], off
	s_mov_b64 s[0:1], 0
	s_mov_b64 s[16:17], -1
	s_waitcnt vmcnt(0)
	v_and_b32_e32 v1, 0x7fff7fff, v1
	v_cmp_ne_u32_e64 s[6:7], 0, v1
	s_branch .LBB215_1497
.LBB215_1488:
	s_mov_b64 s[16:17], 0
                                        ; implicit-def: $sgpr6_sgpr7
	s_mov_b64 s[4:5], s[12:13]
	s_cbranch_execnz .LBB215_1542
.LBB215_1489:
	s_andn2_b64 vcc, exec, s[16:17]
	s_cbranch_vccz .LBB215_1587
	s_branch .LBB215_2804
.LBB215_1490:
	s_mov_b64 s[16:17], 0
	s_mov_b64 s[0:1], 0
                                        ; implicit-def: $sgpr6_sgpr7
	s_cbranch_execnz .LBB215_1517
	s_branch .LBB215_1538
.LBB215_1491:
	s_mov_b64 s[4:5], -1
	s_mov_b64 s[16:17], 0
	s_mov_b64 s[0:1], 0
                                        ; implicit-def: $sgpr6_sgpr7
	s_branch .LBB215_1504
.LBB215_1492:
	s_mov_b64 s[16:17], 0
	s_mov_b64 s[0:1], 0
                                        ; implicit-def: $sgpr6_sgpr7
	s_cbranch_execnz .LBB215_1500
	s_branch .LBB215_1503
.LBB215_1493:
	s_mov_b64 s[4:5], -1
	s_mov_b64 s[16:17], 0
	s_mov_b64 s[0:1], 0
                                        ; implicit-def: $sgpr6_sgpr7
	s_branch .LBB215_1497
.LBB215_1494:
	s_andn2_saveexec_b64 s[16:17], s[16:17]
	s_cbranch_execz .LBB215_1345
.LBB215_1495:
	v_add_f32_e32 v0, 0x46000000, v3
	v_and_b32_e32 v0, 0xff, v0
	v_cmp_ne_u32_e32 vcc, 0, v0
	s_andn2_b64 s[14:15], s[14:15], exec
	s_and_b64 s[20:21], vcc, exec
	s_or_b64 s[14:15], s[14:15], s[20:21]
	s_or_b64 exec, exec, s[16:17]
	v_mov_b32_e32 v4, 0
	s_and_saveexec_b64 s[16:17], s[14:15]
	s_cbranch_execnz .LBB215_1346
	s_branch .LBB215_1347
.LBB215_1496:
	s_mov_b64 s[0:1], -1
                                        ; implicit-def: $sgpr6_sgpr7
	s_mov_b64 s[16:17], 0
.LBB215_1497:
	s_and_b64 vcc, exec, s[4:5]
	s_cbranch_vccz .LBB215_1499
; %bb.1498:
	s_cmp_lg_u32 s21, 44
	s_mov_b64 s[16:17], -1
	s_cselect_b64 s[0:1], -1, 0
	s_or_b64 s[6:7], s[6:7], exec
.LBB215_1499:
	s_branch .LBB215_1503
.LBB215_1500:
	s_cmp_eq_u32 s21, 29
	s_cbranch_scc0 .LBB215_1502
; %bb.1501:
	global_load_dwordx2 v[22:23], v[20:21], off
	s_mov_b64 s[0:1], 0
	s_mov_b64 s[16:17], -1
	s_mov_b64 s[4:5], 0
	s_waitcnt vmcnt(0)
	v_cmp_ne_u64_e64 s[6:7], 0, v[22:23]
	s_branch .LBB215_1504
.LBB215_1502:
	s_mov_b64 s[0:1], -1
                                        ; implicit-def: $sgpr6_sgpr7
.LBB215_1503:
	s_mov_b64 s[4:5], 0
.LBB215_1504:
	s_and_b64 vcc, exec, s[4:5]
	s_cbranch_vccz .LBB215_1516
; %bb.1505:
	s_cmp_lt_i32 s21, 27
	s_cbranch_scc1 .LBB215_1508
; %bb.1506:
	s_cmp_gt_i32 s21, 27
	s_cbranch_scc0 .LBB215_1509
; %bb.1507:
	global_load_dword v1, v[20:21], off
	s_mov_b64 s[4:5], 0
	s_waitcnt vmcnt(0)
	v_cmp_ne_u32_e64 s[6:7], 0, v1
	s_branch .LBB215_1510
.LBB215_1508:
	s_mov_b64 s[4:5], -1
                                        ; implicit-def: $sgpr6_sgpr7
	s_branch .LBB215_1513
.LBB215_1509:
	s_mov_b64 s[4:5], -1
                                        ; implicit-def: $sgpr6_sgpr7
.LBB215_1510:
	s_andn2_b64 vcc, exec, s[4:5]
	s_cbranch_vccnz .LBB215_1512
; %bb.1511:
	global_load_ushort v1, v[20:21], off
	s_andn2_b64 s[4:5], s[6:7], exec
	s_waitcnt vmcnt(0)
	v_cmp_ne_u16_e32 vcc, 0, v1
	s_and_b64 s[6:7], vcc, exec
	s_or_b64 s[6:7], s[4:5], s[6:7]
.LBB215_1512:
	s_mov_b64 s[4:5], 0
.LBB215_1513:
	s_andn2_b64 vcc, exec, s[4:5]
	s_cbranch_vccnz .LBB215_1515
; %bb.1514:
	global_load_ubyte v1, v[20:21], off
	s_andn2_b64 s[4:5], s[6:7], exec
	s_waitcnt vmcnt(0)
	v_cmp_ne_u16_e32 vcc, 0, v1
	s_and_b64 s[6:7], vcc, exec
	s_or_b64 s[6:7], s[4:5], s[6:7]
.LBB215_1515:
	s_mov_b64 s[16:17], -1
.LBB215_1516:
	s_branch .LBB215_1538
.LBB215_1517:
	s_cmp_gt_i32 s21, 22
	s_cbranch_scc0 .LBB215_1521
; %bb.1518:
	s_cmp_lt_i32 s21, 24
	s_cbranch_scc1 .LBB215_1522
; %bb.1519:
	s_cmp_gt_i32 s21, 24
	s_cbranch_scc0 .LBB215_1523
; %bb.1520:
	global_load_ubyte v1, v[20:21], off
	s_mov_b64 s[4:5], 0
	s_waitcnt vmcnt(0)
	v_cmp_ne_u16_e64 s[6:7], 0, v1
	s_branch .LBB215_1524
.LBB215_1521:
                                        ; implicit-def: $sgpr6_sgpr7
	s_branch .LBB215_1530
.LBB215_1522:
	s_mov_b64 s[4:5], -1
                                        ; implicit-def: $sgpr6_sgpr7
	s_branch .LBB215_1527
.LBB215_1523:
	s_mov_b64 s[4:5], -1
                                        ; implicit-def: $sgpr6_sgpr7
.LBB215_1524:
	s_andn2_b64 vcc, exec, s[4:5]
	s_cbranch_vccnz .LBB215_1526
; %bb.1525:
	global_load_ubyte v1, v[20:21], off
	s_andn2_b64 s[4:5], s[6:7], exec
	s_waitcnt vmcnt(0)
	v_and_b32_e32 v1, 0x7f, v1
	v_cmp_ne_u16_e32 vcc, 0, v1
	s_and_b64 s[6:7], vcc, exec
	s_or_b64 s[6:7], s[4:5], s[6:7]
.LBB215_1526:
	s_mov_b64 s[4:5], 0
.LBB215_1527:
	s_andn2_b64 vcc, exec, s[4:5]
	s_cbranch_vccnz .LBB215_1529
; %bb.1528:
	global_load_ubyte v1, v[20:21], off
	s_movk_i32 s4, 0x7f00
	s_brev_b32 s5, 16
	s_waitcnt vmcnt(0)
	v_lshlrev_b32_e32 v3, 8, v1
	v_lshlrev_b32_e32 v1, 25, v1
	v_lshrrev_b32_e32 v5, 4, v1
	v_and_or_b32 v3, v3, s4, 0.5
	v_or_b32_e32 v5, 0x70000000, v5
	v_add_f32_e32 v3, -0.5, v3
	v_mul_f32_e32 v5, 0x7800000, v5
	v_cmp_gt_u32_e32 vcc, s5, v1
	v_cndmask_b32_e32 v1, v5, v3, vcc
	v_cmp_neq_f32_e32 vcc, 0, v1
	s_andn2_b64 s[4:5], s[6:7], exec
	s_and_b64 s[6:7], vcc, exec
	s_or_b64 s[6:7], s[4:5], s[6:7]
.LBB215_1529:
	s_mov_b64 s[16:17], -1
	s_cbranch_execnz .LBB215_1538
.LBB215_1530:
	s_cmp_gt_i32 s21, 14
	s_cbranch_scc0 .LBB215_1533
; %bb.1531:
	s_cmp_eq_u32 s21, 15
	s_cbranch_scc0 .LBB215_1534
; %bb.1532:
	global_load_ushort v1, v[20:21], off
	s_mov_b64 s[0:1], 0
	s_mov_b64 s[16:17], -1
	s_waitcnt vmcnt(0)
	v_and_b32_e32 v1, 0x7fff, v1
	v_cmp_ne_u16_e64 s[6:7], 0, v1
	s_branch .LBB215_1535
.LBB215_1533:
	s_mov_b64 s[4:5], -1
                                        ; implicit-def: $sgpr6_sgpr7
	s_branch .LBB215_1536
.LBB215_1534:
	s_mov_b64 s[0:1], -1
                                        ; implicit-def: $sgpr6_sgpr7
.LBB215_1535:
	s_mov_b64 s[4:5], 0
.LBB215_1536:
	s_and_b64 vcc, exec, s[4:5]
	s_cbranch_vccz .LBB215_1538
; %bb.1537:
	s_cmp_lg_u32 s21, 11
	s_mov_b64 s[18:19], -1
	s_cselect_b64 s[0:1], -1, 0
.LBB215_1538:
	s_and_b64 vcc, exec, s[0:1]
	s_mov_b64 s[4:5], s[12:13]
	s_cbranch_vccnz .LBB215_1599
; %bb.1539:
	s_andn2_b64 vcc, exec, s[18:19]
	s_cbranch_vccnz .LBB215_1541
.LBB215_1540:
	global_load_ubyte v1, v[20:21], off
	s_andn2_b64 s[0:1], s[6:7], exec
	s_mov_b64 s[16:17], -1
	s_waitcnt vmcnt(0)
	v_cmp_ne_u16_e32 vcc, 0, v1
	s_and_b64 s[6:7], vcc, exec
	s_or_b64 s[6:7], s[0:1], s[6:7]
.LBB215_1541:
	s_branch .LBB215_1489
.LBB215_1542:
	s_and_b32 s18, 0xffff, s20
	s_cmp_lt_i32 s18, 5
	s_cbranch_scc1 .LBB215_1547
; %bb.1543:
	s_cmp_lt_i32 s18, 8
	s_cbranch_scc1 .LBB215_1548
; %bb.1544:
	;; [unrolled: 3-line block ×3, first 2 shown]
	s_cmp_gt_i32 s18, 9
	s_cbranch_scc0 .LBB215_1550
; %bb.1546:
	global_load_dwordx4 v[22:25], v[20:21], off
	s_mov_b64 s[16:17], 0
	s_waitcnt vmcnt(0)
	v_cmp_neq_f64_e32 vcc, 0, v[22:23]
	v_cmp_neq_f64_e64 s[0:1], 0, v[24:25]
	s_or_b64 s[6:7], vcc, s[0:1]
	s_branch .LBB215_1551
.LBB215_1547:
                                        ; implicit-def: $sgpr6_sgpr7
	s_branch .LBB215_1568
.LBB215_1548:
                                        ; implicit-def: $sgpr6_sgpr7
	s_branch .LBB215_1557
.LBB215_1549:
	s_mov_b64 s[0:1], -1
                                        ; implicit-def: $sgpr6_sgpr7
	s_branch .LBB215_1554
.LBB215_1550:
	s_mov_b64 s[16:17], -1
                                        ; implicit-def: $sgpr6_sgpr7
.LBB215_1551:
	s_andn2_b64 vcc, exec, s[16:17]
	s_cbranch_vccnz .LBB215_1553
; %bb.1552:
	global_load_dwordx2 v[22:23], v[20:21], off
	s_andn2_b64 s[0:1], s[6:7], exec
	s_waitcnt vmcnt(0)
	v_or_b32_e32 v1, v22, v23
	v_and_b32_e32 v1, 0x7fffffff, v1
	v_cmp_ne_u32_e32 vcc, 0, v1
	s_and_b64 s[6:7], vcc, exec
	s_or_b64 s[6:7], s[0:1], s[6:7]
.LBB215_1553:
	s_mov_b64 s[0:1], 0
.LBB215_1554:
	s_andn2_b64 vcc, exec, s[0:1]
	s_cbranch_vccnz .LBB215_1556
; %bb.1555:
	global_load_dword v1, v[20:21], off
	s_andn2_b64 s[0:1], s[6:7], exec
	s_waitcnt vmcnt(0)
	v_and_b32_e32 v1, 0x7fff7fff, v1
	v_cmp_ne_u32_e32 vcc, 0, v1
	s_and_b64 s[6:7], vcc, exec
	s_or_b64 s[6:7], s[0:1], s[6:7]
.LBB215_1556:
	s_cbranch_execnz .LBB215_1567
.LBB215_1557:
	s_cmp_lt_i32 s18, 6
	s_cbranch_scc1 .LBB215_1560
; %bb.1558:
	s_cmp_gt_i32 s18, 6
	s_cbranch_scc0 .LBB215_1561
; %bb.1559:
	global_load_dwordx2 v[22:23], v[20:21], off
	s_mov_b64 s[0:1], 0
	s_waitcnt vmcnt(0)
	v_cmp_neq_f64_e64 s[6:7], 0, v[22:23]
	s_branch .LBB215_1562
.LBB215_1560:
	s_mov_b64 s[0:1], -1
                                        ; implicit-def: $sgpr6_sgpr7
	s_branch .LBB215_1565
.LBB215_1561:
	s_mov_b64 s[0:1], -1
                                        ; implicit-def: $sgpr6_sgpr7
.LBB215_1562:
	s_andn2_b64 vcc, exec, s[0:1]
	s_cbranch_vccnz .LBB215_1564
; %bb.1563:
	global_load_dword v1, v[20:21], off
	s_andn2_b64 s[0:1], s[6:7], exec
	s_waitcnt vmcnt(0)
	v_cmp_neq_f32_e32 vcc, 0, v1
	s_and_b64 s[6:7], vcc, exec
	s_or_b64 s[6:7], s[0:1], s[6:7]
.LBB215_1564:
	s_mov_b64 s[0:1], 0
.LBB215_1565:
	s_andn2_b64 vcc, exec, s[0:1]
	s_cbranch_vccnz .LBB215_1567
; %bb.1566:
	global_load_ushort v1, v[20:21], off
	s_andn2_b64 s[0:1], s[6:7], exec
	s_waitcnt vmcnt(0)
	v_and_b32_e32 v1, 0x7fff, v1
	v_cmp_ne_u16_e32 vcc, 0, v1
	s_and_b64 s[6:7], vcc, exec
	s_or_b64 s[6:7], s[0:1], s[6:7]
.LBB215_1567:
	s_cbranch_execnz .LBB215_1586
.LBB215_1568:
	s_cmp_lt_i32 s18, 2
	s_cbranch_scc1 .LBB215_1572
; %bb.1569:
	s_cmp_lt_i32 s18, 3
	s_cbranch_scc1 .LBB215_1573
; %bb.1570:
	s_cmp_gt_i32 s18, 3
	s_cbranch_scc0 .LBB215_1574
; %bb.1571:
	global_load_dwordx2 v[22:23], v[20:21], off
	s_mov_b64 s[0:1], 0
	s_waitcnt vmcnt(0)
	v_cmp_ne_u64_e64 s[6:7], 0, v[22:23]
	s_branch .LBB215_1575
.LBB215_1572:
                                        ; implicit-def: $sgpr6_sgpr7
	s_branch .LBB215_1581
.LBB215_1573:
	s_mov_b64 s[0:1], -1
                                        ; implicit-def: $sgpr6_sgpr7
	s_branch .LBB215_1578
.LBB215_1574:
	s_mov_b64 s[0:1], -1
                                        ; implicit-def: $sgpr6_sgpr7
.LBB215_1575:
	s_andn2_b64 vcc, exec, s[0:1]
	s_cbranch_vccnz .LBB215_1577
; %bb.1576:
	global_load_dword v1, v[20:21], off
	s_andn2_b64 s[0:1], s[6:7], exec
	s_waitcnt vmcnt(0)
	v_cmp_ne_u32_e32 vcc, 0, v1
	s_and_b64 s[6:7], vcc, exec
	s_or_b64 s[6:7], s[0:1], s[6:7]
.LBB215_1577:
	s_mov_b64 s[0:1], 0
.LBB215_1578:
	s_andn2_b64 vcc, exec, s[0:1]
	s_cbranch_vccnz .LBB215_1580
; %bb.1579:
	global_load_ushort v1, v[20:21], off
	s_andn2_b64 s[0:1], s[6:7], exec
	s_waitcnt vmcnt(0)
	v_cmp_ne_u16_e32 vcc, 0, v1
	s_and_b64 s[6:7], vcc, exec
	s_or_b64 s[6:7], s[0:1], s[6:7]
.LBB215_1580:
	s_cbranch_execnz .LBB215_1586
.LBB215_1581:
	s_cmp_gt_i32 s18, 0
	s_cbranch_scc0 .LBB215_1583
; %bb.1582:
	global_load_ubyte v1, v[20:21], off
	s_mov_b64 s[0:1], 0
	s_waitcnt vmcnt(0)
	v_cmp_ne_u16_e64 s[6:7], 0, v1
	s_branch .LBB215_1584
.LBB215_1583:
	s_mov_b64 s[0:1], -1
                                        ; implicit-def: $sgpr6_sgpr7
.LBB215_1584:
	s_andn2_b64 vcc, exec, s[0:1]
	s_cbranch_vccnz .LBB215_1586
; %bb.1585:
	global_load_ubyte v1, v[20:21], off
	s_andn2_b64 s[0:1], s[6:7], exec
	s_waitcnt vmcnt(0)
	v_cmp_ne_u16_e32 vcc, 0, v1
	s_and_b64 s[6:7], vcc, exec
	s_or_b64 s[6:7], s[0:1], s[6:7]
.LBB215_1586:
.LBB215_1587:
	s_load_dwordx2 s[22:23], s[2:3], 0x198
	s_bfe_u32 s26, s28, 0x80010
	s_cmp_lt_i32 s26, 11
	s_waitcnt lgkmcnt(0)
	v_mov_b32_e32 v1, s23
	v_add_co_u32_e32 v18, vcc, s22, v19
	v_addc_co_u32_e32 v19, vcc, 0, v1, vcc
	s_cbranch_scc1 .LBB215_1594
; %bb.1588:
	s_and_b32 s27, 0xffff, s26
	s_cmp_gt_i32 s27, 25
	s_mov_b64 s[20:21], 0
	s_cbranch_scc0 .LBB215_1596
; %bb.1589:
	s_cmp_gt_i32 s27, 28
	s_cbranch_scc0 .LBB215_1597
; %bb.1590:
	s_cmp_gt_i32 s27, 43
	;; [unrolled: 3-line block ×3, first 2 shown]
	s_cbranch_scc0 .LBB215_1600
; %bb.1592:
	s_cmp_eq_u32 s27, 46
	s_mov_b64 s[24:25], 0
	s_cbranch_scc0 .LBB215_1603
; %bb.1593:
	global_load_dword v1, v[18:19], off
	s_mov_b64 s[0:1], 0
	s_mov_b64 s[16:17], -1
	s_waitcnt vmcnt(0)
	v_and_b32_e32 v1, 0x7fff7fff, v1
	v_cmp_ne_u32_e64 s[18:19], 0, v1
	s_branch .LBB215_1604
.LBB215_1594:
	s_mov_b64 s[16:17], 0
                                        ; implicit-def: $sgpr18_sgpr19
	s_cbranch_execnz .LBB215_1651
.LBB215_1595:
	s_andn2_b64 vcc, exec, s[16:17]
	s_cbranch_vccnz .LBB215_2804
	s_branch .LBB215_1698
.LBB215_1596:
	s_mov_b64 s[16:17], 0
	s_mov_b64 s[0:1], 0
                                        ; implicit-def: $sgpr18_sgpr19
	s_cbranch_execnz .LBB215_1625
	s_branch .LBB215_1647
.LBB215_1597:
	s_mov_b64 s[24:25], -1
	s_mov_b64 s[16:17], 0
	s_mov_b64 s[0:1], 0
                                        ; implicit-def: $sgpr18_sgpr19
	s_branch .LBB215_1612
.LBB215_1598:
	s_mov_b64 s[24:25], -1
	s_mov_b64 s[16:17], 0
	s_mov_b64 s[0:1], 0
                                        ; implicit-def: $sgpr18_sgpr19
	s_branch .LBB215_1607
.LBB215_1599:
	s_mov_b64 s[16:17], 0
	s_or_b64 s[4:5], s[12:13], exec
	s_trap 2
	s_cbranch_execz .LBB215_1540
	s_branch .LBB215_1541
.LBB215_1600:
	s_mov_b64 s[24:25], -1
	s_mov_b64 s[16:17], 0
	s_mov_b64 s[0:1], 0
                                        ; implicit-def: $sgpr18_sgpr19
	s_branch .LBB215_1604
.LBB215_1601:
	s_andn2_saveexec_b64 s[20:21], s[20:21]
	s_cbranch_execz .LBB215_1357
.LBB215_1602:
	v_add_f32_e32 v0, 0x42800000, v3
	v_and_b32_e32 v0, 0xff, v0
	v_cmp_ne_u32_e32 vcc, 0, v0
	s_andn2_b64 s[16:17], s[16:17], exec
	s_and_b64 s[28:29], vcc, exec
	s_or_b64 s[16:17], s[16:17], s[28:29]
	s_or_b64 exec, exec, s[20:21]
	v_mov_b32_e32 v4, 0
	s_and_saveexec_b64 s[20:21], s[16:17]
	s_cbranch_execnz .LBB215_1358
	s_branch .LBB215_1359
.LBB215_1603:
	s_mov_b64 s[0:1], -1
                                        ; implicit-def: $sgpr18_sgpr19
	s_mov_b64 s[16:17], 0
.LBB215_1604:
	s_and_b64 vcc, exec, s[24:25]
	s_cbranch_vccz .LBB215_1606
; %bb.1605:
	s_cmp_lg_u32 s27, 44
	s_mov_b64 s[16:17], -1
	s_cselect_b64 s[0:1], -1, 0
	s_or_b64 s[18:19], s[18:19], exec
.LBB215_1606:
	s_mov_b64 s[24:25], 0
.LBB215_1607:
	s_and_b64 vcc, exec, s[24:25]
	s_cbranch_vccz .LBB215_1611
; %bb.1608:
	s_cmp_eq_u32 s27, 29
	s_cbranch_scc0 .LBB215_1610
; %bb.1609:
	global_load_dwordx2 v[20:21], v[18:19], off
	s_mov_b64 s[0:1], 0
	s_mov_b64 s[16:17], -1
	s_mov_b64 s[24:25], 0
	s_waitcnt vmcnt(0)
	v_cmp_ne_u64_e64 s[18:19], 0, v[20:21]
	s_branch .LBB215_1612
.LBB215_1610:
	s_mov_b64 s[0:1], -1
                                        ; implicit-def: $sgpr18_sgpr19
.LBB215_1611:
	s_mov_b64 s[24:25], 0
.LBB215_1612:
	s_and_b64 vcc, exec, s[24:25]
	s_cbranch_vccz .LBB215_1624
; %bb.1613:
	s_cmp_lt_i32 s27, 27
	s_cbranch_scc1 .LBB215_1616
; %bb.1614:
	s_cmp_gt_i32 s27, 27
	s_cbranch_scc0 .LBB215_1617
; %bb.1615:
	global_load_dword v1, v[18:19], off
	s_mov_b64 s[16:17], 0
	s_waitcnt vmcnt(0)
	v_cmp_ne_u32_e64 s[18:19], 0, v1
	s_branch .LBB215_1618
.LBB215_1616:
	s_mov_b64 s[16:17], -1
                                        ; implicit-def: $sgpr18_sgpr19
	s_branch .LBB215_1621
.LBB215_1617:
	s_mov_b64 s[16:17], -1
                                        ; implicit-def: $sgpr18_sgpr19
.LBB215_1618:
	s_andn2_b64 vcc, exec, s[16:17]
	s_cbranch_vccnz .LBB215_1620
; %bb.1619:
	global_load_ushort v1, v[18:19], off
	s_andn2_b64 s[16:17], s[18:19], exec
	s_waitcnt vmcnt(0)
	v_cmp_ne_u16_e32 vcc, 0, v1
	s_and_b64 s[18:19], vcc, exec
	s_or_b64 s[18:19], s[16:17], s[18:19]
.LBB215_1620:
	s_mov_b64 s[16:17], 0
.LBB215_1621:
	s_andn2_b64 vcc, exec, s[16:17]
	s_cbranch_vccnz .LBB215_1623
; %bb.1622:
	global_load_ubyte v1, v[18:19], off
	s_andn2_b64 s[16:17], s[18:19], exec
	s_waitcnt vmcnt(0)
	v_cmp_ne_u16_e32 vcc, 0, v1
	s_and_b64 s[18:19], vcc, exec
	s_or_b64 s[18:19], s[16:17], s[18:19]
.LBB215_1623:
	s_mov_b64 s[16:17], -1
.LBB215_1624:
	s_branch .LBB215_1647
.LBB215_1625:
	s_cmp_gt_i32 s27, 22
	s_cbranch_scc0 .LBB215_1629
; %bb.1626:
	s_cmp_lt_i32 s27, 24
	s_cbranch_scc1 .LBB215_1630
; %bb.1627:
	s_cmp_gt_i32 s27, 24
	s_cbranch_scc0 .LBB215_1631
; %bb.1628:
	global_load_ubyte v1, v[18:19], off
	s_mov_b64 s[16:17], 0
	s_waitcnt vmcnt(0)
	v_cmp_ne_u16_e64 s[18:19], 0, v1
	s_branch .LBB215_1632
.LBB215_1629:
	s_mov_b64 s[20:21], -1
                                        ; implicit-def: $sgpr18_sgpr19
	s_branch .LBB215_1638
.LBB215_1630:
	s_mov_b64 s[16:17], -1
                                        ; implicit-def: $sgpr18_sgpr19
	s_branch .LBB215_1635
.LBB215_1631:
	s_mov_b64 s[16:17], -1
                                        ; implicit-def: $sgpr18_sgpr19
.LBB215_1632:
	s_andn2_b64 vcc, exec, s[16:17]
	s_cbranch_vccnz .LBB215_1634
; %bb.1633:
	global_load_ubyte v1, v[18:19], off
	s_andn2_b64 s[16:17], s[18:19], exec
	s_waitcnt vmcnt(0)
	v_and_b32_e32 v1, 0x7f, v1
	v_cmp_ne_u16_e32 vcc, 0, v1
	s_and_b64 s[18:19], vcc, exec
	s_or_b64 s[18:19], s[16:17], s[18:19]
.LBB215_1634:
	s_mov_b64 s[16:17], 0
.LBB215_1635:
	s_andn2_b64 vcc, exec, s[16:17]
	s_cbranch_vccnz .LBB215_1637
; %bb.1636:
	global_load_ubyte v1, v[18:19], off
	s_movk_i32 s16, 0x7f00
	s_brev_b32 s17, 16
	s_waitcnt vmcnt(0)
	v_lshlrev_b32_e32 v3, 8, v1
	v_lshlrev_b32_e32 v1, 25, v1
	v_lshrrev_b32_e32 v5, 4, v1
	v_and_or_b32 v3, v3, s16, 0.5
	v_or_b32_e32 v5, 0x70000000, v5
	v_add_f32_e32 v3, -0.5, v3
	v_mul_f32_e32 v5, 0x7800000, v5
	v_cmp_gt_u32_e32 vcc, s17, v1
	v_cndmask_b32_e32 v1, v5, v3, vcc
	v_cmp_neq_f32_e32 vcc, 0, v1
	s_andn2_b64 s[16:17], s[18:19], exec
	s_and_b64 s[18:19], vcc, exec
	s_or_b64 s[18:19], s[16:17], s[18:19]
.LBB215_1637:
	s_mov_b64 s[16:17], -1
.LBB215_1638:
	s_andn2_b64 vcc, exec, s[20:21]
	s_mov_b64 s[20:21], 0
	s_cbranch_vccnz .LBB215_1647
; %bb.1639:
	s_cmp_gt_i32 s27, 14
	s_cbranch_scc0 .LBB215_1642
; %bb.1640:
	s_cmp_eq_u32 s27, 15
	s_cbranch_scc0 .LBB215_1643
; %bb.1641:
	global_load_ushort v1, v[18:19], off
	s_mov_b64 s[0:1], 0
	s_mov_b64 s[16:17], -1
	s_waitcnt vmcnt(0)
	v_and_b32_e32 v1, 0x7fff, v1
	v_cmp_ne_u16_e64 s[18:19], 0, v1
	s_branch .LBB215_1644
.LBB215_1642:
	s_mov_b64 s[24:25], -1
                                        ; implicit-def: $sgpr18_sgpr19
	s_branch .LBB215_1645
.LBB215_1643:
	s_mov_b64 s[0:1], -1
                                        ; implicit-def: $sgpr18_sgpr19
.LBB215_1644:
	s_mov_b64 s[24:25], 0
.LBB215_1645:
	s_and_b64 vcc, exec, s[24:25]
	s_cbranch_vccz .LBB215_1647
; %bb.1646:
	s_cmp_lg_u32 s27, 11
	s_mov_b64 s[20:21], -1
	s_cselect_b64 s[0:1], -1, 0
.LBB215_1647:
	s_and_b64 vcc, exec, s[0:1]
	s_cbranch_vccnz .LBB215_1710
; %bb.1648:
	s_andn2_b64 vcc, exec, s[20:21]
	s_cbranch_vccnz .LBB215_1650
.LBB215_1649:
	global_load_ubyte v1, v[18:19], off
	s_andn2_b64 s[0:1], s[18:19], exec
	s_mov_b64 s[16:17], -1
	s_waitcnt vmcnt(0)
	v_cmp_ne_u16_e32 vcc, 0, v1
	s_and_b64 s[18:19], vcc, exec
	s_or_b64 s[18:19], s[0:1], s[18:19]
.LBB215_1650:
	s_branch .LBB215_1595
.LBB215_1651:
	s_and_b32 s20, 0xffff, s26
	s_cmp_lt_i32 s20, 5
	s_cbranch_scc1 .LBB215_1656
; %bb.1652:
	s_cmp_lt_i32 s20, 8
	s_cbranch_scc1 .LBB215_1657
; %bb.1653:
	s_cmp_lt_i32 s20, 9
	s_cbranch_scc1 .LBB215_1658
; %bb.1654:
	s_cmp_gt_i32 s20, 9
	s_cbranch_scc0 .LBB215_1659
; %bb.1655:
	global_load_dwordx4 v[20:23], v[18:19], off
	s_mov_b64 s[16:17], 0
	s_waitcnt vmcnt(0)
	v_cmp_neq_f64_e32 vcc, 0, v[20:21]
	v_cmp_neq_f64_e64 s[0:1], 0, v[22:23]
	s_or_b64 s[18:19], vcc, s[0:1]
	s_branch .LBB215_1660
.LBB215_1656:
                                        ; implicit-def: $sgpr18_sgpr19
	s_branch .LBB215_1678
.LBB215_1657:
	s_mov_b64 s[0:1], -1
                                        ; implicit-def: $sgpr18_sgpr19
	s_branch .LBB215_1666
.LBB215_1658:
	s_mov_b64 s[0:1], -1
                                        ; implicit-def: $sgpr18_sgpr19
	s_branch .LBB215_1663
.LBB215_1659:
	s_mov_b64 s[16:17], -1
                                        ; implicit-def: $sgpr18_sgpr19
.LBB215_1660:
	s_andn2_b64 vcc, exec, s[16:17]
	s_cbranch_vccnz .LBB215_1662
; %bb.1661:
	global_load_dwordx2 v[20:21], v[18:19], off
	s_andn2_b64 s[0:1], s[18:19], exec
	s_waitcnt vmcnt(0)
	v_or_b32_e32 v1, v20, v21
	v_and_b32_e32 v1, 0x7fffffff, v1
	v_cmp_ne_u32_e32 vcc, 0, v1
	s_and_b64 s[16:17], vcc, exec
	s_or_b64 s[18:19], s[0:1], s[16:17]
.LBB215_1662:
	s_mov_b64 s[0:1], 0
.LBB215_1663:
	s_andn2_b64 vcc, exec, s[0:1]
	s_cbranch_vccnz .LBB215_1665
; %bb.1664:
	global_load_dword v1, v[18:19], off
	s_andn2_b64 s[0:1], s[18:19], exec
	s_waitcnt vmcnt(0)
	v_and_b32_e32 v1, 0x7fff7fff, v1
	v_cmp_ne_u32_e32 vcc, 0, v1
	s_and_b64 s[16:17], vcc, exec
	s_or_b64 s[18:19], s[0:1], s[16:17]
.LBB215_1665:
	s_mov_b64 s[0:1], 0
.LBB215_1666:
	s_andn2_b64 vcc, exec, s[0:1]
	s_cbranch_vccnz .LBB215_1677
; %bb.1667:
	s_cmp_lt_i32 s20, 6
	s_cbranch_scc1 .LBB215_1670
; %bb.1668:
	s_cmp_gt_i32 s20, 6
	s_cbranch_scc0 .LBB215_1671
; %bb.1669:
	global_load_dwordx2 v[20:21], v[18:19], off
	s_mov_b64 s[0:1], 0
	s_waitcnt vmcnt(0)
	v_cmp_neq_f64_e64 s[18:19], 0, v[20:21]
	s_branch .LBB215_1672
.LBB215_1670:
	s_mov_b64 s[0:1], -1
                                        ; implicit-def: $sgpr18_sgpr19
	s_branch .LBB215_1675
.LBB215_1671:
	s_mov_b64 s[0:1], -1
                                        ; implicit-def: $sgpr18_sgpr19
.LBB215_1672:
	s_andn2_b64 vcc, exec, s[0:1]
	s_cbranch_vccnz .LBB215_1674
; %bb.1673:
	global_load_dword v1, v[18:19], off
	s_andn2_b64 s[0:1], s[18:19], exec
	s_waitcnt vmcnt(0)
	v_cmp_neq_f32_e32 vcc, 0, v1
	s_and_b64 s[16:17], vcc, exec
	s_or_b64 s[18:19], s[0:1], s[16:17]
.LBB215_1674:
	s_mov_b64 s[0:1], 0
.LBB215_1675:
	s_andn2_b64 vcc, exec, s[0:1]
	s_cbranch_vccnz .LBB215_1677
; %bb.1676:
	global_load_ushort v1, v[18:19], off
	s_andn2_b64 s[0:1], s[18:19], exec
	s_waitcnt vmcnt(0)
	v_and_b32_e32 v1, 0x7fff, v1
	v_cmp_ne_u16_e32 vcc, 0, v1
	s_and_b64 s[16:17], vcc, exec
	s_or_b64 s[18:19], s[0:1], s[16:17]
.LBB215_1677:
	s_cbranch_execnz .LBB215_1697
.LBB215_1678:
	s_cmp_lt_i32 s20, 2
	s_cbranch_scc1 .LBB215_1682
; %bb.1679:
	s_cmp_lt_i32 s20, 3
	s_cbranch_scc1 .LBB215_1683
; %bb.1680:
	s_cmp_gt_i32 s20, 3
	s_cbranch_scc0 .LBB215_1684
; %bb.1681:
	global_load_dwordx2 v[20:21], v[18:19], off
	s_mov_b64 s[0:1], 0
	s_waitcnt vmcnt(0)
	v_cmp_ne_u64_e64 s[18:19], 0, v[20:21]
	s_branch .LBB215_1685
.LBB215_1682:
	s_mov_b64 s[0:1], -1
                                        ; implicit-def: $sgpr18_sgpr19
	s_branch .LBB215_1691
.LBB215_1683:
	s_mov_b64 s[0:1], -1
                                        ; implicit-def: $sgpr18_sgpr19
	s_branch .LBB215_1688
.LBB215_1684:
	s_mov_b64 s[0:1], -1
                                        ; implicit-def: $sgpr18_sgpr19
.LBB215_1685:
	s_andn2_b64 vcc, exec, s[0:1]
	s_cbranch_vccnz .LBB215_1687
; %bb.1686:
	global_load_dword v1, v[18:19], off
	s_andn2_b64 s[0:1], s[18:19], exec
	s_waitcnt vmcnt(0)
	v_cmp_ne_u32_e32 vcc, 0, v1
	s_and_b64 s[16:17], vcc, exec
	s_or_b64 s[18:19], s[0:1], s[16:17]
.LBB215_1687:
	s_mov_b64 s[0:1], 0
.LBB215_1688:
	s_andn2_b64 vcc, exec, s[0:1]
	s_cbranch_vccnz .LBB215_1690
; %bb.1689:
	global_load_ushort v1, v[18:19], off
	s_andn2_b64 s[0:1], s[18:19], exec
	s_waitcnt vmcnt(0)
	v_cmp_ne_u16_e32 vcc, 0, v1
	s_and_b64 s[16:17], vcc, exec
	s_or_b64 s[18:19], s[0:1], s[16:17]
.LBB215_1690:
	s_mov_b64 s[0:1], 0
.LBB215_1691:
	s_andn2_b64 vcc, exec, s[0:1]
	s_cbranch_vccnz .LBB215_1697
; %bb.1692:
	s_cmp_gt_i32 s20, 0
	s_cbranch_scc0 .LBB215_1694
; %bb.1693:
	global_load_ubyte v1, v[18:19], off
	s_mov_b64 s[0:1], 0
	s_waitcnt vmcnt(0)
	v_cmp_ne_u16_e64 s[18:19], 0, v1
	s_branch .LBB215_1695
.LBB215_1694:
	s_mov_b64 s[0:1], -1
                                        ; implicit-def: $sgpr18_sgpr19
.LBB215_1695:
	s_andn2_b64 vcc, exec, s[0:1]
	s_cbranch_vccnz .LBB215_1697
; %bb.1696:
	global_load_ubyte v1, v[18:19], off
	s_andn2_b64 s[0:1], s[18:19], exec
	s_waitcnt vmcnt(0)
	v_cmp_ne_u16_e32 vcc, 0, v1
	s_and_b64 s[16:17], vcc, exec
	s_or_b64 s[18:19], s[0:1], s[16:17]
.LBB215_1697:
.LBB215_1698:
	s_lshr_b32 s0, s28, 8
	v_mov_b32_e32 v1, s11
	s_and_b32 s33, s0, 0xff
	v_add_co_u32_e32 v16, vcc, s10, v17
	s_cmp_lt_i32 s33, 11
	v_addc_co_u32_e32 v17, vcc, 0, v1, vcc
	s_cbranch_scc1 .LBB215_1705
; %bb.1699:
	s_and_b32 s29, 0xffff, s33
	s_cmp_gt_i32 s29, 25
	s_mov_b64 s[24:25], 0
	s_cbranch_scc0 .LBB215_1707
; %bb.1700:
	s_cmp_gt_i32 s29, 28
	s_cbranch_scc0 .LBB215_1708
; %bb.1701:
	s_cmp_gt_i32 s29, 43
	;; [unrolled: 3-line block ×3, first 2 shown]
	s_cbranch_scc0 .LBB215_1711
; %bb.1703:
	s_cmp_eq_u32 s29, 46
	s_mov_b64 s[26:27], 0
	s_cbranch_scc0 .LBB215_1712
; %bb.1704:
	global_load_dword v1, v[16:17], off
	s_mov_b64 s[0:1], 0
	s_mov_b64 s[20:21], -1
	s_waitcnt vmcnt(0)
	v_and_b32_e32 v1, 0x7fff7fff, v1
	v_cmp_ne_u32_e64 s[16:17], 0, v1
	s_branch .LBB215_1713
.LBB215_1705:
	s_mov_b64 s[20:21], 0
                                        ; implicit-def: $sgpr16_sgpr17
	s_cbranch_execnz .LBB215_1761
.LBB215_1706:
	s_andn2_b64 vcc, exec, s[20:21]
	s_cbranch_vccnz .LBB215_2804
	s_branch .LBB215_1809
.LBB215_1707:
	s_mov_b64 s[26:27], -1
	s_mov_b64 s[20:21], 0
	s_mov_b64 s[0:1], 0
                                        ; implicit-def: $sgpr16_sgpr17
	s_branch .LBB215_1734
.LBB215_1708:
	s_mov_b64 s[26:27], -1
	s_mov_b64 s[20:21], 0
	s_mov_b64 s[0:1], 0
                                        ; implicit-def: $sgpr16_sgpr17
	s_branch .LBB215_1721
.LBB215_1709:
	s_mov_b64 s[26:27], -1
	s_mov_b64 s[20:21], 0
	s_mov_b64 s[0:1], 0
                                        ; implicit-def: $sgpr16_sgpr17
	s_branch .LBB215_1716
.LBB215_1710:
	s_trap 2
	s_mov_b64 s[16:17], 0
	s_or_b64 s[4:5], s[4:5], exec
	s_cbranch_execz .LBB215_1649
	s_branch .LBB215_1650
.LBB215_1711:
	s_mov_b64 s[26:27], -1
	s_mov_b64 s[20:21], 0
	s_mov_b64 s[0:1], 0
                                        ; implicit-def: $sgpr16_sgpr17
	s_branch .LBB215_1713
.LBB215_1712:
	s_mov_b64 s[0:1], -1
                                        ; implicit-def: $sgpr16_sgpr17
	s_mov_b64 s[20:21], 0
.LBB215_1713:
	s_and_b64 vcc, exec, s[26:27]
	s_cbranch_vccz .LBB215_1715
; %bb.1714:
	s_cmp_lg_u32 s29, 44
	s_mov_b64 s[20:21], -1
	s_cselect_b64 s[0:1], -1, 0
	s_or_b64 s[16:17], s[16:17], exec
.LBB215_1715:
	s_mov_b64 s[26:27], 0
.LBB215_1716:
	s_and_b64 vcc, exec, s[26:27]
	s_cbranch_vccz .LBB215_1720
; %bb.1717:
	s_cmp_eq_u32 s29, 29
	s_cbranch_scc0 .LBB215_1719
; %bb.1718:
	global_load_dwordx2 v[18:19], v[16:17], off
	s_mov_b64 s[0:1], 0
	s_mov_b64 s[20:21], -1
	s_mov_b64 s[26:27], 0
	s_waitcnt vmcnt(0)
	v_cmp_ne_u64_e64 s[16:17], 0, v[18:19]
	s_branch .LBB215_1721
.LBB215_1719:
	s_mov_b64 s[0:1], -1
                                        ; implicit-def: $sgpr16_sgpr17
.LBB215_1720:
	s_mov_b64 s[26:27], 0
.LBB215_1721:
	s_and_b64 vcc, exec, s[26:27]
	s_cbranch_vccz .LBB215_1733
; %bb.1722:
	s_cmp_lt_i32 s29, 27
	s_cbranch_scc1 .LBB215_1725
; %bb.1723:
	s_cmp_gt_i32 s29, 27
	s_cbranch_scc0 .LBB215_1726
; %bb.1724:
	global_load_dword v1, v[16:17], off
	s_mov_b64 s[20:21], 0
	s_waitcnt vmcnt(0)
	v_cmp_ne_u32_e64 s[16:17], 0, v1
	s_branch .LBB215_1727
.LBB215_1725:
	s_mov_b64 s[20:21], -1
                                        ; implicit-def: $sgpr16_sgpr17
	s_branch .LBB215_1730
.LBB215_1726:
	s_mov_b64 s[20:21], -1
                                        ; implicit-def: $sgpr16_sgpr17
.LBB215_1727:
	s_andn2_b64 vcc, exec, s[20:21]
	s_cbranch_vccnz .LBB215_1729
; %bb.1728:
	global_load_ushort v1, v[16:17], off
	s_andn2_b64 s[16:17], s[16:17], exec
	s_waitcnt vmcnt(0)
	v_cmp_ne_u16_e32 vcc, 0, v1
	s_and_b64 s[20:21], vcc, exec
	s_or_b64 s[16:17], s[16:17], s[20:21]
.LBB215_1729:
	s_mov_b64 s[20:21], 0
.LBB215_1730:
	s_andn2_b64 vcc, exec, s[20:21]
	s_cbranch_vccnz .LBB215_1732
; %bb.1731:
	global_load_ubyte v1, v[16:17], off
	s_andn2_b64 s[16:17], s[16:17], exec
	s_waitcnt vmcnt(0)
	v_cmp_ne_u16_e32 vcc, 0, v1
	s_and_b64 s[20:21], vcc, exec
	s_or_b64 s[16:17], s[16:17], s[20:21]
.LBB215_1732:
	s_mov_b64 s[20:21], -1
.LBB215_1733:
	s_mov_b64 s[26:27], 0
.LBB215_1734:
	s_and_b64 vcc, exec, s[26:27]
	s_cbranch_vccz .LBB215_1757
; %bb.1735:
	s_cmp_gt_i32 s29, 22
	s_cbranch_scc0 .LBB215_1739
; %bb.1736:
	s_cmp_lt_i32 s29, 24
	s_cbranch_scc1 .LBB215_1740
; %bb.1737:
	s_cmp_gt_i32 s29, 24
	s_cbranch_scc0 .LBB215_1741
; %bb.1738:
	global_load_ubyte v1, v[16:17], off
	s_mov_b64 s[20:21], 0
	s_waitcnt vmcnt(0)
	v_cmp_ne_u16_e64 s[16:17], 0, v1
	s_branch .LBB215_1742
.LBB215_1739:
	s_mov_b64 s[24:25], -1
                                        ; implicit-def: $sgpr16_sgpr17
	s_branch .LBB215_1748
.LBB215_1740:
	s_mov_b64 s[20:21], -1
                                        ; implicit-def: $sgpr16_sgpr17
	s_branch .LBB215_1745
.LBB215_1741:
	s_mov_b64 s[20:21], -1
                                        ; implicit-def: $sgpr16_sgpr17
.LBB215_1742:
	s_andn2_b64 vcc, exec, s[20:21]
	s_cbranch_vccnz .LBB215_1744
; %bb.1743:
	global_load_ubyte v1, v[16:17], off
	s_andn2_b64 s[16:17], s[16:17], exec
	s_waitcnt vmcnt(0)
	v_and_b32_e32 v1, 0x7f, v1
	v_cmp_ne_u16_e32 vcc, 0, v1
	s_and_b64 s[20:21], vcc, exec
	s_or_b64 s[16:17], s[16:17], s[20:21]
.LBB215_1744:
	s_mov_b64 s[20:21], 0
.LBB215_1745:
	s_andn2_b64 vcc, exec, s[20:21]
	s_cbranch_vccnz .LBB215_1747
; %bb.1746:
	global_load_ubyte v1, v[16:17], off
	s_movk_i32 s20, 0x7f00
	s_brev_b32 s21, 16
	s_andn2_b64 s[16:17], s[16:17], exec
	s_waitcnt vmcnt(0)
	v_lshlrev_b32_e32 v3, 8, v1
	v_lshlrev_b32_e32 v1, 25, v1
	v_lshrrev_b32_e32 v5, 4, v1
	v_and_or_b32 v3, v3, s20, 0.5
	v_or_b32_e32 v5, 0x70000000, v5
	v_add_f32_e32 v3, -0.5, v3
	v_mul_f32_e32 v5, 0x7800000, v5
	v_cmp_gt_u32_e32 vcc, s21, v1
	v_cndmask_b32_e32 v1, v5, v3, vcc
	v_cmp_neq_f32_e32 vcc, 0, v1
	s_and_b64 s[20:21], vcc, exec
	s_or_b64 s[16:17], s[16:17], s[20:21]
.LBB215_1747:
	s_mov_b64 s[20:21], -1
.LBB215_1748:
	s_andn2_b64 vcc, exec, s[24:25]
	s_mov_b64 s[24:25], 0
	s_cbranch_vccnz .LBB215_1757
; %bb.1749:
	s_cmp_gt_i32 s29, 14
	s_cbranch_scc0 .LBB215_1752
; %bb.1750:
	s_cmp_eq_u32 s29, 15
	s_cbranch_scc0 .LBB215_1753
; %bb.1751:
	global_load_ushort v1, v[16:17], off
	s_mov_b64 s[0:1], 0
	s_mov_b64 s[20:21], -1
	s_waitcnt vmcnt(0)
	v_and_b32_e32 v1, 0x7fff, v1
	v_cmp_ne_u16_e64 s[16:17], 0, v1
	s_branch .LBB215_1754
.LBB215_1752:
	s_mov_b64 s[26:27], -1
                                        ; implicit-def: $sgpr16_sgpr17
	s_branch .LBB215_1755
.LBB215_1753:
	s_mov_b64 s[0:1], -1
                                        ; implicit-def: $sgpr16_sgpr17
.LBB215_1754:
	s_mov_b64 s[26:27], 0
.LBB215_1755:
	s_and_b64 vcc, exec, s[26:27]
	s_cbranch_vccz .LBB215_1757
; %bb.1756:
	s_cmp_lg_u32 s29, 11
	s_mov_b64 s[24:25], -1
	s_cselect_b64 s[0:1], -1, 0
.LBB215_1757:
	s_and_b64 vcc, exec, s[0:1]
	s_cbranch_vccnz .LBB215_1820
; %bb.1758:
	s_andn2_b64 vcc, exec, s[24:25]
	s_cbranch_vccnz .LBB215_1760
.LBB215_1759:
	global_load_ubyte v1, v[16:17], off
	s_andn2_b64 s[0:1], s[16:17], exec
	s_mov_b64 s[20:21], -1
	s_waitcnt vmcnt(0)
	v_cmp_ne_u16_e32 vcc, 0, v1
	s_and_b64 s[16:17], vcc, exec
	s_or_b64 s[16:17], s[0:1], s[16:17]
.LBB215_1760:
	s_branch .LBB215_1706
.LBB215_1761:
	s_and_b32 s24, 0xffff, s33
	s_cmp_lt_i32 s24, 5
	s_cbranch_scc1 .LBB215_1766
; %bb.1762:
	s_cmp_lt_i32 s24, 8
	s_cbranch_scc1 .LBB215_1767
; %bb.1763:
	;; [unrolled: 3-line block ×3, first 2 shown]
	s_cmp_gt_i32 s24, 9
	s_cbranch_scc0 .LBB215_1769
; %bb.1765:
	global_load_dwordx4 v[18:21], v[16:17], off
	s_mov_b64 s[20:21], 0
	s_waitcnt vmcnt(0)
	v_cmp_neq_f64_e32 vcc, 0, v[18:19]
	v_cmp_neq_f64_e64 s[0:1], 0, v[20:21]
	s_or_b64 s[16:17], vcc, s[0:1]
	s_branch .LBB215_1770
.LBB215_1766:
	s_mov_b64 s[0:1], -1
                                        ; implicit-def: $sgpr16_sgpr17
	s_branch .LBB215_1788
.LBB215_1767:
	s_mov_b64 s[0:1], -1
                                        ; implicit-def: $sgpr16_sgpr17
	s_branch .LBB215_1776
.LBB215_1768:
	s_mov_b64 s[0:1], -1
                                        ; implicit-def: $sgpr16_sgpr17
	s_branch .LBB215_1773
.LBB215_1769:
	s_mov_b64 s[20:21], -1
                                        ; implicit-def: $sgpr16_sgpr17
.LBB215_1770:
	s_andn2_b64 vcc, exec, s[20:21]
	s_cbranch_vccnz .LBB215_1772
; %bb.1771:
	global_load_dwordx2 v[18:19], v[16:17], off
	s_andn2_b64 s[0:1], s[16:17], exec
	s_waitcnt vmcnt(0)
	v_or_b32_e32 v1, v18, v19
	v_and_b32_e32 v1, 0x7fffffff, v1
	v_cmp_ne_u32_e32 vcc, 0, v1
	s_and_b64 s[16:17], vcc, exec
	s_or_b64 s[16:17], s[0:1], s[16:17]
.LBB215_1772:
	s_mov_b64 s[0:1], 0
.LBB215_1773:
	s_andn2_b64 vcc, exec, s[0:1]
	s_cbranch_vccnz .LBB215_1775
; %bb.1774:
	global_load_dword v1, v[16:17], off
	s_andn2_b64 s[0:1], s[16:17], exec
	s_waitcnt vmcnt(0)
	v_and_b32_e32 v1, 0x7fff7fff, v1
	v_cmp_ne_u32_e32 vcc, 0, v1
	s_and_b64 s[16:17], vcc, exec
	s_or_b64 s[16:17], s[0:1], s[16:17]
.LBB215_1775:
	s_mov_b64 s[0:1], 0
.LBB215_1776:
	s_andn2_b64 vcc, exec, s[0:1]
	s_cbranch_vccnz .LBB215_1787
; %bb.1777:
	s_cmp_lt_i32 s24, 6
	s_cbranch_scc1 .LBB215_1780
; %bb.1778:
	s_cmp_gt_i32 s24, 6
	s_cbranch_scc0 .LBB215_1781
; %bb.1779:
	global_load_dwordx2 v[18:19], v[16:17], off
	s_mov_b64 s[0:1], 0
	s_waitcnt vmcnt(0)
	v_cmp_neq_f64_e64 s[16:17], 0, v[18:19]
	s_branch .LBB215_1782
.LBB215_1780:
	s_mov_b64 s[0:1], -1
                                        ; implicit-def: $sgpr16_sgpr17
	s_branch .LBB215_1785
.LBB215_1781:
	s_mov_b64 s[0:1], -1
                                        ; implicit-def: $sgpr16_sgpr17
.LBB215_1782:
	s_andn2_b64 vcc, exec, s[0:1]
	s_cbranch_vccnz .LBB215_1784
; %bb.1783:
	global_load_dword v1, v[16:17], off
	s_andn2_b64 s[0:1], s[16:17], exec
	s_waitcnt vmcnt(0)
	v_cmp_neq_f32_e32 vcc, 0, v1
	s_and_b64 s[16:17], vcc, exec
	s_or_b64 s[16:17], s[0:1], s[16:17]
.LBB215_1784:
	s_mov_b64 s[0:1], 0
.LBB215_1785:
	s_andn2_b64 vcc, exec, s[0:1]
	s_cbranch_vccnz .LBB215_1787
; %bb.1786:
	global_load_ushort v1, v[16:17], off
	s_andn2_b64 s[0:1], s[16:17], exec
	s_waitcnt vmcnt(0)
	v_and_b32_e32 v1, 0x7fff, v1
	v_cmp_ne_u16_e32 vcc, 0, v1
	s_and_b64 s[16:17], vcc, exec
	s_or_b64 s[16:17], s[0:1], s[16:17]
.LBB215_1787:
	s_mov_b64 s[0:1], 0
.LBB215_1788:
	s_andn2_b64 vcc, exec, s[0:1]
	s_cbranch_vccnz .LBB215_1808
; %bb.1789:
	s_cmp_lt_i32 s24, 2
	s_cbranch_scc1 .LBB215_1793
; %bb.1790:
	s_cmp_lt_i32 s24, 3
	s_cbranch_scc1 .LBB215_1794
; %bb.1791:
	s_cmp_gt_i32 s24, 3
	s_cbranch_scc0 .LBB215_1795
; %bb.1792:
	global_load_dwordx2 v[18:19], v[16:17], off
	s_mov_b64 s[0:1], 0
	s_waitcnt vmcnt(0)
	v_cmp_ne_u64_e64 s[16:17], 0, v[18:19]
	s_branch .LBB215_1796
.LBB215_1793:
	s_mov_b64 s[0:1], -1
                                        ; implicit-def: $sgpr16_sgpr17
	s_branch .LBB215_1802
.LBB215_1794:
	s_mov_b64 s[0:1], -1
                                        ; implicit-def: $sgpr16_sgpr17
	s_branch .LBB215_1799
.LBB215_1795:
	s_mov_b64 s[0:1], -1
                                        ; implicit-def: $sgpr16_sgpr17
.LBB215_1796:
	s_andn2_b64 vcc, exec, s[0:1]
	s_cbranch_vccnz .LBB215_1798
; %bb.1797:
	global_load_dword v1, v[16:17], off
	s_andn2_b64 s[0:1], s[16:17], exec
	s_waitcnt vmcnt(0)
	v_cmp_ne_u32_e32 vcc, 0, v1
	s_and_b64 s[16:17], vcc, exec
	s_or_b64 s[16:17], s[0:1], s[16:17]
.LBB215_1798:
	s_mov_b64 s[0:1], 0
.LBB215_1799:
	s_andn2_b64 vcc, exec, s[0:1]
	s_cbranch_vccnz .LBB215_1801
; %bb.1800:
	global_load_ushort v1, v[16:17], off
	s_andn2_b64 s[0:1], s[16:17], exec
	s_waitcnt vmcnt(0)
	v_cmp_ne_u16_e32 vcc, 0, v1
	s_and_b64 s[16:17], vcc, exec
	s_or_b64 s[16:17], s[0:1], s[16:17]
.LBB215_1801:
	s_mov_b64 s[0:1], 0
.LBB215_1802:
	s_andn2_b64 vcc, exec, s[0:1]
	s_cbranch_vccnz .LBB215_1808
; %bb.1803:
	s_cmp_gt_i32 s24, 0
	s_cbranch_scc0 .LBB215_1805
; %bb.1804:
	global_load_ubyte v1, v[16:17], off
	s_mov_b64 s[0:1], 0
	s_waitcnt vmcnt(0)
	v_cmp_ne_u16_e64 s[16:17], 0, v1
	s_branch .LBB215_1806
.LBB215_1805:
	s_mov_b64 s[0:1], -1
                                        ; implicit-def: $sgpr16_sgpr17
.LBB215_1806:
	s_andn2_b64 vcc, exec, s[0:1]
	s_cbranch_vccnz .LBB215_1808
; %bb.1807:
	global_load_ubyte v1, v[16:17], off
	s_andn2_b64 s[0:1], s[16:17], exec
	s_waitcnt vmcnt(0)
	v_cmp_ne_u16_e32 vcc, 0, v1
	s_and_b64 s[16:17], vcc, exec
	s_or_b64 s[16:17], s[0:1], s[16:17]
.LBB215_1808:
.LBB215_1809:
	s_lshr_b32 s0, s28, 16
	v_mov_b32_e32 v1, s23
	s_and_b32 s36, s0, 0xff
	v_add_co_u32_e32 v14, vcc, s22, v15
	s_cmp_lt_i32 s36, 11
	v_addc_co_u32_e32 v15, vcc, 0, v1, vcc
	s_cbranch_scc1 .LBB215_1816
; %bb.1810:
	s_and_b32 s30, 0xffff, s36
	s_cmp_gt_i32 s30, 25
	s_mov_b64 s[26:27], 0
	s_cbranch_scc0 .LBB215_1817
; %bb.1811:
	s_cmp_gt_i32 s30, 28
	s_cbranch_scc0 .LBB215_1818
; %bb.1812:
	s_cmp_gt_i32 s30, 43
	;; [unrolled: 3-line block ×3, first 2 shown]
	s_cbranch_scc0 .LBB215_1821
; %bb.1814:
	s_cmp_eq_u32 s30, 46
	s_mov_b64 s[28:29], 0
	s_cbranch_scc0 .LBB215_1822
; %bb.1815:
	global_load_dword v1, v[14:15], off
	s_mov_b64 s[0:1], 0
	s_mov_b64 s[20:21], -1
	s_waitcnt vmcnt(0)
	v_and_b32_e32 v1, 0x7fff7fff, v1
	v_cmp_ne_u32_e64 s[24:25], 0, v1
	s_branch .LBB215_1823
.LBB215_1816:
	s_mov_b64 s[0:1], -1
	s_mov_b64 s[20:21], 0
                                        ; implicit-def: $sgpr24_sgpr25
	s_branch .LBB215_1871
.LBB215_1817:
	s_mov_b64 s[28:29], -1
	s_mov_b64 s[20:21], 0
	s_mov_b64 s[0:1], 0
                                        ; implicit-def: $sgpr24_sgpr25
	s_branch .LBB215_1844
.LBB215_1818:
	s_mov_b64 s[28:29], -1
	s_mov_b64 s[20:21], 0
	s_mov_b64 s[0:1], 0
                                        ; implicit-def: $sgpr24_sgpr25
	s_branch .LBB215_1831
.LBB215_1819:
	s_mov_b64 s[28:29], -1
	s_mov_b64 s[20:21], 0
	s_mov_b64 s[0:1], 0
                                        ; implicit-def: $sgpr24_sgpr25
	s_branch .LBB215_1826
.LBB215_1820:
	s_trap 2
	s_mov_b64 s[20:21], 0
	s_or_b64 s[4:5], s[4:5], exec
	s_cbranch_execz .LBB215_1759
	s_branch .LBB215_1760
.LBB215_1821:
	s_mov_b64 s[28:29], -1
	s_mov_b64 s[20:21], 0
	s_mov_b64 s[0:1], 0
                                        ; implicit-def: $sgpr24_sgpr25
	s_branch .LBB215_1823
.LBB215_1822:
	s_mov_b64 s[0:1], -1
                                        ; implicit-def: $sgpr24_sgpr25
	s_mov_b64 s[20:21], 0
.LBB215_1823:
	s_and_b64 vcc, exec, s[28:29]
	s_cbranch_vccz .LBB215_1825
; %bb.1824:
	s_cmp_lg_u32 s30, 44
	s_mov_b64 s[20:21], -1
	s_cselect_b64 s[0:1], -1, 0
	s_or_b64 s[24:25], s[24:25], exec
.LBB215_1825:
	s_mov_b64 s[28:29], 0
.LBB215_1826:
	s_and_b64 vcc, exec, s[28:29]
	s_cbranch_vccz .LBB215_1830
; %bb.1827:
	s_cmp_eq_u32 s30, 29
	s_cbranch_scc0 .LBB215_1829
; %bb.1828:
	global_load_dwordx2 v[16:17], v[14:15], off
	s_mov_b64 s[0:1], 0
	s_mov_b64 s[20:21], -1
	s_mov_b64 s[28:29], 0
	s_waitcnt vmcnt(0)
	v_cmp_ne_u64_e64 s[24:25], 0, v[16:17]
	s_branch .LBB215_1831
.LBB215_1829:
	s_mov_b64 s[0:1], -1
                                        ; implicit-def: $sgpr24_sgpr25
.LBB215_1830:
	s_mov_b64 s[28:29], 0
.LBB215_1831:
	s_and_b64 vcc, exec, s[28:29]
	s_cbranch_vccz .LBB215_1843
; %bb.1832:
	s_cmp_lt_i32 s30, 27
	s_cbranch_scc1 .LBB215_1835
; %bb.1833:
	s_cmp_gt_i32 s30, 27
	s_cbranch_scc0 .LBB215_1836
; %bb.1834:
	global_load_dword v1, v[14:15], off
	s_mov_b64 s[20:21], 0
	s_waitcnt vmcnt(0)
	v_cmp_ne_u32_e64 s[24:25], 0, v1
	s_branch .LBB215_1837
.LBB215_1835:
	s_mov_b64 s[20:21], -1
                                        ; implicit-def: $sgpr24_sgpr25
	s_branch .LBB215_1840
.LBB215_1836:
	s_mov_b64 s[20:21], -1
                                        ; implicit-def: $sgpr24_sgpr25
.LBB215_1837:
	s_andn2_b64 vcc, exec, s[20:21]
	s_cbranch_vccnz .LBB215_1839
; %bb.1838:
	global_load_ushort v1, v[14:15], off
	s_andn2_b64 s[20:21], s[24:25], exec
	s_waitcnt vmcnt(0)
	v_cmp_ne_u16_e32 vcc, 0, v1
	s_and_b64 s[24:25], vcc, exec
	s_or_b64 s[24:25], s[20:21], s[24:25]
.LBB215_1839:
	s_mov_b64 s[20:21], 0
.LBB215_1840:
	s_andn2_b64 vcc, exec, s[20:21]
	s_cbranch_vccnz .LBB215_1842
; %bb.1841:
	global_load_ubyte v1, v[14:15], off
	s_andn2_b64 s[20:21], s[24:25], exec
	s_waitcnt vmcnt(0)
	v_cmp_ne_u16_e32 vcc, 0, v1
	s_and_b64 s[24:25], vcc, exec
	s_or_b64 s[24:25], s[20:21], s[24:25]
.LBB215_1842:
	s_mov_b64 s[20:21], -1
.LBB215_1843:
	s_mov_b64 s[28:29], 0
.LBB215_1844:
	s_and_b64 vcc, exec, s[28:29]
	s_cbranch_vccz .LBB215_1867
; %bb.1845:
	s_cmp_gt_i32 s30, 22
	s_cbranch_scc0 .LBB215_1849
; %bb.1846:
	s_cmp_lt_i32 s30, 24
	s_cbranch_scc1 .LBB215_1850
; %bb.1847:
	s_cmp_gt_i32 s30, 24
	s_cbranch_scc0 .LBB215_1851
; %bb.1848:
	global_load_ubyte v1, v[14:15], off
	s_mov_b64 s[20:21], 0
	s_waitcnt vmcnt(0)
	v_cmp_ne_u16_e64 s[24:25], 0, v1
	s_branch .LBB215_1852
.LBB215_1849:
	s_mov_b64 s[26:27], -1
                                        ; implicit-def: $sgpr24_sgpr25
	s_branch .LBB215_1858
.LBB215_1850:
	s_mov_b64 s[20:21], -1
                                        ; implicit-def: $sgpr24_sgpr25
	s_branch .LBB215_1855
.LBB215_1851:
	s_mov_b64 s[20:21], -1
                                        ; implicit-def: $sgpr24_sgpr25
.LBB215_1852:
	s_andn2_b64 vcc, exec, s[20:21]
	s_cbranch_vccnz .LBB215_1854
; %bb.1853:
	global_load_ubyte v1, v[14:15], off
	s_andn2_b64 s[20:21], s[24:25], exec
	s_waitcnt vmcnt(0)
	v_and_b32_e32 v1, 0x7f, v1
	v_cmp_ne_u16_e32 vcc, 0, v1
	s_and_b64 s[24:25], vcc, exec
	s_or_b64 s[24:25], s[20:21], s[24:25]
.LBB215_1854:
	s_mov_b64 s[20:21], 0
.LBB215_1855:
	s_andn2_b64 vcc, exec, s[20:21]
	s_cbranch_vccnz .LBB215_1857
; %bb.1856:
	global_load_ubyte v1, v[14:15], off
	s_movk_i32 s20, 0x7f00
	s_brev_b32 s21, 16
	s_waitcnt vmcnt(0)
	v_lshlrev_b32_e32 v3, 8, v1
	v_lshlrev_b32_e32 v1, 25, v1
	v_lshrrev_b32_e32 v5, 4, v1
	v_and_or_b32 v3, v3, s20, 0.5
	v_or_b32_e32 v5, 0x70000000, v5
	v_add_f32_e32 v3, -0.5, v3
	v_mul_f32_e32 v5, 0x7800000, v5
	v_cmp_gt_u32_e32 vcc, s21, v1
	v_cndmask_b32_e32 v1, v5, v3, vcc
	v_cmp_neq_f32_e32 vcc, 0, v1
	s_andn2_b64 s[20:21], s[24:25], exec
	s_and_b64 s[24:25], vcc, exec
	s_or_b64 s[24:25], s[20:21], s[24:25]
.LBB215_1857:
	s_mov_b64 s[20:21], -1
.LBB215_1858:
	s_andn2_b64 vcc, exec, s[26:27]
	s_mov_b64 s[26:27], 0
	s_cbranch_vccnz .LBB215_1867
; %bb.1859:
	s_cmp_gt_i32 s30, 14
	s_cbranch_scc0 .LBB215_1862
; %bb.1860:
	s_cmp_eq_u32 s30, 15
	s_cbranch_scc0 .LBB215_1863
; %bb.1861:
	global_load_ushort v1, v[14:15], off
	s_mov_b64 s[0:1], 0
	s_mov_b64 s[20:21], -1
	s_waitcnt vmcnt(0)
	v_and_b32_e32 v1, 0x7fff, v1
	v_cmp_ne_u16_e64 s[24:25], 0, v1
	s_branch .LBB215_1864
.LBB215_1862:
	s_mov_b64 s[28:29], -1
                                        ; implicit-def: $sgpr24_sgpr25
	s_branch .LBB215_1865
.LBB215_1863:
	s_mov_b64 s[0:1], -1
                                        ; implicit-def: $sgpr24_sgpr25
.LBB215_1864:
	s_mov_b64 s[28:29], 0
.LBB215_1865:
	s_and_b64 vcc, exec, s[28:29]
	s_cbranch_vccz .LBB215_1867
; %bb.1866:
	s_cmp_lg_u32 s30, 11
	s_mov_b64 s[26:27], -1
	s_cselect_b64 s[0:1], -1, 0
.LBB215_1867:
	s_and_b64 vcc, exec, s[0:1]
	s_cbranch_vccnz .LBB215_1932
; %bb.1868:
	s_andn2_b64 vcc, exec, s[26:27]
	s_cbranch_vccnz .LBB215_1870
.LBB215_1869:
	global_load_ubyte v1, v[14:15], off
	s_andn2_b64 s[0:1], s[24:25], exec
	s_mov_b64 s[20:21], -1
	s_waitcnt vmcnt(0)
	v_cmp_ne_u16_e32 vcc, 0, v1
	s_and_b64 s[24:25], vcc, exec
	s_or_b64 s[24:25], s[0:1], s[24:25]
.LBB215_1870:
	s_mov_b64 s[0:1], 0
.LBB215_1871:
	s_and_b64 vcc, exec, s[0:1]
	s_cbranch_vccz .LBB215_1920
; %bb.1872:
	s_and_b32 s26, 0xffff, s36
	s_cmp_lt_i32 s26, 5
	s_cbranch_scc1 .LBB215_1877
; %bb.1873:
	s_cmp_lt_i32 s26, 8
	s_cbranch_scc1 .LBB215_1878
; %bb.1874:
	s_cmp_lt_i32 s26, 9
	s_cbranch_scc1 .LBB215_1879
; %bb.1875:
	s_cmp_gt_i32 s26, 9
	s_cbranch_scc0 .LBB215_1880
; %bb.1876:
	global_load_dwordx4 v[16:19], v[14:15], off
	s_mov_b64 s[20:21], 0
	s_waitcnt vmcnt(0)
	v_cmp_neq_f64_e32 vcc, 0, v[16:17]
	v_cmp_neq_f64_e64 s[0:1], 0, v[18:19]
	s_or_b64 s[24:25], vcc, s[0:1]
	s_branch .LBB215_1881
.LBB215_1877:
	s_mov_b64 s[0:1], -1
                                        ; implicit-def: $sgpr24_sgpr25
	s_branch .LBB215_1899
.LBB215_1878:
	s_mov_b64 s[0:1], -1
                                        ; implicit-def: $sgpr24_sgpr25
	s_branch .LBB215_1887
.LBB215_1879:
	s_mov_b64 s[0:1], -1
                                        ; implicit-def: $sgpr24_sgpr25
	s_branch .LBB215_1884
.LBB215_1880:
	s_mov_b64 s[20:21], -1
                                        ; implicit-def: $sgpr24_sgpr25
.LBB215_1881:
	s_andn2_b64 vcc, exec, s[20:21]
	s_cbranch_vccnz .LBB215_1883
; %bb.1882:
	global_load_dwordx2 v[16:17], v[14:15], off
	s_andn2_b64 s[0:1], s[24:25], exec
	s_waitcnt vmcnt(0)
	v_or_b32_e32 v1, v16, v17
	v_and_b32_e32 v1, 0x7fffffff, v1
	v_cmp_ne_u32_e32 vcc, 0, v1
	s_and_b64 s[20:21], vcc, exec
	s_or_b64 s[24:25], s[0:1], s[20:21]
.LBB215_1883:
	s_mov_b64 s[0:1], 0
.LBB215_1884:
	s_andn2_b64 vcc, exec, s[0:1]
	s_cbranch_vccnz .LBB215_1886
; %bb.1885:
	global_load_dword v1, v[14:15], off
	s_andn2_b64 s[0:1], s[24:25], exec
	s_waitcnt vmcnt(0)
	v_and_b32_e32 v1, 0x7fff7fff, v1
	v_cmp_ne_u32_e32 vcc, 0, v1
	s_and_b64 s[20:21], vcc, exec
	s_or_b64 s[24:25], s[0:1], s[20:21]
.LBB215_1886:
	s_mov_b64 s[0:1], 0
.LBB215_1887:
	s_andn2_b64 vcc, exec, s[0:1]
	s_cbranch_vccnz .LBB215_1898
; %bb.1888:
	s_cmp_lt_i32 s26, 6
	s_cbranch_scc1 .LBB215_1891
; %bb.1889:
	s_cmp_gt_i32 s26, 6
	s_cbranch_scc0 .LBB215_1892
; %bb.1890:
	global_load_dwordx2 v[16:17], v[14:15], off
	s_mov_b64 s[0:1], 0
	s_waitcnt vmcnt(0)
	v_cmp_neq_f64_e64 s[24:25], 0, v[16:17]
	s_branch .LBB215_1893
.LBB215_1891:
	s_mov_b64 s[0:1], -1
                                        ; implicit-def: $sgpr24_sgpr25
	s_branch .LBB215_1896
.LBB215_1892:
	s_mov_b64 s[0:1], -1
                                        ; implicit-def: $sgpr24_sgpr25
.LBB215_1893:
	s_andn2_b64 vcc, exec, s[0:1]
	s_cbranch_vccnz .LBB215_1895
; %bb.1894:
	global_load_dword v1, v[14:15], off
	s_andn2_b64 s[0:1], s[24:25], exec
	s_waitcnt vmcnt(0)
	v_cmp_neq_f32_e32 vcc, 0, v1
	s_and_b64 s[20:21], vcc, exec
	s_or_b64 s[24:25], s[0:1], s[20:21]
.LBB215_1895:
	s_mov_b64 s[0:1], 0
.LBB215_1896:
	s_andn2_b64 vcc, exec, s[0:1]
	s_cbranch_vccnz .LBB215_1898
; %bb.1897:
	global_load_ushort v1, v[14:15], off
	s_andn2_b64 s[0:1], s[24:25], exec
	s_waitcnt vmcnt(0)
	v_and_b32_e32 v1, 0x7fff, v1
	v_cmp_ne_u16_e32 vcc, 0, v1
	s_and_b64 s[20:21], vcc, exec
	s_or_b64 s[24:25], s[0:1], s[20:21]
.LBB215_1898:
	s_mov_b64 s[0:1], 0
.LBB215_1899:
	s_andn2_b64 vcc, exec, s[0:1]
	s_cbranch_vccnz .LBB215_1919
; %bb.1900:
	s_cmp_lt_i32 s26, 2
	s_cbranch_scc1 .LBB215_1904
; %bb.1901:
	s_cmp_lt_i32 s26, 3
	s_cbranch_scc1 .LBB215_1905
; %bb.1902:
	s_cmp_gt_i32 s26, 3
	s_cbranch_scc0 .LBB215_1906
; %bb.1903:
	global_load_dwordx2 v[16:17], v[14:15], off
	s_mov_b64 s[0:1], 0
	s_waitcnt vmcnt(0)
	v_cmp_ne_u64_e64 s[24:25], 0, v[16:17]
	s_branch .LBB215_1907
.LBB215_1904:
	s_mov_b64 s[0:1], -1
                                        ; implicit-def: $sgpr24_sgpr25
	s_branch .LBB215_1913
.LBB215_1905:
	s_mov_b64 s[0:1], -1
                                        ; implicit-def: $sgpr24_sgpr25
	s_branch .LBB215_1910
.LBB215_1906:
	s_mov_b64 s[0:1], -1
                                        ; implicit-def: $sgpr24_sgpr25
.LBB215_1907:
	s_andn2_b64 vcc, exec, s[0:1]
	s_cbranch_vccnz .LBB215_1909
; %bb.1908:
	global_load_dword v1, v[14:15], off
	s_andn2_b64 s[0:1], s[24:25], exec
	s_waitcnt vmcnt(0)
	v_cmp_ne_u32_e32 vcc, 0, v1
	s_and_b64 s[20:21], vcc, exec
	s_or_b64 s[24:25], s[0:1], s[20:21]
.LBB215_1909:
	s_mov_b64 s[0:1], 0
.LBB215_1910:
	s_andn2_b64 vcc, exec, s[0:1]
	s_cbranch_vccnz .LBB215_1912
; %bb.1911:
	global_load_ushort v1, v[14:15], off
	s_andn2_b64 s[0:1], s[24:25], exec
	s_waitcnt vmcnt(0)
	v_cmp_ne_u16_e32 vcc, 0, v1
	s_and_b64 s[20:21], vcc, exec
	s_or_b64 s[24:25], s[0:1], s[20:21]
.LBB215_1912:
	s_mov_b64 s[0:1], 0
.LBB215_1913:
	s_andn2_b64 vcc, exec, s[0:1]
	s_cbranch_vccnz .LBB215_1919
; %bb.1914:
	s_cmp_gt_i32 s26, 0
	s_cbranch_scc0 .LBB215_1916
; %bb.1915:
	global_load_ubyte v1, v[14:15], off
	s_mov_b64 s[0:1], 0
	s_waitcnt vmcnt(0)
	v_cmp_ne_u16_e64 s[24:25], 0, v1
	s_branch .LBB215_1917
.LBB215_1916:
	s_mov_b64 s[0:1], -1
                                        ; implicit-def: $sgpr24_sgpr25
.LBB215_1917:
	s_andn2_b64 vcc, exec, s[0:1]
	s_cbranch_vccnz .LBB215_1919
; %bb.1918:
	global_load_ubyte v1, v[14:15], off
	s_andn2_b64 s[0:1], s[24:25], exec
	s_waitcnt vmcnt(0)
	v_cmp_ne_u16_e32 vcc, 0, v1
	s_and_b64 s[20:21], vcc, exec
	s_or_b64 s[24:25], s[0:1], s[20:21]
.LBB215_1919:
	s_mov_b64 s[20:21], -1
.LBB215_1920:
	s_andn2_b64 vcc, exec, s[20:21]
	s_cbranch_vccnz .LBB215_2804
; %bb.1921:
	v_mov_b32_e32 v1, s11
	v_add_co_u32_e32 v12, vcc, s10, v13
	s_cmp_lt_i32 s33, 11
	v_addc_co_u32_e32 v13, vcc, 0, v1, vcc
	s_cbranch_scc1 .LBB215_1928
; %bb.1922:
	s_and_b32 s34, 0xffff, s33
	s_cmp_gt_i32 s34, 25
	s_mov_b64 s[28:29], 0
	s_cbranch_scc0 .LBB215_1929
; %bb.1923:
	s_cmp_gt_i32 s34, 28
	s_cbranch_scc0 .LBB215_1930
; %bb.1924:
	s_cmp_gt_i32 s34, 43
	;; [unrolled: 3-line block ×3, first 2 shown]
	s_cbranch_scc0 .LBB215_1933
; %bb.1926:
	s_cmp_eq_u32 s34, 46
	s_mov_b64 s[30:31], 0
	s_cbranch_scc0 .LBB215_1934
; %bb.1927:
	global_load_dword v1, v[12:13], off
	s_mov_b64 s[0:1], 0
	s_mov_b64 s[26:27], -1
	s_waitcnt vmcnt(0)
	v_and_b32_e32 v1, 0x7fff7fff, v1
	v_cmp_ne_u32_e64 s[20:21], 0, v1
	s_branch .LBB215_1935
.LBB215_1928:
	s_mov_b64 s[0:1], -1
	s_mov_b64 s[26:27], 0
                                        ; implicit-def: $sgpr20_sgpr21
	s_branch .LBB215_1983
.LBB215_1929:
	s_mov_b64 s[30:31], -1
	s_mov_b64 s[26:27], 0
	s_mov_b64 s[0:1], 0
                                        ; implicit-def: $sgpr20_sgpr21
	s_branch .LBB215_1956
.LBB215_1930:
	s_mov_b64 s[30:31], -1
	s_mov_b64 s[26:27], 0
	s_mov_b64 s[0:1], 0
                                        ; implicit-def: $sgpr20_sgpr21
	s_branch .LBB215_1943
.LBB215_1931:
	s_mov_b64 s[30:31], -1
	s_mov_b64 s[26:27], 0
	s_mov_b64 s[0:1], 0
                                        ; implicit-def: $sgpr20_sgpr21
	s_branch .LBB215_1938
.LBB215_1932:
	s_trap 2
	s_mov_b64 s[20:21], 0
	s_or_b64 s[4:5], s[4:5], exec
	s_cbranch_execz .LBB215_1869
	s_branch .LBB215_1870
.LBB215_1933:
	s_mov_b64 s[30:31], -1
	s_mov_b64 s[26:27], 0
	s_mov_b64 s[0:1], 0
                                        ; implicit-def: $sgpr20_sgpr21
	s_branch .LBB215_1935
.LBB215_1934:
	s_mov_b64 s[0:1], -1
                                        ; implicit-def: $sgpr20_sgpr21
	s_mov_b64 s[26:27], 0
.LBB215_1935:
	s_and_b64 vcc, exec, s[30:31]
	s_cbranch_vccz .LBB215_1937
; %bb.1936:
	s_cmp_lg_u32 s34, 44
	s_mov_b64 s[26:27], -1
	s_cselect_b64 s[0:1], -1, 0
	s_or_b64 s[20:21], s[20:21], exec
.LBB215_1937:
	s_mov_b64 s[30:31], 0
.LBB215_1938:
	s_and_b64 vcc, exec, s[30:31]
	s_cbranch_vccz .LBB215_1942
; %bb.1939:
	s_cmp_eq_u32 s34, 29
	s_cbranch_scc0 .LBB215_1941
; %bb.1940:
	global_load_dwordx2 v[14:15], v[12:13], off
	s_mov_b64 s[0:1], 0
	s_mov_b64 s[26:27], -1
	s_mov_b64 s[30:31], 0
	s_waitcnt vmcnt(0)
	v_cmp_ne_u64_e64 s[20:21], 0, v[14:15]
	s_branch .LBB215_1943
.LBB215_1941:
	s_mov_b64 s[0:1], -1
                                        ; implicit-def: $sgpr20_sgpr21
.LBB215_1942:
	s_mov_b64 s[30:31], 0
.LBB215_1943:
	s_and_b64 vcc, exec, s[30:31]
	s_cbranch_vccz .LBB215_1955
; %bb.1944:
	s_cmp_lt_i32 s34, 27
	s_cbranch_scc1 .LBB215_1947
; %bb.1945:
	s_cmp_gt_i32 s34, 27
	s_cbranch_scc0 .LBB215_1948
; %bb.1946:
	global_load_dword v1, v[12:13], off
	s_mov_b64 s[26:27], 0
	s_waitcnt vmcnt(0)
	v_cmp_ne_u32_e64 s[20:21], 0, v1
	s_branch .LBB215_1949
.LBB215_1947:
	s_mov_b64 s[26:27], -1
                                        ; implicit-def: $sgpr20_sgpr21
	s_branch .LBB215_1952
.LBB215_1948:
	s_mov_b64 s[26:27], -1
                                        ; implicit-def: $sgpr20_sgpr21
.LBB215_1949:
	s_andn2_b64 vcc, exec, s[26:27]
	s_cbranch_vccnz .LBB215_1951
; %bb.1950:
	global_load_ushort v1, v[12:13], off
	s_andn2_b64 s[20:21], s[20:21], exec
	s_waitcnt vmcnt(0)
	v_cmp_ne_u16_e32 vcc, 0, v1
	s_and_b64 s[26:27], vcc, exec
	s_or_b64 s[20:21], s[20:21], s[26:27]
.LBB215_1951:
	s_mov_b64 s[26:27], 0
.LBB215_1952:
	s_andn2_b64 vcc, exec, s[26:27]
	s_cbranch_vccnz .LBB215_1954
; %bb.1953:
	global_load_ubyte v1, v[12:13], off
	s_andn2_b64 s[20:21], s[20:21], exec
	s_waitcnt vmcnt(0)
	v_cmp_ne_u16_e32 vcc, 0, v1
	s_and_b64 s[26:27], vcc, exec
	s_or_b64 s[20:21], s[20:21], s[26:27]
.LBB215_1954:
	s_mov_b64 s[26:27], -1
.LBB215_1955:
	s_mov_b64 s[30:31], 0
.LBB215_1956:
	s_and_b64 vcc, exec, s[30:31]
	s_cbranch_vccz .LBB215_1979
; %bb.1957:
	s_cmp_gt_i32 s34, 22
	s_cbranch_scc0 .LBB215_1961
; %bb.1958:
	s_cmp_lt_i32 s34, 24
	s_cbranch_scc1 .LBB215_1962
; %bb.1959:
	s_cmp_gt_i32 s34, 24
	s_cbranch_scc0 .LBB215_1963
; %bb.1960:
	global_load_ubyte v1, v[12:13], off
	s_mov_b64 s[26:27], 0
	s_waitcnt vmcnt(0)
	v_cmp_ne_u16_e64 s[20:21], 0, v1
	s_branch .LBB215_1964
.LBB215_1961:
	s_mov_b64 s[28:29], -1
                                        ; implicit-def: $sgpr20_sgpr21
	s_branch .LBB215_1970
.LBB215_1962:
	s_mov_b64 s[26:27], -1
                                        ; implicit-def: $sgpr20_sgpr21
	s_branch .LBB215_1967
.LBB215_1963:
	s_mov_b64 s[26:27], -1
                                        ; implicit-def: $sgpr20_sgpr21
.LBB215_1964:
	s_andn2_b64 vcc, exec, s[26:27]
	s_cbranch_vccnz .LBB215_1966
; %bb.1965:
	global_load_ubyte v1, v[12:13], off
	s_andn2_b64 s[20:21], s[20:21], exec
	s_waitcnt vmcnt(0)
	v_and_b32_e32 v1, 0x7f, v1
	v_cmp_ne_u16_e32 vcc, 0, v1
	s_and_b64 s[26:27], vcc, exec
	s_or_b64 s[20:21], s[20:21], s[26:27]
.LBB215_1966:
	s_mov_b64 s[26:27], 0
.LBB215_1967:
	s_andn2_b64 vcc, exec, s[26:27]
	s_cbranch_vccnz .LBB215_1969
; %bb.1968:
	global_load_ubyte v1, v[12:13], off
	s_movk_i32 s26, 0x7f00
	s_brev_b32 s27, 16
	s_andn2_b64 s[20:21], s[20:21], exec
	s_waitcnt vmcnt(0)
	v_lshlrev_b32_e32 v3, 8, v1
	v_lshlrev_b32_e32 v1, 25, v1
	v_lshrrev_b32_e32 v5, 4, v1
	v_and_or_b32 v3, v3, s26, 0.5
	v_or_b32_e32 v5, 0x70000000, v5
	v_add_f32_e32 v3, -0.5, v3
	v_mul_f32_e32 v5, 0x7800000, v5
	v_cmp_gt_u32_e32 vcc, s27, v1
	v_cndmask_b32_e32 v1, v5, v3, vcc
	v_cmp_neq_f32_e32 vcc, 0, v1
	s_and_b64 s[26:27], vcc, exec
	s_or_b64 s[20:21], s[20:21], s[26:27]
.LBB215_1969:
	s_mov_b64 s[26:27], -1
.LBB215_1970:
	s_andn2_b64 vcc, exec, s[28:29]
	s_mov_b64 s[28:29], 0
	s_cbranch_vccnz .LBB215_1979
; %bb.1971:
	s_cmp_gt_i32 s34, 14
	s_cbranch_scc0 .LBB215_1974
; %bb.1972:
	s_cmp_eq_u32 s34, 15
	s_cbranch_scc0 .LBB215_1975
; %bb.1973:
	global_load_ushort v1, v[12:13], off
	s_mov_b64 s[0:1], 0
	s_mov_b64 s[26:27], -1
	s_waitcnt vmcnt(0)
	v_and_b32_e32 v1, 0x7fff, v1
	v_cmp_ne_u16_e64 s[20:21], 0, v1
	s_branch .LBB215_1976
.LBB215_1974:
	s_mov_b64 s[30:31], -1
                                        ; implicit-def: $sgpr20_sgpr21
	s_branch .LBB215_1977
.LBB215_1975:
	s_mov_b64 s[0:1], -1
                                        ; implicit-def: $sgpr20_sgpr21
.LBB215_1976:
	s_mov_b64 s[30:31], 0
.LBB215_1977:
	s_and_b64 vcc, exec, s[30:31]
	s_cbranch_vccz .LBB215_1979
; %bb.1978:
	s_cmp_lg_u32 s34, 11
	s_mov_b64 s[28:29], -1
	s_cselect_b64 s[0:1], -1, 0
.LBB215_1979:
	s_and_b64 vcc, exec, s[0:1]
	s_cbranch_vccnz .LBB215_2044
; %bb.1980:
	s_andn2_b64 vcc, exec, s[28:29]
	s_cbranch_vccnz .LBB215_1982
.LBB215_1981:
	global_load_ubyte v1, v[12:13], off
	s_andn2_b64 s[0:1], s[20:21], exec
	s_mov_b64 s[26:27], -1
	s_waitcnt vmcnt(0)
	v_cmp_ne_u16_e32 vcc, 0, v1
	s_and_b64 s[20:21], vcc, exec
	s_or_b64 s[20:21], s[0:1], s[20:21]
.LBB215_1982:
	s_mov_b64 s[0:1], 0
.LBB215_1983:
	s_and_b64 vcc, exec, s[0:1]
	s_cbranch_vccz .LBB215_2032
; %bb.1984:
	s_and_b32 s28, 0xffff, s33
	s_cmp_lt_i32 s28, 5
	s_cbranch_scc1 .LBB215_1989
; %bb.1985:
	s_cmp_lt_i32 s28, 8
	s_cbranch_scc1 .LBB215_1990
; %bb.1986:
	s_cmp_lt_i32 s28, 9
	s_cbranch_scc1 .LBB215_1991
; %bb.1987:
	s_cmp_gt_i32 s28, 9
	s_cbranch_scc0 .LBB215_1992
; %bb.1988:
	global_load_dwordx4 v[14:17], v[12:13], off
	s_mov_b64 s[26:27], 0
	s_waitcnt vmcnt(0)
	v_cmp_neq_f64_e32 vcc, 0, v[14:15]
	v_cmp_neq_f64_e64 s[0:1], 0, v[16:17]
	s_or_b64 s[20:21], vcc, s[0:1]
	s_branch .LBB215_1993
.LBB215_1989:
	s_mov_b64 s[0:1], -1
                                        ; implicit-def: $sgpr20_sgpr21
	s_branch .LBB215_2011
.LBB215_1990:
	s_mov_b64 s[0:1], -1
                                        ; implicit-def: $sgpr20_sgpr21
	s_branch .LBB215_1999
.LBB215_1991:
	s_mov_b64 s[0:1], -1
                                        ; implicit-def: $sgpr20_sgpr21
	s_branch .LBB215_1996
.LBB215_1992:
	s_mov_b64 s[26:27], -1
                                        ; implicit-def: $sgpr20_sgpr21
.LBB215_1993:
	s_andn2_b64 vcc, exec, s[26:27]
	s_cbranch_vccnz .LBB215_1995
; %bb.1994:
	global_load_dwordx2 v[14:15], v[12:13], off
	s_andn2_b64 s[0:1], s[20:21], exec
	s_waitcnt vmcnt(0)
	v_or_b32_e32 v1, v14, v15
	v_and_b32_e32 v1, 0x7fffffff, v1
	v_cmp_ne_u32_e32 vcc, 0, v1
	s_and_b64 s[20:21], vcc, exec
	s_or_b64 s[20:21], s[0:1], s[20:21]
.LBB215_1995:
	s_mov_b64 s[0:1], 0
.LBB215_1996:
	s_andn2_b64 vcc, exec, s[0:1]
	s_cbranch_vccnz .LBB215_1998
; %bb.1997:
	global_load_dword v1, v[12:13], off
	s_andn2_b64 s[0:1], s[20:21], exec
	s_waitcnt vmcnt(0)
	v_and_b32_e32 v1, 0x7fff7fff, v1
	v_cmp_ne_u32_e32 vcc, 0, v1
	s_and_b64 s[20:21], vcc, exec
	s_or_b64 s[20:21], s[0:1], s[20:21]
.LBB215_1998:
	s_mov_b64 s[0:1], 0
.LBB215_1999:
	s_andn2_b64 vcc, exec, s[0:1]
	s_cbranch_vccnz .LBB215_2010
; %bb.2000:
	s_cmp_lt_i32 s28, 6
	s_cbranch_scc1 .LBB215_2003
; %bb.2001:
	s_cmp_gt_i32 s28, 6
	s_cbranch_scc0 .LBB215_2004
; %bb.2002:
	global_load_dwordx2 v[14:15], v[12:13], off
	s_mov_b64 s[0:1], 0
	s_waitcnt vmcnt(0)
	v_cmp_neq_f64_e64 s[20:21], 0, v[14:15]
	s_branch .LBB215_2005
.LBB215_2003:
	s_mov_b64 s[0:1], -1
                                        ; implicit-def: $sgpr20_sgpr21
	s_branch .LBB215_2008
.LBB215_2004:
	s_mov_b64 s[0:1], -1
                                        ; implicit-def: $sgpr20_sgpr21
.LBB215_2005:
	s_andn2_b64 vcc, exec, s[0:1]
	s_cbranch_vccnz .LBB215_2007
; %bb.2006:
	global_load_dword v1, v[12:13], off
	s_andn2_b64 s[0:1], s[20:21], exec
	s_waitcnt vmcnt(0)
	v_cmp_neq_f32_e32 vcc, 0, v1
	s_and_b64 s[20:21], vcc, exec
	s_or_b64 s[20:21], s[0:1], s[20:21]
.LBB215_2007:
	s_mov_b64 s[0:1], 0
.LBB215_2008:
	s_andn2_b64 vcc, exec, s[0:1]
	s_cbranch_vccnz .LBB215_2010
; %bb.2009:
	global_load_ushort v1, v[12:13], off
	s_andn2_b64 s[0:1], s[20:21], exec
	s_waitcnt vmcnt(0)
	v_and_b32_e32 v1, 0x7fff, v1
	v_cmp_ne_u16_e32 vcc, 0, v1
	s_and_b64 s[20:21], vcc, exec
	s_or_b64 s[20:21], s[0:1], s[20:21]
.LBB215_2010:
	s_mov_b64 s[0:1], 0
.LBB215_2011:
	s_andn2_b64 vcc, exec, s[0:1]
	s_cbranch_vccnz .LBB215_2031
; %bb.2012:
	s_cmp_lt_i32 s28, 2
	s_cbranch_scc1 .LBB215_2016
; %bb.2013:
	s_cmp_lt_i32 s28, 3
	s_cbranch_scc1 .LBB215_2017
; %bb.2014:
	s_cmp_gt_i32 s28, 3
	s_cbranch_scc0 .LBB215_2018
; %bb.2015:
	global_load_dwordx2 v[14:15], v[12:13], off
	s_mov_b64 s[0:1], 0
	s_waitcnt vmcnt(0)
	v_cmp_ne_u64_e64 s[20:21], 0, v[14:15]
	s_branch .LBB215_2019
.LBB215_2016:
	s_mov_b64 s[0:1], -1
                                        ; implicit-def: $sgpr20_sgpr21
	s_branch .LBB215_2025
.LBB215_2017:
	s_mov_b64 s[0:1], -1
                                        ; implicit-def: $sgpr20_sgpr21
	s_branch .LBB215_2022
.LBB215_2018:
	s_mov_b64 s[0:1], -1
                                        ; implicit-def: $sgpr20_sgpr21
.LBB215_2019:
	s_andn2_b64 vcc, exec, s[0:1]
	s_cbranch_vccnz .LBB215_2021
; %bb.2020:
	global_load_dword v1, v[12:13], off
	s_andn2_b64 s[0:1], s[20:21], exec
	s_waitcnt vmcnt(0)
	v_cmp_ne_u32_e32 vcc, 0, v1
	s_and_b64 s[20:21], vcc, exec
	s_or_b64 s[20:21], s[0:1], s[20:21]
.LBB215_2021:
	s_mov_b64 s[0:1], 0
.LBB215_2022:
	s_andn2_b64 vcc, exec, s[0:1]
	s_cbranch_vccnz .LBB215_2024
; %bb.2023:
	global_load_ushort v1, v[12:13], off
	s_andn2_b64 s[0:1], s[20:21], exec
	s_waitcnt vmcnt(0)
	v_cmp_ne_u16_e32 vcc, 0, v1
	s_and_b64 s[20:21], vcc, exec
	s_or_b64 s[20:21], s[0:1], s[20:21]
.LBB215_2024:
	s_mov_b64 s[0:1], 0
.LBB215_2025:
	s_andn2_b64 vcc, exec, s[0:1]
	s_cbranch_vccnz .LBB215_2031
; %bb.2026:
	s_cmp_gt_i32 s28, 0
	s_cbranch_scc0 .LBB215_2028
; %bb.2027:
	global_load_ubyte v1, v[12:13], off
	s_mov_b64 s[0:1], 0
	s_waitcnt vmcnt(0)
	v_cmp_ne_u16_e64 s[20:21], 0, v1
	s_branch .LBB215_2029
.LBB215_2028:
	s_mov_b64 s[0:1], -1
                                        ; implicit-def: $sgpr20_sgpr21
.LBB215_2029:
	s_andn2_b64 vcc, exec, s[0:1]
	s_cbranch_vccnz .LBB215_2031
; %bb.2030:
	global_load_ubyte v1, v[12:13], off
	s_andn2_b64 s[0:1], s[20:21], exec
	s_waitcnt vmcnt(0)
	v_cmp_ne_u16_e32 vcc, 0, v1
	s_and_b64 s[20:21], vcc, exec
	s_or_b64 s[20:21], s[0:1], s[20:21]
.LBB215_2031:
	s_mov_b64 s[26:27], -1
.LBB215_2032:
	s_andn2_b64 vcc, exec, s[26:27]
	s_cbranch_vccnz .LBB215_2804
; %bb.2033:
	v_mov_b32_e32 v1, s23
	v_add_co_u32_e32 v10, vcc, s22, v11
	s_cmp_lt_i32 s36, 11
	v_addc_co_u32_e32 v11, vcc, 0, v1, vcc
	s_cbranch_scc1 .LBB215_2040
; %bb.2034:
	s_and_b32 s37, 0xffff, s36
	s_cmp_gt_i32 s37, 25
	s_mov_b64 s[30:31], 0
	s_cbranch_scc0 .LBB215_2041
; %bb.2035:
	s_cmp_gt_i32 s37, 28
	s_cbranch_scc0 .LBB215_2042
; %bb.2036:
	s_cmp_gt_i32 s37, 43
	;; [unrolled: 3-line block ×3, first 2 shown]
	s_cbranch_scc0 .LBB215_2045
; %bb.2038:
	s_cmp_eq_u32 s37, 46
	s_mov_b64 s[34:35], 0
	s_cbranch_scc0 .LBB215_2048
; %bb.2039:
	global_load_dword v1, v[10:11], off
	s_mov_b64 s[0:1], 0
	s_mov_b64 s[28:29], -1
	s_waitcnt vmcnt(0)
	v_and_b32_e32 v1, 0x7fff7fff, v1
	v_cmp_ne_u32_e64 s[26:27], 0, v1
	s_branch .LBB215_2049
.LBB215_2040:
	s_mov_b64 s[0:1], -1
	s_mov_b64 s[28:29], 0
                                        ; implicit-def: $sgpr26_sgpr27
	s_branch .LBB215_2097
.LBB215_2041:
	s_mov_b64 s[34:35], -1
	s_mov_b64 s[28:29], 0
	s_mov_b64 s[0:1], 0
                                        ; implicit-def: $sgpr26_sgpr27
	s_branch .LBB215_2070
.LBB215_2042:
	s_mov_b64 s[34:35], -1
	s_mov_b64 s[28:29], 0
	s_mov_b64 s[0:1], 0
                                        ; implicit-def: $sgpr26_sgpr27
	s_branch .LBB215_2057
.LBB215_2043:
	s_mov_b64 s[34:35], -1
	s_mov_b64 s[28:29], 0
	s_mov_b64 s[0:1], 0
                                        ; implicit-def: $sgpr26_sgpr27
	s_branch .LBB215_2052
.LBB215_2044:
	s_trap 2
	s_mov_b64 s[26:27], 0
	s_or_b64 s[4:5], s[4:5], exec
	s_cbranch_execz .LBB215_1981
	s_branch .LBB215_1982
.LBB215_2045:
	s_mov_b64 s[34:35], -1
	s_mov_b64 s[28:29], 0
	s_mov_b64 s[0:1], 0
                                        ; implicit-def: $sgpr26_sgpr27
	s_branch .LBB215_2049
.LBB215_2046:
	s_andn2_saveexec_b64 s[66:67], s[66:67]
	s_cbranch_execz .LBB215_1003
.LBB215_2047:
	v_add_f32_e32 v2, 0x42800000, v3
	v_and_b32_e32 v2, 0xff, v2
	v_cmp_ne_u32_e32 vcc, 0, v2
	s_andn2_b64 s[64:65], s[64:65], exec
	s_and_b64 s[70:71], vcc, exec
	s_or_b64 s[64:65], s[64:65], s[70:71]
	s_or_b64 exec, exec, s[66:67]
	v_mov_b32_e32 v4, 0
	s_and_saveexec_b64 s[66:67], s[64:65]
	s_cbranch_execnz .LBB215_1004
	s_branch .LBB215_1005
.LBB215_2048:
	s_mov_b64 s[0:1], -1
                                        ; implicit-def: $sgpr26_sgpr27
	s_mov_b64 s[28:29], 0
.LBB215_2049:
	s_and_b64 vcc, exec, s[34:35]
	s_cbranch_vccz .LBB215_2051
; %bb.2050:
	s_cmp_lg_u32 s37, 44
	s_mov_b64 s[28:29], -1
	s_cselect_b64 s[0:1], -1, 0
	s_or_b64 s[26:27], s[26:27], exec
.LBB215_2051:
	s_mov_b64 s[34:35], 0
.LBB215_2052:
	s_and_b64 vcc, exec, s[34:35]
	s_cbranch_vccz .LBB215_2056
; %bb.2053:
	s_cmp_eq_u32 s37, 29
	s_cbranch_scc0 .LBB215_2055
; %bb.2054:
	global_load_dwordx2 v[12:13], v[10:11], off
	s_mov_b64 s[0:1], 0
	s_mov_b64 s[28:29], -1
	s_mov_b64 s[34:35], 0
	s_waitcnt vmcnt(0)
	v_cmp_ne_u64_e64 s[26:27], 0, v[12:13]
	s_branch .LBB215_2057
.LBB215_2055:
	s_mov_b64 s[0:1], -1
                                        ; implicit-def: $sgpr26_sgpr27
.LBB215_2056:
	s_mov_b64 s[34:35], 0
.LBB215_2057:
	s_and_b64 vcc, exec, s[34:35]
	s_cbranch_vccz .LBB215_2069
; %bb.2058:
	s_cmp_lt_i32 s37, 27
	s_cbranch_scc1 .LBB215_2061
; %bb.2059:
	s_cmp_gt_i32 s37, 27
	s_cbranch_scc0 .LBB215_2062
; %bb.2060:
	global_load_dword v1, v[10:11], off
	s_mov_b64 s[28:29], 0
	s_waitcnt vmcnt(0)
	v_cmp_ne_u32_e64 s[26:27], 0, v1
	s_branch .LBB215_2063
.LBB215_2061:
	s_mov_b64 s[28:29], -1
                                        ; implicit-def: $sgpr26_sgpr27
	s_branch .LBB215_2066
.LBB215_2062:
	s_mov_b64 s[28:29], -1
                                        ; implicit-def: $sgpr26_sgpr27
.LBB215_2063:
	s_andn2_b64 vcc, exec, s[28:29]
	s_cbranch_vccnz .LBB215_2065
; %bb.2064:
	global_load_ushort v1, v[10:11], off
	s_andn2_b64 s[26:27], s[26:27], exec
	s_waitcnt vmcnt(0)
	v_cmp_ne_u16_e32 vcc, 0, v1
	s_and_b64 s[28:29], vcc, exec
	s_or_b64 s[26:27], s[26:27], s[28:29]
.LBB215_2065:
	s_mov_b64 s[28:29], 0
.LBB215_2066:
	s_andn2_b64 vcc, exec, s[28:29]
	s_cbranch_vccnz .LBB215_2068
; %bb.2067:
	global_load_ubyte v1, v[10:11], off
	s_andn2_b64 s[26:27], s[26:27], exec
	s_waitcnt vmcnt(0)
	v_cmp_ne_u16_e32 vcc, 0, v1
	s_and_b64 s[28:29], vcc, exec
	s_or_b64 s[26:27], s[26:27], s[28:29]
.LBB215_2068:
	s_mov_b64 s[28:29], -1
.LBB215_2069:
	s_mov_b64 s[34:35], 0
.LBB215_2070:
	s_and_b64 vcc, exec, s[34:35]
	s_cbranch_vccz .LBB215_2093
; %bb.2071:
	s_cmp_gt_i32 s37, 22
	s_cbranch_scc0 .LBB215_2075
; %bb.2072:
	s_cmp_lt_i32 s37, 24
	s_cbranch_scc1 .LBB215_2076
; %bb.2073:
	s_cmp_gt_i32 s37, 24
	s_cbranch_scc0 .LBB215_2077
; %bb.2074:
	global_load_ubyte v1, v[10:11], off
	s_mov_b64 s[28:29], 0
	s_waitcnt vmcnt(0)
	v_cmp_ne_u16_e64 s[26:27], 0, v1
	s_branch .LBB215_2078
.LBB215_2075:
	s_mov_b64 s[30:31], -1
                                        ; implicit-def: $sgpr26_sgpr27
	s_branch .LBB215_2084
.LBB215_2076:
	s_mov_b64 s[28:29], -1
                                        ; implicit-def: $sgpr26_sgpr27
	s_branch .LBB215_2081
.LBB215_2077:
	s_mov_b64 s[28:29], -1
                                        ; implicit-def: $sgpr26_sgpr27
.LBB215_2078:
	s_andn2_b64 vcc, exec, s[28:29]
	s_cbranch_vccnz .LBB215_2080
; %bb.2079:
	global_load_ubyte v1, v[10:11], off
	s_andn2_b64 s[26:27], s[26:27], exec
	s_waitcnt vmcnt(0)
	v_and_b32_e32 v1, 0x7f, v1
	v_cmp_ne_u16_e32 vcc, 0, v1
	s_and_b64 s[28:29], vcc, exec
	s_or_b64 s[26:27], s[26:27], s[28:29]
.LBB215_2080:
	s_mov_b64 s[28:29], 0
.LBB215_2081:
	s_andn2_b64 vcc, exec, s[28:29]
	s_cbranch_vccnz .LBB215_2083
; %bb.2082:
	global_load_ubyte v1, v[10:11], off
	s_movk_i32 s28, 0x7f00
	s_brev_b32 s29, 16
	s_andn2_b64 s[26:27], s[26:27], exec
	s_waitcnt vmcnt(0)
	v_lshlrev_b32_e32 v3, 8, v1
	v_lshlrev_b32_e32 v1, 25, v1
	v_lshrrev_b32_e32 v5, 4, v1
	v_and_or_b32 v3, v3, s28, 0.5
	v_or_b32_e32 v5, 0x70000000, v5
	v_add_f32_e32 v3, -0.5, v3
	v_mul_f32_e32 v5, 0x7800000, v5
	v_cmp_gt_u32_e32 vcc, s29, v1
	v_cndmask_b32_e32 v1, v5, v3, vcc
	v_cmp_neq_f32_e32 vcc, 0, v1
	s_and_b64 s[28:29], vcc, exec
	s_or_b64 s[26:27], s[26:27], s[28:29]
.LBB215_2083:
	s_mov_b64 s[28:29], -1
.LBB215_2084:
	s_andn2_b64 vcc, exec, s[30:31]
	s_mov_b64 s[30:31], 0
	s_cbranch_vccnz .LBB215_2093
; %bb.2085:
	s_cmp_gt_i32 s37, 14
	s_cbranch_scc0 .LBB215_2088
; %bb.2086:
	s_cmp_eq_u32 s37, 15
	s_cbranch_scc0 .LBB215_2089
; %bb.2087:
	global_load_ushort v1, v[10:11], off
	s_mov_b64 s[0:1], 0
	s_mov_b64 s[28:29], -1
	s_waitcnt vmcnt(0)
	v_and_b32_e32 v1, 0x7fff, v1
	v_cmp_ne_u16_e64 s[26:27], 0, v1
	s_branch .LBB215_2090
.LBB215_2088:
	s_mov_b64 s[34:35], -1
                                        ; implicit-def: $sgpr26_sgpr27
	s_branch .LBB215_2091
.LBB215_2089:
	s_mov_b64 s[0:1], -1
                                        ; implicit-def: $sgpr26_sgpr27
.LBB215_2090:
	s_mov_b64 s[34:35], 0
.LBB215_2091:
	s_and_b64 vcc, exec, s[34:35]
	s_cbranch_vccz .LBB215_2093
; %bb.2092:
	s_cmp_lg_u32 s37, 11
	s_mov_b64 s[30:31], -1
	s_cselect_b64 s[0:1], -1, 0
.LBB215_2093:
	s_and_b64 vcc, exec, s[0:1]
	s_cbranch_vccnz .LBB215_2158
; %bb.2094:
	s_andn2_b64 vcc, exec, s[30:31]
	s_cbranch_vccnz .LBB215_2096
.LBB215_2095:
	global_load_ubyte v1, v[10:11], off
	s_andn2_b64 s[0:1], s[26:27], exec
	s_mov_b64 s[28:29], -1
	s_waitcnt vmcnt(0)
	v_cmp_ne_u16_e32 vcc, 0, v1
	s_and_b64 s[26:27], vcc, exec
	s_or_b64 s[26:27], s[0:1], s[26:27]
.LBB215_2096:
	s_mov_b64 s[0:1], 0
.LBB215_2097:
	s_and_b64 vcc, exec, s[0:1]
	s_cbranch_vccz .LBB215_2146
; %bb.2098:
	s_and_b32 s30, 0xffff, s36
	s_cmp_lt_i32 s30, 5
	s_cbranch_scc1 .LBB215_2103
; %bb.2099:
	s_cmp_lt_i32 s30, 8
	s_cbranch_scc1 .LBB215_2104
; %bb.2100:
	;; [unrolled: 3-line block ×3, first 2 shown]
	s_cmp_gt_i32 s30, 9
	s_cbranch_scc0 .LBB215_2106
; %bb.2102:
	global_load_dwordx4 v[12:15], v[10:11], off
	s_mov_b64 s[28:29], 0
	s_waitcnt vmcnt(0)
	v_cmp_neq_f64_e32 vcc, 0, v[12:13]
	v_cmp_neq_f64_e64 s[0:1], 0, v[14:15]
	s_or_b64 s[26:27], vcc, s[0:1]
	s_branch .LBB215_2107
.LBB215_2103:
	s_mov_b64 s[0:1], -1
                                        ; implicit-def: $sgpr26_sgpr27
	s_branch .LBB215_2125
.LBB215_2104:
	s_mov_b64 s[0:1], -1
                                        ; implicit-def: $sgpr26_sgpr27
	s_branch .LBB215_2113
.LBB215_2105:
	s_mov_b64 s[0:1], -1
                                        ; implicit-def: $sgpr26_sgpr27
	s_branch .LBB215_2110
.LBB215_2106:
	s_mov_b64 s[28:29], -1
                                        ; implicit-def: $sgpr26_sgpr27
.LBB215_2107:
	s_andn2_b64 vcc, exec, s[28:29]
	s_cbranch_vccnz .LBB215_2109
; %bb.2108:
	global_load_dwordx2 v[12:13], v[10:11], off
	s_andn2_b64 s[0:1], s[26:27], exec
	s_waitcnt vmcnt(0)
	v_or_b32_e32 v1, v12, v13
	v_and_b32_e32 v1, 0x7fffffff, v1
	v_cmp_ne_u32_e32 vcc, 0, v1
	s_and_b64 s[26:27], vcc, exec
	s_or_b64 s[26:27], s[0:1], s[26:27]
.LBB215_2109:
	s_mov_b64 s[0:1], 0
.LBB215_2110:
	s_andn2_b64 vcc, exec, s[0:1]
	s_cbranch_vccnz .LBB215_2112
; %bb.2111:
	global_load_dword v1, v[10:11], off
	s_andn2_b64 s[0:1], s[26:27], exec
	s_waitcnt vmcnt(0)
	v_and_b32_e32 v1, 0x7fff7fff, v1
	v_cmp_ne_u32_e32 vcc, 0, v1
	s_and_b64 s[26:27], vcc, exec
	s_or_b64 s[26:27], s[0:1], s[26:27]
.LBB215_2112:
	s_mov_b64 s[0:1], 0
.LBB215_2113:
	s_andn2_b64 vcc, exec, s[0:1]
	s_cbranch_vccnz .LBB215_2124
; %bb.2114:
	s_cmp_lt_i32 s30, 6
	s_cbranch_scc1 .LBB215_2117
; %bb.2115:
	s_cmp_gt_i32 s30, 6
	s_cbranch_scc0 .LBB215_2118
; %bb.2116:
	global_load_dwordx2 v[12:13], v[10:11], off
	s_mov_b64 s[0:1], 0
	s_waitcnt vmcnt(0)
	v_cmp_neq_f64_e64 s[26:27], 0, v[12:13]
	s_branch .LBB215_2119
.LBB215_2117:
	s_mov_b64 s[0:1], -1
                                        ; implicit-def: $sgpr26_sgpr27
	s_branch .LBB215_2122
.LBB215_2118:
	s_mov_b64 s[0:1], -1
                                        ; implicit-def: $sgpr26_sgpr27
.LBB215_2119:
	s_andn2_b64 vcc, exec, s[0:1]
	s_cbranch_vccnz .LBB215_2121
; %bb.2120:
	global_load_dword v1, v[10:11], off
	s_andn2_b64 s[0:1], s[26:27], exec
	s_waitcnt vmcnt(0)
	v_cmp_neq_f32_e32 vcc, 0, v1
	s_and_b64 s[26:27], vcc, exec
	s_or_b64 s[26:27], s[0:1], s[26:27]
.LBB215_2121:
	s_mov_b64 s[0:1], 0
.LBB215_2122:
	s_andn2_b64 vcc, exec, s[0:1]
	s_cbranch_vccnz .LBB215_2124
; %bb.2123:
	global_load_ushort v1, v[10:11], off
	s_andn2_b64 s[0:1], s[26:27], exec
	s_waitcnt vmcnt(0)
	v_and_b32_e32 v1, 0x7fff, v1
	v_cmp_ne_u16_e32 vcc, 0, v1
	s_and_b64 s[26:27], vcc, exec
	s_or_b64 s[26:27], s[0:1], s[26:27]
.LBB215_2124:
	s_mov_b64 s[0:1], 0
.LBB215_2125:
	s_andn2_b64 vcc, exec, s[0:1]
	s_cbranch_vccnz .LBB215_2145
; %bb.2126:
	s_cmp_lt_i32 s30, 2
	s_cbranch_scc1 .LBB215_2130
; %bb.2127:
	s_cmp_lt_i32 s30, 3
	s_cbranch_scc1 .LBB215_2131
; %bb.2128:
	s_cmp_gt_i32 s30, 3
	s_cbranch_scc0 .LBB215_2132
; %bb.2129:
	global_load_dwordx2 v[12:13], v[10:11], off
	s_mov_b64 s[0:1], 0
	s_waitcnt vmcnt(0)
	v_cmp_ne_u64_e64 s[26:27], 0, v[12:13]
	s_branch .LBB215_2133
.LBB215_2130:
	s_mov_b64 s[0:1], -1
                                        ; implicit-def: $sgpr26_sgpr27
	s_branch .LBB215_2139
.LBB215_2131:
	s_mov_b64 s[0:1], -1
                                        ; implicit-def: $sgpr26_sgpr27
	s_branch .LBB215_2136
.LBB215_2132:
	s_mov_b64 s[0:1], -1
                                        ; implicit-def: $sgpr26_sgpr27
.LBB215_2133:
	s_andn2_b64 vcc, exec, s[0:1]
	s_cbranch_vccnz .LBB215_2135
; %bb.2134:
	global_load_dword v1, v[10:11], off
	s_andn2_b64 s[0:1], s[26:27], exec
	s_waitcnt vmcnt(0)
	v_cmp_ne_u32_e32 vcc, 0, v1
	s_and_b64 s[26:27], vcc, exec
	s_or_b64 s[26:27], s[0:1], s[26:27]
.LBB215_2135:
	s_mov_b64 s[0:1], 0
.LBB215_2136:
	s_andn2_b64 vcc, exec, s[0:1]
	s_cbranch_vccnz .LBB215_2138
; %bb.2137:
	global_load_ushort v1, v[10:11], off
	s_andn2_b64 s[0:1], s[26:27], exec
	s_waitcnt vmcnt(0)
	v_cmp_ne_u16_e32 vcc, 0, v1
	s_and_b64 s[26:27], vcc, exec
	s_or_b64 s[26:27], s[0:1], s[26:27]
.LBB215_2138:
	s_mov_b64 s[0:1], 0
.LBB215_2139:
	s_andn2_b64 vcc, exec, s[0:1]
	s_cbranch_vccnz .LBB215_2145
; %bb.2140:
	s_cmp_gt_i32 s30, 0
	s_cbranch_scc0 .LBB215_2142
; %bb.2141:
	global_load_ubyte v1, v[10:11], off
	s_mov_b64 s[0:1], 0
	s_waitcnt vmcnt(0)
	v_cmp_ne_u16_e64 s[26:27], 0, v1
	s_branch .LBB215_2143
.LBB215_2142:
	s_mov_b64 s[0:1], -1
                                        ; implicit-def: $sgpr26_sgpr27
.LBB215_2143:
	s_andn2_b64 vcc, exec, s[0:1]
	s_cbranch_vccnz .LBB215_2145
; %bb.2144:
	global_load_ubyte v1, v[10:11], off
	s_andn2_b64 s[0:1], s[26:27], exec
	s_waitcnt vmcnt(0)
	v_cmp_ne_u16_e32 vcc, 0, v1
	s_and_b64 s[26:27], vcc, exec
	s_or_b64 s[26:27], s[0:1], s[26:27]
.LBB215_2145:
	s_mov_b64 s[28:29], -1
.LBB215_2146:
	s_andn2_b64 vcc, exec, s[28:29]
	s_cbranch_vccnz .LBB215_2804
; %bb.2147:
	v_mov_b32_e32 v1, s11
	v_add_co_u32_e32 v8, vcc, s10, v9
	s_cmp_lt_i32 s33, 11
	v_addc_co_u32_e32 v9, vcc, 0, v1, vcc
	s_cbranch_scc1 .LBB215_2154
; %bb.2148:
	s_and_b32 s37, 0xffff, s33
	s_cmp_gt_i32 s37, 25
	s_mov_b64 s[30:31], 0
	s_cbranch_scc0 .LBB215_2155
; %bb.2149:
	s_cmp_gt_i32 s37, 28
	s_cbranch_scc0 .LBB215_2156
; %bb.2150:
	s_cmp_gt_i32 s37, 43
	;; [unrolled: 3-line block ×3, first 2 shown]
	s_cbranch_scc0 .LBB215_2159
; %bb.2152:
	s_cmp_eq_u32 s37, 46
	s_mov_b64 s[34:35], 0
	s_cbranch_scc0 .LBB215_2160
; %bb.2153:
	global_load_dword v1, v[8:9], off
	s_mov_b64 s[0:1], 0
	s_mov_b64 s[28:29], -1
	s_waitcnt vmcnt(0)
	v_and_b32_e32 v1, 0x7fff7fff, v1
	v_cmp_ne_u32_e64 s[10:11], 0, v1
	s_branch .LBB215_2161
.LBB215_2154:
	s_mov_b64 s[0:1], -1
	s_mov_b64 s[28:29], 0
                                        ; implicit-def: $sgpr10_sgpr11
	s_branch .LBB215_2209
.LBB215_2155:
	s_mov_b64 s[34:35], -1
	s_mov_b64 s[28:29], 0
	s_mov_b64 s[0:1], 0
                                        ; implicit-def: $sgpr10_sgpr11
	s_branch .LBB215_2182
.LBB215_2156:
	s_mov_b64 s[34:35], -1
	s_mov_b64 s[28:29], 0
	s_mov_b64 s[0:1], 0
                                        ; implicit-def: $sgpr10_sgpr11
	s_branch .LBB215_2169
.LBB215_2157:
	s_mov_b64 s[34:35], -1
	s_mov_b64 s[28:29], 0
	s_mov_b64 s[0:1], 0
                                        ; implicit-def: $sgpr10_sgpr11
	s_branch .LBB215_2164
.LBB215_2158:
	s_trap 2
	s_mov_b64 s[28:29], 0
	s_or_b64 s[4:5], s[4:5], exec
	s_cbranch_execz .LBB215_2095
	s_branch .LBB215_2096
.LBB215_2159:
	s_mov_b64 s[34:35], -1
	s_mov_b64 s[28:29], 0
	s_mov_b64 s[0:1], 0
                                        ; implicit-def: $sgpr10_sgpr11
	s_branch .LBB215_2161
.LBB215_2160:
	s_mov_b64 s[0:1], -1
                                        ; implicit-def: $sgpr10_sgpr11
	s_mov_b64 s[28:29], 0
.LBB215_2161:
	s_and_b64 vcc, exec, s[34:35]
	s_cbranch_vccz .LBB215_2163
; %bb.2162:
	s_cmp_lg_u32 s37, 44
	s_mov_b64 s[28:29], -1
	s_cselect_b64 s[0:1], -1, 0
	s_or_b64 s[10:11], s[10:11], exec
.LBB215_2163:
	s_mov_b64 s[34:35], 0
.LBB215_2164:
	s_and_b64 vcc, exec, s[34:35]
	s_cbranch_vccz .LBB215_2168
; %bb.2165:
	s_cmp_eq_u32 s37, 29
	s_cbranch_scc0 .LBB215_2167
; %bb.2166:
	global_load_dwordx2 v[10:11], v[8:9], off
	s_mov_b64 s[0:1], 0
	s_mov_b64 s[28:29], -1
	s_mov_b64 s[34:35], 0
	s_waitcnt vmcnt(0)
	v_cmp_ne_u64_e64 s[10:11], 0, v[10:11]
	s_branch .LBB215_2169
.LBB215_2167:
	s_mov_b64 s[0:1], -1
                                        ; implicit-def: $sgpr10_sgpr11
.LBB215_2168:
	s_mov_b64 s[34:35], 0
.LBB215_2169:
	s_and_b64 vcc, exec, s[34:35]
	s_cbranch_vccz .LBB215_2181
; %bb.2170:
	s_cmp_lt_i32 s37, 27
	s_cbranch_scc1 .LBB215_2173
; %bb.2171:
	s_cmp_gt_i32 s37, 27
	s_cbranch_scc0 .LBB215_2174
; %bb.2172:
	global_load_dword v1, v[8:9], off
	s_mov_b64 s[28:29], 0
	s_waitcnt vmcnt(0)
	v_cmp_ne_u32_e64 s[10:11], 0, v1
	s_branch .LBB215_2175
.LBB215_2173:
	s_mov_b64 s[28:29], -1
                                        ; implicit-def: $sgpr10_sgpr11
	s_branch .LBB215_2178
.LBB215_2174:
	s_mov_b64 s[28:29], -1
                                        ; implicit-def: $sgpr10_sgpr11
.LBB215_2175:
	s_andn2_b64 vcc, exec, s[28:29]
	s_cbranch_vccnz .LBB215_2177
; %bb.2176:
	global_load_ushort v1, v[8:9], off
	s_andn2_b64 s[10:11], s[10:11], exec
	s_waitcnt vmcnt(0)
	v_cmp_ne_u16_e32 vcc, 0, v1
	s_and_b64 s[28:29], vcc, exec
	s_or_b64 s[10:11], s[10:11], s[28:29]
.LBB215_2177:
	s_mov_b64 s[28:29], 0
.LBB215_2178:
	s_andn2_b64 vcc, exec, s[28:29]
	s_cbranch_vccnz .LBB215_2180
; %bb.2179:
	global_load_ubyte v1, v[8:9], off
	s_andn2_b64 s[10:11], s[10:11], exec
	s_waitcnt vmcnt(0)
	v_cmp_ne_u16_e32 vcc, 0, v1
	s_and_b64 s[28:29], vcc, exec
	s_or_b64 s[10:11], s[10:11], s[28:29]
.LBB215_2180:
	s_mov_b64 s[28:29], -1
.LBB215_2181:
	s_mov_b64 s[34:35], 0
.LBB215_2182:
	s_and_b64 vcc, exec, s[34:35]
	s_cbranch_vccz .LBB215_2205
; %bb.2183:
	s_cmp_gt_i32 s37, 22
	s_cbranch_scc0 .LBB215_2187
; %bb.2184:
	s_cmp_lt_i32 s37, 24
	s_cbranch_scc1 .LBB215_2188
; %bb.2185:
	s_cmp_gt_i32 s37, 24
	s_cbranch_scc0 .LBB215_2189
; %bb.2186:
	global_load_ubyte v1, v[8:9], off
	s_mov_b64 s[28:29], 0
	s_waitcnt vmcnt(0)
	v_cmp_ne_u16_e64 s[10:11], 0, v1
	s_branch .LBB215_2190
.LBB215_2187:
	s_mov_b64 s[30:31], -1
                                        ; implicit-def: $sgpr10_sgpr11
	s_branch .LBB215_2196
.LBB215_2188:
	s_mov_b64 s[28:29], -1
                                        ; implicit-def: $sgpr10_sgpr11
	s_branch .LBB215_2193
.LBB215_2189:
	s_mov_b64 s[28:29], -1
                                        ; implicit-def: $sgpr10_sgpr11
.LBB215_2190:
	s_andn2_b64 vcc, exec, s[28:29]
	s_cbranch_vccnz .LBB215_2192
; %bb.2191:
	global_load_ubyte v1, v[8:9], off
	s_andn2_b64 s[10:11], s[10:11], exec
	s_waitcnt vmcnt(0)
	v_and_b32_e32 v1, 0x7f, v1
	v_cmp_ne_u16_e32 vcc, 0, v1
	s_and_b64 s[28:29], vcc, exec
	s_or_b64 s[10:11], s[10:11], s[28:29]
.LBB215_2192:
	s_mov_b64 s[28:29], 0
.LBB215_2193:
	s_andn2_b64 vcc, exec, s[28:29]
	s_cbranch_vccnz .LBB215_2195
; %bb.2194:
	global_load_ubyte v1, v[8:9], off
	s_movk_i32 s28, 0x7f00
	s_brev_b32 s29, 16
	s_andn2_b64 s[10:11], s[10:11], exec
	s_waitcnt vmcnt(0)
	v_lshlrev_b32_e32 v3, 8, v1
	v_lshlrev_b32_e32 v1, 25, v1
	v_lshrrev_b32_e32 v5, 4, v1
	v_and_or_b32 v3, v3, s28, 0.5
	v_or_b32_e32 v5, 0x70000000, v5
	v_add_f32_e32 v3, -0.5, v3
	v_mul_f32_e32 v5, 0x7800000, v5
	v_cmp_gt_u32_e32 vcc, s29, v1
	v_cndmask_b32_e32 v1, v5, v3, vcc
	v_cmp_neq_f32_e32 vcc, 0, v1
	s_and_b64 s[28:29], vcc, exec
	s_or_b64 s[10:11], s[10:11], s[28:29]
.LBB215_2195:
	s_mov_b64 s[28:29], -1
.LBB215_2196:
	s_andn2_b64 vcc, exec, s[30:31]
	s_mov_b64 s[30:31], 0
	s_cbranch_vccnz .LBB215_2205
; %bb.2197:
	s_cmp_gt_i32 s37, 14
	s_cbranch_scc0 .LBB215_2200
; %bb.2198:
	s_cmp_eq_u32 s37, 15
	s_cbranch_scc0 .LBB215_2201
; %bb.2199:
	global_load_ushort v1, v[8:9], off
	s_mov_b64 s[0:1], 0
	s_mov_b64 s[28:29], -1
	s_waitcnt vmcnt(0)
	v_and_b32_e32 v1, 0x7fff, v1
	v_cmp_ne_u16_e64 s[10:11], 0, v1
	s_branch .LBB215_2202
.LBB215_2200:
	s_mov_b64 s[34:35], -1
                                        ; implicit-def: $sgpr10_sgpr11
	s_branch .LBB215_2203
.LBB215_2201:
	s_mov_b64 s[0:1], -1
                                        ; implicit-def: $sgpr10_sgpr11
.LBB215_2202:
	s_mov_b64 s[34:35], 0
.LBB215_2203:
	s_and_b64 vcc, exec, s[34:35]
	s_cbranch_vccz .LBB215_2205
; %bb.2204:
	s_cmp_lg_u32 s37, 11
	s_mov_b64 s[30:31], -1
	s_cselect_b64 s[0:1], -1, 0
.LBB215_2205:
	s_and_b64 vcc, exec, s[0:1]
	s_cbranch_vccnz .LBB215_2270
; %bb.2206:
	s_andn2_b64 vcc, exec, s[30:31]
	s_cbranch_vccnz .LBB215_2208
.LBB215_2207:
	global_load_ubyte v1, v[8:9], off
	s_andn2_b64 s[0:1], s[10:11], exec
	s_mov_b64 s[28:29], -1
	s_waitcnt vmcnt(0)
	v_cmp_ne_u16_e32 vcc, 0, v1
	s_and_b64 s[10:11], vcc, exec
	s_or_b64 s[10:11], s[0:1], s[10:11]
.LBB215_2208:
	s_mov_b64 s[0:1], 0
.LBB215_2209:
	s_and_b64 vcc, exec, s[0:1]
	s_cbranch_vccz .LBB215_2258
; %bb.2210:
	s_and_b32 s30, 0xffff, s33
	s_cmp_lt_i32 s30, 5
	s_cbranch_scc1 .LBB215_2215
; %bb.2211:
	s_cmp_lt_i32 s30, 8
	s_cbranch_scc1 .LBB215_2216
; %bb.2212:
	;; [unrolled: 3-line block ×3, first 2 shown]
	s_cmp_gt_i32 s30, 9
	s_cbranch_scc0 .LBB215_2218
; %bb.2214:
	global_load_dwordx4 v[10:13], v[8:9], off
	s_mov_b64 s[28:29], 0
	s_waitcnt vmcnt(0)
	v_cmp_neq_f64_e32 vcc, 0, v[10:11]
	v_cmp_neq_f64_e64 s[0:1], 0, v[12:13]
	s_or_b64 s[10:11], vcc, s[0:1]
	s_branch .LBB215_2219
.LBB215_2215:
	s_mov_b64 s[0:1], -1
                                        ; implicit-def: $sgpr10_sgpr11
	s_branch .LBB215_2237
.LBB215_2216:
	s_mov_b64 s[0:1], -1
                                        ; implicit-def: $sgpr10_sgpr11
	s_branch .LBB215_2225
.LBB215_2217:
	s_mov_b64 s[0:1], -1
                                        ; implicit-def: $sgpr10_sgpr11
	s_branch .LBB215_2222
.LBB215_2218:
	s_mov_b64 s[28:29], -1
                                        ; implicit-def: $sgpr10_sgpr11
.LBB215_2219:
	s_andn2_b64 vcc, exec, s[28:29]
	s_cbranch_vccnz .LBB215_2221
; %bb.2220:
	global_load_dwordx2 v[10:11], v[8:9], off
	s_andn2_b64 s[0:1], s[10:11], exec
	s_waitcnt vmcnt(0)
	v_or_b32_e32 v1, v10, v11
	v_and_b32_e32 v1, 0x7fffffff, v1
	v_cmp_ne_u32_e32 vcc, 0, v1
	s_and_b64 s[10:11], vcc, exec
	s_or_b64 s[10:11], s[0:1], s[10:11]
.LBB215_2221:
	s_mov_b64 s[0:1], 0
.LBB215_2222:
	s_andn2_b64 vcc, exec, s[0:1]
	s_cbranch_vccnz .LBB215_2224
; %bb.2223:
	global_load_dword v1, v[8:9], off
	s_andn2_b64 s[0:1], s[10:11], exec
	s_waitcnt vmcnt(0)
	v_and_b32_e32 v1, 0x7fff7fff, v1
	v_cmp_ne_u32_e32 vcc, 0, v1
	s_and_b64 s[10:11], vcc, exec
	s_or_b64 s[10:11], s[0:1], s[10:11]
.LBB215_2224:
	s_mov_b64 s[0:1], 0
.LBB215_2225:
	s_andn2_b64 vcc, exec, s[0:1]
	s_cbranch_vccnz .LBB215_2236
; %bb.2226:
	s_cmp_lt_i32 s30, 6
	s_cbranch_scc1 .LBB215_2229
; %bb.2227:
	s_cmp_gt_i32 s30, 6
	s_cbranch_scc0 .LBB215_2230
; %bb.2228:
	global_load_dwordx2 v[10:11], v[8:9], off
	s_mov_b64 s[0:1], 0
	s_waitcnt vmcnt(0)
	v_cmp_neq_f64_e64 s[10:11], 0, v[10:11]
	s_branch .LBB215_2231
.LBB215_2229:
	s_mov_b64 s[0:1], -1
                                        ; implicit-def: $sgpr10_sgpr11
	s_branch .LBB215_2234
.LBB215_2230:
	s_mov_b64 s[0:1], -1
                                        ; implicit-def: $sgpr10_sgpr11
.LBB215_2231:
	s_andn2_b64 vcc, exec, s[0:1]
	s_cbranch_vccnz .LBB215_2233
; %bb.2232:
	global_load_dword v1, v[8:9], off
	s_andn2_b64 s[0:1], s[10:11], exec
	s_waitcnt vmcnt(0)
	v_cmp_neq_f32_e32 vcc, 0, v1
	s_and_b64 s[10:11], vcc, exec
	s_or_b64 s[10:11], s[0:1], s[10:11]
.LBB215_2233:
	s_mov_b64 s[0:1], 0
.LBB215_2234:
	s_andn2_b64 vcc, exec, s[0:1]
	s_cbranch_vccnz .LBB215_2236
; %bb.2235:
	global_load_ushort v1, v[8:9], off
	s_andn2_b64 s[0:1], s[10:11], exec
	s_waitcnt vmcnt(0)
	v_and_b32_e32 v1, 0x7fff, v1
	v_cmp_ne_u16_e32 vcc, 0, v1
	s_and_b64 s[10:11], vcc, exec
	s_or_b64 s[10:11], s[0:1], s[10:11]
.LBB215_2236:
	s_mov_b64 s[0:1], 0
.LBB215_2237:
	s_andn2_b64 vcc, exec, s[0:1]
	s_cbranch_vccnz .LBB215_2257
; %bb.2238:
	s_cmp_lt_i32 s30, 2
	s_cbranch_scc1 .LBB215_2242
; %bb.2239:
	s_cmp_lt_i32 s30, 3
	s_cbranch_scc1 .LBB215_2243
; %bb.2240:
	s_cmp_gt_i32 s30, 3
	s_cbranch_scc0 .LBB215_2244
; %bb.2241:
	global_load_dwordx2 v[10:11], v[8:9], off
	s_mov_b64 s[0:1], 0
	s_waitcnt vmcnt(0)
	v_cmp_ne_u64_e64 s[10:11], 0, v[10:11]
	s_branch .LBB215_2245
.LBB215_2242:
	s_mov_b64 s[0:1], -1
                                        ; implicit-def: $sgpr10_sgpr11
	s_branch .LBB215_2251
.LBB215_2243:
	s_mov_b64 s[0:1], -1
                                        ; implicit-def: $sgpr10_sgpr11
	s_branch .LBB215_2248
.LBB215_2244:
	s_mov_b64 s[0:1], -1
                                        ; implicit-def: $sgpr10_sgpr11
.LBB215_2245:
	s_andn2_b64 vcc, exec, s[0:1]
	s_cbranch_vccnz .LBB215_2247
; %bb.2246:
	global_load_dword v1, v[8:9], off
	s_andn2_b64 s[0:1], s[10:11], exec
	s_waitcnt vmcnt(0)
	v_cmp_ne_u32_e32 vcc, 0, v1
	s_and_b64 s[10:11], vcc, exec
	s_or_b64 s[10:11], s[0:1], s[10:11]
.LBB215_2247:
	s_mov_b64 s[0:1], 0
.LBB215_2248:
	s_andn2_b64 vcc, exec, s[0:1]
	s_cbranch_vccnz .LBB215_2250
; %bb.2249:
	global_load_ushort v1, v[8:9], off
	s_andn2_b64 s[0:1], s[10:11], exec
	s_waitcnt vmcnt(0)
	v_cmp_ne_u16_e32 vcc, 0, v1
	s_and_b64 s[10:11], vcc, exec
	s_or_b64 s[10:11], s[0:1], s[10:11]
.LBB215_2250:
	s_mov_b64 s[0:1], 0
.LBB215_2251:
	s_andn2_b64 vcc, exec, s[0:1]
	s_cbranch_vccnz .LBB215_2257
; %bb.2252:
	s_cmp_gt_i32 s30, 0
	s_cbranch_scc0 .LBB215_2254
; %bb.2253:
	global_load_ubyte v1, v[8:9], off
	s_mov_b64 s[0:1], 0
	s_waitcnt vmcnt(0)
	v_cmp_ne_u16_e64 s[10:11], 0, v1
	s_branch .LBB215_2255
.LBB215_2254:
	s_mov_b64 s[0:1], -1
                                        ; implicit-def: $sgpr10_sgpr11
.LBB215_2255:
	s_andn2_b64 vcc, exec, s[0:1]
	s_cbranch_vccnz .LBB215_2257
; %bb.2256:
	global_load_ubyte v1, v[8:9], off
	s_andn2_b64 s[0:1], s[10:11], exec
	s_waitcnt vmcnt(0)
	v_cmp_ne_u16_e32 vcc, 0, v1
	s_and_b64 s[10:11], vcc, exec
	s_or_b64 s[10:11], s[0:1], s[10:11]
.LBB215_2257:
	s_mov_b64 s[28:29], -1
.LBB215_2258:
	s_andn2_b64 vcc, exec, s[28:29]
	s_cbranch_vccnz .LBB215_2804
; %bb.2259:
	v_mov_b32_e32 v1, s23
	v_add_co_u32_e32 v7, vcc, s22, v7
	s_cmp_lt_i32 s36, 11
	v_addc_co_u32_e32 v8, vcc, 0, v1, vcc
	s_cbranch_scc1 .LBB215_2266
; %bb.2260:
	s_and_b32 s33, 0xffff, s36
	s_cmp_gt_i32 s33, 25
	s_mov_b64 s[30:31], 0
	s_cbranch_scc0 .LBB215_2267
; %bb.2261:
	s_cmp_gt_i32 s33, 28
	s_cbranch_scc0 .LBB215_2268
; %bb.2262:
	s_cmp_gt_i32 s33, 43
	;; [unrolled: 3-line block ×3, first 2 shown]
	s_cbranch_scc0 .LBB215_2271
; %bb.2264:
	s_cmp_eq_u32 s33, 46
	s_mov_b64 s[34:35], 0
	s_cbranch_scc0 .LBB215_2272
; %bb.2265:
	global_load_dword v1, v[7:8], off
	s_mov_b64 s[0:1], 0
	s_mov_b64 s[28:29], -1
	s_waitcnt vmcnt(0)
	v_and_b32_e32 v1, 0x7fff7fff, v1
	v_cmp_ne_u32_e64 s[22:23], 0, v1
	s_branch .LBB215_2273
.LBB215_2266:
	s_mov_b64 s[0:1], -1
	s_mov_b64 s[28:29], 0
                                        ; implicit-def: $sgpr22_sgpr23
	s_branch .LBB215_2321
.LBB215_2267:
	s_mov_b64 s[34:35], -1
	s_mov_b64 s[28:29], 0
	s_mov_b64 s[0:1], 0
                                        ; implicit-def: $sgpr22_sgpr23
	s_branch .LBB215_2294
.LBB215_2268:
	s_mov_b64 s[34:35], -1
	s_mov_b64 s[28:29], 0
	s_mov_b64 s[0:1], 0
                                        ; implicit-def: $sgpr22_sgpr23
	s_branch .LBB215_2281
.LBB215_2269:
	s_mov_b64 s[34:35], -1
	s_mov_b64 s[28:29], 0
	s_mov_b64 s[0:1], 0
                                        ; implicit-def: $sgpr22_sgpr23
	s_branch .LBB215_2276
.LBB215_2270:
	s_trap 2
	s_mov_b64 s[28:29], 0
	s_or_b64 s[4:5], s[4:5], exec
	s_cbranch_execz .LBB215_2207
	s_branch .LBB215_2208
.LBB215_2271:
	s_mov_b64 s[34:35], -1
	s_mov_b64 s[28:29], 0
	s_mov_b64 s[0:1], 0
                                        ; implicit-def: $sgpr22_sgpr23
	s_branch .LBB215_2273
.LBB215_2272:
	s_mov_b64 s[0:1], -1
                                        ; implicit-def: $sgpr22_sgpr23
	s_mov_b64 s[28:29], 0
.LBB215_2273:
	s_and_b64 vcc, exec, s[34:35]
	s_cbranch_vccz .LBB215_2275
; %bb.2274:
	s_cmp_lg_u32 s33, 44
	s_mov_b64 s[28:29], -1
	s_cselect_b64 s[0:1], -1, 0
	s_or_b64 s[22:23], s[22:23], exec
.LBB215_2275:
	s_mov_b64 s[34:35], 0
.LBB215_2276:
	s_and_b64 vcc, exec, s[34:35]
	s_cbranch_vccz .LBB215_2280
; %bb.2277:
	s_cmp_eq_u32 s33, 29
	s_cbranch_scc0 .LBB215_2279
; %bb.2278:
	global_load_dwordx2 v[9:10], v[7:8], off
	s_mov_b64 s[0:1], 0
	s_mov_b64 s[28:29], -1
	s_mov_b64 s[34:35], 0
	s_waitcnt vmcnt(0)
	v_cmp_ne_u64_e64 s[22:23], 0, v[9:10]
	s_branch .LBB215_2281
.LBB215_2279:
	s_mov_b64 s[0:1], -1
                                        ; implicit-def: $sgpr22_sgpr23
.LBB215_2280:
	s_mov_b64 s[34:35], 0
.LBB215_2281:
	s_and_b64 vcc, exec, s[34:35]
	s_cbranch_vccz .LBB215_2293
; %bb.2282:
	s_cmp_lt_i32 s33, 27
	s_cbranch_scc1 .LBB215_2285
; %bb.2283:
	s_cmp_gt_i32 s33, 27
	s_cbranch_scc0 .LBB215_2286
; %bb.2284:
	global_load_dword v1, v[7:8], off
	s_mov_b64 s[28:29], 0
	s_waitcnt vmcnt(0)
	v_cmp_ne_u32_e64 s[22:23], 0, v1
	s_branch .LBB215_2287
.LBB215_2285:
	s_mov_b64 s[28:29], -1
                                        ; implicit-def: $sgpr22_sgpr23
	s_branch .LBB215_2290
.LBB215_2286:
	s_mov_b64 s[28:29], -1
                                        ; implicit-def: $sgpr22_sgpr23
.LBB215_2287:
	s_andn2_b64 vcc, exec, s[28:29]
	s_cbranch_vccnz .LBB215_2289
; %bb.2288:
	global_load_ushort v1, v[7:8], off
	s_andn2_b64 s[22:23], s[22:23], exec
	s_waitcnt vmcnt(0)
	v_cmp_ne_u16_e32 vcc, 0, v1
	s_and_b64 s[28:29], vcc, exec
	s_or_b64 s[22:23], s[22:23], s[28:29]
.LBB215_2289:
	s_mov_b64 s[28:29], 0
.LBB215_2290:
	s_andn2_b64 vcc, exec, s[28:29]
	s_cbranch_vccnz .LBB215_2292
; %bb.2291:
	global_load_ubyte v1, v[7:8], off
	s_andn2_b64 s[22:23], s[22:23], exec
	s_waitcnt vmcnt(0)
	v_cmp_ne_u16_e32 vcc, 0, v1
	s_and_b64 s[28:29], vcc, exec
	s_or_b64 s[22:23], s[22:23], s[28:29]
.LBB215_2292:
	s_mov_b64 s[28:29], -1
.LBB215_2293:
	s_mov_b64 s[34:35], 0
.LBB215_2294:
	s_and_b64 vcc, exec, s[34:35]
	s_cbranch_vccz .LBB215_2317
; %bb.2295:
	s_cmp_gt_i32 s33, 22
	s_cbranch_scc0 .LBB215_2299
; %bb.2296:
	s_cmp_lt_i32 s33, 24
	s_cbranch_scc1 .LBB215_2300
; %bb.2297:
	s_cmp_gt_i32 s33, 24
	s_cbranch_scc0 .LBB215_2301
; %bb.2298:
	global_load_ubyte v1, v[7:8], off
	s_mov_b64 s[28:29], 0
	s_waitcnt vmcnt(0)
	v_cmp_ne_u16_e64 s[22:23], 0, v1
	s_branch .LBB215_2302
.LBB215_2299:
	s_mov_b64 s[30:31], -1
                                        ; implicit-def: $sgpr22_sgpr23
	s_branch .LBB215_2308
.LBB215_2300:
	s_mov_b64 s[28:29], -1
                                        ; implicit-def: $sgpr22_sgpr23
	s_branch .LBB215_2305
.LBB215_2301:
	s_mov_b64 s[28:29], -1
                                        ; implicit-def: $sgpr22_sgpr23
.LBB215_2302:
	s_andn2_b64 vcc, exec, s[28:29]
	s_cbranch_vccnz .LBB215_2304
; %bb.2303:
	global_load_ubyte v1, v[7:8], off
	s_andn2_b64 s[22:23], s[22:23], exec
	s_waitcnt vmcnt(0)
	v_and_b32_e32 v1, 0x7f, v1
	v_cmp_ne_u16_e32 vcc, 0, v1
	s_and_b64 s[28:29], vcc, exec
	s_or_b64 s[22:23], s[22:23], s[28:29]
.LBB215_2304:
	s_mov_b64 s[28:29], 0
.LBB215_2305:
	s_andn2_b64 vcc, exec, s[28:29]
	s_cbranch_vccnz .LBB215_2307
; %bb.2306:
	global_load_ubyte v1, v[7:8], off
	s_movk_i32 s28, 0x7f00
	s_brev_b32 s29, 16
	s_andn2_b64 s[22:23], s[22:23], exec
	s_waitcnt vmcnt(0)
	v_lshlrev_b32_e32 v3, 8, v1
	v_lshlrev_b32_e32 v1, 25, v1
	v_lshrrev_b32_e32 v5, 4, v1
	v_and_or_b32 v3, v3, s28, 0.5
	v_or_b32_e32 v5, 0x70000000, v5
	v_add_f32_e32 v3, -0.5, v3
	v_mul_f32_e32 v5, 0x7800000, v5
	v_cmp_gt_u32_e32 vcc, s29, v1
	v_cndmask_b32_e32 v1, v5, v3, vcc
	v_cmp_neq_f32_e32 vcc, 0, v1
	s_and_b64 s[28:29], vcc, exec
	s_or_b64 s[22:23], s[22:23], s[28:29]
.LBB215_2307:
	s_mov_b64 s[28:29], -1
.LBB215_2308:
	s_andn2_b64 vcc, exec, s[30:31]
	s_mov_b64 s[30:31], 0
	s_cbranch_vccnz .LBB215_2317
; %bb.2309:
	s_cmp_gt_i32 s33, 14
	s_cbranch_scc0 .LBB215_2312
; %bb.2310:
	s_cmp_eq_u32 s33, 15
	s_cbranch_scc0 .LBB215_2313
; %bb.2311:
	global_load_ushort v1, v[7:8], off
	s_mov_b64 s[0:1], 0
	s_mov_b64 s[28:29], -1
	s_waitcnt vmcnt(0)
	v_and_b32_e32 v1, 0x7fff, v1
	v_cmp_ne_u16_e64 s[22:23], 0, v1
	s_branch .LBB215_2314
.LBB215_2312:
	s_mov_b64 s[34:35], -1
                                        ; implicit-def: $sgpr22_sgpr23
	s_branch .LBB215_2315
.LBB215_2313:
	s_mov_b64 s[0:1], -1
                                        ; implicit-def: $sgpr22_sgpr23
.LBB215_2314:
	s_mov_b64 s[34:35], 0
.LBB215_2315:
	s_and_b64 vcc, exec, s[34:35]
	s_cbranch_vccz .LBB215_2317
; %bb.2316:
	s_cmp_lg_u32 s33, 11
	s_mov_b64 s[30:31], -1
	s_cselect_b64 s[0:1], -1, 0
.LBB215_2317:
	s_and_b64 vcc, exec, s[0:1]
	s_cbranch_vccnz .LBB215_2850
; %bb.2318:
	s_andn2_b64 vcc, exec, s[30:31]
	s_cbranch_vccnz .LBB215_2320
.LBB215_2319:
	global_load_ubyte v1, v[7:8], off
	s_andn2_b64 s[0:1], s[22:23], exec
	s_mov_b64 s[28:29], -1
	s_waitcnt vmcnt(0)
	v_cmp_ne_u16_e32 vcc, 0, v1
	s_and_b64 s[22:23], vcc, exec
	s_or_b64 s[22:23], s[0:1], s[22:23]
.LBB215_2320:
	s_mov_b64 s[0:1], 0
.LBB215_2321:
	s_and_b64 vcc, exec, s[0:1]
	s_cbranch_vccz .LBB215_2370
; %bb.2322:
	s_and_b32 s30, 0xffff, s36
	s_cmp_lt_i32 s30, 5
	s_cbranch_scc1 .LBB215_2327
; %bb.2323:
	s_cmp_lt_i32 s30, 8
	s_cbranch_scc1 .LBB215_2328
; %bb.2324:
	;; [unrolled: 3-line block ×3, first 2 shown]
	s_cmp_gt_i32 s30, 9
	s_cbranch_scc0 .LBB215_2330
; %bb.2326:
	global_load_dwordx4 v[9:12], v[7:8], off
	s_mov_b64 s[28:29], 0
	s_waitcnt vmcnt(0)
	v_cmp_neq_f64_e32 vcc, 0, v[9:10]
	v_cmp_neq_f64_e64 s[0:1], 0, v[11:12]
	s_or_b64 s[22:23], vcc, s[0:1]
	s_branch .LBB215_2331
.LBB215_2327:
	s_mov_b64 s[0:1], -1
                                        ; implicit-def: $sgpr22_sgpr23
	s_branch .LBB215_2349
.LBB215_2328:
	s_mov_b64 s[0:1], -1
                                        ; implicit-def: $sgpr22_sgpr23
	s_branch .LBB215_2337
.LBB215_2329:
	s_mov_b64 s[0:1], -1
                                        ; implicit-def: $sgpr22_sgpr23
	s_branch .LBB215_2334
.LBB215_2330:
	s_mov_b64 s[28:29], -1
                                        ; implicit-def: $sgpr22_sgpr23
.LBB215_2331:
	s_andn2_b64 vcc, exec, s[28:29]
	s_cbranch_vccnz .LBB215_2333
; %bb.2332:
	global_load_dwordx2 v[9:10], v[7:8], off
	s_andn2_b64 s[0:1], s[22:23], exec
	s_waitcnt vmcnt(0)
	v_or_b32_e32 v1, v9, v10
	v_and_b32_e32 v1, 0x7fffffff, v1
	v_cmp_ne_u32_e32 vcc, 0, v1
	s_and_b64 s[22:23], vcc, exec
	s_or_b64 s[22:23], s[0:1], s[22:23]
.LBB215_2333:
	s_mov_b64 s[0:1], 0
.LBB215_2334:
	s_andn2_b64 vcc, exec, s[0:1]
	s_cbranch_vccnz .LBB215_2336
; %bb.2335:
	global_load_dword v1, v[7:8], off
	s_andn2_b64 s[0:1], s[22:23], exec
	s_waitcnt vmcnt(0)
	v_and_b32_e32 v1, 0x7fff7fff, v1
	v_cmp_ne_u32_e32 vcc, 0, v1
	s_and_b64 s[22:23], vcc, exec
	s_or_b64 s[22:23], s[0:1], s[22:23]
.LBB215_2336:
	s_mov_b64 s[0:1], 0
.LBB215_2337:
	s_andn2_b64 vcc, exec, s[0:1]
	s_cbranch_vccnz .LBB215_2348
; %bb.2338:
	s_cmp_lt_i32 s30, 6
	s_cbranch_scc1 .LBB215_2341
; %bb.2339:
	s_cmp_gt_i32 s30, 6
	s_cbranch_scc0 .LBB215_2342
; %bb.2340:
	global_load_dwordx2 v[9:10], v[7:8], off
	s_mov_b64 s[0:1], 0
	s_waitcnt vmcnt(0)
	v_cmp_neq_f64_e64 s[22:23], 0, v[9:10]
	s_branch .LBB215_2343
.LBB215_2341:
	s_mov_b64 s[0:1], -1
                                        ; implicit-def: $sgpr22_sgpr23
	s_branch .LBB215_2346
.LBB215_2342:
	s_mov_b64 s[0:1], -1
                                        ; implicit-def: $sgpr22_sgpr23
.LBB215_2343:
	s_andn2_b64 vcc, exec, s[0:1]
	s_cbranch_vccnz .LBB215_2345
; %bb.2344:
	global_load_dword v1, v[7:8], off
	s_andn2_b64 s[0:1], s[22:23], exec
	s_waitcnt vmcnt(0)
	v_cmp_neq_f32_e32 vcc, 0, v1
	s_and_b64 s[22:23], vcc, exec
	s_or_b64 s[22:23], s[0:1], s[22:23]
.LBB215_2345:
	s_mov_b64 s[0:1], 0
.LBB215_2346:
	s_andn2_b64 vcc, exec, s[0:1]
	s_cbranch_vccnz .LBB215_2348
; %bb.2347:
	global_load_ushort v1, v[7:8], off
	s_andn2_b64 s[0:1], s[22:23], exec
	s_waitcnt vmcnt(0)
	v_and_b32_e32 v1, 0x7fff, v1
	v_cmp_ne_u16_e32 vcc, 0, v1
	s_and_b64 s[22:23], vcc, exec
	s_or_b64 s[22:23], s[0:1], s[22:23]
.LBB215_2348:
	s_mov_b64 s[0:1], 0
.LBB215_2349:
	s_andn2_b64 vcc, exec, s[0:1]
	s_cbranch_vccnz .LBB215_2369
; %bb.2350:
	s_cmp_lt_i32 s30, 2
	s_cbranch_scc1 .LBB215_2354
; %bb.2351:
	s_cmp_lt_i32 s30, 3
	s_cbranch_scc1 .LBB215_2355
; %bb.2352:
	s_cmp_gt_i32 s30, 3
	s_cbranch_scc0 .LBB215_2356
; %bb.2353:
	global_load_dwordx2 v[9:10], v[7:8], off
	s_mov_b64 s[0:1], 0
	s_waitcnt vmcnt(0)
	v_cmp_ne_u64_e64 s[22:23], 0, v[9:10]
	s_branch .LBB215_2357
.LBB215_2354:
	s_mov_b64 s[0:1], -1
                                        ; implicit-def: $sgpr22_sgpr23
	s_branch .LBB215_2363
.LBB215_2355:
	s_mov_b64 s[0:1], -1
                                        ; implicit-def: $sgpr22_sgpr23
	s_branch .LBB215_2360
.LBB215_2356:
	s_mov_b64 s[0:1], -1
                                        ; implicit-def: $sgpr22_sgpr23
.LBB215_2357:
	s_andn2_b64 vcc, exec, s[0:1]
	s_cbranch_vccnz .LBB215_2359
; %bb.2358:
	global_load_dword v1, v[7:8], off
	s_andn2_b64 s[0:1], s[22:23], exec
	s_waitcnt vmcnt(0)
	v_cmp_ne_u32_e32 vcc, 0, v1
	s_and_b64 s[22:23], vcc, exec
	s_or_b64 s[22:23], s[0:1], s[22:23]
.LBB215_2359:
	s_mov_b64 s[0:1], 0
.LBB215_2360:
	s_andn2_b64 vcc, exec, s[0:1]
	s_cbranch_vccnz .LBB215_2362
; %bb.2361:
	global_load_ushort v1, v[7:8], off
	s_andn2_b64 s[0:1], s[22:23], exec
	s_waitcnt vmcnt(0)
	v_cmp_ne_u16_e32 vcc, 0, v1
	s_and_b64 s[22:23], vcc, exec
	s_or_b64 s[22:23], s[0:1], s[22:23]
.LBB215_2362:
	s_mov_b64 s[0:1], 0
.LBB215_2363:
	s_andn2_b64 vcc, exec, s[0:1]
	s_cbranch_vccnz .LBB215_2369
; %bb.2364:
	s_cmp_gt_i32 s30, 0
	s_cbranch_scc0 .LBB215_2366
; %bb.2365:
	global_load_ubyte v1, v[7:8], off
	s_mov_b64 s[0:1], 0
	s_waitcnt vmcnt(0)
	v_cmp_ne_u16_e64 s[22:23], 0, v1
	s_branch .LBB215_2367
.LBB215_2366:
	s_mov_b64 s[0:1], -1
                                        ; implicit-def: $sgpr22_sgpr23
.LBB215_2367:
	s_andn2_b64 vcc, exec, s[0:1]
	s_cbranch_vccnz .LBB215_2369
; %bb.2368:
	global_load_ubyte v1, v[7:8], off
	s_andn2_b64 s[0:1], s[22:23], exec
	s_waitcnt vmcnt(0)
	v_cmp_ne_u16_e32 vcc, 0, v1
	s_and_b64 s[22:23], vcc, exec
	s_or_b64 s[22:23], s[0:1], s[22:23]
.LBB215_2369:
	s_mov_b64 s[28:29], -1
.LBB215_2370:
	s_andn2_b64 vcc, exec, s[28:29]
	s_cbranch_vccnz .LBB215_2804
; %bb.2371:
	s_load_dwordx2 s[0:1], s[2:3], 0x1a0
	v_mov_b32_e32 v1, s9
	v_add_co_u32_e32 v5, vcc, s8, v6
	v_addc_co_u32_e32 v6, vcc, 0, v1, vcc
	s_waitcnt lgkmcnt(0)
	s_cmp_eq_u32 s0, 0
	s_cselect_b64 s[2:3], -1, 0
	s_and_b32 s36, s1, 0xff
	s_xor_b64 s[0:1], s[6:7], s[18:19]
	s_xor_b64 s[6:7], s[2:3], s[0:1]
	s_cmp_lt_i32 s36, 11
	s_cbranch_scc1 .LBB215_2449
; %bb.2372:
	s_and_b32 s33, 0xffff, s36
	s_mov_b64 s[30:31], -1
	s_mov_b64 s[18:19], 0
	s_cmp_gt_i32 s33, 25
	s_mov_b64 s[28:29], 0
	s_mov_b64 s[0:1], 0
	s_cbranch_scc0 .LBB215_2405
; %bb.2373:
	s_cmp_gt_i32 s33, 28
	s_cbranch_scc0 .LBB215_2388
; %bb.2374:
	s_cmp_gt_i32 s33, 43
	s_cbranch_scc0 .LBB215_2384
; %bb.2375:
	s_cmp_gt_i32 s33, 45
	s_cbranch_scc0 .LBB215_2378
; %bb.2376:
	s_mov_b64 s[0:1], -1
	s_mov_b64 s[30:31], 0
	s_cmp_eq_u32 s33, 46
	s_cbranch_scc0 .LBB215_2378
; %bb.2377:
	v_cndmask_b32_e64 v1, 0, 1.0, s[6:7]
	v_bfe_u32 v3, v1, 16, 1
	s_movk_i32 s0, 0x7fff
	v_add3_u32 v1, v1, v3, s0
	v_lshrrev_b32_e32 v1, 16, v1
	global_store_dword v[5:6], v1, off
	s_mov_b64 s[0:1], 0
	s_mov_b64 s[28:29], -1
.LBB215_2378:
	s_and_b64 vcc, exec, s[30:31]
	s_cbranch_vccz .LBB215_2383
; %bb.2379:
	s_cmp_eq_u32 s33, 44
	s_mov_b64 s[0:1], -1
	s_cbranch_scc0 .LBB215_2383
; %bb.2380:
	v_cndmask_b32_e64 v3, 0, 1.0, s[6:7]
	v_lshrrev_b32_e32 v1, 23, v3
	s_movk_i32 s0, 0xff
	v_cmp_ne_u32_e32 vcc, s0, v1
	v_mov_b32_e32 v7, 0xff
	s_and_saveexec_b64 s[28:29], vcc
; %bb.2381:
	s_mov_b32 s0, 0x3fffff
	v_and_b32_e32 v7, 0x400000, v3
	v_and_or_b32 v3, v3, s0, v1
	v_cmp_ne_u32_e32 vcc, 0, v7
	v_cmp_ne_u32_e64 s[0:1], 0, v3
	s_and_b64 s[0:1], vcc, s[0:1]
	v_cndmask_b32_e64 v3, 0, 1, s[0:1]
	v_add_u32_e32 v7, v1, v3
; %bb.2382:
	s_or_b64 exec, exec, s[28:29]
	s_mov_b64 s[0:1], 0
	s_mov_b64 s[28:29], -1
	global_store_byte v[5:6], v7, off
.LBB215_2383:
	s_mov_b64 s[30:31], 0
.LBB215_2384:
	s_and_b64 vcc, exec, s[30:31]
	s_cbranch_vccz .LBB215_2387
; %bb.2385:
	s_cmp_eq_u32 s33, 29
	s_mov_b64 s[0:1], -1
	s_cbranch_scc0 .LBB215_2387
; %bb.2386:
	s_mov_b32 s0, 0
	v_cndmask_b32_e64 v7, 0, 1, s[6:7]
	v_mov_b32_e32 v8, s0
	global_store_dwordx2 v[5:6], v[7:8], off
	s_mov_b64 s[0:1], 0
	s_mov_b64 s[28:29], -1
.LBB215_2387:
	s_mov_b64 s[30:31], 0
.LBB215_2388:
	s_and_b64 vcc, exec, s[30:31]
	s_cbranch_vccz .LBB215_2404
; %bb.2389:
	s_cmp_lt_i32 s33, 27
	s_mov_b64 s[28:29], -1
	s_cbranch_scc1 .LBB215_2395
; %bb.2390:
	s_cmp_gt_i32 s33, 27
	s_cbranch_scc0 .LBB215_2392
; %bb.2391:
	v_cndmask_b32_e64 v1, 0, 1, s[6:7]
	s_mov_b64 s[28:29], 0
	global_store_dword v[5:6], v1, off
.LBB215_2392:
	s_andn2_b64 vcc, exec, s[28:29]
	s_cbranch_vccnz .LBB215_2394
; %bb.2393:
	v_cndmask_b32_e64 v1, 0, 1, s[6:7]
	global_store_short v[5:6], v1, off
.LBB215_2394:
	s_mov_b64 s[28:29], 0
.LBB215_2395:
	s_andn2_b64 vcc, exec, s[28:29]
	s_cbranch_vccnz .LBB215_2403
; %bb.2396:
	v_cndmask_b32_e64 v3, 0, 1.0, s[6:7]
	s_mov_b32 s28, 0x43800000
	v_cmp_gt_u32_e32 vcc, s28, v3
	v_mov_b32_e32 v7, 0x80
	s_and_saveexec_b64 s[28:29], vcc
	s_cbranch_execz .LBB215_2402
; %bb.2397:
	s_mov_b32 s30, 0x3bffffff
	v_cmp_lt_u32_e32 vcc, s30, v3
	s_mov_b64 s[30:31], 0
                                        ; implicit-def: $vgpr1
	s_and_saveexec_b64 s[34:35], vcc
	s_xor_b64 s[34:35], exec, s[34:35]
	s_cbranch_execz .LBB215_2851
; %bb.2398:
	v_bfe_u32 v1, v3, 20, 1
	s_mov_b32 s37, 0x487ffff
	v_add3_u32 v1, v3, v1, s37
	s_mov_b64 s[30:31], exec
	v_lshrrev_b32_e32 v1, 20, v1
                                        ; implicit-def: $vgpr3
	s_andn2_saveexec_b64 s[34:35], s[34:35]
	s_cbranch_execnz .LBB215_2852
.LBB215_2399:
	s_or_b64 exec, exec, s[34:35]
	v_mov_b32_e32 v7, 0
	s_and_saveexec_b64 s[34:35], s[30:31]
.LBB215_2400:
	v_mov_b32_e32 v7, v1
.LBB215_2401:
	s_or_b64 exec, exec, s[34:35]
.LBB215_2402:
	s_or_b64 exec, exec, s[28:29]
	global_store_byte v[5:6], v7, off
.LBB215_2403:
	s_mov_b64 s[28:29], -1
.LBB215_2404:
	s_mov_b64 s[30:31], 0
.LBB215_2405:
	s_and_b64 vcc, exec, s[30:31]
	s_cbranch_vccz .LBB215_2445
; %bb.2406:
	s_cmp_gt_i32 s33, 22
	s_mov_b64 s[18:19], -1
	s_cbranch_scc0 .LBB215_2438
; %bb.2407:
	s_cmp_lt_i32 s33, 24
	s_cbranch_scc1 .LBB215_2427
; %bb.2408:
	s_cmp_gt_i32 s33, 24
	s_cbranch_scc0 .LBB215_2416
; %bb.2409:
	v_cndmask_b32_e64 v3, 0, 1.0, s[6:7]
	s_mov_b32 s18, 0x47800000
	v_cmp_gt_u32_e32 vcc, s18, v3
	v_mov_b32_e32 v7, 0x80
	s_and_saveexec_b64 s[18:19], vcc
	s_cbranch_execz .LBB215_2415
; %bb.2410:
	s_mov_b32 s28, 0x37ffffff
	v_cmp_lt_u32_e32 vcc, s28, v3
	s_mov_b64 s[28:29], 0
                                        ; implicit-def: $vgpr1
	s_and_saveexec_b64 s[30:31], vcc
	s_xor_b64 s[30:31], exec, s[30:31]
	s_cbranch_execz .LBB215_2854
; %bb.2411:
	v_bfe_u32 v1, v3, 21, 1
	s_mov_b32 s34, 0x88fffff
	v_add3_u32 v1, v3, v1, s34
	s_mov_b64 s[28:29], exec
	v_lshrrev_b32_e32 v1, 21, v1
                                        ; implicit-def: $vgpr3
	s_andn2_saveexec_b64 s[30:31], s[30:31]
	s_cbranch_execnz .LBB215_2855
.LBB215_2412:
	s_or_b64 exec, exec, s[30:31]
	v_mov_b32_e32 v7, 0
	s_and_saveexec_b64 s[30:31], s[28:29]
.LBB215_2413:
	v_mov_b32_e32 v7, v1
.LBB215_2414:
	s_or_b64 exec, exec, s[30:31]
.LBB215_2415:
	s_or_b64 exec, exec, s[18:19]
	s_mov_b64 s[18:19], 0
	global_store_byte v[5:6], v7, off
.LBB215_2416:
	s_and_b64 vcc, exec, s[18:19]
	s_cbranch_vccz .LBB215_2426
; %bb.2417:
	v_cndmask_b32_e64 v1, 0, 1.0, s[6:7]
	s_mov_b32 s18, 0x43f00000
	v_cmp_gt_u32_e32 vcc, s18, v1
                                        ; implicit-def: $vgpr3
	s_and_saveexec_b64 s[18:19], vcc
	s_xor_b64 s[18:19], exec, s[18:19]
	s_cbranch_execz .LBB215_2423
; %bb.2418:
	s_mov_b32 s28, 0x3c7fffff
	v_cmp_lt_u32_e32 vcc, s28, v1
                                        ; implicit-def: $vgpr3
	s_and_saveexec_b64 s[28:29], vcc
	s_xor_b64 s[28:29], exec, s[28:29]
; %bb.2419:
	v_bfe_u32 v3, v1, 20, 1
	s_mov_b32 s30, 0x407ffff
	v_add3_u32 v1, v1, v3, s30
	v_lshrrev_b32_e32 v3, 20, v1
	v_and_b32_e32 v1, 0xff00000, v1
	s_mov_b32 s30, 0x7f00000
	v_mov_b32_e32 v7, 0x7e
	v_cmp_ne_u32_e32 vcc, s30, v1
	v_cndmask_b32_e32 v3, v7, v3, vcc
                                        ; implicit-def: $vgpr1
; %bb.2420:
	s_andn2_saveexec_b64 s[28:29], s[28:29]
; %bb.2421:
	v_add_f32_e32 v3, 0x46800000, v1
; %bb.2422:
	s_or_b64 exec, exec, s[28:29]
                                        ; implicit-def: $vgpr1
.LBB215_2423:
	s_andn2_saveexec_b64 s[18:19], s[18:19]
; %bb.2424:
	s_mov_b32 s28, 0x7f800000
	v_mov_b32_e32 v3, 0x7e
	v_mov_b32_e32 v7, 0x7f
	v_cmp_lt_u32_e32 vcc, s28, v1
	v_cndmask_b32_e32 v3, v3, v7, vcc
; %bb.2425:
	s_or_b64 exec, exec, s[18:19]
	global_store_byte v[5:6], v3, off
.LBB215_2426:
	s_mov_b64 s[18:19], 0
.LBB215_2427:
	s_andn2_b64 vcc, exec, s[18:19]
	s_cbranch_vccnz .LBB215_2437
; %bb.2428:
	v_cndmask_b32_e64 v1, 0, 1.0, s[6:7]
	s_mov_b32 s18, 0x47800000
	v_cmp_gt_u32_e32 vcc, s18, v1
                                        ; implicit-def: $vgpr3
	s_and_saveexec_b64 s[18:19], vcc
	s_xor_b64 s[18:19], exec, s[18:19]
	s_cbranch_execz .LBB215_2434
; %bb.2429:
	s_mov_b32 s28, 0x387fffff
	v_cmp_lt_u32_e32 vcc, s28, v1
                                        ; implicit-def: $vgpr3
	s_and_saveexec_b64 s[28:29], vcc
	s_xor_b64 s[28:29], exec, s[28:29]
; %bb.2430:
	v_bfe_u32 v3, v1, 21, 1
	s_mov_b32 s30, 0x80fffff
	v_add3_u32 v1, v1, v3, s30
	v_lshrrev_b32_e32 v3, 21, v1
                                        ; implicit-def: $vgpr1
; %bb.2431:
	s_andn2_saveexec_b64 s[28:29], s[28:29]
; %bb.2432:
	v_add_f32_e32 v3, 0x43000000, v1
; %bb.2433:
	s_or_b64 exec, exec, s[28:29]
                                        ; implicit-def: $vgpr1
.LBB215_2434:
	s_andn2_saveexec_b64 s[18:19], s[18:19]
; %bb.2435:
	s_mov_b32 s28, 0x7f800000
	v_mov_b32_e32 v3, 0x7c
	v_mov_b32_e32 v7, 0x7f
	v_cmp_lt_u32_e32 vcc, s28, v1
	v_cndmask_b32_e32 v3, v3, v7, vcc
; %bb.2436:
	s_or_b64 exec, exec, s[18:19]
	global_store_byte v[5:6], v3, off
.LBB215_2437:
	s_mov_b64 s[18:19], 0
	s_mov_b64 s[28:29], -1
.LBB215_2438:
	s_andn2_b64 vcc, exec, s[18:19]
	s_mov_b64 s[18:19], 0
	s_cbranch_vccnz .LBB215_2445
; %bb.2439:
	s_cmp_gt_i32 s33, 14
	s_mov_b64 s[30:31], -1
	s_cbranch_scc0 .LBB215_2443
; %bb.2440:
	s_cmp_eq_u32 s33, 15
	s_mov_b64 s[0:1], -1
	s_cbranch_scc0 .LBB215_2442
; %bb.2441:
	v_cndmask_b32_e64 v1, 0, 1.0, s[6:7]
	v_bfe_u32 v3, v1, 16, 1
	s_movk_i32 s0, 0x7fff
	v_add3_u32 v1, v1, v3, s0
	global_store_short_d16_hi v[5:6], v1, off
	s_mov_b64 s[0:1], 0
	s_mov_b64 s[28:29], -1
.LBB215_2442:
	s_mov_b64 s[30:31], 0
.LBB215_2443:
	s_and_b64 vcc, exec, s[30:31]
	s_cbranch_vccz .LBB215_2445
; %bb.2444:
	s_cmp_lg_u32 s33, 11
	s_mov_b64 s[18:19], -1
	s_cselect_b64 s[0:1], -1, 0
.LBB215_2445:
	s_and_b64 vcc, exec, s[0:1]
	s_cbranch_vccnz .LBB215_2853
; %bb.2446:
	s_andn2_b64 vcc, exec, s[18:19]
	s_cbranch_vccnz .LBB215_2448
.LBB215_2447:
	v_cndmask_b32_e64 v1, 0, 1, s[6:7]
	s_mov_b64 s[28:29], -1
	global_store_byte v[5:6], v1, off
.LBB215_2448:
	s_mov_b64 s[0:1], 0
	s_branch .LBB215_2450
.LBB215_2449:
	s_mov_b64 s[0:1], -1
	s_mov_b64 s[28:29], 0
.LBB215_2450:
	s_and_b64 vcc, exec, s[0:1]
	s_cbranch_vccz .LBB215_2489
; %bb.2451:
	s_and_b32 s18, 0xffff, s36
	s_cmp_lt_i32 s18, 5
	s_mov_b64 s[0:1], -1
	s_cbranch_scc1 .LBB215_2472
; %bb.2452:
	s_cmp_lt_i32 s18, 8
	s_cbranch_scc1 .LBB215_2462
; %bb.2453:
	s_cmp_lt_i32 s18, 9
	s_cbranch_scc1 .LBB215_2459
; %bb.2454:
	s_cmp_gt_i32 s18, 9
	s_cbranch_scc0 .LBB215_2456
; %bb.2455:
	v_cndmask_b32_e64 v1, 0, 1, s[6:7]
	v_cvt_f64_u32_e32 v[7:8], v1
	v_mov_b32_e32 v9, 0
	v_mov_b32_e32 v10, v9
	s_mov_b64 s[0:1], 0
	global_store_dwordx4 v[5:6], v[7:10], off
.LBB215_2456:
	s_andn2_b64 vcc, exec, s[0:1]
	s_cbranch_vccnz .LBB215_2458
; %bb.2457:
	v_cndmask_b32_e64 v7, 0, 1.0, s[6:7]
	v_mov_b32_e32 v8, 0
	global_store_dwordx2 v[5:6], v[7:8], off
.LBB215_2458:
	s_mov_b64 s[0:1], 0
.LBB215_2459:
	s_andn2_b64 vcc, exec, s[0:1]
	s_cbranch_vccnz .LBB215_2461
; %bb.2460:
	v_cndmask_b32_e64 v1, 0, 1.0, s[6:7]
	v_cvt_f16_f32_e32 v1, v1
	global_store_dword v[5:6], v1, off
.LBB215_2461:
	s_mov_b64 s[0:1], 0
.LBB215_2462:
	s_andn2_b64 vcc, exec, s[0:1]
	s_cbranch_vccnz .LBB215_2471
; %bb.2463:
	s_cmp_lt_i32 s18, 6
	s_mov_b64 s[0:1], -1
	s_cbranch_scc1 .LBB215_2469
; %bb.2464:
	s_cmp_gt_i32 s18, 6
	s_cbranch_scc0 .LBB215_2466
; %bb.2465:
	v_cndmask_b32_e64 v1, 0, 1, s[6:7]
	v_cvt_f64_u32_e32 v[7:8], v1
	s_mov_b64 s[0:1], 0
	global_store_dwordx2 v[5:6], v[7:8], off
.LBB215_2466:
	s_andn2_b64 vcc, exec, s[0:1]
	s_cbranch_vccnz .LBB215_2468
; %bb.2467:
	v_cndmask_b32_e64 v1, 0, 1.0, s[6:7]
	global_store_dword v[5:6], v1, off
.LBB215_2468:
	s_mov_b64 s[0:1], 0
.LBB215_2469:
	s_andn2_b64 vcc, exec, s[0:1]
	s_cbranch_vccnz .LBB215_2471
; %bb.2470:
	v_cndmask_b32_e64 v1, 0, 1.0, s[6:7]
	v_cvt_f16_f32_e32 v1, v1
	global_store_short v[5:6], v1, off
.LBB215_2471:
	s_mov_b64 s[0:1], 0
.LBB215_2472:
	s_andn2_b64 vcc, exec, s[0:1]
	s_cbranch_vccnz .LBB215_2488
; %bb.2473:
	s_cmp_lt_i32 s18, 2
	s_mov_b64 s[0:1], -1
	s_cbranch_scc1 .LBB215_2483
; %bb.2474:
	s_cmp_lt_i32 s18, 3
	s_cbranch_scc1 .LBB215_2480
; %bb.2475:
	s_cmp_gt_i32 s18, 3
	s_cbranch_scc0 .LBB215_2477
; %bb.2476:
	s_mov_b32 s0, 0
	v_cndmask_b32_e64 v7, 0, 1, s[6:7]
	v_mov_b32_e32 v8, s0
	global_store_dwordx2 v[5:6], v[7:8], off
	s_mov_b64 s[0:1], 0
.LBB215_2477:
	s_andn2_b64 vcc, exec, s[0:1]
	s_cbranch_vccnz .LBB215_2479
; %bb.2478:
	v_cndmask_b32_e64 v1, 0, 1, s[6:7]
	global_store_dword v[5:6], v1, off
.LBB215_2479:
	s_mov_b64 s[0:1], 0
.LBB215_2480:
	s_andn2_b64 vcc, exec, s[0:1]
	s_cbranch_vccnz .LBB215_2482
; %bb.2481:
	v_cndmask_b32_e64 v1, 0, 1, s[6:7]
	global_store_short v[5:6], v1, off
.LBB215_2482:
	s_mov_b64 s[0:1], 0
.LBB215_2483:
	s_andn2_b64 vcc, exec, s[0:1]
	s_cbranch_vccnz .LBB215_2488
; %bb.2484:
	s_mov_b64 s[0:1], -1
	s_cmp_gt_i32 s18, 0
	v_cndmask_b32_e64 v1, 0, 1, s[6:7]
	s_cbranch_scc0 .LBB215_2486
; %bb.2485:
	global_store_byte v[5:6], v1, off
	s_mov_b64 s[0:1], 0
.LBB215_2486:
	s_andn2_b64 vcc, exec, s[0:1]
	s_cbranch_vccnz .LBB215_2488
; %bb.2487:
	global_store_byte v[5:6], v1, off
.LBB215_2488:
	s_mov_b64 s[28:29], -1
.LBB215_2489:
	s_andn2_b64 vcc, exec, s[28:29]
	s_cbranch_vccnz .LBB215_2804
; %bb.2490:
	s_xor_b64 s[0:1], s[16:17], s[24:25]
	s_xor_b64 s[6:7], s[2:3], s[0:1]
	v_mov_b32_e32 v1, s9
	s_and_b32 s30, 0xffff, s36
	v_add_co_u32_e32 v3, vcc, s8, v4
	s_cmp_lt_i32 s30, 11
	v_addc_co_u32_e32 v4, vcc, 0, v1, vcc
	s_cbranch_scc1 .LBB215_2568
; %bb.2491:
	s_mov_b64 s[24:25], -1
	s_mov_b64 s[16:17], 0
	s_cmp_gt_i32 s30, 25
	s_mov_b64 s[18:19], 0
	s_mov_b64 s[0:1], 0
	s_cbranch_scc0 .LBB215_2524
; %bb.2492:
	s_cmp_gt_i32 s30, 28
	s_cbranch_scc0 .LBB215_2507
; %bb.2493:
	s_cmp_gt_i32 s30, 43
	s_cbranch_scc0 .LBB215_2503
; %bb.2494:
	s_cmp_gt_i32 s30, 45
	s_cbranch_scc0 .LBB215_2497
; %bb.2495:
	s_mov_b64 s[0:1], -1
	s_mov_b64 s[24:25], 0
	s_cmp_eq_u32 s30, 46
	s_cbranch_scc0 .LBB215_2497
; %bb.2496:
	v_cndmask_b32_e64 v1, 0, 1.0, s[6:7]
	v_bfe_u32 v5, v1, 16, 1
	s_movk_i32 s0, 0x7fff
	v_add3_u32 v1, v1, v5, s0
	v_lshrrev_b32_e32 v1, 16, v1
	global_store_dword v[3:4], v1, off
	s_mov_b64 s[0:1], 0
	s_mov_b64 s[18:19], -1
.LBB215_2497:
	s_and_b64 vcc, exec, s[24:25]
	s_cbranch_vccz .LBB215_2502
; %bb.2498:
	s_cmp_eq_u32 s30, 44
	s_mov_b64 s[0:1], -1
	s_cbranch_scc0 .LBB215_2502
; %bb.2499:
	v_cndmask_b32_e64 v5, 0, 1.0, s[6:7]
	v_lshrrev_b32_e32 v1, 23, v5
	s_movk_i32 s0, 0xff
	v_cmp_ne_u32_e32 vcc, s0, v1
	v_mov_b32_e32 v6, 0xff
	s_and_saveexec_b64 s[18:19], vcc
; %bb.2500:
	s_mov_b32 s0, 0x3fffff
	v_and_b32_e32 v6, 0x400000, v5
	v_and_or_b32 v5, v5, s0, v1
	v_cmp_ne_u32_e32 vcc, 0, v6
	v_cmp_ne_u32_e64 s[0:1], 0, v5
	s_and_b64 s[0:1], vcc, s[0:1]
	v_cndmask_b32_e64 v5, 0, 1, s[0:1]
	v_add_u32_e32 v6, v1, v5
; %bb.2501:
	s_or_b64 exec, exec, s[18:19]
	s_mov_b64 s[0:1], 0
	s_mov_b64 s[18:19], -1
	global_store_byte v[3:4], v6, off
.LBB215_2502:
	s_mov_b64 s[24:25], 0
.LBB215_2503:
	s_and_b64 vcc, exec, s[24:25]
	s_cbranch_vccz .LBB215_2506
; %bb.2504:
	s_cmp_eq_u32 s30, 29
	s_mov_b64 s[0:1], -1
	s_cbranch_scc0 .LBB215_2506
; %bb.2505:
	s_mov_b32 s0, 0
	v_cndmask_b32_e64 v5, 0, 1, s[6:7]
	v_mov_b32_e32 v6, s0
	global_store_dwordx2 v[3:4], v[5:6], off
	s_mov_b64 s[0:1], 0
	s_mov_b64 s[18:19], -1
.LBB215_2506:
	s_mov_b64 s[24:25], 0
.LBB215_2507:
	s_and_b64 vcc, exec, s[24:25]
	s_cbranch_vccz .LBB215_2523
; %bb.2508:
	s_cmp_lt_i32 s30, 27
	s_mov_b64 s[18:19], -1
	s_cbranch_scc1 .LBB215_2514
; %bb.2509:
	s_cmp_gt_i32 s30, 27
	s_cbranch_scc0 .LBB215_2511
; %bb.2510:
	v_cndmask_b32_e64 v1, 0, 1, s[6:7]
	s_mov_b64 s[18:19], 0
	global_store_dword v[3:4], v1, off
.LBB215_2511:
	s_andn2_b64 vcc, exec, s[18:19]
	s_cbranch_vccnz .LBB215_2513
; %bb.2512:
	v_cndmask_b32_e64 v1, 0, 1, s[6:7]
	global_store_short v[3:4], v1, off
.LBB215_2513:
	s_mov_b64 s[18:19], 0
.LBB215_2514:
	s_andn2_b64 vcc, exec, s[18:19]
	s_cbranch_vccnz .LBB215_2522
; %bb.2515:
	v_cndmask_b32_e64 v5, 0, 1.0, s[6:7]
	s_mov_b32 s18, 0x43800000
	v_cmp_gt_u32_e32 vcc, s18, v5
	v_mov_b32_e32 v6, 0x80
	s_and_saveexec_b64 s[18:19], vcc
	s_cbranch_execz .LBB215_2521
; %bb.2516:
	s_mov_b32 s24, 0x3bffffff
	v_cmp_lt_u32_e32 vcc, s24, v5
	s_mov_b64 s[24:25], 0
                                        ; implicit-def: $vgpr1
	s_and_saveexec_b64 s[28:29], vcc
	s_xor_b64 s[28:29], exec, s[28:29]
	s_cbranch_execz .LBB215_2856
; %bb.2517:
	v_bfe_u32 v1, v5, 20, 1
	s_mov_b32 s31, 0x487ffff
	v_add3_u32 v1, v5, v1, s31
	s_mov_b64 s[24:25], exec
	v_lshrrev_b32_e32 v1, 20, v1
                                        ; implicit-def: $vgpr5
	s_andn2_saveexec_b64 s[28:29], s[28:29]
	s_cbranch_execnz .LBB215_2857
.LBB215_2518:
	s_or_b64 exec, exec, s[28:29]
	v_mov_b32_e32 v6, 0
	s_and_saveexec_b64 s[28:29], s[24:25]
.LBB215_2519:
	v_mov_b32_e32 v6, v1
.LBB215_2520:
	s_or_b64 exec, exec, s[28:29]
.LBB215_2521:
	s_or_b64 exec, exec, s[18:19]
	global_store_byte v[3:4], v6, off
.LBB215_2522:
	s_mov_b64 s[18:19], -1
.LBB215_2523:
	s_mov_b64 s[24:25], 0
.LBB215_2524:
	s_and_b64 vcc, exec, s[24:25]
	s_cbranch_vccz .LBB215_2564
; %bb.2525:
	s_cmp_gt_i32 s30, 22
	s_mov_b64 s[16:17], -1
	s_cbranch_scc0 .LBB215_2557
; %bb.2526:
	s_cmp_lt_i32 s30, 24
	s_cbranch_scc1 .LBB215_2546
; %bb.2527:
	s_cmp_gt_i32 s30, 24
	s_cbranch_scc0 .LBB215_2535
; %bb.2528:
	v_cndmask_b32_e64 v5, 0, 1.0, s[6:7]
	s_mov_b32 s16, 0x47800000
	v_cmp_gt_u32_e32 vcc, s16, v5
	v_mov_b32_e32 v6, 0x80
	s_and_saveexec_b64 s[16:17], vcc
	s_cbranch_execz .LBB215_2534
; %bb.2529:
	s_mov_b32 s18, 0x37ffffff
	v_cmp_lt_u32_e32 vcc, s18, v5
	s_mov_b64 s[18:19], 0
                                        ; implicit-def: $vgpr1
	s_and_saveexec_b64 s[24:25], vcc
	s_xor_b64 s[24:25], exec, s[24:25]
	s_cbranch_execz .LBB215_2859
; %bb.2530:
	v_bfe_u32 v1, v5, 21, 1
	s_mov_b32 s28, 0x88fffff
	v_add3_u32 v1, v5, v1, s28
	s_mov_b64 s[18:19], exec
	v_lshrrev_b32_e32 v1, 21, v1
                                        ; implicit-def: $vgpr5
	s_andn2_saveexec_b64 s[24:25], s[24:25]
	s_cbranch_execnz .LBB215_2860
.LBB215_2531:
	s_or_b64 exec, exec, s[24:25]
	v_mov_b32_e32 v6, 0
	s_and_saveexec_b64 s[24:25], s[18:19]
.LBB215_2532:
	v_mov_b32_e32 v6, v1
.LBB215_2533:
	s_or_b64 exec, exec, s[24:25]
.LBB215_2534:
	s_or_b64 exec, exec, s[16:17]
	s_mov_b64 s[16:17], 0
	global_store_byte v[3:4], v6, off
.LBB215_2535:
	s_and_b64 vcc, exec, s[16:17]
	s_cbranch_vccz .LBB215_2545
; %bb.2536:
	v_cndmask_b32_e64 v1, 0, 1.0, s[6:7]
	s_mov_b32 s16, 0x43f00000
	v_cmp_gt_u32_e32 vcc, s16, v1
                                        ; implicit-def: $vgpr5
	s_and_saveexec_b64 s[16:17], vcc
	s_xor_b64 s[16:17], exec, s[16:17]
	s_cbranch_execz .LBB215_2542
; %bb.2537:
	s_mov_b32 s18, 0x3c7fffff
	v_cmp_lt_u32_e32 vcc, s18, v1
                                        ; implicit-def: $vgpr5
	s_and_saveexec_b64 s[18:19], vcc
	s_xor_b64 s[18:19], exec, s[18:19]
; %bb.2538:
	v_bfe_u32 v5, v1, 20, 1
	s_mov_b32 s24, 0x407ffff
	v_add3_u32 v1, v1, v5, s24
	v_lshrrev_b32_e32 v5, 20, v1
	v_and_b32_e32 v1, 0xff00000, v1
	s_mov_b32 s24, 0x7f00000
	v_mov_b32_e32 v6, 0x7e
	v_cmp_ne_u32_e32 vcc, s24, v1
	v_cndmask_b32_e32 v5, v6, v5, vcc
                                        ; implicit-def: $vgpr1
; %bb.2539:
	s_andn2_saveexec_b64 s[18:19], s[18:19]
; %bb.2540:
	v_add_f32_e32 v5, 0x46800000, v1
; %bb.2541:
	s_or_b64 exec, exec, s[18:19]
                                        ; implicit-def: $vgpr1
.LBB215_2542:
	s_andn2_saveexec_b64 s[16:17], s[16:17]
; %bb.2543:
	s_mov_b32 s18, 0x7f800000
	v_mov_b32_e32 v5, 0x7e
	v_mov_b32_e32 v6, 0x7f
	v_cmp_lt_u32_e32 vcc, s18, v1
	v_cndmask_b32_e32 v5, v5, v6, vcc
; %bb.2544:
	s_or_b64 exec, exec, s[16:17]
	global_store_byte v[3:4], v5, off
.LBB215_2545:
	s_mov_b64 s[16:17], 0
.LBB215_2546:
	s_andn2_b64 vcc, exec, s[16:17]
	s_cbranch_vccnz .LBB215_2556
; %bb.2547:
	v_cndmask_b32_e64 v1, 0, 1.0, s[6:7]
	s_mov_b32 s16, 0x47800000
	v_cmp_gt_u32_e32 vcc, s16, v1
                                        ; implicit-def: $vgpr5
	s_and_saveexec_b64 s[16:17], vcc
	s_xor_b64 s[16:17], exec, s[16:17]
	s_cbranch_execz .LBB215_2553
; %bb.2548:
	s_mov_b32 s18, 0x387fffff
	v_cmp_lt_u32_e32 vcc, s18, v1
                                        ; implicit-def: $vgpr5
	s_and_saveexec_b64 s[18:19], vcc
	s_xor_b64 s[18:19], exec, s[18:19]
; %bb.2549:
	v_bfe_u32 v5, v1, 21, 1
	s_mov_b32 s24, 0x80fffff
	v_add3_u32 v1, v1, v5, s24
	v_lshrrev_b32_e32 v5, 21, v1
                                        ; implicit-def: $vgpr1
; %bb.2550:
	s_andn2_saveexec_b64 s[18:19], s[18:19]
; %bb.2551:
	v_add_f32_e32 v5, 0x43000000, v1
; %bb.2552:
	s_or_b64 exec, exec, s[18:19]
                                        ; implicit-def: $vgpr1
.LBB215_2553:
	s_andn2_saveexec_b64 s[16:17], s[16:17]
; %bb.2554:
	s_mov_b32 s18, 0x7f800000
	v_mov_b32_e32 v5, 0x7c
	v_mov_b32_e32 v6, 0x7f
	v_cmp_lt_u32_e32 vcc, s18, v1
	v_cndmask_b32_e32 v5, v5, v6, vcc
; %bb.2555:
	s_or_b64 exec, exec, s[16:17]
	global_store_byte v[3:4], v5, off
.LBB215_2556:
	s_mov_b64 s[16:17], 0
	s_mov_b64 s[18:19], -1
.LBB215_2557:
	s_andn2_b64 vcc, exec, s[16:17]
	s_mov_b64 s[16:17], 0
	s_cbranch_vccnz .LBB215_2564
; %bb.2558:
	s_cmp_gt_i32 s30, 14
	s_mov_b64 s[24:25], -1
	s_cbranch_scc0 .LBB215_2562
; %bb.2559:
	s_cmp_eq_u32 s30, 15
	s_mov_b64 s[0:1], -1
	s_cbranch_scc0 .LBB215_2561
; %bb.2560:
	v_cndmask_b32_e64 v1, 0, 1.0, s[6:7]
	v_bfe_u32 v5, v1, 16, 1
	s_movk_i32 s0, 0x7fff
	v_add3_u32 v1, v1, v5, s0
	global_store_short_d16_hi v[3:4], v1, off
	s_mov_b64 s[0:1], 0
	s_mov_b64 s[18:19], -1
.LBB215_2561:
	s_mov_b64 s[24:25], 0
.LBB215_2562:
	s_and_b64 vcc, exec, s[24:25]
	s_cbranch_vccz .LBB215_2564
; %bb.2563:
	s_cmp_lg_u32 s30, 11
	s_mov_b64 s[16:17], -1
	s_cselect_b64 s[0:1], -1, 0
.LBB215_2564:
	s_and_b64 vcc, exec, s[0:1]
	s_cbranch_vccnz .LBB215_2858
; %bb.2565:
	s_andn2_b64 vcc, exec, s[16:17]
	s_cbranch_vccnz .LBB215_2567
.LBB215_2566:
	v_cndmask_b32_e64 v1, 0, 1, s[6:7]
	s_mov_b64 s[18:19], -1
	global_store_byte v[3:4], v1, off
.LBB215_2567:
	s_mov_b64 s[0:1], 0
	s_branch .LBB215_2569
.LBB215_2568:
	s_mov_b64 s[0:1], -1
	s_mov_b64 s[18:19], 0
.LBB215_2569:
	s_and_b64 vcc, exec, s[0:1]
	s_cbranch_vccz .LBB215_2608
; %bb.2570:
	s_cmp_lt_i32 s30, 5
	s_mov_b64 s[0:1], -1
	s_cbranch_scc1 .LBB215_2591
; %bb.2571:
	s_cmp_lt_i32 s30, 8
	s_cbranch_scc1 .LBB215_2581
; %bb.2572:
	s_cmp_lt_i32 s30, 9
	s_cbranch_scc1 .LBB215_2578
; %bb.2573:
	s_cmp_gt_i32 s30, 9
	s_cbranch_scc0 .LBB215_2575
; %bb.2574:
	v_cndmask_b32_e64 v1, 0, 1, s[6:7]
	v_cvt_f64_u32_e32 v[5:6], v1
	v_mov_b32_e32 v7, 0
	v_mov_b32_e32 v8, v7
	s_mov_b64 s[0:1], 0
	global_store_dwordx4 v[3:4], v[5:8], off
.LBB215_2575:
	s_andn2_b64 vcc, exec, s[0:1]
	s_cbranch_vccnz .LBB215_2577
; %bb.2576:
	v_cndmask_b32_e64 v5, 0, 1.0, s[6:7]
	v_mov_b32_e32 v6, 0
	global_store_dwordx2 v[3:4], v[5:6], off
.LBB215_2577:
	s_mov_b64 s[0:1], 0
.LBB215_2578:
	s_andn2_b64 vcc, exec, s[0:1]
	s_cbranch_vccnz .LBB215_2580
; %bb.2579:
	v_cndmask_b32_e64 v1, 0, 1.0, s[6:7]
	v_cvt_f16_f32_e32 v1, v1
	global_store_dword v[3:4], v1, off
.LBB215_2580:
	s_mov_b64 s[0:1], 0
.LBB215_2581:
	s_andn2_b64 vcc, exec, s[0:1]
	s_cbranch_vccnz .LBB215_2590
; %bb.2582:
	s_cmp_lt_i32 s30, 6
	s_mov_b64 s[0:1], -1
	s_cbranch_scc1 .LBB215_2588
; %bb.2583:
	s_cmp_gt_i32 s30, 6
	s_cbranch_scc0 .LBB215_2585
; %bb.2584:
	v_cndmask_b32_e64 v1, 0, 1, s[6:7]
	v_cvt_f64_u32_e32 v[5:6], v1
	s_mov_b64 s[0:1], 0
	global_store_dwordx2 v[3:4], v[5:6], off
.LBB215_2585:
	s_andn2_b64 vcc, exec, s[0:1]
	s_cbranch_vccnz .LBB215_2587
; %bb.2586:
	v_cndmask_b32_e64 v1, 0, 1.0, s[6:7]
	global_store_dword v[3:4], v1, off
.LBB215_2587:
	s_mov_b64 s[0:1], 0
.LBB215_2588:
	s_andn2_b64 vcc, exec, s[0:1]
	s_cbranch_vccnz .LBB215_2590
; %bb.2589:
	v_cndmask_b32_e64 v1, 0, 1.0, s[6:7]
	v_cvt_f16_f32_e32 v1, v1
	global_store_short v[3:4], v1, off
.LBB215_2590:
	s_mov_b64 s[0:1], 0
.LBB215_2591:
	s_andn2_b64 vcc, exec, s[0:1]
	s_cbranch_vccnz .LBB215_2607
; %bb.2592:
	s_cmp_lt_i32 s30, 2
	s_mov_b64 s[0:1], -1
	s_cbranch_scc1 .LBB215_2602
; %bb.2593:
	s_cmp_lt_i32 s30, 3
	s_cbranch_scc1 .LBB215_2599
; %bb.2594:
	s_cmp_gt_i32 s30, 3
	s_cbranch_scc0 .LBB215_2596
; %bb.2595:
	s_mov_b32 s0, 0
	v_cndmask_b32_e64 v5, 0, 1, s[6:7]
	v_mov_b32_e32 v6, s0
	global_store_dwordx2 v[3:4], v[5:6], off
	s_mov_b64 s[0:1], 0
.LBB215_2596:
	s_andn2_b64 vcc, exec, s[0:1]
	s_cbranch_vccnz .LBB215_2598
; %bb.2597:
	v_cndmask_b32_e64 v1, 0, 1, s[6:7]
	global_store_dword v[3:4], v1, off
.LBB215_2598:
	s_mov_b64 s[0:1], 0
.LBB215_2599:
	s_andn2_b64 vcc, exec, s[0:1]
	s_cbranch_vccnz .LBB215_2601
; %bb.2600:
	v_cndmask_b32_e64 v1, 0, 1, s[6:7]
	global_store_short v[3:4], v1, off
.LBB215_2601:
	s_mov_b64 s[0:1], 0
.LBB215_2602:
	s_andn2_b64 vcc, exec, s[0:1]
	s_cbranch_vccnz .LBB215_2607
; %bb.2603:
	s_mov_b64 s[0:1], -1
	s_cmp_gt_i32 s30, 0
	v_cndmask_b32_e64 v1, 0, 1, s[6:7]
	s_cbranch_scc0 .LBB215_2605
; %bb.2604:
	global_store_byte v[3:4], v1, off
	s_mov_b64 s[0:1], 0
.LBB215_2605:
	s_andn2_b64 vcc, exec, s[0:1]
	s_cbranch_vccnz .LBB215_2607
; %bb.2606:
	global_store_byte v[3:4], v1, off
.LBB215_2607:
	s_mov_b64 s[18:19], -1
.LBB215_2608:
	s_andn2_b64 vcc, exec, s[18:19]
	s_cbranch_vccnz .LBB215_2804
; %bb.2609:
	s_xor_b64 s[0:1], s[20:21], s[26:27]
	s_xor_b64 s[6:7], s[2:3], s[0:1]
	v_mov_b32_e32 v3, s9
	v_add_co_u32_e32 v1, vcc, s8, v2
	s_cmp_lt_i32 s30, 11
	v_addc_co_u32_e32 v2, vcc, 0, v3, vcc
	s_cbranch_scc1 .LBB215_2687
; %bb.2610:
	s_mov_b64 s[20:21], -1
	s_mov_b64 s[16:17], 0
	s_cmp_gt_i32 s30, 25
	s_mov_b64 s[18:19], 0
	s_mov_b64 s[0:1], 0
	s_cbranch_scc0 .LBB215_2643
; %bb.2611:
	s_cmp_gt_i32 s30, 28
	s_cbranch_scc0 .LBB215_2626
; %bb.2612:
	s_cmp_gt_i32 s30, 43
	;; [unrolled: 3-line block ×3, first 2 shown]
	s_cbranch_scc0 .LBB215_2616
; %bb.2614:
	s_mov_b64 s[0:1], -1
	s_mov_b64 s[20:21], 0
	s_cmp_eq_u32 s30, 46
	s_cbranch_scc0 .LBB215_2616
; %bb.2615:
	v_cndmask_b32_e64 v3, 0, 1.0, s[6:7]
	v_bfe_u32 v4, v3, 16, 1
	s_movk_i32 s0, 0x7fff
	v_add3_u32 v3, v3, v4, s0
	v_lshrrev_b32_e32 v3, 16, v3
	global_store_dword v[1:2], v3, off
	s_mov_b64 s[0:1], 0
	s_mov_b64 s[18:19], -1
.LBB215_2616:
	s_and_b64 vcc, exec, s[20:21]
	s_cbranch_vccz .LBB215_2621
; %bb.2617:
	s_cmp_eq_u32 s30, 44
	s_mov_b64 s[0:1], -1
	s_cbranch_scc0 .LBB215_2621
; %bb.2618:
	v_cndmask_b32_e64 v4, 0, 1.0, s[6:7]
	v_lshrrev_b32_e32 v3, 23, v4
	s_movk_i32 s0, 0xff
	v_cmp_ne_u32_e32 vcc, s0, v3
	v_mov_b32_e32 v5, 0xff
	s_and_saveexec_b64 s[18:19], vcc
; %bb.2619:
	s_mov_b32 s0, 0x3fffff
	v_and_b32_e32 v5, 0x400000, v4
	v_and_or_b32 v4, v4, s0, v3
	v_cmp_ne_u32_e32 vcc, 0, v5
	v_cmp_ne_u32_e64 s[0:1], 0, v4
	s_and_b64 s[0:1], vcc, s[0:1]
	v_cndmask_b32_e64 v4, 0, 1, s[0:1]
	v_add_u32_e32 v5, v3, v4
; %bb.2620:
	s_or_b64 exec, exec, s[18:19]
	s_mov_b64 s[0:1], 0
	s_mov_b64 s[18:19], -1
	global_store_byte v[1:2], v5, off
.LBB215_2621:
	s_mov_b64 s[20:21], 0
.LBB215_2622:
	s_and_b64 vcc, exec, s[20:21]
	s_cbranch_vccz .LBB215_2625
; %bb.2623:
	s_cmp_eq_u32 s30, 29
	s_mov_b64 s[0:1], -1
	s_cbranch_scc0 .LBB215_2625
; %bb.2624:
	s_mov_b32 s0, 0
	v_cndmask_b32_e64 v3, 0, 1, s[6:7]
	v_mov_b32_e32 v4, s0
	global_store_dwordx2 v[1:2], v[3:4], off
	s_mov_b64 s[0:1], 0
	s_mov_b64 s[18:19], -1
.LBB215_2625:
	s_mov_b64 s[20:21], 0
.LBB215_2626:
	s_and_b64 vcc, exec, s[20:21]
	s_cbranch_vccz .LBB215_2642
; %bb.2627:
	s_cmp_lt_i32 s30, 27
	s_mov_b64 s[18:19], -1
	s_cbranch_scc1 .LBB215_2633
; %bb.2628:
	s_cmp_gt_i32 s30, 27
	s_cbranch_scc0 .LBB215_2630
; %bb.2629:
	v_cndmask_b32_e64 v3, 0, 1, s[6:7]
	s_mov_b64 s[18:19], 0
	global_store_dword v[1:2], v3, off
.LBB215_2630:
	s_andn2_b64 vcc, exec, s[18:19]
	s_cbranch_vccnz .LBB215_2632
; %bb.2631:
	v_cndmask_b32_e64 v3, 0, 1, s[6:7]
	global_store_short v[1:2], v3, off
.LBB215_2632:
	s_mov_b64 s[18:19], 0
.LBB215_2633:
	s_andn2_b64 vcc, exec, s[18:19]
	s_cbranch_vccnz .LBB215_2641
; %bb.2634:
	v_cndmask_b32_e64 v4, 0, 1.0, s[6:7]
	s_mov_b32 s18, 0x43800000
	v_cmp_gt_u32_e32 vcc, s18, v4
	v_mov_b32_e32 v5, 0x80
	s_and_saveexec_b64 s[18:19], vcc
	s_cbranch_execz .LBB215_2640
; %bb.2635:
	s_mov_b32 s20, 0x3bffffff
	v_cmp_lt_u32_e32 vcc, s20, v4
	s_mov_b64 s[20:21], 0
                                        ; implicit-def: $vgpr3
	s_and_saveexec_b64 s[24:25], vcc
	s_xor_b64 s[24:25], exec, s[24:25]
	s_cbranch_execz .LBB215_2861
; %bb.2636:
	v_bfe_u32 v3, v4, 20, 1
	s_mov_b32 s26, 0x487ffff
	v_add3_u32 v3, v4, v3, s26
	s_mov_b64 s[20:21], exec
	v_lshrrev_b32_e32 v3, 20, v3
                                        ; implicit-def: $vgpr4
	s_andn2_saveexec_b64 s[24:25], s[24:25]
	s_cbranch_execnz .LBB215_2862
.LBB215_2637:
	s_or_b64 exec, exec, s[24:25]
	v_mov_b32_e32 v5, 0
	s_and_saveexec_b64 s[24:25], s[20:21]
.LBB215_2638:
	v_mov_b32_e32 v5, v3
.LBB215_2639:
	s_or_b64 exec, exec, s[24:25]
.LBB215_2640:
	s_or_b64 exec, exec, s[18:19]
	global_store_byte v[1:2], v5, off
.LBB215_2641:
	s_mov_b64 s[18:19], -1
.LBB215_2642:
	s_mov_b64 s[20:21], 0
.LBB215_2643:
	s_and_b64 vcc, exec, s[20:21]
	s_cbranch_vccz .LBB215_2683
; %bb.2644:
	s_cmp_gt_i32 s30, 22
	s_mov_b64 s[16:17], -1
	s_cbranch_scc0 .LBB215_2676
; %bb.2645:
	s_cmp_lt_i32 s30, 24
	s_cbranch_scc1 .LBB215_2665
; %bb.2646:
	s_cmp_gt_i32 s30, 24
	s_cbranch_scc0 .LBB215_2654
; %bb.2647:
	v_cndmask_b32_e64 v4, 0, 1.0, s[6:7]
	s_mov_b32 s16, 0x47800000
	v_cmp_gt_u32_e32 vcc, s16, v4
	v_mov_b32_e32 v5, 0x80
	s_and_saveexec_b64 s[16:17], vcc
	s_cbranch_execz .LBB215_2653
; %bb.2648:
	s_mov_b32 s18, 0x37ffffff
	v_cmp_lt_u32_e32 vcc, s18, v4
	s_mov_b64 s[18:19], 0
                                        ; implicit-def: $vgpr3
	s_and_saveexec_b64 s[20:21], vcc
	s_xor_b64 s[20:21], exec, s[20:21]
	s_cbranch_execz .LBB215_2864
; %bb.2649:
	v_bfe_u32 v3, v4, 21, 1
	s_mov_b32 s24, 0x88fffff
	v_add3_u32 v3, v4, v3, s24
	s_mov_b64 s[18:19], exec
	v_lshrrev_b32_e32 v3, 21, v3
                                        ; implicit-def: $vgpr4
	s_andn2_saveexec_b64 s[20:21], s[20:21]
	s_cbranch_execnz .LBB215_2865
.LBB215_2650:
	s_or_b64 exec, exec, s[20:21]
	v_mov_b32_e32 v5, 0
	s_and_saveexec_b64 s[20:21], s[18:19]
.LBB215_2651:
	v_mov_b32_e32 v5, v3
.LBB215_2652:
	s_or_b64 exec, exec, s[20:21]
.LBB215_2653:
	s_or_b64 exec, exec, s[16:17]
	s_mov_b64 s[16:17], 0
	global_store_byte v[1:2], v5, off
.LBB215_2654:
	s_and_b64 vcc, exec, s[16:17]
	s_cbranch_vccz .LBB215_2664
; %bb.2655:
	v_cndmask_b32_e64 v3, 0, 1.0, s[6:7]
	s_mov_b32 s16, 0x43f00000
	v_cmp_gt_u32_e32 vcc, s16, v3
                                        ; implicit-def: $vgpr4
	s_and_saveexec_b64 s[16:17], vcc
	s_xor_b64 s[16:17], exec, s[16:17]
	s_cbranch_execz .LBB215_2661
; %bb.2656:
	s_mov_b32 s18, 0x3c7fffff
	v_cmp_lt_u32_e32 vcc, s18, v3
                                        ; implicit-def: $vgpr4
	s_and_saveexec_b64 s[18:19], vcc
	s_xor_b64 s[18:19], exec, s[18:19]
; %bb.2657:
	v_bfe_u32 v4, v3, 20, 1
	s_mov_b32 s20, 0x407ffff
	v_add3_u32 v3, v3, v4, s20
	v_lshrrev_b32_e32 v4, 20, v3
	v_and_b32_e32 v3, 0xff00000, v3
	s_mov_b32 s20, 0x7f00000
	v_mov_b32_e32 v5, 0x7e
	v_cmp_ne_u32_e32 vcc, s20, v3
	v_cndmask_b32_e32 v4, v5, v4, vcc
                                        ; implicit-def: $vgpr3
; %bb.2658:
	s_andn2_saveexec_b64 s[18:19], s[18:19]
; %bb.2659:
	v_add_f32_e32 v4, 0x46800000, v3
; %bb.2660:
	s_or_b64 exec, exec, s[18:19]
                                        ; implicit-def: $vgpr3
.LBB215_2661:
	s_andn2_saveexec_b64 s[16:17], s[16:17]
; %bb.2662:
	s_mov_b32 s18, 0x7f800000
	v_mov_b32_e32 v4, 0x7e
	v_mov_b32_e32 v5, 0x7f
	v_cmp_lt_u32_e32 vcc, s18, v3
	v_cndmask_b32_e32 v4, v4, v5, vcc
; %bb.2663:
	s_or_b64 exec, exec, s[16:17]
	global_store_byte v[1:2], v4, off
.LBB215_2664:
	s_mov_b64 s[16:17], 0
.LBB215_2665:
	s_andn2_b64 vcc, exec, s[16:17]
	s_cbranch_vccnz .LBB215_2675
; %bb.2666:
	v_cndmask_b32_e64 v3, 0, 1.0, s[6:7]
	s_mov_b32 s16, 0x47800000
	v_cmp_gt_u32_e32 vcc, s16, v3
                                        ; implicit-def: $vgpr4
	s_and_saveexec_b64 s[16:17], vcc
	s_xor_b64 s[16:17], exec, s[16:17]
	s_cbranch_execz .LBB215_2672
; %bb.2667:
	s_mov_b32 s18, 0x387fffff
	v_cmp_lt_u32_e32 vcc, s18, v3
                                        ; implicit-def: $vgpr4
	s_and_saveexec_b64 s[18:19], vcc
	s_xor_b64 s[18:19], exec, s[18:19]
; %bb.2668:
	v_bfe_u32 v4, v3, 21, 1
	s_mov_b32 s20, 0x80fffff
	v_add3_u32 v3, v3, v4, s20
	v_lshrrev_b32_e32 v4, 21, v3
                                        ; implicit-def: $vgpr3
; %bb.2669:
	s_andn2_saveexec_b64 s[18:19], s[18:19]
; %bb.2670:
	v_add_f32_e32 v4, 0x43000000, v3
; %bb.2671:
	s_or_b64 exec, exec, s[18:19]
                                        ; implicit-def: $vgpr3
.LBB215_2672:
	s_andn2_saveexec_b64 s[16:17], s[16:17]
; %bb.2673:
	s_mov_b32 s18, 0x7f800000
	v_mov_b32_e32 v4, 0x7c
	v_mov_b32_e32 v5, 0x7f
	v_cmp_lt_u32_e32 vcc, s18, v3
	v_cndmask_b32_e32 v4, v4, v5, vcc
; %bb.2674:
	s_or_b64 exec, exec, s[16:17]
	global_store_byte v[1:2], v4, off
.LBB215_2675:
	s_mov_b64 s[16:17], 0
	s_mov_b64 s[18:19], -1
.LBB215_2676:
	s_andn2_b64 vcc, exec, s[16:17]
	s_mov_b64 s[16:17], 0
	s_cbranch_vccnz .LBB215_2683
; %bb.2677:
	s_cmp_gt_i32 s30, 14
	s_mov_b64 s[20:21], -1
	s_cbranch_scc0 .LBB215_2681
; %bb.2678:
	s_cmp_eq_u32 s30, 15
	s_mov_b64 s[0:1], -1
	s_cbranch_scc0 .LBB215_2680
; %bb.2679:
	v_cndmask_b32_e64 v3, 0, 1.0, s[6:7]
	v_bfe_u32 v4, v3, 16, 1
	s_movk_i32 s0, 0x7fff
	v_add3_u32 v3, v3, v4, s0
	global_store_short_d16_hi v[1:2], v3, off
	s_mov_b64 s[0:1], 0
	s_mov_b64 s[18:19], -1
.LBB215_2680:
	s_mov_b64 s[20:21], 0
.LBB215_2681:
	s_and_b64 vcc, exec, s[20:21]
	s_cbranch_vccz .LBB215_2683
; %bb.2682:
	s_cmp_lg_u32 s30, 11
	s_mov_b64 s[16:17], -1
	s_cselect_b64 s[0:1], -1, 0
.LBB215_2683:
	s_and_b64 vcc, exec, s[0:1]
	s_cbranch_vccnz .LBB215_2863
; %bb.2684:
	s_andn2_b64 vcc, exec, s[16:17]
	s_cbranch_vccnz .LBB215_2686
.LBB215_2685:
	v_cndmask_b32_e64 v3, 0, 1, s[6:7]
	s_mov_b64 s[18:19], -1
	global_store_byte v[1:2], v3, off
.LBB215_2686:
	s_mov_b64 s[0:1], 0
	s_branch .LBB215_2688
.LBB215_2687:
	s_mov_b64 s[0:1], -1
	s_mov_b64 s[18:19], 0
.LBB215_2688:
	s_and_b64 vcc, exec, s[0:1]
	s_cbranch_vccz .LBB215_2727
; %bb.2689:
	s_cmp_lt_i32 s30, 5
	s_mov_b64 s[0:1], -1
	s_cbranch_scc1 .LBB215_2710
; %bb.2690:
	s_cmp_lt_i32 s30, 8
	s_cbranch_scc1 .LBB215_2700
; %bb.2691:
	s_cmp_lt_i32 s30, 9
	s_cbranch_scc1 .LBB215_2697
; %bb.2692:
	s_cmp_gt_i32 s30, 9
	s_cbranch_scc0 .LBB215_2694
; %bb.2693:
	v_cndmask_b32_e64 v3, 0, 1, s[6:7]
	v_cvt_f64_u32_e32 v[3:4], v3
	v_mov_b32_e32 v5, 0
	v_mov_b32_e32 v6, v5
	s_mov_b64 s[0:1], 0
	global_store_dwordx4 v[1:2], v[3:6], off
.LBB215_2694:
	s_andn2_b64 vcc, exec, s[0:1]
	s_cbranch_vccnz .LBB215_2696
; %bb.2695:
	v_cndmask_b32_e64 v3, 0, 1.0, s[6:7]
	v_mov_b32_e32 v4, 0
	global_store_dwordx2 v[1:2], v[3:4], off
.LBB215_2696:
	s_mov_b64 s[0:1], 0
.LBB215_2697:
	s_andn2_b64 vcc, exec, s[0:1]
	s_cbranch_vccnz .LBB215_2699
; %bb.2698:
	v_cndmask_b32_e64 v3, 0, 1.0, s[6:7]
	v_cvt_f16_f32_e32 v3, v3
	global_store_dword v[1:2], v3, off
.LBB215_2699:
	s_mov_b64 s[0:1], 0
.LBB215_2700:
	s_andn2_b64 vcc, exec, s[0:1]
	s_cbranch_vccnz .LBB215_2709
; %bb.2701:
	s_cmp_lt_i32 s30, 6
	s_mov_b64 s[0:1], -1
	s_cbranch_scc1 .LBB215_2707
; %bb.2702:
	s_cmp_gt_i32 s30, 6
	s_cbranch_scc0 .LBB215_2704
; %bb.2703:
	v_cndmask_b32_e64 v3, 0, 1, s[6:7]
	v_cvt_f64_u32_e32 v[3:4], v3
	s_mov_b64 s[0:1], 0
	global_store_dwordx2 v[1:2], v[3:4], off
.LBB215_2704:
	s_andn2_b64 vcc, exec, s[0:1]
	s_cbranch_vccnz .LBB215_2706
; %bb.2705:
	v_cndmask_b32_e64 v3, 0, 1.0, s[6:7]
	global_store_dword v[1:2], v3, off
.LBB215_2706:
	s_mov_b64 s[0:1], 0
.LBB215_2707:
	s_andn2_b64 vcc, exec, s[0:1]
	s_cbranch_vccnz .LBB215_2709
; %bb.2708:
	v_cndmask_b32_e64 v3, 0, 1.0, s[6:7]
	v_cvt_f16_f32_e32 v3, v3
	global_store_short v[1:2], v3, off
.LBB215_2709:
	s_mov_b64 s[0:1], 0
.LBB215_2710:
	s_andn2_b64 vcc, exec, s[0:1]
	s_cbranch_vccnz .LBB215_2726
; %bb.2711:
	s_cmp_lt_i32 s30, 2
	s_mov_b64 s[0:1], -1
	s_cbranch_scc1 .LBB215_2721
; %bb.2712:
	s_cmp_lt_i32 s30, 3
	s_cbranch_scc1 .LBB215_2718
; %bb.2713:
	s_cmp_gt_i32 s30, 3
	s_cbranch_scc0 .LBB215_2715
; %bb.2714:
	s_mov_b32 s0, 0
	v_cndmask_b32_e64 v3, 0, 1, s[6:7]
	v_mov_b32_e32 v4, s0
	global_store_dwordx2 v[1:2], v[3:4], off
	s_mov_b64 s[0:1], 0
.LBB215_2715:
	s_andn2_b64 vcc, exec, s[0:1]
	s_cbranch_vccnz .LBB215_2717
; %bb.2716:
	v_cndmask_b32_e64 v3, 0, 1, s[6:7]
	global_store_dword v[1:2], v3, off
.LBB215_2717:
	s_mov_b64 s[0:1], 0
.LBB215_2718:
	s_andn2_b64 vcc, exec, s[0:1]
	s_cbranch_vccnz .LBB215_2720
; %bb.2719:
	v_cndmask_b32_e64 v3, 0, 1, s[6:7]
	global_store_short v[1:2], v3, off
.LBB215_2720:
	s_mov_b64 s[0:1], 0
.LBB215_2721:
	s_andn2_b64 vcc, exec, s[0:1]
	s_cbranch_vccnz .LBB215_2726
; %bb.2722:
	s_cmp_gt_i32 s30, 0
	s_mov_b64 s[0:1], -1
	s_cbranch_scc0 .LBB215_2724
; %bb.2723:
	v_cndmask_b32_e64 v3, 0, 1, s[6:7]
	global_store_byte v[1:2], v3, off
	s_mov_b64 s[0:1], 0
.LBB215_2724:
	s_andn2_b64 vcc, exec, s[0:1]
	s_cbranch_vccnz .LBB215_2726
; %bb.2725:
	v_cndmask_b32_e64 v3, 0, 1, s[6:7]
	global_store_byte v[1:2], v3, off
.LBB215_2726:
	s_mov_b64 s[18:19], -1
.LBB215_2727:
	s_andn2_b64 vcc, exec, s[18:19]
	s_cbranch_vccnz .LBB215_2804
; %bb.2728:
	s_xor_b64 s[0:1], s[10:11], s[22:23]
	s_xor_b64 s[10:11], s[2:3], s[0:1]
	v_mov_b32_e32 v1, s9
	v_add_co_u32_e32 v0, vcc, s8, v0
	s_cmp_lt_i32 s30, 11
	v_addc_co_u32_e32 v1, vcc, 0, v1, vcc
	s_cbranch_scc1 .LBB215_2849
; %bb.2729:
	s_mov_b64 s[6:7], -1
	s_mov_b64 s[2:3], 0
	s_cmp_gt_i32 s30, 25
	s_mov_b64 s[0:1], 0
	s_cbranch_scc0 .LBB215_2762
; %bb.2730:
	s_cmp_gt_i32 s30, 28
	s_cbranch_scc0 .LBB215_2746
; %bb.2731:
	s_cmp_gt_i32 s30, 43
	;; [unrolled: 3-line block ×3, first 2 shown]
	s_cbranch_scc0 .LBB215_2736
; %bb.2733:
	s_cmp_eq_u32 s30, 46
	s_mov_b64 s[0:1], -1
	s_cbranch_scc0 .LBB215_2735
; %bb.2734:
	v_cndmask_b32_e64 v2, 0, 1.0, s[10:11]
	v_bfe_u32 v3, v2, 16, 1
	s_movk_i32 s0, 0x7fff
	v_add3_u32 v2, v2, v3, s0
	v_lshrrev_b32_e32 v2, 16, v2
	global_store_dword v[0:1], v2, off
	s_mov_b64 s[0:1], 0
.LBB215_2735:
	s_mov_b64 s[6:7], 0
.LBB215_2736:
	s_and_b64 vcc, exec, s[6:7]
	s_cbranch_vccz .LBB215_2741
; %bb.2737:
	s_cmp_eq_u32 s30, 44
	s_mov_b64 s[0:1], -1
	s_cbranch_scc0 .LBB215_2741
; %bb.2738:
	v_cndmask_b32_e64 v3, 0, 1.0, s[10:11]
	v_lshrrev_b32_e32 v2, 23, v3
	s_movk_i32 s0, 0xff
	v_cmp_ne_u32_e32 vcc, s0, v2
	v_mov_b32_e32 v4, 0xff
	s_and_saveexec_b64 s[6:7], vcc
; %bb.2739:
	s_mov_b32 s0, 0x3fffff
	v_and_b32_e32 v4, 0x400000, v3
	v_and_or_b32 v3, v3, s0, v2
	v_cmp_ne_u32_e32 vcc, 0, v4
	v_cmp_ne_u32_e64 s[0:1], 0, v3
	s_and_b64 s[0:1], vcc, s[0:1]
	v_cndmask_b32_e64 v3, 0, 1, s[0:1]
	v_add_u32_e32 v4, v2, v3
; %bb.2740:
	s_or_b64 exec, exec, s[6:7]
	s_mov_b64 s[0:1], 0
	global_store_byte v[0:1], v4, off
.LBB215_2741:
	s_mov_b64 s[6:7], 0
.LBB215_2742:
	s_and_b64 vcc, exec, s[6:7]
	s_cbranch_vccz .LBB215_2745
; %bb.2743:
	s_cmp_eq_u32 s30, 29
	s_mov_b64 s[0:1], -1
	s_cbranch_scc0 .LBB215_2745
; %bb.2744:
	s_mov_b32 s0, 0
	v_cndmask_b32_e64 v2, 0, 1, s[10:11]
	v_mov_b32_e32 v3, s0
	global_store_dwordx2 v[0:1], v[2:3], off
	s_mov_b64 s[0:1], 0
.LBB215_2745:
	s_mov_b64 s[6:7], 0
.LBB215_2746:
	s_and_b64 vcc, exec, s[6:7]
	s_cbranch_vccz .LBB215_2761
; %bb.2747:
	s_cmp_lt_i32 s30, 27
	s_mov_b64 s[6:7], -1
	s_cbranch_scc1 .LBB215_2753
; %bb.2748:
	s_cmp_gt_i32 s30, 27
	v_cndmask_b32_e64 v2, 0, 1, s[10:11]
	s_cbranch_scc0 .LBB215_2750
; %bb.2749:
	global_store_dword v[0:1], v2, off
	s_mov_b64 s[6:7], 0
.LBB215_2750:
	s_andn2_b64 vcc, exec, s[6:7]
	s_cbranch_vccnz .LBB215_2752
; %bb.2751:
	global_store_short v[0:1], v2, off
.LBB215_2752:
	s_mov_b64 s[6:7], 0
.LBB215_2753:
	s_andn2_b64 vcc, exec, s[6:7]
	s_cbranch_vccnz .LBB215_2761
; %bb.2754:
	v_cndmask_b32_e64 v3, 0, 1.0, s[10:11]
	s_mov_b32 s6, 0x43800000
	v_cmp_gt_u32_e32 vcc, s6, v3
	v_mov_b32_e32 v4, 0x80
	s_and_saveexec_b64 s[6:7], vcc
	s_cbranch_execz .LBB215_2760
; %bb.2755:
	s_mov_b32 s8, 0x3bffffff
	v_cmp_lt_u32_e32 vcc, s8, v3
	s_mov_b64 s[8:9], 0
                                        ; implicit-def: $vgpr2
	s_and_saveexec_b64 s[16:17], vcc
	s_xor_b64 s[16:17], exec, s[16:17]
	s_cbranch_execz .LBB215_2866
; %bb.2756:
	v_bfe_u32 v2, v3, 20, 1
	s_mov_b32 s18, 0x487ffff
	v_add3_u32 v2, v3, v2, s18
	s_mov_b64 s[8:9], exec
	v_lshrrev_b32_e32 v2, 20, v2
                                        ; implicit-def: $vgpr3
	s_andn2_saveexec_b64 s[16:17], s[16:17]
	s_cbranch_execnz .LBB215_2867
.LBB215_2757:
	s_or_b64 exec, exec, s[16:17]
	v_mov_b32_e32 v4, 0
	s_and_saveexec_b64 s[16:17], s[8:9]
.LBB215_2758:
	v_mov_b32_e32 v4, v2
.LBB215_2759:
	s_or_b64 exec, exec, s[16:17]
.LBB215_2760:
	s_or_b64 exec, exec, s[6:7]
	global_store_byte v[0:1], v4, off
.LBB215_2761:
	s_mov_b64 s[6:7], 0
.LBB215_2762:
	s_and_b64 vcc, exec, s[6:7]
	s_cbranch_vccz .LBB215_2802
; %bb.2763:
	s_cmp_gt_i32 s30, 22
	s_mov_b64 s[2:3], -1
	s_cbranch_scc0 .LBB215_2795
; %bb.2764:
	s_cmp_lt_i32 s30, 24
	s_cbranch_scc1 .LBB215_2784
; %bb.2765:
	s_cmp_gt_i32 s30, 24
	s_cbranch_scc0 .LBB215_2773
; %bb.2766:
	v_cndmask_b32_e64 v3, 0, 1.0, s[10:11]
	s_mov_b32 s2, 0x47800000
	v_cmp_gt_u32_e32 vcc, s2, v3
	v_mov_b32_e32 v4, 0x80
	s_and_saveexec_b64 s[2:3], vcc
	s_cbranch_execz .LBB215_2772
; %bb.2767:
	s_mov_b32 s6, 0x37ffffff
	v_cmp_lt_u32_e32 vcc, s6, v3
	s_mov_b64 s[6:7], 0
                                        ; implicit-def: $vgpr2
	s_and_saveexec_b64 s[8:9], vcc
	s_xor_b64 s[8:9], exec, s[8:9]
	s_cbranch_execz .LBB215_2869
; %bb.2768:
	v_bfe_u32 v2, v3, 21, 1
	s_mov_b32 s16, 0x88fffff
	v_add3_u32 v2, v3, v2, s16
	s_mov_b64 s[6:7], exec
	v_lshrrev_b32_e32 v2, 21, v2
                                        ; implicit-def: $vgpr3
	s_andn2_saveexec_b64 s[8:9], s[8:9]
	s_cbranch_execnz .LBB215_2870
.LBB215_2769:
	s_or_b64 exec, exec, s[8:9]
	v_mov_b32_e32 v4, 0
	s_and_saveexec_b64 s[8:9], s[6:7]
.LBB215_2770:
	v_mov_b32_e32 v4, v2
.LBB215_2771:
	s_or_b64 exec, exec, s[8:9]
.LBB215_2772:
	s_or_b64 exec, exec, s[2:3]
	s_mov_b64 s[2:3], 0
	global_store_byte v[0:1], v4, off
.LBB215_2773:
	s_and_b64 vcc, exec, s[2:3]
	s_cbranch_vccz .LBB215_2783
; %bb.2774:
	v_cndmask_b32_e64 v2, 0, 1.0, s[10:11]
	s_mov_b32 s2, 0x43f00000
	v_cmp_gt_u32_e32 vcc, s2, v2
                                        ; implicit-def: $vgpr3
	s_and_saveexec_b64 s[2:3], vcc
	s_xor_b64 s[2:3], exec, s[2:3]
	s_cbranch_execz .LBB215_2780
; %bb.2775:
	s_mov_b32 s6, 0x3c7fffff
	v_cmp_lt_u32_e32 vcc, s6, v2
                                        ; implicit-def: $vgpr3
	s_and_saveexec_b64 s[6:7], vcc
	s_xor_b64 s[6:7], exec, s[6:7]
; %bb.2776:
	v_bfe_u32 v3, v2, 20, 1
	s_mov_b32 s8, 0x407ffff
	v_add3_u32 v2, v2, v3, s8
	v_lshrrev_b32_e32 v3, 20, v2
	v_and_b32_e32 v2, 0xff00000, v2
	s_mov_b32 s8, 0x7f00000
	v_mov_b32_e32 v4, 0x7e
	v_cmp_ne_u32_e32 vcc, s8, v2
	v_cndmask_b32_e32 v3, v4, v3, vcc
                                        ; implicit-def: $vgpr2
; %bb.2777:
	s_andn2_saveexec_b64 s[6:7], s[6:7]
; %bb.2778:
	v_add_f32_e32 v3, 0x46800000, v2
; %bb.2779:
	s_or_b64 exec, exec, s[6:7]
                                        ; implicit-def: $vgpr2
.LBB215_2780:
	s_andn2_saveexec_b64 s[2:3], s[2:3]
; %bb.2781:
	s_mov_b32 s6, 0x7f800000
	v_mov_b32_e32 v3, 0x7e
	v_mov_b32_e32 v4, 0x7f
	v_cmp_lt_u32_e32 vcc, s6, v2
	v_cndmask_b32_e32 v3, v3, v4, vcc
; %bb.2782:
	s_or_b64 exec, exec, s[2:3]
	global_store_byte v[0:1], v3, off
.LBB215_2783:
	s_mov_b64 s[2:3], 0
.LBB215_2784:
	s_andn2_b64 vcc, exec, s[2:3]
	s_cbranch_vccnz .LBB215_2794
; %bb.2785:
	v_cndmask_b32_e64 v2, 0, 1.0, s[10:11]
	s_mov_b32 s2, 0x47800000
	v_cmp_gt_u32_e32 vcc, s2, v2
                                        ; implicit-def: $vgpr3
	s_and_saveexec_b64 s[2:3], vcc
	s_xor_b64 s[2:3], exec, s[2:3]
	s_cbranch_execz .LBB215_2791
; %bb.2786:
	s_mov_b32 s6, 0x387fffff
	v_cmp_lt_u32_e32 vcc, s6, v2
                                        ; implicit-def: $vgpr3
	s_and_saveexec_b64 s[6:7], vcc
	s_xor_b64 s[6:7], exec, s[6:7]
; %bb.2787:
	v_bfe_u32 v3, v2, 21, 1
	s_mov_b32 s8, 0x80fffff
	v_add3_u32 v2, v2, v3, s8
	v_lshrrev_b32_e32 v3, 21, v2
                                        ; implicit-def: $vgpr2
; %bb.2788:
	s_andn2_saveexec_b64 s[6:7], s[6:7]
; %bb.2789:
	v_add_f32_e32 v3, 0x43000000, v2
; %bb.2790:
	s_or_b64 exec, exec, s[6:7]
                                        ; implicit-def: $vgpr2
.LBB215_2791:
	s_andn2_saveexec_b64 s[2:3], s[2:3]
; %bb.2792:
	s_mov_b32 s6, 0x7f800000
	v_mov_b32_e32 v3, 0x7c
	v_mov_b32_e32 v4, 0x7f
	v_cmp_lt_u32_e32 vcc, s6, v2
	v_cndmask_b32_e32 v3, v3, v4, vcc
; %bb.2793:
	s_or_b64 exec, exec, s[2:3]
	global_store_byte v[0:1], v3, off
.LBB215_2794:
	s_mov_b64 s[2:3], 0
.LBB215_2795:
	s_andn2_b64 vcc, exec, s[2:3]
	s_mov_b64 s[2:3], 0
	s_cbranch_vccnz .LBB215_2802
; %bb.2796:
	s_cmp_gt_i32 s30, 14
	s_mov_b64 s[6:7], -1
	s_cbranch_scc0 .LBB215_2800
; %bb.2797:
	s_cmp_eq_u32 s30, 15
	s_mov_b64 s[0:1], -1
	s_cbranch_scc0 .LBB215_2799
; %bb.2798:
	v_cndmask_b32_e64 v2, 0, 1.0, s[10:11]
	v_bfe_u32 v3, v2, 16, 1
	s_movk_i32 s0, 0x7fff
	v_add3_u32 v2, v2, v3, s0
	global_store_short_d16_hi v[0:1], v2, off
	s_mov_b64 s[0:1], 0
.LBB215_2799:
	s_mov_b64 s[6:7], 0
.LBB215_2800:
	s_and_b64 vcc, exec, s[6:7]
	s_cbranch_vccz .LBB215_2802
; %bb.2801:
	s_cmp_lg_u32 s30, 11
	s_mov_b64 s[2:3], -1
	s_cselect_b64 s[0:1], -1, 0
.LBB215_2802:
	s_and_b64 vcc, exec, s[0:1]
	s_cbranch_vccnz .LBB215_2868
.LBB215_2803:
	s_mov_b64 s[0:1], 0
	s_branch .LBB215_2805
.LBB215_2804:
	s_mov_b64 s[0:1], 0
	s_mov_b64 s[2:3], 0
                                        ; implicit-def: $sgpr10_sgpr11
                                        ; implicit-def: $vgpr0_vgpr1
                                        ; implicit-def: $sgpr36
.LBB215_2805:
	s_and_b64 s[6:7], s[2:3], exec
	s_andn2_b64 s[2:3], s[12:13], exec
	s_and_b64 s[4:5], s[4:5], exec
	s_and_b64 s[0:1], s[0:1], exec
	s_or_b64 s[12:13], s[2:3], s[4:5]
.LBB215_2806:
	s_or_b64 exec, exec, s[14:15]
	s_and_saveexec_b64 s[2:3], s[12:13]
	s_cbranch_execz .LBB215_2809
; %bb.2807:
	; divergent unreachable
	s_or_b64 exec, exec, s[2:3]
	s_and_saveexec_b64 s[2:3], s[6:7]
	s_xor_b64 s[2:3], exec, s[2:3]
	s_cbranch_execnz .LBB215_2810
.LBB215_2808:
	s_or_b64 exec, exec, s[2:3]
	s_and_saveexec_b64 s[2:3], s[0:1]
	s_cbranch_execnz .LBB215_2811
	s_branch .LBB215_2848
.LBB215_2809:
	s_or_b64 exec, exec, s[2:3]
	s_and_saveexec_b64 s[2:3], s[6:7]
	s_xor_b64 s[2:3], exec, s[2:3]
	s_cbranch_execz .LBB215_2808
.LBB215_2810:
	v_cndmask_b32_e64 v2, 0, 1, s[10:11]
	global_store_byte v[0:1], v2, off
	s_or_b64 exec, exec, s[2:3]
	s_and_saveexec_b64 s[2:3], s[0:1]
	s_cbranch_execz .LBB215_2848
.LBB215_2811:
	s_sext_i32_i16 s2, s36
	s_cmp_lt_i32 s2, 5
	s_mov_b64 s[0:1], -1
	s_cbranch_scc1 .LBB215_2832
; %bb.2812:
	s_cmp_lt_i32 s2, 8
	s_cbranch_scc1 .LBB215_2822
; %bb.2813:
	s_cmp_lt_i32 s2, 9
	s_cbranch_scc1 .LBB215_2819
; %bb.2814:
	s_cmp_gt_i32 s2, 9
	s_cbranch_scc0 .LBB215_2816
; %bb.2815:
	v_cndmask_b32_e64 v2, 0, 1, s[10:11]
	v_cvt_f64_u32_e32 v[2:3], v2
	v_mov_b32_e32 v4, 0
	v_mov_b32_e32 v5, v4
	s_mov_b64 s[0:1], 0
	global_store_dwordx4 v[0:1], v[2:5], off
.LBB215_2816:
	s_andn2_b64 vcc, exec, s[0:1]
	s_cbranch_vccnz .LBB215_2818
; %bb.2817:
	v_cndmask_b32_e64 v2, 0, 1.0, s[10:11]
	v_mov_b32_e32 v3, 0
	global_store_dwordx2 v[0:1], v[2:3], off
.LBB215_2818:
	s_mov_b64 s[0:1], 0
.LBB215_2819:
	s_andn2_b64 vcc, exec, s[0:1]
	s_cbranch_vccnz .LBB215_2821
; %bb.2820:
	v_cndmask_b32_e64 v2, 0, 1.0, s[10:11]
	v_cvt_f16_f32_e32 v2, v2
	global_store_dword v[0:1], v2, off
.LBB215_2821:
	s_mov_b64 s[0:1], 0
.LBB215_2822:
	s_andn2_b64 vcc, exec, s[0:1]
	s_cbranch_vccnz .LBB215_2831
; %bb.2823:
	s_sext_i32_i16 s2, s36
	s_cmp_lt_i32 s2, 6
	s_mov_b64 s[0:1], -1
	s_cbranch_scc1 .LBB215_2829
; %bb.2824:
	s_cmp_gt_i32 s2, 6
	s_cbranch_scc0 .LBB215_2826
; %bb.2825:
	v_cndmask_b32_e64 v2, 0, 1, s[10:11]
	v_cvt_f64_u32_e32 v[2:3], v2
	s_mov_b64 s[0:1], 0
	global_store_dwordx2 v[0:1], v[2:3], off
.LBB215_2826:
	s_andn2_b64 vcc, exec, s[0:1]
	s_cbranch_vccnz .LBB215_2828
; %bb.2827:
	v_cndmask_b32_e64 v2, 0, 1.0, s[10:11]
	global_store_dword v[0:1], v2, off
.LBB215_2828:
	s_mov_b64 s[0:1], 0
.LBB215_2829:
	s_andn2_b64 vcc, exec, s[0:1]
	s_cbranch_vccnz .LBB215_2831
; %bb.2830:
	v_cndmask_b32_e64 v2, 0, 1.0, s[10:11]
	v_cvt_f16_f32_e32 v2, v2
	global_store_short v[0:1], v2, off
.LBB215_2831:
	s_mov_b64 s[0:1], 0
.LBB215_2832:
	s_andn2_b64 vcc, exec, s[0:1]
	s_cbranch_vccnz .LBB215_2848
; %bb.2833:
	s_sext_i32_i16 s2, s36
	s_cmp_lt_i32 s2, 2
	s_mov_b64 s[0:1], -1
	s_cbranch_scc1 .LBB215_2843
; %bb.2834:
	s_cmp_lt_i32 s2, 3
	s_cbranch_scc1 .LBB215_2840
; %bb.2835:
	s_cmp_gt_i32 s2, 3
	s_cbranch_scc0 .LBB215_2837
; %bb.2836:
	s_mov_b32 s0, 0
	v_cndmask_b32_e64 v2, 0, 1, s[10:11]
	v_mov_b32_e32 v3, s0
	global_store_dwordx2 v[0:1], v[2:3], off
	s_mov_b64 s[0:1], 0
.LBB215_2837:
	s_andn2_b64 vcc, exec, s[0:1]
	s_cbranch_vccnz .LBB215_2839
; %bb.2838:
	v_cndmask_b32_e64 v2, 0, 1, s[10:11]
	global_store_dword v[0:1], v2, off
.LBB215_2839:
	s_mov_b64 s[0:1], 0
.LBB215_2840:
	s_andn2_b64 vcc, exec, s[0:1]
	s_cbranch_vccnz .LBB215_2842
; %bb.2841:
	v_cndmask_b32_e64 v2, 0, 1, s[10:11]
	global_store_short v[0:1], v2, off
.LBB215_2842:
	s_mov_b64 s[0:1], 0
.LBB215_2843:
	s_andn2_b64 vcc, exec, s[0:1]
	s_cbranch_vccnz .LBB215_2848
; %bb.2844:
	s_sext_i32_i16 s0, s36
	s_cmp_gt_i32 s0, 0
	s_mov_b64 s[0:1], -1
	s_cbranch_scc0 .LBB215_2846
; %bb.2845:
	v_cndmask_b32_e64 v2, 0, 1, s[10:11]
	global_store_byte v[0:1], v2, off
	s_mov_b64 s[0:1], 0
.LBB215_2846:
	s_andn2_b64 vcc, exec, s[0:1]
	s_cbranch_vccnz .LBB215_2848
; %bb.2847:
	v_cndmask_b32_e64 v2, 0, 1, s[10:11]
	global_store_byte v[0:1], v2, off
	s_endpgm
.LBB215_2848:
	s_endpgm
.LBB215_2849:
	s_mov_b64 s[2:3], 0
	s_mov_b64 s[0:1], -1
	s_branch .LBB215_2805
.LBB215_2850:
	s_trap 2
	s_mov_b64 s[28:29], 0
	s_or_b64 s[4:5], s[4:5], exec
	s_cbranch_execz .LBB215_2319
	s_branch .LBB215_2320
.LBB215_2851:
	s_andn2_saveexec_b64 s[34:35], s[34:35]
	s_cbranch_execz .LBB215_2399
.LBB215_2852:
	v_add_f32_e32 v1, 0x46000000, v3
	v_and_b32_e32 v1, 0xff, v1
	v_cmp_ne_u32_e32 vcc, 0, v1
	s_andn2_b64 s[30:31], s[30:31], exec
	s_and_b64 s[38:39], vcc, exec
	s_or_b64 s[30:31], s[30:31], s[38:39]
	s_or_b64 exec, exec, s[34:35]
	v_mov_b32_e32 v7, 0
	s_and_saveexec_b64 s[34:35], s[30:31]
	s_cbranch_execnz .LBB215_2400
	s_branch .LBB215_2401
.LBB215_2853:
	s_trap 2
	s_or_b64 s[4:5], s[4:5], exec
	s_cbranch_execz .LBB215_2447
	s_branch .LBB215_2448
.LBB215_2854:
	s_andn2_saveexec_b64 s[30:31], s[30:31]
	s_cbranch_execz .LBB215_2412
.LBB215_2855:
	v_add_f32_e32 v1, 0x42800000, v3
	v_and_b32_e32 v1, 0xff, v1
	v_cmp_ne_u32_e32 vcc, 0, v1
	s_andn2_b64 s[28:29], s[28:29], exec
	s_and_b64 s[34:35], vcc, exec
	s_or_b64 s[28:29], s[28:29], s[34:35]
	s_or_b64 exec, exec, s[30:31]
	v_mov_b32_e32 v7, 0
	s_and_saveexec_b64 s[30:31], s[28:29]
	s_cbranch_execnz .LBB215_2413
	s_branch .LBB215_2414
.LBB215_2856:
	s_andn2_saveexec_b64 s[28:29], s[28:29]
	s_cbranch_execz .LBB215_2518
.LBB215_2857:
	v_add_f32_e32 v1, 0x46000000, v5
	v_and_b32_e32 v1, 0xff, v1
	v_cmp_ne_u32_e32 vcc, 0, v1
	s_andn2_b64 s[24:25], s[24:25], exec
	s_and_b64 s[34:35], vcc, exec
	s_or_b64 s[24:25], s[24:25], s[34:35]
	s_or_b64 exec, exec, s[28:29]
	v_mov_b32_e32 v6, 0
	s_and_saveexec_b64 s[28:29], s[24:25]
	s_cbranch_execnz .LBB215_2519
	s_branch .LBB215_2520
.LBB215_2858:
	s_trap 2
	s_or_b64 s[4:5], s[4:5], exec
	s_cbranch_execz .LBB215_2566
	s_branch .LBB215_2567
.LBB215_2859:
	s_andn2_saveexec_b64 s[24:25], s[24:25]
	s_cbranch_execz .LBB215_2531
.LBB215_2860:
	v_add_f32_e32 v1, 0x42800000, v5
	v_and_b32_e32 v1, 0xff, v1
	v_cmp_ne_u32_e32 vcc, 0, v1
	s_andn2_b64 s[18:19], s[18:19], exec
	s_and_b64 s[28:29], vcc, exec
	s_or_b64 s[18:19], s[18:19], s[28:29]
	s_or_b64 exec, exec, s[24:25]
	v_mov_b32_e32 v6, 0
	s_and_saveexec_b64 s[24:25], s[18:19]
	s_cbranch_execnz .LBB215_2532
	s_branch .LBB215_2533
.LBB215_2861:
	s_andn2_saveexec_b64 s[24:25], s[24:25]
	s_cbranch_execz .LBB215_2637
.LBB215_2862:
	v_add_f32_e32 v3, 0x46000000, v4
	v_and_b32_e32 v3, 0xff, v3
	v_cmp_ne_u32_e32 vcc, 0, v3
	s_andn2_b64 s[20:21], s[20:21], exec
	s_and_b64 s[26:27], vcc, exec
	s_or_b64 s[20:21], s[20:21], s[26:27]
	s_or_b64 exec, exec, s[24:25]
	v_mov_b32_e32 v5, 0
	s_and_saveexec_b64 s[24:25], s[20:21]
	s_cbranch_execnz .LBB215_2638
	s_branch .LBB215_2639
.LBB215_2863:
	s_trap 2
	s_or_b64 s[4:5], s[4:5], exec
	s_cbranch_execz .LBB215_2685
	s_branch .LBB215_2686
.LBB215_2864:
	s_andn2_saveexec_b64 s[20:21], s[20:21]
	s_cbranch_execz .LBB215_2650
.LBB215_2865:
	v_add_f32_e32 v3, 0x42800000, v4
	v_and_b32_e32 v3, 0xff, v3
	v_cmp_ne_u32_e32 vcc, 0, v3
	s_andn2_b64 s[18:19], s[18:19], exec
	s_and_b64 s[24:25], vcc, exec
	s_or_b64 s[18:19], s[18:19], s[24:25]
	s_or_b64 exec, exec, s[20:21]
	v_mov_b32_e32 v5, 0
	s_and_saveexec_b64 s[20:21], s[18:19]
	s_cbranch_execnz .LBB215_2651
	s_branch .LBB215_2652
.LBB215_2866:
	s_andn2_saveexec_b64 s[16:17], s[16:17]
	s_cbranch_execz .LBB215_2757
.LBB215_2867:
	v_add_f32_e32 v2, 0x46000000, v3
	v_and_b32_e32 v2, 0xff, v2
	v_cmp_ne_u32_e32 vcc, 0, v2
	s_andn2_b64 s[8:9], s[8:9], exec
	s_and_b64 s[18:19], vcc, exec
	s_or_b64 s[8:9], s[8:9], s[18:19]
	s_or_b64 exec, exec, s[16:17]
	v_mov_b32_e32 v4, 0
	s_and_saveexec_b64 s[16:17], s[8:9]
	s_cbranch_execnz .LBB215_2758
	s_branch .LBB215_2759
.LBB215_2868:
	s_mov_b64 s[2:3], 0
	s_or_b64 s[4:5], s[4:5], exec
	s_trap 2
	s_branch .LBB215_2803
.LBB215_2869:
	s_andn2_saveexec_b64 s[8:9], s[8:9]
	s_cbranch_execz .LBB215_2769
.LBB215_2870:
	v_add_f32_e32 v2, 0x42800000, v3
	v_and_b32_e32 v2, 0xff, v2
	v_cmp_ne_u32_e32 vcc, 0, v2
	s_andn2_b64 s[6:7], s[6:7], exec
	s_and_b64 s[16:17], vcc, exec
	s_or_b64 s[6:7], s[6:7], s[16:17]
	s_or_b64 exec, exec, s[8:9]
	v_mov_b32_e32 v4, 0
	s_and_saveexec_b64 s[8:9], s[6:7]
	s_cbranch_execnz .LBB215_2770
	s_branch .LBB215_2771
	.section	.rodata,"a",@progbits
	.p2align	6, 0x0
	.amdhsa_kernel _ZN2at6native32elementwise_kernel_manual_unrollILi128ELi4EZNS0_15gpu_kernel_implINS0_13BinaryFunctorIbbbNS0_12_GLOBAL__N_116CompareEqFunctorIbEEEEEEvRNS_18TensorIteratorBaseERKT_EUlibE0_EEviT1_
		.amdhsa_group_segment_fixed_size 0
		.amdhsa_private_segment_fixed_size 0
		.amdhsa_kernarg_size 432
		.amdhsa_user_sgpr_count 6
		.amdhsa_user_sgpr_private_segment_buffer 1
		.amdhsa_user_sgpr_dispatch_ptr 0
		.amdhsa_user_sgpr_queue_ptr 0
		.amdhsa_user_sgpr_kernarg_segment_ptr 1
		.amdhsa_user_sgpr_dispatch_id 0
		.amdhsa_user_sgpr_flat_scratch_init 0
		.amdhsa_user_sgpr_private_segment_size 0
		.amdhsa_uses_dynamic_stack 0
		.amdhsa_system_sgpr_private_segment_wavefront_offset 0
		.amdhsa_system_sgpr_workgroup_id_x 1
		.amdhsa_system_sgpr_workgroup_id_y 0
		.amdhsa_system_sgpr_workgroup_id_z 0
		.amdhsa_system_sgpr_workgroup_info 0
		.amdhsa_system_vgpr_workitem_id 0
		.amdhsa_next_free_vgpr 26
		.amdhsa_next_free_sgpr 84
		.amdhsa_reserve_vcc 1
		.amdhsa_reserve_flat_scratch 0
		.amdhsa_float_round_mode_32 0
		.amdhsa_float_round_mode_16_64 0
		.amdhsa_float_denorm_mode_32 3
		.amdhsa_float_denorm_mode_16_64 3
		.amdhsa_dx10_clamp 1
		.amdhsa_ieee_mode 1
		.amdhsa_fp16_overflow 0
		.amdhsa_exception_fp_ieee_invalid_op 0
		.amdhsa_exception_fp_denorm_src 0
		.amdhsa_exception_fp_ieee_div_zero 0
		.amdhsa_exception_fp_ieee_overflow 0
		.amdhsa_exception_fp_ieee_underflow 0
		.amdhsa_exception_fp_ieee_inexact 0
		.amdhsa_exception_int_div_zero 0
	.end_amdhsa_kernel
	.section	.text._ZN2at6native32elementwise_kernel_manual_unrollILi128ELi4EZNS0_15gpu_kernel_implINS0_13BinaryFunctorIbbbNS0_12_GLOBAL__N_116CompareEqFunctorIbEEEEEEvRNS_18TensorIteratorBaseERKT_EUlibE0_EEviT1_,"axG",@progbits,_ZN2at6native32elementwise_kernel_manual_unrollILi128ELi4EZNS0_15gpu_kernel_implINS0_13BinaryFunctorIbbbNS0_12_GLOBAL__N_116CompareEqFunctorIbEEEEEEvRNS_18TensorIteratorBaseERKT_EUlibE0_EEviT1_,comdat
.Lfunc_end215:
	.size	_ZN2at6native32elementwise_kernel_manual_unrollILi128ELi4EZNS0_15gpu_kernel_implINS0_13BinaryFunctorIbbbNS0_12_GLOBAL__N_116CompareEqFunctorIbEEEEEEvRNS_18TensorIteratorBaseERKT_EUlibE0_EEviT1_, .Lfunc_end215-_ZN2at6native32elementwise_kernel_manual_unrollILi128ELi4EZNS0_15gpu_kernel_implINS0_13BinaryFunctorIbbbNS0_12_GLOBAL__N_116CompareEqFunctorIbEEEEEEvRNS_18TensorIteratorBaseERKT_EUlibE0_EEviT1_
                                        ; -- End function
	.set _ZN2at6native32elementwise_kernel_manual_unrollILi128ELi4EZNS0_15gpu_kernel_implINS0_13BinaryFunctorIbbbNS0_12_GLOBAL__N_116CompareEqFunctorIbEEEEEEvRNS_18TensorIteratorBaseERKT_EUlibE0_EEviT1_.num_vgpr, 26
	.set _ZN2at6native32elementwise_kernel_manual_unrollILi128ELi4EZNS0_15gpu_kernel_implINS0_13BinaryFunctorIbbbNS0_12_GLOBAL__N_116CompareEqFunctorIbEEEEEEvRNS_18TensorIteratorBaseERKT_EUlibE0_EEviT1_.num_agpr, 0
	.set _ZN2at6native32elementwise_kernel_manual_unrollILi128ELi4EZNS0_15gpu_kernel_implINS0_13BinaryFunctorIbbbNS0_12_GLOBAL__N_116CompareEqFunctorIbEEEEEEvRNS_18TensorIteratorBaseERKT_EUlibE0_EEviT1_.numbered_sgpr, 84
	.set _ZN2at6native32elementwise_kernel_manual_unrollILi128ELi4EZNS0_15gpu_kernel_implINS0_13BinaryFunctorIbbbNS0_12_GLOBAL__N_116CompareEqFunctorIbEEEEEEvRNS_18TensorIteratorBaseERKT_EUlibE0_EEviT1_.num_named_barrier, 0
	.set _ZN2at6native32elementwise_kernel_manual_unrollILi128ELi4EZNS0_15gpu_kernel_implINS0_13BinaryFunctorIbbbNS0_12_GLOBAL__N_116CompareEqFunctorIbEEEEEEvRNS_18TensorIteratorBaseERKT_EUlibE0_EEviT1_.private_seg_size, 0
	.set _ZN2at6native32elementwise_kernel_manual_unrollILi128ELi4EZNS0_15gpu_kernel_implINS0_13BinaryFunctorIbbbNS0_12_GLOBAL__N_116CompareEqFunctorIbEEEEEEvRNS_18TensorIteratorBaseERKT_EUlibE0_EEviT1_.uses_vcc, 1
	.set _ZN2at6native32elementwise_kernel_manual_unrollILi128ELi4EZNS0_15gpu_kernel_implINS0_13BinaryFunctorIbbbNS0_12_GLOBAL__N_116CompareEqFunctorIbEEEEEEvRNS_18TensorIteratorBaseERKT_EUlibE0_EEviT1_.uses_flat_scratch, 0
	.set _ZN2at6native32elementwise_kernel_manual_unrollILi128ELi4EZNS0_15gpu_kernel_implINS0_13BinaryFunctorIbbbNS0_12_GLOBAL__N_116CompareEqFunctorIbEEEEEEvRNS_18TensorIteratorBaseERKT_EUlibE0_EEviT1_.has_dyn_sized_stack, 0
	.set _ZN2at6native32elementwise_kernel_manual_unrollILi128ELi4EZNS0_15gpu_kernel_implINS0_13BinaryFunctorIbbbNS0_12_GLOBAL__N_116CompareEqFunctorIbEEEEEEvRNS_18TensorIteratorBaseERKT_EUlibE0_EEviT1_.has_recursion, 0
	.set _ZN2at6native32elementwise_kernel_manual_unrollILi128ELi4EZNS0_15gpu_kernel_implINS0_13BinaryFunctorIbbbNS0_12_GLOBAL__N_116CompareEqFunctorIbEEEEEEvRNS_18TensorIteratorBaseERKT_EUlibE0_EEviT1_.has_indirect_call, 0
	.section	.AMDGPU.csdata,"",@progbits
; Kernel info:
; codeLenInByte = 42920
; TotalNumSgprs: 88
; NumVgprs: 26
; ScratchSize: 0
; MemoryBound: 1
; FloatMode: 240
; IeeeMode: 1
; LDSByteSize: 0 bytes/workgroup (compile time only)
; SGPRBlocks: 10
; VGPRBlocks: 6
; NumSGPRsForWavesPerEU: 88
; NumVGPRsForWavesPerEU: 26
; Occupancy: 9
; WaveLimiterHint : 1
; COMPUTE_PGM_RSRC2:SCRATCH_EN: 0
; COMPUTE_PGM_RSRC2:USER_SGPR: 6
; COMPUTE_PGM_RSRC2:TRAP_HANDLER: 0
; COMPUTE_PGM_RSRC2:TGID_X_EN: 1
; COMPUTE_PGM_RSRC2:TGID_Y_EN: 0
; COMPUTE_PGM_RSRC2:TGID_Z_EN: 0
; COMPUTE_PGM_RSRC2:TIDIG_COMP_CNT: 0
	.section	.text._ZN2at6native29vectorized_elementwise_kernelILi16ENS0_13AUnaryFunctorIbbbNS0_12_GLOBAL__N_116CompareEqFunctorIbEEEESt5arrayIPcLm2EEEEviT0_T1_,"axG",@progbits,_ZN2at6native29vectorized_elementwise_kernelILi16ENS0_13AUnaryFunctorIbbbNS0_12_GLOBAL__N_116CompareEqFunctorIbEEEESt5arrayIPcLm2EEEEviT0_T1_,comdat
	.globl	_ZN2at6native29vectorized_elementwise_kernelILi16ENS0_13AUnaryFunctorIbbbNS0_12_GLOBAL__N_116CompareEqFunctorIbEEEESt5arrayIPcLm2EEEEviT0_T1_ ; -- Begin function _ZN2at6native29vectorized_elementwise_kernelILi16ENS0_13AUnaryFunctorIbbbNS0_12_GLOBAL__N_116CompareEqFunctorIbEEEESt5arrayIPcLm2EEEEviT0_T1_
	.p2align	8
	.type	_ZN2at6native29vectorized_elementwise_kernelILi16ENS0_13AUnaryFunctorIbbbNS0_12_GLOBAL__N_116CompareEqFunctorIbEEEESt5arrayIPcLm2EEEEviT0_T1_,@function
_ZN2at6native29vectorized_elementwise_kernelILi16ENS0_13AUnaryFunctorIbbbNS0_12_GLOBAL__N_116CompareEqFunctorIbEEEESt5arrayIPcLm2EEEEviT0_T1_: ; @_ZN2at6native29vectorized_elementwise_kernelILi16ENS0_13AUnaryFunctorIbbbNS0_12_GLOBAL__N_116CompareEqFunctorIbEEEESt5arrayIPcLm2EEEEviT0_T1_
; %bb.0:
	s_load_dwordx8 s[8:15], s[4:5], 0x0
	s_waitcnt lgkmcnt(0)
	s_lshl_b32 s11, s6, 12
	s_mov_b64 s[0:1], -1
	s_sub_i32 s8, s8, s11
	s_cmpk_gt_i32 s8, 0xfff
	s_cbranch_scc0 .LBB216_2
; %bb.1:
	s_bitcmp1_b32 s10, 0
	s_cselect_b64 s[6:7], -1, 0
	s_ashr_i32 s33, s11, 31
	s_add_u32 s0, s14, s11
	s_addc_u32 s1, s15, s33
	v_lshlrev_b32_e32 v5, 4, v0
	global_load_dwordx4 v[1:4], v5, s[0:1]
	v_mov_b32_e32 v6, 0
	s_cmp_eq_u32 s9, 0
	s_movk_i32 s0, 0xff
	s_cselect_b64 s[16:17], -1, 0
	s_waitcnt vmcnt(0)
	v_cmp_ne_u16_sdwa s[20:21], v1, v6 src0_sel:BYTE_3 src1_sel:DWORD
	v_cmp_ne_u16_sdwa s[22:23], v2, v6 src0_sel:BYTE_0 src1_sel:DWORD
	v_cmp_ne_u16_sdwa s[24:25], v2, v6 src0_sel:BYTE_3 src1_sel:DWORD
	v_cmp_ne_u16_sdwa s[28:29], v3, v6 src0_sel:BYTE_3 src1_sel:DWORD
	s_xor_b64 s[20:21], s[20:21], s[6:7]
	v_lshrrev_b32_e32 v7, 8, v1
	v_lshrrev_b32_e32 v9, 8, v2
	v_and_b32_sdwa v10, v2, s0 dst_sel:DWORD dst_unused:UNUSED_PAD src0_sel:WORD_1 src1_sel:DWORD
	v_lshrrev_b32_e32 v11, 8, v3
	v_lshrrev_b32_e32 v13, 8, v4
	v_cmp_ne_u16_sdwa s[18:19], v1, v6 src0_sel:BYTE_0 src1_sel:DWORD
	v_cmp_ne_u16_sdwa s[26:27], v3, v6 src0_sel:BYTE_0 src1_sel:DWORD
	;; [unrolled: 1-line block ×3, first 2 shown]
	s_xor_b64 s[22:23], s[22:23], s[6:7]
	s_xor_b64 s[24:25], s[24:25], s[6:7]
	;; [unrolled: 1-line block ×4, first 2 shown]
	v_and_b32_sdwa v8, v1, s0 dst_sel:DWORD dst_unused:UNUSED_PAD src0_sel:WORD_1 src1_sel:DWORD
	v_and_b32_sdwa v12, v3, s0 dst_sel:DWORD dst_unused:UNUSED_PAD src0_sel:WORD_1 src1_sel:DWORD
	;; [unrolled: 1-line block ×3, first 2 shown]
	v_cmp_ne_u16_sdwa s[34:35], v4, v6 src0_sel:BYTE_3 src1_sel:DWORD
	v_cmp_ne_u16_sdwa s[36:37], v7, v6 src0_sel:BYTE_0 src1_sel:DWORD
	v_cmp_ne_u16_sdwa s[38:39], v9, v6 src0_sel:BYTE_0 src1_sel:DWORD
	v_cmp_ne_u16_e64 s[0:1], 0, v10
	v_cmp_ne_u16_sdwa s[40:41], v11, v6 src0_sel:BYTE_0 src1_sel:DWORD
	v_cmp_ne_u16_sdwa s[42:43], v13, v6 src0_sel:BYTE_0 src1_sel:DWORD
	s_xor_b64 s[18:19], s[18:19], s[6:7]
	s_xor_b64 s[26:27], s[26:27], s[6:7]
	;; [unrolled: 1-line block ×3, first 2 shown]
	v_cndmask_b32_e64 v6, 0, 1, s[20:21]
	s_xor_b64 s[20:21], s[16:17], s[22:23]
	s_xor_b64 s[22:23], s[16:17], s[24:25]
	;; [unrolled: 1-line block ×3, first 2 shown]
	v_cmp_ne_u16_e32 vcc, 0, v8
	v_cmp_ne_u16_e64 s[2:3], 0, v12
	v_cmp_ne_u16_e64 s[4:5], 0, v14
	s_xor_b64 s[34:35], s[34:35], s[6:7]
	s_xor_b64 s[18:19], s[16:17], s[18:19]
	;; [unrolled: 1-line block ×3, first 2 shown]
	v_cndmask_b32_e64 v7, 0, 1, s[22:23]
	s_xor_b64 s[22:23], s[16:17], s[26:27]
	v_cndmask_b32_e64 v8, 0, 1, s[24:25]
	s_xor_b64 s[24:25], s[16:17], s[30:31]
	;; [unrolled: 2-line block ×3, first 2 shown]
	s_xor_b64 s[36:37], vcc, s[6:7]
	v_cndmask_b32_e64 v2, 0, 1, s[20:21]
	s_xor_b64 s[20:21], s[38:39], s[6:7]
	v_cndmask_b32_e64 v3, 0, 1, s[22:23]
	s_xor_b64 s[22:23], s[40:41], s[6:7]
	s_xor_b64 s[2:3], s[2:3], s[6:7]
	v_cndmask_b32_e64 v4, 0, 1, s[24:25]
	s_xor_b64 s[24:25], s[42:43], s[6:7]
	s_xor_b64 s[4:5], s[4:5], s[6:7]
	;; [unrolled: 1-line block ×4, first 2 shown]
	v_cndmask_b32_e64 v9, 0, 1, s[6:7]
	s_xor_b64 s[6:7], s[16:17], s[18:19]
	v_cndmask_b32_e64 v13, 0, 1, s[0:1]
	s_xor_b64 s[0:1], s[16:17], s[22:23]
	;; [unrolled: 2-line block ×5, first 2 shown]
	v_cndmask_b32_e64 v15, 0, 1, s[0:1]
	v_lshlrev_b16_e32 v14, 8, v14
	v_lshlrev_b16_e32 v8, 8, v8
	v_cndmask_b32_e64 v12, 0, 1, s[6:7]
	v_or_b32_e32 v3, v3, v14
	v_or_b32_sdwa v8, v15, v8 dst_sel:WORD_1 dst_unused:UNUSED_PAD src0_sel:DWORD src1_sel:DWORD
	s_xor_b64 s[0:1], s[16:17], s[24:25]
	v_or_b32_sdwa v3, v3, v8 dst_sel:DWORD dst_unused:UNUSED_PAD src0_sel:WORD_0 src1_sel:DWORD
	v_lshlrev_b16_e32 v8, 8, v12
	v_lshlrev_b16_e32 v7, 8, v7
	v_cndmask_b32_e64 v16, 0, 1, s[0:1]
	s_xor_b64 s[0:1], s[16:17], s[4:5]
	v_or_b32_e32 v2, v2, v8
	v_or_b32_sdwa v7, v13, v7 dst_sel:WORD_1 dst_unused:UNUSED_PAD src0_sel:DWORD src1_sel:DWORD
	v_cndmask_b32_e64 v17, 0, 1, s[0:1]
	v_lshlrev_b16_e32 v9, 8, v9
	v_lshlrev_b16_e32 v16, 8, v16
	v_or_b32_sdwa v2, v2, v7 dst_sel:DWORD dst_unused:UNUSED_PAD src0_sel:WORD_0 src1_sel:DWORD
	v_lshlrev_b16_e32 v7, 8, v10
	v_lshlrev_b16_e32 v6, 8, v6
	s_add_u32 s0, s12, s11
	v_or_b32_sdwa v9, v17, v9 dst_sel:WORD_1 dst_unused:UNUSED_PAD src0_sel:DWORD src1_sel:DWORD
	v_or_b32_e32 v4, v4, v16
	v_or_b32_e32 v1, v1, v7
	v_or_b32_sdwa v6, v11, v6 dst_sel:WORD_1 dst_unused:UNUSED_PAD src0_sel:DWORD src1_sel:DWORD
	s_addc_u32 s1, s13, s33
	v_or_b32_sdwa v4, v4, v9 dst_sel:DWORD dst_unused:UNUSED_PAD src0_sel:WORD_0 src1_sel:DWORD
	v_or_b32_sdwa v1, v1, v6 dst_sel:DWORD dst_unused:UNUSED_PAD src0_sel:WORD_0 src1_sel:DWORD
	global_store_dwordx4 v5, v[1:4], s[0:1]
	s_mov_b64 s[0:1], 0
.LBB216_2:
	s_andn2_b64 vcc, exec, s[0:1]
	s_cbranch_vccnz .LBB216_52
; %bb.3:
	v_cmp_gt_i32_e32 vcc, s8, v0
	v_mov_b32_e32 v2, 0
	v_or_b32_e32 v1, s11, v0
	v_mov_b32_e32 v3, 0
	v_mov_b32_e32 v10, v0
	s_and_saveexec_b64 s[2:3], vcc
	s_cbranch_execz .LBB216_5
; %bb.4:
	global_load_ubyte v3, v1, s[14:15]
	v_or_b32_e32 v10, 0x100, v0
	s_waitcnt vmcnt(0)
	v_cmp_ne_u16_e64 s[0:1], 0, v3
	v_cndmask_b32_e64 v3, 0, 1, s[0:1]
.LBB216_5:
	s_or_b64 exec, exec, s[2:3]
	v_cmp_gt_i32_e64 s[0:1], s8, v10
	s_and_saveexec_b64 s[2:3], s[0:1]
	s_cbranch_execz .LBB216_7
; %bb.6:
	v_add_u32_e32 v2, s11, v10
	global_load_ubyte v2, v2, s[14:15]
	v_add_u32_e32 v10, 0x100, v10
	s_waitcnt vmcnt(0)
	v_cmp_ne_u16_e64 s[0:1], 0, v2
	v_cndmask_b32_e64 v2, 0, 1, s[0:1]
.LBB216_7:
	s_or_b64 exec, exec, s[2:3]
	v_cmp_gt_i32_e64 s[0:1], s8, v10
	v_mov_b32_e32 v4, 0
	v_mov_b32_e32 v5, 0
	s_and_saveexec_b64 s[2:3], s[0:1]
	s_cbranch_execz .LBB216_9
; %bb.8:
	v_add_u32_e32 v5, s11, v10
	global_load_ubyte v5, v5, s[14:15]
	v_add_u32_e32 v10, 0x100, v10
	s_waitcnt vmcnt(0)
	v_cmp_ne_u16_e64 s[0:1], 0, v5
	v_cndmask_b32_e64 v5, 0, 1, s[0:1]
.LBB216_9:
	s_or_b64 exec, exec, s[2:3]
	v_cmp_gt_i32_e64 s[0:1], s8, v10
	s_and_saveexec_b64 s[2:3], s[0:1]
	s_cbranch_execz .LBB216_11
; %bb.10:
	v_add_u32_e32 v4, s11, v10
	global_load_ubyte v4, v4, s[14:15]
	v_add_u32_e32 v10, 0x100, v10
	s_waitcnt vmcnt(0)
	v_cmp_ne_u16_e64 s[0:1], 0, v4
	v_cndmask_b32_e64 v4, 0, 1, s[0:1]
.LBB216_11:
	s_or_b64 exec, exec, s[2:3]
	v_cmp_gt_i32_e64 s[0:1], s8, v10
	v_mov_b32_e32 v6, 0
	v_mov_b32_e32 v7, 0
	s_and_saveexec_b64 s[2:3], s[0:1]
	s_cbranch_execz .LBB216_13
; %bb.12:
	v_add_u32_e32 v7, s11, v10
	global_load_ubyte v7, v7, s[14:15]
	v_add_u32_e32 v10, 0x100, v10
	s_waitcnt vmcnt(0)
	v_cmp_ne_u16_e64 s[0:1], 0, v7
	v_cndmask_b32_e64 v7, 0, 1, s[0:1]
.LBB216_13:
	;; [unrolled: 26-line block ×7, first 2 shown]
	s_or_b64 exec, exec, s[2:3]
	v_cmp_gt_i32_e64 s[0:1], s8, v10
	s_and_saveexec_b64 s[2:3], s[0:1]
	s_cbranch_execz .LBB216_35
; %bb.34:
	v_add_u32_e32 v10, s11, v10
	global_load_ubyte v10, v10, s[14:15]
	s_waitcnt vmcnt(0)
	v_cmp_ne_u16_e64 s[0:1], 0, v10
	v_cndmask_b32_e64 v17, 0, 1, s[0:1]
.LBB216_35:
	s_or_b64 exec, exec, s[2:3]
	v_xor_b32_e32 v3, s10, v3
	s_cmp_eq_u32 s9, 0
	v_and_b32_e32 v3, 1, v3
	s_cselect_b64 s[2:3], -1, 0
	v_cmp_eq_u32_e64 s[0:1], 1, v3
	v_xor_b32_e32 v2, s10, v2
	s_xor_b64 s[0:1], s[2:3], s[0:1]
	v_and_b32_e32 v2, 1, v2
	v_cndmask_b32_e64 v3, 0, 1, s[0:1]
	v_cmp_eq_u32_e64 s[0:1], 1, v2
	s_xor_b64 s[0:1], s[2:3], s[0:1]
	v_cndmask_b32_e64 v2, 0, 1, s[0:1]
	v_cndmask_b32_e32 v3, 0, v3, vcc
	v_lshlrev_b16_e32 v2, 8, v2
	v_or_b32_e32 v10, 0x100, v0
	v_or_b32_e32 v2, v3, v2
	v_xor_b32_e32 v5, s10, v5
	v_and_b32_e32 v2, 0xffff, v2
	v_cmp_gt_i32_e64 s[0:1], s8, v10
	v_and_b32_e32 v5, 1, v5
	v_cndmask_b32_e64 v2, v3, v2, s[0:1]
	v_cmp_eq_u32_e64 s[0:1], 1, v5
	s_xor_b64 s[0:1], s[2:3], s[0:1]
	v_or_b32_e32 v3, 0x200, v0
	v_cndmask_b32_e64 v5, 0, 1, s[0:1]
	v_xor_b32_e32 v4, s10, v4
	v_lshl_or_b32 v5, v5, 16, v2
	v_cmp_gt_i32_e64 s[0:1], s8, v3
	v_and_b32_e32 v4, 1, v4
	v_cndmask_b32_e64 v2, v2, v5, s[0:1]
	v_cmp_eq_u32_e64 s[0:1], 1, v4
	s_xor_b64 s[0:1], s[2:3], s[0:1]
	s_movk_i32 s5, 0xff
	v_cndmask_b32_e64 v4, 0, 1, s[0:1]
	v_and_b32_sdwa v3, v2, s5 dst_sel:DWORD dst_unused:UNUSED_PAD src0_sel:WORD_1 src1_sel:DWORD
	v_lshlrev_b16_e32 v4, 8, v4
	s_mov_b32 s4, 0xffff
	v_or_b32_e32 v5, 0x300, v0
	v_or_b32_sdwa v3, v3, v4 dst_sel:WORD_1 dst_unused:UNUSED_PAD src0_sel:DWORD src1_sel:DWORD
	v_and_or_b32 v3, v2, s4, v3
	v_cmp_gt_i32_e64 s[0:1], s8, v5
	v_cndmask_b32_e64 v5, v2, v3, s[0:1]
	v_xor_b32_e32 v2, s10, v7
	v_and_b32_e32 v2, 1, v2
	v_cmp_eq_u32_e64 s[0:1], 1, v2
	s_xor_b64 s[0:1], s[2:3], s[0:1]
	v_cndmask_b32_e64 v2, 0, 1, s[0:1]
	v_or_b32_e32 v3, 0x400, v0
	v_xor_b32_e32 v4, s10, v6
	v_and_b32_e32 v2, 0xffff, v2
	v_cmp_gt_i32_e64 s[0:1], s8, v3
	v_and_b32_e32 v4, 1, v4
	v_cndmask_b32_e64 v2, 0, v2, s[0:1]
	v_cmp_eq_u32_e64 s[0:1], 1, v4
	s_xor_b64 s[0:1], s[2:3], s[0:1]
	v_cndmask_b32_e64 v4, 0, 1, s[0:1]
	v_lshlrev_b16_e32 v4, 8, v4
	v_or_b32_e32 v3, 0x500, v0
	v_or_b32_sdwa v4, v2, v4 dst_sel:DWORD dst_unused:UNUSED_PAD src0_sel:BYTE_0 src1_sel:DWORD
	v_and_b32_e32 v4, 0xffff, v4
	v_cmp_gt_i32_e64 s[0:1], s8, v3
	v_cndmask_b32_e64 v2, v2, v4, s[0:1]
	v_xor_b32_e32 v4, s10, v9
	v_and_b32_e32 v4, 1, v4
	v_cmp_eq_u32_e64 s[0:1], 1, v4
	s_movk_i32 s6, 0xff00
	s_xor_b64 s[0:1], s[2:3], s[0:1]
	v_and_b32_sdwa v3, v2, s6 dst_sel:DWORD dst_unused:UNUSED_PAD src0_sel:WORD_1 src1_sel:DWORD
	v_cndmask_b32_e64 v4, 0, 1, s[0:1]
	v_or_b32_sdwa v3, v4, v3 dst_sel:WORD_1 dst_unused:UNUSED_PAD src0_sel:DWORD src1_sel:DWORD
	v_or_b32_e32 v4, 0x600, v0
	v_xor_b32_e32 v6, s10, v8
	v_and_or_b32 v3, v2, s4, v3
	v_cmp_gt_i32_e64 s[0:1], s8, v4
	v_and_b32_e32 v6, 1, v6
	v_cndmask_b32_e64 v2, v2, v3, s[0:1]
	v_cmp_eq_u32_e64 s[0:1], 1, v6
	s_xor_b64 s[0:1], s[2:3], s[0:1]
	v_cndmask_b32_e64 v6, 0, 1, s[0:1]
	v_and_b32_sdwa v3, v2, s5 dst_sel:DWORD dst_unused:UNUSED_PAD src0_sel:WORD_1 src1_sel:DWORD
	v_lshlrev_b16_e32 v6, 8, v6
	v_or_b32_e32 v4, 0x700, v0
	v_or_b32_sdwa v3, v3, v6 dst_sel:WORD_1 dst_unused:UNUSED_PAD src0_sel:DWORD src1_sel:DWORD
	v_and_or_b32 v3, v2, s4, v3
	v_cmp_gt_i32_e64 s[0:1], s8, v4
	v_cndmask_b32_e64 v4, v2, v3, s[0:1]
	v_xor_b32_e32 v3, s10, v12
	v_and_b32_e32 v3, 1, v3
	v_cmp_eq_u32_e64 s[0:1], 1, v3
	v_or_b32_e32 v2, 0x800, v0
	s_xor_b64 s[0:1], s[2:3], s[0:1]
	v_xor_b32_e32 v6, s10, v11
	v_cndmask_b32_e64 v3, 0, 1, s[0:1]
	v_cmp_gt_i32_e64 s[0:1], s8, v2
	v_and_b32_e32 v6, 1, v6
	v_cndmask_b32_e64 v2, 0, v3, s[0:1]
	v_cmp_eq_u32_e64 s[0:1], 1, v6
	s_xor_b64 s[0:1], s[2:3], s[0:1]
	v_cndmask_b32_e64 v6, 0, 1, s[0:1]
	v_lshlrev_b16_e32 v6, 8, v6
	v_or_b32_e32 v3, 0x900, v0
	v_or_b32_e32 v6, v2, v6
	v_and_b32_e32 v6, 0xffff, v6
	v_cmp_gt_i32_e64 s[0:1], s8, v3
	v_cndmask_b32_e64 v2, v2, v6, s[0:1]
	v_xor_b32_e32 v6, s10, v14
	v_and_b32_e32 v6, 1, v6
	v_cmp_eq_u32_e64 s[0:1], 1, v6
	s_xor_b64 s[0:1], s[2:3], s[0:1]
	v_cndmask_b32_e64 v6, 0, 1, s[0:1]
	v_or_b32_e32 v3, 0xa00, v0
	v_lshlrev_b32_e32 v6, 16, v6
	s_movk_i32 s0, 0x1ff
	v_xor_b32_e32 v7, s10, v13
	v_and_or_b32 v6, v2, s0, v6
	v_cmp_gt_i32_e64 s[0:1], s8, v3
	v_and_b32_e32 v7, 1, v7
	v_cndmask_b32_e64 v2, v2, v6, s[0:1]
	v_cmp_eq_u32_e64 s[0:1], 1, v7
	s_xor_b64 s[0:1], s[2:3], s[0:1]
	v_cndmask_b32_e64 v7, 0, 1, s[0:1]
	v_and_b32_sdwa v3, v2, s5 dst_sel:DWORD dst_unused:UNUSED_PAD src0_sel:WORD_1 src1_sel:DWORD
	v_or_b32_e32 v6, 0xb00, v0
	v_lshlrev_b16_e32 v7, 8, v7
	v_or_b32_sdwa v3, v3, v7 dst_sel:WORD_1 dst_unused:UNUSED_PAD src0_sel:DWORD src1_sel:DWORD
	v_cmp_gt_i32_e64 s[0:1], s8, v6
	v_xor_b32_e32 v6, s10, v16
	v_and_or_b32 v3, v2, s4, v3
	v_and_b32_e32 v6, 1, v6
	v_cndmask_b32_e64 v3, v2, v3, s[0:1]
	v_cmp_eq_u32_e64 s[0:1], 1, v6
	v_or_b32_e32 v2, 0xc00, v0
	s_xor_b64 s[0:1], s[2:3], s[0:1]
	v_xor_b32_e32 v7, s10, v15
	v_cndmask_b32_e64 v6, 0, 1, s[0:1]
	v_cmp_gt_i32_e64 s[0:1], s8, v2
	v_and_b32_e32 v7, 1, v7
	v_cndmask_b32_e64 v2, 0, v6, s[0:1]
	v_cmp_eq_u32_e64 s[0:1], 1, v7
	s_xor_b64 s[0:1], s[2:3], s[0:1]
	v_cndmask_b32_e64 v7, 0, 1, s[0:1]
	v_lshlrev_b16_e32 v7, 8, v7
	v_or_b32_e32 v6, 0xd00, v0
	v_or_b32_sdwa v7, v2, v7 dst_sel:DWORD dst_unused:UNUSED_PAD src0_sel:BYTE_0 src1_sel:DWORD
	v_and_b32_e32 v7, 0xffff, v7
	v_cmp_gt_i32_e64 s[0:1], s8, v6
	v_cndmask_b32_e64 v2, v2, v7, s[0:1]
	v_xor_b32_e32 v7, s10, v18
	v_and_b32_e32 v7, 1, v7
	v_cmp_eq_u32_e64 s[0:1], 1, v7
	s_xor_b64 s[0:1], s[2:3], s[0:1]
	v_and_b32_sdwa v6, v2, s6 dst_sel:DWORD dst_unused:UNUSED_PAD src0_sel:WORD_1 src1_sel:DWORD
	v_cndmask_b32_e64 v7, 0, 1, s[0:1]
	v_or_b32_sdwa v6, v7, v6 dst_sel:WORD_1 dst_unused:UNUSED_PAD src0_sel:DWORD src1_sel:DWORD
	v_or_b32_e32 v7, 0xe00, v0
	v_xor_b32_e32 v8, s10, v17
	v_and_or_b32 v6, v2, s4, v6
	v_cmp_gt_i32_e64 s[0:1], s8, v7
	v_and_b32_e32 v8, 1, v8
	v_cndmask_b32_e64 v2, v2, v6, s[0:1]
	v_cmp_eq_u32_e64 s[0:1], 1, v8
	s_xor_b64 s[0:1], s[2:3], s[0:1]
	v_cndmask_b32_e64 v8, 0, 1, s[0:1]
	v_and_b32_sdwa v6, v2, s5 dst_sel:DWORD dst_unused:UNUSED_PAD src0_sel:WORD_1 src1_sel:DWORD
	v_lshlrev_b16_e32 v8, 8, v8
	v_or_b32_e32 v7, 0xf00, v0
	v_or_b32_sdwa v6, v6, v8 dst_sel:WORD_1 dst_unused:UNUSED_PAD src0_sel:DWORD src1_sel:DWORD
	v_and_or_b32 v6, v2, s4, v6
	v_cmp_gt_i32_e64 s[0:1], s8, v7
	v_cndmask_b32_e64 v2, v2, v6, s[0:1]
	s_and_saveexec_b64 s[0:1], vcc
	s_cbranch_execnz .LBB216_53
; %bb.36:
	s_or_b64 exec, exec, s[0:1]
	v_cmp_gt_i32_e32 vcc, s8, v0
	s_and_saveexec_b64 s[0:1], vcc
	s_cbranch_execnz .LBB216_54
.LBB216_37:
	s_or_b64 exec, exec, s[0:1]
	v_cmp_gt_i32_e32 vcc, s8, v0
	s_and_saveexec_b64 s[0:1], vcc
	s_cbranch_execnz .LBB216_55
.LBB216_38:
	s_or_b64 exec, exec, s[0:1]
	v_cmp_gt_i32_e32 vcc, s8, v0
	s_and_saveexec_b64 s[0:1], vcc
	s_cbranch_execnz .LBB216_56
.LBB216_39:
	s_or_b64 exec, exec, s[0:1]
	v_cmp_gt_i32_e32 vcc, s8, v0
	s_and_saveexec_b64 s[0:1], vcc
	s_cbranch_execnz .LBB216_57
.LBB216_40:
	s_or_b64 exec, exec, s[0:1]
	v_cmp_gt_i32_e32 vcc, s8, v0
	s_and_saveexec_b64 s[0:1], vcc
	s_cbranch_execnz .LBB216_58
.LBB216_41:
	s_or_b64 exec, exec, s[0:1]
	v_cmp_gt_i32_e32 vcc, s8, v0
	s_and_saveexec_b64 s[0:1], vcc
	s_cbranch_execnz .LBB216_59
.LBB216_42:
	s_or_b64 exec, exec, s[0:1]
	v_cmp_gt_i32_e32 vcc, s8, v0
	s_and_saveexec_b64 s[0:1], vcc
	s_cbranch_execnz .LBB216_60
.LBB216_43:
	s_or_b64 exec, exec, s[0:1]
	v_cmp_gt_i32_e32 vcc, s8, v0
	s_and_saveexec_b64 s[0:1], vcc
	s_cbranch_execnz .LBB216_61
.LBB216_44:
	s_or_b64 exec, exec, s[0:1]
	v_cmp_gt_i32_e32 vcc, s8, v0
	s_and_saveexec_b64 s[0:1], vcc
	s_cbranch_execnz .LBB216_62
.LBB216_45:
	s_or_b64 exec, exec, s[0:1]
	v_cmp_gt_i32_e32 vcc, s8, v0
	s_and_saveexec_b64 s[0:1], vcc
	s_cbranch_execnz .LBB216_63
.LBB216_46:
	s_or_b64 exec, exec, s[0:1]
	v_cmp_gt_i32_e32 vcc, s8, v0
	s_and_saveexec_b64 s[0:1], vcc
	s_cbranch_execnz .LBB216_64
.LBB216_47:
	s_or_b64 exec, exec, s[0:1]
	v_cmp_gt_i32_e32 vcc, s8, v0
	s_and_saveexec_b64 s[0:1], vcc
	s_cbranch_execnz .LBB216_65
.LBB216_48:
	s_or_b64 exec, exec, s[0:1]
	v_cmp_gt_i32_e32 vcc, s8, v0
	s_and_saveexec_b64 s[0:1], vcc
	s_cbranch_execnz .LBB216_66
.LBB216_49:
	s_or_b64 exec, exec, s[0:1]
	v_cmp_gt_i32_e32 vcc, s8, v0
	s_and_saveexec_b64 s[0:1], vcc
	s_cbranch_execnz .LBB216_67
.LBB216_50:
	s_or_b64 exec, exec, s[0:1]
	v_cmp_gt_i32_e32 vcc, s8, v0
	s_and_saveexec_b64 s[0:1], vcc
	s_cbranch_execz .LBB216_52
.LBB216_51:
	v_lshrrev_b32_e32 v1, 24, v2
	v_add_u32_e32 v0, s11, v0
	global_store_byte v0, v1, s[12:13]
.LBB216_52:
	s_endpgm
.LBB216_53:
	v_mov_b32_e32 v0, v10
	global_store_byte v1, v5, s[12:13]
	s_or_b64 exec, exec, s[0:1]
	v_cmp_gt_i32_e32 vcc, s8, v0
	s_and_saveexec_b64 s[0:1], vcc
	s_cbranch_execz .LBB216_37
.LBB216_54:
	v_lshrrev_b32_e32 v1, 8, v5
	v_add_u32_e32 v6, s11, v0
	v_add_u32_e32 v0, 0x100, v0
	global_store_byte v6, v1, s[12:13]
	s_or_b64 exec, exec, s[0:1]
	v_cmp_gt_i32_e32 vcc, s8, v0
	s_and_saveexec_b64 s[0:1], vcc
	s_cbranch_execz .LBB216_38
.LBB216_55:
	v_add_u32_e32 v1, s11, v0
	v_add_u32_e32 v0, 0x100, v0
	global_store_byte_d16_hi v1, v5, s[12:13]
	s_or_b64 exec, exec, s[0:1]
	v_cmp_gt_i32_e32 vcc, s8, v0
	s_and_saveexec_b64 s[0:1], vcc
	s_cbranch_execz .LBB216_39
.LBB216_56:
	v_lshrrev_b32_e32 v1, 24, v5
	v_add_u32_e32 v5, s11, v0
	v_add_u32_e32 v0, 0x100, v0
	global_store_byte v5, v1, s[12:13]
	s_or_b64 exec, exec, s[0:1]
	v_cmp_gt_i32_e32 vcc, s8, v0
	s_and_saveexec_b64 s[0:1], vcc
	s_cbranch_execz .LBB216_40
.LBB216_57:
	v_add_u32_e32 v1, s11, v0
	v_add_u32_e32 v0, 0x100, v0
	global_store_byte v1, v4, s[12:13]
	s_or_b64 exec, exec, s[0:1]
	v_cmp_gt_i32_e32 vcc, s8, v0
	s_and_saveexec_b64 s[0:1], vcc
	s_cbranch_execz .LBB216_41
.LBB216_58:
	v_lshrrev_b32_e32 v1, 8, v4
	v_add_u32_e32 v5, s11, v0
	v_add_u32_e32 v0, 0x100, v0
	global_store_byte v5, v1, s[12:13]
	s_or_b64 exec, exec, s[0:1]
	v_cmp_gt_i32_e32 vcc, s8, v0
	s_and_saveexec_b64 s[0:1], vcc
	s_cbranch_execz .LBB216_42
.LBB216_59:
	v_add_u32_e32 v1, s11, v0
	v_add_u32_e32 v0, 0x100, v0
	global_store_byte_d16_hi v1, v4, s[12:13]
	s_or_b64 exec, exec, s[0:1]
	v_cmp_gt_i32_e32 vcc, s8, v0
	s_and_saveexec_b64 s[0:1], vcc
	s_cbranch_execz .LBB216_43
.LBB216_60:
	v_lshrrev_b32_e32 v1, 24, v4
	v_add_u32_e32 v4, s11, v0
	v_add_u32_e32 v0, 0x100, v0
	global_store_byte v4, v1, s[12:13]
	s_or_b64 exec, exec, s[0:1]
	v_cmp_gt_i32_e32 vcc, s8, v0
	s_and_saveexec_b64 s[0:1], vcc
	s_cbranch_execz .LBB216_44
.LBB216_61:
	v_add_u32_e32 v1, s11, v0
	v_add_u32_e32 v0, 0x100, v0
	global_store_byte v1, v3, s[12:13]
	s_or_b64 exec, exec, s[0:1]
	v_cmp_gt_i32_e32 vcc, s8, v0
	s_and_saveexec_b64 s[0:1], vcc
	s_cbranch_execz .LBB216_45
.LBB216_62:
	v_lshrrev_b32_e32 v1, 8, v3
	v_add_u32_e32 v4, s11, v0
	v_add_u32_e32 v0, 0x100, v0
	global_store_byte v4, v1, s[12:13]
	s_or_b64 exec, exec, s[0:1]
	v_cmp_gt_i32_e32 vcc, s8, v0
	s_and_saveexec_b64 s[0:1], vcc
	s_cbranch_execz .LBB216_46
.LBB216_63:
	v_add_u32_e32 v1, s11, v0
	v_add_u32_e32 v0, 0x100, v0
	global_store_byte_d16_hi v1, v3, s[12:13]
	s_or_b64 exec, exec, s[0:1]
	v_cmp_gt_i32_e32 vcc, s8, v0
	s_and_saveexec_b64 s[0:1], vcc
	s_cbranch_execz .LBB216_47
.LBB216_64:
	v_lshrrev_b32_e32 v1, 24, v3
	v_add_u32_e32 v3, s11, v0
	v_add_u32_e32 v0, 0x100, v0
	global_store_byte v3, v1, s[12:13]
	s_or_b64 exec, exec, s[0:1]
	v_cmp_gt_i32_e32 vcc, s8, v0
	s_and_saveexec_b64 s[0:1], vcc
	s_cbranch_execz .LBB216_48
.LBB216_65:
	v_add_u32_e32 v1, s11, v0
	v_add_u32_e32 v0, 0x100, v0
	global_store_byte v1, v2, s[12:13]
	s_or_b64 exec, exec, s[0:1]
	v_cmp_gt_i32_e32 vcc, s8, v0
	s_and_saveexec_b64 s[0:1], vcc
	s_cbranch_execz .LBB216_49
.LBB216_66:
	v_lshrrev_b32_e32 v1, 8, v2
	v_add_u32_e32 v3, s11, v0
	v_add_u32_e32 v0, 0x100, v0
	global_store_byte v3, v1, s[12:13]
	s_or_b64 exec, exec, s[0:1]
	v_cmp_gt_i32_e32 vcc, s8, v0
	s_and_saveexec_b64 s[0:1], vcc
	s_cbranch_execz .LBB216_50
.LBB216_67:
	v_add_u32_e32 v1, s11, v0
	v_add_u32_e32 v0, 0x100, v0
	global_store_byte_d16_hi v1, v2, s[12:13]
	s_or_b64 exec, exec, s[0:1]
	v_cmp_gt_i32_e32 vcc, s8, v0
	s_and_saveexec_b64 s[0:1], vcc
	s_cbranch_execnz .LBB216_51
	s_branch .LBB216_52
	.section	.rodata,"a",@progbits
	.p2align	6, 0x0
	.amdhsa_kernel _ZN2at6native29vectorized_elementwise_kernelILi16ENS0_13AUnaryFunctorIbbbNS0_12_GLOBAL__N_116CompareEqFunctorIbEEEESt5arrayIPcLm2EEEEviT0_T1_
		.amdhsa_group_segment_fixed_size 0
		.amdhsa_private_segment_fixed_size 0
		.amdhsa_kernarg_size 32
		.amdhsa_user_sgpr_count 6
		.amdhsa_user_sgpr_private_segment_buffer 1
		.amdhsa_user_sgpr_dispatch_ptr 0
		.amdhsa_user_sgpr_queue_ptr 0
		.amdhsa_user_sgpr_kernarg_segment_ptr 1
		.amdhsa_user_sgpr_dispatch_id 0
		.amdhsa_user_sgpr_flat_scratch_init 0
		.amdhsa_user_sgpr_private_segment_size 0
		.amdhsa_uses_dynamic_stack 0
		.amdhsa_system_sgpr_private_segment_wavefront_offset 0
		.amdhsa_system_sgpr_workgroup_id_x 1
		.amdhsa_system_sgpr_workgroup_id_y 0
		.amdhsa_system_sgpr_workgroup_id_z 0
		.amdhsa_system_sgpr_workgroup_info 0
		.amdhsa_system_vgpr_workitem_id 0
		.amdhsa_next_free_vgpr 19
		.amdhsa_next_free_sgpr 44
		.amdhsa_reserve_vcc 1
		.amdhsa_reserve_flat_scratch 0
		.amdhsa_float_round_mode_32 0
		.amdhsa_float_round_mode_16_64 0
		.amdhsa_float_denorm_mode_32 3
		.amdhsa_float_denorm_mode_16_64 3
		.amdhsa_dx10_clamp 1
		.amdhsa_ieee_mode 1
		.amdhsa_fp16_overflow 0
		.amdhsa_exception_fp_ieee_invalid_op 0
		.amdhsa_exception_fp_denorm_src 0
		.amdhsa_exception_fp_ieee_div_zero 0
		.amdhsa_exception_fp_ieee_overflow 0
		.amdhsa_exception_fp_ieee_underflow 0
		.amdhsa_exception_fp_ieee_inexact 0
		.amdhsa_exception_int_div_zero 0
	.end_amdhsa_kernel
	.section	.text._ZN2at6native29vectorized_elementwise_kernelILi16ENS0_13AUnaryFunctorIbbbNS0_12_GLOBAL__N_116CompareEqFunctorIbEEEESt5arrayIPcLm2EEEEviT0_T1_,"axG",@progbits,_ZN2at6native29vectorized_elementwise_kernelILi16ENS0_13AUnaryFunctorIbbbNS0_12_GLOBAL__N_116CompareEqFunctorIbEEEESt5arrayIPcLm2EEEEviT0_T1_,comdat
.Lfunc_end216:
	.size	_ZN2at6native29vectorized_elementwise_kernelILi16ENS0_13AUnaryFunctorIbbbNS0_12_GLOBAL__N_116CompareEqFunctorIbEEEESt5arrayIPcLm2EEEEviT0_T1_, .Lfunc_end216-_ZN2at6native29vectorized_elementwise_kernelILi16ENS0_13AUnaryFunctorIbbbNS0_12_GLOBAL__N_116CompareEqFunctorIbEEEESt5arrayIPcLm2EEEEviT0_T1_
                                        ; -- End function
	.set _ZN2at6native29vectorized_elementwise_kernelILi16ENS0_13AUnaryFunctorIbbbNS0_12_GLOBAL__N_116CompareEqFunctorIbEEEESt5arrayIPcLm2EEEEviT0_T1_.num_vgpr, 19
	.set _ZN2at6native29vectorized_elementwise_kernelILi16ENS0_13AUnaryFunctorIbbbNS0_12_GLOBAL__N_116CompareEqFunctorIbEEEESt5arrayIPcLm2EEEEviT0_T1_.num_agpr, 0
	.set _ZN2at6native29vectorized_elementwise_kernelILi16ENS0_13AUnaryFunctorIbbbNS0_12_GLOBAL__N_116CompareEqFunctorIbEEEESt5arrayIPcLm2EEEEviT0_T1_.numbered_sgpr, 44
	.set _ZN2at6native29vectorized_elementwise_kernelILi16ENS0_13AUnaryFunctorIbbbNS0_12_GLOBAL__N_116CompareEqFunctorIbEEEESt5arrayIPcLm2EEEEviT0_T1_.num_named_barrier, 0
	.set _ZN2at6native29vectorized_elementwise_kernelILi16ENS0_13AUnaryFunctorIbbbNS0_12_GLOBAL__N_116CompareEqFunctorIbEEEESt5arrayIPcLm2EEEEviT0_T1_.private_seg_size, 0
	.set _ZN2at6native29vectorized_elementwise_kernelILi16ENS0_13AUnaryFunctorIbbbNS0_12_GLOBAL__N_116CompareEqFunctorIbEEEESt5arrayIPcLm2EEEEviT0_T1_.uses_vcc, 1
	.set _ZN2at6native29vectorized_elementwise_kernelILi16ENS0_13AUnaryFunctorIbbbNS0_12_GLOBAL__N_116CompareEqFunctorIbEEEESt5arrayIPcLm2EEEEviT0_T1_.uses_flat_scratch, 0
	.set _ZN2at6native29vectorized_elementwise_kernelILi16ENS0_13AUnaryFunctorIbbbNS0_12_GLOBAL__N_116CompareEqFunctorIbEEEESt5arrayIPcLm2EEEEviT0_T1_.has_dyn_sized_stack, 0
	.set _ZN2at6native29vectorized_elementwise_kernelILi16ENS0_13AUnaryFunctorIbbbNS0_12_GLOBAL__N_116CompareEqFunctorIbEEEESt5arrayIPcLm2EEEEviT0_T1_.has_recursion, 0
	.set _ZN2at6native29vectorized_elementwise_kernelILi16ENS0_13AUnaryFunctorIbbbNS0_12_GLOBAL__N_116CompareEqFunctorIbEEEESt5arrayIPcLm2EEEEviT0_T1_.has_indirect_call, 0
	.section	.AMDGPU.csdata,"",@progbits
; Kernel info:
; codeLenInByte = 3600
; TotalNumSgprs: 48
; NumVgprs: 19
; ScratchSize: 0
; MemoryBound: 0
; FloatMode: 240
; IeeeMode: 1
; LDSByteSize: 0 bytes/workgroup (compile time only)
; SGPRBlocks: 5
; VGPRBlocks: 4
; NumSGPRsForWavesPerEU: 48
; NumVGPRsForWavesPerEU: 19
; Occupancy: 10
; WaveLimiterHint : 0
; COMPUTE_PGM_RSRC2:SCRATCH_EN: 0
; COMPUTE_PGM_RSRC2:USER_SGPR: 6
; COMPUTE_PGM_RSRC2:TRAP_HANDLER: 0
; COMPUTE_PGM_RSRC2:TGID_X_EN: 1
; COMPUTE_PGM_RSRC2:TGID_Y_EN: 0
; COMPUTE_PGM_RSRC2:TGID_Z_EN: 0
; COMPUTE_PGM_RSRC2:TIDIG_COMP_CNT: 0
	.section	.text._ZN2at6native29vectorized_elementwise_kernelILi8ENS0_13AUnaryFunctorIbbbNS0_12_GLOBAL__N_116CompareEqFunctorIbEEEESt5arrayIPcLm2EEEEviT0_T1_,"axG",@progbits,_ZN2at6native29vectorized_elementwise_kernelILi8ENS0_13AUnaryFunctorIbbbNS0_12_GLOBAL__N_116CompareEqFunctorIbEEEESt5arrayIPcLm2EEEEviT0_T1_,comdat
	.globl	_ZN2at6native29vectorized_elementwise_kernelILi8ENS0_13AUnaryFunctorIbbbNS0_12_GLOBAL__N_116CompareEqFunctorIbEEEESt5arrayIPcLm2EEEEviT0_T1_ ; -- Begin function _ZN2at6native29vectorized_elementwise_kernelILi8ENS0_13AUnaryFunctorIbbbNS0_12_GLOBAL__N_116CompareEqFunctorIbEEEESt5arrayIPcLm2EEEEviT0_T1_
	.p2align	8
	.type	_ZN2at6native29vectorized_elementwise_kernelILi8ENS0_13AUnaryFunctorIbbbNS0_12_GLOBAL__N_116CompareEqFunctorIbEEEESt5arrayIPcLm2EEEEviT0_T1_,@function
_ZN2at6native29vectorized_elementwise_kernelILi8ENS0_13AUnaryFunctorIbbbNS0_12_GLOBAL__N_116CompareEqFunctorIbEEEESt5arrayIPcLm2EEEEviT0_T1_: ; @_ZN2at6native29vectorized_elementwise_kernelILi8ENS0_13AUnaryFunctorIbbbNS0_12_GLOBAL__N_116CompareEqFunctorIbEEEESt5arrayIPcLm2EEEEviT0_T1_
; %bb.0:
	s_load_dwordx8 s[24:31], s[4:5], 0x0
	s_waitcnt lgkmcnt(0)
	s_lshl_b32 s27, s6, 12
	s_mov_b64 s[0:1], -1
	s_sub_i32 s24, s24, s27
	s_cmpk_gt_i32 s24, 0xfff
	s_cbranch_scc0 .LBB217_2
; %bb.1:
	s_bitcmp1_b32 s26, 0
	s_cselect_b64 s[22:23], -1, 0
	s_ashr_i32 s33, s27, 31
	s_add_u32 s0, s30, s27
	s_addc_u32 s1, s31, s33
	v_lshlrev_b32_e32 v5, 3, v0
	global_load_dwordx2 v[1:2], v5, s[0:1]
	global_load_dwordx2 v[3:4], v5, s[0:1] offset:2048
	s_mov_b32 s4, 0xffffff
	v_mov_b32_e32 v6, 0
	s_cmp_eq_u32 s25, 0
	s_cselect_b64 s[34:35], -1, 0
	s_waitcnt vmcnt(1)
	v_cmp_lt_u32_e64 s[0:1], s4, v2
	s_waitcnt vmcnt(0)
	v_cmp_ne_u32_sdwa s[40:41], v3, v6 src0_sel:BYTE_0 src1_sel:DWORD
	s_xor_b64 s[0:1], s[0:1], s[22:23]
	v_cmp_ne_u32_sdwa s[36:37], v1, v6 src0_sel:BYTE_0 src1_sel:DWORD
	v_and_b32_e32 v7, 0xff00, v1
	v_and_b32_e32 v8, 0xff0000, v1
	v_cmp_lt_u32_e32 vcc, s4, v1
	v_and_b32_e32 v1, 0xff00, v3
	v_cmp_lt_u32_e64 s[2:3], s4, v3
	v_cmp_lt_u32_e64 s[4:5], s4, v4
	s_xor_b64 s[40:41], s[40:41], s[22:23]
	s_xor_b64 s[0:1], s[34:35], s[0:1]
	v_cmp_ne_u32_sdwa s[38:39], v2, v6 src0_sel:BYTE_0 src1_sel:DWORD
	v_and_b32_e32 v9, 0xff00, v2
	v_and_b32_e32 v10, 0xff0000, v2
	;; [unrolled: 1-line block ×3, first 2 shown]
	v_cmp_ne_u32_e64 s[6:7], 0, v7
	v_cmp_ne_u32_e64 s[14:15], 0, v1
	s_xor_b64 s[4:5], s[4:5], s[22:23]
	v_cndmask_b32_e64 v7, 0, 1, s[0:1]
	s_xor_b64 s[0:1], s[34:35], s[40:41]
	v_cmp_ne_u32_e64 s[8:9], 0, v8
	v_cmp_ne_u32_e64 s[16:17], 0, v2
	s_xor_b64 s[2:3], s[2:3], s[22:23]
	s_xor_b64 s[6:7], s[6:7], s[22:23]
	v_cndmask_b32_e64 v1, 0, 1, s[0:1]
	s_xor_b64 s[0:1], s[14:15], s[22:23]
	s_xor_b64 s[4:5], s[34:35], s[4:5]
	v_cmp_ne_u32_e64 s[10:11], 0, v9
	s_xor_b64 s[36:37], s[36:37], s[22:23]
	s_xor_b64 s[8:9], s[8:9], s[22:23]
	;; [unrolled: 1-line block ×4, first 2 shown]
	v_cndmask_b32_e64 v9, 0, 1, s[4:5]
	s_xor_b64 s[4:5], s[34:35], s[6:7]
	s_xor_b64 s[0:1], s[34:35], s[0:1]
	v_cmp_ne_u32_sdwa s[42:43], v4, v6 src0_sel:BYTE_0 src1_sel:DWORD
	v_and_b32_e32 v11, 0xff0000, v4
	v_cmp_ne_u32_e64 s[12:13], 0, v10
	s_xor_b64 s[44:45], vcc, s[22:23]
	s_xor_b64 s[36:37], s[34:35], s[36:37]
	s_xor_b64 s[10:11], s[10:11], s[22:23]
	v_cndmask_b32_e64 v8, 0, 1, s[2:3]
	v_cndmask_b32_e64 v10, 0, 1, s[4:5]
	s_xor_b64 s[4:5], s[34:35], s[8:9]
	v_cndmask_b32_e64 v14, 0, 1, s[0:1]
	s_xor_b64 s[0:1], s[34:35], s[14:15]
	v_and_b32_e32 v6, 0xff00, v4
	v_cmp_ne_u32_e64 s[20:21], 0, v11
	s_xor_b64 s[38:39], s[38:39], s[22:23]
	s_xor_b64 s[42:43], s[42:43], s[22:23]
	v_cndmask_b32_e64 v3, 0, 1, s[36:37]
	s_xor_b64 s[36:37], s[34:35], s[44:45]
	s_xor_b64 s[12:13], s[12:13], s[22:23]
	v_cndmask_b32_e64 v11, 0, 1, s[4:5]
	s_xor_b64 s[4:5], s[34:35], s[10:11]
	v_cndmask_b32_e64 v15, 0, 1, s[0:1]
	v_lshlrev_b16_e32 v14, 8, v14
	v_lshlrev_b16_e32 v8, 8, v8
	v_cmp_ne_u32_e64 s[18:19], 0, v6
	v_cndmask_b32_e64 v6, 0, 1, s[36:37]
	s_xor_b64 s[36:37], s[34:35], s[38:39]
	s_xor_b64 s[2:3], s[34:35], s[42:43]
	v_cndmask_b32_e64 v12, 0, 1, s[4:5]
	s_xor_b64 s[4:5], s[34:35], s[12:13]
	v_or_b32_e32 v1, v1, v14
	v_or_b32_sdwa v8, v15, v8 dst_sel:WORD_1 dst_unused:UNUSED_PAD src0_sel:DWORD src1_sel:DWORD
	v_cndmask_b32_e64 v4, 0, 1, s[36:37]
	v_cndmask_b32_e64 v2, 0, 1, s[2:3]
	s_xor_b64 s[2:3], s[18:19], s[22:23]
	v_cndmask_b32_e64 v13, 0, 1, s[4:5]
	v_or_b32_sdwa v1, v1, v8 dst_sel:DWORD dst_unused:UNUSED_PAD src0_sel:WORD_0 src1_sel:DWORD
	v_lshlrev_b16_e32 v8, 8, v12
	v_lshlrev_b16_e32 v7, 8, v7
	s_xor_b64 s[16:17], s[20:21], s[22:23]
	s_xor_b64 s[0:1], s[34:35], s[2:3]
	v_or_b32_e32 v4, v4, v8
	v_or_b32_sdwa v7, v13, v7 dst_sel:WORD_1 dst_unused:UNUSED_PAD src0_sel:DWORD src1_sel:DWORD
	v_cndmask_b32_e64 v16, 0, 1, s[0:1]
	s_xor_b64 s[0:1], s[34:35], s[16:17]
	v_or_b32_sdwa v4, v4, v7 dst_sel:DWORD dst_unused:UNUSED_PAD src0_sel:WORD_0 src1_sel:DWORD
	v_lshlrev_b16_e32 v7, 8, v10
	v_lshlrev_b16_e32 v6, 8, v6
	v_cndmask_b32_e64 v17, 0, 1, s[0:1]
	v_lshlrev_b16_e32 v9, 8, v9
	v_lshlrev_b16_e32 v16, 8, v16
	v_or_b32_e32 v3, v3, v7
	v_or_b32_sdwa v6, v11, v6 dst_sel:WORD_1 dst_unused:UNUSED_PAD src0_sel:DWORD src1_sel:DWORD
	s_add_u32 s0, s28, s27
	v_or_b32_sdwa v9, v17, v9 dst_sel:WORD_1 dst_unused:UNUSED_PAD src0_sel:DWORD src1_sel:DWORD
	v_or_b32_e32 v2, v2, v16
	v_or_b32_sdwa v3, v3, v6 dst_sel:DWORD dst_unused:UNUSED_PAD src0_sel:WORD_0 src1_sel:DWORD
	s_addc_u32 s1, s29, s33
	v_or_b32_sdwa v2, v2, v9 dst_sel:DWORD dst_unused:UNUSED_PAD src0_sel:WORD_0 src1_sel:DWORD
	global_store_dwordx2 v5, v[3:4], s[0:1]
	global_store_dwordx2 v5, v[1:2], s[0:1] offset:2048
	s_mov_b64 s[0:1], 0
.LBB217_2:
	s_andn2_b64 vcc, exec, s[0:1]
	s_cbranch_vccnz .LBB217_52
; %bb.3:
	v_cmp_gt_i32_e32 vcc, s24, v0
	v_mov_b32_e32 v2, 0
	v_or_b32_e32 v1, s27, v0
	v_mov_b32_e32 v3, 0
	v_mov_b32_e32 v10, v0
	s_and_saveexec_b64 s[2:3], vcc
	s_cbranch_execz .LBB217_5
; %bb.4:
	global_load_ubyte v3, v1, s[30:31]
	v_or_b32_e32 v10, 0x100, v0
	s_waitcnt vmcnt(0)
	v_cmp_ne_u16_e64 s[0:1], 0, v3
	v_cndmask_b32_e64 v3, 0, 1, s[0:1]
.LBB217_5:
	s_or_b64 exec, exec, s[2:3]
	v_cmp_gt_i32_e64 s[0:1], s24, v10
	s_and_saveexec_b64 s[2:3], s[0:1]
	s_cbranch_execz .LBB217_7
; %bb.6:
	v_add_u32_e32 v2, s27, v10
	global_load_ubyte v2, v2, s[30:31]
	v_add_u32_e32 v10, 0x100, v10
	s_waitcnt vmcnt(0)
	v_cmp_ne_u16_e64 s[0:1], 0, v2
	v_cndmask_b32_e64 v2, 0, 1, s[0:1]
.LBB217_7:
	s_or_b64 exec, exec, s[2:3]
	v_cmp_gt_i32_e64 s[0:1], s24, v10
	v_mov_b32_e32 v4, 0
	v_mov_b32_e32 v5, 0
	s_and_saveexec_b64 s[2:3], s[0:1]
	s_cbranch_execz .LBB217_9
; %bb.8:
	v_add_u32_e32 v5, s27, v10
	global_load_ubyte v5, v5, s[30:31]
	v_add_u32_e32 v10, 0x100, v10
	s_waitcnt vmcnt(0)
	v_cmp_ne_u16_e64 s[0:1], 0, v5
	v_cndmask_b32_e64 v5, 0, 1, s[0:1]
.LBB217_9:
	s_or_b64 exec, exec, s[2:3]
	v_cmp_gt_i32_e64 s[0:1], s24, v10
	s_and_saveexec_b64 s[2:3], s[0:1]
	s_cbranch_execz .LBB217_11
; %bb.10:
	v_add_u32_e32 v4, s27, v10
	global_load_ubyte v4, v4, s[30:31]
	v_add_u32_e32 v10, 0x100, v10
	s_waitcnt vmcnt(0)
	v_cmp_ne_u16_e64 s[0:1], 0, v4
	v_cndmask_b32_e64 v4, 0, 1, s[0:1]
.LBB217_11:
	s_or_b64 exec, exec, s[2:3]
	v_cmp_gt_i32_e64 s[0:1], s24, v10
	v_mov_b32_e32 v6, 0
	v_mov_b32_e32 v7, 0
	s_and_saveexec_b64 s[2:3], s[0:1]
	s_cbranch_execz .LBB217_13
; %bb.12:
	v_add_u32_e32 v7, s27, v10
	global_load_ubyte v7, v7, s[30:31]
	v_add_u32_e32 v10, 0x100, v10
	s_waitcnt vmcnt(0)
	v_cmp_ne_u16_e64 s[0:1], 0, v7
	v_cndmask_b32_e64 v7, 0, 1, s[0:1]
.LBB217_13:
	;; [unrolled: 26-line block ×7, first 2 shown]
	s_or_b64 exec, exec, s[2:3]
	v_cmp_gt_i32_e64 s[0:1], s24, v10
	s_and_saveexec_b64 s[2:3], s[0:1]
	s_cbranch_execz .LBB217_35
; %bb.34:
	v_add_u32_e32 v10, s27, v10
	global_load_ubyte v10, v10, s[30:31]
	s_waitcnt vmcnt(0)
	v_cmp_ne_u16_e64 s[0:1], 0, v10
	v_cndmask_b32_e64 v17, 0, 1, s[0:1]
.LBB217_35:
	s_or_b64 exec, exec, s[2:3]
	v_xor_b32_e32 v3, s26, v3
	s_cmp_eq_u32 s25, 0
	v_and_b32_e32 v3, 1, v3
	s_cselect_b64 s[2:3], -1, 0
	v_cmp_eq_u32_e64 s[0:1], 1, v3
	v_xor_b32_e32 v2, s26, v2
	s_xor_b64 s[0:1], s[2:3], s[0:1]
	v_and_b32_e32 v2, 1, v2
	v_cndmask_b32_e64 v3, 0, 1, s[0:1]
	v_cmp_eq_u32_e64 s[0:1], 1, v2
	s_xor_b64 s[0:1], s[2:3], s[0:1]
	v_cndmask_b32_e64 v2, 0, 1, s[0:1]
	v_cndmask_b32_e32 v3, 0, v3, vcc
	v_lshlrev_b16_e32 v2, 8, v2
	v_or_b32_e32 v10, 0x100, v0
	v_or_b32_e32 v2, v3, v2
	v_xor_b32_e32 v5, s26, v5
	v_and_b32_e32 v2, 0xffff, v2
	v_cmp_gt_i32_e64 s[0:1], s24, v10
	v_and_b32_e32 v5, 1, v5
	v_cndmask_b32_e64 v2, v3, v2, s[0:1]
	v_cmp_eq_u32_e64 s[0:1], 1, v5
	s_xor_b64 s[0:1], s[2:3], s[0:1]
	v_or_b32_e32 v3, 0x200, v0
	v_cndmask_b32_e64 v5, 0, 1, s[0:1]
	v_xor_b32_e32 v4, s26, v4
	v_lshl_or_b32 v5, v5, 16, v2
	v_cmp_gt_i32_e64 s[0:1], s24, v3
	v_and_b32_e32 v4, 1, v4
	v_cndmask_b32_e64 v2, v2, v5, s[0:1]
	v_cmp_eq_u32_e64 s[0:1], 1, v4
	s_xor_b64 s[0:1], s[2:3], s[0:1]
	s_movk_i32 s5, 0xff
	v_cndmask_b32_e64 v4, 0, 1, s[0:1]
	v_and_b32_sdwa v3, v2, s5 dst_sel:DWORD dst_unused:UNUSED_PAD src0_sel:WORD_1 src1_sel:DWORD
	v_lshlrev_b16_e32 v4, 8, v4
	s_mov_b32 s4, 0xffff
	v_or_b32_e32 v5, 0x300, v0
	v_or_b32_sdwa v3, v3, v4 dst_sel:WORD_1 dst_unused:UNUSED_PAD src0_sel:DWORD src1_sel:DWORD
	v_and_or_b32 v3, v2, s4, v3
	v_cmp_gt_i32_e64 s[0:1], s24, v5
	v_cndmask_b32_e64 v5, v2, v3, s[0:1]
	v_xor_b32_e32 v2, s26, v7
	v_and_b32_e32 v2, 1, v2
	v_cmp_eq_u32_e64 s[0:1], 1, v2
	s_xor_b64 s[0:1], s[2:3], s[0:1]
	v_cndmask_b32_e64 v2, 0, 1, s[0:1]
	v_or_b32_e32 v3, 0x400, v0
	v_xor_b32_e32 v4, s26, v6
	v_and_b32_e32 v2, 0xffff, v2
	v_cmp_gt_i32_e64 s[0:1], s24, v3
	v_and_b32_e32 v4, 1, v4
	v_cndmask_b32_e64 v2, 0, v2, s[0:1]
	v_cmp_eq_u32_e64 s[0:1], 1, v4
	s_xor_b64 s[0:1], s[2:3], s[0:1]
	v_cndmask_b32_e64 v4, 0, 1, s[0:1]
	v_lshlrev_b16_e32 v4, 8, v4
	v_or_b32_e32 v3, 0x500, v0
	v_or_b32_sdwa v4, v2, v4 dst_sel:DWORD dst_unused:UNUSED_PAD src0_sel:BYTE_0 src1_sel:DWORD
	v_and_b32_e32 v4, 0xffff, v4
	v_cmp_gt_i32_e64 s[0:1], s24, v3
	v_cndmask_b32_e64 v2, v2, v4, s[0:1]
	v_xor_b32_e32 v4, s26, v9
	v_and_b32_e32 v4, 1, v4
	v_cmp_eq_u32_e64 s[0:1], 1, v4
	s_movk_i32 s6, 0xff00
	s_xor_b64 s[0:1], s[2:3], s[0:1]
	v_and_b32_sdwa v3, v2, s6 dst_sel:DWORD dst_unused:UNUSED_PAD src0_sel:WORD_1 src1_sel:DWORD
	v_cndmask_b32_e64 v4, 0, 1, s[0:1]
	v_or_b32_sdwa v3, v4, v3 dst_sel:WORD_1 dst_unused:UNUSED_PAD src0_sel:DWORD src1_sel:DWORD
	v_or_b32_e32 v4, 0x600, v0
	v_xor_b32_e32 v6, s26, v8
	v_and_or_b32 v3, v2, s4, v3
	v_cmp_gt_i32_e64 s[0:1], s24, v4
	v_and_b32_e32 v6, 1, v6
	v_cndmask_b32_e64 v2, v2, v3, s[0:1]
	v_cmp_eq_u32_e64 s[0:1], 1, v6
	s_xor_b64 s[0:1], s[2:3], s[0:1]
	v_cndmask_b32_e64 v6, 0, 1, s[0:1]
	v_and_b32_sdwa v3, v2, s5 dst_sel:DWORD dst_unused:UNUSED_PAD src0_sel:WORD_1 src1_sel:DWORD
	v_lshlrev_b16_e32 v6, 8, v6
	v_or_b32_e32 v4, 0x700, v0
	v_or_b32_sdwa v3, v3, v6 dst_sel:WORD_1 dst_unused:UNUSED_PAD src0_sel:DWORD src1_sel:DWORD
	v_and_or_b32 v3, v2, s4, v3
	v_cmp_gt_i32_e64 s[0:1], s24, v4
	v_cndmask_b32_e64 v4, v2, v3, s[0:1]
	v_xor_b32_e32 v3, s26, v12
	v_and_b32_e32 v3, 1, v3
	v_cmp_eq_u32_e64 s[0:1], 1, v3
	v_or_b32_e32 v2, 0x800, v0
	s_xor_b64 s[0:1], s[2:3], s[0:1]
	v_xor_b32_e32 v6, s26, v11
	v_cndmask_b32_e64 v3, 0, 1, s[0:1]
	v_cmp_gt_i32_e64 s[0:1], s24, v2
	v_and_b32_e32 v6, 1, v6
	v_cndmask_b32_e64 v2, 0, v3, s[0:1]
	v_cmp_eq_u32_e64 s[0:1], 1, v6
	s_xor_b64 s[0:1], s[2:3], s[0:1]
	v_cndmask_b32_e64 v6, 0, 1, s[0:1]
	v_lshlrev_b16_e32 v6, 8, v6
	v_or_b32_e32 v3, 0x900, v0
	v_or_b32_e32 v6, v2, v6
	v_and_b32_e32 v6, 0xffff, v6
	v_cmp_gt_i32_e64 s[0:1], s24, v3
	v_cndmask_b32_e64 v2, v2, v6, s[0:1]
	v_xor_b32_e32 v6, s26, v14
	v_and_b32_e32 v6, 1, v6
	v_cmp_eq_u32_e64 s[0:1], 1, v6
	s_xor_b64 s[0:1], s[2:3], s[0:1]
	v_cndmask_b32_e64 v6, 0, 1, s[0:1]
	v_or_b32_e32 v3, 0xa00, v0
	v_lshlrev_b32_e32 v6, 16, v6
	s_movk_i32 s0, 0x1ff
	v_xor_b32_e32 v7, s26, v13
	v_and_or_b32 v6, v2, s0, v6
	v_cmp_gt_i32_e64 s[0:1], s24, v3
	v_and_b32_e32 v7, 1, v7
	v_cndmask_b32_e64 v2, v2, v6, s[0:1]
	v_cmp_eq_u32_e64 s[0:1], 1, v7
	s_xor_b64 s[0:1], s[2:3], s[0:1]
	v_cndmask_b32_e64 v7, 0, 1, s[0:1]
	v_and_b32_sdwa v3, v2, s5 dst_sel:DWORD dst_unused:UNUSED_PAD src0_sel:WORD_1 src1_sel:DWORD
	v_or_b32_e32 v6, 0xb00, v0
	v_lshlrev_b16_e32 v7, 8, v7
	v_or_b32_sdwa v3, v3, v7 dst_sel:WORD_1 dst_unused:UNUSED_PAD src0_sel:DWORD src1_sel:DWORD
	v_cmp_gt_i32_e64 s[0:1], s24, v6
	v_xor_b32_e32 v6, s26, v16
	v_and_or_b32 v3, v2, s4, v3
	v_and_b32_e32 v6, 1, v6
	v_cndmask_b32_e64 v3, v2, v3, s[0:1]
	v_cmp_eq_u32_e64 s[0:1], 1, v6
	v_or_b32_e32 v2, 0xc00, v0
	s_xor_b64 s[0:1], s[2:3], s[0:1]
	v_xor_b32_e32 v7, s26, v15
	v_cndmask_b32_e64 v6, 0, 1, s[0:1]
	v_cmp_gt_i32_e64 s[0:1], s24, v2
	v_and_b32_e32 v7, 1, v7
	v_cndmask_b32_e64 v2, 0, v6, s[0:1]
	v_cmp_eq_u32_e64 s[0:1], 1, v7
	s_xor_b64 s[0:1], s[2:3], s[0:1]
	v_cndmask_b32_e64 v7, 0, 1, s[0:1]
	v_lshlrev_b16_e32 v7, 8, v7
	v_or_b32_e32 v6, 0xd00, v0
	v_or_b32_sdwa v7, v2, v7 dst_sel:DWORD dst_unused:UNUSED_PAD src0_sel:BYTE_0 src1_sel:DWORD
	v_and_b32_e32 v7, 0xffff, v7
	v_cmp_gt_i32_e64 s[0:1], s24, v6
	v_cndmask_b32_e64 v2, v2, v7, s[0:1]
	v_xor_b32_e32 v7, s26, v18
	v_and_b32_e32 v7, 1, v7
	v_cmp_eq_u32_e64 s[0:1], 1, v7
	s_xor_b64 s[0:1], s[2:3], s[0:1]
	v_and_b32_sdwa v6, v2, s6 dst_sel:DWORD dst_unused:UNUSED_PAD src0_sel:WORD_1 src1_sel:DWORD
	v_cndmask_b32_e64 v7, 0, 1, s[0:1]
	v_or_b32_sdwa v6, v7, v6 dst_sel:WORD_1 dst_unused:UNUSED_PAD src0_sel:DWORD src1_sel:DWORD
	v_or_b32_e32 v7, 0xe00, v0
	v_xor_b32_e32 v8, s26, v17
	v_and_or_b32 v6, v2, s4, v6
	v_cmp_gt_i32_e64 s[0:1], s24, v7
	v_and_b32_e32 v8, 1, v8
	v_cndmask_b32_e64 v2, v2, v6, s[0:1]
	v_cmp_eq_u32_e64 s[0:1], 1, v8
	s_xor_b64 s[0:1], s[2:3], s[0:1]
	v_cndmask_b32_e64 v8, 0, 1, s[0:1]
	v_and_b32_sdwa v6, v2, s5 dst_sel:DWORD dst_unused:UNUSED_PAD src0_sel:WORD_1 src1_sel:DWORD
	v_lshlrev_b16_e32 v8, 8, v8
	v_or_b32_e32 v7, 0xf00, v0
	v_or_b32_sdwa v6, v6, v8 dst_sel:WORD_1 dst_unused:UNUSED_PAD src0_sel:DWORD src1_sel:DWORD
	v_and_or_b32 v6, v2, s4, v6
	v_cmp_gt_i32_e64 s[0:1], s24, v7
	v_cndmask_b32_e64 v2, v2, v6, s[0:1]
	s_and_saveexec_b64 s[0:1], vcc
	s_cbranch_execnz .LBB217_53
; %bb.36:
	s_or_b64 exec, exec, s[0:1]
	v_cmp_gt_i32_e32 vcc, s24, v0
	s_and_saveexec_b64 s[0:1], vcc
	s_cbranch_execnz .LBB217_54
.LBB217_37:
	s_or_b64 exec, exec, s[0:1]
	v_cmp_gt_i32_e32 vcc, s24, v0
	s_and_saveexec_b64 s[0:1], vcc
	s_cbranch_execnz .LBB217_55
.LBB217_38:
	s_or_b64 exec, exec, s[0:1]
	v_cmp_gt_i32_e32 vcc, s24, v0
	s_and_saveexec_b64 s[0:1], vcc
	s_cbranch_execnz .LBB217_56
.LBB217_39:
	s_or_b64 exec, exec, s[0:1]
	v_cmp_gt_i32_e32 vcc, s24, v0
	s_and_saveexec_b64 s[0:1], vcc
	s_cbranch_execnz .LBB217_57
.LBB217_40:
	s_or_b64 exec, exec, s[0:1]
	v_cmp_gt_i32_e32 vcc, s24, v0
	s_and_saveexec_b64 s[0:1], vcc
	s_cbranch_execnz .LBB217_58
.LBB217_41:
	s_or_b64 exec, exec, s[0:1]
	v_cmp_gt_i32_e32 vcc, s24, v0
	s_and_saveexec_b64 s[0:1], vcc
	s_cbranch_execnz .LBB217_59
.LBB217_42:
	s_or_b64 exec, exec, s[0:1]
	v_cmp_gt_i32_e32 vcc, s24, v0
	s_and_saveexec_b64 s[0:1], vcc
	s_cbranch_execnz .LBB217_60
.LBB217_43:
	s_or_b64 exec, exec, s[0:1]
	v_cmp_gt_i32_e32 vcc, s24, v0
	s_and_saveexec_b64 s[0:1], vcc
	s_cbranch_execnz .LBB217_61
.LBB217_44:
	s_or_b64 exec, exec, s[0:1]
	v_cmp_gt_i32_e32 vcc, s24, v0
	s_and_saveexec_b64 s[0:1], vcc
	s_cbranch_execnz .LBB217_62
.LBB217_45:
	s_or_b64 exec, exec, s[0:1]
	v_cmp_gt_i32_e32 vcc, s24, v0
	s_and_saveexec_b64 s[0:1], vcc
	s_cbranch_execnz .LBB217_63
.LBB217_46:
	s_or_b64 exec, exec, s[0:1]
	v_cmp_gt_i32_e32 vcc, s24, v0
	s_and_saveexec_b64 s[0:1], vcc
	s_cbranch_execnz .LBB217_64
.LBB217_47:
	s_or_b64 exec, exec, s[0:1]
	v_cmp_gt_i32_e32 vcc, s24, v0
	s_and_saveexec_b64 s[0:1], vcc
	s_cbranch_execnz .LBB217_65
.LBB217_48:
	s_or_b64 exec, exec, s[0:1]
	v_cmp_gt_i32_e32 vcc, s24, v0
	s_and_saveexec_b64 s[0:1], vcc
	s_cbranch_execnz .LBB217_66
.LBB217_49:
	s_or_b64 exec, exec, s[0:1]
	v_cmp_gt_i32_e32 vcc, s24, v0
	s_and_saveexec_b64 s[0:1], vcc
	s_cbranch_execnz .LBB217_67
.LBB217_50:
	s_or_b64 exec, exec, s[0:1]
	v_cmp_gt_i32_e32 vcc, s24, v0
	s_and_saveexec_b64 s[0:1], vcc
	s_cbranch_execz .LBB217_52
.LBB217_51:
	v_lshrrev_b32_e32 v1, 24, v2
	v_add_u32_e32 v0, s27, v0
	global_store_byte v0, v1, s[28:29]
.LBB217_52:
	s_endpgm
.LBB217_53:
	v_mov_b32_e32 v0, v10
	global_store_byte v1, v5, s[28:29]
	s_or_b64 exec, exec, s[0:1]
	v_cmp_gt_i32_e32 vcc, s24, v0
	s_and_saveexec_b64 s[0:1], vcc
	s_cbranch_execz .LBB217_37
.LBB217_54:
	v_lshrrev_b32_e32 v1, 8, v5
	v_add_u32_e32 v6, s27, v0
	v_add_u32_e32 v0, 0x100, v0
	global_store_byte v6, v1, s[28:29]
	s_or_b64 exec, exec, s[0:1]
	v_cmp_gt_i32_e32 vcc, s24, v0
	s_and_saveexec_b64 s[0:1], vcc
	s_cbranch_execz .LBB217_38
.LBB217_55:
	v_add_u32_e32 v1, s27, v0
	v_add_u32_e32 v0, 0x100, v0
	global_store_byte_d16_hi v1, v5, s[28:29]
	s_or_b64 exec, exec, s[0:1]
	v_cmp_gt_i32_e32 vcc, s24, v0
	s_and_saveexec_b64 s[0:1], vcc
	s_cbranch_execz .LBB217_39
.LBB217_56:
	v_lshrrev_b32_e32 v1, 24, v5
	v_add_u32_e32 v5, s27, v0
	v_add_u32_e32 v0, 0x100, v0
	global_store_byte v5, v1, s[28:29]
	s_or_b64 exec, exec, s[0:1]
	v_cmp_gt_i32_e32 vcc, s24, v0
	s_and_saveexec_b64 s[0:1], vcc
	s_cbranch_execz .LBB217_40
.LBB217_57:
	v_add_u32_e32 v1, s27, v0
	v_add_u32_e32 v0, 0x100, v0
	global_store_byte v1, v4, s[28:29]
	s_or_b64 exec, exec, s[0:1]
	v_cmp_gt_i32_e32 vcc, s24, v0
	s_and_saveexec_b64 s[0:1], vcc
	s_cbranch_execz .LBB217_41
.LBB217_58:
	v_lshrrev_b32_e32 v1, 8, v4
	v_add_u32_e32 v5, s27, v0
	v_add_u32_e32 v0, 0x100, v0
	global_store_byte v5, v1, s[28:29]
	s_or_b64 exec, exec, s[0:1]
	v_cmp_gt_i32_e32 vcc, s24, v0
	s_and_saveexec_b64 s[0:1], vcc
	s_cbranch_execz .LBB217_42
.LBB217_59:
	v_add_u32_e32 v1, s27, v0
	v_add_u32_e32 v0, 0x100, v0
	global_store_byte_d16_hi v1, v4, s[28:29]
	s_or_b64 exec, exec, s[0:1]
	v_cmp_gt_i32_e32 vcc, s24, v0
	s_and_saveexec_b64 s[0:1], vcc
	s_cbranch_execz .LBB217_43
.LBB217_60:
	v_lshrrev_b32_e32 v1, 24, v4
	v_add_u32_e32 v4, s27, v0
	v_add_u32_e32 v0, 0x100, v0
	global_store_byte v4, v1, s[28:29]
	s_or_b64 exec, exec, s[0:1]
	v_cmp_gt_i32_e32 vcc, s24, v0
	s_and_saveexec_b64 s[0:1], vcc
	s_cbranch_execz .LBB217_44
.LBB217_61:
	v_add_u32_e32 v1, s27, v0
	v_add_u32_e32 v0, 0x100, v0
	global_store_byte v1, v3, s[28:29]
	s_or_b64 exec, exec, s[0:1]
	v_cmp_gt_i32_e32 vcc, s24, v0
	s_and_saveexec_b64 s[0:1], vcc
	s_cbranch_execz .LBB217_45
.LBB217_62:
	v_lshrrev_b32_e32 v1, 8, v3
	v_add_u32_e32 v4, s27, v0
	v_add_u32_e32 v0, 0x100, v0
	global_store_byte v4, v1, s[28:29]
	s_or_b64 exec, exec, s[0:1]
	v_cmp_gt_i32_e32 vcc, s24, v0
	s_and_saveexec_b64 s[0:1], vcc
	s_cbranch_execz .LBB217_46
.LBB217_63:
	v_add_u32_e32 v1, s27, v0
	v_add_u32_e32 v0, 0x100, v0
	global_store_byte_d16_hi v1, v3, s[28:29]
	s_or_b64 exec, exec, s[0:1]
	v_cmp_gt_i32_e32 vcc, s24, v0
	s_and_saveexec_b64 s[0:1], vcc
	s_cbranch_execz .LBB217_47
.LBB217_64:
	v_lshrrev_b32_e32 v1, 24, v3
	v_add_u32_e32 v3, s27, v0
	v_add_u32_e32 v0, 0x100, v0
	global_store_byte v3, v1, s[28:29]
	s_or_b64 exec, exec, s[0:1]
	v_cmp_gt_i32_e32 vcc, s24, v0
	s_and_saveexec_b64 s[0:1], vcc
	s_cbranch_execz .LBB217_48
.LBB217_65:
	v_add_u32_e32 v1, s27, v0
	v_add_u32_e32 v0, 0x100, v0
	global_store_byte v1, v2, s[28:29]
	s_or_b64 exec, exec, s[0:1]
	v_cmp_gt_i32_e32 vcc, s24, v0
	s_and_saveexec_b64 s[0:1], vcc
	s_cbranch_execz .LBB217_49
.LBB217_66:
	v_lshrrev_b32_e32 v1, 8, v2
	v_add_u32_e32 v3, s27, v0
	v_add_u32_e32 v0, 0x100, v0
	global_store_byte v3, v1, s[28:29]
	s_or_b64 exec, exec, s[0:1]
	v_cmp_gt_i32_e32 vcc, s24, v0
	s_and_saveexec_b64 s[0:1], vcc
	s_cbranch_execz .LBB217_50
.LBB217_67:
	v_add_u32_e32 v1, s27, v0
	v_add_u32_e32 v0, 0x100, v0
	global_store_byte_d16_hi v1, v2, s[28:29]
	s_or_b64 exec, exec, s[0:1]
	v_cmp_gt_i32_e32 vcc, s24, v0
	s_and_saveexec_b64 s[0:1], vcc
	s_cbranch_execnz .LBB217_51
	s_branch .LBB217_52
	.section	.rodata,"a",@progbits
	.p2align	6, 0x0
	.amdhsa_kernel _ZN2at6native29vectorized_elementwise_kernelILi8ENS0_13AUnaryFunctorIbbbNS0_12_GLOBAL__N_116CompareEqFunctorIbEEEESt5arrayIPcLm2EEEEviT0_T1_
		.amdhsa_group_segment_fixed_size 0
		.amdhsa_private_segment_fixed_size 0
		.amdhsa_kernarg_size 32
		.amdhsa_user_sgpr_count 6
		.amdhsa_user_sgpr_private_segment_buffer 1
		.amdhsa_user_sgpr_dispatch_ptr 0
		.amdhsa_user_sgpr_queue_ptr 0
		.amdhsa_user_sgpr_kernarg_segment_ptr 1
		.amdhsa_user_sgpr_dispatch_id 0
		.amdhsa_user_sgpr_flat_scratch_init 0
		.amdhsa_user_sgpr_private_segment_size 0
		.amdhsa_uses_dynamic_stack 0
		.amdhsa_system_sgpr_private_segment_wavefront_offset 0
		.amdhsa_system_sgpr_workgroup_id_x 1
		.amdhsa_system_sgpr_workgroup_id_y 0
		.amdhsa_system_sgpr_workgroup_id_z 0
		.amdhsa_system_sgpr_workgroup_info 0
		.amdhsa_system_vgpr_workitem_id 0
		.amdhsa_next_free_vgpr 19
		.amdhsa_next_free_sgpr 46
		.amdhsa_reserve_vcc 1
		.amdhsa_reserve_flat_scratch 0
		.amdhsa_float_round_mode_32 0
		.amdhsa_float_round_mode_16_64 0
		.amdhsa_float_denorm_mode_32 3
		.amdhsa_float_denorm_mode_16_64 3
		.amdhsa_dx10_clamp 1
		.amdhsa_ieee_mode 1
		.amdhsa_fp16_overflow 0
		.amdhsa_exception_fp_ieee_invalid_op 0
		.amdhsa_exception_fp_denorm_src 0
		.amdhsa_exception_fp_ieee_div_zero 0
		.amdhsa_exception_fp_ieee_overflow 0
		.amdhsa_exception_fp_ieee_underflow 0
		.amdhsa_exception_fp_ieee_inexact 0
		.amdhsa_exception_int_div_zero 0
	.end_amdhsa_kernel
	.section	.text._ZN2at6native29vectorized_elementwise_kernelILi8ENS0_13AUnaryFunctorIbbbNS0_12_GLOBAL__N_116CompareEqFunctorIbEEEESt5arrayIPcLm2EEEEviT0_T1_,"axG",@progbits,_ZN2at6native29vectorized_elementwise_kernelILi8ENS0_13AUnaryFunctorIbbbNS0_12_GLOBAL__N_116CompareEqFunctorIbEEEESt5arrayIPcLm2EEEEviT0_T1_,comdat
.Lfunc_end217:
	.size	_ZN2at6native29vectorized_elementwise_kernelILi8ENS0_13AUnaryFunctorIbbbNS0_12_GLOBAL__N_116CompareEqFunctorIbEEEESt5arrayIPcLm2EEEEviT0_T1_, .Lfunc_end217-_ZN2at6native29vectorized_elementwise_kernelILi8ENS0_13AUnaryFunctorIbbbNS0_12_GLOBAL__N_116CompareEqFunctorIbEEEESt5arrayIPcLm2EEEEviT0_T1_
                                        ; -- End function
	.set _ZN2at6native29vectorized_elementwise_kernelILi8ENS0_13AUnaryFunctorIbbbNS0_12_GLOBAL__N_116CompareEqFunctorIbEEEESt5arrayIPcLm2EEEEviT0_T1_.num_vgpr, 19
	.set _ZN2at6native29vectorized_elementwise_kernelILi8ENS0_13AUnaryFunctorIbbbNS0_12_GLOBAL__N_116CompareEqFunctorIbEEEESt5arrayIPcLm2EEEEviT0_T1_.num_agpr, 0
	.set _ZN2at6native29vectorized_elementwise_kernelILi8ENS0_13AUnaryFunctorIbbbNS0_12_GLOBAL__N_116CompareEqFunctorIbEEEESt5arrayIPcLm2EEEEviT0_T1_.numbered_sgpr, 46
	.set _ZN2at6native29vectorized_elementwise_kernelILi8ENS0_13AUnaryFunctorIbbbNS0_12_GLOBAL__N_116CompareEqFunctorIbEEEESt5arrayIPcLm2EEEEviT0_T1_.num_named_barrier, 0
	.set _ZN2at6native29vectorized_elementwise_kernelILi8ENS0_13AUnaryFunctorIbbbNS0_12_GLOBAL__N_116CompareEqFunctorIbEEEESt5arrayIPcLm2EEEEviT0_T1_.private_seg_size, 0
	.set _ZN2at6native29vectorized_elementwise_kernelILi8ENS0_13AUnaryFunctorIbbbNS0_12_GLOBAL__N_116CompareEqFunctorIbEEEESt5arrayIPcLm2EEEEviT0_T1_.uses_vcc, 1
	.set _ZN2at6native29vectorized_elementwise_kernelILi8ENS0_13AUnaryFunctorIbbbNS0_12_GLOBAL__N_116CompareEqFunctorIbEEEESt5arrayIPcLm2EEEEviT0_T1_.uses_flat_scratch, 0
	.set _ZN2at6native29vectorized_elementwise_kernelILi8ENS0_13AUnaryFunctorIbbbNS0_12_GLOBAL__N_116CompareEqFunctorIbEEEESt5arrayIPcLm2EEEEviT0_T1_.has_dyn_sized_stack, 0
	.set _ZN2at6native29vectorized_elementwise_kernelILi8ENS0_13AUnaryFunctorIbbbNS0_12_GLOBAL__N_116CompareEqFunctorIbEEEESt5arrayIPcLm2EEEEviT0_T1_.has_recursion, 0
	.set _ZN2at6native29vectorized_elementwise_kernelILi8ENS0_13AUnaryFunctorIbbbNS0_12_GLOBAL__N_116CompareEqFunctorIbEEEESt5arrayIPcLm2EEEEviT0_T1_.has_indirect_call, 0
	.section	.AMDGPU.csdata,"",@progbits
; Kernel info:
; codeLenInByte = 3640
; TotalNumSgprs: 50
; NumVgprs: 19
; ScratchSize: 0
; MemoryBound: 0
; FloatMode: 240
; IeeeMode: 1
; LDSByteSize: 0 bytes/workgroup (compile time only)
; SGPRBlocks: 6
; VGPRBlocks: 4
; NumSGPRsForWavesPerEU: 50
; NumVGPRsForWavesPerEU: 19
; Occupancy: 10
; WaveLimiterHint : 1
; COMPUTE_PGM_RSRC2:SCRATCH_EN: 0
; COMPUTE_PGM_RSRC2:USER_SGPR: 6
; COMPUTE_PGM_RSRC2:TRAP_HANDLER: 0
; COMPUTE_PGM_RSRC2:TGID_X_EN: 1
; COMPUTE_PGM_RSRC2:TGID_Y_EN: 0
; COMPUTE_PGM_RSRC2:TGID_Z_EN: 0
; COMPUTE_PGM_RSRC2:TIDIG_COMP_CNT: 0
	.section	.text._ZN2at6native29vectorized_elementwise_kernelILi4ENS0_13AUnaryFunctorIbbbNS0_12_GLOBAL__N_116CompareEqFunctorIbEEEESt5arrayIPcLm2EEEEviT0_T1_,"axG",@progbits,_ZN2at6native29vectorized_elementwise_kernelILi4ENS0_13AUnaryFunctorIbbbNS0_12_GLOBAL__N_116CompareEqFunctorIbEEEESt5arrayIPcLm2EEEEviT0_T1_,comdat
	.globl	_ZN2at6native29vectorized_elementwise_kernelILi4ENS0_13AUnaryFunctorIbbbNS0_12_GLOBAL__N_116CompareEqFunctorIbEEEESt5arrayIPcLm2EEEEviT0_T1_ ; -- Begin function _ZN2at6native29vectorized_elementwise_kernelILi4ENS0_13AUnaryFunctorIbbbNS0_12_GLOBAL__N_116CompareEqFunctorIbEEEESt5arrayIPcLm2EEEEviT0_T1_
	.p2align	8
	.type	_ZN2at6native29vectorized_elementwise_kernelILi4ENS0_13AUnaryFunctorIbbbNS0_12_GLOBAL__N_116CompareEqFunctorIbEEEESt5arrayIPcLm2EEEEviT0_T1_,@function
_ZN2at6native29vectorized_elementwise_kernelILi4ENS0_13AUnaryFunctorIbbbNS0_12_GLOBAL__N_116CompareEqFunctorIbEEEESt5arrayIPcLm2EEEEviT0_T1_: ; @_ZN2at6native29vectorized_elementwise_kernelILi4ENS0_13AUnaryFunctorIbbbNS0_12_GLOBAL__N_116CompareEqFunctorIbEEEESt5arrayIPcLm2EEEEviT0_T1_
; %bb.0:
	s_load_dwordx8 s[24:31], s[4:5], 0x0
	s_waitcnt lgkmcnt(0)
	s_lshl_b32 s27, s6, 12
	s_mov_b64 s[0:1], -1
	s_sub_i32 s24, s24, s27
	s_cmpk_gt_i32 s24, 0xfff
	s_cbranch_scc0 .LBB218_2
; %bb.1:
	s_bitcmp1_b32 s26, 0
	s_cselect_b64 s[22:23], -1, 0
	s_ashr_i32 s33, s27, 31
	s_add_u32 s0, s30, s27
	s_addc_u32 s1, s31, s33
	v_lshlrev_b32_e32 v1, 2, v0
	global_load_dword v2, v1, s[0:1]
	global_load_dword v3, v1, s[0:1] offset:1024
	global_load_dword v4, v1, s[0:1] offset:2048
	;; [unrolled: 1-line block ×3, first 2 shown]
	s_mov_b32 s4, 0xffffff
	v_mov_b32_e32 v6, 0
	s_cmp_eq_u32 s25, 0
	s_cselect_b64 s[34:35], -1, 0
	s_waitcnt vmcnt(3)
	v_cmp_ne_u32_sdwa s[36:37], v2, v6 src0_sel:BYTE_0 src1_sel:DWORD
	s_waitcnt vmcnt(2)
	v_cmp_lt_u32_e64 s[0:1], s4, v3
	s_waitcnt vmcnt(1)
	v_cmp_ne_u32_sdwa s[40:41], v4, v6 src0_sel:BYTE_0 src1_sel:DWORD
	s_xor_b64 s[0:1], s[0:1], s[22:23]
	v_and_b32_e32 v7, 0xff00, v2
	v_and_b32_e32 v8, 0xff0000, v2
	v_cmp_lt_u32_e32 vcc, s4, v2
	v_cmp_ne_u32_sdwa s[38:39], v3, v6 src0_sel:BYTE_0 src1_sel:DWORD
	v_and_b32_e32 v2, 0xff00, v3
	v_and_b32_e32 v9, 0xff0000, v3
	;; [unrolled: 1-line block ×3, first 2 shown]
	v_cmp_lt_u32_e64 s[2:3], s4, v4
	s_xor_b64 s[40:41], s[40:41], s[22:23]
	s_xor_b64 s[0:1], s[34:35], s[0:1]
	v_and_b32_e32 v10, 0xff0000, v4
	s_waitcnt vmcnt(0)
	v_cmp_ne_u32_sdwa s[42:43], v5, v6 src0_sel:BYTE_0 src1_sel:DWORD
	v_and_b32_e32 v4, 0xff00, v5
	v_and_b32_e32 v6, 0xff0000, v5
	v_cmp_lt_u32_e64 s[4:5], s4, v5
	v_cmp_ne_u32_e64 s[14:15], 0, v3
	s_xor_b64 s[2:3], s[2:3], s[22:23]
	v_cndmask_b32_e64 v5, 0, 1, s[0:1]
	s_xor_b64 s[0:1], s[34:35], s[40:41]
	v_cmp_ne_u32_e64 s[16:17], 0, v10
	v_cmp_ne_u32_e64 s[20:21], 0, v6
	s_xor_b64 s[42:43], s[42:43], s[22:23]
	v_cndmask_b32_e64 v6, 0, 1, s[0:1]
	s_xor_b64 s[0:1], s[14:15], s[22:23]
	s_xor_b64 s[2:3], s[34:35], s[2:3]
	v_cmp_ne_u32_e64 s[6:7], 0, v7
	v_cmp_ne_u32_e64 s[18:19], 0, v4
	s_xor_b64 s[14:15], s[16:17], s[22:23]
	v_cndmask_b32_e64 v7, 0, 1, s[2:3]
	s_xor_b64 s[2:3], s[34:35], s[42:43]
	s_xor_b64 s[0:1], s[34:35], s[0:1]
	v_cmp_ne_u32_e64 s[8:9], 0, v8
	s_xor_b64 s[4:5], s[4:5], s[22:23]
	v_cndmask_b32_e64 v8, 0, 1, s[2:3]
	s_xor_b64 s[2:3], s[18:19], s[22:23]
	v_cndmask_b32_e64 v14, 0, 1, s[0:1]
	s_xor_b64 s[0:1], s[34:35], s[14:15]
	s_xor_b64 s[16:17], s[20:21], s[22:23]
	s_xor_b64 s[4:5], s[34:35], s[4:5]
	v_cndmask_b32_e64 v15, 0, 1, s[0:1]
	s_xor_b64 s[0:1], s[34:35], s[2:3]
	v_cmp_ne_u32_e64 s[12:13], 0, v9
	s_xor_b64 s[6:7], s[6:7], s[22:23]
	v_cndmask_b32_e64 v9, 0, 1, s[4:5]
	v_cndmask_b32_e64 v16, 0, 1, s[0:1]
	s_xor_b64 s[0:1], s[34:35], s[16:17]
	v_cmp_ne_u32_e64 s[10:11], 0, v2
	s_xor_b64 s[36:37], s[36:37], s[22:23]
	s_xor_b64 s[8:9], s[8:9], s[22:23]
	;; [unrolled: 1-line block ×3, first 2 shown]
	v_cndmask_b32_e64 v17, 0, 1, s[0:1]
	v_lshlrev_b16_e32 v9, 8, v9
	v_lshlrev_b16_e32 v16, 8, v16
	s_xor_b64 s[44:45], vcc, s[22:23]
	s_xor_b64 s[36:37], s[34:35], s[36:37]
	s_xor_b64 s[10:11], s[10:11], s[22:23]
	v_cndmask_b32_e64 v10, 0, 1, s[4:5]
	s_xor_b64 s[4:5], s[34:35], s[8:9]
	v_or_b32_sdwa v9, v17, v9 dst_sel:WORD_1 dst_unused:UNUSED_PAD src0_sel:DWORD src1_sel:DWORD
	v_or_b32_e32 v8, v8, v16
	s_xor_b64 s[38:39], s[38:39], s[22:23]
	v_cndmask_b32_e64 v2, 0, 1, s[36:37]
	s_xor_b64 s[36:37], s[34:35], s[44:45]
	s_xor_b64 s[12:13], s[12:13], s[22:23]
	v_cndmask_b32_e64 v11, 0, 1, s[4:5]
	s_xor_b64 s[4:5], s[34:35], s[10:11]
	v_or_b32_sdwa v8, v8, v9 dst_sel:DWORD dst_unused:UNUSED_PAD src0_sel:WORD_0 src1_sel:DWORD
	v_lshlrev_b16_e32 v9, 8, v14
	v_lshlrev_b16_e32 v7, 8, v7
	v_cndmask_b32_e64 v3, 0, 1, s[36:37]
	s_xor_b64 s[36:37], s[34:35], s[38:39]
	v_cndmask_b32_e64 v12, 0, 1, s[4:5]
	s_xor_b64 s[4:5], s[34:35], s[12:13]
	v_or_b32_e32 v6, v6, v9
	v_or_b32_sdwa v7, v15, v7 dst_sel:WORD_1 dst_unused:UNUSED_PAD src0_sel:DWORD src1_sel:DWORD
	v_cndmask_b32_e64 v4, 0, 1, s[36:37]
	v_cndmask_b32_e64 v13, 0, 1, s[4:5]
	v_or_b32_sdwa v6, v6, v7 dst_sel:DWORD dst_unused:UNUSED_PAD src0_sel:WORD_0 src1_sel:DWORD
	v_lshlrev_b16_e32 v7, 8, v12
	v_lshlrev_b16_e32 v5, 8, v5
	v_or_b32_e32 v4, v4, v7
	v_or_b32_sdwa v5, v13, v5 dst_sel:WORD_1 dst_unused:UNUSED_PAD src0_sel:DWORD src1_sel:DWORD
	v_or_b32_sdwa v4, v4, v5 dst_sel:DWORD dst_unused:UNUSED_PAD src0_sel:WORD_0 src1_sel:DWORD
	v_lshlrev_b16_e32 v5, 8, v10
	v_lshlrev_b16_e32 v3, 8, v3
	v_or_b32_e32 v2, v2, v5
	v_or_b32_sdwa v3, v11, v3 dst_sel:WORD_1 dst_unused:UNUSED_PAD src0_sel:DWORD src1_sel:DWORD
	s_add_u32 s0, s28, s27
	v_or_b32_sdwa v2, v2, v3 dst_sel:DWORD dst_unused:UNUSED_PAD src0_sel:WORD_0 src1_sel:DWORD
	s_addc_u32 s1, s29, s33
	global_store_dword v1, v2, s[0:1]
	global_store_dword v1, v4, s[0:1] offset:1024
	global_store_dword v1, v6, s[0:1] offset:2048
	;; [unrolled: 1-line block ×3, first 2 shown]
	s_mov_b64 s[0:1], 0
.LBB218_2:
	s_andn2_b64 vcc, exec, s[0:1]
	s_cbranch_vccnz .LBB218_52
; %bb.3:
	v_cmp_gt_i32_e32 vcc, s24, v0
	v_mov_b32_e32 v2, 0
	v_or_b32_e32 v1, s27, v0
	v_mov_b32_e32 v3, 0
	v_mov_b32_e32 v10, v0
	s_and_saveexec_b64 s[2:3], vcc
	s_cbranch_execz .LBB218_5
; %bb.4:
	global_load_ubyte v3, v1, s[30:31]
	v_or_b32_e32 v10, 0x100, v0
	s_waitcnt vmcnt(0)
	v_cmp_ne_u16_e64 s[0:1], 0, v3
	v_cndmask_b32_e64 v3, 0, 1, s[0:1]
.LBB218_5:
	s_or_b64 exec, exec, s[2:3]
	v_cmp_gt_i32_e64 s[0:1], s24, v10
	s_and_saveexec_b64 s[2:3], s[0:1]
	s_cbranch_execz .LBB218_7
; %bb.6:
	v_add_u32_e32 v2, s27, v10
	global_load_ubyte v2, v2, s[30:31]
	v_add_u32_e32 v10, 0x100, v10
	s_waitcnt vmcnt(0)
	v_cmp_ne_u16_e64 s[0:1], 0, v2
	v_cndmask_b32_e64 v2, 0, 1, s[0:1]
.LBB218_7:
	s_or_b64 exec, exec, s[2:3]
	v_cmp_gt_i32_e64 s[0:1], s24, v10
	v_mov_b32_e32 v4, 0
	v_mov_b32_e32 v5, 0
	s_and_saveexec_b64 s[2:3], s[0:1]
	s_cbranch_execz .LBB218_9
; %bb.8:
	v_add_u32_e32 v5, s27, v10
	global_load_ubyte v5, v5, s[30:31]
	v_add_u32_e32 v10, 0x100, v10
	s_waitcnt vmcnt(0)
	v_cmp_ne_u16_e64 s[0:1], 0, v5
	v_cndmask_b32_e64 v5, 0, 1, s[0:1]
.LBB218_9:
	s_or_b64 exec, exec, s[2:3]
	v_cmp_gt_i32_e64 s[0:1], s24, v10
	s_and_saveexec_b64 s[2:3], s[0:1]
	s_cbranch_execz .LBB218_11
; %bb.10:
	v_add_u32_e32 v4, s27, v10
	global_load_ubyte v4, v4, s[30:31]
	v_add_u32_e32 v10, 0x100, v10
	s_waitcnt vmcnt(0)
	v_cmp_ne_u16_e64 s[0:1], 0, v4
	v_cndmask_b32_e64 v4, 0, 1, s[0:1]
.LBB218_11:
	s_or_b64 exec, exec, s[2:3]
	v_cmp_gt_i32_e64 s[0:1], s24, v10
	v_mov_b32_e32 v6, 0
	v_mov_b32_e32 v7, 0
	s_and_saveexec_b64 s[2:3], s[0:1]
	s_cbranch_execz .LBB218_13
; %bb.12:
	v_add_u32_e32 v7, s27, v10
	global_load_ubyte v7, v7, s[30:31]
	v_add_u32_e32 v10, 0x100, v10
	s_waitcnt vmcnt(0)
	v_cmp_ne_u16_e64 s[0:1], 0, v7
	v_cndmask_b32_e64 v7, 0, 1, s[0:1]
.LBB218_13:
	;; [unrolled: 26-line block ×7, first 2 shown]
	s_or_b64 exec, exec, s[2:3]
	v_cmp_gt_i32_e64 s[0:1], s24, v10
	s_and_saveexec_b64 s[2:3], s[0:1]
	s_cbranch_execz .LBB218_35
; %bb.34:
	v_add_u32_e32 v10, s27, v10
	global_load_ubyte v10, v10, s[30:31]
	s_waitcnt vmcnt(0)
	v_cmp_ne_u16_e64 s[0:1], 0, v10
	v_cndmask_b32_e64 v17, 0, 1, s[0:1]
.LBB218_35:
	s_or_b64 exec, exec, s[2:3]
	v_xor_b32_e32 v3, s26, v3
	s_cmp_eq_u32 s25, 0
	v_and_b32_e32 v3, 1, v3
	s_cselect_b64 s[2:3], -1, 0
	v_cmp_eq_u32_e64 s[0:1], 1, v3
	v_xor_b32_e32 v2, s26, v2
	s_xor_b64 s[0:1], s[2:3], s[0:1]
	v_and_b32_e32 v2, 1, v2
	v_cndmask_b32_e64 v3, 0, 1, s[0:1]
	v_cmp_eq_u32_e64 s[0:1], 1, v2
	s_xor_b64 s[0:1], s[2:3], s[0:1]
	v_cndmask_b32_e64 v2, 0, 1, s[0:1]
	v_cndmask_b32_e32 v3, 0, v3, vcc
	v_lshlrev_b16_e32 v2, 8, v2
	v_or_b32_e32 v10, 0x100, v0
	v_or_b32_e32 v2, v3, v2
	v_xor_b32_e32 v5, s26, v5
	v_and_b32_e32 v2, 0xffff, v2
	v_cmp_gt_i32_e64 s[0:1], s24, v10
	v_and_b32_e32 v5, 1, v5
	v_cndmask_b32_e64 v2, v3, v2, s[0:1]
	v_cmp_eq_u32_e64 s[0:1], 1, v5
	s_xor_b64 s[0:1], s[2:3], s[0:1]
	v_or_b32_e32 v3, 0x200, v0
	v_cndmask_b32_e64 v5, 0, 1, s[0:1]
	v_xor_b32_e32 v4, s26, v4
	v_lshl_or_b32 v5, v5, 16, v2
	v_cmp_gt_i32_e64 s[0:1], s24, v3
	v_and_b32_e32 v4, 1, v4
	v_cndmask_b32_e64 v2, v2, v5, s[0:1]
	v_cmp_eq_u32_e64 s[0:1], 1, v4
	s_xor_b64 s[0:1], s[2:3], s[0:1]
	s_movk_i32 s5, 0xff
	v_cndmask_b32_e64 v4, 0, 1, s[0:1]
	v_and_b32_sdwa v3, v2, s5 dst_sel:DWORD dst_unused:UNUSED_PAD src0_sel:WORD_1 src1_sel:DWORD
	v_lshlrev_b16_e32 v4, 8, v4
	s_mov_b32 s4, 0xffff
	v_or_b32_e32 v5, 0x300, v0
	v_or_b32_sdwa v3, v3, v4 dst_sel:WORD_1 dst_unused:UNUSED_PAD src0_sel:DWORD src1_sel:DWORD
	v_and_or_b32 v3, v2, s4, v3
	v_cmp_gt_i32_e64 s[0:1], s24, v5
	v_cndmask_b32_e64 v5, v2, v3, s[0:1]
	v_xor_b32_e32 v2, s26, v7
	v_and_b32_e32 v2, 1, v2
	v_cmp_eq_u32_e64 s[0:1], 1, v2
	s_xor_b64 s[0:1], s[2:3], s[0:1]
	v_cndmask_b32_e64 v2, 0, 1, s[0:1]
	v_or_b32_e32 v3, 0x400, v0
	v_xor_b32_e32 v4, s26, v6
	v_and_b32_e32 v2, 0xffff, v2
	v_cmp_gt_i32_e64 s[0:1], s24, v3
	v_and_b32_e32 v4, 1, v4
	v_cndmask_b32_e64 v2, 0, v2, s[0:1]
	v_cmp_eq_u32_e64 s[0:1], 1, v4
	s_xor_b64 s[0:1], s[2:3], s[0:1]
	v_cndmask_b32_e64 v4, 0, 1, s[0:1]
	v_lshlrev_b16_e32 v4, 8, v4
	v_or_b32_e32 v3, 0x500, v0
	v_or_b32_sdwa v4, v2, v4 dst_sel:DWORD dst_unused:UNUSED_PAD src0_sel:BYTE_0 src1_sel:DWORD
	v_and_b32_e32 v4, 0xffff, v4
	v_cmp_gt_i32_e64 s[0:1], s24, v3
	v_cndmask_b32_e64 v2, v2, v4, s[0:1]
	v_xor_b32_e32 v4, s26, v9
	v_and_b32_e32 v4, 1, v4
	v_cmp_eq_u32_e64 s[0:1], 1, v4
	s_movk_i32 s6, 0xff00
	s_xor_b64 s[0:1], s[2:3], s[0:1]
	v_and_b32_sdwa v3, v2, s6 dst_sel:DWORD dst_unused:UNUSED_PAD src0_sel:WORD_1 src1_sel:DWORD
	v_cndmask_b32_e64 v4, 0, 1, s[0:1]
	v_or_b32_sdwa v3, v4, v3 dst_sel:WORD_1 dst_unused:UNUSED_PAD src0_sel:DWORD src1_sel:DWORD
	v_or_b32_e32 v4, 0x600, v0
	v_xor_b32_e32 v6, s26, v8
	v_and_or_b32 v3, v2, s4, v3
	v_cmp_gt_i32_e64 s[0:1], s24, v4
	v_and_b32_e32 v6, 1, v6
	v_cndmask_b32_e64 v2, v2, v3, s[0:1]
	v_cmp_eq_u32_e64 s[0:1], 1, v6
	s_xor_b64 s[0:1], s[2:3], s[0:1]
	v_cndmask_b32_e64 v6, 0, 1, s[0:1]
	v_and_b32_sdwa v3, v2, s5 dst_sel:DWORD dst_unused:UNUSED_PAD src0_sel:WORD_1 src1_sel:DWORD
	v_lshlrev_b16_e32 v6, 8, v6
	v_or_b32_e32 v4, 0x700, v0
	v_or_b32_sdwa v3, v3, v6 dst_sel:WORD_1 dst_unused:UNUSED_PAD src0_sel:DWORD src1_sel:DWORD
	v_and_or_b32 v3, v2, s4, v3
	v_cmp_gt_i32_e64 s[0:1], s24, v4
	v_cndmask_b32_e64 v4, v2, v3, s[0:1]
	v_xor_b32_e32 v3, s26, v12
	v_and_b32_e32 v3, 1, v3
	v_cmp_eq_u32_e64 s[0:1], 1, v3
	v_or_b32_e32 v2, 0x800, v0
	s_xor_b64 s[0:1], s[2:3], s[0:1]
	v_xor_b32_e32 v6, s26, v11
	v_cndmask_b32_e64 v3, 0, 1, s[0:1]
	v_cmp_gt_i32_e64 s[0:1], s24, v2
	v_and_b32_e32 v6, 1, v6
	v_cndmask_b32_e64 v2, 0, v3, s[0:1]
	v_cmp_eq_u32_e64 s[0:1], 1, v6
	s_xor_b64 s[0:1], s[2:3], s[0:1]
	v_cndmask_b32_e64 v6, 0, 1, s[0:1]
	v_lshlrev_b16_e32 v6, 8, v6
	v_or_b32_e32 v3, 0x900, v0
	v_or_b32_e32 v6, v2, v6
	v_and_b32_e32 v6, 0xffff, v6
	v_cmp_gt_i32_e64 s[0:1], s24, v3
	v_cndmask_b32_e64 v2, v2, v6, s[0:1]
	v_xor_b32_e32 v6, s26, v14
	v_and_b32_e32 v6, 1, v6
	v_cmp_eq_u32_e64 s[0:1], 1, v6
	s_xor_b64 s[0:1], s[2:3], s[0:1]
	v_cndmask_b32_e64 v6, 0, 1, s[0:1]
	v_or_b32_e32 v3, 0xa00, v0
	v_lshlrev_b32_e32 v6, 16, v6
	s_movk_i32 s0, 0x1ff
	v_xor_b32_e32 v7, s26, v13
	v_and_or_b32 v6, v2, s0, v6
	v_cmp_gt_i32_e64 s[0:1], s24, v3
	v_and_b32_e32 v7, 1, v7
	v_cndmask_b32_e64 v2, v2, v6, s[0:1]
	v_cmp_eq_u32_e64 s[0:1], 1, v7
	s_xor_b64 s[0:1], s[2:3], s[0:1]
	v_cndmask_b32_e64 v7, 0, 1, s[0:1]
	v_and_b32_sdwa v3, v2, s5 dst_sel:DWORD dst_unused:UNUSED_PAD src0_sel:WORD_1 src1_sel:DWORD
	v_or_b32_e32 v6, 0xb00, v0
	v_lshlrev_b16_e32 v7, 8, v7
	v_or_b32_sdwa v3, v3, v7 dst_sel:WORD_1 dst_unused:UNUSED_PAD src0_sel:DWORD src1_sel:DWORD
	v_cmp_gt_i32_e64 s[0:1], s24, v6
	v_xor_b32_e32 v6, s26, v16
	v_and_or_b32 v3, v2, s4, v3
	v_and_b32_e32 v6, 1, v6
	v_cndmask_b32_e64 v3, v2, v3, s[0:1]
	v_cmp_eq_u32_e64 s[0:1], 1, v6
	v_or_b32_e32 v2, 0xc00, v0
	s_xor_b64 s[0:1], s[2:3], s[0:1]
	v_xor_b32_e32 v7, s26, v15
	v_cndmask_b32_e64 v6, 0, 1, s[0:1]
	v_cmp_gt_i32_e64 s[0:1], s24, v2
	v_and_b32_e32 v7, 1, v7
	v_cndmask_b32_e64 v2, 0, v6, s[0:1]
	v_cmp_eq_u32_e64 s[0:1], 1, v7
	s_xor_b64 s[0:1], s[2:3], s[0:1]
	v_cndmask_b32_e64 v7, 0, 1, s[0:1]
	v_lshlrev_b16_e32 v7, 8, v7
	v_or_b32_e32 v6, 0xd00, v0
	v_or_b32_sdwa v7, v2, v7 dst_sel:DWORD dst_unused:UNUSED_PAD src0_sel:BYTE_0 src1_sel:DWORD
	v_and_b32_e32 v7, 0xffff, v7
	v_cmp_gt_i32_e64 s[0:1], s24, v6
	v_cndmask_b32_e64 v2, v2, v7, s[0:1]
	v_xor_b32_e32 v7, s26, v18
	v_and_b32_e32 v7, 1, v7
	v_cmp_eq_u32_e64 s[0:1], 1, v7
	s_xor_b64 s[0:1], s[2:3], s[0:1]
	v_and_b32_sdwa v6, v2, s6 dst_sel:DWORD dst_unused:UNUSED_PAD src0_sel:WORD_1 src1_sel:DWORD
	v_cndmask_b32_e64 v7, 0, 1, s[0:1]
	v_or_b32_sdwa v6, v7, v6 dst_sel:WORD_1 dst_unused:UNUSED_PAD src0_sel:DWORD src1_sel:DWORD
	v_or_b32_e32 v7, 0xe00, v0
	v_xor_b32_e32 v8, s26, v17
	v_and_or_b32 v6, v2, s4, v6
	v_cmp_gt_i32_e64 s[0:1], s24, v7
	v_and_b32_e32 v8, 1, v8
	v_cndmask_b32_e64 v2, v2, v6, s[0:1]
	v_cmp_eq_u32_e64 s[0:1], 1, v8
	s_xor_b64 s[0:1], s[2:3], s[0:1]
	v_cndmask_b32_e64 v8, 0, 1, s[0:1]
	v_and_b32_sdwa v6, v2, s5 dst_sel:DWORD dst_unused:UNUSED_PAD src0_sel:WORD_1 src1_sel:DWORD
	v_lshlrev_b16_e32 v8, 8, v8
	v_or_b32_e32 v7, 0xf00, v0
	v_or_b32_sdwa v6, v6, v8 dst_sel:WORD_1 dst_unused:UNUSED_PAD src0_sel:DWORD src1_sel:DWORD
	v_and_or_b32 v6, v2, s4, v6
	v_cmp_gt_i32_e64 s[0:1], s24, v7
	v_cndmask_b32_e64 v2, v2, v6, s[0:1]
	s_and_saveexec_b64 s[0:1], vcc
	s_cbranch_execnz .LBB218_53
; %bb.36:
	s_or_b64 exec, exec, s[0:1]
	v_cmp_gt_i32_e32 vcc, s24, v0
	s_and_saveexec_b64 s[0:1], vcc
	s_cbranch_execnz .LBB218_54
.LBB218_37:
	s_or_b64 exec, exec, s[0:1]
	v_cmp_gt_i32_e32 vcc, s24, v0
	s_and_saveexec_b64 s[0:1], vcc
	s_cbranch_execnz .LBB218_55
.LBB218_38:
	s_or_b64 exec, exec, s[0:1]
	v_cmp_gt_i32_e32 vcc, s24, v0
	s_and_saveexec_b64 s[0:1], vcc
	s_cbranch_execnz .LBB218_56
.LBB218_39:
	s_or_b64 exec, exec, s[0:1]
	v_cmp_gt_i32_e32 vcc, s24, v0
	s_and_saveexec_b64 s[0:1], vcc
	s_cbranch_execnz .LBB218_57
.LBB218_40:
	s_or_b64 exec, exec, s[0:1]
	v_cmp_gt_i32_e32 vcc, s24, v0
	s_and_saveexec_b64 s[0:1], vcc
	s_cbranch_execnz .LBB218_58
.LBB218_41:
	s_or_b64 exec, exec, s[0:1]
	v_cmp_gt_i32_e32 vcc, s24, v0
	s_and_saveexec_b64 s[0:1], vcc
	s_cbranch_execnz .LBB218_59
.LBB218_42:
	s_or_b64 exec, exec, s[0:1]
	v_cmp_gt_i32_e32 vcc, s24, v0
	s_and_saveexec_b64 s[0:1], vcc
	s_cbranch_execnz .LBB218_60
.LBB218_43:
	s_or_b64 exec, exec, s[0:1]
	v_cmp_gt_i32_e32 vcc, s24, v0
	s_and_saveexec_b64 s[0:1], vcc
	s_cbranch_execnz .LBB218_61
.LBB218_44:
	s_or_b64 exec, exec, s[0:1]
	v_cmp_gt_i32_e32 vcc, s24, v0
	s_and_saveexec_b64 s[0:1], vcc
	s_cbranch_execnz .LBB218_62
.LBB218_45:
	s_or_b64 exec, exec, s[0:1]
	v_cmp_gt_i32_e32 vcc, s24, v0
	s_and_saveexec_b64 s[0:1], vcc
	s_cbranch_execnz .LBB218_63
.LBB218_46:
	s_or_b64 exec, exec, s[0:1]
	v_cmp_gt_i32_e32 vcc, s24, v0
	s_and_saveexec_b64 s[0:1], vcc
	s_cbranch_execnz .LBB218_64
.LBB218_47:
	s_or_b64 exec, exec, s[0:1]
	v_cmp_gt_i32_e32 vcc, s24, v0
	s_and_saveexec_b64 s[0:1], vcc
	s_cbranch_execnz .LBB218_65
.LBB218_48:
	s_or_b64 exec, exec, s[0:1]
	v_cmp_gt_i32_e32 vcc, s24, v0
	s_and_saveexec_b64 s[0:1], vcc
	s_cbranch_execnz .LBB218_66
.LBB218_49:
	s_or_b64 exec, exec, s[0:1]
	v_cmp_gt_i32_e32 vcc, s24, v0
	s_and_saveexec_b64 s[0:1], vcc
	s_cbranch_execnz .LBB218_67
.LBB218_50:
	s_or_b64 exec, exec, s[0:1]
	v_cmp_gt_i32_e32 vcc, s24, v0
	s_and_saveexec_b64 s[0:1], vcc
	s_cbranch_execz .LBB218_52
.LBB218_51:
	v_lshrrev_b32_e32 v1, 24, v2
	v_add_u32_e32 v0, s27, v0
	global_store_byte v0, v1, s[28:29]
.LBB218_52:
	s_endpgm
.LBB218_53:
	v_mov_b32_e32 v0, v10
	global_store_byte v1, v5, s[28:29]
	s_or_b64 exec, exec, s[0:1]
	v_cmp_gt_i32_e32 vcc, s24, v0
	s_and_saveexec_b64 s[0:1], vcc
	s_cbranch_execz .LBB218_37
.LBB218_54:
	v_lshrrev_b32_e32 v1, 8, v5
	v_add_u32_e32 v6, s27, v0
	v_add_u32_e32 v0, 0x100, v0
	global_store_byte v6, v1, s[28:29]
	s_or_b64 exec, exec, s[0:1]
	v_cmp_gt_i32_e32 vcc, s24, v0
	s_and_saveexec_b64 s[0:1], vcc
	s_cbranch_execz .LBB218_38
.LBB218_55:
	v_add_u32_e32 v1, s27, v0
	v_add_u32_e32 v0, 0x100, v0
	global_store_byte_d16_hi v1, v5, s[28:29]
	s_or_b64 exec, exec, s[0:1]
	v_cmp_gt_i32_e32 vcc, s24, v0
	s_and_saveexec_b64 s[0:1], vcc
	s_cbranch_execz .LBB218_39
.LBB218_56:
	v_lshrrev_b32_e32 v1, 24, v5
	v_add_u32_e32 v5, s27, v0
	v_add_u32_e32 v0, 0x100, v0
	global_store_byte v5, v1, s[28:29]
	s_or_b64 exec, exec, s[0:1]
	v_cmp_gt_i32_e32 vcc, s24, v0
	s_and_saveexec_b64 s[0:1], vcc
	s_cbranch_execz .LBB218_40
.LBB218_57:
	v_add_u32_e32 v1, s27, v0
	v_add_u32_e32 v0, 0x100, v0
	global_store_byte v1, v4, s[28:29]
	s_or_b64 exec, exec, s[0:1]
	v_cmp_gt_i32_e32 vcc, s24, v0
	s_and_saveexec_b64 s[0:1], vcc
	s_cbranch_execz .LBB218_41
.LBB218_58:
	v_lshrrev_b32_e32 v1, 8, v4
	v_add_u32_e32 v5, s27, v0
	v_add_u32_e32 v0, 0x100, v0
	global_store_byte v5, v1, s[28:29]
	s_or_b64 exec, exec, s[0:1]
	v_cmp_gt_i32_e32 vcc, s24, v0
	s_and_saveexec_b64 s[0:1], vcc
	s_cbranch_execz .LBB218_42
.LBB218_59:
	v_add_u32_e32 v1, s27, v0
	v_add_u32_e32 v0, 0x100, v0
	global_store_byte_d16_hi v1, v4, s[28:29]
	s_or_b64 exec, exec, s[0:1]
	v_cmp_gt_i32_e32 vcc, s24, v0
	s_and_saveexec_b64 s[0:1], vcc
	s_cbranch_execz .LBB218_43
.LBB218_60:
	v_lshrrev_b32_e32 v1, 24, v4
	v_add_u32_e32 v4, s27, v0
	v_add_u32_e32 v0, 0x100, v0
	global_store_byte v4, v1, s[28:29]
	s_or_b64 exec, exec, s[0:1]
	v_cmp_gt_i32_e32 vcc, s24, v0
	s_and_saveexec_b64 s[0:1], vcc
	s_cbranch_execz .LBB218_44
.LBB218_61:
	v_add_u32_e32 v1, s27, v0
	v_add_u32_e32 v0, 0x100, v0
	global_store_byte v1, v3, s[28:29]
	s_or_b64 exec, exec, s[0:1]
	v_cmp_gt_i32_e32 vcc, s24, v0
	s_and_saveexec_b64 s[0:1], vcc
	s_cbranch_execz .LBB218_45
.LBB218_62:
	v_lshrrev_b32_e32 v1, 8, v3
	v_add_u32_e32 v4, s27, v0
	v_add_u32_e32 v0, 0x100, v0
	global_store_byte v4, v1, s[28:29]
	s_or_b64 exec, exec, s[0:1]
	v_cmp_gt_i32_e32 vcc, s24, v0
	s_and_saveexec_b64 s[0:1], vcc
	s_cbranch_execz .LBB218_46
.LBB218_63:
	v_add_u32_e32 v1, s27, v0
	v_add_u32_e32 v0, 0x100, v0
	global_store_byte_d16_hi v1, v3, s[28:29]
	s_or_b64 exec, exec, s[0:1]
	v_cmp_gt_i32_e32 vcc, s24, v0
	s_and_saveexec_b64 s[0:1], vcc
	s_cbranch_execz .LBB218_47
.LBB218_64:
	v_lshrrev_b32_e32 v1, 24, v3
	v_add_u32_e32 v3, s27, v0
	v_add_u32_e32 v0, 0x100, v0
	global_store_byte v3, v1, s[28:29]
	s_or_b64 exec, exec, s[0:1]
	v_cmp_gt_i32_e32 vcc, s24, v0
	s_and_saveexec_b64 s[0:1], vcc
	s_cbranch_execz .LBB218_48
.LBB218_65:
	v_add_u32_e32 v1, s27, v0
	v_add_u32_e32 v0, 0x100, v0
	global_store_byte v1, v2, s[28:29]
	s_or_b64 exec, exec, s[0:1]
	v_cmp_gt_i32_e32 vcc, s24, v0
	s_and_saveexec_b64 s[0:1], vcc
	s_cbranch_execz .LBB218_49
.LBB218_66:
	v_lshrrev_b32_e32 v1, 8, v2
	v_add_u32_e32 v3, s27, v0
	v_add_u32_e32 v0, 0x100, v0
	global_store_byte v3, v1, s[28:29]
	s_or_b64 exec, exec, s[0:1]
	v_cmp_gt_i32_e32 vcc, s24, v0
	s_and_saveexec_b64 s[0:1], vcc
	s_cbranch_execz .LBB218_50
.LBB218_67:
	v_add_u32_e32 v1, s27, v0
	v_add_u32_e32 v0, 0x100, v0
	global_store_byte_d16_hi v1, v2, s[28:29]
	s_or_b64 exec, exec, s[0:1]
	v_cmp_gt_i32_e32 vcc, s24, v0
	s_and_saveexec_b64 s[0:1], vcc
	s_cbranch_execnz .LBB218_51
	s_branch .LBB218_52
	.section	.rodata,"a",@progbits
	.p2align	6, 0x0
	.amdhsa_kernel _ZN2at6native29vectorized_elementwise_kernelILi4ENS0_13AUnaryFunctorIbbbNS0_12_GLOBAL__N_116CompareEqFunctorIbEEEESt5arrayIPcLm2EEEEviT0_T1_
		.amdhsa_group_segment_fixed_size 0
		.amdhsa_private_segment_fixed_size 0
		.amdhsa_kernarg_size 32
		.amdhsa_user_sgpr_count 6
		.amdhsa_user_sgpr_private_segment_buffer 1
		.amdhsa_user_sgpr_dispatch_ptr 0
		.amdhsa_user_sgpr_queue_ptr 0
		.amdhsa_user_sgpr_kernarg_segment_ptr 1
		.amdhsa_user_sgpr_dispatch_id 0
		.amdhsa_user_sgpr_flat_scratch_init 0
		.amdhsa_user_sgpr_private_segment_size 0
		.amdhsa_uses_dynamic_stack 0
		.amdhsa_system_sgpr_private_segment_wavefront_offset 0
		.amdhsa_system_sgpr_workgroup_id_x 1
		.amdhsa_system_sgpr_workgroup_id_y 0
		.amdhsa_system_sgpr_workgroup_id_z 0
		.amdhsa_system_sgpr_workgroup_info 0
		.amdhsa_system_vgpr_workitem_id 0
		.amdhsa_next_free_vgpr 19
		.amdhsa_next_free_sgpr 46
		.amdhsa_reserve_vcc 1
		.amdhsa_reserve_flat_scratch 0
		.amdhsa_float_round_mode_32 0
		.amdhsa_float_round_mode_16_64 0
		.amdhsa_float_denorm_mode_32 3
		.amdhsa_float_denorm_mode_16_64 3
		.amdhsa_dx10_clamp 1
		.amdhsa_ieee_mode 1
		.amdhsa_fp16_overflow 0
		.amdhsa_exception_fp_ieee_invalid_op 0
		.amdhsa_exception_fp_denorm_src 0
		.amdhsa_exception_fp_ieee_div_zero 0
		.amdhsa_exception_fp_ieee_overflow 0
		.amdhsa_exception_fp_ieee_underflow 0
		.amdhsa_exception_fp_ieee_inexact 0
		.amdhsa_exception_int_div_zero 0
	.end_amdhsa_kernel
	.section	.text._ZN2at6native29vectorized_elementwise_kernelILi4ENS0_13AUnaryFunctorIbbbNS0_12_GLOBAL__N_116CompareEqFunctorIbEEEESt5arrayIPcLm2EEEEviT0_T1_,"axG",@progbits,_ZN2at6native29vectorized_elementwise_kernelILi4ENS0_13AUnaryFunctorIbbbNS0_12_GLOBAL__N_116CompareEqFunctorIbEEEESt5arrayIPcLm2EEEEviT0_T1_,comdat
.Lfunc_end218:
	.size	_ZN2at6native29vectorized_elementwise_kernelILi4ENS0_13AUnaryFunctorIbbbNS0_12_GLOBAL__N_116CompareEqFunctorIbEEEESt5arrayIPcLm2EEEEviT0_T1_, .Lfunc_end218-_ZN2at6native29vectorized_elementwise_kernelILi4ENS0_13AUnaryFunctorIbbbNS0_12_GLOBAL__N_116CompareEqFunctorIbEEEESt5arrayIPcLm2EEEEviT0_T1_
                                        ; -- End function
	.set _ZN2at6native29vectorized_elementwise_kernelILi4ENS0_13AUnaryFunctorIbbbNS0_12_GLOBAL__N_116CompareEqFunctorIbEEEESt5arrayIPcLm2EEEEviT0_T1_.num_vgpr, 19
	.set _ZN2at6native29vectorized_elementwise_kernelILi4ENS0_13AUnaryFunctorIbbbNS0_12_GLOBAL__N_116CompareEqFunctorIbEEEESt5arrayIPcLm2EEEEviT0_T1_.num_agpr, 0
	.set _ZN2at6native29vectorized_elementwise_kernelILi4ENS0_13AUnaryFunctorIbbbNS0_12_GLOBAL__N_116CompareEqFunctorIbEEEESt5arrayIPcLm2EEEEviT0_T1_.numbered_sgpr, 46
	.set _ZN2at6native29vectorized_elementwise_kernelILi4ENS0_13AUnaryFunctorIbbbNS0_12_GLOBAL__N_116CompareEqFunctorIbEEEESt5arrayIPcLm2EEEEviT0_T1_.num_named_barrier, 0
	.set _ZN2at6native29vectorized_elementwise_kernelILi4ENS0_13AUnaryFunctorIbbbNS0_12_GLOBAL__N_116CompareEqFunctorIbEEEESt5arrayIPcLm2EEEEviT0_T1_.private_seg_size, 0
	.set _ZN2at6native29vectorized_elementwise_kernelILi4ENS0_13AUnaryFunctorIbbbNS0_12_GLOBAL__N_116CompareEqFunctorIbEEEESt5arrayIPcLm2EEEEviT0_T1_.uses_vcc, 1
	.set _ZN2at6native29vectorized_elementwise_kernelILi4ENS0_13AUnaryFunctorIbbbNS0_12_GLOBAL__N_116CompareEqFunctorIbEEEESt5arrayIPcLm2EEEEviT0_T1_.uses_flat_scratch, 0
	.set _ZN2at6native29vectorized_elementwise_kernelILi4ENS0_13AUnaryFunctorIbbbNS0_12_GLOBAL__N_116CompareEqFunctorIbEEEESt5arrayIPcLm2EEEEviT0_T1_.has_dyn_sized_stack, 0
	.set _ZN2at6native29vectorized_elementwise_kernelILi4ENS0_13AUnaryFunctorIbbbNS0_12_GLOBAL__N_116CompareEqFunctorIbEEEESt5arrayIPcLm2EEEEviT0_T1_.has_recursion, 0
	.set _ZN2at6native29vectorized_elementwise_kernelILi4ENS0_13AUnaryFunctorIbbbNS0_12_GLOBAL__N_116CompareEqFunctorIbEEEESt5arrayIPcLm2EEEEviT0_T1_.has_indirect_call, 0
	.section	.AMDGPU.csdata,"",@progbits
; Kernel info:
; codeLenInByte = 3680
; TotalNumSgprs: 50
; NumVgprs: 19
; ScratchSize: 0
; MemoryBound: 0
; FloatMode: 240
; IeeeMode: 1
; LDSByteSize: 0 bytes/workgroup (compile time only)
; SGPRBlocks: 6
; VGPRBlocks: 4
; NumSGPRsForWavesPerEU: 50
; NumVGPRsForWavesPerEU: 19
; Occupancy: 10
; WaveLimiterHint : 1
; COMPUTE_PGM_RSRC2:SCRATCH_EN: 0
; COMPUTE_PGM_RSRC2:USER_SGPR: 6
; COMPUTE_PGM_RSRC2:TRAP_HANDLER: 0
; COMPUTE_PGM_RSRC2:TGID_X_EN: 1
; COMPUTE_PGM_RSRC2:TGID_Y_EN: 0
; COMPUTE_PGM_RSRC2:TGID_Z_EN: 0
; COMPUTE_PGM_RSRC2:TIDIG_COMP_CNT: 0
	.section	.text._ZN2at6native29vectorized_elementwise_kernelILi2ENS0_13AUnaryFunctorIbbbNS0_12_GLOBAL__N_116CompareEqFunctorIbEEEESt5arrayIPcLm2EEEEviT0_T1_,"axG",@progbits,_ZN2at6native29vectorized_elementwise_kernelILi2ENS0_13AUnaryFunctorIbbbNS0_12_GLOBAL__N_116CompareEqFunctorIbEEEESt5arrayIPcLm2EEEEviT0_T1_,comdat
	.globl	_ZN2at6native29vectorized_elementwise_kernelILi2ENS0_13AUnaryFunctorIbbbNS0_12_GLOBAL__N_116CompareEqFunctorIbEEEESt5arrayIPcLm2EEEEviT0_T1_ ; -- Begin function _ZN2at6native29vectorized_elementwise_kernelILi2ENS0_13AUnaryFunctorIbbbNS0_12_GLOBAL__N_116CompareEqFunctorIbEEEESt5arrayIPcLm2EEEEviT0_T1_
	.p2align	8
	.type	_ZN2at6native29vectorized_elementwise_kernelILi2ENS0_13AUnaryFunctorIbbbNS0_12_GLOBAL__N_116CompareEqFunctorIbEEEESt5arrayIPcLm2EEEEviT0_T1_,@function
_ZN2at6native29vectorized_elementwise_kernelILi2ENS0_13AUnaryFunctorIbbbNS0_12_GLOBAL__N_116CompareEqFunctorIbEEEESt5arrayIPcLm2EEEEviT0_T1_: ; @_ZN2at6native29vectorized_elementwise_kernelILi2ENS0_13AUnaryFunctorIbbbNS0_12_GLOBAL__N_116CompareEqFunctorIbEEEESt5arrayIPcLm2EEEEviT0_T1_
; %bb.0:
	s_load_dwordx8 s[16:23], s[4:5], 0x0
	s_waitcnt lgkmcnt(0)
	s_lshl_b32 s19, s6, 12
	s_mov_b64 s[0:1], -1
	s_sub_i32 s16, s16, s19
	s_cmpk_gt_i32 s16, 0xfff
	s_cbranch_scc0 .LBB219_2
; %bb.1:
	s_bitcmp1_b32 s18, 0
	s_cselect_b64 s[14:15], -1, 0
	s_ashr_i32 s33, s19, 31
	s_add_u32 s0, s22, s19
	s_addc_u32 s1, s23, s33
	v_lshlrev_b32_e32 v1, 1, v0
	global_load_ushort v2, v1, s[0:1]
	global_load_ushort v3, v1, s[0:1] offset:512
	global_load_ushort v4, v1, s[0:1] offset:1024
	;; [unrolled: 1-line block ×7, first 2 shown]
	s_movk_i32 s12, 0xff
	v_mov_b32_e32 v10, 0
	s_cmp_eq_u32 s17, 0
	s_cselect_b64 s[24:25], -1, 0
	s_waitcnt vmcnt(7)
	v_cmp_lt_u16_e32 vcc, s12, v2
	s_waitcnt vmcnt(6)
	v_cmp_lt_u16_e64 s[0:1], s12, v3
	s_waitcnt vmcnt(5)
	v_cmp_ne_u16_sdwa s[30:31], v4, v10 src0_sel:BYTE_0 src1_sel:DWORD
	s_xor_b64 s[0:1], s[0:1], s[14:15]
	v_cmp_lt_u16_e64 s[2:3], s12, v4
	s_xor_b64 s[30:31], s[30:31], s[14:15]
	s_xor_b64 s[0:1], s[24:25], s[0:1]
	s_waitcnt vmcnt(4)
	v_cmp_ne_u16_sdwa s[34:35], v5, v10 src0_sel:BYTE_0 src1_sel:DWORD
	v_cmp_lt_u16_e64 s[4:5], s12, v5
	s_xor_b64 s[2:3], s[2:3], s[14:15]
	v_cndmask_b32_e64 v5, 0, 1, s[0:1]
	s_xor_b64 s[0:1], s[24:25], s[30:31]
	s_waitcnt vmcnt(3)
	v_cmp_ne_u16_sdwa s[36:37], v6, v10 src0_sel:BYTE_0 src1_sel:DWORD
	v_cmp_lt_u16_e64 s[6:7], s12, v6
	s_xor_b64 s[34:35], s[34:35], s[14:15]
	v_cndmask_b32_e64 v6, 0, 1, s[0:1]
	;; [unrolled: 6-line block ×5, first 2 shown]
	s_xor_b64 s[0:1], s[24:25], s[36:37]
	v_cmp_ne_u16_sdwa s[26:27], v2, v10 src0_sel:BYTE_0 src1_sel:DWORD
	v_cmp_ne_u16_sdwa s[28:29], v3, v10 src0_sel:BYTE_0 src1_sel:DWORD
	s_xor_b64 s[38:39], s[38:39], s[14:15]
	v_cndmask_b32_e64 v10, 0, 1, s[0:1]
	s_xor_b64 s[0:1], s[24:25], s[6:7]
	s_xor_b64 s[8:9], s[8:9], s[14:15]
	v_cndmask_b32_e64 v11, 0, 1, s[0:1]
	s_xor_b64 s[0:1], s[24:25], s[38:39]
	;; [unrolled: 3-line block ×3, first 2 shown]
	s_xor_b64 s[26:27], s[26:27], s[14:15]
	s_xor_b64 s[10:11], s[10:11], s[14:15]
	v_cndmask_b32_e64 v13, 0, 1, s[0:1]
	s_xor_b64 s[0:1], s[24:25], s[40:41]
	s_xor_b64 s[44:45], vcc, s[14:15]
	s_xor_b64 s[28:29], s[28:29], s[14:15]
	s_xor_b64 s[42:43], s[42:43], s[14:15]
	;; [unrolled: 1-line block ×4, first 2 shown]
	v_cndmask_b32_e64 v14, 0, 1, s[0:1]
	s_xor_b64 s[0:1], s[24:25], s[10:11]
	v_cndmask_b32_e64 v2, 0, 1, s[14:15]
	s_xor_b64 s[14:15], s[24:25], s[44:45]
	;; [unrolled: 2-line block ×5, first 2 shown]
	v_cndmask_b32_e64 v17, 0, 1, s[0:1]
	v_lshlrev_b16_e32 v3, 8, v3
	s_add_u32 s0, s20, s19
	v_cndmask_b32_e64 v4, 0, 1, s[14:15]
	v_lshlrev_b16_e32 v17, 8, v17
	v_lshlrev_b16_e32 v15, 8, v15
	;; [unrolled: 1-line block ×7, first 2 shown]
	v_or_b32_e32 v2, v2, v3
	s_addc_u32 s1, s21, s33
	v_or_b32_e32 v16, v16, v17
	v_or_b32_e32 v14, v14, v15
	;; [unrolled: 1-line block ×7, first 2 shown]
	global_store_short v1, v2, s[0:1]
	global_store_short v1, v4, s[0:1] offset:512
	global_store_short v1, v6, s[0:1] offset:1024
	;; [unrolled: 1-line block ×7, first 2 shown]
	s_mov_b64 s[0:1], 0
.LBB219_2:
	s_andn2_b64 vcc, exec, s[0:1]
	s_cbranch_vccnz .LBB219_52
; %bb.3:
	v_cmp_gt_i32_e32 vcc, s16, v0
	v_mov_b32_e32 v2, 0
	v_or_b32_e32 v1, s19, v0
	v_mov_b32_e32 v3, 0
	v_mov_b32_e32 v10, v0
	s_and_saveexec_b64 s[2:3], vcc
	s_cbranch_execz .LBB219_5
; %bb.4:
	global_load_ubyte v3, v1, s[22:23]
	v_or_b32_e32 v10, 0x100, v0
	s_waitcnt vmcnt(0)
	v_cmp_ne_u16_e64 s[0:1], 0, v3
	v_cndmask_b32_e64 v3, 0, 1, s[0:1]
.LBB219_5:
	s_or_b64 exec, exec, s[2:3]
	v_cmp_gt_i32_e64 s[0:1], s16, v10
	s_and_saveexec_b64 s[2:3], s[0:1]
	s_cbranch_execz .LBB219_7
; %bb.6:
	v_add_u32_e32 v2, s19, v10
	global_load_ubyte v2, v2, s[22:23]
	v_add_u32_e32 v10, 0x100, v10
	s_waitcnt vmcnt(0)
	v_cmp_ne_u16_e64 s[0:1], 0, v2
	v_cndmask_b32_e64 v2, 0, 1, s[0:1]
.LBB219_7:
	s_or_b64 exec, exec, s[2:3]
	v_cmp_gt_i32_e64 s[0:1], s16, v10
	v_mov_b32_e32 v4, 0
	v_mov_b32_e32 v5, 0
	s_and_saveexec_b64 s[2:3], s[0:1]
	s_cbranch_execz .LBB219_9
; %bb.8:
	v_add_u32_e32 v5, s19, v10
	global_load_ubyte v5, v5, s[22:23]
	v_add_u32_e32 v10, 0x100, v10
	s_waitcnt vmcnt(0)
	v_cmp_ne_u16_e64 s[0:1], 0, v5
	v_cndmask_b32_e64 v5, 0, 1, s[0:1]
.LBB219_9:
	s_or_b64 exec, exec, s[2:3]
	v_cmp_gt_i32_e64 s[0:1], s16, v10
	s_and_saveexec_b64 s[2:3], s[0:1]
	s_cbranch_execz .LBB219_11
; %bb.10:
	v_add_u32_e32 v4, s19, v10
	global_load_ubyte v4, v4, s[22:23]
	v_add_u32_e32 v10, 0x100, v10
	s_waitcnt vmcnt(0)
	v_cmp_ne_u16_e64 s[0:1], 0, v4
	v_cndmask_b32_e64 v4, 0, 1, s[0:1]
.LBB219_11:
	s_or_b64 exec, exec, s[2:3]
	v_cmp_gt_i32_e64 s[0:1], s16, v10
	v_mov_b32_e32 v6, 0
	v_mov_b32_e32 v7, 0
	s_and_saveexec_b64 s[2:3], s[0:1]
	s_cbranch_execz .LBB219_13
; %bb.12:
	v_add_u32_e32 v7, s19, v10
	global_load_ubyte v7, v7, s[22:23]
	v_add_u32_e32 v10, 0x100, v10
	s_waitcnt vmcnt(0)
	v_cmp_ne_u16_e64 s[0:1], 0, v7
	v_cndmask_b32_e64 v7, 0, 1, s[0:1]
.LBB219_13:
	;; [unrolled: 26-line block ×7, first 2 shown]
	s_or_b64 exec, exec, s[2:3]
	v_cmp_gt_i32_e64 s[0:1], s16, v10
	s_and_saveexec_b64 s[2:3], s[0:1]
	s_cbranch_execz .LBB219_35
; %bb.34:
	v_add_u32_e32 v10, s19, v10
	global_load_ubyte v10, v10, s[22:23]
	s_waitcnt vmcnt(0)
	v_cmp_ne_u16_e64 s[0:1], 0, v10
	v_cndmask_b32_e64 v17, 0, 1, s[0:1]
.LBB219_35:
	s_or_b64 exec, exec, s[2:3]
	v_xor_b32_e32 v3, s18, v3
	s_cmp_eq_u32 s17, 0
	v_and_b32_e32 v3, 1, v3
	s_cselect_b64 s[2:3], -1, 0
	v_cmp_eq_u32_e64 s[0:1], 1, v3
	v_xor_b32_e32 v2, s18, v2
	s_xor_b64 s[0:1], s[2:3], s[0:1]
	v_and_b32_e32 v2, 1, v2
	v_cndmask_b32_e64 v3, 0, 1, s[0:1]
	v_cmp_eq_u32_e64 s[0:1], 1, v2
	s_xor_b64 s[0:1], s[2:3], s[0:1]
	v_cndmask_b32_e64 v2, 0, 1, s[0:1]
	v_cndmask_b32_e32 v3, 0, v3, vcc
	v_lshlrev_b16_e32 v2, 8, v2
	v_or_b32_e32 v10, 0x100, v0
	v_or_b32_e32 v2, v3, v2
	v_xor_b32_e32 v5, s18, v5
	v_and_b32_e32 v2, 0xffff, v2
	v_cmp_gt_i32_e64 s[0:1], s16, v10
	v_and_b32_e32 v5, 1, v5
	v_cndmask_b32_e64 v2, v3, v2, s[0:1]
	v_cmp_eq_u32_e64 s[0:1], 1, v5
	s_xor_b64 s[0:1], s[2:3], s[0:1]
	v_or_b32_e32 v3, 0x200, v0
	v_cndmask_b32_e64 v5, 0, 1, s[0:1]
	v_xor_b32_e32 v4, s18, v4
	v_lshl_or_b32 v5, v5, 16, v2
	v_cmp_gt_i32_e64 s[0:1], s16, v3
	v_and_b32_e32 v4, 1, v4
	v_cndmask_b32_e64 v2, v2, v5, s[0:1]
	v_cmp_eq_u32_e64 s[0:1], 1, v4
	s_xor_b64 s[0:1], s[2:3], s[0:1]
	s_movk_i32 s5, 0xff
	v_cndmask_b32_e64 v4, 0, 1, s[0:1]
	v_and_b32_sdwa v3, v2, s5 dst_sel:DWORD dst_unused:UNUSED_PAD src0_sel:WORD_1 src1_sel:DWORD
	v_lshlrev_b16_e32 v4, 8, v4
	s_mov_b32 s4, 0xffff
	v_or_b32_e32 v5, 0x300, v0
	v_or_b32_sdwa v3, v3, v4 dst_sel:WORD_1 dst_unused:UNUSED_PAD src0_sel:DWORD src1_sel:DWORD
	v_and_or_b32 v3, v2, s4, v3
	v_cmp_gt_i32_e64 s[0:1], s16, v5
	v_cndmask_b32_e64 v5, v2, v3, s[0:1]
	v_xor_b32_e32 v2, s18, v7
	v_and_b32_e32 v2, 1, v2
	v_cmp_eq_u32_e64 s[0:1], 1, v2
	s_xor_b64 s[0:1], s[2:3], s[0:1]
	v_cndmask_b32_e64 v2, 0, 1, s[0:1]
	v_or_b32_e32 v3, 0x400, v0
	v_xor_b32_e32 v4, s18, v6
	v_and_b32_e32 v2, 0xffff, v2
	v_cmp_gt_i32_e64 s[0:1], s16, v3
	v_and_b32_e32 v4, 1, v4
	v_cndmask_b32_e64 v2, 0, v2, s[0:1]
	v_cmp_eq_u32_e64 s[0:1], 1, v4
	s_xor_b64 s[0:1], s[2:3], s[0:1]
	v_cndmask_b32_e64 v4, 0, 1, s[0:1]
	v_lshlrev_b16_e32 v4, 8, v4
	v_or_b32_e32 v3, 0x500, v0
	v_or_b32_sdwa v4, v2, v4 dst_sel:DWORD dst_unused:UNUSED_PAD src0_sel:BYTE_0 src1_sel:DWORD
	v_and_b32_e32 v4, 0xffff, v4
	v_cmp_gt_i32_e64 s[0:1], s16, v3
	v_cndmask_b32_e64 v2, v2, v4, s[0:1]
	v_xor_b32_e32 v4, s18, v9
	v_and_b32_e32 v4, 1, v4
	v_cmp_eq_u32_e64 s[0:1], 1, v4
	s_movk_i32 s6, 0xff00
	s_xor_b64 s[0:1], s[2:3], s[0:1]
	v_and_b32_sdwa v3, v2, s6 dst_sel:DWORD dst_unused:UNUSED_PAD src0_sel:WORD_1 src1_sel:DWORD
	v_cndmask_b32_e64 v4, 0, 1, s[0:1]
	v_or_b32_sdwa v3, v4, v3 dst_sel:WORD_1 dst_unused:UNUSED_PAD src0_sel:DWORD src1_sel:DWORD
	v_or_b32_e32 v4, 0x600, v0
	v_xor_b32_e32 v6, s18, v8
	v_and_or_b32 v3, v2, s4, v3
	v_cmp_gt_i32_e64 s[0:1], s16, v4
	v_and_b32_e32 v6, 1, v6
	v_cndmask_b32_e64 v2, v2, v3, s[0:1]
	v_cmp_eq_u32_e64 s[0:1], 1, v6
	s_xor_b64 s[0:1], s[2:3], s[0:1]
	v_cndmask_b32_e64 v6, 0, 1, s[0:1]
	v_and_b32_sdwa v3, v2, s5 dst_sel:DWORD dst_unused:UNUSED_PAD src0_sel:WORD_1 src1_sel:DWORD
	v_lshlrev_b16_e32 v6, 8, v6
	v_or_b32_e32 v4, 0x700, v0
	v_or_b32_sdwa v3, v3, v6 dst_sel:WORD_1 dst_unused:UNUSED_PAD src0_sel:DWORD src1_sel:DWORD
	v_and_or_b32 v3, v2, s4, v3
	v_cmp_gt_i32_e64 s[0:1], s16, v4
	v_cndmask_b32_e64 v4, v2, v3, s[0:1]
	v_xor_b32_e32 v3, s18, v12
	v_and_b32_e32 v3, 1, v3
	v_cmp_eq_u32_e64 s[0:1], 1, v3
	v_or_b32_e32 v2, 0x800, v0
	s_xor_b64 s[0:1], s[2:3], s[0:1]
	v_xor_b32_e32 v6, s18, v11
	v_cndmask_b32_e64 v3, 0, 1, s[0:1]
	v_cmp_gt_i32_e64 s[0:1], s16, v2
	v_and_b32_e32 v6, 1, v6
	v_cndmask_b32_e64 v2, 0, v3, s[0:1]
	v_cmp_eq_u32_e64 s[0:1], 1, v6
	s_xor_b64 s[0:1], s[2:3], s[0:1]
	v_cndmask_b32_e64 v6, 0, 1, s[0:1]
	v_lshlrev_b16_e32 v6, 8, v6
	v_or_b32_e32 v3, 0x900, v0
	v_or_b32_e32 v6, v2, v6
	v_and_b32_e32 v6, 0xffff, v6
	v_cmp_gt_i32_e64 s[0:1], s16, v3
	v_cndmask_b32_e64 v2, v2, v6, s[0:1]
	v_xor_b32_e32 v6, s18, v14
	v_and_b32_e32 v6, 1, v6
	v_cmp_eq_u32_e64 s[0:1], 1, v6
	s_xor_b64 s[0:1], s[2:3], s[0:1]
	v_cndmask_b32_e64 v6, 0, 1, s[0:1]
	v_or_b32_e32 v3, 0xa00, v0
	v_lshlrev_b32_e32 v6, 16, v6
	s_movk_i32 s0, 0x1ff
	v_xor_b32_e32 v7, s18, v13
	v_and_or_b32 v6, v2, s0, v6
	v_cmp_gt_i32_e64 s[0:1], s16, v3
	v_and_b32_e32 v7, 1, v7
	v_cndmask_b32_e64 v2, v2, v6, s[0:1]
	v_cmp_eq_u32_e64 s[0:1], 1, v7
	s_xor_b64 s[0:1], s[2:3], s[0:1]
	v_cndmask_b32_e64 v7, 0, 1, s[0:1]
	v_and_b32_sdwa v3, v2, s5 dst_sel:DWORD dst_unused:UNUSED_PAD src0_sel:WORD_1 src1_sel:DWORD
	v_or_b32_e32 v6, 0xb00, v0
	v_lshlrev_b16_e32 v7, 8, v7
	v_or_b32_sdwa v3, v3, v7 dst_sel:WORD_1 dst_unused:UNUSED_PAD src0_sel:DWORD src1_sel:DWORD
	v_cmp_gt_i32_e64 s[0:1], s16, v6
	v_xor_b32_e32 v6, s18, v16
	v_and_or_b32 v3, v2, s4, v3
	v_and_b32_e32 v6, 1, v6
	v_cndmask_b32_e64 v3, v2, v3, s[0:1]
	v_cmp_eq_u32_e64 s[0:1], 1, v6
	v_or_b32_e32 v2, 0xc00, v0
	s_xor_b64 s[0:1], s[2:3], s[0:1]
	v_xor_b32_e32 v7, s18, v15
	v_cndmask_b32_e64 v6, 0, 1, s[0:1]
	v_cmp_gt_i32_e64 s[0:1], s16, v2
	v_and_b32_e32 v7, 1, v7
	v_cndmask_b32_e64 v2, 0, v6, s[0:1]
	v_cmp_eq_u32_e64 s[0:1], 1, v7
	s_xor_b64 s[0:1], s[2:3], s[0:1]
	v_cndmask_b32_e64 v7, 0, 1, s[0:1]
	v_lshlrev_b16_e32 v7, 8, v7
	v_or_b32_e32 v6, 0xd00, v0
	v_or_b32_sdwa v7, v2, v7 dst_sel:DWORD dst_unused:UNUSED_PAD src0_sel:BYTE_0 src1_sel:DWORD
	v_and_b32_e32 v7, 0xffff, v7
	v_cmp_gt_i32_e64 s[0:1], s16, v6
	v_cndmask_b32_e64 v2, v2, v7, s[0:1]
	v_xor_b32_e32 v7, s18, v18
	v_and_b32_e32 v7, 1, v7
	v_cmp_eq_u32_e64 s[0:1], 1, v7
	s_xor_b64 s[0:1], s[2:3], s[0:1]
	v_and_b32_sdwa v6, v2, s6 dst_sel:DWORD dst_unused:UNUSED_PAD src0_sel:WORD_1 src1_sel:DWORD
	v_cndmask_b32_e64 v7, 0, 1, s[0:1]
	v_or_b32_sdwa v6, v7, v6 dst_sel:WORD_1 dst_unused:UNUSED_PAD src0_sel:DWORD src1_sel:DWORD
	v_or_b32_e32 v7, 0xe00, v0
	v_xor_b32_e32 v8, s18, v17
	v_and_or_b32 v6, v2, s4, v6
	v_cmp_gt_i32_e64 s[0:1], s16, v7
	v_and_b32_e32 v8, 1, v8
	v_cndmask_b32_e64 v2, v2, v6, s[0:1]
	v_cmp_eq_u32_e64 s[0:1], 1, v8
	s_xor_b64 s[0:1], s[2:3], s[0:1]
	v_cndmask_b32_e64 v8, 0, 1, s[0:1]
	v_and_b32_sdwa v6, v2, s5 dst_sel:DWORD dst_unused:UNUSED_PAD src0_sel:WORD_1 src1_sel:DWORD
	v_lshlrev_b16_e32 v8, 8, v8
	v_or_b32_e32 v7, 0xf00, v0
	v_or_b32_sdwa v6, v6, v8 dst_sel:WORD_1 dst_unused:UNUSED_PAD src0_sel:DWORD src1_sel:DWORD
	v_and_or_b32 v6, v2, s4, v6
	v_cmp_gt_i32_e64 s[0:1], s16, v7
	v_cndmask_b32_e64 v2, v2, v6, s[0:1]
	s_and_saveexec_b64 s[0:1], vcc
	s_cbranch_execnz .LBB219_53
; %bb.36:
	s_or_b64 exec, exec, s[0:1]
	v_cmp_gt_i32_e32 vcc, s16, v0
	s_and_saveexec_b64 s[0:1], vcc
	s_cbranch_execnz .LBB219_54
.LBB219_37:
	s_or_b64 exec, exec, s[0:1]
	v_cmp_gt_i32_e32 vcc, s16, v0
	s_and_saveexec_b64 s[0:1], vcc
	s_cbranch_execnz .LBB219_55
.LBB219_38:
	s_or_b64 exec, exec, s[0:1]
	v_cmp_gt_i32_e32 vcc, s16, v0
	s_and_saveexec_b64 s[0:1], vcc
	s_cbranch_execnz .LBB219_56
.LBB219_39:
	s_or_b64 exec, exec, s[0:1]
	v_cmp_gt_i32_e32 vcc, s16, v0
	s_and_saveexec_b64 s[0:1], vcc
	s_cbranch_execnz .LBB219_57
.LBB219_40:
	s_or_b64 exec, exec, s[0:1]
	v_cmp_gt_i32_e32 vcc, s16, v0
	s_and_saveexec_b64 s[0:1], vcc
	s_cbranch_execnz .LBB219_58
.LBB219_41:
	s_or_b64 exec, exec, s[0:1]
	v_cmp_gt_i32_e32 vcc, s16, v0
	s_and_saveexec_b64 s[0:1], vcc
	s_cbranch_execnz .LBB219_59
.LBB219_42:
	s_or_b64 exec, exec, s[0:1]
	v_cmp_gt_i32_e32 vcc, s16, v0
	s_and_saveexec_b64 s[0:1], vcc
	s_cbranch_execnz .LBB219_60
.LBB219_43:
	s_or_b64 exec, exec, s[0:1]
	v_cmp_gt_i32_e32 vcc, s16, v0
	s_and_saveexec_b64 s[0:1], vcc
	s_cbranch_execnz .LBB219_61
.LBB219_44:
	s_or_b64 exec, exec, s[0:1]
	v_cmp_gt_i32_e32 vcc, s16, v0
	s_and_saveexec_b64 s[0:1], vcc
	s_cbranch_execnz .LBB219_62
.LBB219_45:
	s_or_b64 exec, exec, s[0:1]
	v_cmp_gt_i32_e32 vcc, s16, v0
	s_and_saveexec_b64 s[0:1], vcc
	s_cbranch_execnz .LBB219_63
.LBB219_46:
	s_or_b64 exec, exec, s[0:1]
	v_cmp_gt_i32_e32 vcc, s16, v0
	s_and_saveexec_b64 s[0:1], vcc
	s_cbranch_execnz .LBB219_64
.LBB219_47:
	s_or_b64 exec, exec, s[0:1]
	v_cmp_gt_i32_e32 vcc, s16, v0
	s_and_saveexec_b64 s[0:1], vcc
	s_cbranch_execnz .LBB219_65
.LBB219_48:
	s_or_b64 exec, exec, s[0:1]
	v_cmp_gt_i32_e32 vcc, s16, v0
	s_and_saveexec_b64 s[0:1], vcc
	s_cbranch_execnz .LBB219_66
.LBB219_49:
	s_or_b64 exec, exec, s[0:1]
	v_cmp_gt_i32_e32 vcc, s16, v0
	s_and_saveexec_b64 s[0:1], vcc
	s_cbranch_execnz .LBB219_67
.LBB219_50:
	s_or_b64 exec, exec, s[0:1]
	v_cmp_gt_i32_e32 vcc, s16, v0
	s_and_saveexec_b64 s[0:1], vcc
	s_cbranch_execz .LBB219_52
.LBB219_51:
	v_lshrrev_b32_e32 v1, 24, v2
	v_add_u32_e32 v0, s19, v0
	global_store_byte v0, v1, s[20:21]
.LBB219_52:
	s_endpgm
.LBB219_53:
	v_mov_b32_e32 v0, v10
	global_store_byte v1, v5, s[20:21]
	s_or_b64 exec, exec, s[0:1]
	v_cmp_gt_i32_e32 vcc, s16, v0
	s_and_saveexec_b64 s[0:1], vcc
	s_cbranch_execz .LBB219_37
.LBB219_54:
	v_lshrrev_b32_e32 v1, 8, v5
	v_add_u32_e32 v6, s19, v0
	v_add_u32_e32 v0, 0x100, v0
	global_store_byte v6, v1, s[20:21]
	s_or_b64 exec, exec, s[0:1]
	v_cmp_gt_i32_e32 vcc, s16, v0
	s_and_saveexec_b64 s[0:1], vcc
	s_cbranch_execz .LBB219_38
.LBB219_55:
	v_add_u32_e32 v1, s19, v0
	v_add_u32_e32 v0, 0x100, v0
	global_store_byte_d16_hi v1, v5, s[20:21]
	s_or_b64 exec, exec, s[0:1]
	v_cmp_gt_i32_e32 vcc, s16, v0
	s_and_saveexec_b64 s[0:1], vcc
	s_cbranch_execz .LBB219_39
.LBB219_56:
	v_lshrrev_b32_e32 v1, 24, v5
	v_add_u32_e32 v5, s19, v0
	v_add_u32_e32 v0, 0x100, v0
	global_store_byte v5, v1, s[20:21]
	s_or_b64 exec, exec, s[0:1]
	v_cmp_gt_i32_e32 vcc, s16, v0
	s_and_saveexec_b64 s[0:1], vcc
	s_cbranch_execz .LBB219_40
.LBB219_57:
	v_add_u32_e32 v1, s19, v0
	v_add_u32_e32 v0, 0x100, v0
	global_store_byte v1, v4, s[20:21]
	s_or_b64 exec, exec, s[0:1]
	v_cmp_gt_i32_e32 vcc, s16, v0
	s_and_saveexec_b64 s[0:1], vcc
	s_cbranch_execz .LBB219_41
.LBB219_58:
	v_lshrrev_b32_e32 v1, 8, v4
	v_add_u32_e32 v5, s19, v0
	v_add_u32_e32 v0, 0x100, v0
	global_store_byte v5, v1, s[20:21]
	s_or_b64 exec, exec, s[0:1]
	v_cmp_gt_i32_e32 vcc, s16, v0
	s_and_saveexec_b64 s[0:1], vcc
	s_cbranch_execz .LBB219_42
.LBB219_59:
	v_add_u32_e32 v1, s19, v0
	v_add_u32_e32 v0, 0x100, v0
	global_store_byte_d16_hi v1, v4, s[20:21]
	s_or_b64 exec, exec, s[0:1]
	v_cmp_gt_i32_e32 vcc, s16, v0
	s_and_saveexec_b64 s[0:1], vcc
	s_cbranch_execz .LBB219_43
.LBB219_60:
	v_lshrrev_b32_e32 v1, 24, v4
	v_add_u32_e32 v4, s19, v0
	v_add_u32_e32 v0, 0x100, v0
	global_store_byte v4, v1, s[20:21]
	s_or_b64 exec, exec, s[0:1]
	v_cmp_gt_i32_e32 vcc, s16, v0
	s_and_saveexec_b64 s[0:1], vcc
	s_cbranch_execz .LBB219_44
.LBB219_61:
	v_add_u32_e32 v1, s19, v0
	v_add_u32_e32 v0, 0x100, v0
	global_store_byte v1, v3, s[20:21]
	s_or_b64 exec, exec, s[0:1]
	v_cmp_gt_i32_e32 vcc, s16, v0
	s_and_saveexec_b64 s[0:1], vcc
	s_cbranch_execz .LBB219_45
.LBB219_62:
	v_lshrrev_b32_e32 v1, 8, v3
	v_add_u32_e32 v4, s19, v0
	v_add_u32_e32 v0, 0x100, v0
	global_store_byte v4, v1, s[20:21]
	s_or_b64 exec, exec, s[0:1]
	v_cmp_gt_i32_e32 vcc, s16, v0
	s_and_saveexec_b64 s[0:1], vcc
	s_cbranch_execz .LBB219_46
.LBB219_63:
	v_add_u32_e32 v1, s19, v0
	v_add_u32_e32 v0, 0x100, v0
	global_store_byte_d16_hi v1, v3, s[20:21]
	s_or_b64 exec, exec, s[0:1]
	v_cmp_gt_i32_e32 vcc, s16, v0
	s_and_saveexec_b64 s[0:1], vcc
	s_cbranch_execz .LBB219_47
.LBB219_64:
	v_lshrrev_b32_e32 v1, 24, v3
	v_add_u32_e32 v3, s19, v0
	v_add_u32_e32 v0, 0x100, v0
	global_store_byte v3, v1, s[20:21]
	s_or_b64 exec, exec, s[0:1]
	v_cmp_gt_i32_e32 vcc, s16, v0
	s_and_saveexec_b64 s[0:1], vcc
	s_cbranch_execz .LBB219_48
.LBB219_65:
	v_add_u32_e32 v1, s19, v0
	v_add_u32_e32 v0, 0x100, v0
	global_store_byte v1, v2, s[20:21]
	s_or_b64 exec, exec, s[0:1]
	v_cmp_gt_i32_e32 vcc, s16, v0
	s_and_saveexec_b64 s[0:1], vcc
	s_cbranch_execz .LBB219_49
.LBB219_66:
	v_lshrrev_b32_e32 v1, 8, v2
	v_add_u32_e32 v3, s19, v0
	v_add_u32_e32 v0, 0x100, v0
	global_store_byte v3, v1, s[20:21]
	s_or_b64 exec, exec, s[0:1]
	v_cmp_gt_i32_e32 vcc, s16, v0
	s_and_saveexec_b64 s[0:1], vcc
	s_cbranch_execz .LBB219_50
.LBB219_67:
	v_add_u32_e32 v1, s19, v0
	v_add_u32_e32 v0, 0x100, v0
	global_store_byte_d16_hi v1, v2, s[20:21]
	s_or_b64 exec, exec, s[0:1]
	v_cmp_gt_i32_e32 vcc, s16, v0
	s_and_saveexec_b64 s[0:1], vcc
	s_cbranch_execnz .LBB219_51
	s_branch .LBB219_52
	.section	.rodata,"a",@progbits
	.p2align	6, 0x0
	.amdhsa_kernel _ZN2at6native29vectorized_elementwise_kernelILi2ENS0_13AUnaryFunctorIbbbNS0_12_GLOBAL__N_116CompareEqFunctorIbEEEESt5arrayIPcLm2EEEEviT0_T1_
		.amdhsa_group_segment_fixed_size 0
		.amdhsa_private_segment_fixed_size 0
		.amdhsa_kernarg_size 32
		.amdhsa_user_sgpr_count 6
		.amdhsa_user_sgpr_private_segment_buffer 1
		.amdhsa_user_sgpr_dispatch_ptr 0
		.amdhsa_user_sgpr_queue_ptr 0
		.amdhsa_user_sgpr_kernarg_segment_ptr 1
		.amdhsa_user_sgpr_dispatch_id 0
		.amdhsa_user_sgpr_flat_scratch_init 0
		.amdhsa_user_sgpr_private_segment_size 0
		.amdhsa_uses_dynamic_stack 0
		.amdhsa_system_sgpr_private_segment_wavefront_offset 0
		.amdhsa_system_sgpr_workgroup_id_x 1
		.amdhsa_system_sgpr_workgroup_id_y 0
		.amdhsa_system_sgpr_workgroup_id_z 0
		.amdhsa_system_sgpr_workgroup_info 0
		.amdhsa_system_vgpr_workitem_id 0
		.amdhsa_next_free_vgpr 19
		.amdhsa_next_free_sgpr 46
		.amdhsa_reserve_vcc 1
		.amdhsa_reserve_flat_scratch 0
		.amdhsa_float_round_mode_32 0
		.amdhsa_float_round_mode_16_64 0
		.amdhsa_float_denorm_mode_32 3
		.amdhsa_float_denorm_mode_16_64 3
		.amdhsa_dx10_clamp 1
		.amdhsa_ieee_mode 1
		.amdhsa_fp16_overflow 0
		.amdhsa_exception_fp_ieee_invalid_op 0
		.amdhsa_exception_fp_denorm_src 0
		.amdhsa_exception_fp_ieee_div_zero 0
		.amdhsa_exception_fp_ieee_overflow 0
		.amdhsa_exception_fp_ieee_underflow 0
		.amdhsa_exception_fp_ieee_inexact 0
		.amdhsa_exception_int_div_zero 0
	.end_amdhsa_kernel
	.section	.text._ZN2at6native29vectorized_elementwise_kernelILi2ENS0_13AUnaryFunctorIbbbNS0_12_GLOBAL__N_116CompareEqFunctorIbEEEESt5arrayIPcLm2EEEEviT0_T1_,"axG",@progbits,_ZN2at6native29vectorized_elementwise_kernelILi2ENS0_13AUnaryFunctorIbbbNS0_12_GLOBAL__N_116CompareEqFunctorIbEEEESt5arrayIPcLm2EEEEviT0_T1_,comdat
.Lfunc_end219:
	.size	_ZN2at6native29vectorized_elementwise_kernelILi2ENS0_13AUnaryFunctorIbbbNS0_12_GLOBAL__N_116CompareEqFunctorIbEEEESt5arrayIPcLm2EEEEviT0_T1_, .Lfunc_end219-_ZN2at6native29vectorized_elementwise_kernelILi2ENS0_13AUnaryFunctorIbbbNS0_12_GLOBAL__N_116CompareEqFunctorIbEEEESt5arrayIPcLm2EEEEviT0_T1_
                                        ; -- End function
	.set _ZN2at6native29vectorized_elementwise_kernelILi2ENS0_13AUnaryFunctorIbbbNS0_12_GLOBAL__N_116CompareEqFunctorIbEEEESt5arrayIPcLm2EEEEviT0_T1_.num_vgpr, 19
	.set _ZN2at6native29vectorized_elementwise_kernelILi2ENS0_13AUnaryFunctorIbbbNS0_12_GLOBAL__N_116CompareEqFunctorIbEEEESt5arrayIPcLm2EEEEviT0_T1_.num_agpr, 0
	.set _ZN2at6native29vectorized_elementwise_kernelILi2ENS0_13AUnaryFunctorIbbbNS0_12_GLOBAL__N_116CompareEqFunctorIbEEEESt5arrayIPcLm2EEEEviT0_T1_.numbered_sgpr, 46
	.set _ZN2at6native29vectorized_elementwise_kernelILi2ENS0_13AUnaryFunctorIbbbNS0_12_GLOBAL__N_116CompareEqFunctorIbEEEESt5arrayIPcLm2EEEEviT0_T1_.num_named_barrier, 0
	.set _ZN2at6native29vectorized_elementwise_kernelILi2ENS0_13AUnaryFunctorIbbbNS0_12_GLOBAL__N_116CompareEqFunctorIbEEEESt5arrayIPcLm2EEEEviT0_T1_.private_seg_size, 0
	.set _ZN2at6native29vectorized_elementwise_kernelILi2ENS0_13AUnaryFunctorIbbbNS0_12_GLOBAL__N_116CompareEqFunctorIbEEEESt5arrayIPcLm2EEEEviT0_T1_.uses_vcc, 1
	.set _ZN2at6native29vectorized_elementwise_kernelILi2ENS0_13AUnaryFunctorIbbbNS0_12_GLOBAL__N_116CompareEqFunctorIbEEEESt5arrayIPcLm2EEEEviT0_T1_.uses_flat_scratch, 0
	.set _ZN2at6native29vectorized_elementwise_kernelILi2ENS0_13AUnaryFunctorIbbbNS0_12_GLOBAL__N_116CompareEqFunctorIbEEEESt5arrayIPcLm2EEEEviT0_T1_.has_dyn_sized_stack, 0
	.set _ZN2at6native29vectorized_elementwise_kernelILi2ENS0_13AUnaryFunctorIbbbNS0_12_GLOBAL__N_116CompareEqFunctorIbEEEESt5arrayIPcLm2EEEEviT0_T1_.has_recursion, 0
	.set _ZN2at6native29vectorized_elementwise_kernelILi2ENS0_13AUnaryFunctorIbbbNS0_12_GLOBAL__N_116CompareEqFunctorIbEEEESt5arrayIPcLm2EEEEviT0_T1_.has_indirect_call, 0
	.section	.AMDGPU.csdata,"",@progbits
; Kernel info:
; codeLenInByte = 3644
; TotalNumSgprs: 50
; NumVgprs: 19
; ScratchSize: 0
; MemoryBound: 0
; FloatMode: 240
; IeeeMode: 1
; LDSByteSize: 0 bytes/workgroup (compile time only)
; SGPRBlocks: 6
; VGPRBlocks: 4
; NumSGPRsForWavesPerEU: 50
; NumVGPRsForWavesPerEU: 19
; Occupancy: 10
; WaveLimiterHint : 1
; COMPUTE_PGM_RSRC2:SCRATCH_EN: 0
; COMPUTE_PGM_RSRC2:USER_SGPR: 6
; COMPUTE_PGM_RSRC2:TRAP_HANDLER: 0
; COMPUTE_PGM_RSRC2:TGID_X_EN: 1
; COMPUTE_PGM_RSRC2:TGID_Y_EN: 0
; COMPUTE_PGM_RSRC2:TGID_Z_EN: 0
; COMPUTE_PGM_RSRC2:TIDIG_COMP_CNT: 0
	.section	.text._ZN2at6native27unrolled_elementwise_kernelINS0_13AUnaryFunctorIbbbNS0_12_GLOBAL__N_116CompareEqFunctorIbEEEESt5arrayIPcLm2EELi4E23TrivialOffsetCalculatorILi1EjESB_NS0_6memory15LoadWithoutCastENSC_16StoreWithoutCastEEEviT_T0_T2_T3_T4_T5_,"axG",@progbits,_ZN2at6native27unrolled_elementwise_kernelINS0_13AUnaryFunctorIbbbNS0_12_GLOBAL__N_116CompareEqFunctorIbEEEESt5arrayIPcLm2EELi4E23TrivialOffsetCalculatorILi1EjESB_NS0_6memory15LoadWithoutCastENSC_16StoreWithoutCastEEEviT_T0_T2_T3_T4_T5_,comdat
	.globl	_ZN2at6native27unrolled_elementwise_kernelINS0_13AUnaryFunctorIbbbNS0_12_GLOBAL__N_116CompareEqFunctorIbEEEESt5arrayIPcLm2EELi4E23TrivialOffsetCalculatorILi1EjESB_NS0_6memory15LoadWithoutCastENSC_16StoreWithoutCastEEEviT_T0_T2_T3_T4_T5_ ; -- Begin function _ZN2at6native27unrolled_elementwise_kernelINS0_13AUnaryFunctorIbbbNS0_12_GLOBAL__N_116CompareEqFunctorIbEEEESt5arrayIPcLm2EELi4E23TrivialOffsetCalculatorILi1EjESB_NS0_6memory15LoadWithoutCastENSC_16StoreWithoutCastEEEviT_T0_T2_T3_T4_T5_
	.p2align	8
	.type	_ZN2at6native27unrolled_elementwise_kernelINS0_13AUnaryFunctorIbbbNS0_12_GLOBAL__N_116CompareEqFunctorIbEEEESt5arrayIPcLm2EELi4E23TrivialOffsetCalculatorILi1EjESB_NS0_6memory15LoadWithoutCastENSC_16StoreWithoutCastEEEviT_T0_T2_T3_T4_T5_,@function
_ZN2at6native27unrolled_elementwise_kernelINS0_13AUnaryFunctorIbbbNS0_12_GLOBAL__N_116CompareEqFunctorIbEEEESt5arrayIPcLm2EELi4E23TrivialOffsetCalculatorILi1EjESB_NS0_6memory15LoadWithoutCastENSC_16StoreWithoutCastEEEviT_T0_T2_T3_T4_T5_: ; @_ZN2at6native27unrolled_elementwise_kernelINS0_13AUnaryFunctorIbbbNS0_12_GLOBAL__N_116CompareEqFunctorIbEEEESt5arrayIPcLm2EELi4E23TrivialOffsetCalculatorILi1EjESB_NS0_6memory15LoadWithoutCastENSC_16StoreWithoutCastEEEviT_T0_T2_T3_T4_T5_
; %bb.0:
	s_load_dwordx8 s[8:15], s[4:5], 0x0
	s_lshl_b32 s4, s6, 10
	v_mov_b32_e32 v2, 0
	v_or_b32_e32 v1, s4, v0
	v_mov_b32_e32 v3, 0
	s_waitcnt lgkmcnt(0)
	s_sub_i32 s5, s8, s4
	v_cmp_gt_i32_e32 vcc, s5, v0
	v_mov_b32_e32 v5, v0
	s_and_saveexec_b64 s[2:3], vcc
	s_cbranch_execz .LBB220_2
; %bb.1:
	global_load_ubyte v3, v1, s[14:15]
	v_or_b32_e32 v5, 0x100, v0
	s_waitcnt vmcnt(0)
	v_cmp_ne_u16_e64 s[0:1], 0, v3
	v_cndmask_b32_e64 v3, 0, 1, s[0:1]
.LBB220_2:
	s_or_b64 exec, exec, s[2:3]
	v_cmp_gt_i32_e64 s[0:1], s5, v5
	s_and_saveexec_b64 s[2:3], s[0:1]
	s_cbranch_execz .LBB220_4
; %bb.3:
	v_add_u32_e32 v2, s4, v5
	global_load_ubyte v2, v2, s[14:15]
	v_add_u32_e32 v5, 0x100, v5
	s_waitcnt vmcnt(0)
	v_cmp_ne_u16_e64 s[0:1], 0, v2
	v_cndmask_b32_e64 v2, 0, 1, s[0:1]
.LBB220_4:
	s_or_b64 exec, exec, s[2:3]
	v_cmp_gt_i32_e64 s[0:1], s5, v5
	v_mov_b32_e32 v4, 0
	v_mov_b32_e32 v6, 0
	s_and_saveexec_b64 s[2:3], s[0:1]
	s_cbranch_execz .LBB220_6
; %bb.5:
	v_add_u32_e32 v6, s4, v5
	global_load_ubyte v6, v6, s[14:15]
	v_add_u32_e32 v5, 0x100, v5
	s_waitcnt vmcnt(0)
	v_cmp_ne_u16_e64 s[0:1], 0, v6
	v_cndmask_b32_e64 v6, 0, 1, s[0:1]
.LBB220_6:
	s_or_b64 exec, exec, s[2:3]
	v_cmp_gt_i32_e64 s[0:1], s5, v5
	s_and_saveexec_b64 s[2:3], s[0:1]
	s_cbranch_execz .LBB220_8
; %bb.7:
	v_add_u32_e32 v4, s4, v5
	global_load_ubyte v4, v4, s[14:15]
	s_waitcnt vmcnt(0)
	v_cmp_ne_u16_e64 s[0:1], 0, v4
	v_cndmask_b32_e64 v4, 0, 1, s[0:1]
.LBB220_8:
	s_or_b64 exec, exec, s[2:3]
	v_xor_b32_e32 v3, s10, v3
	s_cmp_eq_u32 s9, 0
	v_and_b32_e32 v3, 1, v3
	s_cselect_b64 s[2:3], -1, 0
	v_cmp_eq_u32_e64 s[0:1], 1, v3
	v_xor_b32_e32 v2, s10, v2
	s_xor_b64 s[0:1], s[2:3], s[0:1]
	v_and_b32_e32 v2, 1, v2
	v_cndmask_b32_e64 v3, 0, 1, s[0:1]
	v_cmp_eq_u32_e64 s[0:1], 1, v2
	s_xor_b64 s[0:1], s[2:3], s[0:1]
	v_cndmask_b32_e64 v2, 0, 1, s[0:1]
	v_cndmask_b32_e32 v5, 0, v3, vcc
	v_lshlrev_b16_e32 v2, 8, v2
	v_or_b32_e32 v3, 0x100, v0
	v_or_b32_e32 v2, v5, v2
	v_xor_b32_e32 v6, s10, v6
	v_and_b32_e32 v2, 0xffff, v2
	v_cmp_gt_i32_e64 s[0:1], s5, v3
	v_and_b32_e32 v6, 1, v6
	v_cndmask_b32_e64 v2, v5, v2, s[0:1]
	v_cmp_eq_u32_e64 s[0:1], 1, v6
	s_xor_b64 s[0:1], s[2:3], s[0:1]
	v_cndmask_b32_e64 v6, 0, 1, s[0:1]
	v_or_b32_e32 v5, 0x200, v0
	v_lshlrev_b32_e32 v6, 16, v6
	v_or_b32_e32 v6, v2, v6
	v_cmp_gt_i32_e64 s[0:1], s5, v5
	v_xor_b32_e32 v4, s10, v4
	v_cndmask_b32_e64 v2, v2, v6, s[0:1]
	s_movk_i32 s0, 0xff
	v_and_b32_e32 v4, 1, v4
	v_and_b32_sdwa v5, v2, s0 dst_sel:DWORD dst_unused:UNUSED_PAD src0_sel:WORD_1 src1_sel:DWORD
	v_cmp_eq_u32_e64 s[0:1], 1, v4
	s_xor_b64 s[0:1], s[2:3], s[0:1]
	v_cndmask_b32_e64 v4, 0, 1, s[0:1]
	v_lshlrev_b16_e32 v4, 8, v4
	s_mov_b32 s6, 0xffff
	v_or_b32_e32 v6, 0x300, v0
	v_or_b32_sdwa v4, v5, v4 dst_sel:WORD_1 dst_unused:UNUSED_PAD src0_sel:DWORD src1_sel:DWORD
	v_and_or_b32 v4, v2, s6, v4
	v_cmp_gt_i32_e64 s[0:1], s5, v6
	v_cndmask_b32_e64 v2, v2, v4, s[0:1]
	s_and_saveexec_b64 s[0:1], vcc
	s_cbranch_execnz .LBB220_13
; %bb.9:
	s_or_b64 exec, exec, s[0:1]
	v_cmp_gt_i32_e32 vcc, s5, v0
	s_and_saveexec_b64 s[0:1], vcc
	s_cbranch_execnz .LBB220_14
.LBB220_10:
	s_or_b64 exec, exec, s[0:1]
	v_cmp_gt_i32_e32 vcc, s5, v0
	s_and_saveexec_b64 s[0:1], vcc
	s_cbranch_execnz .LBB220_15
.LBB220_11:
	s_or_b64 exec, exec, s[0:1]
	v_cmp_gt_i32_e32 vcc, s5, v0
	s_and_saveexec_b64 s[0:1], vcc
	s_cbranch_execnz .LBB220_16
.LBB220_12:
	s_endpgm
.LBB220_13:
	v_mov_b32_e32 v0, v3
	global_store_byte v1, v2, s[12:13]
	s_or_b64 exec, exec, s[0:1]
	v_cmp_gt_i32_e32 vcc, s5, v0
	s_and_saveexec_b64 s[0:1], vcc
	s_cbranch_execz .LBB220_10
.LBB220_14:
	v_add_u32_e32 v1, 0x100, v0
	v_add_u32_e32 v0, s4, v0
	v_lshrrev_b32_e32 v3, 8, v2
	global_store_byte v0, v3, s[12:13]
	v_mov_b32_e32 v0, v1
	s_or_b64 exec, exec, s[0:1]
	v_cmp_gt_i32_e32 vcc, s5, v0
	s_and_saveexec_b64 s[0:1], vcc
	s_cbranch_execz .LBB220_11
.LBB220_15:
	v_add_u32_e32 v1, 0x100, v0
	v_add_u32_e32 v0, s4, v0
	global_store_byte_d16_hi v0, v2, s[12:13]
	v_mov_b32_e32 v0, v1
	s_or_b64 exec, exec, s[0:1]
	v_cmp_gt_i32_e32 vcc, s5, v0
	s_and_saveexec_b64 s[0:1], vcc
	s_cbranch_execz .LBB220_12
.LBB220_16:
	v_add_u32_e32 v0, s4, v0
	v_lshrrev_b32_e32 v1, 24, v2
	global_store_byte v0, v1, s[12:13]
	s_endpgm
	.section	.rodata,"a",@progbits
	.p2align	6, 0x0
	.amdhsa_kernel _ZN2at6native27unrolled_elementwise_kernelINS0_13AUnaryFunctorIbbbNS0_12_GLOBAL__N_116CompareEqFunctorIbEEEESt5arrayIPcLm2EELi4E23TrivialOffsetCalculatorILi1EjESB_NS0_6memory15LoadWithoutCastENSC_16StoreWithoutCastEEEviT_T0_T2_T3_T4_T5_
		.amdhsa_group_segment_fixed_size 0
		.amdhsa_private_segment_fixed_size 0
		.amdhsa_kernarg_size 36
		.amdhsa_user_sgpr_count 6
		.amdhsa_user_sgpr_private_segment_buffer 1
		.amdhsa_user_sgpr_dispatch_ptr 0
		.amdhsa_user_sgpr_queue_ptr 0
		.amdhsa_user_sgpr_kernarg_segment_ptr 1
		.amdhsa_user_sgpr_dispatch_id 0
		.amdhsa_user_sgpr_flat_scratch_init 0
		.amdhsa_user_sgpr_private_segment_size 0
		.amdhsa_uses_dynamic_stack 0
		.amdhsa_system_sgpr_private_segment_wavefront_offset 0
		.amdhsa_system_sgpr_workgroup_id_x 1
		.amdhsa_system_sgpr_workgroup_id_y 0
		.amdhsa_system_sgpr_workgroup_id_z 0
		.amdhsa_system_sgpr_workgroup_info 0
		.amdhsa_system_vgpr_workitem_id 0
		.amdhsa_next_free_vgpr 7
		.amdhsa_next_free_sgpr 16
		.amdhsa_reserve_vcc 1
		.amdhsa_reserve_flat_scratch 0
		.amdhsa_float_round_mode_32 0
		.amdhsa_float_round_mode_16_64 0
		.amdhsa_float_denorm_mode_32 3
		.amdhsa_float_denorm_mode_16_64 3
		.amdhsa_dx10_clamp 1
		.amdhsa_ieee_mode 1
		.amdhsa_fp16_overflow 0
		.amdhsa_exception_fp_ieee_invalid_op 0
		.amdhsa_exception_fp_denorm_src 0
		.amdhsa_exception_fp_ieee_div_zero 0
		.amdhsa_exception_fp_ieee_overflow 0
		.amdhsa_exception_fp_ieee_underflow 0
		.amdhsa_exception_fp_ieee_inexact 0
		.amdhsa_exception_int_div_zero 0
	.end_amdhsa_kernel
	.section	.text._ZN2at6native27unrolled_elementwise_kernelINS0_13AUnaryFunctorIbbbNS0_12_GLOBAL__N_116CompareEqFunctorIbEEEESt5arrayIPcLm2EELi4E23TrivialOffsetCalculatorILi1EjESB_NS0_6memory15LoadWithoutCastENSC_16StoreWithoutCastEEEviT_T0_T2_T3_T4_T5_,"axG",@progbits,_ZN2at6native27unrolled_elementwise_kernelINS0_13AUnaryFunctorIbbbNS0_12_GLOBAL__N_116CompareEqFunctorIbEEEESt5arrayIPcLm2EELi4E23TrivialOffsetCalculatorILi1EjESB_NS0_6memory15LoadWithoutCastENSC_16StoreWithoutCastEEEviT_T0_T2_T3_T4_T5_,comdat
.Lfunc_end220:
	.size	_ZN2at6native27unrolled_elementwise_kernelINS0_13AUnaryFunctorIbbbNS0_12_GLOBAL__N_116CompareEqFunctorIbEEEESt5arrayIPcLm2EELi4E23TrivialOffsetCalculatorILi1EjESB_NS0_6memory15LoadWithoutCastENSC_16StoreWithoutCastEEEviT_T0_T2_T3_T4_T5_, .Lfunc_end220-_ZN2at6native27unrolled_elementwise_kernelINS0_13AUnaryFunctorIbbbNS0_12_GLOBAL__N_116CompareEqFunctorIbEEEESt5arrayIPcLm2EELi4E23TrivialOffsetCalculatorILi1EjESB_NS0_6memory15LoadWithoutCastENSC_16StoreWithoutCastEEEviT_T0_T2_T3_T4_T5_
                                        ; -- End function
	.set _ZN2at6native27unrolled_elementwise_kernelINS0_13AUnaryFunctorIbbbNS0_12_GLOBAL__N_116CompareEqFunctorIbEEEESt5arrayIPcLm2EELi4E23TrivialOffsetCalculatorILi1EjESB_NS0_6memory15LoadWithoutCastENSC_16StoreWithoutCastEEEviT_T0_T2_T3_T4_T5_.num_vgpr, 7
	.set _ZN2at6native27unrolled_elementwise_kernelINS0_13AUnaryFunctorIbbbNS0_12_GLOBAL__N_116CompareEqFunctorIbEEEESt5arrayIPcLm2EELi4E23TrivialOffsetCalculatorILi1EjESB_NS0_6memory15LoadWithoutCastENSC_16StoreWithoutCastEEEviT_T0_T2_T3_T4_T5_.num_agpr, 0
	.set _ZN2at6native27unrolled_elementwise_kernelINS0_13AUnaryFunctorIbbbNS0_12_GLOBAL__N_116CompareEqFunctorIbEEEESt5arrayIPcLm2EELi4E23TrivialOffsetCalculatorILi1EjESB_NS0_6memory15LoadWithoutCastENSC_16StoreWithoutCastEEEviT_T0_T2_T3_T4_T5_.numbered_sgpr, 16
	.set _ZN2at6native27unrolled_elementwise_kernelINS0_13AUnaryFunctorIbbbNS0_12_GLOBAL__N_116CompareEqFunctorIbEEEESt5arrayIPcLm2EELi4E23TrivialOffsetCalculatorILi1EjESB_NS0_6memory15LoadWithoutCastENSC_16StoreWithoutCastEEEviT_T0_T2_T3_T4_T5_.num_named_barrier, 0
	.set _ZN2at6native27unrolled_elementwise_kernelINS0_13AUnaryFunctorIbbbNS0_12_GLOBAL__N_116CompareEqFunctorIbEEEESt5arrayIPcLm2EELi4E23TrivialOffsetCalculatorILi1EjESB_NS0_6memory15LoadWithoutCastENSC_16StoreWithoutCastEEEviT_T0_T2_T3_T4_T5_.private_seg_size, 0
	.set _ZN2at6native27unrolled_elementwise_kernelINS0_13AUnaryFunctorIbbbNS0_12_GLOBAL__N_116CompareEqFunctorIbEEEESt5arrayIPcLm2EELi4E23TrivialOffsetCalculatorILi1EjESB_NS0_6memory15LoadWithoutCastENSC_16StoreWithoutCastEEEviT_T0_T2_T3_T4_T5_.uses_vcc, 1
	.set _ZN2at6native27unrolled_elementwise_kernelINS0_13AUnaryFunctorIbbbNS0_12_GLOBAL__N_116CompareEqFunctorIbEEEESt5arrayIPcLm2EELi4E23TrivialOffsetCalculatorILi1EjESB_NS0_6memory15LoadWithoutCastENSC_16StoreWithoutCastEEEviT_T0_T2_T3_T4_T5_.uses_flat_scratch, 0
	.set _ZN2at6native27unrolled_elementwise_kernelINS0_13AUnaryFunctorIbbbNS0_12_GLOBAL__N_116CompareEqFunctorIbEEEESt5arrayIPcLm2EELi4E23TrivialOffsetCalculatorILi1EjESB_NS0_6memory15LoadWithoutCastENSC_16StoreWithoutCastEEEviT_T0_T2_T3_T4_T5_.has_dyn_sized_stack, 0
	.set _ZN2at6native27unrolled_elementwise_kernelINS0_13AUnaryFunctorIbbbNS0_12_GLOBAL__N_116CompareEqFunctorIbEEEESt5arrayIPcLm2EELi4E23TrivialOffsetCalculatorILi1EjESB_NS0_6memory15LoadWithoutCastENSC_16StoreWithoutCastEEEviT_T0_T2_T3_T4_T5_.has_recursion, 0
	.set _ZN2at6native27unrolled_elementwise_kernelINS0_13AUnaryFunctorIbbbNS0_12_GLOBAL__N_116CompareEqFunctorIbEEEESt5arrayIPcLm2EELi4E23TrivialOffsetCalculatorILi1EjESB_NS0_6memory15LoadWithoutCastENSC_16StoreWithoutCastEEEviT_T0_T2_T3_T4_T5_.has_indirect_call, 0
	.section	.AMDGPU.csdata,"",@progbits
; Kernel info:
; codeLenInByte = 720
; TotalNumSgprs: 20
; NumVgprs: 7
; ScratchSize: 0
; MemoryBound: 0
; FloatMode: 240
; IeeeMode: 1
; LDSByteSize: 0 bytes/workgroup (compile time only)
; SGPRBlocks: 2
; VGPRBlocks: 1
; NumSGPRsForWavesPerEU: 20
; NumVGPRsForWavesPerEU: 7
; Occupancy: 10
; WaveLimiterHint : 0
; COMPUTE_PGM_RSRC2:SCRATCH_EN: 0
; COMPUTE_PGM_RSRC2:USER_SGPR: 6
; COMPUTE_PGM_RSRC2:TRAP_HANDLER: 0
; COMPUTE_PGM_RSRC2:TGID_X_EN: 1
; COMPUTE_PGM_RSRC2:TGID_Y_EN: 0
; COMPUTE_PGM_RSRC2:TGID_Z_EN: 0
; COMPUTE_PGM_RSRC2:TIDIG_COMP_CNT: 0
	.section	.text._ZN2at6native32elementwise_kernel_manual_unrollILi128ELi8EZNS0_22gpu_kernel_impl_nocastINS0_13AUnaryFunctorIbbbNS0_12_GLOBAL__N_116CompareEqFunctorIbEEEEEEvRNS_18TensorIteratorBaseERKT_EUlibE_EEviT1_,"axG",@progbits,_ZN2at6native32elementwise_kernel_manual_unrollILi128ELi8EZNS0_22gpu_kernel_impl_nocastINS0_13AUnaryFunctorIbbbNS0_12_GLOBAL__N_116CompareEqFunctorIbEEEEEEvRNS_18TensorIteratorBaseERKT_EUlibE_EEviT1_,comdat
	.globl	_ZN2at6native32elementwise_kernel_manual_unrollILi128ELi8EZNS0_22gpu_kernel_impl_nocastINS0_13AUnaryFunctorIbbbNS0_12_GLOBAL__N_116CompareEqFunctorIbEEEEEEvRNS_18TensorIteratorBaseERKT_EUlibE_EEviT1_ ; -- Begin function _ZN2at6native32elementwise_kernel_manual_unrollILi128ELi8EZNS0_22gpu_kernel_impl_nocastINS0_13AUnaryFunctorIbbbNS0_12_GLOBAL__N_116CompareEqFunctorIbEEEEEEvRNS_18TensorIteratorBaseERKT_EUlibE_EEviT1_
	.p2align	8
	.type	_ZN2at6native32elementwise_kernel_manual_unrollILi128ELi8EZNS0_22gpu_kernel_impl_nocastINS0_13AUnaryFunctorIbbbNS0_12_GLOBAL__N_116CompareEqFunctorIbEEEEEEvRNS_18TensorIteratorBaseERKT_EUlibE_EEviT1_,@function
_ZN2at6native32elementwise_kernel_manual_unrollILi128ELi8EZNS0_22gpu_kernel_impl_nocastINS0_13AUnaryFunctorIbbbNS0_12_GLOBAL__N_116CompareEqFunctorIbEEEEEEvRNS_18TensorIteratorBaseERKT_EUlibE_EEviT1_: ; @_ZN2at6native32elementwise_kernel_manual_unrollILi128ELi8EZNS0_22gpu_kernel_impl_nocastINS0_13AUnaryFunctorIbbbNS0_12_GLOBAL__N_116CompareEqFunctorIbEEEEEEvRNS_18TensorIteratorBaseERKT_EUlibE_EEviT1_
; %bb.0:
	s_load_dword s57, s[4:5], 0x0
	s_load_dword s33, s[4:5], 0x8
	s_add_u32 s34, s4, 8
	s_addc_u32 s35, s5, 0
	v_lshl_or_b32 v19, s6, 10, v0
	v_or_b32_e32 v25, 0x380, v19
	s_waitcnt lgkmcnt(0)
	s_add_i32 s56, s33, -1
	s_cmp_gt_u32 s56, 1
	v_cmp_le_i32_e32 vcc, s57, v25
	s_cselect_b64 s[36:37], -1, 0
	s_and_saveexec_b64 s[0:1], vcc
	s_xor_b64 s[38:39], exec, s[0:1]
	s_cbranch_execz .LBB221_7
; %bb.1:
	s_load_dwordx4 s[20:23], s[34:35], 0x4
	s_load_dwordx2 s[42:43], s[34:35], 0x14
	s_load_dwordx2 s[0:1], s[34:35], 0x158
	s_cmp_lg_u32 s33, 0
	s_cselect_b64 s[48:49], -1, 0
	s_add_u32 s46, s34, 0xc4
	s_addc_u32 s47, s35, 0
	s_min_u32 s58, s56, 15
	s_cmp_gt_u32 s33, 1
	s_load_dwordx4 s[24:27], s[34:35], 0xc4
	s_load_dwordx4 s[16:19], s[34:35], 0x148
	s_cselect_b64 s[44:45], -1, 0
	s_waitcnt lgkmcnt(0)
	s_bitcmp1_b32 s1, 0
	s_cselect_b64 s[2:3], -1, 0
	s_cmp_eq_u32 s0, 0
	s_cselect_b64 s[0:1], -1, 0
	s_xor_b64 s[40:41], s[0:1], s[2:3]
	v_cmp_gt_i32_e32 vcc, s57, v19
	s_and_saveexec_b64 s[50:51], vcc
	s_cbranch_execz .LBB221_14
; %bb.2:
	s_andn2_b64 vcc, exec, s[36:37]
	s_cbranch_vccnz .LBB221_21
; %bb.3:
	s_andn2_b64 vcc, exec, s[48:49]
	s_cbranch_vccnz .LBB221_129
; %bb.4:
	s_add_i32 s60, s58, 1
	s_cmp_eq_u32 s56, 2
	s_cbranch_scc1 .LBB221_131
; %bb.5:
	s_and_b32 s59, s60, 28
	v_mov_b32_e32 v2, 0
	s_mov_b32 s61, 0
	s_mov_b64 s[52:53], s[34:35]
	s_mov_b64 s[54:55], s[46:47]
	v_mov_b32_e32 v0, 0
	v_mov_b32_e32 v1, v19
.LBB221_6:                              ; =>This Inner Loop Header: Depth=1
	s_load_dwordx8 s[8:15], s[52:53], 0x4
	s_load_dwordx4 s[28:31], s[52:53], 0x24
	s_load_dwordx8 s[0:7], s[54:55], 0x0
	s_add_u32 s52, s52, 48
	s_addc_u32 s53, s53, 0
	s_waitcnt lgkmcnt(0)
	v_mul_hi_u32 v3, s9, v1
	s_add_i32 s61, s61, 4
	s_add_u32 s54, s54, 32
	s_addc_u32 s55, s55, 0
	v_add_u32_e32 v3, v1, v3
	v_lshrrev_b32_e32 v3, s10, v3
	v_mul_lo_u32 v4, v3, s8
	v_mul_hi_u32 v5, s12, v3
	s_cmp_lg_u32 s59, s61
	v_sub_u32_e32 v1, v1, v4
	v_add_u32_e32 v4, v3, v5
	v_mul_lo_u32 v5, v1, s0
	v_mul_lo_u32 v6, v1, s1
	v_lshrrev_b32_e32 v1, s13, v4
	v_mul_lo_u32 v4, v1, s11
	v_mul_hi_u32 v7, s15, v1
	v_sub_u32_e32 v3, v3, v4
	v_add_u32_e32 v4, v1, v7
	v_lshrrev_b32_e32 v4, s28, v4
	v_mul_hi_u32 v8, s30, v4
	v_mul_lo_u32 v9, v4, s14
	v_mul_lo_u32 v7, v3, s2
	;; [unrolled: 1-line block ×3, first 2 shown]
	v_sub_u32_e32 v9, v1, v9
	v_add_u32_e32 v1, v4, v8
	v_lshrrev_b32_e32 v1, s31, v1
	v_mul_lo_u32 v8, v1, s29
	v_mul_lo_u32 v10, v9, s4
	;; [unrolled: 1-line block ×3, first 2 shown]
	v_add3_u32 v0, v5, v0, v7
	v_sub_u32_e32 v4, v4, v8
	v_mul_lo_u32 v8, v4, s6
	v_mul_lo_u32 v4, v4, s7
	v_add3_u32 v2, v6, v2, v3
	v_add3_u32 v0, v10, v0, v8
	v_add3_u32 v2, v9, v2, v4
	s_cbranch_scc1 .LBB221_6
	s_branch .LBB221_132
.LBB221_7:
	s_andn2_saveexec_b64 s[0:1], s[38:39]
	s_cbranch_execz .LBB221_221
.LBB221_8:
	v_cndmask_b32_e64 v0, 0, 1, s[36:37]
	v_cmp_ne_u32_e64 s[0:1], 1, v0
	s_andn2_b64 vcc, exec, s[36:37]
	s_cbranch_vccnz .LBB221_20
; %bb.9:
	s_cmp_lg_u32 s33, 0
	s_mov_b32 s26, 0
	s_cbranch_scc0 .LBB221_23
; %bb.10:
	s_min_u32 s27, s56, 15
	s_add_i32 s27, s27, 1
	s_cmp_eq_u32 s56, 2
	s_cbranch_scc1 .LBB221_24
; %bb.11:
	s_and_b32 s26, s27, 28
	s_add_u32 s2, s34, 0xc4
	s_addc_u32 s3, s35, 0
	v_mov_b32_e32 v2, 0
	s_mov_b32 s28, 0
	s_mov_b64 s[24:25], s[34:35]
	v_mov_b32_e32 v0, 0
	v_mov_b32_e32 v1, v19
.LBB221_12:                             ; =>This Inner Loop Header: Depth=1
	s_load_dwordx8 s[12:19], s[24:25], 0x4
	s_load_dwordx4 s[20:23], s[24:25], 0x24
	s_load_dwordx8 s[4:11], s[2:3], 0x0
	s_add_u32 s24, s24, 48
	s_addc_u32 s25, s25, 0
	s_waitcnt lgkmcnt(0)
	v_mul_hi_u32 v3, s13, v1
	s_add_i32 s28, s28, 4
	s_add_u32 s2, s2, 32
	s_addc_u32 s3, s3, 0
	v_add_u32_e32 v3, v1, v3
	v_lshrrev_b32_e32 v3, s14, v3
	v_mul_lo_u32 v4, v3, s12
	v_mul_hi_u32 v5, s16, v3
	s_cmp_lg_u32 s26, s28
	v_sub_u32_e32 v1, v1, v4
	v_add_u32_e32 v4, v3, v5
	v_mul_lo_u32 v5, v1, s4
	v_mul_lo_u32 v6, v1, s5
	v_lshrrev_b32_e32 v1, s17, v4
	v_mul_lo_u32 v4, v1, s15
	v_mul_hi_u32 v7, s19, v1
	v_sub_u32_e32 v3, v3, v4
	v_add_u32_e32 v4, v1, v7
	v_lshrrev_b32_e32 v4, s20, v4
	v_mul_hi_u32 v8, s22, v4
	v_mul_lo_u32 v9, v4, s18
	v_mul_lo_u32 v7, v3, s6
	;; [unrolled: 1-line block ×3, first 2 shown]
	v_sub_u32_e32 v9, v1, v9
	v_add_u32_e32 v1, v4, v8
	v_lshrrev_b32_e32 v1, s23, v1
	v_mul_lo_u32 v8, v1, s21
	v_mul_lo_u32 v10, v9, s8
	;; [unrolled: 1-line block ×3, first 2 shown]
	v_add3_u32 v0, v5, v0, v7
	v_sub_u32_e32 v4, v4, v8
	v_mul_lo_u32 v8, v4, s10
	v_mul_lo_u32 v4, v4, s11
	v_add3_u32 v2, v6, v2, v3
	v_add3_u32 v0, v10, v0, v8
	;; [unrolled: 1-line block ×3, first 2 shown]
	s_cbranch_scc1 .LBB221_12
; %bb.13:
	s_and_b32 s6, s27, 3
	s_cmp_eq_u32 s6, 0
	s_cbranch_scc0 .LBB221_25
	s_branch .LBB221_27
.LBB221_14:
	s_or_b64 exec, exec, s[50:51]
	v_cmp_gt_i32_e32 vcc, s57, v19
	s_and_saveexec_b64 s[50:51], vcc
	s_cbranch_execz .LBB221_139
.LBB221_15:
	s_andn2_b64 vcc, exec, s[36:37]
	s_cbranch_vccnz .LBB221_22
; %bb.16:
	s_andn2_b64 vcc, exec, s[48:49]
	s_cbranch_vccnz .LBB221_130
; %bb.17:
	s_add_i32 s60, s58, 1
	s_cmp_eq_u32 s56, 2
	s_cbranch_scc1 .LBB221_147
; %bb.18:
	s_and_b32 s59, s60, 28
	v_mov_b32_e32 v2, 0
	s_mov_b32 s61, 0
	s_mov_b64 s[52:53], s[34:35]
	s_mov_b64 s[54:55], s[46:47]
	v_mov_b32_e32 v0, 0
	v_mov_b32_e32 v1, v19
.LBB221_19:                             ; =>This Inner Loop Header: Depth=1
	s_load_dwordx8 s[8:15], s[52:53], 0x4
	s_load_dwordx4 s[28:31], s[52:53], 0x24
	s_load_dwordx8 s[0:7], s[54:55], 0x0
	s_add_u32 s52, s52, 48
	s_addc_u32 s53, s53, 0
	s_waitcnt lgkmcnt(0)
	v_mul_hi_u32 v3, s9, v1
	s_add_i32 s61, s61, 4
	s_add_u32 s54, s54, 32
	s_addc_u32 s55, s55, 0
	v_add_u32_e32 v3, v1, v3
	v_lshrrev_b32_e32 v3, s10, v3
	v_mul_lo_u32 v4, v3, s8
	v_mul_hi_u32 v5, s12, v3
	s_cmp_eq_u32 s59, s61
	v_sub_u32_e32 v1, v1, v4
	v_add_u32_e32 v4, v3, v5
	v_mul_lo_u32 v5, v1, s0
	v_mul_lo_u32 v6, v1, s1
	v_lshrrev_b32_e32 v1, s13, v4
	v_mul_lo_u32 v4, v1, s11
	v_mul_hi_u32 v7, s15, v1
	v_sub_u32_e32 v3, v3, v4
	v_add_u32_e32 v4, v1, v7
	v_lshrrev_b32_e32 v4, s28, v4
	v_mul_hi_u32 v8, s30, v4
	v_mul_lo_u32 v9, v4, s14
	v_mul_lo_u32 v7, v3, s2
	;; [unrolled: 1-line block ×3, first 2 shown]
	v_sub_u32_e32 v9, v1, v9
	v_add_u32_e32 v1, v4, v8
	v_lshrrev_b32_e32 v1, s31, v1
	v_mul_lo_u32 v8, v1, s29
	v_mul_lo_u32 v10, v9, s4
	;; [unrolled: 1-line block ×3, first 2 shown]
	v_add3_u32 v0, v5, v0, v7
	v_sub_u32_e32 v4, v4, v8
	v_mul_lo_u32 v8, v4, s6
	v_mul_lo_u32 v4, v4, s7
	v_add3_u32 v2, v6, v2, v3
	v_add3_u32 v0, v10, v0, v8
	;; [unrolled: 1-line block ×3, first 2 shown]
	s_cbranch_scc0 .LBB221_19
	s_branch .LBB221_148
.LBB221_20:
                                        ; implicit-def: $vgpr0
                                        ; implicit-def: $vgpr2
	s_branch .LBB221_28
.LBB221_21:
                                        ; implicit-def: $vgpr0
                                        ; implicit-def: $vgpr2
	s_branch .LBB221_136
.LBB221_22:
                                        ; implicit-def: $vgpr0
                                        ; implicit-def: $vgpr2
	s_branch .LBB221_152
.LBB221_23:
	v_mov_b32_e32 v0, 0
	v_mov_b32_e32 v2, 0
	s_branch .LBB221_27
.LBB221_24:
	v_mov_b32_e32 v0, 0
	v_mov_b32_e32 v2, 0
	;; [unrolled: 1-line block ×3, first 2 shown]
	s_and_b32 s6, s27, 3
	s_cmp_eq_u32 s6, 0
	s_cbranch_scc1 .LBB221_27
.LBB221_25:
	s_lshl_b32 s2, s26, 3
	s_add_u32 s2, s34, s2
	s_addc_u32 s3, s35, 0
	s_add_u32 s2, s2, 0xc4
	s_addc_u32 s3, s3, 0
	s_mul_i32 s4, s26, 12
	s_add_u32 s4, s34, s4
	s_addc_u32 s5, s35, 0
.LBB221_26:                             ; =>This Inner Loop Header: Depth=1
	s_load_dwordx2 s[8:9], s[4:5], 0x4
	s_load_dword s7, s[4:5], 0xc
	s_load_dwordx2 s[10:11], s[2:3], 0x0
	s_add_u32 s4, s4, 12
	s_addc_u32 s5, s5, 0
	s_waitcnt lgkmcnt(0)
	v_mul_hi_u32 v4, s9, v1
	s_add_u32 s2, s2, 8
	s_addc_u32 s3, s3, 0
	s_add_i32 s6, s6, -1
	v_add_u32_e32 v4, v1, v4
	v_lshrrev_b32_e32 v4, s7, v4
	v_mul_lo_u32 v5, v4, s8
	s_cmp_lg_u32 s6, 0
	v_sub_u32_e32 v5, v1, v5
	v_mad_u64_u32 v[0:1], s[8:9], v5, s10, v[0:1]
	v_mad_u64_u32 v[2:3], s[8:9], v5, s11, v[2:3]
	v_mov_b32_e32 v1, v4
	s_cbranch_scc1 .LBB221_26
.LBB221_27:
	s_cbranch_execnz .LBB221_30
.LBB221_28:
	s_load_dwordx4 s[4:7], s[34:35], 0x4
	s_load_dwordx2 s[2:3], s[34:35], 0xc4
	s_cmp_lt_u32 s33, 2
	s_waitcnt lgkmcnt(0)
	v_mul_hi_u32 v0, s5, v19
	v_add_u32_e32 v0, v19, v0
	v_lshrrev_b32_e32 v1, s6, v0
	v_mul_lo_u32 v0, v1, s4
	v_sub_u32_e32 v2, v19, v0
	v_mul_lo_u32 v0, v2, s2
	v_mul_lo_u32 v2, v2, s3
	s_cbranch_scc1 .LBB221_30
; %bb.29:
	s_load_dwordx4 s[4:7], s[34:35], 0x10
	s_load_dwordx2 s[2:3], s[34:35], 0xcc
	s_waitcnt lgkmcnt(0)
	v_mul_hi_u32 v3, s5, v1
	v_add_u32_e32 v3, v1, v3
	v_lshrrev_b32_e32 v3, s6, v3
	v_mul_lo_u32 v3, v3, s4
	v_sub_u32_e32 v3, v1, v3
	v_mad_u64_u32 v[0:1], s[4:5], v3, s2, v[0:1]
	v_mad_u64_u32 v[2:3], s[2:3], v3, s3, v[2:3]
.LBB221_30:
	s_and_b64 vcc, exec, s[0:1]
	v_add_u32_e32 v1, 0x80, v19
	s_cbranch_vccnz .LBB221_36
; %bb.31:
	s_cmp_lg_u32 s33, 0
	s_mov_b32 s26, 0
	s_cbranch_scc0 .LBB221_37
; %bb.32:
	s_min_u32 s27, s56, 15
	s_add_i32 s27, s27, 1
	s_cmp_eq_u32 s56, 2
	s_cbranch_scc1 .LBB221_38
; %bb.33:
	s_and_b32 s26, s27, 28
	s_add_u32 s2, s34, 0xc4
	s_addc_u32 s3, s35, 0
	v_mov_b32_e32 v5, 0
	s_mov_b32 s28, 0
	s_mov_b64 s[24:25], s[34:35]
	v_mov_b32_e32 v3, 0
	v_mov_b32_e32 v4, v1
.LBB221_34:                             ; =>This Inner Loop Header: Depth=1
	s_load_dwordx8 s[12:19], s[24:25], 0x4
	s_load_dwordx4 s[20:23], s[24:25], 0x24
	s_load_dwordx8 s[4:11], s[2:3], 0x0
	s_add_u32 s24, s24, 48
	s_addc_u32 s25, s25, 0
	s_waitcnt lgkmcnt(0)
	v_mul_hi_u32 v6, s13, v4
	s_add_i32 s28, s28, 4
	s_add_u32 s2, s2, 32
	s_addc_u32 s3, s3, 0
	v_add_u32_e32 v6, v4, v6
	v_lshrrev_b32_e32 v6, s14, v6
	v_mul_lo_u32 v7, v6, s12
	v_mul_hi_u32 v8, s16, v6
	s_cmp_lg_u32 s26, s28
	v_sub_u32_e32 v4, v4, v7
	v_add_u32_e32 v7, v6, v8
	v_mul_lo_u32 v8, v4, s4
	v_mul_lo_u32 v9, v4, s5
	v_lshrrev_b32_e32 v4, s17, v7
	v_mul_lo_u32 v7, v4, s15
	v_mul_hi_u32 v10, s19, v4
	v_sub_u32_e32 v6, v6, v7
	v_add_u32_e32 v7, v4, v10
	v_lshrrev_b32_e32 v7, s20, v7
	v_mul_hi_u32 v11, s22, v7
	v_mul_lo_u32 v12, v7, s18
	v_mul_lo_u32 v10, v6, s6
	;; [unrolled: 1-line block ×3, first 2 shown]
	v_sub_u32_e32 v12, v4, v12
	v_add_u32_e32 v4, v7, v11
	v_lshrrev_b32_e32 v4, s23, v4
	v_mul_lo_u32 v11, v4, s21
	v_mul_lo_u32 v13, v12, s8
	;; [unrolled: 1-line block ×3, first 2 shown]
	v_add3_u32 v3, v8, v3, v10
	v_sub_u32_e32 v7, v7, v11
	v_mul_lo_u32 v11, v7, s10
	v_mul_lo_u32 v7, v7, s11
	v_add3_u32 v5, v9, v5, v6
	v_add3_u32 v3, v13, v3, v11
	;; [unrolled: 1-line block ×3, first 2 shown]
	s_cbranch_scc1 .LBB221_34
; %bb.35:
	s_and_b32 s6, s27, 3
	s_cmp_eq_u32 s6, 0
	s_cbranch_scc0 .LBB221_39
	s_branch .LBB221_41
.LBB221_36:
                                        ; implicit-def: $vgpr3
                                        ; implicit-def: $vgpr5
	s_branch .LBB221_42
.LBB221_37:
	v_mov_b32_e32 v3, 0
	v_mov_b32_e32 v5, 0
	s_branch .LBB221_41
.LBB221_38:
	v_mov_b32_e32 v3, 0
	v_mov_b32_e32 v5, 0
	;; [unrolled: 1-line block ×3, first 2 shown]
	s_and_b32 s6, s27, 3
	s_cmp_eq_u32 s6, 0
	s_cbranch_scc1 .LBB221_41
.LBB221_39:
	s_lshl_b32 s2, s26, 3
	s_add_u32 s2, s34, s2
	s_addc_u32 s3, s35, 0
	s_add_u32 s2, s2, 0xc4
	s_addc_u32 s3, s3, 0
	s_mul_i32 s4, s26, 12
	s_add_u32 s4, s34, s4
	s_addc_u32 s5, s35, 0
.LBB221_40:                             ; =>This Inner Loop Header: Depth=1
	s_load_dwordx2 s[8:9], s[4:5], 0x4
	s_load_dword s7, s[4:5], 0xc
	s_load_dwordx2 s[10:11], s[2:3], 0x0
	s_add_u32 s4, s4, 12
	s_addc_u32 s5, s5, 0
	s_waitcnt lgkmcnt(0)
	v_mul_hi_u32 v7, s9, v4
	s_add_u32 s2, s2, 8
	s_addc_u32 s3, s3, 0
	s_add_i32 s6, s6, -1
	v_add_u32_e32 v7, v4, v7
	v_lshrrev_b32_e32 v7, s7, v7
	v_mul_lo_u32 v8, v7, s8
	s_cmp_lg_u32 s6, 0
	v_sub_u32_e32 v8, v4, v8
	v_mad_u64_u32 v[3:4], s[8:9], v8, s10, v[3:4]
	v_mad_u64_u32 v[5:6], s[8:9], v8, s11, v[5:6]
	v_mov_b32_e32 v4, v7
	s_cbranch_scc1 .LBB221_40
.LBB221_41:
	s_cbranch_execnz .LBB221_44
.LBB221_42:
	s_load_dwordx4 s[4:7], s[34:35], 0x4
	s_load_dwordx2 s[2:3], s[34:35], 0xc4
	s_cmp_lt_u32 s33, 2
	s_waitcnt lgkmcnt(0)
	v_mul_hi_u32 v3, s5, v1
	v_add_u32_e32 v3, v1, v3
	v_lshrrev_b32_e32 v4, s6, v3
	v_mul_lo_u32 v3, v4, s4
	v_sub_u32_e32 v1, v1, v3
	v_mul_lo_u32 v3, v1, s2
	v_mul_lo_u32 v5, v1, s3
	s_cbranch_scc1 .LBB221_44
; %bb.43:
	s_load_dwordx4 s[4:7], s[34:35], 0x10
	s_load_dwordx2 s[2:3], s[34:35], 0xcc
	s_waitcnt lgkmcnt(0)
	v_mul_hi_u32 v1, s5, v4
	v_add_u32_e32 v1, v4, v1
	v_lshrrev_b32_e32 v1, s6, v1
	v_mul_lo_u32 v1, v1, s4
	v_sub_u32_e32 v1, v4, v1
	v_mad_u64_u32 v[3:4], s[4:5], v1, s2, v[3:4]
	v_mad_u64_u32 v[5:6], s[2:3], v1, s3, v[5:6]
.LBB221_44:
	s_and_b64 vcc, exec, s[0:1]
	v_add_u32_e32 v1, 0x100, v19
	s_cbranch_vccnz .LBB221_50
; %bb.45:
	s_cmp_lg_u32 s33, 0
	s_mov_b32 s26, 0
	s_cbranch_scc0 .LBB221_51
; %bb.46:
	s_min_u32 s27, s56, 15
	s_add_i32 s27, s27, 1
	s_cmp_eq_u32 s56, 2
	s_cbranch_scc1 .LBB221_52
; %bb.47:
	s_and_b32 s26, s27, 28
	s_add_u32 s2, s34, 0xc4
	s_addc_u32 s3, s35, 0
	v_mov_b32_e32 v8, 0
	s_mov_b32 s28, 0
	s_mov_b64 s[24:25], s[34:35]
	v_mov_b32_e32 v6, 0
	v_mov_b32_e32 v4, v1
.LBB221_48:                             ; =>This Inner Loop Header: Depth=1
	s_load_dwordx8 s[12:19], s[24:25], 0x4
	s_load_dwordx4 s[20:23], s[24:25], 0x24
	s_load_dwordx8 s[4:11], s[2:3], 0x0
	s_add_u32 s24, s24, 48
	s_addc_u32 s25, s25, 0
	s_waitcnt lgkmcnt(0)
	v_mul_hi_u32 v7, s13, v4
	s_add_i32 s28, s28, 4
	s_add_u32 s2, s2, 32
	s_addc_u32 s3, s3, 0
	v_add_u32_e32 v7, v4, v7
	v_lshrrev_b32_e32 v7, s14, v7
	v_mul_lo_u32 v9, v7, s12
	v_mul_hi_u32 v10, s16, v7
	s_cmp_lg_u32 s26, s28
	v_sub_u32_e32 v4, v4, v9
	v_add_u32_e32 v9, v7, v10
	v_mul_lo_u32 v10, v4, s4
	v_mul_lo_u32 v11, v4, s5
	v_lshrrev_b32_e32 v4, s17, v9
	v_mul_lo_u32 v9, v4, s15
	v_mul_hi_u32 v12, s19, v4
	v_sub_u32_e32 v7, v7, v9
	v_add_u32_e32 v9, v4, v12
	v_lshrrev_b32_e32 v9, s20, v9
	v_mul_hi_u32 v13, s22, v9
	v_mul_lo_u32 v14, v9, s18
	v_mul_lo_u32 v12, v7, s6
	;; [unrolled: 1-line block ×3, first 2 shown]
	v_sub_u32_e32 v14, v4, v14
	v_add_u32_e32 v4, v9, v13
	v_lshrrev_b32_e32 v4, s23, v4
	v_mul_lo_u32 v13, v4, s21
	v_mul_lo_u32 v15, v14, s8
	;; [unrolled: 1-line block ×3, first 2 shown]
	v_add3_u32 v6, v10, v6, v12
	v_sub_u32_e32 v9, v9, v13
	v_mul_lo_u32 v13, v9, s10
	v_mul_lo_u32 v9, v9, s11
	v_add3_u32 v7, v11, v8, v7
	v_add3_u32 v6, v15, v6, v13
	;; [unrolled: 1-line block ×3, first 2 shown]
	s_cbranch_scc1 .LBB221_48
; %bb.49:
	s_and_b32 s6, s27, 3
	s_cmp_eq_u32 s6, 0
	s_cbranch_scc0 .LBB221_53
	s_branch .LBB221_55
.LBB221_50:
                                        ; implicit-def: $vgpr6
                                        ; implicit-def: $vgpr8
	s_branch .LBB221_56
.LBB221_51:
	v_mov_b32_e32 v6, 0
	v_mov_b32_e32 v8, 0
	s_branch .LBB221_55
.LBB221_52:
	v_mov_b32_e32 v6, 0
	v_mov_b32_e32 v8, 0
	;; [unrolled: 1-line block ×3, first 2 shown]
	s_and_b32 s6, s27, 3
	s_cmp_eq_u32 s6, 0
	s_cbranch_scc1 .LBB221_55
.LBB221_53:
	s_lshl_b32 s2, s26, 3
	s_add_u32 s2, s34, s2
	s_addc_u32 s3, s35, 0
	s_add_u32 s2, s2, 0xc4
	s_addc_u32 s3, s3, 0
	s_mul_i32 s4, s26, 12
	s_add_u32 s4, s34, s4
	s_addc_u32 s5, s35, 0
.LBB221_54:                             ; =>This Inner Loop Header: Depth=1
	s_load_dwordx2 s[8:9], s[4:5], 0x4
	s_load_dword s7, s[4:5], 0xc
	s_load_dwordx2 s[10:11], s[2:3], 0x0
	s_add_u32 s4, s4, 12
	s_addc_u32 s5, s5, 0
	s_waitcnt lgkmcnt(0)
	v_mul_hi_u32 v7, s9, v4
	s_add_u32 s2, s2, 8
	s_addc_u32 s3, s3, 0
	s_add_i32 s6, s6, -1
	v_add_u32_e32 v7, v4, v7
	v_lshrrev_b32_e32 v10, s7, v7
	v_mul_lo_u32 v7, v10, s8
	s_cmp_lg_u32 s6, 0
	v_sub_u32_e32 v4, v4, v7
	v_mad_u64_u32 v[6:7], s[8:9], v4, s10, v[6:7]
	v_mad_u64_u32 v[8:9], s[8:9], v4, s11, v[8:9]
	v_mov_b32_e32 v4, v10
	s_cbranch_scc1 .LBB221_54
.LBB221_55:
	s_cbranch_execnz .LBB221_58
.LBB221_56:
	s_load_dwordx4 s[4:7], s[34:35], 0x4
	s_load_dwordx2 s[2:3], s[34:35], 0xc4
	s_cmp_lt_u32 s33, 2
	s_waitcnt lgkmcnt(0)
	v_mul_hi_u32 v4, s5, v1
	v_add_u32_e32 v4, v1, v4
	v_lshrrev_b32_e32 v4, s6, v4
	v_mul_lo_u32 v6, v4, s4
	v_sub_u32_e32 v1, v1, v6
	v_mul_lo_u32 v6, v1, s2
	v_mul_lo_u32 v8, v1, s3
	s_cbranch_scc1 .LBB221_58
; %bb.57:
	s_load_dwordx4 s[4:7], s[34:35], 0x10
	s_load_dwordx2 s[2:3], s[34:35], 0xcc
	s_waitcnt lgkmcnt(0)
	v_mul_hi_u32 v1, s5, v4
	v_add_u32_e32 v1, v4, v1
	v_lshrrev_b32_e32 v1, s6, v1
	v_mul_lo_u32 v1, v1, s4
	v_sub_u32_e32 v1, v4, v1
	v_mad_u64_u32 v[6:7], s[4:5], v1, s2, v[6:7]
	v_mad_u64_u32 v[8:9], s[2:3], v1, s3, v[8:9]
.LBB221_58:
	s_and_b64 vcc, exec, s[0:1]
	v_add_u32_e32 v1, 0x180, v19
	s_cbranch_vccnz .LBB221_64
; %bb.59:
	s_cmp_lg_u32 s33, 0
	s_mov_b32 s26, 0
	s_cbranch_scc0 .LBB221_65
; %bb.60:
	s_min_u32 s27, s56, 15
	s_add_i32 s27, s27, 1
	s_cmp_eq_u32 s56, 2
	s_cbranch_scc1 .LBB221_66
; %bb.61:
	s_and_b32 s26, s27, 28
	s_add_u32 s2, s34, 0xc4
	s_addc_u32 s3, s35, 0
	v_mov_b32_e32 v11, 0
	s_mov_b32 s28, 0
	s_mov_b64 s[24:25], s[34:35]
	v_mov_b32_e32 v9, 0
	v_mov_b32_e32 v4, v1
.LBB221_62:                             ; =>This Inner Loop Header: Depth=1
	s_load_dwordx8 s[12:19], s[24:25], 0x4
	s_load_dwordx4 s[20:23], s[24:25], 0x24
	s_load_dwordx8 s[4:11], s[2:3], 0x0
	s_add_u32 s24, s24, 48
	s_addc_u32 s25, s25, 0
	s_waitcnt lgkmcnt(0)
	v_mul_hi_u32 v7, s13, v4
	s_add_i32 s28, s28, 4
	s_add_u32 s2, s2, 32
	s_addc_u32 s3, s3, 0
	v_add_u32_e32 v7, v4, v7
	v_lshrrev_b32_e32 v7, s14, v7
	v_mul_lo_u32 v10, v7, s12
	v_mul_hi_u32 v12, s16, v7
	s_cmp_lg_u32 s26, s28
	v_sub_u32_e32 v4, v4, v10
	v_add_u32_e32 v10, v7, v12
	v_mul_lo_u32 v12, v4, s4
	v_mul_lo_u32 v13, v4, s5
	v_lshrrev_b32_e32 v4, s17, v10
	v_mul_lo_u32 v10, v4, s15
	v_mul_hi_u32 v14, s19, v4
	v_sub_u32_e32 v7, v7, v10
	v_add_u32_e32 v10, v4, v14
	v_lshrrev_b32_e32 v10, s20, v10
	v_mul_hi_u32 v15, s22, v10
	v_mul_lo_u32 v16, v10, s18
	v_mul_lo_u32 v14, v7, s6
	;; [unrolled: 1-line block ×3, first 2 shown]
	v_sub_u32_e32 v16, v4, v16
	v_add_u32_e32 v4, v10, v15
	v_lshrrev_b32_e32 v4, s23, v4
	v_mul_lo_u32 v15, v4, s21
	v_mul_lo_u32 v17, v16, s8
	v_mul_lo_u32 v16, v16, s9
	v_add3_u32 v9, v12, v9, v14
	v_sub_u32_e32 v10, v10, v15
	v_mul_lo_u32 v15, v10, s10
	v_mul_lo_u32 v10, v10, s11
	v_add3_u32 v7, v13, v11, v7
	v_add3_u32 v9, v17, v9, v15
	;; [unrolled: 1-line block ×3, first 2 shown]
	s_cbranch_scc1 .LBB221_62
; %bb.63:
	s_and_b32 s6, s27, 3
	s_cmp_eq_u32 s6, 0
	s_cbranch_scc0 .LBB221_67
	s_branch .LBB221_69
.LBB221_64:
                                        ; implicit-def: $vgpr9
                                        ; implicit-def: $vgpr11
	s_branch .LBB221_70
.LBB221_65:
	v_mov_b32_e32 v9, 0
	v_mov_b32_e32 v11, 0
	s_branch .LBB221_69
.LBB221_66:
	v_mov_b32_e32 v9, 0
	v_mov_b32_e32 v11, 0
	;; [unrolled: 1-line block ×3, first 2 shown]
	s_and_b32 s6, s27, 3
	s_cmp_eq_u32 s6, 0
	s_cbranch_scc1 .LBB221_69
.LBB221_67:
	s_lshl_b32 s2, s26, 3
	s_add_u32 s2, s34, s2
	s_addc_u32 s3, s35, 0
	s_add_u32 s2, s2, 0xc4
	s_addc_u32 s3, s3, 0
	s_mul_i32 s4, s26, 12
	s_add_u32 s4, s34, s4
	s_addc_u32 s5, s35, 0
.LBB221_68:                             ; =>This Inner Loop Header: Depth=1
	s_load_dwordx2 s[8:9], s[4:5], 0x4
	s_load_dword s7, s[4:5], 0xc
	s_load_dwordx2 s[10:11], s[2:3], 0x0
	s_add_u32 s4, s4, 12
	s_addc_u32 s5, s5, 0
	s_waitcnt lgkmcnt(0)
	v_mul_hi_u32 v7, s9, v4
	s_add_u32 s2, s2, 8
	s_addc_u32 s3, s3, 0
	s_add_i32 s6, s6, -1
	v_add_u32_e32 v7, v4, v7
	v_lshrrev_b32_e32 v7, s7, v7
	v_mul_lo_u32 v10, v7, s8
	s_cmp_lg_u32 s6, 0
	v_sub_u32_e32 v4, v4, v10
	v_mad_u64_u32 v[9:10], s[8:9], v4, s10, v[9:10]
	v_mad_u64_u32 v[11:12], s[8:9], v4, s11, v[11:12]
	v_mov_b32_e32 v4, v7
	s_cbranch_scc1 .LBB221_68
.LBB221_69:
	s_cbranch_execnz .LBB221_72
.LBB221_70:
	s_load_dwordx4 s[4:7], s[34:35], 0x4
	s_load_dwordx2 s[2:3], s[34:35], 0xc4
	s_cmp_lt_u32 s33, 2
	s_waitcnt lgkmcnt(0)
	v_mul_hi_u32 v4, s5, v1
	v_add_u32_e32 v4, v1, v4
	v_lshrrev_b32_e32 v4, s6, v4
	v_mul_lo_u32 v7, v4, s4
	v_sub_u32_e32 v1, v1, v7
	v_mul_lo_u32 v9, v1, s2
	v_mul_lo_u32 v11, v1, s3
	s_cbranch_scc1 .LBB221_72
; %bb.71:
	s_load_dwordx4 s[4:7], s[34:35], 0x10
	s_load_dwordx2 s[2:3], s[34:35], 0xcc
	s_waitcnt lgkmcnt(0)
	v_mul_hi_u32 v1, s5, v4
	v_add_u32_e32 v1, v4, v1
	v_lshrrev_b32_e32 v1, s6, v1
	v_mul_lo_u32 v1, v1, s4
	v_sub_u32_e32 v1, v4, v1
	v_mad_u64_u32 v[9:10], s[4:5], v1, s2, v[9:10]
	v_mad_u64_u32 v[11:12], s[2:3], v1, s3, v[11:12]
.LBB221_72:
	s_and_b64 vcc, exec, s[0:1]
	v_add_u32_e32 v1, 0x200, v19
	s_cbranch_vccnz .LBB221_78
; %bb.73:
	s_cmp_lg_u32 s33, 0
	s_mov_b32 s26, 0
	s_cbranch_scc0 .LBB221_79
; %bb.74:
	s_min_u32 s27, s56, 15
	s_add_i32 s27, s27, 1
	s_cmp_eq_u32 s56, 2
	s_cbranch_scc1 .LBB221_80
; %bb.75:
	s_and_b32 s26, s27, 28
	s_add_u32 s2, s34, 0xc4
	s_addc_u32 s3, s35, 0
	v_mov_b32_e32 v14, 0
	s_mov_b32 s28, 0
	s_mov_b64 s[24:25], s[34:35]
	v_mov_b32_e32 v12, 0
	v_mov_b32_e32 v4, v1
.LBB221_76:                             ; =>This Inner Loop Header: Depth=1
	s_load_dwordx8 s[12:19], s[24:25], 0x4
	s_load_dwordx4 s[20:23], s[24:25], 0x24
	s_load_dwordx8 s[4:11], s[2:3], 0x0
	s_add_u32 s24, s24, 48
	s_addc_u32 s25, s25, 0
	s_waitcnt lgkmcnt(0)
	v_mul_hi_u32 v7, s13, v4
	s_add_i32 s28, s28, 4
	s_add_u32 s2, s2, 32
	s_addc_u32 s3, s3, 0
	v_add_u32_e32 v7, v4, v7
	v_lshrrev_b32_e32 v7, s14, v7
	v_mul_lo_u32 v10, v7, s12
	v_mul_hi_u32 v13, s16, v7
	s_cmp_lg_u32 s26, s28
	v_sub_u32_e32 v4, v4, v10
	v_add_u32_e32 v10, v7, v13
	v_mul_lo_u32 v13, v4, s4
	v_mul_lo_u32 v15, v4, s5
	v_lshrrev_b32_e32 v4, s17, v10
	v_mul_lo_u32 v10, v4, s15
	v_mul_hi_u32 v16, s19, v4
	v_sub_u32_e32 v7, v7, v10
	v_add_u32_e32 v10, v4, v16
	v_lshrrev_b32_e32 v10, s20, v10
	v_mul_hi_u32 v17, s22, v10
	v_mul_lo_u32 v18, v10, s18
	v_mul_lo_u32 v16, v7, s6
	;; [unrolled: 1-line block ×3, first 2 shown]
	v_sub_u32_e32 v18, v4, v18
	v_add_u32_e32 v4, v10, v17
	v_lshrrev_b32_e32 v4, s23, v4
	v_mul_lo_u32 v17, v4, s21
	v_mul_lo_u32 v20, v18, s8
	;; [unrolled: 1-line block ×3, first 2 shown]
	v_add3_u32 v12, v13, v12, v16
	v_sub_u32_e32 v10, v10, v17
	v_mul_lo_u32 v17, v10, s10
	v_mul_lo_u32 v10, v10, s11
	v_add3_u32 v7, v15, v14, v7
	v_add3_u32 v12, v20, v12, v17
	;; [unrolled: 1-line block ×3, first 2 shown]
	s_cbranch_scc1 .LBB221_76
; %bb.77:
	s_and_b32 s6, s27, 3
	s_cmp_eq_u32 s6, 0
	s_cbranch_scc0 .LBB221_81
	s_branch .LBB221_83
.LBB221_78:
                                        ; implicit-def: $vgpr12
                                        ; implicit-def: $vgpr14
	s_branch .LBB221_84
.LBB221_79:
	v_mov_b32_e32 v12, 0
	v_mov_b32_e32 v14, 0
	s_branch .LBB221_83
.LBB221_80:
	v_mov_b32_e32 v12, 0
	v_mov_b32_e32 v14, 0
	;; [unrolled: 1-line block ×3, first 2 shown]
	s_and_b32 s6, s27, 3
	s_cmp_eq_u32 s6, 0
	s_cbranch_scc1 .LBB221_83
.LBB221_81:
	s_lshl_b32 s2, s26, 3
	s_add_u32 s2, s34, s2
	s_addc_u32 s3, s35, 0
	s_add_u32 s2, s2, 0xc4
	s_addc_u32 s3, s3, 0
	s_mul_i32 s4, s26, 12
	s_add_u32 s4, s34, s4
	s_addc_u32 s5, s35, 0
.LBB221_82:                             ; =>This Inner Loop Header: Depth=1
	s_load_dwordx2 s[8:9], s[4:5], 0x4
	s_load_dword s7, s[4:5], 0xc
	s_load_dwordx2 s[10:11], s[2:3], 0x0
	s_add_u32 s4, s4, 12
	s_addc_u32 s5, s5, 0
	s_waitcnt lgkmcnt(0)
	v_mul_hi_u32 v7, s9, v4
	s_add_u32 s2, s2, 8
	s_addc_u32 s3, s3, 0
	s_add_i32 s6, s6, -1
	v_add_u32_e32 v7, v4, v7
	v_lshrrev_b32_e32 v7, s7, v7
	v_mul_lo_u32 v10, v7, s8
	s_cmp_lg_u32 s6, 0
	v_sub_u32_e32 v4, v4, v10
	v_mad_u64_u32 v[12:13], s[8:9], v4, s10, v[12:13]
	v_mad_u64_u32 v[14:15], s[8:9], v4, s11, v[14:15]
	v_mov_b32_e32 v4, v7
	s_cbranch_scc1 .LBB221_82
.LBB221_83:
	s_cbranch_execnz .LBB221_86
.LBB221_84:
	s_load_dwordx4 s[4:7], s[34:35], 0x4
	s_load_dwordx2 s[2:3], s[34:35], 0xc4
	s_cmp_lt_u32 s33, 2
	s_waitcnt lgkmcnt(0)
	v_mul_hi_u32 v4, s5, v1
	v_add_u32_e32 v4, v1, v4
	v_lshrrev_b32_e32 v4, s6, v4
	v_mul_lo_u32 v7, v4, s4
	v_sub_u32_e32 v1, v1, v7
	v_mul_lo_u32 v12, v1, s2
	v_mul_lo_u32 v14, v1, s3
	s_cbranch_scc1 .LBB221_86
; %bb.85:
	s_load_dwordx4 s[4:7], s[34:35], 0x10
	s_load_dwordx2 s[2:3], s[34:35], 0xcc
	s_waitcnt lgkmcnt(0)
	v_mul_hi_u32 v1, s5, v4
	v_add_u32_e32 v1, v4, v1
	v_lshrrev_b32_e32 v1, s6, v1
	v_mul_lo_u32 v1, v1, s4
	v_sub_u32_e32 v1, v4, v1
	v_mad_u64_u32 v[12:13], s[4:5], v1, s2, v[12:13]
	v_mad_u64_u32 v[14:15], s[2:3], v1, s3, v[14:15]
.LBB221_86:
	s_and_b64 vcc, exec, s[0:1]
	v_add_u32_e32 v1, 0x280, v19
	s_cbranch_vccnz .LBB221_92
; %bb.87:
	s_cmp_lg_u32 s33, 0
	s_mov_b32 s26, 0
	s_cbranch_scc0 .LBB221_93
; %bb.88:
	s_min_u32 s27, s56, 15
	s_add_i32 s27, s27, 1
	s_cmp_eq_u32 s56, 2
	s_cbranch_scc1 .LBB221_94
; %bb.89:
	s_and_b32 s26, s27, 28
	s_add_u32 s2, s34, 0xc4
	s_addc_u32 s3, s35, 0
	v_mov_b32_e32 v17, 0
	s_mov_b32 s28, 0
	s_mov_b64 s[24:25], s[34:35]
	v_mov_b32_e32 v15, 0
	v_mov_b32_e32 v4, v1
.LBB221_90:                             ; =>This Inner Loop Header: Depth=1
	s_load_dwordx8 s[12:19], s[24:25], 0x4
	s_load_dwordx4 s[20:23], s[24:25], 0x24
	s_load_dwordx8 s[4:11], s[2:3], 0x0
	s_add_u32 s24, s24, 48
	s_addc_u32 s25, s25, 0
	s_waitcnt lgkmcnt(0)
	v_mul_hi_u32 v7, s13, v4
	s_add_i32 s28, s28, 4
	s_add_u32 s2, s2, 32
	s_addc_u32 s3, s3, 0
	v_add_u32_e32 v7, v4, v7
	v_lshrrev_b32_e32 v7, s14, v7
	v_mul_lo_u32 v10, v7, s12
	v_mul_hi_u32 v13, s16, v7
	s_cmp_lg_u32 s26, s28
	v_sub_u32_e32 v4, v4, v10
	v_add_u32_e32 v10, v7, v13
	v_mul_lo_u32 v13, v4, s4
	v_mul_lo_u32 v16, v4, s5
	v_lshrrev_b32_e32 v4, s17, v10
	v_mul_lo_u32 v10, v4, s15
	v_mul_hi_u32 v18, s19, v4
	v_sub_u32_e32 v7, v7, v10
	v_add_u32_e32 v10, v4, v18
	v_lshrrev_b32_e32 v10, s20, v10
	v_mul_hi_u32 v20, s22, v10
	v_mul_lo_u32 v21, v10, s18
	v_mul_lo_u32 v18, v7, s6
	;; [unrolled: 1-line block ×3, first 2 shown]
	v_sub_u32_e32 v21, v4, v21
	v_add_u32_e32 v4, v10, v20
	v_lshrrev_b32_e32 v4, s23, v4
	v_mul_lo_u32 v20, v4, s21
	v_mul_lo_u32 v22, v21, s8
	;; [unrolled: 1-line block ×3, first 2 shown]
	v_add3_u32 v13, v13, v15, v18
	v_sub_u32_e32 v10, v10, v20
	v_mul_lo_u32 v20, v10, s10
	v_mul_lo_u32 v10, v10, s11
	v_add3_u32 v7, v16, v17, v7
	v_add3_u32 v15, v22, v13, v20
	v_add3_u32 v17, v21, v7, v10
	s_cbranch_scc1 .LBB221_90
; %bb.91:
	s_and_b32 s6, s27, 3
	s_cmp_eq_u32 s6, 0
	s_cbranch_scc0 .LBB221_95
	s_branch .LBB221_97
.LBB221_92:
                                        ; implicit-def: $vgpr15
                                        ; implicit-def: $vgpr17
	s_branch .LBB221_98
.LBB221_93:
	v_mov_b32_e32 v15, 0
	v_mov_b32_e32 v17, 0
	s_branch .LBB221_97
.LBB221_94:
	v_mov_b32_e32 v15, 0
	v_mov_b32_e32 v17, 0
	;; [unrolled: 1-line block ×3, first 2 shown]
	s_and_b32 s6, s27, 3
	s_cmp_eq_u32 s6, 0
	s_cbranch_scc1 .LBB221_97
.LBB221_95:
	s_lshl_b32 s2, s26, 3
	s_add_u32 s2, s34, s2
	s_addc_u32 s3, s35, 0
	s_add_u32 s2, s2, 0xc4
	s_addc_u32 s3, s3, 0
	s_mul_i32 s4, s26, 12
	s_add_u32 s4, s34, s4
	s_addc_u32 s5, s35, 0
.LBB221_96:                             ; =>This Inner Loop Header: Depth=1
	s_load_dwordx2 s[8:9], s[4:5], 0x4
	s_load_dword s7, s[4:5], 0xc
	s_load_dwordx2 s[10:11], s[2:3], 0x0
	s_add_u32 s4, s4, 12
	s_addc_u32 s5, s5, 0
	s_waitcnt lgkmcnt(0)
	v_mul_hi_u32 v7, s9, v4
	s_add_u32 s2, s2, 8
	s_addc_u32 s3, s3, 0
	s_add_i32 s6, s6, -1
	v_add_u32_e32 v7, v4, v7
	v_lshrrev_b32_e32 v7, s7, v7
	v_mul_lo_u32 v10, v7, s8
	s_cmp_lg_u32 s6, 0
	v_sub_u32_e32 v4, v4, v10
	v_mad_u64_u32 v[15:16], s[8:9], v4, s10, v[15:16]
	v_mad_u64_u32 v[17:18], s[8:9], v4, s11, v[17:18]
	v_mov_b32_e32 v4, v7
	s_cbranch_scc1 .LBB221_96
.LBB221_97:
	s_cbranch_execnz .LBB221_100
.LBB221_98:
	s_load_dwordx4 s[4:7], s[34:35], 0x4
	s_load_dwordx2 s[2:3], s[34:35], 0xc4
	s_cmp_lt_u32 s33, 2
	s_waitcnt lgkmcnt(0)
	v_mul_hi_u32 v4, s5, v1
	v_add_u32_e32 v4, v1, v4
	v_lshrrev_b32_e32 v4, s6, v4
	v_mul_lo_u32 v7, v4, s4
	v_sub_u32_e32 v1, v1, v7
	v_mul_lo_u32 v15, v1, s2
	v_mul_lo_u32 v17, v1, s3
	s_cbranch_scc1 .LBB221_100
; %bb.99:
	s_load_dwordx4 s[4:7], s[34:35], 0x10
	s_load_dwordx2 s[2:3], s[34:35], 0xcc
	s_waitcnt lgkmcnt(0)
	v_mul_hi_u32 v1, s5, v4
	v_add_u32_e32 v1, v4, v1
	v_lshrrev_b32_e32 v1, s6, v1
	v_mul_lo_u32 v1, v1, s4
	v_sub_u32_e32 v1, v4, v1
	v_mad_u64_u32 v[15:16], s[4:5], v1, s2, v[15:16]
	v_mad_u64_u32 v[17:18], s[2:3], v1, s3, v[17:18]
.LBB221_100:
	s_and_b64 vcc, exec, s[0:1]
	v_add_u32_e32 v1, 0x300, v19
	s_cbranch_vccnz .LBB221_106
; %bb.101:
	s_cmp_lg_u32 s33, 0
	s_mov_b32 s26, 0
	s_cbranch_scc0 .LBB221_107
; %bb.102:
	s_min_u32 s27, s56, 15
	s_add_i32 s27, s27, 1
	s_cmp_eq_u32 s56, 2
	s_cbranch_scc1 .LBB221_108
; %bb.103:
	s_and_b32 s26, s27, 28
	s_add_u32 s2, s34, 0xc4
	s_addc_u32 s3, s35, 0
	v_mov_b32_e32 v20, 0
	s_mov_b32 s28, 0
	s_mov_b64 s[24:25], s[34:35]
	v_mov_b32_e32 v18, 0
	v_mov_b32_e32 v4, v1
.LBB221_104:                            ; =>This Inner Loop Header: Depth=1
	s_load_dwordx8 s[12:19], s[24:25], 0x4
	s_load_dwordx4 s[20:23], s[24:25], 0x24
	s_load_dwordx8 s[4:11], s[2:3], 0x0
	s_add_u32 s24, s24, 48
	s_addc_u32 s25, s25, 0
	s_waitcnt lgkmcnt(0)
	v_mul_hi_u32 v7, s13, v4
	s_add_i32 s28, s28, 4
	s_add_u32 s2, s2, 32
	s_addc_u32 s3, s3, 0
	v_add_u32_e32 v7, v4, v7
	v_lshrrev_b32_e32 v7, s14, v7
	v_mul_lo_u32 v10, v7, s12
	v_mul_hi_u32 v13, s16, v7
	s_cmp_lg_u32 s26, s28
	v_sub_u32_e32 v4, v4, v10
	v_add_u32_e32 v10, v7, v13
	v_mul_lo_u32 v13, v4, s4
	v_mul_lo_u32 v16, v4, s5
	v_lshrrev_b32_e32 v4, s17, v10
	v_mul_lo_u32 v10, v4, s15
	v_mul_hi_u32 v19, s19, v4
	v_sub_u32_e32 v7, v7, v10
	v_add_u32_e32 v10, v4, v19
	v_lshrrev_b32_e32 v10, s20, v10
	v_mul_hi_u32 v21, s22, v10
	v_mul_lo_u32 v22, v10, s18
	v_mul_lo_u32 v19, v7, s6
	;; [unrolled: 1-line block ×3, first 2 shown]
	v_sub_u32_e32 v22, v4, v22
	v_add_u32_e32 v4, v10, v21
	v_lshrrev_b32_e32 v4, s23, v4
	v_mul_lo_u32 v21, v4, s21
	v_mul_lo_u32 v23, v22, s8
	;; [unrolled: 1-line block ×3, first 2 shown]
	v_add3_u32 v13, v13, v18, v19
	v_sub_u32_e32 v10, v10, v21
	v_mul_lo_u32 v21, v10, s10
	v_mul_lo_u32 v10, v10, s11
	v_add3_u32 v7, v16, v20, v7
	v_add3_u32 v18, v23, v13, v21
	;; [unrolled: 1-line block ×3, first 2 shown]
	s_cbranch_scc1 .LBB221_104
; %bb.105:
	s_and_b32 s6, s27, 3
	s_cmp_eq_u32 s6, 0
	s_cbranch_scc0 .LBB221_109
	s_branch .LBB221_111
.LBB221_106:
                                        ; implicit-def: $vgpr18
                                        ; implicit-def: $vgpr20
	s_branch .LBB221_112
.LBB221_107:
	v_mov_b32_e32 v18, 0
	v_mov_b32_e32 v20, 0
	s_branch .LBB221_111
.LBB221_108:
	v_mov_b32_e32 v18, 0
	v_mov_b32_e32 v20, 0
	;; [unrolled: 1-line block ×3, first 2 shown]
	s_and_b32 s6, s27, 3
	s_cmp_eq_u32 s6, 0
	s_cbranch_scc1 .LBB221_111
.LBB221_109:
	s_lshl_b32 s2, s26, 3
	s_add_u32 s2, s34, s2
	s_addc_u32 s3, s35, 0
	s_add_u32 s2, s2, 0xc4
	s_addc_u32 s3, s3, 0
	s_mul_i32 s4, s26, 12
	s_add_u32 s4, s34, s4
	s_addc_u32 s5, s35, 0
.LBB221_110:                            ; =>This Inner Loop Header: Depth=1
	s_load_dwordx2 s[8:9], s[4:5], 0x4
	s_load_dword s7, s[4:5], 0xc
	s_load_dwordx2 s[10:11], s[2:3], 0x0
	s_add_u32 s4, s4, 12
	s_addc_u32 s5, s5, 0
	s_waitcnt lgkmcnt(0)
	v_mul_hi_u32 v7, s9, v4
	s_add_u32 s2, s2, 8
	s_addc_u32 s3, s3, 0
	s_add_i32 s6, s6, -1
	v_add_u32_e32 v7, v4, v7
	v_lshrrev_b32_e32 v7, s7, v7
	v_mul_lo_u32 v10, v7, s8
	s_cmp_lg_u32 s6, 0
	v_sub_u32_e32 v4, v4, v10
	v_mad_u64_u32 v[18:19], s[8:9], v4, s10, v[18:19]
	v_mad_u64_u32 v[20:21], s[8:9], v4, s11, v[20:21]
	v_mov_b32_e32 v4, v7
	s_cbranch_scc1 .LBB221_110
.LBB221_111:
	s_cbranch_execnz .LBB221_114
.LBB221_112:
	s_load_dwordx4 s[4:7], s[34:35], 0x4
	s_load_dwordx2 s[2:3], s[34:35], 0xc4
	s_cmp_lt_u32 s33, 2
	s_waitcnt lgkmcnt(0)
	v_mul_hi_u32 v4, s5, v1
	v_add_u32_e32 v4, v1, v4
	v_lshrrev_b32_e32 v4, s6, v4
	v_mul_lo_u32 v7, v4, s4
	v_sub_u32_e32 v1, v1, v7
	v_mul_lo_u32 v18, v1, s2
	v_mul_lo_u32 v20, v1, s3
	s_cbranch_scc1 .LBB221_114
; %bb.113:
	s_load_dwordx4 s[4:7], s[34:35], 0x10
	s_load_dwordx2 s[2:3], s[34:35], 0xcc
	s_waitcnt lgkmcnt(0)
	v_mul_hi_u32 v1, s5, v4
	v_add_u32_e32 v1, v4, v1
	v_lshrrev_b32_e32 v1, s6, v1
	v_mul_lo_u32 v1, v1, s4
	v_sub_u32_e32 v1, v4, v1
	v_mad_u64_u32 v[18:19], s[4:5], v1, s2, v[18:19]
	v_mad_u64_u32 v[20:21], s[2:3], v1, s3, v[20:21]
.LBB221_114:
	s_and_b64 vcc, exec, s[0:1]
	s_cbranch_vccnz .LBB221_120
; %bb.115:
	s_cmp_lg_u32 s33, 0
	s_mov_b32 s24, 0
	s_cbranch_scc0 .LBB221_121
; %bb.116:
	s_min_u32 s25, s56, 15
	s_add_i32 s25, s25, 1
	s_cmp_eq_u32 s56, 2
	s_cbranch_scc1 .LBB221_122
; %bb.117:
	s_and_b32 s24, s25, 28
	s_add_u32 s20, s34, 0xc4
	s_addc_u32 s21, s35, 0
	v_mov_b32_e32 v23, 0
	s_mov_b32 s26, 0
	s_mov_b64 s[22:23], s[34:35]
	v_mov_b32_e32 v21, 0
	v_mov_b32_e32 v1, v25
.LBB221_118:                            ; =>This Inner Loop Header: Depth=1
	s_load_dwordx8 s[8:15], s[22:23], 0x4
	s_load_dwordx4 s[16:19], s[22:23], 0x24
	s_load_dwordx8 s[0:7], s[20:21], 0x0
	s_add_u32 s22, s22, 48
	s_addc_u32 s23, s23, 0
	s_waitcnt lgkmcnt(0)
	v_mul_hi_u32 v4, s9, v1
	s_add_i32 s26, s26, 4
	s_add_u32 s20, s20, 32
	s_addc_u32 s21, s21, 0
	v_add_u32_e32 v4, v1, v4
	v_lshrrev_b32_e32 v4, s10, v4
	v_mul_lo_u32 v7, v4, s8
	v_mul_hi_u32 v10, s12, v4
	s_cmp_lg_u32 s24, s26
	v_sub_u32_e32 v1, v1, v7
	v_add_u32_e32 v7, v4, v10
	v_mul_lo_u32 v10, v1, s0
	v_mul_lo_u32 v13, v1, s1
	v_lshrrev_b32_e32 v1, s13, v7
	v_mul_lo_u32 v7, v1, s11
	v_mul_hi_u32 v16, s15, v1
	v_sub_u32_e32 v4, v4, v7
	v_add_u32_e32 v7, v1, v16
	v_lshrrev_b32_e32 v7, s16, v7
	v_mul_hi_u32 v19, s18, v7
	v_mul_lo_u32 v22, v7, s14
	v_mul_lo_u32 v16, v4, s2
	v_mul_lo_u32 v4, v4, s3
	v_sub_u32_e32 v22, v1, v22
	v_add_u32_e32 v1, v7, v19
	v_lshrrev_b32_e32 v1, s19, v1
	v_mul_lo_u32 v19, v1, s17
	v_mul_lo_u32 v24, v22, s4
	;; [unrolled: 1-line block ×3, first 2 shown]
	v_add3_u32 v10, v10, v21, v16
	v_sub_u32_e32 v7, v7, v19
	v_mul_lo_u32 v19, v7, s6
	v_mul_lo_u32 v7, v7, s7
	v_add3_u32 v4, v13, v23, v4
	v_add3_u32 v21, v24, v10, v19
	;; [unrolled: 1-line block ×3, first 2 shown]
	s_cbranch_scc1 .LBB221_118
; %bb.119:
	s_and_b32 s4, s25, 3
	s_cmp_eq_u32 s4, 0
	s_cbranch_scc0 .LBB221_123
	s_branch .LBB221_125
.LBB221_120:
                                        ; implicit-def: $vgpr21
                                        ; implicit-def: $vgpr23
	s_branch .LBB221_126
.LBB221_121:
	v_mov_b32_e32 v21, 0
	v_mov_b32_e32 v23, 0
	s_branch .LBB221_125
.LBB221_122:
	v_mov_b32_e32 v21, 0
	v_mov_b32_e32 v23, 0
	;; [unrolled: 1-line block ×3, first 2 shown]
	s_and_b32 s4, s25, 3
	s_cmp_eq_u32 s4, 0
	s_cbranch_scc1 .LBB221_125
.LBB221_123:
	s_lshl_b32 s0, s24, 3
	s_add_u32 s0, s34, s0
	s_addc_u32 s1, s35, 0
	s_add_u32 s0, s0, 0xc4
	s_addc_u32 s1, s1, 0
	s_mul_i32 s2, s24, 12
	s_add_u32 s2, s34, s2
	s_addc_u32 s3, s35, 0
.LBB221_124:                            ; =>This Inner Loop Header: Depth=1
	s_load_dwordx2 s[6:7], s[2:3], 0x4
	s_load_dword s5, s[2:3], 0xc
	s_load_dwordx2 s[8:9], s[0:1], 0x0
	s_add_u32 s2, s2, 12
	s_addc_u32 s3, s3, 0
	s_waitcnt lgkmcnt(0)
	v_mul_hi_u32 v4, s7, v1
	s_add_u32 s0, s0, 8
	s_addc_u32 s1, s1, 0
	s_add_i32 s4, s4, -1
	v_add_u32_e32 v4, v1, v4
	v_lshrrev_b32_e32 v4, s5, v4
	v_mul_lo_u32 v7, v4, s6
	s_cmp_lg_u32 s4, 0
	v_sub_u32_e32 v1, v1, v7
	v_mad_u64_u32 v[21:22], s[6:7], v1, s8, v[21:22]
	v_mad_u64_u32 v[23:24], s[6:7], v1, s9, v[23:24]
	v_mov_b32_e32 v1, v4
	s_cbranch_scc1 .LBB221_124
.LBB221_125:
	s_cbranch_execnz .LBB221_128
.LBB221_126:
	s_load_dwordx4 s[0:3], s[34:35], 0x4
	s_load_dwordx2 s[4:5], s[34:35], 0xc4
	s_cmp_lt_u32 s33, 2
	s_waitcnt lgkmcnt(0)
	v_mul_hi_u32 v1, s1, v25
	v_add_u32_e32 v1, v25, v1
	v_lshrrev_b32_e32 v1, s2, v1
	v_mul_lo_u32 v4, v1, s0
	v_sub_u32_e32 v4, v25, v4
	v_mul_lo_u32 v21, v4, s4
	v_mul_lo_u32 v23, v4, s5
	s_cbranch_scc1 .LBB221_128
; %bb.127:
	s_load_dwordx4 s[0:3], s[34:35], 0x10
	s_load_dwordx2 s[4:5], s[34:35], 0xcc
	s_waitcnt lgkmcnt(0)
	v_mul_hi_u32 v4, s1, v1
	v_add_u32_e32 v4, v1, v4
	v_lshrrev_b32_e32 v4, s2, v4
	v_mul_lo_u32 v4, v4, s0
	v_sub_u32_e32 v1, v1, v4
	v_mad_u64_u32 v[21:22], s[0:1], v1, s4, v[21:22]
	v_mad_u64_u32 v[23:24], s[0:1], v1, s5, v[23:24]
.LBB221_128:
	s_load_dwordx4 s[16:19], s[34:35], 0x148
	s_load_dwordx2 s[0:1], s[34:35], 0x158
	s_waitcnt lgkmcnt(0)
	global_load_ubyte v1, v2, s[18:19]
	global_load_ubyte v4, v5, s[18:19]
	;; [unrolled: 1-line block ×8, first 2 shown]
	s_bitcmp1_b32 s1, 0
	s_cselect_b64 s[14:15], -1, 0
	s_cmp_eq_u32 s0, 0
	s_cselect_b64 s[18:19], -1, 0
	s_waitcnt vmcnt(7)
	v_cmp_ne_u16_e32 vcc, 0, v1
	s_waitcnt vmcnt(6)
	v_cmp_ne_u16_e64 s[0:1], 0, v4
	s_waitcnt vmcnt(5)
	v_cmp_ne_u16_e64 s[2:3], 0, v7
	s_xor_b64 s[0:1], s[0:1], s[14:15]
	s_waitcnt vmcnt(4)
	v_cmp_ne_u16_e64 s[4:5], 0, v10
	s_xor_b64 s[2:3], s[2:3], s[14:15]
	s_xor_b64 s[0:1], s[18:19], s[0:1]
	s_waitcnt vmcnt(3)
	v_cmp_ne_u16_e64 s[6:7], 0, v13
	s_xor_b64 s[4:5], s[4:5], s[14:15]
	v_cndmask_b32_e64 v2, 0, 1, s[0:1]
	s_xor_b64 s[0:1], s[18:19], s[2:3]
	s_waitcnt vmcnt(2)
	v_cmp_ne_u16_e64 s[8:9], 0, v16
	s_xor_b64 s[6:7], s[6:7], s[14:15]
	v_cndmask_b32_e64 v4, 0, 1, s[0:1]
	;; [unrolled: 5-line block ×3, first 2 shown]
	s_xor_b64 s[0:1], s[18:19], s[6:7]
	s_waitcnt vmcnt(0)
	v_cmp_ne_u16_e64 s[12:13], 0, v22
	s_xor_b64 s[20:21], vcc, s[14:15]
	s_xor_b64 s[10:11], s[10:11], s[14:15]
	v_cndmask_b32_e64 v7, 0, 1, s[0:1]
	s_xor_b64 s[0:1], s[18:19], s[8:9]
	s_xor_b64 s[12:13], s[12:13], s[14:15]
	;; [unrolled: 1-line block ×3, first 2 shown]
	v_cndmask_b32_e64 v8, 0, 1, s[0:1]
	s_xor_b64 s[0:1], s[18:19], s[10:11]
	v_cndmask_b32_e64 v1, 0, 1, s[14:15]
	v_cndmask_b32_e64 v10, 0, 1, s[0:1]
	s_xor_b64 s[0:1], s[18:19], s[12:13]
	v_cndmask_b32_e64 v11, 0, 1, s[0:1]
	global_store_byte v0, v1, s[16:17]
	global_store_byte v3, v2, s[16:17]
	;; [unrolled: 1-line block ×8, first 2 shown]
	s_endpgm
.LBB221_129:
	v_mov_b32_e32 v0, 0
	v_mov_b32_e32 v2, 0
	s_branch .LBB221_135
.LBB221_130:
	v_mov_b32_e32 v0, 0
	v_mov_b32_e32 v2, 0
	s_branch .LBB221_151
.LBB221_131:
	s_mov_b32 s59, 0
	v_mov_b32_e32 v0, 0
	v_mov_b32_e32 v2, 0
	;; [unrolled: 1-line block ×3, first 2 shown]
.LBB221_132:
	s_and_b32 s4, s60, 3
	s_cmp_eq_u32 s4, 0
	s_cbranch_scc1 .LBB221_135
; %bb.133:
	s_lshl_b32 s0, s59, 3
	s_add_u32 s0, s34, s0
	s_addc_u32 s1, s35, 0
	s_add_u32 s0, s0, 0xc4
	s_addc_u32 s1, s1, 0
	s_mul_i32 s2, s59, 12
	s_add_u32 s2, s34, s2
	s_addc_u32 s3, s35, 0
.LBB221_134:                            ; =>This Inner Loop Header: Depth=1
	s_load_dwordx2 s[6:7], s[2:3], 0x4
	s_load_dword s5, s[2:3], 0xc
	s_load_dwordx2 s[8:9], s[0:1], 0x0
	s_add_u32 s2, s2, 12
	s_addc_u32 s3, s3, 0
	s_waitcnt lgkmcnt(0)
	v_mul_hi_u32 v3, s7, v1
	s_add_u32 s0, s0, 8
	s_addc_u32 s1, s1, 0
	s_add_i32 s4, s4, -1
	v_add_u32_e32 v3, v1, v3
	v_lshrrev_b32_e32 v4, s5, v3
	v_mul_lo_u32 v3, v4, s6
	s_cmp_lg_u32 s4, 0
	v_sub_u32_e32 v3, v1, v3
	v_mad_u64_u32 v[0:1], s[6:7], v3, s8, v[0:1]
	v_mad_u64_u32 v[2:3], s[6:7], v3, s9, v[2:3]
	v_mov_b32_e32 v1, v4
	s_cbranch_scc1 .LBB221_134
.LBB221_135:
	s_cbranch_execnz .LBB221_138
.LBB221_136:
	v_mul_hi_u32 v0, s21, v19
	s_andn2_b64 vcc, exec, s[44:45]
	v_add_u32_e32 v0, v19, v0
	v_lshrrev_b32_e32 v1, s22, v0
	v_mul_lo_u32 v0, v1, s20
	v_sub_u32_e32 v2, v19, v0
	v_mul_lo_u32 v0, v2, s24
	v_mul_lo_u32 v2, v2, s25
	s_cbranch_vccnz .LBB221_138
; %bb.137:
	v_mul_hi_u32 v3, s42, v1
	v_add_u32_e32 v3, v1, v3
	v_lshrrev_b32_e32 v3, s43, v3
	v_mul_lo_u32 v3, v3, s23
	v_sub_u32_e32 v3, v1, v3
	v_mad_u64_u32 v[0:1], s[0:1], v3, s26, v[0:1]
	v_mad_u64_u32 v[2:3], s[0:1], v3, s27, v[2:3]
.LBB221_138:
	global_load_ubyte v1, v2, s[18:19]
	v_add_u32_e32 v19, 0x80, v19
	s_waitcnt vmcnt(0)
	v_cmp_ne_u16_e32 vcc, 0, v1
	s_xor_b64 s[0:1], vcc, s[40:41]
	v_cndmask_b32_e64 v1, 0, 1, s[0:1]
	global_store_byte v0, v1, s[16:17]
	s_or_b64 exec, exec, s[50:51]
	v_cmp_gt_i32_e32 vcc, s57, v19
	s_and_saveexec_b64 s[50:51], vcc
	s_cbranch_execnz .LBB221_15
.LBB221_139:
	s_or_b64 exec, exec, s[50:51]
	v_cmp_gt_i32_e32 vcc, s57, v19
	s_and_saveexec_b64 s[50:51], vcc
	s_cbranch_execz .LBB221_155
.LBB221_140:
	s_andn2_b64 vcc, exec, s[36:37]
	s_cbranch_vccnz .LBB221_145
; %bb.141:
	s_andn2_b64 vcc, exec, s[48:49]
	s_cbranch_vccnz .LBB221_146
; %bb.142:
	s_add_i32 s60, s58, 1
	s_cmp_eq_u32 s56, 2
	s_cbranch_scc1 .LBB221_163
; %bb.143:
	s_and_b32 s59, s60, 28
	v_mov_b32_e32 v2, 0
	s_mov_b32 s61, 0
	s_mov_b64 s[52:53], s[34:35]
	s_mov_b64 s[54:55], s[46:47]
	v_mov_b32_e32 v0, 0
	v_mov_b32_e32 v1, v19
.LBB221_144:                            ; =>This Inner Loop Header: Depth=1
	s_load_dwordx8 s[8:15], s[52:53], 0x4
	s_load_dwordx4 s[28:31], s[52:53], 0x24
	s_load_dwordx8 s[0:7], s[54:55], 0x0
	s_add_u32 s52, s52, 48
	s_addc_u32 s53, s53, 0
	s_waitcnt lgkmcnt(0)
	v_mul_hi_u32 v3, s9, v1
	s_add_i32 s61, s61, 4
	s_add_u32 s54, s54, 32
	s_addc_u32 s55, s55, 0
	v_add_u32_e32 v3, v1, v3
	v_lshrrev_b32_e32 v3, s10, v3
	v_mul_lo_u32 v4, v3, s8
	v_mul_hi_u32 v5, s12, v3
	s_cmp_eq_u32 s59, s61
	v_sub_u32_e32 v1, v1, v4
	v_add_u32_e32 v4, v3, v5
	v_mul_lo_u32 v5, v1, s0
	v_mul_lo_u32 v6, v1, s1
	v_lshrrev_b32_e32 v1, s13, v4
	v_mul_lo_u32 v4, v1, s11
	v_mul_hi_u32 v7, s15, v1
	v_sub_u32_e32 v3, v3, v4
	v_add_u32_e32 v4, v1, v7
	v_lshrrev_b32_e32 v4, s28, v4
	v_mul_hi_u32 v8, s30, v4
	v_mul_lo_u32 v9, v4, s14
	v_mul_lo_u32 v7, v3, s2
	;; [unrolled: 1-line block ×3, first 2 shown]
	v_sub_u32_e32 v9, v1, v9
	v_add_u32_e32 v1, v4, v8
	v_lshrrev_b32_e32 v1, s31, v1
	v_mul_lo_u32 v8, v1, s29
	v_mul_lo_u32 v10, v9, s4
	;; [unrolled: 1-line block ×3, first 2 shown]
	v_add3_u32 v0, v5, v0, v7
	v_sub_u32_e32 v4, v4, v8
	v_mul_lo_u32 v8, v4, s6
	v_mul_lo_u32 v4, v4, s7
	v_add3_u32 v2, v6, v2, v3
	v_add3_u32 v0, v10, v0, v8
	;; [unrolled: 1-line block ×3, first 2 shown]
	s_cbranch_scc0 .LBB221_144
	s_branch .LBB221_164
.LBB221_145:
                                        ; implicit-def: $vgpr0
                                        ; implicit-def: $vgpr2
	s_branch .LBB221_168
.LBB221_146:
	v_mov_b32_e32 v0, 0
	v_mov_b32_e32 v2, 0
	s_branch .LBB221_167
.LBB221_147:
	s_mov_b32 s59, 0
	v_mov_b32_e32 v0, 0
	v_mov_b32_e32 v2, 0
	;; [unrolled: 1-line block ×3, first 2 shown]
.LBB221_148:
	s_and_b32 s4, s60, 3
	s_cmp_eq_u32 s4, 0
	s_cbranch_scc1 .LBB221_151
; %bb.149:
	s_lshl_b32 s0, s59, 3
	s_add_u32 s0, s34, s0
	s_addc_u32 s1, s35, 0
	s_add_u32 s0, s0, 0xc4
	s_addc_u32 s1, s1, 0
	s_mul_i32 s2, s59, 12
	s_add_u32 s2, s34, s2
	s_addc_u32 s3, s35, 0
.LBB221_150:                            ; =>This Inner Loop Header: Depth=1
	s_load_dwordx2 s[6:7], s[2:3], 0x4
	s_load_dword s5, s[2:3], 0xc
	s_load_dwordx2 s[8:9], s[0:1], 0x0
	s_add_u32 s2, s2, 12
	s_addc_u32 s3, s3, 0
	s_waitcnt lgkmcnt(0)
	v_mul_hi_u32 v3, s7, v1
	s_add_u32 s0, s0, 8
	s_addc_u32 s1, s1, 0
	s_add_i32 s4, s4, -1
	v_add_u32_e32 v3, v1, v3
	v_lshrrev_b32_e32 v4, s5, v3
	v_mul_lo_u32 v3, v4, s6
	s_cmp_lg_u32 s4, 0
	v_sub_u32_e32 v3, v1, v3
	v_mad_u64_u32 v[0:1], s[6:7], v3, s8, v[0:1]
	v_mad_u64_u32 v[2:3], s[6:7], v3, s9, v[2:3]
	v_mov_b32_e32 v1, v4
	s_cbranch_scc1 .LBB221_150
.LBB221_151:
	s_cbranch_execnz .LBB221_154
.LBB221_152:
	v_mul_hi_u32 v0, s21, v19
	s_andn2_b64 vcc, exec, s[44:45]
	v_add_u32_e32 v0, v19, v0
	v_lshrrev_b32_e32 v1, s22, v0
	v_mul_lo_u32 v0, v1, s20
	v_sub_u32_e32 v2, v19, v0
	v_mul_lo_u32 v0, v2, s24
	v_mul_lo_u32 v2, v2, s25
	s_cbranch_vccnz .LBB221_154
; %bb.153:
	v_mul_hi_u32 v3, s42, v1
	v_add_u32_e32 v3, v1, v3
	v_lshrrev_b32_e32 v3, s43, v3
	v_mul_lo_u32 v3, v3, s23
	v_sub_u32_e32 v3, v1, v3
	v_mad_u64_u32 v[0:1], s[0:1], v3, s26, v[0:1]
	v_mad_u64_u32 v[2:3], s[0:1], v3, s27, v[2:3]
.LBB221_154:
	global_load_ubyte v1, v2, s[18:19]
	v_add_u32_e32 v19, 0x80, v19
	s_waitcnt vmcnt(0)
	v_cmp_ne_u16_e32 vcc, 0, v1
	s_xor_b64 s[0:1], vcc, s[40:41]
	v_cndmask_b32_e64 v1, 0, 1, s[0:1]
	global_store_byte v0, v1, s[16:17]
	s_or_b64 exec, exec, s[50:51]
	v_cmp_gt_i32_e32 vcc, s57, v19
	s_and_saveexec_b64 s[50:51], vcc
	s_cbranch_execnz .LBB221_140
.LBB221_155:
	s_or_b64 exec, exec, s[50:51]
	v_cmp_gt_i32_e32 vcc, s57, v19
	s_and_saveexec_b64 s[50:51], vcc
	s_cbranch_execz .LBB221_171
.LBB221_156:
	s_andn2_b64 vcc, exec, s[36:37]
	s_cbranch_vccnz .LBB221_161
; %bb.157:
	s_andn2_b64 vcc, exec, s[48:49]
	s_cbranch_vccnz .LBB221_162
; %bb.158:
	s_add_i32 s60, s58, 1
	s_cmp_eq_u32 s56, 2
	s_cbranch_scc1 .LBB221_179
; %bb.159:
	s_and_b32 s59, s60, 28
	v_mov_b32_e32 v2, 0
	s_mov_b32 s61, 0
	s_mov_b64 s[52:53], s[34:35]
	s_mov_b64 s[54:55], s[46:47]
	v_mov_b32_e32 v0, 0
	v_mov_b32_e32 v1, v19
.LBB221_160:                            ; =>This Inner Loop Header: Depth=1
	s_load_dwordx8 s[8:15], s[52:53], 0x4
	s_load_dwordx4 s[28:31], s[52:53], 0x24
	s_load_dwordx8 s[0:7], s[54:55], 0x0
	s_add_u32 s52, s52, 48
	s_addc_u32 s53, s53, 0
	s_waitcnt lgkmcnt(0)
	v_mul_hi_u32 v3, s9, v1
	s_add_i32 s61, s61, 4
	s_add_u32 s54, s54, 32
	s_addc_u32 s55, s55, 0
	v_add_u32_e32 v3, v1, v3
	v_lshrrev_b32_e32 v3, s10, v3
	v_mul_lo_u32 v4, v3, s8
	v_mul_hi_u32 v5, s12, v3
	s_cmp_eq_u32 s59, s61
	v_sub_u32_e32 v1, v1, v4
	v_add_u32_e32 v4, v3, v5
	v_mul_lo_u32 v5, v1, s0
	v_mul_lo_u32 v6, v1, s1
	v_lshrrev_b32_e32 v1, s13, v4
	v_mul_lo_u32 v4, v1, s11
	v_mul_hi_u32 v7, s15, v1
	v_sub_u32_e32 v3, v3, v4
	v_add_u32_e32 v4, v1, v7
	v_lshrrev_b32_e32 v4, s28, v4
	v_mul_hi_u32 v8, s30, v4
	v_mul_lo_u32 v9, v4, s14
	v_mul_lo_u32 v7, v3, s2
	v_mul_lo_u32 v3, v3, s3
	v_sub_u32_e32 v9, v1, v9
	v_add_u32_e32 v1, v4, v8
	v_lshrrev_b32_e32 v1, s31, v1
	v_mul_lo_u32 v8, v1, s29
	v_mul_lo_u32 v10, v9, s4
	;; [unrolled: 1-line block ×3, first 2 shown]
	v_add3_u32 v0, v5, v0, v7
	v_sub_u32_e32 v4, v4, v8
	v_mul_lo_u32 v8, v4, s6
	v_mul_lo_u32 v4, v4, s7
	v_add3_u32 v2, v6, v2, v3
	v_add3_u32 v0, v10, v0, v8
	;; [unrolled: 1-line block ×3, first 2 shown]
	s_cbranch_scc0 .LBB221_160
	s_branch .LBB221_180
.LBB221_161:
                                        ; implicit-def: $vgpr0
                                        ; implicit-def: $vgpr2
	s_branch .LBB221_184
.LBB221_162:
	v_mov_b32_e32 v0, 0
	v_mov_b32_e32 v2, 0
	s_branch .LBB221_183
.LBB221_163:
	s_mov_b32 s59, 0
	v_mov_b32_e32 v0, 0
	v_mov_b32_e32 v2, 0
	;; [unrolled: 1-line block ×3, first 2 shown]
.LBB221_164:
	s_and_b32 s4, s60, 3
	s_cmp_eq_u32 s4, 0
	s_cbranch_scc1 .LBB221_167
; %bb.165:
	s_lshl_b32 s0, s59, 3
	s_add_u32 s0, s34, s0
	s_addc_u32 s1, s35, 0
	s_add_u32 s0, s0, 0xc4
	s_addc_u32 s1, s1, 0
	s_mul_i32 s2, s59, 12
	s_add_u32 s2, s34, s2
	s_addc_u32 s3, s35, 0
.LBB221_166:                            ; =>This Inner Loop Header: Depth=1
	s_load_dwordx2 s[6:7], s[2:3], 0x4
	s_load_dword s5, s[2:3], 0xc
	s_load_dwordx2 s[8:9], s[0:1], 0x0
	s_add_u32 s2, s2, 12
	s_addc_u32 s3, s3, 0
	s_waitcnt lgkmcnt(0)
	v_mul_hi_u32 v3, s7, v1
	s_add_u32 s0, s0, 8
	s_addc_u32 s1, s1, 0
	s_add_i32 s4, s4, -1
	v_add_u32_e32 v3, v1, v3
	v_lshrrev_b32_e32 v4, s5, v3
	v_mul_lo_u32 v3, v4, s6
	s_cmp_lg_u32 s4, 0
	v_sub_u32_e32 v3, v1, v3
	v_mad_u64_u32 v[0:1], s[6:7], v3, s8, v[0:1]
	v_mad_u64_u32 v[2:3], s[6:7], v3, s9, v[2:3]
	v_mov_b32_e32 v1, v4
	s_cbranch_scc1 .LBB221_166
.LBB221_167:
	s_cbranch_execnz .LBB221_170
.LBB221_168:
	v_mul_hi_u32 v0, s21, v19
	s_andn2_b64 vcc, exec, s[44:45]
	v_add_u32_e32 v0, v19, v0
	v_lshrrev_b32_e32 v1, s22, v0
	v_mul_lo_u32 v0, v1, s20
	v_sub_u32_e32 v2, v19, v0
	v_mul_lo_u32 v0, v2, s24
	v_mul_lo_u32 v2, v2, s25
	s_cbranch_vccnz .LBB221_170
; %bb.169:
	v_mul_hi_u32 v3, s42, v1
	v_add_u32_e32 v3, v1, v3
	v_lshrrev_b32_e32 v3, s43, v3
	v_mul_lo_u32 v3, v3, s23
	v_sub_u32_e32 v3, v1, v3
	v_mad_u64_u32 v[0:1], s[0:1], v3, s26, v[0:1]
	v_mad_u64_u32 v[2:3], s[0:1], v3, s27, v[2:3]
.LBB221_170:
	global_load_ubyte v1, v2, s[18:19]
	v_add_u32_e32 v19, 0x80, v19
	s_waitcnt vmcnt(0)
	v_cmp_ne_u16_e32 vcc, 0, v1
	s_xor_b64 s[0:1], vcc, s[40:41]
	v_cndmask_b32_e64 v1, 0, 1, s[0:1]
	global_store_byte v0, v1, s[16:17]
	s_or_b64 exec, exec, s[50:51]
	v_cmp_gt_i32_e32 vcc, s57, v19
	s_and_saveexec_b64 s[50:51], vcc
	s_cbranch_execnz .LBB221_156
.LBB221_171:
	s_or_b64 exec, exec, s[50:51]
	v_cmp_gt_i32_e32 vcc, s57, v19
	s_and_saveexec_b64 s[50:51], vcc
	s_cbranch_execz .LBB221_187
.LBB221_172:
	s_andn2_b64 vcc, exec, s[36:37]
	s_cbranch_vccnz .LBB221_177
; %bb.173:
	s_andn2_b64 vcc, exec, s[48:49]
	s_cbranch_vccnz .LBB221_178
; %bb.174:
	s_add_i32 s60, s58, 1
	s_cmp_eq_u32 s56, 2
	s_cbranch_scc1 .LBB221_195
; %bb.175:
	s_and_b32 s59, s60, 28
	v_mov_b32_e32 v2, 0
	s_mov_b32 s61, 0
	s_mov_b64 s[52:53], s[34:35]
	s_mov_b64 s[54:55], s[46:47]
	v_mov_b32_e32 v0, 0
	v_mov_b32_e32 v1, v19
.LBB221_176:                            ; =>This Inner Loop Header: Depth=1
	s_load_dwordx8 s[8:15], s[52:53], 0x4
	s_load_dwordx4 s[28:31], s[52:53], 0x24
	s_load_dwordx8 s[0:7], s[54:55], 0x0
	s_add_u32 s52, s52, 48
	s_addc_u32 s53, s53, 0
	s_waitcnt lgkmcnt(0)
	v_mul_hi_u32 v3, s9, v1
	s_add_i32 s61, s61, 4
	s_add_u32 s54, s54, 32
	s_addc_u32 s55, s55, 0
	v_add_u32_e32 v3, v1, v3
	v_lshrrev_b32_e32 v3, s10, v3
	v_mul_lo_u32 v4, v3, s8
	v_mul_hi_u32 v5, s12, v3
	s_cmp_eq_u32 s59, s61
	v_sub_u32_e32 v1, v1, v4
	v_add_u32_e32 v4, v3, v5
	v_mul_lo_u32 v5, v1, s0
	v_mul_lo_u32 v6, v1, s1
	v_lshrrev_b32_e32 v1, s13, v4
	v_mul_lo_u32 v4, v1, s11
	v_mul_hi_u32 v7, s15, v1
	v_sub_u32_e32 v3, v3, v4
	v_add_u32_e32 v4, v1, v7
	v_lshrrev_b32_e32 v4, s28, v4
	v_mul_hi_u32 v8, s30, v4
	v_mul_lo_u32 v9, v4, s14
	v_mul_lo_u32 v7, v3, s2
	;; [unrolled: 1-line block ×3, first 2 shown]
	v_sub_u32_e32 v9, v1, v9
	v_add_u32_e32 v1, v4, v8
	v_lshrrev_b32_e32 v1, s31, v1
	v_mul_lo_u32 v8, v1, s29
	v_mul_lo_u32 v10, v9, s4
	;; [unrolled: 1-line block ×3, first 2 shown]
	v_add3_u32 v0, v5, v0, v7
	v_sub_u32_e32 v4, v4, v8
	v_mul_lo_u32 v8, v4, s6
	v_mul_lo_u32 v4, v4, s7
	v_add3_u32 v2, v6, v2, v3
	v_add3_u32 v0, v10, v0, v8
	;; [unrolled: 1-line block ×3, first 2 shown]
	s_cbranch_scc0 .LBB221_176
	s_branch .LBB221_196
.LBB221_177:
                                        ; implicit-def: $vgpr0
                                        ; implicit-def: $vgpr2
	s_branch .LBB221_200
.LBB221_178:
	v_mov_b32_e32 v0, 0
	v_mov_b32_e32 v2, 0
	s_branch .LBB221_199
.LBB221_179:
	s_mov_b32 s59, 0
	v_mov_b32_e32 v0, 0
	v_mov_b32_e32 v2, 0
	;; [unrolled: 1-line block ×3, first 2 shown]
.LBB221_180:
	s_and_b32 s4, s60, 3
	s_cmp_eq_u32 s4, 0
	s_cbranch_scc1 .LBB221_183
; %bb.181:
	s_lshl_b32 s0, s59, 3
	s_add_u32 s0, s34, s0
	s_addc_u32 s1, s35, 0
	s_add_u32 s0, s0, 0xc4
	s_addc_u32 s1, s1, 0
	s_mul_i32 s2, s59, 12
	s_add_u32 s2, s34, s2
	s_addc_u32 s3, s35, 0
.LBB221_182:                            ; =>This Inner Loop Header: Depth=1
	s_load_dwordx2 s[6:7], s[2:3], 0x4
	s_load_dword s5, s[2:3], 0xc
	s_load_dwordx2 s[8:9], s[0:1], 0x0
	s_add_u32 s2, s2, 12
	s_addc_u32 s3, s3, 0
	s_waitcnt lgkmcnt(0)
	v_mul_hi_u32 v3, s7, v1
	s_add_u32 s0, s0, 8
	s_addc_u32 s1, s1, 0
	s_add_i32 s4, s4, -1
	v_add_u32_e32 v3, v1, v3
	v_lshrrev_b32_e32 v4, s5, v3
	v_mul_lo_u32 v3, v4, s6
	s_cmp_lg_u32 s4, 0
	v_sub_u32_e32 v3, v1, v3
	v_mad_u64_u32 v[0:1], s[6:7], v3, s8, v[0:1]
	v_mad_u64_u32 v[2:3], s[6:7], v3, s9, v[2:3]
	v_mov_b32_e32 v1, v4
	s_cbranch_scc1 .LBB221_182
.LBB221_183:
	s_cbranch_execnz .LBB221_186
.LBB221_184:
	v_mul_hi_u32 v0, s21, v19
	s_andn2_b64 vcc, exec, s[44:45]
	v_add_u32_e32 v0, v19, v0
	v_lshrrev_b32_e32 v1, s22, v0
	v_mul_lo_u32 v0, v1, s20
	v_sub_u32_e32 v2, v19, v0
	v_mul_lo_u32 v0, v2, s24
	v_mul_lo_u32 v2, v2, s25
	s_cbranch_vccnz .LBB221_186
; %bb.185:
	v_mul_hi_u32 v3, s42, v1
	v_add_u32_e32 v3, v1, v3
	v_lshrrev_b32_e32 v3, s43, v3
	v_mul_lo_u32 v3, v3, s23
	v_sub_u32_e32 v3, v1, v3
	v_mad_u64_u32 v[0:1], s[0:1], v3, s26, v[0:1]
	v_mad_u64_u32 v[2:3], s[0:1], v3, s27, v[2:3]
.LBB221_186:
	global_load_ubyte v1, v2, s[18:19]
	v_add_u32_e32 v19, 0x80, v19
	s_waitcnt vmcnt(0)
	v_cmp_ne_u16_e32 vcc, 0, v1
	s_xor_b64 s[0:1], vcc, s[40:41]
	v_cndmask_b32_e64 v1, 0, 1, s[0:1]
	global_store_byte v0, v1, s[16:17]
	s_or_b64 exec, exec, s[50:51]
	v_cmp_gt_i32_e32 vcc, s57, v19
	s_and_saveexec_b64 s[50:51], vcc
	s_cbranch_execnz .LBB221_172
.LBB221_187:
	s_or_b64 exec, exec, s[50:51]
	v_cmp_gt_i32_e32 vcc, s57, v19
	s_and_saveexec_b64 s[50:51], vcc
	s_cbranch_execz .LBB221_203
.LBB221_188:
	s_andn2_b64 vcc, exec, s[36:37]
	s_cbranch_vccnz .LBB221_193
; %bb.189:
	s_andn2_b64 vcc, exec, s[48:49]
	s_cbranch_vccnz .LBB221_194
; %bb.190:
	s_add_i32 s60, s58, 1
	s_cmp_eq_u32 s56, 2
	s_cbranch_scc1 .LBB221_211
; %bb.191:
	s_and_b32 s59, s60, 28
	v_mov_b32_e32 v2, 0
	s_mov_b32 s61, 0
	s_mov_b64 s[52:53], s[34:35]
	s_mov_b64 s[54:55], s[46:47]
	v_mov_b32_e32 v0, 0
	v_mov_b32_e32 v1, v19
.LBB221_192:                            ; =>This Inner Loop Header: Depth=1
	s_load_dwordx8 s[8:15], s[52:53], 0x4
	s_load_dwordx4 s[28:31], s[52:53], 0x24
	s_load_dwordx8 s[0:7], s[54:55], 0x0
	s_add_u32 s52, s52, 48
	s_addc_u32 s53, s53, 0
	s_waitcnt lgkmcnt(0)
	v_mul_hi_u32 v3, s9, v1
	s_add_i32 s61, s61, 4
	s_add_u32 s54, s54, 32
	s_addc_u32 s55, s55, 0
	v_add_u32_e32 v3, v1, v3
	v_lshrrev_b32_e32 v3, s10, v3
	v_mul_lo_u32 v4, v3, s8
	v_mul_hi_u32 v5, s12, v3
	s_cmp_eq_u32 s59, s61
	v_sub_u32_e32 v1, v1, v4
	v_add_u32_e32 v4, v3, v5
	v_mul_lo_u32 v5, v1, s0
	v_mul_lo_u32 v6, v1, s1
	v_lshrrev_b32_e32 v1, s13, v4
	v_mul_lo_u32 v4, v1, s11
	v_mul_hi_u32 v7, s15, v1
	v_sub_u32_e32 v3, v3, v4
	v_add_u32_e32 v4, v1, v7
	v_lshrrev_b32_e32 v4, s28, v4
	v_mul_hi_u32 v8, s30, v4
	v_mul_lo_u32 v9, v4, s14
	v_mul_lo_u32 v7, v3, s2
	;; [unrolled: 1-line block ×3, first 2 shown]
	v_sub_u32_e32 v9, v1, v9
	v_add_u32_e32 v1, v4, v8
	v_lshrrev_b32_e32 v1, s31, v1
	v_mul_lo_u32 v8, v1, s29
	v_mul_lo_u32 v10, v9, s4
	;; [unrolled: 1-line block ×3, first 2 shown]
	v_add3_u32 v0, v5, v0, v7
	v_sub_u32_e32 v4, v4, v8
	v_mul_lo_u32 v8, v4, s6
	v_mul_lo_u32 v4, v4, s7
	v_add3_u32 v2, v6, v2, v3
	v_add3_u32 v0, v10, v0, v8
	;; [unrolled: 1-line block ×3, first 2 shown]
	s_cbranch_scc0 .LBB221_192
	s_branch .LBB221_212
.LBB221_193:
                                        ; implicit-def: $vgpr0
                                        ; implicit-def: $vgpr2
	s_branch .LBB221_216
.LBB221_194:
	v_mov_b32_e32 v0, 0
	v_mov_b32_e32 v2, 0
	s_branch .LBB221_215
.LBB221_195:
	s_mov_b32 s59, 0
	v_mov_b32_e32 v0, 0
	v_mov_b32_e32 v2, 0
	;; [unrolled: 1-line block ×3, first 2 shown]
.LBB221_196:
	s_and_b32 s4, s60, 3
	s_cmp_eq_u32 s4, 0
	s_cbranch_scc1 .LBB221_199
; %bb.197:
	s_lshl_b32 s0, s59, 3
	s_add_u32 s0, s34, s0
	s_addc_u32 s1, s35, 0
	s_add_u32 s0, s0, 0xc4
	s_addc_u32 s1, s1, 0
	s_mul_i32 s2, s59, 12
	s_add_u32 s2, s34, s2
	s_addc_u32 s3, s35, 0
.LBB221_198:                            ; =>This Inner Loop Header: Depth=1
	s_load_dwordx2 s[6:7], s[2:3], 0x4
	s_load_dword s5, s[2:3], 0xc
	s_load_dwordx2 s[8:9], s[0:1], 0x0
	s_add_u32 s2, s2, 12
	s_addc_u32 s3, s3, 0
	s_waitcnt lgkmcnt(0)
	v_mul_hi_u32 v3, s7, v1
	s_add_u32 s0, s0, 8
	s_addc_u32 s1, s1, 0
	s_add_i32 s4, s4, -1
	v_add_u32_e32 v3, v1, v3
	v_lshrrev_b32_e32 v4, s5, v3
	v_mul_lo_u32 v3, v4, s6
	s_cmp_lg_u32 s4, 0
	v_sub_u32_e32 v3, v1, v3
	v_mad_u64_u32 v[0:1], s[6:7], v3, s8, v[0:1]
	v_mad_u64_u32 v[2:3], s[6:7], v3, s9, v[2:3]
	v_mov_b32_e32 v1, v4
	s_cbranch_scc1 .LBB221_198
.LBB221_199:
	s_cbranch_execnz .LBB221_202
.LBB221_200:
	v_mul_hi_u32 v0, s21, v19
	s_andn2_b64 vcc, exec, s[44:45]
	v_add_u32_e32 v0, v19, v0
	v_lshrrev_b32_e32 v1, s22, v0
	v_mul_lo_u32 v0, v1, s20
	v_sub_u32_e32 v2, v19, v0
	v_mul_lo_u32 v0, v2, s24
	v_mul_lo_u32 v2, v2, s25
	s_cbranch_vccnz .LBB221_202
; %bb.201:
	v_mul_hi_u32 v3, s42, v1
	v_add_u32_e32 v3, v1, v3
	v_lshrrev_b32_e32 v3, s43, v3
	v_mul_lo_u32 v3, v3, s23
	v_sub_u32_e32 v3, v1, v3
	v_mad_u64_u32 v[0:1], s[0:1], v3, s26, v[0:1]
	v_mad_u64_u32 v[2:3], s[0:1], v3, s27, v[2:3]
.LBB221_202:
	global_load_ubyte v1, v2, s[18:19]
	v_add_u32_e32 v19, 0x80, v19
	s_waitcnt vmcnt(0)
	v_cmp_ne_u16_e32 vcc, 0, v1
	s_xor_b64 s[0:1], vcc, s[40:41]
	v_cndmask_b32_e64 v1, 0, 1, s[0:1]
	global_store_byte v0, v1, s[16:17]
	s_or_b64 exec, exec, s[50:51]
	v_cmp_gt_i32_e32 vcc, s57, v19
	s_and_saveexec_b64 s[50:51], vcc
	s_cbranch_execnz .LBB221_188
.LBB221_203:
	s_or_b64 exec, exec, s[50:51]
	v_cmp_gt_i32_e32 vcc, s57, v19
	s_and_saveexec_b64 s[50:51], vcc
	s_cbranch_execz .LBB221_219
.LBB221_204:
	s_andn2_b64 vcc, exec, s[36:37]
	s_cbranch_vccnz .LBB221_209
; %bb.205:
	s_andn2_b64 vcc, exec, s[48:49]
	s_cbranch_vccnz .LBB221_210
; %bb.206:
	s_add_i32 s60, s58, 1
	s_cmp_eq_u32 s56, 2
	s_cbranch_scc1 .LBB221_222
; %bb.207:
	s_and_b32 s59, s60, 28
	v_mov_b32_e32 v2, 0
	s_mov_b32 s61, 0
	s_mov_b64 s[52:53], s[34:35]
	s_mov_b64 s[54:55], s[46:47]
	v_mov_b32_e32 v0, 0
	v_mov_b32_e32 v1, v19
.LBB221_208:                            ; =>This Inner Loop Header: Depth=1
	s_load_dwordx8 s[8:15], s[52:53], 0x4
	s_load_dwordx4 s[28:31], s[52:53], 0x24
	s_load_dwordx8 s[0:7], s[54:55], 0x0
	s_add_u32 s52, s52, 48
	s_addc_u32 s53, s53, 0
	s_waitcnt lgkmcnt(0)
	v_mul_hi_u32 v3, s9, v1
	s_add_i32 s61, s61, 4
	s_add_u32 s54, s54, 32
	s_addc_u32 s55, s55, 0
	v_add_u32_e32 v3, v1, v3
	v_lshrrev_b32_e32 v3, s10, v3
	v_mul_lo_u32 v4, v3, s8
	v_mul_hi_u32 v5, s12, v3
	s_cmp_eq_u32 s59, s61
	v_sub_u32_e32 v1, v1, v4
	v_add_u32_e32 v4, v3, v5
	v_mul_lo_u32 v5, v1, s0
	v_mul_lo_u32 v6, v1, s1
	v_lshrrev_b32_e32 v1, s13, v4
	v_mul_lo_u32 v4, v1, s11
	v_mul_hi_u32 v7, s15, v1
	v_sub_u32_e32 v3, v3, v4
	v_add_u32_e32 v4, v1, v7
	v_lshrrev_b32_e32 v4, s28, v4
	v_mul_hi_u32 v8, s30, v4
	v_mul_lo_u32 v9, v4, s14
	v_mul_lo_u32 v7, v3, s2
	;; [unrolled: 1-line block ×3, first 2 shown]
	v_sub_u32_e32 v9, v1, v9
	v_add_u32_e32 v1, v4, v8
	v_lshrrev_b32_e32 v1, s31, v1
	v_mul_lo_u32 v8, v1, s29
	v_mul_lo_u32 v10, v9, s4
	;; [unrolled: 1-line block ×3, first 2 shown]
	v_add3_u32 v0, v5, v0, v7
	v_sub_u32_e32 v4, v4, v8
	v_mul_lo_u32 v8, v4, s6
	v_mul_lo_u32 v4, v4, s7
	v_add3_u32 v2, v6, v2, v3
	v_add3_u32 v0, v10, v0, v8
	;; [unrolled: 1-line block ×3, first 2 shown]
	s_cbranch_scc0 .LBB221_208
	s_branch .LBB221_223
.LBB221_209:
                                        ; implicit-def: $vgpr0
                                        ; implicit-def: $vgpr2
	s_branch .LBB221_227
.LBB221_210:
	v_mov_b32_e32 v0, 0
	v_mov_b32_e32 v2, 0
	s_branch .LBB221_226
.LBB221_211:
	s_mov_b32 s59, 0
	v_mov_b32_e32 v0, 0
	v_mov_b32_e32 v2, 0
	;; [unrolled: 1-line block ×3, first 2 shown]
.LBB221_212:
	s_and_b32 s4, s60, 3
	s_cmp_eq_u32 s4, 0
	s_cbranch_scc1 .LBB221_215
; %bb.213:
	s_lshl_b32 s0, s59, 3
	s_add_u32 s0, s34, s0
	s_addc_u32 s1, s35, 0
	s_add_u32 s0, s0, 0xc4
	s_addc_u32 s1, s1, 0
	s_mul_i32 s2, s59, 12
	s_add_u32 s2, s34, s2
	s_addc_u32 s3, s35, 0
.LBB221_214:                            ; =>This Inner Loop Header: Depth=1
	s_load_dwordx2 s[6:7], s[2:3], 0x4
	s_load_dword s5, s[2:3], 0xc
	s_load_dwordx2 s[8:9], s[0:1], 0x0
	s_add_u32 s2, s2, 12
	s_addc_u32 s3, s3, 0
	s_waitcnt lgkmcnt(0)
	v_mul_hi_u32 v3, s7, v1
	s_add_u32 s0, s0, 8
	s_addc_u32 s1, s1, 0
	s_add_i32 s4, s4, -1
	v_add_u32_e32 v3, v1, v3
	v_lshrrev_b32_e32 v4, s5, v3
	v_mul_lo_u32 v3, v4, s6
	s_cmp_lg_u32 s4, 0
	v_sub_u32_e32 v3, v1, v3
	v_mad_u64_u32 v[0:1], s[6:7], v3, s8, v[0:1]
	v_mad_u64_u32 v[2:3], s[6:7], v3, s9, v[2:3]
	v_mov_b32_e32 v1, v4
	s_cbranch_scc1 .LBB221_214
.LBB221_215:
	s_cbranch_execnz .LBB221_218
.LBB221_216:
	v_mul_hi_u32 v0, s21, v19
	s_andn2_b64 vcc, exec, s[44:45]
	v_add_u32_e32 v0, v19, v0
	v_lshrrev_b32_e32 v1, s22, v0
	v_mul_lo_u32 v0, v1, s20
	v_sub_u32_e32 v2, v19, v0
	v_mul_lo_u32 v0, v2, s24
	v_mul_lo_u32 v2, v2, s25
	s_cbranch_vccnz .LBB221_218
; %bb.217:
	v_mul_hi_u32 v3, s42, v1
	v_add_u32_e32 v3, v1, v3
	v_lshrrev_b32_e32 v3, s43, v3
	v_mul_lo_u32 v3, v3, s23
	v_sub_u32_e32 v3, v1, v3
	v_mad_u64_u32 v[0:1], s[0:1], v3, s26, v[0:1]
	v_mad_u64_u32 v[2:3], s[0:1], v3, s27, v[2:3]
.LBB221_218:
	global_load_ubyte v1, v2, s[18:19]
	v_add_u32_e32 v19, 0x80, v19
	s_waitcnt vmcnt(0)
	v_cmp_ne_u16_e32 vcc, 0, v1
	s_xor_b64 s[0:1], vcc, s[40:41]
	v_cndmask_b32_e64 v1, 0, 1, s[0:1]
	global_store_byte v0, v1, s[16:17]
	s_or_b64 exec, exec, s[50:51]
	v_cmp_gt_i32_e32 vcc, s57, v19
	s_and_saveexec_b64 s[50:51], vcc
	s_cbranch_execnz .LBB221_204
.LBB221_219:
	s_or_b64 exec, exec, s[50:51]
	v_cmp_gt_i32_e32 vcc, s57, v19
	s_and_saveexec_b64 s[50:51], vcc
	s_cbranch_execnz .LBB221_230
.LBB221_220:
	s_or_b64 exec, exec, s[50:51]
                                        ; implicit-def: $vgpr25
                                        ; implicit-def: $vgpr19
	s_andn2_saveexec_b64 s[0:1], s[38:39]
	s_cbranch_execnz .LBB221_8
.LBB221_221:
	s_endpgm
.LBB221_222:
	s_mov_b32 s59, 0
	v_mov_b32_e32 v0, 0
	v_mov_b32_e32 v2, 0
	;; [unrolled: 1-line block ×3, first 2 shown]
.LBB221_223:
	s_and_b32 s4, s60, 3
	s_cmp_eq_u32 s4, 0
	s_cbranch_scc1 .LBB221_226
; %bb.224:
	s_lshl_b32 s0, s59, 3
	s_add_u32 s0, s34, s0
	s_addc_u32 s1, s35, 0
	s_add_u32 s0, s0, 0xc4
	s_addc_u32 s1, s1, 0
	s_mul_i32 s2, s59, 12
	s_add_u32 s2, s34, s2
	s_addc_u32 s3, s35, 0
.LBB221_225:                            ; =>This Inner Loop Header: Depth=1
	s_load_dwordx2 s[6:7], s[2:3], 0x4
	s_load_dword s5, s[2:3], 0xc
	s_load_dwordx2 s[8:9], s[0:1], 0x0
	s_add_u32 s2, s2, 12
	s_addc_u32 s3, s3, 0
	s_waitcnt lgkmcnt(0)
	v_mul_hi_u32 v3, s7, v1
	s_add_u32 s0, s0, 8
	s_addc_u32 s1, s1, 0
	s_add_i32 s4, s4, -1
	v_add_u32_e32 v3, v1, v3
	v_lshrrev_b32_e32 v4, s5, v3
	v_mul_lo_u32 v3, v4, s6
	s_cmp_lg_u32 s4, 0
	v_sub_u32_e32 v3, v1, v3
	v_mad_u64_u32 v[0:1], s[6:7], v3, s8, v[0:1]
	v_mad_u64_u32 v[2:3], s[6:7], v3, s9, v[2:3]
	v_mov_b32_e32 v1, v4
	s_cbranch_scc1 .LBB221_225
.LBB221_226:
	s_cbranch_execnz .LBB221_229
.LBB221_227:
	v_mul_hi_u32 v0, s21, v19
	s_andn2_b64 vcc, exec, s[44:45]
	v_add_u32_e32 v0, v19, v0
	v_lshrrev_b32_e32 v1, s22, v0
	v_mul_lo_u32 v0, v1, s20
	v_sub_u32_e32 v2, v19, v0
	v_mul_lo_u32 v0, v2, s24
	v_mul_lo_u32 v2, v2, s25
	s_cbranch_vccnz .LBB221_229
; %bb.228:
	v_mul_hi_u32 v3, s42, v1
	v_add_u32_e32 v3, v1, v3
	v_lshrrev_b32_e32 v3, s43, v3
	v_mul_lo_u32 v3, v3, s23
	v_sub_u32_e32 v3, v1, v3
	v_mad_u64_u32 v[0:1], s[0:1], v3, s26, v[0:1]
	v_mad_u64_u32 v[2:3], s[0:1], v3, s27, v[2:3]
.LBB221_229:
	global_load_ubyte v1, v2, s[18:19]
	v_add_u32_e32 v19, 0x80, v19
	s_waitcnt vmcnt(0)
	v_cmp_ne_u16_e32 vcc, 0, v1
	s_xor_b64 s[0:1], vcc, s[40:41]
	v_cndmask_b32_e64 v1, 0, 1, s[0:1]
	global_store_byte v0, v1, s[16:17]
	s_or_b64 exec, exec, s[50:51]
	v_cmp_gt_i32_e32 vcc, s57, v19
	s_and_saveexec_b64 s[50:51], vcc
	s_cbranch_execz .LBB221_220
.LBB221_230:
	s_andn2_b64 vcc, exec, s[36:37]
	s_cbranch_vccnz .LBB221_235
; %bb.231:
	s_andn2_b64 vcc, exec, s[48:49]
	s_cbranch_vccnz .LBB221_236
; %bb.232:
	s_add_i32 s58, s58, 1
	s_cmp_eq_u32 s56, 2
	s_cbranch_scc1 .LBB221_237
; %bb.233:
	s_and_b32 s52, s58, 28
	v_mov_b32_e32 v2, 0
	s_mov_b32 s53, 0
	s_mov_b64 s[48:49], s[34:35]
	v_mov_b32_e32 v0, 0
	v_mov_b32_e32 v1, v19
.LBB221_234:                            ; =>This Inner Loop Header: Depth=1
	s_load_dwordx8 s[8:15], s[48:49], 0x4
	s_load_dwordx4 s[28:31], s[48:49], 0x24
	s_load_dwordx8 s[0:7], s[46:47], 0x0
	s_add_u32 s48, s48, 48
	s_addc_u32 s49, s49, 0
	s_waitcnt lgkmcnt(0)
	v_mul_hi_u32 v3, s9, v1
	s_add_i32 s53, s53, 4
	s_add_u32 s46, s46, 32
	s_addc_u32 s47, s47, 0
	v_add_u32_e32 v3, v1, v3
	v_lshrrev_b32_e32 v3, s10, v3
	v_mul_lo_u32 v4, v3, s8
	v_mul_hi_u32 v5, s12, v3
	s_cmp_eq_u32 s52, s53
	v_sub_u32_e32 v1, v1, v4
	v_add_u32_e32 v4, v3, v5
	v_mul_lo_u32 v5, v1, s0
	v_mul_lo_u32 v6, v1, s1
	v_lshrrev_b32_e32 v1, s13, v4
	v_mul_lo_u32 v4, v1, s11
	v_mul_hi_u32 v7, s15, v1
	v_sub_u32_e32 v3, v3, v4
	v_add_u32_e32 v4, v1, v7
	v_lshrrev_b32_e32 v4, s28, v4
	v_mul_hi_u32 v8, s30, v4
	v_mul_lo_u32 v9, v4, s14
	v_mul_lo_u32 v7, v3, s2
	;; [unrolled: 1-line block ×3, first 2 shown]
	v_sub_u32_e32 v9, v1, v9
	v_add_u32_e32 v1, v4, v8
	v_lshrrev_b32_e32 v1, s31, v1
	v_mul_lo_u32 v8, v1, s29
	v_mul_lo_u32 v10, v9, s4
	;; [unrolled: 1-line block ×3, first 2 shown]
	v_add3_u32 v0, v5, v0, v7
	v_sub_u32_e32 v4, v4, v8
	v_mul_lo_u32 v8, v4, s6
	v_mul_lo_u32 v4, v4, s7
	v_add3_u32 v2, v6, v2, v3
	v_add3_u32 v0, v10, v0, v8
	v_add3_u32 v2, v9, v2, v4
	s_cbranch_scc0 .LBB221_234
	s_branch .LBB221_238
.LBB221_235:
                                        ; implicit-def: $vgpr0
                                        ; implicit-def: $vgpr2
	s_branch .LBB221_242
.LBB221_236:
	v_mov_b32_e32 v0, 0
	v_mov_b32_e32 v2, 0
	s_branch .LBB221_241
.LBB221_237:
	s_mov_b32 s52, 0
	v_mov_b32_e32 v0, 0
	v_mov_b32_e32 v2, 0
	;; [unrolled: 1-line block ×3, first 2 shown]
.LBB221_238:
	s_and_b32 s4, s58, 3
	s_cmp_eq_u32 s4, 0
	s_cbranch_scc1 .LBB221_241
; %bb.239:
	s_lshl_b32 s0, s52, 3
	s_add_u32 s0, s34, s0
	s_addc_u32 s1, s35, 0
	s_add_u32 s0, s0, 0xc4
	s_addc_u32 s1, s1, 0
	s_mul_i32 s2, s52, 12
	s_add_u32 s2, s34, s2
	s_addc_u32 s3, s35, 0
.LBB221_240:                            ; =>This Inner Loop Header: Depth=1
	s_load_dwordx2 s[6:7], s[2:3], 0x4
	s_load_dword s5, s[2:3], 0xc
	s_load_dwordx2 s[8:9], s[0:1], 0x0
	s_add_u32 s2, s2, 12
	s_addc_u32 s3, s3, 0
	s_waitcnt lgkmcnt(0)
	v_mul_hi_u32 v3, s7, v1
	s_add_u32 s0, s0, 8
	s_addc_u32 s1, s1, 0
	s_add_i32 s4, s4, -1
	v_add_u32_e32 v3, v1, v3
	v_lshrrev_b32_e32 v4, s5, v3
	v_mul_lo_u32 v3, v4, s6
	s_cmp_lg_u32 s4, 0
	v_sub_u32_e32 v3, v1, v3
	v_mad_u64_u32 v[0:1], s[6:7], v3, s8, v[0:1]
	v_mad_u64_u32 v[2:3], s[6:7], v3, s9, v[2:3]
	v_mov_b32_e32 v1, v4
	s_cbranch_scc1 .LBB221_240
.LBB221_241:
	s_cbranch_execnz .LBB221_244
.LBB221_242:
	v_mul_hi_u32 v0, s21, v19
	s_andn2_b64 vcc, exec, s[44:45]
	v_add_u32_e32 v0, v19, v0
	v_lshrrev_b32_e32 v1, s22, v0
	v_mul_lo_u32 v0, v1, s20
	v_sub_u32_e32 v2, v19, v0
	v_mul_lo_u32 v0, v2, s24
	v_mul_lo_u32 v2, v2, s25
	s_cbranch_vccnz .LBB221_244
; %bb.243:
	v_mul_hi_u32 v3, s42, v1
	v_add_u32_e32 v3, v1, v3
	v_lshrrev_b32_e32 v3, s43, v3
	v_mul_lo_u32 v3, v3, s23
	v_sub_u32_e32 v3, v1, v3
	v_mad_u64_u32 v[0:1], s[0:1], v3, s26, v[0:1]
	v_mad_u64_u32 v[2:3], s[0:1], v3, s27, v[2:3]
.LBB221_244:
	global_load_ubyte v1, v2, s[18:19]
	s_waitcnt vmcnt(0)
	v_cmp_ne_u16_e32 vcc, 0, v1
	s_xor_b64 s[0:1], vcc, s[40:41]
	v_cndmask_b32_e64 v1, 0, 1, s[0:1]
	global_store_byte v0, v1, s[16:17]
	s_or_b64 exec, exec, s[50:51]
                                        ; implicit-def: $vgpr25
                                        ; implicit-def: $vgpr19
	s_andn2_saveexec_b64 s[0:1], s[38:39]
	s_cbranch_execz .LBB221_221
	s_branch .LBB221_8
	.section	.rodata,"a",@progbits
	.p2align	6, 0x0
	.amdhsa_kernel _ZN2at6native32elementwise_kernel_manual_unrollILi128ELi8EZNS0_22gpu_kernel_impl_nocastINS0_13AUnaryFunctorIbbbNS0_12_GLOBAL__N_116CompareEqFunctorIbEEEEEEvRNS_18TensorIteratorBaseERKT_EUlibE_EEviT1_
		.amdhsa_group_segment_fixed_size 0
		.amdhsa_private_segment_fixed_size 0
		.amdhsa_kernarg_size 360
		.amdhsa_user_sgpr_count 6
		.amdhsa_user_sgpr_private_segment_buffer 1
		.amdhsa_user_sgpr_dispatch_ptr 0
		.amdhsa_user_sgpr_queue_ptr 0
		.amdhsa_user_sgpr_kernarg_segment_ptr 1
		.amdhsa_user_sgpr_dispatch_id 0
		.amdhsa_user_sgpr_flat_scratch_init 0
		.amdhsa_user_sgpr_private_segment_size 0
		.amdhsa_uses_dynamic_stack 0
		.amdhsa_system_sgpr_private_segment_wavefront_offset 0
		.amdhsa_system_sgpr_workgroup_id_x 1
		.amdhsa_system_sgpr_workgroup_id_y 0
		.amdhsa_system_sgpr_workgroup_id_z 0
		.amdhsa_system_sgpr_workgroup_info 0
		.amdhsa_system_vgpr_workitem_id 0
		.amdhsa_next_free_vgpr 26
		.amdhsa_next_free_sgpr 62
		.amdhsa_reserve_vcc 1
		.amdhsa_reserve_flat_scratch 0
		.amdhsa_float_round_mode_32 0
		.amdhsa_float_round_mode_16_64 0
		.amdhsa_float_denorm_mode_32 3
		.amdhsa_float_denorm_mode_16_64 3
		.amdhsa_dx10_clamp 1
		.amdhsa_ieee_mode 1
		.amdhsa_fp16_overflow 0
		.amdhsa_exception_fp_ieee_invalid_op 0
		.amdhsa_exception_fp_denorm_src 0
		.amdhsa_exception_fp_ieee_div_zero 0
		.amdhsa_exception_fp_ieee_overflow 0
		.amdhsa_exception_fp_ieee_underflow 0
		.amdhsa_exception_fp_ieee_inexact 0
		.amdhsa_exception_int_div_zero 0
	.end_amdhsa_kernel
	.section	.text._ZN2at6native32elementwise_kernel_manual_unrollILi128ELi8EZNS0_22gpu_kernel_impl_nocastINS0_13AUnaryFunctorIbbbNS0_12_GLOBAL__N_116CompareEqFunctorIbEEEEEEvRNS_18TensorIteratorBaseERKT_EUlibE_EEviT1_,"axG",@progbits,_ZN2at6native32elementwise_kernel_manual_unrollILi128ELi8EZNS0_22gpu_kernel_impl_nocastINS0_13AUnaryFunctorIbbbNS0_12_GLOBAL__N_116CompareEqFunctorIbEEEEEEvRNS_18TensorIteratorBaseERKT_EUlibE_EEviT1_,comdat
.Lfunc_end221:
	.size	_ZN2at6native32elementwise_kernel_manual_unrollILi128ELi8EZNS0_22gpu_kernel_impl_nocastINS0_13AUnaryFunctorIbbbNS0_12_GLOBAL__N_116CompareEqFunctorIbEEEEEEvRNS_18TensorIteratorBaseERKT_EUlibE_EEviT1_, .Lfunc_end221-_ZN2at6native32elementwise_kernel_manual_unrollILi128ELi8EZNS0_22gpu_kernel_impl_nocastINS0_13AUnaryFunctorIbbbNS0_12_GLOBAL__N_116CompareEqFunctorIbEEEEEEvRNS_18TensorIteratorBaseERKT_EUlibE_EEviT1_
                                        ; -- End function
	.set _ZN2at6native32elementwise_kernel_manual_unrollILi128ELi8EZNS0_22gpu_kernel_impl_nocastINS0_13AUnaryFunctorIbbbNS0_12_GLOBAL__N_116CompareEqFunctorIbEEEEEEvRNS_18TensorIteratorBaseERKT_EUlibE_EEviT1_.num_vgpr, 26
	.set _ZN2at6native32elementwise_kernel_manual_unrollILi128ELi8EZNS0_22gpu_kernel_impl_nocastINS0_13AUnaryFunctorIbbbNS0_12_GLOBAL__N_116CompareEqFunctorIbEEEEEEvRNS_18TensorIteratorBaseERKT_EUlibE_EEviT1_.num_agpr, 0
	.set _ZN2at6native32elementwise_kernel_manual_unrollILi128ELi8EZNS0_22gpu_kernel_impl_nocastINS0_13AUnaryFunctorIbbbNS0_12_GLOBAL__N_116CompareEqFunctorIbEEEEEEvRNS_18TensorIteratorBaseERKT_EUlibE_EEviT1_.numbered_sgpr, 62
	.set _ZN2at6native32elementwise_kernel_manual_unrollILi128ELi8EZNS0_22gpu_kernel_impl_nocastINS0_13AUnaryFunctorIbbbNS0_12_GLOBAL__N_116CompareEqFunctorIbEEEEEEvRNS_18TensorIteratorBaseERKT_EUlibE_EEviT1_.num_named_barrier, 0
	.set _ZN2at6native32elementwise_kernel_manual_unrollILi128ELi8EZNS0_22gpu_kernel_impl_nocastINS0_13AUnaryFunctorIbbbNS0_12_GLOBAL__N_116CompareEqFunctorIbEEEEEEvRNS_18TensorIteratorBaseERKT_EUlibE_EEviT1_.private_seg_size, 0
	.set _ZN2at6native32elementwise_kernel_manual_unrollILi128ELi8EZNS0_22gpu_kernel_impl_nocastINS0_13AUnaryFunctorIbbbNS0_12_GLOBAL__N_116CompareEqFunctorIbEEEEEEvRNS_18TensorIteratorBaseERKT_EUlibE_EEviT1_.uses_vcc, 1
	.set _ZN2at6native32elementwise_kernel_manual_unrollILi128ELi8EZNS0_22gpu_kernel_impl_nocastINS0_13AUnaryFunctorIbbbNS0_12_GLOBAL__N_116CompareEqFunctorIbEEEEEEvRNS_18TensorIteratorBaseERKT_EUlibE_EEviT1_.uses_flat_scratch, 0
	.set _ZN2at6native32elementwise_kernel_manual_unrollILi128ELi8EZNS0_22gpu_kernel_impl_nocastINS0_13AUnaryFunctorIbbbNS0_12_GLOBAL__N_116CompareEqFunctorIbEEEEEEvRNS_18TensorIteratorBaseERKT_EUlibE_EEviT1_.has_dyn_sized_stack, 0
	.set _ZN2at6native32elementwise_kernel_manual_unrollILi128ELi8EZNS0_22gpu_kernel_impl_nocastINS0_13AUnaryFunctorIbbbNS0_12_GLOBAL__N_116CompareEqFunctorIbEEEEEEvRNS_18TensorIteratorBaseERKT_EUlibE_EEviT1_.has_recursion, 0
	.set _ZN2at6native32elementwise_kernel_manual_unrollILi128ELi8EZNS0_22gpu_kernel_impl_nocastINS0_13AUnaryFunctorIbbbNS0_12_GLOBAL__N_116CompareEqFunctorIbEEEEEEvRNS_18TensorIteratorBaseERKT_EUlibE_EEviT1_.has_indirect_call, 0
	.section	.AMDGPU.csdata,"",@progbits
; Kernel info:
; codeLenInByte = 11476
; TotalNumSgprs: 66
; NumVgprs: 26
; ScratchSize: 0
; MemoryBound: 0
; FloatMode: 240
; IeeeMode: 1
; LDSByteSize: 0 bytes/workgroup (compile time only)
; SGPRBlocks: 8
; VGPRBlocks: 6
; NumSGPRsForWavesPerEU: 66
; NumVGPRsForWavesPerEU: 26
; Occupancy: 9
; WaveLimiterHint : 1
; COMPUTE_PGM_RSRC2:SCRATCH_EN: 0
; COMPUTE_PGM_RSRC2:USER_SGPR: 6
; COMPUTE_PGM_RSRC2:TRAP_HANDLER: 0
; COMPUTE_PGM_RSRC2:TGID_X_EN: 1
; COMPUTE_PGM_RSRC2:TGID_Y_EN: 0
; COMPUTE_PGM_RSRC2:TGID_Z_EN: 0
; COMPUTE_PGM_RSRC2:TIDIG_COMP_CNT: 0
	.section	.text._ZN2at6native32elementwise_kernel_manual_unrollILi128ELi4EZNS0_15gpu_kernel_implINS0_13AUnaryFunctorIbbbNS0_12_GLOBAL__N_116CompareEqFunctorIbEEEEEEvRNS_18TensorIteratorBaseERKT_EUlibE_EEviT1_,"axG",@progbits,_ZN2at6native32elementwise_kernel_manual_unrollILi128ELi4EZNS0_15gpu_kernel_implINS0_13AUnaryFunctorIbbbNS0_12_GLOBAL__N_116CompareEqFunctorIbEEEEEEvRNS_18TensorIteratorBaseERKT_EUlibE_EEviT1_,comdat
	.globl	_ZN2at6native32elementwise_kernel_manual_unrollILi128ELi4EZNS0_15gpu_kernel_implINS0_13AUnaryFunctorIbbbNS0_12_GLOBAL__N_116CompareEqFunctorIbEEEEEEvRNS_18TensorIteratorBaseERKT_EUlibE_EEviT1_ ; -- Begin function _ZN2at6native32elementwise_kernel_manual_unrollILi128ELi4EZNS0_15gpu_kernel_implINS0_13AUnaryFunctorIbbbNS0_12_GLOBAL__N_116CompareEqFunctorIbEEEEEEvRNS_18TensorIteratorBaseERKT_EUlibE_EEviT1_
	.p2align	8
	.type	_ZN2at6native32elementwise_kernel_manual_unrollILi128ELi4EZNS0_15gpu_kernel_implINS0_13AUnaryFunctorIbbbNS0_12_GLOBAL__N_116CompareEqFunctorIbEEEEEEvRNS_18TensorIteratorBaseERKT_EUlibE_EEviT1_,@function
_ZN2at6native32elementwise_kernel_manual_unrollILi128ELi4EZNS0_15gpu_kernel_implINS0_13AUnaryFunctorIbbbNS0_12_GLOBAL__N_116CompareEqFunctorIbEEEEEEvRNS_18TensorIteratorBaseERKT_EUlibE_EEviT1_: ; @_ZN2at6native32elementwise_kernel_manual_unrollILi128ELi4EZNS0_15gpu_kernel_implINS0_13AUnaryFunctorIbbbNS0_12_GLOBAL__N_116CompareEqFunctorIbEEEEEEvRNS_18TensorIteratorBaseERKT_EUlibE_EEviT1_
; %bb.0:
	s_load_dwordx2 s[2:3], s[4:5], 0x24
	s_load_dword s33, s[4:5], 0x0
	s_load_dwordx8 s[8:15], s[4:5], 0x8
	v_lshl_or_b32 v2, s6, 9, v0
	v_or_b32_e32 v0, 0x180, v2
	s_waitcnt lgkmcnt(0)
	s_bfe_u32 s15, s3, 0x80008
	v_cmp_le_i32_e32 vcc, s33, v0
	s_mov_b64 s[4:5], 0
	s_mov_b64 s[16:17], 0
	s_and_saveexec_b64 s[0:1], vcc
	s_xor_b64 s[6:7], exec, s[0:1]
	s_cbranch_execz .LBB222_951
; %bb.1:
	s_bitcmp1_b32 s2, 0
	s_cselect_b64 s[0:1], -1, 0
	s_cmp_eq_u32 s14, 0
	s_cselect_b64 s[16:17], -1, 0
	s_xor_b64 s[16:17], s[16:17], s[0:1]
	v_cmp_gt_i32_e32 vcc, s33, v2
	s_mov_b64 s[24:25], -1
	s_mov_b64 s[26:27], 0
	s_mov_b64 s[20:21], 0
	;; [unrolled: 1-line block ×3, first 2 shown]
	s_and_saveexec_b64 s[22:23], vcc
	s_cbranch_execz .LBB222_232
; %bb.2:
	v_mul_lo_u32 v0, v2, s13
	v_mov_b32_e32 v1, s11
	s_and_b32 s28, 0xffff, s15
	s_cmp_lt_i32 s28, 11
	v_ashrrev_i32_e32 v3, 31, v0
	v_add_co_u32_e32 v0, vcc, s10, v0
	v_addc_co_u32_e32 v1, vcc, v1, v3, vcc
	s_cbranch_scc1 .LBB222_9
; %bb.3:
	s_cmp_gt_i32 s28, 25
	s_cbranch_scc0 .LBB222_18
; %bb.4:
	s_cmp_gt_i32 s28, 28
	s_cbranch_scc0 .LBB222_20
	;; [unrolled: 3-line block ×4, first 2 shown]
; %bb.7:
	s_cmp_eq_u32 s28, 46
	s_mov_b64 s[24:25], 0
	s_cbranch_scc0 .LBB222_25
; %bb.8:
	global_load_dword v3, v[0:1], off
	s_mov_b64 s[18:19], -1
	s_waitcnt vmcnt(0)
	v_and_b32_e32 v3, 0x7fff7fff, v3
	v_cmp_ne_u32_e64 s[0:1], 0, v3
	s_branch .LBB222_27
.LBB222_9:
                                        ; implicit-def: $sgpr0_sgpr1
	s_and_b64 vcc, exec, s[24:25]
	s_cbranch_vccnz .LBB222_73
.LBB222_10:
	s_andn2_b64 vcc, exec, s[18:19]
	s_cbranch_vccnz .LBB222_120
.LBB222_11:
	v_mul_lo_u32 v0, v2, s12
	s_xor_b64 s[18:19], s[0:1], s[16:17]
	v_mov_b32_e32 v1, s9
	s_and_b32 s30, s3, 0xff
	v_ashrrev_i32_e32 v3, 31, v0
	v_add_co_u32_e32 v0, vcc, s8, v0
	s_cmp_lt_i32 s30, 11
	v_addc_co_u32_e32 v1, vcc, v1, v3, vcc
	s_cbranch_scc1 .LBB222_19
; %bb.12:
	s_and_b32 s31, 0xffff, s30
	s_cmp_gt_i32 s31, 25
	s_cbranch_scc0 .LBB222_21
; %bb.13:
	s_cmp_gt_i32 s31, 28
	s_cbranch_scc0 .LBB222_23
; %bb.14:
	;; [unrolled: 3-line block ×4, first 2 shown]
	s_mov_b64 s[20:21], 0
	s_mov_b64 s[0:1], -1
	s_cmp_eq_u32 s31, 46
	s_mov_b64 s[24:25], 0
	s_cbranch_scc0 .LBB222_122
; %bb.17:
	v_cndmask_b32_e64 v3, 0, 1.0, s[18:19]
	v_bfe_u32 v4, v3, 16, 1
	s_movk_i32 s0, 0x7fff
	v_add3_u32 v3, v3, v4, s0
	v_lshrrev_b32_e32 v3, 16, v3
	global_store_dword v[0:1], v3, off
	s_mov_b64 s[24:25], -1
	s_mov_b64 s[0:1], 0
	s_branch .LBB222_122
.LBB222_18:
                                        ; implicit-def: $sgpr0_sgpr1
	s_and_b64 vcc, exec, s[24:25]
	s_cbranch_vccnz .LBB222_48
	s_branch .LBB222_72
.LBB222_19:
	s_mov_b64 s[0:1], 0
	s_mov_b64 s[24:25], 0
	s_cbranch_execnz .LBB222_191
	s_branch .LBB222_229
.LBB222_20:
                                        ; implicit-def: $sgpr0_sgpr1
	s_branch .LBB222_35
.LBB222_21:
	s_mov_b64 s[20:21], -1
	s_mov_b64 s[0:1], 0
	s_mov_b64 s[24:25], 0
	s_branch .LBB222_149
.LBB222_22:
                                        ; implicit-def: $sgpr0_sgpr1
	s_branch .LBB222_30
.LBB222_23:
	s_mov_b64 s[20:21], -1
	s_mov_b64 s[0:1], 0
	s_mov_b64 s[24:25], 0
	s_branch .LBB222_132
.LBB222_24:
	s_mov_b64 s[20:21], -1
	s_mov_b64 s[0:1], 0
	s_mov_b64 s[24:25], 0
	s_branch .LBB222_128
.LBB222_25:
	s_mov_b64 s[20:21], -1
.LBB222_26:
                                        ; implicit-def: $sgpr0_sgpr1
.LBB222_27:
	s_and_b64 vcc, exec, s[24:25]
	s_cbranch_vccz .LBB222_29
; %bb.28:
	s_cmp_eq_u32 s28, 44
	s_mov_b64 s[20:21], -1
	s_cselect_b64 s[18:19], -1, 0
	s_or_b64 s[0:1], s[0:1], exec
.LBB222_29:
	s_mov_b64 s[24:25], 0
.LBB222_30:
	s_and_b64 vcc, exec, s[24:25]
	s_cbranch_vccz .LBB222_34
; %bb.31:
	s_cmp_eq_u32 s28, 29
	s_cbranch_scc0 .LBB222_33
; %bb.32:
	global_load_dwordx2 v[3:4], v[0:1], off
	s_mov_b64 s[20:21], 0
	s_mov_b64 s[18:19], -1
	s_mov_b64 s[24:25], 0
	s_waitcnt vmcnt(0)
	v_cmp_ne_u64_e64 s[0:1], 0, v[3:4]
	s_branch .LBB222_35
.LBB222_33:
	s_mov_b64 s[20:21], -1
                                        ; implicit-def: $sgpr0_sgpr1
.LBB222_34:
	s_mov_b64 s[24:25], 0
.LBB222_35:
	s_and_b64 vcc, exec, s[24:25]
	s_cbranch_vccz .LBB222_47
; %bb.36:
	s_cmp_lt_i32 s28, 27
	s_cbranch_scc1 .LBB222_39
; %bb.37:
	s_cmp_gt_i32 s28, 27
	s_cbranch_scc0 .LBB222_40
; %bb.38:
	global_load_dword v3, v[0:1], off
	s_mov_b64 s[18:19], 0
	s_waitcnt vmcnt(0)
	v_cmp_ne_u32_e64 s[0:1], 0, v3
	s_branch .LBB222_41
.LBB222_39:
	s_mov_b64 s[18:19], -1
                                        ; implicit-def: $sgpr0_sgpr1
	s_branch .LBB222_44
.LBB222_40:
	s_mov_b64 s[18:19], -1
                                        ; implicit-def: $sgpr0_sgpr1
.LBB222_41:
	s_andn2_b64 vcc, exec, s[18:19]
	s_cbranch_vccnz .LBB222_43
; %bb.42:
	global_load_ushort v3, v[0:1], off
	s_andn2_b64 s[0:1], s[0:1], exec
	s_waitcnt vmcnt(0)
	v_cmp_ne_u16_e32 vcc, 0, v3
	s_and_b64 s[18:19], vcc, exec
	s_or_b64 s[0:1], s[0:1], s[18:19]
.LBB222_43:
	s_mov_b64 s[18:19], 0
.LBB222_44:
	s_andn2_b64 vcc, exec, s[18:19]
	s_cbranch_vccnz .LBB222_46
; %bb.45:
	global_load_ubyte v3, v[0:1], off
	s_andn2_b64 s[0:1], s[0:1], exec
	s_waitcnt vmcnt(0)
	v_cmp_ne_u16_e32 vcc, 0, v3
	s_and_b64 s[18:19], vcc, exec
	s_or_b64 s[0:1], s[0:1], s[18:19]
.LBB222_46:
	s_mov_b64 s[18:19], -1
.LBB222_47:
	s_branch .LBB222_72
.LBB222_48:
	s_cmp_gt_i32 s28, 22
	s_cbranch_scc0 .LBB222_52
; %bb.49:
	s_cmp_lt_i32 s28, 24
	s_cbranch_scc1 .LBB222_53
; %bb.50:
	s_cmp_gt_i32 s28, 24
	s_cbranch_scc0 .LBB222_54
; %bb.51:
	global_load_ubyte v3, v[0:1], off
	s_mov_b64 s[18:19], 0
	s_waitcnt vmcnt(0)
	v_cmp_ne_u16_e64 s[0:1], 0, v3
	s_branch .LBB222_55
.LBB222_52:
	s_mov_b64 s[24:25], -1
                                        ; implicit-def: $sgpr0_sgpr1
	s_branch .LBB222_61
.LBB222_53:
	s_mov_b64 s[18:19], -1
                                        ; implicit-def: $sgpr0_sgpr1
	s_branch .LBB222_58
.LBB222_54:
	s_mov_b64 s[18:19], -1
                                        ; implicit-def: $sgpr0_sgpr1
.LBB222_55:
	s_andn2_b64 vcc, exec, s[18:19]
	s_cbranch_vccnz .LBB222_57
; %bb.56:
	global_load_ubyte v3, v[0:1], off
	s_andn2_b64 s[0:1], s[0:1], exec
	s_waitcnt vmcnt(0)
	v_and_b32_e32 v3, 0x7f, v3
	v_cmp_ne_u16_e32 vcc, 0, v3
	s_and_b64 s[18:19], vcc, exec
	s_or_b64 s[0:1], s[0:1], s[18:19]
.LBB222_57:
	s_mov_b64 s[18:19], 0
.LBB222_58:
	s_andn2_b64 vcc, exec, s[18:19]
	s_cbranch_vccnz .LBB222_60
; %bb.59:
	global_load_ubyte v3, v[0:1], off
	s_movk_i32 s18, 0x7f00
	s_brev_b32 s19, 16
	s_andn2_b64 s[0:1], s[0:1], exec
	s_waitcnt vmcnt(0)
	v_lshlrev_b32_e32 v4, 8, v3
	v_lshlrev_b32_e32 v3, 25, v3
	v_lshrrev_b32_e32 v5, 4, v3
	v_and_or_b32 v4, v4, s18, 0.5
	v_or_b32_e32 v5, 0x70000000, v5
	v_add_f32_e32 v4, -0.5, v4
	v_mul_f32_e32 v5, 0x7800000, v5
	v_cmp_gt_u32_e32 vcc, s19, v3
	v_cndmask_b32_e32 v3, v5, v4, vcc
	v_cmp_neq_f32_e32 vcc, 0, v3
	s_and_b64 s[18:19], vcc, exec
	s_or_b64 s[0:1], s[0:1], s[18:19]
.LBB222_60:
	s_mov_b64 s[24:25], 0
	s_mov_b64 s[18:19], -1
.LBB222_61:
	s_andn2_b64 vcc, exec, s[24:25]
	s_cbranch_vccnz .LBB222_72
; %bb.62:
	s_cmp_gt_i32 s28, 14
	s_cbranch_scc0 .LBB222_65
; %bb.63:
	s_cmp_eq_u32 s28, 15
	s_cbranch_scc0 .LBB222_66
; %bb.64:
	global_load_ushort v3, v[0:1], off
	s_mov_b64 s[18:19], -1
	s_mov_b64 s[20:21], 0
	s_waitcnt vmcnt(0)
	v_and_b32_e32 v3, 0x7fff, v3
	v_cmp_ne_u16_e64 s[0:1], 0, v3
	s_branch .LBB222_67
.LBB222_65:
	s_mov_b64 s[24:25], -1
                                        ; implicit-def: $sgpr0_sgpr1
	s_branch .LBB222_68
.LBB222_66:
	s_mov_b64 s[20:21], -1
                                        ; implicit-def: $sgpr0_sgpr1
.LBB222_67:
	s_mov_b64 s[24:25], 0
.LBB222_68:
	s_and_b64 vcc, exec, s[24:25]
	s_cbranch_vccz .LBB222_72
; %bb.69:
	s_cmp_eq_u32 s28, 11
	s_cbranch_scc0 .LBB222_71
; %bb.70:
	global_load_ubyte v3, v[0:1], off
	s_mov_b64 s[18:19], -1
	s_mov_b64 s[20:21], 0
	s_waitcnt vmcnt(0)
	v_cmp_ne_u16_e64 s[0:1], 0, v3
	s_branch .LBB222_72
.LBB222_71:
	s_mov_b64 s[20:21], -1
                                        ; implicit-def: $sgpr0_sgpr1
.LBB222_72:
	s_branch .LBB222_10
.LBB222_73:
	s_cmp_lt_i32 s28, 5
	s_cbranch_scc1 .LBB222_78
; %bb.74:
	s_cmp_lt_i32 s28, 8
	s_cbranch_scc1 .LBB222_79
; %bb.75:
	;; [unrolled: 3-line block ×3, first 2 shown]
	s_cmp_gt_i32 s28, 9
	s_cbranch_scc0 .LBB222_81
; %bb.77:
	global_load_dwordx4 v[3:6], v[0:1], off
	s_mov_b64 s[18:19], 0
	s_waitcnt vmcnt(0)
	v_cmp_neq_f64_e32 vcc, 0, v[3:4]
	v_cmp_neq_f64_e64 s[0:1], 0, v[5:6]
	s_or_b64 s[0:1], vcc, s[0:1]
	s_branch .LBB222_82
.LBB222_78:
                                        ; implicit-def: $sgpr0_sgpr1
	s_branch .LBB222_100
.LBB222_79:
	s_mov_b64 s[18:19], -1
                                        ; implicit-def: $sgpr0_sgpr1
	s_branch .LBB222_88
.LBB222_80:
	s_mov_b64 s[18:19], -1
                                        ; implicit-def: $sgpr0_sgpr1
	s_branch .LBB222_85
.LBB222_81:
	s_mov_b64 s[18:19], -1
                                        ; implicit-def: $sgpr0_sgpr1
.LBB222_82:
	s_andn2_b64 vcc, exec, s[18:19]
	s_cbranch_vccnz .LBB222_84
; %bb.83:
	global_load_dwordx2 v[3:4], v[0:1], off
	s_andn2_b64 s[0:1], s[0:1], exec
	s_waitcnt vmcnt(0)
	v_or_b32_e32 v3, v3, v4
	v_and_b32_e32 v3, 0x7fffffff, v3
	v_cmp_ne_u32_e32 vcc, 0, v3
	s_and_b64 s[18:19], vcc, exec
	s_or_b64 s[0:1], s[0:1], s[18:19]
.LBB222_84:
	s_mov_b64 s[18:19], 0
.LBB222_85:
	s_andn2_b64 vcc, exec, s[18:19]
	s_cbranch_vccnz .LBB222_87
; %bb.86:
	global_load_dword v3, v[0:1], off
	s_andn2_b64 s[0:1], s[0:1], exec
	s_waitcnt vmcnt(0)
	v_and_b32_e32 v3, 0x7fff7fff, v3
	v_cmp_ne_u32_e32 vcc, 0, v3
	s_and_b64 s[18:19], vcc, exec
	s_or_b64 s[0:1], s[0:1], s[18:19]
.LBB222_87:
	s_mov_b64 s[18:19], 0
.LBB222_88:
	s_andn2_b64 vcc, exec, s[18:19]
	s_cbranch_vccnz .LBB222_99
; %bb.89:
	s_cmp_lt_i32 s28, 6
	s_cbranch_scc1 .LBB222_92
; %bb.90:
	s_cmp_gt_i32 s28, 6
	s_cbranch_scc0 .LBB222_93
; %bb.91:
	global_load_dwordx2 v[3:4], v[0:1], off
	s_mov_b64 s[18:19], 0
	s_waitcnt vmcnt(0)
	v_cmp_neq_f64_e64 s[0:1], 0, v[3:4]
	s_branch .LBB222_94
.LBB222_92:
	s_mov_b64 s[18:19], -1
                                        ; implicit-def: $sgpr0_sgpr1
	s_branch .LBB222_97
.LBB222_93:
	s_mov_b64 s[18:19], -1
                                        ; implicit-def: $sgpr0_sgpr1
.LBB222_94:
	s_andn2_b64 vcc, exec, s[18:19]
	s_cbranch_vccnz .LBB222_96
; %bb.95:
	global_load_dword v3, v[0:1], off
	s_andn2_b64 s[0:1], s[0:1], exec
	s_waitcnt vmcnt(0)
	v_cmp_neq_f32_e32 vcc, 0, v3
	s_and_b64 s[18:19], vcc, exec
	s_or_b64 s[0:1], s[0:1], s[18:19]
.LBB222_96:
	s_mov_b64 s[18:19], 0
.LBB222_97:
	s_andn2_b64 vcc, exec, s[18:19]
	s_cbranch_vccnz .LBB222_99
; %bb.98:
	global_load_ushort v3, v[0:1], off
	s_andn2_b64 s[0:1], s[0:1], exec
	s_waitcnt vmcnt(0)
	v_and_b32_e32 v3, 0x7fff, v3
	v_cmp_ne_u16_e32 vcc, 0, v3
	s_and_b64 s[18:19], vcc, exec
	s_or_b64 s[0:1], s[0:1], s[18:19]
.LBB222_99:
	s_cbranch_execnz .LBB222_119
.LBB222_100:
	s_cmp_lt_i32 s28, 2
	s_cbranch_scc1 .LBB222_104
; %bb.101:
	s_cmp_lt_i32 s28, 3
	s_cbranch_scc1 .LBB222_105
; %bb.102:
	s_cmp_gt_i32 s28, 3
	s_cbranch_scc0 .LBB222_106
; %bb.103:
	global_load_dwordx2 v[3:4], v[0:1], off
	s_mov_b64 s[18:19], 0
	s_waitcnt vmcnt(0)
	v_cmp_ne_u64_e64 s[0:1], 0, v[3:4]
	s_branch .LBB222_107
.LBB222_104:
	s_mov_b64 s[18:19], -1
                                        ; implicit-def: $sgpr0_sgpr1
	s_branch .LBB222_113
.LBB222_105:
	s_mov_b64 s[18:19], -1
                                        ; implicit-def: $sgpr0_sgpr1
	s_branch .LBB222_110
.LBB222_106:
	s_mov_b64 s[18:19], -1
                                        ; implicit-def: $sgpr0_sgpr1
.LBB222_107:
	s_andn2_b64 vcc, exec, s[18:19]
	s_cbranch_vccnz .LBB222_109
; %bb.108:
	global_load_dword v3, v[0:1], off
	s_andn2_b64 s[0:1], s[0:1], exec
	s_waitcnt vmcnt(0)
	v_cmp_ne_u32_e32 vcc, 0, v3
	s_and_b64 s[18:19], vcc, exec
	s_or_b64 s[0:1], s[0:1], s[18:19]
.LBB222_109:
	s_mov_b64 s[18:19], 0
.LBB222_110:
	s_andn2_b64 vcc, exec, s[18:19]
	s_cbranch_vccnz .LBB222_112
; %bb.111:
	global_load_ushort v3, v[0:1], off
	s_andn2_b64 s[0:1], s[0:1], exec
	s_waitcnt vmcnt(0)
	v_cmp_ne_u16_e32 vcc, 0, v3
	s_and_b64 s[18:19], vcc, exec
	s_or_b64 s[0:1], s[0:1], s[18:19]
.LBB222_112:
	s_mov_b64 s[18:19], 0
.LBB222_113:
	s_andn2_b64 vcc, exec, s[18:19]
	s_cbranch_vccnz .LBB222_119
; %bb.114:
	s_cmp_gt_i32 s28, 0
	s_cbranch_scc0 .LBB222_116
; %bb.115:
	global_load_ubyte v3, v[0:1], off
	s_mov_b64 s[18:19], 0
	s_waitcnt vmcnt(0)
	v_cmp_ne_u16_e64 s[0:1], 0, v3
	s_branch .LBB222_117
.LBB222_116:
	s_mov_b64 s[18:19], -1
                                        ; implicit-def: $sgpr0_sgpr1
.LBB222_117:
	s_andn2_b64 vcc, exec, s[18:19]
	s_cbranch_vccnz .LBB222_119
; %bb.118:
	global_load_ubyte v0, v[0:1], off
	s_andn2_b64 s[0:1], s[0:1], exec
	s_waitcnt vmcnt(0)
	v_cmp_ne_u16_e32 vcc, 0, v0
	s_and_b64 s[18:19], vcc, exec
	s_or_b64 s[0:1], s[0:1], s[18:19]
.LBB222_119:
	s_branch .LBB222_11
.LBB222_120:
	s_mov_b64 s[0:1], 0
	s_mov_b64 s[24:25], 0
                                        ; implicit-def: $vgpr2
	s_branch .LBB222_231
.LBB222_121:
	s_mov_b64 s[20:21], -1
	s_mov_b64 s[0:1], 0
	s_mov_b64 s[24:25], 0
.LBB222_122:
	s_and_b64 vcc, exec, s[20:21]
	s_cbranch_vccz .LBB222_127
; %bb.123:
	s_cmp_eq_u32 s31, 44
	s_mov_b64 s[0:1], -1
	s_cbranch_scc0 .LBB222_127
; %bb.124:
	v_cndmask_b32_e64 v4, 0, 1.0, s[18:19]
	v_lshrrev_b32_e32 v3, 23, v4
	s_movk_i32 s0, 0xff
	v_cmp_ne_u32_e32 vcc, s0, v3
	v_mov_b32_e32 v5, 0xff
	s_and_saveexec_b64 s[20:21], vcc
; %bb.125:
	s_mov_b32 s0, 0x3fffff
	v_and_b32_e32 v5, 0x400000, v4
	v_and_or_b32 v4, v4, s0, v3
	v_cmp_ne_u32_e32 vcc, 0, v5
	v_cmp_ne_u32_e64 s[0:1], 0, v4
	s_and_b64 s[0:1], vcc, s[0:1]
	v_cndmask_b32_e64 v4, 0, 1, s[0:1]
	v_add_u32_e32 v5, v3, v4
; %bb.126:
	s_or_b64 exec, exec, s[20:21]
	s_mov_b64 s[24:25], -1
	s_mov_b64 s[0:1], 0
	global_store_byte v[0:1], v5, off
.LBB222_127:
	s_mov_b64 s[20:21], 0
.LBB222_128:
	s_and_b64 vcc, exec, s[20:21]
	s_cbranch_vccz .LBB222_131
; %bb.129:
	s_cmp_eq_u32 s31, 29
	s_mov_b64 s[0:1], -1
	s_cbranch_scc0 .LBB222_131
; %bb.130:
	s_mov_b32 s0, 0
	v_cndmask_b32_e64 v3, 0, 1, s[18:19]
	v_mov_b32_e32 v4, s0
	global_store_dwordx2 v[0:1], v[3:4], off
	s_mov_b64 s[24:25], -1
	s_mov_b64 s[0:1], 0
.LBB222_131:
	s_mov_b64 s[20:21], 0
.LBB222_132:
	s_and_b64 vcc, exec, s[20:21]
	s_cbranch_vccz .LBB222_148
; %bb.133:
	s_cmp_lt_i32 s31, 27
	s_mov_b64 s[20:21], -1
	s_cbranch_scc1 .LBB222_139
; %bb.134:
	s_cmp_gt_i32 s31, 27
	s_cbranch_scc0 .LBB222_136
; %bb.135:
	v_cndmask_b32_e64 v3, 0, 1, s[18:19]
	s_mov_b64 s[20:21], 0
	global_store_dword v[0:1], v3, off
.LBB222_136:
	s_andn2_b64 vcc, exec, s[20:21]
	s_cbranch_vccnz .LBB222_138
; %bb.137:
	v_cndmask_b32_e64 v3, 0, 1, s[18:19]
	global_store_short v[0:1], v3, off
.LBB222_138:
	s_mov_b64 s[20:21], 0
.LBB222_139:
	s_andn2_b64 vcc, exec, s[20:21]
	s_cbranch_vccnz .LBB222_147
; %bb.140:
	v_cndmask_b32_e64 v4, 0, 1.0, s[18:19]
	s_mov_b32 s20, 0x43800000
	v_cmp_gt_u32_e32 vcc, s20, v4
	v_mov_b32_e32 v5, 0x80
	s_and_saveexec_b64 s[20:21], vcc
	s_cbranch_execz .LBB222_146
; %bb.141:
	s_mov_b32 s24, 0x3bffffff
	v_cmp_lt_u32_e32 vcc, s24, v4
	s_mov_b64 s[24:25], 0
                                        ; implicit-def: $vgpr3
	s_and_saveexec_b64 s[28:29], vcc
	s_xor_b64 s[28:29], exec, s[28:29]
	s_cbranch_execz .LBB222_259
; %bb.142:
	v_bfe_u32 v3, v4, 20, 1
	s_mov_b32 s34, 0x487ffff
	v_add3_u32 v3, v4, v3, s34
	s_mov_b64 s[24:25], exec
	v_lshrrev_b32_e32 v3, 20, v3
                                        ; implicit-def: $vgpr4
	s_andn2_saveexec_b64 s[28:29], s[28:29]
	s_cbranch_execnz .LBB222_260
.LBB222_143:
	s_or_b64 exec, exec, s[28:29]
	v_mov_b32_e32 v5, 0
	s_and_saveexec_b64 s[28:29], s[24:25]
.LBB222_144:
	v_mov_b32_e32 v5, v3
.LBB222_145:
	s_or_b64 exec, exec, s[28:29]
.LBB222_146:
	s_or_b64 exec, exec, s[20:21]
	global_store_byte v[0:1], v5, off
.LBB222_147:
	s_mov_b64 s[24:25], -1
.LBB222_148:
	s_mov_b64 s[20:21], 0
.LBB222_149:
	s_and_b64 vcc, exec, s[20:21]
	s_cbranch_vccz .LBB222_190
; %bb.150:
	s_cmp_gt_i32 s31, 22
	s_mov_b64 s[20:21], -1
	s_cbranch_scc0 .LBB222_182
; %bb.151:
	s_cmp_lt_i32 s31, 24
	s_cbranch_scc1 .LBB222_171
; %bb.152:
	s_cmp_gt_i32 s31, 24
	s_cbranch_scc0 .LBB222_160
; %bb.153:
	v_cndmask_b32_e64 v4, 0, 1.0, s[18:19]
	s_mov_b32 s20, 0x47800000
	v_cmp_gt_u32_e32 vcc, s20, v4
	v_mov_b32_e32 v5, 0x80
	s_and_saveexec_b64 s[20:21], vcc
	s_cbranch_execz .LBB222_159
; %bb.154:
	s_mov_b32 s24, 0x37ffffff
	v_cmp_lt_u32_e32 vcc, s24, v4
	s_mov_b64 s[24:25], 0
                                        ; implicit-def: $vgpr3
	s_and_saveexec_b64 s[28:29], vcc
	s_xor_b64 s[28:29], exec, s[28:29]
	s_cbranch_execz .LBB222_263
; %bb.155:
	v_bfe_u32 v3, v4, 21, 1
	s_mov_b32 s34, 0x88fffff
	v_add3_u32 v3, v4, v3, s34
	s_mov_b64 s[24:25], exec
	v_lshrrev_b32_e32 v3, 21, v3
                                        ; implicit-def: $vgpr4
	s_andn2_saveexec_b64 s[28:29], s[28:29]
	s_cbranch_execnz .LBB222_264
.LBB222_156:
	s_or_b64 exec, exec, s[28:29]
	v_mov_b32_e32 v5, 0
	s_and_saveexec_b64 s[28:29], s[24:25]
.LBB222_157:
	v_mov_b32_e32 v5, v3
.LBB222_158:
	s_or_b64 exec, exec, s[28:29]
.LBB222_159:
	s_or_b64 exec, exec, s[20:21]
	s_mov_b64 s[20:21], 0
	global_store_byte v[0:1], v5, off
.LBB222_160:
	s_and_b64 vcc, exec, s[20:21]
	s_cbranch_vccz .LBB222_170
; %bb.161:
	v_cndmask_b32_e64 v3, 0, 1.0, s[18:19]
	s_mov_b32 s20, 0x43f00000
	v_cmp_gt_u32_e32 vcc, s20, v3
                                        ; implicit-def: $vgpr4
	s_and_saveexec_b64 s[20:21], vcc
	s_xor_b64 s[20:21], exec, s[20:21]
	s_cbranch_execz .LBB222_167
; %bb.162:
	s_mov_b32 s24, 0x3c7fffff
	v_cmp_lt_u32_e32 vcc, s24, v3
                                        ; implicit-def: $vgpr4
	s_and_saveexec_b64 s[24:25], vcc
	s_xor_b64 s[24:25], exec, s[24:25]
; %bb.163:
	v_bfe_u32 v4, v3, 20, 1
	s_mov_b32 s28, 0x407ffff
	v_add3_u32 v3, v3, v4, s28
	v_lshrrev_b32_e32 v4, 20, v3
	v_and_b32_e32 v3, 0xff00000, v3
	s_mov_b32 s28, 0x7f00000
	v_mov_b32_e32 v5, 0x7e
	v_cmp_ne_u32_e32 vcc, s28, v3
	v_cndmask_b32_e32 v4, v5, v4, vcc
                                        ; implicit-def: $vgpr3
; %bb.164:
	s_andn2_saveexec_b64 s[24:25], s[24:25]
; %bb.165:
	v_add_f32_e32 v4, 0x46800000, v3
; %bb.166:
	s_or_b64 exec, exec, s[24:25]
                                        ; implicit-def: $vgpr3
.LBB222_167:
	s_andn2_saveexec_b64 s[20:21], s[20:21]
; %bb.168:
	s_mov_b32 s24, 0x7f800000
	v_mov_b32_e32 v4, 0x7e
	v_mov_b32_e32 v5, 0x7f
	v_cmp_lt_u32_e32 vcc, s24, v3
	v_cndmask_b32_e32 v4, v4, v5, vcc
; %bb.169:
	s_or_b64 exec, exec, s[20:21]
	global_store_byte v[0:1], v4, off
.LBB222_170:
	s_mov_b64 s[20:21], 0
.LBB222_171:
	s_andn2_b64 vcc, exec, s[20:21]
	s_cbranch_vccnz .LBB222_181
; %bb.172:
	v_cndmask_b32_e64 v3, 0, 1.0, s[18:19]
	s_mov_b32 s20, 0x47800000
	v_cmp_gt_u32_e32 vcc, s20, v3
                                        ; implicit-def: $vgpr4
	s_and_saveexec_b64 s[20:21], vcc
	s_xor_b64 s[20:21], exec, s[20:21]
	s_cbranch_execz .LBB222_178
; %bb.173:
	s_mov_b32 s24, 0x387fffff
	v_cmp_lt_u32_e32 vcc, s24, v3
                                        ; implicit-def: $vgpr4
	s_and_saveexec_b64 s[24:25], vcc
	s_xor_b64 s[24:25], exec, s[24:25]
; %bb.174:
	v_bfe_u32 v4, v3, 21, 1
	s_mov_b32 s28, 0x80fffff
	v_add3_u32 v3, v3, v4, s28
	v_lshrrev_b32_e32 v4, 21, v3
                                        ; implicit-def: $vgpr3
; %bb.175:
	s_andn2_saveexec_b64 s[24:25], s[24:25]
; %bb.176:
	v_add_f32_e32 v4, 0x43000000, v3
; %bb.177:
	s_or_b64 exec, exec, s[24:25]
                                        ; implicit-def: $vgpr3
.LBB222_178:
	s_andn2_saveexec_b64 s[20:21], s[20:21]
; %bb.179:
	s_mov_b32 s24, 0x7f800000
	v_mov_b32_e32 v4, 0x7c
	v_mov_b32_e32 v5, 0x7f
	v_cmp_lt_u32_e32 vcc, s24, v3
	v_cndmask_b32_e32 v4, v4, v5, vcc
; %bb.180:
	s_or_b64 exec, exec, s[20:21]
	global_store_byte v[0:1], v4, off
.LBB222_181:
	s_mov_b64 s[20:21], 0
	s_mov_b64 s[24:25], -1
.LBB222_182:
	s_andn2_b64 vcc, exec, s[20:21]
	s_cbranch_vccnz .LBB222_190
; %bb.183:
	s_cmp_gt_i32 s31, 14
	s_mov_b64 s[20:21], -1
	s_cbranch_scc0 .LBB222_187
; %bb.184:
	s_cmp_eq_u32 s31, 15
	s_mov_b64 s[0:1], -1
	s_cbranch_scc0 .LBB222_186
; %bb.185:
	v_cndmask_b32_e64 v3, 0, 1.0, s[18:19]
	v_bfe_u32 v4, v3, 16, 1
	s_movk_i32 s0, 0x7fff
	v_add3_u32 v3, v3, v4, s0
	global_store_short_d16_hi v[0:1], v3, off
	s_mov_b64 s[24:25], -1
	s_mov_b64 s[0:1], 0
.LBB222_186:
	s_mov_b64 s[20:21], 0
.LBB222_187:
	s_and_b64 vcc, exec, s[20:21]
	s_cbranch_vccz .LBB222_190
; %bb.188:
	s_cmp_eq_u32 s31, 11
	s_mov_b64 s[0:1], -1
	s_cbranch_scc0 .LBB222_190
; %bb.189:
	v_cndmask_b32_e64 v3, 0, 1, s[18:19]
	s_mov_b64 s[24:25], -1
	s_mov_b64 s[0:1], 0
	global_store_byte v[0:1], v3, off
.LBB222_190:
	s_branch .LBB222_229
.LBB222_191:
	s_and_b32 s24, 0xffff, s30
	s_cmp_lt_i32 s24, 5
	s_mov_b64 s[20:21], -1
	s_cbranch_scc1 .LBB222_212
; %bb.192:
	s_cmp_lt_i32 s24, 8
	s_cbranch_scc1 .LBB222_202
; %bb.193:
	s_cmp_lt_i32 s24, 9
	s_cbranch_scc1 .LBB222_199
; %bb.194:
	s_cmp_gt_i32 s24, 9
	s_cbranch_scc0 .LBB222_196
; %bb.195:
	v_cndmask_b32_e64 v3, 0, 1, s[18:19]
	v_cvt_f64_u32_e32 v[3:4], v3
	v_mov_b32_e32 v5, 0
	v_mov_b32_e32 v6, v5
	s_mov_b64 s[20:21], 0
	global_store_dwordx4 v[0:1], v[3:6], off
.LBB222_196:
	s_andn2_b64 vcc, exec, s[20:21]
	s_cbranch_vccnz .LBB222_198
; %bb.197:
	v_cndmask_b32_e64 v3, 0, 1.0, s[18:19]
	v_mov_b32_e32 v4, 0
	global_store_dwordx2 v[0:1], v[3:4], off
.LBB222_198:
	s_mov_b64 s[20:21], 0
.LBB222_199:
	s_andn2_b64 vcc, exec, s[20:21]
	s_cbranch_vccnz .LBB222_201
; %bb.200:
	v_cndmask_b32_e64 v3, 0, 1.0, s[18:19]
	v_cvt_f16_f32_e32 v3, v3
	global_store_dword v[0:1], v3, off
.LBB222_201:
	s_mov_b64 s[20:21], 0
.LBB222_202:
	s_andn2_b64 vcc, exec, s[20:21]
	s_cbranch_vccnz .LBB222_211
; %bb.203:
	s_cmp_lt_i32 s24, 6
	s_mov_b64 s[20:21], -1
	s_cbranch_scc1 .LBB222_209
; %bb.204:
	s_cmp_gt_i32 s24, 6
	s_cbranch_scc0 .LBB222_206
; %bb.205:
	v_cndmask_b32_e64 v3, 0, 1, s[18:19]
	v_cvt_f64_u32_e32 v[3:4], v3
	s_mov_b64 s[20:21], 0
	global_store_dwordx2 v[0:1], v[3:4], off
.LBB222_206:
	s_andn2_b64 vcc, exec, s[20:21]
	s_cbranch_vccnz .LBB222_208
; %bb.207:
	v_cndmask_b32_e64 v3, 0, 1.0, s[18:19]
	global_store_dword v[0:1], v3, off
.LBB222_208:
	s_mov_b64 s[20:21], 0
.LBB222_209:
	s_andn2_b64 vcc, exec, s[20:21]
	s_cbranch_vccnz .LBB222_211
; %bb.210:
	v_cndmask_b32_e64 v3, 0, 1.0, s[18:19]
	v_cvt_f16_f32_e32 v3, v3
	global_store_short v[0:1], v3, off
.LBB222_211:
	s_mov_b64 s[20:21], 0
.LBB222_212:
	s_andn2_b64 vcc, exec, s[20:21]
	s_cbranch_vccnz .LBB222_228
; %bb.213:
	s_cmp_lt_i32 s24, 2
	s_mov_b64 s[20:21], -1
	s_cbranch_scc1 .LBB222_223
; %bb.214:
	s_cmp_lt_i32 s24, 3
	s_cbranch_scc1 .LBB222_220
; %bb.215:
	s_cmp_gt_i32 s24, 3
	s_cbranch_scc0 .LBB222_217
; %bb.216:
	s_mov_b32 s20, 0
	v_cndmask_b32_e64 v3, 0, 1, s[18:19]
	v_mov_b32_e32 v4, s20
	global_store_dwordx2 v[0:1], v[3:4], off
	s_mov_b64 s[20:21], 0
.LBB222_217:
	s_andn2_b64 vcc, exec, s[20:21]
	s_cbranch_vccnz .LBB222_219
; %bb.218:
	v_cndmask_b32_e64 v3, 0, 1, s[18:19]
	global_store_dword v[0:1], v3, off
.LBB222_219:
	s_mov_b64 s[20:21], 0
.LBB222_220:
	s_andn2_b64 vcc, exec, s[20:21]
	s_cbranch_vccnz .LBB222_222
; %bb.221:
	v_cndmask_b32_e64 v3, 0, 1, s[18:19]
	global_store_short v[0:1], v3, off
.LBB222_222:
	s_mov_b64 s[20:21], 0
.LBB222_223:
	s_andn2_b64 vcc, exec, s[20:21]
	s_cbranch_vccnz .LBB222_228
; %bb.224:
	s_mov_b64 s[20:21], -1
	s_cmp_gt_i32 s24, 0
	v_cndmask_b32_e64 v3, 0, 1, s[18:19]
	s_cbranch_scc0 .LBB222_226
; %bb.225:
	global_store_byte v[0:1], v3, off
	s_mov_b64 s[20:21], 0
.LBB222_226:
	s_andn2_b64 vcc, exec, s[20:21]
	s_cbranch_vccnz .LBB222_228
; %bb.227:
	global_store_byte v[0:1], v3, off
.LBB222_228:
	s_mov_b64 s[24:25], -1
.LBB222_229:
	s_mov_b64 s[20:21], 0
	s_andn2_b64 vcc, exec, s[24:25]
	s_mov_b64 s[24:25], 0
	s_cbranch_vccnz .LBB222_231
; %bb.230:
	v_add_u32_e32 v2, 0x80, v2
	s_mov_b64 s[24:25], -1
.LBB222_231:
	s_and_b64 s[18:19], s[0:1], exec
	s_and_b64 s[20:21], s[20:21], exec
	s_orn2_b64 s[24:25], s[24:25], exec
.LBB222_232:
	s_or_b64 exec, exec, s[22:23]
	s_mov_b64 s[0:1], 0
	s_mov_b64 s[28:29], 0
                                        ; implicit-def: $sgpr30_sgpr31
                                        ; implicit-def: $vgpr0_vgpr1
	s_and_saveexec_b64 s[22:23], s[24:25]
	s_cbranch_execz .LBB222_241
; %bb.233:
	v_cmp_gt_i32_e32 vcc, s33, v2
	s_mov_b64 s[0:1], -1
	s_mov_b64 s[24:25], s[20:21]
	s_mov_b64 s[26:27], s[18:19]
	s_and_saveexec_b64 s[28:29], vcc
	s_cbranch_execz .LBB222_474
; %bb.234:
	v_mul_lo_u32 v0, v2, s13
	v_mov_b32_e32 v1, s11
	s_and_b32 s34, 0xffff, s15
	s_cmp_lt_i32 s34, 11
	v_ashrrev_i32_e32 v3, 31, v0
	v_add_co_u32_e32 v0, vcc, s10, v0
	v_addc_co_u32_e32 v1, vcc, v1, v3, vcc
	s_cbranch_scc1 .LBB222_244
; %bb.235:
	s_cmp_gt_i32 s34, 25
	s_cbranch_scc0 .LBB222_253
; %bb.236:
	s_cmp_gt_i32 s34, 28
	s_cbranch_scc0 .LBB222_255
	;; [unrolled: 3-line block ×4, first 2 shown]
; %bb.239:
	s_cmp_eq_u32 s34, 46
	s_mov_b64 s[30:31], 0
	s_cbranch_scc0 .LBB222_265
; %bb.240:
	global_load_dword v3, v[0:1], off
	s_mov_b64 s[26:27], -1
	s_mov_b64 s[24:25], 0
	s_waitcnt vmcnt(0)
	v_and_b32_e32 v3, 0x7fff7fff, v3
	v_cmp_ne_u32_e64 s[0:1], 0, v3
	s_branch .LBB222_266
.LBB222_241:
	s_or_b64 exec, exec, s[22:23]
	s_mov_b64 s[22:23], 0
	s_and_saveexec_b64 s[24:25], s[20:21]
	s_cbranch_execnz .LBB222_783
.LBB222_242:
	s_or_b64 exec, exec, s[24:25]
	s_and_saveexec_b64 s[20:21], s[26:27]
	s_xor_b64 s[20:21], exec, s[20:21]
	s_cbranch_execz .LBB222_784
.LBB222_243:
	global_load_ubyte v3, v[0:1], off
	s_andn2_b64 s[24:25], s[30:31], exec
	s_or_b64 s[28:29], s[28:29], exec
	s_waitcnt vmcnt(0)
	v_cmp_ne_u16_e32 vcc, 0, v3
	s_and_b64 s[26:27], vcc, exec
	s_or_b64 s[30:31], s[24:25], s[26:27]
	s_or_b64 exec, exec, s[20:21]
	s_and_saveexec_b64 s[20:21], s[0:1]
	s_cbranch_execz .LBB222_830
	s_branch .LBB222_785
.LBB222_244:
	s_mov_b64 s[26:27], 0
                                        ; implicit-def: $sgpr0_sgpr1
	s_mov_b64 s[24:25], s[20:21]
	s_cbranch_execnz .LBB222_313
.LBB222_245:
	s_andn2_b64 vcc, exec, s[26:27]
	s_cbranch_vccnz .LBB222_361
.LBB222_246:
	v_mul_lo_u32 v0, v2, s12
	s_xor_b64 s[24:25], s[0:1], s[16:17]
	v_mov_b32_e32 v1, s9
	s_and_b32 s36, s3, 0xff
	v_ashrrev_i32_e32 v3, 31, v0
	v_add_co_u32_e32 v0, vcc, s8, v0
	s_cmp_lt_i32 s36, 11
	v_addc_co_u32_e32 v1, vcc, v1, v3, vcc
	s_cbranch_scc1 .LBB222_254
; %bb.247:
	s_and_b32 s37, 0xffff, s36
	s_cmp_gt_i32 s37, 25
	s_cbranch_scc0 .LBB222_256
; %bb.248:
	s_cmp_gt_i32 s37, 28
	s_cbranch_scc0 .LBB222_258
; %bb.249:
	;; [unrolled: 3-line block ×4, first 2 shown]
	s_mov_b64 s[30:31], 0
	s_mov_b64 s[0:1], -1
	s_cmp_eq_u32 s37, 46
	s_mov_b64 s[26:27], 0
	s_cbranch_scc0 .LBB222_363
; %bb.252:
	v_cndmask_b32_e64 v3, 0, 1.0, s[24:25]
	v_bfe_u32 v4, v3, 16, 1
	s_movk_i32 s0, 0x7fff
	v_add3_u32 v3, v3, v4, s0
	v_lshrrev_b32_e32 v3, 16, v3
	global_store_dword v[0:1], v3, off
	s_mov_b64 s[26:27], -1
	s_mov_b64 s[0:1], 0
	s_branch .LBB222_363
.LBB222_253:
	s_mov_b64 s[30:31], -1
	s_mov_b64 s[26:27], 0
	s_mov_b64 s[24:25], s[20:21]
                                        ; implicit-def: $sgpr0_sgpr1
	s_branch .LBB222_287
.LBB222_254:
	s_mov_b64 s[30:31], -1
	s_mov_b64 s[26:27], 0
	s_mov_b64 s[0:1], s[18:19]
	s_branch .LBB222_432
.LBB222_255:
	s_mov_b64 s[30:31], -1
	s_mov_b64 s[26:27], 0
	s_mov_b64 s[24:25], s[20:21]
                                        ; implicit-def: $sgpr0_sgpr1
	s_branch .LBB222_274
.LBB222_256:
	s_mov_b64 s[30:31], -1
	s_mov_b64 s[26:27], 0
	s_mov_b64 s[0:1], s[18:19]
	s_branch .LBB222_390
.LBB222_257:
	s_mov_b64 s[30:31], -1
	s_mov_b64 s[26:27], 0
	s_mov_b64 s[24:25], s[20:21]
                                        ; implicit-def: $sgpr0_sgpr1
	s_branch .LBB222_269
.LBB222_258:
	s_mov_b64 s[30:31], -1
	s_mov_b64 s[26:27], 0
	s_mov_b64 s[0:1], s[18:19]
	s_branch .LBB222_373
.LBB222_259:
	s_andn2_saveexec_b64 s[28:29], s[28:29]
	s_cbranch_execz .LBB222_143
.LBB222_260:
	v_add_f32_e32 v3, 0x46000000, v4
	v_and_b32_e32 v3, 0xff, v3
	v_cmp_ne_u32_e32 vcc, 0, v3
	s_andn2_b64 s[24:25], s[24:25], exec
	s_and_b64 s[34:35], vcc, exec
	s_or_b64 s[24:25], s[24:25], s[34:35]
	s_or_b64 exec, exec, s[28:29]
	v_mov_b32_e32 v5, 0
	s_and_saveexec_b64 s[28:29], s[24:25]
	s_cbranch_execnz .LBB222_144
	s_branch .LBB222_145
.LBB222_261:
	s_mov_b64 s[30:31], -1
	s_mov_b64 s[26:27], 0
	s_mov_b64 s[24:25], s[20:21]
                                        ; implicit-def: $sgpr0_sgpr1
	s_branch .LBB222_266
.LBB222_262:
	s_mov_b64 s[30:31], -1
	s_mov_b64 s[26:27], 0
	s_mov_b64 s[0:1], s[18:19]
	s_branch .LBB222_369
.LBB222_263:
	s_andn2_saveexec_b64 s[28:29], s[28:29]
	s_cbranch_execz .LBB222_156
.LBB222_264:
	v_add_f32_e32 v3, 0x42800000, v4
	v_and_b32_e32 v3, 0xff, v3
	v_cmp_ne_u32_e32 vcc, 0, v3
	s_andn2_b64 s[24:25], s[24:25], exec
	s_and_b64 s[34:35], vcc, exec
	s_or_b64 s[24:25], s[24:25], s[34:35]
	s_or_b64 exec, exec, s[28:29]
	v_mov_b32_e32 v5, 0
	s_and_saveexec_b64 s[28:29], s[24:25]
	s_cbranch_execnz .LBB222_157
	s_branch .LBB222_158
.LBB222_265:
	s_mov_b64 s[24:25], -1
                                        ; implicit-def: $sgpr0_sgpr1
	s_mov_b64 s[26:27], 0
.LBB222_266:
	s_and_b64 vcc, exec, s[30:31]
	s_cbranch_vccz .LBB222_268
; %bb.267:
	s_cmp_eq_u32 s34, 44
	s_cselect_b64 s[26:27], -1, 0
	s_or_b64 s[0:1], s[0:1], exec
	s_or_b64 s[24:25], s[24:25], exec
.LBB222_268:
	s_mov_b64 s[30:31], 0
.LBB222_269:
	s_and_b64 vcc, exec, s[30:31]
	s_cbranch_vccz .LBB222_273
; %bb.270:
	s_cmp_eq_u32 s34, 29
	s_cbranch_scc0 .LBB222_272
; %bb.271:
	global_load_dwordx2 v[3:4], v[0:1], off
	s_mov_b64 s[24:25], 0
	s_mov_b64 s[26:27], -1
	s_mov_b64 s[30:31], 0
	s_waitcnt vmcnt(0)
	v_cmp_ne_u64_e64 s[0:1], 0, v[3:4]
	s_branch .LBB222_274
.LBB222_272:
	s_mov_b64 s[24:25], -1
                                        ; implicit-def: $sgpr0_sgpr1
.LBB222_273:
	s_mov_b64 s[30:31], 0
.LBB222_274:
	s_and_b64 vcc, exec, s[30:31]
	s_cbranch_vccz .LBB222_286
; %bb.275:
	s_cmp_lt_i32 s34, 27
	s_cbranch_scc1 .LBB222_278
; %bb.276:
	s_cmp_gt_i32 s34, 27
	s_cbranch_scc0 .LBB222_279
; %bb.277:
	global_load_dword v3, v[0:1], off
	s_mov_b64 s[26:27], 0
	s_waitcnt vmcnt(0)
	v_cmp_ne_u32_e64 s[0:1], 0, v3
	s_branch .LBB222_280
.LBB222_278:
	s_mov_b64 s[26:27], -1
                                        ; implicit-def: $sgpr0_sgpr1
	s_branch .LBB222_283
.LBB222_279:
	s_mov_b64 s[26:27], -1
                                        ; implicit-def: $sgpr0_sgpr1
.LBB222_280:
	s_andn2_b64 vcc, exec, s[26:27]
	s_cbranch_vccnz .LBB222_282
; %bb.281:
	global_load_ushort v3, v[0:1], off
	s_andn2_b64 s[0:1], s[0:1], exec
	s_waitcnt vmcnt(0)
	v_cmp_ne_u16_e32 vcc, 0, v3
	s_and_b64 s[26:27], vcc, exec
	s_or_b64 s[0:1], s[0:1], s[26:27]
.LBB222_282:
	s_mov_b64 s[26:27], 0
.LBB222_283:
	s_andn2_b64 vcc, exec, s[26:27]
	s_cbranch_vccnz .LBB222_285
; %bb.284:
	global_load_ubyte v3, v[0:1], off
	s_andn2_b64 s[0:1], s[0:1], exec
	s_waitcnt vmcnt(0)
	v_cmp_ne_u16_e32 vcc, 0, v3
	s_and_b64 s[26:27], vcc, exec
	s_or_b64 s[0:1], s[0:1], s[26:27]
.LBB222_285:
	s_mov_b64 s[26:27], -1
.LBB222_286:
	s_mov_b64 s[30:31], 0
.LBB222_287:
	s_and_b64 vcc, exec, s[30:31]
	s_cbranch_vccz .LBB222_312
; %bb.288:
	s_cmp_gt_i32 s34, 22
	s_cbranch_scc0 .LBB222_292
; %bb.289:
	s_cmp_lt_i32 s34, 24
	s_cbranch_scc1 .LBB222_293
; %bb.290:
	s_cmp_gt_i32 s34, 24
	s_cbranch_scc0 .LBB222_294
; %bb.291:
	global_load_ubyte v3, v[0:1], off
	s_mov_b64 s[26:27], 0
	s_waitcnt vmcnt(0)
	v_cmp_ne_u16_e64 s[0:1], 0, v3
	s_branch .LBB222_295
.LBB222_292:
	s_mov_b64 s[30:31], -1
                                        ; implicit-def: $sgpr0_sgpr1
	s_branch .LBB222_301
.LBB222_293:
	s_mov_b64 s[26:27], -1
                                        ; implicit-def: $sgpr0_sgpr1
	s_branch .LBB222_298
.LBB222_294:
	s_mov_b64 s[26:27], -1
                                        ; implicit-def: $sgpr0_sgpr1
.LBB222_295:
	s_andn2_b64 vcc, exec, s[26:27]
	s_cbranch_vccnz .LBB222_297
; %bb.296:
	global_load_ubyte v3, v[0:1], off
	s_andn2_b64 s[0:1], s[0:1], exec
	s_waitcnt vmcnt(0)
	v_and_b32_e32 v3, 0x7f, v3
	v_cmp_ne_u16_e32 vcc, 0, v3
	s_and_b64 s[26:27], vcc, exec
	s_or_b64 s[0:1], s[0:1], s[26:27]
.LBB222_297:
	s_mov_b64 s[26:27], 0
.LBB222_298:
	s_andn2_b64 vcc, exec, s[26:27]
	s_cbranch_vccnz .LBB222_300
; %bb.299:
	global_load_ubyte v3, v[0:1], off
	s_movk_i32 s26, 0x7f00
	s_brev_b32 s27, 16
	s_andn2_b64 s[0:1], s[0:1], exec
	s_waitcnt vmcnt(0)
	v_lshlrev_b32_e32 v4, 8, v3
	v_lshlrev_b32_e32 v3, 25, v3
	v_lshrrev_b32_e32 v5, 4, v3
	v_and_or_b32 v4, v4, s26, 0.5
	v_or_b32_e32 v5, 0x70000000, v5
	v_add_f32_e32 v4, -0.5, v4
	v_mul_f32_e32 v5, 0x7800000, v5
	v_cmp_gt_u32_e32 vcc, s27, v3
	v_cndmask_b32_e32 v3, v5, v4, vcc
	v_cmp_neq_f32_e32 vcc, 0, v3
	s_and_b64 s[26:27], vcc, exec
	s_or_b64 s[0:1], s[0:1], s[26:27]
.LBB222_300:
	s_mov_b64 s[30:31], 0
	s_mov_b64 s[26:27], -1
.LBB222_301:
	s_andn2_b64 vcc, exec, s[30:31]
	s_cbranch_vccnz .LBB222_312
; %bb.302:
	s_cmp_gt_i32 s34, 14
	s_cbranch_scc0 .LBB222_305
; %bb.303:
	s_cmp_eq_u32 s34, 15
	s_cbranch_scc0 .LBB222_306
; %bb.304:
	global_load_ushort v3, v[0:1], off
	s_mov_b64 s[26:27], -1
	s_mov_b64 s[24:25], 0
	s_waitcnt vmcnt(0)
	v_and_b32_e32 v3, 0x7fff, v3
	v_cmp_ne_u16_e64 s[0:1], 0, v3
	s_branch .LBB222_307
.LBB222_305:
	s_mov_b64 s[30:31], -1
                                        ; implicit-def: $sgpr0_sgpr1
	s_branch .LBB222_308
.LBB222_306:
	s_mov_b64 s[24:25], -1
                                        ; implicit-def: $sgpr0_sgpr1
.LBB222_307:
	s_mov_b64 s[30:31], 0
.LBB222_308:
	s_and_b64 vcc, exec, s[30:31]
	s_cbranch_vccz .LBB222_312
; %bb.309:
	s_cmp_eq_u32 s34, 11
	s_cbranch_scc0 .LBB222_311
; %bb.310:
	global_load_ubyte v3, v[0:1], off
	s_mov_b64 s[26:27], -1
	s_mov_b64 s[24:25], 0
	s_waitcnt vmcnt(0)
	v_cmp_ne_u16_e64 s[0:1], 0, v3
	s_branch .LBB222_312
.LBB222_311:
	s_mov_b64 s[24:25], -1
                                        ; implicit-def: $sgpr0_sgpr1
.LBB222_312:
	s_branch .LBB222_245
.LBB222_313:
	s_cmp_lt_i32 s34, 5
	s_cbranch_scc1 .LBB222_318
; %bb.314:
	s_cmp_lt_i32 s34, 8
	s_cbranch_scc1 .LBB222_319
; %bb.315:
	;; [unrolled: 3-line block ×3, first 2 shown]
	s_cmp_gt_i32 s34, 9
	s_cbranch_scc0 .LBB222_321
; %bb.317:
	global_load_dwordx4 v[3:6], v[0:1], off
	s_mov_b64 s[26:27], 0
	s_waitcnt vmcnt(0)
	v_cmp_neq_f64_e32 vcc, 0, v[3:4]
	v_cmp_neq_f64_e64 s[0:1], 0, v[5:6]
	s_or_b64 s[0:1], vcc, s[0:1]
	s_branch .LBB222_322
.LBB222_318:
	s_mov_b64 s[26:27], -1
                                        ; implicit-def: $sgpr0_sgpr1
	s_branch .LBB222_340
.LBB222_319:
	s_mov_b64 s[26:27], -1
                                        ; implicit-def: $sgpr0_sgpr1
	s_branch .LBB222_328
.LBB222_320:
	s_mov_b64 s[26:27], -1
                                        ; implicit-def: $sgpr0_sgpr1
	s_branch .LBB222_325
.LBB222_321:
	s_mov_b64 s[26:27], -1
                                        ; implicit-def: $sgpr0_sgpr1
.LBB222_322:
	s_andn2_b64 vcc, exec, s[26:27]
	s_cbranch_vccnz .LBB222_324
; %bb.323:
	global_load_dwordx2 v[3:4], v[0:1], off
	s_andn2_b64 s[0:1], s[0:1], exec
	s_waitcnt vmcnt(0)
	v_or_b32_e32 v3, v3, v4
	v_and_b32_e32 v3, 0x7fffffff, v3
	v_cmp_ne_u32_e32 vcc, 0, v3
	s_and_b64 s[26:27], vcc, exec
	s_or_b64 s[0:1], s[0:1], s[26:27]
.LBB222_324:
	s_mov_b64 s[26:27], 0
.LBB222_325:
	s_andn2_b64 vcc, exec, s[26:27]
	s_cbranch_vccnz .LBB222_327
; %bb.326:
	global_load_dword v3, v[0:1], off
	s_andn2_b64 s[0:1], s[0:1], exec
	s_waitcnt vmcnt(0)
	v_and_b32_e32 v3, 0x7fff7fff, v3
	v_cmp_ne_u32_e32 vcc, 0, v3
	s_and_b64 s[26:27], vcc, exec
	s_or_b64 s[0:1], s[0:1], s[26:27]
.LBB222_327:
	s_mov_b64 s[26:27], 0
.LBB222_328:
	s_andn2_b64 vcc, exec, s[26:27]
	s_cbranch_vccnz .LBB222_339
; %bb.329:
	s_cmp_lt_i32 s34, 6
	s_cbranch_scc1 .LBB222_332
; %bb.330:
	s_cmp_gt_i32 s34, 6
	s_cbranch_scc0 .LBB222_333
; %bb.331:
	global_load_dwordx2 v[3:4], v[0:1], off
	s_mov_b64 s[26:27], 0
	s_waitcnt vmcnt(0)
	v_cmp_neq_f64_e64 s[0:1], 0, v[3:4]
	s_branch .LBB222_334
.LBB222_332:
	s_mov_b64 s[26:27], -1
                                        ; implicit-def: $sgpr0_sgpr1
	s_branch .LBB222_337
.LBB222_333:
	s_mov_b64 s[26:27], -1
                                        ; implicit-def: $sgpr0_sgpr1
.LBB222_334:
	s_andn2_b64 vcc, exec, s[26:27]
	s_cbranch_vccnz .LBB222_336
; %bb.335:
	global_load_dword v3, v[0:1], off
	s_andn2_b64 s[0:1], s[0:1], exec
	s_waitcnt vmcnt(0)
	v_cmp_neq_f32_e32 vcc, 0, v3
	s_and_b64 s[26:27], vcc, exec
	s_or_b64 s[0:1], s[0:1], s[26:27]
.LBB222_336:
	s_mov_b64 s[26:27], 0
.LBB222_337:
	s_andn2_b64 vcc, exec, s[26:27]
	s_cbranch_vccnz .LBB222_339
; %bb.338:
	global_load_ushort v3, v[0:1], off
	s_andn2_b64 s[0:1], s[0:1], exec
	s_waitcnt vmcnt(0)
	v_and_b32_e32 v3, 0x7fff, v3
	v_cmp_ne_u16_e32 vcc, 0, v3
	s_and_b64 s[26:27], vcc, exec
	s_or_b64 s[0:1], s[0:1], s[26:27]
.LBB222_339:
	s_mov_b64 s[26:27], 0
.LBB222_340:
	s_andn2_b64 vcc, exec, s[26:27]
	s_cbranch_vccnz .LBB222_360
; %bb.341:
	s_cmp_lt_i32 s34, 2
	s_cbranch_scc1 .LBB222_345
; %bb.342:
	s_cmp_lt_i32 s34, 3
	s_cbranch_scc1 .LBB222_346
; %bb.343:
	s_cmp_gt_i32 s34, 3
	s_cbranch_scc0 .LBB222_347
; %bb.344:
	global_load_dwordx2 v[3:4], v[0:1], off
	s_mov_b64 s[26:27], 0
	s_waitcnt vmcnt(0)
	v_cmp_ne_u64_e64 s[0:1], 0, v[3:4]
	s_branch .LBB222_348
.LBB222_345:
	s_mov_b64 s[26:27], -1
                                        ; implicit-def: $sgpr0_sgpr1
	s_branch .LBB222_354
.LBB222_346:
	s_mov_b64 s[26:27], -1
                                        ; implicit-def: $sgpr0_sgpr1
	s_branch .LBB222_351
.LBB222_347:
	s_mov_b64 s[26:27], -1
                                        ; implicit-def: $sgpr0_sgpr1
.LBB222_348:
	s_andn2_b64 vcc, exec, s[26:27]
	s_cbranch_vccnz .LBB222_350
; %bb.349:
	global_load_dword v3, v[0:1], off
	s_andn2_b64 s[0:1], s[0:1], exec
	s_waitcnt vmcnt(0)
	v_cmp_ne_u32_e32 vcc, 0, v3
	s_and_b64 s[26:27], vcc, exec
	s_or_b64 s[0:1], s[0:1], s[26:27]
.LBB222_350:
	s_mov_b64 s[26:27], 0
.LBB222_351:
	s_andn2_b64 vcc, exec, s[26:27]
	s_cbranch_vccnz .LBB222_353
; %bb.352:
	global_load_ushort v3, v[0:1], off
	s_andn2_b64 s[0:1], s[0:1], exec
	s_waitcnt vmcnt(0)
	v_cmp_ne_u16_e32 vcc, 0, v3
	s_and_b64 s[26:27], vcc, exec
	s_or_b64 s[0:1], s[0:1], s[26:27]
.LBB222_353:
	s_mov_b64 s[26:27], 0
.LBB222_354:
	s_andn2_b64 vcc, exec, s[26:27]
	s_cbranch_vccnz .LBB222_360
; %bb.355:
	s_cmp_gt_i32 s34, 0
	s_cbranch_scc0 .LBB222_357
; %bb.356:
	global_load_ubyte v3, v[0:1], off
	s_mov_b64 s[26:27], 0
	s_waitcnt vmcnt(0)
	v_cmp_ne_u16_e64 s[0:1], 0, v3
	s_branch .LBB222_358
.LBB222_357:
	s_mov_b64 s[26:27], -1
                                        ; implicit-def: $sgpr0_sgpr1
.LBB222_358:
	s_andn2_b64 vcc, exec, s[26:27]
	s_cbranch_vccnz .LBB222_360
; %bb.359:
	global_load_ubyte v0, v[0:1], off
	s_andn2_b64 s[0:1], s[0:1], exec
	s_waitcnt vmcnt(0)
	v_cmp_ne_u16_e32 vcc, 0, v0
	s_and_b64 s[26:27], vcc, exec
	s_or_b64 s[0:1], s[0:1], s[26:27]
.LBB222_360:
	s_branch .LBB222_246
.LBB222_361:
	s_mov_b64 s[30:31], 0
	s_mov_b64 s[0:1], s[18:19]
                                        ; implicit-def: $vgpr2
	s_branch .LBB222_473
.LBB222_362:
	s_mov_b64 s[30:31], -1
	s_mov_b64 s[26:27], 0
	s_mov_b64 s[0:1], s[18:19]
.LBB222_363:
	s_and_b64 vcc, exec, s[30:31]
	s_cbranch_vccz .LBB222_368
; %bb.364:
	s_cmp_eq_u32 s37, 44
	s_mov_b64 s[0:1], -1
	s_cbranch_scc0 .LBB222_368
; %bb.365:
	v_cndmask_b32_e64 v4, 0, 1.0, s[24:25]
	v_lshrrev_b32_e32 v3, 23, v4
	s_movk_i32 s0, 0xff
	v_cmp_ne_u32_e32 vcc, s0, v3
	v_mov_b32_e32 v5, 0xff
	s_and_saveexec_b64 s[26:27], vcc
; %bb.366:
	s_mov_b32 s0, 0x3fffff
	v_and_b32_e32 v5, 0x400000, v4
	v_and_or_b32 v4, v4, s0, v3
	v_cmp_ne_u32_e32 vcc, 0, v5
	v_cmp_ne_u32_e64 s[0:1], 0, v4
	s_and_b64 s[0:1], vcc, s[0:1]
	v_cndmask_b32_e64 v4, 0, 1, s[0:1]
	v_add_u32_e32 v5, v3, v4
; %bb.367:
	s_or_b64 exec, exec, s[26:27]
	s_mov_b64 s[26:27], -1
	s_mov_b64 s[0:1], 0
	global_store_byte v[0:1], v5, off
.LBB222_368:
	s_mov_b64 s[30:31], 0
.LBB222_369:
	s_and_b64 vcc, exec, s[30:31]
	s_cbranch_vccz .LBB222_372
; %bb.370:
	s_cmp_eq_u32 s37, 29
	s_mov_b64 s[0:1], -1
	s_cbranch_scc0 .LBB222_372
; %bb.371:
	s_mov_b32 s0, 0
	v_cndmask_b32_e64 v3, 0, 1, s[24:25]
	v_mov_b32_e32 v4, s0
	global_store_dwordx2 v[0:1], v[3:4], off
	s_mov_b64 s[26:27], -1
	s_mov_b64 s[0:1], 0
.LBB222_372:
	s_mov_b64 s[30:31], 0
.LBB222_373:
	s_and_b64 vcc, exec, s[30:31]
	s_cbranch_vccz .LBB222_389
; %bb.374:
	s_cmp_lt_i32 s37, 27
	s_mov_b64 s[26:27], -1
	s_cbranch_scc1 .LBB222_380
; %bb.375:
	s_cmp_gt_i32 s37, 27
	s_cbranch_scc0 .LBB222_377
; %bb.376:
	v_cndmask_b32_e64 v3, 0, 1, s[24:25]
	s_mov_b64 s[26:27], 0
	global_store_dword v[0:1], v3, off
.LBB222_377:
	s_andn2_b64 vcc, exec, s[26:27]
	s_cbranch_vccnz .LBB222_379
; %bb.378:
	v_cndmask_b32_e64 v3, 0, 1, s[24:25]
	global_store_short v[0:1], v3, off
.LBB222_379:
	s_mov_b64 s[26:27], 0
.LBB222_380:
	s_andn2_b64 vcc, exec, s[26:27]
	s_cbranch_vccnz .LBB222_388
; %bb.381:
	v_cndmask_b32_e64 v4, 0, 1.0, s[24:25]
	s_mov_b32 s26, 0x43800000
	v_cmp_gt_u32_e32 vcc, s26, v4
	v_mov_b32_e32 v5, 0x80
	s_and_saveexec_b64 s[26:27], vcc
	s_cbranch_execz .LBB222_387
; %bb.382:
	s_mov_b32 s30, 0x3bffffff
	v_cmp_lt_u32_e32 vcc, s30, v4
	s_mov_b64 s[30:31], 0
                                        ; implicit-def: $vgpr3
	s_and_saveexec_b64 s[34:35], vcc
	s_xor_b64 s[34:35], exec, s[34:35]
	s_cbranch_execz .LBB222_487
; %bb.383:
	v_bfe_u32 v3, v4, 20, 1
	s_mov_b32 s38, 0x487ffff
	v_add3_u32 v3, v4, v3, s38
	s_mov_b64 s[30:31], exec
	v_lshrrev_b32_e32 v3, 20, v3
                                        ; implicit-def: $vgpr4
	s_andn2_saveexec_b64 s[34:35], s[34:35]
	s_cbranch_execnz .LBB222_488
.LBB222_384:
	s_or_b64 exec, exec, s[34:35]
	v_mov_b32_e32 v5, 0
	s_and_saveexec_b64 s[34:35], s[30:31]
.LBB222_385:
	v_mov_b32_e32 v5, v3
.LBB222_386:
	s_or_b64 exec, exec, s[34:35]
.LBB222_387:
	s_or_b64 exec, exec, s[26:27]
	global_store_byte v[0:1], v5, off
.LBB222_388:
	s_mov_b64 s[26:27], -1
.LBB222_389:
	s_mov_b64 s[30:31], 0
.LBB222_390:
	s_and_b64 vcc, exec, s[30:31]
	s_cbranch_vccz .LBB222_431
; %bb.391:
	s_cmp_gt_i32 s37, 22
	s_mov_b64 s[30:31], -1
	s_cbranch_scc0 .LBB222_423
; %bb.392:
	s_cmp_lt_i32 s37, 24
	s_mov_b64 s[26:27], -1
	s_cbranch_scc1 .LBB222_412
; %bb.393:
	s_cmp_gt_i32 s37, 24
	s_cbranch_scc0 .LBB222_401
; %bb.394:
	v_cndmask_b32_e64 v4, 0, 1.0, s[24:25]
	s_mov_b32 s26, 0x47800000
	v_cmp_gt_u32_e32 vcc, s26, v4
	v_mov_b32_e32 v5, 0x80
	s_and_saveexec_b64 s[26:27], vcc
	s_cbranch_execz .LBB222_400
; %bb.395:
	s_mov_b32 s30, 0x37ffffff
	v_cmp_lt_u32_e32 vcc, s30, v4
	s_mov_b64 s[30:31], 0
                                        ; implicit-def: $vgpr3
	s_and_saveexec_b64 s[34:35], vcc
	s_xor_b64 s[34:35], exec, s[34:35]
	s_cbranch_execz .LBB222_490
; %bb.396:
	v_bfe_u32 v3, v4, 21, 1
	s_mov_b32 s38, 0x88fffff
	v_add3_u32 v3, v4, v3, s38
	s_mov_b64 s[30:31], exec
	v_lshrrev_b32_e32 v3, 21, v3
                                        ; implicit-def: $vgpr4
	s_andn2_saveexec_b64 s[34:35], s[34:35]
	s_cbranch_execnz .LBB222_491
.LBB222_397:
	s_or_b64 exec, exec, s[34:35]
	v_mov_b32_e32 v5, 0
	s_and_saveexec_b64 s[34:35], s[30:31]
.LBB222_398:
	v_mov_b32_e32 v5, v3
.LBB222_399:
	s_or_b64 exec, exec, s[34:35]
.LBB222_400:
	s_or_b64 exec, exec, s[26:27]
	s_mov_b64 s[26:27], 0
	global_store_byte v[0:1], v5, off
.LBB222_401:
	s_and_b64 vcc, exec, s[26:27]
	s_cbranch_vccz .LBB222_411
; %bb.402:
	v_cndmask_b32_e64 v3, 0, 1.0, s[24:25]
	s_mov_b32 s26, 0x43f00000
	v_cmp_gt_u32_e32 vcc, s26, v3
                                        ; implicit-def: $vgpr4
	s_and_saveexec_b64 s[26:27], vcc
	s_xor_b64 s[26:27], exec, s[26:27]
	s_cbranch_execz .LBB222_408
; %bb.403:
	s_mov_b32 s30, 0x3c7fffff
	v_cmp_lt_u32_e32 vcc, s30, v3
                                        ; implicit-def: $vgpr4
	s_and_saveexec_b64 s[30:31], vcc
	s_xor_b64 s[30:31], exec, s[30:31]
; %bb.404:
	v_bfe_u32 v4, v3, 20, 1
	s_mov_b32 s34, 0x407ffff
	v_add3_u32 v3, v3, v4, s34
	v_lshrrev_b32_e32 v4, 20, v3
	v_and_b32_e32 v3, 0xff00000, v3
	s_mov_b32 s34, 0x7f00000
	v_mov_b32_e32 v5, 0x7e
	v_cmp_ne_u32_e32 vcc, s34, v3
	v_cndmask_b32_e32 v4, v5, v4, vcc
                                        ; implicit-def: $vgpr3
; %bb.405:
	s_andn2_saveexec_b64 s[30:31], s[30:31]
; %bb.406:
	v_add_f32_e32 v4, 0x46800000, v3
; %bb.407:
	s_or_b64 exec, exec, s[30:31]
                                        ; implicit-def: $vgpr3
.LBB222_408:
	s_andn2_saveexec_b64 s[26:27], s[26:27]
; %bb.409:
	s_mov_b32 s30, 0x7f800000
	v_mov_b32_e32 v4, 0x7e
	v_mov_b32_e32 v5, 0x7f
	v_cmp_lt_u32_e32 vcc, s30, v3
	v_cndmask_b32_e32 v4, v4, v5, vcc
; %bb.410:
	s_or_b64 exec, exec, s[26:27]
	global_store_byte v[0:1], v4, off
.LBB222_411:
	s_mov_b64 s[26:27], 0
.LBB222_412:
	s_andn2_b64 vcc, exec, s[26:27]
	s_cbranch_vccnz .LBB222_422
; %bb.413:
	v_cndmask_b32_e64 v3, 0, 1.0, s[24:25]
	s_mov_b32 s26, 0x47800000
	v_cmp_gt_u32_e32 vcc, s26, v3
                                        ; implicit-def: $vgpr4
	s_and_saveexec_b64 s[26:27], vcc
	s_xor_b64 s[26:27], exec, s[26:27]
	s_cbranch_execz .LBB222_419
; %bb.414:
	s_mov_b32 s30, 0x387fffff
	v_cmp_lt_u32_e32 vcc, s30, v3
                                        ; implicit-def: $vgpr4
	s_and_saveexec_b64 s[30:31], vcc
	s_xor_b64 s[30:31], exec, s[30:31]
; %bb.415:
	v_bfe_u32 v4, v3, 21, 1
	s_mov_b32 s34, 0x80fffff
	v_add3_u32 v3, v3, v4, s34
	v_lshrrev_b32_e32 v4, 21, v3
                                        ; implicit-def: $vgpr3
; %bb.416:
	s_andn2_saveexec_b64 s[30:31], s[30:31]
; %bb.417:
	v_add_f32_e32 v4, 0x43000000, v3
; %bb.418:
	s_or_b64 exec, exec, s[30:31]
                                        ; implicit-def: $vgpr3
.LBB222_419:
	s_andn2_saveexec_b64 s[26:27], s[26:27]
; %bb.420:
	s_mov_b32 s30, 0x7f800000
	v_mov_b32_e32 v4, 0x7c
	v_mov_b32_e32 v5, 0x7f
	v_cmp_lt_u32_e32 vcc, s30, v3
	v_cndmask_b32_e32 v4, v4, v5, vcc
; %bb.421:
	s_or_b64 exec, exec, s[26:27]
	global_store_byte v[0:1], v4, off
.LBB222_422:
	s_mov_b64 s[30:31], 0
	s_mov_b64 s[26:27], -1
.LBB222_423:
	s_andn2_b64 vcc, exec, s[30:31]
	s_cbranch_vccnz .LBB222_431
; %bb.424:
	s_cmp_gt_i32 s37, 14
	s_mov_b64 s[30:31], -1
	s_cbranch_scc0 .LBB222_428
; %bb.425:
	s_cmp_eq_u32 s37, 15
	s_mov_b64 s[0:1], -1
	s_cbranch_scc0 .LBB222_427
; %bb.426:
	v_cndmask_b32_e64 v3, 0, 1.0, s[24:25]
	v_bfe_u32 v4, v3, 16, 1
	s_movk_i32 s0, 0x7fff
	v_add3_u32 v3, v3, v4, s0
	global_store_short_d16_hi v[0:1], v3, off
	s_mov_b64 s[26:27], -1
	s_mov_b64 s[0:1], 0
.LBB222_427:
	s_mov_b64 s[30:31], 0
.LBB222_428:
	s_and_b64 vcc, exec, s[30:31]
	s_cbranch_vccz .LBB222_431
; %bb.429:
	s_cmp_eq_u32 s37, 11
	s_mov_b64 s[0:1], -1
	s_cbranch_scc0 .LBB222_431
; %bb.430:
	v_cndmask_b32_e64 v3, 0, 1, s[24:25]
	s_mov_b64 s[26:27], -1
	s_mov_b64 s[0:1], 0
	global_store_byte v[0:1], v3, off
.LBB222_431:
	s_mov_b64 s[30:31], 0
.LBB222_432:
	s_and_b64 vcc, exec, s[30:31]
	s_cbranch_vccz .LBB222_471
; %bb.433:
	s_and_b32 s30, 0xffff, s36
	s_cmp_lt_i32 s30, 5
	s_mov_b64 s[26:27], -1
	s_cbranch_scc1 .LBB222_454
; %bb.434:
	s_cmp_lt_i32 s30, 8
	s_cbranch_scc1 .LBB222_444
; %bb.435:
	s_cmp_lt_i32 s30, 9
	s_cbranch_scc1 .LBB222_441
; %bb.436:
	s_cmp_gt_i32 s30, 9
	s_cbranch_scc0 .LBB222_438
; %bb.437:
	v_cndmask_b32_e64 v3, 0, 1, s[24:25]
	v_cvt_f64_u32_e32 v[3:4], v3
	v_mov_b32_e32 v5, 0
	v_mov_b32_e32 v6, v5
	s_mov_b64 s[26:27], 0
	global_store_dwordx4 v[0:1], v[3:6], off
.LBB222_438:
	s_andn2_b64 vcc, exec, s[26:27]
	s_cbranch_vccnz .LBB222_440
; %bb.439:
	v_cndmask_b32_e64 v3, 0, 1.0, s[24:25]
	v_mov_b32_e32 v4, 0
	global_store_dwordx2 v[0:1], v[3:4], off
.LBB222_440:
	s_mov_b64 s[26:27], 0
.LBB222_441:
	s_andn2_b64 vcc, exec, s[26:27]
	s_cbranch_vccnz .LBB222_443
; %bb.442:
	v_cndmask_b32_e64 v3, 0, 1.0, s[24:25]
	v_cvt_f16_f32_e32 v3, v3
	global_store_dword v[0:1], v3, off
.LBB222_443:
	s_mov_b64 s[26:27], 0
.LBB222_444:
	s_andn2_b64 vcc, exec, s[26:27]
	s_cbranch_vccnz .LBB222_453
; %bb.445:
	s_cmp_lt_i32 s30, 6
	s_mov_b64 s[26:27], -1
	s_cbranch_scc1 .LBB222_451
; %bb.446:
	s_cmp_gt_i32 s30, 6
	s_cbranch_scc0 .LBB222_448
; %bb.447:
	v_cndmask_b32_e64 v3, 0, 1, s[24:25]
	v_cvt_f64_u32_e32 v[3:4], v3
	s_mov_b64 s[26:27], 0
	global_store_dwordx2 v[0:1], v[3:4], off
.LBB222_448:
	s_andn2_b64 vcc, exec, s[26:27]
	s_cbranch_vccnz .LBB222_450
; %bb.449:
	v_cndmask_b32_e64 v3, 0, 1.0, s[24:25]
	global_store_dword v[0:1], v3, off
.LBB222_450:
	s_mov_b64 s[26:27], 0
.LBB222_451:
	s_andn2_b64 vcc, exec, s[26:27]
	s_cbranch_vccnz .LBB222_453
; %bb.452:
	v_cndmask_b32_e64 v3, 0, 1.0, s[24:25]
	v_cvt_f16_f32_e32 v3, v3
	global_store_short v[0:1], v3, off
.LBB222_453:
	s_mov_b64 s[26:27], 0
.LBB222_454:
	s_andn2_b64 vcc, exec, s[26:27]
	s_cbranch_vccnz .LBB222_470
; %bb.455:
	s_cmp_lt_i32 s30, 2
	s_mov_b64 s[26:27], -1
	s_cbranch_scc1 .LBB222_465
; %bb.456:
	s_cmp_lt_i32 s30, 3
	s_cbranch_scc1 .LBB222_462
; %bb.457:
	s_cmp_gt_i32 s30, 3
	s_cbranch_scc0 .LBB222_459
; %bb.458:
	s_mov_b32 s26, 0
	v_cndmask_b32_e64 v3, 0, 1, s[24:25]
	v_mov_b32_e32 v4, s26
	s_mov_b64 s[26:27], 0
	global_store_dwordx2 v[0:1], v[3:4], off
.LBB222_459:
	s_andn2_b64 vcc, exec, s[26:27]
	s_cbranch_vccnz .LBB222_461
; %bb.460:
	v_cndmask_b32_e64 v3, 0, 1, s[24:25]
	global_store_dword v[0:1], v3, off
.LBB222_461:
	s_mov_b64 s[26:27], 0
.LBB222_462:
	s_andn2_b64 vcc, exec, s[26:27]
	s_cbranch_vccnz .LBB222_464
; %bb.463:
	v_cndmask_b32_e64 v3, 0, 1, s[24:25]
	global_store_short v[0:1], v3, off
.LBB222_464:
	s_mov_b64 s[26:27], 0
.LBB222_465:
	s_andn2_b64 vcc, exec, s[26:27]
	s_cbranch_vccnz .LBB222_470
; %bb.466:
	s_mov_b64 s[26:27], -1
	s_cmp_gt_i32 s30, 0
	v_cndmask_b32_e64 v3, 0, 1, s[24:25]
	s_cbranch_scc0 .LBB222_468
; %bb.467:
	s_mov_b64 s[26:27], 0
	global_store_byte v[0:1], v3, off
.LBB222_468:
	s_andn2_b64 vcc, exec, s[26:27]
	s_cbranch_vccnz .LBB222_470
; %bb.469:
	global_store_byte v[0:1], v3, off
.LBB222_470:
	s_mov_b64 s[26:27], -1
.LBB222_471:
	s_mov_b64 s[24:25], 0
	s_andn2_b64 vcc, exec, s[26:27]
	s_mov_b64 s[30:31], 0
	s_cbranch_vccnz .LBB222_473
; %bb.472:
	v_add_u32_e32 v2, 0x80, v2
	s_mov_b64 s[30:31], -1
.LBB222_473:
	s_andn2_b64 s[26:27], s[18:19], exec
	s_and_b64 s[0:1], s[0:1], exec
	s_or_b64 s[26:27], s[26:27], s[0:1]
	s_andn2_b64 s[0:1], s[20:21], exec
	s_and_b64 s[24:25], s[24:25], exec
	s_or_b64 s[24:25], s[0:1], s[24:25]
	s_orn2_b64 s[0:1], s[30:31], exec
.LBB222_474:
	s_or_b64 exec, exec, s[28:29]
	s_mov_b64 s[34:35], 0
	s_mov_b64 s[36:37], 0
	s_mov_b64 s[38:39], 0
                                        ; implicit-def: $sgpr30_sgpr31
                                        ; implicit-def: $vgpr0_vgpr1
	s_and_saveexec_b64 s[28:29], s[0:1]
	s_cbranch_execz .LBB222_782
; %bb.475:
	v_cmp_gt_i32_e32 vcc, s33, v2
	s_mov_b64 s[42:43], -1
	s_mov_b64 s[0:1], s[24:25]
	s_mov_b64 s[36:37], s[26:27]
	s_and_saveexec_b64 s[30:31], vcc
	s_cbranch_execz .LBB222_714
; %bb.476:
	v_mul_lo_u32 v0, v2, s13
	v_mov_b32_e32 v1, s11
	s_and_b32 s40, 0xffff, s15
	s_cmp_lt_i32 s40, 11
	v_ashrrev_i32_e32 v3, 31, v0
	v_add_co_u32_e32 v0, vcc, s10, v0
	v_addc_co_u32_e32 v1, vcc, v1, v3, vcc
	s_cbranch_scc1 .LBB222_483
; %bb.477:
	s_cmp_gt_i32 s40, 25
	s_cbranch_scc0 .LBB222_484
; %bb.478:
	s_cmp_gt_i32 s40, 28
	s_cbranch_scc0 .LBB222_485
	;; [unrolled: 3-line block ×4, first 2 shown]
; %bb.481:
	s_cmp_eq_u32 s40, 46
	s_cbranch_scc0 .LBB222_492
; %bb.482:
	global_load_dword v3, v[0:1], off
	s_mov_b64 s[36:37], -1
	s_waitcnt vmcnt(0)
	v_and_b32_e32 v3, 0x7fff7fff, v3
	v_cmp_ne_u32_e64 s[0:1], 0, v3
	s_branch .LBB222_493
.LBB222_483:
	s_mov_b64 s[38:39], -1
	s_mov_b64 s[36:37], 0
                                        ; implicit-def: $sgpr0_sgpr1
	s_mov_b64 s[34:35], s[24:25]
	s_branch .LBB222_540
.LBB222_484:
	s_mov_b64 s[38:39], -1
	s_mov_b64 s[36:37], 0
	s_mov_b64 s[34:35], s[24:25]
                                        ; implicit-def: $sgpr0_sgpr1
	s_branch .LBB222_514
.LBB222_485:
	s_mov_b64 s[38:39], -1
	s_mov_b64 s[36:37], 0
	s_mov_b64 s[34:35], s[24:25]
                                        ; implicit-def: $sgpr0_sgpr1
	s_branch .LBB222_501
.LBB222_486:
	s_mov_b64 s[38:39], -1
	s_mov_b64 s[36:37], 0
	s_mov_b64 s[34:35], s[24:25]
                                        ; implicit-def: $sgpr0_sgpr1
	s_branch .LBB222_496
.LBB222_487:
	s_andn2_saveexec_b64 s[34:35], s[34:35]
	s_cbranch_execz .LBB222_384
.LBB222_488:
	v_add_f32_e32 v3, 0x46000000, v4
	v_and_b32_e32 v3, 0xff, v3
	v_cmp_ne_u32_e32 vcc, 0, v3
	s_andn2_b64 s[30:31], s[30:31], exec
	s_and_b64 s[38:39], vcc, exec
	s_or_b64 s[30:31], s[30:31], s[38:39]
	s_or_b64 exec, exec, s[34:35]
	v_mov_b32_e32 v5, 0
	s_and_saveexec_b64 s[34:35], s[30:31]
	s_cbranch_execnz .LBB222_385
	s_branch .LBB222_386
.LBB222_489:
	s_mov_b64 s[38:39], -1
	s_mov_b64 s[36:37], 0
	s_mov_b64 s[34:35], s[24:25]
                                        ; implicit-def: $sgpr0_sgpr1
	s_branch .LBB222_493
.LBB222_490:
	s_andn2_saveexec_b64 s[34:35], s[34:35]
	s_cbranch_execz .LBB222_397
.LBB222_491:
	v_add_f32_e32 v3, 0x42800000, v4
	v_and_b32_e32 v3, 0xff, v3
	v_cmp_ne_u32_e32 vcc, 0, v3
	s_andn2_b64 s[30:31], s[30:31], exec
	s_and_b64 s[38:39], vcc, exec
	s_or_b64 s[30:31], s[30:31], s[38:39]
	s_or_b64 exec, exec, s[34:35]
	v_mov_b32_e32 v5, 0
	s_and_saveexec_b64 s[34:35], s[30:31]
	s_cbranch_execnz .LBB222_398
	s_branch .LBB222_399
.LBB222_492:
	s_mov_b64 s[34:35], -1
                                        ; implicit-def: $sgpr0_sgpr1
	s_mov_b64 s[36:37], 0
.LBB222_493:
	s_and_b64 vcc, exec, s[38:39]
	s_cbranch_vccz .LBB222_495
; %bb.494:
	s_cmp_eq_u32 s40, 44
	s_cselect_b64 s[36:37], -1, 0
	s_or_b64 s[0:1], s[0:1], exec
	s_or_b64 s[34:35], s[34:35], exec
.LBB222_495:
	s_mov_b64 s[38:39], 0
.LBB222_496:
	s_and_b64 vcc, exec, s[38:39]
	s_cbranch_vccz .LBB222_500
; %bb.497:
	s_cmp_eq_u32 s40, 29
	s_cbranch_scc0 .LBB222_499
; %bb.498:
	global_load_dwordx2 v[3:4], v[0:1], off
	s_mov_b64 s[34:35], 0
	s_mov_b64 s[36:37], -1
	s_mov_b64 s[38:39], 0
	s_waitcnt vmcnt(0)
	v_cmp_ne_u64_e64 s[0:1], 0, v[3:4]
	s_branch .LBB222_501
.LBB222_499:
	s_mov_b64 s[34:35], -1
                                        ; implicit-def: $sgpr0_sgpr1
.LBB222_500:
	s_mov_b64 s[38:39], 0
.LBB222_501:
	s_and_b64 vcc, exec, s[38:39]
	s_cbranch_vccz .LBB222_513
; %bb.502:
	s_cmp_lt_i32 s40, 27
	s_cbranch_scc1 .LBB222_505
; %bb.503:
	s_cmp_gt_i32 s40, 27
	s_cbranch_scc0 .LBB222_506
; %bb.504:
	global_load_dword v3, v[0:1], off
	s_mov_b64 s[36:37], 0
	s_waitcnt vmcnt(0)
	v_cmp_ne_u32_e64 s[0:1], 0, v3
	s_branch .LBB222_507
.LBB222_505:
	s_mov_b64 s[36:37], -1
                                        ; implicit-def: $sgpr0_sgpr1
	s_branch .LBB222_510
.LBB222_506:
	s_mov_b64 s[36:37], -1
                                        ; implicit-def: $sgpr0_sgpr1
.LBB222_507:
	s_andn2_b64 vcc, exec, s[36:37]
	s_cbranch_vccnz .LBB222_509
; %bb.508:
	global_load_ushort v3, v[0:1], off
	s_andn2_b64 s[0:1], s[0:1], exec
	s_waitcnt vmcnt(0)
	v_cmp_ne_u16_e32 vcc, 0, v3
	s_and_b64 s[36:37], vcc, exec
	s_or_b64 s[0:1], s[0:1], s[36:37]
.LBB222_509:
	s_mov_b64 s[36:37], 0
.LBB222_510:
	s_andn2_b64 vcc, exec, s[36:37]
	s_cbranch_vccnz .LBB222_512
; %bb.511:
	global_load_ubyte v3, v[0:1], off
	s_andn2_b64 s[0:1], s[0:1], exec
	s_waitcnt vmcnt(0)
	v_cmp_ne_u16_e32 vcc, 0, v3
	s_and_b64 s[36:37], vcc, exec
	s_or_b64 s[0:1], s[0:1], s[36:37]
.LBB222_512:
	s_mov_b64 s[36:37], -1
.LBB222_513:
	s_mov_b64 s[38:39], 0
.LBB222_514:
	s_and_b64 vcc, exec, s[38:39]
	s_cbranch_vccz .LBB222_539
; %bb.515:
	s_cmp_gt_i32 s40, 22
	s_cbranch_scc0 .LBB222_519
; %bb.516:
	s_cmp_lt_i32 s40, 24
	s_cbranch_scc1 .LBB222_520
; %bb.517:
	s_cmp_gt_i32 s40, 24
	s_cbranch_scc0 .LBB222_521
; %bb.518:
	global_load_ubyte v3, v[0:1], off
	s_mov_b64 s[36:37], 0
	s_waitcnt vmcnt(0)
	v_cmp_ne_u16_e64 s[0:1], 0, v3
	s_branch .LBB222_522
.LBB222_519:
	s_mov_b64 s[38:39], -1
                                        ; implicit-def: $sgpr0_sgpr1
	s_branch .LBB222_528
.LBB222_520:
	s_mov_b64 s[36:37], -1
                                        ; implicit-def: $sgpr0_sgpr1
	s_branch .LBB222_525
.LBB222_521:
	s_mov_b64 s[36:37], -1
                                        ; implicit-def: $sgpr0_sgpr1
.LBB222_522:
	s_andn2_b64 vcc, exec, s[36:37]
	s_cbranch_vccnz .LBB222_524
; %bb.523:
	global_load_ubyte v3, v[0:1], off
	s_andn2_b64 s[0:1], s[0:1], exec
	s_waitcnt vmcnt(0)
	v_and_b32_e32 v3, 0x7f, v3
	v_cmp_ne_u16_e32 vcc, 0, v3
	s_and_b64 s[36:37], vcc, exec
	s_or_b64 s[0:1], s[0:1], s[36:37]
.LBB222_524:
	s_mov_b64 s[36:37], 0
.LBB222_525:
	s_andn2_b64 vcc, exec, s[36:37]
	s_cbranch_vccnz .LBB222_527
; %bb.526:
	global_load_ubyte v3, v[0:1], off
	s_movk_i32 s36, 0x7f00
	s_brev_b32 s37, 16
	s_andn2_b64 s[0:1], s[0:1], exec
	s_waitcnt vmcnt(0)
	v_lshlrev_b32_e32 v4, 8, v3
	v_lshlrev_b32_e32 v3, 25, v3
	v_lshrrev_b32_e32 v5, 4, v3
	v_and_or_b32 v4, v4, s36, 0.5
	v_or_b32_e32 v5, 0x70000000, v5
	v_add_f32_e32 v4, -0.5, v4
	v_mul_f32_e32 v5, 0x7800000, v5
	v_cmp_gt_u32_e32 vcc, s37, v3
	v_cndmask_b32_e32 v3, v5, v4, vcc
	v_cmp_neq_f32_e32 vcc, 0, v3
	s_and_b64 s[36:37], vcc, exec
	s_or_b64 s[0:1], s[0:1], s[36:37]
.LBB222_527:
	s_mov_b64 s[38:39], 0
	s_mov_b64 s[36:37], -1
.LBB222_528:
	s_andn2_b64 vcc, exec, s[38:39]
	s_cbranch_vccnz .LBB222_539
; %bb.529:
	s_cmp_gt_i32 s40, 14
	s_cbranch_scc0 .LBB222_532
; %bb.530:
	s_cmp_eq_u32 s40, 15
	s_cbranch_scc0 .LBB222_533
; %bb.531:
	global_load_ushort v3, v[0:1], off
	s_mov_b64 s[36:37], -1
	s_mov_b64 s[34:35], 0
	s_waitcnt vmcnt(0)
	v_and_b32_e32 v3, 0x7fff, v3
	v_cmp_ne_u16_e64 s[0:1], 0, v3
	s_branch .LBB222_534
.LBB222_532:
	s_mov_b64 s[38:39], -1
                                        ; implicit-def: $sgpr0_sgpr1
	s_branch .LBB222_535
.LBB222_533:
	s_mov_b64 s[34:35], -1
                                        ; implicit-def: $sgpr0_sgpr1
.LBB222_534:
	s_mov_b64 s[38:39], 0
.LBB222_535:
	s_and_b64 vcc, exec, s[38:39]
	s_cbranch_vccz .LBB222_539
; %bb.536:
	s_cmp_eq_u32 s40, 11
	s_cbranch_scc0 .LBB222_538
; %bb.537:
	global_load_ubyte v3, v[0:1], off
	s_mov_b64 s[36:37], -1
	s_mov_b64 s[34:35], 0
	s_waitcnt vmcnt(0)
	v_cmp_ne_u16_e64 s[0:1], 0, v3
	s_branch .LBB222_539
.LBB222_538:
	s_mov_b64 s[34:35], -1
                                        ; implicit-def: $sgpr0_sgpr1
.LBB222_539:
	s_mov_b64 s[38:39], 0
.LBB222_540:
	s_and_b64 vcc, exec, s[38:39]
	s_cbranch_vccz .LBB222_589
; %bb.541:
	s_cmp_lt_i32 s40, 5
	s_cbranch_scc1 .LBB222_546
; %bb.542:
	s_cmp_lt_i32 s40, 8
	s_cbranch_scc1 .LBB222_547
	;; [unrolled: 3-line block ×3, first 2 shown]
; %bb.544:
	s_cmp_gt_i32 s40, 9
	s_cbranch_scc0 .LBB222_549
; %bb.545:
	global_load_dwordx4 v[3:6], v[0:1], off
	s_mov_b64 s[36:37], 0
	s_waitcnt vmcnt(0)
	v_cmp_neq_f64_e32 vcc, 0, v[3:4]
	v_cmp_neq_f64_e64 s[0:1], 0, v[5:6]
	s_or_b64 s[0:1], vcc, s[0:1]
	s_branch .LBB222_550
.LBB222_546:
	s_mov_b64 s[36:37], -1
                                        ; implicit-def: $sgpr0_sgpr1
	s_branch .LBB222_568
.LBB222_547:
	s_mov_b64 s[36:37], -1
                                        ; implicit-def: $sgpr0_sgpr1
	s_branch .LBB222_556
.LBB222_548:
	s_mov_b64 s[36:37], -1
                                        ; implicit-def: $sgpr0_sgpr1
	s_branch .LBB222_553
.LBB222_549:
	s_mov_b64 s[36:37], -1
                                        ; implicit-def: $sgpr0_sgpr1
.LBB222_550:
	s_andn2_b64 vcc, exec, s[36:37]
	s_cbranch_vccnz .LBB222_552
; %bb.551:
	global_load_dwordx2 v[3:4], v[0:1], off
	s_andn2_b64 s[0:1], s[0:1], exec
	s_waitcnt vmcnt(0)
	v_or_b32_e32 v3, v3, v4
	v_and_b32_e32 v3, 0x7fffffff, v3
	v_cmp_ne_u32_e32 vcc, 0, v3
	s_and_b64 s[36:37], vcc, exec
	s_or_b64 s[0:1], s[0:1], s[36:37]
.LBB222_552:
	s_mov_b64 s[36:37], 0
.LBB222_553:
	s_andn2_b64 vcc, exec, s[36:37]
	s_cbranch_vccnz .LBB222_555
; %bb.554:
	global_load_dword v3, v[0:1], off
	s_andn2_b64 s[0:1], s[0:1], exec
	s_waitcnt vmcnt(0)
	v_and_b32_e32 v3, 0x7fff7fff, v3
	v_cmp_ne_u32_e32 vcc, 0, v3
	s_and_b64 s[36:37], vcc, exec
	s_or_b64 s[0:1], s[0:1], s[36:37]
.LBB222_555:
	s_mov_b64 s[36:37], 0
.LBB222_556:
	s_andn2_b64 vcc, exec, s[36:37]
	s_cbranch_vccnz .LBB222_567
; %bb.557:
	s_cmp_lt_i32 s40, 6
	s_cbranch_scc1 .LBB222_560
; %bb.558:
	s_cmp_gt_i32 s40, 6
	s_cbranch_scc0 .LBB222_561
; %bb.559:
	global_load_dwordx2 v[3:4], v[0:1], off
	s_mov_b64 s[36:37], 0
	s_waitcnt vmcnt(0)
	v_cmp_neq_f64_e64 s[0:1], 0, v[3:4]
	s_branch .LBB222_562
.LBB222_560:
	s_mov_b64 s[36:37], -1
                                        ; implicit-def: $sgpr0_sgpr1
	s_branch .LBB222_565
.LBB222_561:
	s_mov_b64 s[36:37], -1
                                        ; implicit-def: $sgpr0_sgpr1
.LBB222_562:
	s_andn2_b64 vcc, exec, s[36:37]
	s_cbranch_vccnz .LBB222_564
; %bb.563:
	global_load_dword v3, v[0:1], off
	s_andn2_b64 s[0:1], s[0:1], exec
	s_waitcnt vmcnt(0)
	v_cmp_neq_f32_e32 vcc, 0, v3
	s_and_b64 s[36:37], vcc, exec
	s_or_b64 s[0:1], s[0:1], s[36:37]
.LBB222_564:
	s_mov_b64 s[36:37], 0
.LBB222_565:
	s_andn2_b64 vcc, exec, s[36:37]
	s_cbranch_vccnz .LBB222_567
; %bb.566:
	global_load_ushort v3, v[0:1], off
	s_andn2_b64 s[0:1], s[0:1], exec
	s_waitcnt vmcnt(0)
	v_and_b32_e32 v3, 0x7fff, v3
	v_cmp_ne_u16_e32 vcc, 0, v3
	s_and_b64 s[36:37], vcc, exec
	s_or_b64 s[0:1], s[0:1], s[36:37]
.LBB222_567:
	s_mov_b64 s[36:37], 0
.LBB222_568:
	s_andn2_b64 vcc, exec, s[36:37]
	s_cbranch_vccnz .LBB222_588
; %bb.569:
	s_cmp_lt_i32 s40, 2
	s_cbranch_scc1 .LBB222_573
; %bb.570:
	s_cmp_lt_i32 s40, 3
	s_cbranch_scc1 .LBB222_574
; %bb.571:
	s_cmp_gt_i32 s40, 3
	s_cbranch_scc0 .LBB222_575
; %bb.572:
	global_load_dwordx2 v[3:4], v[0:1], off
	s_mov_b64 s[36:37], 0
	s_waitcnt vmcnt(0)
	v_cmp_ne_u64_e64 s[0:1], 0, v[3:4]
	s_branch .LBB222_576
.LBB222_573:
	s_mov_b64 s[36:37], -1
                                        ; implicit-def: $sgpr0_sgpr1
	s_branch .LBB222_582
.LBB222_574:
	s_mov_b64 s[36:37], -1
                                        ; implicit-def: $sgpr0_sgpr1
	s_branch .LBB222_579
.LBB222_575:
	s_mov_b64 s[36:37], -1
                                        ; implicit-def: $sgpr0_sgpr1
.LBB222_576:
	s_andn2_b64 vcc, exec, s[36:37]
	s_cbranch_vccnz .LBB222_578
; %bb.577:
	global_load_dword v3, v[0:1], off
	s_andn2_b64 s[0:1], s[0:1], exec
	s_waitcnt vmcnt(0)
	v_cmp_ne_u32_e32 vcc, 0, v3
	s_and_b64 s[36:37], vcc, exec
	s_or_b64 s[0:1], s[0:1], s[36:37]
.LBB222_578:
	s_mov_b64 s[36:37], 0
.LBB222_579:
	s_andn2_b64 vcc, exec, s[36:37]
	s_cbranch_vccnz .LBB222_581
; %bb.580:
	global_load_ushort v3, v[0:1], off
	s_andn2_b64 s[0:1], s[0:1], exec
	s_waitcnt vmcnt(0)
	v_cmp_ne_u16_e32 vcc, 0, v3
	s_and_b64 s[36:37], vcc, exec
	s_or_b64 s[0:1], s[0:1], s[36:37]
.LBB222_581:
	s_mov_b64 s[36:37], 0
.LBB222_582:
	s_andn2_b64 vcc, exec, s[36:37]
	s_cbranch_vccnz .LBB222_588
; %bb.583:
	s_cmp_gt_i32 s40, 0
	s_cbranch_scc0 .LBB222_585
; %bb.584:
	global_load_ubyte v3, v[0:1], off
	s_mov_b64 s[36:37], 0
	s_waitcnt vmcnt(0)
	v_cmp_ne_u16_e64 s[0:1], 0, v3
	s_branch .LBB222_586
.LBB222_585:
	s_mov_b64 s[36:37], -1
                                        ; implicit-def: $sgpr0_sgpr1
.LBB222_586:
	s_andn2_b64 vcc, exec, s[36:37]
	s_cbranch_vccnz .LBB222_588
; %bb.587:
	global_load_ubyte v0, v[0:1], off
	s_andn2_b64 s[0:1], s[0:1], exec
	s_waitcnt vmcnt(0)
	v_cmp_ne_u16_e32 vcc, 0, v0
	s_and_b64 s[36:37], vcc, exec
	s_or_b64 s[0:1], s[0:1], s[36:37]
.LBB222_588:
	s_mov_b64 s[36:37], -1
.LBB222_589:
	s_andn2_b64 vcc, exec, s[36:37]
	s_cbranch_vccnz .LBB222_597
; %bb.590:
	v_mul_lo_u32 v0, v2, s12
	s_xor_b64 s[34:35], s[0:1], s[16:17]
	v_mov_b32_e32 v1, s9
	s_and_b32 s42, s3, 0xff
	v_ashrrev_i32_e32 v3, 31, v0
	v_add_co_u32_e32 v0, vcc, s8, v0
	s_cmp_lt_i32 s42, 11
	v_addc_co_u32_e32 v1, vcc, v1, v3, vcc
	s_cbranch_scc1 .LBB222_598
; %bb.591:
	s_and_b32 s43, 0xffff, s42
	s_cmp_gt_i32 s43, 25
	s_cbranch_scc0 .LBB222_599
; %bb.592:
	s_cmp_gt_i32 s43, 28
	s_cbranch_scc0 .LBB222_600
; %bb.593:
	;; [unrolled: 3-line block ×4, first 2 shown]
	s_mov_b64 s[38:39], 0
	s_mov_b64 s[0:1], -1
	s_cmp_eq_u32 s43, 46
	s_mov_b64 s[36:37], 0
	s_cbranch_scc0 .LBB222_603
; %bb.596:
	v_cndmask_b32_e64 v3, 0, 1.0, s[34:35]
	v_bfe_u32 v4, v3, 16, 1
	s_movk_i32 s0, 0x7fff
	v_add3_u32 v3, v3, v4, s0
	v_lshrrev_b32_e32 v3, 16, v3
	global_store_dword v[0:1], v3, off
	s_mov_b64 s[36:37], -1
	s_mov_b64 s[0:1], 0
	s_branch .LBB222_603
.LBB222_597:
	s_mov_b64 s[38:39], 0
	s_mov_b64 s[0:1], s[26:27]
                                        ; implicit-def: $vgpr2
	s_branch .LBB222_713
.LBB222_598:
	s_mov_b64 s[38:39], -1
	s_mov_b64 s[36:37], 0
	s_mov_b64 s[0:1], s[26:27]
	s_branch .LBB222_672
.LBB222_599:
	s_mov_b64 s[38:39], -1
	s_mov_b64 s[36:37], 0
	s_mov_b64 s[0:1], s[26:27]
	s_branch .LBB222_630
.LBB222_600:
	s_mov_b64 s[38:39], -1
	s_mov_b64 s[36:37], 0
	s_mov_b64 s[0:1], s[26:27]
	s_branch .LBB222_613
.LBB222_601:
	s_mov_b64 s[38:39], -1
	s_mov_b64 s[36:37], 0
	s_mov_b64 s[0:1], s[26:27]
	s_branch .LBB222_609
.LBB222_602:
	s_mov_b64 s[38:39], -1
	s_mov_b64 s[36:37], 0
	s_mov_b64 s[0:1], s[26:27]
.LBB222_603:
	s_and_b64 vcc, exec, s[38:39]
	s_cbranch_vccz .LBB222_608
; %bb.604:
	s_cmp_eq_u32 s43, 44
	s_mov_b64 s[0:1], -1
	s_cbranch_scc0 .LBB222_608
; %bb.605:
	v_cndmask_b32_e64 v4, 0, 1.0, s[34:35]
	v_lshrrev_b32_e32 v3, 23, v4
	s_movk_i32 s0, 0xff
	v_cmp_ne_u32_e32 vcc, s0, v3
	v_mov_b32_e32 v5, 0xff
	s_and_saveexec_b64 s[36:37], vcc
; %bb.606:
	s_mov_b32 s0, 0x3fffff
	v_and_b32_e32 v5, 0x400000, v4
	v_and_or_b32 v4, v4, s0, v3
	v_cmp_ne_u32_e32 vcc, 0, v5
	v_cmp_ne_u32_e64 s[0:1], 0, v4
	s_and_b64 s[0:1], vcc, s[0:1]
	v_cndmask_b32_e64 v4, 0, 1, s[0:1]
	v_add_u32_e32 v5, v3, v4
; %bb.607:
	s_or_b64 exec, exec, s[36:37]
	s_mov_b64 s[36:37], -1
	s_mov_b64 s[0:1], 0
	global_store_byte v[0:1], v5, off
.LBB222_608:
	s_mov_b64 s[38:39], 0
.LBB222_609:
	s_and_b64 vcc, exec, s[38:39]
	s_cbranch_vccz .LBB222_612
; %bb.610:
	s_cmp_eq_u32 s43, 29
	s_mov_b64 s[0:1], -1
	s_cbranch_scc0 .LBB222_612
; %bb.611:
	s_mov_b32 s0, 0
	v_cndmask_b32_e64 v3, 0, 1, s[34:35]
	v_mov_b32_e32 v4, s0
	global_store_dwordx2 v[0:1], v[3:4], off
	s_mov_b64 s[36:37], -1
	s_mov_b64 s[0:1], 0
.LBB222_612:
	s_mov_b64 s[38:39], 0
.LBB222_613:
	s_and_b64 vcc, exec, s[38:39]
	s_cbranch_vccz .LBB222_629
; %bb.614:
	s_cmp_lt_i32 s43, 27
	s_mov_b64 s[36:37], -1
	s_cbranch_scc1 .LBB222_620
; %bb.615:
	s_cmp_gt_i32 s43, 27
	s_cbranch_scc0 .LBB222_617
; %bb.616:
	v_cndmask_b32_e64 v3, 0, 1, s[34:35]
	s_mov_b64 s[36:37], 0
	global_store_dword v[0:1], v3, off
.LBB222_617:
	s_andn2_b64 vcc, exec, s[36:37]
	s_cbranch_vccnz .LBB222_619
; %bb.618:
	v_cndmask_b32_e64 v3, 0, 1, s[34:35]
	global_store_short v[0:1], v3, off
.LBB222_619:
	s_mov_b64 s[36:37], 0
.LBB222_620:
	s_andn2_b64 vcc, exec, s[36:37]
	s_cbranch_vccnz .LBB222_628
; %bb.621:
	v_cndmask_b32_e64 v4, 0, 1.0, s[34:35]
	s_mov_b32 s36, 0x43800000
	v_cmp_gt_u32_e32 vcc, s36, v4
	v_mov_b32_e32 v5, 0x80
	s_and_saveexec_b64 s[36:37], vcc
	s_cbranch_execz .LBB222_627
; %bb.622:
	s_mov_b32 s38, 0x3bffffff
	v_cmp_lt_u32_e32 vcc, s38, v4
	s_mov_b64 s[38:39], 0
                                        ; implicit-def: $vgpr3
	s_and_saveexec_b64 s[40:41], vcc
	s_xor_b64 s[40:41], exec, s[40:41]
	s_cbranch_execz .LBB222_727
; %bb.623:
	v_bfe_u32 v3, v4, 20, 1
	s_mov_b32 s44, 0x487ffff
	v_add3_u32 v3, v4, v3, s44
	s_mov_b64 s[38:39], exec
	v_lshrrev_b32_e32 v3, 20, v3
                                        ; implicit-def: $vgpr4
	s_andn2_saveexec_b64 s[40:41], s[40:41]
	s_cbranch_execnz .LBB222_728
.LBB222_624:
	s_or_b64 exec, exec, s[40:41]
	v_mov_b32_e32 v5, 0
	s_and_saveexec_b64 s[40:41], s[38:39]
.LBB222_625:
	v_mov_b32_e32 v5, v3
.LBB222_626:
	s_or_b64 exec, exec, s[40:41]
.LBB222_627:
	s_or_b64 exec, exec, s[36:37]
	global_store_byte v[0:1], v5, off
.LBB222_628:
	s_mov_b64 s[36:37], -1
.LBB222_629:
	s_mov_b64 s[38:39], 0
.LBB222_630:
	s_and_b64 vcc, exec, s[38:39]
	s_cbranch_vccz .LBB222_671
; %bb.631:
	s_cmp_gt_i32 s43, 22
	s_mov_b64 s[38:39], -1
	s_cbranch_scc0 .LBB222_663
; %bb.632:
	s_cmp_lt_i32 s43, 24
	s_mov_b64 s[36:37], -1
	s_cbranch_scc1 .LBB222_652
; %bb.633:
	s_cmp_gt_i32 s43, 24
	s_cbranch_scc0 .LBB222_641
; %bb.634:
	v_cndmask_b32_e64 v4, 0, 1.0, s[34:35]
	s_mov_b32 s36, 0x47800000
	v_cmp_gt_u32_e32 vcc, s36, v4
	v_mov_b32_e32 v5, 0x80
	s_and_saveexec_b64 s[36:37], vcc
	s_cbranch_execz .LBB222_640
; %bb.635:
	s_mov_b32 s38, 0x37ffffff
	v_cmp_lt_u32_e32 vcc, s38, v4
	s_mov_b64 s[38:39], 0
                                        ; implicit-def: $vgpr3
	s_and_saveexec_b64 s[40:41], vcc
	s_xor_b64 s[40:41], exec, s[40:41]
	s_cbranch_execz .LBB222_730
; %bb.636:
	v_bfe_u32 v3, v4, 21, 1
	s_mov_b32 s44, 0x88fffff
	v_add3_u32 v3, v4, v3, s44
	s_mov_b64 s[38:39], exec
	v_lshrrev_b32_e32 v3, 21, v3
                                        ; implicit-def: $vgpr4
	s_andn2_saveexec_b64 s[40:41], s[40:41]
	s_cbranch_execnz .LBB222_731
.LBB222_637:
	s_or_b64 exec, exec, s[40:41]
	v_mov_b32_e32 v5, 0
	s_and_saveexec_b64 s[40:41], s[38:39]
.LBB222_638:
	v_mov_b32_e32 v5, v3
.LBB222_639:
	s_or_b64 exec, exec, s[40:41]
.LBB222_640:
	s_or_b64 exec, exec, s[36:37]
	s_mov_b64 s[36:37], 0
	global_store_byte v[0:1], v5, off
.LBB222_641:
	s_and_b64 vcc, exec, s[36:37]
	s_cbranch_vccz .LBB222_651
; %bb.642:
	v_cndmask_b32_e64 v3, 0, 1.0, s[34:35]
	s_mov_b32 s36, 0x43f00000
	v_cmp_gt_u32_e32 vcc, s36, v3
                                        ; implicit-def: $vgpr4
	s_and_saveexec_b64 s[36:37], vcc
	s_xor_b64 s[36:37], exec, s[36:37]
	s_cbranch_execz .LBB222_648
; %bb.643:
	s_mov_b32 s38, 0x3c7fffff
	v_cmp_lt_u32_e32 vcc, s38, v3
                                        ; implicit-def: $vgpr4
	s_and_saveexec_b64 s[38:39], vcc
	s_xor_b64 s[38:39], exec, s[38:39]
; %bb.644:
	v_bfe_u32 v4, v3, 20, 1
	s_mov_b32 s40, 0x407ffff
	v_add3_u32 v3, v3, v4, s40
	v_lshrrev_b32_e32 v4, 20, v3
	v_and_b32_e32 v3, 0xff00000, v3
	s_mov_b32 s40, 0x7f00000
	v_mov_b32_e32 v5, 0x7e
	v_cmp_ne_u32_e32 vcc, s40, v3
	v_cndmask_b32_e32 v4, v5, v4, vcc
                                        ; implicit-def: $vgpr3
; %bb.645:
	s_andn2_saveexec_b64 s[38:39], s[38:39]
; %bb.646:
	v_add_f32_e32 v4, 0x46800000, v3
; %bb.647:
	s_or_b64 exec, exec, s[38:39]
                                        ; implicit-def: $vgpr3
.LBB222_648:
	s_andn2_saveexec_b64 s[36:37], s[36:37]
; %bb.649:
	s_mov_b32 s38, 0x7f800000
	v_mov_b32_e32 v4, 0x7e
	v_mov_b32_e32 v5, 0x7f
	v_cmp_lt_u32_e32 vcc, s38, v3
	v_cndmask_b32_e32 v4, v4, v5, vcc
; %bb.650:
	s_or_b64 exec, exec, s[36:37]
	global_store_byte v[0:1], v4, off
.LBB222_651:
	s_mov_b64 s[36:37], 0
.LBB222_652:
	s_andn2_b64 vcc, exec, s[36:37]
	s_cbranch_vccnz .LBB222_662
; %bb.653:
	v_cndmask_b32_e64 v3, 0, 1.0, s[34:35]
	s_mov_b32 s36, 0x47800000
	v_cmp_gt_u32_e32 vcc, s36, v3
                                        ; implicit-def: $vgpr4
	s_and_saveexec_b64 s[36:37], vcc
	s_xor_b64 s[36:37], exec, s[36:37]
	s_cbranch_execz .LBB222_659
; %bb.654:
	s_mov_b32 s38, 0x387fffff
	v_cmp_lt_u32_e32 vcc, s38, v3
                                        ; implicit-def: $vgpr4
	s_and_saveexec_b64 s[38:39], vcc
	s_xor_b64 s[38:39], exec, s[38:39]
; %bb.655:
	v_bfe_u32 v4, v3, 21, 1
	s_mov_b32 s40, 0x80fffff
	v_add3_u32 v3, v3, v4, s40
	v_lshrrev_b32_e32 v4, 21, v3
                                        ; implicit-def: $vgpr3
; %bb.656:
	s_andn2_saveexec_b64 s[38:39], s[38:39]
; %bb.657:
	v_add_f32_e32 v4, 0x43000000, v3
; %bb.658:
	s_or_b64 exec, exec, s[38:39]
                                        ; implicit-def: $vgpr3
.LBB222_659:
	s_andn2_saveexec_b64 s[36:37], s[36:37]
; %bb.660:
	s_mov_b32 s38, 0x7f800000
	v_mov_b32_e32 v4, 0x7c
	v_mov_b32_e32 v5, 0x7f
	v_cmp_lt_u32_e32 vcc, s38, v3
	v_cndmask_b32_e32 v4, v4, v5, vcc
; %bb.661:
	s_or_b64 exec, exec, s[36:37]
	global_store_byte v[0:1], v4, off
.LBB222_662:
	s_mov_b64 s[38:39], 0
	s_mov_b64 s[36:37], -1
.LBB222_663:
	s_andn2_b64 vcc, exec, s[38:39]
	s_cbranch_vccnz .LBB222_671
; %bb.664:
	s_cmp_gt_i32 s43, 14
	s_mov_b64 s[38:39], -1
	s_cbranch_scc0 .LBB222_668
; %bb.665:
	s_cmp_eq_u32 s43, 15
	s_mov_b64 s[0:1], -1
	s_cbranch_scc0 .LBB222_667
; %bb.666:
	v_cndmask_b32_e64 v3, 0, 1.0, s[34:35]
	v_bfe_u32 v4, v3, 16, 1
	s_movk_i32 s0, 0x7fff
	v_add3_u32 v3, v3, v4, s0
	global_store_short_d16_hi v[0:1], v3, off
	s_mov_b64 s[36:37], -1
	s_mov_b64 s[0:1], 0
.LBB222_667:
	s_mov_b64 s[38:39], 0
.LBB222_668:
	s_and_b64 vcc, exec, s[38:39]
	s_cbranch_vccz .LBB222_671
; %bb.669:
	s_cmp_eq_u32 s43, 11
	s_mov_b64 s[0:1], -1
	s_cbranch_scc0 .LBB222_671
; %bb.670:
	v_cndmask_b32_e64 v3, 0, 1, s[34:35]
	s_mov_b64 s[36:37], -1
	s_mov_b64 s[0:1], 0
	global_store_byte v[0:1], v3, off
.LBB222_671:
	s_mov_b64 s[38:39], 0
.LBB222_672:
	s_and_b64 vcc, exec, s[38:39]
	s_cbranch_vccz .LBB222_711
; %bb.673:
	s_and_b32 s38, 0xffff, s42
	s_cmp_lt_i32 s38, 5
	s_mov_b64 s[36:37], -1
	s_cbranch_scc1 .LBB222_694
; %bb.674:
	s_cmp_lt_i32 s38, 8
	s_cbranch_scc1 .LBB222_684
; %bb.675:
	s_cmp_lt_i32 s38, 9
	s_cbranch_scc1 .LBB222_681
; %bb.676:
	s_cmp_gt_i32 s38, 9
	s_cbranch_scc0 .LBB222_678
; %bb.677:
	v_cndmask_b32_e64 v3, 0, 1, s[34:35]
	v_cvt_f64_u32_e32 v[3:4], v3
	v_mov_b32_e32 v5, 0
	v_mov_b32_e32 v6, v5
	s_mov_b64 s[36:37], 0
	global_store_dwordx4 v[0:1], v[3:6], off
.LBB222_678:
	s_andn2_b64 vcc, exec, s[36:37]
	s_cbranch_vccnz .LBB222_680
; %bb.679:
	v_cndmask_b32_e64 v3, 0, 1.0, s[34:35]
	v_mov_b32_e32 v4, 0
	global_store_dwordx2 v[0:1], v[3:4], off
.LBB222_680:
	s_mov_b64 s[36:37], 0
.LBB222_681:
	s_andn2_b64 vcc, exec, s[36:37]
	s_cbranch_vccnz .LBB222_683
; %bb.682:
	v_cndmask_b32_e64 v3, 0, 1.0, s[34:35]
	v_cvt_f16_f32_e32 v3, v3
	global_store_dword v[0:1], v3, off
.LBB222_683:
	s_mov_b64 s[36:37], 0
.LBB222_684:
	s_andn2_b64 vcc, exec, s[36:37]
	s_cbranch_vccnz .LBB222_693
; %bb.685:
	s_cmp_lt_i32 s38, 6
	s_mov_b64 s[36:37], -1
	s_cbranch_scc1 .LBB222_691
; %bb.686:
	s_cmp_gt_i32 s38, 6
	s_cbranch_scc0 .LBB222_688
; %bb.687:
	v_cndmask_b32_e64 v3, 0, 1, s[34:35]
	v_cvt_f64_u32_e32 v[3:4], v3
	s_mov_b64 s[36:37], 0
	global_store_dwordx2 v[0:1], v[3:4], off
.LBB222_688:
	s_andn2_b64 vcc, exec, s[36:37]
	s_cbranch_vccnz .LBB222_690
; %bb.689:
	v_cndmask_b32_e64 v3, 0, 1.0, s[34:35]
	global_store_dword v[0:1], v3, off
.LBB222_690:
	s_mov_b64 s[36:37], 0
.LBB222_691:
	s_andn2_b64 vcc, exec, s[36:37]
	s_cbranch_vccnz .LBB222_693
; %bb.692:
	v_cndmask_b32_e64 v3, 0, 1.0, s[34:35]
	v_cvt_f16_f32_e32 v3, v3
	global_store_short v[0:1], v3, off
.LBB222_693:
	s_mov_b64 s[36:37], 0
.LBB222_694:
	s_andn2_b64 vcc, exec, s[36:37]
	s_cbranch_vccnz .LBB222_710
; %bb.695:
	s_cmp_lt_i32 s38, 2
	s_mov_b64 s[36:37], -1
	s_cbranch_scc1 .LBB222_705
; %bb.696:
	s_cmp_lt_i32 s38, 3
	s_cbranch_scc1 .LBB222_702
; %bb.697:
	s_cmp_gt_i32 s38, 3
	s_cbranch_scc0 .LBB222_699
; %bb.698:
	s_mov_b32 s36, 0
	v_cndmask_b32_e64 v3, 0, 1, s[34:35]
	v_mov_b32_e32 v4, s36
	s_mov_b64 s[36:37], 0
	global_store_dwordx2 v[0:1], v[3:4], off
.LBB222_699:
	s_andn2_b64 vcc, exec, s[36:37]
	s_cbranch_vccnz .LBB222_701
; %bb.700:
	v_cndmask_b32_e64 v3, 0, 1, s[34:35]
	global_store_dword v[0:1], v3, off
.LBB222_701:
	s_mov_b64 s[36:37], 0
.LBB222_702:
	s_andn2_b64 vcc, exec, s[36:37]
	s_cbranch_vccnz .LBB222_704
; %bb.703:
	v_cndmask_b32_e64 v3, 0, 1, s[34:35]
	global_store_short v[0:1], v3, off
.LBB222_704:
	s_mov_b64 s[36:37], 0
.LBB222_705:
	s_andn2_b64 vcc, exec, s[36:37]
	s_cbranch_vccnz .LBB222_710
; %bb.706:
	s_mov_b64 s[36:37], -1
	s_cmp_gt_i32 s38, 0
	v_cndmask_b32_e64 v3, 0, 1, s[34:35]
	s_cbranch_scc0 .LBB222_708
; %bb.707:
	s_mov_b64 s[36:37], 0
	global_store_byte v[0:1], v3, off
.LBB222_708:
	s_andn2_b64 vcc, exec, s[36:37]
	s_cbranch_vccnz .LBB222_710
; %bb.709:
	global_store_byte v[0:1], v3, off
.LBB222_710:
	s_mov_b64 s[36:37], -1
.LBB222_711:
	s_mov_b64 s[34:35], 0
	s_andn2_b64 vcc, exec, s[36:37]
	s_mov_b64 s[38:39], 0
	s_cbranch_vccnz .LBB222_713
; %bb.712:
	v_add_u32_e32 v2, 0x80, v2
	s_mov_b64 s[38:39], -1
.LBB222_713:
	s_andn2_b64 s[36:37], s[26:27], exec
	s_and_b64 s[0:1], s[0:1], exec
	s_or_b64 s[36:37], s[36:37], s[0:1]
	s_andn2_b64 s[0:1], s[24:25], exec
	s_and_b64 s[34:35], s[34:35], exec
	s_or_b64 s[0:1], s[0:1], s[34:35]
	s_orn2_b64 s[42:43], s[38:39], exec
.LBB222_714:
	s_or_b64 exec, exec, s[30:31]
	s_mov_b64 s[40:41], 0
	s_mov_b64 s[44:45], 0
	;; [unrolled: 1-line block ×3, first 2 shown]
                                        ; implicit-def: $sgpr30_sgpr31
                                        ; implicit-def: $vgpr0_vgpr1
	s_and_saveexec_b64 s[34:35], s[42:43]
	s_cbranch_execz .LBB222_781
; %bb.715:
	v_cmp_gt_i32_e32 vcc, s33, v2
	s_mov_b64 s[42:43], 0
	s_mov_b64 s[46:47], s[0:1]
	;; [unrolled: 1-line block ×3, first 2 shown]
                                        ; implicit-def: $sgpr30_sgpr31
                                        ; implicit-def: $vgpr0_vgpr1
	s_and_saveexec_b64 s[38:39], vcc
	s_cbranch_execz .LBB222_780
; %bb.716:
	v_mul_lo_u32 v0, v2, s13
	v_mov_b32_e32 v1, s11
	s_and_b32 s33, 0xffff, s15
	s_cmp_lt_i32 s33, 11
	v_ashrrev_i32_e32 v3, 31, v0
	v_add_co_u32_e32 v0, vcc, s10, v0
	v_addc_co_u32_e32 v1, vcc, v1, v3, vcc
	s_cbranch_scc1 .LBB222_723
; %bb.717:
	s_cmp_gt_i32 s33, 25
	s_cbranch_scc0 .LBB222_724
; %bb.718:
	s_cmp_gt_i32 s33, 28
	s_cbranch_scc0 .LBB222_725
	;; [unrolled: 3-line block ×4, first 2 shown]
; %bb.721:
	s_cmp_eq_u32 s33, 46
	s_mov_b64 s[46:47], 0
	s_cbranch_scc0 .LBB222_732
; %bb.722:
	global_load_dword v3, v[0:1], off
	s_mov_b64 s[44:45], -1
	s_waitcnt vmcnt(0)
	v_and_b32_e32 v3, 0x7fff7fff, v3
	v_cmp_ne_u32_e64 s[30:31], 0, v3
	s_branch .LBB222_734
.LBB222_723:
	s_mov_b64 s[46:47], -1
                                        ; implicit-def: $sgpr30_sgpr31
	s_mov_b64 s[40:41], s[0:1]
	s_branch .LBB222_779
.LBB222_724:
	s_mov_b64 s[46:47], -1
	s_mov_b64 s[40:41], s[0:1]
                                        ; implicit-def: $sgpr30_sgpr31
	s_branch .LBB222_755
.LBB222_725:
	s_mov_b64 s[46:47], -1
	s_mov_b64 s[40:41], s[0:1]
                                        ; implicit-def: $sgpr30_sgpr31
	s_branch .LBB222_742
.LBB222_726:
	s_mov_b64 s[46:47], -1
	s_mov_b64 s[40:41], s[0:1]
                                        ; implicit-def: $sgpr30_sgpr31
	s_branch .LBB222_737
.LBB222_727:
	s_andn2_saveexec_b64 s[40:41], s[40:41]
	s_cbranch_execz .LBB222_624
.LBB222_728:
	v_add_f32_e32 v3, 0x46000000, v4
	v_and_b32_e32 v3, 0xff, v3
	v_cmp_ne_u32_e32 vcc, 0, v3
	s_andn2_b64 s[38:39], s[38:39], exec
	s_and_b64 s[44:45], vcc, exec
	s_or_b64 s[38:39], s[38:39], s[44:45]
	s_or_b64 exec, exec, s[40:41]
	v_mov_b32_e32 v5, 0
	s_and_saveexec_b64 s[40:41], s[38:39]
	s_cbranch_execnz .LBB222_625
	s_branch .LBB222_626
.LBB222_729:
	s_mov_b64 s[46:47], -1
	s_mov_b64 s[40:41], s[0:1]
	s_branch .LBB222_733
.LBB222_730:
	s_andn2_saveexec_b64 s[40:41], s[40:41]
	s_cbranch_execz .LBB222_637
.LBB222_731:
	v_add_f32_e32 v3, 0x42800000, v4
	v_and_b32_e32 v3, 0xff, v3
	v_cmp_ne_u32_e32 vcc, 0, v3
	s_andn2_b64 s[38:39], s[38:39], exec
	s_and_b64 s[44:45], vcc, exec
	s_or_b64 s[38:39], s[38:39], s[44:45]
	s_or_b64 exec, exec, s[40:41]
	v_mov_b32_e32 v5, 0
	s_and_saveexec_b64 s[40:41], s[38:39]
	s_cbranch_execnz .LBB222_638
	s_branch .LBB222_639
.LBB222_732:
	s_mov_b64 s[40:41], -1
.LBB222_733:
                                        ; implicit-def: $sgpr30_sgpr31
.LBB222_734:
	s_and_b64 vcc, exec, s[46:47]
	s_cbranch_vccz .LBB222_736
; %bb.735:
	s_cmp_lg_u32 s33, 44
	s_cselect_b64 s[46:47], -1, 0
	s_andn2_b64 s[40:41], s[40:41], exec
	s_and_b64 s[46:47], s[46:47], exec
	s_mov_b64 s[44:45], -1
	s_or_b64 s[30:31], s[30:31], exec
	s_or_b64 s[40:41], s[40:41], s[46:47]
.LBB222_736:
	s_mov_b64 s[46:47], 0
.LBB222_737:
	s_and_b64 vcc, exec, s[46:47]
	s_cbranch_vccz .LBB222_741
; %bb.738:
	s_cmp_eq_u32 s33, 29
	s_cbranch_scc0 .LBB222_740
; %bb.739:
	global_load_dwordx2 v[3:4], v[0:1], off
	s_mov_b64 s[40:41], 0
	s_mov_b64 s[44:45], -1
	s_mov_b64 s[46:47], 0
	s_waitcnt vmcnt(0)
	v_cmp_ne_u64_e64 s[30:31], 0, v[3:4]
	s_branch .LBB222_742
.LBB222_740:
	s_mov_b64 s[40:41], -1
                                        ; implicit-def: $sgpr30_sgpr31
.LBB222_741:
	s_mov_b64 s[46:47], 0
.LBB222_742:
	s_and_b64 vcc, exec, s[46:47]
	s_cbranch_vccz .LBB222_754
; %bb.743:
	s_cmp_lt_i32 s33, 27
	s_cbranch_scc1 .LBB222_746
; %bb.744:
	s_cmp_gt_i32 s33, 27
	s_cbranch_scc0 .LBB222_747
; %bb.745:
	global_load_dword v3, v[0:1], off
	s_mov_b64 s[44:45], 0
	s_waitcnt vmcnt(0)
	v_cmp_ne_u32_e64 s[30:31], 0, v3
	s_branch .LBB222_748
.LBB222_746:
	s_mov_b64 s[44:45], -1
                                        ; implicit-def: $sgpr30_sgpr31
	s_branch .LBB222_751
.LBB222_747:
	s_mov_b64 s[44:45], -1
                                        ; implicit-def: $sgpr30_sgpr31
.LBB222_748:
	s_andn2_b64 vcc, exec, s[44:45]
	s_cbranch_vccnz .LBB222_750
; %bb.749:
	global_load_ushort v3, v[0:1], off
	s_andn2_b64 s[30:31], s[30:31], exec
	s_waitcnt vmcnt(0)
	v_cmp_ne_u16_e32 vcc, 0, v3
	s_and_b64 s[44:45], vcc, exec
	s_or_b64 s[30:31], s[30:31], s[44:45]
.LBB222_750:
	s_mov_b64 s[44:45], 0
.LBB222_751:
	s_andn2_b64 vcc, exec, s[44:45]
	s_cbranch_vccnz .LBB222_753
; %bb.752:
	global_load_ubyte v3, v[0:1], off
	s_andn2_b64 s[30:31], s[30:31], exec
	s_waitcnt vmcnt(0)
	v_cmp_ne_u16_e32 vcc, 0, v3
	s_and_b64 s[44:45], vcc, exec
	s_or_b64 s[30:31], s[30:31], s[44:45]
.LBB222_753:
	s_mov_b64 s[44:45], -1
.LBB222_754:
	s_mov_b64 s[46:47], 0
.LBB222_755:
	s_and_b64 vcc, exec, s[46:47]
	s_cbranch_vccz .LBB222_778
; %bb.756:
	s_cmp_gt_i32 s33, 22
	s_cbranch_scc0 .LBB222_760
; %bb.757:
	s_cmp_lt_i32 s33, 24
	s_cbranch_scc1 .LBB222_761
; %bb.758:
	s_cmp_gt_i32 s33, 24
	s_cbranch_scc0 .LBB222_762
; %bb.759:
	global_load_ubyte v3, v[0:1], off
	s_waitcnt vmcnt(0)
	v_cmp_ne_u16_e64 s[30:31], 0, v3
	s_branch .LBB222_763
.LBB222_760:
	s_mov_b64 s[42:43], -1
                                        ; implicit-def: $sgpr30_sgpr31
	s_branch .LBB222_769
.LBB222_761:
	s_mov_b64 s[42:43], -1
                                        ; implicit-def: $sgpr30_sgpr31
	s_branch .LBB222_766
.LBB222_762:
	s_mov_b64 s[42:43], -1
                                        ; implicit-def: $sgpr30_sgpr31
.LBB222_763:
	s_andn2_b64 vcc, exec, s[42:43]
	s_cbranch_vccnz .LBB222_765
; %bb.764:
	global_load_ubyte v3, v[0:1], off
	s_andn2_b64 s[30:31], s[30:31], exec
	s_waitcnt vmcnt(0)
	v_and_b32_e32 v3, 0x7f, v3
	v_cmp_ne_u16_e32 vcc, 0, v3
	s_and_b64 s[42:43], vcc, exec
	s_or_b64 s[30:31], s[30:31], s[42:43]
.LBB222_765:
	s_mov_b64 s[42:43], 0
.LBB222_766:
	s_andn2_b64 vcc, exec, s[42:43]
	s_cbranch_vccnz .LBB222_768
; %bb.767:
	global_load_ubyte v3, v[0:1], off
	s_movk_i32 s42, 0x7f00
	s_brev_b32 s43, 16
	s_andn2_b64 s[30:31], s[30:31], exec
	s_waitcnt vmcnt(0)
	v_lshlrev_b32_e32 v4, 8, v3
	v_lshlrev_b32_e32 v3, 25, v3
	v_lshrrev_b32_e32 v5, 4, v3
	v_and_or_b32 v4, v4, s42, 0.5
	v_or_b32_e32 v5, 0x70000000, v5
	v_add_f32_e32 v4, -0.5, v4
	v_mul_f32_e32 v5, 0x7800000, v5
	v_cmp_gt_u32_e32 vcc, s43, v3
	v_cndmask_b32_e32 v3, v5, v4, vcc
	v_cmp_neq_f32_e32 vcc, 0, v3
	s_and_b64 s[42:43], vcc, exec
	s_or_b64 s[30:31], s[30:31], s[42:43]
.LBB222_768:
	s_mov_b64 s[42:43], 0
	s_mov_b64 s[44:45], -1
.LBB222_769:
	s_andn2_b64 vcc, exec, s[42:43]
	s_mov_b64 s[42:43], 0
	s_cbranch_vccnz .LBB222_778
; %bb.770:
	s_cmp_gt_i32 s33, 14
	s_cbranch_scc0 .LBB222_773
; %bb.771:
	s_cmp_eq_u32 s33, 15
	s_cbranch_scc0 .LBB222_774
; %bb.772:
	global_load_ushort v3, v[0:1], off
	s_mov_b64 s[40:41], 0
	s_mov_b64 s[44:45], -1
	s_waitcnt vmcnt(0)
	v_and_b32_e32 v3, 0x7fff, v3
	v_cmp_ne_u16_e64 s[30:31], 0, v3
	s_branch .LBB222_775
.LBB222_773:
	s_mov_b64 s[46:47], -1
                                        ; implicit-def: $sgpr30_sgpr31
	s_branch .LBB222_776
.LBB222_774:
	s_mov_b64 s[40:41], -1
                                        ; implicit-def: $sgpr30_sgpr31
.LBB222_775:
	s_mov_b64 s[46:47], 0
.LBB222_776:
	s_and_b64 vcc, exec, s[46:47]
	s_cbranch_vccz .LBB222_778
; %bb.777:
	s_cmp_lg_u32 s33, 11
	s_cselect_b64 s[46:47], -1, 0
	s_andn2_b64 s[40:41], s[40:41], exec
	s_and_b64 s[46:47], s[46:47], exec
	s_mov_b64 s[42:43], -1
	s_or_b64 s[40:41], s[40:41], s[46:47]
.LBB222_778:
	s_mov_b64 s[46:47], 0
.LBB222_779:
	s_and_b64 s[48:49], s[44:45], exec
	s_and_b64 s[44:45], s[46:47], exec
	s_andn2_b64 s[46:47], s[0:1], exec
	s_and_b64 s[40:41], s[40:41], exec
	s_and_b64 s[42:43], s[42:43], exec
	s_or_b64 s[46:47], s[46:47], s[40:41]
.LBB222_780:
	s_or_b64 exec, exec, s[38:39]
	s_and_b64 s[40:41], s[42:43], exec
	s_andn2_b64 s[0:1], s[0:1], exec
	s_and_b64 s[42:43], s[46:47], exec
	s_and_b64 s[38:39], s[48:49], exec
	;; [unrolled: 1-line block ×3, first 2 shown]
	s_or_b64 s[0:1], s[0:1], s[42:43]
.LBB222_781:
	s_or_b64 exec, exec, s[34:35]
	s_andn2_b64 s[26:27], s[26:27], exec
	s_and_b64 s[34:35], s[36:37], exec
	s_andn2_b64 s[24:25], s[24:25], exec
	s_and_b64 s[0:1], s[0:1], exec
	s_or_b64 s[26:27], s[26:27], s[34:35]
	s_and_b64 s[38:39], s[38:39], exec
	s_and_b64 s[36:37], s[44:45], exec
	;; [unrolled: 1-line block ×3, first 2 shown]
	s_or_b64 s[24:25], s[24:25], s[0:1]
.LBB222_782:
	s_or_b64 exec, exec, s[28:29]
	s_andn2_b64 s[0:1], s[18:19], exec
	s_and_b64 s[18:19], s[26:27], exec
	s_andn2_b64 s[20:21], s[20:21], exec
	s_and_b64 s[24:25], s[24:25], exec
	s_or_b64 s[18:19], s[0:1], s[18:19]
	s_and_b64 s[28:29], s[38:39], exec
	s_and_b64 s[0:1], s[36:37], exec
	;; [unrolled: 1-line block ×3, first 2 shown]
	s_or_b64 s[20:21], s[20:21], s[24:25]
	s_or_b64 exec, exec, s[22:23]
	s_mov_b64 s[22:23], 0
	s_and_saveexec_b64 s[24:25], s[20:21]
	s_cbranch_execz .LBB222_242
.LBB222_783:
	s_mov_b64 s[22:23], exec
	s_andn2_b64 s[28:29], s[28:29], exec
	s_andn2_b64 s[26:27], s[26:27], exec
	s_trap 2
	s_or_b64 exec, exec, s[24:25]
	s_and_saveexec_b64 s[20:21], s[26:27]
	s_xor_b64 s[20:21], exec, s[20:21]
	s_cbranch_execnz .LBB222_243
.LBB222_784:
	s_or_b64 exec, exec, s[20:21]
	s_and_saveexec_b64 s[20:21], s[0:1]
	s_cbranch_execz .LBB222_830
.LBB222_785:
	s_sext_i32_i16 s0, s15
	s_cmp_lt_i32 s0, 5
	s_cbranch_scc1 .LBB222_790
; %bb.786:
	s_cmp_lt_i32 s0, 8
	s_cbranch_scc1 .LBB222_791
; %bb.787:
	;; [unrolled: 3-line block ×3, first 2 shown]
	s_cmp_gt_i32 s0, 9
	s_cbranch_scc0 .LBB222_793
; %bb.789:
	global_load_dwordx4 v[3:6], v[0:1], off
	s_mov_b64 s[24:25], 0
	s_waitcnt vmcnt(0)
	v_cmp_neq_f64_e32 vcc, 0, v[3:4]
	v_cmp_neq_f64_e64 s[0:1], 0, v[5:6]
	s_or_b64 s[0:1], vcc, s[0:1]
	s_branch .LBB222_794
.LBB222_790:
                                        ; implicit-def: $sgpr0_sgpr1
	s_branch .LBB222_811
.LBB222_791:
                                        ; implicit-def: $sgpr0_sgpr1
	s_branch .LBB222_800
.LBB222_792:
	s_mov_b64 s[24:25], -1
                                        ; implicit-def: $sgpr0_sgpr1
	s_branch .LBB222_797
.LBB222_793:
	s_mov_b64 s[24:25], -1
                                        ; implicit-def: $sgpr0_sgpr1
.LBB222_794:
	s_andn2_b64 vcc, exec, s[24:25]
	s_cbranch_vccnz .LBB222_796
; %bb.795:
	global_load_dwordx2 v[3:4], v[0:1], off
	s_andn2_b64 s[0:1], s[0:1], exec
	s_waitcnt vmcnt(0)
	v_or_b32_e32 v3, v3, v4
	v_and_b32_e32 v3, 0x7fffffff, v3
	v_cmp_ne_u32_e32 vcc, 0, v3
	s_and_b64 s[24:25], vcc, exec
	s_or_b64 s[0:1], s[0:1], s[24:25]
.LBB222_796:
	s_mov_b64 s[24:25], 0
.LBB222_797:
	s_andn2_b64 vcc, exec, s[24:25]
	s_cbranch_vccnz .LBB222_799
; %bb.798:
	global_load_dword v3, v[0:1], off
	s_andn2_b64 s[0:1], s[0:1], exec
	s_waitcnt vmcnt(0)
	v_and_b32_e32 v3, 0x7fff7fff, v3
	v_cmp_ne_u32_e32 vcc, 0, v3
	s_and_b64 s[24:25], vcc, exec
	s_or_b64 s[0:1], s[0:1], s[24:25]
.LBB222_799:
	s_cbranch_execnz .LBB222_810
.LBB222_800:
	s_sext_i32_i16 s0, s15
	s_cmp_lt_i32 s0, 6
	s_cbranch_scc1 .LBB222_803
; %bb.801:
	s_cmp_gt_i32 s0, 6
	s_cbranch_scc0 .LBB222_804
; %bb.802:
	global_load_dwordx2 v[3:4], v[0:1], off
	s_mov_b64 s[24:25], 0
	s_waitcnt vmcnt(0)
	v_cmp_neq_f64_e64 s[0:1], 0, v[3:4]
	s_branch .LBB222_805
.LBB222_803:
	s_mov_b64 s[24:25], -1
                                        ; implicit-def: $sgpr0_sgpr1
	s_branch .LBB222_808
.LBB222_804:
	s_mov_b64 s[24:25], -1
                                        ; implicit-def: $sgpr0_sgpr1
.LBB222_805:
	s_andn2_b64 vcc, exec, s[24:25]
	s_cbranch_vccnz .LBB222_807
; %bb.806:
	global_load_dword v3, v[0:1], off
	s_andn2_b64 s[0:1], s[0:1], exec
	s_waitcnt vmcnt(0)
	v_cmp_neq_f32_e32 vcc, 0, v3
	s_and_b64 s[24:25], vcc, exec
	s_or_b64 s[0:1], s[0:1], s[24:25]
.LBB222_807:
	s_mov_b64 s[24:25], 0
.LBB222_808:
	s_andn2_b64 vcc, exec, s[24:25]
	s_cbranch_vccnz .LBB222_810
; %bb.809:
	global_load_ushort v3, v[0:1], off
	s_andn2_b64 s[0:1], s[0:1], exec
	s_waitcnt vmcnt(0)
	v_and_b32_e32 v3, 0x7fff, v3
	v_cmp_ne_u16_e32 vcc, 0, v3
	s_and_b64 s[24:25], vcc, exec
	s_or_b64 s[0:1], s[0:1], s[24:25]
.LBB222_810:
	s_cbranch_execnz .LBB222_829
.LBB222_811:
	s_sext_i32_i16 s0, s15
	s_cmp_lt_i32 s0, 2
	s_cbranch_scc1 .LBB222_815
; %bb.812:
	s_cmp_lt_i32 s0, 3
	s_cbranch_scc1 .LBB222_816
; %bb.813:
	s_cmp_gt_i32 s0, 3
	s_cbranch_scc0 .LBB222_817
; %bb.814:
	global_load_dwordx2 v[3:4], v[0:1], off
	s_mov_b64 s[24:25], 0
	s_waitcnt vmcnt(0)
	v_cmp_ne_u64_e64 s[0:1], 0, v[3:4]
	s_branch .LBB222_818
.LBB222_815:
                                        ; implicit-def: $sgpr0_sgpr1
	s_branch .LBB222_824
.LBB222_816:
	s_mov_b64 s[24:25], -1
                                        ; implicit-def: $sgpr0_sgpr1
	s_branch .LBB222_821
.LBB222_817:
	s_mov_b64 s[24:25], -1
                                        ; implicit-def: $sgpr0_sgpr1
.LBB222_818:
	s_andn2_b64 vcc, exec, s[24:25]
	s_cbranch_vccnz .LBB222_820
; %bb.819:
	global_load_dword v3, v[0:1], off
	s_andn2_b64 s[0:1], s[0:1], exec
	s_waitcnt vmcnt(0)
	v_cmp_ne_u32_e32 vcc, 0, v3
	s_and_b64 s[24:25], vcc, exec
	s_or_b64 s[0:1], s[0:1], s[24:25]
.LBB222_820:
	s_mov_b64 s[24:25], 0
.LBB222_821:
	s_andn2_b64 vcc, exec, s[24:25]
	s_cbranch_vccnz .LBB222_823
; %bb.822:
	global_load_ushort v3, v[0:1], off
	s_andn2_b64 s[0:1], s[0:1], exec
	s_waitcnt vmcnt(0)
	v_cmp_ne_u16_e32 vcc, 0, v3
	s_and_b64 s[24:25], vcc, exec
	s_or_b64 s[0:1], s[0:1], s[24:25]
.LBB222_823:
	s_cbranch_execnz .LBB222_829
.LBB222_824:
	s_sext_i32_i16 s0, s15
	s_cmp_gt_i32 s0, 0
	s_cbranch_scc0 .LBB222_826
; %bb.825:
	global_load_ubyte v3, v[0:1], off
	s_mov_b64 s[24:25], 0
	s_waitcnt vmcnt(0)
	v_cmp_ne_u16_e64 s[0:1], 0, v3
	s_branch .LBB222_827
.LBB222_826:
	s_mov_b64 s[24:25], -1
                                        ; implicit-def: $sgpr0_sgpr1
.LBB222_827:
	s_andn2_b64 vcc, exec, s[24:25]
	s_cbranch_vccnz .LBB222_829
; %bb.828:
	global_load_ubyte v0, v[0:1], off
	s_andn2_b64 s[0:1], s[0:1], exec
	s_waitcnt vmcnt(0)
	v_cmp_ne_u16_e32 vcc, 0, v0
	s_and_b64 s[24:25], vcc, exec
	s_or_b64 s[0:1], s[0:1], s[24:25]
.LBB222_829:
	s_andn2_b64 s[24:25], s[30:31], exec
	s_and_b64 s[0:1], s[0:1], exec
	s_or_b64 s[30:31], s[24:25], s[0:1]
	s_or_b64 s[28:29], s[28:29], exec
.LBB222_830:
	s_or_b64 exec, exec, s[20:21]
	s_mov_b64 s[34:35], 0
	s_mov_b64 s[26:27], 0
                                        ; implicit-def: $sgpr20_sgpr21
                                        ; implicit-def: $sgpr33
                                        ; implicit-def: $vgpr0_vgpr1
	s_and_saveexec_b64 s[24:25], s[28:29]
	s_cbranch_execz .LBB222_905
; %bb.831:
	v_mul_lo_u32 v0, v2, s12
	s_xor_b64 s[20:21], s[30:31], s[16:17]
	v_mov_b32_e32 v1, s9
	s_and_b32 s33, s3, 0xff
	v_ashrrev_i32_e32 v2, 31, v0
	v_add_co_u32_e32 v0, vcc, s8, v0
	s_cmp_lt_i32 s33, 11
	v_addc_co_u32_e32 v1, vcc, v1, v2, vcc
	s_cbranch_scc1 .LBB222_908
; %bb.832:
	s_and_b32 s34, 0xffff, s33
	s_mov_b64 s[26:27], -1
	s_cmp_gt_i32 s34, 25
	s_mov_b64 s[0:1], s[18:19]
	s_cbranch_scc0 .LBB222_865
; %bb.833:
	s_mov_b64 s[16:17], -1
	s_cmp_gt_i32 s34, 28
	s_mov_b64 s[0:1], s[18:19]
	s_cbranch_scc0 .LBB222_849
; %bb.834:
	s_cmp_gt_i32 s34, 43
	s_mov_b64 s[0:1], s[18:19]
	s_cbranch_scc0 .LBB222_845
; %bb.835:
	;; [unrolled: 4-line block ×3, first 2 shown]
	s_cmp_eq_u32 s34, 46
	s_mov_b64 s[0:1], -1
	s_cbranch_scc0 .LBB222_838
; %bb.837:
	v_cndmask_b32_e64 v2, 0, 1.0, s[20:21]
	v_bfe_u32 v3, v2, 16, 1
	s_movk_i32 s0, 0x7fff
	v_add3_u32 v2, v2, v3, s0
	v_lshrrev_b32_e32 v2, 16, v2
	global_store_dword v[0:1], v2, off
	s_mov_b64 s[0:1], 0
.LBB222_838:
	s_mov_b64 s[16:17], 0
.LBB222_839:
	s_and_b64 vcc, exec, s[16:17]
	s_cbranch_vccz .LBB222_844
; %bb.840:
	s_cmp_eq_u32 s34, 44
	s_mov_b64 s[0:1], -1
	s_cbranch_scc0 .LBB222_844
; %bb.841:
	v_cndmask_b32_e64 v3, 0, 1.0, s[20:21]
	v_lshrrev_b32_e32 v2, 23, v3
	s_movk_i32 s0, 0xff
	v_cmp_ne_u32_e32 vcc, s0, v2
	v_mov_b32_e32 v4, 0xff
	s_and_saveexec_b64 s[16:17], vcc
; %bb.842:
	s_mov_b32 s0, 0x3fffff
	v_and_b32_e32 v4, 0x400000, v3
	v_and_or_b32 v3, v3, s0, v2
	v_cmp_ne_u32_e32 vcc, 0, v4
	v_cmp_ne_u32_e64 s[0:1], 0, v3
	s_and_b64 s[0:1], vcc, s[0:1]
	v_cndmask_b32_e64 v3, 0, 1, s[0:1]
	v_add_u32_e32 v4, v2, v3
; %bb.843:
	s_or_b64 exec, exec, s[16:17]
	s_mov_b64 s[0:1], 0
	global_store_byte v[0:1], v4, off
.LBB222_844:
	s_mov_b64 s[16:17], 0
.LBB222_845:
	s_and_b64 vcc, exec, s[16:17]
	s_cbranch_vccz .LBB222_848
; %bb.846:
	s_cmp_eq_u32 s34, 29
	s_mov_b64 s[0:1], -1
	s_cbranch_scc0 .LBB222_848
; %bb.847:
	s_mov_b32 s0, 0
	v_cndmask_b32_e64 v2, 0, 1, s[20:21]
	v_mov_b32_e32 v3, s0
	global_store_dwordx2 v[0:1], v[2:3], off
	s_mov_b64 s[0:1], 0
.LBB222_848:
	s_mov_b64 s[16:17], 0
.LBB222_849:
	s_and_b64 vcc, exec, s[16:17]
	s_cbranch_vccz .LBB222_864
; %bb.850:
	s_cmp_lt_i32 s34, 27
	s_mov_b64 s[16:17], -1
	s_cbranch_scc1 .LBB222_856
; %bb.851:
	s_cmp_gt_i32 s34, 27
	v_cndmask_b32_e64 v2, 0, 1, s[20:21]
	s_cbranch_scc0 .LBB222_853
; %bb.852:
	s_mov_b64 s[16:17], 0
	global_store_dword v[0:1], v2, off
.LBB222_853:
	s_andn2_b64 vcc, exec, s[16:17]
	s_cbranch_vccnz .LBB222_855
; %bb.854:
	global_store_short v[0:1], v2, off
.LBB222_855:
	s_mov_b64 s[16:17], 0
.LBB222_856:
	s_andn2_b64 vcc, exec, s[16:17]
	s_cbranch_vccnz .LBB222_864
; %bb.857:
	v_cndmask_b32_e64 v3, 0, 1.0, s[20:21]
	s_mov_b32 s16, 0x43800000
	v_cmp_gt_u32_e32 vcc, s16, v3
	v_mov_b32_e32 v4, 0x80
	s_and_saveexec_b64 s[16:17], vcc
	s_cbranch_execz .LBB222_863
; %bb.858:
	s_mov_b32 s26, 0x3bffffff
	v_cmp_lt_u32_e32 vcc, s26, v3
	s_mov_b64 s[26:27], 0
                                        ; implicit-def: $vgpr2
	s_and_saveexec_b64 s[28:29], vcc
	s_xor_b64 s[28:29], exec, s[28:29]
	s_cbranch_execz .LBB222_965
; %bb.859:
	v_bfe_u32 v2, v3, 20, 1
	s_mov_b32 s30, 0x487ffff
	v_add3_u32 v2, v3, v2, s30
	s_mov_b64 s[26:27], exec
	v_lshrrev_b32_e32 v2, 20, v2
                                        ; implicit-def: $vgpr3
	s_andn2_saveexec_b64 s[28:29], s[28:29]
	s_cbranch_execnz .LBB222_966
.LBB222_860:
	s_or_b64 exec, exec, s[28:29]
	v_mov_b32_e32 v4, 0
	s_and_saveexec_b64 s[28:29], s[26:27]
.LBB222_861:
	v_mov_b32_e32 v4, v2
.LBB222_862:
	s_or_b64 exec, exec, s[28:29]
.LBB222_863:
	s_or_b64 exec, exec, s[16:17]
	global_store_byte v[0:1], v4, off
.LBB222_864:
	s_mov_b64 s[26:27], 0
.LBB222_865:
	s_mov_b64 s[16:17], 0
	s_and_b64 vcc, exec, s[26:27]
	s_cbranch_vccz .LBB222_909
; %bb.866:
	s_cmp_gt_i32 s34, 22
	s_mov_b64 s[26:27], -1
	s_cbranch_scc0 .LBB222_898
; %bb.867:
	s_cmp_lt_i32 s34, 24
	s_cbranch_scc1 .LBB222_887
; %bb.868:
	s_cmp_gt_i32 s34, 24
	s_cbranch_scc0 .LBB222_876
; %bb.869:
	v_cndmask_b32_e64 v3, 0, 1.0, s[20:21]
	s_mov_b32 s26, 0x47800000
	v_cmp_gt_u32_e32 vcc, s26, v3
	v_mov_b32_e32 v4, 0x80
	s_and_saveexec_b64 s[26:27], vcc
	s_cbranch_execz .LBB222_875
; %bb.870:
	s_mov_b32 s28, 0x37ffffff
	v_cmp_lt_u32_e32 vcc, s28, v3
	s_mov_b64 s[28:29], 0
                                        ; implicit-def: $vgpr2
	s_and_saveexec_b64 s[30:31], vcc
	s_xor_b64 s[30:31], exec, s[30:31]
	s_cbranch_execz .LBB222_1073
; %bb.871:
	v_bfe_u32 v2, v3, 21, 1
	s_mov_b32 s35, 0x88fffff
	v_add3_u32 v2, v3, v2, s35
	s_mov_b64 s[28:29], exec
	v_lshrrev_b32_e32 v2, 21, v2
                                        ; implicit-def: $vgpr3
	s_andn2_saveexec_b64 s[30:31], s[30:31]
	s_cbranch_execnz .LBB222_1074
.LBB222_872:
	s_or_b64 exec, exec, s[30:31]
	v_mov_b32_e32 v4, 0
	s_and_saveexec_b64 s[30:31], s[28:29]
.LBB222_873:
	v_mov_b32_e32 v4, v2
.LBB222_874:
	s_or_b64 exec, exec, s[30:31]
.LBB222_875:
	s_or_b64 exec, exec, s[26:27]
	s_mov_b64 s[26:27], 0
	global_store_byte v[0:1], v4, off
.LBB222_876:
	s_and_b64 vcc, exec, s[26:27]
	s_cbranch_vccz .LBB222_886
; %bb.877:
	v_cndmask_b32_e64 v2, 0, 1.0, s[20:21]
	s_mov_b32 s26, 0x43f00000
	v_cmp_gt_u32_e32 vcc, s26, v2
                                        ; implicit-def: $vgpr3
	s_and_saveexec_b64 s[26:27], vcc
	s_xor_b64 s[26:27], exec, s[26:27]
	s_cbranch_execz .LBB222_883
; %bb.878:
	s_mov_b32 s28, 0x3c7fffff
	v_cmp_lt_u32_e32 vcc, s28, v2
                                        ; implicit-def: $vgpr3
	s_and_saveexec_b64 s[28:29], vcc
	s_xor_b64 s[28:29], exec, s[28:29]
; %bb.879:
	v_bfe_u32 v3, v2, 20, 1
	s_mov_b32 s30, 0x407ffff
	v_add3_u32 v2, v2, v3, s30
	v_lshrrev_b32_e32 v3, 20, v2
	v_and_b32_e32 v2, 0xff00000, v2
	s_mov_b32 s30, 0x7f00000
	v_mov_b32_e32 v4, 0x7e
	v_cmp_ne_u32_e32 vcc, s30, v2
	v_cndmask_b32_e32 v3, v4, v3, vcc
                                        ; implicit-def: $vgpr2
; %bb.880:
	s_andn2_saveexec_b64 s[28:29], s[28:29]
; %bb.881:
	v_add_f32_e32 v3, 0x46800000, v2
; %bb.882:
	s_or_b64 exec, exec, s[28:29]
                                        ; implicit-def: $vgpr2
.LBB222_883:
	s_andn2_saveexec_b64 s[26:27], s[26:27]
; %bb.884:
	s_mov_b32 s28, 0x7f800000
	v_mov_b32_e32 v3, 0x7e
	v_mov_b32_e32 v4, 0x7f
	v_cmp_lt_u32_e32 vcc, s28, v2
	v_cndmask_b32_e32 v3, v3, v4, vcc
; %bb.885:
	s_or_b64 exec, exec, s[26:27]
	global_store_byte v[0:1], v3, off
.LBB222_886:
	s_mov_b64 s[26:27], 0
.LBB222_887:
	s_andn2_b64 vcc, exec, s[26:27]
	s_cbranch_vccnz .LBB222_897
; %bb.888:
	v_cndmask_b32_e64 v2, 0, 1.0, s[20:21]
	s_mov_b32 s26, 0x47800000
	v_cmp_gt_u32_e32 vcc, s26, v2
                                        ; implicit-def: $vgpr3
	s_and_saveexec_b64 s[26:27], vcc
	s_xor_b64 s[26:27], exec, s[26:27]
	s_cbranch_execz .LBB222_894
; %bb.889:
	s_mov_b32 s28, 0x387fffff
	v_cmp_lt_u32_e32 vcc, s28, v2
                                        ; implicit-def: $vgpr3
	s_and_saveexec_b64 s[28:29], vcc
	s_xor_b64 s[28:29], exec, s[28:29]
; %bb.890:
	v_bfe_u32 v3, v2, 21, 1
	s_mov_b32 s30, 0x80fffff
	v_add3_u32 v2, v2, v3, s30
	v_lshrrev_b32_e32 v3, 21, v2
                                        ; implicit-def: $vgpr2
; %bb.891:
	s_andn2_saveexec_b64 s[28:29], s[28:29]
; %bb.892:
	v_add_f32_e32 v3, 0x43000000, v2
; %bb.893:
	s_or_b64 exec, exec, s[28:29]
                                        ; implicit-def: $vgpr2
.LBB222_894:
	s_andn2_saveexec_b64 s[26:27], s[26:27]
; %bb.895:
	s_mov_b32 s28, 0x7f800000
	v_mov_b32_e32 v3, 0x7c
	v_mov_b32_e32 v4, 0x7f
	v_cmp_lt_u32_e32 vcc, s28, v2
	v_cndmask_b32_e32 v3, v3, v4, vcc
; %bb.896:
	s_or_b64 exec, exec, s[26:27]
	global_store_byte v[0:1], v3, off
.LBB222_897:
	s_mov_b64 s[26:27], 0
.LBB222_898:
	s_andn2_b64 vcc, exec, s[26:27]
	s_mov_b64 s[28:29], 0
	s_cbranch_vccnz .LBB222_910
; %bb.899:
	s_cmp_gt_i32 s34, 14
	s_mov_b64 s[26:27], -1
	s_cbranch_scc0 .LBB222_903
; %bb.900:
	s_cmp_eq_u32 s34, 15
	s_mov_b64 s[0:1], -1
	s_cbranch_scc0 .LBB222_902
; %bb.901:
	v_cndmask_b32_e64 v2, 0, 1.0, s[20:21]
	v_bfe_u32 v3, v2, 16, 1
	s_movk_i32 s0, 0x7fff
	v_add3_u32 v2, v2, v3, s0
	global_store_short_d16_hi v[0:1], v2, off
	s_mov_b64 s[0:1], 0
.LBB222_902:
	s_mov_b64 s[26:27], 0
.LBB222_903:
	s_and_b64 vcc, exec, s[26:27]
	s_cbranch_vccz .LBB222_910
; %bb.904:
	s_cmp_lg_u32 s34, 11
	s_cselect_b64 s[26:27], -1, 0
	s_andn2_b64 s[0:1], s[0:1], exec
	s_and_b64 s[26:27], s[26:27], exec
	s_mov_b64 s[28:29], -1
	s_or_b64 s[0:1], s[0:1], s[26:27]
	s_branch .LBB222_910
.LBB222_905:
	s_or_b64 exec, exec, s[24:25]
	s_and_saveexec_b64 s[0:1], s[18:19]
	s_cbranch_execnz .LBB222_911
.LBB222_906:
	s_or_b64 exec, exec, s[0:1]
	s_and_saveexec_b64 s[0:1], s[34:35]
	s_xor_b64 s[0:1], exec, s[0:1]
	s_cbranch_execz .LBB222_912
.LBB222_907:
	v_cndmask_b32_e64 v2, 0, 1, s[20:21]
	global_store_byte v[0:1], v2, off
	s_or_b64 exec, exec, s[0:1]
	s_and_saveexec_b64 s[0:1], s[26:27]
	s_xor_b64 s[0:1], exec, s[0:1]
	s_cbranch_execz .LBB222_950
	s_branch .LBB222_913
.LBB222_908:
	s_mov_b64 s[28:29], 0
	s_mov_b64 s[16:17], -1
	s_mov_b64 s[0:1], s[18:19]
	s_branch .LBB222_910
.LBB222_909:
	s_mov_b64 s[28:29], 0
.LBB222_910:
	s_and_b64 s[26:27], s[16:17], exec
	s_andn2_b64 s[16:17], s[18:19], exec
	s_and_b64 s[0:1], s[0:1], exec
	s_and_b64 s[34:35], s[28:29], exec
	s_or_b64 s[18:19], s[16:17], s[0:1]
	s_or_b64 exec, exec, s[24:25]
	s_and_saveexec_b64 s[0:1], s[18:19]
	s_cbranch_execz .LBB222_906
.LBB222_911:
	s_or_b64 s[22:23], s[22:23], exec
	s_andn2_b64 s[34:35], s[34:35], exec
	s_trap 2
	s_or_b64 exec, exec, s[0:1]
	s_and_saveexec_b64 s[0:1], s[34:35]
	s_xor_b64 s[0:1], exec, s[0:1]
	s_cbranch_execnz .LBB222_907
.LBB222_912:
	s_or_b64 exec, exec, s[0:1]
	s_and_saveexec_b64 s[0:1], s[26:27]
	s_xor_b64 s[0:1], exec, s[0:1]
	s_cbranch_execz .LBB222_950
.LBB222_913:
	s_sext_i32_i16 s18, s33
	s_cmp_lt_i32 s18, 5
	s_mov_b64 s[16:17], -1
	s_cbranch_scc1 .LBB222_934
; %bb.914:
	s_cmp_lt_i32 s18, 8
	s_cbranch_scc1 .LBB222_924
; %bb.915:
	s_cmp_lt_i32 s18, 9
	s_cbranch_scc1 .LBB222_921
; %bb.916:
	s_cmp_gt_i32 s18, 9
	s_cbranch_scc0 .LBB222_918
; %bb.917:
	v_cndmask_b32_e64 v2, 0, 1, s[20:21]
	v_cvt_f64_u32_e32 v[2:3], v2
	v_mov_b32_e32 v4, 0
	v_mov_b32_e32 v5, v4
	s_mov_b64 s[16:17], 0
	global_store_dwordx4 v[0:1], v[2:5], off
.LBB222_918:
	s_andn2_b64 vcc, exec, s[16:17]
	s_cbranch_vccnz .LBB222_920
; %bb.919:
	v_cndmask_b32_e64 v2, 0, 1.0, s[20:21]
	v_mov_b32_e32 v3, 0
	global_store_dwordx2 v[0:1], v[2:3], off
.LBB222_920:
	s_mov_b64 s[16:17], 0
.LBB222_921:
	s_andn2_b64 vcc, exec, s[16:17]
	s_cbranch_vccnz .LBB222_923
; %bb.922:
	v_cndmask_b32_e64 v2, 0, 1.0, s[20:21]
	v_cvt_f16_f32_e32 v2, v2
	global_store_dword v[0:1], v2, off
.LBB222_923:
	s_mov_b64 s[16:17], 0
.LBB222_924:
	s_andn2_b64 vcc, exec, s[16:17]
	s_cbranch_vccnz .LBB222_933
; %bb.925:
	s_sext_i32_i16 s18, s33
	s_cmp_lt_i32 s18, 6
	s_mov_b64 s[16:17], -1
	s_cbranch_scc1 .LBB222_931
; %bb.926:
	s_cmp_gt_i32 s18, 6
	s_cbranch_scc0 .LBB222_928
; %bb.927:
	v_cndmask_b32_e64 v2, 0, 1, s[20:21]
	v_cvt_f64_u32_e32 v[2:3], v2
	s_mov_b64 s[16:17], 0
	global_store_dwordx2 v[0:1], v[2:3], off
.LBB222_928:
	s_andn2_b64 vcc, exec, s[16:17]
	s_cbranch_vccnz .LBB222_930
; %bb.929:
	v_cndmask_b32_e64 v2, 0, 1.0, s[20:21]
	global_store_dword v[0:1], v2, off
.LBB222_930:
	s_mov_b64 s[16:17], 0
.LBB222_931:
	s_andn2_b64 vcc, exec, s[16:17]
	s_cbranch_vccnz .LBB222_933
; %bb.932:
	v_cndmask_b32_e64 v2, 0, 1.0, s[20:21]
	v_cvt_f16_f32_e32 v2, v2
	global_store_short v[0:1], v2, off
.LBB222_933:
	s_mov_b64 s[16:17], 0
.LBB222_934:
	s_andn2_b64 vcc, exec, s[16:17]
	s_cbranch_vccnz .LBB222_950
; %bb.935:
	s_sext_i32_i16 s18, s33
	s_cmp_lt_i32 s18, 2
	s_mov_b64 s[16:17], -1
	s_cbranch_scc1 .LBB222_945
; %bb.936:
	s_cmp_lt_i32 s18, 3
	s_cbranch_scc1 .LBB222_942
; %bb.937:
	s_cmp_gt_i32 s18, 3
	s_cbranch_scc0 .LBB222_939
; %bb.938:
	s_mov_b32 s16, 0
	v_cndmask_b32_e64 v2, 0, 1, s[20:21]
	v_mov_b32_e32 v3, s16
	s_mov_b64 s[16:17], 0
	global_store_dwordx2 v[0:1], v[2:3], off
.LBB222_939:
	s_andn2_b64 vcc, exec, s[16:17]
	s_cbranch_vccnz .LBB222_941
; %bb.940:
	v_cndmask_b32_e64 v2, 0, 1, s[20:21]
	global_store_dword v[0:1], v2, off
.LBB222_941:
	s_mov_b64 s[16:17], 0
.LBB222_942:
	s_andn2_b64 vcc, exec, s[16:17]
	s_cbranch_vccnz .LBB222_944
; %bb.943:
	v_cndmask_b32_e64 v2, 0, 1, s[20:21]
	global_store_short v[0:1], v2, off
.LBB222_944:
	s_mov_b64 s[16:17], 0
.LBB222_945:
	s_andn2_b64 vcc, exec, s[16:17]
	s_cbranch_vccnz .LBB222_950
; %bb.946:
	s_sext_i32_i16 s18, s33
	s_mov_b64 s[16:17], -1
	s_cmp_gt_i32 s18, 0
	v_cndmask_b32_e64 v2, 0, 1, s[20:21]
	s_cbranch_scc0 .LBB222_948
; %bb.947:
	s_mov_b64 s[16:17], 0
	global_store_byte v[0:1], v2, off
.LBB222_948:
	s_andn2_b64 vcc, exec, s[16:17]
	s_cbranch_vccnz .LBB222_950
; %bb.949:
	global_store_byte v[0:1], v2, off
.LBB222_950:
	s_or_b64 exec, exec, s[0:1]
	s_and_b64 s[16:17], s[22:23], exec
                                        ; implicit-def: $vgpr2
.LBB222_951:
	s_or_saveexec_b64 s[6:7], s[6:7]
	s_mov_b64 s[0:1], 0
                                        ; implicit-def: $sgpr20_sgpr21
                                        ; implicit-def: $sgpr33
                                        ; implicit-def: $vgpr0_vgpr1
	s_xor_b64 exec, exec, s[6:7]
	s_cbranch_execz .LBB222_1828
; %bb.952:
	v_mul_lo_u32 v3, s13, v2
	v_mov_b32_e32 v1, s11
	s_and_b32 s15, 0xffff, s15
	s_cmp_lt_i32 s15, 11
	v_ashrrev_i32_e32 v4, 31, v3
	v_add_co_u32_e32 v0, vcc, s10, v3
	v_addc_co_u32_e32 v1, vcc, v1, v4, vcc
	s_cbranch_scc1 .LBB222_959
; %bb.953:
	s_cmp_gt_i32 s15, 25
	s_mov_b64 s[20:21], 0
	s_cbranch_scc0 .LBB222_961
; %bb.954:
	s_cmp_gt_i32 s15, 28
	s_cbranch_scc0 .LBB222_962
; %bb.955:
	s_cmp_gt_i32 s15, 43
	;; [unrolled: 3-line block ×3, first 2 shown]
	s_cbranch_scc0 .LBB222_964
; %bb.957:
	s_cmp_eq_u32 s15, 46
	s_mov_b64 s[18:19], 0
	s_cbranch_scc0 .LBB222_967
; %bb.958:
	global_load_dword v4, v[0:1], off
	s_mov_b64 s[4:5], -1
	s_waitcnt vmcnt(0)
	v_and_b32_e32 v4, 0x7fff7fff, v4
	v_cmp_ne_u32_e64 s[24:25], 0, v4
	s_branch .LBB222_969
.LBB222_959:
                                        ; implicit-def: $sgpr24_sgpr25
	s_mov_b64 s[18:19], s[16:17]
	s_cbranch_execnz .LBB222_1014
.LBB222_960:
	s_andn2_b64 vcc, exec, s[4:5]
	s_cbranch_vccz .LBB222_1059
	s_branch .LBB222_1826
.LBB222_961:
                                        ; implicit-def: $sgpr24_sgpr25
	s_cbranch_execnz .LBB222_989
	s_branch .LBB222_1010
.LBB222_962:
	s_mov_b64 s[18:19], -1
                                        ; implicit-def: $sgpr24_sgpr25
	s_branch .LBB222_976
.LBB222_963:
                                        ; implicit-def: $sgpr24_sgpr25
	s_cbranch_execnz .LBB222_972
	s_branch .LBB222_975
.LBB222_964:
	s_mov_b64 s[18:19], -1
	s_branch .LBB222_968
.LBB222_965:
	s_andn2_saveexec_b64 s[28:29], s[28:29]
	s_cbranch_execz .LBB222_860
.LBB222_966:
	v_add_f32_e32 v2, 0x46000000, v3
	v_and_b32_e32 v2, 0xff, v2
	v_cmp_ne_u32_e32 vcc, 0, v2
	s_andn2_b64 s[26:27], s[26:27], exec
	s_and_b64 s[30:31], vcc, exec
	s_or_b64 s[26:27], s[26:27], s[30:31]
	s_or_b64 exec, exec, s[28:29]
	v_mov_b32_e32 v4, 0
	s_and_saveexec_b64 s[28:29], s[26:27]
	s_cbranch_execnz .LBB222_861
	s_branch .LBB222_862
.LBB222_967:
	s_mov_b64 s[0:1], -1
.LBB222_968:
                                        ; implicit-def: $sgpr24_sgpr25
.LBB222_969:
	s_and_b64 vcc, exec, s[18:19]
	s_cbranch_vccz .LBB222_971
; %bb.970:
	s_cmp_lg_u32 s15, 44
	s_mov_b64 s[4:5], -1
	s_cselect_b64 s[0:1], -1, 0
	s_or_b64 s[24:25], s[24:25], exec
.LBB222_971:
	s_branch .LBB222_975
.LBB222_972:
	s_cmp_eq_u32 s15, 29
	s_cbranch_scc0 .LBB222_974
; %bb.973:
	global_load_dwordx2 v[4:5], v[0:1], off
	s_mov_b64 s[0:1], 0
	s_mov_b64 s[4:5], -1
	s_mov_b64 s[18:19], 0
	s_waitcnt vmcnt(0)
	v_cmp_ne_u64_e64 s[24:25], 0, v[4:5]
	s_branch .LBB222_976
.LBB222_974:
	s_mov_b64 s[0:1], -1
                                        ; implicit-def: $sgpr24_sgpr25
.LBB222_975:
	s_mov_b64 s[18:19], 0
.LBB222_976:
	s_and_b64 vcc, exec, s[18:19]
	s_cbranch_vccz .LBB222_988
; %bb.977:
	s_cmp_lt_i32 s15, 27
	s_cbranch_scc1 .LBB222_980
; %bb.978:
	s_cmp_gt_i32 s15, 27
	s_cbranch_scc0 .LBB222_981
; %bb.979:
	global_load_dword v4, v[0:1], off
	s_mov_b64 s[4:5], 0
	s_waitcnt vmcnt(0)
	v_cmp_ne_u32_e64 s[24:25], 0, v4
	s_branch .LBB222_982
.LBB222_980:
	s_mov_b64 s[4:5], -1
                                        ; implicit-def: $sgpr24_sgpr25
	s_branch .LBB222_985
.LBB222_981:
	s_mov_b64 s[4:5], -1
                                        ; implicit-def: $sgpr24_sgpr25
.LBB222_982:
	s_andn2_b64 vcc, exec, s[4:5]
	s_cbranch_vccnz .LBB222_984
; %bb.983:
	global_load_ushort v4, v[0:1], off
	s_andn2_b64 s[4:5], s[24:25], exec
	s_waitcnt vmcnt(0)
	v_cmp_ne_u16_e32 vcc, 0, v4
	s_and_b64 s[18:19], vcc, exec
	s_or_b64 s[24:25], s[4:5], s[18:19]
.LBB222_984:
	s_mov_b64 s[4:5], 0
.LBB222_985:
	s_andn2_b64 vcc, exec, s[4:5]
	s_cbranch_vccnz .LBB222_987
; %bb.986:
	global_load_ubyte v4, v[0:1], off
	s_andn2_b64 s[4:5], s[24:25], exec
	s_waitcnt vmcnt(0)
	v_cmp_ne_u16_e32 vcc, 0, v4
	s_and_b64 s[18:19], vcc, exec
	s_or_b64 s[24:25], s[4:5], s[18:19]
.LBB222_987:
	s_mov_b64 s[4:5], -1
.LBB222_988:
	s_branch .LBB222_1010
.LBB222_989:
	s_cmp_gt_i32 s15, 22
	s_cbranch_scc0 .LBB222_993
; %bb.990:
	s_cmp_lt_i32 s15, 24
	s_cbranch_scc1 .LBB222_994
; %bb.991:
	s_cmp_gt_i32 s15, 24
	s_cbranch_scc0 .LBB222_995
; %bb.992:
	global_load_ubyte v4, v[0:1], off
	s_mov_b64 s[4:5], 0
	s_waitcnt vmcnt(0)
	v_cmp_ne_u16_e64 s[24:25], 0, v4
	s_branch .LBB222_996
.LBB222_993:
                                        ; implicit-def: $sgpr24_sgpr25
	s_branch .LBB222_1002
.LBB222_994:
	s_mov_b64 s[4:5], -1
                                        ; implicit-def: $sgpr24_sgpr25
	s_branch .LBB222_999
.LBB222_995:
	s_mov_b64 s[4:5], -1
                                        ; implicit-def: $sgpr24_sgpr25
.LBB222_996:
	s_andn2_b64 vcc, exec, s[4:5]
	s_cbranch_vccnz .LBB222_998
; %bb.997:
	global_load_ubyte v4, v[0:1], off
	s_andn2_b64 s[4:5], s[24:25], exec
	s_waitcnt vmcnt(0)
	v_and_b32_e32 v4, 0x7f, v4
	v_cmp_ne_u16_e32 vcc, 0, v4
	s_and_b64 s[18:19], vcc, exec
	s_or_b64 s[24:25], s[4:5], s[18:19]
.LBB222_998:
	s_mov_b64 s[4:5], 0
.LBB222_999:
	s_andn2_b64 vcc, exec, s[4:5]
	s_cbranch_vccnz .LBB222_1001
; %bb.1000:
	global_load_ubyte v4, v[0:1], off
	s_movk_i32 s4, 0x7f00
	s_brev_b32 s5, 16
	s_waitcnt vmcnt(0)
	v_lshlrev_b32_e32 v5, 8, v4
	v_lshlrev_b32_e32 v4, 25, v4
	v_lshrrev_b32_e32 v6, 4, v4
	v_and_or_b32 v5, v5, s4, 0.5
	v_or_b32_e32 v6, 0x70000000, v6
	v_add_f32_e32 v5, -0.5, v5
	v_mul_f32_e32 v6, 0x7800000, v6
	v_cmp_gt_u32_e32 vcc, s5, v4
	v_cndmask_b32_e32 v4, v6, v5, vcc
	v_cmp_neq_f32_e32 vcc, 0, v4
	s_andn2_b64 s[4:5], s[24:25], exec
	s_and_b64 s[18:19], vcc, exec
	s_or_b64 s[24:25], s[4:5], s[18:19]
.LBB222_1001:
	s_mov_b64 s[4:5], -1
	s_cbranch_execnz .LBB222_1010
.LBB222_1002:
	s_cmp_gt_i32 s15, 14
	s_cbranch_scc0 .LBB222_1005
; %bb.1003:
	s_cmp_eq_u32 s15, 15
	s_cbranch_scc0 .LBB222_1006
; %bb.1004:
	global_load_ushort v4, v[0:1], off
	s_mov_b64 s[0:1], 0
	s_mov_b64 s[4:5], -1
	s_waitcnt vmcnt(0)
	v_and_b32_e32 v4, 0x7fff, v4
	v_cmp_ne_u16_e64 s[24:25], 0, v4
	s_branch .LBB222_1007
.LBB222_1005:
	s_mov_b64 s[18:19], -1
                                        ; implicit-def: $sgpr24_sgpr25
	s_branch .LBB222_1008
.LBB222_1006:
	s_mov_b64 s[0:1], -1
                                        ; implicit-def: $sgpr24_sgpr25
.LBB222_1007:
	s_mov_b64 s[18:19], 0
.LBB222_1008:
	s_and_b64 vcc, exec, s[18:19]
	s_cbranch_vccz .LBB222_1010
; %bb.1009:
	s_cmp_lg_u32 s15, 11
	s_mov_b64 s[20:21], -1
	s_cselect_b64 s[0:1], -1, 0
.LBB222_1010:
	s_and_b64 vcc, exec, s[0:1]
	s_mov_b64 s[18:19], s[16:17]
	s_cbranch_vccnz .LBB222_1071
; %bb.1011:
	s_andn2_b64 vcc, exec, s[20:21]
	s_cbranch_vccnz .LBB222_1013
.LBB222_1012:
	global_load_ubyte v4, v[0:1], off
	s_andn2_b64 s[0:1], s[24:25], exec
	s_mov_b64 s[4:5], -1
	s_waitcnt vmcnt(0)
	v_cmp_ne_u16_e32 vcc, 0, v4
	s_and_b64 s[20:21], vcc, exec
	s_or_b64 s[24:25], s[0:1], s[20:21]
.LBB222_1013:
	s_branch .LBB222_960
.LBB222_1014:
	s_cmp_lt_i32 s15, 5
	s_cbranch_scc1 .LBB222_1019
; %bb.1015:
	s_cmp_lt_i32 s15, 8
	s_cbranch_scc1 .LBB222_1020
; %bb.1016:
	;; [unrolled: 3-line block ×3, first 2 shown]
	s_cmp_gt_i32 s15, 9
	s_cbranch_scc0 .LBB222_1022
; %bb.1018:
	global_load_dwordx4 v[4:7], v[0:1], off
	s_mov_b64 s[4:5], 0
	s_waitcnt vmcnt(0)
	v_cmp_neq_f64_e32 vcc, 0, v[4:5]
	v_cmp_neq_f64_e64 s[0:1], 0, v[6:7]
	s_or_b64 s[24:25], vcc, s[0:1]
	s_branch .LBB222_1023
.LBB222_1019:
                                        ; implicit-def: $sgpr24_sgpr25
	s_branch .LBB222_1040
.LBB222_1020:
                                        ; implicit-def: $sgpr24_sgpr25
	s_branch .LBB222_1029
.LBB222_1021:
	s_mov_b64 s[0:1], -1
                                        ; implicit-def: $sgpr24_sgpr25
	s_branch .LBB222_1026
.LBB222_1022:
	s_mov_b64 s[4:5], -1
                                        ; implicit-def: $sgpr24_sgpr25
.LBB222_1023:
	s_andn2_b64 vcc, exec, s[4:5]
	s_cbranch_vccnz .LBB222_1025
; %bb.1024:
	global_load_dwordx2 v[4:5], v[0:1], off
	s_andn2_b64 s[0:1], s[24:25], exec
	s_waitcnt vmcnt(0)
	v_or_b32_e32 v4, v4, v5
	v_and_b32_e32 v4, 0x7fffffff, v4
	v_cmp_ne_u32_e32 vcc, 0, v4
	s_and_b64 s[4:5], vcc, exec
	s_or_b64 s[24:25], s[0:1], s[4:5]
.LBB222_1025:
	s_mov_b64 s[0:1], 0
.LBB222_1026:
	s_andn2_b64 vcc, exec, s[0:1]
	s_cbranch_vccnz .LBB222_1028
; %bb.1027:
	global_load_dword v4, v[0:1], off
	s_andn2_b64 s[0:1], s[24:25], exec
	s_waitcnt vmcnt(0)
	v_and_b32_e32 v4, 0x7fff7fff, v4
	v_cmp_ne_u32_e32 vcc, 0, v4
	s_and_b64 s[4:5], vcc, exec
	s_or_b64 s[24:25], s[0:1], s[4:5]
.LBB222_1028:
	s_cbranch_execnz .LBB222_1039
.LBB222_1029:
	s_cmp_lt_i32 s15, 6
	s_cbranch_scc1 .LBB222_1032
; %bb.1030:
	s_cmp_gt_i32 s15, 6
	s_cbranch_scc0 .LBB222_1033
; %bb.1031:
	global_load_dwordx2 v[4:5], v[0:1], off
	s_mov_b64 s[0:1], 0
	s_waitcnt vmcnt(0)
	v_cmp_neq_f64_e64 s[24:25], 0, v[4:5]
	s_branch .LBB222_1034
.LBB222_1032:
	s_mov_b64 s[0:1], -1
                                        ; implicit-def: $sgpr24_sgpr25
	s_branch .LBB222_1037
.LBB222_1033:
	s_mov_b64 s[0:1], -1
                                        ; implicit-def: $sgpr24_sgpr25
.LBB222_1034:
	s_andn2_b64 vcc, exec, s[0:1]
	s_cbranch_vccnz .LBB222_1036
; %bb.1035:
	global_load_dword v4, v[0:1], off
	s_andn2_b64 s[0:1], s[24:25], exec
	s_waitcnt vmcnt(0)
	v_cmp_neq_f32_e32 vcc, 0, v4
	s_and_b64 s[4:5], vcc, exec
	s_or_b64 s[24:25], s[0:1], s[4:5]
.LBB222_1036:
	s_mov_b64 s[0:1], 0
.LBB222_1037:
	s_andn2_b64 vcc, exec, s[0:1]
	s_cbranch_vccnz .LBB222_1039
; %bb.1038:
	global_load_ushort v4, v[0:1], off
	s_andn2_b64 s[0:1], s[24:25], exec
	s_waitcnt vmcnt(0)
	v_and_b32_e32 v4, 0x7fff, v4
	v_cmp_ne_u16_e32 vcc, 0, v4
	s_and_b64 s[4:5], vcc, exec
	s_or_b64 s[24:25], s[0:1], s[4:5]
.LBB222_1039:
	s_cbranch_execnz .LBB222_1058
.LBB222_1040:
	s_cmp_lt_i32 s15, 2
	s_cbranch_scc1 .LBB222_1044
; %bb.1041:
	s_cmp_lt_i32 s15, 3
	s_cbranch_scc1 .LBB222_1045
; %bb.1042:
	s_cmp_gt_i32 s15, 3
	s_cbranch_scc0 .LBB222_1046
; %bb.1043:
	global_load_dwordx2 v[4:5], v[0:1], off
	s_mov_b64 s[0:1], 0
	s_waitcnt vmcnt(0)
	v_cmp_ne_u64_e64 s[24:25], 0, v[4:5]
	s_branch .LBB222_1047
.LBB222_1044:
                                        ; implicit-def: $sgpr24_sgpr25
	s_branch .LBB222_1053
.LBB222_1045:
	s_mov_b64 s[0:1], -1
                                        ; implicit-def: $sgpr24_sgpr25
	s_branch .LBB222_1050
.LBB222_1046:
	s_mov_b64 s[0:1], -1
                                        ; implicit-def: $sgpr24_sgpr25
.LBB222_1047:
	s_andn2_b64 vcc, exec, s[0:1]
	s_cbranch_vccnz .LBB222_1049
; %bb.1048:
	global_load_dword v4, v[0:1], off
	s_andn2_b64 s[0:1], s[24:25], exec
	s_waitcnt vmcnt(0)
	v_cmp_ne_u32_e32 vcc, 0, v4
	s_and_b64 s[4:5], vcc, exec
	s_or_b64 s[24:25], s[0:1], s[4:5]
.LBB222_1049:
	s_mov_b64 s[0:1], 0
.LBB222_1050:
	s_andn2_b64 vcc, exec, s[0:1]
	s_cbranch_vccnz .LBB222_1052
; %bb.1051:
	global_load_ushort v4, v[0:1], off
	s_andn2_b64 s[0:1], s[24:25], exec
	s_waitcnt vmcnt(0)
	v_cmp_ne_u16_e32 vcc, 0, v4
	s_and_b64 s[4:5], vcc, exec
	s_or_b64 s[24:25], s[0:1], s[4:5]
.LBB222_1052:
	s_cbranch_execnz .LBB222_1058
.LBB222_1053:
	s_cmp_gt_i32 s15, 0
	s_cbranch_scc0 .LBB222_1055
; %bb.1054:
	global_load_ubyte v4, v[0:1], off
	s_mov_b64 s[0:1], 0
	s_waitcnt vmcnt(0)
	v_cmp_ne_u16_e64 s[24:25], 0, v4
	s_branch .LBB222_1056
.LBB222_1055:
	s_mov_b64 s[0:1], -1
                                        ; implicit-def: $sgpr24_sgpr25
.LBB222_1056:
	s_andn2_b64 vcc, exec, s[0:1]
	s_cbranch_vccnz .LBB222_1058
; %bb.1057:
	global_load_ubyte v0, v[0:1], off
	s_andn2_b64 s[0:1], s[24:25], exec
	s_waitcnt vmcnt(0)
	v_cmp_ne_u16_e32 vcc, 0, v0
	s_and_b64 s[4:5], vcc, exec
	s_or_b64 s[24:25], s[0:1], s[4:5]
.LBB222_1058:
.LBB222_1059:
	s_lshl_b32 s13, s13, 7
	v_add_u32_e32 v3, s13, v3
	v_ashrrev_i32_e32 v1, 31, v3
	v_mov_b32_e32 v4, s11
	v_add_co_u32_e32 v0, vcc, s10, v3
	s_cmp_lt_i32 s15, 11
	v_addc_co_u32_e32 v1, vcc, v4, v1, vcc
	s_cbranch_scc1 .LBB222_1066
; %bb.1060:
	s_cmp_gt_i32 s15, 25
	s_mov_b64 s[20:21], 0
	s_cbranch_scc0 .LBB222_1068
; %bb.1061:
	s_cmp_gt_i32 s15, 28
	s_cbranch_scc0 .LBB222_1069
; %bb.1062:
	s_cmp_gt_i32 s15, 43
	;; [unrolled: 3-line block ×3, first 2 shown]
	s_cbranch_scc0 .LBB222_1072
; %bb.1064:
	s_cmp_eq_u32 s15, 46
	s_mov_b64 s[26:27], 0
	s_cbranch_scc0 .LBB222_1075
; %bb.1065:
	global_load_dword v4, v[0:1], off
	s_mov_b64 s[0:1], 0
	s_mov_b64 s[4:5], -1
	s_waitcnt vmcnt(0)
	v_and_b32_e32 v4, 0x7fff7fff, v4
	v_cmp_ne_u32_e64 s[22:23], 0, v4
	s_branch .LBB222_1076
.LBB222_1066:
	s_mov_b64 s[4:5], 0
                                        ; implicit-def: $sgpr22_sgpr23
	s_cbranch_execnz .LBB222_1123
.LBB222_1067:
	s_andn2_b64 vcc, exec, s[4:5]
	s_cbranch_vccnz .LBB222_1826
	s_branch .LBB222_1170
.LBB222_1068:
	s_mov_b64 s[4:5], 0
	s_mov_b64 s[0:1], 0
                                        ; implicit-def: $sgpr22_sgpr23
	s_cbranch_execnz .LBB222_1097
	s_branch .LBB222_1119
.LBB222_1069:
	s_mov_b64 s[26:27], -1
	s_mov_b64 s[4:5], 0
	s_mov_b64 s[0:1], 0
                                        ; implicit-def: $sgpr22_sgpr23
	s_branch .LBB222_1084
.LBB222_1070:
	s_mov_b64 s[26:27], -1
	s_mov_b64 s[4:5], 0
	s_mov_b64 s[0:1], 0
                                        ; implicit-def: $sgpr22_sgpr23
	s_branch .LBB222_1079
.LBB222_1071:
	s_mov_b64 s[4:5], 0
	s_or_b64 s[18:19], s[16:17], exec
	s_trap 2
	s_cbranch_execz .LBB222_1012
	s_branch .LBB222_1013
.LBB222_1072:
	s_mov_b64 s[26:27], -1
	s_mov_b64 s[4:5], 0
	s_mov_b64 s[0:1], 0
                                        ; implicit-def: $sgpr22_sgpr23
	s_branch .LBB222_1076
.LBB222_1073:
	s_andn2_saveexec_b64 s[30:31], s[30:31]
	s_cbranch_execz .LBB222_872
.LBB222_1074:
	v_add_f32_e32 v2, 0x42800000, v3
	v_and_b32_e32 v2, 0xff, v2
	v_cmp_ne_u32_e32 vcc, 0, v2
	s_andn2_b64 s[28:29], s[28:29], exec
	s_and_b64 s[36:37], vcc, exec
	s_or_b64 s[28:29], s[28:29], s[36:37]
	s_or_b64 exec, exec, s[30:31]
	v_mov_b32_e32 v4, 0
	s_and_saveexec_b64 s[30:31], s[28:29]
	s_cbranch_execnz .LBB222_873
	s_branch .LBB222_874
.LBB222_1075:
	s_mov_b64 s[0:1], -1
                                        ; implicit-def: $sgpr22_sgpr23
	s_mov_b64 s[4:5], 0
.LBB222_1076:
	s_and_b64 vcc, exec, s[26:27]
	s_cbranch_vccz .LBB222_1078
; %bb.1077:
	s_cmp_lg_u32 s15, 44
	s_mov_b64 s[4:5], -1
	s_cselect_b64 s[0:1], -1, 0
	s_or_b64 s[22:23], s[22:23], exec
.LBB222_1078:
	s_mov_b64 s[26:27], 0
.LBB222_1079:
	s_and_b64 vcc, exec, s[26:27]
	s_cbranch_vccz .LBB222_1083
; %bb.1080:
	s_cmp_eq_u32 s15, 29
	s_cbranch_scc0 .LBB222_1082
; %bb.1081:
	global_load_dwordx2 v[4:5], v[0:1], off
	s_mov_b64 s[0:1], 0
	s_mov_b64 s[4:5], -1
	s_mov_b64 s[26:27], 0
	s_waitcnt vmcnt(0)
	v_cmp_ne_u64_e64 s[22:23], 0, v[4:5]
	s_branch .LBB222_1084
.LBB222_1082:
	s_mov_b64 s[0:1], -1
                                        ; implicit-def: $sgpr22_sgpr23
.LBB222_1083:
	s_mov_b64 s[26:27], 0
.LBB222_1084:
	s_and_b64 vcc, exec, s[26:27]
	s_cbranch_vccz .LBB222_1096
; %bb.1085:
	s_cmp_lt_i32 s15, 27
	s_cbranch_scc1 .LBB222_1088
; %bb.1086:
	s_cmp_gt_i32 s15, 27
	s_cbranch_scc0 .LBB222_1089
; %bb.1087:
	global_load_dword v4, v[0:1], off
	s_mov_b64 s[4:5], 0
	s_waitcnt vmcnt(0)
	v_cmp_ne_u32_e64 s[22:23], 0, v4
	s_branch .LBB222_1090
.LBB222_1088:
	s_mov_b64 s[4:5], -1
                                        ; implicit-def: $sgpr22_sgpr23
	s_branch .LBB222_1093
.LBB222_1089:
	s_mov_b64 s[4:5], -1
                                        ; implicit-def: $sgpr22_sgpr23
.LBB222_1090:
	s_andn2_b64 vcc, exec, s[4:5]
	s_cbranch_vccnz .LBB222_1092
; %bb.1091:
	global_load_ushort v4, v[0:1], off
	s_andn2_b64 s[4:5], s[22:23], exec
	s_waitcnt vmcnt(0)
	v_cmp_ne_u16_e32 vcc, 0, v4
	s_and_b64 s[22:23], vcc, exec
	s_or_b64 s[22:23], s[4:5], s[22:23]
.LBB222_1092:
	s_mov_b64 s[4:5], 0
.LBB222_1093:
	s_andn2_b64 vcc, exec, s[4:5]
	s_cbranch_vccnz .LBB222_1095
; %bb.1094:
	global_load_ubyte v4, v[0:1], off
	s_andn2_b64 s[4:5], s[22:23], exec
	s_waitcnt vmcnt(0)
	v_cmp_ne_u16_e32 vcc, 0, v4
	s_and_b64 s[22:23], vcc, exec
	s_or_b64 s[22:23], s[4:5], s[22:23]
.LBB222_1095:
	s_mov_b64 s[4:5], -1
.LBB222_1096:
	s_branch .LBB222_1119
.LBB222_1097:
	s_cmp_gt_i32 s15, 22
	s_cbranch_scc0 .LBB222_1101
; %bb.1098:
	s_cmp_lt_i32 s15, 24
	s_cbranch_scc1 .LBB222_1102
; %bb.1099:
	s_cmp_gt_i32 s15, 24
	s_cbranch_scc0 .LBB222_1103
; %bb.1100:
	global_load_ubyte v4, v[0:1], off
	s_mov_b64 s[4:5], 0
	s_waitcnt vmcnt(0)
	v_cmp_ne_u16_e64 s[22:23], 0, v4
	s_branch .LBB222_1104
.LBB222_1101:
	s_mov_b64 s[20:21], -1
                                        ; implicit-def: $sgpr22_sgpr23
	s_branch .LBB222_1110
.LBB222_1102:
	s_mov_b64 s[4:5], -1
                                        ; implicit-def: $sgpr22_sgpr23
	s_branch .LBB222_1107
.LBB222_1103:
	s_mov_b64 s[4:5], -1
                                        ; implicit-def: $sgpr22_sgpr23
.LBB222_1104:
	s_andn2_b64 vcc, exec, s[4:5]
	s_cbranch_vccnz .LBB222_1106
; %bb.1105:
	global_load_ubyte v4, v[0:1], off
	s_andn2_b64 s[4:5], s[22:23], exec
	s_waitcnt vmcnt(0)
	v_and_b32_e32 v4, 0x7f, v4
	v_cmp_ne_u16_e32 vcc, 0, v4
	s_and_b64 s[20:21], vcc, exec
	s_or_b64 s[22:23], s[4:5], s[20:21]
.LBB222_1106:
	s_mov_b64 s[4:5], 0
.LBB222_1107:
	s_andn2_b64 vcc, exec, s[4:5]
	s_cbranch_vccnz .LBB222_1109
; %bb.1108:
	global_load_ubyte v4, v[0:1], off
	s_movk_i32 s4, 0x7f00
	s_brev_b32 s5, 16
	s_waitcnt vmcnt(0)
	v_lshlrev_b32_e32 v5, 8, v4
	v_lshlrev_b32_e32 v4, 25, v4
	v_lshrrev_b32_e32 v6, 4, v4
	v_and_or_b32 v5, v5, s4, 0.5
	v_or_b32_e32 v6, 0x70000000, v6
	v_add_f32_e32 v5, -0.5, v5
	v_mul_f32_e32 v6, 0x7800000, v6
	v_cmp_gt_u32_e32 vcc, s5, v4
	v_cndmask_b32_e32 v4, v6, v5, vcc
	v_cmp_neq_f32_e32 vcc, 0, v4
	s_andn2_b64 s[4:5], s[22:23], exec
	s_and_b64 s[20:21], vcc, exec
	s_or_b64 s[22:23], s[4:5], s[20:21]
.LBB222_1109:
	s_mov_b64 s[20:21], 0
	s_mov_b64 s[4:5], -1
.LBB222_1110:
	s_andn2_b64 vcc, exec, s[20:21]
	s_mov_b64 s[20:21], 0
	s_cbranch_vccnz .LBB222_1119
; %bb.1111:
	s_cmp_gt_i32 s15, 14
	s_cbranch_scc0 .LBB222_1114
; %bb.1112:
	s_cmp_eq_u32 s15, 15
	s_cbranch_scc0 .LBB222_1115
; %bb.1113:
	global_load_ushort v4, v[0:1], off
	s_mov_b64 s[0:1], 0
	s_mov_b64 s[4:5], -1
	s_waitcnt vmcnt(0)
	v_and_b32_e32 v4, 0x7fff, v4
	v_cmp_ne_u16_e64 s[22:23], 0, v4
	s_branch .LBB222_1116
.LBB222_1114:
	s_mov_b64 s[26:27], -1
                                        ; implicit-def: $sgpr22_sgpr23
	s_branch .LBB222_1117
.LBB222_1115:
	s_mov_b64 s[0:1], -1
                                        ; implicit-def: $sgpr22_sgpr23
.LBB222_1116:
	s_mov_b64 s[26:27], 0
.LBB222_1117:
	s_and_b64 vcc, exec, s[26:27]
	s_cbranch_vccz .LBB222_1119
; %bb.1118:
	s_cmp_lg_u32 s15, 11
	s_mov_b64 s[20:21], -1
	s_cselect_b64 s[0:1], -1, 0
.LBB222_1119:
	s_and_b64 vcc, exec, s[0:1]
	s_cbranch_vccnz .LBB222_1182
; %bb.1120:
	s_andn2_b64 vcc, exec, s[20:21]
	s_cbranch_vccnz .LBB222_1122
.LBB222_1121:
	global_load_ubyte v4, v[0:1], off
	s_andn2_b64 s[0:1], s[22:23], exec
	s_mov_b64 s[4:5], -1
	s_waitcnt vmcnt(0)
	v_cmp_ne_u16_e32 vcc, 0, v4
	s_and_b64 s[20:21], vcc, exec
	s_or_b64 s[22:23], s[0:1], s[20:21]
.LBB222_1122:
	s_branch .LBB222_1067
.LBB222_1123:
	s_cmp_lt_i32 s15, 5
	s_cbranch_scc1 .LBB222_1128
; %bb.1124:
	s_cmp_lt_i32 s15, 8
	s_cbranch_scc1 .LBB222_1129
; %bb.1125:
	;; [unrolled: 3-line block ×3, first 2 shown]
	s_cmp_gt_i32 s15, 9
	s_cbranch_scc0 .LBB222_1131
; %bb.1127:
	global_load_dwordx4 v[4:7], v[0:1], off
	s_mov_b64 s[4:5], 0
	s_waitcnt vmcnt(0)
	v_cmp_neq_f64_e32 vcc, 0, v[4:5]
	v_cmp_neq_f64_e64 s[0:1], 0, v[6:7]
	s_or_b64 s[22:23], vcc, s[0:1]
	s_branch .LBB222_1132
.LBB222_1128:
                                        ; implicit-def: $sgpr22_sgpr23
	s_branch .LBB222_1150
.LBB222_1129:
	s_mov_b64 s[0:1], -1
                                        ; implicit-def: $sgpr22_sgpr23
	s_branch .LBB222_1138
.LBB222_1130:
	s_mov_b64 s[0:1], -1
                                        ; implicit-def: $sgpr22_sgpr23
	s_branch .LBB222_1135
.LBB222_1131:
	s_mov_b64 s[4:5], -1
                                        ; implicit-def: $sgpr22_sgpr23
.LBB222_1132:
	s_andn2_b64 vcc, exec, s[4:5]
	s_cbranch_vccnz .LBB222_1134
; %bb.1133:
	global_load_dwordx2 v[4:5], v[0:1], off
	s_andn2_b64 s[0:1], s[22:23], exec
	s_waitcnt vmcnt(0)
	v_or_b32_e32 v4, v4, v5
	v_and_b32_e32 v4, 0x7fffffff, v4
	v_cmp_ne_u32_e32 vcc, 0, v4
	s_and_b64 s[4:5], vcc, exec
	s_or_b64 s[22:23], s[0:1], s[4:5]
.LBB222_1134:
	s_mov_b64 s[0:1], 0
.LBB222_1135:
	s_andn2_b64 vcc, exec, s[0:1]
	s_cbranch_vccnz .LBB222_1137
; %bb.1136:
	global_load_dword v4, v[0:1], off
	s_andn2_b64 s[0:1], s[22:23], exec
	s_waitcnt vmcnt(0)
	v_and_b32_e32 v4, 0x7fff7fff, v4
	v_cmp_ne_u32_e32 vcc, 0, v4
	s_and_b64 s[4:5], vcc, exec
	s_or_b64 s[22:23], s[0:1], s[4:5]
.LBB222_1137:
	s_mov_b64 s[0:1], 0
.LBB222_1138:
	s_andn2_b64 vcc, exec, s[0:1]
	s_cbranch_vccnz .LBB222_1149
; %bb.1139:
	s_cmp_lt_i32 s15, 6
	s_cbranch_scc1 .LBB222_1142
; %bb.1140:
	s_cmp_gt_i32 s15, 6
	s_cbranch_scc0 .LBB222_1143
; %bb.1141:
	global_load_dwordx2 v[4:5], v[0:1], off
	s_mov_b64 s[0:1], 0
	s_waitcnt vmcnt(0)
	v_cmp_neq_f64_e64 s[22:23], 0, v[4:5]
	s_branch .LBB222_1144
.LBB222_1142:
	s_mov_b64 s[0:1], -1
                                        ; implicit-def: $sgpr22_sgpr23
	s_branch .LBB222_1147
.LBB222_1143:
	s_mov_b64 s[0:1], -1
                                        ; implicit-def: $sgpr22_sgpr23
.LBB222_1144:
	s_andn2_b64 vcc, exec, s[0:1]
	s_cbranch_vccnz .LBB222_1146
; %bb.1145:
	global_load_dword v4, v[0:1], off
	s_andn2_b64 s[0:1], s[22:23], exec
	s_waitcnt vmcnt(0)
	v_cmp_neq_f32_e32 vcc, 0, v4
	s_and_b64 s[4:5], vcc, exec
	s_or_b64 s[22:23], s[0:1], s[4:5]
.LBB222_1146:
	s_mov_b64 s[0:1], 0
.LBB222_1147:
	s_andn2_b64 vcc, exec, s[0:1]
	s_cbranch_vccnz .LBB222_1149
; %bb.1148:
	global_load_ushort v4, v[0:1], off
	s_andn2_b64 s[0:1], s[22:23], exec
	s_waitcnt vmcnt(0)
	v_and_b32_e32 v4, 0x7fff, v4
	v_cmp_ne_u16_e32 vcc, 0, v4
	s_and_b64 s[4:5], vcc, exec
	s_or_b64 s[22:23], s[0:1], s[4:5]
.LBB222_1149:
	s_cbranch_execnz .LBB222_1169
.LBB222_1150:
	s_cmp_lt_i32 s15, 2
	s_cbranch_scc1 .LBB222_1154
; %bb.1151:
	s_cmp_lt_i32 s15, 3
	s_cbranch_scc1 .LBB222_1155
; %bb.1152:
	s_cmp_gt_i32 s15, 3
	s_cbranch_scc0 .LBB222_1156
; %bb.1153:
	global_load_dwordx2 v[4:5], v[0:1], off
	s_mov_b64 s[0:1], 0
	s_waitcnt vmcnt(0)
	v_cmp_ne_u64_e64 s[22:23], 0, v[4:5]
	s_branch .LBB222_1157
.LBB222_1154:
	s_mov_b64 s[0:1], -1
                                        ; implicit-def: $sgpr22_sgpr23
	s_branch .LBB222_1163
.LBB222_1155:
	s_mov_b64 s[0:1], -1
                                        ; implicit-def: $sgpr22_sgpr23
	s_branch .LBB222_1160
.LBB222_1156:
	s_mov_b64 s[0:1], -1
                                        ; implicit-def: $sgpr22_sgpr23
.LBB222_1157:
	s_andn2_b64 vcc, exec, s[0:1]
	s_cbranch_vccnz .LBB222_1159
; %bb.1158:
	global_load_dword v4, v[0:1], off
	s_andn2_b64 s[0:1], s[22:23], exec
	s_waitcnt vmcnt(0)
	v_cmp_ne_u32_e32 vcc, 0, v4
	s_and_b64 s[4:5], vcc, exec
	s_or_b64 s[22:23], s[0:1], s[4:5]
.LBB222_1159:
	s_mov_b64 s[0:1], 0
.LBB222_1160:
	s_andn2_b64 vcc, exec, s[0:1]
	s_cbranch_vccnz .LBB222_1162
; %bb.1161:
	global_load_ushort v4, v[0:1], off
	s_andn2_b64 s[0:1], s[22:23], exec
	s_waitcnt vmcnt(0)
	v_cmp_ne_u16_e32 vcc, 0, v4
	s_and_b64 s[4:5], vcc, exec
	s_or_b64 s[22:23], s[0:1], s[4:5]
.LBB222_1162:
	s_mov_b64 s[0:1], 0
.LBB222_1163:
	s_andn2_b64 vcc, exec, s[0:1]
	s_cbranch_vccnz .LBB222_1169
; %bb.1164:
	s_cmp_gt_i32 s15, 0
	s_cbranch_scc0 .LBB222_1166
; %bb.1165:
	global_load_ubyte v4, v[0:1], off
	s_mov_b64 s[0:1], 0
	s_waitcnt vmcnt(0)
	v_cmp_ne_u16_e64 s[22:23], 0, v4
	s_branch .LBB222_1167
.LBB222_1166:
	s_mov_b64 s[0:1], -1
                                        ; implicit-def: $sgpr22_sgpr23
.LBB222_1167:
	s_andn2_b64 vcc, exec, s[0:1]
	s_cbranch_vccnz .LBB222_1169
; %bb.1168:
	global_load_ubyte v0, v[0:1], off
	s_andn2_b64 s[0:1], s[22:23], exec
	s_waitcnt vmcnt(0)
	v_cmp_ne_u16_e32 vcc, 0, v0
	s_and_b64 s[4:5], vcc, exec
	s_or_b64 s[22:23], s[0:1], s[4:5]
.LBB222_1169:
.LBB222_1170:
	v_add_u32_e32 v3, s13, v3
	v_ashrrev_i32_e32 v1, 31, v3
	v_mov_b32_e32 v4, s11
	v_add_co_u32_e32 v0, vcc, s10, v3
	s_cmp_lt_i32 s15, 11
	v_addc_co_u32_e32 v1, vcc, v4, v1, vcc
	s_cbranch_scc1 .LBB222_1177
; %bb.1171:
	s_cmp_gt_i32 s15, 25
	s_mov_b64 s[26:27], 0
	s_cbranch_scc0 .LBB222_1179
; %bb.1172:
	s_cmp_gt_i32 s15, 28
	s_cbranch_scc0 .LBB222_1180
; %bb.1173:
	s_cmp_gt_i32 s15, 43
	;; [unrolled: 3-line block ×3, first 2 shown]
	s_cbranch_scc0 .LBB222_1183
; %bb.1175:
	s_cmp_eq_u32 s15, 46
	s_mov_b64 s[28:29], 0
	s_cbranch_scc0 .LBB222_1184
; %bb.1176:
	global_load_dword v4, v[0:1], off
	s_mov_b64 s[0:1], 0
	s_mov_b64 s[4:5], -1
	s_waitcnt vmcnt(0)
	v_and_b32_e32 v4, 0x7fff7fff, v4
	v_cmp_ne_u32_e64 s[20:21], 0, v4
	s_branch .LBB222_1185
.LBB222_1177:
	s_mov_b64 s[4:5], 0
                                        ; implicit-def: $sgpr20_sgpr21
	s_cbranch_execnz .LBB222_1233
.LBB222_1178:
	s_andn2_b64 vcc, exec, s[4:5]
	s_cbranch_vccnz .LBB222_1826
	s_branch .LBB222_1281
.LBB222_1179:
	s_mov_b64 s[28:29], -1
	s_mov_b64 s[4:5], 0
	s_mov_b64 s[0:1], 0
                                        ; implicit-def: $sgpr20_sgpr21
	s_branch .LBB222_1206
.LBB222_1180:
	s_mov_b64 s[28:29], -1
	s_mov_b64 s[4:5], 0
	s_mov_b64 s[0:1], 0
                                        ; implicit-def: $sgpr20_sgpr21
	s_branch .LBB222_1193
.LBB222_1181:
	s_mov_b64 s[28:29], -1
	s_mov_b64 s[4:5], 0
	s_mov_b64 s[0:1], 0
                                        ; implicit-def: $sgpr20_sgpr21
	s_branch .LBB222_1188
.LBB222_1182:
	s_trap 2
	s_mov_b64 s[4:5], 0
	s_or_b64 s[18:19], s[18:19], exec
	s_cbranch_execz .LBB222_1121
	s_branch .LBB222_1122
.LBB222_1183:
	s_mov_b64 s[28:29], -1
	s_mov_b64 s[4:5], 0
	s_mov_b64 s[0:1], 0
                                        ; implicit-def: $sgpr20_sgpr21
	s_branch .LBB222_1185
.LBB222_1184:
	s_mov_b64 s[0:1], -1
                                        ; implicit-def: $sgpr20_sgpr21
	s_mov_b64 s[4:5], 0
.LBB222_1185:
	s_and_b64 vcc, exec, s[28:29]
	s_cbranch_vccz .LBB222_1187
; %bb.1186:
	s_cmp_lg_u32 s15, 44
	s_mov_b64 s[4:5], -1
	s_cselect_b64 s[0:1], -1, 0
	s_or_b64 s[20:21], s[20:21], exec
.LBB222_1187:
	s_mov_b64 s[28:29], 0
.LBB222_1188:
	s_and_b64 vcc, exec, s[28:29]
	s_cbranch_vccz .LBB222_1192
; %bb.1189:
	s_cmp_eq_u32 s15, 29
	s_cbranch_scc0 .LBB222_1191
; %bb.1190:
	global_load_dwordx2 v[4:5], v[0:1], off
	s_mov_b64 s[0:1], 0
	s_mov_b64 s[4:5], -1
	s_mov_b64 s[28:29], 0
	s_waitcnt vmcnt(0)
	v_cmp_ne_u64_e64 s[20:21], 0, v[4:5]
	s_branch .LBB222_1193
.LBB222_1191:
	s_mov_b64 s[0:1], -1
                                        ; implicit-def: $sgpr20_sgpr21
.LBB222_1192:
	s_mov_b64 s[28:29], 0
.LBB222_1193:
	s_and_b64 vcc, exec, s[28:29]
	s_cbranch_vccz .LBB222_1205
; %bb.1194:
	s_cmp_lt_i32 s15, 27
	s_cbranch_scc1 .LBB222_1197
; %bb.1195:
	s_cmp_gt_i32 s15, 27
	s_cbranch_scc0 .LBB222_1198
; %bb.1196:
	global_load_dword v4, v[0:1], off
	s_mov_b64 s[4:5], 0
	s_waitcnt vmcnt(0)
	v_cmp_ne_u32_e64 s[20:21], 0, v4
	s_branch .LBB222_1199
.LBB222_1197:
	s_mov_b64 s[4:5], -1
                                        ; implicit-def: $sgpr20_sgpr21
	s_branch .LBB222_1202
.LBB222_1198:
	s_mov_b64 s[4:5], -1
                                        ; implicit-def: $sgpr20_sgpr21
.LBB222_1199:
	s_andn2_b64 vcc, exec, s[4:5]
	s_cbranch_vccnz .LBB222_1201
; %bb.1200:
	global_load_ushort v4, v[0:1], off
	s_andn2_b64 s[4:5], s[20:21], exec
	s_waitcnt vmcnt(0)
	v_cmp_ne_u16_e32 vcc, 0, v4
	s_and_b64 s[20:21], vcc, exec
	s_or_b64 s[20:21], s[4:5], s[20:21]
.LBB222_1201:
	s_mov_b64 s[4:5], 0
.LBB222_1202:
	s_andn2_b64 vcc, exec, s[4:5]
	s_cbranch_vccnz .LBB222_1204
; %bb.1203:
	global_load_ubyte v4, v[0:1], off
	s_andn2_b64 s[4:5], s[20:21], exec
	s_waitcnt vmcnt(0)
	v_cmp_ne_u16_e32 vcc, 0, v4
	s_and_b64 s[20:21], vcc, exec
	s_or_b64 s[20:21], s[4:5], s[20:21]
.LBB222_1204:
	s_mov_b64 s[4:5], -1
.LBB222_1205:
	s_mov_b64 s[28:29], 0
.LBB222_1206:
	s_and_b64 vcc, exec, s[28:29]
	s_cbranch_vccz .LBB222_1229
; %bb.1207:
	s_cmp_gt_i32 s15, 22
	s_cbranch_scc0 .LBB222_1211
; %bb.1208:
	s_cmp_lt_i32 s15, 24
	s_cbranch_scc1 .LBB222_1212
; %bb.1209:
	s_cmp_gt_i32 s15, 24
	s_cbranch_scc0 .LBB222_1213
; %bb.1210:
	global_load_ubyte v4, v[0:1], off
	s_mov_b64 s[4:5], 0
	s_waitcnt vmcnt(0)
	v_cmp_ne_u16_e64 s[20:21], 0, v4
	s_branch .LBB222_1214
.LBB222_1211:
	s_mov_b64 s[26:27], -1
                                        ; implicit-def: $sgpr20_sgpr21
	s_branch .LBB222_1220
.LBB222_1212:
	s_mov_b64 s[4:5], -1
                                        ; implicit-def: $sgpr20_sgpr21
	s_branch .LBB222_1217
.LBB222_1213:
	s_mov_b64 s[4:5], -1
                                        ; implicit-def: $sgpr20_sgpr21
.LBB222_1214:
	s_andn2_b64 vcc, exec, s[4:5]
	s_cbranch_vccnz .LBB222_1216
; %bb.1215:
	global_load_ubyte v4, v[0:1], off
	s_andn2_b64 s[4:5], s[20:21], exec
	s_waitcnt vmcnt(0)
	v_and_b32_e32 v4, 0x7f, v4
	v_cmp_ne_u16_e32 vcc, 0, v4
	s_and_b64 s[20:21], vcc, exec
	s_or_b64 s[20:21], s[4:5], s[20:21]
.LBB222_1216:
	s_mov_b64 s[4:5], 0
.LBB222_1217:
	s_andn2_b64 vcc, exec, s[4:5]
	s_cbranch_vccnz .LBB222_1219
; %bb.1218:
	global_load_ubyte v4, v[0:1], off
	s_movk_i32 s4, 0x7f00
	s_brev_b32 s5, 16
	s_waitcnt vmcnt(0)
	v_lshlrev_b32_e32 v5, 8, v4
	v_lshlrev_b32_e32 v4, 25, v4
	v_lshrrev_b32_e32 v6, 4, v4
	v_and_or_b32 v5, v5, s4, 0.5
	v_or_b32_e32 v6, 0x70000000, v6
	v_add_f32_e32 v5, -0.5, v5
	v_mul_f32_e32 v6, 0x7800000, v6
	v_cmp_gt_u32_e32 vcc, s5, v4
	v_cndmask_b32_e32 v4, v6, v5, vcc
	v_cmp_neq_f32_e32 vcc, 0, v4
	s_andn2_b64 s[4:5], s[20:21], exec
	s_and_b64 s[20:21], vcc, exec
	s_or_b64 s[20:21], s[4:5], s[20:21]
.LBB222_1219:
	s_mov_b64 s[4:5], -1
.LBB222_1220:
	s_andn2_b64 vcc, exec, s[26:27]
	s_mov_b64 s[26:27], 0
	s_cbranch_vccnz .LBB222_1229
; %bb.1221:
	s_cmp_gt_i32 s15, 14
	s_cbranch_scc0 .LBB222_1224
; %bb.1222:
	s_cmp_eq_u32 s15, 15
	s_cbranch_scc0 .LBB222_1225
; %bb.1223:
	global_load_ushort v4, v[0:1], off
	s_mov_b64 s[0:1], 0
	s_mov_b64 s[4:5], -1
	s_waitcnt vmcnt(0)
	v_and_b32_e32 v4, 0x7fff, v4
	v_cmp_ne_u16_e64 s[20:21], 0, v4
	s_branch .LBB222_1226
.LBB222_1224:
	s_mov_b64 s[28:29], -1
                                        ; implicit-def: $sgpr20_sgpr21
	s_branch .LBB222_1227
.LBB222_1225:
	s_mov_b64 s[0:1], -1
                                        ; implicit-def: $sgpr20_sgpr21
.LBB222_1226:
	s_mov_b64 s[28:29], 0
.LBB222_1227:
	s_and_b64 vcc, exec, s[28:29]
	s_cbranch_vccz .LBB222_1229
; %bb.1228:
	s_cmp_lg_u32 s15, 11
	s_mov_b64 s[26:27], -1
	s_cselect_b64 s[0:1], -1, 0
.LBB222_1229:
	s_and_b64 vcc, exec, s[0:1]
	s_cbranch_vccnz .LBB222_1292
; %bb.1230:
	s_andn2_b64 vcc, exec, s[26:27]
	s_cbranch_vccnz .LBB222_1232
.LBB222_1231:
	global_load_ubyte v4, v[0:1], off
	s_andn2_b64 s[0:1], s[20:21], exec
	s_mov_b64 s[4:5], -1
	s_waitcnt vmcnt(0)
	v_cmp_ne_u16_e32 vcc, 0, v4
	s_and_b64 s[20:21], vcc, exec
	s_or_b64 s[20:21], s[0:1], s[20:21]
.LBB222_1232:
	s_branch .LBB222_1178
.LBB222_1233:
	s_cmp_lt_i32 s15, 5
	s_cbranch_scc1 .LBB222_1238
; %bb.1234:
	s_cmp_lt_i32 s15, 8
	s_cbranch_scc1 .LBB222_1239
; %bb.1235:
	;; [unrolled: 3-line block ×3, first 2 shown]
	s_cmp_gt_i32 s15, 9
	s_cbranch_scc0 .LBB222_1241
; %bb.1237:
	global_load_dwordx4 v[4:7], v[0:1], off
	s_mov_b64 s[4:5], 0
	s_waitcnt vmcnt(0)
	v_cmp_neq_f64_e32 vcc, 0, v[4:5]
	v_cmp_neq_f64_e64 s[0:1], 0, v[6:7]
	s_or_b64 s[20:21], vcc, s[0:1]
	s_branch .LBB222_1242
.LBB222_1238:
	s_mov_b64 s[0:1], -1
                                        ; implicit-def: $sgpr20_sgpr21
	s_branch .LBB222_1260
.LBB222_1239:
	s_mov_b64 s[0:1], -1
                                        ; implicit-def: $sgpr20_sgpr21
	s_branch .LBB222_1248
.LBB222_1240:
	s_mov_b64 s[0:1], -1
                                        ; implicit-def: $sgpr20_sgpr21
	s_branch .LBB222_1245
.LBB222_1241:
	s_mov_b64 s[4:5], -1
                                        ; implicit-def: $sgpr20_sgpr21
.LBB222_1242:
	s_andn2_b64 vcc, exec, s[4:5]
	s_cbranch_vccnz .LBB222_1244
; %bb.1243:
	global_load_dwordx2 v[4:5], v[0:1], off
	s_andn2_b64 s[0:1], s[20:21], exec
	s_waitcnt vmcnt(0)
	v_or_b32_e32 v4, v4, v5
	v_and_b32_e32 v4, 0x7fffffff, v4
	v_cmp_ne_u32_e32 vcc, 0, v4
	s_and_b64 s[4:5], vcc, exec
	s_or_b64 s[20:21], s[0:1], s[4:5]
.LBB222_1244:
	s_mov_b64 s[0:1], 0
.LBB222_1245:
	s_andn2_b64 vcc, exec, s[0:1]
	s_cbranch_vccnz .LBB222_1247
; %bb.1246:
	global_load_dword v4, v[0:1], off
	s_andn2_b64 s[0:1], s[20:21], exec
	s_waitcnt vmcnt(0)
	v_and_b32_e32 v4, 0x7fff7fff, v4
	v_cmp_ne_u32_e32 vcc, 0, v4
	s_and_b64 s[4:5], vcc, exec
	s_or_b64 s[20:21], s[0:1], s[4:5]
.LBB222_1247:
	s_mov_b64 s[0:1], 0
.LBB222_1248:
	s_andn2_b64 vcc, exec, s[0:1]
	s_cbranch_vccnz .LBB222_1259
; %bb.1249:
	s_cmp_lt_i32 s15, 6
	s_cbranch_scc1 .LBB222_1252
; %bb.1250:
	s_cmp_gt_i32 s15, 6
	s_cbranch_scc0 .LBB222_1253
; %bb.1251:
	global_load_dwordx2 v[4:5], v[0:1], off
	s_mov_b64 s[0:1], 0
	s_waitcnt vmcnt(0)
	v_cmp_neq_f64_e64 s[20:21], 0, v[4:5]
	s_branch .LBB222_1254
.LBB222_1252:
	s_mov_b64 s[0:1], -1
                                        ; implicit-def: $sgpr20_sgpr21
	s_branch .LBB222_1257
.LBB222_1253:
	s_mov_b64 s[0:1], -1
                                        ; implicit-def: $sgpr20_sgpr21
.LBB222_1254:
	s_andn2_b64 vcc, exec, s[0:1]
	s_cbranch_vccnz .LBB222_1256
; %bb.1255:
	global_load_dword v4, v[0:1], off
	s_andn2_b64 s[0:1], s[20:21], exec
	s_waitcnt vmcnt(0)
	v_cmp_neq_f32_e32 vcc, 0, v4
	s_and_b64 s[4:5], vcc, exec
	s_or_b64 s[20:21], s[0:1], s[4:5]
.LBB222_1256:
	s_mov_b64 s[0:1], 0
.LBB222_1257:
	s_andn2_b64 vcc, exec, s[0:1]
	s_cbranch_vccnz .LBB222_1259
; %bb.1258:
	global_load_ushort v4, v[0:1], off
	s_andn2_b64 s[0:1], s[20:21], exec
	s_waitcnt vmcnt(0)
	v_and_b32_e32 v4, 0x7fff, v4
	v_cmp_ne_u16_e32 vcc, 0, v4
	s_and_b64 s[4:5], vcc, exec
	s_or_b64 s[20:21], s[0:1], s[4:5]
.LBB222_1259:
	s_mov_b64 s[0:1], 0
.LBB222_1260:
	s_andn2_b64 vcc, exec, s[0:1]
	s_cbranch_vccnz .LBB222_1280
; %bb.1261:
	s_cmp_lt_i32 s15, 2
	s_cbranch_scc1 .LBB222_1265
; %bb.1262:
	s_cmp_lt_i32 s15, 3
	s_cbranch_scc1 .LBB222_1266
; %bb.1263:
	s_cmp_gt_i32 s15, 3
	s_cbranch_scc0 .LBB222_1267
; %bb.1264:
	global_load_dwordx2 v[4:5], v[0:1], off
	s_mov_b64 s[0:1], 0
	s_waitcnt vmcnt(0)
	v_cmp_ne_u64_e64 s[20:21], 0, v[4:5]
	s_branch .LBB222_1268
.LBB222_1265:
	s_mov_b64 s[0:1], -1
                                        ; implicit-def: $sgpr20_sgpr21
	s_branch .LBB222_1274
.LBB222_1266:
	s_mov_b64 s[0:1], -1
                                        ; implicit-def: $sgpr20_sgpr21
	s_branch .LBB222_1271
.LBB222_1267:
	s_mov_b64 s[0:1], -1
                                        ; implicit-def: $sgpr20_sgpr21
.LBB222_1268:
	s_andn2_b64 vcc, exec, s[0:1]
	s_cbranch_vccnz .LBB222_1270
; %bb.1269:
	global_load_dword v4, v[0:1], off
	s_andn2_b64 s[0:1], s[20:21], exec
	s_waitcnt vmcnt(0)
	v_cmp_ne_u32_e32 vcc, 0, v4
	s_and_b64 s[4:5], vcc, exec
	s_or_b64 s[20:21], s[0:1], s[4:5]
.LBB222_1270:
	s_mov_b64 s[0:1], 0
.LBB222_1271:
	s_andn2_b64 vcc, exec, s[0:1]
	s_cbranch_vccnz .LBB222_1273
; %bb.1272:
	global_load_ushort v4, v[0:1], off
	s_andn2_b64 s[0:1], s[20:21], exec
	s_waitcnt vmcnt(0)
	v_cmp_ne_u16_e32 vcc, 0, v4
	s_and_b64 s[4:5], vcc, exec
	s_or_b64 s[20:21], s[0:1], s[4:5]
.LBB222_1273:
	s_mov_b64 s[0:1], 0
.LBB222_1274:
	s_andn2_b64 vcc, exec, s[0:1]
	s_cbranch_vccnz .LBB222_1280
; %bb.1275:
	s_cmp_gt_i32 s15, 0
	s_cbranch_scc0 .LBB222_1277
; %bb.1276:
	global_load_ubyte v4, v[0:1], off
	s_mov_b64 s[0:1], 0
	s_waitcnt vmcnt(0)
	v_cmp_ne_u16_e64 s[20:21], 0, v4
	s_branch .LBB222_1278
.LBB222_1277:
	s_mov_b64 s[0:1], -1
                                        ; implicit-def: $sgpr20_sgpr21
.LBB222_1278:
	s_andn2_b64 vcc, exec, s[0:1]
	s_cbranch_vccnz .LBB222_1280
; %bb.1279:
	global_load_ubyte v0, v[0:1], off
	s_andn2_b64 s[0:1], s[20:21], exec
	s_waitcnt vmcnt(0)
	v_cmp_ne_u16_e32 vcc, 0, v0
	s_and_b64 s[4:5], vcc, exec
	s_or_b64 s[20:21], s[0:1], s[4:5]
.LBB222_1280:
.LBB222_1281:
	v_add_u32_e32 v0, s13, v3
	v_ashrrev_i32_e32 v1, 31, v0
	v_mov_b32_e32 v3, s11
	v_add_co_u32_e32 v0, vcc, s10, v0
	s_cmp_lt_i32 s15, 11
	v_addc_co_u32_e32 v1, vcc, v3, v1, vcc
	s_cbranch_scc1 .LBB222_1288
; %bb.1282:
	s_cmp_gt_i32 s15, 25
	s_mov_b64 s[26:27], 0
	s_cbranch_scc0 .LBB222_1289
; %bb.1283:
	s_cmp_gt_i32 s15, 28
	s_cbranch_scc0 .LBB222_1290
; %bb.1284:
	s_cmp_gt_i32 s15, 43
	;; [unrolled: 3-line block ×3, first 2 shown]
	s_cbranch_scc0 .LBB222_1293
; %bb.1286:
	s_cmp_eq_u32 s15, 46
	s_mov_b64 s[28:29], 0
	s_cbranch_scc0 .LBB222_1294
; %bb.1287:
	global_load_dword v3, v[0:1], off
	s_mov_b64 s[0:1], 0
	s_mov_b64 s[10:11], -1
	s_waitcnt vmcnt(0)
	v_and_b32_e32 v3, 0x7fff7fff, v3
	v_cmp_ne_u32_e64 s[4:5], 0, v3
	s_branch .LBB222_1295
.LBB222_1288:
	s_mov_b64 s[0:1], -1
	s_mov_b64 s[10:11], 0
                                        ; implicit-def: $sgpr4_sgpr5
	s_branch .LBB222_1343
.LBB222_1289:
	s_mov_b64 s[28:29], -1
	s_mov_b64 s[10:11], 0
	s_mov_b64 s[0:1], 0
                                        ; implicit-def: $sgpr4_sgpr5
	s_branch .LBB222_1316
.LBB222_1290:
	s_mov_b64 s[28:29], -1
	s_mov_b64 s[10:11], 0
	s_mov_b64 s[0:1], 0
                                        ; implicit-def: $sgpr4_sgpr5
	s_branch .LBB222_1303
.LBB222_1291:
	s_mov_b64 s[28:29], -1
	s_mov_b64 s[10:11], 0
	s_mov_b64 s[0:1], 0
                                        ; implicit-def: $sgpr4_sgpr5
	s_branch .LBB222_1298
.LBB222_1292:
	s_trap 2
	s_mov_b64 s[4:5], 0
	s_or_b64 s[18:19], s[18:19], exec
	s_cbranch_execz .LBB222_1231
	s_branch .LBB222_1232
.LBB222_1293:
	s_mov_b64 s[28:29], -1
	s_mov_b64 s[10:11], 0
	s_mov_b64 s[0:1], 0
                                        ; implicit-def: $sgpr4_sgpr5
	s_branch .LBB222_1295
.LBB222_1294:
	s_mov_b64 s[0:1], -1
                                        ; implicit-def: $sgpr4_sgpr5
	s_mov_b64 s[10:11], 0
.LBB222_1295:
	s_and_b64 vcc, exec, s[28:29]
	s_cbranch_vccz .LBB222_1297
; %bb.1296:
	s_cmp_lg_u32 s15, 44
	s_mov_b64 s[10:11], -1
	s_cselect_b64 s[0:1], -1, 0
	s_or_b64 s[4:5], s[4:5], exec
.LBB222_1297:
	s_mov_b64 s[28:29], 0
.LBB222_1298:
	s_and_b64 vcc, exec, s[28:29]
	s_cbranch_vccz .LBB222_1302
; %bb.1299:
	s_cmp_eq_u32 s15, 29
	s_cbranch_scc0 .LBB222_1301
; %bb.1300:
	global_load_dwordx2 v[3:4], v[0:1], off
	s_mov_b64 s[0:1], 0
	s_mov_b64 s[10:11], -1
	s_mov_b64 s[28:29], 0
	s_waitcnt vmcnt(0)
	v_cmp_ne_u64_e64 s[4:5], 0, v[3:4]
	s_branch .LBB222_1303
.LBB222_1301:
	s_mov_b64 s[0:1], -1
                                        ; implicit-def: $sgpr4_sgpr5
.LBB222_1302:
	s_mov_b64 s[28:29], 0
.LBB222_1303:
	s_and_b64 vcc, exec, s[28:29]
	s_cbranch_vccz .LBB222_1315
; %bb.1304:
	s_cmp_lt_i32 s15, 27
	s_cbranch_scc1 .LBB222_1307
; %bb.1305:
	s_cmp_gt_i32 s15, 27
	s_cbranch_scc0 .LBB222_1308
; %bb.1306:
	global_load_dword v3, v[0:1], off
	s_mov_b64 s[10:11], 0
	s_waitcnt vmcnt(0)
	v_cmp_ne_u32_e64 s[4:5], 0, v3
	s_branch .LBB222_1309
.LBB222_1307:
	s_mov_b64 s[10:11], -1
                                        ; implicit-def: $sgpr4_sgpr5
	s_branch .LBB222_1312
.LBB222_1308:
	s_mov_b64 s[10:11], -1
                                        ; implicit-def: $sgpr4_sgpr5
.LBB222_1309:
	s_andn2_b64 vcc, exec, s[10:11]
	s_cbranch_vccnz .LBB222_1311
; %bb.1310:
	global_load_ushort v3, v[0:1], off
	s_andn2_b64 s[4:5], s[4:5], exec
	s_waitcnt vmcnt(0)
	v_cmp_ne_u16_e32 vcc, 0, v3
	s_and_b64 s[10:11], vcc, exec
	s_or_b64 s[4:5], s[4:5], s[10:11]
.LBB222_1311:
	s_mov_b64 s[10:11], 0
.LBB222_1312:
	s_andn2_b64 vcc, exec, s[10:11]
	s_cbranch_vccnz .LBB222_1314
; %bb.1313:
	global_load_ubyte v3, v[0:1], off
	s_andn2_b64 s[4:5], s[4:5], exec
	s_waitcnt vmcnt(0)
	v_cmp_ne_u16_e32 vcc, 0, v3
	s_and_b64 s[10:11], vcc, exec
	s_or_b64 s[4:5], s[4:5], s[10:11]
.LBB222_1314:
	s_mov_b64 s[10:11], -1
.LBB222_1315:
	s_mov_b64 s[28:29], 0
.LBB222_1316:
	s_and_b64 vcc, exec, s[28:29]
	s_cbranch_vccz .LBB222_1339
; %bb.1317:
	s_cmp_gt_i32 s15, 22
	s_cbranch_scc0 .LBB222_1321
; %bb.1318:
	s_cmp_lt_i32 s15, 24
	s_cbranch_scc1 .LBB222_1322
; %bb.1319:
	s_cmp_gt_i32 s15, 24
	s_cbranch_scc0 .LBB222_1323
; %bb.1320:
	global_load_ubyte v3, v[0:1], off
	s_mov_b64 s[10:11], 0
	s_waitcnt vmcnt(0)
	v_cmp_ne_u16_e64 s[4:5], 0, v3
	s_branch .LBB222_1324
.LBB222_1321:
	s_mov_b64 s[26:27], -1
                                        ; implicit-def: $sgpr4_sgpr5
	s_branch .LBB222_1330
.LBB222_1322:
	s_mov_b64 s[10:11], -1
                                        ; implicit-def: $sgpr4_sgpr5
	s_branch .LBB222_1327
.LBB222_1323:
	s_mov_b64 s[10:11], -1
                                        ; implicit-def: $sgpr4_sgpr5
.LBB222_1324:
	s_andn2_b64 vcc, exec, s[10:11]
	s_cbranch_vccnz .LBB222_1326
; %bb.1325:
	global_load_ubyte v3, v[0:1], off
	s_andn2_b64 s[4:5], s[4:5], exec
	s_waitcnt vmcnt(0)
	v_and_b32_e32 v3, 0x7f, v3
	v_cmp_ne_u16_e32 vcc, 0, v3
	s_and_b64 s[10:11], vcc, exec
	s_or_b64 s[4:5], s[4:5], s[10:11]
.LBB222_1326:
	s_mov_b64 s[10:11], 0
.LBB222_1327:
	s_andn2_b64 vcc, exec, s[10:11]
	s_cbranch_vccnz .LBB222_1329
; %bb.1328:
	global_load_ubyte v3, v[0:1], off
	s_movk_i32 s10, 0x7f00
	s_brev_b32 s11, 16
	s_andn2_b64 s[4:5], s[4:5], exec
	s_waitcnt vmcnt(0)
	v_lshlrev_b32_e32 v4, 8, v3
	v_lshlrev_b32_e32 v3, 25, v3
	v_lshrrev_b32_e32 v5, 4, v3
	v_and_or_b32 v4, v4, s10, 0.5
	v_or_b32_e32 v5, 0x70000000, v5
	v_add_f32_e32 v4, -0.5, v4
	v_mul_f32_e32 v5, 0x7800000, v5
	v_cmp_gt_u32_e32 vcc, s11, v3
	v_cndmask_b32_e32 v3, v5, v4, vcc
	v_cmp_neq_f32_e32 vcc, 0, v3
	s_and_b64 s[10:11], vcc, exec
	s_or_b64 s[4:5], s[4:5], s[10:11]
.LBB222_1329:
	s_mov_b64 s[10:11], -1
.LBB222_1330:
	s_andn2_b64 vcc, exec, s[26:27]
	s_mov_b64 s[26:27], 0
	s_cbranch_vccnz .LBB222_1339
; %bb.1331:
	s_cmp_gt_i32 s15, 14
	s_cbranch_scc0 .LBB222_1334
; %bb.1332:
	s_cmp_eq_u32 s15, 15
	s_cbranch_scc0 .LBB222_1335
; %bb.1333:
	global_load_ushort v3, v[0:1], off
	s_mov_b64 s[0:1], 0
	s_mov_b64 s[10:11], -1
	s_waitcnt vmcnt(0)
	v_and_b32_e32 v3, 0x7fff, v3
	v_cmp_ne_u16_e64 s[4:5], 0, v3
	s_branch .LBB222_1336
.LBB222_1334:
	s_mov_b64 s[28:29], -1
                                        ; implicit-def: $sgpr4_sgpr5
	s_branch .LBB222_1337
.LBB222_1335:
	s_mov_b64 s[0:1], -1
                                        ; implicit-def: $sgpr4_sgpr5
.LBB222_1336:
	s_mov_b64 s[28:29], 0
.LBB222_1337:
	s_and_b64 vcc, exec, s[28:29]
	s_cbranch_vccz .LBB222_1339
; %bb.1338:
	s_cmp_lg_u32 s15, 11
	s_mov_b64 s[26:27], -1
	s_cselect_b64 s[0:1], -1, 0
.LBB222_1339:
	s_and_b64 vcc, exec, s[0:1]
	s_cbranch_vccnz .LBB222_1872
; %bb.1340:
	s_andn2_b64 vcc, exec, s[26:27]
	s_cbranch_vccnz .LBB222_1342
.LBB222_1341:
	global_load_ubyte v3, v[0:1], off
	s_andn2_b64 s[0:1], s[4:5], exec
	s_mov_b64 s[10:11], -1
	s_waitcnt vmcnt(0)
	v_cmp_ne_u16_e32 vcc, 0, v3
	s_and_b64 s[4:5], vcc, exec
	s_or_b64 s[4:5], s[0:1], s[4:5]
.LBB222_1342:
	s_mov_b64 s[0:1], 0
.LBB222_1343:
	s_and_b64 vcc, exec, s[0:1]
	s_cbranch_vccz .LBB222_1392
; %bb.1344:
	s_cmp_lt_i32 s15, 5
	s_cbranch_scc1 .LBB222_1349
; %bb.1345:
	s_cmp_lt_i32 s15, 8
	s_cbranch_scc1 .LBB222_1350
	;; [unrolled: 3-line block ×3, first 2 shown]
; %bb.1347:
	s_cmp_gt_i32 s15, 9
	s_cbranch_scc0 .LBB222_1352
; %bb.1348:
	global_load_dwordx4 v[3:6], v[0:1], off
	s_mov_b64 s[10:11], 0
	s_waitcnt vmcnt(0)
	v_cmp_neq_f64_e32 vcc, 0, v[3:4]
	v_cmp_neq_f64_e64 s[0:1], 0, v[5:6]
	s_or_b64 s[4:5], vcc, s[0:1]
	s_branch .LBB222_1353
.LBB222_1349:
	s_mov_b64 s[0:1], -1
                                        ; implicit-def: $sgpr4_sgpr5
	s_branch .LBB222_1371
.LBB222_1350:
	s_mov_b64 s[0:1], -1
                                        ; implicit-def: $sgpr4_sgpr5
	s_branch .LBB222_1359
.LBB222_1351:
	s_mov_b64 s[0:1], -1
                                        ; implicit-def: $sgpr4_sgpr5
	s_branch .LBB222_1356
.LBB222_1352:
	s_mov_b64 s[10:11], -1
                                        ; implicit-def: $sgpr4_sgpr5
.LBB222_1353:
	s_andn2_b64 vcc, exec, s[10:11]
	s_cbranch_vccnz .LBB222_1355
; %bb.1354:
	global_load_dwordx2 v[3:4], v[0:1], off
	s_andn2_b64 s[0:1], s[4:5], exec
	s_waitcnt vmcnt(0)
	v_or_b32_e32 v3, v3, v4
	v_and_b32_e32 v3, 0x7fffffff, v3
	v_cmp_ne_u32_e32 vcc, 0, v3
	s_and_b64 s[4:5], vcc, exec
	s_or_b64 s[4:5], s[0:1], s[4:5]
.LBB222_1355:
	s_mov_b64 s[0:1], 0
.LBB222_1356:
	s_andn2_b64 vcc, exec, s[0:1]
	s_cbranch_vccnz .LBB222_1358
; %bb.1357:
	global_load_dword v3, v[0:1], off
	s_andn2_b64 s[0:1], s[4:5], exec
	s_waitcnt vmcnt(0)
	v_and_b32_e32 v3, 0x7fff7fff, v3
	v_cmp_ne_u32_e32 vcc, 0, v3
	s_and_b64 s[4:5], vcc, exec
	s_or_b64 s[4:5], s[0:1], s[4:5]
.LBB222_1358:
	s_mov_b64 s[0:1], 0
.LBB222_1359:
	s_andn2_b64 vcc, exec, s[0:1]
	s_cbranch_vccnz .LBB222_1370
; %bb.1360:
	s_cmp_lt_i32 s15, 6
	s_cbranch_scc1 .LBB222_1363
; %bb.1361:
	s_cmp_gt_i32 s15, 6
	s_cbranch_scc0 .LBB222_1364
; %bb.1362:
	global_load_dwordx2 v[3:4], v[0:1], off
	s_mov_b64 s[0:1], 0
	s_waitcnt vmcnt(0)
	v_cmp_neq_f64_e64 s[4:5], 0, v[3:4]
	s_branch .LBB222_1365
.LBB222_1363:
	s_mov_b64 s[0:1], -1
                                        ; implicit-def: $sgpr4_sgpr5
	s_branch .LBB222_1368
.LBB222_1364:
	s_mov_b64 s[0:1], -1
                                        ; implicit-def: $sgpr4_sgpr5
.LBB222_1365:
	s_andn2_b64 vcc, exec, s[0:1]
	s_cbranch_vccnz .LBB222_1367
; %bb.1366:
	global_load_dword v3, v[0:1], off
	s_andn2_b64 s[0:1], s[4:5], exec
	s_waitcnt vmcnt(0)
	v_cmp_neq_f32_e32 vcc, 0, v3
	s_and_b64 s[4:5], vcc, exec
	s_or_b64 s[4:5], s[0:1], s[4:5]
.LBB222_1367:
	s_mov_b64 s[0:1], 0
.LBB222_1368:
	s_andn2_b64 vcc, exec, s[0:1]
	s_cbranch_vccnz .LBB222_1370
; %bb.1369:
	global_load_ushort v3, v[0:1], off
	s_andn2_b64 s[0:1], s[4:5], exec
	s_waitcnt vmcnt(0)
	v_and_b32_e32 v3, 0x7fff, v3
	v_cmp_ne_u16_e32 vcc, 0, v3
	s_and_b64 s[4:5], vcc, exec
	s_or_b64 s[4:5], s[0:1], s[4:5]
.LBB222_1370:
	s_mov_b64 s[0:1], 0
.LBB222_1371:
	s_andn2_b64 vcc, exec, s[0:1]
	s_cbranch_vccnz .LBB222_1391
; %bb.1372:
	s_cmp_lt_i32 s15, 2
	s_cbranch_scc1 .LBB222_1376
; %bb.1373:
	s_cmp_lt_i32 s15, 3
	s_cbranch_scc1 .LBB222_1377
; %bb.1374:
	s_cmp_gt_i32 s15, 3
	s_cbranch_scc0 .LBB222_1378
; %bb.1375:
	global_load_dwordx2 v[3:4], v[0:1], off
	s_mov_b64 s[0:1], 0
	s_waitcnt vmcnt(0)
	v_cmp_ne_u64_e64 s[4:5], 0, v[3:4]
	s_branch .LBB222_1379
.LBB222_1376:
	s_mov_b64 s[0:1], -1
                                        ; implicit-def: $sgpr4_sgpr5
	s_branch .LBB222_1385
.LBB222_1377:
	s_mov_b64 s[0:1], -1
                                        ; implicit-def: $sgpr4_sgpr5
	s_branch .LBB222_1382
.LBB222_1378:
	s_mov_b64 s[0:1], -1
                                        ; implicit-def: $sgpr4_sgpr5
.LBB222_1379:
	s_andn2_b64 vcc, exec, s[0:1]
	s_cbranch_vccnz .LBB222_1381
; %bb.1380:
	global_load_dword v3, v[0:1], off
	s_andn2_b64 s[0:1], s[4:5], exec
	s_waitcnt vmcnt(0)
	v_cmp_ne_u32_e32 vcc, 0, v3
	s_and_b64 s[4:5], vcc, exec
	s_or_b64 s[4:5], s[0:1], s[4:5]
.LBB222_1381:
	s_mov_b64 s[0:1], 0
.LBB222_1382:
	s_andn2_b64 vcc, exec, s[0:1]
	s_cbranch_vccnz .LBB222_1384
; %bb.1383:
	global_load_ushort v3, v[0:1], off
	s_andn2_b64 s[0:1], s[4:5], exec
	s_waitcnt vmcnt(0)
	v_cmp_ne_u16_e32 vcc, 0, v3
	s_and_b64 s[4:5], vcc, exec
	s_or_b64 s[4:5], s[0:1], s[4:5]
.LBB222_1384:
	s_mov_b64 s[0:1], 0
.LBB222_1385:
	s_andn2_b64 vcc, exec, s[0:1]
	s_cbranch_vccnz .LBB222_1391
; %bb.1386:
	s_cmp_gt_i32 s15, 0
	s_cbranch_scc0 .LBB222_1388
; %bb.1387:
	global_load_ubyte v3, v[0:1], off
	s_mov_b64 s[0:1], 0
	s_waitcnt vmcnt(0)
	v_cmp_ne_u16_e64 s[4:5], 0, v3
	s_branch .LBB222_1389
.LBB222_1388:
	s_mov_b64 s[0:1], -1
                                        ; implicit-def: $sgpr4_sgpr5
.LBB222_1389:
	s_andn2_b64 vcc, exec, s[0:1]
	s_cbranch_vccnz .LBB222_1391
; %bb.1390:
	global_load_ubyte v0, v[0:1], off
	s_andn2_b64 s[0:1], s[4:5], exec
	s_waitcnt vmcnt(0)
	v_cmp_ne_u16_e32 vcc, 0, v0
	s_and_b64 s[4:5], vcc, exec
	s_or_b64 s[4:5], s[0:1], s[4:5]
.LBB222_1391:
	s_mov_b64 s[10:11], -1
.LBB222_1392:
	s_andn2_b64 vcc, exec, s[10:11]
	s_cbranch_vccnz .LBB222_1826
; %bb.1393:
	v_mul_lo_u32 v2, s12, v2
	s_bitcmp1_b32 s2, 0
	s_cselect_b64 s[10:11], -1, 0
	s_cmp_eq_u32 s14, 0
	s_cselect_b64 s[14:15], -1, 0
	s_xor_b64 s[0:1], s[24:25], s[10:11]
	s_xor_b64 s[24:25], s[14:15], s[0:1]
	v_ashrrev_i32_e32 v1, 31, v2
	v_mov_b32_e32 v3, s9
	s_and_b32 s33, s3, 0xff
	v_add_co_u32_e32 v0, vcc, s8, v2
	s_cmp_lt_i32 s33, 11
	v_addc_co_u32_e32 v1, vcc, v3, v1, vcc
	s_cbranch_scc1 .LBB222_1471
; %bb.1394:
	s_and_b32 s13, 0xffff, s33
	s_mov_b64 s[28:29], -1
	s_mov_b64 s[2:3], 0
	s_cmp_gt_i32 s13, 25
	s_mov_b64 s[26:27], 0
	s_mov_b64 s[0:1], 0
	s_cbranch_scc0 .LBB222_1427
; %bb.1395:
	s_cmp_gt_i32 s13, 28
	s_cbranch_scc0 .LBB222_1410
; %bb.1396:
	s_cmp_gt_i32 s13, 43
	s_cbranch_scc0 .LBB222_1406
; %bb.1397:
	s_cmp_gt_i32 s13, 45
	s_cbranch_scc0 .LBB222_1400
; %bb.1398:
	s_mov_b64 s[0:1], -1
	s_mov_b64 s[28:29], 0
	s_cmp_eq_u32 s13, 46
	s_cbranch_scc0 .LBB222_1400
; %bb.1399:
	v_cndmask_b32_e64 v3, 0, 1.0, s[24:25]
	v_bfe_u32 v4, v3, 16, 1
	s_movk_i32 s0, 0x7fff
	v_add3_u32 v3, v3, v4, s0
	v_lshrrev_b32_e32 v3, 16, v3
	global_store_dword v[0:1], v3, off
	s_mov_b64 s[0:1], 0
	s_mov_b64 s[26:27], -1
.LBB222_1400:
	s_and_b64 vcc, exec, s[28:29]
	s_cbranch_vccz .LBB222_1405
; %bb.1401:
	s_cmp_eq_u32 s13, 44
	s_mov_b64 s[0:1], -1
	s_cbranch_scc0 .LBB222_1405
; %bb.1402:
	v_cndmask_b32_e64 v4, 0, 1.0, s[24:25]
	v_lshrrev_b32_e32 v3, 23, v4
	s_movk_i32 s0, 0xff
	v_cmp_ne_u32_e32 vcc, s0, v3
	v_mov_b32_e32 v5, 0xff
	s_and_saveexec_b64 s[26:27], vcc
; %bb.1403:
	s_mov_b32 s0, 0x3fffff
	v_and_b32_e32 v5, 0x400000, v4
	v_and_or_b32 v4, v4, s0, v3
	v_cmp_ne_u32_e32 vcc, 0, v5
	v_cmp_ne_u32_e64 s[0:1], 0, v4
	s_and_b64 s[0:1], vcc, s[0:1]
	v_cndmask_b32_e64 v4, 0, 1, s[0:1]
	v_add_u32_e32 v5, v3, v4
; %bb.1404:
	s_or_b64 exec, exec, s[26:27]
	s_mov_b64 s[0:1], 0
	s_mov_b64 s[26:27], -1
	global_store_byte v[0:1], v5, off
.LBB222_1405:
	s_mov_b64 s[28:29], 0
.LBB222_1406:
	s_and_b64 vcc, exec, s[28:29]
	s_cbranch_vccz .LBB222_1409
; %bb.1407:
	s_cmp_eq_u32 s13, 29
	s_mov_b64 s[0:1], -1
	s_cbranch_scc0 .LBB222_1409
; %bb.1408:
	s_mov_b32 s0, 0
	v_cndmask_b32_e64 v3, 0, 1, s[24:25]
	v_mov_b32_e32 v4, s0
	global_store_dwordx2 v[0:1], v[3:4], off
	s_mov_b64 s[0:1], 0
	s_mov_b64 s[26:27], -1
.LBB222_1409:
	s_mov_b64 s[28:29], 0
.LBB222_1410:
	s_and_b64 vcc, exec, s[28:29]
	s_cbranch_vccz .LBB222_1426
; %bb.1411:
	s_cmp_lt_i32 s13, 27
	s_mov_b64 s[26:27], -1
	s_cbranch_scc1 .LBB222_1417
; %bb.1412:
	s_cmp_gt_i32 s13, 27
	s_cbranch_scc0 .LBB222_1414
; %bb.1413:
	v_cndmask_b32_e64 v3, 0, 1, s[24:25]
	s_mov_b64 s[26:27], 0
	global_store_dword v[0:1], v3, off
.LBB222_1414:
	s_andn2_b64 vcc, exec, s[26:27]
	s_cbranch_vccnz .LBB222_1416
; %bb.1415:
	v_cndmask_b32_e64 v3, 0, 1, s[24:25]
	global_store_short v[0:1], v3, off
.LBB222_1416:
	s_mov_b64 s[26:27], 0
.LBB222_1417:
	s_andn2_b64 vcc, exec, s[26:27]
	s_cbranch_vccnz .LBB222_1425
; %bb.1418:
	v_cndmask_b32_e64 v4, 0, 1.0, s[24:25]
	s_mov_b32 s26, 0x43800000
	v_cmp_gt_u32_e32 vcc, s26, v4
	v_mov_b32_e32 v5, 0x80
	s_and_saveexec_b64 s[26:27], vcc
	s_cbranch_execz .LBB222_1424
; %bb.1419:
	s_mov_b32 s28, 0x3bffffff
	v_cmp_lt_u32_e32 vcc, s28, v4
	s_mov_b64 s[28:29], 0
                                        ; implicit-def: $vgpr3
	s_and_saveexec_b64 s[30:31], vcc
	s_xor_b64 s[30:31], exec, s[30:31]
	s_cbranch_execz .LBB222_1873
; %bb.1420:
	v_bfe_u32 v3, v4, 20, 1
	s_mov_b32 s34, 0x487ffff
	v_add3_u32 v3, v4, v3, s34
	s_mov_b64 s[28:29], exec
	v_lshrrev_b32_e32 v3, 20, v3
                                        ; implicit-def: $vgpr4
	s_andn2_saveexec_b64 s[30:31], s[30:31]
	s_cbranch_execnz .LBB222_1874
.LBB222_1421:
	s_or_b64 exec, exec, s[30:31]
	v_mov_b32_e32 v5, 0
	s_and_saveexec_b64 s[30:31], s[28:29]
.LBB222_1422:
	v_mov_b32_e32 v5, v3
.LBB222_1423:
	s_or_b64 exec, exec, s[30:31]
.LBB222_1424:
	s_or_b64 exec, exec, s[26:27]
	global_store_byte v[0:1], v5, off
.LBB222_1425:
	s_mov_b64 s[26:27], -1
.LBB222_1426:
	s_mov_b64 s[28:29], 0
.LBB222_1427:
	s_and_b64 vcc, exec, s[28:29]
	s_cbranch_vccz .LBB222_1467
; %bb.1428:
	s_cmp_gt_i32 s13, 22
	s_mov_b64 s[2:3], -1
	s_cbranch_scc0 .LBB222_1460
; %bb.1429:
	s_cmp_lt_i32 s13, 24
	s_cbranch_scc1 .LBB222_1449
; %bb.1430:
	s_cmp_gt_i32 s13, 24
	s_cbranch_scc0 .LBB222_1438
; %bb.1431:
	v_cndmask_b32_e64 v4, 0, 1.0, s[24:25]
	s_mov_b32 s2, 0x47800000
	v_cmp_gt_u32_e32 vcc, s2, v4
	v_mov_b32_e32 v5, 0x80
	s_and_saveexec_b64 s[2:3], vcc
	s_cbranch_execz .LBB222_1437
; %bb.1432:
	s_mov_b32 s26, 0x37ffffff
	v_cmp_lt_u32_e32 vcc, s26, v4
	s_mov_b64 s[26:27], 0
                                        ; implicit-def: $vgpr3
	s_and_saveexec_b64 s[28:29], vcc
	s_xor_b64 s[28:29], exec, s[28:29]
	s_cbranch_execz .LBB222_1876
; %bb.1433:
	v_bfe_u32 v3, v4, 21, 1
	s_mov_b32 s30, 0x88fffff
	v_add3_u32 v3, v4, v3, s30
	s_mov_b64 s[26:27], exec
	v_lshrrev_b32_e32 v3, 21, v3
                                        ; implicit-def: $vgpr4
	s_andn2_saveexec_b64 s[28:29], s[28:29]
	s_cbranch_execnz .LBB222_1877
.LBB222_1434:
	s_or_b64 exec, exec, s[28:29]
	v_mov_b32_e32 v5, 0
	s_and_saveexec_b64 s[28:29], s[26:27]
.LBB222_1435:
	v_mov_b32_e32 v5, v3
.LBB222_1436:
	s_or_b64 exec, exec, s[28:29]
.LBB222_1437:
	s_or_b64 exec, exec, s[2:3]
	s_mov_b64 s[2:3], 0
	global_store_byte v[0:1], v5, off
.LBB222_1438:
	s_and_b64 vcc, exec, s[2:3]
	s_cbranch_vccz .LBB222_1448
; %bb.1439:
	v_cndmask_b32_e64 v3, 0, 1.0, s[24:25]
	s_mov_b32 s2, 0x43f00000
	v_cmp_gt_u32_e32 vcc, s2, v3
                                        ; implicit-def: $vgpr4
	s_and_saveexec_b64 s[2:3], vcc
	s_xor_b64 s[2:3], exec, s[2:3]
	s_cbranch_execz .LBB222_1445
; %bb.1440:
	s_mov_b32 s26, 0x3c7fffff
	v_cmp_lt_u32_e32 vcc, s26, v3
                                        ; implicit-def: $vgpr4
	s_and_saveexec_b64 s[26:27], vcc
	s_xor_b64 s[26:27], exec, s[26:27]
; %bb.1441:
	v_bfe_u32 v4, v3, 20, 1
	s_mov_b32 s28, 0x407ffff
	v_add3_u32 v3, v3, v4, s28
	v_lshrrev_b32_e32 v4, 20, v3
	v_and_b32_e32 v3, 0xff00000, v3
	s_mov_b32 s28, 0x7f00000
	v_mov_b32_e32 v5, 0x7e
	v_cmp_ne_u32_e32 vcc, s28, v3
	v_cndmask_b32_e32 v4, v5, v4, vcc
                                        ; implicit-def: $vgpr3
; %bb.1442:
	s_andn2_saveexec_b64 s[26:27], s[26:27]
; %bb.1443:
	v_add_f32_e32 v4, 0x46800000, v3
; %bb.1444:
	s_or_b64 exec, exec, s[26:27]
                                        ; implicit-def: $vgpr3
.LBB222_1445:
	s_andn2_saveexec_b64 s[2:3], s[2:3]
; %bb.1446:
	s_mov_b32 s26, 0x7f800000
	v_mov_b32_e32 v4, 0x7e
	v_mov_b32_e32 v5, 0x7f
	v_cmp_lt_u32_e32 vcc, s26, v3
	v_cndmask_b32_e32 v4, v4, v5, vcc
; %bb.1447:
	s_or_b64 exec, exec, s[2:3]
	global_store_byte v[0:1], v4, off
.LBB222_1448:
	s_mov_b64 s[2:3], 0
.LBB222_1449:
	s_andn2_b64 vcc, exec, s[2:3]
	s_cbranch_vccnz .LBB222_1459
; %bb.1450:
	v_cndmask_b32_e64 v3, 0, 1.0, s[24:25]
	s_mov_b32 s2, 0x47800000
	v_cmp_gt_u32_e32 vcc, s2, v3
                                        ; implicit-def: $vgpr4
	s_and_saveexec_b64 s[2:3], vcc
	s_xor_b64 s[2:3], exec, s[2:3]
	s_cbranch_execz .LBB222_1456
; %bb.1451:
	s_mov_b32 s26, 0x387fffff
	v_cmp_lt_u32_e32 vcc, s26, v3
                                        ; implicit-def: $vgpr4
	s_and_saveexec_b64 s[26:27], vcc
	s_xor_b64 s[26:27], exec, s[26:27]
; %bb.1452:
	v_bfe_u32 v4, v3, 21, 1
	s_mov_b32 s28, 0x80fffff
	v_add3_u32 v3, v3, v4, s28
	v_lshrrev_b32_e32 v4, 21, v3
                                        ; implicit-def: $vgpr3
; %bb.1453:
	s_andn2_saveexec_b64 s[26:27], s[26:27]
; %bb.1454:
	v_add_f32_e32 v4, 0x43000000, v3
; %bb.1455:
	s_or_b64 exec, exec, s[26:27]
                                        ; implicit-def: $vgpr3
.LBB222_1456:
	s_andn2_saveexec_b64 s[2:3], s[2:3]
; %bb.1457:
	s_mov_b32 s26, 0x7f800000
	v_mov_b32_e32 v4, 0x7c
	v_mov_b32_e32 v5, 0x7f
	v_cmp_lt_u32_e32 vcc, s26, v3
	v_cndmask_b32_e32 v4, v4, v5, vcc
; %bb.1458:
	s_or_b64 exec, exec, s[2:3]
	global_store_byte v[0:1], v4, off
.LBB222_1459:
	s_mov_b64 s[2:3], 0
	s_mov_b64 s[26:27], -1
.LBB222_1460:
	s_andn2_b64 vcc, exec, s[2:3]
	s_mov_b64 s[2:3], 0
	s_cbranch_vccnz .LBB222_1467
; %bb.1461:
	s_cmp_gt_i32 s13, 14
	s_mov_b64 s[28:29], -1
	s_cbranch_scc0 .LBB222_1465
; %bb.1462:
	s_cmp_eq_u32 s13, 15
	s_mov_b64 s[0:1], -1
	s_cbranch_scc0 .LBB222_1464
; %bb.1463:
	v_cndmask_b32_e64 v3, 0, 1.0, s[24:25]
	v_bfe_u32 v4, v3, 16, 1
	s_movk_i32 s0, 0x7fff
	v_add3_u32 v3, v3, v4, s0
	global_store_short_d16_hi v[0:1], v3, off
	s_mov_b64 s[0:1], 0
	s_mov_b64 s[26:27], -1
.LBB222_1464:
	s_mov_b64 s[28:29], 0
.LBB222_1465:
	s_and_b64 vcc, exec, s[28:29]
	s_cbranch_vccz .LBB222_1467
; %bb.1466:
	s_cmp_lg_u32 s13, 11
	s_mov_b64 s[2:3], -1
	s_cselect_b64 s[0:1], -1, 0
.LBB222_1467:
	s_and_b64 vcc, exec, s[0:1]
	s_cbranch_vccnz .LBB222_1875
; %bb.1468:
	s_andn2_b64 vcc, exec, s[2:3]
	s_cbranch_vccnz .LBB222_1470
.LBB222_1469:
	v_cndmask_b32_e64 v3, 0, 1, s[24:25]
	s_mov_b64 s[26:27], -1
	global_store_byte v[0:1], v3, off
.LBB222_1470:
	s_mov_b64 s[0:1], 0
	s_branch .LBB222_1472
.LBB222_1471:
	s_mov_b64 s[0:1], -1
	s_mov_b64 s[26:27], 0
.LBB222_1472:
	s_and_b64 vcc, exec, s[0:1]
	s_cbranch_vccz .LBB222_1511
; %bb.1473:
	s_and_b32 s2, 0xffff, s33
	s_cmp_lt_i32 s2, 5
	s_mov_b64 s[0:1], -1
	s_cbranch_scc1 .LBB222_1494
; %bb.1474:
	s_cmp_lt_i32 s2, 8
	s_cbranch_scc1 .LBB222_1484
; %bb.1475:
	s_cmp_lt_i32 s2, 9
	s_cbranch_scc1 .LBB222_1481
; %bb.1476:
	s_cmp_gt_i32 s2, 9
	s_cbranch_scc0 .LBB222_1478
; %bb.1477:
	v_cndmask_b32_e64 v3, 0, 1, s[24:25]
	v_cvt_f64_u32_e32 v[3:4], v3
	v_mov_b32_e32 v5, 0
	v_mov_b32_e32 v6, v5
	s_mov_b64 s[0:1], 0
	global_store_dwordx4 v[0:1], v[3:6], off
.LBB222_1478:
	s_andn2_b64 vcc, exec, s[0:1]
	s_cbranch_vccnz .LBB222_1480
; %bb.1479:
	v_cndmask_b32_e64 v3, 0, 1.0, s[24:25]
	v_mov_b32_e32 v4, 0
	global_store_dwordx2 v[0:1], v[3:4], off
.LBB222_1480:
	s_mov_b64 s[0:1], 0
.LBB222_1481:
	s_andn2_b64 vcc, exec, s[0:1]
	s_cbranch_vccnz .LBB222_1483
; %bb.1482:
	v_cndmask_b32_e64 v3, 0, 1.0, s[24:25]
	v_cvt_f16_f32_e32 v3, v3
	global_store_dword v[0:1], v3, off
.LBB222_1483:
	s_mov_b64 s[0:1], 0
.LBB222_1484:
	s_andn2_b64 vcc, exec, s[0:1]
	s_cbranch_vccnz .LBB222_1493
; %bb.1485:
	s_cmp_lt_i32 s2, 6
	s_mov_b64 s[0:1], -1
	s_cbranch_scc1 .LBB222_1491
; %bb.1486:
	s_cmp_gt_i32 s2, 6
	s_cbranch_scc0 .LBB222_1488
; %bb.1487:
	v_cndmask_b32_e64 v3, 0, 1, s[24:25]
	v_cvt_f64_u32_e32 v[3:4], v3
	s_mov_b64 s[0:1], 0
	global_store_dwordx2 v[0:1], v[3:4], off
.LBB222_1488:
	s_andn2_b64 vcc, exec, s[0:1]
	s_cbranch_vccnz .LBB222_1490
; %bb.1489:
	v_cndmask_b32_e64 v3, 0, 1.0, s[24:25]
	global_store_dword v[0:1], v3, off
.LBB222_1490:
	s_mov_b64 s[0:1], 0
.LBB222_1491:
	s_andn2_b64 vcc, exec, s[0:1]
	s_cbranch_vccnz .LBB222_1493
; %bb.1492:
	v_cndmask_b32_e64 v3, 0, 1.0, s[24:25]
	v_cvt_f16_f32_e32 v3, v3
	global_store_short v[0:1], v3, off
.LBB222_1493:
	s_mov_b64 s[0:1], 0
.LBB222_1494:
	s_andn2_b64 vcc, exec, s[0:1]
	s_cbranch_vccnz .LBB222_1510
; %bb.1495:
	s_cmp_lt_i32 s2, 2
	s_mov_b64 s[0:1], -1
	s_cbranch_scc1 .LBB222_1505
; %bb.1496:
	s_cmp_lt_i32 s2, 3
	s_cbranch_scc1 .LBB222_1502
; %bb.1497:
	s_cmp_gt_i32 s2, 3
	s_cbranch_scc0 .LBB222_1499
; %bb.1498:
	s_mov_b32 s0, 0
	v_cndmask_b32_e64 v3, 0, 1, s[24:25]
	v_mov_b32_e32 v4, s0
	global_store_dwordx2 v[0:1], v[3:4], off
	s_mov_b64 s[0:1], 0
.LBB222_1499:
	s_andn2_b64 vcc, exec, s[0:1]
	s_cbranch_vccnz .LBB222_1501
; %bb.1500:
	v_cndmask_b32_e64 v3, 0, 1, s[24:25]
	global_store_dword v[0:1], v3, off
.LBB222_1501:
	s_mov_b64 s[0:1], 0
.LBB222_1502:
	s_andn2_b64 vcc, exec, s[0:1]
	s_cbranch_vccnz .LBB222_1504
; %bb.1503:
	v_cndmask_b32_e64 v3, 0, 1, s[24:25]
	global_store_short v[0:1], v3, off
.LBB222_1504:
	s_mov_b64 s[0:1], 0
.LBB222_1505:
	s_andn2_b64 vcc, exec, s[0:1]
	s_cbranch_vccnz .LBB222_1510
; %bb.1506:
	s_mov_b64 s[0:1], -1
	s_cmp_gt_i32 s2, 0
	v_cndmask_b32_e64 v3, 0, 1, s[24:25]
	s_cbranch_scc0 .LBB222_1508
; %bb.1507:
	global_store_byte v[0:1], v3, off
	s_mov_b64 s[0:1], 0
.LBB222_1508:
	s_andn2_b64 vcc, exec, s[0:1]
	s_cbranch_vccnz .LBB222_1510
; %bb.1509:
	global_store_byte v[0:1], v3, off
.LBB222_1510:
	s_mov_b64 s[26:27], -1
.LBB222_1511:
	s_andn2_b64 vcc, exec, s[26:27]
	s_cbranch_vccnz .LBB222_1826
; %bb.1512:
	s_lshl_b32 s28, s12, 7
	s_xor_b64 s[0:1], s[22:23], s[10:11]
	v_add_u32_e32 v2, s28, v2
	s_xor_b64 s[2:3], s[14:15], s[0:1]
	v_ashrrev_i32_e32 v1, 31, v2
	v_mov_b32_e32 v3, s9
	v_add_co_u32_e32 v0, vcc, s8, v2
	s_cmp_lt_i32 s33, 11
	v_addc_co_u32_e32 v1, vcc, v3, v1, vcc
	s_cbranch_scc1 .LBB222_1590
; %bb.1513:
	s_and_b32 s29, 0xffff, s33
	s_mov_b64 s[24:25], -1
	s_mov_b64 s[12:13], 0
	s_cmp_gt_i32 s29, 25
	s_mov_b64 s[22:23], 0
	s_mov_b64 s[0:1], 0
	s_cbranch_scc0 .LBB222_1546
; %bb.1514:
	s_cmp_gt_i32 s29, 28
	s_cbranch_scc0 .LBB222_1529
; %bb.1515:
	s_cmp_gt_i32 s29, 43
	;; [unrolled: 3-line block ×3, first 2 shown]
	s_cbranch_scc0 .LBB222_1519
; %bb.1517:
	s_mov_b64 s[0:1], -1
	s_mov_b64 s[24:25], 0
	s_cmp_eq_u32 s29, 46
	s_cbranch_scc0 .LBB222_1519
; %bb.1518:
	v_cndmask_b32_e64 v3, 0, 1.0, s[2:3]
	v_bfe_u32 v4, v3, 16, 1
	s_movk_i32 s0, 0x7fff
	v_add3_u32 v3, v3, v4, s0
	v_lshrrev_b32_e32 v3, 16, v3
	global_store_dword v[0:1], v3, off
	s_mov_b64 s[0:1], 0
	s_mov_b64 s[22:23], -1
.LBB222_1519:
	s_and_b64 vcc, exec, s[24:25]
	s_cbranch_vccz .LBB222_1524
; %bb.1520:
	s_cmp_eq_u32 s29, 44
	s_mov_b64 s[0:1], -1
	s_cbranch_scc0 .LBB222_1524
; %bb.1521:
	v_cndmask_b32_e64 v4, 0, 1.0, s[2:3]
	v_lshrrev_b32_e32 v3, 23, v4
	s_movk_i32 s0, 0xff
	v_cmp_ne_u32_e32 vcc, s0, v3
	v_mov_b32_e32 v5, 0xff
	s_and_saveexec_b64 s[22:23], vcc
; %bb.1522:
	s_mov_b32 s0, 0x3fffff
	v_and_b32_e32 v5, 0x400000, v4
	v_and_or_b32 v4, v4, s0, v3
	v_cmp_ne_u32_e32 vcc, 0, v5
	v_cmp_ne_u32_e64 s[0:1], 0, v4
	s_and_b64 s[0:1], vcc, s[0:1]
	v_cndmask_b32_e64 v4, 0, 1, s[0:1]
	v_add_u32_e32 v5, v3, v4
; %bb.1523:
	s_or_b64 exec, exec, s[22:23]
	s_mov_b64 s[0:1], 0
	s_mov_b64 s[22:23], -1
	global_store_byte v[0:1], v5, off
.LBB222_1524:
	s_mov_b64 s[24:25], 0
.LBB222_1525:
	s_and_b64 vcc, exec, s[24:25]
	s_cbranch_vccz .LBB222_1528
; %bb.1526:
	s_cmp_eq_u32 s29, 29
	s_mov_b64 s[0:1], -1
	s_cbranch_scc0 .LBB222_1528
; %bb.1527:
	s_mov_b32 s0, 0
	v_cndmask_b32_e64 v3, 0, 1, s[2:3]
	v_mov_b32_e32 v4, s0
	global_store_dwordx2 v[0:1], v[3:4], off
	s_mov_b64 s[0:1], 0
	s_mov_b64 s[22:23], -1
.LBB222_1528:
	s_mov_b64 s[24:25], 0
.LBB222_1529:
	s_and_b64 vcc, exec, s[24:25]
	s_cbranch_vccz .LBB222_1545
; %bb.1530:
	s_cmp_lt_i32 s29, 27
	s_mov_b64 s[22:23], -1
	s_cbranch_scc1 .LBB222_1536
; %bb.1531:
	s_cmp_gt_i32 s29, 27
	s_cbranch_scc0 .LBB222_1533
; %bb.1532:
	v_cndmask_b32_e64 v3, 0, 1, s[2:3]
	s_mov_b64 s[22:23], 0
	global_store_dword v[0:1], v3, off
.LBB222_1533:
	s_andn2_b64 vcc, exec, s[22:23]
	s_cbranch_vccnz .LBB222_1535
; %bb.1534:
	v_cndmask_b32_e64 v3, 0, 1, s[2:3]
	global_store_short v[0:1], v3, off
.LBB222_1535:
	s_mov_b64 s[22:23], 0
.LBB222_1536:
	s_andn2_b64 vcc, exec, s[22:23]
	s_cbranch_vccnz .LBB222_1544
; %bb.1537:
	v_cndmask_b32_e64 v4, 0, 1.0, s[2:3]
	s_mov_b32 s22, 0x43800000
	v_cmp_gt_u32_e32 vcc, s22, v4
	v_mov_b32_e32 v5, 0x80
	s_and_saveexec_b64 s[22:23], vcc
	s_cbranch_execz .LBB222_1543
; %bb.1538:
	s_mov_b32 s24, 0x3bffffff
	v_cmp_lt_u32_e32 vcc, s24, v4
	s_mov_b64 s[24:25], 0
                                        ; implicit-def: $vgpr3
	s_and_saveexec_b64 s[26:27], vcc
	s_xor_b64 s[26:27], exec, s[26:27]
	s_cbranch_execz .LBB222_1878
; %bb.1539:
	v_bfe_u32 v3, v4, 20, 1
	s_mov_b32 s30, 0x487ffff
	v_add3_u32 v3, v4, v3, s30
	s_mov_b64 s[24:25], exec
	v_lshrrev_b32_e32 v3, 20, v3
                                        ; implicit-def: $vgpr4
	s_andn2_saveexec_b64 s[26:27], s[26:27]
	s_cbranch_execnz .LBB222_1879
.LBB222_1540:
	s_or_b64 exec, exec, s[26:27]
	v_mov_b32_e32 v5, 0
	s_and_saveexec_b64 s[26:27], s[24:25]
.LBB222_1541:
	v_mov_b32_e32 v5, v3
.LBB222_1542:
	s_or_b64 exec, exec, s[26:27]
.LBB222_1543:
	s_or_b64 exec, exec, s[22:23]
	global_store_byte v[0:1], v5, off
.LBB222_1544:
	s_mov_b64 s[22:23], -1
.LBB222_1545:
	s_mov_b64 s[24:25], 0
.LBB222_1546:
	s_and_b64 vcc, exec, s[24:25]
	s_cbranch_vccz .LBB222_1586
; %bb.1547:
	s_cmp_gt_i32 s29, 22
	s_mov_b64 s[12:13], -1
	s_cbranch_scc0 .LBB222_1579
; %bb.1548:
	s_cmp_lt_i32 s29, 24
	s_cbranch_scc1 .LBB222_1568
; %bb.1549:
	s_cmp_gt_i32 s29, 24
	s_cbranch_scc0 .LBB222_1557
; %bb.1550:
	v_cndmask_b32_e64 v4, 0, 1.0, s[2:3]
	s_mov_b32 s12, 0x47800000
	v_cmp_gt_u32_e32 vcc, s12, v4
	v_mov_b32_e32 v5, 0x80
	s_and_saveexec_b64 s[12:13], vcc
	s_cbranch_execz .LBB222_1556
; %bb.1551:
	s_mov_b32 s22, 0x37ffffff
	v_cmp_lt_u32_e32 vcc, s22, v4
	s_mov_b64 s[22:23], 0
                                        ; implicit-def: $vgpr3
	s_and_saveexec_b64 s[24:25], vcc
	s_xor_b64 s[24:25], exec, s[24:25]
	s_cbranch_execz .LBB222_1881
; %bb.1552:
	v_bfe_u32 v3, v4, 21, 1
	s_mov_b32 s26, 0x88fffff
	v_add3_u32 v3, v4, v3, s26
	s_mov_b64 s[22:23], exec
	v_lshrrev_b32_e32 v3, 21, v3
                                        ; implicit-def: $vgpr4
	s_andn2_saveexec_b64 s[24:25], s[24:25]
	s_cbranch_execnz .LBB222_1882
.LBB222_1553:
	s_or_b64 exec, exec, s[24:25]
	v_mov_b32_e32 v5, 0
	s_and_saveexec_b64 s[24:25], s[22:23]
.LBB222_1554:
	v_mov_b32_e32 v5, v3
.LBB222_1555:
	s_or_b64 exec, exec, s[24:25]
.LBB222_1556:
	s_or_b64 exec, exec, s[12:13]
	s_mov_b64 s[12:13], 0
	global_store_byte v[0:1], v5, off
.LBB222_1557:
	s_and_b64 vcc, exec, s[12:13]
	s_cbranch_vccz .LBB222_1567
; %bb.1558:
	v_cndmask_b32_e64 v3, 0, 1.0, s[2:3]
	s_mov_b32 s12, 0x43f00000
	v_cmp_gt_u32_e32 vcc, s12, v3
                                        ; implicit-def: $vgpr4
	s_and_saveexec_b64 s[12:13], vcc
	s_xor_b64 s[12:13], exec, s[12:13]
	s_cbranch_execz .LBB222_1564
; %bb.1559:
	s_mov_b32 s22, 0x3c7fffff
	v_cmp_lt_u32_e32 vcc, s22, v3
                                        ; implicit-def: $vgpr4
	s_and_saveexec_b64 s[22:23], vcc
	s_xor_b64 s[22:23], exec, s[22:23]
; %bb.1560:
	v_bfe_u32 v4, v3, 20, 1
	s_mov_b32 s24, 0x407ffff
	v_add3_u32 v3, v3, v4, s24
	v_lshrrev_b32_e32 v4, 20, v3
	v_and_b32_e32 v3, 0xff00000, v3
	s_mov_b32 s24, 0x7f00000
	v_mov_b32_e32 v5, 0x7e
	v_cmp_ne_u32_e32 vcc, s24, v3
	v_cndmask_b32_e32 v4, v5, v4, vcc
                                        ; implicit-def: $vgpr3
; %bb.1561:
	s_andn2_saveexec_b64 s[22:23], s[22:23]
; %bb.1562:
	v_add_f32_e32 v4, 0x46800000, v3
; %bb.1563:
	s_or_b64 exec, exec, s[22:23]
                                        ; implicit-def: $vgpr3
.LBB222_1564:
	s_andn2_saveexec_b64 s[12:13], s[12:13]
; %bb.1565:
	s_mov_b32 s22, 0x7f800000
	v_mov_b32_e32 v4, 0x7e
	v_mov_b32_e32 v5, 0x7f
	v_cmp_lt_u32_e32 vcc, s22, v3
	v_cndmask_b32_e32 v4, v4, v5, vcc
; %bb.1566:
	s_or_b64 exec, exec, s[12:13]
	global_store_byte v[0:1], v4, off
.LBB222_1567:
	s_mov_b64 s[12:13], 0
.LBB222_1568:
	s_andn2_b64 vcc, exec, s[12:13]
	s_cbranch_vccnz .LBB222_1578
; %bb.1569:
	v_cndmask_b32_e64 v3, 0, 1.0, s[2:3]
	s_mov_b32 s12, 0x47800000
	v_cmp_gt_u32_e32 vcc, s12, v3
                                        ; implicit-def: $vgpr4
	s_and_saveexec_b64 s[12:13], vcc
	s_xor_b64 s[12:13], exec, s[12:13]
	s_cbranch_execz .LBB222_1575
; %bb.1570:
	s_mov_b32 s22, 0x387fffff
	v_cmp_lt_u32_e32 vcc, s22, v3
                                        ; implicit-def: $vgpr4
	s_and_saveexec_b64 s[22:23], vcc
	s_xor_b64 s[22:23], exec, s[22:23]
; %bb.1571:
	v_bfe_u32 v4, v3, 21, 1
	s_mov_b32 s24, 0x80fffff
	v_add3_u32 v3, v3, v4, s24
	v_lshrrev_b32_e32 v4, 21, v3
                                        ; implicit-def: $vgpr3
; %bb.1572:
	s_andn2_saveexec_b64 s[22:23], s[22:23]
; %bb.1573:
	v_add_f32_e32 v4, 0x43000000, v3
; %bb.1574:
	s_or_b64 exec, exec, s[22:23]
                                        ; implicit-def: $vgpr3
.LBB222_1575:
	s_andn2_saveexec_b64 s[12:13], s[12:13]
; %bb.1576:
	s_mov_b32 s22, 0x7f800000
	v_mov_b32_e32 v4, 0x7c
	v_mov_b32_e32 v5, 0x7f
	v_cmp_lt_u32_e32 vcc, s22, v3
	v_cndmask_b32_e32 v4, v4, v5, vcc
; %bb.1577:
	s_or_b64 exec, exec, s[12:13]
	global_store_byte v[0:1], v4, off
.LBB222_1578:
	s_mov_b64 s[12:13], 0
	s_mov_b64 s[22:23], -1
.LBB222_1579:
	s_andn2_b64 vcc, exec, s[12:13]
	s_mov_b64 s[12:13], 0
	s_cbranch_vccnz .LBB222_1586
; %bb.1580:
	s_cmp_gt_i32 s29, 14
	s_mov_b64 s[24:25], -1
	s_cbranch_scc0 .LBB222_1584
; %bb.1581:
	s_cmp_eq_u32 s29, 15
	s_mov_b64 s[0:1], -1
	s_cbranch_scc0 .LBB222_1583
; %bb.1582:
	v_cndmask_b32_e64 v3, 0, 1.0, s[2:3]
	v_bfe_u32 v4, v3, 16, 1
	s_movk_i32 s0, 0x7fff
	v_add3_u32 v3, v3, v4, s0
	global_store_short_d16_hi v[0:1], v3, off
	s_mov_b64 s[0:1], 0
	s_mov_b64 s[22:23], -1
.LBB222_1583:
	s_mov_b64 s[24:25], 0
.LBB222_1584:
	s_and_b64 vcc, exec, s[24:25]
	s_cbranch_vccz .LBB222_1586
; %bb.1585:
	s_cmp_lg_u32 s29, 11
	s_mov_b64 s[12:13], -1
	s_cselect_b64 s[0:1], -1, 0
.LBB222_1586:
	s_and_b64 vcc, exec, s[0:1]
	s_cbranch_vccnz .LBB222_1880
; %bb.1587:
	s_andn2_b64 vcc, exec, s[12:13]
	s_cbranch_vccnz .LBB222_1589
.LBB222_1588:
	v_cndmask_b32_e64 v3, 0, 1, s[2:3]
	s_mov_b64 s[22:23], -1
	global_store_byte v[0:1], v3, off
.LBB222_1589:
	s_mov_b64 s[0:1], 0
	s_branch .LBB222_1591
.LBB222_1590:
	s_mov_b64 s[0:1], -1
	s_mov_b64 s[22:23], 0
.LBB222_1591:
	s_and_b64 vcc, exec, s[0:1]
	s_cbranch_vccz .LBB222_1630
; %bb.1592:
	s_and_b32 s12, 0xffff, s33
	s_cmp_lt_i32 s12, 5
	s_mov_b64 s[0:1], -1
	s_cbranch_scc1 .LBB222_1613
; %bb.1593:
	s_cmp_lt_i32 s12, 8
	s_cbranch_scc1 .LBB222_1603
; %bb.1594:
	s_cmp_lt_i32 s12, 9
	s_cbranch_scc1 .LBB222_1600
; %bb.1595:
	s_cmp_gt_i32 s12, 9
	s_cbranch_scc0 .LBB222_1597
; %bb.1596:
	v_cndmask_b32_e64 v3, 0, 1, s[2:3]
	v_cvt_f64_u32_e32 v[3:4], v3
	v_mov_b32_e32 v5, 0
	v_mov_b32_e32 v6, v5
	s_mov_b64 s[0:1], 0
	global_store_dwordx4 v[0:1], v[3:6], off
.LBB222_1597:
	s_andn2_b64 vcc, exec, s[0:1]
	s_cbranch_vccnz .LBB222_1599
; %bb.1598:
	v_cndmask_b32_e64 v3, 0, 1.0, s[2:3]
	v_mov_b32_e32 v4, 0
	global_store_dwordx2 v[0:1], v[3:4], off
.LBB222_1599:
	s_mov_b64 s[0:1], 0
.LBB222_1600:
	s_andn2_b64 vcc, exec, s[0:1]
	s_cbranch_vccnz .LBB222_1602
; %bb.1601:
	v_cndmask_b32_e64 v3, 0, 1.0, s[2:3]
	v_cvt_f16_f32_e32 v3, v3
	global_store_dword v[0:1], v3, off
.LBB222_1602:
	s_mov_b64 s[0:1], 0
.LBB222_1603:
	s_andn2_b64 vcc, exec, s[0:1]
	s_cbranch_vccnz .LBB222_1612
; %bb.1604:
	s_cmp_lt_i32 s12, 6
	s_mov_b64 s[0:1], -1
	s_cbranch_scc1 .LBB222_1610
; %bb.1605:
	s_cmp_gt_i32 s12, 6
	s_cbranch_scc0 .LBB222_1607
; %bb.1606:
	v_cndmask_b32_e64 v3, 0, 1, s[2:3]
	v_cvt_f64_u32_e32 v[3:4], v3
	s_mov_b64 s[0:1], 0
	global_store_dwordx2 v[0:1], v[3:4], off
.LBB222_1607:
	s_andn2_b64 vcc, exec, s[0:1]
	s_cbranch_vccnz .LBB222_1609
; %bb.1608:
	v_cndmask_b32_e64 v3, 0, 1.0, s[2:3]
	global_store_dword v[0:1], v3, off
.LBB222_1609:
	s_mov_b64 s[0:1], 0
.LBB222_1610:
	s_andn2_b64 vcc, exec, s[0:1]
	s_cbranch_vccnz .LBB222_1612
; %bb.1611:
	v_cndmask_b32_e64 v3, 0, 1.0, s[2:3]
	v_cvt_f16_f32_e32 v3, v3
	global_store_short v[0:1], v3, off
.LBB222_1612:
	s_mov_b64 s[0:1], 0
.LBB222_1613:
	s_andn2_b64 vcc, exec, s[0:1]
	s_cbranch_vccnz .LBB222_1629
; %bb.1614:
	s_cmp_lt_i32 s12, 2
	s_mov_b64 s[0:1], -1
	s_cbranch_scc1 .LBB222_1624
; %bb.1615:
	s_cmp_lt_i32 s12, 3
	s_cbranch_scc1 .LBB222_1621
; %bb.1616:
	s_cmp_gt_i32 s12, 3
	s_cbranch_scc0 .LBB222_1618
; %bb.1617:
	s_mov_b32 s0, 0
	v_cndmask_b32_e64 v3, 0, 1, s[2:3]
	v_mov_b32_e32 v4, s0
	global_store_dwordx2 v[0:1], v[3:4], off
	s_mov_b64 s[0:1], 0
.LBB222_1618:
	s_andn2_b64 vcc, exec, s[0:1]
	s_cbranch_vccnz .LBB222_1620
; %bb.1619:
	v_cndmask_b32_e64 v3, 0, 1, s[2:3]
	global_store_dword v[0:1], v3, off
.LBB222_1620:
	s_mov_b64 s[0:1], 0
.LBB222_1621:
	s_andn2_b64 vcc, exec, s[0:1]
	s_cbranch_vccnz .LBB222_1623
; %bb.1622:
	v_cndmask_b32_e64 v3, 0, 1, s[2:3]
	global_store_short v[0:1], v3, off
.LBB222_1623:
	s_mov_b64 s[0:1], 0
.LBB222_1624:
	s_andn2_b64 vcc, exec, s[0:1]
	s_cbranch_vccnz .LBB222_1629
; %bb.1625:
	s_mov_b64 s[0:1], -1
	s_cmp_gt_i32 s12, 0
	v_cndmask_b32_e64 v3, 0, 1, s[2:3]
	s_cbranch_scc0 .LBB222_1627
; %bb.1626:
	global_store_byte v[0:1], v3, off
	s_mov_b64 s[0:1], 0
.LBB222_1627:
	s_andn2_b64 vcc, exec, s[0:1]
	s_cbranch_vccnz .LBB222_1629
; %bb.1628:
	global_store_byte v[0:1], v3, off
.LBB222_1629:
	s_mov_b64 s[22:23], -1
.LBB222_1630:
	s_andn2_b64 vcc, exec, s[22:23]
	s_cbranch_vccnz .LBB222_1826
; %bb.1631:
	s_xor_b64 s[0:1], s[20:21], s[10:11]
	v_add_u32_e32 v2, s28, v2
	s_xor_b64 s[2:3], s[14:15], s[0:1]
	v_ashrrev_i32_e32 v1, 31, v2
	v_mov_b32_e32 v3, s9
	v_add_co_u32_e32 v0, vcc, s8, v2
	s_cmp_lt_i32 s33, 11
	v_addc_co_u32_e32 v1, vcc, v3, v1, vcc
	s_cbranch_scc1 .LBB222_1709
; %bb.1632:
	s_and_b32 s26, 0xffff, s33
	s_mov_b64 s[22:23], -1
	s_mov_b64 s[12:13], 0
	s_cmp_gt_i32 s26, 25
	s_mov_b64 s[20:21], 0
	s_mov_b64 s[0:1], 0
	s_cbranch_scc0 .LBB222_1665
; %bb.1633:
	s_cmp_gt_i32 s26, 28
	s_cbranch_scc0 .LBB222_1648
; %bb.1634:
	s_cmp_gt_i32 s26, 43
	;; [unrolled: 3-line block ×3, first 2 shown]
	s_cbranch_scc0 .LBB222_1638
; %bb.1636:
	s_mov_b64 s[0:1], -1
	s_mov_b64 s[22:23], 0
	s_cmp_eq_u32 s26, 46
	s_cbranch_scc0 .LBB222_1638
; %bb.1637:
	v_cndmask_b32_e64 v3, 0, 1.0, s[2:3]
	v_bfe_u32 v4, v3, 16, 1
	s_movk_i32 s0, 0x7fff
	v_add3_u32 v3, v3, v4, s0
	v_lshrrev_b32_e32 v3, 16, v3
	global_store_dword v[0:1], v3, off
	s_mov_b64 s[0:1], 0
	s_mov_b64 s[20:21], -1
.LBB222_1638:
	s_and_b64 vcc, exec, s[22:23]
	s_cbranch_vccz .LBB222_1643
; %bb.1639:
	s_cmp_eq_u32 s26, 44
	s_mov_b64 s[0:1], -1
	s_cbranch_scc0 .LBB222_1643
; %bb.1640:
	v_cndmask_b32_e64 v4, 0, 1.0, s[2:3]
	v_lshrrev_b32_e32 v3, 23, v4
	s_movk_i32 s0, 0xff
	v_cmp_ne_u32_e32 vcc, s0, v3
	v_mov_b32_e32 v5, 0xff
	s_and_saveexec_b64 s[20:21], vcc
; %bb.1641:
	s_mov_b32 s0, 0x3fffff
	v_and_b32_e32 v5, 0x400000, v4
	v_and_or_b32 v4, v4, s0, v3
	v_cmp_ne_u32_e32 vcc, 0, v5
	v_cmp_ne_u32_e64 s[0:1], 0, v4
	s_and_b64 s[0:1], vcc, s[0:1]
	v_cndmask_b32_e64 v4, 0, 1, s[0:1]
	v_add_u32_e32 v5, v3, v4
; %bb.1642:
	s_or_b64 exec, exec, s[20:21]
	s_mov_b64 s[0:1], 0
	s_mov_b64 s[20:21], -1
	global_store_byte v[0:1], v5, off
.LBB222_1643:
	s_mov_b64 s[22:23], 0
.LBB222_1644:
	s_and_b64 vcc, exec, s[22:23]
	s_cbranch_vccz .LBB222_1647
; %bb.1645:
	s_cmp_eq_u32 s26, 29
	s_mov_b64 s[0:1], -1
	s_cbranch_scc0 .LBB222_1647
; %bb.1646:
	s_mov_b32 s0, 0
	v_cndmask_b32_e64 v3, 0, 1, s[2:3]
	v_mov_b32_e32 v4, s0
	global_store_dwordx2 v[0:1], v[3:4], off
	s_mov_b64 s[0:1], 0
	s_mov_b64 s[20:21], -1
.LBB222_1647:
	s_mov_b64 s[22:23], 0
.LBB222_1648:
	s_and_b64 vcc, exec, s[22:23]
	s_cbranch_vccz .LBB222_1664
; %bb.1649:
	s_cmp_lt_i32 s26, 27
	s_mov_b64 s[20:21], -1
	s_cbranch_scc1 .LBB222_1655
; %bb.1650:
	s_cmp_gt_i32 s26, 27
	s_cbranch_scc0 .LBB222_1652
; %bb.1651:
	v_cndmask_b32_e64 v3, 0, 1, s[2:3]
	s_mov_b64 s[20:21], 0
	global_store_dword v[0:1], v3, off
.LBB222_1652:
	s_andn2_b64 vcc, exec, s[20:21]
	s_cbranch_vccnz .LBB222_1654
; %bb.1653:
	v_cndmask_b32_e64 v3, 0, 1, s[2:3]
	global_store_short v[0:1], v3, off
.LBB222_1654:
	s_mov_b64 s[20:21], 0
.LBB222_1655:
	s_andn2_b64 vcc, exec, s[20:21]
	s_cbranch_vccnz .LBB222_1663
; %bb.1656:
	v_cndmask_b32_e64 v4, 0, 1.0, s[2:3]
	s_mov_b32 s20, 0x43800000
	v_cmp_gt_u32_e32 vcc, s20, v4
	v_mov_b32_e32 v5, 0x80
	s_and_saveexec_b64 s[20:21], vcc
	s_cbranch_execz .LBB222_1662
; %bb.1657:
	s_mov_b32 s22, 0x3bffffff
	v_cmp_lt_u32_e32 vcc, s22, v4
	s_mov_b64 s[22:23], 0
                                        ; implicit-def: $vgpr3
	s_and_saveexec_b64 s[24:25], vcc
	s_xor_b64 s[24:25], exec, s[24:25]
	s_cbranch_execz .LBB222_1883
; %bb.1658:
	v_bfe_u32 v3, v4, 20, 1
	s_mov_b32 s27, 0x487ffff
	v_add3_u32 v3, v4, v3, s27
	s_mov_b64 s[22:23], exec
	v_lshrrev_b32_e32 v3, 20, v3
                                        ; implicit-def: $vgpr4
	s_andn2_saveexec_b64 s[24:25], s[24:25]
	s_cbranch_execnz .LBB222_1884
.LBB222_1659:
	s_or_b64 exec, exec, s[24:25]
	v_mov_b32_e32 v5, 0
	s_and_saveexec_b64 s[24:25], s[22:23]
.LBB222_1660:
	v_mov_b32_e32 v5, v3
.LBB222_1661:
	s_or_b64 exec, exec, s[24:25]
.LBB222_1662:
	s_or_b64 exec, exec, s[20:21]
	global_store_byte v[0:1], v5, off
.LBB222_1663:
	s_mov_b64 s[20:21], -1
.LBB222_1664:
	s_mov_b64 s[22:23], 0
.LBB222_1665:
	s_and_b64 vcc, exec, s[22:23]
	s_cbranch_vccz .LBB222_1705
; %bb.1666:
	s_cmp_gt_i32 s26, 22
	s_mov_b64 s[12:13], -1
	s_cbranch_scc0 .LBB222_1698
; %bb.1667:
	s_cmp_lt_i32 s26, 24
	s_cbranch_scc1 .LBB222_1687
; %bb.1668:
	s_cmp_gt_i32 s26, 24
	s_cbranch_scc0 .LBB222_1676
; %bb.1669:
	v_cndmask_b32_e64 v4, 0, 1.0, s[2:3]
	s_mov_b32 s12, 0x47800000
	v_cmp_gt_u32_e32 vcc, s12, v4
	v_mov_b32_e32 v5, 0x80
	s_and_saveexec_b64 s[12:13], vcc
	s_cbranch_execz .LBB222_1675
; %bb.1670:
	s_mov_b32 s20, 0x37ffffff
	v_cmp_lt_u32_e32 vcc, s20, v4
	s_mov_b64 s[20:21], 0
                                        ; implicit-def: $vgpr3
	s_and_saveexec_b64 s[22:23], vcc
	s_xor_b64 s[22:23], exec, s[22:23]
	s_cbranch_execz .LBB222_1886
; %bb.1671:
	v_bfe_u32 v3, v4, 21, 1
	s_mov_b32 s24, 0x88fffff
	v_add3_u32 v3, v4, v3, s24
	s_mov_b64 s[20:21], exec
	v_lshrrev_b32_e32 v3, 21, v3
                                        ; implicit-def: $vgpr4
	s_andn2_saveexec_b64 s[22:23], s[22:23]
	s_cbranch_execnz .LBB222_1887
.LBB222_1672:
	s_or_b64 exec, exec, s[22:23]
	v_mov_b32_e32 v5, 0
	s_and_saveexec_b64 s[22:23], s[20:21]
.LBB222_1673:
	v_mov_b32_e32 v5, v3
.LBB222_1674:
	s_or_b64 exec, exec, s[22:23]
.LBB222_1675:
	s_or_b64 exec, exec, s[12:13]
	s_mov_b64 s[12:13], 0
	global_store_byte v[0:1], v5, off
.LBB222_1676:
	s_and_b64 vcc, exec, s[12:13]
	s_cbranch_vccz .LBB222_1686
; %bb.1677:
	v_cndmask_b32_e64 v3, 0, 1.0, s[2:3]
	s_mov_b32 s12, 0x43f00000
	v_cmp_gt_u32_e32 vcc, s12, v3
                                        ; implicit-def: $vgpr4
	s_and_saveexec_b64 s[12:13], vcc
	s_xor_b64 s[12:13], exec, s[12:13]
	s_cbranch_execz .LBB222_1683
; %bb.1678:
	s_mov_b32 s20, 0x3c7fffff
	v_cmp_lt_u32_e32 vcc, s20, v3
                                        ; implicit-def: $vgpr4
	s_and_saveexec_b64 s[20:21], vcc
	s_xor_b64 s[20:21], exec, s[20:21]
; %bb.1679:
	v_bfe_u32 v4, v3, 20, 1
	s_mov_b32 s22, 0x407ffff
	v_add3_u32 v3, v3, v4, s22
	v_lshrrev_b32_e32 v4, 20, v3
	v_and_b32_e32 v3, 0xff00000, v3
	s_mov_b32 s22, 0x7f00000
	v_mov_b32_e32 v5, 0x7e
	v_cmp_ne_u32_e32 vcc, s22, v3
	v_cndmask_b32_e32 v4, v5, v4, vcc
                                        ; implicit-def: $vgpr3
; %bb.1680:
	s_andn2_saveexec_b64 s[20:21], s[20:21]
; %bb.1681:
	v_add_f32_e32 v4, 0x46800000, v3
; %bb.1682:
	s_or_b64 exec, exec, s[20:21]
                                        ; implicit-def: $vgpr3
.LBB222_1683:
	s_andn2_saveexec_b64 s[12:13], s[12:13]
; %bb.1684:
	s_mov_b32 s20, 0x7f800000
	v_mov_b32_e32 v4, 0x7e
	v_mov_b32_e32 v5, 0x7f
	v_cmp_lt_u32_e32 vcc, s20, v3
	v_cndmask_b32_e32 v4, v4, v5, vcc
; %bb.1685:
	s_or_b64 exec, exec, s[12:13]
	global_store_byte v[0:1], v4, off
.LBB222_1686:
	s_mov_b64 s[12:13], 0
.LBB222_1687:
	s_andn2_b64 vcc, exec, s[12:13]
	s_cbranch_vccnz .LBB222_1697
; %bb.1688:
	v_cndmask_b32_e64 v3, 0, 1.0, s[2:3]
	s_mov_b32 s12, 0x47800000
	v_cmp_gt_u32_e32 vcc, s12, v3
                                        ; implicit-def: $vgpr4
	s_and_saveexec_b64 s[12:13], vcc
	s_xor_b64 s[12:13], exec, s[12:13]
	s_cbranch_execz .LBB222_1694
; %bb.1689:
	s_mov_b32 s20, 0x387fffff
	v_cmp_lt_u32_e32 vcc, s20, v3
                                        ; implicit-def: $vgpr4
	s_and_saveexec_b64 s[20:21], vcc
	s_xor_b64 s[20:21], exec, s[20:21]
; %bb.1690:
	v_bfe_u32 v4, v3, 21, 1
	s_mov_b32 s22, 0x80fffff
	v_add3_u32 v3, v3, v4, s22
	v_lshrrev_b32_e32 v4, 21, v3
                                        ; implicit-def: $vgpr3
; %bb.1691:
	s_andn2_saveexec_b64 s[20:21], s[20:21]
; %bb.1692:
	v_add_f32_e32 v4, 0x43000000, v3
; %bb.1693:
	s_or_b64 exec, exec, s[20:21]
                                        ; implicit-def: $vgpr3
.LBB222_1694:
	s_andn2_saveexec_b64 s[12:13], s[12:13]
; %bb.1695:
	s_mov_b32 s20, 0x7f800000
	v_mov_b32_e32 v4, 0x7c
	v_mov_b32_e32 v5, 0x7f
	v_cmp_lt_u32_e32 vcc, s20, v3
	v_cndmask_b32_e32 v4, v4, v5, vcc
; %bb.1696:
	s_or_b64 exec, exec, s[12:13]
	global_store_byte v[0:1], v4, off
.LBB222_1697:
	s_mov_b64 s[12:13], 0
	s_mov_b64 s[20:21], -1
.LBB222_1698:
	s_andn2_b64 vcc, exec, s[12:13]
	s_mov_b64 s[12:13], 0
	s_cbranch_vccnz .LBB222_1705
; %bb.1699:
	s_cmp_gt_i32 s26, 14
	s_mov_b64 s[22:23], -1
	s_cbranch_scc0 .LBB222_1703
; %bb.1700:
	s_cmp_eq_u32 s26, 15
	s_mov_b64 s[0:1], -1
	s_cbranch_scc0 .LBB222_1702
; %bb.1701:
	v_cndmask_b32_e64 v3, 0, 1.0, s[2:3]
	v_bfe_u32 v4, v3, 16, 1
	s_movk_i32 s0, 0x7fff
	v_add3_u32 v3, v3, v4, s0
	global_store_short_d16_hi v[0:1], v3, off
	s_mov_b64 s[0:1], 0
	s_mov_b64 s[20:21], -1
.LBB222_1702:
	s_mov_b64 s[22:23], 0
.LBB222_1703:
	s_and_b64 vcc, exec, s[22:23]
	s_cbranch_vccz .LBB222_1705
; %bb.1704:
	s_cmp_lg_u32 s26, 11
	s_mov_b64 s[12:13], -1
	s_cselect_b64 s[0:1], -1, 0
.LBB222_1705:
	s_and_b64 vcc, exec, s[0:1]
	s_cbranch_vccnz .LBB222_1885
; %bb.1706:
	s_andn2_b64 vcc, exec, s[12:13]
	s_cbranch_vccnz .LBB222_1708
.LBB222_1707:
	v_cndmask_b32_e64 v3, 0, 1, s[2:3]
	s_mov_b64 s[20:21], -1
	global_store_byte v[0:1], v3, off
.LBB222_1708:
	s_mov_b64 s[0:1], 0
	s_branch .LBB222_1710
.LBB222_1709:
	s_mov_b64 s[0:1], -1
	s_mov_b64 s[20:21], 0
.LBB222_1710:
	s_and_b64 vcc, exec, s[0:1]
	s_cbranch_vccz .LBB222_1749
; %bb.1711:
	s_and_b32 s12, 0xffff, s33
	s_cmp_lt_i32 s12, 5
	s_mov_b64 s[0:1], -1
	s_cbranch_scc1 .LBB222_1732
; %bb.1712:
	s_cmp_lt_i32 s12, 8
	s_cbranch_scc1 .LBB222_1722
; %bb.1713:
	s_cmp_lt_i32 s12, 9
	s_cbranch_scc1 .LBB222_1719
; %bb.1714:
	s_cmp_gt_i32 s12, 9
	s_cbranch_scc0 .LBB222_1716
; %bb.1715:
	v_cndmask_b32_e64 v3, 0, 1, s[2:3]
	v_cvt_f64_u32_e32 v[3:4], v3
	v_mov_b32_e32 v5, 0
	v_mov_b32_e32 v6, v5
	s_mov_b64 s[0:1], 0
	global_store_dwordx4 v[0:1], v[3:6], off
.LBB222_1716:
	s_andn2_b64 vcc, exec, s[0:1]
	s_cbranch_vccnz .LBB222_1718
; %bb.1717:
	v_cndmask_b32_e64 v3, 0, 1.0, s[2:3]
	v_mov_b32_e32 v4, 0
	global_store_dwordx2 v[0:1], v[3:4], off
.LBB222_1718:
	s_mov_b64 s[0:1], 0
.LBB222_1719:
	s_andn2_b64 vcc, exec, s[0:1]
	s_cbranch_vccnz .LBB222_1721
; %bb.1720:
	v_cndmask_b32_e64 v3, 0, 1.0, s[2:3]
	v_cvt_f16_f32_e32 v3, v3
	global_store_dword v[0:1], v3, off
.LBB222_1721:
	s_mov_b64 s[0:1], 0
.LBB222_1722:
	s_andn2_b64 vcc, exec, s[0:1]
	s_cbranch_vccnz .LBB222_1731
; %bb.1723:
	s_cmp_lt_i32 s12, 6
	s_mov_b64 s[0:1], -1
	s_cbranch_scc1 .LBB222_1729
; %bb.1724:
	s_cmp_gt_i32 s12, 6
	s_cbranch_scc0 .LBB222_1726
; %bb.1725:
	v_cndmask_b32_e64 v3, 0, 1, s[2:3]
	v_cvt_f64_u32_e32 v[3:4], v3
	s_mov_b64 s[0:1], 0
	global_store_dwordx2 v[0:1], v[3:4], off
.LBB222_1726:
	s_andn2_b64 vcc, exec, s[0:1]
	s_cbranch_vccnz .LBB222_1728
; %bb.1727:
	v_cndmask_b32_e64 v3, 0, 1.0, s[2:3]
	global_store_dword v[0:1], v3, off
.LBB222_1728:
	s_mov_b64 s[0:1], 0
.LBB222_1729:
	s_andn2_b64 vcc, exec, s[0:1]
	s_cbranch_vccnz .LBB222_1731
; %bb.1730:
	v_cndmask_b32_e64 v3, 0, 1.0, s[2:3]
	v_cvt_f16_f32_e32 v3, v3
	global_store_short v[0:1], v3, off
.LBB222_1731:
	s_mov_b64 s[0:1], 0
.LBB222_1732:
	s_andn2_b64 vcc, exec, s[0:1]
	s_cbranch_vccnz .LBB222_1748
; %bb.1733:
	s_cmp_lt_i32 s12, 2
	s_mov_b64 s[0:1], -1
	s_cbranch_scc1 .LBB222_1743
; %bb.1734:
	s_cmp_lt_i32 s12, 3
	s_cbranch_scc1 .LBB222_1740
; %bb.1735:
	s_cmp_gt_i32 s12, 3
	s_cbranch_scc0 .LBB222_1737
; %bb.1736:
	s_mov_b32 s0, 0
	v_cndmask_b32_e64 v3, 0, 1, s[2:3]
	v_mov_b32_e32 v4, s0
	global_store_dwordx2 v[0:1], v[3:4], off
	s_mov_b64 s[0:1], 0
.LBB222_1737:
	s_andn2_b64 vcc, exec, s[0:1]
	s_cbranch_vccnz .LBB222_1739
; %bb.1738:
	v_cndmask_b32_e64 v3, 0, 1, s[2:3]
	global_store_dword v[0:1], v3, off
.LBB222_1739:
	s_mov_b64 s[0:1], 0
.LBB222_1740:
	s_andn2_b64 vcc, exec, s[0:1]
	s_cbranch_vccnz .LBB222_1742
; %bb.1741:
	v_cndmask_b32_e64 v3, 0, 1, s[2:3]
	global_store_short v[0:1], v3, off
.LBB222_1742:
	s_mov_b64 s[0:1], 0
.LBB222_1743:
	s_andn2_b64 vcc, exec, s[0:1]
	s_cbranch_vccnz .LBB222_1748
; %bb.1744:
	s_mov_b64 s[0:1], -1
	s_cmp_gt_i32 s12, 0
	v_cndmask_b32_e64 v3, 0, 1, s[2:3]
	s_cbranch_scc0 .LBB222_1746
; %bb.1745:
	global_store_byte v[0:1], v3, off
	s_mov_b64 s[0:1], 0
.LBB222_1746:
	s_andn2_b64 vcc, exec, s[0:1]
	s_cbranch_vccnz .LBB222_1748
; %bb.1747:
	global_store_byte v[0:1], v3, off
.LBB222_1748:
	s_mov_b64 s[20:21], -1
.LBB222_1749:
	s_andn2_b64 vcc, exec, s[20:21]
	s_cbranch_vccnz .LBB222_1826
; %bb.1750:
	s_xor_b64 s[0:1], s[4:5], s[10:11]
	v_add_u32_e32 v0, s28, v2
	s_xor_b64 s[20:21], s[14:15], s[0:1]
	v_ashrrev_i32_e32 v1, 31, v0
	v_mov_b32_e32 v2, s9
	v_add_co_u32_e32 v0, vcc, s8, v0
	s_cmp_lt_i32 s33, 11
	v_addc_co_u32_e32 v1, vcc, v2, v1, vcc
	s_cbranch_scc1 .LBB222_1871
; %bb.1751:
	s_and_b32 s12, 0xffff, s33
	s_mov_b64 s[4:5], -1
	s_mov_b64 s[2:3], 0
	s_cmp_gt_i32 s12, 25
	s_mov_b64 s[0:1], 0
	s_cbranch_scc0 .LBB222_1784
; %bb.1752:
	s_cmp_gt_i32 s12, 28
	s_cbranch_scc0 .LBB222_1768
; %bb.1753:
	s_cmp_gt_i32 s12, 43
	;; [unrolled: 3-line block ×3, first 2 shown]
	s_cbranch_scc0 .LBB222_1758
; %bb.1755:
	s_cmp_eq_u32 s12, 46
	s_mov_b64 s[0:1], -1
	s_cbranch_scc0 .LBB222_1757
; %bb.1756:
	v_cndmask_b32_e64 v2, 0, 1.0, s[20:21]
	v_bfe_u32 v3, v2, 16, 1
	s_movk_i32 s0, 0x7fff
	v_add3_u32 v2, v2, v3, s0
	v_lshrrev_b32_e32 v2, 16, v2
	global_store_dword v[0:1], v2, off
	s_mov_b64 s[0:1], 0
.LBB222_1757:
	s_mov_b64 s[4:5], 0
.LBB222_1758:
	s_and_b64 vcc, exec, s[4:5]
	s_cbranch_vccz .LBB222_1763
; %bb.1759:
	s_cmp_eq_u32 s12, 44
	s_mov_b64 s[0:1], -1
	s_cbranch_scc0 .LBB222_1763
; %bb.1760:
	v_cndmask_b32_e64 v3, 0, 1.0, s[20:21]
	v_lshrrev_b32_e32 v2, 23, v3
	s_movk_i32 s0, 0xff
	v_cmp_ne_u32_e32 vcc, s0, v2
	v_mov_b32_e32 v4, 0xff
	s_and_saveexec_b64 s[4:5], vcc
; %bb.1761:
	s_mov_b32 s0, 0x3fffff
	v_and_b32_e32 v4, 0x400000, v3
	v_and_or_b32 v3, v3, s0, v2
	v_cmp_ne_u32_e32 vcc, 0, v4
	v_cmp_ne_u32_e64 s[0:1], 0, v3
	s_and_b64 s[0:1], vcc, s[0:1]
	v_cndmask_b32_e64 v3, 0, 1, s[0:1]
	v_add_u32_e32 v4, v2, v3
; %bb.1762:
	s_or_b64 exec, exec, s[4:5]
	s_mov_b64 s[0:1], 0
	global_store_byte v[0:1], v4, off
.LBB222_1763:
	s_mov_b64 s[4:5], 0
.LBB222_1764:
	s_and_b64 vcc, exec, s[4:5]
	s_cbranch_vccz .LBB222_1767
; %bb.1765:
	s_cmp_eq_u32 s12, 29
	s_mov_b64 s[0:1], -1
	s_cbranch_scc0 .LBB222_1767
; %bb.1766:
	s_mov_b32 s0, 0
	v_cndmask_b32_e64 v2, 0, 1, s[20:21]
	v_mov_b32_e32 v3, s0
	global_store_dwordx2 v[0:1], v[2:3], off
	s_mov_b64 s[0:1], 0
.LBB222_1767:
	s_mov_b64 s[4:5], 0
.LBB222_1768:
	s_and_b64 vcc, exec, s[4:5]
	s_cbranch_vccz .LBB222_1783
; %bb.1769:
	s_cmp_lt_i32 s12, 27
	s_mov_b64 s[4:5], -1
	s_cbranch_scc1 .LBB222_1775
; %bb.1770:
	s_cmp_gt_i32 s12, 27
	v_cndmask_b32_e64 v2, 0, 1, s[20:21]
	s_cbranch_scc0 .LBB222_1772
; %bb.1771:
	global_store_dword v[0:1], v2, off
	s_mov_b64 s[4:5], 0
.LBB222_1772:
	s_andn2_b64 vcc, exec, s[4:5]
	s_cbranch_vccnz .LBB222_1774
; %bb.1773:
	global_store_short v[0:1], v2, off
.LBB222_1774:
	s_mov_b64 s[4:5], 0
.LBB222_1775:
	s_andn2_b64 vcc, exec, s[4:5]
	s_cbranch_vccnz .LBB222_1783
; %bb.1776:
	v_cndmask_b32_e64 v3, 0, 1.0, s[20:21]
	s_mov_b32 s4, 0x43800000
	v_cmp_gt_u32_e32 vcc, s4, v3
	v_mov_b32_e32 v4, 0x80
	s_and_saveexec_b64 s[4:5], vcc
	s_cbranch_execz .LBB222_1782
; %bb.1777:
	s_mov_b32 s8, 0x3bffffff
	v_cmp_lt_u32_e32 vcc, s8, v3
	s_mov_b64 s[8:9], 0
                                        ; implicit-def: $vgpr2
	s_and_saveexec_b64 s[10:11], vcc
	s_xor_b64 s[10:11], exec, s[10:11]
	s_cbranch_execz .LBB222_1888
; %bb.1778:
	v_bfe_u32 v2, v3, 20, 1
	s_mov_b32 s13, 0x487ffff
	v_add3_u32 v2, v3, v2, s13
	s_mov_b64 s[8:9], exec
	v_lshrrev_b32_e32 v2, 20, v2
                                        ; implicit-def: $vgpr3
	s_andn2_saveexec_b64 s[10:11], s[10:11]
	s_cbranch_execnz .LBB222_1889
.LBB222_1779:
	s_or_b64 exec, exec, s[10:11]
	v_mov_b32_e32 v4, 0
	s_and_saveexec_b64 s[10:11], s[8:9]
.LBB222_1780:
	v_mov_b32_e32 v4, v2
.LBB222_1781:
	s_or_b64 exec, exec, s[10:11]
.LBB222_1782:
	s_or_b64 exec, exec, s[4:5]
	global_store_byte v[0:1], v4, off
.LBB222_1783:
	s_mov_b64 s[4:5], 0
.LBB222_1784:
	s_and_b64 vcc, exec, s[4:5]
	s_cbranch_vccz .LBB222_1824
; %bb.1785:
	s_cmp_gt_i32 s12, 22
	s_mov_b64 s[2:3], -1
	s_cbranch_scc0 .LBB222_1817
; %bb.1786:
	s_cmp_lt_i32 s12, 24
	s_cbranch_scc1 .LBB222_1806
; %bb.1787:
	s_cmp_gt_i32 s12, 24
	s_cbranch_scc0 .LBB222_1795
; %bb.1788:
	v_cndmask_b32_e64 v3, 0, 1.0, s[20:21]
	s_mov_b32 s2, 0x47800000
	v_cmp_gt_u32_e32 vcc, s2, v3
	v_mov_b32_e32 v4, 0x80
	s_and_saveexec_b64 s[2:3], vcc
	s_cbranch_execz .LBB222_1794
; %bb.1789:
	s_mov_b32 s4, 0x37ffffff
	v_cmp_lt_u32_e32 vcc, s4, v3
	s_mov_b64 s[4:5], 0
                                        ; implicit-def: $vgpr2
	s_and_saveexec_b64 s[8:9], vcc
	s_xor_b64 s[8:9], exec, s[8:9]
	s_cbranch_execz .LBB222_1891
; %bb.1790:
	v_bfe_u32 v2, v3, 21, 1
	s_mov_b32 s10, 0x88fffff
	v_add3_u32 v2, v3, v2, s10
	s_mov_b64 s[4:5], exec
	v_lshrrev_b32_e32 v2, 21, v2
                                        ; implicit-def: $vgpr3
	s_andn2_saveexec_b64 s[8:9], s[8:9]
	s_cbranch_execnz .LBB222_1892
.LBB222_1791:
	s_or_b64 exec, exec, s[8:9]
	v_mov_b32_e32 v4, 0
	s_and_saveexec_b64 s[8:9], s[4:5]
.LBB222_1792:
	v_mov_b32_e32 v4, v2
.LBB222_1793:
	s_or_b64 exec, exec, s[8:9]
.LBB222_1794:
	s_or_b64 exec, exec, s[2:3]
	s_mov_b64 s[2:3], 0
	global_store_byte v[0:1], v4, off
.LBB222_1795:
	s_and_b64 vcc, exec, s[2:3]
	s_cbranch_vccz .LBB222_1805
; %bb.1796:
	v_cndmask_b32_e64 v2, 0, 1.0, s[20:21]
	s_mov_b32 s2, 0x43f00000
	v_cmp_gt_u32_e32 vcc, s2, v2
                                        ; implicit-def: $vgpr3
	s_and_saveexec_b64 s[2:3], vcc
	s_xor_b64 s[2:3], exec, s[2:3]
	s_cbranch_execz .LBB222_1802
; %bb.1797:
	s_mov_b32 s4, 0x3c7fffff
	v_cmp_lt_u32_e32 vcc, s4, v2
                                        ; implicit-def: $vgpr3
	s_and_saveexec_b64 s[4:5], vcc
	s_xor_b64 s[4:5], exec, s[4:5]
; %bb.1798:
	v_bfe_u32 v3, v2, 20, 1
	s_mov_b32 s8, 0x407ffff
	v_add3_u32 v2, v2, v3, s8
	v_lshrrev_b32_e32 v3, 20, v2
	v_and_b32_e32 v2, 0xff00000, v2
	s_mov_b32 s8, 0x7f00000
	v_mov_b32_e32 v4, 0x7e
	v_cmp_ne_u32_e32 vcc, s8, v2
	v_cndmask_b32_e32 v3, v4, v3, vcc
                                        ; implicit-def: $vgpr2
; %bb.1799:
	s_andn2_saveexec_b64 s[4:5], s[4:5]
; %bb.1800:
	v_add_f32_e32 v3, 0x46800000, v2
; %bb.1801:
	s_or_b64 exec, exec, s[4:5]
                                        ; implicit-def: $vgpr2
.LBB222_1802:
	s_andn2_saveexec_b64 s[2:3], s[2:3]
; %bb.1803:
	s_mov_b32 s4, 0x7f800000
	v_mov_b32_e32 v3, 0x7e
	v_mov_b32_e32 v4, 0x7f
	v_cmp_lt_u32_e32 vcc, s4, v2
	v_cndmask_b32_e32 v3, v3, v4, vcc
; %bb.1804:
	s_or_b64 exec, exec, s[2:3]
	global_store_byte v[0:1], v3, off
.LBB222_1805:
	s_mov_b64 s[2:3], 0
.LBB222_1806:
	s_andn2_b64 vcc, exec, s[2:3]
	s_cbranch_vccnz .LBB222_1816
; %bb.1807:
	v_cndmask_b32_e64 v2, 0, 1.0, s[20:21]
	s_mov_b32 s2, 0x47800000
	v_cmp_gt_u32_e32 vcc, s2, v2
                                        ; implicit-def: $vgpr3
	s_and_saveexec_b64 s[2:3], vcc
	s_xor_b64 s[2:3], exec, s[2:3]
	s_cbranch_execz .LBB222_1813
; %bb.1808:
	s_mov_b32 s4, 0x387fffff
	v_cmp_lt_u32_e32 vcc, s4, v2
                                        ; implicit-def: $vgpr3
	s_and_saveexec_b64 s[4:5], vcc
	s_xor_b64 s[4:5], exec, s[4:5]
; %bb.1809:
	v_bfe_u32 v3, v2, 21, 1
	s_mov_b32 s8, 0x80fffff
	v_add3_u32 v2, v2, v3, s8
	v_lshrrev_b32_e32 v3, 21, v2
                                        ; implicit-def: $vgpr2
; %bb.1810:
	s_andn2_saveexec_b64 s[4:5], s[4:5]
; %bb.1811:
	v_add_f32_e32 v3, 0x43000000, v2
; %bb.1812:
	s_or_b64 exec, exec, s[4:5]
                                        ; implicit-def: $vgpr2
.LBB222_1813:
	s_andn2_saveexec_b64 s[2:3], s[2:3]
; %bb.1814:
	s_mov_b32 s4, 0x7f800000
	v_mov_b32_e32 v3, 0x7c
	v_mov_b32_e32 v4, 0x7f
	v_cmp_lt_u32_e32 vcc, s4, v2
	v_cndmask_b32_e32 v3, v3, v4, vcc
; %bb.1815:
	s_or_b64 exec, exec, s[2:3]
	global_store_byte v[0:1], v3, off
.LBB222_1816:
	s_mov_b64 s[2:3], 0
.LBB222_1817:
	s_andn2_b64 vcc, exec, s[2:3]
	s_mov_b64 s[2:3], 0
	s_cbranch_vccnz .LBB222_1824
; %bb.1818:
	s_cmp_gt_i32 s12, 14
	s_mov_b64 s[4:5], -1
	s_cbranch_scc0 .LBB222_1822
; %bb.1819:
	s_cmp_eq_u32 s12, 15
	s_mov_b64 s[0:1], -1
	s_cbranch_scc0 .LBB222_1821
; %bb.1820:
	v_cndmask_b32_e64 v2, 0, 1.0, s[20:21]
	v_bfe_u32 v3, v2, 16, 1
	s_movk_i32 s0, 0x7fff
	v_add3_u32 v2, v2, v3, s0
	global_store_short_d16_hi v[0:1], v2, off
	s_mov_b64 s[0:1], 0
.LBB222_1821:
	s_mov_b64 s[4:5], 0
.LBB222_1822:
	s_and_b64 vcc, exec, s[4:5]
	s_cbranch_vccz .LBB222_1824
; %bb.1823:
	s_cmp_lg_u32 s12, 11
	s_mov_b64 s[2:3], -1
	s_cselect_b64 s[0:1], -1, 0
.LBB222_1824:
	s_and_b64 vcc, exec, s[0:1]
	s_cbranch_vccnz .LBB222_1890
.LBB222_1825:
	s_mov_b64 s[0:1], 0
	s_branch .LBB222_1827
.LBB222_1826:
	s_mov_b64 s[0:1], 0
	s_mov_b64 s[2:3], 0
                                        ; implicit-def: $sgpr20_sgpr21
                                        ; implicit-def: $sgpr33
                                        ; implicit-def: $vgpr0_vgpr1
.LBB222_1827:
	s_and_b64 s[4:5], s[2:3], exec
	s_andn2_b64 s[2:3], s[16:17], exec
	s_and_b64 s[8:9], s[18:19], exec
	s_and_b64 s[0:1], s[0:1], exec
	s_or_b64 s[16:17], s[2:3], s[8:9]
.LBB222_1828:
	s_or_b64 exec, exec, s[6:7]
	s_and_saveexec_b64 s[2:3], s[16:17]
	s_cbranch_execz .LBB222_1831
; %bb.1829:
	; divergent unreachable
	s_or_b64 exec, exec, s[2:3]
	s_and_saveexec_b64 s[2:3], s[4:5]
	s_xor_b64 s[2:3], exec, s[2:3]
	s_cbranch_execnz .LBB222_1832
.LBB222_1830:
	s_or_b64 exec, exec, s[2:3]
	s_and_saveexec_b64 s[2:3], s[0:1]
	s_cbranch_execnz .LBB222_1833
	s_branch .LBB222_1870
.LBB222_1831:
	s_or_b64 exec, exec, s[2:3]
	s_and_saveexec_b64 s[2:3], s[4:5]
	s_xor_b64 s[2:3], exec, s[2:3]
	s_cbranch_execz .LBB222_1830
.LBB222_1832:
	v_cndmask_b32_e64 v2, 0, 1, s[20:21]
	global_store_byte v[0:1], v2, off
	s_or_b64 exec, exec, s[2:3]
	s_and_saveexec_b64 s[2:3], s[0:1]
	s_cbranch_execz .LBB222_1870
.LBB222_1833:
	s_sext_i32_i16 s2, s33
	s_cmp_lt_i32 s2, 5
	s_mov_b64 s[0:1], -1
	s_cbranch_scc1 .LBB222_1854
; %bb.1834:
	s_cmp_lt_i32 s2, 8
	s_cbranch_scc1 .LBB222_1844
; %bb.1835:
	s_cmp_lt_i32 s2, 9
	s_cbranch_scc1 .LBB222_1841
; %bb.1836:
	s_cmp_gt_i32 s2, 9
	s_cbranch_scc0 .LBB222_1838
; %bb.1837:
	v_cndmask_b32_e64 v2, 0, 1, s[20:21]
	v_cvt_f64_u32_e32 v[2:3], v2
	v_mov_b32_e32 v4, 0
	v_mov_b32_e32 v5, v4
	s_mov_b64 s[0:1], 0
	global_store_dwordx4 v[0:1], v[2:5], off
.LBB222_1838:
	s_andn2_b64 vcc, exec, s[0:1]
	s_cbranch_vccnz .LBB222_1840
; %bb.1839:
	v_cndmask_b32_e64 v2, 0, 1.0, s[20:21]
	v_mov_b32_e32 v3, 0
	global_store_dwordx2 v[0:1], v[2:3], off
.LBB222_1840:
	s_mov_b64 s[0:1], 0
.LBB222_1841:
	s_andn2_b64 vcc, exec, s[0:1]
	s_cbranch_vccnz .LBB222_1843
; %bb.1842:
	v_cndmask_b32_e64 v2, 0, 1.0, s[20:21]
	v_cvt_f16_f32_e32 v2, v2
	global_store_dword v[0:1], v2, off
.LBB222_1843:
	s_mov_b64 s[0:1], 0
.LBB222_1844:
	s_andn2_b64 vcc, exec, s[0:1]
	s_cbranch_vccnz .LBB222_1853
; %bb.1845:
	s_sext_i32_i16 s2, s33
	s_cmp_lt_i32 s2, 6
	s_mov_b64 s[0:1], -1
	s_cbranch_scc1 .LBB222_1851
; %bb.1846:
	s_cmp_gt_i32 s2, 6
	s_cbranch_scc0 .LBB222_1848
; %bb.1847:
	v_cndmask_b32_e64 v2, 0, 1, s[20:21]
	v_cvt_f64_u32_e32 v[2:3], v2
	s_mov_b64 s[0:1], 0
	global_store_dwordx2 v[0:1], v[2:3], off
.LBB222_1848:
	s_andn2_b64 vcc, exec, s[0:1]
	s_cbranch_vccnz .LBB222_1850
; %bb.1849:
	v_cndmask_b32_e64 v2, 0, 1.0, s[20:21]
	global_store_dword v[0:1], v2, off
.LBB222_1850:
	s_mov_b64 s[0:1], 0
.LBB222_1851:
	s_andn2_b64 vcc, exec, s[0:1]
	s_cbranch_vccnz .LBB222_1853
; %bb.1852:
	v_cndmask_b32_e64 v2, 0, 1.0, s[20:21]
	v_cvt_f16_f32_e32 v2, v2
	global_store_short v[0:1], v2, off
.LBB222_1853:
	s_mov_b64 s[0:1], 0
.LBB222_1854:
	s_andn2_b64 vcc, exec, s[0:1]
	s_cbranch_vccnz .LBB222_1870
; %bb.1855:
	s_sext_i32_i16 s2, s33
	s_cmp_lt_i32 s2, 2
	s_mov_b64 s[0:1], -1
	s_cbranch_scc1 .LBB222_1865
; %bb.1856:
	s_cmp_lt_i32 s2, 3
	s_cbranch_scc1 .LBB222_1862
; %bb.1857:
	s_cmp_gt_i32 s2, 3
	s_cbranch_scc0 .LBB222_1859
; %bb.1858:
	s_mov_b32 s0, 0
	v_cndmask_b32_e64 v2, 0, 1, s[20:21]
	v_mov_b32_e32 v3, s0
	global_store_dwordx2 v[0:1], v[2:3], off
	s_mov_b64 s[0:1], 0
.LBB222_1859:
	s_andn2_b64 vcc, exec, s[0:1]
	s_cbranch_vccnz .LBB222_1861
; %bb.1860:
	v_cndmask_b32_e64 v2, 0, 1, s[20:21]
	global_store_dword v[0:1], v2, off
.LBB222_1861:
	s_mov_b64 s[0:1], 0
.LBB222_1862:
	s_andn2_b64 vcc, exec, s[0:1]
	s_cbranch_vccnz .LBB222_1864
; %bb.1863:
	v_cndmask_b32_e64 v2, 0, 1, s[20:21]
	global_store_short v[0:1], v2, off
.LBB222_1864:
	s_mov_b64 s[0:1], 0
.LBB222_1865:
	s_andn2_b64 vcc, exec, s[0:1]
	s_cbranch_vccnz .LBB222_1870
; %bb.1866:
	s_sext_i32_i16 s2, s33
	s_mov_b64 s[0:1], -1
	s_cmp_gt_i32 s2, 0
	v_cndmask_b32_e64 v2, 0, 1, s[20:21]
	s_cbranch_scc0 .LBB222_1868
; %bb.1867:
	global_store_byte v[0:1], v2, off
	s_mov_b64 s[0:1], 0
.LBB222_1868:
	s_andn2_b64 vcc, exec, s[0:1]
	s_cbranch_vccnz .LBB222_1870
; %bb.1869:
	global_store_byte v[0:1], v2, off
	s_endpgm
.LBB222_1870:
	s_endpgm
.LBB222_1871:
	s_mov_b64 s[2:3], 0
	s_mov_b64 s[0:1], -1
	s_branch .LBB222_1827
.LBB222_1872:
	s_trap 2
	s_mov_b64 s[10:11], 0
	s_or_b64 s[18:19], s[18:19], exec
	s_cbranch_execz .LBB222_1341
	s_branch .LBB222_1342
.LBB222_1873:
	s_andn2_saveexec_b64 s[30:31], s[30:31]
	s_cbranch_execz .LBB222_1421
.LBB222_1874:
	v_add_f32_e32 v3, 0x46000000, v4
	v_and_b32_e32 v3, 0xff, v3
	v_cmp_ne_u32_e32 vcc, 0, v3
	s_andn2_b64 s[28:29], s[28:29], exec
	s_and_b64 s[34:35], vcc, exec
	s_or_b64 s[28:29], s[28:29], s[34:35]
	s_or_b64 exec, exec, s[30:31]
	v_mov_b32_e32 v5, 0
	s_and_saveexec_b64 s[30:31], s[28:29]
	s_cbranch_execnz .LBB222_1422
	s_branch .LBB222_1423
.LBB222_1875:
	s_trap 2
	s_or_b64 s[18:19], s[18:19], exec
	s_cbranch_execz .LBB222_1469
	s_branch .LBB222_1470
.LBB222_1876:
	s_andn2_saveexec_b64 s[28:29], s[28:29]
	s_cbranch_execz .LBB222_1434
.LBB222_1877:
	v_add_f32_e32 v3, 0x42800000, v4
	v_and_b32_e32 v3, 0xff, v3
	v_cmp_ne_u32_e32 vcc, 0, v3
	s_andn2_b64 s[26:27], s[26:27], exec
	s_and_b64 s[30:31], vcc, exec
	s_or_b64 s[26:27], s[26:27], s[30:31]
	s_or_b64 exec, exec, s[28:29]
	v_mov_b32_e32 v5, 0
	s_and_saveexec_b64 s[28:29], s[26:27]
	s_cbranch_execnz .LBB222_1435
	s_branch .LBB222_1436
.LBB222_1878:
	s_andn2_saveexec_b64 s[26:27], s[26:27]
	s_cbranch_execz .LBB222_1540
.LBB222_1879:
	v_add_f32_e32 v3, 0x46000000, v4
	v_and_b32_e32 v3, 0xff, v3
	v_cmp_ne_u32_e32 vcc, 0, v3
	s_andn2_b64 s[24:25], s[24:25], exec
	s_and_b64 s[30:31], vcc, exec
	s_or_b64 s[24:25], s[24:25], s[30:31]
	s_or_b64 exec, exec, s[26:27]
	v_mov_b32_e32 v5, 0
	s_and_saveexec_b64 s[26:27], s[24:25]
	s_cbranch_execnz .LBB222_1541
	s_branch .LBB222_1542
.LBB222_1880:
	s_trap 2
	s_or_b64 s[18:19], s[18:19], exec
	s_cbranch_execz .LBB222_1588
	s_branch .LBB222_1589
.LBB222_1881:
	s_andn2_saveexec_b64 s[24:25], s[24:25]
	s_cbranch_execz .LBB222_1553
.LBB222_1882:
	v_add_f32_e32 v3, 0x42800000, v4
	v_and_b32_e32 v3, 0xff, v3
	v_cmp_ne_u32_e32 vcc, 0, v3
	s_andn2_b64 s[22:23], s[22:23], exec
	s_and_b64 s[26:27], vcc, exec
	s_or_b64 s[22:23], s[22:23], s[26:27]
	s_or_b64 exec, exec, s[24:25]
	v_mov_b32_e32 v5, 0
	s_and_saveexec_b64 s[24:25], s[22:23]
	s_cbranch_execnz .LBB222_1554
	s_branch .LBB222_1555
.LBB222_1883:
	s_andn2_saveexec_b64 s[24:25], s[24:25]
	s_cbranch_execz .LBB222_1659
.LBB222_1884:
	v_add_f32_e32 v3, 0x46000000, v4
	v_and_b32_e32 v3, 0xff, v3
	v_cmp_ne_u32_e32 vcc, 0, v3
	s_andn2_b64 s[22:23], s[22:23], exec
	s_and_b64 s[30:31], vcc, exec
	s_or_b64 s[22:23], s[22:23], s[30:31]
	s_or_b64 exec, exec, s[24:25]
	v_mov_b32_e32 v5, 0
	s_and_saveexec_b64 s[24:25], s[22:23]
	s_cbranch_execnz .LBB222_1660
	s_branch .LBB222_1661
.LBB222_1885:
	s_trap 2
	s_or_b64 s[18:19], s[18:19], exec
	s_cbranch_execz .LBB222_1707
	s_branch .LBB222_1708
.LBB222_1886:
	s_andn2_saveexec_b64 s[22:23], s[22:23]
	s_cbranch_execz .LBB222_1672
.LBB222_1887:
	v_add_f32_e32 v3, 0x42800000, v4
	v_and_b32_e32 v3, 0xff, v3
	v_cmp_ne_u32_e32 vcc, 0, v3
	s_andn2_b64 s[20:21], s[20:21], exec
	s_and_b64 s[24:25], vcc, exec
	s_or_b64 s[20:21], s[20:21], s[24:25]
	s_or_b64 exec, exec, s[22:23]
	v_mov_b32_e32 v5, 0
	s_and_saveexec_b64 s[22:23], s[20:21]
	s_cbranch_execnz .LBB222_1673
	s_branch .LBB222_1674
.LBB222_1888:
	s_andn2_saveexec_b64 s[10:11], s[10:11]
	s_cbranch_execz .LBB222_1779
.LBB222_1889:
	v_add_f32_e32 v2, 0x46000000, v3
	v_and_b32_e32 v2, 0xff, v2
	v_cmp_ne_u32_e32 vcc, 0, v2
	s_andn2_b64 s[8:9], s[8:9], exec
	s_and_b64 s[14:15], vcc, exec
	s_or_b64 s[8:9], s[8:9], s[14:15]
	s_or_b64 exec, exec, s[10:11]
	v_mov_b32_e32 v4, 0
	s_and_saveexec_b64 s[10:11], s[8:9]
	s_cbranch_execnz .LBB222_1780
	s_branch .LBB222_1781
.LBB222_1890:
	s_mov_b64 s[2:3], 0
	s_or_b64 s[18:19], s[18:19], exec
	s_trap 2
	s_branch .LBB222_1825
.LBB222_1891:
	s_andn2_saveexec_b64 s[8:9], s[8:9]
	s_cbranch_execz .LBB222_1791
.LBB222_1892:
	v_add_f32_e32 v2, 0x42800000, v3
	v_and_b32_e32 v2, 0xff, v2
	v_cmp_ne_u32_e32 vcc, 0, v2
	s_andn2_b64 s[4:5], s[4:5], exec
	s_and_b64 s[10:11], vcc, exec
	s_or_b64 s[4:5], s[4:5], s[10:11]
	s_or_b64 exec, exec, s[8:9]
	v_mov_b32_e32 v4, 0
	s_and_saveexec_b64 s[8:9], s[4:5]
	s_cbranch_execnz .LBB222_1792
	s_branch .LBB222_1793
	.section	.rodata,"a",@progbits
	.p2align	6, 0x0
	.amdhsa_kernel _ZN2at6native32elementwise_kernel_manual_unrollILi128ELi4EZNS0_15gpu_kernel_implINS0_13AUnaryFunctorIbbbNS0_12_GLOBAL__N_116CompareEqFunctorIbEEEEEEvRNS_18TensorIteratorBaseERKT_EUlibE_EEviT1_
		.amdhsa_group_segment_fixed_size 0
		.amdhsa_private_segment_fixed_size 0
		.amdhsa_kernarg_size 48
		.amdhsa_user_sgpr_count 6
		.amdhsa_user_sgpr_private_segment_buffer 1
		.amdhsa_user_sgpr_dispatch_ptr 0
		.amdhsa_user_sgpr_queue_ptr 0
		.amdhsa_user_sgpr_kernarg_segment_ptr 1
		.amdhsa_user_sgpr_dispatch_id 0
		.amdhsa_user_sgpr_flat_scratch_init 0
		.amdhsa_user_sgpr_private_segment_size 0
		.amdhsa_uses_dynamic_stack 0
		.amdhsa_system_sgpr_private_segment_wavefront_offset 0
		.amdhsa_system_sgpr_workgroup_id_x 1
		.amdhsa_system_sgpr_workgroup_id_y 0
		.amdhsa_system_sgpr_workgroup_id_z 0
		.amdhsa_system_sgpr_workgroup_info 0
		.amdhsa_system_vgpr_workitem_id 0
		.amdhsa_next_free_vgpr 8
		.amdhsa_next_free_sgpr 50
		.amdhsa_reserve_vcc 1
		.amdhsa_reserve_flat_scratch 0
		.amdhsa_float_round_mode_32 0
		.amdhsa_float_round_mode_16_64 0
		.amdhsa_float_denorm_mode_32 3
		.amdhsa_float_denorm_mode_16_64 3
		.amdhsa_dx10_clamp 1
		.amdhsa_ieee_mode 1
		.amdhsa_fp16_overflow 0
		.amdhsa_exception_fp_ieee_invalid_op 0
		.amdhsa_exception_fp_denorm_src 0
		.amdhsa_exception_fp_ieee_div_zero 0
		.amdhsa_exception_fp_ieee_overflow 0
		.amdhsa_exception_fp_ieee_underflow 0
		.amdhsa_exception_fp_ieee_inexact 0
		.amdhsa_exception_int_div_zero 0
	.end_amdhsa_kernel
	.section	.text._ZN2at6native32elementwise_kernel_manual_unrollILi128ELi4EZNS0_15gpu_kernel_implINS0_13AUnaryFunctorIbbbNS0_12_GLOBAL__N_116CompareEqFunctorIbEEEEEEvRNS_18TensorIteratorBaseERKT_EUlibE_EEviT1_,"axG",@progbits,_ZN2at6native32elementwise_kernel_manual_unrollILi128ELi4EZNS0_15gpu_kernel_implINS0_13AUnaryFunctorIbbbNS0_12_GLOBAL__N_116CompareEqFunctorIbEEEEEEvRNS_18TensorIteratorBaseERKT_EUlibE_EEviT1_,comdat
.Lfunc_end222:
	.size	_ZN2at6native32elementwise_kernel_manual_unrollILi128ELi4EZNS0_15gpu_kernel_implINS0_13AUnaryFunctorIbbbNS0_12_GLOBAL__N_116CompareEqFunctorIbEEEEEEvRNS_18TensorIteratorBaseERKT_EUlibE_EEviT1_, .Lfunc_end222-_ZN2at6native32elementwise_kernel_manual_unrollILi128ELi4EZNS0_15gpu_kernel_implINS0_13AUnaryFunctorIbbbNS0_12_GLOBAL__N_116CompareEqFunctorIbEEEEEEvRNS_18TensorIteratorBaseERKT_EUlibE_EEviT1_
                                        ; -- End function
	.set _ZN2at6native32elementwise_kernel_manual_unrollILi128ELi4EZNS0_15gpu_kernel_implINS0_13AUnaryFunctorIbbbNS0_12_GLOBAL__N_116CompareEqFunctorIbEEEEEEvRNS_18TensorIteratorBaseERKT_EUlibE_EEviT1_.num_vgpr, 8
	.set _ZN2at6native32elementwise_kernel_manual_unrollILi128ELi4EZNS0_15gpu_kernel_implINS0_13AUnaryFunctorIbbbNS0_12_GLOBAL__N_116CompareEqFunctorIbEEEEEEvRNS_18TensorIteratorBaseERKT_EUlibE_EEviT1_.num_agpr, 0
	.set _ZN2at6native32elementwise_kernel_manual_unrollILi128ELi4EZNS0_15gpu_kernel_implINS0_13AUnaryFunctorIbbbNS0_12_GLOBAL__N_116CompareEqFunctorIbEEEEEEvRNS_18TensorIteratorBaseERKT_EUlibE_EEviT1_.numbered_sgpr, 50
	.set _ZN2at6native32elementwise_kernel_manual_unrollILi128ELi4EZNS0_15gpu_kernel_implINS0_13AUnaryFunctorIbbbNS0_12_GLOBAL__N_116CompareEqFunctorIbEEEEEEvRNS_18TensorIteratorBaseERKT_EUlibE_EEviT1_.num_named_barrier, 0
	.set _ZN2at6native32elementwise_kernel_manual_unrollILi128ELi4EZNS0_15gpu_kernel_implINS0_13AUnaryFunctorIbbbNS0_12_GLOBAL__N_116CompareEqFunctorIbEEEEEEvRNS_18TensorIteratorBaseERKT_EUlibE_EEviT1_.private_seg_size, 0
	.set _ZN2at6native32elementwise_kernel_manual_unrollILi128ELi4EZNS0_15gpu_kernel_implINS0_13AUnaryFunctorIbbbNS0_12_GLOBAL__N_116CompareEqFunctorIbEEEEEEvRNS_18TensorIteratorBaseERKT_EUlibE_EEviT1_.uses_vcc, 1
	.set _ZN2at6native32elementwise_kernel_manual_unrollILi128ELi4EZNS0_15gpu_kernel_implINS0_13AUnaryFunctorIbbbNS0_12_GLOBAL__N_116CompareEqFunctorIbEEEEEEvRNS_18TensorIteratorBaseERKT_EUlibE_EEviT1_.uses_flat_scratch, 0
	.set _ZN2at6native32elementwise_kernel_manual_unrollILi128ELi4EZNS0_15gpu_kernel_implINS0_13AUnaryFunctorIbbbNS0_12_GLOBAL__N_116CompareEqFunctorIbEEEEEEvRNS_18TensorIteratorBaseERKT_EUlibE_EEviT1_.has_dyn_sized_stack, 0
	.set _ZN2at6native32elementwise_kernel_manual_unrollILi128ELi4EZNS0_15gpu_kernel_implINS0_13AUnaryFunctorIbbbNS0_12_GLOBAL__N_116CompareEqFunctorIbEEEEEEvRNS_18TensorIteratorBaseERKT_EUlibE_EEviT1_.has_recursion, 0
	.set _ZN2at6native32elementwise_kernel_manual_unrollILi128ELi4EZNS0_15gpu_kernel_implINS0_13AUnaryFunctorIbbbNS0_12_GLOBAL__N_116CompareEqFunctorIbEEEEEEvRNS_18TensorIteratorBaseERKT_EUlibE_EEviT1_.has_indirect_call, 0
	.section	.AMDGPU.csdata,"",@progbits
; Kernel info:
; codeLenInByte = 26848
; TotalNumSgprs: 54
; NumVgprs: 8
; ScratchSize: 0
; MemoryBound: 1
; FloatMode: 240
; IeeeMode: 1
; LDSByteSize: 0 bytes/workgroup (compile time only)
; SGPRBlocks: 6
; VGPRBlocks: 1
; NumSGPRsForWavesPerEU: 54
; NumVGPRsForWavesPerEU: 8
; Occupancy: 10
; WaveLimiterHint : 0
; COMPUTE_PGM_RSRC2:SCRATCH_EN: 0
; COMPUTE_PGM_RSRC2:USER_SGPR: 6
; COMPUTE_PGM_RSRC2:TRAP_HANDLER: 0
; COMPUTE_PGM_RSRC2:TGID_X_EN: 1
; COMPUTE_PGM_RSRC2:TGID_Y_EN: 0
; COMPUTE_PGM_RSRC2:TGID_Z_EN: 0
; COMPUTE_PGM_RSRC2:TIDIG_COMP_CNT: 0
	.section	.text._ZN2at6native32elementwise_kernel_manual_unrollILi128ELi4EZNS0_15gpu_kernel_implINS0_13AUnaryFunctorIbbbNS0_12_GLOBAL__N_116CompareEqFunctorIbEEEEEEvRNS_18TensorIteratorBaseERKT_EUlibE0_EEviT1_,"axG",@progbits,_ZN2at6native32elementwise_kernel_manual_unrollILi128ELi4EZNS0_15gpu_kernel_implINS0_13AUnaryFunctorIbbbNS0_12_GLOBAL__N_116CompareEqFunctorIbEEEEEEvRNS_18TensorIteratorBaseERKT_EUlibE0_EEviT1_,comdat
	.globl	_ZN2at6native32elementwise_kernel_manual_unrollILi128ELi4EZNS0_15gpu_kernel_implINS0_13AUnaryFunctorIbbbNS0_12_GLOBAL__N_116CompareEqFunctorIbEEEEEEvRNS_18TensorIteratorBaseERKT_EUlibE0_EEviT1_ ; -- Begin function _ZN2at6native32elementwise_kernel_manual_unrollILi128ELi4EZNS0_15gpu_kernel_implINS0_13AUnaryFunctorIbbbNS0_12_GLOBAL__N_116CompareEqFunctorIbEEEEEEvRNS_18TensorIteratorBaseERKT_EUlibE0_EEviT1_
	.p2align	8
	.type	_ZN2at6native32elementwise_kernel_manual_unrollILi128ELi4EZNS0_15gpu_kernel_implINS0_13AUnaryFunctorIbbbNS0_12_GLOBAL__N_116CompareEqFunctorIbEEEEEEvRNS_18TensorIteratorBaseERKT_EUlibE0_EEviT1_,@function
_ZN2at6native32elementwise_kernel_manual_unrollILi128ELi4EZNS0_15gpu_kernel_implINS0_13AUnaryFunctorIbbbNS0_12_GLOBAL__N_116CompareEqFunctorIbEEEEEEvRNS_18TensorIteratorBaseERKT_EUlibE0_EEviT1_: ; @_ZN2at6native32elementwise_kernel_manual_unrollILi128ELi4EZNS0_15gpu_kernel_implINS0_13AUnaryFunctorIbbbNS0_12_GLOBAL__N_116CompareEqFunctorIbEEEEEEvRNS_18TensorIteratorBaseERKT_EUlibE0_EEviT1_
; %bb.0:
	s_load_dword s72, s[4:5], 0x0
	s_load_dword s33, s[4:5], 0x8
	s_add_u32 s34, s4, 8
	s_addc_u32 s35, s5, 0
	v_lshl_or_b32 v8, s6, 9, v0
	v_or_b32_e32 v15, 0x180, v8
	s_waitcnt lgkmcnt(0)
	s_add_i32 s74, s33, -1
	s_cmp_gt_u32 s74, 1
	v_cmp_le_i32_e32 vcc, s72, v15
	s_cselect_b64 s[40:41], -1, 0
	s_mov_b64 s[6:7], 0
	s_mov_b64 s[28:29], 0
	s_and_saveexec_b64 s[0:1], vcc
	s_xor_b64 s[42:43], exec, s[0:1]
	s_cbranch_execz .LBB223_1009
; %bb.1:
	s_load_dwordx4 s[28:31], s[34:35], 0x4
	s_load_dwordx2 s[46:47], s[34:35], 0x14
	s_load_dwordx2 s[0:1], s[34:35], 0x158
	s_load_dword s75, s[34:35], 0x160
	s_cmp_lg_u32 s33, 0
	s_cselect_b64 s[52:53], -1, 0
	s_add_u32 s50, s34, 0xc4
	s_addc_u32 s51, s35, 0
	s_min_u32 s77, s74, 15
	s_cmp_gt_u32 s33, 1
	s_cselect_b64 s[48:49], -1, 0
	s_load_dwordx4 s[36:39], s[34:35], 0xc4
	s_load_dwordx4 s[24:27], s[34:35], 0x148
	s_waitcnt lgkmcnt(0)
	s_bfe_u32 s76, s75, 0x80008
	s_bitcmp1_b32 s1, 0
	s_cselect_b64 s[2:3], -1, 0
	s_cmp_eq_u32 s0, 0
	s_cselect_b64 s[0:1], -1, 0
	s_xor_b64 s[44:45], s[0:1], s[2:3]
	v_cmp_gt_i32_e32 vcc, s72, v8
	s_mov_b64 s[2:3], -1
	s_mov_b64 s[62:63], 0
	s_mov_b64 s[56:57], 0
	;; [unrolled: 1-line block ×3, first 2 shown]
	s_and_saveexec_b64 s[58:59], vcc
	s_cbranch_execz .LBB223_247
; %bb.2:
	s_andn2_b64 vcc, exec, s[40:41]
	s_cbranch_vccnz .LBB223_7
; %bb.3:
	s_andn2_b64 vcc, exec, s[52:53]
	s_cbranch_vccnz .LBB223_8
; %bb.4:
	s_add_i32 s61, s77, 1
	s_cmp_eq_u32 s74, 2
	s_cbranch_scc1 .LBB223_9
; %bb.5:
	s_and_b32 s60, s61, 28
	v_mov_b32_e32 v2, 0
	s_mov_b32 s64, 0
	s_mov_b64 s[54:55], s[34:35]
	s_mov_b64 s[56:57], s[50:51]
	v_mov_b32_e32 v0, 0
	v_mov_b32_e32 v1, v8
.LBB223_6:                              ; =>This Inner Loop Header: Depth=1
	s_load_dwordx8 s[16:23], s[54:55], 0x4
	s_load_dwordx4 s[0:3], s[54:55], 0x24
	s_load_dwordx8 s[8:15], s[56:57], 0x0
	s_add_u32 s54, s54, 48
	s_addc_u32 s55, s55, 0
	s_waitcnt lgkmcnt(0)
	v_mul_hi_u32 v3, s17, v1
	s_add_i32 s64, s64, 4
	s_add_u32 s56, s56, 32
	s_addc_u32 s57, s57, 0
	v_add_u32_e32 v3, v1, v3
	v_lshrrev_b32_e32 v3, s18, v3
	v_mul_lo_u32 v4, v3, s16
	v_mul_hi_u32 v5, s20, v3
	s_cmp_lg_u32 s60, s64
	v_sub_u32_e32 v1, v1, v4
	v_add_u32_e32 v4, v3, v5
	v_mul_lo_u32 v5, v1, s8
	v_mul_lo_u32 v6, v1, s9
	v_lshrrev_b32_e32 v1, s21, v4
	v_mul_lo_u32 v4, v1, s19
	v_mul_hi_u32 v7, s23, v1
	v_sub_u32_e32 v3, v3, v4
	v_add_u32_e32 v4, v1, v7
	v_lshrrev_b32_e32 v4, s0, v4
	v_mul_hi_u32 v9, s2, v4
	v_mul_lo_u32 v10, v4, s22
	v_mul_lo_u32 v7, v3, s10
	;; [unrolled: 1-line block ×3, first 2 shown]
	v_sub_u32_e32 v10, v1, v10
	v_add_u32_e32 v1, v4, v9
	v_lshrrev_b32_e32 v1, s3, v1
	v_mul_lo_u32 v9, v1, s1
	v_mul_lo_u32 v11, v10, s12
	;; [unrolled: 1-line block ×3, first 2 shown]
	v_add3_u32 v0, v5, v0, v7
	v_sub_u32_e32 v4, v4, v9
	v_mul_lo_u32 v9, v4, s14
	v_mul_lo_u32 v4, v4, s15
	v_add3_u32 v2, v6, v2, v3
	v_add3_u32 v0, v11, v0, v9
	;; [unrolled: 1-line block ×3, first 2 shown]
	s_cbranch_scc1 .LBB223_6
	s_branch .LBB223_10
.LBB223_7:
                                        ; implicit-def: $vgpr0
                                        ; implicit-def: $vgpr2
	s_branch .LBB223_14
.LBB223_8:
	v_mov_b32_e32 v0, 0
	v_mov_b32_e32 v2, 0
	s_branch .LBB223_13
.LBB223_9:
	s_mov_b32 s60, 0
	v_mov_b32_e32 v0, 0
	v_mov_b32_e32 v2, 0
	;; [unrolled: 1-line block ×3, first 2 shown]
.LBB223_10:
	s_and_b32 s8, s61, 3
	s_cmp_eq_u32 s8, 0
	s_cbranch_scc1 .LBB223_13
; %bb.11:
	s_lshl_b32 s0, s60, 3
	s_add_u32 s0, s34, s0
	s_addc_u32 s1, s35, 0
	s_add_u32 s0, s0, 0xc4
	s_addc_u32 s1, s1, 0
	s_mul_i32 s2, s60, 12
	s_add_u32 s2, s34, s2
	s_addc_u32 s3, s35, 0
.LBB223_12:                             ; =>This Inner Loop Header: Depth=1
	s_load_dwordx2 s[10:11], s[2:3], 0x4
	s_load_dword s9, s[2:3], 0xc
	s_load_dwordx2 s[12:13], s[0:1], 0x0
	s_add_u32 s2, s2, 12
	s_addc_u32 s3, s3, 0
	s_waitcnt lgkmcnt(0)
	v_mul_hi_u32 v3, s11, v1
	s_add_u32 s0, s0, 8
	s_addc_u32 s1, s1, 0
	s_add_i32 s8, s8, -1
	v_add_u32_e32 v3, v1, v3
	v_lshrrev_b32_e32 v4, s9, v3
	v_mul_lo_u32 v3, v4, s10
	s_cmp_lg_u32 s8, 0
	v_sub_u32_e32 v3, v1, v3
	v_mad_u64_u32 v[0:1], s[10:11], v3, s12, v[0:1]
	v_mad_u64_u32 v[2:3], s[10:11], v3, s13, v[2:3]
	v_mov_b32_e32 v1, v4
	s_cbranch_scc1 .LBB223_12
.LBB223_13:
	s_cbranch_execnz .LBB223_16
.LBB223_14:
	v_mul_hi_u32 v0, s29, v8
	s_andn2_b64 vcc, exec, s[48:49]
	v_add_u32_e32 v0, v8, v0
	v_lshrrev_b32_e32 v1, s30, v0
	v_mul_lo_u32 v0, v1, s28
	v_sub_u32_e32 v2, v8, v0
	v_mul_lo_u32 v0, v2, s36
	v_mul_lo_u32 v2, v2, s37
	s_cbranch_vccnz .LBB223_16
; %bb.15:
	v_mul_hi_u32 v3, s46, v1
	v_add_u32_e32 v3, v1, v3
	v_lshrrev_b32_e32 v3, s47, v3
	v_mul_lo_u32 v3, v3, s31
	v_sub_u32_e32 v3, v1, v3
	v_mad_u64_u32 v[0:1], s[0:1], v3, s38, v[0:1]
	v_mad_u64_u32 v[2:3], s[0:1], v3, s39, v[2:3]
.LBB223_16:
	v_mov_b32_e32 v3, s27
	s_and_b32 s12, 0xffff, s76
	v_add_co_u32_e32 v1, vcc, s26, v2
	s_cmp_lt_i32 s12, 11
	v_addc_co_u32_e32 v2, vcc, 0, v3, vcc
	s_cbranch_scc1 .LBB223_23
; %bb.17:
	s_cmp_gt_i32 s12, 25
	s_cbranch_scc0 .LBB223_32
; %bb.18:
	s_cmp_gt_i32 s12, 28
	s_cbranch_scc0 .LBB223_34
	;; [unrolled: 3-line block ×4, first 2 shown]
; %bb.21:
	s_cmp_eq_u32 s12, 46
	s_mov_b64 s[10:11], 0
	s_cbranch_scc0 .LBB223_40
; %bb.22:
	global_load_dword v3, v[1:2], off
	s_mov_b64 s[8:9], -1
	s_mov_b64 s[2:3], 0
	s_waitcnt vmcnt(0)
	v_and_b32_e32 v3, 0x7fff7fff, v3
	v_cmp_ne_u32_e64 s[0:1], 0, v3
	s_branch .LBB223_42
.LBB223_23:
	s_mov_b64 s[2:3], 0
                                        ; implicit-def: $sgpr0_sgpr1
	s_mov_b64 s[8:9], 0
	s_cbranch_execnz .LBB223_88
.LBB223_24:
	s_andn2_b64 vcc, exec, s[8:9]
	s_cbranch_vccnz .LBB223_135
.LBB223_25:
	s_xor_b64 s[2:3], s[0:1], s[44:45]
	v_mov_b32_e32 v1, s25
	s_and_b32 s14, s75, 0xff
	v_add_co_u32_e32 v0, vcc, s24, v0
	s_cmp_lt_i32 s14, 11
	v_addc_co_u32_e32 v1, vcc, 0, v1, vcc
	s_cbranch_scc1 .LBB223_33
; %bb.26:
	s_and_b32 s15, 0xffff, s14
	s_cmp_gt_i32 s15, 25
	s_cbranch_scc0 .LBB223_35
; %bb.27:
	s_cmp_gt_i32 s15, 28
	s_cbranch_scc0 .LBB223_37
; %bb.28:
	;; [unrolled: 3-line block ×4, first 2 shown]
	s_mov_b64 s[10:11], 0
	s_mov_b64 s[0:1], -1
	s_cmp_eq_u32 s15, 46
	s_mov_b64 s[8:9], 0
	s_cbranch_scc0 .LBB223_137
; %bb.31:
	v_cndmask_b32_e64 v2, 0, 1.0, s[2:3]
	v_bfe_u32 v3, v2, 16, 1
	s_movk_i32 s0, 0x7fff
	v_add3_u32 v2, v2, v3, s0
	v_lshrrev_b32_e32 v2, 16, v2
	global_store_dword v[0:1], v2, off
	s_mov_b64 s[8:9], -1
	s_mov_b64 s[0:1], 0
	s_branch .LBB223_137
.LBB223_32:
	s_mov_b64 s[2:3], 0
	s_mov_b64 s[8:9], 0
                                        ; implicit-def: $sgpr0_sgpr1
	s_cbranch_execnz .LBB223_63
	s_branch .LBB223_87
.LBB223_33:
	s_mov_b64 s[0:1], 0
	s_mov_b64 s[8:9], 0
	s_cbranch_execnz .LBB223_206
	s_branch .LBB223_244
.LBB223_34:
	s_mov_b64 s[10:11], -1
	s_mov_b64 s[2:3], 0
	s_mov_b64 s[8:9], 0
                                        ; implicit-def: $sgpr0_sgpr1
	s_branch .LBB223_50
.LBB223_35:
	s_mov_b64 s[10:11], -1
	s_mov_b64 s[0:1], 0
	s_mov_b64 s[8:9], 0
	s_branch .LBB223_164
.LBB223_36:
	s_mov_b64 s[10:11], -1
	s_mov_b64 s[2:3], 0
	s_mov_b64 s[8:9], 0
                                        ; implicit-def: $sgpr0_sgpr1
	s_branch .LBB223_45
.LBB223_37:
	s_mov_b64 s[10:11], -1
	s_mov_b64 s[0:1], 0
	s_mov_b64 s[8:9], 0
	s_branch .LBB223_147
.LBB223_38:
	s_mov_b64 s[10:11], -1
	s_mov_b64 s[2:3], 0
	s_branch .LBB223_41
.LBB223_39:
	s_mov_b64 s[10:11], -1
	s_mov_b64 s[0:1], 0
	s_mov_b64 s[8:9], 0
	s_branch .LBB223_143
.LBB223_40:
	s_mov_b64 s[2:3], -1
.LBB223_41:
	s_mov_b64 s[8:9], 0
                                        ; implicit-def: $sgpr0_sgpr1
.LBB223_42:
	s_and_b64 vcc, exec, s[10:11]
	s_cbranch_vccz .LBB223_44
; %bb.43:
	s_cmp_eq_u32 s12, 44
	s_mov_b64 s[2:3], -1
	s_cselect_b64 s[8:9], -1, 0
	s_or_b64 s[0:1], s[0:1], exec
.LBB223_44:
	s_mov_b64 s[10:11], 0
.LBB223_45:
	s_and_b64 vcc, exec, s[10:11]
	s_cbranch_vccz .LBB223_49
; %bb.46:
	s_cmp_eq_u32 s12, 29
	s_cbranch_scc0 .LBB223_48
; %bb.47:
	global_load_dwordx2 v[3:4], v[1:2], off
	s_mov_b64 s[2:3], 0
	s_mov_b64 s[8:9], -1
	s_mov_b64 s[10:11], 0
	s_waitcnt vmcnt(0)
	v_cmp_ne_u64_e64 s[0:1], 0, v[3:4]
	s_branch .LBB223_50
.LBB223_48:
	s_mov_b64 s[2:3], -1
                                        ; implicit-def: $sgpr0_sgpr1
.LBB223_49:
	s_mov_b64 s[10:11], 0
.LBB223_50:
	s_and_b64 vcc, exec, s[10:11]
	s_cbranch_vccz .LBB223_62
; %bb.51:
	s_cmp_lt_i32 s12, 27
	s_cbranch_scc1 .LBB223_54
; %bb.52:
	s_cmp_gt_i32 s12, 27
	s_cbranch_scc0 .LBB223_55
; %bb.53:
	global_load_dword v3, v[1:2], off
	s_mov_b64 s[8:9], 0
	s_waitcnt vmcnt(0)
	v_cmp_ne_u32_e64 s[0:1], 0, v3
	s_branch .LBB223_56
.LBB223_54:
	s_mov_b64 s[8:9], -1
                                        ; implicit-def: $sgpr0_sgpr1
	s_branch .LBB223_59
.LBB223_55:
	s_mov_b64 s[8:9], -1
                                        ; implicit-def: $sgpr0_sgpr1
.LBB223_56:
	s_andn2_b64 vcc, exec, s[8:9]
	s_cbranch_vccnz .LBB223_58
; %bb.57:
	global_load_ushort v3, v[1:2], off
	s_andn2_b64 s[0:1], s[0:1], exec
	s_waitcnt vmcnt(0)
	v_cmp_ne_u16_e32 vcc, 0, v3
	s_and_b64 s[8:9], vcc, exec
	s_or_b64 s[0:1], s[0:1], s[8:9]
.LBB223_58:
	s_mov_b64 s[8:9], 0
.LBB223_59:
	s_andn2_b64 vcc, exec, s[8:9]
	s_cbranch_vccnz .LBB223_61
; %bb.60:
	global_load_ubyte v3, v[1:2], off
	s_andn2_b64 s[0:1], s[0:1], exec
	s_waitcnt vmcnt(0)
	v_cmp_ne_u16_e32 vcc, 0, v3
	s_and_b64 s[8:9], vcc, exec
	s_or_b64 s[0:1], s[0:1], s[8:9]
.LBB223_61:
	s_mov_b64 s[8:9], -1
.LBB223_62:
	s_branch .LBB223_87
.LBB223_63:
	s_cmp_gt_i32 s12, 22
	s_cbranch_scc0 .LBB223_67
; %bb.64:
	s_cmp_lt_i32 s12, 24
	s_cbranch_scc1 .LBB223_68
; %bb.65:
	s_cmp_gt_i32 s12, 24
	s_cbranch_scc0 .LBB223_69
; %bb.66:
	global_load_ubyte v3, v[1:2], off
	s_mov_b64 s[8:9], 0
	s_waitcnt vmcnt(0)
	v_cmp_ne_u16_e64 s[0:1], 0, v3
	s_branch .LBB223_70
.LBB223_67:
	s_mov_b64 s[10:11], -1
                                        ; implicit-def: $sgpr0_sgpr1
	s_branch .LBB223_76
.LBB223_68:
	s_mov_b64 s[8:9], -1
                                        ; implicit-def: $sgpr0_sgpr1
	s_branch .LBB223_73
.LBB223_69:
	s_mov_b64 s[8:9], -1
                                        ; implicit-def: $sgpr0_sgpr1
.LBB223_70:
	s_andn2_b64 vcc, exec, s[8:9]
	s_cbranch_vccnz .LBB223_72
; %bb.71:
	global_load_ubyte v3, v[1:2], off
	s_andn2_b64 s[0:1], s[0:1], exec
	s_waitcnt vmcnt(0)
	v_and_b32_e32 v3, 0x7f, v3
	v_cmp_ne_u16_e32 vcc, 0, v3
	s_and_b64 s[8:9], vcc, exec
	s_or_b64 s[0:1], s[0:1], s[8:9]
.LBB223_72:
	s_mov_b64 s[8:9], 0
.LBB223_73:
	s_andn2_b64 vcc, exec, s[8:9]
	s_cbranch_vccnz .LBB223_75
; %bb.74:
	global_load_ubyte v3, v[1:2], off
	s_movk_i32 s8, 0x7f00
	s_brev_b32 s9, 16
	s_andn2_b64 s[0:1], s[0:1], exec
	s_waitcnt vmcnt(0)
	v_lshlrev_b32_e32 v4, 8, v3
	v_lshlrev_b32_e32 v3, 25, v3
	v_lshrrev_b32_e32 v5, 4, v3
	v_and_or_b32 v4, v4, s8, 0.5
	v_or_b32_e32 v5, 0x70000000, v5
	v_add_f32_e32 v4, -0.5, v4
	v_mul_f32_e32 v5, 0x7800000, v5
	v_cmp_gt_u32_e32 vcc, s9, v3
	v_cndmask_b32_e32 v3, v5, v4, vcc
	v_cmp_neq_f32_e32 vcc, 0, v3
	s_and_b64 s[8:9], vcc, exec
	s_or_b64 s[0:1], s[0:1], s[8:9]
.LBB223_75:
	s_mov_b64 s[10:11], 0
	s_mov_b64 s[8:9], -1
.LBB223_76:
	s_andn2_b64 vcc, exec, s[10:11]
	s_cbranch_vccnz .LBB223_87
; %bb.77:
	s_cmp_gt_i32 s12, 14
	s_cbranch_scc0 .LBB223_80
; %bb.78:
	s_cmp_eq_u32 s12, 15
	s_cbranch_scc0 .LBB223_81
; %bb.79:
	global_load_ushort v3, v[1:2], off
	s_mov_b64 s[8:9], -1
	s_mov_b64 s[2:3], 0
	s_waitcnt vmcnt(0)
	v_and_b32_e32 v3, 0x7fff, v3
	v_cmp_ne_u16_e64 s[0:1], 0, v3
	s_branch .LBB223_82
.LBB223_80:
	s_mov_b64 s[10:11], -1
                                        ; implicit-def: $sgpr0_sgpr1
	s_branch .LBB223_83
.LBB223_81:
	s_mov_b64 s[2:3], -1
                                        ; implicit-def: $sgpr0_sgpr1
.LBB223_82:
	s_mov_b64 s[10:11], 0
.LBB223_83:
	s_and_b64 vcc, exec, s[10:11]
	s_cbranch_vccz .LBB223_87
; %bb.84:
	s_cmp_eq_u32 s12, 11
	s_cbranch_scc0 .LBB223_86
; %bb.85:
	global_load_ubyte v3, v[1:2], off
	s_mov_b64 s[8:9], -1
	s_mov_b64 s[2:3], 0
	s_waitcnt vmcnt(0)
	v_cmp_ne_u16_e64 s[0:1], 0, v3
	s_branch .LBB223_87
.LBB223_86:
	s_mov_b64 s[2:3], -1
                                        ; implicit-def: $sgpr0_sgpr1
.LBB223_87:
	s_branch .LBB223_24
.LBB223_88:
	s_cmp_lt_i32 s12, 5
	s_cbranch_scc1 .LBB223_93
; %bb.89:
	s_cmp_lt_i32 s12, 8
	s_cbranch_scc1 .LBB223_94
; %bb.90:
	;; [unrolled: 3-line block ×3, first 2 shown]
	s_cmp_gt_i32 s12, 9
	s_cbranch_scc0 .LBB223_96
; %bb.92:
	global_load_dwordx4 v[3:6], v[1:2], off
	s_mov_b64 s[8:9], 0
	s_waitcnt vmcnt(0)
	v_cmp_neq_f64_e32 vcc, 0, v[3:4]
	v_cmp_neq_f64_e64 s[0:1], 0, v[5:6]
	s_or_b64 s[0:1], vcc, s[0:1]
	s_branch .LBB223_97
.LBB223_93:
                                        ; implicit-def: $sgpr0_sgpr1
	s_branch .LBB223_115
.LBB223_94:
	s_mov_b64 s[8:9], -1
                                        ; implicit-def: $sgpr0_sgpr1
	s_branch .LBB223_103
.LBB223_95:
	s_mov_b64 s[8:9], -1
                                        ; implicit-def: $sgpr0_sgpr1
	s_branch .LBB223_100
.LBB223_96:
	s_mov_b64 s[8:9], -1
                                        ; implicit-def: $sgpr0_sgpr1
.LBB223_97:
	s_andn2_b64 vcc, exec, s[8:9]
	s_cbranch_vccnz .LBB223_99
; %bb.98:
	global_load_dwordx2 v[3:4], v[1:2], off
	s_andn2_b64 s[0:1], s[0:1], exec
	s_waitcnt vmcnt(0)
	v_or_b32_e32 v3, v3, v4
	v_and_b32_e32 v3, 0x7fffffff, v3
	v_cmp_ne_u32_e32 vcc, 0, v3
	s_and_b64 s[8:9], vcc, exec
	s_or_b64 s[0:1], s[0:1], s[8:9]
.LBB223_99:
	s_mov_b64 s[8:9], 0
.LBB223_100:
	s_andn2_b64 vcc, exec, s[8:9]
	s_cbranch_vccnz .LBB223_102
; %bb.101:
	global_load_dword v3, v[1:2], off
	s_andn2_b64 s[0:1], s[0:1], exec
	s_waitcnt vmcnt(0)
	v_and_b32_e32 v3, 0x7fff7fff, v3
	v_cmp_ne_u32_e32 vcc, 0, v3
	s_and_b64 s[8:9], vcc, exec
	s_or_b64 s[0:1], s[0:1], s[8:9]
.LBB223_102:
	s_mov_b64 s[8:9], 0
.LBB223_103:
	s_andn2_b64 vcc, exec, s[8:9]
	s_cbranch_vccnz .LBB223_114
; %bb.104:
	s_cmp_lt_i32 s12, 6
	s_cbranch_scc1 .LBB223_107
; %bb.105:
	s_cmp_gt_i32 s12, 6
	s_cbranch_scc0 .LBB223_108
; %bb.106:
	global_load_dwordx2 v[3:4], v[1:2], off
	s_mov_b64 s[8:9], 0
	s_waitcnt vmcnt(0)
	v_cmp_neq_f64_e64 s[0:1], 0, v[3:4]
	s_branch .LBB223_109
.LBB223_107:
	s_mov_b64 s[8:9], -1
                                        ; implicit-def: $sgpr0_sgpr1
	s_branch .LBB223_112
.LBB223_108:
	s_mov_b64 s[8:9], -1
                                        ; implicit-def: $sgpr0_sgpr1
.LBB223_109:
	s_andn2_b64 vcc, exec, s[8:9]
	s_cbranch_vccnz .LBB223_111
; %bb.110:
	global_load_dword v3, v[1:2], off
	s_andn2_b64 s[0:1], s[0:1], exec
	s_waitcnt vmcnt(0)
	v_cmp_neq_f32_e32 vcc, 0, v3
	s_and_b64 s[8:9], vcc, exec
	s_or_b64 s[0:1], s[0:1], s[8:9]
.LBB223_111:
	s_mov_b64 s[8:9], 0
.LBB223_112:
	s_andn2_b64 vcc, exec, s[8:9]
	s_cbranch_vccnz .LBB223_114
; %bb.113:
	global_load_ushort v3, v[1:2], off
	s_andn2_b64 s[0:1], s[0:1], exec
	s_waitcnt vmcnt(0)
	v_and_b32_e32 v3, 0x7fff, v3
	v_cmp_ne_u16_e32 vcc, 0, v3
	s_and_b64 s[8:9], vcc, exec
	s_or_b64 s[0:1], s[0:1], s[8:9]
.LBB223_114:
	s_cbranch_execnz .LBB223_134
.LBB223_115:
	s_cmp_lt_i32 s12, 2
	s_cbranch_scc1 .LBB223_119
; %bb.116:
	s_cmp_lt_i32 s12, 3
	s_cbranch_scc1 .LBB223_120
; %bb.117:
	s_cmp_gt_i32 s12, 3
	s_cbranch_scc0 .LBB223_121
; %bb.118:
	global_load_dwordx2 v[3:4], v[1:2], off
	s_mov_b64 s[8:9], 0
	s_waitcnt vmcnt(0)
	v_cmp_ne_u64_e64 s[0:1], 0, v[3:4]
	s_branch .LBB223_122
.LBB223_119:
	s_mov_b64 s[8:9], -1
                                        ; implicit-def: $sgpr0_sgpr1
	s_branch .LBB223_128
.LBB223_120:
	s_mov_b64 s[8:9], -1
                                        ; implicit-def: $sgpr0_sgpr1
	s_branch .LBB223_125
.LBB223_121:
	s_mov_b64 s[8:9], -1
                                        ; implicit-def: $sgpr0_sgpr1
.LBB223_122:
	s_andn2_b64 vcc, exec, s[8:9]
	s_cbranch_vccnz .LBB223_124
; %bb.123:
	global_load_dword v3, v[1:2], off
	s_andn2_b64 s[0:1], s[0:1], exec
	s_waitcnt vmcnt(0)
	v_cmp_ne_u32_e32 vcc, 0, v3
	s_and_b64 s[8:9], vcc, exec
	s_or_b64 s[0:1], s[0:1], s[8:9]
.LBB223_124:
	s_mov_b64 s[8:9], 0
.LBB223_125:
	s_andn2_b64 vcc, exec, s[8:9]
	s_cbranch_vccnz .LBB223_127
; %bb.126:
	global_load_ushort v3, v[1:2], off
	s_andn2_b64 s[0:1], s[0:1], exec
	s_waitcnt vmcnt(0)
	v_cmp_ne_u16_e32 vcc, 0, v3
	s_and_b64 s[8:9], vcc, exec
	s_or_b64 s[0:1], s[0:1], s[8:9]
.LBB223_127:
	s_mov_b64 s[8:9], 0
.LBB223_128:
	s_andn2_b64 vcc, exec, s[8:9]
	s_cbranch_vccnz .LBB223_134
; %bb.129:
	s_cmp_gt_i32 s12, 0
	s_cbranch_scc0 .LBB223_131
; %bb.130:
	global_load_ubyte v3, v[1:2], off
	s_mov_b64 s[8:9], 0
	s_waitcnt vmcnt(0)
	v_cmp_ne_u16_e64 s[0:1], 0, v3
	s_branch .LBB223_132
.LBB223_131:
	s_mov_b64 s[8:9], -1
                                        ; implicit-def: $sgpr0_sgpr1
.LBB223_132:
	s_andn2_b64 vcc, exec, s[8:9]
	s_cbranch_vccnz .LBB223_134
; %bb.133:
	global_load_ubyte v1, v[1:2], off
	s_andn2_b64 s[0:1], s[0:1], exec
	s_waitcnt vmcnt(0)
	v_cmp_ne_u16_e32 vcc, 0, v1
	s_and_b64 s[8:9], vcc, exec
	s_or_b64 s[0:1], s[0:1], s[8:9]
.LBB223_134:
	s_branch .LBB223_25
.LBB223_135:
	s_mov_b64 s[0:1], 0
	s_mov_b64 s[8:9], 0
                                        ; implicit-def: $vgpr8
	s_branch .LBB223_246
.LBB223_136:
	s_mov_b64 s[10:11], -1
	s_mov_b64 s[0:1], 0
	s_mov_b64 s[8:9], 0
.LBB223_137:
	s_and_b64 vcc, exec, s[10:11]
	s_cbranch_vccz .LBB223_142
; %bb.138:
	s_cmp_eq_u32 s15, 44
	s_mov_b64 s[0:1], -1
	s_cbranch_scc0 .LBB223_142
; %bb.139:
	v_cndmask_b32_e64 v3, 0, 1.0, s[2:3]
	v_lshrrev_b32_e32 v2, 23, v3
	s_movk_i32 s0, 0xff
	v_cmp_ne_u32_e32 vcc, s0, v2
	v_mov_b32_e32 v4, 0xff
	s_and_saveexec_b64 s[8:9], vcc
; %bb.140:
	s_mov_b32 s0, 0x3fffff
	v_and_b32_e32 v4, 0x400000, v3
	v_and_or_b32 v3, v3, s0, v2
	v_cmp_ne_u32_e32 vcc, 0, v4
	v_cmp_ne_u32_e64 s[0:1], 0, v3
	s_and_b64 s[0:1], vcc, s[0:1]
	v_cndmask_b32_e64 v3, 0, 1, s[0:1]
	v_add_u32_e32 v4, v2, v3
; %bb.141:
	s_or_b64 exec, exec, s[8:9]
	s_mov_b64 s[8:9], -1
	s_mov_b64 s[0:1], 0
	global_store_byte v[0:1], v4, off
.LBB223_142:
	s_mov_b64 s[10:11], 0
.LBB223_143:
	s_and_b64 vcc, exec, s[10:11]
	s_cbranch_vccz .LBB223_146
; %bb.144:
	s_cmp_eq_u32 s15, 29
	s_mov_b64 s[0:1], -1
	s_cbranch_scc0 .LBB223_146
; %bb.145:
	s_mov_b32 s0, 0
	v_cndmask_b32_e64 v2, 0, 1, s[2:3]
	v_mov_b32_e32 v3, s0
	global_store_dwordx2 v[0:1], v[2:3], off
	s_mov_b64 s[8:9], -1
	s_mov_b64 s[0:1], 0
.LBB223_146:
	s_mov_b64 s[10:11], 0
.LBB223_147:
	s_and_b64 vcc, exec, s[10:11]
	s_cbranch_vccz .LBB223_163
; %bb.148:
	s_cmp_lt_i32 s15, 27
	s_mov_b64 s[8:9], -1
	s_cbranch_scc1 .LBB223_154
; %bb.149:
	s_cmp_gt_i32 s15, 27
	s_cbranch_scc0 .LBB223_151
; %bb.150:
	v_cndmask_b32_e64 v2, 0, 1, s[2:3]
	s_mov_b64 s[8:9], 0
	global_store_dword v[0:1], v2, off
.LBB223_151:
	s_andn2_b64 vcc, exec, s[8:9]
	s_cbranch_vccnz .LBB223_153
; %bb.152:
	v_cndmask_b32_e64 v2, 0, 1, s[2:3]
	global_store_short v[0:1], v2, off
.LBB223_153:
	s_mov_b64 s[8:9], 0
.LBB223_154:
	s_andn2_b64 vcc, exec, s[8:9]
	s_cbranch_vccnz .LBB223_162
; %bb.155:
	v_cndmask_b32_e64 v3, 0, 1.0, s[2:3]
	s_mov_b32 s8, 0x43800000
	v_cmp_gt_u32_e32 vcc, s8, v3
	v_mov_b32_e32 v4, 0x80
	s_and_saveexec_b64 s[8:9], vcc
	s_cbranch_execz .LBB223_161
; %bb.156:
	s_mov_b32 s10, 0x3bffffff
	v_cmp_lt_u32_e32 vcc, s10, v3
	s_mov_b64 s[10:11], 0
                                        ; implicit-def: $vgpr2
	s_and_saveexec_b64 s[12:13], vcc
	s_xor_b64 s[12:13], exec, s[12:13]
	s_cbranch_execz .LBB223_288
; %bb.157:
	v_bfe_u32 v2, v3, 20, 1
	s_mov_b32 s16, 0x487ffff
	v_add3_u32 v2, v3, v2, s16
	s_mov_b64 s[10:11], exec
	v_lshrrev_b32_e32 v2, 20, v2
                                        ; implicit-def: $vgpr3
	s_andn2_saveexec_b64 s[12:13], s[12:13]
	s_cbranch_execnz .LBB223_289
.LBB223_158:
	s_or_b64 exec, exec, s[12:13]
	v_mov_b32_e32 v4, 0
	s_and_saveexec_b64 s[12:13], s[10:11]
.LBB223_159:
	v_mov_b32_e32 v4, v2
.LBB223_160:
	s_or_b64 exec, exec, s[12:13]
.LBB223_161:
	s_or_b64 exec, exec, s[8:9]
	global_store_byte v[0:1], v4, off
.LBB223_162:
	s_mov_b64 s[8:9], -1
.LBB223_163:
	s_mov_b64 s[10:11], 0
.LBB223_164:
	s_and_b64 vcc, exec, s[10:11]
	s_cbranch_vccz .LBB223_205
; %bb.165:
	s_cmp_gt_i32 s15, 22
	s_mov_b64 s[10:11], -1
	s_cbranch_scc0 .LBB223_197
; %bb.166:
	s_cmp_lt_i32 s15, 24
	s_mov_b64 s[8:9], -1
	s_cbranch_scc1 .LBB223_186
; %bb.167:
	s_cmp_gt_i32 s15, 24
	s_cbranch_scc0 .LBB223_175
; %bb.168:
	v_cndmask_b32_e64 v3, 0, 1.0, s[2:3]
	s_mov_b32 s8, 0x47800000
	v_cmp_gt_u32_e32 vcc, s8, v3
	v_mov_b32_e32 v4, 0x80
	s_and_saveexec_b64 s[8:9], vcc
	s_cbranch_execz .LBB223_174
; %bb.169:
	s_mov_b32 s10, 0x37ffffff
	v_cmp_lt_u32_e32 vcc, s10, v3
	s_mov_b64 s[10:11], 0
                                        ; implicit-def: $vgpr2
	s_and_saveexec_b64 s[12:13], vcc
	s_xor_b64 s[12:13], exec, s[12:13]
	s_cbranch_execz .LBB223_292
; %bb.170:
	v_bfe_u32 v2, v3, 21, 1
	s_mov_b32 s16, 0x88fffff
	v_add3_u32 v2, v3, v2, s16
	s_mov_b64 s[10:11], exec
	v_lshrrev_b32_e32 v2, 21, v2
                                        ; implicit-def: $vgpr3
	s_andn2_saveexec_b64 s[12:13], s[12:13]
	s_cbranch_execnz .LBB223_293
.LBB223_171:
	s_or_b64 exec, exec, s[12:13]
	v_mov_b32_e32 v4, 0
	s_and_saveexec_b64 s[12:13], s[10:11]
.LBB223_172:
	v_mov_b32_e32 v4, v2
.LBB223_173:
	s_or_b64 exec, exec, s[12:13]
.LBB223_174:
	s_or_b64 exec, exec, s[8:9]
	s_mov_b64 s[8:9], 0
	global_store_byte v[0:1], v4, off
.LBB223_175:
	s_and_b64 vcc, exec, s[8:9]
	s_cbranch_vccz .LBB223_185
; %bb.176:
	v_cndmask_b32_e64 v2, 0, 1.0, s[2:3]
	s_mov_b32 s8, 0x43f00000
	v_cmp_gt_u32_e32 vcc, s8, v2
                                        ; implicit-def: $vgpr3
	s_and_saveexec_b64 s[8:9], vcc
	s_xor_b64 s[8:9], exec, s[8:9]
	s_cbranch_execz .LBB223_182
; %bb.177:
	s_mov_b32 s10, 0x3c7fffff
	v_cmp_lt_u32_e32 vcc, s10, v2
                                        ; implicit-def: $vgpr3
	s_and_saveexec_b64 s[10:11], vcc
	s_xor_b64 s[10:11], exec, s[10:11]
; %bb.178:
	v_bfe_u32 v3, v2, 20, 1
	s_mov_b32 s12, 0x407ffff
	v_add3_u32 v2, v2, v3, s12
	v_lshrrev_b32_e32 v3, 20, v2
	v_and_b32_e32 v2, 0xff00000, v2
	s_mov_b32 s12, 0x7f00000
	v_mov_b32_e32 v4, 0x7e
	v_cmp_ne_u32_e32 vcc, s12, v2
	v_cndmask_b32_e32 v3, v4, v3, vcc
                                        ; implicit-def: $vgpr2
; %bb.179:
	s_andn2_saveexec_b64 s[10:11], s[10:11]
; %bb.180:
	v_add_f32_e32 v3, 0x46800000, v2
; %bb.181:
	s_or_b64 exec, exec, s[10:11]
                                        ; implicit-def: $vgpr2
.LBB223_182:
	s_andn2_saveexec_b64 s[8:9], s[8:9]
; %bb.183:
	s_mov_b32 s10, 0x7f800000
	v_mov_b32_e32 v3, 0x7e
	v_mov_b32_e32 v4, 0x7f
	v_cmp_lt_u32_e32 vcc, s10, v2
	v_cndmask_b32_e32 v3, v3, v4, vcc
; %bb.184:
	s_or_b64 exec, exec, s[8:9]
	global_store_byte v[0:1], v3, off
.LBB223_185:
	s_mov_b64 s[8:9], 0
.LBB223_186:
	s_andn2_b64 vcc, exec, s[8:9]
	s_cbranch_vccnz .LBB223_196
; %bb.187:
	v_cndmask_b32_e64 v2, 0, 1.0, s[2:3]
	s_mov_b32 s8, 0x47800000
	v_cmp_gt_u32_e32 vcc, s8, v2
                                        ; implicit-def: $vgpr3
	s_and_saveexec_b64 s[8:9], vcc
	s_xor_b64 s[8:9], exec, s[8:9]
	s_cbranch_execz .LBB223_193
; %bb.188:
	s_mov_b32 s10, 0x387fffff
	v_cmp_lt_u32_e32 vcc, s10, v2
                                        ; implicit-def: $vgpr3
	s_and_saveexec_b64 s[10:11], vcc
	s_xor_b64 s[10:11], exec, s[10:11]
; %bb.189:
	v_bfe_u32 v3, v2, 21, 1
	s_mov_b32 s12, 0x80fffff
	v_add3_u32 v2, v2, v3, s12
	v_lshrrev_b32_e32 v3, 21, v2
                                        ; implicit-def: $vgpr2
; %bb.190:
	s_andn2_saveexec_b64 s[10:11], s[10:11]
; %bb.191:
	v_add_f32_e32 v3, 0x43000000, v2
; %bb.192:
	s_or_b64 exec, exec, s[10:11]
                                        ; implicit-def: $vgpr2
.LBB223_193:
	s_andn2_saveexec_b64 s[8:9], s[8:9]
; %bb.194:
	s_mov_b32 s10, 0x7f800000
	v_mov_b32_e32 v3, 0x7c
	v_mov_b32_e32 v4, 0x7f
	v_cmp_lt_u32_e32 vcc, s10, v2
	v_cndmask_b32_e32 v3, v3, v4, vcc
; %bb.195:
	s_or_b64 exec, exec, s[8:9]
	global_store_byte v[0:1], v3, off
.LBB223_196:
	s_mov_b64 s[10:11], 0
	s_mov_b64 s[8:9], -1
.LBB223_197:
	s_andn2_b64 vcc, exec, s[10:11]
	s_cbranch_vccnz .LBB223_205
; %bb.198:
	s_cmp_gt_i32 s15, 14
	s_mov_b64 s[10:11], -1
	s_cbranch_scc0 .LBB223_202
; %bb.199:
	s_cmp_eq_u32 s15, 15
	s_mov_b64 s[0:1], -1
	s_cbranch_scc0 .LBB223_201
; %bb.200:
	v_cndmask_b32_e64 v2, 0, 1.0, s[2:3]
	v_bfe_u32 v3, v2, 16, 1
	s_movk_i32 s0, 0x7fff
	v_add3_u32 v2, v2, v3, s0
	global_store_short_d16_hi v[0:1], v2, off
	s_mov_b64 s[8:9], -1
	s_mov_b64 s[0:1], 0
.LBB223_201:
	s_mov_b64 s[10:11], 0
.LBB223_202:
	s_and_b64 vcc, exec, s[10:11]
	s_cbranch_vccz .LBB223_205
; %bb.203:
	s_cmp_eq_u32 s15, 11
	s_mov_b64 s[0:1], -1
	s_cbranch_scc0 .LBB223_205
; %bb.204:
	v_cndmask_b32_e64 v2, 0, 1, s[2:3]
	s_mov_b64 s[8:9], -1
	s_mov_b64 s[0:1], 0
	global_store_byte v[0:1], v2, off
.LBB223_205:
	s_branch .LBB223_244
.LBB223_206:
	s_and_b32 s10, 0xffff, s14
	s_cmp_lt_i32 s10, 5
	s_mov_b64 s[8:9], -1
	s_cbranch_scc1 .LBB223_227
; %bb.207:
	s_cmp_lt_i32 s10, 8
	s_cbranch_scc1 .LBB223_217
; %bb.208:
	s_cmp_lt_i32 s10, 9
	s_cbranch_scc1 .LBB223_214
; %bb.209:
	s_cmp_gt_i32 s10, 9
	s_cbranch_scc0 .LBB223_211
; %bb.210:
	v_cndmask_b32_e64 v2, 0, 1, s[2:3]
	v_cvt_f64_u32_e32 v[2:3], v2
	v_mov_b32_e32 v4, 0
	v_mov_b32_e32 v5, v4
	s_mov_b64 s[8:9], 0
	global_store_dwordx4 v[0:1], v[2:5], off
.LBB223_211:
	s_andn2_b64 vcc, exec, s[8:9]
	s_cbranch_vccnz .LBB223_213
; %bb.212:
	v_cndmask_b32_e64 v2, 0, 1.0, s[2:3]
	v_mov_b32_e32 v3, 0
	global_store_dwordx2 v[0:1], v[2:3], off
.LBB223_213:
	s_mov_b64 s[8:9], 0
.LBB223_214:
	s_andn2_b64 vcc, exec, s[8:9]
	s_cbranch_vccnz .LBB223_216
; %bb.215:
	v_cndmask_b32_e64 v2, 0, 1.0, s[2:3]
	v_cvt_f16_f32_e32 v2, v2
	global_store_dword v[0:1], v2, off
.LBB223_216:
	s_mov_b64 s[8:9], 0
.LBB223_217:
	s_andn2_b64 vcc, exec, s[8:9]
	s_cbranch_vccnz .LBB223_226
; %bb.218:
	s_cmp_lt_i32 s10, 6
	s_mov_b64 s[8:9], -1
	s_cbranch_scc1 .LBB223_224
; %bb.219:
	s_cmp_gt_i32 s10, 6
	s_cbranch_scc0 .LBB223_221
; %bb.220:
	v_cndmask_b32_e64 v2, 0, 1, s[2:3]
	v_cvt_f64_u32_e32 v[2:3], v2
	s_mov_b64 s[8:9], 0
	global_store_dwordx2 v[0:1], v[2:3], off
.LBB223_221:
	s_andn2_b64 vcc, exec, s[8:9]
	s_cbranch_vccnz .LBB223_223
; %bb.222:
	v_cndmask_b32_e64 v2, 0, 1.0, s[2:3]
	global_store_dword v[0:1], v2, off
.LBB223_223:
	s_mov_b64 s[8:9], 0
.LBB223_224:
	s_andn2_b64 vcc, exec, s[8:9]
	s_cbranch_vccnz .LBB223_226
; %bb.225:
	v_cndmask_b32_e64 v2, 0, 1.0, s[2:3]
	v_cvt_f16_f32_e32 v2, v2
	global_store_short v[0:1], v2, off
.LBB223_226:
	s_mov_b64 s[8:9], 0
.LBB223_227:
	s_andn2_b64 vcc, exec, s[8:9]
	s_cbranch_vccnz .LBB223_243
; %bb.228:
	s_cmp_lt_i32 s10, 2
	s_mov_b64 s[8:9], -1
	s_cbranch_scc1 .LBB223_238
; %bb.229:
	s_cmp_lt_i32 s10, 3
	s_cbranch_scc1 .LBB223_235
; %bb.230:
	s_cmp_gt_i32 s10, 3
	s_cbranch_scc0 .LBB223_232
; %bb.231:
	s_mov_b32 s8, 0
	v_cndmask_b32_e64 v2, 0, 1, s[2:3]
	v_mov_b32_e32 v3, s8
	global_store_dwordx2 v[0:1], v[2:3], off
	s_mov_b64 s[8:9], 0
.LBB223_232:
	s_andn2_b64 vcc, exec, s[8:9]
	s_cbranch_vccnz .LBB223_234
; %bb.233:
	v_cndmask_b32_e64 v2, 0, 1, s[2:3]
	global_store_dword v[0:1], v2, off
.LBB223_234:
	s_mov_b64 s[8:9], 0
.LBB223_235:
	s_andn2_b64 vcc, exec, s[8:9]
	s_cbranch_vccnz .LBB223_237
; %bb.236:
	v_cndmask_b32_e64 v2, 0, 1, s[2:3]
	global_store_short v[0:1], v2, off
.LBB223_237:
	s_mov_b64 s[8:9], 0
.LBB223_238:
	s_andn2_b64 vcc, exec, s[8:9]
	s_cbranch_vccnz .LBB223_243
; %bb.239:
	s_cmp_gt_i32 s10, 0
	s_mov_b64 s[8:9], -1
	s_cbranch_scc0 .LBB223_241
; %bb.240:
	v_cndmask_b32_e64 v2, 0, 1, s[2:3]
	global_store_byte v[0:1], v2, off
	s_mov_b64 s[8:9], 0
.LBB223_241:
	s_andn2_b64 vcc, exec, s[8:9]
	s_cbranch_vccnz .LBB223_243
; %bb.242:
	v_cndmask_b32_e64 v2, 0, 1, s[2:3]
	global_store_byte v[0:1], v2, off
.LBB223_243:
	s_mov_b64 s[8:9], -1
.LBB223_244:
	s_mov_b64 s[2:3], 0
	s_andn2_b64 vcc, exec, s[8:9]
	s_mov_b64 s[8:9], 0
	s_cbranch_vccnz .LBB223_246
; %bb.245:
	v_add_u32_e32 v8, 0x80, v8
	s_mov_b64 s[8:9], -1
.LBB223_246:
	s_and_b64 s[54:55], s[0:1], exec
	s_and_b64 s[56:57], s[2:3], exec
	s_orn2_b64 s[2:3], s[8:9], exec
.LBB223_247:
	s_or_b64 exec, exec, s[58:59]
	s_mov_b64 s[0:1], 0
	s_mov_b64 s[14:15], 0
                                        ; implicit-def: $sgpr10_sgpr11
                                        ; implicit-def: $vgpr1_vgpr2
                                        ; implicit-def: $vgpr0
	s_and_saveexec_b64 s[58:59], s[2:3]
	s_cbranch_execz .LBB223_254
; %bb.248:
	v_cmp_gt_i32_e32 vcc, s72, v8
	s_mov_b64 s[12:13], -1
	s_mov_b64 s[60:61], s[56:57]
	s_mov_b64 s[62:63], s[54:55]
	s_and_saveexec_b64 s[64:65], vcc
	s_cbranch_execz .LBB223_503
; %bb.249:
	s_andn2_b64 vcc, exec, s[40:41]
	s_cbranch_vccnz .LBB223_257
; %bb.250:
	s_andn2_b64 vcc, exec, s[52:53]
	s_cbranch_vccnz .LBB223_258
; %bb.251:
	s_add_i32 s67, s77, 1
	s_cmp_eq_u32 s74, 2
	s_cbranch_scc1 .LBB223_259
; %bb.252:
	s_and_b32 s66, s67, 28
	v_mov_b32_e32 v2, 0
	s_mov_b32 s68, 0
	s_mov_b64 s[60:61], s[34:35]
	s_mov_b64 s[62:63], s[50:51]
	v_mov_b32_e32 v0, 0
	v_mov_b32_e32 v1, v8
.LBB223_253:                            ; =>This Inner Loop Header: Depth=1
	s_load_dwordx8 s[16:23], s[60:61], 0x4
	s_load_dwordx4 s[0:3], s[60:61], 0x24
	s_load_dwordx8 s[8:15], s[62:63], 0x0
	s_add_u32 s60, s60, 48
	s_addc_u32 s61, s61, 0
	s_waitcnt lgkmcnt(0)
	v_mul_hi_u32 v3, s17, v1
	s_add_i32 s68, s68, 4
	s_add_u32 s62, s62, 32
	s_addc_u32 s63, s63, 0
	v_add_u32_e32 v3, v1, v3
	v_lshrrev_b32_e32 v3, s18, v3
	v_mul_lo_u32 v4, v3, s16
	v_mul_hi_u32 v5, s20, v3
	s_cmp_eq_u32 s66, s68
	v_sub_u32_e32 v1, v1, v4
	v_add_u32_e32 v4, v3, v5
	v_mul_lo_u32 v5, v1, s8
	v_mul_lo_u32 v6, v1, s9
	v_lshrrev_b32_e32 v1, s21, v4
	v_mul_lo_u32 v4, v1, s19
	v_mul_hi_u32 v7, s23, v1
	v_sub_u32_e32 v3, v3, v4
	v_add_u32_e32 v4, v1, v7
	v_lshrrev_b32_e32 v4, s0, v4
	v_mul_hi_u32 v9, s2, v4
	v_mul_lo_u32 v10, v4, s22
	v_mul_lo_u32 v7, v3, s10
	;; [unrolled: 1-line block ×3, first 2 shown]
	v_sub_u32_e32 v10, v1, v10
	v_add_u32_e32 v1, v4, v9
	v_lshrrev_b32_e32 v1, s3, v1
	v_mul_lo_u32 v9, v1, s1
	v_mul_lo_u32 v11, v10, s12
	;; [unrolled: 1-line block ×3, first 2 shown]
	v_add3_u32 v0, v5, v0, v7
	v_sub_u32_e32 v4, v4, v9
	v_mul_lo_u32 v9, v4, s14
	v_mul_lo_u32 v4, v4, s15
	v_add3_u32 v2, v6, v2, v3
	v_add3_u32 v0, v11, v0, v9
	;; [unrolled: 1-line block ×3, first 2 shown]
	s_cbranch_scc0 .LBB223_253
	s_branch .LBB223_260
.LBB223_254:
	s_or_b64 exec, exec, s[58:59]
	s_mov_b64 s[2:3], 0
	s_and_saveexec_b64 s[8:9], s[56:57]
	s_cbranch_execnz .LBB223_841
.LBB223_255:
	s_or_b64 exec, exec, s[8:9]
	s_and_saveexec_b64 s[8:9], s[62:63]
	s_xor_b64 s[8:9], exec, s[8:9]
	s_cbranch_execz .LBB223_842
.LBB223_256:
	global_load_ubyte v3, v[1:2], off
	s_andn2_b64 s[10:11], s[10:11], exec
	s_or_b64 s[14:15], s[14:15], exec
	s_waitcnt vmcnt(0)
	v_cmp_ne_u16_e32 vcc, 0, v3
	s_and_b64 s[12:13], vcc, exec
	s_or_b64 s[10:11], s[10:11], s[12:13]
	s_or_b64 exec, exec, s[8:9]
	s_and_saveexec_b64 s[8:9], s[0:1]
	s_cbranch_execz .LBB223_888
	s_branch .LBB223_843
.LBB223_257:
                                        ; implicit-def: $vgpr0
                                        ; implicit-def: $vgpr2
	s_branch .LBB223_264
.LBB223_258:
	v_mov_b32_e32 v0, 0
	v_mov_b32_e32 v2, 0
	s_branch .LBB223_263
.LBB223_259:
	s_mov_b32 s66, 0
	v_mov_b32_e32 v0, 0
	v_mov_b32_e32 v2, 0
	;; [unrolled: 1-line block ×3, first 2 shown]
.LBB223_260:
	s_and_b32 s8, s67, 3
	s_cmp_eq_u32 s8, 0
	s_cbranch_scc1 .LBB223_263
; %bb.261:
	s_lshl_b32 s0, s66, 3
	s_add_u32 s0, s34, s0
	s_addc_u32 s1, s35, 0
	s_add_u32 s0, s0, 0xc4
	s_addc_u32 s1, s1, 0
	s_mul_i32 s2, s66, 12
	s_add_u32 s2, s34, s2
	s_addc_u32 s3, s35, 0
.LBB223_262:                            ; =>This Inner Loop Header: Depth=1
	s_load_dwordx2 s[10:11], s[2:3], 0x4
	s_load_dword s9, s[2:3], 0xc
	s_load_dwordx2 s[12:13], s[0:1], 0x0
	s_add_u32 s2, s2, 12
	s_addc_u32 s3, s3, 0
	s_waitcnt lgkmcnt(0)
	v_mul_hi_u32 v3, s11, v1
	s_add_u32 s0, s0, 8
	s_addc_u32 s1, s1, 0
	s_add_i32 s8, s8, -1
	v_add_u32_e32 v3, v1, v3
	v_lshrrev_b32_e32 v4, s9, v3
	v_mul_lo_u32 v3, v4, s10
	s_cmp_lg_u32 s8, 0
	v_sub_u32_e32 v3, v1, v3
	v_mad_u64_u32 v[0:1], s[10:11], v3, s12, v[0:1]
	v_mad_u64_u32 v[2:3], s[10:11], v3, s13, v[2:3]
	v_mov_b32_e32 v1, v4
	s_cbranch_scc1 .LBB223_262
.LBB223_263:
	s_cbranch_execnz .LBB223_266
.LBB223_264:
	v_mul_hi_u32 v0, s29, v8
	s_andn2_b64 vcc, exec, s[48:49]
	v_add_u32_e32 v0, v8, v0
	v_lshrrev_b32_e32 v1, s30, v0
	v_mul_lo_u32 v0, v1, s28
	v_sub_u32_e32 v2, v8, v0
	v_mul_lo_u32 v0, v2, s36
	v_mul_lo_u32 v2, v2, s37
	s_cbranch_vccnz .LBB223_266
; %bb.265:
	v_mul_hi_u32 v3, s46, v1
	v_add_u32_e32 v3, v1, v3
	v_lshrrev_b32_e32 v3, s47, v3
	v_mul_lo_u32 v3, v3, s31
	v_sub_u32_e32 v3, v1, v3
	v_mad_u64_u32 v[0:1], s[0:1], v3, s38, v[0:1]
	v_mad_u64_u32 v[2:3], s[0:1], v3, s39, v[2:3]
.LBB223_266:
	v_mov_b32_e32 v3, s27
	s_and_b32 s12, 0xffff, s76
	v_add_co_u32_e32 v1, vcc, s26, v2
	s_cmp_lt_i32 s12, 11
	v_addc_co_u32_e32 v2, vcc, 0, v3, vcc
	s_cbranch_scc1 .LBB223_273
; %bb.267:
	s_cmp_gt_i32 s12, 25
	s_cbranch_scc0 .LBB223_282
; %bb.268:
	s_cmp_gt_i32 s12, 28
	s_cbranch_scc0 .LBB223_284
	;; [unrolled: 3-line block ×4, first 2 shown]
; %bb.271:
	s_cmp_eq_u32 s12, 46
	s_mov_b64 s[10:11], 0
	s_cbranch_scc0 .LBB223_294
; %bb.272:
	global_load_dword v3, v[1:2], off
	s_mov_b64 s[8:9], -1
	s_mov_b64 s[2:3], 0
	s_waitcnt vmcnt(0)
	v_and_b32_e32 v3, 0x7fff7fff, v3
	v_cmp_ne_u32_e64 s[0:1], 0, v3
	s_branch .LBB223_295
.LBB223_273:
	s_mov_b64 s[8:9], 0
                                        ; implicit-def: $sgpr0_sgpr1
	s_mov_b64 s[2:3], s[56:57]
	s_cbranch_execnz .LBB223_342
.LBB223_274:
	s_andn2_b64 vcc, exec, s[8:9]
	s_cbranch_vccnz .LBB223_390
.LBB223_275:
	s_xor_b64 s[2:3], s[0:1], s[44:45]
	v_mov_b32_e32 v1, s25
	s_and_b32 s14, s75, 0xff
	v_add_co_u32_e32 v0, vcc, s24, v0
	s_cmp_lt_i32 s14, 11
	v_addc_co_u32_e32 v1, vcc, 0, v1, vcc
	s_cbranch_scc1 .LBB223_283
; %bb.276:
	s_and_b32 s15, 0xffff, s14
	s_cmp_gt_i32 s15, 25
	s_cbranch_scc0 .LBB223_285
; %bb.277:
	s_cmp_gt_i32 s15, 28
	s_cbranch_scc0 .LBB223_287
; %bb.278:
	;; [unrolled: 3-line block ×4, first 2 shown]
	s_mov_b64 s[10:11], 0
	s_mov_b64 s[0:1], -1
	s_cmp_eq_u32 s15, 46
	s_mov_b64 s[8:9], 0
	s_cbranch_scc0 .LBB223_392
; %bb.281:
	v_cndmask_b32_e64 v2, 0, 1.0, s[2:3]
	v_bfe_u32 v3, v2, 16, 1
	s_movk_i32 s0, 0x7fff
	v_add3_u32 v2, v2, v3, s0
	v_lshrrev_b32_e32 v2, 16, v2
	global_store_dword v[0:1], v2, off
	s_mov_b64 s[8:9], -1
	s_mov_b64 s[0:1], 0
	s_branch .LBB223_392
.LBB223_282:
	s_mov_b64 s[10:11], -1
	s_mov_b64 s[8:9], 0
	s_mov_b64 s[2:3], s[56:57]
                                        ; implicit-def: $sgpr0_sgpr1
	s_branch .LBB223_316
.LBB223_283:
	s_mov_b64 s[10:11], -1
	s_mov_b64 s[8:9], 0
	s_mov_b64 s[0:1], s[54:55]
	s_branch .LBB223_461
.LBB223_284:
	s_mov_b64 s[10:11], -1
	s_mov_b64 s[8:9], 0
	s_mov_b64 s[2:3], s[56:57]
                                        ; implicit-def: $sgpr0_sgpr1
	s_branch .LBB223_303
.LBB223_285:
	s_mov_b64 s[10:11], -1
	s_mov_b64 s[8:9], 0
	s_mov_b64 s[0:1], s[54:55]
	s_branch .LBB223_419
.LBB223_286:
	s_mov_b64 s[10:11], -1
	s_mov_b64 s[8:9], 0
	s_mov_b64 s[2:3], s[56:57]
                                        ; implicit-def: $sgpr0_sgpr1
	s_branch .LBB223_298
.LBB223_287:
	s_mov_b64 s[10:11], -1
	s_mov_b64 s[8:9], 0
	s_mov_b64 s[0:1], s[54:55]
	s_branch .LBB223_402
.LBB223_288:
	s_andn2_saveexec_b64 s[12:13], s[12:13]
	s_cbranch_execz .LBB223_158
.LBB223_289:
	v_add_f32_e32 v2, 0x46000000, v3
	v_and_b32_e32 v2, 0xff, v2
	v_cmp_ne_u32_e32 vcc, 0, v2
	s_andn2_b64 s[10:11], s[10:11], exec
	s_and_b64 s[16:17], vcc, exec
	s_or_b64 s[10:11], s[10:11], s[16:17]
	s_or_b64 exec, exec, s[12:13]
	v_mov_b32_e32 v4, 0
	s_and_saveexec_b64 s[12:13], s[10:11]
	s_cbranch_execnz .LBB223_159
	s_branch .LBB223_160
.LBB223_290:
	s_mov_b64 s[10:11], -1
	s_mov_b64 s[8:9], 0
	s_mov_b64 s[2:3], s[56:57]
                                        ; implicit-def: $sgpr0_sgpr1
	s_branch .LBB223_295
.LBB223_291:
	s_mov_b64 s[10:11], -1
	s_mov_b64 s[8:9], 0
	s_mov_b64 s[0:1], s[54:55]
	s_branch .LBB223_398
.LBB223_292:
	s_andn2_saveexec_b64 s[12:13], s[12:13]
	s_cbranch_execz .LBB223_171
.LBB223_293:
	v_add_f32_e32 v2, 0x42800000, v3
	v_and_b32_e32 v2, 0xff, v2
	v_cmp_ne_u32_e32 vcc, 0, v2
	s_andn2_b64 s[10:11], s[10:11], exec
	s_and_b64 s[16:17], vcc, exec
	s_or_b64 s[10:11], s[10:11], s[16:17]
	s_or_b64 exec, exec, s[12:13]
	v_mov_b32_e32 v4, 0
	s_and_saveexec_b64 s[12:13], s[10:11]
	s_cbranch_execnz .LBB223_172
	s_branch .LBB223_173
.LBB223_294:
	s_mov_b64 s[2:3], -1
                                        ; implicit-def: $sgpr0_sgpr1
	s_mov_b64 s[8:9], 0
.LBB223_295:
	s_and_b64 vcc, exec, s[10:11]
	s_cbranch_vccz .LBB223_297
; %bb.296:
	s_cmp_eq_u32 s12, 44
	s_cselect_b64 s[8:9], -1, 0
	s_or_b64 s[0:1], s[0:1], exec
	s_or_b64 s[2:3], s[2:3], exec
.LBB223_297:
	s_mov_b64 s[10:11], 0
.LBB223_298:
	s_and_b64 vcc, exec, s[10:11]
	s_cbranch_vccz .LBB223_302
; %bb.299:
	s_cmp_eq_u32 s12, 29
	s_cbranch_scc0 .LBB223_301
; %bb.300:
	global_load_dwordx2 v[3:4], v[1:2], off
	s_mov_b64 s[2:3], 0
	s_mov_b64 s[8:9], -1
	s_mov_b64 s[10:11], 0
	s_waitcnt vmcnt(0)
	v_cmp_ne_u64_e64 s[0:1], 0, v[3:4]
	s_branch .LBB223_303
.LBB223_301:
	s_mov_b64 s[2:3], -1
                                        ; implicit-def: $sgpr0_sgpr1
.LBB223_302:
	s_mov_b64 s[10:11], 0
.LBB223_303:
	s_and_b64 vcc, exec, s[10:11]
	s_cbranch_vccz .LBB223_315
; %bb.304:
	s_cmp_lt_i32 s12, 27
	s_cbranch_scc1 .LBB223_307
; %bb.305:
	s_cmp_gt_i32 s12, 27
	s_cbranch_scc0 .LBB223_308
; %bb.306:
	global_load_dword v3, v[1:2], off
	s_mov_b64 s[8:9], 0
	s_waitcnt vmcnt(0)
	v_cmp_ne_u32_e64 s[0:1], 0, v3
	s_branch .LBB223_309
.LBB223_307:
	s_mov_b64 s[8:9], -1
                                        ; implicit-def: $sgpr0_sgpr1
	s_branch .LBB223_312
.LBB223_308:
	s_mov_b64 s[8:9], -1
                                        ; implicit-def: $sgpr0_sgpr1
.LBB223_309:
	s_andn2_b64 vcc, exec, s[8:9]
	s_cbranch_vccnz .LBB223_311
; %bb.310:
	global_load_ushort v3, v[1:2], off
	s_andn2_b64 s[0:1], s[0:1], exec
	s_waitcnt vmcnt(0)
	v_cmp_ne_u16_e32 vcc, 0, v3
	s_and_b64 s[8:9], vcc, exec
	s_or_b64 s[0:1], s[0:1], s[8:9]
.LBB223_311:
	s_mov_b64 s[8:9], 0
.LBB223_312:
	s_andn2_b64 vcc, exec, s[8:9]
	s_cbranch_vccnz .LBB223_314
; %bb.313:
	global_load_ubyte v3, v[1:2], off
	s_andn2_b64 s[0:1], s[0:1], exec
	s_waitcnt vmcnt(0)
	v_cmp_ne_u16_e32 vcc, 0, v3
	s_and_b64 s[8:9], vcc, exec
	s_or_b64 s[0:1], s[0:1], s[8:9]
.LBB223_314:
	s_mov_b64 s[8:9], -1
.LBB223_315:
	s_mov_b64 s[10:11], 0
.LBB223_316:
	s_and_b64 vcc, exec, s[10:11]
	s_cbranch_vccz .LBB223_341
; %bb.317:
	s_cmp_gt_i32 s12, 22
	s_cbranch_scc0 .LBB223_321
; %bb.318:
	s_cmp_lt_i32 s12, 24
	s_cbranch_scc1 .LBB223_322
; %bb.319:
	s_cmp_gt_i32 s12, 24
	s_cbranch_scc0 .LBB223_323
; %bb.320:
	global_load_ubyte v3, v[1:2], off
	s_mov_b64 s[8:9], 0
	s_waitcnt vmcnt(0)
	v_cmp_ne_u16_e64 s[0:1], 0, v3
	s_branch .LBB223_324
.LBB223_321:
	s_mov_b64 s[10:11], -1
                                        ; implicit-def: $sgpr0_sgpr1
	s_branch .LBB223_330
.LBB223_322:
	s_mov_b64 s[8:9], -1
                                        ; implicit-def: $sgpr0_sgpr1
	s_branch .LBB223_327
.LBB223_323:
	s_mov_b64 s[8:9], -1
                                        ; implicit-def: $sgpr0_sgpr1
.LBB223_324:
	s_andn2_b64 vcc, exec, s[8:9]
	s_cbranch_vccnz .LBB223_326
; %bb.325:
	global_load_ubyte v3, v[1:2], off
	s_andn2_b64 s[0:1], s[0:1], exec
	s_waitcnt vmcnt(0)
	v_and_b32_e32 v3, 0x7f, v3
	v_cmp_ne_u16_e32 vcc, 0, v3
	s_and_b64 s[8:9], vcc, exec
	s_or_b64 s[0:1], s[0:1], s[8:9]
.LBB223_326:
	s_mov_b64 s[8:9], 0
.LBB223_327:
	s_andn2_b64 vcc, exec, s[8:9]
	s_cbranch_vccnz .LBB223_329
; %bb.328:
	global_load_ubyte v3, v[1:2], off
	s_movk_i32 s8, 0x7f00
	s_brev_b32 s9, 16
	s_andn2_b64 s[0:1], s[0:1], exec
	s_waitcnt vmcnt(0)
	v_lshlrev_b32_e32 v4, 8, v3
	v_lshlrev_b32_e32 v3, 25, v3
	v_lshrrev_b32_e32 v5, 4, v3
	v_and_or_b32 v4, v4, s8, 0.5
	v_or_b32_e32 v5, 0x70000000, v5
	v_add_f32_e32 v4, -0.5, v4
	v_mul_f32_e32 v5, 0x7800000, v5
	v_cmp_gt_u32_e32 vcc, s9, v3
	v_cndmask_b32_e32 v3, v5, v4, vcc
	v_cmp_neq_f32_e32 vcc, 0, v3
	s_and_b64 s[8:9], vcc, exec
	s_or_b64 s[0:1], s[0:1], s[8:9]
.LBB223_329:
	s_mov_b64 s[10:11], 0
	s_mov_b64 s[8:9], -1
.LBB223_330:
	s_andn2_b64 vcc, exec, s[10:11]
	s_cbranch_vccnz .LBB223_341
; %bb.331:
	s_cmp_gt_i32 s12, 14
	s_cbranch_scc0 .LBB223_334
; %bb.332:
	s_cmp_eq_u32 s12, 15
	s_cbranch_scc0 .LBB223_335
; %bb.333:
	global_load_ushort v3, v[1:2], off
	s_mov_b64 s[8:9], -1
	s_mov_b64 s[2:3], 0
	s_waitcnt vmcnt(0)
	v_and_b32_e32 v3, 0x7fff, v3
	v_cmp_ne_u16_e64 s[0:1], 0, v3
	s_branch .LBB223_336
.LBB223_334:
	s_mov_b64 s[10:11], -1
                                        ; implicit-def: $sgpr0_sgpr1
	s_branch .LBB223_337
.LBB223_335:
	s_mov_b64 s[2:3], -1
                                        ; implicit-def: $sgpr0_sgpr1
.LBB223_336:
	s_mov_b64 s[10:11], 0
.LBB223_337:
	s_and_b64 vcc, exec, s[10:11]
	s_cbranch_vccz .LBB223_341
; %bb.338:
	s_cmp_eq_u32 s12, 11
	s_cbranch_scc0 .LBB223_340
; %bb.339:
	global_load_ubyte v3, v[1:2], off
	s_mov_b64 s[8:9], -1
	s_mov_b64 s[2:3], 0
	s_waitcnt vmcnt(0)
	v_cmp_ne_u16_e64 s[0:1], 0, v3
	s_branch .LBB223_341
.LBB223_340:
	s_mov_b64 s[2:3], -1
                                        ; implicit-def: $sgpr0_sgpr1
.LBB223_341:
	s_branch .LBB223_274
.LBB223_342:
	s_cmp_lt_i32 s12, 5
	s_cbranch_scc1 .LBB223_347
; %bb.343:
	s_cmp_lt_i32 s12, 8
	s_cbranch_scc1 .LBB223_348
; %bb.344:
	;; [unrolled: 3-line block ×3, first 2 shown]
	s_cmp_gt_i32 s12, 9
	s_cbranch_scc0 .LBB223_350
; %bb.346:
	global_load_dwordx4 v[3:6], v[1:2], off
	s_mov_b64 s[8:9], 0
	s_waitcnt vmcnt(0)
	v_cmp_neq_f64_e32 vcc, 0, v[3:4]
	v_cmp_neq_f64_e64 s[0:1], 0, v[5:6]
	s_or_b64 s[0:1], vcc, s[0:1]
	s_branch .LBB223_351
.LBB223_347:
	s_mov_b64 s[8:9], -1
                                        ; implicit-def: $sgpr0_sgpr1
	s_branch .LBB223_369
.LBB223_348:
	s_mov_b64 s[8:9], -1
                                        ; implicit-def: $sgpr0_sgpr1
	s_branch .LBB223_357
.LBB223_349:
	s_mov_b64 s[8:9], -1
                                        ; implicit-def: $sgpr0_sgpr1
	s_branch .LBB223_354
.LBB223_350:
	s_mov_b64 s[8:9], -1
                                        ; implicit-def: $sgpr0_sgpr1
.LBB223_351:
	s_andn2_b64 vcc, exec, s[8:9]
	s_cbranch_vccnz .LBB223_353
; %bb.352:
	global_load_dwordx2 v[3:4], v[1:2], off
	s_andn2_b64 s[0:1], s[0:1], exec
	s_waitcnt vmcnt(0)
	v_or_b32_e32 v3, v3, v4
	v_and_b32_e32 v3, 0x7fffffff, v3
	v_cmp_ne_u32_e32 vcc, 0, v3
	s_and_b64 s[8:9], vcc, exec
	s_or_b64 s[0:1], s[0:1], s[8:9]
.LBB223_353:
	s_mov_b64 s[8:9], 0
.LBB223_354:
	s_andn2_b64 vcc, exec, s[8:9]
	s_cbranch_vccnz .LBB223_356
; %bb.355:
	global_load_dword v3, v[1:2], off
	s_andn2_b64 s[0:1], s[0:1], exec
	s_waitcnt vmcnt(0)
	v_and_b32_e32 v3, 0x7fff7fff, v3
	v_cmp_ne_u32_e32 vcc, 0, v3
	s_and_b64 s[8:9], vcc, exec
	s_or_b64 s[0:1], s[0:1], s[8:9]
.LBB223_356:
	s_mov_b64 s[8:9], 0
.LBB223_357:
	s_andn2_b64 vcc, exec, s[8:9]
	s_cbranch_vccnz .LBB223_368
; %bb.358:
	s_cmp_lt_i32 s12, 6
	s_cbranch_scc1 .LBB223_361
; %bb.359:
	s_cmp_gt_i32 s12, 6
	s_cbranch_scc0 .LBB223_362
; %bb.360:
	global_load_dwordx2 v[3:4], v[1:2], off
	s_mov_b64 s[8:9], 0
	s_waitcnt vmcnt(0)
	v_cmp_neq_f64_e64 s[0:1], 0, v[3:4]
	s_branch .LBB223_363
.LBB223_361:
	s_mov_b64 s[8:9], -1
                                        ; implicit-def: $sgpr0_sgpr1
	s_branch .LBB223_366
.LBB223_362:
	s_mov_b64 s[8:9], -1
                                        ; implicit-def: $sgpr0_sgpr1
.LBB223_363:
	s_andn2_b64 vcc, exec, s[8:9]
	s_cbranch_vccnz .LBB223_365
; %bb.364:
	global_load_dword v3, v[1:2], off
	s_andn2_b64 s[0:1], s[0:1], exec
	s_waitcnt vmcnt(0)
	v_cmp_neq_f32_e32 vcc, 0, v3
	s_and_b64 s[8:9], vcc, exec
	s_or_b64 s[0:1], s[0:1], s[8:9]
.LBB223_365:
	s_mov_b64 s[8:9], 0
.LBB223_366:
	s_andn2_b64 vcc, exec, s[8:9]
	s_cbranch_vccnz .LBB223_368
; %bb.367:
	global_load_ushort v3, v[1:2], off
	s_andn2_b64 s[0:1], s[0:1], exec
	s_waitcnt vmcnt(0)
	v_and_b32_e32 v3, 0x7fff, v3
	v_cmp_ne_u16_e32 vcc, 0, v3
	s_and_b64 s[8:9], vcc, exec
	s_or_b64 s[0:1], s[0:1], s[8:9]
.LBB223_368:
	s_mov_b64 s[8:9], 0
.LBB223_369:
	s_andn2_b64 vcc, exec, s[8:9]
	s_cbranch_vccnz .LBB223_389
; %bb.370:
	s_cmp_lt_i32 s12, 2
	s_cbranch_scc1 .LBB223_374
; %bb.371:
	s_cmp_lt_i32 s12, 3
	s_cbranch_scc1 .LBB223_375
; %bb.372:
	s_cmp_gt_i32 s12, 3
	s_cbranch_scc0 .LBB223_376
; %bb.373:
	global_load_dwordx2 v[3:4], v[1:2], off
	s_mov_b64 s[8:9], 0
	s_waitcnt vmcnt(0)
	v_cmp_ne_u64_e64 s[0:1], 0, v[3:4]
	s_branch .LBB223_377
.LBB223_374:
	s_mov_b64 s[8:9], -1
                                        ; implicit-def: $sgpr0_sgpr1
	s_branch .LBB223_383
.LBB223_375:
	s_mov_b64 s[8:9], -1
                                        ; implicit-def: $sgpr0_sgpr1
	s_branch .LBB223_380
.LBB223_376:
	s_mov_b64 s[8:9], -1
                                        ; implicit-def: $sgpr0_sgpr1
.LBB223_377:
	s_andn2_b64 vcc, exec, s[8:9]
	s_cbranch_vccnz .LBB223_379
; %bb.378:
	global_load_dword v3, v[1:2], off
	s_andn2_b64 s[0:1], s[0:1], exec
	s_waitcnt vmcnt(0)
	v_cmp_ne_u32_e32 vcc, 0, v3
	s_and_b64 s[8:9], vcc, exec
	s_or_b64 s[0:1], s[0:1], s[8:9]
.LBB223_379:
	s_mov_b64 s[8:9], 0
.LBB223_380:
	s_andn2_b64 vcc, exec, s[8:9]
	s_cbranch_vccnz .LBB223_382
; %bb.381:
	global_load_ushort v3, v[1:2], off
	s_andn2_b64 s[0:1], s[0:1], exec
	s_waitcnt vmcnt(0)
	v_cmp_ne_u16_e32 vcc, 0, v3
	s_and_b64 s[8:9], vcc, exec
	s_or_b64 s[0:1], s[0:1], s[8:9]
.LBB223_382:
	s_mov_b64 s[8:9], 0
.LBB223_383:
	s_andn2_b64 vcc, exec, s[8:9]
	s_cbranch_vccnz .LBB223_389
; %bb.384:
	s_cmp_gt_i32 s12, 0
	s_cbranch_scc0 .LBB223_386
; %bb.385:
	global_load_ubyte v3, v[1:2], off
	s_mov_b64 s[8:9], 0
	s_waitcnt vmcnt(0)
	v_cmp_ne_u16_e64 s[0:1], 0, v3
	s_branch .LBB223_387
.LBB223_386:
	s_mov_b64 s[8:9], -1
                                        ; implicit-def: $sgpr0_sgpr1
.LBB223_387:
	s_andn2_b64 vcc, exec, s[8:9]
	s_cbranch_vccnz .LBB223_389
; %bb.388:
	global_load_ubyte v1, v[1:2], off
	s_andn2_b64 s[0:1], s[0:1], exec
	s_waitcnt vmcnt(0)
	v_cmp_ne_u16_e32 vcc, 0, v1
	s_and_b64 s[8:9], vcc, exec
	s_or_b64 s[0:1], s[0:1], s[8:9]
.LBB223_389:
	s_branch .LBB223_275
.LBB223_390:
	s_mov_b64 s[8:9], 0
	s_mov_b64 s[0:1], s[54:55]
                                        ; implicit-def: $vgpr8
	s_branch .LBB223_502
.LBB223_391:
	s_mov_b64 s[10:11], -1
	s_mov_b64 s[8:9], 0
	s_mov_b64 s[0:1], s[54:55]
.LBB223_392:
	s_and_b64 vcc, exec, s[10:11]
	s_cbranch_vccz .LBB223_397
; %bb.393:
	s_cmp_eq_u32 s15, 44
	s_mov_b64 s[0:1], -1
	s_cbranch_scc0 .LBB223_397
; %bb.394:
	v_cndmask_b32_e64 v3, 0, 1.0, s[2:3]
	v_lshrrev_b32_e32 v2, 23, v3
	s_movk_i32 s0, 0xff
	v_cmp_ne_u32_e32 vcc, s0, v2
	v_mov_b32_e32 v4, 0xff
	s_and_saveexec_b64 s[8:9], vcc
; %bb.395:
	s_mov_b32 s0, 0x3fffff
	v_and_b32_e32 v4, 0x400000, v3
	v_and_or_b32 v3, v3, s0, v2
	v_cmp_ne_u32_e32 vcc, 0, v4
	v_cmp_ne_u32_e64 s[0:1], 0, v3
	s_and_b64 s[0:1], vcc, s[0:1]
	v_cndmask_b32_e64 v3, 0, 1, s[0:1]
	v_add_u32_e32 v4, v2, v3
; %bb.396:
	s_or_b64 exec, exec, s[8:9]
	s_mov_b64 s[8:9], -1
	s_mov_b64 s[0:1], 0
	global_store_byte v[0:1], v4, off
.LBB223_397:
	s_mov_b64 s[10:11], 0
.LBB223_398:
	s_and_b64 vcc, exec, s[10:11]
	s_cbranch_vccz .LBB223_401
; %bb.399:
	s_cmp_eq_u32 s15, 29
	s_mov_b64 s[0:1], -1
	s_cbranch_scc0 .LBB223_401
; %bb.400:
	s_mov_b32 s0, 0
	v_cndmask_b32_e64 v2, 0, 1, s[2:3]
	v_mov_b32_e32 v3, s0
	global_store_dwordx2 v[0:1], v[2:3], off
	s_mov_b64 s[8:9], -1
	s_mov_b64 s[0:1], 0
.LBB223_401:
	s_mov_b64 s[10:11], 0
.LBB223_402:
	s_and_b64 vcc, exec, s[10:11]
	s_cbranch_vccz .LBB223_418
; %bb.403:
	s_cmp_lt_i32 s15, 27
	s_mov_b64 s[8:9], -1
	s_cbranch_scc1 .LBB223_409
; %bb.404:
	s_cmp_gt_i32 s15, 27
	s_cbranch_scc0 .LBB223_406
; %bb.405:
	v_cndmask_b32_e64 v2, 0, 1, s[2:3]
	s_mov_b64 s[8:9], 0
	global_store_dword v[0:1], v2, off
.LBB223_406:
	s_andn2_b64 vcc, exec, s[8:9]
	s_cbranch_vccnz .LBB223_408
; %bb.407:
	v_cndmask_b32_e64 v2, 0, 1, s[2:3]
	global_store_short v[0:1], v2, off
.LBB223_408:
	s_mov_b64 s[8:9], 0
.LBB223_409:
	s_andn2_b64 vcc, exec, s[8:9]
	s_cbranch_vccnz .LBB223_417
; %bb.410:
	v_cndmask_b32_e64 v3, 0, 1.0, s[2:3]
	s_mov_b32 s8, 0x43800000
	v_cmp_gt_u32_e32 vcc, s8, v3
	v_mov_b32_e32 v4, 0x80
	s_and_saveexec_b64 s[8:9], vcc
	s_cbranch_execz .LBB223_416
; %bb.411:
	s_mov_b32 s10, 0x3bffffff
	v_cmp_lt_u32_e32 vcc, s10, v3
	s_mov_b64 s[10:11], 0
                                        ; implicit-def: $vgpr2
	s_and_saveexec_b64 s[12:13], vcc
	s_xor_b64 s[12:13], exec, s[12:13]
	s_cbranch_execz .LBB223_531
; %bb.412:
	v_bfe_u32 v2, v3, 20, 1
	s_mov_b32 s16, 0x487ffff
	v_add3_u32 v2, v3, v2, s16
	s_mov_b64 s[10:11], exec
	v_lshrrev_b32_e32 v2, 20, v2
                                        ; implicit-def: $vgpr3
	s_andn2_saveexec_b64 s[12:13], s[12:13]
	s_cbranch_execnz .LBB223_532
.LBB223_413:
	s_or_b64 exec, exec, s[12:13]
	v_mov_b32_e32 v4, 0
	s_and_saveexec_b64 s[12:13], s[10:11]
.LBB223_414:
	v_mov_b32_e32 v4, v2
.LBB223_415:
	s_or_b64 exec, exec, s[12:13]
.LBB223_416:
	s_or_b64 exec, exec, s[8:9]
	global_store_byte v[0:1], v4, off
.LBB223_417:
	s_mov_b64 s[8:9], -1
.LBB223_418:
	s_mov_b64 s[10:11], 0
.LBB223_419:
	s_and_b64 vcc, exec, s[10:11]
	s_cbranch_vccz .LBB223_460
; %bb.420:
	s_cmp_gt_i32 s15, 22
	s_mov_b64 s[10:11], -1
	s_cbranch_scc0 .LBB223_452
; %bb.421:
	s_cmp_lt_i32 s15, 24
	s_mov_b64 s[8:9], -1
	s_cbranch_scc1 .LBB223_441
; %bb.422:
	s_cmp_gt_i32 s15, 24
	s_cbranch_scc0 .LBB223_430
; %bb.423:
	v_cndmask_b32_e64 v3, 0, 1.0, s[2:3]
	s_mov_b32 s8, 0x47800000
	v_cmp_gt_u32_e32 vcc, s8, v3
	v_mov_b32_e32 v4, 0x80
	s_and_saveexec_b64 s[8:9], vcc
	s_cbranch_execz .LBB223_429
; %bb.424:
	s_mov_b32 s10, 0x37ffffff
	v_cmp_lt_u32_e32 vcc, s10, v3
	s_mov_b64 s[10:11], 0
                                        ; implicit-def: $vgpr2
	s_and_saveexec_b64 s[12:13], vcc
	s_xor_b64 s[12:13], exec, s[12:13]
	s_cbranch_execz .LBB223_534
; %bb.425:
	v_bfe_u32 v2, v3, 21, 1
	s_mov_b32 s16, 0x88fffff
	v_add3_u32 v2, v3, v2, s16
	s_mov_b64 s[10:11], exec
	v_lshrrev_b32_e32 v2, 21, v2
                                        ; implicit-def: $vgpr3
	s_andn2_saveexec_b64 s[12:13], s[12:13]
	s_cbranch_execnz .LBB223_535
.LBB223_426:
	s_or_b64 exec, exec, s[12:13]
	v_mov_b32_e32 v4, 0
	s_and_saveexec_b64 s[12:13], s[10:11]
.LBB223_427:
	v_mov_b32_e32 v4, v2
.LBB223_428:
	s_or_b64 exec, exec, s[12:13]
.LBB223_429:
	s_or_b64 exec, exec, s[8:9]
	s_mov_b64 s[8:9], 0
	global_store_byte v[0:1], v4, off
.LBB223_430:
	s_and_b64 vcc, exec, s[8:9]
	s_cbranch_vccz .LBB223_440
; %bb.431:
	v_cndmask_b32_e64 v2, 0, 1.0, s[2:3]
	s_mov_b32 s8, 0x43f00000
	v_cmp_gt_u32_e32 vcc, s8, v2
                                        ; implicit-def: $vgpr3
	s_and_saveexec_b64 s[8:9], vcc
	s_xor_b64 s[8:9], exec, s[8:9]
	s_cbranch_execz .LBB223_437
; %bb.432:
	s_mov_b32 s10, 0x3c7fffff
	v_cmp_lt_u32_e32 vcc, s10, v2
                                        ; implicit-def: $vgpr3
	s_and_saveexec_b64 s[10:11], vcc
	s_xor_b64 s[10:11], exec, s[10:11]
; %bb.433:
	v_bfe_u32 v3, v2, 20, 1
	s_mov_b32 s12, 0x407ffff
	v_add3_u32 v2, v2, v3, s12
	v_lshrrev_b32_e32 v3, 20, v2
	v_and_b32_e32 v2, 0xff00000, v2
	s_mov_b32 s12, 0x7f00000
	v_mov_b32_e32 v4, 0x7e
	v_cmp_ne_u32_e32 vcc, s12, v2
	v_cndmask_b32_e32 v3, v4, v3, vcc
                                        ; implicit-def: $vgpr2
; %bb.434:
	s_andn2_saveexec_b64 s[10:11], s[10:11]
; %bb.435:
	v_add_f32_e32 v3, 0x46800000, v2
; %bb.436:
	s_or_b64 exec, exec, s[10:11]
                                        ; implicit-def: $vgpr2
.LBB223_437:
	s_andn2_saveexec_b64 s[8:9], s[8:9]
; %bb.438:
	s_mov_b32 s10, 0x7f800000
	v_mov_b32_e32 v3, 0x7e
	v_mov_b32_e32 v4, 0x7f
	v_cmp_lt_u32_e32 vcc, s10, v2
	v_cndmask_b32_e32 v3, v3, v4, vcc
; %bb.439:
	s_or_b64 exec, exec, s[8:9]
	global_store_byte v[0:1], v3, off
.LBB223_440:
	s_mov_b64 s[8:9], 0
.LBB223_441:
	s_andn2_b64 vcc, exec, s[8:9]
	s_cbranch_vccnz .LBB223_451
; %bb.442:
	v_cndmask_b32_e64 v2, 0, 1.0, s[2:3]
	s_mov_b32 s8, 0x47800000
	v_cmp_gt_u32_e32 vcc, s8, v2
                                        ; implicit-def: $vgpr3
	s_and_saveexec_b64 s[8:9], vcc
	s_xor_b64 s[8:9], exec, s[8:9]
	s_cbranch_execz .LBB223_448
; %bb.443:
	s_mov_b32 s10, 0x387fffff
	v_cmp_lt_u32_e32 vcc, s10, v2
                                        ; implicit-def: $vgpr3
	s_and_saveexec_b64 s[10:11], vcc
	s_xor_b64 s[10:11], exec, s[10:11]
; %bb.444:
	v_bfe_u32 v3, v2, 21, 1
	s_mov_b32 s12, 0x80fffff
	v_add3_u32 v2, v2, v3, s12
	v_lshrrev_b32_e32 v3, 21, v2
                                        ; implicit-def: $vgpr2
; %bb.445:
	s_andn2_saveexec_b64 s[10:11], s[10:11]
; %bb.446:
	v_add_f32_e32 v3, 0x43000000, v2
; %bb.447:
	s_or_b64 exec, exec, s[10:11]
                                        ; implicit-def: $vgpr2
.LBB223_448:
	s_andn2_saveexec_b64 s[8:9], s[8:9]
; %bb.449:
	s_mov_b32 s10, 0x7f800000
	v_mov_b32_e32 v3, 0x7c
	v_mov_b32_e32 v4, 0x7f
	v_cmp_lt_u32_e32 vcc, s10, v2
	v_cndmask_b32_e32 v3, v3, v4, vcc
; %bb.450:
	s_or_b64 exec, exec, s[8:9]
	global_store_byte v[0:1], v3, off
.LBB223_451:
	s_mov_b64 s[10:11], 0
	s_mov_b64 s[8:9], -1
.LBB223_452:
	s_andn2_b64 vcc, exec, s[10:11]
	s_cbranch_vccnz .LBB223_460
; %bb.453:
	s_cmp_gt_i32 s15, 14
	s_mov_b64 s[10:11], -1
	s_cbranch_scc0 .LBB223_457
; %bb.454:
	s_cmp_eq_u32 s15, 15
	s_mov_b64 s[0:1], -1
	s_cbranch_scc0 .LBB223_456
; %bb.455:
	v_cndmask_b32_e64 v2, 0, 1.0, s[2:3]
	v_bfe_u32 v3, v2, 16, 1
	s_movk_i32 s0, 0x7fff
	v_add3_u32 v2, v2, v3, s0
	global_store_short_d16_hi v[0:1], v2, off
	s_mov_b64 s[8:9], -1
	s_mov_b64 s[0:1], 0
.LBB223_456:
	s_mov_b64 s[10:11], 0
.LBB223_457:
	s_and_b64 vcc, exec, s[10:11]
	s_cbranch_vccz .LBB223_460
; %bb.458:
	s_cmp_eq_u32 s15, 11
	s_mov_b64 s[0:1], -1
	s_cbranch_scc0 .LBB223_460
; %bb.459:
	v_cndmask_b32_e64 v2, 0, 1, s[2:3]
	s_mov_b64 s[8:9], -1
	s_mov_b64 s[0:1], 0
	global_store_byte v[0:1], v2, off
.LBB223_460:
	s_mov_b64 s[10:11], 0
.LBB223_461:
	s_and_b64 vcc, exec, s[10:11]
	s_cbranch_vccz .LBB223_500
; %bb.462:
	s_and_b32 s10, 0xffff, s14
	s_cmp_lt_i32 s10, 5
	s_mov_b64 s[8:9], -1
	s_cbranch_scc1 .LBB223_483
; %bb.463:
	s_cmp_lt_i32 s10, 8
	s_cbranch_scc1 .LBB223_473
; %bb.464:
	s_cmp_lt_i32 s10, 9
	s_cbranch_scc1 .LBB223_470
; %bb.465:
	s_cmp_gt_i32 s10, 9
	s_cbranch_scc0 .LBB223_467
; %bb.466:
	v_cndmask_b32_e64 v2, 0, 1, s[2:3]
	v_cvt_f64_u32_e32 v[2:3], v2
	v_mov_b32_e32 v4, 0
	v_mov_b32_e32 v5, v4
	s_mov_b64 s[8:9], 0
	global_store_dwordx4 v[0:1], v[2:5], off
.LBB223_467:
	s_andn2_b64 vcc, exec, s[8:9]
	s_cbranch_vccnz .LBB223_469
; %bb.468:
	v_cndmask_b32_e64 v2, 0, 1.0, s[2:3]
	v_mov_b32_e32 v3, 0
	global_store_dwordx2 v[0:1], v[2:3], off
.LBB223_469:
	s_mov_b64 s[8:9], 0
.LBB223_470:
	s_andn2_b64 vcc, exec, s[8:9]
	s_cbranch_vccnz .LBB223_472
; %bb.471:
	v_cndmask_b32_e64 v2, 0, 1.0, s[2:3]
	v_cvt_f16_f32_e32 v2, v2
	global_store_dword v[0:1], v2, off
.LBB223_472:
	s_mov_b64 s[8:9], 0
.LBB223_473:
	s_andn2_b64 vcc, exec, s[8:9]
	s_cbranch_vccnz .LBB223_482
; %bb.474:
	s_cmp_lt_i32 s10, 6
	s_mov_b64 s[8:9], -1
	s_cbranch_scc1 .LBB223_480
; %bb.475:
	s_cmp_gt_i32 s10, 6
	s_cbranch_scc0 .LBB223_477
; %bb.476:
	v_cndmask_b32_e64 v2, 0, 1, s[2:3]
	v_cvt_f64_u32_e32 v[2:3], v2
	s_mov_b64 s[8:9], 0
	global_store_dwordx2 v[0:1], v[2:3], off
.LBB223_477:
	s_andn2_b64 vcc, exec, s[8:9]
	s_cbranch_vccnz .LBB223_479
; %bb.478:
	v_cndmask_b32_e64 v2, 0, 1.0, s[2:3]
	global_store_dword v[0:1], v2, off
.LBB223_479:
	s_mov_b64 s[8:9], 0
.LBB223_480:
	s_andn2_b64 vcc, exec, s[8:9]
	s_cbranch_vccnz .LBB223_482
; %bb.481:
	v_cndmask_b32_e64 v2, 0, 1.0, s[2:3]
	v_cvt_f16_f32_e32 v2, v2
	global_store_short v[0:1], v2, off
.LBB223_482:
	s_mov_b64 s[8:9], 0
.LBB223_483:
	s_andn2_b64 vcc, exec, s[8:9]
	s_cbranch_vccnz .LBB223_499
; %bb.484:
	s_cmp_lt_i32 s10, 2
	s_mov_b64 s[8:9], -1
	s_cbranch_scc1 .LBB223_494
; %bb.485:
	s_cmp_lt_i32 s10, 3
	s_cbranch_scc1 .LBB223_491
; %bb.486:
	s_cmp_gt_i32 s10, 3
	s_cbranch_scc0 .LBB223_488
; %bb.487:
	s_mov_b32 s8, 0
	v_cndmask_b32_e64 v2, 0, 1, s[2:3]
	v_mov_b32_e32 v3, s8
	s_mov_b64 s[8:9], 0
	global_store_dwordx2 v[0:1], v[2:3], off
.LBB223_488:
	s_andn2_b64 vcc, exec, s[8:9]
	s_cbranch_vccnz .LBB223_490
; %bb.489:
	v_cndmask_b32_e64 v2, 0, 1, s[2:3]
	global_store_dword v[0:1], v2, off
.LBB223_490:
	s_mov_b64 s[8:9], 0
.LBB223_491:
	s_andn2_b64 vcc, exec, s[8:9]
	s_cbranch_vccnz .LBB223_493
; %bb.492:
	v_cndmask_b32_e64 v2, 0, 1, s[2:3]
	global_store_short v[0:1], v2, off
.LBB223_493:
	s_mov_b64 s[8:9], 0
.LBB223_494:
	s_andn2_b64 vcc, exec, s[8:9]
	s_cbranch_vccnz .LBB223_499
; %bb.495:
	s_mov_b64 s[8:9], -1
	s_cmp_gt_i32 s10, 0
	v_cndmask_b32_e64 v2, 0, 1, s[2:3]
	s_cbranch_scc0 .LBB223_497
; %bb.496:
	s_mov_b64 s[8:9], 0
	global_store_byte v[0:1], v2, off
.LBB223_497:
	s_andn2_b64 vcc, exec, s[8:9]
	s_cbranch_vccnz .LBB223_499
; %bb.498:
	global_store_byte v[0:1], v2, off
.LBB223_499:
	s_mov_b64 s[8:9], -1
.LBB223_500:
	s_mov_b64 s[2:3], 0
	s_andn2_b64 vcc, exec, s[8:9]
	s_mov_b64 s[8:9], 0
	s_cbranch_vccnz .LBB223_502
; %bb.501:
	v_add_u32_e32 v8, 0x80, v8
	s_mov_b64 s[8:9], -1
.LBB223_502:
	s_andn2_b64 s[10:11], s[54:55], exec
	s_and_b64 s[0:1], s[0:1], exec
	s_or_b64 s[62:63], s[10:11], s[0:1]
	s_andn2_b64 s[0:1], s[56:57], exec
	s_and_b64 s[2:3], s[2:3], exec
	s_or_b64 s[60:61], s[0:1], s[2:3]
	s_orn2_b64 s[12:13], s[8:9], exec
.LBB223_503:
	s_or_b64 exec, exec, s[64:65]
	s_mov_b64 s[2:3], 0
	s_mov_b64 s[0:1], 0
	;; [unrolled: 1-line block ×3, first 2 shown]
                                        ; implicit-def: $sgpr10_sgpr11
                                        ; implicit-def: $vgpr1_vgpr2
                                        ; implicit-def: $vgpr0
	s_and_saveexec_b64 s[64:65], s[12:13]
	s_cbranch_execz .LBB223_840
; %bb.504:
	v_cmp_gt_i32_e32 vcc, s72, v8
	s_mov_b64 s[12:13], -1
	s_mov_b64 s[68:69], s[60:61]
	s_mov_b64 s[70:71], s[62:63]
	s_and_saveexec_b64 s[66:67], vcc
	s_cbranch_execz .LBB223_758
; %bb.505:
	s_andn2_b64 vcc, exec, s[40:41]
	s_cbranch_vccnz .LBB223_510
; %bb.506:
	s_andn2_b64 vcc, exec, s[52:53]
	s_cbranch_vccnz .LBB223_511
; %bb.507:
	s_add_i32 s78, s77, 1
	s_cmp_eq_u32 s74, 2
	s_cbranch_scc1 .LBB223_512
; %bb.508:
	s_and_b32 s73, s78, 28
	v_mov_b32_e32 v2, 0
	s_mov_b32 s79, 0
	s_mov_b64 s[68:69], s[34:35]
	s_mov_b64 s[70:71], s[50:51]
	v_mov_b32_e32 v0, 0
	v_mov_b32_e32 v1, v8
.LBB223_509:                            ; =>This Inner Loop Header: Depth=1
	s_load_dwordx8 s[16:23], s[68:69], 0x4
	s_load_dwordx4 s[0:3], s[68:69], 0x24
	s_load_dwordx8 s[8:15], s[70:71], 0x0
	s_add_u32 s68, s68, 48
	s_addc_u32 s69, s69, 0
	s_waitcnt lgkmcnt(0)
	v_mul_hi_u32 v3, s17, v1
	s_add_i32 s79, s79, 4
	s_add_u32 s70, s70, 32
	s_addc_u32 s71, s71, 0
	v_add_u32_e32 v3, v1, v3
	v_lshrrev_b32_e32 v3, s18, v3
	v_mul_lo_u32 v4, v3, s16
	v_mul_hi_u32 v5, s20, v3
	s_cmp_eq_u32 s73, s79
	v_sub_u32_e32 v1, v1, v4
	v_add_u32_e32 v4, v3, v5
	v_mul_lo_u32 v5, v1, s8
	v_mul_lo_u32 v6, v1, s9
	v_lshrrev_b32_e32 v1, s21, v4
	v_mul_lo_u32 v4, v1, s19
	v_mul_hi_u32 v7, s23, v1
	v_sub_u32_e32 v3, v3, v4
	v_add_u32_e32 v4, v1, v7
	v_lshrrev_b32_e32 v4, s0, v4
	v_mul_hi_u32 v9, s2, v4
	v_mul_lo_u32 v10, v4, s22
	v_mul_lo_u32 v7, v3, s10
	;; [unrolled: 1-line block ×3, first 2 shown]
	v_sub_u32_e32 v10, v1, v10
	v_add_u32_e32 v1, v4, v9
	v_lshrrev_b32_e32 v1, s3, v1
	v_mul_lo_u32 v9, v1, s1
	v_mul_lo_u32 v11, v10, s12
	;; [unrolled: 1-line block ×3, first 2 shown]
	v_add3_u32 v0, v5, v0, v7
	v_sub_u32_e32 v4, v4, v9
	v_mul_lo_u32 v9, v4, s14
	v_mul_lo_u32 v4, v4, s15
	v_add3_u32 v2, v6, v2, v3
	v_add3_u32 v0, v11, v0, v9
	v_add3_u32 v2, v10, v2, v4
	s_cbranch_scc0 .LBB223_509
	s_branch .LBB223_513
.LBB223_510:
	s_mov_b64 s[0:1], -1
                                        ; implicit-def: $vgpr0
                                        ; implicit-def: $vgpr2
	s_branch .LBB223_517
.LBB223_511:
	v_mov_b32_e32 v0, 0
	v_mov_b32_e32 v2, 0
	s_branch .LBB223_516
.LBB223_512:
	s_mov_b32 s73, 0
	v_mov_b32_e32 v0, 0
	v_mov_b32_e32 v2, 0
	;; [unrolled: 1-line block ×3, first 2 shown]
.LBB223_513:
	s_and_b32 s8, s78, 3
	s_cmp_eq_u32 s8, 0
	s_cbranch_scc1 .LBB223_516
; %bb.514:
	s_lshl_b32 s0, s73, 3
	s_add_u32 s0, s34, s0
	s_addc_u32 s1, s35, 0
	s_add_u32 s0, s0, 0xc4
	s_addc_u32 s1, s1, 0
	s_mul_i32 s2, s73, 12
	s_add_u32 s2, s34, s2
	s_addc_u32 s3, s35, 0
.LBB223_515:                            ; =>This Inner Loop Header: Depth=1
	s_load_dwordx2 s[10:11], s[2:3], 0x4
	s_load_dword s9, s[2:3], 0xc
	s_load_dwordx2 s[12:13], s[0:1], 0x0
	s_add_u32 s2, s2, 12
	s_addc_u32 s3, s3, 0
	s_waitcnt lgkmcnt(0)
	v_mul_hi_u32 v3, s11, v1
	s_add_u32 s0, s0, 8
	s_addc_u32 s1, s1, 0
	s_add_i32 s8, s8, -1
	v_add_u32_e32 v3, v1, v3
	v_lshrrev_b32_e32 v4, s9, v3
	v_mul_lo_u32 v3, v4, s10
	s_cmp_lg_u32 s8, 0
	v_sub_u32_e32 v3, v1, v3
	v_mad_u64_u32 v[0:1], s[10:11], v3, s12, v[0:1]
	v_mad_u64_u32 v[2:3], s[10:11], v3, s13, v[2:3]
	v_mov_b32_e32 v1, v4
	s_cbranch_scc1 .LBB223_515
.LBB223_516:
	s_mov_b64 s[0:1], 0
.LBB223_517:
	s_andn2_b64 vcc, exec, s[0:1]
	s_cbranch_vccnz .LBB223_520
; %bb.518:
	v_mul_hi_u32 v0, s29, v8
	s_andn2_b64 vcc, exec, s[48:49]
	v_add_u32_e32 v0, v8, v0
	v_lshrrev_b32_e32 v1, s30, v0
	v_mul_lo_u32 v0, v1, s28
	v_sub_u32_e32 v2, v8, v0
	v_mul_lo_u32 v0, v2, s36
	v_mul_lo_u32 v2, v2, s37
	s_cbranch_vccnz .LBB223_520
; %bb.519:
	v_mul_hi_u32 v3, s46, v1
	v_add_u32_e32 v3, v1, v3
	v_lshrrev_b32_e32 v3, s47, v3
	v_mul_lo_u32 v3, v3, s31
	v_sub_u32_e32 v3, v1, v3
	v_mad_u64_u32 v[0:1], s[0:1], v3, s38, v[0:1]
	v_mad_u64_u32 v[2:3], s[0:1], v3, s39, v[2:3]
.LBB223_520:
	v_mov_b32_e32 v3, s27
	s_and_b32 s12, 0xffff, s76
	v_add_co_u32_e32 v1, vcc, s26, v2
	s_cmp_lt_i32 s12, 11
	v_addc_co_u32_e32 v2, vcc, 0, v3, vcc
	s_cbranch_scc1 .LBB223_527
; %bb.521:
	s_cmp_gt_i32 s12, 25
	s_cbranch_scc0 .LBB223_528
; %bb.522:
	s_cmp_gt_i32 s12, 28
	s_cbranch_scc0 .LBB223_529
	;; [unrolled: 3-line block ×4, first 2 shown]
; %bb.525:
	s_cmp_eq_u32 s12, 46
	s_mov_b64 s[10:11], 0
	s_cbranch_scc0 .LBB223_536
; %bb.526:
	global_load_dword v3, v[1:2], off
	s_mov_b64 s[8:9], -1
	s_mov_b64 s[2:3], 0
	s_waitcnt vmcnt(0)
	v_and_b32_e32 v3, 0x7fff7fff, v3
	v_cmp_ne_u32_e64 s[0:1], 0, v3
	s_branch .LBB223_537
.LBB223_527:
	s_mov_b64 s[10:11], -1
	s_mov_b64 s[8:9], 0
                                        ; implicit-def: $sgpr0_sgpr1
	s_mov_b64 s[2:3], s[60:61]
	s_branch .LBB223_584
.LBB223_528:
	s_mov_b64 s[10:11], -1
	s_mov_b64 s[8:9], 0
	s_mov_b64 s[2:3], s[60:61]
                                        ; implicit-def: $sgpr0_sgpr1
	s_branch .LBB223_558
.LBB223_529:
	s_mov_b64 s[10:11], -1
	s_mov_b64 s[8:9], 0
	s_mov_b64 s[2:3], s[60:61]
                                        ; implicit-def: $sgpr0_sgpr1
	s_branch .LBB223_545
.LBB223_530:
	s_mov_b64 s[10:11], -1
	s_mov_b64 s[8:9], 0
	s_mov_b64 s[2:3], s[60:61]
                                        ; implicit-def: $sgpr0_sgpr1
	s_branch .LBB223_540
.LBB223_531:
	s_andn2_saveexec_b64 s[12:13], s[12:13]
	s_cbranch_execz .LBB223_413
.LBB223_532:
	v_add_f32_e32 v2, 0x46000000, v3
	v_and_b32_e32 v2, 0xff, v2
	v_cmp_ne_u32_e32 vcc, 0, v2
	s_andn2_b64 s[10:11], s[10:11], exec
	s_and_b64 s[16:17], vcc, exec
	s_or_b64 s[10:11], s[10:11], s[16:17]
	s_or_b64 exec, exec, s[12:13]
	v_mov_b32_e32 v4, 0
	s_and_saveexec_b64 s[12:13], s[10:11]
	s_cbranch_execnz .LBB223_414
	s_branch .LBB223_415
.LBB223_533:
	s_mov_b64 s[10:11], -1
	s_mov_b64 s[8:9], 0
	s_mov_b64 s[2:3], s[60:61]
                                        ; implicit-def: $sgpr0_sgpr1
	s_branch .LBB223_537
.LBB223_534:
	s_andn2_saveexec_b64 s[12:13], s[12:13]
	s_cbranch_execz .LBB223_426
.LBB223_535:
	v_add_f32_e32 v2, 0x42800000, v3
	v_and_b32_e32 v2, 0xff, v2
	v_cmp_ne_u32_e32 vcc, 0, v2
	s_andn2_b64 s[10:11], s[10:11], exec
	s_and_b64 s[16:17], vcc, exec
	s_or_b64 s[10:11], s[10:11], s[16:17]
	s_or_b64 exec, exec, s[12:13]
	v_mov_b32_e32 v4, 0
	s_and_saveexec_b64 s[12:13], s[10:11]
	s_cbranch_execnz .LBB223_427
	s_branch .LBB223_428
.LBB223_536:
	s_mov_b64 s[2:3], -1
                                        ; implicit-def: $sgpr0_sgpr1
	s_mov_b64 s[8:9], 0
.LBB223_537:
	s_and_b64 vcc, exec, s[10:11]
	s_cbranch_vccz .LBB223_539
; %bb.538:
	s_cmp_eq_u32 s12, 44
	s_cselect_b64 s[8:9], -1, 0
	s_or_b64 s[0:1], s[0:1], exec
	s_or_b64 s[2:3], s[2:3], exec
.LBB223_539:
	s_mov_b64 s[10:11], 0
.LBB223_540:
	s_and_b64 vcc, exec, s[10:11]
	s_cbranch_vccz .LBB223_544
; %bb.541:
	s_cmp_eq_u32 s12, 29
	s_cbranch_scc0 .LBB223_543
; %bb.542:
	global_load_dwordx2 v[3:4], v[1:2], off
	s_mov_b64 s[2:3], 0
	s_mov_b64 s[8:9], -1
	s_mov_b64 s[10:11], 0
	s_waitcnt vmcnt(0)
	v_cmp_ne_u64_e64 s[0:1], 0, v[3:4]
	s_branch .LBB223_545
.LBB223_543:
	s_mov_b64 s[2:3], -1
                                        ; implicit-def: $sgpr0_sgpr1
.LBB223_544:
	s_mov_b64 s[10:11], 0
.LBB223_545:
	s_and_b64 vcc, exec, s[10:11]
	s_cbranch_vccz .LBB223_557
; %bb.546:
	s_cmp_lt_i32 s12, 27
	s_cbranch_scc1 .LBB223_549
; %bb.547:
	s_cmp_gt_i32 s12, 27
	s_cbranch_scc0 .LBB223_550
; %bb.548:
	global_load_dword v3, v[1:2], off
	s_mov_b64 s[8:9], 0
	s_waitcnt vmcnt(0)
	v_cmp_ne_u32_e64 s[0:1], 0, v3
	s_branch .LBB223_551
.LBB223_549:
	s_mov_b64 s[8:9], -1
                                        ; implicit-def: $sgpr0_sgpr1
	s_branch .LBB223_554
.LBB223_550:
	s_mov_b64 s[8:9], -1
                                        ; implicit-def: $sgpr0_sgpr1
.LBB223_551:
	s_andn2_b64 vcc, exec, s[8:9]
	s_cbranch_vccnz .LBB223_553
; %bb.552:
	global_load_ushort v3, v[1:2], off
	s_andn2_b64 s[0:1], s[0:1], exec
	s_waitcnt vmcnt(0)
	v_cmp_ne_u16_e32 vcc, 0, v3
	s_and_b64 s[8:9], vcc, exec
	s_or_b64 s[0:1], s[0:1], s[8:9]
.LBB223_553:
	s_mov_b64 s[8:9], 0
.LBB223_554:
	s_andn2_b64 vcc, exec, s[8:9]
	s_cbranch_vccnz .LBB223_556
; %bb.555:
	global_load_ubyte v3, v[1:2], off
	s_andn2_b64 s[0:1], s[0:1], exec
	s_waitcnt vmcnt(0)
	v_cmp_ne_u16_e32 vcc, 0, v3
	s_and_b64 s[8:9], vcc, exec
	s_or_b64 s[0:1], s[0:1], s[8:9]
.LBB223_556:
	s_mov_b64 s[8:9], -1
.LBB223_557:
	s_mov_b64 s[10:11], 0
.LBB223_558:
	s_and_b64 vcc, exec, s[10:11]
	s_cbranch_vccz .LBB223_583
; %bb.559:
	s_cmp_gt_i32 s12, 22
	s_cbranch_scc0 .LBB223_563
; %bb.560:
	s_cmp_lt_i32 s12, 24
	s_cbranch_scc1 .LBB223_564
; %bb.561:
	s_cmp_gt_i32 s12, 24
	s_cbranch_scc0 .LBB223_565
; %bb.562:
	global_load_ubyte v3, v[1:2], off
	s_mov_b64 s[8:9], 0
	s_waitcnt vmcnt(0)
	v_cmp_ne_u16_e64 s[0:1], 0, v3
	s_branch .LBB223_566
.LBB223_563:
	s_mov_b64 s[10:11], -1
                                        ; implicit-def: $sgpr0_sgpr1
	s_branch .LBB223_572
.LBB223_564:
	s_mov_b64 s[8:9], -1
                                        ; implicit-def: $sgpr0_sgpr1
	s_branch .LBB223_569
.LBB223_565:
	s_mov_b64 s[8:9], -1
                                        ; implicit-def: $sgpr0_sgpr1
.LBB223_566:
	s_andn2_b64 vcc, exec, s[8:9]
	s_cbranch_vccnz .LBB223_568
; %bb.567:
	global_load_ubyte v3, v[1:2], off
	s_andn2_b64 s[0:1], s[0:1], exec
	s_waitcnt vmcnt(0)
	v_and_b32_e32 v3, 0x7f, v3
	v_cmp_ne_u16_e32 vcc, 0, v3
	s_and_b64 s[8:9], vcc, exec
	s_or_b64 s[0:1], s[0:1], s[8:9]
.LBB223_568:
	s_mov_b64 s[8:9], 0
.LBB223_569:
	s_andn2_b64 vcc, exec, s[8:9]
	s_cbranch_vccnz .LBB223_571
; %bb.570:
	global_load_ubyte v3, v[1:2], off
	s_movk_i32 s8, 0x7f00
	s_brev_b32 s9, 16
	s_andn2_b64 s[0:1], s[0:1], exec
	s_waitcnt vmcnt(0)
	v_lshlrev_b32_e32 v4, 8, v3
	v_lshlrev_b32_e32 v3, 25, v3
	v_lshrrev_b32_e32 v5, 4, v3
	v_and_or_b32 v4, v4, s8, 0.5
	v_or_b32_e32 v5, 0x70000000, v5
	v_add_f32_e32 v4, -0.5, v4
	v_mul_f32_e32 v5, 0x7800000, v5
	v_cmp_gt_u32_e32 vcc, s9, v3
	v_cndmask_b32_e32 v3, v5, v4, vcc
	v_cmp_neq_f32_e32 vcc, 0, v3
	s_and_b64 s[8:9], vcc, exec
	s_or_b64 s[0:1], s[0:1], s[8:9]
.LBB223_571:
	s_mov_b64 s[10:11], 0
	s_mov_b64 s[8:9], -1
.LBB223_572:
	s_andn2_b64 vcc, exec, s[10:11]
	s_cbranch_vccnz .LBB223_583
; %bb.573:
	s_cmp_gt_i32 s12, 14
	s_cbranch_scc0 .LBB223_576
; %bb.574:
	s_cmp_eq_u32 s12, 15
	s_cbranch_scc0 .LBB223_577
; %bb.575:
	global_load_ushort v3, v[1:2], off
	s_mov_b64 s[8:9], -1
	s_mov_b64 s[2:3], 0
	s_waitcnt vmcnt(0)
	v_and_b32_e32 v3, 0x7fff, v3
	v_cmp_ne_u16_e64 s[0:1], 0, v3
	s_branch .LBB223_578
.LBB223_576:
	s_mov_b64 s[10:11], -1
                                        ; implicit-def: $sgpr0_sgpr1
	s_branch .LBB223_579
.LBB223_577:
	s_mov_b64 s[2:3], -1
                                        ; implicit-def: $sgpr0_sgpr1
.LBB223_578:
	s_mov_b64 s[10:11], 0
.LBB223_579:
	s_and_b64 vcc, exec, s[10:11]
	s_cbranch_vccz .LBB223_583
; %bb.580:
	s_cmp_eq_u32 s12, 11
	s_cbranch_scc0 .LBB223_582
; %bb.581:
	global_load_ubyte v3, v[1:2], off
	s_mov_b64 s[8:9], -1
	s_mov_b64 s[2:3], 0
	s_waitcnt vmcnt(0)
	v_cmp_ne_u16_e64 s[0:1], 0, v3
	s_branch .LBB223_583
.LBB223_582:
	s_mov_b64 s[2:3], -1
                                        ; implicit-def: $sgpr0_sgpr1
.LBB223_583:
	s_mov_b64 s[10:11], 0
.LBB223_584:
	s_and_b64 vcc, exec, s[10:11]
	s_cbranch_vccz .LBB223_633
; %bb.585:
	s_cmp_lt_i32 s12, 5
	s_cbranch_scc1 .LBB223_590
; %bb.586:
	s_cmp_lt_i32 s12, 8
	s_cbranch_scc1 .LBB223_591
	;; [unrolled: 3-line block ×3, first 2 shown]
; %bb.588:
	s_cmp_gt_i32 s12, 9
	s_cbranch_scc0 .LBB223_593
; %bb.589:
	global_load_dwordx4 v[3:6], v[1:2], off
	s_mov_b64 s[8:9], 0
	s_waitcnt vmcnt(0)
	v_cmp_neq_f64_e32 vcc, 0, v[3:4]
	v_cmp_neq_f64_e64 s[0:1], 0, v[5:6]
	s_or_b64 s[0:1], vcc, s[0:1]
	s_branch .LBB223_594
.LBB223_590:
	s_mov_b64 s[8:9], -1
                                        ; implicit-def: $sgpr0_sgpr1
	s_branch .LBB223_612
.LBB223_591:
	s_mov_b64 s[8:9], -1
                                        ; implicit-def: $sgpr0_sgpr1
	s_branch .LBB223_600
.LBB223_592:
	s_mov_b64 s[8:9], -1
                                        ; implicit-def: $sgpr0_sgpr1
	s_branch .LBB223_597
.LBB223_593:
	s_mov_b64 s[8:9], -1
                                        ; implicit-def: $sgpr0_sgpr1
.LBB223_594:
	s_andn2_b64 vcc, exec, s[8:9]
	s_cbranch_vccnz .LBB223_596
; %bb.595:
	global_load_dwordx2 v[3:4], v[1:2], off
	s_andn2_b64 s[0:1], s[0:1], exec
	s_waitcnt vmcnt(0)
	v_or_b32_e32 v3, v3, v4
	v_and_b32_e32 v3, 0x7fffffff, v3
	v_cmp_ne_u32_e32 vcc, 0, v3
	s_and_b64 s[8:9], vcc, exec
	s_or_b64 s[0:1], s[0:1], s[8:9]
.LBB223_596:
	s_mov_b64 s[8:9], 0
.LBB223_597:
	s_andn2_b64 vcc, exec, s[8:9]
	s_cbranch_vccnz .LBB223_599
; %bb.598:
	global_load_dword v3, v[1:2], off
	s_andn2_b64 s[0:1], s[0:1], exec
	s_waitcnt vmcnt(0)
	v_and_b32_e32 v3, 0x7fff7fff, v3
	v_cmp_ne_u32_e32 vcc, 0, v3
	s_and_b64 s[8:9], vcc, exec
	s_or_b64 s[0:1], s[0:1], s[8:9]
.LBB223_599:
	s_mov_b64 s[8:9], 0
.LBB223_600:
	s_andn2_b64 vcc, exec, s[8:9]
	s_cbranch_vccnz .LBB223_611
; %bb.601:
	s_cmp_lt_i32 s12, 6
	s_cbranch_scc1 .LBB223_604
; %bb.602:
	s_cmp_gt_i32 s12, 6
	s_cbranch_scc0 .LBB223_605
; %bb.603:
	global_load_dwordx2 v[3:4], v[1:2], off
	s_mov_b64 s[8:9], 0
	s_waitcnt vmcnt(0)
	v_cmp_neq_f64_e64 s[0:1], 0, v[3:4]
	s_branch .LBB223_606
.LBB223_604:
	s_mov_b64 s[8:9], -1
                                        ; implicit-def: $sgpr0_sgpr1
	s_branch .LBB223_609
.LBB223_605:
	s_mov_b64 s[8:9], -1
                                        ; implicit-def: $sgpr0_sgpr1
.LBB223_606:
	s_andn2_b64 vcc, exec, s[8:9]
	s_cbranch_vccnz .LBB223_608
; %bb.607:
	global_load_dword v3, v[1:2], off
	s_andn2_b64 s[0:1], s[0:1], exec
	s_waitcnt vmcnt(0)
	v_cmp_neq_f32_e32 vcc, 0, v3
	s_and_b64 s[8:9], vcc, exec
	s_or_b64 s[0:1], s[0:1], s[8:9]
.LBB223_608:
	s_mov_b64 s[8:9], 0
.LBB223_609:
	s_andn2_b64 vcc, exec, s[8:9]
	s_cbranch_vccnz .LBB223_611
; %bb.610:
	global_load_ushort v3, v[1:2], off
	s_andn2_b64 s[0:1], s[0:1], exec
	s_waitcnt vmcnt(0)
	v_and_b32_e32 v3, 0x7fff, v3
	v_cmp_ne_u16_e32 vcc, 0, v3
	s_and_b64 s[8:9], vcc, exec
	s_or_b64 s[0:1], s[0:1], s[8:9]
.LBB223_611:
	s_mov_b64 s[8:9], 0
.LBB223_612:
	s_andn2_b64 vcc, exec, s[8:9]
	s_cbranch_vccnz .LBB223_632
; %bb.613:
	s_cmp_lt_i32 s12, 2
	s_cbranch_scc1 .LBB223_617
; %bb.614:
	s_cmp_lt_i32 s12, 3
	s_cbranch_scc1 .LBB223_618
; %bb.615:
	s_cmp_gt_i32 s12, 3
	s_cbranch_scc0 .LBB223_619
; %bb.616:
	global_load_dwordx2 v[3:4], v[1:2], off
	s_mov_b64 s[8:9], 0
	s_waitcnt vmcnt(0)
	v_cmp_ne_u64_e64 s[0:1], 0, v[3:4]
	s_branch .LBB223_620
.LBB223_617:
	s_mov_b64 s[8:9], -1
                                        ; implicit-def: $sgpr0_sgpr1
	s_branch .LBB223_626
.LBB223_618:
	s_mov_b64 s[8:9], -1
                                        ; implicit-def: $sgpr0_sgpr1
	s_branch .LBB223_623
.LBB223_619:
	s_mov_b64 s[8:9], -1
                                        ; implicit-def: $sgpr0_sgpr1
.LBB223_620:
	s_andn2_b64 vcc, exec, s[8:9]
	s_cbranch_vccnz .LBB223_622
; %bb.621:
	global_load_dword v3, v[1:2], off
	s_andn2_b64 s[0:1], s[0:1], exec
	s_waitcnt vmcnt(0)
	v_cmp_ne_u32_e32 vcc, 0, v3
	s_and_b64 s[8:9], vcc, exec
	s_or_b64 s[0:1], s[0:1], s[8:9]
.LBB223_622:
	s_mov_b64 s[8:9], 0
.LBB223_623:
	s_andn2_b64 vcc, exec, s[8:9]
	s_cbranch_vccnz .LBB223_625
; %bb.624:
	global_load_ushort v3, v[1:2], off
	s_andn2_b64 s[0:1], s[0:1], exec
	s_waitcnt vmcnt(0)
	v_cmp_ne_u16_e32 vcc, 0, v3
	s_and_b64 s[8:9], vcc, exec
	s_or_b64 s[0:1], s[0:1], s[8:9]
.LBB223_625:
	s_mov_b64 s[8:9], 0
.LBB223_626:
	s_andn2_b64 vcc, exec, s[8:9]
	s_cbranch_vccnz .LBB223_632
; %bb.627:
	s_cmp_gt_i32 s12, 0
	s_cbranch_scc0 .LBB223_629
; %bb.628:
	global_load_ubyte v3, v[1:2], off
	s_mov_b64 s[8:9], 0
	s_waitcnt vmcnt(0)
	v_cmp_ne_u16_e64 s[0:1], 0, v3
	s_branch .LBB223_630
.LBB223_629:
	s_mov_b64 s[8:9], -1
                                        ; implicit-def: $sgpr0_sgpr1
.LBB223_630:
	s_andn2_b64 vcc, exec, s[8:9]
	s_cbranch_vccnz .LBB223_632
; %bb.631:
	global_load_ubyte v1, v[1:2], off
	s_andn2_b64 s[0:1], s[0:1], exec
	s_waitcnt vmcnt(0)
	v_cmp_ne_u16_e32 vcc, 0, v1
	s_and_b64 s[8:9], vcc, exec
	s_or_b64 s[0:1], s[0:1], s[8:9]
.LBB223_632:
	s_mov_b64 s[8:9], -1
.LBB223_633:
	s_andn2_b64 vcc, exec, s[8:9]
	s_cbranch_vccnz .LBB223_641
; %bb.634:
	s_xor_b64 s[2:3], s[0:1], s[44:45]
	v_mov_b32_e32 v1, s25
	s_and_b32 s14, s75, 0xff
	v_add_co_u32_e32 v0, vcc, s24, v0
	s_cmp_lt_i32 s14, 11
	v_addc_co_u32_e32 v1, vcc, 0, v1, vcc
	s_cbranch_scc1 .LBB223_642
; %bb.635:
	s_and_b32 s15, 0xffff, s14
	s_cmp_gt_i32 s15, 25
	s_cbranch_scc0 .LBB223_643
; %bb.636:
	s_cmp_gt_i32 s15, 28
	s_cbranch_scc0 .LBB223_644
; %bb.637:
	;; [unrolled: 3-line block ×4, first 2 shown]
	s_mov_b64 s[10:11], 0
	s_mov_b64 s[0:1], -1
	s_cmp_eq_u32 s15, 46
	s_mov_b64 s[8:9], 0
	s_cbranch_scc0 .LBB223_647
; %bb.640:
	v_cndmask_b32_e64 v2, 0, 1.0, s[2:3]
	v_bfe_u32 v3, v2, 16, 1
	s_movk_i32 s0, 0x7fff
	v_add3_u32 v2, v2, v3, s0
	v_lshrrev_b32_e32 v2, 16, v2
	global_store_dword v[0:1], v2, off
	s_mov_b64 s[8:9], -1
	s_mov_b64 s[0:1], 0
	s_branch .LBB223_647
.LBB223_641:
	s_mov_b64 s[8:9], 0
	s_mov_b64 s[0:1], s[62:63]
                                        ; implicit-def: $vgpr8
	s_branch .LBB223_757
.LBB223_642:
	s_mov_b64 s[10:11], -1
	s_mov_b64 s[8:9], 0
	s_mov_b64 s[0:1], s[62:63]
	s_branch .LBB223_716
.LBB223_643:
	s_mov_b64 s[10:11], -1
	s_mov_b64 s[8:9], 0
	s_mov_b64 s[0:1], s[62:63]
	s_branch .LBB223_674
.LBB223_644:
	s_mov_b64 s[10:11], -1
	s_mov_b64 s[8:9], 0
	s_mov_b64 s[0:1], s[62:63]
	s_branch .LBB223_657
.LBB223_645:
	s_mov_b64 s[10:11], -1
	s_mov_b64 s[8:9], 0
	s_mov_b64 s[0:1], s[62:63]
	s_branch .LBB223_653
.LBB223_646:
	s_mov_b64 s[10:11], -1
	s_mov_b64 s[8:9], 0
	s_mov_b64 s[0:1], s[62:63]
.LBB223_647:
	s_and_b64 vcc, exec, s[10:11]
	s_cbranch_vccz .LBB223_652
; %bb.648:
	s_cmp_eq_u32 s15, 44
	s_mov_b64 s[0:1], -1
	s_cbranch_scc0 .LBB223_652
; %bb.649:
	v_cndmask_b32_e64 v3, 0, 1.0, s[2:3]
	v_lshrrev_b32_e32 v2, 23, v3
	s_movk_i32 s0, 0xff
	v_cmp_ne_u32_e32 vcc, s0, v2
	v_mov_b32_e32 v4, 0xff
	s_and_saveexec_b64 s[8:9], vcc
; %bb.650:
	s_mov_b32 s0, 0x3fffff
	v_and_b32_e32 v4, 0x400000, v3
	v_and_or_b32 v3, v3, s0, v2
	v_cmp_ne_u32_e32 vcc, 0, v4
	v_cmp_ne_u32_e64 s[0:1], 0, v3
	s_and_b64 s[0:1], vcc, s[0:1]
	v_cndmask_b32_e64 v3, 0, 1, s[0:1]
	v_add_u32_e32 v4, v2, v3
; %bb.651:
	s_or_b64 exec, exec, s[8:9]
	s_mov_b64 s[8:9], -1
	s_mov_b64 s[0:1], 0
	global_store_byte v[0:1], v4, off
.LBB223_652:
	s_mov_b64 s[10:11], 0
.LBB223_653:
	s_and_b64 vcc, exec, s[10:11]
	s_cbranch_vccz .LBB223_656
; %bb.654:
	s_cmp_eq_u32 s15, 29
	s_mov_b64 s[0:1], -1
	s_cbranch_scc0 .LBB223_656
; %bb.655:
	s_mov_b32 s0, 0
	v_cndmask_b32_e64 v2, 0, 1, s[2:3]
	v_mov_b32_e32 v3, s0
	global_store_dwordx2 v[0:1], v[2:3], off
	s_mov_b64 s[8:9], -1
	s_mov_b64 s[0:1], 0
.LBB223_656:
	s_mov_b64 s[10:11], 0
.LBB223_657:
	s_and_b64 vcc, exec, s[10:11]
	s_cbranch_vccz .LBB223_673
; %bb.658:
	s_cmp_lt_i32 s15, 27
	s_mov_b64 s[8:9], -1
	s_cbranch_scc1 .LBB223_664
; %bb.659:
	s_cmp_gt_i32 s15, 27
	s_cbranch_scc0 .LBB223_661
; %bb.660:
	v_cndmask_b32_e64 v2, 0, 1, s[2:3]
	s_mov_b64 s[8:9], 0
	global_store_dword v[0:1], v2, off
.LBB223_661:
	s_andn2_b64 vcc, exec, s[8:9]
	s_cbranch_vccnz .LBB223_663
; %bb.662:
	v_cndmask_b32_e64 v2, 0, 1, s[2:3]
	global_store_short v[0:1], v2, off
.LBB223_663:
	s_mov_b64 s[8:9], 0
.LBB223_664:
	s_andn2_b64 vcc, exec, s[8:9]
	s_cbranch_vccnz .LBB223_672
; %bb.665:
	v_cndmask_b32_e64 v3, 0, 1.0, s[2:3]
	s_mov_b32 s8, 0x43800000
	v_cmp_gt_u32_e32 vcc, s8, v3
	v_mov_b32_e32 v4, 0x80
	s_and_saveexec_b64 s[8:9], vcc
	s_cbranch_execz .LBB223_671
; %bb.666:
	s_mov_b32 s10, 0x3bffffff
	v_cmp_lt_u32_e32 vcc, s10, v3
	s_mov_b64 s[10:11], 0
                                        ; implicit-def: $vgpr2
	s_and_saveexec_b64 s[12:13], vcc
	s_xor_b64 s[12:13], exec, s[12:13]
	s_cbranch_execz .LBB223_786
; %bb.667:
	v_bfe_u32 v2, v3, 20, 1
	s_mov_b32 s16, 0x487ffff
	v_add3_u32 v2, v3, v2, s16
	s_mov_b64 s[10:11], exec
	v_lshrrev_b32_e32 v2, 20, v2
                                        ; implicit-def: $vgpr3
	s_andn2_saveexec_b64 s[12:13], s[12:13]
	s_cbranch_execnz .LBB223_787
.LBB223_668:
	s_or_b64 exec, exec, s[12:13]
	v_mov_b32_e32 v4, 0
	s_and_saveexec_b64 s[12:13], s[10:11]
.LBB223_669:
	v_mov_b32_e32 v4, v2
.LBB223_670:
	s_or_b64 exec, exec, s[12:13]
.LBB223_671:
	s_or_b64 exec, exec, s[8:9]
	global_store_byte v[0:1], v4, off
.LBB223_672:
	s_mov_b64 s[8:9], -1
.LBB223_673:
	s_mov_b64 s[10:11], 0
.LBB223_674:
	s_and_b64 vcc, exec, s[10:11]
	s_cbranch_vccz .LBB223_715
; %bb.675:
	s_cmp_gt_i32 s15, 22
	s_mov_b64 s[10:11], -1
	s_cbranch_scc0 .LBB223_707
; %bb.676:
	s_cmp_lt_i32 s15, 24
	s_mov_b64 s[8:9], -1
	s_cbranch_scc1 .LBB223_696
; %bb.677:
	s_cmp_gt_i32 s15, 24
	s_cbranch_scc0 .LBB223_685
; %bb.678:
	v_cndmask_b32_e64 v3, 0, 1.0, s[2:3]
	s_mov_b32 s8, 0x47800000
	v_cmp_gt_u32_e32 vcc, s8, v3
	v_mov_b32_e32 v4, 0x80
	s_and_saveexec_b64 s[8:9], vcc
	s_cbranch_execz .LBB223_684
; %bb.679:
	s_mov_b32 s10, 0x37ffffff
	v_cmp_lt_u32_e32 vcc, s10, v3
	s_mov_b64 s[10:11], 0
                                        ; implicit-def: $vgpr2
	s_and_saveexec_b64 s[12:13], vcc
	s_xor_b64 s[12:13], exec, s[12:13]
	s_cbranch_execz .LBB223_789
; %bb.680:
	v_bfe_u32 v2, v3, 21, 1
	s_mov_b32 s16, 0x88fffff
	v_add3_u32 v2, v3, v2, s16
	s_mov_b64 s[10:11], exec
	v_lshrrev_b32_e32 v2, 21, v2
                                        ; implicit-def: $vgpr3
	s_andn2_saveexec_b64 s[12:13], s[12:13]
	s_cbranch_execnz .LBB223_790
.LBB223_681:
	s_or_b64 exec, exec, s[12:13]
	v_mov_b32_e32 v4, 0
	s_and_saveexec_b64 s[12:13], s[10:11]
.LBB223_682:
	v_mov_b32_e32 v4, v2
.LBB223_683:
	s_or_b64 exec, exec, s[12:13]
.LBB223_684:
	s_or_b64 exec, exec, s[8:9]
	s_mov_b64 s[8:9], 0
	global_store_byte v[0:1], v4, off
.LBB223_685:
	s_and_b64 vcc, exec, s[8:9]
	s_cbranch_vccz .LBB223_695
; %bb.686:
	v_cndmask_b32_e64 v2, 0, 1.0, s[2:3]
	s_mov_b32 s8, 0x43f00000
	v_cmp_gt_u32_e32 vcc, s8, v2
                                        ; implicit-def: $vgpr3
	s_and_saveexec_b64 s[8:9], vcc
	s_xor_b64 s[8:9], exec, s[8:9]
	s_cbranch_execz .LBB223_692
; %bb.687:
	s_mov_b32 s10, 0x3c7fffff
	v_cmp_lt_u32_e32 vcc, s10, v2
                                        ; implicit-def: $vgpr3
	s_and_saveexec_b64 s[10:11], vcc
	s_xor_b64 s[10:11], exec, s[10:11]
; %bb.688:
	v_bfe_u32 v3, v2, 20, 1
	s_mov_b32 s12, 0x407ffff
	v_add3_u32 v2, v2, v3, s12
	v_lshrrev_b32_e32 v3, 20, v2
	v_and_b32_e32 v2, 0xff00000, v2
	s_mov_b32 s12, 0x7f00000
	v_mov_b32_e32 v4, 0x7e
	v_cmp_ne_u32_e32 vcc, s12, v2
	v_cndmask_b32_e32 v3, v4, v3, vcc
                                        ; implicit-def: $vgpr2
; %bb.689:
	s_andn2_saveexec_b64 s[10:11], s[10:11]
; %bb.690:
	v_add_f32_e32 v3, 0x46800000, v2
; %bb.691:
	s_or_b64 exec, exec, s[10:11]
                                        ; implicit-def: $vgpr2
.LBB223_692:
	s_andn2_saveexec_b64 s[8:9], s[8:9]
; %bb.693:
	s_mov_b32 s10, 0x7f800000
	v_mov_b32_e32 v3, 0x7e
	v_mov_b32_e32 v4, 0x7f
	v_cmp_lt_u32_e32 vcc, s10, v2
	v_cndmask_b32_e32 v3, v3, v4, vcc
; %bb.694:
	s_or_b64 exec, exec, s[8:9]
	global_store_byte v[0:1], v3, off
.LBB223_695:
	s_mov_b64 s[8:9], 0
.LBB223_696:
	s_andn2_b64 vcc, exec, s[8:9]
	s_cbranch_vccnz .LBB223_706
; %bb.697:
	v_cndmask_b32_e64 v2, 0, 1.0, s[2:3]
	s_mov_b32 s8, 0x47800000
	v_cmp_gt_u32_e32 vcc, s8, v2
                                        ; implicit-def: $vgpr3
	s_and_saveexec_b64 s[8:9], vcc
	s_xor_b64 s[8:9], exec, s[8:9]
	s_cbranch_execz .LBB223_703
; %bb.698:
	s_mov_b32 s10, 0x387fffff
	v_cmp_lt_u32_e32 vcc, s10, v2
                                        ; implicit-def: $vgpr3
	s_and_saveexec_b64 s[10:11], vcc
	s_xor_b64 s[10:11], exec, s[10:11]
; %bb.699:
	v_bfe_u32 v3, v2, 21, 1
	s_mov_b32 s12, 0x80fffff
	v_add3_u32 v2, v2, v3, s12
	v_lshrrev_b32_e32 v3, 21, v2
                                        ; implicit-def: $vgpr2
; %bb.700:
	s_andn2_saveexec_b64 s[10:11], s[10:11]
; %bb.701:
	v_add_f32_e32 v3, 0x43000000, v2
; %bb.702:
	s_or_b64 exec, exec, s[10:11]
                                        ; implicit-def: $vgpr2
.LBB223_703:
	s_andn2_saveexec_b64 s[8:9], s[8:9]
; %bb.704:
	s_mov_b32 s10, 0x7f800000
	v_mov_b32_e32 v3, 0x7c
	v_mov_b32_e32 v4, 0x7f
	v_cmp_lt_u32_e32 vcc, s10, v2
	v_cndmask_b32_e32 v3, v3, v4, vcc
; %bb.705:
	s_or_b64 exec, exec, s[8:9]
	global_store_byte v[0:1], v3, off
.LBB223_706:
	s_mov_b64 s[10:11], 0
	s_mov_b64 s[8:9], -1
.LBB223_707:
	s_andn2_b64 vcc, exec, s[10:11]
	s_cbranch_vccnz .LBB223_715
; %bb.708:
	s_cmp_gt_i32 s15, 14
	s_mov_b64 s[10:11], -1
	s_cbranch_scc0 .LBB223_712
; %bb.709:
	s_cmp_eq_u32 s15, 15
	s_mov_b64 s[0:1], -1
	s_cbranch_scc0 .LBB223_711
; %bb.710:
	v_cndmask_b32_e64 v2, 0, 1.0, s[2:3]
	v_bfe_u32 v3, v2, 16, 1
	s_movk_i32 s0, 0x7fff
	v_add3_u32 v2, v2, v3, s0
	global_store_short_d16_hi v[0:1], v2, off
	s_mov_b64 s[8:9], -1
	s_mov_b64 s[0:1], 0
.LBB223_711:
	s_mov_b64 s[10:11], 0
.LBB223_712:
	s_and_b64 vcc, exec, s[10:11]
	s_cbranch_vccz .LBB223_715
; %bb.713:
	s_cmp_eq_u32 s15, 11
	s_mov_b64 s[0:1], -1
	s_cbranch_scc0 .LBB223_715
; %bb.714:
	v_cndmask_b32_e64 v2, 0, 1, s[2:3]
	s_mov_b64 s[8:9], -1
	s_mov_b64 s[0:1], 0
	global_store_byte v[0:1], v2, off
.LBB223_715:
	s_mov_b64 s[10:11], 0
.LBB223_716:
	s_and_b64 vcc, exec, s[10:11]
	s_cbranch_vccz .LBB223_755
; %bb.717:
	s_and_b32 s10, 0xffff, s14
	s_cmp_lt_i32 s10, 5
	s_mov_b64 s[8:9], -1
	s_cbranch_scc1 .LBB223_738
; %bb.718:
	s_cmp_lt_i32 s10, 8
	s_cbranch_scc1 .LBB223_728
; %bb.719:
	s_cmp_lt_i32 s10, 9
	s_cbranch_scc1 .LBB223_725
; %bb.720:
	s_cmp_gt_i32 s10, 9
	s_cbranch_scc0 .LBB223_722
; %bb.721:
	v_cndmask_b32_e64 v2, 0, 1, s[2:3]
	v_cvt_f64_u32_e32 v[2:3], v2
	v_mov_b32_e32 v4, 0
	v_mov_b32_e32 v5, v4
	s_mov_b64 s[8:9], 0
	global_store_dwordx4 v[0:1], v[2:5], off
.LBB223_722:
	s_andn2_b64 vcc, exec, s[8:9]
	s_cbranch_vccnz .LBB223_724
; %bb.723:
	v_cndmask_b32_e64 v2, 0, 1.0, s[2:3]
	v_mov_b32_e32 v3, 0
	global_store_dwordx2 v[0:1], v[2:3], off
.LBB223_724:
	s_mov_b64 s[8:9], 0
.LBB223_725:
	s_andn2_b64 vcc, exec, s[8:9]
	s_cbranch_vccnz .LBB223_727
; %bb.726:
	v_cndmask_b32_e64 v2, 0, 1.0, s[2:3]
	v_cvt_f16_f32_e32 v2, v2
	global_store_dword v[0:1], v2, off
.LBB223_727:
	s_mov_b64 s[8:9], 0
.LBB223_728:
	s_andn2_b64 vcc, exec, s[8:9]
	s_cbranch_vccnz .LBB223_737
; %bb.729:
	s_cmp_lt_i32 s10, 6
	s_mov_b64 s[8:9], -1
	s_cbranch_scc1 .LBB223_735
; %bb.730:
	s_cmp_gt_i32 s10, 6
	s_cbranch_scc0 .LBB223_732
; %bb.731:
	v_cndmask_b32_e64 v2, 0, 1, s[2:3]
	v_cvt_f64_u32_e32 v[2:3], v2
	s_mov_b64 s[8:9], 0
	global_store_dwordx2 v[0:1], v[2:3], off
.LBB223_732:
	s_andn2_b64 vcc, exec, s[8:9]
	s_cbranch_vccnz .LBB223_734
; %bb.733:
	v_cndmask_b32_e64 v2, 0, 1.0, s[2:3]
	global_store_dword v[0:1], v2, off
.LBB223_734:
	s_mov_b64 s[8:9], 0
.LBB223_735:
	s_andn2_b64 vcc, exec, s[8:9]
	s_cbranch_vccnz .LBB223_737
; %bb.736:
	v_cndmask_b32_e64 v2, 0, 1.0, s[2:3]
	v_cvt_f16_f32_e32 v2, v2
	global_store_short v[0:1], v2, off
.LBB223_737:
	s_mov_b64 s[8:9], 0
.LBB223_738:
	s_andn2_b64 vcc, exec, s[8:9]
	s_cbranch_vccnz .LBB223_754
; %bb.739:
	s_cmp_lt_i32 s10, 2
	s_mov_b64 s[8:9], -1
	s_cbranch_scc1 .LBB223_749
; %bb.740:
	s_cmp_lt_i32 s10, 3
	s_cbranch_scc1 .LBB223_746
; %bb.741:
	s_cmp_gt_i32 s10, 3
	s_cbranch_scc0 .LBB223_743
; %bb.742:
	s_mov_b32 s8, 0
	v_cndmask_b32_e64 v2, 0, 1, s[2:3]
	v_mov_b32_e32 v3, s8
	s_mov_b64 s[8:9], 0
	global_store_dwordx2 v[0:1], v[2:3], off
.LBB223_743:
	s_andn2_b64 vcc, exec, s[8:9]
	s_cbranch_vccnz .LBB223_745
; %bb.744:
	v_cndmask_b32_e64 v2, 0, 1, s[2:3]
	global_store_dword v[0:1], v2, off
.LBB223_745:
	s_mov_b64 s[8:9], 0
.LBB223_746:
	s_andn2_b64 vcc, exec, s[8:9]
	s_cbranch_vccnz .LBB223_748
; %bb.747:
	v_cndmask_b32_e64 v2, 0, 1, s[2:3]
	global_store_short v[0:1], v2, off
.LBB223_748:
	s_mov_b64 s[8:9], 0
.LBB223_749:
	s_andn2_b64 vcc, exec, s[8:9]
	s_cbranch_vccnz .LBB223_754
; %bb.750:
	s_mov_b64 s[8:9], -1
	s_cmp_gt_i32 s10, 0
	v_cndmask_b32_e64 v2, 0, 1, s[2:3]
	s_cbranch_scc0 .LBB223_752
; %bb.751:
	s_mov_b64 s[8:9], 0
	global_store_byte v[0:1], v2, off
.LBB223_752:
	s_andn2_b64 vcc, exec, s[8:9]
	s_cbranch_vccnz .LBB223_754
; %bb.753:
	global_store_byte v[0:1], v2, off
.LBB223_754:
	s_mov_b64 s[8:9], -1
.LBB223_755:
	s_mov_b64 s[2:3], 0
	s_andn2_b64 vcc, exec, s[8:9]
	s_mov_b64 s[8:9], 0
	s_cbranch_vccnz .LBB223_757
; %bb.756:
	v_add_u32_e32 v8, 0x80, v8
	s_mov_b64 s[8:9], -1
.LBB223_757:
	s_andn2_b64 s[10:11], s[62:63], exec
	s_and_b64 s[0:1], s[0:1], exec
	s_or_b64 s[70:71], s[10:11], s[0:1]
	s_andn2_b64 s[0:1], s[60:61], exec
	s_and_b64 s[2:3], s[2:3], exec
	s_or_b64 s[68:69], s[0:1], s[2:3]
	s_orn2_b64 s[12:13], s[8:9], exec
.LBB223_758:
	s_or_b64 exec, exec, s[66:67]
	s_mov_b64 s[2:3], 0
	s_mov_b64 s[0:1], 0
	;; [unrolled: 1-line block ×3, first 2 shown]
                                        ; implicit-def: $sgpr10_sgpr11
                                        ; implicit-def: $vgpr1_vgpr2
                                        ; implicit-def: $vgpr0
	s_and_saveexec_b64 s[66:67], s[12:13]
	s_cbranch_execz .LBB223_839
; %bb.759:
	v_cmp_gt_i32_e32 vcc, s72, v8
	s_mov_b64 s[12:13], s[68:69]
	s_mov_b64 s[14:15], 0
                                        ; implicit-def: $sgpr10_sgpr11
                                        ; implicit-def: $vgpr1_vgpr2
                                        ; implicit-def: $vgpr0
	s_and_saveexec_b64 s[72:73], vcc
	s_cbranch_execz .LBB223_838
; %bb.760:
	s_andn2_b64 vcc, exec, s[40:41]
	s_cbranch_vccnz .LBB223_765
; %bb.761:
	s_andn2_b64 vcc, exec, s[52:53]
	s_cbranch_vccnz .LBB223_766
; %bb.762:
	s_add_i32 s78, s77, 1
	s_cmp_eq_u32 s74, 2
	s_cbranch_scc1 .LBB223_767
; %bb.763:
	s_and_b32 s77, s78, 28
	v_mov_b32_e32 v2, 0
	s_mov_b32 s79, 0
	s_mov_b64 s[52:53], s[34:35]
	v_mov_b32_e32 v0, 0
	v_mov_b32_e32 v1, v8
.LBB223_764:                            ; =>This Inner Loop Header: Depth=1
	s_load_dwordx8 s[16:23], s[52:53], 0x4
	s_load_dwordx4 s[0:3], s[52:53], 0x24
	s_load_dwordx8 s[8:15], s[50:51], 0x0
	s_add_u32 s52, s52, 48
	s_addc_u32 s53, s53, 0
	s_waitcnt lgkmcnt(0)
	v_mul_hi_u32 v3, s17, v1
	s_add_i32 s79, s79, 4
	s_add_u32 s50, s50, 32
	s_addc_u32 s51, s51, 0
	v_add_u32_e32 v3, v1, v3
	v_lshrrev_b32_e32 v3, s18, v3
	v_mul_lo_u32 v4, v3, s16
	v_mul_hi_u32 v5, s20, v3
	s_cmp_eq_u32 s77, s79
	v_sub_u32_e32 v1, v1, v4
	v_add_u32_e32 v4, v3, v5
	v_mul_lo_u32 v5, v1, s8
	v_mul_lo_u32 v6, v1, s9
	v_lshrrev_b32_e32 v1, s21, v4
	v_mul_lo_u32 v4, v1, s19
	v_mul_hi_u32 v7, s23, v1
	v_sub_u32_e32 v3, v3, v4
	v_add_u32_e32 v4, v1, v7
	v_lshrrev_b32_e32 v4, s0, v4
	v_mul_hi_u32 v9, s2, v4
	v_mul_lo_u32 v10, v4, s22
	v_mul_lo_u32 v7, v3, s10
	;; [unrolled: 1-line block ×3, first 2 shown]
	v_sub_u32_e32 v10, v1, v10
	v_add_u32_e32 v1, v4, v9
	v_lshrrev_b32_e32 v1, s3, v1
	v_mul_lo_u32 v9, v1, s1
	v_mul_lo_u32 v11, v10, s12
	v_mul_lo_u32 v10, v10, s13
	v_add3_u32 v0, v5, v0, v7
	v_sub_u32_e32 v4, v4, v9
	v_mul_lo_u32 v9, v4, s14
	v_mul_lo_u32 v4, v4, s15
	v_add3_u32 v2, v6, v2, v3
	v_add3_u32 v0, v11, v0, v9
	;; [unrolled: 1-line block ×3, first 2 shown]
	s_cbranch_scc0 .LBB223_764
	s_branch .LBB223_768
.LBB223_765:
	s_mov_b64 s[0:1], -1
                                        ; implicit-def: $vgpr0
                                        ; implicit-def: $vgpr2
	s_branch .LBB223_772
.LBB223_766:
	v_mov_b32_e32 v0, 0
	v_mov_b32_e32 v2, 0
	s_branch .LBB223_771
.LBB223_767:
	s_mov_b32 s77, 0
	v_mov_b32_e32 v0, 0
	v_mov_b32_e32 v2, 0
	;; [unrolled: 1-line block ×3, first 2 shown]
.LBB223_768:
	s_and_b32 s8, s78, 3
	s_cmp_eq_u32 s8, 0
	s_cbranch_scc1 .LBB223_771
; %bb.769:
	s_lshl_b32 s0, s77, 3
	s_add_u32 s0, s34, s0
	s_addc_u32 s1, s35, 0
	s_add_u32 s0, s0, 0xc4
	s_addc_u32 s1, s1, 0
	s_mul_i32 s2, s77, 12
	s_add_u32 s2, s34, s2
	s_addc_u32 s3, s35, 0
.LBB223_770:                            ; =>This Inner Loop Header: Depth=1
	s_load_dwordx2 s[10:11], s[2:3], 0x4
	s_load_dword s9, s[2:3], 0xc
	s_load_dwordx2 s[12:13], s[0:1], 0x0
	s_add_u32 s2, s2, 12
	s_addc_u32 s3, s3, 0
	s_waitcnt lgkmcnt(0)
	v_mul_hi_u32 v3, s11, v1
	s_add_u32 s0, s0, 8
	s_addc_u32 s1, s1, 0
	s_add_i32 s8, s8, -1
	v_add_u32_e32 v3, v1, v3
	v_lshrrev_b32_e32 v4, s9, v3
	v_mul_lo_u32 v3, v4, s10
	s_cmp_lg_u32 s8, 0
	v_sub_u32_e32 v3, v1, v3
	v_mad_u64_u32 v[0:1], s[10:11], v3, s12, v[0:1]
	v_mad_u64_u32 v[2:3], s[10:11], v3, s13, v[2:3]
	v_mov_b32_e32 v1, v4
	s_cbranch_scc1 .LBB223_770
.LBB223_771:
	s_mov_b64 s[0:1], 0
.LBB223_772:
	s_andn2_b64 vcc, exec, s[0:1]
	s_cbranch_vccnz .LBB223_775
; %bb.773:
	v_mul_hi_u32 v0, s29, v8
	s_andn2_b64 vcc, exec, s[48:49]
	v_add_u32_e32 v0, v8, v0
	v_lshrrev_b32_e32 v1, s30, v0
	v_mul_lo_u32 v0, v1, s28
	v_sub_u32_e32 v2, v8, v0
	v_mul_lo_u32 v0, v2, s36
	v_mul_lo_u32 v2, v2, s37
	s_cbranch_vccnz .LBB223_775
; %bb.774:
	v_mul_hi_u32 v3, s46, v1
	v_add_u32_e32 v3, v1, v3
	v_lshrrev_b32_e32 v3, s47, v3
	v_mul_lo_u32 v3, v3, s31
	v_sub_u32_e32 v3, v1, v3
	v_mad_u64_u32 v[0:1], s[0:1], v3, s38, v[0:1]
	v_mad_u64_u32 v[2:3], s[0:1], v3, s39, v[2:3]
.LBB223_775:
	v_mov_b32_e32 v3, s27
	s_and_b32 s14, 0xffff, s76
	v_add_co_u32_e32 v1, vcc, s26, v2
	s_cmp_lt_i32 s14, 11
	v_addc_co_u32_e32 v2, vcc, 0, v3, vcc
	s_cbranch_scc1 .LBB223_782
; %bb.776:
	s_cmp_gt_i32 s14, 25
	s_mov_b64 s[2:3], 0
	s_cbranch_scc0 .LBB223_783
; %bb.777:
	s_cmp_gt_i32 s14, 28
	s_cbranch_scc0 .LBB223_784
; %bb.778:
	s_cmp_gt_i32 s14, 43
	;; [unrolled: 3-line block ×3, first 2 shown]
	s_cbranch_scc0 .LBB223_788
; %bb.780:
	s_cmp_eq_u32 s14, 46
	s_mov_b64 s[12:13], 0
	s_cbranch_scc0 .LBB223_791
; %bb.781:
	global_load_dword v3, v[1:2], off
	s_mov_b64 s[0:1], 0
	s_mov_b64 s[8:9], -1
	s_waitcnt vmcnt(0)
	v_and_b32_e32 v3, 0x7fff7fff, v3
	v_cmp_ne_u32_e64 s[10:11], 0, v3
	s_branch .LBB223_792
.LBB223_782:
	s_mov_b64 s[12:13], -1
	s_mov_b64 s[8:9], 0
	s_mov_b64 s[2:3], 0
	;; [unrolled: 1-line block ×3, first 2 shown]
                                        ; implicit-def: $sgpr10_sgpr11
	s_branch .LBB223_837
.LBB223_783:
	s_mov_b64 s[12:13], -1
	s_mov_b64 s[8:9], 0
	s_mov_b64 s[0:1], s[68:69]
                                        ; implicit-def: $sgpr10_sgpr11
	s_branch .LBB223_813
.LBB223_784:
	s_mov_b64 s[12:13], -1
	s_mov_b64 s[8:9], 0
	s_mov_b64 s[0:1], s[68:69]
                                        ; implicit-def: $sgpr10_sgpr11
	s_branch .LBB223_800
.LBB223_785:
	s_mov_b64 s[12:13], -1
	s_mov_b64 s[8:9], 0
	s_mov_b64 s[0:1], s[68:69]
                                        ; implicit-def: $sgpr10_sgpr11
	s_branch .LBB223_795
.LBB223_786:
	s_andn2_saveexec_b64 s[12:13], s[12:13]
	s_cbranch_execz .LBB223_668
.LBB223_787:
	v_add_f32_e32 v2, 0x46000000, v3
	v_and_b32_e32 v2, 0xff, v2
	v_cmp_ne_u32_e32 vcc, 0, v2
	s_andn2_b64 s[10:11], s[10:11], exec
	s_and_b64 s[16:17], vcc, exec
	s_or_b64 s[10:11], s[10:11], s[16:17]
	s_or_b64 exec, exec, s[12:13]
	v_mov_b32_e32 v4, 0
	s_and_saveexec_b64 s[12:13], s[10:11]
	s_cbranch_execnz .LBB223_669
	s_branch .LBB223_670
.LBB223_788:
	s_mov_b64 s[12:13], -1
	s_mov_b64 s[8:9], 0
	s_mov_b64 s[0:1], s[68:69]
                                        ; implicit-def: $sgpr10_sgpr11
	s_branch .LBB223_792
.LBB223_789:
	s_andn2_saveexec_b64 s[12:13], s[12:13]
	s_cbranch_execz .LBB223_681
.LBB223_790:
	v_add_f32_e32 v2, 0x42800000, v3
	v_and_b32_e32 v2, 0xff, v2
	v_cmp_ne_u32_e32 vcc, 0, v2
	s_andn2_b64 s[10:11], s[10:11], exec
	s_and_b64 s[16:17], vcc, exec
	s_or_b64 s[10:11], s[10:11], s[16:17]
	s_or_b64 exec, exec, s[12:13]
	v_mov_b32_e32 v4, 0
	s_and_saveexec_b64 s[12:13], s[10:11]
	s_cbranch_execnz .LBB223_682
	s_branch .LBB223_683
.LBB223_791:
	s_mov_b64 s[0:1], -1
                                        ; implicit-def: $sgpr10_sgpr11
	s_mov_b64 s[8:9], 0
.LBB223_792:
	s_and_b64 vcc, exec, s[12:13]
	s_cbranch_vccz .LBB223_794
; %bb.793:
	s_cmp_lg_u32 s14, 44
	s_cselect_b64 s[12:13], -1, 0
	s_andn2_b64 s[0:1], s[0:1], exec
	s_and_b64 s[12:13], s[12:13], exec
	s_mov_b64 s[8:9], -1
	s_or_b64 s[10:11], s[10:11], exec
	s_or_b64 s[0:1], s[0:1], s[12:13]
.LBB223_794:
	s_mov_b64 s[12:13], 0
.LBB223_795:
	s_and_b64 vcc, exec, s[12:13]
	s_cbranch_vccz .LBB223_799
; %bb.796:
	s_cmp_eq_u32 s14, 29
	s_cbranch_scc0 .LBB223_798
; %bb.797:
	global_load_dwordx2 v[3:4], v[1:2], off
	s_mov_b64 s[0:1], 0
	s_mov_b64 s[8:9], -1
	s_mov_b64 s[12:13], 0
	s_waitcnt vmcnt(0)
	v_cmp_ne_u64_e64 s[10:11], 0, v[3:4]
	s_branch .LBB223_800
.LBB223_798:
	s_mov_b64 s[0:1], -1
                                        ; implicit-def: $sgpr10_sgpr11
.LBB223_799:
	s_mov_b64 s[12:13], 0
.LBB223_800:
	s_and_b64 vcc, exec, s[12:13]
	s_cbranch_vccz .LBB223_812
; %bb.801:
	s_cmp_lt_i32 s14, 27
	s_cbranch_scc1 .LBB223_804
; %bb.802:
	s_cmp_gt_i32 s14, 27
	s_cbranch_scc0 .LBB223_805
; %bb.803:
	global_load_dword v3, v[1:2], off
	s_mov_b64 s[8:9], 0
	s_waitcnt vmcnt(0)
	v_cmp_ne_u32_e64 s[10:11], 0, v3
	s_branch .LBB223_806
.LBB223_804:
	s_mov_b64 s[8:9], -1
                                        ; implicit-def: $sgpr10_sgpr11
	s_branch .LBB223_809
.LBB223_805:
	s_mov_b64 s[8:9], -1
                                        ; implicit-def: $sgpr10_sgpr11
.LBB223_806:
	s_andn2_b64 vcc, exec, s[8:9]
	s_cbranch_vccnz .LBB223_808
; %bb.807:
	global_load_ushort v3, v[1:2], off
	s_andn2_b64 s[8:9], s[10:11], exec
	s_waitcnt vmcnt(0)
	v_cmp_ne_u16_e32 vcc, 0, v3
	s_and_b64 s[10:11], vcc, exec
	s_or_b64 s[10:11], s[8:9], s[10:11]
.LBB223_808:
	s_mov_b64 s[8:9], 0
.LBB223_809:
	s_andn2_b64 vcc, exec, s[8:9]
	s_cbranch_vccnz .LBB223_811
; %bb.810:
	global_load_ubyte v3, v[1:2], off
	s_andn2_b64 s[8:9], s[10:11], exec
	s_waitcnt vmcnt(0)
	v_cmp_ne_u16_e32 vcc, 0, v3
	s_and_b64 s[10:11], vcc, exec
	s_or_b64 s[10:11], s[8:9], s[10:11]
.LBB223_811:
	s_mov_b64 s[8:9], -1
.LBB223_812:
	s_mov_b64 s[12:13], 0
.LBB223_813:
	s_and_b64 vcc, exec, s[12:13]
	s_cbranch_vccz .LBB223_836
; %bb.814:
	s_cmp_gt_i32 s14, 22
	s_cbranch_scc0 .LBB223_818
; %bb.815:
	s_cmp_lt_i32 s14, 24
	s_cbranch_scc1 .LBB223_819
; %bb.816:
	s_cmp_gt_i32 s14, 24
	s_cbranch_scc0 .LBB223_820
; %bb.817:
	global_load_ubyte v3, v[1:2], off
	s_waitcnt vmcnt(0)
	v_cmp_ne_u16_e64 s[10:11], 0, v3
	s_branch .LBB223_821
.LBB223_818:
	s_mov_b64 s[2:3], -1
                                        ; implicit-def: $sgpr10_sgpr11
	s_branch .LBB223_827
.LBB223_819:
	s_mov_b64 s[2:3], -1
                                        ; implicit-def: $sgpr10_sgpr11
	s_branch .LBB223_824
.LBB223_820:
	s_mov_b64 s[2:3], -1
                                        ; implicit-def: $sgpr10_sgpr11
.LBB223_821:
	s_andn2_b64 vcc, exec, s[2:3]
	s_cbranch_vccnz .LBB223_823
; %bb.822:
	global_load_ubyte v3, v[1:2], off
	s_andn2_b64 s[2:3], s[10:11], exec
	s_waitcnt vmcnt(0)
	v_and_b32_e32 v3, 0x7f, v3
	v_cmp_ne_u16_e32 vcc, 0, v3
	s_and_b64 s[8:9], vcc, exec
	s_or_b64 s[10:11], s[2:3], s[8:9]
.LBB223_823:
	s_mov_b64 s[2:3], 0
.LBB223_824:
	s_andn2_b64 vcc, exec, s[2:3]
	s_cbranch_vccnz .LBB223_826
; %bb.825:
	global_load_ubyte v3, v[1:2], off
	s_movk_i32 s2, 0x7f00
	s_brev_b32 s3, 16
	s_waitcnt vmcnt(0)
	v_lshlrev_b32_e32 v4, 8, v3
	v_lshlrev_b32_e32 v3, 25, v3
	v_lshrrev_b32_e32 v5, 4, v3
	v_and_or_b32 v4, v4, s2, 0.5
	v_or_b32_e32 v5, 0x70000000, v5
	v_add_f32_e32 v4, -0.5, v4
	v_mul_f32_e32 v5, 0x7800000, v5
	v_cmp_gt_u32_e32 vcc, s3, v3
	v_cndmask_b32_e32 v3, v5, v4, vcc
	v_cmp_neq_f32_e32 vcc, 0, v3
	s_andn2_b64 s[2:3], s[10:11], exec
	s_and_b64 s[8:9], vcc, exec
	s_or_b64 s[10:11], s[2:3], s[8:9]
.LBB223_826:
	s_mov_b64 s[2:3], 0
	s_mov_b64 s[8:9], -1
.LBB223_827:
	s_andn2_b64 vcc, exec, s[2:3]
	s_mov_b64 s[2:3], 0
	s_cbranch_vccnz .LBB223_836
; %bb.828:
	s_cmp_gt_i32 s14, 14
	s_cbranch_scc0 .LBB223_831
; %bb.829:
	s_cmp_eq_u32 s14, 15
	s_cbranch_scc0 .LBB223_832
; %bb.830:
	global_load_ushort v3, v[1:2], off
	s_mov_b64 s[0:1], 0
	s_mov_b64 s[8:9], -1
	s_waitcnt vmcnt(0)
	v_and_b32_e32 v3, 0x7fff, v3
	v_cmp_ne_u16_e64 s[10:11], 0, v3
	s_branch .LBB223_833
.LBB223_831:
	s_mov_b64 s[12:13], -1
                                        ; implicit-def: $sgpr10_sgpr11
	s_branch .LBB223_834
.LBB223_832:
	s_mov_b64 s[0:1], -1
                                        ; implicit-def: $sgpr10_sgpr11
.LBB223_833:
	s_mov_b64 s[12:13], 0
.LBB223_834:
	s_and_b64 vcc, exec, s[12:13]
	s_cbranch_vccz .LBB223_836
; %bb.835:
	s_cmp_lg_u32 s14, 11
	s_cselect_b64 s[12:13], -1, 0
	s_andn2_b64 s[0:1], s[0:1], exec
	s_and_b64 s[12:13], s[12:13], exec
	s_mov_b64 s[2:3], -1
	s_or_b64 s[0:1], s[0:1], s[12:13]
.LBB223_836:
	s_mov_b64 s[12:13], 0
.LBB223_837:
	s_and_b64 s[14:15], s[12:13], exec
	s_andn2_b64 s[12:13], s[68:69], exec
	s_and_b64 s[0:1], s[0:1], exec
	s_and_b64 s[8:9], s[8:9], exec
	;; [unrolled: 1-line block ×3, first 2 shown]
	s_or_b64 s[12:13], s[12:13], s[0:1]
.LBB223_838:
	s_or_b64 exec, exec, s[72:73]
	s_and_b64 s[0:1], s[14:15], exec
	s_andn2_b64 s[14:15], s[68:69], exec
	s_and_b64 s[12:13], s[12:13], exec
	s_and_b64 s[8:9], s[8:9], exec
	;; [unrolled: 1-line block ×3, first 2 shown]
	s_or_b64 s[68:69], s[14:15], s[12:13]
.LBB223_839:
	s_or_b64 exec, exec, s[66:67]
	s_andn2_b64 s[12:13], s[62:63], exec
	s_and_b64 s[14:15], s[70:71], exec
	s_or_b64 s[62:63], s[12:13], s[14:15]
	s_andn2_b64 s[12:13], s[60:61], exec
	s_and_b64 s[14:15], s[68:69], exec
	s_and_b64 s[8:9], s[8:9], exec
	;; [unrolled: 1-line block ×4, first 2 shown]
	s_or_b64 s[60:61], s[12:13], s[14:15]
.LBB223_840:
	s_or_b64 exec, exec, s[64:65]
	s_andn2_b64 s[12:13], s[54:55], exec
	s_and_b64 s[14:15], s[62:63], exec
	s_or_b64 s[54:55], s[12:13], s[14:15]
	s_and_b64 s[14:15], s[8:9], exec
	s_and_b64 s[62:63], s[2:3], exec
	s_andn2_b64 s[2:3], s[56:57], exec
	s_and_b64 s[8:9], s[60:61], exec
	s_and_b64 s[0:1], s[0:1], exec
	s_or_b64 s[56:57], s[2:3], s[8:9]
	s_or_b64 exec, exec, s[58:59]
	s_mov_b64 s[2:3], 0
	s_and_saveexec_b64 s[8:9], s[56:57]
	s_cbranch_execz .LBB223_255
.LBB223_841:
	s_mov_b64 s[2:3], exec
	s_andn2_b64 s[14:15], s[14:15], exec
	s_andn2_b64 s[62:63], s[62:63], exec
	s_trap 2
	s_or_b64 exec, exec, s[8:9]
	s_and_saveexec_b64 s[8:9], s[62:63]
	s_xor_b64 s[8:9], exec, s[8:9]
	s_cbranch_execnz .LBB223_256
.LBB223_842:
	s_or_b64 exec, exec, s[8:9]
	s_and_saveexec_b64 s[8:9], s[0:1]
	s_cbranch_execz .LBB223_888
.LBB223_843:
	s_sext_i32_i16 s0, s76
	s_cmp_lt_i32 s0, 5
	s_cbranch_scc1 .LBB223_848
; %bb.844:
	s_cmp_lt_i32 s0, 8
	s_cbranch_scc1 .LBB223_849
; %bb.845:
	;; [unrolled: 3-line block ×3, first 2 shown]
	s_cmp_gt_i32 s0, 9
	s_cbranch_scc0 .LBB223_851
; %bb.847:
	global_load_dwordx4 v[3:6], v[1:2], off
	s_mov_b64 s[12:13], 0
	s_waitcnt vmcnt(0)
	v_cmp_neq_f64_e32 vcc, 0, v[3:4]
	v_cmp_neq_f64_e64 s[0:1], 0, v[5:6]
	s_or_b64 s[0:1], vcc, s[0:1]
	s_branch .LBB223_852
.LBB223_848:
                                        ; implicit-def: $sgpr0_sgpr1
	s_branch .LBB223_869
.LBB223_849:
                                        ; implicit-def: $sgpr0_sgpr1
	s_branch .LBB223_858
.LBB223_850:
	s_mov_b64 s[12:13], -1
                                        ; implicit-def: $sgpr0_sgpr1
	s_branch .LBB223_855
.LBB223_851:
	s_mov_b64 s[12:13], -1
                                        ; implicit-def: $sgpr0_sgpr1
.LBB223_852:
	s_andn2_b64 vcc, exec, s[12:13]
	s_cbranch_vccnz .LBB223_854
; %bb.853:
	global_load_dwordx2 v[3:4], v[1:2], off
	s_andn2_b64 s[0:1], s[0:1], exec
	s_waitcnt vmcnt(0)
	v_or_b32_e32 v3, v3, v4
	v_and_b32_e32 v3, 0x7fffffff, v3
	v_cmp_ne_u32_e32 vcc, 0, v3
	s_and_b64 s[12:13], vcc, exec
	s_or_b64 s[0:1], s[0:1], s[12:13]
.LBB223_854:
	s_mov_b64 s[12:13], 0
.LBB223_855:
	s_andn2_b64 vcc, exec, s[12:13]
	s_cbranch_vccnz .LBB223_857
; %bb.856:
	global_load_dword v3, v[1:2], off
	s_andn2_b64 s[0:1], s[0:1], exec
	s_waitcnt vmcnt(0)
	v_and_b32_e32 v3, 0x7fff7fff, v3
	v_cmp_ne_u32_e32 vcc, 0, v3
	s_and_b64 s[12:13], vcc, exec
	s_or_b64 s[0:1], s[0:1], s[12:13]
.LBB223_857:
	s_cbranch_execnz .LBB223_868
.LBB223_858:
	s_sext_i32_i16 s0, s76
	s_cmp_lt_i32 s0, 6
	s_cbranch_scc1 .LBB223_861
; %bb.859:
	s_cmp_gt_i32 s0, 6
	s_cbranch_scc0 .LBB223_862
; %bb.860:
	global_load_dwordx2 v[3:4], v[1:2], off
	s_mov_b64 s[12:13], 0
	s_waitcnt vmcnt(0)
	v_cmp_neq_f64_e64 s[0:1], 0, v[3:4]
	s_branch .LBB223_863
.LBB223_861:
	s_mov_b64 s[12:13], -1
                                        ; implicit-def: $sgpr0_sgpr1
	s_branch .LBB223_866
.LBB223_862:
	s_mov_b64 s[12:13], -1
                                        ; implicit-def: $sgpr0_sgpr1
.LBB223_863:
	s_andn2_b64 vcc, exec, s[12:13]
	s_cbranch_vccnz .LBB223_865
; %bb.864:
	global_load_dword v3, v[1:2], off
	s_andn2_b64 s[0:1], s[0:1], exec
	s_waitcnt vmcnt(0)
	v_cmp_neq_f32_e32 vcc, 0, v3
	s_and_b64 s[12:13], vcc, exec
	s_or_b64 s[0:1], s[0:1], s[12:13]
.LBB223_865:
	s_mov_b64 s[12:13], 0
.LBB223_866:
	s_andn2_b64 vcc, exec, s[12:13]
	s_cbranch_vccnz .LBB223_868
; %bb.867:
	global_load_ushort v3, v[1:2], off
	s_andn2_b64 s[0:1], s[0:1], exec
	s_waitcnt vmcnt(0)
	v_and_b32_e32 v3, 0x7fff, v3
	v_cmp_ne_u16_e32 vcc, 0, v3
	s_and_b64 s[12:13], vcc, exec
	s_or_b64 s[0:1], s[0:1], s[12:13]
.LBB223_868:
	s_cbranch_execnz .LBB223_887
.LBB223_869:
	s_sext_i32_i16 s0, s76
	s_cmp_lt_i32 s0, 2
	s_cbranch_scc1 .LBB223_873
; %bb.870:
	s_cmp_lt_i32 s0, 3
	s_cbranch_scc1 .LBB223_874
; %bb.871:
	s_cmp_gt_i32 s0, 3
	s_cbranch_scc0 .LBB223_875
; %bb.872:
	global_load_dwordx2 v[3:4], v[1:2], off
	s_mov_b64 s[12:13], 0
	s_waitcnt vmcnt(0)
	v_cmp_ne_u64_e64 s[0:1], 0, v[3:4]
	s_branch .LBB223_876
.LBB223_873:
                                        ; implicit-def: $sgpr0_sgpr1
	s_branch .LBB223_882
.LBB223_874:
	s_mov_b64 s[12:13], -1
                                        ; implicit-def: $sgpr0_sgpr1
	s_branch .LBB223_879
.LBB223_875:
	s_mov_b64 s[12:13], -1
                                        ; implicit-def: $sgpr0_sgpr1
.LBB223_876:
	s_andn2_b64 vcc, exec, s[12:13]
	s_cbranch_vccnz .LBB223_878
; %bb.877:
	global_load_dword v3, v[1:2], off
	s_andn2_b64 s[0:1], s[0:1], exec
	s_waitcnt vmcnt(0)
	v_cmp_ne_u32_e32 vcc, 0, v3
	s_and_b64 s[12:13], vcc, exec
	s_or_b64 s[0:1], s[0:1], s[12:13]
.LBB223_878:
	s_mov_b64 s[12:13], 0
.LBB223_879:
	s_andn2_b64 vcc, exec, s[12:13]
	s_cbranch_vccnz .LBB223_881
; %bb.880:
	global_load_ushort v3, v[1:2], off
	s_andn2_b64 s[0:1], s[0:1], exec
	s_waitcnt vmcnt(0)
	v_cmp_ne_u16_e32 vcc, 0, v3
	s_and_b64 s[12:13], vcc, exec
	s_or_b64 s[0:1], s[0:1], s[12:13]
.LBB223_881:
	s_cbranch_execnz .LBB223_887
.LBB223_882:
	s_sext_i32_i16 s0, s76
	s_cmp_gt_i32 s0, 0
	s_cbranch_scc0 .LBB223_884
; %bb.883:
	global_load_ubyte v3, v[1:2], off
	s_mov_b64 s[12:13], 0
	s_waitcnt vmcnt(0)
	v_cmp_ne_u16_e64 s[0:1], 0, v3
	s_branch .LBB223_885
.LBB223_884:
	s_mov_b64 s[12:13], -1
                                        ; implicit-def: $sgpr0_sgpr1
.LBB223_885:
	s_andn2_b64 vcc, exec, s[12:13]
	s_cbranch_vccnz .LBB223_887
; %bb.886:
	global_load_ubyte v1, v[1:2], off
	s_andn2_b64 s[0:1], s[0:1], exec
	s_waitcnt vmcnt(0)
	v_cmp_ne_u16_e32 vcc, 0, v1
	s_and_b64 s[12:13], vcc, exec
	s_or_b64 s[0:1], s[0:1], s[12:13]
.LBB223_887:
	s_andn2_b64 s[10:11], s[10:11], exec
	s_and_b64 s[0:1], s[0:1], exec
	s_or_b64 s[10:11], s[10:11], s[0:1]
	s_or_b64 s[14:15], s[14:15], exec
.LBB223_888:
	s_or_b64 exec, exec, s[8:9]
	s_mov_b64 s[18:19], 0
	s_mov_b64 s[16:17], 0
                                        ; implicit-def: $sgpr8_sgpr9
                                        ; implicit-def: $sgpr20
                                        ; implicit-def: $vgpr1_vgpr2
	s_and_saveexec_b64 s[12:13], s[14:15]
	s_cbranch_execz .LBB223_963
; %bb.889:
	s_xor_b64 s[8:9], s[10:11], s[44:45]
	v_mov_b32_e32 v2, s25
	s_and_b32 s20, s75, 0xff
	v_add_co_u32_e32 v1, vcc, s24, v0
	s_cmp_lt_i32 s20, 11
	v_addc_co_u32_e32 v2, vcc, 0, v2, vcc
	s_cbranch_scc1 .LBB223_966
; %bb.890:
	s_and_b32 s21, 0xffff, s20
	s_mov_b64 s[14:15], -1
	s_cmp_gt_i32 s21, 25
	s_mov_b64 s[0:1], s[54:55]
	s_cbranch_scc0 .LBB223_923
; %bb.891:
	s_mov_b64 s[10:11], -1
	s_cmp_gt_i32 s21, 28
	s_mov_b64 s[0:1], s[54:55]
	s_cbranch_scc0 .LBB223_907
; %bb.892:
	s_cmp_gt_i32 s21, 43
	s_mov_b64 s[0:1], s[54:55]
	s_cbranch_scc0 .LBB223_903
; %bb.893:
	;; [unrolled: 4-line block ×3, first 2 shown]
	s_cmp_eq_u32 s21, 46
	s_mov_b64 s[0:1], -1
	s_cbranch_scc0 .LBB223_896
; %bb.895:
	v_cndmask_b32_e64 v0, 0, 1.0, s[8:9]
	v_bfe_u32 v3, v0, 16, 1
	s_movk_i32 s0, 0x7fff
	v_add3_u32 v0, v0, v3, s0
	v_lshrrev_b32_e32 v0, 16, v0
	global_store_dword v[1:2], v0, off
	s_mov_b64 s[0:1], 0
.LBB223_896:
	s_mov_b64 s[10:11], 0
.LBB223_897:
	s_and_b64 vcc, exec, s[10:11]
	s_cbranch_vccz .LBB223_902
; %bb.898:
	s_cmp_eq_u32 s21, 44
	s_mov_b64 s[0:1], -1
	s_cbranch_scc0 .LBB223_902
; %bb.899:
	v_cndmask_b32_e64 v3, 0, 1.0, s[8:9]
	v_lshrrev_b32_e32 v0, 23, v3
	s_movk_i32 s0, 0xff
	v_cmp_ne_u32_e32 vcc, s0, v0
	v_mov_b32_e32 v4, 0xff
	s_and_saveexec_b64 s[10:11], vcc
; %bb.900:
	s_mov_b32 s0, 0x3fffff
	v_and_b32_e32 v4, 0x400000, v3
	v_and_or_b32 v3, v3, s0, v0
	v_cmp_ne_u32_e32 vcc, 0, v4
	v_cmp_ne_u32_e64 s[0:1], 0, v3
	s_and_b64 s[0:1], vcc, s[0:1]
	v_cndmask_b32_e64 v3, 0, 1, s[0:1]
	v_add_u32_e32 v4, v0, v3
; %bb.901:
	s_or_b64 exec, exec, s[10:11]
	s_mov_b64 s[0:1], 0
	global_store_byte v[1:2], v4, off
.LBB223_902:
	s_mov_b64 s[10:11], 0
.LBB223_903:
	s_and_b64 vcc, exec, s[10:11]
	s_cbranch_vccz .LBB223_906
; %bb.904:
	s_cmp_eq_u32 s21, 29
	s_mov_b64 s[0:1], -1
	s_cbranch_scc0 .LBB223_906
; %bb.905:
	s_mov_b32 s0, 0
	v_cndmask_b32_e64 v3, 0, 1, s[8:9]
	v_mov_b32_e32 v4, s0
	global_store_dwordx2 v[1:2], v[3:4], off
	s_mov_b64 s[0:1], 0
.LBB223_906:
	s_mov_b64 s[10:11], 0
.LBB223_907:
	s_and_b64 vcc, exec, s[10:11]
	s_cbranch_vccz .LBB223_922
; %bb.908:
	s_cmp_lt_i32 s21, 27
	s_mov_b64 s[10:11], -1
	s_cbranch_scc1 .LBB223_914
; %bb.909:
	s_cmp_gt_i32 s21, 27
	s_cbranch_scc0 .LBB223_911
; %bb.910:
	v_cndmask_b32_e64 v0, 0, 1, s[8:9]
	s_mov_b64 s[10:11], 0
	global_store_dword v[1:2], v0, off
.LBB223_911:
	s_andn2_b64 vcc, exec, s[10:11]
	s_cbranch_vccnz .LBB223_913
; %bb.912:
	v_cndmask_b32_e64 v0, 0, 1, s[8:9]
	global_store_short v[1:2], v0, off
.LBB223_913:
	s_mov_b64 s[10:11], 0
.LBB223_914:
	s_andn2_b64 vcc, exec, s[10:11]
	s_cbranch_vccnz .LBB223_922
; %bb.915:
	v_cndmask_b32_e64 v3, 0, 1.0, s[8:9]
	s_mov_b32 s10, 0x43800000
	v_cmp_gt_u32_e32 vcc, s10, v3
	v_mov_b32_e32 v4, 0x80
	s_and_saveexec_b64 s[10:11], vcc
	s_cbranch_execz .LBB223_921
; %bb.916:
	s_mov_b32 s14, 0x3bffffff
	v_cmp_lt_u32_e32 vcc, s14, v3
	s_mov_b64 s[14:15], 0
                                        ; implicit-def: $vgpr0
	s_and_saveexec_b64 s[16:17], vcc
	s_xor_b64 s[16:17], exec, s[16:17]
	s_cbranch_execz .LBB223_1079
; %bb.917:
	v_bfe_u32 v0, v3, 20, 1
	s_mov_b32 s18, 0x487ffff
	v_add3_u32 v0, v3, v0, s18
	s_mov_b64 s[14:15], exec
	v_lshrrev_b32_e32 v0, 20, v0
                                        ; implicit-def: $vgpr3
	s_andn2_saveexec_b64 s[16:17], s[16:17]
	s_cbranch_execnz .LBB223_1080
.LBB223_918:
	s_or_b64 exec, exec, s[16:17]
	v_mov_b32_e32 v4, 0
	s_and_saveexec_b64 s[16:17], s[14:15]
.LBB223_919:
	v_mov_b32_e32 v4, v0
.LBB223_920:
	s_or_b64 exec, exec, s[16:17]
.LBB223_921:
	s_or_b64 exec, exec, s[10:11]
	global_store_byte v[1:2], v4, off
.LBB223_922:
	s_mov_b64 s[14:15], 0
.LBB223_923:
	s_mov_b64 s[10:11], 0
	s_and_b64 vcc, exec, s[14:15]
	s_cbranch_vccz .LBB223_967
; %bb.924:
	s_cmp_gt_i32 s21, 22
	s_mov_b64 s[14:15], -1
	s_cbranch_scc0 .LBB223_956
; %bb.925:
	s_cmp_lt_i32 s21, 24
	s_cbranch_scc1 .LBB223_945
; %bb.926:
	s_cmp_gt_i32 s21, 24
	s_cbranch_scc0 .LBB223_934
; %bb.927:
	v_cndmask_b32_e64 v3, 0, 1.0, s[8:9]
	s_mov_b32 s14, 0x47800000
	v_cmp_gt_u32_e32 vcc, s14, v3
	v_mov_b32_e32 v4, 0x80
	s_and_saveexec_b64 s[14:15], vcc
	s_cbranch_execz .LBB223_933
; %bb.928:
	s_mov_b32 s16, 0x37ffffff
	v_cmp_lt_u32_e32 vcc, s16, v3
	s_mov_b64 s[16:17], 0
                                        ; implicit-def: $vgpr0
	s_and_saveexec_b64 s[18:19], vcc
	s_xor_b64 s[18:19], exec, s[18:19]
	s_cbranch_execz .LBB223_1186
; %bb.929:
	v_bfe_u32 v0, v3, 21, 1
	s_mov_b32 s22, 0x88fffff
	v_add3_u32 v0, v3, v0, s22
	s_mov_b64 s[16:17], exec
	v_lshrrev_b32_e32 v0, 21, v0
                                        ; implicit-def: $vgpr3
	s_andn2_saveexec_b64 s[18:19], s[18:19]
	s_cbranch_execnz .LBB223_1187
.LBB223_930:
	s_or_b64 exec, exec, s[18:19]
	v_mov_b32_e32 v4, 0
	s_and_saveexec_b64 s[18:19], s[16:17]
.LBB223_931:
	v_mov_b32_e32 v4, v0
.LBB223_932:
	s_or_b64 exec, exec, s[18:19]
.LBB223_933:
	s_or_b64 exec, exec, s[14:15]
	s_mov_b64 s[14:15], 0
	global_store_byte v[1:2], v4, off
.LBB223_934:
	s_and_b64 vcc, exec, s[14:15]
	s_cbranch_vccz .LBB223_944
; %bb.935:
	v_cndmask_b32_e64 v0, 0, 1.0, s[8:9]
	s_mov_b32 s14, 0x43f00000
	v_cmp_gt_u32_e32 vcc, s14, v0
                                        ; implicit-def: $vgpr3
	s_and_saveexec_b64 s[14:15], vcc
	s_xor_b64 s[14:15], exec, s[14:15]
	s_cbranch_execz .LBB223_941
; %bb.936:
	s_mov_b32 s16, 0x3c7fffff
	v_cmp_lt_u32_e32 vcc, s16, v0
                                        ; implicit-def: $vgpr3
	s_and_saveexec_b64 s[16:17], vcc
	s_xor_b64 s[16:17], exec, s[16:17]
; %bb.937:
	v_bfe_u32 v3, v0, 20, 1
	s_mov_b32 s18, 0x407ffff
	v_add3_u32 v0, v0, v3, s18
	v_lshrrev_b32_e32 v3, 20, v0
	v_and_b32_e32 v0, 0xff00000, v0
	s_mov_b32 s18, 0x7f00000
	v_mov_b32_e32 v4, 0x7e
	v_cmp_ne_u32_e32 vcc, s18, v0
	v_cndmask_b32_e32 v3, v4, v3, vcc
                                        ; implicit-def: $vgpr0
; %bb.938:
	s_andn2_saveexec_b64 s[16:17], s[16:17]
; %bb.939:
	v_add_f32_e32 v3, 0x46800000, v0
; %bb.940:
	s_or_b64 exec, exec, s[16:17]
                                        ; implicit-def: $vgpr0
.LBB223_941:
	s_andn2_saveexec_b64 s[14:15], s[14:15]
; %bb.942:
	s_mov_b32 s16, 0x7f800000
	v_mov_b32_e32 v3, 0x7e
	v_mov_b32_e32 v4, 0x7f
	v_cmp_lt_u32_e32 vcc, s16, v0
	v_cndmask_b32_e32 v3, v3, v4, vcc
; %bb.943:
	s_or_b64 exec, exec, s[14:15]
	global_store_byte v[1:2], v3, off
.LBB223_944:
	s_mov_b64 s[14:15], 0
.LBB223_945:
	s_andn2_b64 vcc, exec, s[14:15]
	s_cbranch_vccnz .LBB223_955
; %bb.946:
	v_cndmask_b32_e64 v0, 0, 1.0, s[8:9]
	s_mov_b32 s14, 0x47800000
	v_cmp_gt_u32_e32 vcc, s14, v0
                                        ; implicit-def: $vgpr3
	s_and_saveexec_b64 s[14:15], vcc
	s_xor_b64 s[14:15], exec, s[14:15]
	s_cbranch_execz .LBB223_952
; %bb.947:
	s_mov_b32 s16, 0x387fffff
	v_cmp_lt_u32_e32 vcc, s16, v0
                                        ; implicit-def: $vgpr3
	s_and_saveexec_b64 s[16:17], vcc
	s_xor_b64 s[16:17], exec, s[16:17]
; %bb.948:
	v_bfe_u32 v3, v0, 21, 1
	s_mov_b32 s18, 0x80fffff
	v_add3_u32 v0, v0, v3, s18
	v_lshrrev_b32_e32 v3, 21, v0
                                        ; implicit-def: $vgpr0
; %bb.949:
	s_andn2_saveexec_b64 s[16:17], s[16:17]
; %bb.950:
	v_add_f32_e32 v3, 0x43000000, v0
; %bb.951:
	s_or_b64 exec, exec, s[16:17]
                                        ; implicit-def: $vgpr0
.LBB223_952:
	s_andn2_saveexec_b64 s[14:15], s[14:15]
; %bb.953:
	s_mov_b32 s16, 0x7f800000
	v_mov_b32_e32 v3, 0x7c
	v_mov_b32_e32 v4, 0x7f
	v_cmp_lt_u32_e32 vcc, s16, v0
	v_cndmask_b32_e32 v3, v3, v4, vcc
; %bb.954:
	s_or_b64 exec, exec, s[14:15]
	global_store_byte v[1:2], v3, off
.LBB223_955:
	s_mov_b64 s[14:15], 0
.LBB223_956:
	s_andn2_b64 vcc, exec, s[14:15]
	s_mov_b64 s[14:15], 0
	s_cbranch_vccnz .LBB223_968
; %bb.957:
	s_cmp_gt_i32 s21, 14
	s_mov_b64 s[16:17], -1
	s_cbranch_scc0 .LBB223_961
; %bb.958:
	s_cmp_eq_u32 s21, 15
	s_mov_b64 s[0:1], -1
	s_cbranch_scc0 .LBB223_960
; %bb.959:
	v_cndmask_b32_e64 v0, 0, 1.0, s[8:9]
	v_bfe_u32 v3, v0, 16, 1
	s_movk_i32 s0, 0x7fff
	v_add3_u32 v0, v0, v3, s0
	global_store_short_d16_hi v[1:2], v0, off
	s_mov_b64 s[0:1], 0
.LBB223_960:
	s_mov_b64 s[16:17], 0
.LBB223_961:
	s_and_b64 vcc, exec, s[16:17]
	s_cbranch_vccz .LBB223_968
; %bb.962:
	s_cmp_lg_u32 s21, 11
	s_cselect_b64 s[16:17], -1, 0
	s_andn2_b64 s[0:1], s[0:1], exec
	s_and_b64 s[16:17], s[16:17], exec
	s_mov_b64 s[14:15], -1
	s_or_b64 s[0:1], s[0:1], s[16:17]
	s_branch .LBB223_968
.LBB223_963:
	s_or_b64 exec, exec, s[12:13]
	s_and_saveexec_b64 s[0:1], s[54:55]
	s_cbranch_execnz .LBB223_969
.LBB223_964:
	s_or_b64 exec, exec, s[0:1]
	s_and_saveexec_b64 s[0:1], s[18:19]
	s_xor_b64 s[0:1], exec, s[0:1]
	s_cbranch_execz .LBB223_970
.LBB223_965:
	v_cndmask_b32_e64 v0, 0, 1, s[8:9]
	global_store_byte v[1:2], v0, off
	s_or_b64 exec, exec, s[0:1]
	s_and_saveexec_b64 s[0:1], s[16:17]
	s_xor_b64 s[0:1], exec, s[0:1]
	s_cbranch_execz .LBB223_1008
	s_branch .LBB223_971
.LBB223_966:
	s_mov_b64 s[14:15], 0
	s_mov_b64 s[10:11], -1
	s_mov_b64 s[0:1], s[54:55]
	s_branch .LBB223_968
.LBB223_967:
	s_mov_b64 s[14:15], 0
.LBB223_968:
	s_and_b64 s[16:17], s[10:11], exec
	s_andn2_b64 s[10:11], s[54:55], exec
	s_and_b64 s[0:1], s[0:1], exec
	s_and_b64 s[18:19], s[14:15], exec
	s_or_b64 s[54:55], s[10:11], s[0:1]
	s_or_b64 exec, exec, s[12:13]
	s_and_saveexec_b64 s[0:1], s[54:55]
	s_cbranch_execz .LBB223_964
.LBB223_969:
	s_or_b64 s[2:3], s[2:3], exec
	s_andn2_b64 s[18:19], s[18:19], exec
	s_trap 2
	s_or_b64 exec, exec, s[0:1]
	s_and_saveexec_b64 s[0:1], s[18:19]
	s_xor_b64 s[0:1], exec, s[0:1]
	s_cbranch_execnz .LBB223_965
.LBB223_970:
	s_or_b64 exec, exec, s[0:1]
	s_and_saveexec_b64 s[0:1], s[16:17]
	s_xor_b64 s[0:1], exec, s[0:1]
	s_cbranch_execz .LBB223_1008
.LBB223_971:
	s_sext_i32_i16 s12, s20
	s_cmp_lt_i32 s12, 5
	s_mov_b64 s[10:11], -1
	s_cbranch_scc1 .LBB223_992
; %bb.972:
	s_cmp_lt_i32 s12, 8
	s_cbranch_scc1 .LBB223_982
; %bb.973:
	s_cmp_lt_i32 s12, 9
	s_cbranch_scc1 .LBB223_979
; %bb.974:
	s_cmp_gt_i32 s12, 9
	s_cbranch_scc0 .LBB223_976
; %bb.975:
	v_cndmask_b32_e64 v0, 0, 1, s[8:9]
	v_cvt_f64_u32_e32 v[3:4], v0
	v_mov_b32_e32 v5, 0
	v_mov_b32_e32 v6, v5
	s_mov_b64 s[10:11], 0
	global_store_dwordx4 v[1:2], v[3:6], off
.LBB223_976:
	s_andn2_b64 vcc, exec, s[10:11]
	s_cbranch_vccnz .LBB223_978
; %bb.977:
	v_cndmask_b32_e64 v3, 0, 1.0, s[8:9]
	v_mov_b32_e32 v4, 0
	global_store_dwordx2 v[1:2], v[3:4], off
.LBB223_978:
	s_mov_b64 s[10:11], 0
.LBB223_979:
	s_andn2_b64 vcc, exec, s[10:11]
	s_cbranch_vccnz .LBB223_981
; %bb.980:
	v_cndmask_b32_e64 v0, 0, 1.0, s[8:9]
	v_cvt_f16_f32_e32 v0, v0
	global_store_dword v[1:2], v0, off
.LBB223_981:
	s_mov_b64 s[10:11], 0
.LBB223_982:
	s_andn2_b64 vcc, exec, s[10:11]
	s_cbranch_vccnz .LBB223_991
; %bb.983:
	s_sext_i32_i16 s12, s20
	s_cmp_lt_i32 s12, 6
	s_mov_b64 s[10:11], -1
	s_cbranch_scc1 .LBB223_989
; %bb.984:
	s_cmp_gt_i32 s12, 6
	s_cbranch_scc0 .LBB223_986
; %bb.985:
	v_cndmask_b32_e64 v0, 0, 1, s[8:9]
	v_cvt_f64_u32_e32 v[3:4], v0
	s_mov_b64 s[10:11], 0
	global_store_dwordx2 v[1:2], v[3:4], off
.LBB223_986:
	s_andn2_b64 vcc, exec, s[10:11]
	s_cbranch_vccnz .LBB223_988
; %bb.987:
	v_cndmask_b32_e64 v0, 0, 1.0, s[8:9]
	global_store_dword v[1:2], v0, off
.LBB223_988:
	s_mov_b64 s[10:11], 0
.LBB223_989:
	s_andn2_b64 vcc, exec, s[10:11]
	s_cbranch_vccnz .LBB223_991
; %bb.990:
	v_cndmask_b32_e64 v0, 0, 1.0, s[8:9]
	v_cvt_f16_f32_e32 v0, v0
	global_store_short v[1:2], v0, off
.LBB223_991:
	s_mov_b64 s[10:11], 0
.LBB223_992:
	s_andn2_b64 vcc, exec, s[10:11]
	s_cbranch_vccnz .LBB223_1008
; %bb.993:
	s_sext_i32_i16 s12, s20
	s_cmp_lt_i32 s12, 2
	s_mov_b64 s[10:11], -1
	s_cbranch_scc1 .LBB223_1003
; %bb.994:
	s_cmp_lt_i32 s12, 3
	s_cbranch_scc1 .LBB223_1000
; %bb.995:
	s_cmp_gt_i32 s12, 3
	s_cbranch_scc0 .LBB223_997
; %bb.996:
	s_mov_b32 s10, 0
	v_cndmask_b32_e64 v3, 0, 1, s[8:9]
	v_mov_b32_e32 v4, s10
	s_mov_b64 s[10:11], 0
	global_store_dwordx2 v[1:2], v[3:4], off
.LBB223_997:
	s_andn2_b64 vcc, exec, s[10:11]
	s_cbranch_vccnz .LBB223_999
; %bb.998:
	v_cndmask_b32_e64 v0, 0, 1, s[8:9]
	global_store_dword v[1:2], v0, off
.LBB223_999:
	s_mov_b64 s[10:11], 0
.LBB223_1000:
	s_andn2_b64 vcc, exec, s[10:11]
	s_cbranch_vccnz .LBB223_1002
; %bb.1001:
	v_cndmask_b32_e64 v0, 0, 1, s[8:9]
	global_store_short v[1:2], v0, off
.LBB223_1002:
	s_mov_b64 s[10:11], 0
.LBB223_1003:
	s_andn2_b64 vcc, exec, s[10:11]
	s_cbranch_vccnz .LBB223_1008
; %bb.1004:
	s_sext_i32_i16 s10, s20
	s_cmp_gt_i32 s10, 0
	s_mov_b64 s[10:11], -1
	s_cbranch_scc0 .LBB223_1006
; %bb.1005:
	v_cndmask_b32_e64 v0, 0, 1, s[8:9]
	s_mov_b64 s[10:11], 0
	global_store_byte v[1:2], v0, off
.LBB223_1006:
	s_andn2_b64 vcc, exec, s[10:11]
	s_cbranch_vccnz .LBB223_1008
; %bb.1007:
	v_cndmask_b32_e64 v0, 0, 1, s[8:9]
	global_store_byte v[1:2], v0, off
.LBB223_1008:
	s_or_b64 exec, exec, s[0:1]
	s_and_b64 s[28:29], s[2:3], exec
                                        ; implicit-def: $vgpr15
                                        ; implicit-def: $vgpr8
.LBB223_1009:
	s_or_saveexec_b64 s[30:31], s[42:43]
	s_mov_b64 s[0:1], 0
                                        ; implicit-def: $sgpr10_sgpr11
                                        ; implicit-def: $vgpr0_vgpr1
                                        ; implicit-def: $sgpr26
	s_xor_b64 exec, exec, s[30:31]
	s_cbranch_execz .LBB223_1941
; %bb.1010:
	v_cndmask_b32_e64 v0, 0, 1, s[40:41]
	v_cmp_ne_u32_e64 s[0:1], 1, v0
	s_andn2_b64 vcc, exec, s[40:41]
	s_cbranch_vccnz .LBB223_1016
; %bb.1011:
	s_cmp_lg_u32 s33, 0
	s_mov_b32 s36, 0
	s_cbranch_scc0 .LBB223_1017
; %bb.1012:
	s_min_u32 s37, s74, 15
	s_add_i32 s37, s37, 1
	s_cmp_eq_u32 s74, 2
	s_cbranch_scc1 .LBB223_1018
; %bb.1013:
	s_and_b32 s36, s37, 28
	s_add_u32 s2, s34, 0xc4
	s_addc_u32 s3, s35, 0
	v_mov_b32_e32 v13, 0
	s_mov_b32 s38, 0
	s_mov_b64 s[6:7], s[34:35]
	v_mov_b32_e32 v6, 0
	v_mov_b32_e32 v0, v8
.LBB223_1014:                           ; =>This Inner Loop Header: Depth=1
	s_load_dwordx8 s[16:23], s[6:7], 0x4
	s_load_dwordx4 s[24:27], s[6:7], 0x24
	s_load_dwordx8 s[8:15], s[2:3], 0x0
	s_add_u32 s6, s6, 48
	s_addc_u32 s7, s7, 0
	s_waitcnt lgkmcnt(0)
	v_mul_hi_u32 v1, s17, v0
	s_add_i32 s38, s38, 4
	s_add_u32 s2, s2, 32
	s_addc_u32 s3, s3, 0
	v_add_u32_e32 v1, v0, v1
	v_lshrrev_b32_e32 v1, s18, v1
	v_mul_lo_u32 v2, v1, s16
	v_mul_hi_u32 v3, s20, v1
	s_cmp_lg_u32 s36, s38
	v_sub_u32_e32 v0, v0, v2
	v_add_u32_e32 v2, v1, v3
	v_mul_lo_u32 v3, v0, s8
	v_mul_lo_u32 v4, v0, s9
	v_lshrrev_b32_e32 v0, s21, v2
	v_mul_lo_u32 v2, v0, s19
	v_mul_hi_u32 v5, s23, v0
	v_sub_u32_e32 v1, v1, v2
	v_add_u32_e32 v2, v0, v5
	v_lshrrev_b32_e32 v2, s24, v2
	v_mul_hi_u32 v7, s26, v2
	v_mul_lo_u32 v9, v2, s22
	v_mul_lo_u32 v5, v1, s10
	;; [unrolled: 1-line block ×3, first 2 shown]
	v_sub_u32_e32 v9, v0, v9
	v_add_u32_e32 v0, v2, v7
	v_lshrrev_b32_e32 v0, s27, v0
	v_mul_lo_u32 v7, v0, s25
	v_mul_lo_u32 v10, v9, s12
	;; [unrolled: 1-line block ×3, first 2 shown]
	v_add3_u32 v3, v3, v6, v5
	v_sub_u32_e32 v2, v2, v7
	v_mul_lo_u32 v7, v2, s14
	v_mul_lo_u32 v2, v2, s15
	v_add3_u32 v1, v4, v13, v1
	v_add3_u32 v6, v10, v3, v7
	;; [unrolled: 1-line block ×3, first 2 shown]
	s_cbranch_scc1 .LBB223_1014
; %bb.1015:
	s_and_b32 s8, s37, 3
	s_cmp_eq_u32 s8, 0
	s_cbranch_scc0 .LBB223_1019
	s_branch .LBB223_1021
.LBB223_1016:
                                        ; implicit-def: $vgpr6
                                        ; implicit-def: $vgpr13
	s_branch .LBB223_1022
.LBB223_1017:
	v_mov_b32_e32 v6, 0
	v_mov_b32_e32 v13, 0
	s_branch .LBB223_1021
.LBB223_1018:
	v_mov_b32_e32 v6, 0
	v_mov_b32_e32 v13, 0
	;; [unrolled: 1-line block ×3, first 2 shown]
	s_and_b32 s8, s37, 3
	s_cmp_eq_u32 s8, 0
	s_cbranch_scc1 .LBB223_1021
.LBB223_1019:
	s_lshl_b32 s2, s36, 3
	s_add_u32 s2, s34, s2
	s_addc_u32 s3, s35, 0
	s_add_u32 s2, s2, 0xc4
	s_addc_u32 s3, s3, 0
	s_mul_i32 s6, s36, 12
	s_add_u32 s6, s34, s6
	s_addc_u32 s7, s35, 0
.LBB223_1020:                           ; =>This Inner Loop Header: Depth=1
	s_load_dwordx2 s[10:11], s[6:7], 0x4
	s_load_dword s9, s[6:7], 0xc
	s_load_dwordx2 s[12:13], s[2:3], 0x0
	s_add_u32 s6, s6, 12
	s_addc_u32 s7, s7, 0
	s_waitcnt lgkmcnt(0)
	v_mul_hi_u32 v1, s11, v0
	s_add_u32 s2, s2, 8
	s_addc_u32 s3, s3, 0
	s_add_i32 s8, s8, -1
	v_add_u32_e32 v1, v0, v1
	v_lshrrev_b32_e32 v1, s9, v1
	v_mul_lo_u32 v2, v1, s10
	s_cmp_lg_u32 s8, 0
	v_sub_u32_e32 v0, v0, v2
	v_mad_u64_u32 v[6:7], s[10:11], v0, s12, v[6:7]
	v_mad_u64_u32 v[13:14], s[10:11], v0, s13, v[13:14]
	v_mov_b32_e32 v0, v1
	s_cbranch_scc1 .LBB223_1020
.LBB223_1021:
	s_cbranch_execnz .LBB223_1024
.LBB223_1022:
	s_load_dwordx4 s[8:11], s[34:35], 0x4
	s_load_dwordx2 s[2:3], s[34:35], 0xc4
	s_cmp_lt_u32 s33, 2
	s_waitcnt lgkmcnt(0)
	v_mul_hi_u32 v0, s9, v8
	v_add_u32_e32 v0, v8, v0
	v_lshrrev_b32_e32 v0, s10, v0
	v_mul_lo_u32 v1, v0, s8
	v_sub_u32_e32 v1, v8, v1
	v_mul_lo_u32 v6, v1, s2
	v_mul_lo_u32 v13, v1, s3
	s_cbranch_scc1 .LBB223_1024
; %bb.1023:
	s_load_dwordx4 s[8:11], s[34:35], 0x10
	s_load_dwordx2 s[2:3], s[34:35], 0xcc
	s_waitcnt lgkmcnt(0)
	v_mul_hi_u32 v1, s9, v0
	v_add_u32_e32 v1, v0, v1
	v_lshrrev_b32_e32 v1, s10, v1
	v_mul_lo_u32 v1, v1, s8
	v_sub_u32_e32 v0, v0, v1
	v_mad_u64_u32 v[6:7], s[6:7], v0, s2, v[6:7]
	v_mad_u64_u32 v[13:14], s[2:3], v0, s3, v[13:14]
.LBB223_1024:
	s_and_b64 vcc, exec, s[0:1]
	v_add_u32_e32 v0, 0x80, v8
	s_cbranch_vccnz .LBB223_1030
; %bb.1025:
	s_cmp_lg_u32 s33, 0
	s_mov_b32 s36, 0
	s_cbranch_scc0 .LBB223_1031
; %bb.1026:
	s_min_u32 s37, s74, 15
	s_add_i32 s37, s37, 1
	s_cmp_eq_u32 s74, 2
	s_cbranch_scc1 .LBB223_1032
; %bb.1027:
	s_and_b32 s36, s37, 28
	s_add_u32 s2, s34, 0xc4
	s_addc_u32 s3, s35, 0
	v_mov_b32_e32 v11, 0
	s_mov_b32 s38, 0
	s_mov_b64 s[6:7], s[34:35]
	v_mov_b32_e32 v4, 0
	v_mov_b32_e32 v1, v0
.LBB223_1028:                           ; =>This Inner Loop Header: Depth=1
	s_load_dwordx8 s[16:23], s[6:7], 0x4
	s_load_dwordx4 s[24:27], s[6:7], 0x24
	s_load_dwordx8 s[8:15], s[2:3], 0x0
	s_add_u32 s6, s6, 48
	s_addc_u32 s7, s7, 0
	s_waitcnt lgkmcnt(0)
	v_mul_hi_u32 v2, s17, v1
	s_add_i32 s38, s38, 4
	s_add_u32 s2, s2, 32
	s_addc_u32 s3, s3, 0
	v_add_u32_e32 v2, v1, v2
	v_lshrrev_b32_e32 v2, s18, v2
	v_mul_lo_u32 v3, v2, s16
	v_mul_hi_u32 v5, s20, v2
	s_cmp_lg_u32 s36, s38
	v_sub_u32_e32 v1, v1, v3
	v_add_u32_e32 v3, v2, v5
	v_mul_lo_u32 v5, v1, s8
	v_mul_lo_u32 v7, v1, s9
	v_lshrrev_b32_e32 v1, s21, v3
	v_mul_lo_u32 v3, v1, s19
	v_mul_hi_u32 v9, s23, v1
	v_sub_u32_e32 v2, v2, v3
	v_add_u32_e32 v3, v1, v9
	v_lshrrev_b32_e32 v3, s24, v3
	v_mul_hi_u32 v10, s26, v3
	v_mul_lo_u32 v12, v3, s22
	v_mul_lo_u32 v9, v2, s10
	;; [unrolled: 1-line block ×3, first 2 shown]
	v_sub_u32_e32 v12, v1, v12
	v_add_u32_e32 v1, v3, v10
	v_lshrrev_b32_e32 v1, s27, v1
	v_mul_lo_u32 v10, v1, s25
	v_mul_lo_u32 v14, v12, s12
	;; [unrolled: 1-line block ×3, first 2 shown]
	v_add3_u32 v4, v5, v4, v9
	v_sub_u32_e32 v3, v3, v10
	v_mul_lo_u32 v10, v3, s14
	v_mul_lo_u32 v3, v3, s15
	v_add3_u32 v2, v7, v11, v2
	v_add3_u32 v4, v14, v4, v10
	;; [unrolled: 1-line block ×3, first 2 shown]
	s_cbranch_scc1 .LBB223_1028
; %bb.1029:
	s_and_b32 s8, s37, 3
	s_cmp_eq_u32 s8, 0
	s_cbranch_scc0 .LBB223_1033
	s_branch .LBB223_1035
.LBB223_1030:
                                        ; implicit-def: $vgpr4
                                        ; implicit-def: $vgpr11
	s_branch .LBB223_1036
.LBB223_1031:
	v_mov_b32_e32 v4, 0
	v_mov_b32_e32 v11, 0
	s_branch .LBB223_1035
.LBB223_1032:
	v_mov_b32_e32 v4, 0
	v_mov_b32_e32 v11, 0
	;; [unrolled: 1-line block ×3, first 2 shown]
	s_and_b32 s8, s37, 3
	s_cmp_eq_u32 s8, 0
	s_cbranch_scc1 .LBB223_1035
.LBB223_1033:
	s_lshl_b32 s2, s36, 3
	s_add_u32 s2, s34, s2
	s_addc_u32 s3, s35, 0
	s_add_u32 s2, s2, 0xc4
	s_addc_u32 s3, s3, 0
	s_mul_i32 s6, s36, 12
	s_add_u32 s6, s34, s6
	s_addc_u32 s7, s35, 0
.LBB223_1034:                           ; =>This Inner Loop Header: Depth=1
	s_load_dwordx2 s[10:11], s[6:7], 0x4
	s_load_dword s9, s[6:7], 0xc
	s_load_dwordx2 s[12:13], s[2:3], 0x0
	s_add_u32 s6, s6, 12
	s_addc_u32 s7, s7, 0
	s_waitcnt lgkmcnt(0)
	v_mul_hi_u32 v2, s11, v1
	s_add_u32 s2, s2, 8
	s_addc_u32 s3, s3, 0
	s_add_i32 s8, s8, -1
	v_add_u32_e32 v2, v1, v2
	v_lshrrev_b32_e32 v2, s9, v2
	v_mul_lo_u32 v3, v2, s10
	s_cmp_lg_u32 s8, 0
	v_sub_u32_e32 v1, v1, v3
	v_mad_u64_u32 v[4:5], s[10:11], v1, s12, v[4:5]
	v_mad_u64_u32 v[11:12], s[10:11], v1, s13, v[11:12]
	v_mov_b32_e32 v1, v2
	s_cbranch_scc1 .LBB223_1034
.LBB223_1035:
	s_cbranch_execnz .LBB223_1038
.LBB223_1036:
	s_load_dwordx4 s[8:11], s[34:35], 0x4
	s_load_dwordx2 s[2:3], s[34:35], 0xc4
	s_cmp_lt_u32 s33, 2
	s_waitcnt lgkmcnt(0)
	v_mul_hi_u32 v1, s9, v0
	v_add_u32_e32 v1, v0, v1
	v_lshrrev_b32_e32 v1, s10, v1
	v_mul_lo_u32 v2, v1, s8
	v_sub_u32_e32 v0, v0, v2
	v_mul_lo_u32 v4, v0, s2
	v_mul_lo_u32 v11, v0, s3
	s_cbranch_scc1 .LBB223_1038
; %bb.1037:
	s_load_dwordx4 s[8:11], s[34:35], 0x10
	s_load_dwordx2 s[2:3], s[34:35], 0xcc
	s_waitcnt lgkmcnt(0)
	v_mul_hi_u32 v0, s9, v1
	v_add_u32_e32 v0, v1, v0
	v_lshrrev_b32_e32 v0, s10, v0
	v_mul_lo_u32 v0, v0, s8
	v_sub_u32_e32 v0, v1, v0
	v_mad_u64_u32 v[4:5], s[6:7], v0, s2, v[4:5]
	v_mad_u64_u32 v[11:12], s[2:3], v0, s3, v[11:12]
.LBB223_1038:
	s_and_b64 vcc, exec, s[0:1]
	v_add_u32_e32 v0, 0x100, v8
	s_cbranch_vccnz .LBB223_1044
; %bb.1039:
	s_cmp_lg_u32 s33, 0
	s_mov_b32 s36, 0
	s_cbranch_scc0 .LBB223_1045
; %bb.1040:
	s_min_u32 s37, s74, 15
	s_add_i32 s37, s37, 1
	s_cmp_eq_u32 s74, 2
	s_cbranch_scc1 .LBB223_1046
; %bb.1041:
	s_and_b32 s36, s37, 28
	s_add_u32 s2, s34, 0xc4
	s_addc_u32 s3, s35, 0
	v_mov_b32_e32 v9, 0
	s_mov_b32 s38, 0
	s_mov_b64 s[6:7], s[34:35]
	v_mov_b32_e32 v2, 0
	v_mov_b32_e32 v1, v0
.LBB223_1042:                           ; =>This Inner Loop Header: Depth=1
	s_load_dwordx8 s[16:23], s[6:7], 0x4
	s_load_dwordx4 s[24:27], s[6:7], 0x24
	s_load_dwordx8 s[8:15], s[2:3], 0x0
	s_add_u32 s6, s6, 48
	s_addc_u32 s7, s7, 0
	s_waitcnt lgkmcnt(0)
	v_mul_hi_u32 v3, s17, v1
	s_add_i32 s38, s38, 4
	s_add_u32 s2, s2, 32
	s_addc_u32 s3, s3, 0
	v_add_u32_e32 v3, v1, v3
	v_lshrrev_b32_e32 v3, s18, v3
	v_mul_lo_u32 v5, v3, s16
	v_mul_hi_u32 v7, s20, v3
	s_cmp_lg_u32 s36, s38
	v_sub_u32_e32 v1, v1, v5
	v_add_u32_e32 v5, v3, v7
	v_mul_lo_u32 v7, v1, s8
	v_mul_lo_u32 v8, v1, s9
	v_lshrrev_b32_e32 v1, s21, v5
	v_mul_lo_u32 v5, v1, s19
	v_mul_hi_u32 v10, s23, v1
	v_sub_u32_e32 v3, v3, v5
	v_add_u32_e32 v5, v1, v10
	v_lshrrev_b32_e32 v5, s24, v5
	v_mul_hi_u32 v12, s26, v5
	v_mul_lo_u32 v14, v5, s22
	v_mul_lo_u32 v10, v3, s10
	;; [unrolled: 1-line block ×3, first 2 shown]
	v_sub_u32_e32 v14, v1, v14
	v_add_u32_e32 v1, v5, v12
	v_lshrrev_b32_e32 v1, s27, v1
	v_mul_lo_u32 v12, v1, s25
	v_mul_lo_u32 v16, v14, s12
	;; [unrolled: 1-line block ×3, first 2 shown]
	v_add3_u32 v2, v7, v2, v10
	v_sub_u32_e32 v5, v5, v12
	v_mul_lo_u32 v12, v5, s14
	v_mul_lo_u32 v5, v5, s15
	v_add3_u32 v3, v8, v9, v3
	v_add3_u32 v2, v16, v2, v12
	;; [unrolled: 1-line block ×3, first 2 shown]
	s_cbranch_scc1 .LBB223_1042
; %bb.1043:
	s_and_b32 s8, s37, 3
	s_cmp_eq_u32 s8, 0
	s_cbranch_scc0 .LBB223_1047
	s_branch .LBB223_1049
.LBB223_1044:
                                        ; implicit-def: $vgpr2
                                        ; implicit-def: $vgpr9
	s_branch .LBB223_1050
.LBB223_1045:
	v_mov_b32_e32 v2, 0
	v_mov_b32_e32 v9, 0
	s_branch .LBB223_1049
.LBB223_1046:
	v_mov_b32_e32 v2, 0
	v_mov_b32_e32 v9, 0
	;; [unrolled: 1-line block ×3, first 2 shown]
	s_and_b32 s8, s37, 3
	s_cmp_eq_u32 s8, 0
	s_cbranch_scc1 .LBB223_1049
.LBB223_1047:
	s_lshl_b32 s2, s36, 3
	s_add_u32 s2, s34, s2
	s_addc_u32 s3, s35, 0
	s_add_u32 s2, s2, 0xc4
	s_addc_u32 s3, s3, 0
	s_mul_i32 s6, s36, 12
	s_add_u32 s6, s34, s6
	s_addc_u32 s7, s35, 0
.LBB223_1048:                           ; =>This Inner Loop Header: Depth=1
	s_load_dwordx2 s[10:11], s[6:7], 0x4
	s_load_dword s9, s[6:7], 0xc
	s_load_dwordx2 s[12:13], s[2:3], 0x0
	s_add_u32 s6, s6, 12
	s_addc_u32 s7, s7, 0
	s_waitcnt lgkmcnt(0)
	v_mul_hi_u32 v3, s11, v1
	s_add_u32 s2, s2, 8
	s_addc_u32 s3, s3, 0
	s_add_i32 s8, s8, -1
	v_add_u32_e32 v3, v1, v3
	v_lshrrev_b32_e32 v5, s9, v3
	v_mul_lo_u32 v3, v5, s10
	s_cmp_lg_u32 s8, 0
	v_sub_u32_e32 v1, v1, v3
	v_mad_u64_u32 v[2:3], s[10:11], v1, s12, v[2:3]
	v_mad_u64_u32 v[9:10], s[10:11], v1, s13, v[9:10]
	v_mov_b32_e32 v1, v5
	s_cbranch_scc1 .LBB223_1048
.LBB223_1049:
	s_cbranch_execnz .LBB223_1052
.LBB223_1050:
	s_load_dwordx4 s[8:11], s[34:35], 0x4
	s_load_dwordx2 s[2:3], s[34:35], 0xc4
	s_cmp_lt_u32 s33, 2
	s_waitcnt lgkmcnt(0)
	v_mul_hi_u32 v1, s9, v0
	v_add_u32_e32 v1, v0, v1
	v_lshrrev_b32_e32 v1, s10, v1
	v_mul_lo_u32 v2, v1, s8
	v_sub_u32_e32 v0, v0, v2
	v_mul_lo_u32 v2, v0, s2
	v_mul_lo_u32 v9, v0, s3
	s_cbranch_scc1 .LBB223_1052
; %bb.1051:
	s_load_dwordx4 s[8:11], s[34:35], 0x10
	s_load_dwordx2 s[2:3], s[34:35], 0xcc
	s_waitcnt lgkmcnt(0)
	v_mul_hi_u32 v0, s9, v1
	v_add_u32_e32 v0, v1, v0
	v_lshrrev_b32_e32 v0, s10, v0
	v_mul_lo_u32 v0, v0, s8
	v_sub_u32_e32 v0, v1, v0
	v_mad_u64_u32 v[2:3], s[6:7], v0, s2, v[2:3]
	v_mad_u64_u32 v[9:10], s[2:3], v0, s3, v[9:10]
.LBB223_1052:
	s_and_b64 vcc, exec, s[0:1]
	s_cbranch_vccnz .LBB223_1058
; %bb.1053:
	s_cmp_lg_u32 s33, 0
	s_mov_b32 s26, 0
	s_cbranch_scc0 .LBB223_1059
; %bb.1054:
	s_min_u32 s27, s74, 15
	s_add_i32 s27, s27, 1
	s_cmp_eq_u32 s74, 2
	s_cbranch_scc1 .LBB223_1060
; %bb.1055:
	s_and_b32 s26, s27, 28
	s_add_u32 s6, s34, 0xc4
	s_addc_u32 s7, s35, 0
	v_mov_b32_e32 v7, 0
	s_mov_b32 s36, 0
	s_mov_b64 s[24:25], s[34:35]
	v_mov_b32_e32 v0, 0
	v_mov_b32_e32 v1, v15
.LBB223_1056:                           ; =>This Inner Loop Header: Depth=1
	s_load_dwordx8 s[16:23], s[24:25], 0x4
	s_load_dwordx4 s[0:3], s[24:25], 0x24
	s_load_dwordx8 s[8:15], s[6:7], 0x0
	s_add_u32 s24, s24, 48
	s_addc_u32 s25, s25, 0
	s_waitcnt lgkmcnt(0)
	v_mul_hi_u32 v3, s17, v1
	s_add_i32 s36, s36, 4
	s_add_u32 s6, s6, 32
	s_addc_u32 s7, s7, 0
	v_add_u32_e32 v3, v1, v3
	v_lshrrev_b32_e32 v3, s18, v3
	v_mul_lo_u32 v5, v3, s16
	v_mul_hi_u32 v8, s20, v3
	s_cmp_lg_u32 s26, s36
	v_sub_u32_e32 v1, v1, v5
	v_add_u32_e32 v5, v3, v8
	v_mul_lo_u32 v8, v1, s8
	v_mul_lo_u32 v10, v1, s9
	v_lshrrev_b32_e32 v1, s21, v5
	v_mul_lo_u32 v5, v1, s19
	v_mul_hi_u32 v12, s23, v1
	v_sub_u32_e32 v3, v3, v5
	v_add_u32_e32 v5, v1, v12
	v_lshrrev_b32_e32 v5, s0, v5
	v_mul_hi_u32 v14, s2, v5
	v_mul_lo_u32 v16, v5, s22
	v_mul_lo_u32 v12, v3, s10
	;; [unrolled: 1-line block ×3, first 2 shown]
	v_sub_u32_e32 v16, v1, v16
	v_add_u32_e32 v1, v5, v14
	v_lshrrev_b32_e32 v1, s3, v1
	v_mul_lo_u32 v14, v1, s1
	v_mul_lo_u32 v17, v16, s12
	;; [unrolled: 1-line block ×3, first 2 shown]
	v_add3_u32 v0, v8, v0, v12
	v_sub_u32_e32 v5, v5, v14
	v_mul_lo_u32 v14, v5, s14
	v_mul_lo_u32 v5, v5, s15
	v_add3_u32 v3, v10, v7, v3
	v_add3_u32 v0, v17, v0, v14
	;; [unrolled: 1-line block ×3, first 2 shown]
	s_cbranch_scc1 .LBB223_1056
; %bb.1057:
	s_and_b32 s6, s27, 3
	s_cmp_eq_u32 s6, 0
	s_cbranch_scc0 .LBB223_1061
	s_branch .LBB223_1063
.LBB223_1058:
                                        ; implicit-def: $vgpr0
                                        ; implicit-def: $vgpr7
	s_branch .LBB223_1064
.LBB223_1059:
	v_mov_b32_e32 v0, 0
	v_mov_b32_e32 v7, 0
	s_branch .LBB223_1063
.LBB223_1060:
	v_mov_b32_e32 v0, 0
	v_mov_b32_e32 v7, 0
	;; [unrolled: 1-line block ×3, first 2 shown]
	s_and_b32 s6, s27, 3
	s_cmp_eq_u32 s6, 0
	s_cbranch_scc1 .LBB223_1063
.LBB223_1061:
	s_lshl_b32 s0, s26, 3
	s_add_u32 s0, s34, s0
	s_addc_u32 s1, s35, 0
	s_add_u32 s0, s0, 0xc4
	s_addc_u32 s1, s1, 0
	s_mul_i32 s2, s26, 12
	s_add_u32 s2, s34, s2
	s_addc_u32 s3, s35, 0
.LBB223_1062:                           ; =>This Inner Loop Header: Depth=1
	s_load_dwordx2 s[8:9], s[2:3], 0x4
	s_load_dword s7, s[2:3], 0xc
	s_load_dwordx2 s[10:11], s[0:1], 0x0
	s_add_u32 s2, s2, 12
	s_addc_u32 s3, s3, 0
	s_waitcnt lgkmcnt(0)
	v_mul_hi_u32 v3, s9, v1
	s_add_u32 s0, s0, 8
	s_addc_u32 s1, s1, 0
	s_add_i32 s6, s6, -1
	v_add_u32_e32 v3, v1, v3
	v_lshrrev_b32_e32 v3, s7, v3
	v_mul_lo_u32 v5, v3, s8
	s_cmp_lg_u32 s6, 0
	v_sub_u32_e32 v5, v1, v5
	v_mad_u64_u32 v[0:1], s[8:9], v5, s10, v[0:1]
	v_mad_u64_u32 v[7:8], s[8:9], v5, s11, v[7:8]
	v_mov_b32_e32 v1, v3
	s_cbranch_scc1 .LBB223_1062
.LBB223_1063:
	s_cbranch_execnz .LBB223_1066
.LBB223_1064:
	s_load_dwordx4 s[0:3], s[34:35], 0x4
	s_load_dwordx2 s[6:7], s[34:35], 0xc4
	s_cmp_lt_u32 s33, 2
	s_waitcnt lgkmcnt(0)
	v_mul_hi_u32 v0, s1, v15
	v_add_u32_e32 v0, v15, v0
	v_lshrrev_b32_e32 v1, s2, v0
	v_mul_lo_u32 v0, v1, s0
	v_sub_u32_e32 v3, v15, v0
	v_mul_lo_u32 v0, v3, s6
	v_mul_lo_u32 v7, v3, s7
	s_cbranch_scc1 .LBB223_1066
; %bb.1065:
	s_load_dwordx4 s[0:3], s[34:35], 0x10
	s_load_dwordx2 s[6:7], s[34:35], 0xcc
	s_waitcnt lgkmcnt(0)
	v_mul_hi_u32 v3, s1, v1
	v_add_u32_e32 v3, v1, v3
	v_lshrrev_b32_e32 v3, s2, v3
	v_mul_lo_u32 v3, v3, s0
	v_sub_u32_e32 v3, v1, v3
	v_mad_u64_u32 v[0:1], s[0:1], v3, s6, v[0:1]
	v_mad_u64_u32 v[7:8], s[0:1], v3, s7, v[7:8]
.LBB223_1066:
	s_load_dwordx4 s[8:11], s[34:35], 0x148
	s_load_dword s12, s[4:5], 0x168
	s_waitcnt lgkmcnt(0)
	v_mov_b32_e32 v1, s11
	s_bfe_u32 s13, s12, 0x80008
	v_add_co_u32_e32 v12, vcc, s10, v13
	s_cmp_lt_i32 s13, 11
	v_addc_co_u32_e32 v13, vcc, 0, v1, vcc
	s_cbranch_scc1 .LBB223_1073
; %bb.1067:
	s_and_b32 s16, 0xffff, s13
	s_cmp_gt_i32 s16, 25
	s_mov_b64 s[6:7], 0
	s_cbranch_scc0 .LBB223_1075
; %bb.1068:
	s_cmp_gt_i32 s16, 28
	s_cbranch_scc0 .LBB223_1076
; %bb.1069:
	s_cmp_gt_i32 s16, 43
	;; [unrolled: 3-line block ×3, first 2 shown]
	s_cbranch_scc0 .LBB223_1078
; %bb.1071:
	s_cmp_eq_u32 s16, 46
	s_mov_b64 s[2:3], 0
	s_cbranch_scc0 .LBB223_1081
; %bb.1072:
	global_load_dword v1, v[12:13], off
	s_mov_b64 s[0:1], 0
	s_mov_b64 s[4:5], -1
	s_waitcnt vmcnt(0)
	v_and_b32_e32 v1, 0x7fff7fff, v1
	v_cmp_ne_u32_e64 s[14:15], 0, v1
	s_branch .LBB223_1082
.LBB223_1073:
	s_mov_b64 s[4:5], 0
                                        ; implicit-def: $sgpr14_sgpr15
	s_mov_b64 s[2:3], s[28:29]
	s_cbranch_execnz .LBB223_1127
.LBB223_1074:
	s_andn2_b64 vcc, exec, s[4:5]
	s_cbranch_vccz .LBB223_1172
	s_branch .LBB223_1939
.LBB223_1075:
	s_mov_b64 s[4:5], 0
	s_mov_b64 s[0:1], 0
                                        ; implicit-def: $sgpr14_sgpr15
	s_cbranch_execnz .LBB223_1102
	s_branch .LBB223_1123
.LBB223_1076:
	s_mov_b64 s[2:3], -1
	s_mov_b64 s[4:5], 0
	s_mov_b64 s[0:1], 0
                                        ; implicit-def: $sgpr14_sgpr15
	s_branch .LBB223_1089
.LBB223_1077:
	s_mov_b64 s[4:5], 0
	s_mov_b64 s[0:1], 0
                                        ; implicit-def: $sgpr14_sgpr15
	s_cbranch_execnz .LBB223_1085
	s_branch .LBB223_1088
.LBB223_1078:
	s_mov_b64 s[2:3], -1
	s_mov_b64 s[4:5], 0
	s_mov_b64 s[0:1], 0
                                        ; implicit-def: $sgpr14_sgpr15
	s_branch .LBB223_1082
.LBB223_1079:
	s_andn2_saveexec_b64 s[16:17], s[16:17]
	s_cbranch_execz .LBB223_918
.LBB223_1080:
	v_add_f32_e32 v0, 0x46000000, v3
	v_and_b32_e32 v0, 0xff, v0
	v_cmp_ne_u32_e32 vcc, 0, v0
	s_andn2_b64 s[14:15], s[14:15], exec
	s_and_b64 s[18:19], vcc, exec
	s_or_b64 s[14:15], s[14:15], s[18:19]
	s_or_b64 exec, exec, s[16:17]
	v_mov_b32_e32 v4, 0
	s_and_saveexec_b64 s[16:17], s[14:15]
	s_cbranch_execnz .LBB223_919
	s_branch .LBB223_920
.LBB223_1081:
	s_mov_b64 s[0:1], -1
                                        ; implicit-def: $sgpr14_sgpr15
	s_mov_b64 s[4:5], 0
.LBB223_1082:
	s_and_b64 vcc, exec, s[2:3]
	s_cbranch_vccz .LBB223_1084
; %bb.1083:
	s_cmp_lg_u32 s16, 44
	s_mov_b64 s[4:5], -1
	s_cselect_b64 s[0:1], -1, 0
	s_or_b64 s[14:15], s[14:15], exec
.LBB223_1084:
	s_branch .LBB223_1088
.LBB223_1085:
	s_cmp_eq_u32 s16, 29
	s_cbranch_scc0 .LBB223_1087
; %bb.1086:
	global_load_dwordx2 v[14:15], v[12:13], off
	s_mov_b64 s[0:1], 0
	s_mov_b64 s[4:5], -1
	s_mov_b64 s[2:3], 0
	s_waitcnt vmcnt(0)
	v_cmp_ne_u64_e64 s[14:15], 0, v[14:15]
	s_branch .LBB223_1089
.LBB223_1087:
	s_mov_b64 s[0:1], -1
                                        ; implicit-def: $sgpr14_sgpr15
.LBB223_1088:
	s_mov_b64 s[2:3], 0
.LBB223_1089:
	s_and_b64 vcc, exec, s[2:3]
	s_cbranch_vccz .LBB223_1101
; %bb.1090:
	s_cmp_lt_i32 s16, 27
	s_cbranch_scc1 .LBB223_1093
; %bb.1091:
	s_cmp_gt_i32 s16, 27
	s_cbranch_scc0 .LBB223_1094
; %bb.1092:
	global_load_dword v1, v[12:13], off
	s_mov_b64 s[2:3], 0
	s_waitcnt vmcnt(0)
	v_cmp_ne_u32_e64 s[14:15], 0, v1
	s_branch .LBB223_1095
.LBB223_1093:
	s_mov_b64 s[2:3], -1
                                        ; implicit-def: $sgpr14_sgpr15
	s_branch .LBB223_1098
.LBB223_1094:
	s_mov_b64 s[2:3], -1
                                        ; implicit-def: $sgpr14_sgpr15
.LBB223_1095:
	s_andn2_b64 vcc, exec, s[2:3]
	s_cbranch_vccnz .LBB223_1097
; %bb.1096:
	global_load_ushort v1, v[12:13], off
	s_andn2_b64 s[2:3], s[14:15], exec
	s_waitcnt vmcnt(0)
	v_cmp_ne_u16_e32 vcc, 0, v1
	s_and_b64 s[4:5], vcc, exec
	s_or_b64 s[14:15], s[2:3], s[4:5]
.LBB223_1097:
	s_mov_b64 s[2:3], 0
.LBB223_1098:
	s_andn2_b64 vcc, exec, s[2:3]
	s_cbranch_vccnz .LBB223_1100
; %bb.1099:
	global_load_ubyte v1, v[12:13], off
	s_andn2_b64 s[2:3], s[14:15], exec
	s_waitcnt vmcnt(0)
	v_cmp_ne_u16_e32 vcc, 0, v1
	s_and_b64 s[4:5], vcc, exec
	s_or_b64 s[14:15], s[2:3], s[4:5]
.LBB223_1100:
	s_mov_b64 s[4:5], -1
.LBB223_1101:
	s_branch .LBB223_1123
.LBB223_1102:
	s_cmp_gt_i32 s16, 22
	s_cbranch_scc0 .LBB223_1106
; %bb.1103:
	s_cmp_lt_i32 s16, 24
	s_cbranch_scc1 .LBB223_1107
; %bb.1104:
	s_cmp_gt_i32 s16, 24
	s_cbranch_scc0 .LBB223_1108
; %bb.1105:
	global_load_ubyte v1, v[12:13], off
	s_mov_b64 s[2:3], 0
	s_waitcnt vmcnt(0)
	v_cmp_ne_u16_e64 s[14:15], 0, v1
	s_branch .LBB223_1109
.LBB223_1106:
                                        ; implicit-def: $sgpr14_sgpr15
	s_branch .LBB223_1115
.LBB223_1107:
	s_mov_b64 s[2:3], -1
                                        ; implicit-def: $sgpr14_sgpr15
	s_branch .LBB223_1112
.LBB223_1108:
	s_mov_b64 s[2:3], -1
                                        ; implicit-def: $sgpr14_sgpr15
.LBB223_1109:
	s_andn2_b64 vcc, exec, s[2:3]
	s_cbranch_vccnz .LBB223_1111
; %bb.1110:
	global_load_ubyte v1, v[12:13], off
	s_andn2_b64 s[2:3], s[14:15], exec
	s_waitcnt vmcnt(0)
	v_and_b32_e32 v1, 0x7f, v1
	v_cmp_ne_u16_e32 vcc, 0, v1
	s_and_b64 s[4:5], vcc, exec
	s_or_b64 s[14:15], s[2:3], s[4:5]
.LBB223_1111:
	s_mov_b64 s[2:3], 0
.LBB223_1112:
	s_andn2_b64 vcc, exec, s[2:3]
	s_cbranch_vccnz .LBB223_1114
; %bb.1113:
	global_load_ubyte v1, v[12:13], off
	s_movk_i32 s2, 0x7f00
	s_brev_b32 s3, 16
	s_waitcnt vmcnt(0)
	v_lshlrev_b32_e32 v3, 8, v1
	v_lshlrev_b32_e32 v1, 25, v1
	v_lshrrev_b32_e32 v5, 4, v1
	v_and_or_b32 v3, v3, s2, 0.5
	v_or_b32_e32 v5, 0x70000000, v5
	v_add_f32_e32 v3, -0.5, v3
	v_mul_f32_e32 v5, 0x7800000, v5
	v_cmp_gt_u32_e32 vcc, s3, v1
	v_cndmask_b32_e32 v1, v5, v3, vcc
	v_cmp_neq_f32_e32 vcc, 0, v1
	s_andn2_b64 s[2:3], s[14:15], exec
	s_and_b64 s[4:5], vcc, exec
	s_or_b64 s[14:15], s[2:3], s[4:5]
.LBB223_1114:
	s_mov_b64 s[4:5], -1
	s_cbranch_execnz .LBB223_1123
.LBB223_1115:
	s_cmp_gt_i32 s16, 14
	s_cbranch_scc0 .LBB223_1118
; %bb.1116:
	s_cmp_eq_u32 s16, 15
	s_cbranch_scc0 .LBB223_1119
; %bb.1117:
	global_load_ushort v1, v[12:13], off
	s_mov_b64 s[0:1], 0
	s_mov_b64 s[4:5], -1
	s_waitcnt vmcnt(0)
	v_and_b32_e32 v1, 0x7fff, v1
	v_cmp_ne_u16_e64 s[14:15], 0, v1
	s_branch .LBB223_1120
.LBB223_1118:
	s_mov_b64 s[2:3], -1
                                        ; implicit-def: $sgpr14_sgpr15
	s_branch .LBB223_1121
.LBB223_1119:
	s_mov_b64 s[0:1], -1
                                        ; implicit-def: $sgpr14_sgpr15
.LBB223_1120:
	s_mov_b64 s[2:3], 0
.LBB223_1121:
	s_and_b64 vcc, exec, s[2:3]
	s_cbranch_vccz .LBB223_1123
; %bb.1122:
	s_cmp_lg_u32 s16, 11
	s_mov_b64 s[6:7], -1
	s_cselect_b64 s[0:1], -1, 0
.LBB223_1123:
	s_and_b64 vcc, exec, s[0:1]
	s_mov_b64 s[2:3], s[28:29]
	s_cbranch_vccnz .LBB223_1184
; %bb.1124:
	s_andn2_b64 vcc, exec, s[6:7]
	s_cbranch_vccnz .LBB223_1126
.LBB223_1125:
	global_load_ubyte v1, v[12:13], off
	s_andn2_b64 s[0:1], s[14:15], exec
	s_mov_b64 s[4:5], -1
	s_waitcnt vmcnt(0)
	v_cmp_ne_u16_e32 vcc, 0, v1
	s_and_b64 s[6:7], vcc, exec
	s_or_b64 s[14:15], s[0:1], s[6:7]
.LBB223_1126:
	s_branch .LBB223_1074
.LBB223_1127:
	s_and_b32 s6, 0xffff, s13
	s_cmp_lt_i32 s6, 5
	s_cbranch_scc1 .LBB223_1132
; %bb.1128:
	s_cmp_lt_i32 s6, 8
	s_cbranch_scc1 .LBB223_1133
; %bb.1129:
	;; [unrolled: 3-line block ×3, first 2 shown]
	s_cmp_gt_i32 s6, 9
	s_cbranch_scc0 .LBB223_1135
; %bb.1131:
	global_load_dwordx4 v[14:17], v[12:13], off
	s_mov_b64 s[4:5], 0
	s_waitcnt vmcnt(0)
	v_cmp_neq_f64_e32 vcc, 0, v[14:15]
	v_cmp_neq_f64_e64 s[0:1], 0, v[16:17]
	s_or_b64 s[14:15], vcc, s[0:1]
	s_branch .LBB223_1136
.LBB223_1132:
                                        ; implicit-def: $sgpr14_sgpr15
	s_branch .LBB223_1153
.LBB223_1133:
                                        ; implicit-def: $sgpr14_sgpr15
	s_branch .LBB223_1142
.LBB223_1134:
	s_mov_b64 s[0:1], -1
                                        ; implicit-def: $sgpr14_sgpr15
	s_branch .LBB223_1139
.LBB223_1135:
	s_mov_b64 s[4:5], -1
                                        ; implicit-def: $sgpr14_sgpr15
.LBB223_1136:
	s_andn2_b64 vcc, exec, s[4:5]
	s_cbranch_vccnz .LBB223_1138
; %bb.1137:
	global_load_dwordx2 v[14:15], v[12:13], off
	s_andn2_b64 s[0:1], s[14:15], exec
	s_waitcnt vmcnt(0)
	v_or_b32_e32 v1, v14, v15
	v_and_b32_e32 v1, 0x7fffffff, v1
	v_cmp_ne_u32_e32 vcc, 0, v1
	s_and_b64 s[4:5], vcc, exec
	s_or_b64 s[14:15], s[0:1], s[4:5]
.LBB223_1138:
	s_mov_b64 s[0:1], 0
.LBB223_1139:
	s_andn2_b64 vcc, exec, s[0:1]
	s_cbranch_vccnz .LBB223_1141
; %bb.1140:
	global_load_dword v1, v[12:13], off
	s_andn2_b64 s[0:1], s[14:15], exec
	s_waitcnt vmcnt(0)
	v_and_b32_e32 v1, 0x7fff7fff, v1
	v_cmp_ne_u32_e32 vcc, 0, v1
	s_and_b64 s[4:5], vcc, exec
	s_or_b64 s[14:15], s[0:1], s[4:5]
.LBB223_1141:
	s_cbranch_execnz .LBB223_1152
.LBB223_1142:
	s_cmp_lt_i32 s6, 6
	s_cbranch_scc1 .LBB223_1145
; %bb.1143:
	s_cmp_gt_i32 s6, 6
	s_cbranch_scc0 .LBB223_1146
; %bb.1144:
	global_load_dwordx2 v[14:15], v[12:13], off
	s_mov_b64 s[0:1], 0
	s_waitcnt vmcnt(0)
	v_cmp_neq_f64_e64 s[14:15], 0, v[14:15]
	s_branch .LBB223_1147
.LBB223_1145:
	s_mov_b64 s[0:1], -1
                                        ; implicit-def: $sgpr14_sgpr15
	s_branch .LBB223_1150
.LBB223_1146:
	s_mov_b64 s[0:1], -1
                                        ; implicit-def: $sgpr14_sgpr15
.LBB223_1147:
	s_andn2_b64 vcc, exec, s[0:1]
	s_cbranch_vccnz .LBB223_1149
; %bb.1148:
	global_load_dword v1, v[12:13], off
	s_andn2_b64 s[0:1], s[14:15], exec
	s_waitcnt vmcnt(0)
	v_cmp_neq_f32_e32 vcc, 0, v1
	s_and_b64 s[4:5], vcc, exec
	s_or_b64 s[14:15], s[0:1], s[4:5]
.LBB223_1149:
	s_mov_b64 s[0:1], 0
.LBB223_1150:
	s_andn2_b64 vcc, exec, s[0:1]
	s_cbranch_vccnz .LBB223_1152
; %bb.1151:
	global_load_ushort v1, v[12:13], off
	s_andn2_b64 s[0:1], s[14:15], exec
	s_waitcnt vmcnt(0)
	v_and_b32_e32 v1, 0x7fff, v1
	v_cmp_ne_u16_e32 vcc, 0, v1
	s_and_b64 s[4:5], vcc, exec
	s_or_b64 s[14:15], s[0:1], s[4:5]
.LBB223_1152:
	s_cbranch_execnz .LBB223_1171
.LBB223_1153:
	s_cmp_lt_i32 s6, 2
	s_cbranch_scc1 .LBB223_1157
; %bb.1154:
	s_cmp_lt_i32 s6, 3
	s_cbranch_scc1 .LBB223_1158
; %bb.1155:
	s_cmp_gt_i32 s6, 3
	s_cbranch_scc0 .LBB223_1159
; %bb.1156:
	global_load_dwordx2 v[14:15], v[12:13], off
	s_mov_b64 s[0:1], 0
	s_waitcnt vmcnt(0)
	v_cmp_ne_u64_e64 s[14:15], 0, v[14:15]
	s_branch .LBB223_1160
.LBB223_1157:
                                        ; implicit-def: $sgpr14_sgpr15
	s_branch .LBB223_1166
.LBB223_1158:
	s_mov_b64 s[0:1], -1
                                        ; implicit-def: $sgpr14_sgpr15
	s_branch .LBB223_1163
.LBB223_1159:
	s_mov_b64 s[0:1], -1
                                        ; implicit-def: $sgpr14_sgpr15
.LBB223_1160:
	s_andn2_b64 vcc, exec, s[0:1]
	s_cbranch_vccnz .LBB223_1162
; %bb.1161:
	global_load_dword v1, v[12:13], off
	s_andn2_b64 s[0:1], s[14:15], exec
	s_waitcnt vmcnt(0)
	v_cmp_ne_u32_e32 vcc, 0, v1
	s_and_b64 s[4:5], vcc, exec
	s_or_b64 s[14:15], s[0:1], s[4:5]
.LBB223_1162:
	s_mov_b64 s[0:1], 0
.LBB223_1163:
	s_andn2_b64 vcc, exec, s[0:1]
	s_cbranch_vccnz .LBB223_1165
; %bb.1164:
	global_load_ushort v1, v[12:13], off
	s_andn2_b64 s[0:1], s[14:15], exec
	s_waitcnt vmcnt(0)
	v_cmp_ne_u16_e32 vcc, 0, v1
	s_and_b64 s[4:5], vcc, exec
	s_or_b64 s[14:15], s[0:1], s[4:5]
.LBB223_1165:
	s_cbranch_execnz .LBB223_1171
.LBB223_1166:
	s_cmp_gt_i32 s6, 0
	s_cbranch_scc0 .LBB223_1168
; %bb.1167:
	global_load_ubyte v1, v[12:13], off
	s_mov_b64 s[0:1], 0
	s_waitcnt vmcnt(0)
	v_cmp_ne_u16_e64 s[14:15], 0, v1
	s_branch .LBB223_1169
.LBB223_1168:
	s_mov_b64 s[0:1], -1
                                        ; implicit-def: $sgpr14_sgpr15
.LBB223_1169:
	s_andn2_b64 vcc, exec, s[0:1]
	s_cbranch_vccnz .LBB223_1171
; %bb.1170:
	global_load_ubyte v1, v[12:13], off
	s_andn2_b64 s[0:1], s[14:15], exec
	s_waitcnt vmcnt(0)
	v_cmp_ne_u16_e32 vcc, 0, v1
	s_and_b64 s[4:5], vcc, exec
	s_or_b64 s[14:15], s[0:1], s[4:5]
.LBB223_1171:
.LBB223_1172:
	s_lshr_b32 s0, s12, 8
	v_mov_b32_e32 v1, s11
	s_and_b32 s20, s0, 0xff
	v_add_co_u32_e32 v10, vcc, s10, v11
	s_cmp_lt_i32 s20, 11
	v_addc_co_u32_e32 v11, vcc, 0, v1, vcc
	s_cbranch_scc1 .LBB223_1179
; %bb.1173:
	s_and_b32 s18, 0xffff, s20
	s_cmp_gt_i32 s18, 25
	s_mov_b64 s[6:7], 0
	s_cbranch_scc0 .LBB223_1181
; %bb.1174:
	s_cmp_gt_i32 s18, 28
	s_cbranch_scc0 .LBB223_1182
; %bb.1175:
	s_cmp_gt_i32 s18, 43
	s_cbranch_scc0 .LBB223_1183
; %bb.1176:
	s_cmp_gt_i32 s18, 45
	s_cbranch_scc0 .LBB223_1185
; %bb.1177:
	s_cmp_eq_u32 s18, 46
	s_mov_b64 s[16:17], 0
	s_cbranch_scc0 .LBB223_1188
; %bb.1178:
	global_load_dword v1, v[10:11], off
	s_mov_b64 s[0:1], 0
	s_mov_b64 s[4:5], -1
	s_waitcnt vmcnt(0)
	v_and_b32_e32 v1, 0x7fff7fff, v1
	v_cmp_ne_u32_e64 s[12:13], 0, v1
	s_branch .LBB223_1189
.LBB223_1179:
	s_mov_b64 s[4:5], 0
                                        ; implicit-def: $sgpr12_sgpr13
	s_cbranch_execnz .LBB223_1236
.LBB223_1180:
	s_andn2_b64 vcc, exec, s[4:5]
	s_cbranch_vccnz .LBB223_1939
	s_branch .LBB223_1283
.LBB223_1181:
	s_mov_b64 s[4:5], 0
	s_mov_b64 s[0:1], 0
                                        ; implicit-def: $sgpr12_sgpr13
	s_cbranch_execnz .LBB223_1210
	s_branch .LBB223_1232
.LBB223_1182:
	s_mov_b64 s[16:17], -1
	s_mov_b64 s[4:5], 0
	s_mov_b64 s[0:1], 0
                                        ; implicit-def: $sgpr12_sgpr13
	s_branch .LBB223_1197
.LBB223_1183:
	s_mov_b64 s[16:17], -1
	s_mov_b64 s[4:5], 0
	s_mov_b64 s[0:1], 0
                                        ; implicit-def: $sgpr12_sgpr13
	s_branch .LBB223_1192
.LBB223_1184:
	s_mov_b64 s[4:5], 0
	s_or_b64 s[2:3], s[28:29], exec
	s_trap 2
	s_cbranch_execz .LBB223_1125
	s_branch .LBB223_1126
.LBB223_1185:
	s_mov_b64 s[16:17], -1
	s_mov_b64 s[4:5], 0
	s_mov_b64 s[0:1], 0
                                        ; implicit-def: $sgpr12_sgpr13
	s_branch .LBB223_1189
.LBB223_1186:
	s_andn2_saveexec_b64 s[18:19], s[18:19]
	s_cbranch_execz .LBB223_930
.LBB223_1187:
	v_add_f32_e32 v0, 0x42800000, v3
	v_and_b32_e32 v0, 0xff, v0
	v_cmp_ne_u32_e32 vcc, 0, v0
	s_andn2_b64 s[16:17], s[16:17], exec
	s_and_b64 s[22:23], vcc, exec
	s_or_b64 s[16:17], s[16:17], s[22:23]
	s_or_b64 exec, exec, s[18:19]
	v_mov_b32_e32 v4, 0
	s_and_saveexec_b64 s[18:19], s[16:17]
	s_cbranch_execnz .LBB223_931
	s_branch .LBB223_932
.LBB223_1188:
	s_mov_b64 s[0:1], -1
                                        ; implicit-def: $sgpr12_sgpr13
	s_mov_b64 s[4:5], 0
.LBB223_1189:
	s_and_b64 vcc, exec, s[16:17]
	s_cbranch_vccz .LBB223_1191
; %bb.1190:
	s_cmp_lg_u32 s18, 44
	s_mov_b64 s[4:5], -1
	s_cselect_b64 s[0:1], -1, 0
	s_or_b64 s[12:13], s[12:13], exec
.LBB223_1191:
	s_mov_b64 s[16:17], 0
.LBB223_1192:
	s_and_b64 vcc, exec, s[16:17]
	s_cbranch_vccz .LBB223_1196
; %bb.1193:
	s_cmp_eq_u32 s18, 29
	s_cbranch_scc0 .LBB223_1195
; %bb.1194:
	global_load_dwordx2 v[12:13], v[10:11], off
	s_mov_b64 s[0:1], 0
	s_mov_b64 s[4:5], -1
	s_mov_b64 s[16:17], 0
	s_waitcnt vmcnt(0)
	v_cmp_ne_u64_e64 s[12:13], 0, v[12:13]
	s_branch .LBB223_1197
.LBB223_1195:
	s_mov_b64 s[0:1], -1
                                        ; implicit-def: $sgpr12_sgpr13
.LBB223_1196:
	s_mov_b64 s[16:17], 0
.LBB223_1197:
	s_and_b64 vcc, exec, s[16:17]
	s_cbranch_vccz .LBB223_1209
; %bb.1198:
	s_cmp_lt_i32 s18, 27
	s_cbranch_scc1 .LBB223_1201
; %bb.1199:
	s_cmp_gt_i32 s18, 27
	s_cbranch_scc0 .LBB223_1202
; %bb.1200:
	global_load_dword v1, v[10:11], off
	s_mov_b64 s[4:5], 0
	s_waitcnt vmcnt(0)
	v_cmp_ne_u32_e64 s[12:13], 0, v1
	s_branch .LBB223_1203
.LBB223_1201:
	s_mov_b64 s[4:5], -1
                                        ; implicit-def: $sgpr12_sgpr13
	s_branch .LBB223_1206
.LBB223_1202:
	s_mov_b64 s[4:5], -1
                                        ; implicit-def: $sgpr12_sgpr13
.LBB223_1203:
	s_andn2_b64 vcc, exec, s[4:5]
	s_cbranch_vccnz .LBB223_1205
; %bb.1204:
	global_load_ushort v1, v[10:11], off
	s_andn2_b64 s[4:5], s[12:13], exec
	s_waitcnt vmcnt(0)
	v_cmp_ne_u16_e32 vcc, 0, v1
	s_and_b64 s[12:13], vcc, exec
	s_or_b64 s[12:13], s[4:5], s[12:13]
.LBB223_1205:
	s_mov_b64 s[4:5], 0
.LBB223_1206:
	s_andn2_b64 vcc, exec, s[4:5]
	s_cbranch_vccnz .LBB223_1208
; %bb.1207:
	global_load_ubyte v1, v[10:11], off
	s_andn2_b64 s[4:5], s[12:13], exec
	s_waitcnt vmcnt(0)
	v_cmp_ne_u16_e32 vcc, 0, v1
	s_and_b64 s[12:13], vcc, exec
	s_or_b64 s[12:13], s[4:5], s[12:13]
.LBB223_1208:
	s_mov_b64 s[4:5], -1
.LBB223_1209:
	s_branch .LBB223_1232
.LBB223_1210:
	s_cmp_gt_i32 s18, 22
	s_cbranch_scc0 .LBB223_1214
; %bb.1211:
	s_cmp_lt_i32 s18, 24
	s_cbranch_scc1 .LBB223_1215
; %bb.1212:
	s_cmp_gt_i32 s18, 24
	s_cbranch_scc0 .LBB223_1216
; %bb.1213:
	global_load_ubyte v1, v[10:11], off
	s_mov_b64 s[4:5], 0
	s_waitcnt vmcnt(0)
	v_cmp_ne_u16_e64 s[12:13], 0, v1
	s_branch .LBB223_1217
.LBB223_1214:
	s_mov_b64 s[6:7], -1
                                        ; implicit-def: $sgpr12_sgpr13
	s_branch .LBB223_1223
.LBB223_1215:
	s_mov_b64 s[4:5], -1
                                        ; implicit-def: $sgpr12_sgpr13
	s_branch .LBB223_1220
.LBB223_1216:
	s_mov_b64 s[4:5], -1
                                        ; implicit-def: $sgpr12_sgpr13
.LBB223_1217:
	s_andn2_b64 vcc, exec, s[4:5]
	s_cbranch_vccnz .LBB223_1219
; %bb.1218:
	global_load_ubyte v1, v[10:11], off
	s_andn2_b64 s[4:5], s[12:13], exec
	s_waitcnt vmcnt(0)
	v_and_b32_e32 v1, 0x7f, v1
	v_cmp_ne_u16_e32 vcc, 0, v1
	s_and_b64 s[6:7], vcc, exec
	s_or_b64 s[12:13], s[4:5], s[6:7]
.LBB223_1219:
	s_mov_b64 s[4:5], 0
.LBB223_1220:
	s_andn2_b64 vcc, exec, s[4:5]
	s_cbranch_vccnz .LBB223_1222
; %bb.1221:
	global_load_ubyte v1, v[10:11], off
	s_movk_i32 s4, 0x7f00
	s_brev_b32 s5, 16
	s_waitcnt vmcnt(0)
	v_lshlrev_b32_e32 v3, 8, v1
	v_lshlrev_b32_e32 v1, 25, v1
	v_lshrrev_b32_e32 v5, 4, v1
	v_and_or_b32 v3, v3, s4, 0.5
	v_or_b32_e32 v5, 0x70000000, v5
	v_add_f32_e32 v3, -0.5, v3
	v_mul_f32_e32 v5, 0x7800000, v5
	v_cmp_gt_u32_e32 vcc, s5, v1
	v_cndmask_b32_e32 v1, v5, v3, vcc
	v_cmp_neq_f32_e32 vcc, 0, v1
	s_andn2_b64 s[4:5], s[12:13], exec
	s_and_b64 s[6:7], vcc, exec
	s_or_b64 s[12:13], s[4:5], s[6:7]
.LBB223_1222:
	s_mov_b64 s[6:7], 0
	s_mov_b64 s[4:5], -1
.LBB223_1223:
	s_andn2_b64 vcc, exec, s[6:7]
	s_mov_b64 s[6:7], 0
	s_cbranch_vccnz .LBB223_1232
; %bb.1224:
	s_cmp_gt_i32 s18, 14
	s_cbranch_scc0 .LBB223_1227
; %bb.1225:
	s_cmp_eq_u32 s18, 15
	s_cbranch_scc0 .LBB223_1228
; %bb.1226:
	global_load_ushort v1, v[10:11], off
	s_mov_b64 s[0:1], 0
	s_mov_b64 s[4:5], -1
	s_waitcnt vmcnt(0)
	v_and_b32_e32 v1, 0x7fff, v1
	v_cmp_ne_u16_e64 s[12:13], 0, v1
	s_branch .LBB223_1229
.LBB223_1227:
	s_mov_b64 s[16:17], -1
                                        ; implicit-def: $sgpr12_sgpr13
	s_branch .LBB223_1230
.LBB223_1228:
	s_mov_b64 s[0:1], -1
                                        ; implicit-def: $sgpr12_sgpr13
.LBB223_1229:
	s_mov_b64 s[16:17], 0
.LBB223_1230:
	s_and_b64 vcc, exec, s[16:17]
	s_cbranch_vccz .LBB223_1232
; %bb.1231:
	s_cmp_lg_u32 s18, 11
	s_mov_b64 s[6:7], -1
	s_cselect_b64 s[0:1], -1, 0
.LBB223_1232:
	s_and_b64 vcc, exec, s[0:1]
	s_cbranch_vccnz .LBB223_1295
; %bb.1233:
	s_andn2_b64 vcc, exec, s[6:7]
	s_cbranch_vccnz .LBB223_1235
.LBB223_1234:
	global_load_ubyte v1, v[10:11], off
	s_andn2_b64 s[0:1], s[12:13], exec
	s_mov_b64 s[4:5], -1
	s_waitcnt vmcnt(0)
	v_cmp_ne_u16_e32 vcc, 0, v1
	s_and_b64 s[6:7], vcc, exec
	s_or_b64 s[12:13], s[0:1], s[6:7]
.LBB223_1235:
	s_branch .LBB223_1180
.LBB223_1236:
	s_and_b32 s6, 0xffff, s20
	s_cmp_lt_i32 s6, 5
	s_cbranch_scc1 .LBB223_1241
; %bb.1237:
	s_cmp_lt_i32 s6, 8
	s_cbranch_scc1 .LBB223_1242
; %bb.1238:
	;; [unrolled: 3-line block ×3, first 2 shown]
	s_cmp_gt_i32 s6, 9
	s_cbranch_scc0 .LBB223_1244
; %bb.1240:
	global_load_dwordx4 v[12:15], v[10:11], off
	s_mov_b64 s[4:5], 0
	s_waitcnt vmcnt(0)
	v_cmp_neq_f64_e32 vcc, 0, v[12:13]
	v_cmp_neq_f64_e64 s[0:1], 0, v[14:15]
	s_or_b64 s[12:13], vcc, s[0:1]
	s_branch .LBB223_1245
.LBB223_1241:
                                        ; implicit-def: $sgpr12_sgpr13
	s_branch .LBB223_1263
.LBB223_1242:
	s_mov_b64 s[0:1], -1
                                        ; implicit-def: $sgpr12_sgpr13
	s_branch .LBB223_1251
.LBB223_1243:
	s_mov_b64 s[0:1], -1
                                        ; implicit-def: $sgpr12_sgpr13
	s_branch .LBB223_1248
.LBB223_1244:
	s_mov_b64 s[4:5], -1
                                        ; implicit-def: $sgpr12_sgpr13
.LBB223_1245:
	s_andn2_b64 vcc, exec, s[4:5]
	s_cbranch_vccnz .LBB223_1247
; %bb.1246:
	global_load_dwordx2 v[12:13], v[10:11], off
	s_andn2_b64 s[0:1], s[12:13], exec
	s_waitcnt vmcnt(0)
	v_or_b32_e32 v1, v12, v13
	v_and_b32_e32 v1, 0x7fffffff, v1
	v_cmp_ne_u32_e32 vcc, 0, v1
	s_and_b64 s[4:5], vcc, exec
	s_or_b64 s[12:13], s[0:1], s[4:5]
.LBB223_1247:
	s_mov_b64 s[0:1], 0
.LBB223_1248:
	s_andn2_b64 vcc, exec, s[0:1]
	s_cbranch_vccnz .LBB223_1250
; %bb.1249:
	global_load_dword v1, v[10:11], off
	s_andn2_b64 s[0:1], s[12:13], exec
	s_waitcnt vmcnt(0)
	v_and_b32_e32 v1, 0x7fff7fff, v1
	v_cmp_ne_u32_e32 vcc, 0, v1
	s_and_b64 s[4:5], vcc, exec
	s_or_b64 s[12:13], s[0:1], s[4:5]
.LBB223_1250:
	s_mov_b64 s[0:1], 0
.LBB223_1251:
	s_andn2_b64 vcc, exec, s[0:1]
	s_cbranch_vccnz .LBB223_1262
; %bb.1252:
	s_cmp_lt_i32 s6, 6
	s_cbranch_scc1 .LBB223_1255
; %bb.1253:
	s_cmp_gt_i32 s6, 6
	s_cbranch_scc0 .LBB223_1256
; %bb.1254:
	global_load_dwordx2 v[12:13], v[10:11], off
	s_mov_b64 s[0:1], 0
	s_waitcnt vmcnt(0)
	v_cmp_neq_f64_e64 s[12:13], 0, v[12:13]
	s_branch .LBB223_1257
.LBB223_1255:
	s_mov_b64 s[0:1], -1
                                        ; implicit-def: $sgpr12_sgpr13
	s_branch .LBB223_1260
.LBB223_1256:
	s_mov_b64 s[0:1], -1
                                        ; implicit-def: $sgpr12_sgpr13
.LBB223_1257:
	s_andn2_b64 vcc, exec, s[0:1]
	s_cbranch_vccnz .LBB223_1259
; %bb.1258:
	global_load_dword v1, v[10:11], off
	s_andn2_b64 s[0:1], s[12:13], exec
	s_waitcnt vmcnt(0)
	v_cmp_neq_f32_e32 vcc, 0, v1
	s_and_b64 s[4:5], vcc, exec
	s_or_b64 s[12:13], s[0:1], s[4:5]
.LBB223_1259:
	s_mov_b64 s[0:1], 0
.LBB223_1260:
	s_andn2_b64 vcc, exec, s[0:1]
	s_cbranch_vccnz .LBB223_1262
; %bb.1261:
	global_load_ushort v1, v[10:11], off
	s_andn2_b64 s[0:1], s[12:13], exec
	s_waitcnt vmcnt(0)
	v_and_b32_e32 v1, 0x7fff, v1
	v_cmp_ne_u16_e32 vcc, 0, v1
	s_and_b64 s[4:5], vcc, exec
	s_or_b64 s[12:13], s[0:1], s[4:5]
.LBB223_1262:
	s_cbranch_execnz .LBB223_1282
.LBB223_1263:
	s_cmp_lt_i32 s6, 2
	s_cbranch_scc1 .LBB223_1267
; %bb.1264:
	s_cmp_lt_i32 s6, 3
	s_cbranch_scc1 .LBB223_1268
; %bb.1265:
	s_cmp_gt_i32 s6, 3
	s_cbranch_scc0 .LBB223_1269
; %bb.1266:
	global_load_dwordx2 v[12:13], v[10:11], off
	s_mov_b64 s[0:1], 0
	s_waitcnt vmcnt(0)
	v_cmp_ne_u64_e64 s[12:13], 0, v[12:13]
	s_branch .LBB223_1270
.LBB223_1267:
	s_mov_b64 s[0:1], -1
                                        ; implicit-def: $sgpr12_sgpr13
	s_branch .LBB223_1276
.LBB223_1268:
	s_mov_b64 s[0:1], -1
                                        ; implicit-def: $sgpr12_sgpr13
	s_branch .LBB223_1273
.LBB223_1269:
	s_mov_b64 s[0:1], -1
                                        ; implicit-def: $sgpr12_sgpr13
.LBB223_1270:
	s_andn2_b64 vcc, exec, s[0:1]
	s_cbranch_vccnz .LBB223_1272
; %bb.1271:
	global_load_dword v1, v[10:11], off
	s_andn2_b64 s[0:1], s[12:13], exec
	s_waitcnt vmcnt(0)
	v_cmp_ne_u32_e32 vcc, 0, v1
	s_and_b64 s[4:5], vcc, exec
	s_or_b64 s[12:13], s[0:1], s[4:5]
.LBB223_1272:
	s_mov_b64 s[0:1], 0
.LBB223_1273:
	s_andn2_b64 vcc, exec, s[0:1]
	s_cbranch_vccnz .LBB223_1275
; %bb.1274:
	global_load_ushort v1, v[10:11], off
	s_andn2_b64 s[0:1], s[12:13], exec
	s_waitcnt vmcnt(0)
	v_cmp_ne_u16_e32 vcc, 0, v1
	s_and_b64 s[4:5], vcc, exec
	s_or_b64 s[12:13], s[0:1], s[4:5]
.LBB223_1275:
	s_mov_b64 s[0:1], 0
.LBB223_1276:
	s_andn2_b64 vcc, exec, s[0:1]
	s_cbranch_vccnz .LBB223_1282
; %bb.1277:
	s_cmp_gt_i32 s6, 0
	s_cbranch_scc0 .LBB223_1279
; %bb.1278:
	global_load_ubyte v1, v[10:11], off
	s_mov_b64 s[0:1], 0
	s_waitcnt vmcnt(0)
	v_cmp_ne_u16_e64 s[12:13], 0, v1
	s_branch .LBB223_1280
.LBB223_1279:
	s_mov_b64 s[0:1], -1
                                        ; implicit-def: $sgpr12_sgpr13
.LBB223_1280:
	s_andn2_b64 vcc, exec, s[0:1]
	s_cbranch_vccnz .LBB223_1282
; %bb.1281:
	global_load_ubyte v1, v[10:11], off
	s_andn2_b64 s[0:1], s[12:13], exec
	s_waitcnt vmcnt(0)
	v_cmp_ne_u16_e32 vcc, 0, v1
	s_and_b64 s[4:5], vcc, exec
	s_or_b64 s[12:13], s[0:1], s[4:5]
.LBB223_1282:
.LBB223_1283:
	v_mov_b32_e32 v1, s11
	v_add_co_u32_e32 v8, vcc, s10, v9
	s_cmp_lt_i32 s20, 11
	v_addc_co_u32_e32 v9, vcc, 0, v1, vcc
	s_cbranch_scc1 .LBB223_1290
; %bb.1284:
	s_and_b32 s21, 0xffff, s20
	s_cmp_gt_i32 s21, 25
	s_mov_b64 s[16:17], 0
	s_cbranch_scc0 .LBB223_1292
; %bb.1285:
	s_cmp_gt_i32 s21, 28
	s_cbranch_scc0 .LBB223_1293
; %bb.1286:
	s_cmp_gt_i32 s21, 43
	;; [unrolled: 3-line block ×3, first 2 shown]
	s_cbranch_scc0 .LBB223_1296
; %bb.1288:
	s_cmp_eq_u32 s21, 46
	s_mov_b64 s[18:19], 0
	s_cbranch_scc0 .LBB223_1297
; %bb.1289:
	global_load_dword v1, v[8:9], off
	s_mov_b64 s[0:1], 0
	s_mov_b64 s[4:5], -1
	s_waitcnt vmcnt(0)
	v_and_b32_e32 v1, 0x7fff7fff, v1
	v_cmp_ne_u32_e64 s[6:7], 0, v1
	s_branch .LBB223_1298
.LBB223_1290:
	s_mov_b64 s[4:5], 0
                                        ; implicit-def: $sgpr6_sgpr7
	s_cbranch_execnz .LBB223_1346
.LBB223_1291:
	s_andn2_b64 vcc, exec, s[4:5]
	s_cbranch_vccnz .LBB223_1939
	s_branch .LBB223_1394
.LBB223_1292:
	s_mov_b64 s[18:19], -1
	s_mov_b64 s[4:5], 0
	s_mov_b64 s[0:1], 0
                                        ; implicit-def: $sgpr6_sgpr7
	s_branch .LBB223_1319
.LBB223_1293:
	s_mov_b64 s[18:19], -1
	s_mov_b64 s[4:5], 0
	s_mov_b64 s[0:1], 0
                                        ; implicit-def: $sgpr6_sgpr7
	s_branch .LBB223_1306
.LBB223_1294:
	s_mov_b64 s[18:19], -1
	s_mov_b64 s[4:5], 0
	s_mov_b64 s[0:1], 0
                                        ; implicit-def: $sgpr6_sgpr7
	s_branch .LBB223_1301
.LBB223_1295:
	s_trap 2
	s_mov_b64 s[4:5], 0
	s_or_b64 s[2:3], s[2:3], exec
	s_cbranch_execz .LBB223_1234
	s_branch .LBB223_1235
.LBB223_1296:
	s_mov_b64 s[18:19], -1
	s_mov_b64 s[4:5], 0
	s_mov_b64 s[0:1], 0
                                        ; implicit-def: $sgpr6_sgpr7
	s_branch .LBB223_1298
.LBB223_1297:
	s_mov_b64 s[0:1], -1
                                        ; implicit-def: $sgpr6_sgpr7
	s_mov_b64 s[4:5], 0
.LBB223_1298:
	s_and_b64 vcc, exec, s[18:19]
	s_cbranch_vccz .LBB223_1300
; %bb.1299:
	s_cmp_lg_u32 s21, 44
	s_mov_b64 s[4:5], -1
	s_cselect_b64 s[0:1], -1, 0
	s_or_b64 s[6:7], s[6:7], exec
.LBB223_1300:
	s_mov_b64 s[18:19], 0
.LBB223_1301:
	s_and_b64 vcc, exec, s[18:19]
	s_cbranch_vccz .LBB223_1305
; %bb.1302:
	s_cmp_eq_u32 s21, 29
	s_cbranch_scc0 .LBB223_1304
; %bb.1303:
	global_load_dwordx2 v[10:11], v[8:9], off
	s_mov_b64 s[0:1], 0
	s_mov_b64 s[4:5], -1
	s_mov_b64 s[18:19], 0
	s_waitcnt vmcnt(0)
	v_cmp_ne_u64_e64 s[6:7], 0, v[10:11]
	s_branch .LBB223_1306
.LBB223_1304:
	s_mov_b64 s[0:1], -1
                                        ; implicit-def: $sgpr6_sgpr7
.LBB223_1305:
	s_mov_b64 s[18:19], 0
.LBB223_1306:
	s_and_b64 vcc, exec, s[18:19]
	s_cbranch_vccz .LBB223_1318
; %bb.1307:
	s_cmp_lt_i32 s21, 27
	s_cbranch_scc1 .LBB223_1310
; %bb.1308:
	s_cmp_gt_i32 s21, 27
	s_cbranch_scc0 .LBB223_1311
; %bb.1309:
	global_load_dword v1, v[8:9], off
	s_mov_b64 s[4:5], 0
	s_waitcnt vmcnt(0)
	v_cmp_ne_u32_e64 s[6:7], 0, v1
	s_branch .LBB223_1312
.LBB223_1310:
	s_mov_b64 s[4:5], -1
                                        ; implicit-def: $sgpr6_sgpr7
	s_branch .LBB223_1315
.LBB223_1311:
	s_mov_b64 s[4:5], -1
                                        ; implicit-def: $sgpr6_sgpr7
.LBB223_1312:
	s_andn2_b64 vcc, exec, s[4:5]
	s_cbranch_vccnz .LBB223_1314
; %bb.1313:
	global_load_ushort v1, v[8:9], off
	s_andn2_b64 s[4:5], s[6:7], exec
	s_waitcnt vmcnt(0)
	v_cmp_ne_u16_e32 vcc, 0, v1
	s_and_b64 s[6:7], vcc, exec
	s_or_b64 s[6:7], s[4:5], s[6:7]
.LBB223_1314:
	s_mov_b64 s[4:5], 0
.LBB223_1315:
	s_andn2_b64 vcc, exec, s[4:5]
	s_cbranch_vccnz .LBB223_1317
; %bb.1316:
	global_load_ubyte v1, v[8:9], off
	s_andn2_b64 s[4:5], s[6:7], exec
	s_waitcnt vmcnt(0)
	v_cmp_ne_u16_e32 vcc, 0, v1
	s_and_b64 s[6:7], vcc, exec
	s_or_b64 s[6:7], s[4:5], s[6:7]
.LBB223_1317:
	s_mov_b64 s[4:5], -1
.LBB223_1318:
	s_mov_b64 s[18:19], 0
.LBB223_1319:
	s_and_b64 vcc, exec, s[18:19]
	s_cbranch_vccz .LBB223_1342
; %bb.1320:
	s_cmp_gt_i32 s21, 22
	s_cbranch_scc0 .LBB223_1324
; %bb.1321:
	s_cmp_lt_i32 s21, 24
	s_cbranch_scc1 .LBB223_1325
; %bb.1322:
	s_cmp_gt_i32 s21, 24
	s_cbranch_scc0 .LBB223_1326
; %bb.1323:
	global_load_ubyte v1, v[8:9], off
	s_mov_b64 s[4:5], 0
	s_waitcnt vmcnt(0)
	v_cmp_ne_u16_e64 s[6:7], 0, v1
	s_branch .LBB223_1327
.LBB223_1324:
	s_mov_b64 s[16:17], -1
                                        ; implicit-def: $sgpr6_sgpr7
	s_branch .LBB223_1333
.LBB223_1325:
	s_mov_b64 s[4:5], -1
                                        ; implicit-def: $sgpr6_sgpr7
	s_branch .LBB223_1330
.LBB223_1326:
	s_mov_b64 s[4:5], -1
                                        ; implicit-def: $sgpr6_sgpr7
.LBB223_1327:
	s_andn2_b64 vcc, exec, s[4:5]
	s_cbranch_vccnz .LBB223_1329
; %bb.1328:
	global_load_ubyte v1, v[8:9], off
	s_andn2_b64 s[4:5], s[6:7], exec
	s_waitcnt vmcnt(0)
	v_and_b32_e32 v1, 0x7f, v1
	v_cmp_ne_u16_e32 vcc, 0, v1
	s_and_b64 s[6:7], vcc, exec
	s_or_b64 s[6:7], s[4:5], s[6:7]
.LBB223_1329:
	s_mov_b64 s[4:5], 0
.LBB223_1330:
	s_andn2_b64 vcc, exec, s[4:5]
	s_cbranch_vccnz .LBB223_1332
; %bb.1331:
	global_load_ubyte v1, v[8:9], off
	s_movk_i32 s4, 0x7f00
	s_brev_b32 s5, 16
	s_waitcnt vmcnt(0)
	v_lshlrev_b32_e32 v3, 8, v1
	v_lshlrev_b32_e32 v1, 25, v1
	v_lshrrev_b32_e32 v5, 4, v1
	v_and_or_b32 v3, v3, s4, 0.5
	v_or_b32_e32 v5, 0x70000000, v5
	v_add_f32_e32 v3, -0.5, v3
	v_mul_f32_e32 v5, 0x7800000, v5
	v_cmp_gt_u32_e32 vcc, s5, v1
	v_cndmask_b32_e32 v1, v5, v3, vcc
	v_cmp_neq_f32_e32 vcc, 0, v1
	s_andn2_b64 s[4:5], s[6:7], exec
	s_and_b64 s[6:7], vcc, exec
	s_or_b64 s[6:7], s[4:5], s[6:7]
.LBB223_1332:
	s_mov_b64 s[4:5], -1
.LBB223_1333:
	s_andn2_b64 vcc, exec, s[16:17]
	s_mov_b64 s[16:17], 0
	s_cbranch_vccnz .LBB223_1342
; %bb.1334:
	s_cmp_gt_i32 s21, 14
	s_cbranch_scc0 .LBB223_1337
; %bb.1335:
	s_cmp_eq_u32 s21, 15
	s_cbranch_scc0 .LBB223_1338
; %bb.1336:
	global_load_ushort v1, v[8:9], off
	s_mov_b64 s[0:1], 0
	s_mov_b64 s[4:5], -1
	s_waitcnt vmcnt(0)
	v_and_b32_e32 v1, 0x7fff, v1
	v_cmp_ne_u16_e64 s[6:7], 0, v1
	s_branch .LBB223_1339
.LBB223_1337:
	s_mov_b64 s[18:19], -1
                                        ; implicit-def: $sgpr6_sgpr7
	s_branch .LBB223_1340
.LBB223_1338:
	s_mov_b64 s[0:1], -1
                                        ; implicit-def: $sgpr6_sgpr7
.LBB223_1339:
	s_mov_b64 s[18:19], 0
.LBB223_1340:
	s_and_b64 vcc, exec, s[18:19]
	s_cbranch_vccz .LBB223_1342
; %bb.1341:
	s_cmp_lg_u32 s21, 11
	s_mov_b64 s[16:17], -1
	s_cselect_b64 s[0:1], -1, 0
.LBB223_1342:
	s_and_b64 vcc, exec, s[0:1]
	s_cbranch_vccnz .LBB223_1405
; %bb.1343:
	s_andn2_b64 vcc, exec, s[16:17]
	s_cbranch_vccnz .LBB223_1345
.LBB223_1344:
	global_load_ubyte v1, v[8:9], off
	s_andn2_b64 s[0:1], s[6:7], exec
	s_mov_b64 s[4:5], -1
	s_waitcnt vmcnt(0)
	v_cmp_ne_u16_e32 vcc, 0, v1
	s_and_b64 s[6:7], vcc, exec
	s_or_b64 s[6:7], s[0:1], s[6:7]
.LBB223_1345:
	s_branch .LBB223_1291
.LBB223_1346:
	s_and_b32 s16, 0xffff, s20
	s_cmp_lt_i32 s16, 5
	s_cbranch_scc1 .LBB223_1351
; %bb.1347:
	s_cmp_lt_i32 s16, 8
	s_cbranch_scc1 .LBB223_1352
; %bb.1348:
	;; [unrolled: 3-line block ×3, first 2 shown]
	s_cmp_gt_i32 s16, 9
	s_cbranch_scc0 .LBB223_1354
; %bb.1350:
	global_load_dwordx4 v[10:13], v[8:9], off
	s_mov_b64 s[4:5], 0
	s_waitcnt vmcnt(0)
	v_cmp_neq_f64_e32 vcc, 0, v[10:11]
	v_cmp_neq_f64_e64 s[0:1], 0, v[12:13]
	s_or_b64 s[6:7], vcc, s[0:1]
	s_branch .LBB223_1355
.LBB223_1351:
	s_mov_b64 s[0:1], -1
                                        ; implicit-def: $sgpr6_sgpr7
	s_branch .LBB223_1373
.LBB223_1352:
	s_mov_b64 s[0:1], -1
                                        ; implicit-def: $sgpr6_sgpr7
	s_branch .LBB223_1361
.LBB223_1353:
	s_mov_b64 s[0:1], -1
                                        ; implicit-def: $sgpr6_sgpr7
	s_branch .LBB223_1358
.LBB223_1354:
	s_mov_b64 s[4:5], -1
                                        ; implicit-def: $sgpr6_sgpr7
.LBB223_1355:
	s_andn2_b64 vcc, exec, s[4:5]
	s_cbranch_vccnz .LBB223_1357
; %bb.1356:
	global_load_dwordx2 v[10:11], v[8:9], off
	s_andn2_b64 s[0:1], s[6:7], exec
	s_waitcnt vmcnt(0)
	v_or_b32_e32 v1, v10, v11
	v_and_b32_e32 v1, 0x7fffffff, v1
	v_cmp_ne_u32_e32 vcc, 0, v1
	s_and_b64 s[4:5], vcc, exec
	s_or_b64 s[6:7], s[0:1], s[4:5]
.LBB223_1357:
	s_mov_b64 s[0:1], 0
.LBB223_1358:
	s_andn2_b64 vcc, exec, s[0:1]
	s_cbranch_vccnz .LBB223_1360
; %bb.1359:
	global_load_dword v1, v[8:9], off
	s_andn2_b64 s[0:1], s[6:7], exec
	s_waitcnt vmcnt(0)
	v_and_b32_e32 v1, 0x7fff7fff, v1
	v_cmp_ne_u32_e32 vcc, 0, v1
	s_and_b64 s[4:5], vcc, exec
	s_or_b64 s[6:7], s[0:1], s[4:5]
.LBB223_1360:
	s_mov_b64 s[0:1], 0
.LBB223_1361:
	s_andn2_b64 vcc, exec, s[0:1]
	s_cbranch_vccnz .LBB223_1372
; %bb.1362:
	s_cmp_lt_i32 s16, 6
	s_cbranch_scc1 .LBB223_1365
; %bb.1363:
	s_cmp_gt_i32 s16, 6
	s_cbranch_scc0 .LBB223_1366
; %bb.1364:
	global_load_dwordx2 v[10:11], v[8:9], off
	s_mov_b64 s[0:1], 0
	s_waitcnt vmcnt(0)
	v_cmp_neq_f64_e64 s[6:7], 0, v[10:11]
	s_branch .LBB223_1367
.LBB223_1365:
	s_mov_b64 s[0:1], -1
                                        ; implicit-def: $sgpr6_sgpr7
	s_branch .LBB223_1370
.LBB223_1366:
	s_mov_b64 s[0:1], -1
                                        ; implicit-def: $sgpr6_sgpr7
.LBB223_1367:
	s_andn2_b64 vcc, exec, s[0:1]
	s_cbranch_vccnz .LBB223_1369
; %bb.1368:
	global_load_dword v1, v[8:9], off
	s_andn2_b64 s[0:1], s[6:7], exec
	s_waitcnt vmcnt(0)
	v_cmp_neq_f32_e32 vcc, 0, v1
	s_and_b64 s[4:5], vcc, exec
	s_or_b64 s[6:7], s[0:1], s[4:5]
.LBB223_1369:
	s_mov_b64 s[0:1], 0
.LBB223_1370:
	s_andn2_b64 vcc, exec, s[0:1]
	s_cbranch_vccnz .LBB223_1372
; %bb.1371:
	global_load_ushort v1, v[8:9], off
	s_andn2_b64 s[0:1], s[6:7], exec
	s_waitcnt vmcnt(0)
	v_and_b32_e32 v1, 0x7fff, v1
	v_cmp_ne_u16_e32 vcc, 0, v1
	s_and_b64 s[4:5], vcc, exec
	s_or_b64 s[6:7], s[0:1], s[4:5]
.LBB223_1372:
	s_mov_b64 s[0:1], 0
.LBB223_1373:
	s_andn2_b64 vcc, exec, s[0:1]
	s_cbranch_vccnz .LBB223_1393
; %bb.1374:
	s_cmp_lt_i32 s16, 2
	s_cbranch_scc1 .LBB223_1378
; %bb.1375:
	s_cmp_lt_i32 s16, 3
	s_cbranch_scc1 .LBB223_1379
; %bb.1376:
	s_cmp_gt_i32 s16, 3
	s_cbranch_scc0 .LBB223_1380
; %bb.1377:
	global_load_dwordx2 v[10:11], v[8:9], off
	s_mov_b64 s[0:1], 0
	s_waitcnt vmcnt(0)
	v_cmp_ne_u64_e64 s[6:7], 0, v[10:11]
	s_branch .LBB223_1381
.LBB223_1378:
	s_mov_b64 s[0:1], -1
                                        ; implicit-def: $sgpr6_sgpr7
	s_branch .LBB223_1387
.LBB223_1379:
	s_mov_b64 s[0:1], -1
                                        ; implicit-def: $sgpr6_sgpr7
	s_branch .LBB223_1384
.LBB223_1380:
	s_mov_b64 s[0:1], -1
                                        ; implicit-def: $sgpr6_sgpr7
.LBB223_1381:
	s_andn2_b64 vcc, exec, s[0:1]
	s_cbranch_vccnz .LBB223_1383
; %bb.1382:
	global_load_dword v1, v[8:9], off
	s_andn2_b64 s[0:1], s[6:7], exec
	s_waitcnt vmcnt(0)
	v_cmp_ne_u32_e32 vcc, 0, v1
	s_and_b64 s[4:5], vcc, exec
	s_or_b64 s[6:7], s[0:1], s[4:5]
.LBB223_1383:
	s_mov_b64 s[0:1], 0
.LBB223_1384:
	s_andn2_b64 vcc, exec, s[0:1]
	s_cbranch_vccnz .LBB223_1386
; %bb.1385:
	global_load_ushort v1, v[8:9], off
	s_andn2_b64 s[0:1], s[6:7], exec
	s_waitcnt vmcnt(0)
	v_cmp_ne_u16_e32 vcc, 0, v1
	s_and_b64 s[4:5], vcc, exec
	s_or_b64 s[6:7], s[0:1], s[4:5]
.LBB223_1386:
	s_mov_b64 s[0:1], 0
.LBB223_1387:
	s_andn2_b64 vcc, exec, s[0:1]
	s_cbranch_vccnz .LBB223_1393
; %bb.1388:
	s_cmp_gt_i32 s16, 0
	s_cbranch_scc0 .LBB223_1390
; %bb.1389:
	global_load_ubyte v1, v[8:9], off
	s_mov_b64 s[0:1], 0
	s_waitcnt vmcnt(0)
	v_cmp_ne_u16_e64 s[6:7], 0, v1
	s_branch .LBB223_1391
.LBB223_1390:
	s_mov_b64 s[0:1], -1
                                        ; implicit-def: $sgpr6_sgpr7
.LBB223_1391:
	s_andn2_b64 vcc, exec, s[0:1]
	s_cbranch_vccnz .LBB223_1393
; %bb.1392:
	global_load_ubyte v1, v[8:9], off
	s_andn2_b64 s[0:1], s[6:7], exec
	s_waitcnt vmcnt(0)
	v_cmp_ne_u16_e32 vcc, 0, v1
	s_and_b64 s[4:5], vcc, exec
	s_or_b64 s[6:7], s[0:1], s[4:5]
.LBB223_1393:
.LBB223_1394:
	v_mov_b32_e32 v1, s11
	v_add_co_u32_e32 v7, vcc, s10, v7
	s_cmp_lt_i32 s20, 11
	v_addc_co_u32_e32 v8, vcc, 0, v1, vcc
	s_cbranch_scc1 .LBB223_1401
; %bb.1395:
	s_and_b32 s21, 0xffff, s20
	s_cmp_gt_i32 s21, 25
	s_mov_b64 s[16:17], 0
	s_cbranch_scc0 .LBB223_1402
; %bb.1396:
	s_cmp_gt_i32 s21, 28
	s_cbranch_scc0 .LBB223_1403
; %bb.1397:
	s_cmp_gt_i32 s21, 43
	;; [unrolled: 3-line block ×3, first 2 shown]
	s_cbranch_scc0 .LBB223_1406
; %bb.1399:
	s_cmp_eq_u32 s21, 46
	s_mov_b64 s[18:19], 0
	s_cbranch_scc0 .LBB223_1407
; %bb.1400:
	global_load_dword v1, v[7:8], off
	s_mov_b64 s[0:1], 0
	s_mov_b64 s[10:11], -1
	s_waitcnt vmcnt(0)
	v_and_b32_e32 v1, 0x7fff7fff, v1
	v_cmp_ne_u32_e64 s[4:5], 0, v1
	s_branch .LBB223_1408
.LBB223_1401:
	s_mov_b64 s[0:1], -1
	s_mov_b64 s[10:11], 0
                                        ; implicit-def: $sgpr4_sgpr5
	s_branch .LBB223_1456
.LBB223_1402:
	s_mov_b64 s[18:19], -1
	s_mov_b64 s[10:11], 0
	s_mov_b64 s[0:1], 0
                                        ; implicit-def: $sgpr4_sgpr5
	s_branch .LBB223_1429
.LBB223_1403:
	s_mov_b64 s[18:19], -1
	s_mov_b64 s[10:11], 0
	s_mov_b64 s[0:1], 0
                                        ; implicit-def: $sgpr4_sgpr5
	s_branch .LBB223_1416
.LBB223_1404:
	s_mov_b64 s[18:19], -1
	s_mov_b64 s[10:11], 0
	s_mov_b64 s[0:1], 0
                                        ; implicit-def: $sgpr4_sgpr5
	s_branch .LBB223_1411
.LBB223_1405:
	s_trap 2
	s_mov_b64 s[4:5], 0
	s_or_b64 s[2:3], s[2:3], exec
	s_cbranch_execz .LBB223_1344
	s_branch .LBB223_1345
.LBB223_1406:
	s_mov_b64 s[18:19], -1
	s_mov_b64 s[10:11], 0
	s_mov_b64 s[0:1], 0
                                        ; implicit-def: $sgpr4_sgpr5
	s_branch .LBB223_1408
.LBB223_1407:
	s_mov_b64 s[0:1], -1
                                        ; implicit-def: $sgpr4_sgpr5
	s_mov_b64 s[10:11], 0
.LBB223_1408:
	s_and_b64 vcc, exec, s[18:19]
	s_cbranch_vccz .LBB223_1410
; %bb.1409:
	s_cmp_lg_u32 s21, 44
	s_mov_b64 s[10:11], -1
	s_cselect_b64 s[0:1], -1, 0
	s_or_b64 s[4:5], s[4:5], exec
.LBB223_1410:
	s_mov_b64 s[18:19], 0
.LBB223_1411:
	s_and_b64 vcc, exec, s[18:19]
	s_cbranch_vccz .LBB223_1415
; %bb.1412:
	s_cmp_eq_u32 s21, 29
	s_cbranch_scc0 .LBB223_1414
; %bb.1413:
	global_load_dwordx2 v[9:10], v[7:8], off
	s_mov_b64 s[0:1], 0
	s_mov_b64 s[10:11], -1
	s_mov_b64 s[18:19], 0
	s_waitcnt vmcnt(0)
	v_cmp_ne_u64_e64 s[4:5], 0, v[9:10]
	s_branch .LBB223_1416
.LBB223_1414:
	s_mov_b64 s[0:1], -1
                                        ; implicit-def: $sgpr4_sgpr5
.LBB223_1415:
	s_mov_b64 s[18:19], 0
.LBB223_1416:
	s_and_b64 vcc, exec, s[18:19]
	s_cbranch_vccz .LBB223_1428
; %bb.1417:
	s_cmp_lt_i32 s21, 27
	s_cbranch_scc1 .LBB223_1420
; %bb.1418:
	s_cmp_gt_i32 s21, 27
	s_cbranch_scc0 .LBB223_1421
; %bb.1419:
	global_load_dword v1, v[7:8], off
	s_mov_b64 s[10:11], 0
	s_waitcnt vmcnt(0)
	v_cmp_ne_u32_e64 s[4:5], 0, v1
	s_branch .LBB223_1422
.LBB223_1420:
	s_mov_b64 s[10:11], -1
                                        ; implicit-def: $sgpr4_sgpr5
	s_branch .LBB223_1425
.LBB223_1421:
	s_mov_b64 s[10:11], -1
                                        ; implicit-def: $sgpr4_sgpr5
.LBB223_1422:
	s_andn2_b64 vcc, exec, s[10:11]
	s_cbranch_vccnz .LBB223_1424
; %bb.1423:
	global_load_ushort v1, v[7:8], off
	s_andn2_b64 s[4:5], s[4:5], exec
	s_waitcnt vmcnt(0)
	v_cmp_ne_u16_e32 vcc, 0, v1
	s_and_b64 s[10:11], vcc, exec
	s_or_b64 s[4:5], s[4:5], s[10:11]
.LBB223_1424:
	s_mov_b64 s[10:11], 0
.LBB223_1425:
	s_andn2_b64 vcc, exec, s[10:11]
	s_cbranch_vccnz .LBB223_1427
; %bb.1426:
	global_load_ubyte v1, v[7:8], off
	s_andn2_b64 s[4:5], s[4:5], exec
	s_waitcnt vmcnt(0)
	v_cmp_ne_u16_e32 vcc, 0, v1
	s_and_b64 s[10:11], vcc, exec
	s_or_b64 s[4:5], s[4:5], s[10:11]
.LBB223_1427:
	s_mov_b64 s[10:11], -1
.LBB223_1428:
	s_mov_b64 s[18:19], 0
.LBB223_1429:
	s_and_b64 vcc, exec, s[18:19]
	s_cbranch_vccz .LBB223_1452
; %bb.1430:
	s_cmp_gt_i32 s21, 22
	s_cbranch_scc0 .LBB223_1434
; %bb.1431:
	s_cmp_lt_i32 s21, 24
	s_cbranch_scc1 .LBB223_1435
; %bb.1432:
	s_cmp_gt_i32 s21, 24
	s_cbranch_scc0 .LBB223_1436
; %bb.1433:
	global_load_ubyte v1, v[7:8], off
	s_mov_b64 s[10:11], 0
	s_waitcnt vmcnt(0)
	v_cmp_ne_u16_e64 s[4:5], 0, v1
	s_branch .LBB223_1437
.LBB223_1434:
	s_mov_b64 s[16:17], -1
                                        ; implicit-def: $sgpr4_sgpr5
	s_branch .LBB223_1443
.LBB223_1435:
	s_mov_b64 s[10:11], -1
                                        ; implicit-def: $sgpr4_sgpr5
	s_branch .LBB223_1440
.LBB223_1436:
	s_mov_b64 s[10:11], -1
                                        ; implicit-def: $sgpr4_sgpr5
.LBB223_1437:
	s_andn2_b64 vcc, exec, s[10:11]
	s_cbranch_vccnz .LBB223_1439
; %bb.1438:
	global_load_ubyte v1, v[7:8], off
	s_andn2_b64 s[4:5], s[4:5], exec
	s_waitcnt vmcnt(0)
	v_and_b32_e32 v1, 0x7f, v1
	v_cmp_ne_u16_e32 vcc, 0, v1
	s_and_b64 s[10:11], vcc, exec
	s_or_b64 s[4:5], s[4:5], s[10:11]
.LBB223_1439:
	s_mov_b64 s[10:11], 0
.LBB223_1440:
	s_andn2_b64 vcc, exec, s[10:11]
	s_cbranch_vccnz .LBB223_1442
; %bb.1441:
	global_load_ubyte v1, v[7:8], off
	s_movk_i32 s10, 0x7f00
	s_brev_b32 s11, 16
	s_andn2_b64 s[4:5], s[4:5], exec
	s_waitcnt vmcnt(0)
	v_lshlrev_b32_e32 v3, 8, v1
	v_lshlrev_b32_e32 v1, 25, v1
	v_lshrrev_b32_e32 v5, 4, v1
	v_and_or_b32 v3, v3, s10, 0.5
	v_or_b32_e32 v5, 0x70000000, v5
	v_add_f32_e32 v3, -0.5, v3
	v_mul_f32_e32 v5, 0x7800000, v5
	v_cmp_gt_u32_e32 vcc, s11, v1
	v_cndmask_b32_e32 v1, v5, v3, vcc
	v_cmp_neq_f32_e32 vcc, 0, v1
	s_and_b64 s[10:11], vcc, exec
	s_or_b64 s[4:5], s[4:5], s[10:11]
.LBB223_1442:
	s_mov_b64 s[10:11], -1
.LBB223_1443:
	s_andn2_b64 vcc, exec, s[16:17]
	s_mov_b64 s[16:17], 0
	s_cbranch_vccnz .LBB223_1452
; %bb.1444:
	s_cmp_gt_i32 s21, 14
	s_cbranch_scc0 .LBB223_1447
; %bb.1445:
	s_cmp_eq_u32 s21, 15
	s_cbranch_scc0 .LBB223_1448
; %bb.1446:
	global_load_ushort v1, v[7:8], off
	s_mov_b64 s[0:1], 0
	s_mov_b64 s[10:11], -1
	s_waitcnt vmcnt(0)
	v_and_b32_e32 v1, 0x7fff, v1
	v_cmp_ne_u16_e64 s[4:5], 0, v1
	s_branch .LBB223_1449
.LBB223_1447:
	s_mov_b64 s[18:19], -1
                                        ; implicit-def: $sgpr4_sgpr5
	s_branch .LBB223_1450
.LBB223_1448:
	s_mov_b64 s[0:1], -1
                                        ; implicit-def: $sgpr4_sgpr5
.LBB223_1449:
	s_mov_b64 s[18:19], 0
.LBB223_1450:
	s_and_b64 vcc, exec, s[18:19]
	s_cbranch_vccz .LBB223_1452
; %bb.1451:
	s_cmp_lg_u32 s21, 11
	s_mov_b64 s[16:17], -1
	s_cselect_b64 s[0:1], -1, 0
.LBB223_1452:
	s_and_b64 vcc, exec, s[0:1]
	s_cbranch_vccnz .LBB223_1985
; %bb.1453:
	s_andn2_b64 vcc, exec, s[16:17]
	s_cbranch_vccnz .LBB223_1455
.LBB223_1454:
	global_load_ubyte v1, v[7:8], off
	s_andn2_b64 s[0:1], s[4:5], exec
	s_mov_b64 s[10:11], -1
	s_waitcnt vmcnt(0)
	v_cmp_ne_u16_e32 vcc, 0, v1
	s_and_b64 s[4:5], vcc, exec
	s_or_b64 s[4:5], s[0:1], s[4:5]
.LBB223_1455:
	s_mov_b64 s[0:1], 0
.LBB223_1456:
	s_and_b64 vcc, exec, s[0:1]
	s_cbranch_vccz .LBB223_1505
; %bb.1457:
	s_and_b32 s16, 0xffff, s20
	s_cmp_lt_i32 s16, 5
	s_cbranch_scc1 .LBB223_1462
; %bb.1458:
	s_cmp_lt_i32 s16, 8
	s_cbranch_scc1 .LBB223_1463
; %bb.1459:
	;; [unrolled: 3-line block ×3, first 2 shown]
	s_cmp_gt_i32 s16, 9
	s_cbranch_scc0 .LBB223_1465
; %bb.1461:
	global_load_dwordx4 v[9:12], v[7:8], off
	s_mov_b64 s[10:11], 0
	s_waitcnt vmcnt(0)
	v_cmp_neq_f64_e32 vcc, 0, v[9:10]
	v_cmp_neq_f64_e64 s[0:1], 0, v[11:12]
	s_or_b64 s[4:5], vcc, s[0:1]
	s_branch .LBB223_1466
.LBB223_1462:
	s_mov_b64 s[0:1], -1
                                        ; implicit-def: $sgpr4_sgpr5
	s_branch .LBB223_1484
.LBB223_1463:
	s_mov_b64 s[0:1], -1
                                        ; implicit-def: $sgpr4_sgpr5
	s_branch .LBB223_1472
.LBB223_1464:
	s_mov_b64 s[0:1], -1
                                        ; implicit-def: $sgpr4_sgpr5
	s_branch .LBB223_1469
.LBB223_1465:
	s_mov_b64 s[10:11], -1
                                        ; implicit-def: $sgpr4_sgpr5
.LBB223_1466:
	s_andn2_b64 vcc, exec, s[10:11]
	s_cbranch_vccnz .LBB223_1468
; %bb.1467:
	global_load_dwordx2 v[9:10], v[7:8], off
	s_andn2_b64 s[0:1], s[4:5], exec
	s_waitcnt vmcnt(0)
	v_or_b32_e32 v1, v9, v10
	v_and_b32_e32 v1, 0x7fffffff, v1
	v_cmp_ne_u32_e32 vcc, 0, v1
	s_and_b64 s[4:5], vcc, exec
	s_or_b64 s[4:5], s[0:1], s[4:5]
.LBB223_1468:
	s_mov_b64 s[0:1], 0
.LBB223_1469:
	s_andn2_b64 vcc, exec, s[0:1]
	s_cbranch_vccnz .LBB223_1471
; %bb.1470:
	global_load_dword v1, v[7:8], off
	s_andn2_b64 s[0:1], s[4:5], exec
	s_waitcnt vmcnt(0)
	v_and_b32_e32 v1, 0x7fff7fff, v1
	v_cmp_ne_u32_e32 vcc, 0, v1
	s_and_b64 s[4:5], vcc, exec
	s_or_b64 s[4:5], s[0:1], s[4:5]
.LBB223_1471:
	s_mov_b64 s[0:1], 0
.LBB223_1472:
	s_andn2_b64 vcc, exec, s[0:1]
	s_cbranch_vccnz .LBB223_1483
; %bb.1473:
	s_cmp_lt_i32 s16, 6
	s_cbranch_scc1 .LBB223_1476
; %bb.1474:
	s_cmp_gt_i32 s16, 6
	s_cbranch_scc0 .LBB223_1477
; %bb.1475:
	global_load_dwordx2 v[9:10], v[7:8], off
	s_mov_b64 s[0:1], 0
	s_waitcnt vmcnt(0)
	v_cmp_neq_f64_e64 s[4:5], 0, v[9:10]
	s_branch .LBB223_1478
.LBB223_1476:
	s_mov_b64 s[0:1], -1
                                        ; implicit-def: $sgpr4_sgpr5
	s_branch .LBB223_1481
.LBB223_1477:
	s_mov_b64 s[0:1], -1
                                        ; implicit-def: $sgpr4_sgpr5
.LBB223_1478:
	s_andn2_b64 vcc, exec, s[0:1]
	s_cbranch_vccnz .LBB223_1480
; %bb.1479:
	global_load_dword v1, v[7:8], off
	s_andn2_b64 s[0:1], s[4:5], exec
	s_waitcnt vmcnt(0)
	v_cmp_neq_f32_e32 vcc, 0, v1
	s_and_b64 s[4:5], vcc, exec
	s_or_b64 s[4:5], s[0:1], s[4:5]
.LBB223_1480:
	s_mov_b64 s[0:1], 0
.LBB223_1481:
	s_andn2_b64 vcc, exec, s[0:1]
	s_cbranch_vccnz .LBB223_1483
; %bb.1482:
	global_load_ushort v1, v[7:8], off
	s_andn2_b64 s[0:1], s[4:5], exec
	s_waitcnt vmcnt(0)
	v_and_b32_e32 v1, 0x7fff, v1
	v_cmp_ne_u16_e32 vcc, 0, v1
	s_and_b64 s[4:5], vcc, exec
	s_or_b64 s[4:5], s[0:1], s[4:5]
.LBB223_1483:
	s_mov_b64 s[0:1], 0
.LBB223_1484:
	s_andn2_b64 vcc, exec, s[0:1]
	s_cbranch_vccnz .LBB223_1504
; %bb.1485:
	s_cmp_lt_i32 s16, 2
	s_cbranch_scc1 .LBB223_1489
; %bb.1486:
	s_cmp_lt_i32 s16, 3
	s_cbranch_scc1 .LBB223_1490
; %bb.1487:
	s_cmp_gt_i32 s16, 3
	s_cbranch_scc0 .LBB223_1491
; %bb.1488:
	global_load_dwordx2 v[9:10], v[7:8], off
	s_mov_b64 s[0:1], 0
	s_waitcnt vmcnt(0)
	v_cmp_ne_u64_e64 s[4:5], 0, v[9:10]
	s_branch .LBB223_1492
.LBB223_1489:
	s_mov_b64 s[0:1], -1
                                        ; implicit-def: $sgpr4_sgpr5
	s_branch .LBB223_1498
.LBB223_1490:
	s_mov_b64 s[0:1], -1
                                        ; implicit-def: $sgpr4_sgpr5
	s_branch .LBB223_1495
.LBB223_1491:
	s_mov_b64 s[0:1], -1
                                        ; implicit-def: $sgpr4_sgpr5
.LBB223_1492:
	s_andn2_b64 vcc, exec, s[0:1]
	s_cbranch_vccnz .LBB223_1494
; %bb.1493:
	global_load_dword v1, v[7:8], off
	s_andn2_b64 s[0:1], s[4:5], exec
	s_waitcnt vmcnt(0)
	v_cmp_ne_u32_e32 vcc, 0, v1
	s_and_b64 s[4:5], vcc, exec
	s_or_b64 s[4:5], s[0:1], s[4:5]
.LBB223_1494:
	s_mov_b64 s[0:1], 0
.LBB223_1495:
	s_andn2_b64 vcc, exec, s[0:1]
	s_cbranch_vccnz .LBB223_1497
; %bb.1496:
	global_load_ushort v1, v[7:8], off
	s_andn2_b64 s[0:1], s[4:5], exec
	s_waitcnt vmcnt(0)
	v_cmp_ne_u16_e32 vcc, 0, v1
	s_and_b64 s[4:5], vcc, exec
	s_or_b64 s[4:5], s[0:1], s[4:5]
.LBB223_1497:
	s_mov_b64 s[0:1], 0
.LBB223_1498:
	s_andn2_b64 vcc, exec, s[0:1]
	s_cbranch_vccnz .LBB223_1504
; %bb.1499:
	s_cmp_gt_i32 s16, 0
	s_cbranch_scc0 .LBB223_1501
; %bb.1500:
	global_load_ubyte v1, v[7:8], off
	s_mov_b64 s[0:1], 0
	s_waitcnt vmcnt(0)
	v_cmp_ne_u16_e64 s[4:5], 0, v1
	s_branch .LBB223_1502
.LBB223_1501:
	s_mov_b64 s[0:1], -1
                                        ; implicit-def: $sgpr4_sgpr5
.LBB223_1502:
	s_andn2_b64 vcc, exec, s[0:1]
	s_cbranch_vccnz .LBB223_1504
; %bb.1503:
	global_load_ubyte v1, v[7:8], off
	s_andn2_b64 s[0:1], s[4:5], exec
	s_waitcnt vmcnt(0)
	v_cmp_ne_u16_e32 vcc, 0, v1
	s_and_b64 s[4:5], vcc, exec
	s_or_b64 s[4:5], s[0:1], s[4:5]
.LBB223_1504:
	s_mov_b64 s[10:11], -1
.LBB223_1505:
	s_andn2_b64 vcc, exec, s[10:11]
	s_cbranch_vccnz .LBB223_1939
; %bb.1506:
	s_load_dwordx2 s[0:1], s[34:35], 0x158
	s_load_dword s18, s[34:35], 0x160
	v_mov_b32_e32 v1, s9
	v_add_co_u32_e32 v5, vcc, s8, v6
	s_waitcnt lgkmcnt(0)
	s_bitcmp1_b32 s1, 0
	s_cselect_b64 s[10:11], -1, 0
	s_cmp_eq_u32 s0, 0
	s_cselect_b64 s[16:17], -1, 0
	s_xor_b64 s[0:1], s[14:15], s[10:11]
	s_and_b32 s26, s18, 0xff
	s_xor_b64 s[14:15], s[16:17], s[0:1]
	s_cmp_lt_i32 s26, 11
	v_addc_co_u32_e32 v6, vcc, 0, v1, vcc
	s_cbranch_scc1 .LBB223_1584
; %bb.1507:
	s_and_b32 s27, 0xffff, s26
	s_mov_b64 s[22:23], -1
	s_mov_b64 s[18:19], 0
	s_cmp_gt_i32 s27, 25
	s_mov_b64 s[20:21], 0
	s_mov_b64 s[0:1], 0
	s_cbranch_scc0 .LBB223_1540
; %bb.1508:
	s_cmp_gt_i32 s27, 28
	s_cbranch_scc0 .LBB223_1523
; %bb.1509:
	s_cmp_gt_i32 s27, 43
	;; [unrolled: 3-line block ×3, first 2 shown]
	s_cbranch_scc0 .LBB223_1513
; %bb.1511:
	s_mov_b64 s[0:1], -1
	s_mov_b64 s[22:23], 0
	s_cmp_eq_u32 s27, 46
	s_cbranch_scc0 .LBB223_1513
; %bb.1512:
	v_cndmask_b32_e64 v1, 0, 1.0, s[14:15]
	v_bfe_u32 v3, v1, 16, 1
	s_movk_i32 s0, 0x7fff
	v_add3_u32 v1, v1, v3, s0
	v_lshrrev_b32_e32 v1, 16, v1
	global_store_dword v[5:6], v1, off
	s_mov_b64 s[0:1], 0
	s_mov_b64 s[20:21], -1
.LBB223_1513:
	s_and_b64 vcc, exec, s[22:23]
	s_cbranch_vccz .LBB223_1518
; %bb.1514:
	s_cmp_eq_u32 s27, 44
	s_mov_b64 s[0:1], -1
	s_cbranch_scc0 .LBB223_1518
; %bb.1515:
	v_cndmask_b32_e64 v3, 0, 1.0, s[14:15]
	v_lshrrev_b32_e32 v1, 23, v3
	s_movk_i32 s0, 0xff
	v_cmp_ne_u32_e32 vcc, s0, v1
	v_mov_b32_e32 v7, 0xff
	s_and_saveexec_b64 s[20:21], vcc
; %bb.1516:
	s_mov_b32 s0, 0x3fffff
	v_and_b32_e32 v7, 0x400000, v3
	v_and_or_b32 v3, v3, s0, v1
	v_cmp_ne_u32_e32 vcc, 0, v7
	v_cmp_ne_u32_e64 s[0:1], 0, v3
	s_and_b64 s[0:1], vcc, s[0:1]
	v_cndmask_b32_e64 v3, 0, 1, s[0:1]
	v_add_u32_e32 v7, v1, v3
; %bb.1517:
	s_or_b64 exec, exec, s[20:21]
	s_mov_b64 s[0:1], 0
	s_mov_b64 s[20:21], -1
	global_store_byte v[5:6], v7, off
.LBB223_1518:
	s_mov_b64 s[22:23], 0
.LBB223_1519:
	s_and_b64 vcc, exec, s[22:23]
	s_cbranch_vccz .LBB223_1522
; %bb.1520:
	s_cmp_eq_u32 s27, 29
	s_mov_b64 s[0:1], -1
	s_cbranch_scc0 .LBB223_1522
; %bb.1521:
	s_mov_b32 s0, 0
	v_cndmask_b32_e64 v7, 0, 1, s[14:15]
	v_mov_b32_e32 v8, s0
	global_store_dwordx2 v[5:6], v[7:8], off
	s_mov_b64 s[0:1], 0
	s_mov_b64 s[20:21], -1
.LBB223_1522:
	s_mov_b64 s[22:23], 0
.LBB223_1523:
	s_and_b64 vcc, exec, s[22:23]
	s_cbranch_vccz .LBB223_1539
; %bb.1524:
	s_cmp_lt_i32 s27, 27
	s_mov_b64 s[20:21], -1
	s_cbranch_scc1 .LBB223_1530
; %bb.1525:
	s_cmp_gt_i32 s27, 27
	s_cbranch_scc0 .LBB223_1527
; %bb.1526:
	v_cndmask_b32_e64 v1, 0, 1, s[14:15]
	s_mov_b64 s[20:21], 0
	global_store_dword v[5:6], v1, off
.LBB223_1527:
	s_andn2_b64 vcc, exec, s[20:21]
	s_cbranch_vccnz .LBB223_1529
; %bb.1528:
	v_cndmask_b32_e64 v1, 0, 1, s[14:15]
	global_store_short v[5:6], v1, off
.LBB223_1529:
	s_mov_b64 s[20:21], 0
.LBB223_1530:
	s_andn2_b64 vcc, exec, s[20:21]
	s_cbranch_vccnz .LBB223_1538
; %bb.1531:
	v_cndmask_b32_e64 v3, 0, 1.0, s[14:15]
	s_mov_b32 s20, 0x43800000
	v_cmp_gt_u32_e32 vcc, s20, v3
	v_mov_b32_e32 v7, 0x80
	s_and_saveexec_b64 s[20:21], vcc
	s_cbranch_execz .LBB223_1537
; %bb.1532:
	s_mov_b32 s22, 0x3bffffff
	v_cmp_lt_u32_e32 vcc, s22, v3
	s_mov_b64 s[22:23], 0
                                        ; implicit-def: $vgpr1
	s_and_saveexec_b64 s[24:25], vcc
	s_xor_b64 s[24:25], exec, s[24:25]
	s_cbranch_execz .LBB223_1986
; %bb.1533:
	v_bfe_u32 v1, v3, 20, 1
	s_mov_b32 s33, 0x487ffff
	v_add3_u32 v1, v3, v1, s33
	s_mov_b64 s[22:23], exec
	v_lshrrev_b32_e32 v1, 20, v1
                                        ; implicit-def: $vgpr3
	s_andn2_saveexec_b64 s[24:25], s[24:25]
	s_cbranch_execnz .LBB223_1987
.LBB223_1534:
	s_or_b64 exec, exec, s[24:25]
	v_mov_b32_e32 v7, 0
	s_and_saveexec_b64 s[24:25], s[22:23]
.LBB223_1535:
	v_mov_b32_e32 v7, v1
.LBB223_1536:
	s_or_b64 exec, exec, s[24:25]
.LBB223_1537:
	s_or_b64 exec, exec, s[20:21]
	global_store_byte v[5:6], v7, off
.LBB223_1538:
	s_mov_b64 s[20:21], -1
.LBB223_1539:
	s_mov_b64 s[22:23], 0
.LBB223_1540:
	s_and_b64 vcc, exec, s[22:23]
	s_cbranch_vccz .LBB223_1580
; %bb.1541:
	s_cmp_gt_i32 s27, 22
	s_mov_b64 s[18:19], -1
	s_cbranch_scc0 .LBB223_1573
; %bb.1542:
	s_cmp_lt_i32 s27, 24
	s_cbranch_scc1 .LBB223_1562
; %bb.1543:
	s_cmp_gt_i32 s27, 24
	s_cbranch_scc0 .LBB223_1551
; %bb.1544:
	v_cndmask_b32_e64 v3, 0, 1.0, s[14:15]
	s_mov_b32 s18, 0x47800000
	v_cmp_gt_u32_e32 vcc, s18, v3
	v_mov_b32_e32 v7, 0x80
	s_and_saveexec_b64 s[18:19], vcc
	s_cbranch_execz .LBB223_1550
; %bb.1545:
	s_mov_b32 s20, 0x37ffffff
	v_cmp_lt_u32_e32 vcc, s20, v3
	s_mov_b64 s[20:21], 0
                                        ; implicit-def: $vgpr1
	s_and_saveexec_b64 s[22:23], vcc
	s_xor_b64 s[22:23], exec, s[22:23]
	s_cbranch_execz .LBB223_1989
; %bb.1546:
	v_bfe_u32 v1, v3, 21, 1
	s_mov_b32 s24, 0x88fffff
	v_add3_u32 v1, v3, v1, s24
	s_mov_b64 s[20:21], exec
	v_lshrrev_b32_e32 v1, 21, v1
                                        ; implicit-def: $vgpr3
	s_andn2_saveexec_b64 s[22:23], s[22:23]
	s_cbranch_execnz .LBB223_1990
.LBB223_1547:
	s_or_b64 exec, exec, s[22:23]
	v_mov_b32_e32 v7, 0
	s_and_saveexec_b64 s[22:23], s[20:21]
.LBB223_1548:
	v_mov_b32_e32 v7, v1
.LBB223_1549:
	s_or_b64 exec, exec, s[22:23]
.LBB223_1550:
	s_or_b64 exec, exec, s[18:19]
	s_mov_b64 s[18:19], 0
	global_store_byte v[5:6], v7, off
.LBB223_1551:
	s_and_b64 vcc, exec, s[18:19]
	s_cbranch_vccz .LBB223_1561
; %bb.1552:
	v_cndmask_b32_e64 v1, 0, 1.0, s[14:15]
	s_mov_b32 s18, 0x43f00000
	v_cmp_gt_u32_e32 vcc, s18, v1
                                        ; implicit-def: $vgpr3
	s_and_saveexec_b64 s[18:19], vcc
	s_xor_b64 s[18:19], exec, s[18:19]
	s_cbranch_execz .LBB223_1558
; %bb.1553:
	s_mov_b32 s20, 0x3c7fffff
	v_cmp_lt_u32_e32 vcc, s20, v1
                                        ; implicit-def: $vgpr3
	s_and_saveexec_b64 s[20:21], vcc
	s_xor_b64 s[20:21], exec, s[20:21]
; %bb.1554:
	v_bfe_u32 v3, v1, 20, 1
	s_mov_b32 s22, 0x407ffff
	v_add3_u32 v1, v1, v3, s22
	v_lshrrev_b32_e32 v3, 20, v1
	v_and_b32_e32 v1, 0xff00000, v1
	s_mov_b32 s22, 0x7f00000
	v_mov_b32_e32 v7, 0x7e
	v_cmp_ne_u32_e32 vcc, s22, v1
	v_cndmask_b32_e32 v3, v7, v3, vcc
                                        ; implicit-def: $vgpr1
; %bb.1555:
	s_andn2_saveexec_b64 s[20:21], s[20:21]
; %bb.1556:
	v_add_f32_e32 v3, 0x46800000, v1
; %bb.1557:
	s_or_b64 exec, exec, s[20:21]
                                        ; implicit-def: $vgpr1
.LBB223_1558:
	s_andn2_saveexec_b64 s[18:19], s[18:19]
; %bb.1559:
	s_mov_b32 s20, 0x7f800000
	v_mov_b32_e32 v3, 0x7e
	v_mov_b32_e32 v7, 0x7f
	v_cmp_lt_u32_e32 vcc, s20, v1
	v_cndmask_b32_e32 v3, v3, v7, vcc
; %bb.1560:
	s_or_b64 exec, exec, s[18:19]
	global_store_byte v[5:6], v3, off
.LBB223_1561:
	s_mov_b64 s[18:19], 0
.LBB223_1562:
	s_andn2_b64 vcc, exec, s[18:19]
	s_cbranch_vccnz .LBB223_1572
; %bb.1563:
	v_cndmask_b32_e64 v1, 0, 1.0, s[14:15]
	s_mov_b32 s18, 0x47800000
	v_cmp_gt_u32_e32 vcc, s18, v1
                                        ; implicit-def: $vgpr3
	s_and_saveexec_b64 s[18:19], vcc
	s_xor_b64 s[18:19], exec, s[18:19]
	s_cbranch_execz .LBB223_1569
; %bb.1564:
	s_mov_b32 s20, 0x387fffff
	v_cmp_lt_u32_e32 vcc, s20, v1
                                        ; implicit-def: $vgpr3
	s_and_saveexec_b64 s[20:21], vcc
	s_xor_b64 s[20:21], exec, s[20:21]
; %bb.1565:
	v_bfe_u32 v3, v1, 21, 1
	s_mov_b32 s22, 0x80fffff
	v_add3_u32 v1, v1, v3, s22
	v_lshrrev_b32_e32 v3, 21, v1
                                        ; implicit-def: $vgpr1
; %bb.1566:
	s_andn2_saveexec_b64 s[20:21], s[20:21]
; %bb.1567:
	v_add_f32_e32 v3, 0x43000000, v1
; %bb.1568:
	s_or_b64 exec, exec, s[20:21]
                                        ; implicit-def: $vgpr1
.LBB223_1569:
	s_andn2_saveexec_b64 s[18:19], s[18:19]
; %bb.1570:
	s_mov_b32 s20, 0x7f800000
	v_mov_b32_e32 v3, 0x7c
	v_mov_b32_e32 v7, 0x7f
	v_cmp_lt_u32_e32 vcc, s20, v1
	v_cndmask_b32_e32 v3, v3, v7, vcc
; %bb.1571:
	s_or_b64 exec, exec, s[18:19]
	global_store_byte v[5:6], v3, off
.LBB223_1572:
	s_mov_b64 s[18:19], 0
	s_mov_b64 s[20:21], -1
.LBB223_1573:
	s_andn2_b64 vcc, exec, s[18:19]
	s_mov_b64 s[18:19], 0
	s_cbranch_vccnz .LBB223_1580
; %bb.1574:
	s_cmp_gt_i32 s27, 14
	s_mov_b64 s[22:23], -1
	s_cbranch_scc0 .LBB223_1578
; %bb.1575:
	s_cmp_eq_u32 s27, 15
	s_mov_b64 s[0:1], -1
	s_cbranch_scc0 .LBB223_1577
; %bb.1576:
	v_cndmask_b32_e64 v1, 0, 1.0, s[14:15]
	v_bfe_u32 v3, v1, 16, 1
	s_movk_i32 s0, 0x7fff
	v_add3_u32 v1, v1, v3, s0
	global_store_short_d16_hi v[5:6], v1, off
	s_mov_b64 s[0:1], 0
	s_mov_b64 s[20:21], -1
.LBB223_1577:
	s_mov_b64 s[22:23], 0
.LBB223_1578:
	s_and_b64 vcc, exec, s[22:23]
	s_cbranch_vccz .LBB223_1580
; %bb.1579:
	s_cmp_lg_u32 s27, 11
	s_mov_b64 s[18:19], -1
	s_cselect_b64 s[0:1], -1, 0
.LBB223_1580:
	s_and_b64 vcc, exec, s[0:1]
	s_cbranch_vccnz .LBB223_1988
; %bb.1581:
	s_andn2_b64 vcc, exec, s[18:19]
	s_cbranch_vccnz .LBB223_1583
.LBB223_1582:
	v_cndmask_b32_e64 v1, 0, 1, s[14:15]
	s_mov_b64 s[20:21], -1
	global_store_byte v[5:6], v1, off
.LBB223_1583:
	s_mov_b64 s[0:1], 0
	s_branch .LBB223_1585
.LBB223_1584:
	s_mov_b64 s[0:1], -1
	s_mov_b64 s[20:21], 0
.LBB223_1585:
	s_and_b64 vcc, exec, s[0:1]
	s_cbranch_vccz .LBB223_1624
; %bb.1586:
	s_and_b32 s18, 0xffff, s26
	s_cmp_lt_i32 s18, 5
	s_mov_b64 s[0:1], -1
	s_cbranch_scc1 .LBB223_1607
; %bb.1587:
	s_cmp_lt_i32 s18, 8
	s_cbranch_scc1 .LBB223_1597
; %bb.1588:
	s_cmp_lt_i32 s18, 9
	s_cbranch_scc1 .LBB223_1594
; %bb.1589:
	s_cmp_gt_i32 s18, 9
	s_cbranch_scc0 .LBB223_1591
; %bb.1590:
	v_cndmask_b32_e64 v1, 0, 1, s[14:15]
	v_cvt_f64_u32_e32 v[7:8], v1
	v_mov_b32_e32 v9, 0
	v_mov_b32_e32 v10, v9
	s_mov_b64 s[0:1], 0
	global_store_dwordx4 v[5:6], v[7:10], off
.LBB223_1591:
	s_andn2_b64 vcc, exec, s[0:1]
	s_cbranch_vccnz .LBB223_1593
; %bb.1592:
	v_cndmask_b32_e64 v7, 0, 1.0, s[14:15]
	v_mov_b32_e32 v8, 0
	global_store_dwordx2 v[5:6], v[7:8], off
.LBB223_1593:
	s_mov_b64 s[0:1], 0
.LBB223_1594:
	s_andn2_b64 vcc, exec, s[0:1]
	s_cbranch_vccnz .LBB223_1596
; %bb.1595:
	v_cndmask_b32_e64 v1, 0, 1.0, s[14:15]
	v_cvt_f16_f32_e32 v1, v1
	global_store_dword v[5:6], v1, off
.LBB223_1596:
	s_mov_b64 s[0:1], 0
.LBB223_1597:
	s_andn2_b64 vcc, exec, s[0:1]
	s_cbranch_vccnz .LBB223_1606
; %bb.1598:
	s_cmp_lt_i32 s18, 6
	s_mov_b64 s[0:1], -1
	s_cbranch_scc1 .LBB223_1604
; %bb.1599:
	s_cmp_gt_i32 s18, 6
	s_cbranch_scc0 .LBB223_1601
; %bb.1600:
	v_cndmask_b32_e64 v1, 0, 1, s[14:15]
	v_cvt_f64_u32_e32 v[7:8], v1
	s_mov_b64 s[0:1], 0
	global_store_dwordx2 v[5:6], v[7:8], off
.LBB223_1601:
	s_andn2_b64 vcc, exec, s[0:1]
	s_cbranch_vccnz .LBB223_1603
; %bb.1602:
	v_cndmask_b32_e64 v1, 0, 1.0, s[14:15]
	global_store_dword v[5:6], v1, off
.LBB223_1603:
	s_mov_b64 s[0:1], 0
.LBB223_1604:
	s_andn2_b64 vcc, exec, s[0:1]
	s_cbranch_vccnz .LBB223_1606
; %bb.1605:
	v_cndmask_b32_e64 v1, 0, 1.0, s[14:15]
	v_cvt_f16_f32_e32 v1, v1
	global_store_short v[5:6], v1, off
.LBB223_1606:
	s_mov_b64 s[0:1], 0
.LBB223_1607:
	s_andn2_b64 vcc, exec, s[0:1]
	s_cbranch_vccnz .LBB223_1623
; %bb.1608:
	s_cmp_lt_i32 s18, 2
	s_mov_b64 s[0:1], -1
	s_cbranch_scc1 .LBB223_1618
; %bb.1609:
	s_cmp_lt_i32 s18, 3
	s_cbranch_scc1 .LBB223_1615
; %bb.1610:
	s_cmp_gt_i32 s18, 3
	s_cbranch_scc0 .LBB223_1612
; %bb.1611:
	s_mov_b32 s0, 0
	v_cndmask_b32_e64 v7, 0, 1, s[14:15]
	v_mov_b32_e32 v8, s0
	global_store_dwordx2 v[5:6], v[7:8], off
	s_mov_b64 s[0:1], 0
.LBB223_1612:
	s_andn2_b64 vcc, exec, s[0:1]
	s_cbranch_vccnz .LBB223_1614
; %bb.1613:
	v_cndmask_b32_e64 v1, 0, 1, s[14:15]
	global_store_dword v[5:6], v1, off
.LBB223_1614:
	s_mov_b64 s[0:1], 0
.LBB223_1615:
	s_andn2_b64 vcc, exec, s[0:1]
	s_cbranch_vccnz .LBB223_1617
; %bb.1616:
	v_cndmask_b32_e64 v1, 0, 1, s[14:15]
	global_store_short v[5:6], v1, off
.LBB223_1617:
	s_mov_b64 s[0:1], 0
.LBB223_1618:
	s_andn2_b64 vcc, exec, s[0:1]
	s_cbranch_vccnz .LBB223_1623
; %bb.1619:
	s_mov_b64 s[0:1], -1
	s_cmp_gt_i32 s18, 0
	v_cndmask_b32_e64 v1, 0, 1, s[14:15]
	s_cbranch_scc0 .LBB223_1621
; %bb.1620:
	global_store_byte v[5:6], v1, off
	s_mov_b64 s[0:1], 0
.LBB223_1621:
	s_andn2_b64 vcc, exec, s[0:1]
	s_cbranch_vccnz .LBB223_1623
; %bb.1622:
	global_store_byte v[5:6], v1, off
.LBB223_1623:
	s_mov_b64 s[20:21], -1
.LBB223_1624:
	s_andn2_b64 vcc, exec, s[20:21]
	s_cbranch_vccnz .LBB223_1939
; %bb.1625:
	s_xor_b64 s[0:1], s[12:13], s[10:11]
	s_xor_b64 s[12:13], s[16:17], s[0:1]
	v_mov_b32_e32 v1, s9
	s_and_b32 s24, 0xffff, s26
	v_add_co_u32_e32 v3, vcc, s8, v4
	s_cmp_lt_i32 s24, 11
	v_addc_co_u32_e32 v4, vcc, 0, v1, vcc
	s_cbranch_scc1 .LBB223_1703
; %bb.1626:
	s_mov_b64 s[20:21], -1
	s_mov_b64 s[14:15], 0
	s_cmp_gt_i32 s24, 25
	s_mov_b64 s[18:19], 0
	s_mov_b64 s[0:1], 0
	s_cbranch_scc0 .LBB223_1659
; %bb.1627:
	s_cmp_gt_i32 s24, 28
	s_cbranch_scc0 .LBB223_1642
; %bb.1628:
	s_cmp_gt_i32 s24, 43
	;; [unrolled: 3-line block ×3, first 2 shown]
	s_cbranch_scc0 .LBB223_1632
; %bb.1630:
	s_mov_b64 s[0:1], -1
	s_mov_b64 s[20:21], 0
	s_cmp_eq_u32 s24, 46
	s_cbranch_scc0 .LBB223_1632
; %bb.1631:
	v_cndmask_b32_e64 v1, 0, 1.0, s[12:13]
	v_bfe_u32 v5, v1, 16, 1
	s_movk_i32 s0, 0x7fff
	v_add3_u32 v1, v1, v5, s0
	v_lshrrev_b32_e32 v1, 16, v1
	global_store_dword v[3:4], v1, off
	s_mov_b64 s[0:1], 0
	s_mov_b64 s[18:19], -1
.LBB223_1632:
	s_and_b64 vcc, exec, s[20:21]
	s_cbranch_vccz .LBB223_1637
; %bb.1633:
	s_cmp_eq_u32 s24, 44
	s_mov_b64 s[0:1], -1
	s_cbranch_scc0 .LBB223_1637
; %bb.1634:
	v_cndmask_b32_e64 v5, 0, 1.0, s[12:13]
	v_lshrrev_b32_e32 v1, 23, v5
	s_movk_i32 s0, 0xff
	v_cmp_ne_u32_e32 vcc, s0, v1
	v_mov_b32_e32 v6, 0xff
	s_and_saveexec_b64 s[18:19], vcc
; %bb.1635:
	s_mov_b32 s0, 0x3fffff
	v_and_b32_e32 v6, 0x400000, v5
	v_and_or_b32 v5, v5, s0, v1
	v_cmp_ne_u32_e32 vcc, 0, v6
	v_cmp_ne_u32_e64 s[0:1], 0, v5
	s_and_b64 s[0:1], vcc, s[0:1]
	v_cndmask_b32_e64 v5, 0, 1, s[0:1]
	v_add_u32_e32 v6, v1, v5
; %bb.1636:
	s_or_b64 exec, exec, s[18:19]
	s_mov_b64 s[0:1], 0
	s_mov_b64 s[18:19], -1
	global_store_byte v[3:4], v6, off
.LBB223_1637:
	s_mov_b64 s[20:21], 0
.LBB223_1638:
	s_and_b64 vcc, exec, s[20:21]
	s_cbranch_vccz .LBB223_1641
; %bb.1639:
	s_cmp_eq_u32 s24, 29
	s_mov_b64 s[0:1], -1
	s_cbranch_scc0 .LBB223_1641
; %bb.1640:
	s_mov_b32 s0, 0
	v_cndmask_b32_e64 v5, 0, 1, s[12:13]
	v_mov_b32_e32 v6, s0
	global_store_dwordx2 v[3:4], v[5:6], off
	s_mov_b64 s[0:1], 0
	s_mov_b64 s[18:19], -1
.LBB223_1641:
	s_mov_b64 s[20:21], 0
.LBB223_1642:
	s_and_b64 vcc, exec, s[20:21]
	s_cbranch_vccz .LBB223_1658
; %bb.1643:
	s_cmp_lt_i32 s24, 27
	s_mov_b64 s[18:19], -1
	s_cbranch_scc1 .LBB223_1649
; %bb.1644:
	s_cmp_gt_i32 s24, 27
	s_cbranch_scc0 .LBB223_1646
; %bb.1645:
	v_cndmask_b32_e64 v1, 0, 1, s[12:13]
	s_mov_b64 s[18:19], 0
	global_store_dword v[3:4], v1, off
.LBB223_1646:
	s_andn2_b64 vcc, exec, s[18:19]
	s_cbranch_vccnz .LBB223_1648
; %bb.1647:
	v_cndmask_b32_e64 v1, 0, 1, s[12:13]
	global_store_short v[3:4], v1, off
.LBB223_1648:
	s_mov_b64 s[18:19], 0
.LBB223_1649:
	s_andn2_b64 vcc, exec, s[18:19]
	s_cbranch_vccnz .LBB223_1657
; %bb.1650:
	v_cndmask_b32_e64 v5, 0, 1.0, s[12:13]
	s_mov_b32 s18, 0x43800000
	v_cmp_gt_u32_e32 vcc, s18, v5
	v_mov_b32_e32 v6, 0x80
	s_and_saveexec_b64 s[18:19], vcc
	s_cbranch_execz .LBB223_1656
; %bb.1651:
	s_mov_b32 s20, 0x3bffffff
	v_cmp_lt_u32_e32 vcc, s20, v5
	s_mov_b64 s[20:21], 0
                                        ; implicit-def: $vgpr1
	s_and_saveexec_b64 s[22:23], vcc
	s_xor_b64 s[22:23], exec, s[22:23]
	s_cbranch_execz .LBB223_1991
; %bb.1652:
	v_bfe_u32 v1, v5, 20, 1
	s_mov_b32 s25, 0x487ffff
	v_add3_u32 v1, v5, v1, s25
	s_mov_b64 s[20:21], exec
	v_lshrrev_b32_e32 v1, 20, v1
                                        ; implicit-def: $vgpr5
	s_andn2_saveexec_b64 s[22:23], s[22:23]
	s_cbranch_execnz .LBB223_1992
.LBB223_1653:
	s_or_b64 exec, exec, s[22:23]
	v_mov_b32_e32 v6, 0
	s_and_saveexec_b64 s[22:23], s[20:21]
.LBB223_1654:
	v_mov_b32_e32 v6, v1
.LBB223_1655:
	s_or_b64 exec, exec, s[22:23]
.LBB223_1656:
	s_or_b64 exec, exec, s[18:19]
	global_store_byte v[3:4], v6, off
.LBB223_1657:
	s_mov_b64 s[18:19], -1
.LBB223_1658:
	s_mov_b64 s[20:21], 0
.LBB223_1659:
	s_and_b64 vcc, exec, s[20:21]
	s_cbranch_vccz .LBB223_1699
; %bb.1660:
	s_cmp_gt_i32 s24, 22
	s_mov_b64 s[14:15], -1
	s_cbranch_scc0 .LBB223_1692
; %bb.1661:
	s_cmp_lt_i32 s24, 24
	s_cbranch_scc1 .LBB223_1681
; %bb.1662:
	s_cmp_gt_i32 s24, 24
	s_cbranch_scc0 .LBB223_1670
; %bb.1663:
	v_cndmask_b32_e64 v5, 0, 1.0, s[12:13]
	s_mov_b32 s14, 0x47800000
	v_cmp_gt_u32_e32 vcc, s14, v5
	v_mov_b32_e32 v6, 0x80
	s_and_saveexec_b64 s[14:15], vcc
	s_cbranch_execz .LBB223_1669
; %bb.1664:
	s_mov_b32 s18, 0x37ffffff
	v_cmp_lt_u32_e32 vcc, s18, v5
	s_mov_b64 s[18:19], 0
                                        ; implicit-def: $vgpr1
	s_and_saveexec_b64 s[20:21], vcc
	s_xor_b64 s[20:21], exec, s[20:21]
	s_cbranch_execz .LBB223_1994
; %bb.1665:
	v_bfe_u32 v1, v5, 21, 1
	s_mov_b32 s22, 0x88fffff
	v_add3_u32 v1, v5, v1, s22
	s_mov_b64 s[18:19], exec
	v_lshrrev_b32_e32 v1, 21, v1
                                        ; implicit-def: $vgpr5
	s_andn2_saveexec_b64 s[20:21], s[20:21]
	s_cbranch_execnz .LBB223_1995
.LBB223_1666:
	s_or_b64 exec, exec, s[20:21]
	v_mov_b32_e32 v6, 0
	s_and_saveexec_b64 s[20:21], s[18:19]
.LBB223_1667:
	v_mov_b32_e32 v6, v1
.LBB223_1668:
	s_or_b64 exec, exec, s[20:21]
.LBB223_1669:
	s_or_b64 exec, exec, s[14:15]
	s_mov_b64 s[14:15], 0
	global_store_byte v[3:4], v6, off
.LBB223_1670:
	s_and_b64 vcc, exec, s[14:15]
	s_cbranch_vccz .LBB223_1680
; %bb.1671:
	v_cndmask_b32_e64 v1, 0, 1.0, s[12:13]
	s_mov_b32 s14, 0x43f00000
	v_cmp_gt_u32_e32 vcc, s14, v1
                                        ; implicit-def: $vgpr5
	s_and_saveexec_b64 s[14:15], vcc
	s_xor_b64 s[14:15], exec, s[14:15]
	s_cbranch_execz .LBB223_1677
; %bb.1672:
	s_mov_b32 s18, 0x3c7fffff
	v_cmp_lt_u32_e32 vcc, s18, v1
                                        ; implicit-def: $vgpr5
	s_and_saveexec_b64 s[18:19], vcc
	s_xor_b64 s[18:19], exec, s[18:19]
; %bb.1673:
	v_bfe_u32 v5, v1, 20, 1
	s_mov_b32 s20, 0x407ffff
	v_add3_u32 v1, v1, v5, s20
	v_lshrrev_b32_e32 v5, 20, v1
	v_and_b32_e32 v1, 0xff00000, v1
	s_mov_b32 s20, 0x7f00000
	v_mov_b32_e32 v6, 0x7e
	v_cmp_ne_u32_e32 vcc, s20, v1
	v_cndmask_b32_e32 v5, v6, v5, vcc
                                        ; implicit-def: $vgpr1
; %bb.1674:
	s_andn2_saveexec_b64 s[18:19], s[18:19]
; %bb.1675:
	v_add_f32_e32 v5, 0x46800000, v1
; %bb.1676:
	s_or_b64 exec, exec, s[18:19]
                                        ; implicit-def: $vgpr1
.LBB223_1677:
	s_andn2_saveexec_b64 s[14:15], s[14:15]
; %bb.1678:
	s_mov_b32 s18, 0x7f800000
	v_mov_b32_e32 v5, 0x7e
	v_mov_b32_e32 v6, 0x7f
	v_cmp_lt_u32_e32 vcc, s18, v1
	v_cndmask_b32_e32 v5, v5, v6, vcc
; %bb.1679:
	s_or_b64 exec, exec, s[14:15]
	global_store_byte v[3:4], v5, off
.LBB223_1680:
	s_mov_b64 s[14:15], 0
.LBB223_1681:
	s_andn2_b64 vcc, exec, s[14:15]
	s_cbranch_vccnz .LBB223_1691
; %bb.1682:
	v_cndmask_b32_e64 v1, 0, 1.0, s[12:13]
	s_mov_b32 s14, 0x47800000
	v_cmp_gt_u32_e32 vcc, s14, v1
                                        ; implicit-def: $vgpr5
	s_and_saveexec_b64 s[14:15], vcc
	s_xor_b64 s[14:15], exec, s[14:15]
	s_cbranch_execz .LBB223_1688
; %bb.1683:
	s_mov_b32 s18, 0x387fffff
	v_cmp_lt_u32_e32 vcc, s18, v1
                                        ; implicit-def: $vgpr5
	s_and_saveexec_b64 s[18:19], vcc
	s_xor_b64 s[18:19], exec, s[18:19]
; %bb.1684:
	v_bfe_u32 v5, v1, 21, 1
	s_mov_b32 s20, 0x80fffff
	v_add3_u32 v1, v1, v5, s20
	v_lshrrev_b32_e32 v5, 21, v1
                                        ; implicit-def: $vgpr1
; %bb.1685:
	s_andn2_saveexec_b64 s[18:19], s[18:19]
; %bb.1686:
	v_add_f32_e32 v5, 0x43000000, v1
; %bb.1687:
	s_or_b64 exec, exec, s[18:19]
                                        ; implicit-def: $vgpr1
.LBB223_1688:
	s_andn2_saveexec_b64 s[14:15], s[14:15]
; %bb.1689:
	s_mov_b32 s18, 0x7f800000
	v_mov_b32_e32 v5, 0x7c
	v_mov_b32_e32 v6, 0x7f
	v_cmp_lt_u32_e32 vcc, s18, v1
	v_cndmask_b32_e32 v5, v5, v6, vcc
; %bb.1690:
	s_or_b64 exec, exec, s[14:15]
	global_store_byte v[3:4], v5, off
.LBB223_1691:
	s_mov_b64 s[14:15], 0
	s_mov_b64 s[18:19], -1
.LBB223_1692:
	s_andn2_b64 vcc, exec, s[14:15]
	s_mov_b64 s[14:15], 0
	s_cbranch_vccnz .LBB223_1699
; %bb.1693:
	s_cmp_gt_i32 s24, 14
	s_mov_b64 s[20:21], -1
	s_cbranch_scc0 .LBB223_1697
; %bb.1694:
	s_cmp_eq_u32 s24, 15
	s_mov_b64 s[0:1], -1
	s_cbranch_scc0 .LBB223_1696
; %bb.1695:
	v_cndmask_b32_e64 v1, 0, 1.0, s[12:13]
	v_bfe_u32 v5, v1, 16, 1
	s_movk_i32 s0, 0x7fff
	v_add3_u32 v1, v1, v5, s0
	global_store_short_d16_hi v[3:4], v1, off
	s_mov_b64 s[0:1], 0
	s_mov_b64 s[18:19], -1
.LBB223_1696:
	s_mov_b64 s[20:21], 0
.LBB223_1697:
	s_and_b64 vcc, exec, s[20:21]
	s_cbranch_vccz .LBB223_1699
; %bb.1698:
	s_cmp_lg_u32 s24, 11
	s_mov_b64 s[14:15], -1
	s_cselect_b64 s[0:1], -1, 0
.LBB223_1699:
	s_and_b64 vcc, exec, s[0:1]
	s_cbranch_vccnz .LBB223_1993
; %bb.1700:
	s_andn2_b64 vcc, exec, s[14:15]
	s_cbranch_vccnz .LBB223_1702
.LBB223_1701:
	v_cndmask_b32_e64 v1, 0, 1, s[12:13]
	s_mov_b64 s[18:19], -1
	global_store_byte v[3:4], v1, off
.LBB223_1702:
	s_mov_b64 s[0:1], 0
	s_branch .LBB223_1704
.LBB223_1703:
	s_mov_b64 s[0:1], -1
	s_mov_b64 s[18:19], 0
.LBB223_1704:
	s_and_b64 vcc, exec, s[0:1]
	s_cbranch_vccz .LBB223_1743
; %bb.1705:
	s_cmp_lt_i32 s24, 5
	s_mov_b64 s[0:1], -1
	s_cbranch_scc1 .LBB223_1726
; %bb.1706:
	s_cmp_lt_i32 s24, 8
	s_cbranch_scc1 .LBB223_1716
; %bb.1707:
	s_cmp_lt_i32 s24, 9
	s_cbranch_scc1 .LBB223_1713
; %bb.1708:
	s_cmp_gt_i32 s24, 9
	s_cbranch_scc0 .LBB223_1710
; %bb.1709:
	v_cndmask_b32_e64 v1, 0, 1, s[12:13]
	v_cvt_f64_u32_e32 v[5:6], v1
	v_mov_b32_e32 v7, 0
	v_mov_b32_e32 v8, v7
	s_mov_b64 s[0:1], 0
	global_store_dwordx4 v[3:4], v[5:8], off
.LBB223_1710:
	s_andn2_b64 vcc, exec, s[0:1]
	s_cbranch_vccnz .LBB223_1712
; %bb.1711:
	v_cndmask_b32_e64 v5, 0, 1.0, s[12:13]
	v_mov_b32_e32 v6, 0
	global_store_dwordx2 v[3:4], v[5:6], off
.LBB223_1712:
	s_mov_b64 s[0:1], 0
.LBB223_1713:
	s_andn2_b64 vcc, exec, s[0:1]
	s_cbranch_vccnz .LBB223_1715
; %bb.1714:
	v_cndmask_b32_e64 v1, 0, 1.0, s[12:13]
	v_cvt_f16_f32_e32 v1, v1
	global_store_dword v[3:4], v1, off
.LBB223_1715:
	s_mov_b64 s[0:1], 0
.LBB223_1716:
	s_andn2_b64 vcc, exec, s[0:1]
	s_cbranch_vccnz .LBB223_1725
; %bb.1717:
	s_cmp_lt_i32 s24, 6
	s_mov_b64 s[0:1], -1
	s_cbranch_scc1 .LBB223_1723
; %bb.1718:
	s_cmp_gt_i32 s24, 6
	s_cbranch_scc0 .LBB223_1720
; %bb.1719:
	v_cndmask_b32_e64 v1, 0, 1, s[12:13]
	v_cvt_f64_u32_e32 v[5:6], v1
	s_mov_b64 s[0:1], 0
	global_store_dwordx2 v[3:4], v[5:6], off
.LBB223_1720:
	s_andn2_b64 vcc, exec, s[0:1]
	s_cbranch_vccnz .LBB223_1722
; %bb.1721:
	v_cndmask_b32_e64 v1, 0, 1.0, s[12:13]
	global_store_dword v[3:4], v1, off
.LBB223_1722:
	s_mov_b64 s[0:1], 0
.LBB223_1723:
	s_andn2_b64 vcc, exec, s[0:1]
	s_cbranch_vccnz .LBB223_1725
; %bb.1724:
	v_cndmask_b32_e64 v1, 0, 1.0, s[12:13]
	v_cvt_f16_f32_e32 v1, v1
	global_store_short v[3:4], v1, off
.LBB223_1725:
	s_mov_b64 s[0:1], 0
.LBB223_1726:
	s_andn2_b64 vcc, exec, s[0:1]
	s_cbranch_vccnz .LBB223_1742
; %bb.1727:
	s_cmp_lt_i32 s24, 2
	s_mov_b64 s[0:1], -1
	s_cbranch_scc1 .LBB223_1737
; %bb.1728:
	s_cmp_lt_i32 s24, 3
	s_cbranch_scc1 .LBB223_1734
; %bb.1729:
	s_cmp_gt_i32 s24, 3
	s_cbranch_scc0 .LBB223_1731
; %bb.1730:
	s_mov_b32 s0, 0
	v_cndmask_b32_e64 v5, 0, 1, s[12:13]
	v_mov_b32_e32 v6, s0
	global_store_dwordx2 v[3:4], v[5:6], off
	s_mov_b64 s[0:1], 0
.LBB223_1731:
	s_andn2_b64 vcc, exec, s[0:1]
	s_cbranch_vccnz .LBB223_1733
; %bb.1732:
	v_cndmask_b32_e64 v1, 0, 1, s[12:13]
	global_store_dword v[3:4], v1, off
.LBB223_1733:
	s_mov_b64 s[0:1], 0
.LBB223_1734:
	s_andn2_b64 vcc, exec, s[0:1]
	s_cbranch_vccnz .LBB223_1736
; %bb.1735:
	v_cndmask_b32_e64 v1, 0, 1, s[12:13]
	global_store_short v[3:4], v1, off
.LBB223_1736:
	s_mov_b64 s[0:1], 0
.LBB223_1737:
	s_andn2_b64 vcc, exec, s[0:1]
	s_cbranch_vccnz .LBB223_1742
; %bb.1738:
	s_mov_b64 s[0:1], -1
	s_cmp_gt_i32 s24, 0
	v_cndmask_b32_e64 v1, 0, 1, s[12:13]
	s_cbranch_scc0 .LBB223_1740
; %bb.1739:
	global_store_byte v[3:4], v1, off
	s_mov_b64 s[0:1], 0
.LBB223_1740:
	s_andn2_b64 vcc, exec, s[0:1]
	s_cbranch_vccnz .LBB223_1742
; %bb.1741:
	global_store_byte v[3:4], v1, off
.LBB223_1742:
	s_mov_b64 s[18:19], -1
.LBB223_1743:
	s_andn2_b64 vcc, exec, s[18:19]
	s_cbranch_vccnz .LBB223_1939
; %bb.1744:
	s_xor_b64 s[0:1], s[6:7], s[10:11]
	s_xor_b64 s[6:7], s[16:17], s[0:1]
	v_mov_b32_e32 v3, s9
	v_add_co_u32_e32 v1, vcc, s8, v2
	s_cmp_lt_i32 s24, 11
	v_addc_co_u32_e32 v2, vcc, 0, v3, vcc
	s_cbranch_scc1 .LBB223_1822
; %bb.1745:
	s_mov_b64 s[18:19], -1
	s_mov_b64 s[12:13], 0
	s_cmp_gt_i32 s24, 25
	s_mov_b64 s[14:15], 0
	s_mov_b64 s[0:1], 0
	s_cbranch_scc0 .LBB223_1778
; %bb.1746:
	s_cmp_gt_i32 s24, 28
	s_cbranch_scc0 .LBB223_1761
; %bb.1747:
	s_cmp_gt_i32 s24, 43
	;; [unrolled: 3-line block ×3, first 2 shown]
	s_cbranch_scc0 .LBB223_1751
; %bb.1749:
	s_mov_b64 s[0:1], -1
	s_mov_b64 s[18:19], 0
	s_cmp_eq_u32 s24, 46
	s_cbranch_scc0 .LBB223_1751
; %bb.1750:
	v_cndmask_b32_e64 v3, 0, 1.0, s[6:7]
	v_bfe_u32 v4, v3, 16, 1
	s_movk_i32 s0, 0x7fff
	v_add3_u32 v3, v3, v4, s0
	v_lshrrev_b32_e32 v3, 16, v3
	global_store_dword v[1:2], v3, off
	s_mov_b64 s[0:1], 0
	s_mov_b64 s[14:15], -1
.LBB223_1751:
	s_and_b64 vcc, exec, s[18:19]
	s_cbranch_vccz .LBB223_1756
; %bb.1752:
	s_cmp_eq_u32 s24, 44
	s_mov_b64 s[0:1], -1
	s_cbranch_scc0 .LBB223_1756
; %bb.1753:
	v_cndmask_b32_e64 v4, 0, 1.0, s[6:7]
	v_lshrrev_b32_e32 v3, 23, v4
	s_movk_i32 s0, 0xff
	v_cmp_ne_u32_e32 vcc, s0, v3
	v_mov_b32_e32 v5, 0xff
	s_and_saveexec_b64 s[14:15], vcc
; %bb.1754:
	s_mov_b32 s0, 0x3fffff
	v_and_b32_e32 v5, 0x400000, v4
	v_and_or_b32 v4, v4, s0, v3
	v_cmp_ne_u32_e32 vcc, 0, v5
	v_cmp_ne_u32_e64 s[0:1], 0, v4
	s_and_b64 s[0:1], vcc, s[0:1]
	v_cndmask_b32_e64 v4, 0, 1, s[0:1]
	v_add_u32_e32 v5, v3, v4
; %bb.1755:
	s_or_b64 exec, exec, s[14:15]
	s_mov_b64 s[0:1], 0
	s_mov_b64 s[14:15], -1
	global_store_byte v[1:2], v5, off
.LBB223_1756:
	s_mov_b64 s[18:19], 0
.LBB223_1757:
	s_and_b64 vcc, exec, s[18:19]
	s_cbranch_vccz .LBB223_1760
; %bb.1758:
	s_cmp_eq_u32 s24, 29
	s_mov_b64 s[0:1], -1
	s_cbranch_scc0 .LBB223_1760
; %bb.1759:
	s_mov_b32 s0, 0
	v_cndmask_b32_e64 v3, 0, 1, s[6:7]
	v_mov_b32_e32 v4, s0
	global_store_dwordx2 v[1:2], v[3:4], off
	s_mov_b64 s[0:1], 0
	s_mov_b64 s[14:15], -1
.LBB223_1760:
	s_mov_b64 s[18:19], 0
.LBB223_1761:
	s_and_b64 vcc, exec, s[18:19]
	s_cbranch_vccz .LBB223_1777
; %bb.1762:
	s_cmp_lt_i32 s24, 27
	s_mov_b64 s[14:15], -1
	s_cbranch_scc1 .LBB223_1768
; %bb.1763:
	s_cmp_gt_i32 s24, 27
	s_cbranch_scc0 .LBB223_1765
; %bb.1764:
	v_cndmask_b32_e64 v3, 0, 1, s[6:7]
	s_mov_b64 s[14:15], 0
	global_store_dword v[1:2], v3, off
.LBB223_1765:
	s_andn2_b64 vcc, exec, s[14:15]
	s_cbranch_vccnz .LBB223_1767
; %bb.1766:
	v_cndmask_b32_e64 v3, 0, 1, s[6:7]
	global_store_short v[1:2], v3, off
.LBB223_1767:
	s_mov_b64 s[14:15], 0
.LBB223_1768:
	s_andn2_b64 vcc, exec, s[14:15]
	s_cbranch_vccnz .LBB223_1776
; %bb.1769:
	v_cndmask_b32_e64 v4, 0, 1.0, s[6:7]
	s_mov_b32 s14, 0x43800000
	v_cmp_gt_u32_e32 vcc, s14, v4
	v_mov_b32_e32 v5, 0x80
	s_and_saveexec_b64 s[14:15], vcc
	s_cbranch_execz .LBB223_1775
; %bb.1770:
	s_mov_b32 s18, 0x3bffffff
	v_cmp_lt_u32_e32 vcc, s18, v4
	s_mov_b64 s[18:19], 0
                                        ; implicit-def: $vgpr3
	s_and_saveexec_b64 s[20:21], vcc
	s_xor_b64 s[20:21], exec, s[20:21]
	s_cbranch_execz .LBB223_1996
; %bb.1771:
	v_bfe_u32 v3, v4, 20, 1
	s_mov_b32 s22, 0x487ffff
	v_add3_u32 v3, v4, v3, s22
	s_mov_b64 s[18:19], exec
	v_lshrrev_b32_e32 v3, 20, v3
                                        ; implicit-def: $vgpr4
	s_andn2_saveexec_b64 s[20:21], s[20:21]
	s_cbranch_execnz .LBB223_1997
.LBB223_1772:
	s_or_b64 exec, exec, s[20:21]
	v_mov_b32_e32 v5, 0
	s_and_saveexec_b64 s[20:21], s[18:19]
.LBB223_1773:
	v_mov_b32_e32 v5, v3
.LBB223_1774:
	s_or_b64 exec, exec, s[20:21]
.LBB223_1775:
	s_or_b64 exec, exec, s[14:15]
	global_store_byte v[1:2], v5, off
.LBB223_1776:
	s_mov_b64 s[14:15], -1
.LBB223_1777:
	s_mov_b64 s[18:19], 0
.LBB223_1778:
	s_and_b64 vcc, exec, s[18:19]
	s_cbranch_vccz .LBB223_1818
; %bb.1779:
	s_cmp_gt_i32 s24, 22
	s_mov_b64 s[12:13], -1
	s_cbranch_scc0 .LBB223_1811
; %bb.1780:
	s_cmp_lt_i32 s24, 24
	s_cbranch_scc1 .LBB223_1800
; %bb.1781:
	s_cmp_gt_i32 s24, 24
	s_cbranch_scc0 .LBB223_1789
; %bb.1782:
	v_cndmask_b32_e64 v4, 0, 1.0, s[6:7]
	s_mov_b32 s12, 0x47800000
	v_cmp_gt_u32_e32 vcc, s12, v4
	v_mov_b32_e32 v5, 0x80
	s_and_saveexec_b64 s[12:13], vcc
	s_cbranch_execz .LBB223_1788
; %bb.1783:
	s_mov_b32 s14, 0x37ffffff
	v_cmp_lt_u32_e32 vcc, s14, v4
	s_mov_b64 s[14:15], 0
                                        ; implicit-def: $vgpr3
	s_and_saveexec_b64 s[18:19], vcc
	s_xor_b64 s[18:19], exec, s[18:19]
	s_cbranch_execz .LBB223_1999
; %bb.1784:
	v_bfe_u32 v3, v4, 21, 1
	s_mov_b32 s20, 0x88fffff
	v_add3_u32 v3, v4, v3, s20
	s_mov_b64 s[14:15], exec
	v_lshrrev_b32_e32 v3, 21, v3
                                        ; implicit-def: $vgpr4
	s_andn2_saveexec_b64 s[18:19], s[18:19]
	s_cbranch_execnz .LBB223_2000
.LBB223_1785:
	s_or_b64 exec, exec, s[18:19]
	v_mov_b32_e32 v5, 0
	s_and_saveexec_b64 s[18:19], s[14:15]
.LBB223_1786:
	v_mov_b32_e32 v5, v3
.LBB223_1787:
	s_or_b64 exec, exec, s[18:19]
.LBB223_1788:
	s_or_b64 exec, exec, s[12:13]
	s_mov_b64 s[12:13], 0
	global_store_byte v[1:2], v5, off
.LBB223_1789:
	s_and_b64 vcc, exec, s[12:13]
	s_cbranch_vccz .LBB223_1799
; %bb.1790:
	v_cndmask_b32_e64 v3, 0, 1.0, s[6:7]
	s_mov_b32 s12, 0x43f00000
	v_cmp_gt_u32_e32 vcc, s12, v3
                                        ; implicit-def: $vgpr4
	s_and_saveexec_b64 s[12:13], vcc
	s_xor_b64 s[12:13], exec, s[12:13]
	s_cbranch_execz .LBB223_1796
; %bb.1791:
	s_mov_b32 s14, 0x3c7fffff
	v_cmp_lt_u32_e32 vcc, s14, v3
                                        ; implicit-def: $vgpr4
	s_and_saveexec_b64 s[14:15], vcc
	s_xor_b64 s[14:15], exec, s[14:15]
; %bb.1792:
	v_bfe_u32 v4, v3, 20, 1
	s_mov_b32 s18, 0x407ffff
	v_add3_u32 v3, v3, v4, s18
	v_lshrrev_b32_e32 v4, 20, v3
	v_and_b32_e32 v3, 0xff00000, v3
	s_mov_b32 s18, 0x7f00000
	v_mov_b32_e32 v5, 0x7e
	v_cmp_ne_u32_e32 vcc, s18, v3
	v_cndmask_b32_e32 v4, v5, v4, vcc
                                        ; implicit-def: $vgpr3
; %bb.1793:
	s_andn2_saveexec_b64 s[14:15], s[14:15]
; %bb.1794:
	v_add_f32_e32 v4, 0x46800000, v3
; %bb.1795:
	s_or_b64 exec, exec, s[14:15]
                                        ; implicit-def: $vgpr3
.LBB223_1796:
	s_andn2_saveexec_b64 s[12:13], s[12:13]
; %bb.1797:
	s_mov_b32 s14, 0x7f800000
	v_mov_b32_e32 v4, 0x7e
	v_mov_b32_e32 v5, 0x7f
	v_cmp_lt_u32_e32 vcc, s14, v3
	v_cndmask_b32_e32 v4, v4, v5, vcc
; %bb.1798:
	s_or_b64 exec, exec, s[12:13]
	global_store_byte v[1:2], v4, off
.LBB223_1799:
	s_mov_b64 s[12:13], 0
.LBB223_1800:
	s_andn2_b64 vcc, exec, s[12:13]
	s_cbranch_vccnz .LBB223_1810
; %bb.1801:
	v_cndmask_b32_e64 v3, 0, 1.0, s[6:7]
	s_mov_b32 s12, 0x47800000
	v_cmp_gt_u32_e32 vcc, s12, v3
                                        ; implicit-def: $vgpr4
	s_and_saveexec_b64 s[12:13], vcc
	s_xor_b64 s[12:13], exec, s[12:13]
	s_cbranch_execz .LBB223_1807
; %bb.1802:
	s_mov_b32 s14, 0x387fffff
	v_cmp_lt_u32_e32 vcc, s14, v3
                                        ; implicit-def: $vgpr4
	s_and_saveexec_b64 s[14:15], vcc
	s_xor_b64 s[14:15], exec, s[14:15]
; %bb.1803:
	v_bfe_u32 v4, v3, 21, 1
	s_mov_b32 s18, 0x80fffff
	v_add3_u32 v3, v3, v4, s18
	v_lshrrev_b32_e32 v4, 21, v3
                                        ; implicit-def: $vgpr3
; %bb.1804:
	s_andn2_saveexec_b64 s[14:15], s[14:15]
; %bb.1805:
	v_add_f32_e32 v4, 0x43000000, v3
; %bb.1806:
	s_or_b64 exec, exec, s[14:15]
                                        ; implicit-def: $vgpr3
.LBB223_1807:
	s_andn2_saveexec_b64 s[12:13], s[12:13]
; %bb.1808:
	s_mov_b32 s14, 0x7f800000
	v_mov_b32_e32 v4, 0x7c
	v_mov_b32_e32 v5, 0x7f
	v_cmp_lt_u32_e32 vcc, s14, v3
	v_cndmask_b32_e32 v4, v4, v5, vcc
; %bb.1809:
	s_or_b64 exec, exec, s[12:13]
	global_store_byte v[1:2], v4, off
.LBB223_1810:
	s_mov_b64 s[12:13], 0
	s_mov_b64 s[14:15], -1
.LBB223_1811:
	s_andn2_b64 vcc, exec, s[12:13]
	s_mov_b64 s[12:13], 0
	s_cbranch_vccnz .LBB223_1818
; %bb.1812:
	s_cmp_gt_i32 s24, 14
	s_mov_b64 s[18:19], -1
	s_cbranch_scc0 .LBB223_1816
; %bb.1813:
	s_cmp_eq_u32 s24, 15
	s_mov_b64 s[0:1], -1
	s_cbranch_scc0 .LBB223_1815
; %bb.1814:
	v_cndmask_b32_e64 v3, 0, 1.0, s[6:7]
	v_bfe_u32 v4, v3, 16, 1
	s_movk_i32 s0, 0x7fff
	v_add3_u32 v3, v3, v4, s0
	global_store_short_d16_hi v[1:2], v3, off
	s_mov_b64 s[0:1], 0
	s_mov_b64 s[14:15], -1
.LBB223_1815:
	s_mov_b64 s[18:19], 0
.LBB223_1816:
	s_and_b64 vcc, exec, s[18:19]
	s_cbranch_vccz .LBB223_1818
; %bb.1817:
	s_cmp_lg_u32 s24, 11
	s_mov_b64 s[12:13], -1
	s_cselect_b64 s[0:1], -1, 0
.LBB223_1818:
	s_and_b64 vcc, exec, s[0:1]
	s_cbranch_vccnz .LBB223_1998
; %bb.1819:
	s_andn2_b64 vcc, exec, s[12:13]
	s_cbranch_vccnz .LBB223_1821
.LBB223_1820:
	v_cndmask_b32_e64 v3, 0, 1, s[6:7]
	s_mov_b64 s[14:15], -1
	global_store_byte v[1:2], v3, off
.LBB223_1821:
	s_mov_b64 s[0:1], 0
	s_branch .LBB223_1823
.LBB223_1822:
	s_mov_b64 s[0:1], -1
	s_mov_b64 s[14:15], 0
.LBB223_1823:
	s_and_b64 vcc, exec, s[0:1]
	s_cbranch_vccz .LBB223_1862
; %bb.1824:
	s_cmp_lt_i32 s24, 5
	s_mov_b64 s[0:1], -1
	s_cbranch_scc1 .LBB223_1845
; %bb.1825:
	s_cmp_lt_i32 s24, 8
	s_cbranch_scc1 .LBB223_1835
; %bb.1826:
	s_cmp_lt_i32 s24, 9
	s_cbranch_scc1 .LBB223_1832
; %bb.1827:
	s_cmp_gt_i32 s24, 9
	s_cbranch_scc0 .LBB223_1829
; %bb.1828:
	v_cndmask_b32_e64 v3, 0, 1, s[6:7]
	v_cvt_f64_u32_e32 v[3:4], v3
	v_mov_b32_e32 v5, 0
	v_mov_b32_e32 v6, v5
	s_mov_b64 s[0:1], 0
	global_store_dwordx4 v[1:2], v[3:6], off
.LBB223_1829:
	s_andn2_b64 vcc, exec, s[0:1]
	s_cbranch_vccnz .LBB223_1831
; %bb.1830:
	v_cndmask_b32_e64 v3, 0, 1.0, s[6:7]
	v_mov_b32_e32 v4, 0
	global_store_dwordx2 v[1:2], v[3:4], off
.LBB223_1831:
	s_mov_b64 s[0:1], 0
.LBB223_1832:
	s_andn2_b64 vcc, exec, s[0:1]
	s_cbranch_vccnz .LBB223_1834
; %bb.1833:
	v_cndmask_b32_e64 v3, 0, 1.0, s[6:7]
	v_cvt_f16_f32_e32 v3, v3
	global_store_dword v[1:2], v3, off
.LBB223_1834:
	s_mov_b64 s[0:1], 0
.LBB223_1835:
	s_andn2_b64 vcc, exec, s[0:1]
	s_cbranch_vccnz .LBB223_1844
; %bb.1836:
	s_cmp_lt_i32 s24, 6
	s_mov_b64 s[0:1], -1
	s_cbranch_scc1 .LBB223_1842
; %bb.1837:
	s_cmp_gt_i32 s24, 6
	s_cbranch_scc0 .LBB223_1839
; %bb.1838:
	v_cndmask_b32_e64 v3, 0, 1, s[6:7]
	v_cvt_f64_u32_e32 v[3:4], v3
	s_mov_b64 s[0:1], 0
	global_store_dwordx2 v[1:2], v[3:4], off
.LBB223_1839:
	s_andn2_b64 vcc, exec, s[0:1]
	s_cbranch_vccnz .LBB223_1841
; %bb.1840:
	v_cndmask_b32_e64 v3, 0, 1.0, s[6:7]
	global_store_dword v[1:2], v3, off
.LBB223_1841:
	s_mov_b64 s[0:1], 0
.LBB223_1842:
	s_andn2_b64 vcc, exec, s[0:1]
	s_cbranch_vccnz .LBB223_1844
; %bb.1843:
	v_cndmask_b32_e64 v3, 0, 1.0, s[6:7]
	v_cvt_f16_f32_e32 v3, v3
	global_store_short v[1:2], v3, off
.LBB223_1844:
	s_mov_b64 s[0:1], 0
.LBB223_1845:
	s_andn2_b64 vcc, exec, s[0:1]
	s_cbranch_vccnz .LBB223_1861
; %bb.1846:
	s_cmp_lt_i32 s24, 2
	s_mov_b64 s[0:1], -1
	s_cbranch_scc1 .LBB223_1856
; %bb.1847:
	s_cmp_lt_i32 s24, 3
	s_cbranch_scc1 .LBB223_1853
; %bb.1848:
	s_cmp_gt_i32 s24, 3
	s_cbranch_scc0 .LBB223_1850
; %bb.1849:
	s_mov_b32 s0, 0
	v_cndmask_b32_e64 v3, 0, 1, s[6:7]
	v_mov_b32_e32 v4, s0
	global_store_dwordx2 v[1:2], v[3:4], off
	s_mov_b64 s[0:1], 0
.LBB223_1850:
	s_andn2_b64 vcc, exec, s[0:1]
	s_cbranch_vccnz .LBB223_1852
; %bb.1851:
	v_cndmask_b32_e64 v3, 0, 1, s[6:7]
	global_store_dword v[1:2], v3, off
.LBB223_1852:
	s_mov_b64 s[0:1], 0
.LBB223_1853:
	s_andn2_b64 vcc, exec, s[0:1]
	s_cbranch_vccnz .LBB223_1855
; %bb.1854:
	v_cndmask_b32_e64 v3, 0, 1, s[6:7]
	global_store_short v[1:2], v3, off
.LBB223_1855:
	s_mov_b64 s[0:1], 0
.LBB223_1856:
	s_andn2_b64 vcc, exec, s[0:1]
	s_cbranch_vccnz .LBB223_1861
; %bb.1857:
	s_cmp_gt_i32 s24, 0
	s_mov_b64 s[0:1], -1
	s_cbranch_scc0 .LBB223_1859
; %bb.1858:
	v_cndmask_b32_e64 v3, 0, 1, s[6:7]
	global_store_byte v[1:2], v3, off
	s_mov_b64 s[0:1], 0
.LBB223_1859:
	s_andn2_b64 vcc, exec, s[0:1]
	s_cbranch_vccnz .LBB223_1861
; %bb.1860:
	v_cndmask_b32_e64 v3, 0, 1, s[6:7]
	global_store_byte v[1:2], v3, off
.LBB223_1861:
	s_mov_b64 s[14:15], -1
.LBB223_1862:
	s_andn2_b64 vcc, exec, s[14:15]
	s_cbranch_vccnz .LBB223_1939
; %bb.1863:
	s_xor_b64 s[0:1], s[4:5], s[10:11]
	s_xor_b64 s[10:11], s[16:17], s[0:1]
	v_mov_b32_e32 v1, s9
	v_add_co_u32_e32 v0, vcc, s8, v0
	s_cmp_lt_i32 s24, 11
	v_addc_co_u32_e32 v1, vcc, 0, v1, vcc
	s_cbranch_scc1 .LBB223_1984
; %bb.1864:
	s_mov_b64 s[6:7], -1
	s_mov_b64 s[4:5], 0
	s_cmp_gt_i32 s24, 25
	s_mov_b64 s[0:1], 0
	s_cbranch_scc0 .LBB223_1897
; %bb.1865:
	s_cmp_gt_i32 s24, 28
	s_cbranch_scc0 .LBB223_1881
; %bb.1866:
	s_cmp_gt_i32 s24, 43
	;; [unrolled: 3-line block ×3, first 2 shown]
	s_cbranch_scc0 .LBB223_1871
; %bb.1868:
	s_cmp_eq_u32 s24, 46
	s_mov_b64 s[0:1], -1
	s_cbranch_scc0 .LBB223_1870
; %bb.1869:
	v_cndmask_b32_e64 v2, 0, 1.0, s[10:11]
	v_bfe_u32 v3, v2, 16, 1
	s_movk_i32 s0, 0x7fff
	v_add3_u32 v2, v2, v3, s0
	v_lshrrev_b32_e32 v2, 16, v2
	global_store_dword v[0:1], v2, off
	s_mov_b64 s[0:1], 0
.LBB223_1870:
	s_mov_b64 s[6:7], 0
.LBB223_1871:
	s_and_b64 vcc, exec, s[6:7]
	s_cbranch_vccz .LBB223_1876
; %bb.1872:
	s_cmp_eq_u32 s24, 44
	s_mov_b64 s[0:1], -1
	s_cbranch_scc0 .LBB223_1876
; %bb.1873:
	v_cndmask_b32_e64 v3, 0, 1.0, s[10:11]
	v_lshrrev_b32_e32 v2, 23, v3
	s_movk_i32 s0, 0xff
	v_cmp_ne_u32_e32 vcc, s0, v2
	v_mov_b32_e32 v4, 0xff
	s_and_saveexec_b64 s[6:7], vcc
; %bb.1874:
	s_mov_b32 s0, 0x3fffff
	v_and_b32_e32 v4, 0x400000, v3
	v_and_or_b32 v3, v3, s0, v2
	v_cmp_ne_u32_e32 vcc, 0, v4
	v_cmp_ne_u32_e64 s[0:1], 0, v3
	s_and_b64 s[0:1], vcc, s[0:1]
	v_cndmask_b32_e64 v3, 0, 1, s[0:1]
	v_add_u32_e32 v4, v2, v3
; %bb.1875:
	s_or_b64 exec, exec, s[6:7]
	s_mov_b64 s[0:1], 0
	global_store_byte v[0:1], v4, off
.LBB223_1876:
	s_mov_b64 s[6:7], 0
.LBB223_1877:
	s_and_b64 vcc, exec, s[6:7]
	s_cbranch_vccz .LBB223_1880
; %bb.1878:
	s_cmp_eq_u32 s24, 29
	s_mov_b64 s[0:1], -1
	s_cbranch_scc0 .LBB223_1880
; %bb.1879:
	s_mov_b32 s0, 0
	v_cndmask_b32_e64 v2, 0, 1, s[10:11]
	v_mov_b32_e32 v3, s0
	global_store_dwordx2 v[0:1], v[2:3], off
	s_mov_b64 s[0:1], 0
.LBB223_1880:
	s_mov_b64 s[6:7], 0
.LBB223_1881:
	s_and_b64 vcc, exec, s[6:7]
	s_cbranch_vccz .LBB223_1896
; %bb.1882:
	s_cmp_lt_i32 s24, 27
	s_mov_b64 s[6:7], -1
	s_cbranch_scc1 .LBB223_1888
; %bb.1883:
	s_cmp_gt_i32 s24, 27
	s_cbranch_scc0 .LBB223_1885
; %bb.1884:
	v_cndmask_b32_e64 v2, 0, 1, s[10:11]
	global_store_dword v[0:1], v2, off
	s_mov_b64 s[6:7], 0
.LBB223_1885:
	s_andn2_b64 vcc, exec, s[6:7]
	s_cbranch_vccnz .LBB223_1887
; %bb.1886:
	v_cndmask_b32_e64 v2, 0, 1, s[10:11]
	global_store_short v[0:1], v2, off
.LBB223_1887:
	s_mov_b64 s[6:7], 0
.LBB223_1888:
	s_andn2_b64 vcc, exec, s[6:7]
	s_cbranch_vccnz .LBB223_1896
; %bb.1889:
	v_cndmask_b32_e64 v3, 0, 1.0, s[10:11]
	s_mov_b32 s6, 0x43800000
	v_cmp_gt_u32_e32 vcc, s6, v3
	v_mov_b32_e32 v4, 0x80
	s_and_saveexec_b64 s[6:7], vcc
	s_cbranch_execz .LBB223_1895
; %bb.1890:
	s_mov_b32 s8, 0x3bffffff
	v_cmp_lt_u32_e32 vcc, s8, v3
	s_mov_b64 s[8:9], 0
                                        ; implicit-def: $vgpr2
	s_and_saveexec_b64 s[12:13], vcc
	s_xor_b64 s[12:13], exec, s[12:13]
	s_cbranch_execz .LBB223_2001
; %bb.1891:
	v_bfe_u32 v2, v3, 20, 1
	s_mov_b32 s14, 0x487ffff
	v_add3_u32 v2, v3, v2, s14
	s_mov_b64 s[8:9], exec
	v_lshrrev_b32_e32 v2, 20, v2
                                        ; implicit-def: $vgpr3
	s_andn2_saveexec_b64 s[12:13], s[12:13]
	s_cbranch_execnz .LBB223_2002
.LBB223_1892:
	s_or_b64 exec, exec, s[12:13]
	v_mov_b32_e32 v4, 0
	s_and_saveexec_b64 s[12:13], s[8:9]
.LBB223_1893:
	v_mov_b32_e32 v4, v2
.LBB223_1894:
	s_or_b64 exec, exec, s[12:13]
.LBB223_1895:
	s_or_b64 exec, exec, s[6:7]
	global_store_byte v[0:1], v4, off
.LBB223_1896:
	s_mov_b64 s[6:7], 0
.LBB223_1897:
	s_and_b64 vcc, exec, s[6:7]
	s_cbranch_vccz .LBB223_1937
; %bb.1898:
	s_cmp_gt_i32 s24, 22
	s_mov_b64 s[4:5], -1
	s_cbranch_scc0 .LBB223_1930
; %bb.1899:
	s_cmp_lt_i32 s24, 24
	s_cbranch_scc1 .LBB223_1919
; %bb.1900:
	s_cmp_gt_i32 s24, 24
	s_cbranch_scc0 .LBB223_1908
; %bb.1901:
	v_cndmask_b32_e64 v3, 0, 1.0, s[10:11]
	s_mov_b32 s4, 0x47800000
	v_cmp_gt_u32_e32 vcc, s4, v3
	v_mov_b32_e32 v4, 0x80
	s_and_saveexec_b64 s[4:5], vcc
	s_cbranch_execz .LBB223_1907
; %bb.1902:
	s_mov_b32 s6, 0x37ffffff
	v_cmp_lt_u32_e32 vcc, s6, v3
	s_mov_b64 s[6:7], 0
                                        ; implicit-def: $vgpr2
	s_and_saveexec_b64 s[8:9], vcc
	s_xor_b64 s[8:9], exec, s[8:9]
	s_cbranch_execz .LBB223_2004
; %bb.1903:
	v_bfe_u32 v2, v3, 21, 1
	s_mov_b32 s12, 0x88fffff
	v_add3_u32 v2, v3, v2, s12
	s_mov_b64 s[6:7], exec
	v_lshrrev_b32_e32 v2, 21, v2
                                        ; implicit-def: $vgpr3
	s_andn2_saveexec_b64 s[8:9], s[8:9]
	s_cbranch_execnz .LBB223_2005
.LBB223_1904:
	s_or_b64 exec, exec, s[8:9]
	v_mov_b32_e32 v4, 0
	s_and_saveexec_b64 s[8:9], s[6:7]
.LBB223_1905:
	v_mov_b32_e32 v4, v2
.LBB223_1906:
	s_or_b64 exec, exec, s[8:9]
.LBB223_1907:
	s_or_b64 exec, exec, s[4:5]
	s_mov_b64 s[4:5], 0
	global_store_byte v[0:1], v4, off
.LBB223_1908:
	s_and_b64 vcc, exec, s[4:5]
	s_cbranch_vccz .LBB223_1918
; %bb.1909:
	v_cndmask_b32_e64 v2, 0, 1.0, s[10:11]
	s_mov_b32 s4, 0x43f00000
	v_cmp_gt_u32_e32 vcc, s4, v2
                                        ; implicit-def: $vgpr3
	s_and_saveexec_b64 s[4:5], vcc
	s_xor_b64 s[4:5], exec, s[4:5]
	s_cbranch_execz .LBB223_1915
; %bb.1910:
	s_mov_b32 s6, 0x3c7fffff
	v_cmp_lt_u32_e32 vcc, s6, v2
                                        ; implicit-def: $vgpr3
	s_and_saveexec_b64 s[6:7], vcc
	s_xor_b64 s[6:7], exec, s[6:7]
; %bb.1911:
	v_bfe_u32 v3, v2, 20, 1
	s_mov_b32 s8, 0x407ffff
	v_add3_u32 v2, v2, v3, s8
	v_lshrrev_b32_e32 v3, 20, v2
	v_and_b32_e32 v2, 0xff00000, v2
	s_mov_b32 s8, 0x7f00000
	v_mov_b32_e32 v4, 0x7e
	v_cmp_ne_u32_e32 vcc, s8, v2
	v_cndmask_b32_e32 v3, v4, v3, vcc
                                        ; implicit-def: $vgpr2
; %bb.1912:
	s_andn2_saveexec_b64 s[6:7], s[6:7]
; %bb.1913:
	v_add_f32_e32 v3, 0x46800000, v2
; %bb.1914:
	s_or_b64 exec, exec, s[6:7]
                                        ; implicit-def: $vgpr2
.LBB223_1915:
	s_andn2_saveexec_b64 s[4:5], s[4:5]
; %bb.1916:
	s_mov_b32 s6, 0x7f800000
	v_mov_b32_e32 v3, 0x7e
	v_mov_b32_e32 v4, 0x7f
	v_cmp_lt_u32_e32 vcc, s6, v2
	v_cndmask_b32_e32 v3, v3, v4, vcc
; %bb.1917:
	s_or_b64 exec, exec, s[4:5]
	global_store_byte v[0:1], v3, off
.LBB223_1918:
	s_mov_b64 s[4:5], 0
.LBB223_1919:
	s_andn2_b64 vcc, exec, s[4:5]
	s_cbranch_vccnz .LBB223_1929
; %bb.1920:
	v_cndmask_b32_e64 v2, 0, 1.0, s[10:11]
	s_mov_b32 s4, 0x47800000
	v_cmp_gt_u32_e32 vcc, s4, v2
                                        ; implicit-def: $vgpr3
	s_and_saveexec_b64 s[4:5], vcc
	s_xor_b64 s[4:5], exec, s[4:5]
	s_cbranch_execz .LBB223_1926
; %bb.1921:
	s_mov_b32 s6, 0x387fffff
	v_cmp_lt_u32_e32 vcc, s6, v2
                                        ; implicit-def: $vgpr3
	s_and_saveexec_b64 s[6:7], vcc
	s_xor_b64 s[6:7], exec, s[6:7]
; %bb.1922:
	v_bfe_u32 v3, v2, 21, 1
	s_mov_b32 s8, 0x80fffff
	v_add3_u32 v2, v2, v3, s8
	v_lshrrev_b32_e32 v3, 21, v2
                                        ; implicit-def: $vgpr2
; %bb.1923:
	s_andn2_saveexec_b64 s[6:7], s[6:7]
; %bb.1924:
	v_add_f32_e32 v3, 0x43000000, v2
; %bb.1925:
	s_or_b64 exec, exec, s[6:7]
                                        ; implicit-def: $vgpr2
.LBB223_1926:
	s_andn2_saveexec_b64 s[4:5], s[4:5]
; %bb.1927:
	s_mov_b32 s6, 0x7f800000
	v_mov_b32_e32 v3, 0x7c
	v_mov_b32_e32 v4, 0x7f
	v_cmp_lt_u32_e32 vcc, s6, v2
	v_cndmask_b32_e32 v3, v3, v4, vcc
; %bb.1928:
	s_or_b64 exec, exec, s[4:5]
	global_store_byte v[0:1], v3, off
.LBB223_1929:
	s_mov_b64 s[4:5], 0
.LBB223_1930:
	s_andn2_b64 vcc, exec, s[4:5]
	s_mov_b64 s[4:5], 0
	s_cbranch_vccnz .LBB223_1937
; %bb.1931:
	s_cmp_gt_i32 s24, 14
	s_mov_b64 s[6:7], -1
	s_cbranch_scc0 .LBB223_1935
; %bb.1932:
	s_cmp_eq_u32 s24, 15
	s_mov_b64 s[0:1], -1
	s_cbranch_scc0 .LBB223_1934
; %bb.1933:
	v_cndmask_b32_e64 v2, 0, 1.0, s[10:11]
	v_bfe_u32 v3, v2, 16, 1
	s_movk_i32 s0, 0x7fff
	v_add3_u32 v2, v2, v3, s0
	global_store_short_d16_hi v[0:1], v2, off
	s_mov_b64 s[0:1], 0
.LBB223_1934:
	s_mov_b64 s[6:7], 0
.LBB223_1935:
	s_and_b64 vcc, exec, s[6:7]
	s_cbranch_vccz .LBB223_1937
; %bb.1936:
	s_cmp_lg_u32 s24, 11
	s_mov_b64 s[4:5], -1
	s_cselect_b64 s[0:1], -1, 0
.LBB223_1937:
	s_and_b64 vcc, exec, s[0:1]
	s_cbranch_vccnz .LBB223_2003
.LBB223_1938:
	s_mov_b64 s[0:1], 0
	s_branch .LBB223_1940
.LBB223_1939:
	s_mov_b64 s[0:1], 0
	s_mov_b64 s[4:5], 0
                                        ; implicit-def: $sgpr10_sgpr11
                                        ; implicit-def: $vgpr0_vgpr1
                                        ; implicit-def: $sgpr26
.LBB223_1940:
	s_and_b64 s[6:7], s[4:5], exec
	s_andn2_b64 s[4:5], s[28:29], exec
	s_and_b64 s[2:3], s[2:3], exec
	s_and_b64 s[0:1], s[0:1], exec
	s_or_b64 s[28:29], s[4:5], s[2:3]
.LBB223_1941:
	s_or_b64 exec, exec, s[30:31]
	s_and_saveexec_b64 s[2:3], s[28:29]
	s_cbranch_execz .LBB223_1944
; %bb.1942:
	; divergent unreachable
	s_or_b64 exec, exec, s[2:3]
	s_and_saveexec_b64 s[2:3], s[6:7]
	s_xor_b64 s[2:3], exec, s[2:3]
	s_cbranch_execnz .LBB223_1945
.LBB223_1943:
	s_or_b64 exec, exec, s[2:3]
	s_and_saveexec_b64 s[2:3], s[0:1]
	s_cbranch_execnz .LBB223_1946
	s_branch .LBB223_1983
.LBB223_1944:
	s_or_b64 exec, exec, s[2:3]
	s_and_saveexec_b64 s[2:3], s[6:7]
	s_xor_b64 s[2:3], exec, s[2:3]
	s_cbranch_execz .LBB223_1943
.LBB223_1945:
	v_cndmask_b32_e64 v2, 0, 1, s[10:11]
	global_store_byte v[0:1], v2, off
	s_or_b64 exec, exec, s[2:3]
	s_and_saveexec_b64 s[2:3], s[0:1]
	s_cbranch_execz .LBB223_1983
.LBB223_1946:
	s_sext_i32_i16 s2, s26
	s_cmp_lt_i32 s2, 5
	s_mov_b64 s[0:1], -1
	s_cbranch_scc1 .LBB223_1967
; %bb.1947:
	s_cmp_lt_i32 s2, 8
	s_cbranch_scc1 .LBB223_1957
; %bb.1948:
	s_cmp_lt_i32 s2, 9
	s_cbranch_scc1 .LBB223_1954
; %bb.1949:
	s_cmp_gt_i32 s2, 9
	s_cbranch_scc0 .LBB223_1951
; %bb.1950:
	v_cndmask_b32_e64 v2, 0, 1, s[10:11]
	v_cvt_f64_u32_e32 v[2:3], v2
	v_mov_b32_e32 v4, 0
	v_mov_b32_e32 v5, v4
	s_mov_b64 s[0:1], 0
	global_store_dwordx4 v[0:1], v[2:5], off
.LBB223_1951:
	s_andn2_b64 vcc, exec, s[0:1]
	s_cbranch_vccnz .LBB223_1953
; %bb.1952:
	v_cndmask_b32_e64 v2, 0, 1.0, s[10:11]
	v_mov_b32_e32 v3, 0
	global_store_dwordx2 v[0:1], v[2:3], off
.LBB223_1953:
	s_mov_b64 s[0:1], 0
.LBB223_1954:
	s_andn2_b64 vcc, exec, s[0:1]
	s_cbranch_vccnz .LBB223_1956
; %bb.1955:
	v_cndmask_b32_e64 v2, 0, 1.0, s[10:11]
	v_cvt_f16_f32_e32 v2, v2
	global_store_dword v[0:1], v2, off
.LBB223_1956:
	s_mov_b64 s[0:1], 0
.LBB223_1957:
	s_andn2_b64 vcc, exec, s[0:1]
	s_cbranch_vccnz .LBB223_1966
; %bb.1958:
	s_sext_i32_i16 s2, s26
	s_cmp_lt_i32 s2, 6
	s_mov_b64 s[0:1], -1
	s_cbranch_scc1 .LBB223_1964
; %bb.1959:
	s_cmp_gt_i32 s2, 6
	s_cbranch_scc0 .LBB223_1961
; %bb.1960:
	v_cndmask_b32_e64 v2, 0, 1, s[10:11]
	v_cvt_f64_u32_e32 v[2:3], v2
	s_mov_b64 s[0:1], 0
	global_store_dwordx2 v[0:1], v[2:3], off
.LBB223_1961:
	s_andn2_b64 vcc, exec, s[0:1]
	s_cbranch_vccnz .LBB223_1963
; %bb.1962:
	v_cndmask_b32_e64 v2, 0, 1.0, s[10:11]
	global_store_dword v[0:1], v2, off
.LBB223_1963:
	s_mov_b64 s[0:1], 0
.LBB223_1964:
	s_andn2_b64 vcc, exec, s[0:1]
	s_cbranch_vccnz .LBB223_1966
; %bb.1965:
	v_cndmask_b32_e64 v2, 0, 1.0, s[10:11]
	v_cvt_f16_f32_e32 v2, v2
	global_store_short v[0:1], v2, off
.LBB223_1966:
	s_mov_b64 s[0:1], 0
.LBB223_1967:
	s_andn2_b64 vcc, exec, s[0:1]
	s_cbranch_vccnz .LBB223_1983
; %bb.1968:
	s_sext_i32_i16 s2, s26
	s_cmp_lt_i32 s2, 2
	s_mov_b64 s[0:1], -1
	s_cbranch_scc1 .LBB223_1978
; %bb.1969:
	s_cmp_lt_i32 s2, 3
	s_cbranch_scc1 .LBB223_1975
; %bb.1970:
	s_cmp_gt_i32 s2, 3
	s_cbranch_scc0 .LBB223_1972
; %bb.1971:
	s_mov_b32 s0, 0
	v_cndmask_b32_e64 v2, 0, 1, s[10:11]
	v_mov_b32_e32 v3, s0
	global_store_dwordx2 v[0:1], v[2:3], off
	s_mov_b64 s[0:1], 0
.LBB223_1972:
	s_andn2_b64 vcc, exec, s[0:1]
	s_cbranch_vccnz .LBB223_1974
; %bb.1973:
	v_cndmask_b32_e64 v2, 0, 1, s[10:11]
	global_store_dword v[0:1], v2, off
.LBB223_1974:
	s_mov_b64 s[0:1], 0
.LBB223_1975:
	s_andn2_b64 vcc, exec, s[0:1]
	s_cbranch_vccnz .LBB223_1977
; %bb.1976:
	v_cndmask_b32_e64 v2, 0, 1, s[10:11]
	global_store_short v[0:1], v2, off
.LBB223_1977:
	s_mov_b64 s[0:1], 0
.LBB223_1978:
	s_andn2_b64 vcc, exec, s[0:1]
	s_cbranch_vccnz .LBB223_1983
; %bb.1979:
	s_sext_i32_i16 s0, s26
	s_cmp_gt_i32 s0, 0
	s_mov_b64 s[0:1], -1
	s_cbranch_scc0 .LBB223_1981
; %bb.1980:
	v_cndmask_b32_e64 v2, 0, 1, s[10:11]
	global_store_byte v[0:1], v2, off
	s_mov_b64 s[0:1], 0
.LBB223_1981:
	s_andn2_b64 vcc, exec, s[0:1]
	s_cbranch_vccnz .LBB223_1983
; %bb.1982:
	v_cndmask_b32_e64 v2, 0, 1, s[10:11]
	global_store_byte v[0:1], v2, off
	s_endpgm
.LBB223_1983:
	s_endpgm
.LBB223_1984:
	s_mov_b64 s[4:5], 0
	s_mov_b64 s[0:1], -1
	s_branch .LBB223_1940
.LBB223_1985:
	s_trap 2
	s_mov_b64 s[10:11], 0
	s_or_b64 s[2:3], s[2:3], exec
	s_cbranch_execz .LBB223_1454
	s_branch .LBB223_1455
.LBB223_1986:
	s_andn2_saveexec_b64 s[24:25], s[24:25]
	s_cbranch_execz .LBB223_1534
.LBB223_1987:
	v_add_f32_e32 v1, 0x46000000, v3
	v_and_b32_e32 v1, 0xff, v1
	v_cmp_ne_u32_e32 vcc, 0, v1
	s_andn2_b64 s[22:23], s[22:23], exec
	s_and_b64 s[34:35], vcc, exec
	s_or_b64 s[22:23], s[22:23], s[34:35]
	s_or_b64 exec, exec, s[24:25]
	v_mov_b32_e32 v7, 0
	s_and_saveexec_b64 s[24:25], s[22:23]
	s_cbranch_execnz .LBB223_1535
	s_branch .LBB223_1536
.LBB223_1988:
	s_trap 2
	s_or_b64 s[2:3], s[2:3], exec
	s_cbranch_execz .LBB223_1582
	s_branch .LBB223_1583
.LBB223_1989:
	s_andn2_saveexec_b64 s[22:23], s[22:23]
	s_cbranch_execz .LBB223_1547
.LBB223_1990:
	v_add_f32_e32 v1, 0x42800000, v3
	v_and_b32_e32 v1, 0xff, v1
	v_cmp_ne_u32_e32 vcc, 0, v1
	s_andn2_b64 s[20:21], s[20:21], exec
	s_and_b64 s[24:25], vcc, exec
	s_or_b64 s[20:21], s[20:21], s[24:25]
	s_or_b64 exec, exec, s[22:23]
	v_mov_b32_e32 v7, 0
	s_and_saveexec_b64 s[22:23], s[20:21]
	s_cbranch_execnz .LBB223_1548
	s_branch .LBB223_1549
.LBB223_1991:
	s_andn2_saveexec_b64 s[22:23], s[22:23]
	s_cbranch_execz .LBB223_1653
.LBB223_1992:
	v_add_f32_e32 v1, 0x46000000, v5
	v_and_b32_e32 v1, 0xff, v1
	v_cmp_ne_u32_e32 vcc, 0, v1
	s_andn2_b64 s[20:21], s[20:21], exec
	s_and_b64 s[34:35], vcc, exec
	s_or_b64 s[20:21], s[20:21], s[34:35]
	s_or_b64 exec, exec, s[22:23]
	v_mov_b32_e32 v6, 0
	s_and_saveexec_b64 s[22:23], s[20:21]
	s_cbranch_execnz .LBB223_1654
	s_branch .LBB223_1655
.LBB223_1993:
	s_trap 2
	s_or_b64 s[2:3], s[2:3], exec
	s_cbranch_execz .LBB223_1701
	s_branch .LBB223_1702
.LBB223_1994:
	s_andn2_saveexec_b64 s[20:21], s[20:21]
	s_cbranch_execz .LBB223_1666
.LBB223_1995:
	v_add_f32_e32 v1, 0x42800000, v5
	v_and_b32_e32 v1, 0xff, v1
	v_cmp_ne_u32_e32 vcc, 0, v1
	s_andn2_b64 s[18:19], s[18:19], exec
	s_and_b64 s[22:23], vcc, exec
	s_or_b64 s[18:19], s[18:19], s[22:23]
	s_or_b64 exec, exec, s[20:21]
	v_mov_b32_e32 v6, 0
	s_and_saveexec_b64 s[20:21], s[18:19]
	s_cbranch_execnz .LBB223_1667
	s_branch .LBB223_1668
.LBB223_1996:
	s_andn2_saveexec_b64 s[20:21], s[20:21]
	s_cbranch_execz .LBB223_1772
.LBB223_1997:
	v_add_f32_e32 v3, 0x46000000, v4
	v_and_b32_e32 v3, 0xff, v3
	v_cmp_ne_u32_e32 vcc, 0, v3
	s_andn2_b64 s[18:19], s[18:19], exec
	s_and_b64 s[22:23], vcc, exec
	s_or_b64 s[18:19], s[18:19], s[22:23]
	s_or_b64 exec, exec, s[20:21]
	v_mov_b32_e32 v5, 0
	s_and_saveexec_b64 s[20:21], s[18:19]
	s_cbranch_execnz .LBB223_1773
	s_branch .LBB223_1774
.LBB223_1998:
	s_trap 2
	s_or_b64 s[2:3], s[2:3], exec
	s_cbranch_execz .LBB223_1820
	s_branch .LBB223_1821
.LBB223_1999:
	s_andn2_saveexec_b64 s[18:19], s[18:19]
	s_cbranch_execz .LBB223_1785
.LBB223_2000:
	v_add_f32_e32 v3, 0x42800000, v4
	v_and_b32_e32 v3, 0xff, v3
	v_cmp_ne_u32_e32 vcc, 0, v3
	s_andn2_b64 s[14:15], s[14:15], exec
	s_and_b64 s[20:21], vcc, exec
	s_or_b64 s[14:15], s[14:15], s[20:21]
	s_or_b64 exec, exec, s[18:19]
	v_mov_b32_e32 v5, 0
	s_and_saveexec_b64 s[18:19], s[14:15]
	s_cbranch_execnz .LBB223_1786
	s_branch .LBB223_1787
.LBB223_2001:
	s_andn2_saveexec_b64 s[12:13], s[12:13]
	s_cbranch_execz .LBB223_1892
.LBB223_2002:
	v_add_f32_e32 v2, 0x46000000, v3
	v_and_b32_e32 v2, 0xff, v2
	v_cmp_ne_u32_e32 vcc, 0, v2
	s_andn2_b64 s[8:9], s[8:9], exec
	s_and_b64 s[14:15], vcc, exec
	s_or_b64 s[8:9], s[8:9], s[14:15]
	s_or_b64 exec, exec, s[12:13]
	v_mov_b32_e32 v4, 0
	s_and_saveexec_b64 s[12:13], s[8:9]
	s_cbranch_execnz .LBB223_1893
	s_branch .LBB223_1894
.LBB223_2003:
	s_mov_b64 s[4:5], 0
	s_or_b64 s[2:3], s[2:3], exec
	s_trap 2
	s_branch .LBB223_1938
.LBB223_2004:
	s_andn2_saveexec_b64 s[8:9], s[8:9]
	s_cbranch_execz .LBB223_1904
.LBB223_2005:
	v_add_f32_e32 v2, 0x42800000, v3
	v_and_b32_e32 v2, 0xff, v2
	v_cmp_ne_u32_e32 vcc, 0, v2
	s_andn2_b64 s[6:7], s[6:7], exec
	s_and_b64 s[12:13], vcc, exec
	s_or_b64 s[6:7], s[6:7], s[12:13]
	s_or_b64 exec, exec, s[8:9]
	v_mov_b32_e32 v4, 0
	s_and_saveexec_b64 s[8:9], s[6:7]
	s_cbranch_execnz .LBB223_1905
	s_branch .LBB223_1906
	.section	.rodata,"a",@progbits
	.p2align	6, 0x0
	.amdhsa_kernel _ZN2at6native32elementwise_kernel_manual_unrollILi128ELi4EZNS0_15gpu_kernel_implINS0_13AUnaryFunctorIbbbNS0_12_GLOBAL__N_116CompareEqFunctorIbEEEEEEvRNS_18TensorIteratorBaseERKT_EUlibE0_EEviT1_
		.amdhsa_group_segment_fixed_size 0
		.amdhsa_private_segment_fixed_size 0
		.amdhsa_kernarg_size 368
		.amdhsa_user_sgpr_count 6
		.amdhsa_user_sgpr_private_segment_buffer 1
		.amdhsa_user_sgpr_dispatch_ptr 0
		.amdhsa_user_sgpr_queue_ptr 0
		.amdhsa_user_sgpr_kernarg_segment_ptr 1
		.amdhsa_user_sgpr_dispatch_id 0
		.amdhsa_user_sgpr_flat_scratch_init 0
		.amdhsa_user_sgpr_private_segment_size 0
		.amdhsa_uses_dynamic_stack 0
		.amdhsa_system_sgpr_private_segment_wavefront_offset 0
		.amdhsa_system_sgpr_workgroup_id_x 1
		.amdhsa_system_sgpr_workgroup_id_y 0
		.amdhsa_system_sgpr_workgroup_id_z 0
		.amdhsa_system_sgpr_workgroup_info 0
		.amdhsa_system_vgpr_workitem_id 0
		.amdhsa_next_free_vgpr 18
		.amdhsa_next_free_sgpr 80
		.amdhsa_reserve_vcc 1
		.amdhsa_reserve_flat_scratch 0
		.amdhsa_float_round_mode_32 0
		.amdhsa_float_round_mode_16_64 0
		.amdhsa_float_denorm_mode_32 3
		.amdhsa_float_denorm_mode_16_64 3
		.amdhsa_dx10_clamp 1
		.amdhsa_ieee_mode 1
		.amdhsa_fp16_overflow 0
		.amdhsa_exception_fp_ieee_invalid_op 0
		.amdhsa_exception_fp_denorm_src 0
		.amdhsa_exception_fp_ieee_div_zero 0
		.amdhsa_exception_fp_ieee_overflow 0
		.amdhsa_exception_fp_ieee_underflow 0
		.amdhsa_exception_fp_ieee_inexact 0
		.amdhsa_exception_int_div_zero 0
	.end_amdhsa_kernel
	.section	.text._ZN2at6native32elementwise_kernel_manual_unrollILi128ELi4EZNS0_15gpu_kernel_implINS0_13AUnaryFunctorIbbbNS0_12_GLOBAL__N_116CompareEqFunctorIbEEEEEEvRNS_18TensorIteratorBaseERKT_EUlibE0_EEviT1_,"axG",@progbits,_ZN2at6native32elementwise_kernel_manual_unrollILi128ELi4EZNS0_15gpu_kernel_implINS0_13AUnaryFunctorIbbbNS0_12_GLOBAL__N_116CompareEqFunctorIbEEEEEEvRNS_18TensorIteratorBaseERKT_EUlibE0_EEviT1_,comdat
.Lfunc_end223:
	.size	_ZN2at6native32elementwise_kernel_manual_unrollILi128ELi4EZNS0_15gpu_kernel_implINS0_13AUnaryFunctorIbbbNS0_12_GLOBAL__N_116CompareEqFunctorIbEEEEEEvRNS_18TensorIteratorBaseERKT_EUlibE0_EEviT1_, .Lfunc_end223-_ZN2at6native32elementwise_kernel_manual_unrollILi128ELi4EZNS0_15gpu_kernel_implINS0_13AUnaryFunctorIbbbNS0_12_GLOBAL__N_116CompareEqFunctorIbEEEEEEvRNS_18TensorIteratorBaseERKT_EUlibE0_EEviT1_
                                        ; -- End function
	.set _ZN2at6native32elementwise_kernel_manual_unrollILi128ELi4EZNS0_15gpu_kernel_implINS0_13AUnaryFunctorIbbbNS0_12_GLOBAL__N_116CompareEqFunctorIbEEEEEEvRNS_18TensorIteratorBaseERKT_EUlibE0_EEviT1_.num_vgpr, 18
	.set _ZN2at6native32elementwise_kernel_manual_unrollILi128ELi4EZNS0_15gpu_kernel_implINS0_13AUnaryFunctorIbbbNS0_12_GLOBAL__N_116CompareEqFunctorIbEEEEEEvRNS_18TensorIteratorBaseERKT_EUlibE0_EEviT1_.num_agpr, 0
	.set _ZN2at6native32elementwise_kernel_manual_unrollILi128ELi4EZNS0_15gpu_kernel_implINS0_13AUnaryFunctorIbbbNS0_12_GLOBAL__N_116CompareEqFunctorIbEEEEEEvRNS_18TensorIteratorBaseERKT_EUlibE0_EEviT1_.numbered_sgpr, 80
	.set _ZN2at6native32elementwise_kernel_manual_unrollILi128ELi4EZNS0_15gpu_kernel_implINS0_13AUnaryFunctorIbbbNS0_12_GLOBAL__N_116CompareEqFunctorIbEEEEEEvRNS_18TensorIteratorBaseERKT_EUlibE0_EEviT1_.num_named_barrier, 0
	.set _ZN2at6native32elementwise_kernel_manual_unrollILi128ELi4EZNS0_15gpu_kernel_implINS0_13AUnaryFunctorIbbbNS0_12_GLOBAL__N_116CompareEqFunctorIbEEEEEEvRNS_18TensorIteratorBaseERKT_EUlibE0_EEviT1_.private_seg_size, 0
	.set _ZN2at6native32elementwise_kernel_manual_unrollILi128ELi4EZNS0_15gpu_kernel_implINS0_13AUnaryFunctorIbbbNS0_12_GLOBAL__N_116CompareEqFunctorIbEEEEEEvRNS_18TensorIteratorBaseERKT_EUlibE0_EEviT1_.uses_vcc, 1
	.set _ZN2at6native32elementwise_kernel_manual_unrollILi128ELi4EZNS0_15gpu_kernel_implINS0_13AUnaryFunctorIbbbNS0_12_GLOBAL__N_116CompareEqFunctorIbEEEEEEvRNS_18TensorIteratorBaseERKT_EUlibE0_EEviT1_.uses_flat_scratch, 0
	.set _ZN2at6native32elementwise_kernel_manual_unrollILi128ELi4EZNS0_15gpu_kernel_implINS0_13AUnaryFunctorIbbbNS0_12_GLOBAL__N_116CompareEqFunctorIbEEEEEEvRNS_18TensorIteratorBaseERKT_EUlibE0_EEviT1_.has_dyn_sized_stack, 0
	.set _ZN2at6native32elementwise_kernel_manual_unrollILi128ELi4EZNS0_15gpu_kernel_implINS0_13AUnaryFunctorIbbbNS0_12_GLOBAL__N_116CompareEqFunctorIbEEEEEEvRNS_18TensorIteratorBaseERKT_EUlibE0_EEviT1_.has_recursion, 0
	.set _ZN2at6native32elementwise_kernel_manual_unrollILi128ELi4EZNS0_15gpu_kernel_implINS0_13AUnaryFunctorIbbbNS0_12_GLOBAL__N_116CompareEqFunctorIbEEEEEEvRNS_18TensorIteratorBaseERKT_EUlibE0_EEviT1_.has_indirect_call, 0
	.section	.AMDGPU.csdata,"",@progbits
; Kernel info:
; codeLenInByte = 32212
; TotalNumSgprs: 84
; NumVgprs: 18
; ScratchSize: 0
; MemoryBound: 1
; FloatMode: 240
; IeeeMode: 1
; LDSByteSize: 0 bytes/workgroup (compile time only)
; SGPRBlocks: 10
; VGPRBlocks: 4
; NumSGPRsForWavesPerEU: 84
; NumVGPRsForWavesPerEU: 18
; Occupancy: 9
; WaveLimiterHint : 1
; COMPUTE_PGM_RSRC2:SCRATCH_EN: 0
; COMPUTE_PGM_RSRC2:USER_SGPR: 6
; COMPUTE_PGM_RSRC2:TRAP_HANDLER: 0
; COMPUTE_PGM_RSRC2:TGID_X_EN: 1
; COMPUTE_PGM_RSRC2:TGID_Y_EN: 0
; COMPUTE_PGM_RSRC2:TGID_Z_EN: 0
; COMPUTE_PGM_RSRC2:TIDIG_COMP_CNT: 0
	.text
	.p2align	2                               ; -- Begin function _ZN2at6native25elementwise_kernel_helperILb0ENS0_13BinaryFunctorIN3c1011Float8_e5m2ES4_bNS0_12_GLOBAL__N_116CompareEqFunctorIS4_EEEENS0_6memory8policies11unroll_baseILi256ESt5arrayIPcLm3EE23TrivialOffsetCalculatorILi2EjESF_ILi1EjENS9_15LoadWithoutCastENS9_16StoreWithoutCastELi16ELi1EEEEEvT0_T1_
	.type	_ZN2at6native25elementwise_kernel_helperILb0ENS0_13BinaryFunctorIN3c1011Float8_e5m2ES4_bNS0_12_GLOBAL__N_116CompareEqFunctorIS4_EEEENS0_6memory8policies11unroll_baseILi256ESt5arrayIPcLm3EE23TrivialOffsetCalculatorILi2EjESF_ILi1EjENS9_15LoadWithoutCastENS9_16StoreWithoutCastELi16ELi1EEEEEvT0_T1_,@function
_ZN2at6native25elementwise_kernel_helperILb0ENS0_13BinaryFunctorIN3c1011Float8_e5m2ES4_bNS0_12_GLOBAL__N_116CompareEqFunctorIS4_EEEENS0_6memory8policies11unroll_baseILi256ESt5arrayIPcLm3EE23TrivialOffsetCalculatorILi2EjESF_ILi1EjENS9_15LoadWithoutCastENS9_16StoreWithoutCastELi16ELi1EEEEEvT0_T1_: ; @_ZN2at6native25elementwise_kernel_helperILb0ENS0_13BinaryFunctorIN3c1011Float8_e5m2ES4_bNS0_12_GLOBAL__N_116CompareEqFunctorIS4_EEEENS0_6memory8policies11unroll_baseILi256ESt5arrayIPcLm3EE23TrivialOffsetCalculatorILi2EjESF_ILi1EjENS9_15LoadWithoutCastENS9_16StoreWithoutCastELi16ELi1EEEEEvT0_T1_
; %bb.0:
	s_waitcnt vmcnt(0) expcnt(0) lgkmcnt(0)
	v_and_b32_e32 v12, 0x3ff, v31
	s_lshl_b32 s56, s12, 12
	v_cmp_lt_i32_e32 vcc, v12, v7
	v_mov_b32_e32 v13, 0
	v_or_b32_e32 v14, s56, v12
	v_mov_b32_e32 v17, 0
	v_mov_b32_e32 v15, 0
	;; [unrolled: 1-line block ×32, first 2 shown]
	s_and_saveexec_b64 s[6:7], vcc
	s_cbranch_execz .LBB224_32
; %bb.1:
	v_add_co_u32_e64 v8, s[4:5], v3, v14
	v_addc_co_u32_e64 v9, s[4:5], 0, v4, s[4:5]
	flat_load_ubyte v54, v[8:9]
	v_add_co_u32_e64 v8, s[4:5], v5, v14
	v_addc_co_u32_e64 v9, s[4:5], 0, v6, s[4:5]
	flat_load_ubyte v53, v[8:9]
	v_add_u32_e32 v8, 0x100, v12
	v_mov_b32_e32 v51, 0
	v_cmp_lt_u32_e64 s[4:5], v8, v7
	v_mov_b32_e32 v52, 0
	v_mov_b32_e32 v49, 0
	;; [unrolled: 1-line block ×29, first 2 shown]
	s_and_saveexec_b64 s[8:9], s[4:5]
	s_cbranch_execz .LBB224_31
; %bb.2:
	v_add_u32_e32 v10, s56, v12
	v_add_co_u32_e64 v8, s[4:5], v3, v10
	v_addc_co_u32_e64 v9, s[4:5], 0, v4, s[4:5]
	v_add_co_u32_e64 v10, s[4:5], v5, v10
	v_addc_co_u32_e64 v11, s[4:5], 0, v6, s[4:5]
	flat_load_ubyte v52, v[8:9] offset:256
	flat_load_ubyte v51, v[10:11] offset:256
	v_add_u32_e32 v15, 0x200, v12
	v_mov_b32_e32 v49, 0
	v_cmp_lt_u32_e64 s[4:5], v15, v7
	v_mov_b32_e32 v50, 0
	v_mov_b32_e32 v39, 0
	;; [unrolled: 1-line block ×27, first 2 shown]
	s_and_saveexec_b64 s[10:11], s[4:5]
	s_cbranch_execz .LBB224_30
; %bb.3:
	flat_load_ubyte v50, v[8:9] offset:512
	flat_load_ubyte v49, v[10:11] offset:512
	v_add_u32_e32 v15, 0x300, v12
	v_cmp_lt_u32_e64 s[4:5], v15, v7
	v_mov_b32_e32 v39, 0
	v_mov_b32_e32 v48, 0
	;; [unrolled: 1-line block ×26, first 2 shown]
	s_and_saveexec_b64 s[12:13], s[4:5]
	s_cbranch_execz .LBB224_29
; %bb.4:
	flat_load_ubyte v48, v[8:9] offset:768
	flat_load_ubyte v39, v[10:11] offset:768
	v_or_b32_e32 v15, 0x400, v12
	v_cmp_lt_u32_e64 s[4:5], v15, v7
	v_mov_b32_e32 v37, 0
	v_mov_b32_e32 v38, 0
	;; [unrolled: 1-line block ×24, first 2 shown]
	s_and_saveexec_b64 s[14:15], s[4:5]
	s_cbranch_execz .LBB224_28
; %bb.5:
	flat_load_ubyte v38, v[8:9] offset:1024
	flat_load_ubyte v37, v[10:11] offset:1024
	v_add_u32_e32 v15, 0x500, v12
	v_cmp_lt_u32_e64 s[4:5], v15, v7
	v_mov_b32_e32 v35, 0
	v_mov_b32_e32 v36, 0
	;; [unrolled: 1-line block ×22, first 2 shown]
	s_and_saveexec_b64 s[16:17], s[4:5]
	s_cbranch_execz .LBB224_27
; %bb.6:
	flat_load_ubyte v36, v[8:9] offset:1280
	flat_load_ubyte v35, v[10:11] offset:1280
	v_add_u32_e32 v15, 0x600, v12
	v_cmp_lt_u32_e64 s[4:5], v15, v7
	v_mov_b32_e32 v33, 0
	v_mov_b32_e32 v34, 0
	;; [unrolled: 1-line block ×20, first 2 shown]
	s_and_saveexec_b64 s[18:19], s[4:5]
	s_cbranch_execz .LBB224_26
; %bb.7:
	flat_load_ubyte v34, v[8:9] offset:1536
	flat_load_ubyte v33, v[10:11] offset:1536
	v_add_u32_e32 v15, 0x700, v12
	v_cmp_lt_u32_e64 s[4:5], v15, v7
	v_mov_b32_e32 v31, 0
	v_mov_b32_e32 v32, 0
	;; [unrolled: 1-line block ×18, first 2 shown]
	s_and_saveexec_b64 s[20:21], s[4:5]
	s_cbranch_execz .LBB224_25
; %bb.8:
	flat_load_ubyte v32, v[8:9] offset:1792
	flat_load_ubyte v31, v[10:11] offset:1792
	v_or_b32_e32 v15, 0x800, v12
	v_cmp_lt_u32_e64 s[4:5], v15, v7
	v_mov_b32_e32 v29, 0
	v_mov_b32_e32 v30, 0
	;; [unrolled: 1-line block ×16, first 2 shown]
	s_and_saveexec_b64 s[22:23], s[4:5]
	s_cbranch_execz .LBB224_24
; %bb.9:
	flat_load_ubyte v30, v[8:9] offset:2048
	flat_load_ubyte v29, v[10:11] offset:2048
	v_add_u32_e32 v15, 0x900, v12
	v_cmp_lt_u32_e64 s[4:5], v15, v7
	v_mov_b32_e32 v27, 0
	v_mov_b32_e32 v28, 0
	;; [unrolled: 1-line block ×14, first 2 shown]
	s_and_saveexec_b64 s[24:25], s[4:5]
	s_cbranch_execz .LBB224_23
; %bb.10:
	flat_load_ubyte v28, v[8:9] offset:2304
	flat_load_ubyte v27, v[10:11] offset:2304
	v_add_u32_e32 v15, 0xa00, v12
	v_cmp_lt_u32_e64 s[4:5], v15, v7
	v_mov_b32_e32 v25, 0
	v_mov_b32_e32 v26, 0
	;; [unrolled: 1-line block ×12, first 2 shown]
	s_and_saveexec_b64 s[26:27], s[4:5]
	s_cbranch_execz .LBB224_22
; %bb.11:
	flat_load_ubyte v26, v[8:9] offset:2560
	flat_load_ubyte v25, v[10:11] offset:2560
	v_add_u32_e32 v15, 0xb00, v12
	v_cmp_lt_u32_e64 s[4:5], v15, v7
	v_mov_b32_e32 v23, 0
	v_mov_b32_e32 v24, 0
	;; [unrolled: 1-line block ×10, first 2 shown]
	s_and_saveexec_b64 s[28:29], s[4:5]
	s_cbranch_execz .LBB224_21
; %bb.12:
	flat_load_ubyte v24, v[8:9] offset:2816
	flat_load_ubyte v23, v[10:11] offset:2816
	v_or_b32_e32 v15, 0xc00, v12
	v_cmp_lt_u32_e64 s[4:5], v15, v7
	v_mov_b32_e32 v20, 0
	v_mov_b32_e32 v22, 0
	v_mov_b32_e32 v18, 0
	v_mov_b32_e32 v21, 0
	v_mov_b32_e32 v16, 0
	v_mov_b32_e32 v19, 0
	v_mov_b32_e32 v15, 0
	v_mov_b32_e32 v17, 0
	s_and_saveexec_b64 s[40:41], s[4:5]
	s_cbranch_execz .LBB224_20
; %bb.13:
	flat_load_ubyte v22, v[8:9] offset:3072
	flat_load_ubyte v20, v[10:11] offset:3072
	v_add_u32_e32 v8, 0xd00, v12
	v_cmp_lt_u32_e64 s[4:5], v8, v7
	v_mov_b32_e32 v18, 0
	v_mov_b32_e32 v21, 0
	;; [unrolled: 1-line block ×6, first 2 shown]
	s_and_saveexec_b64 s[42:43], s[4:5]
	s_cbranch_execz .LBB224_19
; %bb.14:
	v_add_u32_e32 v10, s56, v8
	v_add_co_u32_e64 v8, s[4:5], v3, v10
	v_addc_co_u32_e64 v9, s[4:5], 0, v4, s[4:5]
	flat_load_ubyte v21, v[8:9]
	v_add_co_u32_e64 v8, s[4:5], v5, v10
	v_addc_co_u32_e64 v9, s[4:5], 0, v6, s[4:5]
	flat_load_ubyte v18, v[8:9]
	v_add_u32_e32 v8, 0xe00, v12
	v_mov_b32_e32 v16, 0
	v_cmp_lt_u32_e64 s[4:5], v8, v7
	v_mov_b32_e32 v19, 0
	v_mov_b32_e32 v15, 0
	;; [unrolled: 1-line block ×3, first 2 shown]
	s_and_saveexec_b64 s[44:45], s[4:5]
	s_cbranch_execz .LBB224_18
; %bb.15:
	v_add_u32_e32 v10, s56, v8
	v_add_co_u32_e64 v8, s[4:5], v3, v10
	v_addc_co_u32_e64 v9, s[4:5], 0, v4, s[4:5]
	flat_load_ubyte v19, v[8:9]
	v_add_co_u32_e64 v8, s[4:5], v5, v10
	v_addc_co_u32_e64 v9, s[4:5], 0, v6, s[4:5]
	flat_load_ubyte v16, v[8:9]
	v_add_u32_e32 v8, 0xf00, v12
	v_mov_b32_e32 v15, 0
	v_cmp_lt_u32_e64 s[4:5], v8, v7
	v_mov_b32_e32 v17, 0
	s_and_saveexec_b64 s[46:47], s[4:5]
	s_cbranch_execz .LBB224_17
; %bb.16:
	v_add_u32_e32 v8, s56, v8
	v_add_co_u32_e64 v5, s[4:5], v5, v8
	v_addc_co_u32_e64 v6, s[4:5], 0, v6, s[4:5]
	v_add_co_u32_e64 v3, s[4:5], v3, v8
	v_addc_co_u32_e64 v4, s[4:5], 0, v4, s[4:5]
	flat_load_ubyte v17, v[3:4]
	flat_load_ubyte v15, v[5:6]
.LBB224_17:
	s_or_b64 exec, exec, s[46:47]
.LBB224_18:
	s_or_b64 exec, exec, s[44:45]
.LBB224_19:
	s_or_b64 exec, exec, s[42:43]
.LBB224_20:
	s_or_b64 exec, exec, s[40:41]
.LBB224_21:
	s_or_b64 exec, exec, s[28:29]
.LBB224_22:
	s_or_b64 exec, exec, s[26:27]
.LBB224_23:
	s_or_b64 exec, exec, s[24:25]
.LBB224_24:
	s_or_b64 exec, exec, s[22:23]
.LBB224_25:
	s_or_b64 exec, exec, s[20:21]
.LBB224_26:
	s_or_b64 exec, exec, s[18:19]
.LBB224_27:
	s_or_b64 exec, exec, s[16:17]
.LBB224_28:
	s_or_b64 exec, exec, s[14:15]
.LBB224_29:
	s_or_b64 exec, exec, s[12:13]
.LBB224_30:
	s_or_b64 exec, exec, s[10:11]
.LBB224_31:
	s_or_b64 exec, exec, s[8:9]
.LBB224_32:
	s_or_b64 exec, exec, s[6:7]
	v_cmp_eq_u32_e64 s[4:5], 0, v0
	v_mov_b32_e32 v4, v13
	v_mov_b32_e32 v3, v13
	;; [unrolled: 1-line block ×3, first 2 shown]
	s_and_saveexec_b64 s[8:9], vcc
	s_cbranch_execz .LBB224_34
; %bb.33:
	s_waitcnt vmcnt(0) lgkmcnt(0)
	v_lshlrev_b32_e32 v3, 25, v54
	v_lshlrev_b16_e32 v0, 8, v54
	v_lshrrev_b32_e32 v4, 4, v3
	s_movk_i32 s10, 0x7f00
	v_or_b32_e32 v4, 0x70000000, v4
	v_and_or_b32 v5, v0, s10, 0.5
	s_brev_b32 s11, 16
	v_add_f32_e32 v5, -0.5, v5
	v_mul_f32_e32 v4, 0x7800000, v4
	v_cmp_gt_u32_e64 s[6:7], s11, v3
	v_cndmask_b32_e64 v3, v4, v5, s[6:7]
	v_bfe_i32 v0, v0, 0, 16
	s_brev_b32 s12, 1
	v_lshlrev_b32_e32 v4, 25, v53
	v_and_or_b32 v0, v0, s12, v3
	v_lshlrev_b16_e32 v3, 8, v53
	v_lshrrev_b32_e32 v5, 4, v4
	v_or_b32_e32 v5, 0x70000000, v5
	v_and_or_b32 v6, v3, s10, 0.5
	v_add_f32_e32 v6, -0.5, v6
	v_mul_f32_e32 v5, 0x7800000, v5
	v_cmp_gt_u32_e64 s[6:7], s11, v4
	v_cndmask_b32_e64 v4, v5, v6, s[6:7]
	v_bfe_i32 v3, v3, 0, 16
	v_and_or_b32 v3, v3, s12, v4
	v_cmp_eq_f32_e64 s[6:7], v0, v3
	v_cndmask_b32_e64 v4, 0, 1, s[6:7]
	v_cmp_neq_f32_e64 s[6:7], v0, v3
	v_cndmask_b32_e64 v0, 0, 1, s[6:7]
	v_cndmask_b32_e64 v0, v0, v4, s[4:5]
	v_and_b32_e32 v0, 1, v0
	v_mov_b32_e32 v4, 0
	v_and_b32_e32 v13, 0xffff, v0
	v_mov_b32_e32 v3, v4
	v_mov_b32_e32 v0, v4
.LBB224_34:
	s_or_b64 exec, exec, s[8:9]
	v_add_u32_e32 v5, 0x100, v12
	v_cmp_lt_i32_e64 s[6:7], v5, v7
	s_and_saveexec_b64 s[8:9], s[6:7]
	s_cbranch_execz .LBB224_36
; %bb.35:
	s_waitcnt vmcnt(0) lgkmcnt(0)
	v_lshlrev_b32_e32 v8, 25, v52
	v_lshlrev_b16_e32 v6, 8, v52
	v_lshrrev_b32_e32 v9, 4, v8
	s_movk_i32 s10, 0x7f00
	v_or_b32_e32 v9, 0x70000000, v9
	v_and_or_b32 v10, v6, s10, 0.5
	s_brev_b32 s11, 16
	v_add_f32_e32 v10, -0.5, v10
	v_mul_f32_e32 v9, 0x7800000, v9
	v_cmp_gt_u32_e64 s[6:7], s11, v8
	v_cndmask_b32_e64 v8, v9, v10, s[6:7]
	v_bfe_i32 v6, v6, 0, 16
	s_brev_b32 s12, 1
	v_lshlrev_b32_e32 v9, 25, v51
	v_and_or_b32 v6, v6, s12, v8
	v_lshlrev_b16_e32 v8, 8, v51
	v_lshrrev_b32_e32 v10, 4, v9
	v_or_b32_e32 v10, 0x70000000, v10
	v_and_or_b32 v11, v8, s10, 0.5
	v_add_f32_e32 v11, -0.5, v11
	v_mul_f32_e32 v10, 0x7800000, v10
	v_cmp_gt_u32_e64 s[6:7], s11, v9
	v_cndmask_b32_e64 v9, v10, v11, s[6:7]
	v_bfe_i32 v8, v8, 0, 16
	v_and_or_b32 v8, v8, s12, v9
	v_cmp_eq_f32_e64 s[6:7], v6, v8
	v_cndmask_b32_e64 v9, 0, 1, s[6:7]
	v_cmp_neq_f32_e64 s[6:7], v6, v8
	v_cndmask_b32_e64 v6, 0, 1, s[6:7]
	v_cndmask_b32_e64 v6, v6, v9, s[4:5]
	v_mov_b32_e32 v8, 1
	v_and_b32_sdwa v6, v6, v8 dst_sel:BYTE_1 dst_unused:UNUSED_PAD src0_sel:DWORD src1_sel:DWORD
	v_or_b32_sdwa v6, v13, v6 dst_sel:DWORD dst_unused:UNUSED_PAD src0_sel:BYTE_0 src1_sel:DWORD
	v_and_b32_e32 v6, 0xffff, v6
	s_mov_b32 s6, 0xffff0000
	v_and_or_b32 v13, v13, s6, v6
.LBB224_36:
	s_or_b64 exec, exec, s[8:9]
	v_add_u32_e32 v6, 0x200, v12
	v_cmp_lt_i32_e64 s[6:7], v6, v7
	s_and_saveexec_b64 s[8:9], s[6:7]
	s_cbranch_execz .LBB224_38
; %bb.37:
	s_waitcnt vmcnt(0) lgkmcnt(0)
	v_lshlrev_b32_e32 v9, 25, v50
	v_lshlrev_b16_e32 v8, 8, v50
	v_lshrrev_b32_e32 v10, 4, v9
	s_movk_i32 s10, 0x7f00
	s_movk_i32 s6, 0xff00
	v_or_b32_e32 v10, 0x70000000, v10
	v_and_or_b32 v11, v8, s10, 0.5
	s_brev_b32 s11, 16
	v_and_b32_sdwa v6, v13, s6 dst_sel:DWORD dst_unused:UNUSED_PAD src0_sel:WORD_1 src1_sel:DWORD
	v_add_f32_e32 v11, -0.5, v11
	v_mul_f32_e32 v10, 0x7800000, v10
	v_cmp_gt_u32_e64 s[6:7], s11, v9
	v_cndmask_b32_e64 v9, v10, v11, s[6:7]
	v_bfe_i32 v8, v8, 0, 16
	s_brev_b32 s12, 1
	v_lshlrev_b32_e32 v10, 25, v49
	v_and_or_b32 v8, v8, s12, v9
	v_lshlrev_b16_e32 v9, 8, v49
	v_lshrrev_b32_e32 v11, 4, v10
	v_or_b32_e32 v11, 0x70000000, v11
	v_and_or_b32 v49, v9, s10, 0.5
	v_add_f32_e32 v49, -0.5, v49
	v_mul_f32_e32 v11, 0x7800000, v11
	v_cmp_gt_u32_e64 s[6:7], s11, v10
	v_cndmask_b32_e64 v10, v11, v49, s[6:7]
	v_bfe_i32 v9, v9, 0, 16
	v_and_or_b32 v9, v9, s12, v10
	v_cmp_eq_f32_e64 s[6:7], v8, v9
	v_cndmask_b32_e64 v10, 0, 1, s[6:7]
	v_cmp_neq_f32_e64 s[6:7], v8, v9
	v_cndmask_b32_e64 v8, 0, 1, s[6:7]
	v_cndmask_b32_e64 v8, v8, v10, s[4:5]
	v_and_b32_e32 v8, 1, v8
	v_or_b32_sdwa v6, v8, v6 dst_sel:WORD_1 dst_unused:UNUSED_PAD src0_sel:DWORD src1_sel:DWORD
	s_mov_b32 s6, 0xffff
	v_and_or_b32 v13, v13, s6, v6
.LBB224_38:
	s_or_b64 exec, exec, s[8:9]
	v_add_u32_e32 v6, 0x300, v12
	v_cmp_lt_i32_e64 s[6:7], v6, v7
	s_and_saveexec_b64 s[8:9], s[6:7]
	s_cbranch_execz .LBB224_40
; %bb.39:
	s_waitcnt vmcnt(0) lgkmcnt(0)
	v_lshlrev_b32_e32 v9, 25, v48
	v_lshlrev_b16_e32 v8, 8, v48
	v_lshrrev_b32_e32 v10, 4, v9
	s_movk_i32 s10, 0x7f00
	s_movk_i32 s6, 0xff
	v_or_b32_e32 v10, 0x70000000, v10
	v_and_or_b32 v11, v8, s10, 0.5
	s_brev_b32 s11, 16
	v_and_b32_sdwa v6, v13, s6 dst_sel:DWORD dst_unused:UNUSED_PAD src0_sel:WORD_1 src1_sel:DWORD
	v_add_f32_e32 v11, -0.5, v11
	v_mul_f32_e32 v10, 0x7800000, v10
	v_cmp_gt_u32_e64 s[6:7], s11, v9
	v_cndmask_b32_e64 v9, v10, v11, s[6:7]
	v_bfe_i32 v8, v8, 0, 16
	s_brev_b32 s12, 1
	v_lshlrev_b32_e32 v10, 25, v39
	v_and_or_b32 v8, v8, s12, v9
	v_lshlrev_b16_e32 v9, 8, v39
	v_lshrrev_b32_e32 v11, 4, v10
	v_or_b32_e32 v11, 0x70000000, v11
	v_and_or_b32 v39, v9, s10, 0.5
	v_add_f32_e32 v39, -0.5, v39
	v_mul_f32_e32 v11, 0x7800000, v11
	v_cmp_gt_u32_e64 s[6:7], s11, v10
	v_cndmask_b32_e64 v10, v11, v39, s[6:7]
	v_bfe_i32 v9, v9, 0, 16
	v_and_or_b32 v9, v9, s12, v10
	v_cmp_eq_f32_e64 s[6:7], v8, v9
	v_cndmask_b32_e64 v10, 0, 1, s[6:7]
	v_cmp_neq_f32_e64 s[6:7], v8, v9
	v_cndmask_b32_e64 v8, 0, 1, s[6:7]
	v_cndmask_b32_e64 v8, v8, v10, s[4:5]
	v_mov_b32_e32 v9, 1
	v_and_b32_sdwa v8, v8, v9 dst_sel:BYTE_1 dst_unused:UNUSED_PAD src0_sel:DWORD src1_sel:DWORD
	v_or_b32_sdwa v6, v6, v8 dst_sel:WORD_1 dst_unused:UNUSED_PAD src0_sel:DWORD src1_sel:DWORD
	s_mov_b32 s6, 0xffff
	v_and_or_b32 v13, v13, s6, v6
.LBB224_40:
	s_or_b64 exec, exec, s[8:9]
	v_or_b32_e32 v6, 0x400, v12
	v_cmp_lt_i32_e64 s[6:7], v6, v7
	s_and_saveexec_b64 s[8:9], s[6:7]
	s_cbranch_execz .LBB224_42
; %bb.41:
	s_waitcnt vmcnt(0) lgkmcnt(0)
	v_lshlrev_b32_e32 v9, 25, v38
	v_lshlrev_b16_e32 v8, 8, v38
	v_lshrrev_b32_e32 v10, 4, v9
	s_movk_i32 s10, 0x7f00
	v_or_b32_e32 v10, 0x70000000, v10
	v_and_or_b32 v11, v8, s10, 0.5
	s_brev_b32 s11, 16
	v_add_f32_e32 v11, -0.5, v11
	v_mul_f32_e32 v10, 0x7800000, v10
	v_cmp_gt_u32_e64 s[6:7], s11, v9
	v_cndmask_b32_e64 v9, v10, v11, s[6:7]
	v_bfe_i32 v8, v8, 0, 16
	s_brev_b32 s12, 1
	v_lshlrev_b32_e32 v10, 25, v37
	v_and_or_b32 v8, v8, s12, v9
	v_lshlrev_b16_e32 v9, 8, v37
	v_lshrrev_b32_e32 v11, 4, v10
	v_or_b32_e32 v11, 0x70000000, v11
	v_and_or_b32 v37, v9, s10, 0.5
	v_add_f32_e32 v37, -0.5, v37
	v_mul_f32_e32 v11, 0x7800000, v11
	v_cmp_gt_u32_e64 s[6:7], s11, v10
	v_cndmask_b32_e64 v10, v11, v37, s[6:7]
	v_bfe_i32 v9, v9, 0, 16
	v_and_or_b32 v9, v9, s12, v10
	v_cmp_eq_f32_e64 s[6:7], v8, v9
	v_cndmask_b32_e64 v10, 0, 1, s[6:7]
	v_cmp_neq_f32_e64 s[6:7], v8, v9
	v_cndmask_b32_e64 v8, 0, 1, s[6:7]
	v_cndmask_b32_e64 v8, v8, v10, s[4:5]
	v_and_b32_e32 v6, 0xffffff00, v4
	v_and_b32_e32 v8, 1, v8
	v_or_b32_e32 v6, v8, v6
	v_and_b32_e32 v6, 0xffff, v6
	s_mov_b32 s6, 0xffff0000
	v_and_or_b32 v4, v4, s6, v6
.LBB224_42:
	s_or_b64 exec, exec, s[8:9]
	v_add_u32_e32 v6, 0x500, v12
	v_cmp_lt_i32_e64 s[6:7], v6, v7
	s_and_saveexec_b64 s[8:9], s[6:7]
	s_cbranch_execz .LBB224_44
; %bb.43:
	s_waitcnt vmcnt(0) lgkmcnt(0)
	v_lshlrev_b32_e32 v8, 25, v36
	v_lshlrev_b16_e32 v6, 8, v36
	v_lshrrev_b32_e32 v9, 4, v8
	s_movk_i32 s10, 0x7f00
	v_or_b32_e32 v9, 0x70000000, v9
	v_and_or_b32 v10, v6, s10, 0.5
	s_brev_b32 s11, 16
	v_add_f32_e32 v10, -0.5, v10
	v_mul_f32_e32 v9, 0x7800000, v9
	v_cmp_gt_u32_e64 s[6:7], s11, v8
	v_cndmask_b32_e64 v8, v9, v10, s[6:7]
	v_bfe_i32 v6, v6, 0, 16
	s_brev_b32 s12, 1
	v_lshlrev_b32_e32 v9, 25, v35
	v_and_or_b32 v6, v6, s12, v8
	v_lshlrev_b16_e32 v8, 8, v35
	v_lshrrev_b32_e32 v10, 4, v9
	v_or_b32_e32 v10, 0x70000000, v10
	v_and_or_b32 v11, v8, s10, 0.5
	v_add_f32_e32 v11, -0.5, v11
	v_mul_f32_e32 v10, 0x7800000, v10
	v_cmp_gt_u32_e64 s[6:7], s11, v9
	v_cndmask_b32_e64 v9, v10, v11, s[6:7]
	v_bfe_i32 v8, v8, 0, 16
	v_and_or_b32 v8, v8, s12, v9
	v_cmp_eq_f32_e64 s[6:7], v6, v8
	v_cndmask_b32_e64 v9, 0, 1, s[6:7]
	v_cmp_neq_f32_e64 s[6:7], v6, v8
	v_cndmask_b32_e64 v6, 0, 1, s[6:7]
	v_cndmask_b32_e64 v6, v6, v9, s[4:5]
	v_mov_b32_e32 v8, 1
	v_and_b32_sdwa v6, v6, v8 dst_sel:BYTE_1 dst_unused:UNUSED_PAD src0_sel:DWORD src1_sel:DWORD
	v_or_b32_sdwa v6, v4, v6 dst_sel:DWORD dst_unused:UNUSED_PAD src0_sel:BYTE_0 src1_sel:DWORD
	v_and_b32_e32 v6, 0xffff, v6
	s_mov_b32 s6, 0xffff0000
	v_and_or_b32 v4, v4, s6, v6
.LBB224_44:
	s_or_b64 exec, exec, s[8:9]
	v_add_u32_e32 v6, 0x600, v12
	v_cmp_lt_i32_e64 s[6:7], v6, v7
	s_and_saveexec_b64 s[8:9], s[6:7]
	s_cbranch_execz .LBB224_46
; %bb.45:
	s_waitcnt vmcnt(0) lgkmcnt(0)
	v_lshlrev_b32_e32 v9, 25, v34
	v_lshlrev_b16_e32 v8, 8, v34
	v_lshrrev_b32_e32 v10, 4, v9
	s_movk_i32 s10, 0x7f00
	s_movk_i32 s6, 0xff00
	v_or_b32_e32 v10, 0x70000000, v10
	v_and_or_b32 v11, v8, s10, 0.5
	s_brev_b32 s11, 16
	v_and_b32_sdwa v6, v4, s6 dst_sel:DWORD dst_unused:UNUSED_PAD src0_sel:WORD_1 src1_sel:DWORD
	v_add_f32_e32 v11, -0.5, v11
	v_mul_f32_e32 v10, 0x7800000, v10
	v_cmp_gt_u32_e64 s[6:7], s11, v9
	v_cndmask_b32_e64 v9, v10, v11, s[6:7]
	v_bfe_i32 v8, v8, 0, 16
	s_brev_b32 s12, 1
	v_lshlrev_b32_e32 v10, 25, v33
	v_and_or_b32 v8, v8, s12, v9
	v_lshlrev_b16_e32 v9, 8, v33
	v_lshrrev_b32_e32 v11, 4, v10
	v_or_b32_e32 v11, 0x70000000, v11
	v_and_or_b32 v33, v9, s10, 0.5
	v_add_f32_e32 v33, -0.5, v33
	v_mul_f32_e32 v11, 0x7800000, v11
	v_cmp_gt_u32_e64 s[6:7], s11, v10
	v_cndmask_b32_e64 v10, v11, v33, s[6:7]
	v_bfe_i32 v9, v9, 0, 16
	v_and_or_b32 v9, v9, s12, v10
	v_cmp_eq_f32_e64 s[6:7], v8, v9
	v_cndmask_b32_e64 v10, 0, 1, s[6:7]
	v_cmp_neq_f32_e64 s[6:7], v8, v9
	v_cndmask_b32_e64 v8, 0, 1, s[6:7]
	v_cndmask_b32_e64 v8, v8, v10, s[4:5]
	v_and_b32_e32 v8, 1, v8
	v_or_b32_sdwa v6, v8, v6 dst_sel:WORD_1 dst_unused:UNUSED_PAD src0_sel:DWORD src1_sel:DWORD
	s_mov_b32 s6, 0xffff
	v_and_or_b32 v4, v4, s6, v6
.LBB224_46:
	s_or_b64 exec, exec, s[8:9]
	v_add_u32_e32 v6, 0x700, v12
	v_cmp_lt_i32_e64 s[6:7], v6, v7
	s_and_saveexec_b64 s[8:9], s[6:7]
	s_cbranch_execz .LBB224_48
; %bb.47:
	s_waitcnt vmcnt(0) lgkmcnt(0)
	v_lshlrev_b32_e32 v9, 25, v32
	v_lshlrev_b16_e32 v8, 8, v32
	v_lshrrev_b32_e32 v10, 4, v9
	s_movk_i32 s10, 0x7f00
	s_movk_i32 s6, 0xff
	v_or_b32_e32 v10, 0x70000000, v10
	v_and_or_b32 v11, v8, s10, 0.5
	s_brev_b32 s11, 16
	v_and_b32_sdwa v6, v4, s6 dst_sel:DWORD dst_unused:UNUSED_PAD src0_sel:WORD_1 src1_sel:DWORD
	v_add_f32_e32 v11, -0.5, v11
	v_mul_f32_e32 v10, 0x7800000, v10
	v_cmp_gt_u32_e64 s[6:7], s11, v9
	v_cndmask_b32_e64 v9, v10, v11, s[6:7]
	v_bfe_i32 v8, v8, 0, 16
	s_brev_b32 s12, 1
	v_lshlrev_b32_e32 v10, 25, v31
	v_and_or_b32 v8, v8, s12, v9
	v_lshlrev_b16_e32 v9, 8, v31
	v_lshrrev_b32_e32 v11, 4, v10
	v_or_b32_e32 v11, 0x70000000, v11
	v_and_or_b32 v31, v9, s10, 0.5
	v_add_f32_e32 v31, -0.5, v31
	v_mul_f32_e32 v11, 0x7800000, v11
	v_cmp_gt_u32_e64 s[6:7], s11, v10
	v_cndmask_b32_e64 v10, v11, v31, s[6:7]
	v_bfe_i32 v9, v9, 0, 16
	v_and_or_b32 v9, v9, s12, v10
	v_cmp_eq_f32_e64 s[6:7], v8, v9
	v_cndmask_b32_e64 v10, 0, 1, s[6:7]
	v_cmp_neq_f32_e64 s[6:7], v8, v9
	v_cndmask_b32_e64 v8, 0, 1, s[6:7]
	v_cndmask_b32_e64 v8, v8, v10, s[4:5]
	v_mov_b32_e32 v9, 1
	v_and_b32_sdwa v8, v8, v9 dst_sel:BYTE_1 dst_unused:UNUSED_PAD src0_sel:DWORD src1_sel:DWORD
	v_or_b32_sdwa v6, v6, v8 dst_sel:WORD_1 dst_unused:UNUSED_PAD src0_sel:DWORD src1_sel:DWORD
	s_mov_b32 s6, 0xffff
	v_and_or_b32 v4, v4, s6, v6
.LBB224_48:
	s_or_b64 exec, exec, s[8:9]
	v_or_b32_e32 v6, 0x800, v12
	v_cmp_lt_i32_e64 s[6:7], v6, v7
	s_and_saveexec_b64 s[8:9], s[6:7]
	s_cbranch_execz .LBB224_50
; %bb.49:
	s_waitcnt vmcnt(0) lgkmcnt(0)
	v_lshlrev_b32_e32 v9, 25, v30
	v_lshlrev_b16_e32 v8, 8, v30
	v_lshrrev_b32_e32 v10, 4, v9
	s_movk_i32 s10, 0x7f00
	v_or_b32_e32 v10, 0x70000000, v10
	v_and_or_b32 v11, v8, s10, 0.5
	s_brev_b32 s11, 16
	v_add_f32_e32 v11, -0.5, v11
	v_mul_f32_e32 v10, 0x7800000, v10
	v_cmp_gt_u32_e64 s[6:7], s11, v9
	v_cndmask_b32_e64 v9, v10, v11, s[6:7]
	v_bfe_i32 v8, v8, 0, 16
	s_brev_b32 s12, 1
	v_lshlrev_b32_e32 v10, 25, v29
	v_and_or_b32 v8, v8, s12, v9
	v_lshlrev_b16_e32 v9, 8, v29
	v_lshrrev_b32_e32 v11, 4, v10
	v_or_b32_e32 v11, 0x70000000, v11
	v_and_or_b32 v29, v9, s10, 0.5
	v_add_f32_e32 v29, -0.5, v29
	v_mul_f32_e32 v11, 0x7800000, v11
	v_cmp_gt_u32_e64 s[6:7], s11, v10
	v_cndmask_b32_e64 v10, v11, v29, s[6:7]
	v_bfe_i32 v9, v9, 0, 16
	v_and_or_b32 v9, v9, s12, v10
	v_cmp_eq_f32_e64 s[6:7], v8, v9
	v_cndmask_b32_e64 v10, 0, 1, s[6:7]
	v_cmp_neq_f32_e64 s[6:7], v8, v9
	v_cndmask_b32_e64 v8, 0, 1, s[6:7]
	v_cndmask_b32_e64 v8, v8, v10, s[4:5]
	v_and_b32_e32 v6, 0xffffff00, v3
	v_and_b32_e32 v8, 1, v8
	v_or_b32_e32 v6, v8, v6
	v_and_b32_e32 v6, 0xffff, v6
	s_mov_b32 s6, 0xffff0000
	v_and_or_b32 v3, v3, s6, v6
.LBB224_50:
	s_or_b64 exec, exec, s[8:9]
	v_add_u32_e32 v6, 0x900, v12
	v_cmp_lt_i32_e64 s[6:7], v6, v7
	s_and_saveexec_b64 s[8:9], s[6:7]
	s_cbranch_execz .LBB224_52
; %bb.51:
	s_waitcnt vmcnt(0) lgkmcnt(0)
	v_lshlrev_b32_e32 v8, 25, v28
	v_lshlrev_b16_e32 v6, 8, v28
	v_lshrrev_b32_e32 v9, 4, v8
	s_movk_i32 s10, 0x7f00
	v_or_b32_e32 v9, 0x70000000, v9
	v_and_or_b32 v10, v6, s10, 0.5
	s_brev_b32 s11, 16
	v_add_f32_e32 v10, -0.5, v10
	v_mul_f32_e32 v9, 0x7800000, v9
	v_cmp_gt_u32_e64 s[6:7], s11, v8
	v_cndmask_b32_e64 v8, v9, v10, s[6:7]
	v_bfe_i32 v6, v6, 0, 16
	s_brev_b32 s12, 1
	v_lshlrev_b32_e32 v9, 25, v27
	v_and_or_b32 v6, v6, s12, v8
	v_lshlrev_b16_e32 v8, 8, v27
	v_lshrrev_b32_e32 v10, 4, v9
	v_or_b32_e32 v10, 0x70000000, v10
	v_and_or_b32 v11, v8, s10, 0.5
	v_add_f32_e32 v11, -0.5, v11
	v_mul_f32_e32 v10, 0x7800000, v10
	v_cmp_gt_u32_e64 s[6:7], s11, v9
	v_cndmask_b32_e64 v9, v10, v11, s[6:7]
	v_bfe_i32 v8, v8, 0, 16
	v_and_or_b32 v8, v8, s12, v9
	v_cmp_eq_f32_e64 s[6:7], v6, v8
	v_cndmask_b32_e64 v9, 0, 1, s[6:7]
	v_cmp_neq_f32_e64 s[6:7], v6, v8
	v_cndmask_b32_e64 v6, 0, 1, s[6:7]
	v_cndmask_b32_e64 v6, v6, v9, s[4:5]
	v_mov_b32_e32 v8, 1
	v_and_b32_sdwa v6, v6, v8 dst_sel:BYTE_1 dst_unused:UNUSED_PAD src0_sel:DWORD src1_sel:DWORD
	v_or_b32_sdwa v6, v3, v6 dst_sel:DWORD dst_unused:UNUSED_PAD src0_sel:BYTE_0 src1_sel:DWORD
	v_and_b32_e32 v6, 0xffff, v6
	s_mov_b32 s6, 0xffff0000
	v_and_or_b32 v3, v3, s6, v6
.LBB224_52:
	s_or_b64 exec, exec, s[8:9]
	v_add_u32_e32 v6, 0xa00, v12
	v_cmp_lt_i32_e64 s[6:7], v6, v7
	s_and_saveexec_b64 s[8:9], s[6:7]
	s_cbranch_execz .LBB224_54
; %bb.53:
	s_waitcnt vmcnt(0) lgkmcnt(0)
	v_lshlrev_b32_e32 v9, 25, v26
	v_lshlrev_b16_e32 v8, 8, v26
	v_lshrrev_b32_e32 v10, 4, v9
	s_movk_i32 s10, 0x7f00
	s_movk_i32 s6, 0xff00
	v_or_b32_e32 v10, 0x70000000, v10
	v_and_or_b32 v11, v8, s10, 0.5
	s_brev_b32 s11, 16
	v_and_b32_sdwa v6, v3, s6 dst_sel:DWORD dst_unused:UNUSED_PAD src0_sel:WORD_1 src1_sel:DWORD
	v_add_f32_e32 v11, -0.5, v11
	v_mul_f32_e32 v10, 0x7800000, v10
	v_cmp_gt_u32_e64 s[6:7], s11, v9
	v_cndmask_b32_e64 v9, v10, v11, s[6:7]
	v_bfe_i32 v8, v8, 0, 16
	s_brev_b32 s12, 1
	v_lshlrev_b32_e32 v10, 25, v25
	v_and_or_b32 v8, v8, s12, v9
	v_lshlrev_b16_e32 v9, 8, v25
	v_lshrrev_b32_e32 v11, 4, v10
	v_or_b32_e32 v11, 0x70000000, v11
	v_and_or_b32 v25, v9, s10, 0.5
	v_add_f32_e32 v25, -0.5, v25
	v_mul_f32_e32 v11, 0x7800000, v11
	v_cmp_gt_u32_e64 s[6:7], s11, v10
	v_cndmask_b32_e64 v10, v11, v25, s[6:7]
	v_bfe_i32 v9, v9, 0, 16
	v_and_or_b32 v9, v9, s12, v10
	v_cmp_eq_f32_e64 s[6:7], v8, v9
	v_cndmask_b32_e64 v10, 0, 1, s[6:7]
	v_cmp_neq_f32_e64 s[6:7], v8, v9
	v_cndmask_b32_e64 v8, 0, 1, s[6:7]
	v_cndmask_b32_e64 v8, v8, v10, s[4:5]
	v_and_b32_e32 v8, 1, v8
	v_or_b32_sdwa v6, v8, v6 dst_sel:WORD_1 dst_unused:UNUSED_PAD src0_sel:DWORD src1_sel:DWORD
	s_mov_b32 s6, 0xffff
	v_and_or_b32 v3, v3, s6, v6
.LBB224_54:
	s_or_b64 exec, exec, s[8:9]
	v_add_u32_e32 v6, 0xb00, v12
	v_cmp_lt_i32_e64 s[6:7], v6, v7
	s_and_saveexec_b64 s[8:9], s[6:7]
	s_cbranch_execz .LBB224_56
; %bb.55:
	s_waitcnt vmcnt(0) lgkmcnt(0)
	v_lshlrev_b32_e32 v9, 25, v24
	v_lshlrev_b16_e32 v8, 8, v24
	v_lshrrev_b32_e32 v10, 4, v9
	s_movk_i32 s10, 0x7f00
	s_movk_i32 s6, 0xff
	v_or_b32_e32 v10, 0x70000000, v10
	v_and_or_b32 v11, v8, s10, 0.5
	s_brev_b32 s11, 16
	v_and_b32_sdwa v6, v3, s6 dst_sel:DWORD dst_unused:UNUSED_PAD src0_sel:WORD_1 src1_sel:DWORD
	v_add_f32_e32 v11, -0.5, v11
	v_mul_f32_e32 v10, 0x7800000, v10
	v_cmp_gt_u32_e64 s[6:7], s11, v9
	v_cndmask_b32_e64 v9, v10, v11, s[6:7]
	v_bfe_i32 v8, v8, 0, 16
	s_brev_b32 s12, 1
	v_lshlrev_b32_e32 v10, 25, v23
	v_and_or_b32 v8, v8, s12, v9
	v_lshlrev_b16_e32 v9, 8, v23
	v_lshrrev_b32_e32 v11, 4, v10
	v_or_b32_e32 v11, 0x70000000, v11
	v_and_or_b32 v23, v9, s10, 0.5
	v_add_f32_e32 v23, -0.5, v23
	v_mul_f32_e32 v11, 0x7800000, v11
	v_cmp_gt_u32_e64 s[6:7], s11, v10
	v_cndmask_b32_e64 v10, v11, v23, s[6:7]
	v_bfe_i32 v9, v9, 0, 16
	v_and_or_b32 v9, v9, s12, v10
	v_cmp_eq_f32_e64 s[6:7], v8, v9
	v_cndmask_b32_e64 v10, 0, 1, s[6:7]
	v_cmp_neq_f32_e64 s[6:7], v8, v9
	v_cndmask_b32_e64 v8, 0, 1, s[6:7]
	v_cndmask_b32_e64 v8, v8, v10, s[4:5]
	v_mov_b32_e32 v9, 1
	v_and_b32_sdwa v8, v8, v9 dst_sel:BYTE_1 dst_unused:UNUSED_PAD src0_sel:DWORD src1_sel:DWORD
	v_or_b32_sdwa v6, v6, v8 dst_sel:WORD_1 dst_unused:UNUSED_PAD src0_sel:DWORD src1_sel:DWORD
	s_mov_b32 s6, 0xffff
	v_and_or_b32 v3, v3, s6, v6
.LBB224_56:
	s_or_b64 exec, exec, s[8:9]
	v_or_b32_e32 v6, 0xc00, v12
	v_cmp_lt_i32_e64 s[6:7], v6, v7
	s_and_saveexec_b64 s[8:9], s[6:7]
	s_cbranch_execz .LBB224_58
; %bb.57:
	s_waitcnt vmcnt(0) lgkmcnt(0)
	v_lshlrev_b32_e32 v9, 25, v22
	v_lshlrev_b16_e32 v8, 8, v22
	v_lshrrev_b32_e32 v10, 4, v9
	s_movk_i32 s10, 0x7f00
	v_or_b32_e32 v10, 0x70000000, v10
	v_and_or_b32 v11, v8, s10, 0.5
	s_brev_b32 s11, 16
	v_add_f32_e32 v11, -0.5, v11
	v_mul_f32_e32 v10, 0x7800000, v10
	v_cmp_gt_u32_e64 s[6:7], s11, v9
	v_cndmask_b32_e64 v9, v10, v11, s[6:7]
	v_bfe_i32 v8, v8, 0, 16
	s_brev_b32 s12, 1
	v_lshlrev_b32_e32 v10, 25, v20
	v_and_or_b32 v8, v8, s12, v9
	v_lshlrev_b16_e32 v9, 8, v20
	v_lshrrev_b32_e32 v11, 4, v10
	v_or_b32_e32 v11, 0x70000000, v11
	v_and_or_b32 v20, v9, s10, 0.5
	v_add_f32_e32 v20, -0.5, v20
	v_mul_f32_e32 v11, 0x7800000, v11
	v_cmp_gt_u32_e64 s[6:7], s11, v10
	v_cndmask_b32_e64 v10, v11, v20, s[6:7]
	v_bfe_i32 v9, v9, 0, 16
	v_and_or_b32 v9, v9, s12, v10
	v_cmp_eq_f32_e64 s[6:7], v8, v9
	v_cndmask_b32_e64 v10, 0, 1, s[6:7]
	v_cmp_neq_f32_e64 s[6:7], v8, v9
	v_cndmask_b32_e64 v8, 0, 1, s[6:7]
	v_cndmask_b32_e64 v8, v8, v10, s[4:5]
	v_and_b32_e32 v6, 0xffffff00, v0
	v_and_b32_e32 v8, 1, v8
	v_or_b32_e32 v6, v8, v6
	v_and_b32_e32 v6, 0xffff, v6
	s_mov_b32 s6, 0xffff0000
	v_and_or_b32 v0, v0, s6, v6
.LBB224_58:
	s_or_b64 exec, exec, s[8:9]
	v_add_u32_e32 v6, 0xd00, v12
	v_cmp_lt_i32_e64 s[6:7], v6, v7
	s_and_saveexec_b64 s[8:9], s[6:7]
	s_cbranch_execz .LBB224_60
; %bb.59:
	s_waitcnt vmcnt(0) lgkmcnt(0)
	v_lshlrev_b32_e32 v8, 25, v21
	v_lshlrev_b16_e32 v6, 8, v21
	v_lshrrev_b32_e32 v9, 4, v8
	s_movk_i32 s10, 0x7f00
	v_or_b32_e32 v9, 0x70000000, v9
	v_and_or_b32 v10, v6, s10, 0.5
	s_brev_b32 s11, 16
	v_add_f32_e32 v10, -0.5, v10
	v_mul_f32_e32 v9, 0x7800000, v9
	v_cmp_gt_u32_e64 s[6:7], s11, v8
	v_cndmask_b32_e64 v8, v9, v10, s[6:7]
	v_bfe_i32 v6, v6, 0, 16
	s_brev_b32 s12, 1
	v_lshlrev_b32_e32 v9, 25, v18
	v_and_or_b32 v6, v6, s12, v8
	v_lshlrev_b16_e32 v8, 8, v18
	v_lshrrev_b32_e32 v10, 4, v9
	v_or_b32_e32 v10, 0x70000000, v10
	v_and_or_b32 v11, v8, s10, 0.5
	v_add_f32_e32 v11, -0.5, v11
	v_mul_f32_e32 v10, 0x7800000, v10
	v_cmp_gt_u32_e64 s[6:7], s11, v9
	v_cndmask_b32_e64 v9, v10, v11, s[6:7]
	v_bfe_i32 v8, v8, 0, 16
	v_and_or_b32 v8, v8, s12, v9
	v_cmp_eq_f32_e64 s[6:7], v6, v8
	v_cndmask_b32_e64 v9, 0, 1, s[6:7]
	v_cmp_neq_f32_e64 s[6:7], v6, v8
	v_cndmask_b32_e64 v6, 0, 1, s[6:7]
	v_cndmask_b32_e64 v6, v6, v9, s[4:5]
	v_mov_b32_e32 v8, 1
	v_and_b32_sdwa v6, v6, v8 dst_sel:BYTE_1 dst_unused:UNUSED_PAD src0_sel:DWORD src1_sel:DWORD
	v_or_b32_sdwa v6, v0, v6 dst_sel:DWORD dst_unused:UNUSED_PAD src0_sel:BYTE_0 src1_sel:DWORD
	v_and_b32_e32 v6, 0xffff, v6
	s_mov_b32 s6, 0xffff0000
	v_and_or_b32 v0, v0, s6, v6
.LBB224_60:
	s_or_b64 exec, exec, s[8:9]
	v_add_u32_e32 v6, 0xe00, v12
	v_cmp_lt_i32_e64 s[6:7], v6, v7
	s_and_saveexec_b64 s[8:9], s[6:7]
	s_cbranch_execz .LBB224_62
; %bb.61:
	s_waitcnt vmcnt(0) lgkmcnt(0)
	v_lshlrev_b32_e32 v9, 25, v19
	v_lshlrev_b16_e32 v8, 8, v19
	v_lshrrev_b32_e32 v10, 4, v9
	s_movk_i32 s10, 0x7f00
	s_movk_i32 s6, 0xff00
	v_or_b32_e32 v10, 0x70000000, v10
	v_and_or_b32 v11, v8, s10, 0.5
	s_brev_b32 s11, 16
	v_and_b32_sdwa v6, v0, s6 dst_sel:DWORD dst_unused:UNUSED_PAD src0_sel:WORD_1 src1_sel:DWORD
	v_add_f32_e32 v11, -0.5, v11
	v_mul_f32_e32 v10, 0x7800000, v10
	v_cmp_gt_u32_e64 s[6:7], s11, v9
	v_cndmask_b32_e64 v9, v10, v11, s[6:7]
	v_bfe_i32 v8, v8, 0, 16
	s_brev_b32 s12, 1
	v_lshlrev_b32_e32 v10, 25, v16
	v_and_or_b32 v8, v8, s12, v9
	v_lshlrev_b16_e32 v9, 8, v16
	v_lshrrev_b32_e32 v11, 4, v10
	v_or_b32_e32 v11, 0x70000000, v11
	v_and_or_b32 v16, v9, s10, 0.5
	v_add_f32_e32 v16, -0.5, v16
	v_mul_f32_e32 v11, 0x7800000, v11
	v_cmp_gt_u32_e64 s[6:7], s11, v10
	v_cndmask_b32_e64 v10, v11, v16, s[6:7]
	v_bfe_i32 v9, v9, 0, 16
	v_and_or_b32 v9, v9, s12, v10
	v_cmp_eq_f32_e64 s[6:7], v8, v9
	v_cndmask_b32_e64 v10, 0, 1, s[6:7]
	v_cmp_neq_f32_e64 s[6:7], v8, v9
	v_cndmask_b32_e64 v8, 0, 1, s[6:7]
	v_cndmask_b32_e64 v8, v8, v10, s[4:5]
	v_and_b32_e32 v8, 1, v8
	v_or_b32_sdwa v6, v8, v6 dst_sel:WORD_1 dst_unused:UNUSED_PAD src0_sel:DWORD src1_sel:DWORD
	s_mov_b32 s6, 0xffff
	v_and_or_b32 v0, v0, s6, v6
.LBB224_62:
	s_or_b64 exec, exec, s[8:9]
	v_add_u32_e32 v6, 0xf00, v12
	v_cmp_lt_i32_e64 s[6:7], v6, v7
	s_and_saveexec_b64 s[8:9], s[6:7]
	s_cbranch_execnz .LBB224_80
; %bb.63:
	s_or_b64 exec, exec, s[8:9]
	s_and_saveexec_b64 s[4:5], vcc
	s_xor_b64 s[4:5], exec, s[4:5]
	s_cbranch_execnz .LBB224_81
.LBB224_64:
	s_or_b64 exec, exec, s[4:5]
	v_cmp_lt_i32_e32 vcc, v12, v7
	s_and_saveexec_b64 s[4:5], vcc
	s_cbranch_execnz .LBB224_82
.LBB224_65:
	s_or_b64 exec, exec, s[4:5]
	v_cmp_lt_i32_e32 vcc, v12, v7
	s_and_saveexec_b64 s[4:5], vcc
	s_cbranch_execnz .LBB224_83
.LBB224_66:
	s_or_b64 exec, exec, s[4:5]
	v_cmp_lt_i32_e32 vcc, v12, v7
	s_and_saveexec_b64 s[4:5], vcc
	s_cbranch_execnz .LBB224_84
.LBB224_67:
	s_or_b64 exec, exec, s[4:5]
	v_cmp_lt_i32_e32 vcc, v12, v7
	s_and_saveexec_b64 s[4:5], vcc
	s_cbranch_execnz .LBB224_85
.LBB224_68:
	s_or_b64 exec, exec, s[4:5]
	v_cmp_lt_i32_e32 vcc, v12, v7
	s_and_saveexec_b64 s[4:5], vcc
	s_cbranch_execnz .LBB224_86
.LBB224_69:
	s_or_b64 exec, exec, s[4:5]
	v_cmp_lt_i32_e32 vcc, v12, v7
	s_and_saveexec_b64 s[4:5], vcc
	s_cbranch_execnz .LBB224_87
.LBB224_70:
	s_or_b64 exec, exec, s[4:5]
	v_cmp_lt_i32_e32 vcc, v12, v7
	s_and_saveexec_b64 s[4:5], vcc
	s_cbranch_execnz .LBB224_88
.LBB224_71:
	s_or_b64 exec, exec, s[4:5]
	v_cmp_lt_i32_e32 vcc, v12, v7
	s_and_saveexec_b64 s[4:5], vcc
	s_cbranch_execnz .LBB224_89
.LBB224_72:
	s_or_b64 exec, exec, s[4:5]
	v_cmp_lt_i32_e32 vcc, v12, v7
	s_and_saveexec_b64 s[4:5], vcc
	s_cbranch_execnz .LBB224_90
.LBB224_73:
	s_or_b64 exec, exec, s[4:5]
	v_cmp_lt_i32_e32 vcc, v12, v7
	s_and_saveexec_b64 s[4:5], vcc
	s_cbranch_execnz .LBB224_91
.LBB224_74:
	s_or_b64 exec, exec, s[4:5]
	v_cmp_lt_i32_e32 vcc, v12, v7
	s_and_saveexec_b64 s[4:5], vcc
	s_cbranch_execnz .LBB224_92
.LBB224_75:
	s_or_b64 exec, exec, s[4:5]
	v_cmp_lt_i32_e32 vcc, v12, v7
	s_and_saveexec_b64 s[4:5], vcc
	s_cbranch_execnz .LBB224_93
.LBB224_76:
	s_or_b64 exec, exec, s[4:5]
	v_cmp_lt_i32_e32 vcc, v12, v7
	s_and_saveexec_b64 s[4:5], vcc
	s_cbranch_execnz .LBB224_94
.LBB224_77:
	s_or_b64 exec, exec, s[4:5]
	v_cmp_lt_i32_e32 vcc, v12, v7
	s_and_saveexec_b64 s[4:5], vcc
	s_cbranch_execnz .LBB224_95
.LBB224_78:
	s_or_b64 exec, exec, s[4:5]
	v_cmp_lt_i32_e32 vcc, v12, v7
	s_and_saveexec_b64 s[4:5], vcc
	s_cbranch_execnz .LBB224_96
.LBB224_79:
	s_or_b64 exec, exec, s[4:5]
	s_waitcnt vmcnt(0) lgkmcnt(0)
	s_setpc_b64 s[30:31]
.LBB224_80:
	s_waitcnt vmcnt(0) lgkmcnt(0)
	v_lshlrev_b32_e32 v9, 25, v17
	v_lshlrev_b16_e32 v8, 8, v17
	v_lshrrev_b32_e32 v10, 4, v9
	s_movk_i32 s10, 0x7f00
	s_movk_i32 s6, 0xff
	v_or_b32_e32 v10, 0x70000000, v10
	v_and_or_b32 v11, v8, s10, 0.5
	s_brev_b32 s11, 16
	v_and_b32_sdwa v6, v0, s6 dst_sel:DWORD dst_unused:UNUSED_PAD src0_sel:WORD_1 src1_sel:DWORD
	v_add_f32_e32 v11, -0.5, v11
	v_mul_f32_e32 v10, 0x7800000, v10
	v_cmp_gt_u32_e64 s[6:7], s11, v9
	v_cndmask_b32_e64 v9, v10, v11, s[6:7]
	v_bfe_i32 v8, v8, 0, 16
	s_brev_b32 s12, 1
	v_lshlrev_b32_e32 v10, 25, v15
	v_and_or_b32 v8, v8, s12, v9
	v_lshlrev_b16_e32 v9, 8, v15
	v_lshrrev_b32_e32 v11, 4, v10
	v_or_b32_e32 v11, 0x70000000, v11
	v_and_or_b32 v15, v9, s10, 0.5
	v_add_f32_e32 v15, -0.5, v15
	v_mul_f32_e32 v11, 0x7800000, v11
	v_cmp_gt_u32_e64 s[6:7], s11, v10
	v_cndmask_b32_e64 v10, v11, v15, s[6:7]
	v_bfe_i32 v9, v9, 0, 16
	v_and_or_b32 v9, v9, s12, v10
	v_cmp_eq_f32_e64 s[6:7], v8, v9
	v_cndmask_b32_e64 v10, 0, 1, s[6:7]
	v_cmp_neq_f32_e64 s[6:7], v8, v9
	v_cndmask_b32_e64 v8, 0, 1, s[6:7]
	v_cndmask_b32_e64 v8, v8, v10, s[4:5]
	v_mov_b32_e32 v9, 1
	v_and_b32_sdwa v8, v8, v9 dst_sel:BYTE_1 dst_unused:UNUSED_PAD src0_sel:DWORD src1_sel:DWORD
	v_or_b32_sdwa v6, v6, v8 dst_sel:WORD_1 dst_unused:UNUSED_PAD src0_sel:DWORD src1_sel:DWORD
	s_mov_b32 s4, 0xffff
	v_and_or_b32 v0, v0, s4, v6
	s_or_b64 exec, exec, s[8:9]
	s_and_saveexec_b64 s[4:5], vcc
	s_xor_b64 s[4:5], exec, s[4:5]
	s_cbranch_execz .LBB224_64
.LBB224_81:
	v_add_co_u32_e32 v8, vcc, v1, v14
	v_addc_co_u32_e32 v9, vcc, 0, v2, vcc
	v_mov_b32_e32 v12, v5
	flat_store_byte v[8:9], v13
	s_or_b64 exec, exec, s[4:5]
	v_cmp_lt_i32_e32 vcc, v12, v7
	s_and_saveexec_b64 s[4:5], vcc
	s_cbranch_execz .LBB224_65
.LBB224_82:
	v_add_u32_e32 v5, s56, v12
	v_add_co_u32_e32 v5, vcc, v1, v5
	v_lshrrev_b32_e32 v8, 8, v13
	v_addc_co_u32_e32 v6, vcc, 0, v2, vcc
	v_add_u32_e32 v12, 0x100, v12
	flat_store_byte v[5:6], v8
	s_or_b64 exec, exec, s[4:5]
	v_cmp_lt_i32_e32 vcc, v12, v7
	s_and_saveexec_b64 s[4:5], vcc
	s_cbranch_execz .LBB224_66
.LBB224_83:
	v_add_u32_e32 v5, s56, v12
	v_add_co_u32_e32 v5, vcc, v1, v5
	v_addc_co_u32_e32 v6, vcc, 0, v2, vcc
	v_add_u32_e32 v12, 0x100, v12
	flat_store_byte_d16_hi v[5:6], v13
	s_or_b64 exec, exec, s[4:5]
	v_cmp_lt_i32_e32 vcc, v12, v7
	s_and_saveexec_b64 s[4:5], vcc
	s_cbranch_execz .LBB224_67
.LBB224_84:
	v_add_u32_e32 v5, s56, v12
	v_add_co_u32_e32 v5, vcc, v1, v5
	v_lshrrev_b32_e32 v8, 24, v13
	v_addc_co_u32_e32 v6, vcc, 0, v2, vcc
	v_add_u32_e32 v12, 0x100, v12
	flat_store_byte v[5:6], v8
	s_or_b64 exec, exec, s[4:5]
	v_cmp_lt_i32_e32 vcc, v12, v7
	s_and_saveexec_b64 s[4:5], vcc
	s_cbranch_execz .LBB224_68
.LBB224_85:
	v_add_u32_e32 v5, s56, v12
	v_add_co_u32_e32 v5, vcc, v1, v5
	v_addc_co_u32_e32 v6, vcc, 0, v2, vcc
	v_add_u32_e32 v12, 0x100, v12
	flat_store_byte v[5:6], v4
	s_or_b64 exec, exec, s[4:5]
	v_cmp_lt_i32_e32 vcc, v12, v7
	s_and_saveexec_b64 s[4:5], vcc
	s_cbranch_execz .LBB224_69
.LBB224_86:
	v_add_u32_e32 v5, s56, v12
	v_add_co_u32_e32 v5, vcc, v1, v5
	v_lshrrev_b32_e32 v8, 8, v4
	v_addc_co_u32_e32 v6, vcc, 0, v2, vcc
	v_add_u32_e32 v12, 0x100, v12
	flat_store_byte v[5:6], v8
	s_or_b64 exec, exec, s[4:5]
	v_cmp_lt_i32_e32 vcc, v12, v7
	s_and_saveexec_b64 s[4:5], vcc
	s_cbranch_execz .LBB224_70
.LBB224_87:
	v_add_u32_e32 v5, s56, v12
	v_add_co_u32_e32 v5, vcc, v1, v5
	v_addc_co_u32_e32 v6, vcc, 0, v2, vcc
	v_add_u32_e32 v12, 0x100, v12
	flat_store_byte_d16_hi v[5:6], v4
	s_or_b64 exec, exec, s[4:5]
	v_cmp_lt_i32_e32 vcc, v12, v7
	s_and_saveexec_b64 s[4:5], vcc
	s_cbranch_execz .LBB224_71
.LBB224_88:
	v_lshrrev_b32_e32 v6, 24, v4
	v_add_u32_e32 v4, s56, v12
	v_add_co_u32_e32 v4, vcc, v1, v4
	v_addc_co_u32_e32 v5, vcc, 0, v2, vcc
	v_add_u32_e32 v12, 0x100, v12
	flat_store_byte v[4:5], v6
	s_or_b64 exec, exec, s[4:5]
	v_cmp_lt_i32_e32 vcc, v12, v7
	s_and_saveexec_b64 s[4:5], vcc
	s_cbranch_execz .LBB224_72
.LBB224_89:
	v_add_u32_e32 v4, s56, v12
	v_add_co_u32_e32 v4, vcc, v1, v4
	v_addc_co_u32_e32 v5, vcc, 0, v2, vcc
	v_add_u32_e32 v12, 0x100, v12
	flat_store_byte v[4:5], v3
	s_or_b64 exec, exec, s[4:5]
	v_cmp_lt_i32_e32 vcc, v12, v7
	s_and_saveexec_b64 s[4:5], vcc
	s_cbranch_execz .LBB224_73
.LBB224_90:
	v_add_u32_e32 v4, s56, v12
	v_add_co_u32_e32 v4, vcc, v1, v4
	v_lshrrev_b32_e32 v6, 8, v3
	v_addc_co_u32_e32 v5, vcc, 0, v2, vcc
	v_add_u32_e32 v12, 0x100, v12
	flat_store_byte v[4:5], v6
	s_or_b64 exec, exec, s[4:5]
	v_cmp_lt_i32_e32 vcc, v12, v7
	s_and_saveexec_b64 s[4:5], vcc
	s_cbranch_execz .LBB224_74
.LBB224_91:
	v_add_u32_e32 v4, s56, v12
	v_add_co_u32_e32 v4, vcc, v1, v4
	v_addc_co_u32_e32 v5, vcc, 0, v2, vcc
	v_add_u32_e32 v12, 0x100, v12
	flat_store_byte_d16_hi v[4:5], v3
	s_or_b64 exec, exec, s[4:5]
	v_cmp_lt_i32_e32 vcc, v12, v7
	s_and_saveexec_b64 s[4:5], vcc
	s_cbranch_execz .LBB224_75
.LBB224_92:
	v_lshrrev_b32_e32 v5, 24, v3
	v_add_u32_e32 v3, s56, v12
	v_add_co_u32_e32 v3, vcc, v1, v3
	v_addc_co_u32_e32 v4, vcc, 0, v2, vcc
	v_add_u32_e32 v12, 0x100, v12
	flat_store_byte v[3:4], v5
	s_or_b64 exec, exec, s[4:5]
	v_cmp_lt_i32_e32 vcc, v12, v7
	s_and_saveexec_b64 s[4:5], vcc
	s_cbranch_execz .LBB224_76
.LBB224_93:
	v_add_u32_e32 v3, s56, v12
	v_add_co_u32_e32 v3, vcc, v1, v3
	v_addc_co_u32_e32 v4, vcc, 0, v2, vcc
	v_add_u32_e32 v12, 0x100, v12
	flat_store_byte v[3:4], v0
	s_or_b64 exec, exec, s[4:5]
	v_cmp_lt_i32_e32 vcc, v12, v7
	s_and_saveexec_b64 s[4:5], vcc
	s_cbranch_execz .LBB224_77
.LBB224_94:
	v_add_u32_e32 v3, s56, v12
	v_add_co_u32_e32 v3, vcc, v1, v3
	v_lshrrev_b32_e32 v5, 8, v0
	v_addc_co_u32_e32 v4, vcc, 0, v2, vcc
	v_add_u32_e32 v12, 0x100, v12
	flat_store_byte v[3:4], v5
	s_or_b64 exec, exec, s[4:5]
	v_cmp_lt_i32_e32 vcc, v12, v7
	s_and_saveexec_b64 s[4:5], vcc
	s_cbranch_execz .LBB224_78
.LBB224_95:
	v_add_u32_e32 v3, s56, v12
	v_add_co_u32_e32 v3, vcc, v1, v3
	v_addc_co_u32_e32 v4, vcc, 0, v2, vcc
	v_add_u32_e32 v12, 0x100, v12
	flat_store_byte_d16_hi v[3:4], v0
	s_or_b64 exec, exec, s[4:5]
	v_cmp_lt_i32_e32 vcc, v12, v7
	s_and_saveexec_b64 s[4:5], vcc
	s_cbranch_execz .LBB224_79
.LBB224_96:
	v_lshrrev_b32_e32 v3, 24, v0
	v_add_u32_e32 v0, s56, v12
	v_add_co_u32_e32 v0, vcc, v1, v0
	v_addc_co_u32_e32 v1, vcc, 0, v2, vcc
	flat_store_byte v[0:1], v3
	s_or_b64 exec, exec, s[4:5]
	s_waitcnt vmcnt(0) lgkmcnt(0)
	s_setpc_b64 s[30:31]
.Lfunc_end224:
	.size	_ZN2at6native25elementwise_kernel_helperILb0ENS0_13BinaryFunctorIN3c1011Float8_e5m2ES4_bNS0_12_GLOBAL__N_116CompareEqFunctorIS4_EEEENS0_6memory8policies11unroll_baseILi256ESt5arrayIPcLm3EE23TrivialOffsetCalculatorILi2EjESF_ILi1EjENS9_15LoadWithoutCastENS9_16StoreWithoutCastELi16ELi1EEEEEvT0_T1_, .Lfunc_end224-_ZN2at6native25elementwise_kernel_helperILb0ENS0_13BinaryFunctorIN3c1011Float8_e5m2ES4_bNS0_12_GLOBAL__N_116CompareEqFunctorIS4_EEEENS0_6memory8policies11unroll_baseILi256ESt5arrayIPcLm3EE23TrivialOffsetCalculatorILi2EjESF_ILi1EjENS9_15LoadWithoutCastENS9_16StoreWithoutCastELi16ELi1EEEEEvT0_T1_
                                        ; -- End function
	.set .L_ZN2at6native25elementwise_kernel_helperILb0ENS0_13BinaryFunctorIN3c1011Float8_e5m2ES4_bNS0_12_GLOBAL__N_116CompareEqFunctorIS4_EEEENS0_6memory8policies11unroll_baseILi256ESt5arrayIPcLm3EE23TrivialOffsetCalculatorILi2EjESF_ILi1EjENS9_15LoadWithoutCastENS9_16StoreWithoutCastELi16ELi1EEEEEvT0_T1_.num_vgpr, 55
	.set .L_ZN2at6native25elementwise_kernel_helperILb0ENS0_13BinaryFunctorIN3c1011Float8_e5m2ES4_bNS0_12_GLOBAL__N_116CompareEqFunctorIS4_EEEENS0_6memory8policies11unroll_baseILi256ESt5arrayIPcLm3EE23TrivialOffsetCalculatorILi2EjESF_ILi1EjENS9_15LoadWithoutCastENS9_16StoreWithoutCastELi16ELi1EEEEEvT0_T1_.num_agpr, 0
	.set .L_ZN2at6native25elementwise_kernel_helperILb0ENS0_13BinaryFunctorIN3c1011Float8_e5m2ES4_bNS0_12_GLOBAL__N_116CompareEqFunctorIS4_EEEENS0_6memory8policies11unroll_baseILi256ESt5arrayIPcLm3EE23TrivialOffsetCalculatorILi2EjESF_ILi1EjENS9_15LoadWithoutCastENS9_16StoreWithoutCastELi16ELi1EEEEEvT0_T1_.numbered_sgpr, 57
	.set .L_ZN2at6native25elementwise_kernel_helperILb0ENS0_13BinaryFunctorIN3c1011Float8_e5m2ES4_bNS0_12_GLOBAL__N_116CompareEqFunctorIS4_EEEENS0_6memory8policies11unroll_baseILi256ESt5arrayIPcLm3EE23TrivialOffsetCalculatorILi2EjESF_ILi1EjENS9_15LoadWithoutCastENS9_16StoreWithoutCastELi16ELi1EEEEEvT0_T1_.num_named_barrier, 0
	.set .L_ZN2at6native25elementwise_kernel_helperILb0ENS0_13BinaryFunctorIN3c1011Float8_e5m2ES4_bNS0_12_GLOBAL__N_116CompareEqFunctorIS4_EEEENS0_6memory8policies11unroll_baseILi256ESt5arrayIPcLm3EE23TrivialOffsetCalculatorILi2EjESF_ILi1EjENS9_15LoadWithoutCastENS9_16StoreWithoutCastELi16ELi1EEEEEvT0_T1_.private_seg_size, 0
	.set .L_ZN2at6native25elementwise_kernel_helperILb0ENS0_13BinaryFunctorIN3c1011Float8_e5m2ES4_bNS0_12_GLOBAL__N_116CompareEqFunctorIS4_EEEENS0_6memory8policies11unroll_baseILi256ESt5arrayIPcLm3EE23TrivialOffsetCalculatorILi2EjESF_ILi1EjENS9_15LoadWithoutCastENS9_16StoreWithoutCastELi16ELi1EEEEEvT0_T1_.uses_vcc, 1
	.set .L_ZN2at6native25elementwise_kernel_helperILb0ENS0_13BinaryFunctorIN3c1011Float8_e5m2ES4_bNS0_12_GLOBAL__N_116CompareEqFunctorIS4_EEEENS0_6memory8policies11unroll_baseILi256ESt5arrayIPcLm3EE23TrivialOffsetCalculatorILi2EjESF_ILi1EjENS9_15LoadWithoutCastENS9_16StoreWithoutCastELi16ELi1EEEEEvT0_T1_.uses_flat_scratch, 0
	.set .L_ZN2at6native25elementwise_kernel_helperILb0ENS0_13BinaryFunctorIN3c1011Float8_e5m2ES4_bNS0_12_GLOBAL__N_116CompareEqFunctorIS4_EEEENS0_6memory8policies11unroll_baseILi256ESt5arrayIPcLm3EE23TrivialOffsetCalculatorILi2EjESF_ILi1EjENS9_15LoadWithoutCastENS9_16StoreWithoutCastELi16ELi1EEEEEvT0_T1_.has_dyn_sized_stack, 0
	.set .L_ZN2at6native25elementwise_kernel_helperILb0ENS0_13BinaryFunctorIN3c1011Float8_e5m2ES4_bNS0_12_GLOBAL__N_116CompareEqFunctorIS4_EEEENS0_6memory8policies11unroll_baseILi256ESt5arrayIPcLm3EE23TrivialOffsetCalculatorILi2EjESF_ILi1EjENS9_15LoadWithoutCastENS9_16StoreWithoutCastELi16ELi1EEEEEvT0_T1_.has_recursion, 0
	.set .L_ZN2at6native25elementwise_kernel_helperILb0ENS0_13BinaryFunctorIN3c1011Float8_e5m2ES4_bNS0_12_GLOBAL__N_116CompareEqFunctorIS4_EEEENS0_6memory8policies11unroll_baseILi256ESt5arrayIPcLm3EE23TrivialOffsetCalculatorILi2EjESF_ILi1EjENS9_15LoadWithoutCastENS9_16StoreWithoutCastELi16ELi1EEEEEvT0_T1_.has_indirect_call, 0
	.section	.AMDGPU.csdata,"",@progbits
; Function info:
; codeLenInByte = 7300
; TotalNumSgprs: 61
; NumVgprs: 55
; ScratchSize: 0
; MemoryBound: 0
	.section	.text._ZN2at6native29vectorized_elementwise_kernelILi16ENS0_13BinaryFunctorIN3c1011Float8_e5m2ES4_bNS0_12_GLOBAL__N_116CompareEqFunctorIS4_EEEESt5arrayIPcLm3EEEEviT0_T1_,"axG",@progbits,_ZN2at6native29vectorized_elementwise_kernelILi16ENS0_13BinaryFunctorIN3c1011Float8_e5m2ES4_bNS0_12_GLOBAL__N_116CompareEqFunctorIS4_EEEESt5arrayIPcLm3EEEEviT0_T1_,comdat
	.globl	_ZN2at6native29vectorized_elementwise_kernelILi16ENS0_13BinaryFunctorIN3c1011Float8_e5m2ES4_bNS0_12_GLOBAL__N_116CompareEqFunctorIS4_EEEESt5arrayIPcLm3EEEEviT0_T1_ ; -- Begin function _ZN2at6native29vectorized_elementwise_kernelILi16ENS0_13BinaryFunctorIN3c1011Float8_e5m2ES4_bNS0_12_GLOBAL__N_116CompareEqFunctorIS4_EEEESt5arrayIPcLm3EEEEviT0_T1_
	.p2align	8
	.type	_ZN2at6native29vectorized_elementwise_kernelILi16ENS0_13BinaryFunctorIN3c1011Float8_e5m2ES4_bNS0_12_GLOBAL__N_116CompareEqFunctorIS4_EEEESt5arrayIPcLm3EEEEviT0_T1_,@function
_ZN2at6native29vectorized_elementwise_kernelILi16ENS0_13BinaryFunctorIN3c1011Float8_e5m2ES4_bNS0_12_GLOBAL__N_116CompareEqFunctorIS4_EEEESt5arrayIPcLm3EEEEviT0_T1_: ; @_ZN2at6native29vectorized_elementwise_kernelILi16ENS0_13BinaryFunctorIN3c1011Float8_e5m2ES4_bNS0_12_GLOBAL__N_116CompareEqFunctorIS4_EEEESt5arrayIPcLm3EEEEviT0_T1_
; %bb.0:
	s_load_dwordx2 s[12:13], s[4:5], 0x0
	s_load_dwordx4 s[16:19], s[4:5], 0x8
	s_load_dwordx2 s[14:15], s[4:5], 0x18
	s_add_u32 s0, s0, s7
	s_addc_u32 s1, s1, 0
	s_lshl_b32 s22, s6, 12
	s_waitcnt lgkmcnt(0)
	s_sub_i32 s7, s12, s22
	s_cmpk_gt_i32 s7, 0xfff
	s_mov_b64 s[4:5], -1
	s_mov_b32 s32, 0
	s_cbranch_scc1 .LBB225_3
; %bb.1:
	s_andn2_b64 vcc, exec, s[4:5]
	s_cbranch_vccz .LBB225_4
.LBB225_2:
	s_endpgm
.LBB225_3:
	s_ashr_i32 s23, s22, 31
	s_add_u32 s4, s18, s22
	s_addc_u32 s5, s19, s23
	v_lshlrev_b32_e32 v9, 4, v0
	global_load_dwordx4 v[5:8], v9, s[4:5]
	s_add_u32 s4, s14, s22
	s_addc_u32 s5, s15, s23
	global_load_dwordx4 v[1:4], v9, s[4:5]
	s_mov_b32 s21, 0x5040100
	v_mov_b32_e32 v10, 25
	s_movk_i32 s20, 0x7f00
	s_brev_b32 s12, 16
	s_cmp_eq_u32 s13, 0
	s_waitcnt vmcnt(1)
	v_lshrrev_b32_e32 v13, 24, v5
	v_lshrrev_b16_e32 v14, 8, v5
	v_lshlrev_b32_sdwa v17, v10, v5 dst_sel:DWORD dst_unused:UNUSED_PAD src0_sel:DWORD src1_sel:WORD_1
	v_lshlrev_b32_e32 v18, 25, v5
	v_perm_b32 v19, v14, v5, s21
	v_alignbit_b32 v5, v13, v5, 16
	v_lshlrev_b32_e32 v13, 25, v13
	v_pk_lshlrev_b16 v5, 8, v5 op_sel_hi:[0,1]
	v_lshrrev_b32_e32 v21, 4, v17
	s_waitcnt vmcnt(0)
	v_lshrrev_b32_e32 v22, 24, v1
	v_lshrrev_b16_e32 v23, 8, v1
	v_lshrrev_b32_e32 v26, 4, v13
	v_lshrrev_b32_e32 v30, 16, v5
	v_or_b32_e32 v21, 0x70000000, v21
	v_lshlrev_b32_sdwa v27, v10, v1 dst_sel:DWORD dst_unused:UNUSED_PAD src0_sel:DWORD src1_sel:WORD_1
	v_lshlrev_b32_e32 v28, 25, v1
	v_or_b32_e32 v26, 0x70000000, v26
	v_and_or_b32 v29, v5, s20, 0.5
	v_perm_b32 v33, v23, v1, s21
	v_alignbit_b32 v1, v22, v1, 16
	v_and_or_b32 v30, v30, s20, 0.5
	v_lshlrev_b32_e32 v14, 25, v14
	v_lshrrev_b32_e32 v20, 4, v18
	v_pk_lshlrev_b16 v19, 8, v19 op_sel_hi:[0,1]
	v_mul_f32_e32 v21, 0x7800000, v21
	v_lshlrev_b32_e32 v22, 25, v22
	v_add_f32_e32 v29, -0.5, v29
	v_cmp_gt_u32_e64 s[4:5], s12, v17
	v_mul_f32_e32 v26, 0x7800000, v26
	v_pk_lshlrev_b16 v1, 8, v1 op_sel_hi:[0,1]
	v_add_f32_e32 v30, -0.5, v30
	v_cmp_gt_u32_e64 s[10:11], s12, v13
	v_lshrrev_b32_e32 v25, 4, v14
	v_or_b32_e32 v20, 0x70000000, v20
	v_and_or_b32 v31, v19, s20, 0.5
	v_lshrrev_b32_e32 v32, 16, v19
	v_cndmask_b32_e64 v21, v21, v29, s[4:5]
	v_lshrrev_b32_e32 v29, 4, v22
	v_cndmask_b32_e64 v26, v26, v30, s[10:11]
	v_lshrrev_b32_e32 v30, 16, v1
	v_or_b32_e32 v25, 0x70000000, v25
	v_mul_f32_e32 v20, 0x7800000, v20
	v_add_f32_e32 v31, -0.5, v31
	v_cmp_gt_u32_e32 vcc, s12, v18
	v_and_or_b32 v32, v32, s20, 0.5
	v_or_b32_e32 v29, 0x70000000, v29
	v_and_or_b32 v30, v30, s20, 0.5
	v_mul_f32_e32 v25, 0x7800000, v25
	v_add_f32_e32 v32, -0.5, v32
	v_cmp_gt_u32_e64 s[8:9], s12, v14
	v_cndmask_b32_e32 v20, v20, v31, vcc
	v_mul_f32_e32 v29, 0x7800000, v29
	v_add_f32_e32 v30, -0.5, v30
	v_cmp_gt_u32_e32 vcc, s12, v22
	v_and_b32_e32 v14, 0x80000000, v5
	v_cndmask_b32_e64 v25, v25, v32, s[8:9]
	v_and_b32_e32 v32, 0x80000000, v1
	v_cndmask_b32_e32 v22, v29, v30, vcc
	v_lshrrev_b32_e32 v17, 4, v27
	v_or_b32_e32 v14, v14, v26
	v_or_b32_e32 v22, v32, v22
	;; [unrolled: 1-line block ×3, first 2 shown]
	v_and_or_b32 v31, v1, s20, 0.5
	v_cmp_eq_f32_e32 vcc, v14, v22
	v_lshrrev_b32_e32 v18, 4, v28
	v_pk_lshlrev_b16 v33, 8, v33 op_sel_hi:[0,1]
	v_mul_f32_e32 v17, 0x7800000, v17
	v_cndmask_b32_e64 v26, 0, 1, vcc
	v_cmp_neq_f32_e32 vcc, v14, v22
	v_add_f32_e32 v22, -0.5, v31
	v_cmp_gt_u32_e64 s[4:5], s12, v27
	v_or_b32_e32 v18, 0x70000000, v18
	v_cndmask_b32_e64 v17, v17, v22, s[4:5]
	v_and_or_b32 v22, v33, s20, 0.5
	v_lshlrev_b32_e32 v23, 25, v23
	v_add_f32_e32 v22, -0.5, v22
	v_mul_f32_e32 v18, 0x7800000, v18
	v_cmp_gt_u32_e64 s[4:5], s12, v28
	v_lshrrev_b32_e32 v13, 4, v23
	v_cndmask_b32_e64 v18, v18, v22, s[4:5]
	v_lshrrev_b32_e32 v22, 16, v33
	v_lshlrev_b32_e32 v5, 16, v5
	v_lshlrev_b32_e32 v1, 16, v1
	v_or_b32_e32 v13, 0x70000000, v13
	v_and_or_b32 v22, v22, s20, 0.5
	v_cmp_gt_u32_e64 s[4:5], s12, v23
	v_lshlrev_b32_e32 v23, 16, v33
	v_and_b32_e32 v5, 0x80000000, v5
	v_and_b32_e32 v1, 0x80000000, v1
	v_add_f32_e32 v22, -0.5, v22
	v_mul_f32_e32 v13, 0x7800000, v13
	v_and_b32_e32 v23, 0x80000000, v23
	v_or_b32_e32 v1, v1, v17
	v_or_b32_e32 v5, v5, v21
	v_cndmask_b32_e64 v13, v13, v22, s[4:5]
	v_and_b32_e32 v22, 0x80000000, v33
	v_or_b32_e32 v18, v23, v18
	v_lshlrev_b32_e32 v23, 16, v19
	v_and_b32_e32 v19, 0x80000000, v19
	v_cmp_eq_f32_e64 s[4:5], v5, v1
	v_or_b32_e32 v13, v22, v13
	v_or_b32_e32 v19, v19, v25
	v_cndmask_b32_e64 v17, 0, 1, s[4:5]
	v_cmp_neq_f32_e64 s[4:5], v5, v1
	v_and_b32_e32 v23, 0x80000000, v23
	v_cndmask_b32_e64 v1, 0, 1, s[4:5]
	v_cmp_eq_f32_e64 s[4:5], v19, v13
	v_or_b32_e32 v20, v23, v20
	v_cndmask_b32_e64 v5, 0, 1, s[4:5]
	v_cmp_neq_f32_e64 s[4:5], v19, v13
	v_cndmask_b32_e64 v14, 0, 1, vcc
	s_cselect_b64 vcc, -1, 0
	v_cndmask_b32_e64 v13, 0, 1, s[4:5]
	v_cmp_eq_f32_e64 s[4:5], v20, v18
	v_cndmask_b32_e32 v13, v13, v5, vcc
	v_cndmask_b32_e64 v5, 0, 1, s[4:5]
	v_cmp_neq_f32_e64 s[4:5], v20, v18
	v_cndmask_b32_e32 v1, v1, v17, vcc
	v_cndmask_b32_e64 v17, 0, 1, s[4:5]
	v_cndmask_b32_e32 v5, v17, v5, vcc
	v_and_b32_e32 v17, 1, v5
	v_mov_b32_e32 v5, 1
	v_lshrrev_b32_e32 v15, 24, v6
	v_and_b32_sdwa v13, v13, v5 dst_sel:BYTE_1 dst_unused:UNUSED_PAD src0_sel:DWORD src1_sel:DWORD
	v_cndmask_b32_e32 v14, v14, v26, vcc
	v_or_b32_e32 v13, v17, v13
	v_alignbit_b32 v17, v15, v6, 16
	v_lshlrev_b32_sdwa v18, v10, v6 dst_sel:DWORD dst_unused:UNUSED_PAD src0_sel:DWORD src1_sel:WORD_1
	v_lshrrev_b16_e32 v16, 8, v6
	v_and_b32_e32 v1, 1, v1
	v_and_b32_sdwa v14, v14, v5 dst_sel:BYTE_1 dst_unused:UNUSED_PAD src0_sel:DWORD src1_sel:DWORD
	v_pk_lshlrev_b16 v17, 8, v17 op_sel_hi:[0,1]
	v_lshlrev_b32_e32 v15, 25, v15
	v_lshrrev_b32_e32 v23, 4, v18
	v_or_b32_sdwa v1, v1, v14 dst_sel:WORD_1 dst_unused:UNUSED_PAD src0_sel:DWORD src1_sel:DWORD
	v_perm_b32 v14, v16, v6, s21
	v_lshlrev_b32_e32 v6, 25, v6
	v_lshrrev_b32_e32 v21, 4, v15
	v_or_b32_e32 v23, 0x70000000, v23
	v_and_or_b32 v25, v17, s20, 0.5
	v_lshrrev_b32_e32 v26, 16, v17
	v_pk_lshlrev_b16 v14, 8, v14 op_sel_hi:[0,1]
	v_lshrrev_b32_e32 v20, 4, v6
	v_or_b32_e32 v21, 0x70000000, v21
	v_and_or_b32 v26, v26, s20, 0.5
	v_add_f32_e32 v25, -0.5, v25
	v_mul_f32_e32 v23, 0x7800000, v23
	v_cmp_gt_u32_e64 s[4:5], s12, v18
	v_lshlrev_b32_e32 v16, 25, v16
	v_or_b32_e32 v20, 0x70000000, v20
	v_and_or_b32 v27, v14, s20, 0.5
	v_add_f32_e32 v26, -0.5, v26
	v_mul_f32_e32 v21, 0x7800000, v21
	v_cndmask_b32_e64 v18, v23, v25, s[4:5]
	v_cmp_gt_u32_e64 s[4:5], s12, v15
	v_lshrrev_b32_e32 v24, 24, v2
	v_lshrrev_b32_e32 v19, 4, v16
	;; [unrolled: 1-line block ×3, first 2 shown]
	v_add_f32_e32 v27, -0.5, v27
	v_mul_f32_e32 v20, 0x7800000, v20
	v_cndmask_b32_e64 v15, v21, v26, s[4:5]
	v_cmp_gt_u32_e64 s[4:5], s12, v6
	v_or_b32_e32 v19, 0x70000000, v19
	v_and_or_b32 v28, v28, s20, 0.5
	v_cndmask_b32_e64 v6, v20, v27, s[4:5]
	v_alignbit_b32 v20, v24, v2, 16
	v_lshlrev_b32_sdwa v21, v10, v2 dst_sel:DWORD dst_unused:UNUSED_PAD src0_sel:DWORD src1_sel:WORD_1
	v_add_f32_e32 v28, -0.5, v28
	v_mul_f32_e32 v19, 0x7800000, v19
	v_cmp_gt_u32_e64 s[4:5], s12, v16
	v_pk_lshlrev_b16 v20, 8, v20 op_sel_hi:[0,1]
	v_lshrrev_b32_e32 v27, 4, v21
	v_cndmask_b32_e64 v16, v19, v28, s[4:5]
	v_or_b32_e32 v27, 0x70000000, v27
	v_and_or_b32 v28, v20, s20, 0.5
	v_lshlrev_b32_e32 v23, 25, v24
	v_add_f32_e32 v28, -0.5, v28
	v_mul_f32_e32 v27, 0x7800000, v27
	v_cmp_gt_u32_e64 s[4:5], s12, v21
	v_lshrrev_b16_e32 v22, 8, v2
	v_lshrrev_b32_e32 v26, 4, v23
	v_cndmask_b32_e64 v21, v27, v28, s[4:5]
	v_lshrrev_b32_e32 v27, 16, v20
	v_perm_b32 v19, v22, v2, s21
	v_lshlrev_b32_e32 v2, 25, v2
	v_or_b32_e32 v26, 0x70000000, v26
	v_and_or_b32 v27, v27, s20, 0.5
	v_pk_lshlrev_b16 v19, 8, v19 op_sel_hi:[0,1]
	v_lshrrev_b32_e32 v25, 4, v2
	v_add_f32_e32 v27, -0.5, v27
	v_mul_f32_e32 v26, 0x7800000, v26
	v_cmp_gt_u32_e64 s[4:5], s12, v23
	v_or_b32_e32 v25, 0x70000000, v25
	v_cndmask_b32_e64 v23, v26, v27, s[4:5]
	v_and_or_b32 v26, v19, s20, 0.5
	v_lshlrev_b32_e32 v22, 25, v22
	v_add_f32_e32 v26, -0.5, v26
	v_mul_f32_e32 v25, 0x7800000, v25
	v_cmp_gt_u32_e64 s[4:5], s12, v2
	v_lshrrev_b32_e32 v24, 4, v22
	v_cndmask_b32_e64 v2, v25, v26, s[4:5]
	v_lshrrev_b32_e32 v25, 16, v19
	v_or_b32_e32 v24, 0x70000000, v24
	v_and_or_b32 v25, v25, s20, 0.5
	v_add_f32_e32 v25, -0.5, v25
	v_mul_f32_e32 v24, 0x7800000, v24
	v_cmp_gt_u32_e64 s[4:5], s12, v22
	v_cndmask_b32_e64 v22, v24, v25, s[4:5]
	v_and_b32_e32 v24, 0x80000000, v19
	v_lshlrev_b32_e32 v19, 16, v19
	v_and_b32_e32 v19, 0x80000000, v19
	v_or_b32_e32 v2, v19, v2
	v_and_b32_e32 v19, 0x80000000, v14
	v_lshlrev_b32_e32 v14, 16, v14
	v_and_b32_e32 v14, 0x80000000, v14
	v_or_b32_e32 v6, v14, v6
	v_and_b32_e32 v14, 0x80000000, v20
	v_or_b32_e32 v14, v14, v23
	v_and_b32_e32 v23, 0x80000000, v17
	v_lshlrev_b32_e32 v20, 16, v20
	v_or_b32_e32 v15, v23, v15
	v_or_b32_sdwa v1, v13, v1 dst_sel:DWORD dst_unused:UNUSED_PAD src0_sel:WORD_0 src1_sel:DWORD
	v_lshlrev_b32_e32 v13, 16, v17
	v_and_b32_e32 v20, 0x80000000, v20
	v_and_b32_e32 v13, 0x80000000, v13
	v_cmp_eq_f32_e64 s[4:5], v15, v14
	v_or_b32_e32 v20, v20, v21
	v_or_b32_e32 v13, v13, v18
	v_cndmask_b32_e64 v17, 0, 1, s[4:5]
	v_cmp_neq_f32_e64 s[4:5], v15, v14
	v_cndmask_b32_e64 v14, 0, 1, s[4:5]
	v_cmp_eq_f32_e64 s[4:5], v13, v20
	v_or_b32_e32 v22, v24, v22
	v_or_b32_e32 v16, v19, v16
	v_cndmask_b32_e64 v15, 0, 1, s[4:5]
	v_cmp_neq_f32_e64 s[4:5], v13, v20
	v_cndmask_b32_e64 v13, 0, 1, s[4:5]
	v_cmp_eq_f32_e64 s[4:5], v16, v22
	v_cndmask_b32_e32 v13, v13, v15, vcc
	v_cndmask_b32_e64 v15, 0, 1, s[4:5]
	v_cmp_neq_f32_e64 s[4:5], v16, v22
	v_cndmask_b32_e64 v16, 0, 1, s[4:5]
	v_cmp_eq_f32_e64 s[4:5], v6, v2
	v_cndmask_b32_e32 v15, v16, v15, vcc
	v_cndmask_b32_e64 v16, 0, 1, s[4:5]
	v_cmp_neq_f32_e64 s[4:5], v6, v2
	v_cndmask_b32_e64 v2, 0, 1, s[4:5]
	v_cndmask_b32_e32 v2, v2, v16, vcc
	v_cndmask_b32_e32 v14, v14, v17, vcc
	v_and_b32_e32 v2, 1, v2
	v_and_b32_sdwa v6, v15, v5 dst_sel:BYTE_1 dst_unused:UNUSED_PAD src0_sel:DWORD src1_sel:DWORD
	v_lshrrev_b32_e32 v12, 24, v7
	v_or_b32_e32 v2, v2, v6
	v_and_b32_e32 v6, 1, v13
	v_and_b32_sdwa v13, v14, v5 dst_sel:BYTE_1 dst_unused:UNUSED_PAD src0_sel:DWORD src1_sel:DWORD
	v_or_b32_sdwa v6, v6, v13 dst_sel:WORD_1 dst_unused:UNUSED_PAD src0_sel:DWORD src1_sel:DWORD
	v_alignbit_b32 v13, v12, v7, 16
	v_lshlrev_b32_sdwa v14, v10, v7 dst_sel:DWORD dst_unused:UNUSED_PAD src0_sel:DWORD src1_sel:WORD_1
	v_lshrrev_b16_e32 v11, 8, v7
	v_pk_lshlrev_b16 v13, 8, v13 op_sel_hi:[0,1]
	v_lshlrev_b32_e32 v12, 25, v12
	v_lshrrev_b32_e32 v18, 4, v14
	v_or_b32_sdwa v2, v2, v6 dst_sel:DWORD dst_unused:UNUSED_PAD src0_sel:WORD_0 src1_sel:DWORD
	v_perm_b32 v6, v11, v7, s21
	v_lshlrev_b32_e32 v7, 25, v7
	v_lshrrev_b32_e32 v17, 4, v12
	v_or_b32_e32 v18, 0x70000000, v18
	v_and_or_b32 v20, v13, s20, 0.5
	v_lshrrev_b32_e32 v21, 16, v13
	v_pk_lshlrev_b16 v6, 8, v6 op_sel_hi:[0,1]
	v_lshlrev_b32_e32 v11, 25, v11
	v_lshrrev_b32_e32 v16, 4, v7
	v_or_b32_e32 v17, 0x70000000, v17
	v_and_or_b32 v21, v21, s20, 0.5
	v_add_f32_e32 v20, -0.5, v20
	v_mul_f32_e32 v18, 0x7800000, v18
	v_cmp_gt_u32_e64 s[4:5], s12, v14
	v_lshrrev_b32_e32 v15, 4, v11
	v_or_b32_e32 v16, 0x70000000, v16
	v_and_or_b32 v22, v6, s20, 0.5
	v_lshrrev_b32_e32 v23, 16, v6
	v_add_f32_e32 v21, -0.5, v21
	v_mul_f32_e32 v17, 0x7800000, v17
	v_cndmask_b32_e64 v14, v18, v20, s[4:5]
	v_cmp_gt_u32_e64 s[4:5], s12, v12
	v_lshrrev_b32_e32 v24, 24, v3
	v_or_b32_e32 v15, 0x70000000, v15
	v_and_or_b32 v23, v23, s20, 0.5
	v_add_f32_e32 v22, -0.5, v22
	v_mul_f32_e32 v16, 0x7800000, v16
	v_cndmask_b32_e64 v12, v17, v21, s[4:5]
	v_cmp_gt_u32_e64 s[4:5], s12, v7
	v_add_f32_e32 v23, -0.5, v23
	v_mul_f32_e32 v15, 0x7800000, v15
	v_cndmask_b32_e64 v7, v16, v22, s[4:5]
	v_cmp_gt_u32_e64 s[4:5], s12, v11
	v_alignbit_b32 v16, v24, v3, 16
	v_lshlrev_b32_sdwa v17, v10, v3 dst_sel:DWORD dst_unused:UNUSED_PAD src0_sel:DWORD src1_sel:WORD_1
	v_cndmask_b32_e64 v11, v15, v23, s[4:5]
	v_pk_lshlrev_b16 v16, 8, v16 op_sel_hi:[0,1]
	v_lshrrev_b32_e32 v23, 4, v17
	v_lshlrev_b32_e32 v18, 25, v24
	v_or_b32_e32 v23, 0x70000000, v23
	v_and_or_b32 v24, v16, s20, 0.5
	v_add_f32_e32 v24, -0.5, v24
	v_mul_f32_e32 v23, 0x7800000, v23
	v_cmp_gt_u32_e64 s[4:5], s12, v17
	v_lshrrev_b16_e32 v19, 8, v3
	v_lshrrev_b32_e32 v22, 4, v18
	v_cndmask_b32_e64 v17, v23, v24, s[4:5]
	v_lshrrev_b32_e32 v23, 16, v16
	v_perm_b32 v15, v19, v3, s21
	v_lshlrev_b32_e32 v3, 25, v3
	v_or_b32_e32 v22, 0x70000000, v22
	v_and_or_b32 v23, v23, s20, 0.5
	v_pk_lshlrev_b16 v15, 8, v15 op_sel_hi:[0,1]
	v_lshrrev_b32_e32 v21, 4, v3
	v_add_f32_e32 v23, -0.5, v23
	v_mul_f32_e32 v22, 0x7800000, v22
	v_cmp_gt_u32_e64 s[4:5], s12, v18
	v_or_b32_e32 v21, 0x70000000, v21
	v_cndmask_b32_e64 v18, v22, v23, s[4:5]
	v_and_or_b32 v22, v15, s20, 0.5
	v_lshlrev_b32_e32 v19, 25, v19
	v_add_f32_e32 v22, -0.5, v22
	v_mul_f32_e32 v21, 0x7800000, v21
	v_cmp_gt_u32_e64 s[4:5], s12, v3
	v_lshrrev_b32_e32 v20, 4, v19
	v_cndmask_b32_e64 v3, v21, v22, s[4:5]
	v_lshrrev_b32_e32 v21, 16, v15
	v_or_b32_e32 v20, 0x70000000, v20
	v_and_or_b32 v21, v21, s20, 0.5
	v_add_f32_e32 v21, -0.5, v21
	v_mul_f32_e32 v20, 0x7800000, v20
	v_cmp_gt_u32_e64 s[4:5], s12, v19
	v_cndmask_b32_e64 v19, v20, v21, s[4:5]
	v_and_b32_e32 v20, 0x80000000, v15
	v_lshlrev_b32_e32 v15, 16, v15
	v_and_b32_e32 v15, 0x80000000, v15
	v_or_b32_e32 v3, v15, v3
	v_and_b32_e32 v15, 0x80000000, v6
	v_lshlrev_b32_e32 v6, 16, v6
	v_and_b32_e32 v6, 0x80000000, v6
	v_or_b32_e32 v7, v6, v7
	v_and_b32_e32 v6, 0x80000000, v16
	v_or_b32_e32 v18, v6, v18
	v_lshlrev_b32_e32 v6, 16, v16
	v_and_b32_e32 v6, 0x80000000, v6
	v_or_b32_e32 v16, v6, v17
	v_and_b32_e32 v6, 0x80000000, v13
	v_or_b32_e32 v12, v6, v12
	v_lshlrev_b32_e32 v13, 16, v13
	v_and_b32_e32 v13, 0x80000000, v13
	v_cmp_eq_f32_e64 s[4:5], v12, v18
	v_or_b32_e32 v13, v13, v14
	v_cndmask_b32_e64 v14, 0, 1, s[4:5]
	v_cmp_neq_f32_e64 s[4:5], v12, v18
	v_cndmask_b32_e64 v12, 0, 1, s[4:5]
	v_cmp_eq_f32_e64 s[4:5], v13, v16
	v_or_b32_e32 v19, v20, v19
	v_or_b32_e32 v11, v15, v11
	v_cndmask_b32_e32 v12, v12, v14, vcc
	v_cndmask_b32_e64 v14, 0, 1, s[4:5]
	v_cmp_neq_f32_e64 s[4:5], v13, v16
	v_cndmask_b32_e64 v13, 0, 1, s[4:5]
	v_cmp_eq_f32_e64 s[4:5], v11, v19
	v_cndmask_b32_e32 v13, v13, v14, vcc
	v_cndmask_b32_e64 v14, 0, 1, s[4:5]
	v_cmp_neq_f32_e64 s[4:5], v11, v19
	v_cndmask_b32_e64 v11, 0, 1, s[4:5]
	v_cmp_eq_f32_e64 s[4:5], v7, v3
	v_cndmask_b32_e32 v11, v11, v14, vcc
	v_cndmask_b32_e64 v14, 0, 1, s[4:5]
	v_cmp_neq_f32_e64 s[4:5], v7, v3
	v_cndmask_b32_e64 v3, 0, 1, s[4:5]
	v_cndmask_b32_e32 v3, v3, v14, vcc
	v_and_b32_e32 v3, 1, v3
	v_and_b32_sdwa v7, v11, v5 dst_sel:BYTE_1 dst_unused:UNUSED_PAD src0_sel:DWORD src1_sel:DWORD
	v_or_b32_e32 v3, v3, v7
	v_and_b32_e32 v7, 1, v13
	v_and_b32_sdwa v11, v12, v5 dst_sel:BYTE_1 dst_unused:UNUSED_PAD src0_sel:DWORD src1_sel:DWORD
	v_lshrrev_b16_e32 v15, 8, v8
	v_or_b32_sdwa v7, v7, v11 dst_sel:WORD_1 dst_unused:UNUSED_PAD src0_sel:DWORD src1_sel:DWORD
	v_lshrrev_b32_e32 v20, 24, v8
	v_or_b32_sdwa v3, v3, v7 dst_sel:DWORD dst_unused:UNUSED_PAD src0_sel:WORD_0 src1_sel:DWORD
	v_perm_b32 v7, v15, v8, s21
	v_pk_lshlrev_b16 v16, 8, v7 op_sel_hi:[0,1]
	v_alignbit_b32 v7, v20, v8, 16
	v_pk_lshlrev_b16 v11, 8, v7 op_sel_hi:[0,1]
	v_lshlrev_b32_sdwa v7, v10, v8 dst_sel:DWORD dst_unused:UNUSED_PAD src0_sel:DWORD src1_sel:WORD_1
	v_lshlrev_b32_e32 v12, 25, v20
	v_lshlrev_b32_e32 v14, 25, v15
	;; [unrolled: 1-line block ×3, first 2 shown]
	v_lshrrev_b32_e32 v8, 4, v14
	v_lshrrev_b32_e32 v17, 4, v12
	;; [unrolled: 1-line block ×3, first 2 shown]
	v_or_b32_e32 v18, 0x70000000, v18
	v_or_b32_e32 v17, 0x70000000, v17
	;; [unrolled: 1-line block ×3, first 2 shown]
	v_and_or_b32 v19, v11, s20, 0.5
	v_lshrrev_b32_e32 v20, 16, v11
	v_lshrrev_b32_e32 v15, 4, v13
	v_and_or_b32 v20, v20, s20, 0.5
	v_add_f32_e32 v19, -0.5, v19
	v_mul_f32_e32 v24, 0x7800000, v8
	v_mul_f32_e32 v8, 0x7800000, v17
	;; [unrolled: 1-line block ×3, first 2 shown]
	v_cmp_gt_u32_e64 s[4:5], s12, v7
	v_or_b32_e32 v15, 0x70000000, v15
	v_and_or_b32 v22, v16, s20, 0.5
	v_lshrrev_b32_e32 v23, 16, v16
	v_add_f32_e32 v20, -0.5, v20
	v_cndmask_b32_e64 v7, v17, v19, s[4:5]
	v_cmp_gt_u32_e64 s[4:5], s12, v12
	v_lshrrev_b32_e32 v21, 24, v4
	v_and_or_b32 v23, v23, s20, 0.5
	v_add_f32_e32 v22, -0.5, v22
	v_mul_f32_e32 v15, 0x7800000, v15
	v_cndmask_b32_e64 v8, v8, v20, s[4:5]
	v_cmp_gt_u32_e64 s[4:5], s12, v13
	v_add_f32_e32 v23, -0.5, v23
	v_cndmask_b32_e64 v13, v15, v22, s[4:5]
	v_cmp_gt_u32_e64 s[4:5], s12, v14
	v_alignbit_b32 v18, v21, v4, 16
	v_lshlrev_b32_sdwa v10, v10, v4 dst_sel:DWORD dst_unused:UNUSED_PAD src0_sel:DWORD src1_sel:WORD_1
	v_lshrrev_b16_e32 v6, 8, v4
	v_cndmask_b32_e64 v14, v24, v23, s[4:5]
	v_pk_lshlrev_b16 v18, 8, v18 op_sel_hi:[0,1]
	v_lshlrev_b32_e32 v19, 25, v21
	v_lshrrev_b32_e32 v23, 4, v10
	v_perm_b32 v17, v6, v4, s21
	v_lshlrev_b32_e32 v4, 25, v4
	v_lshrrev_b32_e32 v22, 4, v19
	v_or_b32_e32 v23, 0x70000000, v23
	v_and_or_b32 v24, v18, s20, 0.5
	v_lshrrev_b32_e32 v25, 16, v18
	v_pk_lshlrev_b16 v17, 8, v17 op_sel_hi:[0,1]
	v_lshrrev_b32_e32 v21, 4, v4
	v_or_b32_e32 v22, 0x70000000, v22
	v_and_or_b32 v25, v25, s20, 0.5
	v_add_f32_e32 v24, -0.5, v24
	v_mul_f32_e32 v23, 0x7800000, v23
	v_cmp_gt_u32_e64 s[4:5], s12, v10
	v_lshlrev_b32_e32 v6, 25, v6
	v_or_b32_e32 v21, 0x70000000, v21
	v_and_or_b32 v26, v17, s20, 0.5
	v_add_f32_e32 v25, -0.5, v25
	v_mul_f32_e32 v22, 0x7800000, v22
	v_cndmask_b32_e64 v10, v23, v24, s[4:5]
	v_cmp_gt_u32_e64 s[4:5], s12, v19
	v_lshlrev_b32_e32 v15, 16, v16
	v_lshrrev_b32_e32 v20, 4, v6
	v_lshrrev_b32_e32 v27, 16, v17
	v_add_f32_e32 v26, -0.5, v26
	v_mul_f32_e32 v21, 0x7800000, v21
	v_cndmask_b32_e64 v19, v22, v25, s[4:5]
	v_cmp_gt_u32_e64 s[4:5], s12, v4
	v_lshlrev_b32_e32 v12, 16, v11
	v_and_b32_e32 v11, 0x80000000, v11
	v_and_b32_e32 v15, 0x80000000, v15
	v_or_b32_e32 v20, 0x70000000, v20
	v_and_or_b32 v27, v27, s20, 0.5
	v_cndmask_b32_e64 v4, v21, v26, s[4:5]
	v_lshlrev_b32_e32 v21, 16, v18
	v_and_b32_e32 v18, 0x80000000, v18
	v_add_f32_e32 v27, -0.5, v27
	v_mul_f32_e32 v20, 0x7800000, v20
	v_cmp_gt_u32_e64 s[4:5], s12, v6
	v_or_b32_e32 v13, v15, v13
	v_or_b32_e32 v15, v18, v19
	;; [unrolled: 1-line block ×3, first 2 shown]
	v_and_b32_e32 v12, 0x80000000, v12
	v_cndmask_b32_e64 v6, v20, v27, s[4:5]
	v_and_b32_e32 v21, 0x80000000, v21
	v_cmp_eq_f32_e64 s[4:5], v8, v15
	v_or_b32_e32 v10, v21, v10
	v_or_b32_e32 v7, v12, v7
	v_cndmask_b32_e64 v11, 0, 1, s[4:5]
	v_cmp_neq_f32_e64 s[4:5], v8, v15
	v_and_b32_e32 v16, 0x80000000, v16
	v_lshlrev_b32_e32 v20, 16, v17
	v_and_b32_e32 v17, 0x80000000, v17
	v_cndmask_b32_e64 v8, 0, 1, s[4:5]
	v_cmp_eq_f32_e64 s[4:5], v7, v10
	v_or_b32_e32 v6, v17, v6
	v_or_b32_e32 v14, v16, v14
	v_cndmask_b32_e32 v8, v8, v11, vcc
	v_cndmask_b32_e64 v11, 0, 1, s[4:5]
	v_cmp_neq_f32_e64 s[4:5], v7, v10
	v_and_b32_e32 v20, 0x80000000, v20
	v_cndmask_b32_e64 v7, 0, 1, s[4:5]
	v_cmp_eq_f32_e64 s[4:5], v14, v6
	v_or_b32_e32 v4, v20, v4
	v_cndmask_b32_e64 v10, 0, 1, s[4:5]
	v_cmp_neq_f32_e64 s[4:5], v14, v6
	v_cndmask_b32_e64 v6, 0, 1, s[4:5]
	v_cmp_eq_f32_e64 s[4:5], v13, v4
	v_cndmask_b32_e32 v6, v6, v10, vcc
	v_cndmask_b32_e64 v10, 0, 1, s[4:5]
	v_cmp_neq_f32_e64 s[4:5], v13, v4
	v_cndmask_b32_e64 v4, 0, 1, s[4:5]
	v_cndmask_b32_e32 v4, v4, v10, vcc
	v_cndmask_b32_e32 v7, v7, v11, vcc
	v_and_b32_e32 v4, 1, v4
	v_and_b32_sdwa v6, v6, v5 dst_sel:BYTE_1 dst_unused:UNUSED_PAD src0_sel:DWORD src1_sel:DWORD
	v_or_b32_e32 v4, v4, v6
	v_and_b32_e32 v6, 1, v7
	v_and_b32_sdwa v5, v8, v5 dst_sel:BYTE_1 dst_unused:UNUSED_PAD src0_sel:DWORD src1_sel:DWORD
	s_add_u32 s8, s16, s22
	v_or_b32_sdwa v5, v6, v5 dst_sel:WORD_1 dst_unused:UNUSED_PAD src0_sel:DWORD src1_sel:DWORD
	s_addc_u32 s9, s17, s23
	v_or_b32_sdwa v4, v4, v5 dst_sel:DWORD dst_unused:UNUSED_PAD src0_sel:WORD_0 src1_sel:DWORD
	global_store_dwordx4 v9, v[1:4], s[8:9]
	s_cbranch_execnz .LBB225_2
.LBB225_4:
	s_getpc_b64 s[4:5]
	s_add_u32 s4, s4, _ZN2at6native25elementwise_kernel_helperILb0ENS0_13BinaryFunctorIN3c1011Float8_e5m2ES4_bNS0_12_GLOBAL__N_116CompareEqFunctorIS4_EEEENS0_6memory8policies11unroll_baseILi256ESt5arrayIPcLm3EE23TrivialOffsetCalculatorILi2EjESF_ILi1EjENS9_15LoadWithoutCastENS9_16StoreWithoutCastELi16ELi1EEEEEvT0_T1_@rel32@lo+4
	s_addc_u32 s5, s5, _ZN2at6native25elementwise_kernel_helperILb0ENS0_13BinaryFunctorIN3c1011Float8_e5m2ES4_bNS0_12_GLOBAL__N_116CompareEqFunctorIS4_EEEENS0_6memory8policies11unroll_baseILi256ESt5arrayIPcLm3EE23TrivialOffsetCalculatorILi2EjESF_ILi1EjENS9_15LoadWithoutCastENS9_16StoreWithoutCastELi16ELi1EEEEEvT0_T1_@rel32@hi+12
	s_mov_b32 s12, s6
	v_mov_b32_e32 v31, v0
	v_mov_b32_e32 v0, s13
	;; [unrolled: 1-line block ×9, first 2 shown]
	s_swappc_b64 s[30:31], s[4:5]
	s_endpgm
	.section	.rodata,"a",@progbits
	.p2align	6, 0x0
	.amdhsa_kernel _ZN2at6native29vectorized_elementwise_kernelILi16ENS0_13BinaryFunctorIN3c1011Float8_e5m2ES4_bNS0_12_GLOBAL__N_116CompareEqFunctorIS4_EEEESt5arrayIPcLm3EEEEviT0_T1_
		.amdhsa_group_segment_fixed_size 0
		.amdhsa_private_segment_fixed_size 0
		.amdhsa_kernarg_size 32
		.amdhsa_user_sgpr_count 6
		.amdhsa_user_sgpr_private_segment_buffer 1
		.amdhsa_user_sgpr_dispatch_ptr 0
		.amdhsa_user_sgpr_queue_ptr 0
		.amdhsa_user_sgpr_kernarg_segment_ptr 1
		.amdhsa_user_sgpr_dispatch_id 0
		.amdhsa_user_sgpr_flat_scratch_init 0
		.amdhsa_user_sgpr_private_segment_size 0
		.amdhsa_uses_dynamic_stack 0
		.amdhsa_system_sgpr_private_segment_wavefront_offset 0
		.amdhsa_system_sgpr_workgroup_id_x 1
		.amdhsa_system_sgpr_workgroup_id_y 0
		.amdhsa_system_sgpr_workgroup_id_z 0
		.amdhsa_system_sgpr_workgroup_info 0
		.amdhsa_system_vgpr_workitem_id 0
		.amdhsa_next_free_vgpr 55
		.amdhsa_next_free_sgpr 57
		.amdhsa_reserve_vcc 1
		.amdhsa_reserve_flat_scratch 0
		.amdhsa_float_round_mode_32 0
		.amdhsa_float_round_mode_16_64 0
		.amdhsa_float_denorm_mode_32 3
		.amdhsa_float_denorm_mode_16_64 3
		.amdhsa_dx10_clamp 1
		.amdhsa_ieee_mode 1
		.amdhsa_fp16_overflow 0
		.amdhsa_exception_fp_ieee_invalid_op 0
		.amdhsa_exception_fp_denorm_src 0
		.amdhsa_exception_fp_ieee_div_zero 0
		.amdhsa_exception_fp_ieee_overflow 0
		.amdhsa_exception_fp_ieee_underflow 0
		.amdhsa_exception_fp_ieee_inexact 0
		.amdhsa_exception_int_div_zero 0
	.end_amdhsa_kernel
	.section	.text._ZN2at6native29vectorized_elementwise_kernelILi16ENS0_13BinaryFunctorIN3c1011Float8_e5m2ES4_bNS0_12_GLOBAL__N_116CompareEqFunctorIS4_EEEESt5arrayIPcLm3EEEEviT0_T1_,"axG",@progbits,_ZN2at6native29vectorized_elementwise_kernelILi16ENS0_13BinaryFunctorIN3c1011Float8_e5m2ES4_bNS0_12_GLOBAL__N_116CompareEqFunctorIS4_EEEESt5arrayIPcLm3EEEEviT0_T1_,comdat
.Lfunc_end225:
	.size	_ZN2at6native29vectorized_elementwise_kernelILi16ENS0_13BinaryFunctorIN3c1011Float8_e5m2ES4_bNS0_12_GLOBAL__N_116CompareEqFunctorIS4_EEEESt5arrayIPcLm3EEEEviT0_T1_, .Lfunc_end225-_ZN2at6native29vectorized_elementwise_kernelILi16ENS0_13BinaryFunctorIN3c1011Float8_e5m2ES4_bNS0_12_GLOBAL__N_116CompareEqFunctorIS4_EEEESt5arrayIPcLm3EEEEviT0_T1_
                                        ; -- End function
	.set _ZN2at6native29vectorized_elementwise_kernelILi16ENS0_13BinaryFunctorIN3c1011Float8_e5m2ES4_bNS0_12_GLOBAL__N_116CompareEqFunctorIS4_EEEESt5arrayIPcLm3EEEEviT0_T1_.num_vgpr, max(34, .L_ZN2at6native25elementwise_kernel_helperILb0ENS0_13BinaryFunctorIN3c1011Float8_e5m2ES4_bNS0_12_GLOBAL__N_116CompareEqFunctorIS4_EEEENS0_6memory8policies11unroll_baseILi256ESt5arrayIPcLm3EE23TrivialOffsetCalculatorILi2EjESF_ILi1EjENS9_15LoadWithoutCastENS9_16StoreWithoutCastELi16ELi1EEEEEvT0_T1_.num_vgpr)
	.set _ZN2at6native29vectorized_elementwise_kernelILi16ENS0_13BinaryFunctorIN3c1011Float8_e5m2ES4_bNS0_12_GLOBAL__N_116CompareEqFunctorIS4_EEEESt5arrayIPcLm3EEEEviT0_T1_.num_agpr, max(0, .L_ZN2at6native25elementwise_kernel_helperILb0ENS0_13BinaryFunctorIN3c1011Float8_e5m2ES4_bNS0_12_GLOBAL__N_116CompareEqFunctorIS4_EEEENS0_6memory8policies11unroll_baseILi256ESt5arrayIPcLm3EE23TrivialOffsetCalculatorILi2EjESF_ILi1EjENS9_15LoadWithoutCastENS9_16StoreWithoutCastELi16ELi1EEEEEvT0_T1_.num_agpr)
	.set _ZN2at6native29vectorized_elementwise_kernelILi16ENS0_13BinaryFunctorIN3c1011Float8_e5m2ES4_bNS0_12_GLOBAL__N_116CompareEqFunctorIS4_EEEESt5arrayIPcLm3EEEEviT0_T1_.numbered_sgpr, max(33, .L_ZN2at6native25elementwise_kernel_helperILb0ENS0_13BinaryFunctorIN3c1011Float8_e5m2ES4_bNS0_12_GLOBAL__N_116CompareEqFunctorIS4_EEEENS0_6memory8policies11unroll_baseILi256ESt5arrayIPcLm3EE23TrivialOffsetCalculatorILi2EjESF_ILi1EjENS9_15LoadWithoutCastENS9_16StoreWithoutCastELi16ELi1EEEEEvT0_T1_.numbered_sgpr)
	.set _ZN2at6native29vectorized_elementwise_kernelILi16ENS0_13BinaryFunctorIN3c1011Float8_e5m2ES4_bNS0_12_GLOBAL__N_116CompareEqFunctorIS4_EEEESt5arrayIPcLm3EEEEviT0_T1_.num_named_barrier, max(0, .L_ZN2at6native25elementwise_kernel_helperILb0ENS0_13BinaryFunctorIN3c1011Float8_e5m2ES4_bNS0_12_GLOBAL__N_116CompareEqFunctorIS4_EEEENS0_6memory8policies11unroll_baseILi256ESt5arrayIPcLm3EE23TrivialOffsetCalculatorILi2EjESF_ILi1EjENS9_15LoadWithoutCastENS9_16StoreWithoutCastELi16ELi1EEEEEvT0_T1_.num_named_barrier)
	.set _ZN2at6native29vectorized_elementwise_kernelILi16ENS0_13BinaryFunctorIN3c1011Float8_e5m2ES4_bNS0_12_GLOBAL__N_116CompareEqFunctorIS4_EEEESt5arrayIPcLm3EEEEviT0_T1_.private_seg_size, 0+max(.L_ZN2at6native25elementwise_kernel_helperILb0ENS0_13BinaryFunctorIN3c1011Float8_e5m2ES4_bNS0_12_GLOBAL__N_116CompareEqFunctorIS4_EEEENS0_6memory8policies11unroll_baseILi256ESt5arrayIPcLm3EE23TrivialOffsetCalculatorILi2EjESF_ILi1EjENS9_15LoadWithoutCastENS9_16StoreWithoutCastELi16ELi1EEEEEvT0_T1_.private_seg_size)
	.set _ZN2at6native29vectorized_elementwise_kernelILi16ENS0_13BinaryFunctorIN3c1011Float8_e5m2ES4_bNS0_12_GLOBAL__N_116CompareEqFunctorIS4_EEEESt5arrayIPcLm3EEEEviT0_T1_.uses_vcc, or(1, .L_ZN2at6native25elementwise_kernel_helperILb0ENS0_13BinaryFunctorIN3c1011Float8_e5m2ES4_bNS0_12_GLOBAL__N_116CompareEqFunctorIS4_EEEENS0_6memory8policies11unroll_baseILi256ESt5arrayIPcLm3EE23TrivialOffsetCalculatorILi2EjESF_ILi1EjENS9_15LoadWithoutCastENS9_16StoreWithoutCastELi16ELi1EEEEEvT0_T1_.uses_vcc)
	.set _ZN2at6native29vectorized_elementwise_kernelILi16ENS0_13BinaryFunctorIN3c1011Float8_e5m2ES4_bNS0_12_GLOBAL__N_116CompareEqFunctorIS4_EEEESt5arrayIPcLm3EEEEviT0_T1_.uses_flat_scratch, or(0, .L_ZN2at6native25elementwise_kernel_helperILb0ENS0_13BinaryFunctorIN3c1011Float8_e5m2ES4_bNS0_12_GLOBAL__N_116CompareEqFunctorIS4_EEEENS0_6memory8policies11unroll_baseILi256ESt5arrayIPcLm3EE23TrivialOffsetCalculatorILi2EjESF_ILi1EjENS9_15LoadWithoutCastENS9_16StoreWithoutCastELi16ELi1EEEEEvT0_T1_.uses_flat_scratch)
	.set _ZN2at6native29vectorized_elementwise_kernelILi16ENS0_13BinaryFunctorIN3c1011Float8_e5m2ES4_bNS0_12_GLOBAL__N_116CompareEqFunctorIS4_EEEESt5arrayIPcLm3EEEEviT0_T1_.has_dyn_sized_stack, or(0, .L_ZN2at6native25elementwise_kernel_helperILb0ENS0_13BinaryFunctorIN3c1011Float8_e5m2ES4_bNS0_12_GLOBAL__N_116CompareEqFunctorIS4_EEEENS0_6memory8policies11unroll_baseILi256ESt5arrayIPcLm3EE23TrivialOffsetCalculatorILi2EjESF_ILi1EjENS9_15LoadWithoutCastENS9_16StoreWithoutCastELi16ELi1EEEEEvT0_T1_.has_dyn_sized_stack)
	.set _ZN2at6native29vectorized_elementwise_kernelILi16ENS0_13BinaryFunctorIN3c1011Float8_e5m2ES4_bNS0_12_GLOBAL__N_116CompareEqFunctorIS4_EEEESt5arrayIPcLm3EEEEviT0_T1_.has_recursion, or(0, .L_ZN2at6native25elementwise_kernel_helperILb0ENS0_13BinaryFunctorIN3c1011Float8_e5m2ES4_bNS0_12_GLOBAL__N_116CompareEqFunctorIS4_EEEENS0_6memory8policies11unroll_baseILi256ESt5arrayIPcLm3EE23TrivialOffsetCalculatorILi2EjESF_ILi1EjENS9_15LoadWithoutCastENS9_16StoreWithoutCastELi16ELi1EEEEEvT0_T1_.has_recursion)
	.set _ZN2at6native29vectorized_elementwise_kernelILi16ENS0_13BinaryFunctorIN3c1011Float8_e5m2ES4_bNS0_12_GLOBAL__N_116CompareEqFunctorIS4_EEEESt5arrayIPcLm3EEEEviT0_T1_.has_indirect_call, or(0, .L_ZN2at6native25elementwise_kernel_helperILb0ENS0_13BinaryFunctorIN3c1011Float8_e5m2ES4_bNS0_12_GLOBAL__N_116CompareEqFunctorIS4_EEEENS0_6memory8policies11unroll_baseILi256ESt5arrayIPcLm3EE23TrivialOffsetCalculatorILi2EjESF_ILi1EjENS9_15LoadWithoutCastENS9_16StoreWithoutCastELi16ELi1EEEEEvT0_T1_.has_indirect_call)
	.section	.AMDGPU.csdata,"",@progbits
; Kernel info:
; codeLenInByte = 3496
; TotalNumSgprs: 61
; NumVgprs: 55
; ScratchSize: 0
; MemoryBound: 0
; FloatMode: 240
; IeeeMode: 1
; LDSByteSize: 0 bytes/workgroup (compile time only)
; SGPRBlocks: 7
; VGPRBlocks: 13
; NumSGPRsForWavesPerEU: 61
; NumVGPRsForWavesPerEU: 55
; Occupancy: 4
; WaveLimiterHint : 0
; COMPUTE_PGM_RSRC2:SCRATCH_EN: 0
; COMPUTE_PGM_RSRC2:USER_SGPR: 6
; COMPUTE_PGM_RSRC2:TRAP_HANDLER: 0
; COMPUTE_PGM_RSRC2:TGID_X_EN: 1
; COMPUTE_PGM_RSRC2:TGID_Y_EN: 0
; COMPUTE_PGM_RSRC2:TGID_Z_EN: 0
; COMPUTE_PGM_RSRC2:TIDIG_COMP_CNT: 0
	.section	.text._ZN2at6native29vectorized_elementwise_kernelILi8ENS0_13BinaryFunctorIN3c1011Float8_e5m2ES4_bNS0_12_GLOBAL__N_116CompareEqFunctorIS4_EEEESt5arrayIPcLm3EEEEviT0_T1_,"axG",@progbits,_ZN2at6native29vectorized_elementwise_kernelILi8ENS0_13BinaryFunctorIN3c1011Float8_e5m2ES4_bNS0_12_GLOBAL__N_116CompareEqFunctorIS4_EEEESt5arrayIPcLm3EEEEviT0_T1_,comdat
	.globl	_ZN2at6native29vectorized_elementwise_kernelILi8ENS0_13BinaryFunctorIN3c1011Float8_e5m2ES4_bNS0_12_GLOBAL__N_116CompareEqFunctorIS4_EEEESt5arrayIPcLm3EEEEviT0_T1_ ; -- Begin function _ZN2at6native29vectorized_elementwise_kernelILi8ENS0_13BinaryFunctorIN3c1011Float8_e5m2ES4_bNS0_12_GLOBAL__N_116CompareEqFunctorIS4_EEEESt5arrayIPcLm3EEEEviT0_T1_
	.p2align	8
	.type	_ZN2at6native29vectorized_elementwise_kernelILi8ENS0_13BinaryFunctorIN3c1011Float8_e5m2ES4_bNS0_12_GLOBAL__N_116CompareEqFunctorIS4_EEEESt5arrayIPcLm3EEEEviT0_T1_,@function
_ZN2at6native29vectorized_elementwise_kernelILi8ENS0_13BinaryFunctorIN3c1011Float8_e5m2ES4_bNS0_12_GLOBAL__N_116CompareEqFunctorIS4_EEEESt5arrayIPcLm3EEEEviT0_T1_: ; @_ZN2at6native29vectorized_elementwise_kernelILi8ENS0_13BinaryFunctorIN3c1011Float8_e5m2ES4_bNS0_12_GLOBAL__N_116CompareEqFunctorIS4_EEEESt5arrayIPcLm3EEEEviT0_T1_
; %bb.0:
	s_load_dwordx2 s[56:57], s[4:5], 0x0
	s_load_dwordx4 s[52:55], s[4:5], 0x8
	s_load_dwordx2 s[50:51], s[4:5], 0x18
	s_add_u32 s0, s0, s7
	s_addc_u32 s1, s1, 0
	s_lshl_b32 s33, s6, 12
	s_waitcnt lgkmcnt(0)
	s_sub_i32 s7, s56, s33
	s_cmpk_gt_i32 s7, 0xfff
	s_mov_b64 s[4:5], -1
	s_mov_b32 s32, 0
	s_cbranch_scc1 .LBB226_3
; %bb.1:
	s_andn2_b64 vcc, exec, s[4:5]
	s_cbranch_vccz .LBB226_4
.LBB226_2:
	s_endpgm
.LBB226_3:
	s_ashr_i32 s56, s33, 31
	s_add_u32 s4, s54, s33
	s_addc_u32 s5, s55, s56
	v_lshlrev_b32_e32 v9, 3, v0
	global_load_dwordx2 v[3:4], v9, s[4:5] offset:2048
	s_add_u32 s8, s50, s33
	s_addc_u32 s9, s51, s56
	global_load_dwordx2 v[1:2], v9, s[8:9] offset:2048
	global_load_dwordx2 v[7:8], v9, s[4:5]
	global_load_dwordx2 v[5:6], v9, s[8:9]
	s_movk_i32 s59, 0x7f00
	s_brev_b32 s60, 16
	s_brev_b32 s58, 1
	s_cmp_eq_u32 s57, 0
	s_waitcnt vmcnt(3)
	v_lshlrev_b32_e32 v11, 5, v4
	v_lshrrev_b32_e32 v10, 8, v4
	v_and_b32_e32 v11, 0xfe00000, v11
	v_lshlrev_b32_e32 v12, 17, v10
	v_and_or_b32 v10, v10, s59, 0.5
	v_or_b32_e32 v11, 0x70000000, v11
	v_add_f32_e32 v10, -0.5, v10
	v_cmp_gt_u32_e32 vcc, s60, v12
	s_waitcnt vmcnt(2)
	v_lshrrev_b32_e32 v12, 8, v2
	v_mul_f32_e32 v11, 0x7800000, v11
	v_cndmask_b32_e32 v10, v11, v10, vcc
	v_lshlrev_b32_e32 v11, 17, v12
	v_cmp_gt_u32_e32 vcc, s60, v11
	v_lshlrev_b32_e32 v11, 8, v4
	v_and_or_b32 v10, v11, s58, v10
	v_lshlrev_b32_e32 v11, 5, v2
	v_and_b32_e32 v11, 0xfe00000, v11
	v_and_or_b32 v12, v12, s59, 0.5
	v_or_b32_e32 v11, 0x70000000, v11
	v_add_f32_e32 v12, -0.5, v12
	v_mul_f32_e32 v11, 0x7800000, v11
	v_cndmask_b32_e32 v11, v11, v12, vcc
	v_lshlrev_b32_e32 v12, 8, v2
	v_and_or_b32 v11, v12, s58, v11
	v_lshlrev_b32_e32 v12, 13, v3
	v_and_b32_e32 v12, 0xfe00000, v12
	v_cmp_eq_f32_e32 vcc, v10, v11
	v_cmp_neq_f32_e64 s[4:5], v10, v11
	v_and_or_b32 v10, v3, s59, 0.5
	v_lshlrev_b32_e32 v11, 17, v3
	v_or_b32_e32 v12, 0x70000000, v12
	v_cmp_gt_u32_e64 s[8:9], s60, v11
	v_add_f32_e32 v10, -0.5, v10
	v_mul_f32_e32 v12, 0x7800000, v12
	v_lshlrev_b32_e32 v11, 17, v1
	v_cndmask_b32_e64 v10, v12, v10, s[8:9]
	v_lshlrev_b32_e32 v12, 13, v1
	v_cmp_gt_u32_e64 s[10:11], s60, v11
	v_lshlrev_b32_e32 v11, 16, v3
	v_and_b32_e32 v12, 0xfe00000, v12
	v_and_or_b32 v10, v11, s58, v10
	v_and_or_b32 v11, v1, s59, 0.5
	v_or_b32_e32 v12, 0x70000000, v12
	v_add_f32_e32 v11, -0.5, v11
	v_mul_f32_e32 v12, 0x7800000, v12
	v_cndmask_b32_e64 v11, v12, v11, s[10:11]
	v_lshlrev_b32_e32 v12, 16, v1
	v_and_or_b32 v11, v12, s58, v11
	v_cmp_eq_f32_e64 s[48:49], v10, v11
	v_cmp_neq_f32_e64 s[8:9], v10, v11
	v_lshlrev_b32_e32 v10, 5, v3
	v_lshrrev_b32_e32 v12, 8, v3
	v_and_b32_e32 v10, 0xfe00000, v10
	v_lshlrev_b32_e32 v11, 17, v12
	v_and_or_b32 v12, v12, s59, 0.5
	v_or_b32_e32 v10, 0x70000000, v10
	v_add_f32_e32 v12, -0.5, v12
	v_cmp_gt_u32_e64 s[10:11], s60, v11
	v_lshrrev_b32_e32 v11, 8, v1
	v_mul_f32_e32 v10, 0x7800000, v10
	v_cndmask_b32_e64 v10, v10, v12, s[10:11]
	v_lshlrev_b32_e32 v12, 17, v11
	v_cmp_gt_u32_e64 s[10:11], s60, v12
	v_lshlrev_b32_e32 v12, 8, v3
	v_and_or_b32 v10, v12, s58, v10
	v_lshlrev_b32_e32 v12, 5, v1
	v_and_b32_e32 v12, 0xfe00000, v12
	v_and_or_b32 v11, v11, s59, 0.5
	v_or_b32_e32 v12, 0x70000000, v12
	v_add_f32_e32 v11, -0.5, v11
	v_mul_f32_e32 v12, 0x7800000, v12
	v_cndmask_b32_e64 v11, v12, v11, s[10:11]
	v_lshlrev_b32_e32 v12, 8, v1
	v_and_or_b32 v11, v12, s58, v11
	s_waitcnt vmcnt(1)
	v_lshlrev_b32_e32 v12, 13, v8
	v_and_b32_e32 v12, 0xfe00000, v12
	v_or_b32_e32 v12, 0x70000000, v12
	v_cmp_eq_f32_e64 s[14:15], v10, v11
	v_cmp_neq_f32_e64 s[16:17], v10, v11
	v_and_or_b32 v10, v8, s59, 0.5
	v_mul_f32_e32 v11, 0x7800000, v12
	v_lshlrev_b32_e32 v12, 17, v8
	v_add_f32_e32 v10, -0.5, v10
	v_cmp_gt_u32_e64 s[10:11], s60, v12
	v_cndmask_b32_e64 v10, v11, v10, s[10:11]
	v_lshlrev_b32_e32 v11, 16, v8
	v_and_or_b32 v10, v11, s58, v10
	s_waitcnt vmcnt(0)
	v_lshlrev_b32_e32 v11, 13, v6
	v_and_b32_e32 v11, 0xfe00000, v11
	v_lshlrev_b32_e32 v12, 17, v6
	v_or_b32_e32 v11, 0x70000000, v11
	v_cmp_gt_u32_e64 s[10:11], s60, v12
	v_and_or_b32 v12, v6, s59, 0.5
	v_add_f32_e32 v12, -0.5, v12
	v_mul_f32_e32 v11, 0x7800000, v11
	v_cndmask_b32_e64 v11, v11, v12, s[10:11]
	v_lshlrev_b32_e32 v12, 16, v6
	v_and_or_b32 v11, v12, s58, v11
	v_cmp_eq_f32_e64 s[10:11], v10, v11
	v_cmp_neq_f32_e64 s[12:13], v10, v11
	v_lshrrev_b32_e32 v10, 8, v8
	v_lshlrev_b32_e32 v12, 17, v10
	v_cmp_gt_u32_e64 s[18:19], s60, v12
	v_lshlrev_b32_e32 v12, 5, v8
	v_and_b32_e32 v12, 0xfe00000, v12
	v_or_b32_e32 v12, 0x70000000, v12
	v_and_or_b32 v10, v10, s59, 0.5
	v_add_f32_e32 v10, -0.5, v10
	v_mul_f32_e32 v12, 0x7800000, v12
	v_lshlrev_b32_e32 v11, 8, v8
	v_cndmask_b32_e64 v10, v12, v10, s[18:19]
	v_and_or_b32 v10, v11, s58, v10
	v_lshrrev_b32_e32 v11, 8, v6
	v_lshlrev_b32_e32 v12, 17, v11
	v_cmp_gt_u32_e64 s[18:19], s60, v12
	v_lshlrev_b32_e32 v12, 5, v6
	v_and_b32_e32 v12, 0xfe00000, v12
	v_or_b32_e32 v12, 0x70000000, v12
	v_and_or_b32 v11, v11, s59, 0.5
	v_add_f32_e32 v11, -0.5, v11
	v_mul_f32_e32 v12, 0x7800000, v12
	v_cndmask_b32_e64 v11, v12, v11, s[18:19]
	v_lshlrev_b32_e32 v12, 8, v6
	v_and_or_b32 v11, v12, s58, v11
	v_lshrrev_b32_e32 v12, 8, v7
	v_cmp_eq_f32_e64 s[18:19], v10, v11
	v_cmp_neq_f32_e64 s[20:21], v10, v11
	v_lshlrev_b32_e32 v11, 17, v12
	v_cmp_gt_u32_e64 s[22:23], s60, v11
	v_lshlrev_b32_e32 v11, 13, v7
	v_lshlrev_b32_e32 v10, 17, v7
	v_and_b32_e32 v11, 0xfe00000, v11
	v_cmp_gt_u32_e64 s[24:25], s60, v10
	v_and_or_b32 v10, v7, s59, 0.5
	v_or_b32_e32 v11, 0x70000000, v11
	v_add_f32_e32 v10, -0.5, v10
	v_mul_f32_e32 v11, 0x7800000, v11
	v_cndmask_b32_e64 v10, v11, v10, s[24:25]
	v_lshlrev_b32_e32 v11, 5, v7
	v_and_b32_e32 v11, 0xfe00000, v11
	v_and_or_b32 v12, v12, s59, 0.5
	v_or_b32_e32 v11, 0x70000000, v11
	v_add_f32_e32 v12, -0.5, v12
	v_mul_f32_e32 v11, 0x7800000, v11
	v_cndmask_b32_e64 v11, v11, v12, s[22:23]
	v_lshlrev_b32_e32 v12, 8, v7
	v_and_or_b32 v11, v12, s58, v11
	v_lshlrev_b32_e32 v12, 16, v7
	v_and_or_b32 v10, v12, s58, v10
	v_lshlrev_b32_e32 v12, 17, v5
	v_cmp_gt_u32_e64 s[22:23], s60, v12
	v_lshlrev_b32_e32 v12, 13, v5
	v_and_b32_e32 v12, 0xfe00000, v12
	v_and_or_b32 v13, v5, s59, 0.5
	v_or_b32_e32 v12, 0x70000000, v12
	v_add_f32_e32 v13, -0.5, v13
	v_mul_f32_e32 v12, 0x7800000, v12
	v_cndmask_b32_e64 v12, v12, v13, s[22:23]
	v_lshlrev_b32_e32 v13, 16, v5
	v_and_or_b32 v12, v13, s58, v12
	v_cmp_eq_f32_e64 s[22:23], v10, v12
	v_cmp_neq_f32_e64 s[24:25], v10, v12
	v_lshrrev_b32_e32 v10, 8, v5
	v_lshlrev_b32_e32 v12, 17, v10
	v_cmp_gt_u32_e64 s[26:27], s60, v12
	v_lshlrev_b32_e32 v12, 5, v5
	v_and_b32_e32 v12, 0xfe00000, v12
	v_and_or_b32 v10, v10, s59, 0.5
	v_or_b32_e32 v12, 0x70000000, v12
	v_add_f32_e32 v10, -0.5, v10
	v_mul_f32_e32 v12, 0x7800000, v12
	v_cndmask_b32_e64 v10, v12, v10, s[26:27]
	v_lshlrev_b32_e32 v12, 8, v5
	v_and_or_b32 v10, v12, s58, v10
	v_cmp_eq_f32_e64 s[28:29], v11, v10
	v_cmp_neq_f32_e64 s[26:27], v11, v10
	v_lshrrev_b32_e32 v10, 3, v7
	v_lshrrev_b32_e32 v12, 16, v7
	v_and_b32_e32 v10, 0xfe00000, v10
	v_lshlrev_b32_e32 v11, 17, v12
	v_and_or_b32 v12, v12, s59, 0.5
	v_or_b32_e32 v10, 0x70000000, v10
	v_add_f32_e32 v12, -0.5, v12
	v_mul_f32_e32 v10, 0x7800000, v10
	v_cmp_gt_u32_e64 s[30:31], s60, v11
	v_lshrrev_b32_e32 v11, 16, v5
	v_cndmask_b32_e64 v10, v10, v12, s[30:31]
	v_lshlrev_b32_e32 v12, 17, v11
	v_cmp_gt_u32_e64 s[30:31], s60, v12
	v_lshrrev_b32_e32 v12, 3, v5
	v_and_b32_e32 v12, 0xfe00000, v12
	v_and_or_b32 v11, v11, s59, 0.5
	v_or_b32_e32 v12, 0x70000000, v12
	v_add_f32_e32 v11, -0.5, v11
	v_mul_f32_e32 v12, 0x7800000, v12
	v_cndmask_b32_e64 v11, v12, v11, s[30:31]
	v_lshlrev_b16_e32 v12, 8, v7
	v_and_or_b32 v10, v7, s58, v10
	v_and_or_b32 v11, v5, s58, v11
	v_lshlrev_b32_e32 v7, 25, v7
	v_cmp_neq_f32_e64 s[30:31], v10, v11
	v_cmp_eq_f32_e64 s[34:35], v10, v11
	v_lshrrev_b32_e32 v10, 4, v7
	v_cmp_gt_u32_e64 s[36:37], s60, v7
	v_and_or_b32 v7, v12, s59, 0.5
	v_or_b32_e32 v10, 0x70000000, v10
	v_add_f32_e32 v7, -0.5, v7
	v_mul_f32_e32 v10, 0x7800000, v10
	v_cndmask_b32_e64 v7, v10, v7, s[36:37]
	v_lshlrev_b16_e32 v10, 8, v5
	v_lshlrev_b32_e32 v5, 25, v5
	v_bfe_i32 v11, v12, 0, 16
	v_cmp_gt_u32_e64 s[36:37], s60, v5
	v_lshrrev_b32_e32 v5, 4, v5
	v_and_or_b32 v7, v11, s58, v7
	v_or_b32_e32 v5, 0x70000000, v5
	v_and_or_b32 v11, v10, s59, 0.5
	v_add_f32_e32 v11, -0.5, v11
	v_mul_f32_e32 v5, 0x7800000, v5
	v_cndmask_b32_e64 v5, v5, v11, s[36:37]
	v_bfe_i32 v10, v10, 0, 16
	v_and_or_b32 v5, v10, s58, v5
	v_lshrrev_b32_e32 v10, 16, v8
	v_lshlrev_b32_e32 v11, 17, v10
	v_cmp_gt_u32_e64 s[36:37], s60, v11
	v_lshrrev_b32_e32 v11, 3, v8
	v_and_b32_e32 v11, 0xfe00000, v11
	v_or_b32_e32 v11, 0x70000000, v11
	v_and_or_b32 v10, v10, s59, 0.5
	v_add_f32_e32 v10, -0.5, v10
	v_mul_f32_e32 v11, 0x7800000, v11
	v_cndmask_b32_e64 v10, v11, v10, s[36:37]
	v_and_or_b32 v10, v8, s58, v10
	v_lshlrev_b16_e32 v11, 8, v8
	v_lshlrev_b32_e32 v8, 25, v8
	v_cmp_gt_u32_e64 s[36:37], s60, v8
	v_lshrrev_b32_e32 v8, 4, v8
	v_or_b32_e32 v8, 0x70000000, v8
	v_and_or_b32 v12, v11, s59, 0.5
	v_add_f32_e32 v12, -0.5, v12
	v_mul_f32_e32 v8, 0x7800000, v8
	v_cndmask_b32_e64 v8, v8, v12, s[36:37]
	v_cmp_neq_f32_e64 s[36:37], v7, v5
	v_cmp_eq_f32_e64 s[38:39], v7, v5
	v_lshrrev_b32_e32 v5, 16, v6
	v_lshlrev_b32_e32 v7, 17, v5
	v_cmp_gt_u32_e64 s[40:41], s60, v7
	v_lshrrev_b32_e32 v7, 3, v6
	v_and_b32_e32 v7, 0xfe00000, v7
	v_or_b32_e32 v7, 0x70000000, v7
	v_and_or_b32 v5, v5, s59, 0.5
	v_add_f32_e32 v5, -0.5, v5
	v_mul_f32_e32 v7, 0x7800000, v7
	v_cndmask_b32_e64 v5, v7, v5, s[40:41]
	v_and_or_b32 v5, v6, s58, v5
	v_lshlrev_b16_e32 v7, 8, v6
	v_lshlrev_b32_e32 v6, 25, v6
	v_lshrrev_b32_e32 v12, 4, v6
	v_or_b32_e32 v12, 0x70000000, v12
	v_cmp_gt_u32_e64 s[40:41], s60, v6
	v_and_or_b32 v6, v7, s59, 0.5
	v_add_f32_e32 v6, -0.5, v6
	v_mul_f32_e32 v12, 0x7800000, v12
	v_cndmask_b32_e64 v6, v12, v6, s[40:41]
	v_lshrrev_b32_e32 v12, 16, v3
	v_lshlrev_b32_e32 v13, 17, v12
	v_cmp_gt_u32_e64 s[40:41], s60, v13
	v_lshlrev_b32_e32 v13, 25, v3
	v_cmp_gt_u32_e64 s[42:43], s60, v13
	v_lshrrev_b32_e32 v13, 4, v13
	v_lshlrev_b16_e32 v14, 8, v3
	v_or_b32_e32 v13, 0x70000000, v13
	v_and_or_b32 v15, v14, s59, 0.5
	v_add_f32_e32 v15, -0.5, v15
	v_mul_f32_e32 v13, 0x7800000, v13
	v_cndmask_b32_e64 v13, v13, v15, s[42:43]
	v_lshrrev_b32_e32 v15, 3, v3
	v_and_b32_e32 v15, 0xfe00000, v15
	v_or_b32_e32 v15, 0x70000000, v15
	v_and_or_b32 v12, v12, s59, 0.5
	v_add_f32_e32 v12, -0.5, v12
	v_mul_f32_e32 v15, 0x7800000, v15
	v_cndmask_b32_e64 v12, v15, v12, s[40:41]
	v_cmp_neq_f32_e64 s[40:41], v10, v5
	v_cmp_eq_f32_e64 s[44:45], v10, v5
	v_bfe_i32 v5, v11, 0, 16
	v_and_or_b32 v5, v5, s58, v8
	v_lshlrev_b32_e32 v8, 25, v1
	v_lshlrev_b16_e32 v10, 8, v1
	v_cmp_gt_u32_e64 s[42:43], s60, v8
	v_lshrrev_b32_e32 v8, 4, v8
	v_and_or_b32 v11, v10, s59, 0.5
	v_or_b32_e32 v8, 0x70000000, v8
	v_bfe_i32 v7, v7, 0, 16
	v_add_f32_e32 v11, -0.5, v11
	v_mul_f32_e32 v8, 0x7800000, v8
	v_and_or_b32 v6, v7, s58, v6
	v_lshrrev_b32_e32 v7, 3, v1
	v_cndmask_b32_e64 v8, v8, v11, s[42:43]
	v_lshrrev_b32_e32 v11, 16, v1
	v_and_b32_e32 v7, 0xfe00000, v7
	v_lshlrev_b32_e32 v15, 17, v11
	v_or_b32_e32 v7, 0x70000000, v7
	v_and_or_b32 v11, v11, s59, 0.5
	v_cmp_gt_u32_e64 s[42:43], s60, v15
	v_add_f32_e32 v11, -0.5, v11
	v_mul_f32_e32 v7, 0x7800000, v7
	v_cndmask_b32_e64 v7, v7, v11, s[42:43]
	v_lshrrev_b32_e32 v11, 16, v4
	v_lshlrev_b32_e32 v15, 17, v11
	v_cmp_gt_u32_e64 s[42:43], s60, v15
	v_lshrrev_b32_e32 v15, 3, v4
	v_and_b32_e32 v15, 0xfe00000, v15
	v_or_b32_e32 v15, 0x70000000, v15
	v_and_or_b32 v11, v11, s59, 0.5
	v_add_f32_e32 v11, -0.5, v11
	v_mul_f32_e32 v15, 0x7800000, v15
	v_cndmask_b32_e64 v11, v15, v11, s[42:43]
	v_lshlrev_b32_e32 v15, 17, v4
	v_cmp_gt_u32_e64 s[42:43], s60, v15
	v_lshlrev_b32_e32 v15, 13, v4
	v_and_b32_e32 v15, 0xfe00000, v15
	v_or_b32_e32 v15, 0x70000000, v15
	v_and_or_b32 v16, v4, s59, 0.5
	v_add_f32_e32 v16, -0.5, v16
	v_mul_f32_e32 v15, 0x7800000, v15
	v_cndmask_b32_e64 v15, v15, v16, s[42:43]
	v_lshlrev_b32_e32 v16, 25, v4
	v_cmp_gt_u32_e64 s[42:43], s60, v16
	v_lshrrev_b32_e32 v16, 4, v16
	v_lshlrev_b16_e32 v17, 8, v4
	v_or_b32_e32 v16, 0x70000000, v16
	v_and_or_b32 v18, v17, s59, 0.5
	v_add_f32_e32 v18, -0.5, v18
	v_mul_f32_e32 v16, 0x7800000, v16
	v_cndmask_b32_e64 v16, v16, v18, s[42:43]
	v_lshrrev_b32_e32 v18, 16, v2
	v_lshlrev_b32_e32 v19, 17, v18
	v_cmp_gt_u32_e64 s[42:43], s60, v19
	v_lshrrev_b32_e32 v19, 3, v2
	v_and_b32_e32 v19, 0xfe00000, v19
	v_or_b32_e32 v19, 0x70000000, v19
	v_and_or_b32 v18, v18, s59, 0.5
	v_add_f32_e32 v18, -0.5, v18
	v_mul_f32_e32 v19, 0x7800000, v19
	v_and_or_b32 v3, v3, s58, v12
	v_and_or_b32 v1, v1, s58, v7
	v_cndmask_b32_e64 v18, v19, v18, s[42:43]
	v_cmp_neq_f32_e64 s[42:43], v5, v6
	v_cmp_eq_f32_e64 s[46:47], v5, v6
	v_cndmask_b32_e64 v5, 0, 1, s[34:35]
	v_cmp_neq_f32_e64 s[34:35], v3, v1
	v_cndmask_b32_e64 v6, 0, 1, s[30:31]
	v_cmp_eq_f32_e64 s[30:31], v3, v1
	v_lshlrev_b32_e32 v3, 17, v2
	v_bfe_i32 v7, v10, 0, 16
	v_lshlrev_b32_e32 v10, 13, v2
	v_cndmask_b32_e64 v12, 0, 1, s[28:29]
	v_cmp_gt_u32_e64 s[28:29], s60, v3
	v_and_b32_e32 v3, 0xfe00000, v10
	v_and_or_b32 v7, v7, s58, v8
	v_and_or_b32 v8, v4, s58, v11
	v_and_or_b32 v11, v2, s59, 0.5
	v_or_b32_e32 v3, 0x70000000, v3
	v_bfe_i32 v1, v14, 0, 16
	v_add_f32_e32 v10, -0.5, v11
	v_mul_f32_e32 v3, 0x7800000, v3
	v_lshlrev_b32_e32 v14, 25, v2
	v_lshlrev_b32_e32 v4, 16, v4
	v_cndmask_b32_e64 v3, v3, v10, s[28:29]
	v_lshlrev_b16_e32 v11, 8, v2
	v_cmp_gt_u32_e64 s[28:29], s60, v14
	v_lshrrev_b32_e32 v14, 4, v14
	v_and_or_b32 v1, v1, s58, v13
	v_and_or_b32 v4, v4, s58, v15
	v_and_or_b32 v13, v2, s58, v18
	v_lshlrev_b32_e32 v2, 16, v2
	v_and_or_b32 v15, v11, s59, 0.5
	v_or_b32_e32 v14, 0x70000000, v14
	v_add_f32_e32 v15, -0.5, v15
	v_mul_f32_e32 v14, 0x7800000, v14
	v_and_or_b32 v2, v2, s58, v3
	v_cndmask_b32_e64 v3, 0, 1, s[26:27]
	s_cselect_b64 s[26:27], -1, 0
	v_cndmask_b32_e64 v14, v14, v15, s[28:29]
	v_cndmask_b32_e64 v5, v6, v5, s[26:27]
	v_cndmask_b32_e64 v3, v3, v12, s[26:27]
	v_cndmask_b32_e64 v6, 0, 1, s[38:39]
	v_cndmask_b32_e64 v12, 0, 1, s[36:37]
	v_cmp_neq_f32_e64 s[28:29], v1, v7
	v_cmp_eq_f32_e64 s[36:37], v1, v7
	v_cndmask_b32_e64 v1, 0, 1, s[22:23]
	v_cndmask_b32_e64 v7, 0, 1, s[24:25]
	v_bfe_i32 v10, v17, 0, 16
	v_bfe_i32 v11, v11, 0, 16
	v_cndmask_b32_e64 v6, v12, v6, s[26:27]
	v_cndmask_b32_e64 v7, v7, v1, s[26:27]
	;; [unrolled: 1-line block ×4, first 2 shown]
	v_and_or_b32 v10, v10, s58, v16
	v_and_or_b32 v11, v11, s58, v14
	v_cndmask_b32_e64 v12, v12, v1, s[26:27]
	v_cmp_neq_f32_e64 s[22:23], v8, v13
	v_cmp_eq_f32_e64 s[24:25], v8, v13
	v_cndmask_b32_e64 v1, 0, 1, s[18:19]
	v_cndmask_b32_e64 v8, 0, 1, s[20:21]
	;; [unrolled: 1-line block ×5, first 2 shown]
	v_cmp_neq_f32_e64 s[18:19], v10, v11
	v_cmp_eq_f32_e64 s[20:21], v10, v11
	v_cndmask_b32_e64 v10, 0, 1, s[14:15]
	v_cndmask_b32_e64 v11, 0, 1, s[16:17]
	;; [unrolled: 1-line block ×6, first 2 shown]
	v_cmp_eq_f32_e64 s[14:15], v4, v2
	v_cmp_neq_f32_e64 s[16:17], v4, v2
	v_cndmask_b32_e64 v2, 0, 1, s[48:49]
	v_cndmask_b32_e64 v4, 0, 1, s[8:9]
	;; [unrolled: 1-line block ×7, first 2 shown]
	v_cndmask_b32_e64 v13, 0, 1, vcc
	v_cndmask_b32_e64 v14, 0, 1, s[4:5]
	v_cndmask_b32_e64 v13, v14, v13, s[26:27]
	;; [unrolled: 1-line block ×8, first 2 shown]
	v_mov_b32_e32 v16, 1
	v_and_b32_sdwa v15, v15, v16 dst_sel:BYTE_1 dst_unused:UNUSED_PAD src0_sel:DWORD src1_sel:DWORD
	v_and_b32_e32 v14, 1, v14
	v_and_b32_e32 v13, 1, v13
	v_and_b32_sdwa v4, v4, v16 dst_sel:BYTE_1 dst_unused:UNUSED_PAD src0_sel:DWORD src1_sel:DWORD
	v_and_b32_sdwa v2, v2, v16 dst_sel:BYTE_1 dst_unused:UNUSED_PAD src0_sel:DWORD src1_sel:DWORD
	v_and_b32_e32 v11, 1, v11
	v_or_b32_e32 v14, v14, v15
	v_or_b32_sdwa v4, v13, v4 dst_sel:WORD_1 dst_unused:UNUSED_PAD src0_sel:DWORD src1_sel:DWORD
	v_or_b32_e32 v11, v11, v2
	v_and_b32_e32 v2, 1, v10
	v_and_b32_sdwa v1, v1, v16 dst_sel:BYTE_1 dst_unused:UNUSED_PAD src0_sel:DWORD src1_sel:DWORD
	v_or_b32_sdwa v1, v2, v1 dst_sel:WORD_1 dst_unused:UNUSED_PAD src0_sel:DWORD src1_sel:DWORD
	v_or_b32_sdwa v2, v14, v4 dst_sel:DWORD dst_unused:UNUSED_PAD src0_sel:WORD_0 src1_sel:DWORD
	v_cndmask_b32_e64 v4, 0, 1, s[46:47]
	v_cndmask_b32_e64 v10, 0, 1, s[42:43]
	v_or_b32_sdwa v1, v11, v1 dst_sel:DWORD dst_unused:UNUSED_PAD src0_sel:WORD_0 src1_sel:DWORD
	v_cndmask_b32_e64 v4, v10, v4, s[26:27]
	v_cndmask_b32_e64 v10, 0, 1, s[10:11]
	;; [unrolled: 1-line block ×4, first 2 shown]
	v_and_b32_sdwa v10, v10, v16 dst_sel:BYTE_1 dst_unused:UNUSED_PAD src0_sel:DWORD src1_sel:DWORD
	v_and_b32_e32 v4, 1, v4
	v_or_b32_e32 v4, v4, v10
	v_and_b32_e32 v8, 1, v8
	v_and_b32_sdwa v10, v12, v16 dst_sel:BYTE_1 dst_unused:UNUSED_PAD src0_sel:DWORD src1_sel:DWORD
	v_and_b32_sdwa v7, v7, v16 dst_sel:BYTE_1 dst_unused:UNUSED_PAD src0_sel:DWORD src1_sel:DWORD
	v_and_b32_e32 v6, 1, v6
	v_and_b32_e32 v3, 1, v3
	v_and_b32_sdwa v5, v5, v16 dst_sel:BYTE_1 dst_unused:UNUSED_PAD src0_sel:DWORD src1_sel:DWORD
	v_or_b32_sdwa v8, v8, v10 dst_sel:WORD_1 dst_unused:UNUSED_PAD src0_sel:DWORD src1_sel:DWORD
	v_or_b32_e32 v6, v6, v7
	v_or_b32_sdwa v3, v3, v5 dst_sel:WORD_1 dst_unused:UNUSED_PAD src0_sel:DWORD src1_sel:DWORD
	s_add_u32 s4, s52, s33
	v_or_b32_sdwa v4, v4, v8 dst_sel:DWORD dst_unused:UNUSED_PAD src0_sel:WORD_0 src1_sel:DWORD
	v_or_b32_sdwa v3, v6, v3 dst_sel:DWORD dst_unused:UNUSED_PAD src0_sel:WORD_0 src1_sel:DWORD
	s_addc_u32 s5, s53, s56
	global_store_dwordx2 v9, v[3:4], s[4:5]
	global_store_dwordx2 v9, v[1:2], s[4:5] offset:2048
	s_cbranch_execnz .LBB226_2
.LBB226_4:
	s_getpc_b64 s[4:5]
	s_add_u32 s4, s4, _ZN2at6native25elementwise_kernel_helperILb0ENS0_13BinaryFunctorIN3c1011Float8_e5m2ES4_bNS0_12_GLOBAL__N_116CompareEqFunctorIS4_EEEENS0_6memory8policies11unroll_baseILi256ESt5arrayIPcLm3EE23TrivialOffsetCalculatorILi2EjESF_ILi1EjENS9_15LoadWithoutCastENS9_16StoreWithoutCastELi16ELi1EEEEEvT0_T1_@rel32@lo+4
	s_addc_u32 s5, s5, _ZN2at6native25elementwise_kernel_helperILb0ENS0_13BinaryFunctorIN3c1011Float8_e5m2ES4_bNS0_12_GLOBAL__N_116CompareEqFunctorIS4_EEEENS0_6memory8policies11unroll_baseILi256ESt5arrayIPcLm3EE23TrivialOffsetCalculatorILi2EjESF_ILi1EjENS9_15LoadWithoutCastENS9_16StoreWithoutCastELi16ELi1EEEEEvT0_T1_@rel32@hi+12
	s_mov_b32 s12, s6
	v_mov_b32_e32 v31, v0
	v_mov_b32_e32 v0, s57
	;; [unrolled: 1-line block ×9, first 2 shown]
	s_swappc_b64 s[30:31], s[4:5]
	s_endpgm
	.section	.rodata,"a",@progbits
	.p2align	6, 0x0
	.amdhsa_kernel _ZN2at6native29vectorized_elementwise_kernelILi8ENS0_13BinaryFunctorIN3c1011Float8_e5m2ES4_bNS0_12_GLOBAL__N_116CompareEqFunctorIS4_EEEESt5arrayIPcLm3EEEEviT0_T1_
		.amdhsa_group_segment_fixed_size 0
		.amdhsa_private_segment_fixed_size 0
		.amdhsa_kernarg_size 32
		.amdhsa_user_sgpr_count 6
		.amdhsa_user_sgpr_private_segment_buffer 1
		.amdhsa_user_sgpr_dispatch_ptr 0
		.amdhsa_user_sgpr_queue_ptr 0
		.amdhsa_user_sgpr_kernarg_segment_ptr 1
		.amdhsa_user_sgpr_dispatch_id 0
		.amdhsa_user_sgpr_flat_scratch_init 0
		.amdhsa_user_sgpr_private_segment_size 0
		.amdhsa_uses_dynamic_stack 0
		.amdhsa_system_sgpr_private_segment_wavefront_offset 0
		.amdhsa_system_sgpr_workgroup_id_x 1
		.amdhsa_system_sgpr_workgroup_id_y 0
		.amdhsa_system_sgpr_workgroup_id_z 0
		.amdhsa_system_sgpr_workgroup_info 0
		.amdhsa_system_vgpr_workitem_id 0
		.amdhsa_next_free_vgpr 55
		.amdhsa_next_free_sgpr 61
		.amdhsa_reserve_vcc 1
		.amdhsa_reserve_flat_scratch 0
		.amdhsa_float_round_mode_32 0
		.amdhsa_float_round_mode_16_64 0
		.amdhsa_float_denorm_mode_32 3
		.amdhsa_float_denorm_mode_16_64 3
		.amdhsa_dx10_clamp 1
		.amdhsa_ieee_mode 1
		.amdhsa_fp16_overflow 0
		.amdhsa_exception_fp_ieee_invalid_op 0
		.amdhsa_exception_fp_denorm_src 0
		.amdhsa_exception_fp_ieee_div_zero 0
		.amdhsa_exception_fp_ieee_overflow 0
		.amdhsa_exception_fp_ieee_underflow 0
		.amdhsa_exception_fp_ieee_inexact 0
		.amdhsa_exception_int_div_zero 0
	.end_amdhsa_kernel
	.section	.text._ZN2at6native29vectorized_elementwise_kernelILi8ENS0_13BinaryFunctorIN3c1011Float8_e5m2ES4_bNS0_12_GLOBAL__N_116CompareEqFunctorIS4_EEEESt5arrayIPcLm3EEEEviT0_T1_,"axG",@progbits,_ZN2at6native29vectorized_elementwise_kernelILi8ENS0_13BinaryFunctorIN3c1011Float8_e5m2ES4_bNS0_12_GLOBAL__N_116CompareEqFunctorIS4_EEEESt5arrayIPcLm3EEEEviT0_T1_,comdat
.Lfunc_end226:
	.size	_ZN2at6native29vectorized_elementwise_kernelILi8ENS0_13BinaryFunctorIN3c1011Float8_e5m2ES4_bNS0_12_GLOBAL__N_116CompareEqFunctorIS4_EEEESt5arrayIPcLm3EEEEviT0_T1_, .Lfunc_end226-_ZN2at6native29vectorized_elementwise_kernelILi8ENS0_13BinaryFunctorIN3c1011Float8_e5m2ES4_bNS0_12_GLOBAL__N_116CompareEqFunctorIS4_EEEESt5arrayIPcLm3EEEEviT0_T1_
                                        ; -- End function
	.set _ZN2at6native29vectorized_elementwise_kernelILi8ENS0_13BinaryFunctorIN3c1011Float8_e5m2ES4_bNS0_12_GLOBAL__N_116CompareEqFunctorIS4_EEEESt5arrayIPcLm3EEEEviT0_T1_.num_vgpr, max(32, .L_ZN2at6native25elementwise_kernel_helperILb0ENS0_13BinaryFunctorIN3c1011Float8_e5m2ES4_bNS0_12_GLOBAL__N_116CompareEqFunctorIS4_EEEENS0_6memory8policies11unroll_baseILi256ESt5arrayIPcLm3EE23TrivialOffsetCalculatorILi2EjESF_ILi1EjENS9_15LoadWithoutCastENS9_16StoreWithoutCastELi16ELi1EEEEEvT0_T1_.num_vgpr)
	.set _ZN2at6native29vectorized_elementwise_kernelILi8ENS0_13BinaryFunctorIN3c1011Float8_e5m2ES4_bNS0_12_GLOBAL__N_116CompareEqFunctorIS4_EEEESt5arrayIPcLm3EEEEviT0_T1_.num_agpr, max(0, .L_ZN2at6native25elementwise_kernel_helperILb0ENS0_13BinaryFunctorIN3c1011Float8_e5m2ES4_bNS0_12_GLOBAL__N_116CompareEqFunctorIS4_EEEENS0_6memory8policies11unroll_baseILi256ESt5arrayIPcLm3EE23TrivialOffsetCalculatorILi2EjESF_ILi1EjENS9_15LoadWithoutCastENS9_16StoreWithoutCastELi16ELi1EEEEEvT0_T1_.num_agpr)
	.set _ZN2at6native29vectorized_elementwise_kernelILi8ENS0_13BinaryFunctorIN3c1011Float8_e5m2ES4_bNS0_12_GLOBAL__N_116CompareEqFunctorIS4_EEEESt5arrayIPcLm3EEEEviT0_T1_.numbered_sgpr, max(61, .L_ZN2at6native25elementwise_kernel_helperILb0ENS0_13BinaryFunctorIN3c1011Float8_e5m2ES4_bNS0_12_GLOBAL__N_116CompareEqFunctorIS4_EEEENS0_6memory8policies11unroll_baseILi256ESt5arrayIPcLm3EE23TrivialOffsetCalculatorILi2EjESF_ILi1EjENS9_15LoadWithoutCastENS9_16StoreWithoutCastELi16ELi1EEEEEvT0_T1_.numbered_sgpr)
	.set _ZN2at6native29vectorized_elementwise_kernelILi8ENS0_13BinaryFunctorIN3c1011Float8_e5m2ES4_bNS0_12_GLOBAL__N_116CompareEqFunctorIS4_EEEESt5arrayIPcLm3EEEEviT0_T1_.num_named_barrier, max(0, .L_ZN2at6native25elementwise_kernel_helperILb0ENS0_13BinaryFunctorIN3c1011Float8_e5m2ES4_bNS0_12_GLOBAL__N_116CompareEqFunctorIS4_EEEENS0_6memory8policies11unroll_baseILi256ESt5arrayIPcLm3EE23TrivialOffsetCalculatorILi2EjESF_ILi1EjENS9_15LoadWithoutCastENS9_16StoreWithoutCastELi16ELi1EEEEEvT0_T1_.num_named_barrier)
	.set _ZN2at6native29vectorized_elementwise_kernelILi8ENS0_13BinaryFunctorIN3c1011Float8_e5m2ES4_bNS0_12_GLOBAL__N_116CompareEqFunctorIS4_EEEESt5arrayIPcLm3EEEEviT0_T1_.private_seg_size, 0+max(.L_ZN2at6native25elementwise_kernel_helperILb0ENS0_13BinaryFunctorIN3c1011Float8_e5m2ES4_bNS0_12_GLOBAL__N_116CompareEqFunctorIS4_EEEENS0_6memory8policies11unroll_baseILi256ESt5arrayIPcLm3EE23TrivialOffsetCalculatorILi2EjESF_ILi1EjENS9_15LoadWithoutCastENS9_16StoreWithoutCastELi16ELi1EEEEEvT0_T1_.private_seg_size)
	.set _ZN2at6native29vectorized_elementwise_kernelILi8ENS0_13BinaryFunctorIN3c1011Float8_e5m2ES4_bNS0_12_GLOBAL__N_116CompareEqFunctorIS4_EEEESt5arrayIPcLm3EEEEviT0_T1_.uses_vcc, or(1, .L_ZN2at6native25elementwise_kernel_helperILb0ENS0_13BinaryFunctorIN3c1011Float8_e5m2ES4_bNS0_12_GLOBAL__N_116CompareEqFunctorIS4_EEEENS0_6memory8policies11unroll_baseILi256ESt5arrayIPcLm3EE23TrivialOffsetCalculatorILi2EjESF_ILi1EjENS9_15LoadWithoutCastENS9_16StoreWithoutCastELi16ELi1EEEEEvT0_T1_.uses_vcc)
	.set _ZN2at6native29vectorized_elementwise_kernelILi8ENS0_13BinaryFunctorIN3c1011Float8_e5m2ES4_bNS0_12_GLOBAL__N_116CompareEqFunctorIS4_EEEESt5arrayIPcLm3EEEEviT0_T1_.uses_flat_scratch, or(0, .L_ZN2at6native25elementwise_kernel_helperILb0ENS0_13BinaryFunctorIN3c1011Float8_e5m2ES4_bNS0_12_GLOBAL__N_116CompareEqFunctorIS4_EEEENS0_6memory8policies11unroll_baseILi256ESt5arrayIPcLm3EE23TrivialOffsetCalculatorILi2EjESF_ILi1EjENS9_15LoadWithoutCastENS9_16StoreWithoutCastELi16ELi1EEEEEvT0_T1_.uses_flat_scratch)
	.set _ZN2at6native29vectorized_elementwise_kernelILi8ENS0_13BinaryFunctorIN3c1011Float8_e5m2ES4_bNS0_12_GLOBAL__N_116CompareEqFunctorIS4_EEEESt5arrayIPcLm3EEEEviT0_T1_.has_dyn_sized_stack, or(0, .L_ZN2at6native25elementwise_kernel_helperILb0ENS0_13BinaryFunctorIN3c1011Float8_e5m2ES4_bNS0_12_GLOBAL__N_116CompareEqFunctorIS4_EEEENS0_6memory8policies11unroll_baseILi256ESt5arrayIPcLm3EE23TrivialOffsetCalculatorILi2EjESF_ILi1EjENS9_15LoadWithoutCastENS9_16StoreWithoutCastELi16ELi1EEEEEvT0_T1_.has_dyn_sized_stack)
	.set _ZN2at6native29vectorized_elementwise_kernelILi8ENS0_13BinaryFunctorIN3c1011Float8_e5m2ES4_bNS0_12_GLOBAL__N_116CompareEqFunctorIS4_EEEESt5arrayIPcLm3EEEEviT0_T1_.has_recursion, or(0, .L_ZN2at6native25elementwise_kernel_helperILb0ENS0_13BinaryFunctorIN3c1011Float8_e5m2ES4_bNS0_12_GLOBAL__N_116CompareEqFunctorIS4_EEEENS0_6memory8policies11unroll_baseILi256ESt5arrayIPcLm3EE23TrivialOffsetCalculatorILi2EjESF_ILi1EjENS9_15LoadWithoutCastENS9_16StoreWithoutCastELi16ELi1EEEEEvT0_T1_.has_recursion)
	.set _ZN2at6native29vectorized_elementwise_kernelILi8ENS0_13BinaryFunctorIN3c1011Float8_e5m2ES4_bNS0_12_GLOBAL__N_116CompareEqFunctorIS4_EEEESt5arrayIPcLm3EEEEviT0_T1_.has_indirect_call, or(0, .L_ZN2at6native25elementwise_kernel_helperILb0ENS0_13BinaryFunctorIN3c1011Float8_e5m2ES4_bNS0_12_GLOBAL__N_116CompareEqFunctorIS4_EEEENS0_6memory8policies11unroll_baseILi256ESt5arrayIPcLm3EE23TrivialOffsetCalculatorILi2EjESF_ILi1EjENS9_15LoadWithoutCastENS9_16StoreWithoutCastELi16ELi1EEEEEvT0_T1_.has_indirect_call)
	.section	.AMDGPU.csdata,"",@progbits
; Kernel info:
; codeLenInByte = 3396
; TotalNumSgprs: 65
; NumVgprs: 55
; ScratchSize: 0
; MemoryBound: 0
; FloatMode: 240
; IeeeMode: 1
; LDSByteSize: 0 bytes/workgroup (compile time only)
; SGPRBlocks: 8
; VGPRBlocks: 13
; NumSGPRsForWavesPerEU: 65
; NumVGPRsForWavesPerEU: 55
; Occupancy: 4
; WaveLimiterHint : 1
; COMPUTE_PGM_RSRC2:SCRATCH_EN: 0
; COMPUTE_PGM_RSRC2:USER_SGPR: 6
; COMPUTE_PGM_RSRC2:TRAP_HANDLER: 0
; COMPUTE_PGM_RSRC2:TGID_X_EN: 1
; COMPUTE_PGM_RSRC2:TGID_Y_EN: 0
; COMPUTE_PGM_RSRC2:TGID_Z_EN: 0
; COMPUTE_PGM_RSRC2:TIDIG_COMP_CNT: 0
	.section	.text._ZN2at6native29vectorized_elementwise_kernelILi4ENS0_13BinaryFunctorIN3c1011Float8_e5m2ES4_bNS0_12_GLOBAL__N_116CompareEqFunctorIS4_EEEESt5arrayIPcLm3EEEEviT0_T1_,"axG",@progbits,_ZN2at6native29vectorized_elementwise_kernelILi4ENS0_13BinaryFunctorIN3c1011Float8_e5m2ES4_bNS0_12_GLOBAL__N_116CompareEqFunctorIS4_EEEESt5arrayIPcLm3EEEEviT0_T1_,comdat
	.globl	_ZN2at6native29vectorized_elementwise_kernelILi4ENS0_13BinaryFunctorIN3c1011Float8_e5m2ES4_bNS0_12_GLOBAL__N_116CompareEqFunctorIS4_EEEESt5arrayIPcLm3EEEEviT0_T1_ ; -- Begin function _ZN2at6native29vectorized_elementwise_kernelILi4ENS0_13BinaryFunctorIN3c1011Float8_e5m2ES4_bNS0_12_GLOBAL__N_116CompareEqFunctorIS4_EEEESt5arrayIPcLm3EEEEviT0_T1_
	.p2align	8
	.type	_ZN2at6native29vectorized_elementwise_kernelILi4ENS0_13BinaryFunctorIN3c1011Float8_e5m2ES4_bNS0_12_GLOBAL__N_116CompareEqFunctorIS4_EEEESt5arrayIPcLm3EEEEviT0_T1_,@function
_ZN2at6native29vectorized_elementwise_kernelILi4ENS0_13BinaryFunctorIN3c1011Float8_e5m2ES4_bNS0_12_GLOBAL__N_116CompareEqFunctorIS4_EEEESt5arrayIPcLm3EEEEviT0_T1_: ; @_ZN2at6native29vectorized_elementwise_kernelILi4ENS0_13BinaryFunctorIN3c1011Float8_e5m2ES4_bNS0_12_GLOBAL__N_116CompareEqFunctorIS4_EEEESt5arrayIPcLm3EEEEviT0_T1_
; %bb.0:
	s_load_dwordx2 s[56:57], s[4:5], 0x0
	s_load_dwordx4 s[52:55], s[4:5], 0x8
	s_load_dwordx2 s[50:51], s[4:5], 0x18
	s_add_u32 s0, s0, s7
	s_addc_u32 s1, s1, 0
	s_lshl_b32 s33, s6, 12
	s_waitcnt lgkmcnt(0)
	s_sub_i32 s7, s56, s33
	s_cmpk_gt_i32 s7, 0xfff
	s_mov_b64 s[4:5], -1
	s_mov_b32 s32, 0
	s_cbranch_scc1 .LBB227_3
; %bb.1:
	s_andn2_b64 vcc, exec, s[4:5]
	s_cbranch_vccz .LBB227_4
.LBB227_2:
	s_endpgm
.LBB227_3:
	s_ashr_i32 s56, s33, 31
	s_add_u32 s4, s54, s33
	s_addc_u32 s5, s55, s56
	v_lshlrev_b32_e32 v1, 2, v0
	global_load_dword v3, v1, s[4:5] offset:3072
	s_add_u32 s8, s50, s33
	s_addc_u32 s9, s51, s56
	global_load_dword v2, v1, s[8:9] offset:3072
	global_load_dword v5, v1, s[4:5] offset:2048
	global_load_dword v4, v1, s[8:9] offset:2048
	global_load_dword v7, v1, s[4:5] offset:1024
	global_load_dword v9, v1, s[4:5]
	global_load_dword v8, v1, s[8:9]
	global_load_dword v6, v1, s[8:9] offset:1024
	s_movk_i32 s59, 0x7f00
	s_brev_b32 s60, 16
	s_brev_b32 s58, 1
	s_cmp_eq_u32 s57, 0
	s_waitcnt vmcnt(7)
	v_lshlrev_b32_e32 v11, 5, v3
	v_lshrrev_b32_e32 v10, 8, v3
	v_and_b32_e32 v11, 0xfe00000, v11
	v_lshlrev_b32_e32 v12, 17, v10
	v_and_or_b32 v10, v10, s59, 0.5
	v_or_b32_e32 v11, 0x70000000, v11
	v_cmp_gt_u32_e32 vcc, s60, v12
	s_waitcnt vmcnt(6)
	v_lshrrev_b32_e32 v12, 8, v2
	v_add_f32_e32 v10, -0.5, v10
	v_mul_f32_e32 v11, 0x7800000, v11
	v_cndmask_b32_e32 v10, v11, v10, vcc
	v_lshlrev_b32_e32 v11, 17, v12
	v_cmp_gt_u32_e32 vcc, s60, v11
	v_lshlrev_b32_e32 v11, 8, v3
	v_and_or_b32 v10, v11, s58, v10
	v_lshlrev_b32_e32 v11, 5, v2
	v_and_b32_e32 v11, 0xfe00000, v11
	v_and_or_b32 v12, v12, s59, 0.5
	v_or_b32_e32 v11, 0x70000000, v11
	v_add_f32_e32 v12, -0.5, v12
	v_mul_f32_e32 v11, 0x7800000, v11
	v_cndmask_b32_e32 v11, v11, v12, vcc
	v_lshlrev_b32_e32 v12, 8, v2
	v_and_or_b32 v11, v12, s58, v11
	s_waitcnt vmcnt(5)
	v_lshlrev_b32_e32 v12, 17, v5
	v_cmp_eq_f32_e32 vcc, v10, v11
	v_cmp_neq_f32_e64 s[4:5], v10, v11
	v_lshlrev_b32_e32 v10, 13, v5
	v_cmp_gt_u32_e64 s[8:9], s60, v12
	s_waitcnt vmcnt(4)
	v_lshlrev_b32_e32 v12, 17, v4
	v_and_b32_e32 v10, 0xfe00000, v10
	v_cmp_gt_u32_e64 s[10:11], s60, v12
	v_and_or_b32 v12, v5, s59, 0.5
	v_or_b32_e32 v10, 0x70000000, v10
	v_add_f32_e32 v12, -0.5, v12
	v_mul_f32_e32 v10, 0x7800000, v10
	v_cndmask_b32_e64 v10, v10, v12, s[8:9]
	v_lshlrev_b32_e32 v12, 13, v4
	v_lshlrev_b32_e32 v11, 16, v5
	v_and_b32_e32 v12, 0xfe00000, v12
	v_and_or_b32 v10, v11, s58, v10
	v_and_or_b32 v11, v4, s59, 0.5
	v_or_b32_e32 v12, 0x70000000, v12
	v_add_f32_e32 v11, -0.5, v11
	v_mul_f32_e32 v12, 0x7800000, v12
	v_cndmask_b32_e64 v11, v12, v11, s[10:11]
	v_lshlrev_b32_e32 v12, 16, v4
	v_and_or_b32 v11, v12, s58, v11
	v_cmp_eq_f32_e64 s[48:49], v10, v11
	v_cmp_neq_f32_e64 s[8:9], v10, v11
	v_lshlrev_b32_e32 v10, 5, v5
	v_lshrrev_b32_e32 v12, 8, v5
	v_and_b32_e32 v10, 0xfe00000, v10
	v_lshlrev_b32_e32 v11, 17, v12
	v_and_or_b32 v12, v12, s59, 0.5
	v_or_b32_e32 v10, 0x70000000, v10
	v_cmp_gt_u32_e64 s[10:11], s60, v11
	v_lshrrev_b32_e32 v11, 8, v4
	v_add_f32_e32 v12, -0.5, v12
	v_mul_f32_e32 v10, 0x7800000, v10
	v_cndmask_b32_e64 v10, v10, v12, s[10:11]
	v_lshlrev_b32_e32 v12, 17, v11
	v_cmp_gt_u32_e64 s[10:11], s60, v12
	v_lshlrev_b32_e32 v12, 8, v5
	v_and_or_b32 v10, v12, s58, v10
	v_lshlrev_b32_e32 v12, 5, v4
	v_and_b32_e32 v12, 0xfe00000, v12
	v_and_or_b32 v11, v11, s59, 0.5
	v_or_b32_e32 v12, 0x70000000, v12
	v_add_f32_e32 v11, -0.5, v11
	v_mul_f32_e32 v12, 0x7800000, v12
	v_cndmask_b32_e64 v11, v12, v11, s[10:11]
	v_lshlrev_b32_e32 v12, 8, v4
	v_and_or_b32 v11, v12, s58, v11
	v_cmp_eq_f32_e64 s[10:11], v10, v11
	v_cmp_neq_f32_e64 s[12:13], v10, v11
	s_waitcnt vmcnt(3)
	v_lshlrev_b32_e32 v10, 13, v7
	v_lshlrev_b32_e32 v12, 17, v7
	v_and_b32_e32 v10, 0xfe00000, v10
	v_or_b32_e32 v10, 0x70000000, v10
	v_cmp_gt_u32_e64 s[14:15], s60, v12
	v_and_or_b32 v12, v7, s59, 0.5
	v_add_f32_e32 v12, -0.5, v12
	v_mul_f32_e32 v10, 0x7800000, v10
	v_lshlrev_b32_e32 v11, 16, v7
	v_cndmask_b32_e64 v10, v10, v12, s[14:15]
	v_and_or_b32 v10, v11, s58, v10
	s_waitcnt vmcnt(0)
	v_lshlrev_b32_e32 v11, 13, v6
	v_lshlrev_b32_e32 v12, 17, v6
	v_and_b32_e32 v11, 0xfe00000, v11
	v_or_b32_e32 v11, 0x70000000, v11
	v_cmp_gt_u32_e64 s[14:15], s60, v12
	v_and_or_b32 v12, v6, s59, 0.5
	v_add_f32_e32 v12, -0.5, v12
	v_mul_f32_e32 v11, 0x7800000, v11
	v_cndmask_b32_e64 v11, v11, v12, s[14:15]
	v_lshlrev_b32_e32 v12, 16, v6
	v_and_or_b32 v11, v12, s58, v11
	v_cmp_eq_f32_e64 s[14:15], v10, v11
	v_cmp_neq_f32_e64 s[16:17], v10, v11
	v_lshlrev_b32_e32 v11, 5, v7
	v_lshrrev_b32_e32 v10, 8, v7
	v_and_b32_e32 v11, 0xfe00000, v11
	v_or_b32_e32 v11, 0x70000000, v11
	v_lshlrev_b32_e32 v12, 17, v10
	v_and_or_b32 v10, v10, s59, 0.5
	v_add_f32_e32 v10, -0.5, v10
	v_mul_f32_e32 v11, 0x7800000, v11
	v_cmp_gt_u32_e64 s[18:19], s60, v12
	v_cndmask_b32_e64 v10, v11, v10, s[18:19]
	v_lshlrev_b32_e32 v11, 8, v7
	v_and_or_b32 v10, v11, s58, v10
	v_lshrrev_b32_e32 v11, 8, v6
	v_lshlrev_b32_e32 v12, 17, v11
	v_cmp_gt_u32_e64 s[18:19], s60, v12
	v_lshlrev_b32_e32 v12, 5, v6
	v_and_b32_e32 v12, 0xfe00000, v12
	v_or_b32_e32 v12, 0x70000000, v12
	v_and_or_b32 v11, v11, s59, 0.5
	v_add_f32_e32 v11, -0.5, v11
	v_mul_f32_e32 v12, 0x7800000, v12
	v_cndmask_b32_e64 v11, v12, v11, s[18:19]
	v_lshlrev_b32_e32 v12, 8, v6
	v_and_or_b32 v11, v12, s58, v11
	v_cmp_eq_f32_e64 s[18:19], v10, v11
	v_cmp_neq_f32_e64 s[20:21], v10, v11
	v_lshlrev_b32_e32 v10, 13, v9
	v_and_b32_e32 v10, 0xfe00000, v10
	v_lshlrev_b32_e32 v12, 17, v9
	v_and_or_b32 v11, v9, s59, 0.5
	v_or_b32_e32 v10, 0x70000000, v10
	v_add_f32_e32 v11, -0.5, v11
	v_mul_f32_e32 v10, 0x7800000, v10
	v_cmp_gt_u32_e64 s[22:23], s60, v12
	v_lshlrev_b32_e32 v12, 16, v9
	v_cndmask_b32_e64 v10, v10, v11, s[22:23]
	v_and_or_b32 v10, v12, s58, v10
	v_lshlrev_b32_e32 v12, 13, v8
	v_lshlrev_b32_e32 v11, 17, v8
	v_and_b32_e32 v12, 0xfe00000, v12
	v_cmp_gt_u32_e64 s[22:23], s60, v11
	v_and_or_b32 v11, v8, s59, 0.5
	v_or_b32_e32 v12, 0x70000000, v12
	v_add_f32_e32 v11, -0.5, v11
	v_mul_f32_e32 v12, 0x7800000, v12
	v_cndmask_b32_e64 v11, v12, v11, s[22:23]
	v_lshlrev_b32_e32 v12, 16, v8
	v_and_or_b32 v11, v12, s58, v11
	v_cmp_eq_f32_e64 s[22:23], v10, v11
	v_cmp_neq_f32_e64 s[24:25], v10, v11
	v_lshlrev_b32_e32 v10, 5, v9
	v_lshrrev_b32_e32 v12, 8, v9
	v_and_b32_e32 v10, 0xfe00000, v10
	v_lshlrev_b32_e32 v11, 17, v12
	v_and_or_b32 v12, v12, s59, 0.5
	v_or_b32_e32 v10, 0x70000000, v10
	v_add_f32_e32 v12, -0.5, v12
	v_mul_f32_e32 v10, 0x7800000, v10
	v_cmp_gt_u32_e64 s[26:27], s60, v11
	v_lshlrev_b32_e32 v11, 8, v9
	v_cndmask_b32_e64 v10, v10, v12, s[26:27]
	v_lshrrev_b32_e32 v12, 8, v8
	v_and_or_b32 v10, v11, s58, v10
	v_lshlrev_b32_e32 v11, 17, v12
	v_cmp_gt_u32_e64 s[26:27], s60, v11
	v_lshlrev_b32_e32 v11, 5, v8
	v_and_b32_e32 v11, 0xfe00000, v11
	v_and_or_b32 v12, v12, s59, 0.5
	v_or_b32_e32 v11, 0x70000000, v11
	v_add_f32_e32 v12, -0.5, v12
	v_mul_f32_e32 v11, 0x7800000, v11
	v_cndmask_b32_e64 v11, v11, v12, s[26:27]
	v_lshlrev_b32_e32 v12, 8, v8
	v_and_or_b32 v11, v12, s58, v11
	v_cmp_eq_f32_e64 s[28:29], v10, v11
	v_cmp_neq_f32_e64 s[26:27], v10, v11
	v_lshrrev_b32_e32 v10, 16, v9
	v_lshlrev_b32_e32 v11, 17, v10
	v_cmp_gt_u32_e64 s[30:31], s60, v11
	v_lshlrev_b32_e32 v11, 25, v9
	v_lshlrev_b16_e32 v12, 8, v9
	v_cmp_gt_u32_e64 s[34:35], s60, v11
	v_lshrrev_b32_e32 v11, 4, v11
	v_or_b32_e32 v11, 0x70000000, v11
	v_and_or_b32 v13, v12, s59, 0.5
	v_add_f32_e32 v13, -0.5, v13
	v_mul_f32_e32 v11, 0x7800000, v11
	v_cndmask_b32_e64 v11, v11, v13, s[34:35]
	v_lshrrev_b32_e32 v13, 3, v9
	v_and_b32_e32 v13, 0xfe00000, v13
	v_and_or_b32 v10, v10, s59, 0.5
	v_or_b32_e32 v13, 0x70000000, v13
	v_add_f32_e32 v10, -0.5, v10
	v_mul_f32_e32 v13, 0x7800000, v13
	v_cndmask_b32_e64 v10, v13, v10, s[30:31]
	v_bfe_i32 v12, v12, 0, 16
	v_and_or_b32 v9, v9, s58, v10
	v_lshrrev_b32_e32 v10, 16, v8
	v_and_or_b32 v11, v12, s58, v11
	v_lshlrev_b32_e32 v12, 17, v10
	v_cmp_gt_u32_e64 s[30:31], s60, v12
	v_lshlrev_b32_e32 v12, 25, v8
	v_cmp_gt_u32_e64 s[34:35], s60, v12
	v_lshrrev_b32_e32 v12, 4, v12
	v_lshlrev_b16_e32 v13, 8, v8
	v_or_b32_e32 v12, 0x70000000, v12
	v_and_or_b32 v14, v13, s59, 0.5
	v_add_f32_e32 v14, -0.5, v14
	v_mul_f32_e32 v12, 0x7800000, v12
	v_cndmask_b32_e64 v12, v12, v14, s[34:35]
	v_lshrrev_b32_e32 v14, 3, v8
	v_and_b32_e32 v14, 0xfe00000, v14
	v_and_or_b32 v10, v10, s59, 0.5
	v_or_b32_e32 v14, 0x70000000, v14
	v_add_f32_e32 v10, -0.5, v10
	v_mul_f32_e32 v14, 0x7800000, v14
	v_cndmask_b32_e64 v10, v14, v10, s[30:31]
	v_and_or_b32 v8, v8, s58, v10
	v_bfe_i32 v10, v13, 0, 16
	v_cmp_neq_f32_e64 s[36:37], v9, v8
	v_cmp_eq_f32_e64 s[42:43], v9, v8
	v_lshlrev_b32_e32 v8, 25, v7
	v_and_or_b32 v10, v10, s58, v12
	v_lshlrev_b16_e32 v12, 8, v7
	v_lshrrev_b32_e32 v9, 4, v8
	v_or_b32_e32 v9, 0x70000000, v9
	v_cmp_gt_u32_e64 s[30:31], s60, v8
	v_and_or_b32 v8, v12, s59, 0.5
	v_add_f32_e32 v8, -0.5, v8
	v_mul_f32_e32 v9, 0x7800000, v9
	v_cndmask_b32_e64 v8, v9, v8, s[30:31]
	v_lshrrev_b32_e32 v9, 16, v7
	v_lshlrev_b32_e32 v13, 17, v9
	v_cmp_gt_u32_e64 s[30:31], s60, v13
	v_lshrrev_b32_e32 v13, 3, v7
	v_and_b32_e32 v13, 0xfe00000, v13
	v_or_b32_e32 v13, 0x70000000, v13
	v_and_or_b32 v9, v9, s59, 0.5
	v_add_f32_e32 v9, -0.5, v9
	v_mul_f32_e32 v13, 0x7800000, v13
	v_cndmask_b32_e64 v9, v13, v9, s[30:31]
	v_and_or_b32 v7, v7, s58, v9
	v_lshlrev_b32_e32 v9, 25, v6
	v_cmp_neq_f32_e64 s[30:31], v11, v10
	v_cmp_eq_f32_e64 s[34:35], v11, v10
	v_lshrrev_b32_e32 v10, 4, v9
	v_lshlrev_b16_e32 v11, 8, v6
	v_or_b32_e32 v10, 0x70000000, v10
	v_cmp_gt_u32_e64 s[38:39], s60, v9
	v_and_or_b32 v9, v11, s59, 0.5
	v_add_f32_e32 v9, -0.5, v9
	v_mul_f32_e32 v10, 0x7800000, v10
	v_cndmask_b32_e64 v9, v10, v9, s[38:39]
	v_lshrrev_b32_e32 v10, 16, v6
	v_lshlrev_b32_e32 v13, 17, v10
	v_cmp_gt_u32_e64 s[38:39], s60, v13
	v_lshrrev_b32_e32 v13, 3, v6
	v_and_b32_e32 v13, 0xfe00000, v13
	v_or_b32_e32 v13, 0x70000000, v13
	v_and_or_b32 v10, v10, s59, 0.5
	v_add_f32_e32 v10, -0.5, v10
	v_mul_f32_e32 v13, 0x7800000, v13
	v_cndmask_b32_e64 v10, v13, v10, s[38:39]
	v_and_or_b32 v6, v6, s58, v10
	v_lshlrev_b32_e32 v10, 25, v5
	v_cmp_gt_u32_e64 s[38:39], s60, v10
	v_lshrrev_b32_e32 v10, 4, v10
	v_lshlrev_b16_e32 v13, 8, v5
	v_or_b32_e32 v10, 0x70000000, v10
	v_and_or_b32 v14, v13, s59, 0.5
	v_add_f32_e32 v14, -0.5, v14
	v_mul_f32_e32 v10, 0x7800000, v10
	v_cndmask_b32_e64 v10, v10, v14, s[38:39]
	v_lshrrev_b32_e32 v14, 16, v5
	v_lshlrev_b32_e32 v15, 17, v14
	v_cmp_gt_u32_e64 s[38:39], s60, v15
	v_lshrrev_b32_e32 v15, 3, v5
	v_and_b32_e32 v15, 0xfe00000, v15
	v_or_b32_e32 v15, 0x70000000, v15
	v_and_or_b32 v14, v14, s59, 0.5
	v_add_f32_e32 v14, -0.5, v14
	v_mul_f32_e32 v15, 0x7800000, v15
	v_cndmask_b32_e64 v14, v15, v14, s[38:39]
	v_cmp_neq_f32_e64 s[38:39], v7, v6
	v_cmp_eq_f32_e64 s[40:41], v7, v6
	v_bfe_i32 v6, v12, 0, 16
	v_lshlrev_b32_e32 v7, 25, v4
	v_and_or_b32 v6, v6, s58, v8
	v_lshlrev_b16_e32 v8, 8, v4
	v_cmp_gt_u32_e64 s[44:45], s60, v7
	v_lshrrev_b32_e32 v7, 4, v7
	v_and_or_b32 v12, v8, s59, 0.5
	v_or_b32_e32 v7, 0x70000000, v7
	v_bfe_i32 v11, v11, 0, 16
	v_add_f32_e32 v12, -0.5, v12
	v_mul_f32_e32 v7, 0x7800000, v7
	v_and_or_b32 v9, v11, s58, v9
	v_lshrrev_b32_e32 v11, 3, v4
	v_cndmask_b32_e64 v7, v7, v12, s[44:45]
	v_lshrrev_b32_e32 v12, 16, v4
	v_and_b32_e32 v11, 0xfe00000, v11
	v_lshlrev_b32_e32 v15, 17, v12
	v_or_b32_e32 v11, 0x70000000, v11
	v_and_or_b32 v12, v12, s59, 0.5
	v_cmp_gt_u32_e64 s[44:45], s60, v15
	v_add_f32_e32 v12, -0.5, v12
	v_mul_f32_e32 v11, 0x7800000, v11
	v_cndmask_b32_e64 v11, v11, v12, s[44:45]
	v_lshlrev_b32_e32 v12, 17, v3
	v_lshlrev_b32_e32 v15, 13, v3
	v_cmp_gt_u32_e64 s[44:45], s60, v12
	v_and_b32_e32 v12, 0xfe00000, v15
	v_or_b32_e32 v12, 0x70000000, v12
	v_and_or_b32 v15, v3, s59, 0.5
	v_add_f32_e32 v15, -0.5, v15
	v_mul_f32_e32 v12, 0x7800000, v12
	v_cndmask_b32_e64 v12, v12, v15, s[44:45]
	v_lshlrev_b32_e32 v15, 25, v3
	v_cmp_gt_u32_e64 s[44:45], s60, v15
	v_lshrrev_b32_e32 v15, 4, v15
	v_lshlrev_b16_e32 v16, 8, v3
	v_or_b32_e32 v15, 0x70000000, v15
	v_and_or_b32 v17, v16, s59, 0.5
	v_add_f32_e32 v17, -0.5, v17
	v_mul_f32_e32 v15, 0x7800000, v15
	v_lshrrev_b32_e32 v18, 16, v3
	v_cndmask_b32_e64 v15, v15, v17, s[44:45]
	v_cmp_neq_f32_e64 s[44:45], v6, v9
	v_lshrrev_b32_e32 v17, 3, v3
	v_cmp_eq_f32_e64 s[46:47], v6, v9
	v_lshlrev_b32_e32 v6, 17, v18
	v_cndmask_b32_e64 v9, 0, 1, s[42:43]
	v_cmp_gt_u32_e64 s[42:43], s60, v6
	v_and_b32_e32 v6, 0xfe00000, v17
	v_and_or_b32 v5, v5, s58, v14
	v_or_b32_e32 v6, 0x70000000, v6
	v_and_or_b32 v14, v18, s59, 0.5
	v_add_f32_e32 v14, -0.5, v14
	v_mul_f32_e32 v6, 0x7800000, v6
	v_and_or_b32 v4, v4, s58, v11
	v_lshlrev_b32_e32 v11, 13, v2
	v_cndmask_b32_e64 v6, v6, v14, s[42:43]
	v_cmp_neq_f32_e64 s[42:43], v5, v4
	v_cndmask_b32_e64 v18, 0, 1, s[36:37]
	v_cmp_eq_f32_e64 s[36:37], v5, v4
	v_and_b32_e32 v5, 0xfe00000, v11
	v_and_or_b32 v14, v2, s59, 0.5
	v_lshlrev_b32_e32 v17, 17, v2
	v_or_b32_e32 v5, 0x70000000, v5
	v_cndmask_b32_e64 v4, 0, 1, s[28:29]
	v_cmp_gt_u32_e64 s[28:29], s60, v17
	v_add_f32_e32 v11, -0.5, v14
	v_mul_f32_e32 v5, 0x7800000, v5
	v_cndmask_b32_e64 v5, v5, v11, s[28:29]
	v_bfe_i32 v11, v13, 0, 16
	v_and_or_b32 v10, v11, s58, v10
	v_bfe_i32 v8, v8, 0, 16
	v_lshlrev_b32_e32 v11, 25, v2
	v_and_or_b32 v7, v8, s58, v7
	v_lshlrev_b16_e32 v8, 8, v2
	v_cmp_gt_u32_e64 s[28:29], s60, v11
	v_lshrrev_b32_e32 v11, 4, v11
	v_and_or_b32 v13, v8, s59, 0.5
	v_or_b32_e32 v11, 0x70000000, v11
	v_add_f32_e32 v13, -0.5, v13
	v_mul_f32_e32 v11, 0x7800000, v11
	v_and_or_b32 v6, v3, s58, v6
	v_lshlrev_b32_e32 v3, 16, v3
	v_lshrrev_b32_e32 v14, 3, v2
	v_cndmask_b32_e64 v11, v11, v13, s[28:29]
	v_bfe_i32 v13, v16, 0, 16
	v_and_or_b32 v3, v3, s58, v12
	v_lshrrev_b32_e32 v12, 16, v2
	v_and_b32_e32 v14, 0xfe00000, v14
	v_and_or_b32 v13, v13, s58, v15
	v_lshlrev_b32_e32 v15, 17, v12
	v_or_b32_e32 v14, 0x70000000, v14
	v_and_or_b32 v12, v12, s59, 0.5
	v_cmp_gt_u32_e64 s[28:29], s60, v15
	v_add_f32_e32 v12, -0.5, v12
	v_mul_f32_e32 v14, 0x7800000, v14
	v_cndmask_b32_e64 v12, v14, v12, s[28:29]
	v_bfe_i32 v8, v8, 0, 16
	v_and_or_b32 v8, v8, s58, v11
	v_and_or_b32 v11, v2, s58, v12
	v_lshlrev_b32_e32 v2, 16, v2
	v_and_or_b32 v2, v2, s58, v5
	v_cndmask_b32_e64 v5, 0, 1, s[26:27]
	s_cselect_b64 s[26:27], -1, 0
	v_cndmask_b32_e64 v4, v5, v4, s[26:27]
	v_cndmask_b32_e64 v5, 0, 1, s[34:35]
	;; [unrolled: 1-line block ×3, first 2 shown]
	v_cmp_neq_f32_e64 s[28:29], v10, v7
	v_cmp_eq_f32_e64 s[30:31], v10, v7
	v_cndmask_b32_e64 v7, 0, 1, s[22:23]
	v_cndmask_b32_e64 v10, 0, 1, s[24:25]
	;; [unrolled: 1-line block ×6, first 2 shown]
	v_cmp_neq_f32_e64 s[22:23], v6, v11
	v_cmp_eq_f32_e64 s[24:25], v6, v11
	v_cndmask_b32_e64 v6, 0, 1, s[18:19]
	v_cndmask_b32_e64 v11, 0, 1, s[20:21]
	;; [unrolled: 1-line block ×7, first 2 shown]
	v_cmp_neq_f32_e64 s[18:19], v13, v8
	v_cmp_eq_f32_e64 s[20:21], v13, v8
	v_cndmask_b32_e64 v8, 0, 1, s[14:15]
	v_cndmask_b32_e64 v12, 0, 1, s[16:17]
	;; [unrolled: 1-line block ×5, first 2 shown]
	v_cmp_eq_f32_e64 s[14:15], v3, v2
	v_cmp_neq_f32_e64 s[16:17], v3, v2
	v_cndmask_b32_e64 v2, 0, 1, s[10:11]
	v_cndmask_b32_e64 v3, 0, 1, s[12:13]
	;; [unrolled: 1-line block ×13, first 2 shown]
	v_cndmask_b32_e64 v15, 0, 1, vcc
	v_cndmask_b32_e64 v16, 0, 1, s[4:5]
	v_cndmask_b32_e64 v15, v16, v15, s[26:27]
	;; [unrolled: 1-line block ×9, first 2 shown]
	v_mov_b32_e32 v18, 1
	v_and_b32_sdwa v13, v13, v18 dst_sel:BYTE_1 dst_unused:UNUSED_PAD src0_sel:DWORD src1_sel:DWORD
	v_and_b32_e32 v3, 1, v3
	v_and_b32_e32 v2, 1, v2
	v_and_b32_sdwa v12, v12, v18 dst_sel:BYTE_1 dst_unused:UNUSED_PAD src0_sel:DWORD src1_sel:DWORD
	v_or_b32_e32 v3, v3, v13
	v_or_b32_sdwa v2, v2, v12 dst_sel:WORD_1 dst_unused:UNUSED_PAD src0_sel:DWORD src1_sel:DWORD
	v_or_b32_sdwa v2, v3, v2 dst_sel:DWORD dst_unused:UNUSED_PAD src0_sel:WORD_0 src1_sel:DWORD
	v_and_b32_sdwa v3, v8, v18 dst_sel:BYTE_1 dst_unused:UNUSED_PAD src0_sel:DWORD src1_sel:DWORD
	v_and_b32_e32 v8, 1, v11
	v_or_b32_e32 v3, v8, v3
	v_and_b32_e32 v6, 1, v6
	v_and_b32_sdwa v8, v10, v18 dst_sel:BYTE_1 dst_unused:UNUSED_PAD src0_sel:DWORD src1_sel:DWORD
	v_or_b32_sdwa v6, v6, v8 dst_sel:WORD_1 dst_unused:UNUSED_PAD src0_sel:DWORD src1_sel:DWORD
	v_or_b32_sdwa v3, v3, v6 dst_sel:DWORD dst_unused:UNUSED_PAD src0_sel:WORD_0 src1_sel:DWORD
	v_and_b32_sdwa v6, v7, v18 dst_sel:BYTE_1 dst_unused:UNUSED_PAD src0_sel:DWORD src1_sel:DWORD
	v_and_b32_e32 v5, 1, v5
	v_or_b32_e32 v5, v5, v6
	v_and_b32_e32 v4, 1, v4
	v_and_b32_sdwa v6, v9, v18 dst_sel:BYTE_1 dst_unused:UNUSED_PAD src0_sel:DWORD src1_sel:DWORD
	v_and_b32_sdwa v17, v17, v18 dst_sel:BYTE_1 dst_unused:UNUSED_PAD src0_sel:DWORD src1_sel:DWORD
	v_and_b32_e32 v16, 1, v16
	v_and_b32_e32 v15, 1, v15
	v_and_b32_sdwa v14, v14, v18 dst_sel:BYTE_1 dst_unused:UNUSED_PAD src0_sel:DWORD src1_sel:DWORD
	v_or_b32_sdwa v4, v4, v6 dst_sel:WORD_1 dst_unused:UNUSED_PAD src0_sel:DWORD src1_sel:DWORD
	s_add_u32 s4, s52, s33
	v_or_b32_e32 v16, v16, v17
	v_or_b32_sdwa v14, v15, v14 dst_sel:WORD_1 dst_unused:UNUSED_PAD src0_sel:DWORD src1_sel:DWORD
	v_or_b32_sdwa v4, v5, v4 dst_sel:DWORD dst_unused:UNUSED_PAD src0_sel:WORD_0 src1_sel:DWORD
	s_addc_u32 s5, s53, s56
	v_or_b32_sdwa v14, v16, v14 dst_sel:DWORD dst_unused:UNUSED_PAD src0_sel:WORD_0 src1_sel:DWORD
	global_store_dword v1, v4, s[4:5]
	global_store_dword v1, v3, s[4:5] offset:1024
	global_store_dword v1, v2, s[4:5] offset:2048
	;; [unrolled: 1-line block ×3, first 2 shown]
	s_cbranch_execnz .LBB227_2
.LBB227_4:
	s_getpc_b64 s[4:5]
	s_add_u32 s4, s4, _ZN2at6native25elementwise_kernel_helperILb0ENS0_13BinaryFunctorIN3c1011Float8_e5m2ES4_bNS0_12_GLOBAL__N_116CompareEqFunctorIS4_EEEENS0_6memory8policies11unroll_baseILi256ESt5arrayIPcLm3EE23TrivialOffsetCalculatorILi2EjESF_ILi1EjENS9_15LoadWithoutCastENS9_16StoreWithoutCastELi16ELi1EEEEEvT0_T1_@rel32@lo+4
	s_addc_u32 s5, s5, _ZN2at6native25elementwise_kernel_helperILb0ENS0_13BinaryFunctorIN3c1011Float8_e5m2ES4_bNS0_12_GLOBAL__N_116CompareEqFunctorIS4_EEEENS0_6memory8policies11unroll_baseILi256ESt5arrayIPcLm3EE23TrivialOffsetCalculatorILi2EjESF_ILi1EjENS9_15LoadWithoutCastENS9_16StoreWithoutCastELi16ELi1EEEEEvT0_T1_@rel32@hi+12
	s_mov_b32 s12, s6
	v_mov_b32_e32 v31, v0
	v_mov_b32_e32 v0, s57
	;; [unrolled: 1-line block ×9, first 2 shown]
	s_swappc_b64 s[30:31], s[4:5]
	s_endpgm
	.section	.rodata,"a",@progbits
	.p2align	6, 0x0
	.amdhsa_kernel _ZN2at6native29vectorized_elementwise_kernelILi4ENS0_13BinaryFunctorIN3c1011Float8_e5m2ES4_bNS0_12_GLOBAL__N_116CompareEqFunctorIS4_EEEESt5arrayIPcLm3EEEEviT0_T1_
		.amdhsa_group_segment_fixed_size 0
		.amdhsa_private_segment_fixed_size 0
		.amdhsa_kernarg_size 32
		.amdhsa_user_sgpr_count 6
		.amdhsa_user_sgpr_private_segment_buffer 1
		.amdhsa_user_sgpr_dispatch_ptr 0
		.amdhsa_user_sgpr_queue_ptr 0
		.amdhsa_user_sgpr_kernarg_segment_ptr 1
		.amdhsa_user_sgpr_dispatch_id 0
		.amdhsa_user_sgpr_flat_scratch_init 0
		.amdhsa_user_sgpr_private_segment_size 0
		.amdhsa_uses_dynamic_stack 0
		.amdhsa_system_sgpr_private_segment_wavefront_offset 0
		.amdhsa_system_sgpr_workgroup_id_x 1
		.amdhsa_system_sgpr_workgroup_id_y 0
		.amdhsa_system_sgpr_workgroup_id_z 0
		.amdhsa_system_sgpr_workgroup_info 0
		.amdhsa_system_vgpr_workitem_id 0
		.amdhsa_next_free_vgpr 55
		.amdhsa_next_free_sgpr 61
		.amdhsa_reserve_vcc 1
		.amdhsa_reserve_flat_scratch 0
		.amdhsa_float_round_mode_32 0
		.amdhsa_float_round_mode_16_64 0
		.amdhsa_float_denorm_mode_32 3
		.amdhsa_float_denorm_mode_16_64 3
		.amdhsa_dx10_clamp 1
		.amdhsa_ieee_mode 1
		.amdhsa_fp16_overflow 0
		.amdhsa_exception_fp_ieee_invalid_op 0
		.amdhsa_exception_fp_denorm_src 0
		.amdhsa_exception_fp_ieee_div_zero 0
		.amdhsa_exception_fp_ieee_overflow 0
		.amdhsa_exception_fp_ieee_underflow 0
		.amdhsa_exception_fp_ieee_inexact 0
		.amdhsa_exception_int_div_zero 0
	.end_amdhsa_kernel
	.section	.text._ZN2at6native29vectorized_elementwise_kernelILi4ENS0_13BinaryFunctorIN3c1011Float8_e5m2ES4_bNS0_12_GLOBAL__N_116CompareEqFunctorIS4_EEEESt5arrayIPcLm3EEEEviT0_T1_,"axG",@progbits,_ZN2at6native29vectorized_elementwise_kernelILi4ENS0_13BinaryFunctorIN3c1011Float8_e5m2ES4_bNS0_12_GLOBAL__N_116CompareEqFunctorIS4_EEEESt5arrayIPcLm3EEEEviT0_T1_,comdat
.Lfunc_end227:
	.size	_ZN2at6native29vectorized_elementwise_kernelILi4ENS0_13BinaryFunctorIN3c1011Float8_e5m2ES4_bNS0_12_GLOBAL__N_116CompareEqFunctorIS4_EEEESt5arrayIPcLm3EEEEviT0_T1_, .Lfunc_end227-_ZN2at6native29vectorized_elementwise_kernelILi4ENS0_13BinaryFunctorIN3c1011Float8_e5m2ES4_bNS0_12_GLOBAL__N_116CompareEqFunctorIS4_EEEESt5arrayIPcLm3EEEEviT0_T1_
                                        ; -- End function
	.set _ZN2at6native29vectorized_elementwise_kernelILi4ENS0_13BinaryFunctorIN3c1011Float8_e5m2ES4_bNS0_12_GLOBAL__N_116CompareEqFunctorIS4_EEEESt5arrayIPcLm3EEEEviT0_T1_.num_vgpr, max(32, .L_ZN2at6native25elementwise_kernel_helperILb0ENS0_13BinaryFunctorIN3c1011Float8_e5m2ES4_bNS0_12_GLOBAL__N_116CompareEqFunctorIS4_EEEENS0_6memory8policies11unroll_baseILi256ESt5arrayIPcLm3EE23TrivialOffsetCalculatorILi2EjESF_ILi1EjENS9_15LoadWithoutCastENS9_16StoreWithoutCastELi16ELi1EEEEEvT0_T1_.num_vgpr)
	.set _ZN2at6native29vectorized_elementwise_kernelILi4ENS0_13BinaryFunctorIN3c1011Float8_e5m2ES4_bNS0_12_GLOBAL__N_116CompareEqFunctorIS4_EEEESt5arrayIPcLm3EEEEviT0_T1_.num_agpr, max(0, .L_ZN2at6native25elementwise_kernel_helperILb0ENS0_13BinaryFunctorIN3c1011Float8_e5m2ES4_bNS0_12_GLOBAL__N_116CompareEqFunctorIS4_EEEENS0_6memory8policies11unroll_baseILi256ESt5arrayIPcLm3EE23TrivialOffsetCalculatorILi2EjESF_ILi1EjENS9_15LoadWithoutCastENS9_16StoreWithoutCastELi16ELi1EEEEEvT0_T1_.num_agpr)
	.set _ZN2at6native29vectorized_elementwise_kernelILi4ENS0_13BinaryFunctorIN3c1011Float8_e5m2ES4_bNS0_12_GLOBAL__N_116CompareEqFunctorIS4_EEEESt5arrayIPcLm3EEEEviT0_T1_.numbered_sgpr, max(61, .L_ZN2at6native25elementwise_kernel_helperILb0ENS0_13BinaryFunctorIN3c1011Float8_e5m2ES4_bNS0_12_GLOBAL__N_116CompareEqFunctorIS4_EEEENS0_6memory8policies11unroll_baseILi256ESt5arrayIPcLm3EE23TrivialOffsetCalculatorILi2EjESF_ILi1EjENS9_15LoadWithoutCastENS9_16StoreWithoutCastELi16ELi1EEEEEvT0_T1_.numbered_sgpr)
	.set _ZN2at6native29vectorized_elementwise_kernelILi4ENS0_13BinaryFunctorIN3c1011Float8_e5m2ES4_bNS0_12_GLOBAL__N_116CompareEqFunctorIS4_EEEESt5arrayIPcLm3EEEEviT0_T1_.num_named_barrier, max(0, .L_ZN2at6native25elementwise_kernel_helperILb0ENS0_13BinaryFunctorIN3c1011Float8_e5m2ES4_bNS0_12_GLOBAL__N_116CompareEqFunctorIS4_EEEENS0_6memory8policies11unroll_baseILi256ESt5arrayIPcLm3EE23TrivialOffsetCalculatorILi2EjESF_ILi1EjENS9_15LoadWithoutCastENS9_16StoreWithoutCastELi16ELi1EEEEEvT0_T1_.num_named_barrier)
	.set _ZN2at6native29vectorized_elementwise_kernelILi4ENS0_13BinaryFunctorIN3c1011Float8_e5m2ES4_bNS0_12_GLOBAL__N_116CompareEqFunctorIS4_EEEESt5arrayIPcLm3EEEEviT0_T1_.private_seg_size, 0+max(.L_ZN2at6native25elementwise_kernel_helperILb0ENS0_13BinaryFunctorIN3c1011Float8_e5m2ES4_bNS0_12_GLOBAL__N_116CompareEqFunctorIS4_EEEENS0_6memory8policies11unroll_baseILi256ESt5arrayIPcLm3EE23TrivialOffsetCalculatorILi2EjESF_ILi1EjENS9_15LoadWithoutCastENS9_16StoreWithoutCastELi16ELi1EEEEEvT0_T1_.private_seg_size)
	.set _ZN2at6native29vectorized_elementwise_kernelILi4ENS0_13BinaryFunctorIN3c1011Float8_e5m2ES4_bNS0_12_GLOBAL__N_116CompareEqFunctorIS4_EEEESt5arrayIPcLm3EEEEviT0_T1_.uses_vcc, or(1, .L_ZN2at6native25elementwise_kernel_helperILb0ENS0_13BinaryFunctorIN3c1011Float8_e5m2ES4_bNS0_12_GLOBAL__N_116CompareEqFunctorIS4_EEEENS0_6memory8policies11unroll_baseILi256ESt5arrayIPcLm3EE23TrivialOffsetCalculatorILi2EjESF_ILi1EjENS9_15LoadWithoutCastENS9_16StoreWithoutCastELi16ELi1EEEEEvT0_T1_.uses_vcc)
	.set _ZN2at6native29vectorized_elementwise_kernelILi4ENS0_13BinaryFunctorIN3c1011Float8_e5m2ES4_bNS0_12_GLOBAL__N_116CompareEqFunctorIS4_EEEESt5arrayIPcLm3EEEEviT0_T1_.uses_flat_scratch, or(0, .L_ZN2at6native25elementwise_kernel_helperILb0ENS0_13BinaryFunctorIN3c1011Float8_e5m2ES4_bNS0_12_GLOBAL__N_116CompareEqFunctorIS4_EEEENS0_6memory8policies11unroll_baseILi256ESt5arrayIPcLm3EE23TrivialOffsetCalculatorILi2EjESF_ILi1EjENS9_15LoadWithoutCastENS9_16StoreWithoutCastELi16ELi1EEEEEvT0_T1_.uses_flat_scratch)
	.set _ZN2at6native29vectorized_elementwise_kernelILi4ENS0_13BinaryFunctorIN3c1011Float8_e5m2ES4_bNS0_12_GLOBAL__N_116CompareEqFunctorIS4_EEEESt5arrayIPcLm3EEEEviT0_T1_.has_dyn_sized_stack, or(0, .L_ZN2at6native25elementwise_kernel_helperILb0ENS0_13BinaryFunctorIN3c1011Float8_e5m2ES4_bNS0_12_GLOBAL__N_116CompareEqFunctorIS4_EEEENS0_6memory8policies11unroll_baseILi256ESt5arrayIPcLm3EE23TrivialOffsetCalculatorILi2EjESF_ILi1EjENS9_15LoadWithoutCastENS9_16StoreWithoutCastELi16ELi1EEEEEvT0_T1_.has_dyn_sized_stack)
	.set _ZN2at6native29vectorized_elementwise_kernelILi4ENS0_13BinaryFunctorIN3c1011Float8_e5m2ES4_bNS0_12_GLOBAL__N_116CompareEqFunctorIS4_EEEESt5arrayIPcLm3EEEEviT0_T1_.has_recursion, or(0, .L_ZN2at6native25elementwise_kernel_helperILb0ENS0_13BinaryFunctorIN3c1011Float8_e5m2ES4_bNS0_12_GLOBAL__N_116CompareEqFunctorIS4_EEEENS0_6memory8policies11unroll_baseILi256ESt5arrayIPcLm3EE23TrivialOffsetCalculatorILi2EjESF_ILi1EjENS9_15LoadWithoutCastENS9_16StoreWithoutCastELi16ELi1EEEEEvT0_T1_.has_recursion)
	.set _ZN2at6native29vectorized_elementwise_kernelILi4ENS0_13BinaryFunctorIN3c1011Float8_e5m2ES4_bNS0_12_GLOBAL__N_116CompareEqFunctorIS4_EEEESt5arrayIPcLm3EEEEviT0_T1_.has_indirect_call, or(0, .L_ZN2at6native25elementwise_kernel_helperILb0ENS0_13BinaryFunctorIN3c1011Float8_e5m2ES4_bNS0_12_GLOBAL__N_116CompareEqFunctorIS4_EEEENS0_6memory8policies11unroll_baseILi256ESt5arrayIPcLm3EE23TrivialOffsetCalculatorILi2EjESF_ILi1EjENS9_15LoadWithoutCastENS9_16StoreWithoutCastELi16ELi1EEEEEvT0_T1_.has_indirect_call)
	.section	.AMDGPU.csdata,"",@progbits
; Kernel info:
; codeLenInByte = 3452
; TotalNumSgprs: 65
; NumVgprs: 55
; ScratchSize: 0
; MemoryBound: 0
; FloatMode: 240
; IeeeMode: 1
; LDSByteSize: 0 bytes/workgroup (compile time only)
; SGPRBlocks: 8
; VGPRBlocks: 13
; NumSGPRsForWavesPerEU: 65
; NumVGPRsForWavesPerEU: 55
; Occupancy: 4
; WaveLimiterHint : 1
; COMPUTE_PGM_RSRC2:SCRATCH_EN: 0
; COMPUTE_PGM_RSRC2:USER_SGPR: 6
; COMPUTE_PGM_RSRC2:TRAP_HANDLER: 0
; COMPUTE_PGM_RSRC2:TGID_X_EN: 1
; COMPUTE_PGM_RSRC2:TGID_Y_EN: 0
; COMPUTE_PGM_RSRC2:TGID_Z_EN: 0
; COMPUTE_PGM_RSRC2:TIDIG_COMP_CNT: 0
	.section	.text._ZN2at6native29vectorized_elementwise_kernelILi2ENS0_13BinaryFunctorIN3c1011Float8_e5m2ES4_bNS0_12_GLOBAL__N_116CompareEqFunctorIS4_EEEESt5arrayIPcLm3EEEEviT0_T1_,"axG",@progbits,_ZN2at6native29vectorized_elementwise_kernelILi2ENS0_13BinaryFunctorIN3c1011Float8_e5m2ES4_bNS0_12_GLOBAL__N_116CompareEqFunctorIS4_EEEESt5arrayIPcLm3EEEEviT0_T1_,comdat
	.globl	_ZN2at6native29vectorized_elementwise_kernelILi2ENS0_13BinaryFunctorIN3c1011Float8_e5m2ES4_bNS0_12_GLOBAL__N_116CompareEqFunctorIS4_EEEESt5arrayIPcLm3EEEEviT0_T1_ ; -- Begin function _ZN2at6native29vectorized_elementwise_kernelILi2ENS0_13BinaryFunctorIN3c1011Float8_e5m2ES4_bNS0_12_GLOBAL__N_116CompareEqFunctorIS4_EEEESt5arrayIPcLm3EEEEviT0_T1_
	.p2align	8
	.type	_ZN2at6native29vectorized_elementwise_kernelILi2ENS0_13BinaryFunctorIN3c1011Float8_e5m2ES4_bNS0_12_GLOBAL__N_116CompareEqFunctorIS4_EEEESt5arrayIPcLm3EEEEviT0_T1_,@function
_ZN2at6native29vectorized_elementwise_kernelILi2ENS0_13BinaryFunctorIN3c1011Float8_e5m2ES4_bNS0_12_GLOBAL__N_116CompareEqFunctorIS4_EEEESt5arrayIPcLm3EEEEviT0_T1_: ; @_ZN2at6native29vectorized_elementwise_kernelILi2ENS0_13BinaryFunctorIN3c1011Float8_e5m2ES4_bNS0_12_GLOBAL__N_116CompareEqFunctorIS4_EEEESt5arrayIPcLm3EEEEviT0_T1_
; %bb.0:
	s_load_dwordx2 s[58:59], s[4:5], 0x0
	s_load_dwordx4 s[52:55], s[4:5], 0x8
	s_load_dwordx2 s[56:57], s[4:5], 0x18
	s_add_u32 s0, s0, s7
	s_addc_u32 s1, s1, 0
	s_lshl_b32 s33, s6, 12
	s_waitcnt lgkmcnt(0)
	s_sub_i32 s7, s58, s33
	s_cmpk_gt_i32 s7, 0xfff
	s_mov_b64 s[4:5], -1
	s_mov_b32 s32, 0
	s_cbranch_scc1 .LBB228_3
; %bb.1:
	s_andn2_b64 vcc, exec, s[4:5]
	s_cbranch_vccz .LBB228_4
.LBB228_2:
	s_endpgm
.LBB228_3:
	s_ashr_i32 s58, s33, 31
	s_add_u32 s40, s54, s33
	s_addc_u32 s41, s55, s58
	v_lshlrev_b32_e32 v1, 1, v0
	global_load_ushort v3, v1, s[40:41] offset:1536
	global_load_ushort v2, v1, s[40:41] offset:3072
	s_add_u32 s46, s56, s33
	s_addc_u32 s47, s57, s58
	global_load_ushort v4, v1, s[46:47] offset:3072
	global_load_ushort v5, v1, s[40:41] offset:2560
	;; [unrolled: 1-line block ×4, first 2 shown]
	s_mov_b32 s50, 0xff000008
	s_movk_i32 s62, 0x7f00
	s_brev_b32 s61, 16
	s_brev_b32 s60, 1
	s_cmp_eq_u32 s59, 0
	s_waitcnt vmcnt(5)
	v_pk_lshlrev_b16 v8, s50, v3 op_sel_hi:[1,0]
	s_waitcnt vmcnt(4)
	v_pk_lshlrev_b16 v9, s50, v2
	v_lshlrev_b32_e32 v11, 17, v9
	v_lshrrev_b32_e32 v12, 4, v11
	v_and_or_b32 v10, v9, s62, 0.5
	v_or_b32_e32 v12, 0x70000000, v12
	v_add_f32_e32 v10, -0.5, v10
	v_cmp_gt_u32_e32 vcc, s61, v11
	s_waitcnt vmcnt(3)
	v_pk_lshlrev_b16 v11, s50, v4
	v_mul_f32_e32 v12, 0x7800000, v12
	v_cndmask_b32_e32 v10, v12, v10, vcc
	v_lshlrev_b32_e32 v12, 17, v11
	v_lshlrev_b32_e32 v9, 16, v9
	v_cmp_gt_u32_e32 vcc, s61, v12
	v_lshrrev_b32_e32 v12, 4, v12
	v_and_or_b32 v9, v9, s60, v10
	v_and_or_b32 v10, v11, s62, 0.5
	v_or_b32_e32 v12, 0x70000000, v12
	v_add_f32_e32 v10, -0.5, v10
	v_mul_f32_e32 v12, 0x7800000, v12
	v_cndmask_b32_e32 v10, v12, v10, vcc
	s_waitcnt vmcnt(2)
	v_pk_lshlrev_b16 v12, s50, v5 op_sel_hi:[1,0]
	v_lshlrev_b32_e32 v11, 16, v11
	v_and_or_b32 v10, v11, s60, v10
	v_lshlrev_b32_e32 v11, 17, v12
	v_cmp_eq_f32_e32 vcc, v9, v10
	v_cmp_neq_f32_e64 s[4:5], v9, v10
	v_and_or_b32 v9, v12, s62, 0.5
	v_lshlrev_b32_e32 v10, 16, v12
	v_lshrrev_b32_e32 v12, 4, v11
	v_or_b32_e32 v12, 0x70000000, v12
	v_add_f32_e32 v9, -0.5, v9
	v_cmp_gt_u32_e64 s[8:9], s61, v11
	s_waitcnt vmcnt(1)
	v_pk_lshlrev_b16 v11, s50, v6 op_sel_hi:[1,0]
	v_mul_f32_e32 v12, 0x7800000, v12
	v_cndmask_b32_e64 v9, v12, v9, s[8:9]
	v_lshlrev_b32_e32 v12, 17, v11
	v_cmp_gt_u32_e64 s[8:9], s61, v12
	v_lshrrev_b32_e32 v12, 4, v12
	v_and_or_b32 v9, v10, s60, v9
	v_and_or_b32 v10, v11, s62, 0.5
	v_or_b32_e32 v12, 0x70000000, v12
	v_add_f32_e32 v10, -0.5, v10
	v_mul_f32_e32 v12, 0x7800000, v12
	v_cndmask_b32_e64 v10, v12, v10, s[8:9]
	v_lshlrev_b32_e32 v11, 16, v11
	v_and_or_b32 v10, v11, s60, v10
	v_lshlrev_b32_e32 v11, 17, v8
	v_cmp_gt_u32_e64 s[10:11], s61, v11
	v_lshrrev_b32_e32 v11, 4, v11
	s_waitcnt vmcnt(0)
	v_pk_lshlrev_b16 v12, s50, v7
	v_cmp_eq_f32_e64 s[48:49], v9, v10
	v_cmp_neq_f32_e64 s[8:9], v9, v10
	v_and_or_b32 v9, v8, s62, 0.5
	v_or_b32_e32 v11, 0x70000000, v11
	v_lshlrev_b32_e32 v10, 17, v12
	v_add_f32_e32 v9, -0.5, v9
	v_mul_f32_e32 v11, 0x7800000, v11
	v_cndmask_b32_e64 v9, v11, v9, s[10:11]
	v_cmp_gt_u32_e64 s[10:11], s61, v10
	v_lshrrev_b32_e32 v10, 4, v10
	v_and_or_b32 v11, v12, s62, 0.5
	v_or_b32_e32 v10, 0x70000000, v10
	v_add_f32_e32 v11, -0.5, v11
	v_mul_f32_e32 v10, 0x7800000, v10
	v_cndmask_b32_e64 v10, v10, v11, s[10:11]
	global_load_ushort v11, v1, s[46:47] offset:2048
	v_lshlrev_b32_e32 v8, 16, v8
	v_lshlrev_b32_e32 v12, 16, v12
	v_and_or_b32 v8, v8, s60, v9
	v_and_or_b32 v10, v12, s60, v10
	s_waitcnt vmcnt(0)
	v_pk_lshlrev_b16 v9, s50, v11
	v_lshlrev_b32_e32 v12, 17, v9
	v_cmp_gt_u32_e64 s[10:11], s61, v12
	v_lshrrev_b32_e32 v12, 4, v12
	v_or_b32_e32 v12, 0x70000000, v12
	v_and_or_b32 v13, v9, s62, 0.5
	v_add_f32_e32 v13, -0.5, v13
	v_mul_f32_e32 v12, 0x7800000, v12
	v_cndmask_b32_e64 v12, v12, v13, s[10:11]
	v_lshlrev_b32_e32 v9, 16, v9
	v_and_or_b32 v9, v9, s60, v12
	global_load_ushort v12, v1, s[46:47] offset:1536
	v_cmp_eq_f32_e64 s[10:11], v10, v9
	v_cmp_neq_f32_e64 s[12:13], v10, v9
	s_waitcnt vmcnt(0)
	v_pk_lshlrev_b16 v9, s50, v12 op_sel_hi:[1,0]
	v_lshlrev_b32_e32 v10, 17, v9
	v_cmp_gt_u32_e64 s[14:15], s61, v10
	v_lshrrev_b32_e32 v10, 4, v10
	v_or_b32_e32 v10, 0x70000000, v10
	v_and_or_b32 v13, v9, s62, 0.5
	v_add_f32_e32 v13, -0.5, v13
	v_mul_f32_e32 v10, 0x7800000, v10
	v_cndmask_b32_e64 v10, v10, v13, s[14:15]
	v_lshlrev_b32_e32 v9, 16, v9
	v_and_or_b32 v9, v9, s60, v10
	global_load_ushort v10, v1, s[40:41] offset:1024
	v_cmp_eq_f32_e64 s[14:15], v8, v9
	v_cmp_neq_f32_e64 s[16:17], v8, v9
	s_waitcnt vmcnt(0)
	v_pk_lshlrev_b16 v8, s50, v10
	v_lshlrev_b32_e32 v9, 17, v8
	v_cmp_gt_u32_e64 s[18:19], s61, v9
	v_lshrrev_b32_e32 v9, 4, v9
	v_and_or_b32 v13, v8, s62, 0.5
	v_or_b32_e32 v9, 0x70000000, v9
	v_add_f32_e32 v13, -0.5, v13
	v_mul_f32_e32 v9, 0x7800000, v9
	v_cndmask_b32_e64 v9, v9, v13, s[18:19]
	v_lshlrev_b32_e32 v8, 16, v8
	v_and_or_b32 v8, v8, s60, v9
	global_load_ushort v9, v1, s[46:47] offset:1024
	s_waitcnt vmcnt(0)
	v_pk_lshlrev_b16 v13, s50, v9
	v_lshlrev_b32_e32 v14, 17, v13
	v_cmp_gt_u32_e64 s[18:19], s61, v14
	v_lshrrev_b32_e32 v14, 4, v14
	v_or_b32_e32 v14, 0x70000000, v14
	v_and_or_b32 v15, v13, s62, 0.5
	v_add_f32_e32 v15, -0.5, v15
	v_mul_f32_e32 v14, 0x7800000, v14
	v_cndmask_b32_e64 v14, v14, v15, s[18:19]
	v_lshlrev_b32_e32 v13, 16, v13
	v_and_or_b32 v13, v13, s60, v14
	v_cmp_eq_f32_e64 s[18:19], v8, v13
	v_cmp_neq_f32_e64 s[20:21], v8, v13
	global_load_ushort v8, v1, s[40:41] offset:512
	s_waitcnt vmcnt(0)
	v_pk_lshlrev_b16 v13, s50, v8 op_sel_hi:[1,0]
	v_lshlrev_b32_e32 v14, 17, v13
	v_cmp_gt_u32_e64 s[22:23], s61, v14
	v_lshrrev_b32_e32 v14, 4, v14
	v_and_or_b32 v15, v13, s62, 0.5
	v_or_b32_e32 v14, 0x70000000, v14
	v_add_f32_e32 v15, -0.5, v15
	v_mul_f32_e32 v14, 0x7800000, v14
	v_cndmask_b32_e64 v14, v14, v15, s[22:23]
	v_lshlrev_b32_e32 v13, 16, v13
	v_and_or_b32 v13, v13, s60, v14
	global_load_ushort v14, v1, s[46:47] offset:512
	s_waitcnt vmcnt(0)
	v_pk_lshlrev_b16 v15, s50, v14 op_sel_hi:[1,0]
	v_lshlrev_b32_e32 v16, 17, v15
	v_cmp_gt_u32_e64 s[22:23], s61, v16
	v_lshrrev_b32_e32 v16, 4, v16
	v_or_b32_e32 v16, 0x70000000, v16
	v_and_or_b32 v17, v15, s62, 0.5
	v_add_f32_e32 v17, -0.5, v17
	v_mul_f32_e32 v16, 0x7800000, v16
	v_cndmask_b32_e64 v16, v16, v17, s[22:23]
	v_lshlrev_b32_e32 v15, 16, v15
	v_and_or_b32 v15, v15, s60, v16
	v_cmp_eq_f32_e64 s[22:23], v13, v15
	v_cmp_neq_f32_e64 s[24:25], v13, v15
	global_load_ushort v13, v1, s[40:41]
	s_waitcnt vmcnt(0)
	v_pk_lshlrev_b16 v15, s50, v13
	v_lshlrev_b32_e32 v16, 17, v15
	v_cmp_gt_u32_e64 s[26:27], s61, v16
	v_lshrrev_b32_e32 v16, 4, v16
	v_or_b32_e32 v16, 0x70000000, v16
	v_and_or_b32 v17, v15, s62, 0.5
	v_add_f32_e32 v17, -0.5, v17
	v_mul_f32_e32 v16, 0x7800000, v16
	v_cndmask_b32_e64 v16, v16, v17, s[26:27]
	v_lshlrev_b32_e32 v15, 16, v15
	v_and_or_b32 v15, v15, s60, v16
	global_load_ushort v16, v1, s[46:47]
	s_waitcnt vmcnt(0)
	v_pk_lshlrev_b16 v17, s50, v16
	v_lshlrev_b32_e32 v18, 17, v17
	v_cmp_gt_u32_e64 s[26:27], s61, v18
	v_lshrrev_b32_e32 v18, 4, v18
	v_or_b32_e32 v18, 0x70000000, v18
	v_and_or_b32 v19, v17, s62, 0.5
	v_add_f32_e32 v19, -0.5, v19
	v_mul_f32_e32 v18, 0x7800000, v18
	v_cndmask_b32_e64 v18, v18, v19, s[26:27]
	v_lshlrev_b32_e32 v17, 16, v17
	v_and_or_b32 v17, v17, s60, v18
	v_cmp_eq_f32_e64 s[28:29], v15, v17
	v_cmp_neq_f32_e64 s[26:27], v15, v17
	v_and_b32_e32 v15, 0x7f00, v13
	v_lshlrev_b32_e32 v17, 17, v15
	v_cmp_gt_u32_e64 s[30:31], s61, v17
	v_lshrrev_b32_e32 v17, 4, v17
	v_mov_b32_e32 v18, 0.5
	v_or_b32_e32 v17, 0x70000000, v17
	v_or_b32_sdwa v15, v15, v18 dst_sel:DWORD dst_unused:UNUSED_PAD src0_sel:WORD_0 src1_sel:DWORD
	v_add_f32_e32 v15, -0.5, v15
	v_mul_f32_e32 v17, 0x7800000, v17
	v_cndmask_b32_e64 v15, v17, v15, s[30:31]
	v_bfe_i32 v13, v13, 0, 16
	v_and_or_b32 v13, v13, s60, v15
	v_and_b32_e32 v15, 0x7f00, v16
	v_lshlrev_b32_e32 v17, 17, v15
	v_cmp_gt_u32_e64 s[30:31], s61, v17
	v_lshrrev_b32_e32 v17, 4, v17
	v_or_b32_e32 v17, 0x70000000, v17
	v_or_b32_sdwa v15, v15, v18 dst_sel:DWORD dst_unused:UNUSED_PAD src0_sel:WORD_0 src1_sel:DWORD
	v_add_f32_e32 v15, -0.5, v15
	v_mul_f32_e32 v17, 0x7800000, v17
	v_cndmask_b32_e64 v15, v17, v15, s[30:31]
	v_bfe_i32 v16, v16, 0, 16
	v_and_or_b32 v15, v16, s60, v15
	v_cmp_neq_f32_e64 s[36:37], v13, v15
	v_cmp_eq_f32_e64 s[42:43], v13, v15
	v_and_b32_e32 v13, 0x7f00, v8
	v_lshlrev_b32_e32 v15, 17, v13
	v_cmp_gt_u32_e64 s[30:31], s61, v15
	v_lshrrev_b32_e32 v15, 4, v15
	v_or_b32_e32 v15, 0x70000000, v15
	v_or_b32_sdwa v13, v13, v18 dst_sel:DWORD dst_unused:UNUSED_PAD src0_sel:WORD_0 src1_sel:DWORD
	v_add_f32_e32 v13, -0.5, v13
	v_mul_f32_e32 v15, 0x7800000, v15
	v_cndmask_b32_e64 v13, v15, v13, s[30:31]
	v_bfe_i32 v8, v8, 0, 16
	v_and_or_b32 v8, v8, s60, v13
	v_and_b32_e32 v13, 0x7f00, v14
	v_lshlrev_b32_e32 v15, 17, v13
	v_cmp_gt_u32_e64 s[30:31], s61, v15
	v_lshrrev_b32_e32 v15, 4, v15
	v_or_b32_e32 v15, 0x70000000, v15
	v_or_b32_sdwa v13, v13, v18 dst_sel:DWORD dst_unused:UNUSED_PAD src0_sel:WORD_0 src1_sel:DWORD
	v_add_f32_e32 v13, -0.5, v13
	v_mul_f32_e32 v15, 0x7800000, v15
	v_cndmask_b32_e64 v13, v15, v13, s[30:31]
	v_bfe_i32 v14, v14, 0, 16
	v_and_or_b32 v13, v14, s60, v13
	v_and_b32_e32 v14, 0x7f00, v3
	v_lshlrev_b32_e32 v15, 17, v14
	v_cmp_gt_u32_e64 s[30:31], s61, v15
	v_lshrrev_b32_e32 v15, 4, v15
	v_or_b32_e32 v15, 0x70000000, v15
	v_or_b32_sdwa v14, v14, v18 dst_sel:DWORD dst_unused:UNUSED_PAD src0_sel:WORD_0 src1_sel:DWORD
	v_add_f32_e32 v14, -0.5, v14
	v_mul_f32_e32 v15, 0x7800000, v15
	v_cndmask_b32_e64 v14, v15, v14, s[30:31]
	v_cmp_neq_f32_e64 s[30:31], v8, v13
	v_cmp_eq_f32_e64 s[34:35], v8, v13
	v_and_b32_e32 v8, 0x7f00, v10
	v_lshlrev_b32_e32 v13, 17, v8
	v_cmp_gt_u32_e64 s[38:39], s61, v13
	v_lshrrev_b32_e32 v13, 4, v13
	v_or_b32_e32 v13, 0x70000000, v13
	v_or_b32_sdwa v8, v8, v18 dst_sel:DWORD dst_unused:UNUSED_PAD src0_sel:WORD_0 src1_sel:DWORD
	v_add_f32_e32 v8, -0.5, v8
	v_mul_f32_e32 v13, 0x7800000, v13
	v_cndmask_b32_e64 v8, v13, v8, s[38:39]
	v_bfe_i32 v10, v10, 0, 16
	v_and_or_b32 v8, v10, s60, v8
	v_and_b32_e32 v10, 0x7f00, v12
	v_lshlrev_b32_e32 v13, 17, v10
	v_cmp_gt_u32_e64 s[38:39], s61, v13
	v_lshrrev_b32_e32 v13, 4, v13
	v_or_b32_e32 v13, 0x70000000, v13
	v_or_b32_sdwa v10, v10, v18 dst_sel:DWORD dst_unused:UNUSED_PAD src0_sel:WORD_0 src1_sel:DWORD
	v_add_f32_e32 v10, -0.5, v10
	v_mul_f32_e32 v13, 0x7800000, v13
	v_cndmask_b32_e64 v10, v13, v10, s[38:39]
	v_and_b32_e32 v13, 0x7f00, v9
	v_lshlrev_b32_e32 v15, 17, v13
	v_cmp_gt_u32_e64 s[38:39], s61, v15
	v_lshrrev_b32_e32 v15, 4, v15
	v_or_b32_e32 v15, 0x70000000, v15
	v_or_b32_sdwa v13, v13, v18 dst_sel:DWORD dst_unused:UNUSED_PAD src0_sel:WORD_0 src1_sel:DWORD
	v_add_f32_e32 v13, -0.5, v13
	v_mul_f32_e32 v15, 0x7800000, v15
	v_cndmask_b32_e64 v13, v15, v13, s[38:39]
	v_bfe_i32 v9, v9, 0, 16
	v_and_or_b32 v9, v9, s60, v13
	v_and_b32_e32 v13, 0x7f00, v5
	v_lshlrev_b32_e32 v15, 17, v13
	v_cmp_gt_u32_e64 s[38:39], s61, v15
	v_lshrrev_b32_e32 v15, 4, v15
	v_or_b32_e32 v15, 0x70000000, v15
	v_or_b32_sdwa v13, v13, v18 dst_sel:DWORD dst_unused:UNUSED_PAD src0_sel:WORD_0 src1_sel:DWORD
	v_add_f32_e32 v13, -0.5, v13
	v_mul_f32_e32 v15, 0x7800000, v15
	v_cndmask_b32_e64 v13, v15, v13, s[38:39]
	v_and_b32_e32 v15, 0x7f00, v7
	v_lshlrev_b32_e32 v16, 17, v15
	v_cmp_gt_u32_e64 s[38:39], s61, v16
	v_lshrrev_b32_e32 v16, 4, v16
	v_or_b32_e32 v16, 0x70000000, v16
	v_or_b32_sdwa v15, v15, v18 dst_sel:DWORD dst_unused:UNUSED_PAD src0_sel:WORD_0 src1_sel:DWORD
	v_add_f32_e32 v15, -0.5, v15
	v_mul_f32_e32 v16, 0x7800000, v16
	v_cndmask_b32_e64 v15, v16, v15, s[38:39]
	global_load_ushort v16, v1, s[40:41] offset:3584
	v_bfe_i32 v12, v12, 0, 16
	v_and_or_b32 v10, v12, s60, v10
	global_load_ushort v12, v1, s[46:47] offset:3584
	v_cmp_neq_f32_e64 s[38:39], v8, v9
	v_cmp_eq_f32_e64 s[40:41], v8, v9
	v_and_b32_e32 v8, 0x7f00, v6
	v_lshlrev_b32_e32 v9, 17, v8
	v_cmp_gt_u32_e64 s[44:45], s61, v9
	v_lshrrev_b32_e32 v9, 4, v9
	v_or_b32_e32 v9, 0x70000000, v9
	v_or_b32_sdwa v8, v8, v18 dst_sel:DWORD dst_unused:UNUSED_PAD src0_sel:WORD_0 src1_sel:DWORD
	v_add_f32_e32 v8, -0.5, v8
	v_mul_f32_e32 v9, 0x7800000, v9
	v_cndmask_b32_e64 v8, v9, v8, s[44:45]
	v_bfe_i32 v3, v3, 0, 16
	v_and_b32_e32 v9, 0x7f00, v11
	v_and_or_b32 v3, v3, s60, v14
	v_lshlrev_b32_e32 v14, 17, v9
	v_cmp_gt_u32_e64 s[44:45], s61, v14
	v_lshrrev_b32_e32 v14, 4, v14
	v_or_b32_e32 v14, 0x70000000, v14
	v_or_b32_sdwa v9, v9, v18 dst_sel:DWORD dst_unused:UNUSED_PAD src0_sel:WORD_0 src1_sel:DWORD
	v_add_f32_e32 v9, -0.5, v9
	v_mul_f32_e32 v14, 0x7800000, v14
	v_cndmask_b32_e64 v9, v14, v9, s[44:45]
	v_cmp_neq_f32_e64 s[44:45], v3, v10
	v_cndmask_b32_e64 v14, 0, 1, s[42:43]
	v_cmp_eq_f32_e64 s[42:43], v3, v10
	v_bfe_i32 v3, v7, 0, 16
	v_and_or_b32 v3, v3, s60, v15
	v_bfe_i32 v11, v11, 0, 16
	v_and_or_b32 v9, v11, s60, v9
	v_cndmask_b32_e64 v19, 0, 1, s[36:37]
	v_cmp_eq_f32_e64 s[36:37], v3, v9
	v_bfe_i32 v5, v5, 0, 16
	v_and_or_b32 v5, v5, s60, v13
	v_bfe_i32 v6, v6, 0, 16
	v_and_or_b32 v6, v6, s60, v8
	s_waitcnt vmcnt(1)
	v_pk_lshlrev_b16 v7, s50, v16 op_sel_hi:[1,0]
	v_lshlrev_b32_e32 v10, 17, v7
	v_cmp_gt_u32_e64 s[46:47], s61, v10
	v_lshrrev_b32_e32 v10, 4, v10
	v_and_or_b32 v15, v7, s62, 0.5
	v_or_b32_e32 v10, 0x70000000, v10
	v_add_f32_e32 v15, -0.5, v15
	v_mul_f32_e32 v10, 0x7800000, v10
	v_and_b32_e32 v11, 0x7f00, v16
	v_cndmask_b32_e64 v10, v10, v15, s[46:47]
	v_lshlrev_b32_e32 v15, 17, v11
	v_cmp_gt_u32_e64 s[46:47], s61, v15
	v_lshrrev_b32_e32 v15, 4, v15
	v_or_b32_e32 v15, 0x70000000, v15
	v_or_b32_sdwa v11, v11, v18 dst_sel:DWORD dst_unused:UNUSED_PAD src0_sel:WORD_0 src1_sel:DWORD
	v_add_f32_e32 v11, -0.5, v11
	v_mul_f32_e32 v15, 0x7800000, v15
	v_cndmask_b32_e64 v11, v15, v11, s[46:47]
	v_and_b32_e32 v15, 0x7f00, v2
	v_lshlrev_b32_e32 v17, 17, v15
	v_cmp_neq_f32_e64 s[46:47], v3, v9
	v_lshrrev_b32_e32 v9, 4, v17
	s_waitcnt vmcnt(0)
	v_pk_lshlrev_b16 v3, s50, v12 op_sel_hi:[1,0]
	v_or_b32_e32 v9, 0x70000000, v9
	v_or_b32_sdwa v15, v15, v18 dst_sel:DWORD dst_unused:UNUSED_PAD src0_sel:WORD_0 src1_sel:DWORD
	v_cmp_gt_u32_e64 s[50:51], s61, v17
	v_add_f32_e32 v15, -0.5, v15
	v_mul_f32_e32 v9, 0x7800000, v9
	v_lshlrev_b32_e32 v13, 17, v3
	v_cndmask_b32_e64 v9, v9, v15, s[50:51]
	v_cmp_gt_u32_e64 s[50:51], s61, v13
	v_lshrrev_b32_e32 v13, 4, v13
	v_and_or_b32 v8, v3, s62, 0.5
	v_or_b32_e32 v13, 0x70000000, v13
	v_bfe_i32 v2, v2, 0, 16
	v_add_f32_e32 v8, -0.5, v8
	v_mul_f32_e32 v13, 0x7800000, v13
	v_and_or_b32 v2, v2, s60, v9
	v_and_b32_e32 v9, 0x7f00, v12
	v_cndmask_b32_e64 v8, v13, v8, s[50:51]
	v_lshlrev_b32_e32 v13, 17, v9
	v_cmp_gt_u32_e64 s[50:51], s61, v13
	v_lshrrev_b32_e32 v13, 4, v13
	v_or_b32_e32 v13, 0x70000000, v13
	v_or_b32_sdwa v9, v9, v18 dst_sel:DWORD dst_unused:UNUSED_PAD src0_sel:WORD_0 src1_sel:DWORD
	v_add_f32_e32 v9, -0.5, v9
	v_mul_f32_e32 v13, 0x7800000, v13
	v_cndmask_b32_e64 v9, v13, v9, s[50:51]
	v_bfe_i32 v13, v16, 0, 16
	v_and_or_b32 v11, v13, s60, v11
	v_and_b32_e32 v13, 0x7f00, v4
	v_or_b32_sdwa v15, v13, v18 dst_sel:DWORD dst_unused:UNUSED_PAD src0_sel:WORD_0 src1_sel:DWORD
	v_lshlrev_b32_e32 v13, 17, v13
	v_cmp_gt_u32_e64 s[50:51], s61, v13
	v_lshrrev_b32_e32 v13, 4, v13
	v_or_b32_e32 v13, 0x70000000, v13
	v_add_f32_e32 v15, -0.5, v15
	v_mul_f32_e32 v13, 0x7800000, v13
	v_lshlrev_b32_e32 v7, 16, v7
	v_lshlrev_b32_e32 v3, 16, v3
	v_cndmask_b32_e64 v13, v13, v15, s[50:51]
	v_and_or_b32 v7, v7, s60, v10
	v_bfe_i32 v4, v4, 0, 16
	v_cndmask_b32_e64 v10, 0, 1, s[28:29]
	v_and_or_b32 v3, v3, s60, v8
	v_cndmask_b32_e64 v8, 0, 1, s[26:27]
	s_cselect_b64 s[26:27], -1, 0
	v_and_or_b32 v4, v4, s60, v13
	v_bfe_i32 v12, v12, 0, 16
	v_cndmask_b32_e64 v8, v8, v10, s[26:27]
	v_cndmask_b32_e64 v10, 0, 1, s[34:35]
	;; [unrolled: 1-line block ×3, first 2 shown]
	v_cmp_neq_f32_e64 s[28:29], v5, v6
	v_cmp_eq_f32_e64 s[30:31], v5, v6
	v_cndmask_b32_e64 v5, 0, 1, s[22:23]
	v_cndmask_b32_e64 v6, 0, 1, s[24:25]
	v_and_or_b32 v9, v12, s60, v9
	v_cndmask_b32_e64 v10, v13, v10, s[26:27]
	v_cndmask_b32_e64 v5, v6, v5, s[26:27]
	;; [unrolled: 1-line block ×4, first 2 shown]
	v_cmp_neq_f32_e64 s[22:23], v2, v4
	v_cmp_eq_f32_e64 s[24:25], v2, v4
	v_cndmask_b32_e64 v2, 0, 1, s[18:19]
	v_cndmask_b32_e64 v4, 0, 1, s[20:21]
	;; [unrolled: 1-line block ×6, first 2 shown]
	v_cmp_neq_f32_e64 s[18:19], v11, v9
	v_cmp_eq_f32_e64 s[20:21], v11, v9
	v_cndmask_b32_e64 v9, 0, 1, s[14:15]
	v_cndmask_b32_e64 v11, 0, 1, s[16:17]
	;; [unrolled: 1-line block ×6, first 2 shown]
	v_cmp_eq_f32_e64 s[14:15], v7, v3
	v_cmp_neq_f32_e64 s[16:17], v7, v3
	v_cndmask_b32_e64 v3, 0, 1, s[10:11]
	v_cndmask_b32_e64 v7, 0, 1, s[12:13]
	;; [unrolled: 1-line block ×14, first 2 shown]
	v_cndmask_b32_e64 v15, 0, 1, vcc
	v_cndmask_b32_e64 v16, 0, 1, s[4:5]
	v_cndmask_b32_e64 v15, v16, v15, s[26:27]
	;; [unrolled: 1-line block ×8, first 2 shown]
	v_mov_b32_e32 v18, 1
	v_and_b32_e32 v2, 1, v2
	v_and_b32_sdwa v6, v6, v18 dst_sel:BYTE_1 dst_unused:UNUSED_PAD src0_sel:DWORD src1_sel:DWORD
	v_or_b32_e32 v2, v2, v6
	v_and_b32_e32 v5, 1, v5
	v_and_b32_sdwa v6, v10, v18 dst_sel:BYTE_1 dst_unused:UNUSED_PAD src0_sel:DWORD src1_sel:DWORD
	v_or_b32_e32 v5, v5, v6
	v_and_b32_e32 v6, 1, v8
	v_and_b32_sdwa v8, v12, v18 dst_sel:BYTE_1 dst_unused:UNUSED_PAD src0_sel:DWORD src1_sel:DWORD
	s_add_u32 s4, s52, s33
	v_and_b32_e32 v17, 1, v17
	v_and_b32_sdwa v16, v16, v18 dst_sel:BYTE_1 dst_unused:UNUSED_PAD src0_sel:DWORD src1_sel:DWORD
	v_and_b32_e32 v15, 1, v15
	v_and_b32_sdwa v14, v14, v18 dst_sel:BYTE_1 dst_unused:UNUSED_PAD src0_sel:DWORD src1_sel:DWORD
	v_and_b32_e32 v13, 1, v13
	v_and_b32_sdwa v7, v7, v18 dst_sel:BYTE_1 dst_unused:UNUSED_PAD src0_sel:DWORD src1_sel:DWORD
	v_and_b32_e32 v3, 1, v3
	v_and_b32_sdwa v11, v11, v18 dst_sel:BYTE_1 dst_unused:UNUSED_PAD src0_sel:DWORD src1_sel:DWORD
	v_and_b32_e32 v9, 1, v9
	v_and_b32_sdwa v4, v4, v18 dst_sel:BYTE_1 dst_unused:UNUSED_PAD src0_sel:DWORD src1_sel:DWORD
	v_or_b32_e32 v6, v6, v8
	s_addc_u32 s5, s53, s58
	v_or_b32_e32 v16, v17, v16
	v_or_b32_e32 v14, v15, v14
	;; [unrolled: 1-line block ×5, first 2 shown]
	global_store_short v1, v6, s[4:5]
	global_store_short v1, v5, s[4:5] offset:512
	global_store_short v1, v2, s[4:5] offset:1024
	global_store_short v1, v4, s[4:5] offset:1536
	global_store_short v1, v3, s[4:5] offset:2048
	global_store_short v1, v7, s[4:5] offset:2560
	global_store_short v1, v14, s[4:5] offset:3072
	global_store_short v1, v16, s[4:5] offset:3584
	s_cbranch_execnz .LBB228_2
.LBB228_4:
	s_getpc_b64 s[4:5]
	s_add_u32 s4, s4, _ZN2at6native25elementwise_kernel_helperILb0ENS0_13BinaryFunctorIN3c1011Float8_e5m2ES4_bNS0_12_GLOBAL__N_116CompareEqFunctorIS4_EEEENS0_6memory8policies11unroll_baseILi256ESt5arrayIPcLm3EE23TrivialOffsetCalculatorILi2EjESF_ILi1EjENS9_15LoadWithoutCastENS9_16StoreWithoutCastELi16ELi1EEEEEvT0_T1_@rel32@lo+4
	s_addc_u32 s5, s5, _ZN2at6native25elementwise_kernel_helperILb0ENS0_13BinaryFunctorIN3c1011Float8_e5m2ES4_bNS0_12_GLOBAL__N_116CompareEqFunctorIS4_EEEENS0_6memory8policies11unroll_baseILi256ESt5arrayIPcLm3EE23TrivialOffsetCalculatorILi2EjESF_ILi1EjENS9_15LoadWithoutCastENS9_16StoreWithoutCastELi16ELi1EEEEEvT0_T1_@rel32@hi+12
	s_mov_b32 s12, s6
	v_mov_b32_e32 v31, v0
	v_mov_b32_e32 v0, s59
	;; [unrolled: 1-line block ×9, first 2 shown]
	s_swappc_b64 s[30:31], s[4:5]
	s_endpgm
	.section	.rodata,"a",@progbits
	.p2align	6, 0x0
	.amdhsa_kernel _ZN2at6native29vectorized_elementwise_kernelILi2ENS0_13BinaryFunctorIN3c1011Float8_e5m2ES4_bNS0_12_GLOBAL__N_116CompareEqFunctorIS4_EEEESt5arrayIPcLm3EEEEviT0_T1_
		.amdhsa_group_segment_fixed_size 0
		.amdhsa_private_segment_fixed_size 0
		.amdhsa_kernarg_size 32
		.amdhsa_user_sgpr_count 6
		.amdhsa_user_sgpr_private_segment_buffer 1
		.amdhsa_user_sgpr_dispatch_ptr 0
		.amdhsa_user_sgpr_queue_ptr 0
		.amdhsa_user_sgpr_kernarg_segment_ptr 1
		.amdhsa_user_sgpr_dispatch_id 0
		.amdhsa_user_sgpr_flat_scratch_init 0
		.amdhsa_user_sgpr_private_segment_size 0
		.amdhsa_uses_dynamic_stack 0
		.amdhsa_system_sgpr_private_segment_wavefront_offset 0
		.amdhsa_system_sgpr_workgroup_id_x 1
		.amdhsa_system_sgpr_workgroup_id_y 0
		.amdhsa_system_sgpr_workgroup_id_z 0
		.amdhsa_system_sgpr_workgroup_info 0
		.amdhsa_system_vgpr_workitem_id 0
		.amdhsa_next_free_vgpr 55
		.amdhsa_next_free_sgpr 63
		.amdhsa_reserve_vcc 1
		.amdhsa_reserve_flat_scratch 0
		.amdhsa_float_round_mode_32 0
		.amdhsa_float_round_mode_16_64 0
		.amdhsa_float_denorm_mode_32 3
		.amdhsa_float_denorm_mode_16_64 3
		.amdhsa_dx10_clamp 1
		.amdhsa_ieee_mode 1
		.amdhsa_fp16_overflow 0
		.amdhsa_exception_fp_ieee_invalid_op 0
		.amdhsa_exception_fp_denorm_src 0
		.amdhsa_exception_fp_ieee_div_zero 0
		.amdhsa_exception_fp_ieee_overflow 0
		.amdhsa_exception_fp_ieee_underflow 0
		.amdhsa_exception_fp_ieee_inexact 0
		.amdhsa_exception_int_div_zero 0
	.end_amdhsa_kernel
	.section	.text._ZN2at6native29vectorized_elementwise_kernelILi2ENS0_13BinaryFunctorIN3c1011Float8_e5m2ES4_bNS0_12_GLOBAL__N_116CompareEqFunctorIS4_EEEESt5arrayIPcLm3EEEEviT0_T1_,"axG",@progbits,_ZN2at6native29vectorized_elementwise_kernelILi2ENS0_13BinaryFunctorIN3c1011Float8_e5m2ES4_bNS0_12_GLOBAL__N_116CompareEqFunctorIS4_EEEESt5arrayIPcLm3EEEEviT0_T1_,comdat
.Lfunc_end228:
	.size	_ZN2at6native29vectorized_elementwise_kernelILi2ENS0_13BinaryFunctorIN3c1011Float8_e5m2ES4_bNS0_12_GLOBAL__N_116CompareEqFunctorIS4_EEEESt5arrayIPcLm3EEEEviT0_T1_, .Lfunc_end228-_ZN2at6native29vectorized_elementwise_kernelILi2ENS0_13BinaryFunctorIN3c1011Float8_e5m2ES4_bNS0_12_GLOBAL__N_116CompareEqFunctorIS4_EEEESt5arrayIPcLm3EEEEviT0_T1_
                                        ; -- End function
	.set _ZN2at6native29vectorized_elementwise_kernelILi2ENS0_13BinaryFunctorIN3c1011Float8_e5m2ES4_bNS0_12_GLOBAL__N_116CompareEqFunctorIS4_EEEESt5arrayIPcLm3EEEEviT0_T1_.num_vgpr, max(32, .L_ZN2at6native25elementwise_kernel_helperILb0ENS0_13BinaryFunctorIN3c1011Float8_e5m2ES4_bNS0_12_GLOBAL__N_116CompareEqFunctorIS4_EEEENS0_6memory8policies11unroll_baseILi256ESt5arrayIPcLm3EE23TrivialOffsetCalculatorILi2EjESF_ILi1EjENS9_15LoadWithoutCastENS9_16StoreWithoutCastELi16ELi1EEEEEvT0_T1_.num_vgpr)
	.set _ZN2at6native29vectorized_elementwise_kernelILi2ENS0_13BinaryFunctorIN3c1011Float8_e5m2ES4_bNS0_12_GLOBAL__N_116CompareEqFunctorIS4_EEEESt5arrayIPcLm3EEEEviT0_T1_.num_agpr, max(0, .L_ZN2at6native25elementwise_kernel_helperILb0ENS0_13BinaryFunctorIN3c1011Float8_e5m2ES4_bNS0_12_GLOBAL__N_116CompareEqFunctorIS4_EEEENS0_6memory8policies11unroll_baseILi256ESt5arrayIPcLm3EE23TrivialOffsetCalculatorILi2EjESF_ILi1EjENS9_15LoadWithoutCastENS9_16StoreWithoutCastELi16ELi1EEEEEvT0_T1_.num_agpr)
	.set _ZN2at6native29vectorized_elementwise_kernelILi2ENS0_13BinaryFunctorIN3c1011Float8_e5m2ES4_bNS0_12_GLOBAL__N_116CompareEqFunctorIS4_EEEESt5arrayIPcLm3EEEEviT0_T1_.numbered_sgpr, max(63, .L_ZN2at6native25elementwise_kernel_helperILb0ENS0_13BinaryFunctorIN3c1011Float8_e5m2ES4_bNS0_12_GLOBAL__N_116CompareEqFunctorIS4_EEEENS0_6memory8policies11unroll_baseILi256ESt5arrayIPcLm3EE23TrivialOffsetCalculatorILi2EjESF_ILi1EjENS9_15LoadWithoutCastENS9_16StoreWithoutCastELi16ELi1EEEEEvT0_T1_.numbered_sgpr)
	.set _ZN2at6native29vectorized_elementwise_kernelILi2ENS0_13BinaryFunctorIN3c1011Float8_e5m2ES4_bNS0_12_GLOBAL__N_116CompareEqFunctorIS4_EEEESt5arrayIPcLm3EEEEviT0_T1_.num_named_barrier, max(0, .L_ZN2at6native25elementwise_kernel_helperILb0ENS0_13BinaryFunctorIN3c1011Float8_e5m2ES4_bNS0_12_GLOBAL__N_116CompareEqFunctorIS4_EEEENS0_6memory8policies11unroll_baseILi256ESt5arrayIPcLm3EE23TrivialOffsetCalculatorILi2EjESF_ILi1EjENS9_15LoadWithoutCastENS9_16StoreWithoutCastELi16ELi1EEEEEvT0_T1_.num_named_barrier)
	.set _ZN2at6native29vectorized_elementwise_kernelILi2ENS0_13BinaryFunctorIN3c1011Float8_e5m2ES4_bNS0_12_GLOBAL__N_116CompareEqFunctorIS4_EEEESt5arrayIPcLm3EEEEviT0_T1_.private_seg_size, 0+max(.L_ZN2at6native25elementwise_kernel_helperILb0ENS0_13BinaryFunctorIN3c1011Float8_e5m2ES4_bNS0_12_GLOBAL__N_116CompareEqFunctorIS4_EEEENS0_6memory8policies11unroll_baseILi256ESt5arrayIPcLm3EE23TrivialOffsetCalculatorILi2EjESF_ILi1EjENS9_15LoadWithoutCastENS9_16StoreWithoutCastELi16ELi1EEEEEvT0_T1_.private_seg_size)
	.set _ZN2at6native29vectorized_elementwise_kernelILi2ENS0_13BinaryFunctorIN3c1011Float8_e5m2ES4_bNS0_12_GLOBAL__N_116CompareEqFunctorIS4_EEEESt5arrayIPcLm3EEEEviT0_T1_.uses_vcc, or(1, .L_ZN2at6native25elementwise_kernel_helperILb0ENS0_13BinaryFunctorIN3c1011Float8_e5m2ES4_bNS0_12_GLOBAL__N_116CompareEqFunctorIS4_EEEENS0_6memory8policies11unroll_baseILi256ESt5arrayIPcLm3EE23TrivialOffsetCalculatorILi2EjESF_ILi1EjENS9_15LoadWithoutCastENS9_16StoreWithoutCastELi16ELi1EEEEEvT0_T1_.uses_vcc)
	.set _ZN2at6native29vectorized_elementwise_kernelILi2ENS0_13BinaryFunctorIN3c1011Float8_e5m2ES4_bNS0_12_GLOBAL__N_116CompareEqFunctorIS4_EEEESt5arrayIPcLm3EEEEviT0_T1_.uses_flat_scratch, or(0, .L_ZN2at6native25elementwise_kernel_helperILb0ENS0_13BinaryFunctorIN3c1011Float8_e5m2ES4_bNS0_12_GLOBAL__N_116CompareEqFunctorIS4_EEEENS0_6memory8policies11unroll_baseILi256ESt5arrayIPcLm3EE23TrivialOffsetCalculatorILi2EjESF_ILi1EjENS9_15LoadWithoutCastENS9_16StoreWithoutCastELi16ELi1EEEEEvT0_T1_.uses_flat_scratch)
	.set _ZN2at6native29vectorized_elementwise_kernelILi2ENS0_13BinaryFunctorIN3c1011Float8_e5m2ES4_bNS0_12_GLOBAL__N_116CompareEqFunctorIS4_EEEESt5arrayIPcLm3EEEEviT0_T1_.has_dyn_sized_stack, or(0, .L_ZN2at6native25elementwise_kernel_helperILb0ENS0_13BinaryFunctorIN3c1011Float8_e5m2ES4_bNS0_12_GLOBAL__N_116CompareEqFunctorIS4_EEEENS0_6memory8policies11unroll_baseILi256ESt5arrayIPcLm3EE23TrivialOffsetCalculatorILi2EjESF_ILi1EjENS9_15LoadWithoutCastENS9_16StoreWithoutCastELi16ELi1EEEEEvT0_T1_.has_dyn_sized_stack)
	.set _ZN2at6native29vectorized_elementwise_kernelILi2ENS0_13BinaryFunctorIN3c1011Float8_e5m2ES4_bNS0_12_GLOBAL__N_116CompareEqFunctorIS4_EEEESt5arrayIPcLm3EEEEviT0_T1_.has_recursion, or(0, .L_ZN2at6native25elementwise_kernel_helperILb0ENS0_13BinaryFunctorIN3c1011Float8_e5m2ES4_bNS0_12_GLOBAL__N_116CompareEqFunctorIS4_EEEENS0_6memory8policies11unroll_baseILi256ESt5arrayIPcLm3EE23TrivialOffsetCalculatorILi2EjESF_ILi1EjENS9_15LoadWithoutCastENS9_16StoreWithoutCastELi16ELi1EEEEEvT0_T1_.has_recursion)
	.set _ZN2at6native29vectorized_elementwise_kernelILi2ENS0_13BinaryFunctorIN3c1011Float8_e5m2ES4_bNS0_12_GLOBAL__N_116CompareEqFunctorIS4_EEEESt5arrayIPcLm3EEEEviT0_T1_.has_indirect_call, or(0, .L_ZN2at6native25elementwise_kernel_helperILb0ENS0_13BinaryFunctorIN3c1011Float8_e5m2ES4_bNS0_12_GLOBAL__N_116CompareEqFunctorIS4_EEEENS0_6memory8policies11unroll_baseILi256ESt5arrayIPcLm3EE23TrivialOffsetCalculatorILi2EjESF_ILi1EjENS9_15LoadWithoutCastENS9_16StoreWithoutCastELi16ELi1EEEEEvT0_T1_.has_indirect_call)
	.section	.AMDGPU.csdata,"",@progbits
; Kernel info:
; codeLenInByte = 3584
; TotalNumSgprs: 67
; NumVgprs: 55
; ScratchSize: 0
; MemoryBound: 0
; FloatMode: 240
; IeeeMode: 1
; LDSByteSize: 0 bytes/workgroup (compile time only)
; SGPRBlocks: 8
; VGPRBlocks: 13
; NumSGPRsForWavesPerEU: 67
; NumVGPRsForWavesPerEU: 55
; Occupancy: 4
; WaveLimiterHint : 1
; COMPUTE_PGM_RSRC2:SCRATCH_EN: 0
; COMPUTE_PGM_RSRC2:USER_SGPR: 6
; COMPUTE_PGM_RSRC2:TRAP_HANDLER: 0
; COMPUTE_PGM_RSRC2:TGID_X_EN: 1
; COMPUTE_PGM_RSRC2:TGID_Y_EN: 0
; COMPUTE_PGM_RSRC2:TGID_Z_EN: 0
; COMPUTE_PGM_RSRC2:TIDIG_COMP_CNT: 0
	.section	.text._ZN2at6native27unrolled_elementwise_kernelINS0_13BinaryFunctorIN3c1011Float8_e5m2ES4_bNS0_12_GLOBAL__N_116CompareEqFunctorIS4_EEEESt5arrayIPcLm3EELi4E23TrivialOffsetCalculatorILi2EjESC_ILi1EjENS0_6memory15LoadWithoutCastENSF_16StoreWithoutCastEEEviT_T0_T2_T3_T4_T5_,"axG",@progbits,_ZN2at6native27unrolled_elementwise_kernelINS0_13BinaryFunctorIN3c1011Float8_e5m2ES4_bNS0_12_GLOBAL__N_116CompareEqFunctorIS4_EEEESt5arrayIPcLm3EELi4E23TrivialOffsetCalculatorILi2EjESC_ILi1EjENS0_6memory15LoadWithoutCastENSF_16StoreWithoutCastEEEviT_T0_T2_T3_T4_T5_,comdat
	.globl	_ZN2at6native27unrolled_elementwise_kernelINS0_13BinaryFunctorIN3c1011Float8_e5m2ES4_bNS0_12_GLOBAL__N_116CompareEqFunctorIS4_EEEESt5arrayIPcLm3EELi4E23TrivialOffsetCalculatorILi2EjESC_ILi1EjENS0_6memory15LoadWithoutCastENSF_16StoreWithoutCastEEEviT_T0_T2_T3_T4_T5_ ; -- Begin function _ZN2at6native27unrolled_elementwise_kernelINS0_13BinaryFunctorIN3c1011Float8_e5m2ES4_bNS0_12_GLOBAL__N_116CompareEqFunctorIS4_EEEESt5arrayIPcLm3EELi4E23TrivialOffsetCalculatorILi2EjESC_ILi1EjENS0_6memory15LoadWithoutCastENSF_16StoreWithoutCastEEEviT_T0_T2_T3_T4_T5_
	.p2align	8
	.type	_ZN2at6native27unrolled_elementwise_kernelINS0_13BinaryFunctorIN3c1011Float8_e5m2ES4_bNS0_12_GLOBAL__N_116CompareEqFunctorIS4_EEEESt5arrayIPcLm3EELi4E23TrivialOffsetCalculatorILi2EjESC_ILi1EjENS0_6memory15LoadWithoutCastENSF_16StoreWithoutCastEEEviT_T0_T2_T3_T4_T5_,@function
_ZN2at6native27unrolled_elementwise_kernelINS0_13BinaryFunctorIN3c1011Float8_e5m2ES4_bNS0_12_GLOBAL__N_116CompareEqFunctorIS4_EEEESt5arrayIPcLm3EELi4E23TrivialOffsetCalculatorILi2EjESC_ILi1EjENS0_6memory15LoadWithoutCastENSF_16StoreWithoutCastEEEviT_T0_T2_T3_T4_T5_: ; @_ZN2at6native27unrolled_elementwise_kernelINS0_13BinaryFunctorIN3c1011Float8_e5m2ES4_bNS0_12_GLOBAL__N_116CompareEqFunctorIS4_EEEESt5arrayIPcLm3EELi4E23TrivialOffsetCalculatorILi2EjESC_ILi1EjENS0_6memory15LoadWithoutCastENSF_16StoreWithoutCastEEEviT_T0_T2_T3_T4_T5_
; %bb.0:
	s_load_dwordx2 s[2:3], s[4:5], 0x0
	s_load_dwordx4 s[8:11], s[4:5], 0x8
	s_load_dwordx2 s[12:13], s[4:5], 0x18
	s_lshl_b32 s18, s6, 10
	v_mov_b32_e32 v1, 0
	s_waitcnt lgkmcnt(0)
	s_sub_i32 s19, s2, s18
	v_cmp_gt_i32_e32 vcc, s19, v0
	v_or_b32_e32 v2, s18, v0
	v_mov_b32_e32 v4, 0
	v_mov_b32_e32 v3, 0
	;; [unrolled: 1-line block ×8, first 2 shown]
	s_and_saveexec_b64 s[4:5], vcc
	s_cbranch_execz .LBB229_8
; %bb.1:
	global_load_ubyte v10, v2, s[10:11]
	global_load_ubyte v8, v2, s[12:13]
	v_or_b32_e32 v11, 0x100, v0
	v_cmp_gt_u32_e64 s[0:1], s19, v11
	v_mov_b32_e32 v7, 0
	v_mov_b32_e32 v9, 0
	;; [unrolled: 1-line block ×6, first 2 shown]
	s_and_saveexec_b64 s[6:7], s[0:1]
	s_cbranch_execz .LBB229_7
; %bb.2:
	v_add_u32_e32 v3, s18, v11
	global_load_ubyte v9, v3, s[10:11]
	global_load_ubyte v7, v3, s[12:13]
	v_or_b32_e32 v11, 0x200, v0
	v_cmp_gt_u32_e64 s[0:1], s19, v11
	v_mov_b32_e32 v5, 0
	v_mov_b32_e32 v6, 0
	v_mov_b32_e32 v3, 0
	v_mov_b32_e32 v4, 0
	s_and_saveexec_b64 s[14:15], s[0:1]
	s_cbranch_execz .LBB229_6
; %bb.3:
	v_add_u32_e32 v3, s18, v11
	global_load_ubyte v6, v3, s[10:11]
	global_load_ubyte v5, v3, s[12:13]
	v_or_b32_e32 v11, 0x300, v0
	v_cmp_gt_u32_e64 s[0:1], s19, v11
	v_mov_b32_e32 v3, 0
	v_mov_b32_e32 v4, 0
	s_and_saveexec_b64 s[16:17], s[0:1]
	s_cbranch_execz .LBB229_5
; %bb.4:
	v_add_u32_e32 v11, s18, v11
	global_load_ubyte v4, v11, s[10:11]
	global_load_ubyte v3, v11, s[12:13]
.LBB229_5:
	s_or_b64 exec, exec, s[16:17]
.LBB229_6:
	s_or_b64 exec, exec, s[14:15]
.LBB229_7:
	s_or_b64 exec, exec, s[6:7]
.LBB229_8:
	s_or_b64 exec, exec, s[4:5]
	s_cmp_eq_u32 s3, 0
	s_cselect_b64 s[0:1], -1, 0
	s_and_saveexec_b64 s[4:5], vcc
	s_cbranch_execz .LBB229_10
; %bb.9:
	s_waitcnt vmcnt(1)
	v_lshlrev_b16_e32 v1, 8, v10
	v_lshlrev_b32_e32 v10, 25, v10
	v_lshrrev_b32_e32 v11, 4, v10
	s_movk_i32 s6, 0x7f00
	v_or_b32_e32 v11, 0x70000000, v11
	v_and_or_b32 v12, v1, s6, 0.5
	s_brev_b32 s7, 16
	v_add_f32_e32 v12, -0.5, v12
	v_mul_f32_e32 v11, 0x7800000, v11
	v_cmp_gt_u32_e64 s[2:3], s7, v10
	v_cndmask_b32_e64 v10, v11, v12, s[2:3]
	v_bfe_i32 v1, v1, 0, 16
	s_brev_b32 s10, 1
	v_and_or_b32 v1, v1, s10, v10
	s_waitcnt vmcnt(0)
	v_lshlrev_b16_e32 v10, 8, v8
	v_lshlrev_b32_e32 v8, 25, v8
	v_lshrrev_b32_e32 v11, 4, v8
	v_or_b32_e32 v11, 0x70000000, v11
	v_and_or_b32 v12, v10, s6, 0.5
	v_add_f32_e32 v12, -0.5, v12
	v_mul_f32_e32 v11, 0x7800000, v11
	v_cmp_gt_u32_e64 s[2:3], s7, v8
	v_cndmask_b32_e64 v8, v11, v12, s[2:3]
	v_bfe_i32 v10, v10, 0, 16
	v_and_or_b32 v8, v10, s10, v8
	v_cmp_eq_f32_e64 s[2:3], v1, v8
	v_cndmask_b32_e64 v10, 0, 1, s[2:3]
	v_cmp_neq_f32_e64 s[2:3], v1, v8
	v_cndmask_b32_e64 v1, 0, 1, s[2:3]
	v_cndmask_b32_e64 v1, v1, v10, s[0:1]
	v_and_b32_e32 v1, 1, v1
.LBB229_10:
	s_or_b64 exec, exec, s[4:5]
	s_waitcnt vmcnt(0)
	v_or_b32_e32 v8, 0x100, v0
	v_cmp_gt_i32_e64 s[2:3], s19, v8
	s_and_saveexec_b64 s[4:5], s[2:3]
	s_cbranch_execz .LBB229_12
; %bb.11:
	v_lshlrev_b16_e32 v10, 8, v9
	v_lshlrev_b32_e32 v9, 25, v9
	v_lshrrev_b32_e32 v11, 4, v9
	s_movk_i32 s6, 0x7f00
	v_or_b32_e32 v11, 0x70000000, v11
	v_and_or_b32 v12, v10, s6, 0.5
	s_brev_b32 s7, 16
	v_add_f32_e32 v12, -0.5, v12
	v_mul_f32_e32 v11, 0x7800000, v11
	v_cmp_gt_u32_e64 s[2:3], s7, v9
	v_cndmask_b32_e64 v9, v11, v12, s[2:3]
	v_bfe_i32 v10, v10, 0, 16
	s_brev_b32 s10, 1
	v_and_or_b32 v9, v10, s10, v9
	v_lshlrev_b16_e32 v10, 8, v7
	v_lshlrev_b32_e32 v7, 25, v7
	v_lshrrev_b32_e32 v11, 4, v7
	v_or_b32_e32 v11, 0x70000000, v11
	v_and_or_b32 v12, v10, s6, 0.5
	v_add_f32_e32 v12, -0.5, v12
	v_mul_f32_e32 v11, 0x7800000, v11
	v_cmp_gt_u32_e64 s[2:3], s7, v7
	v_cndmask_b32_e64 v7, v11, v12, s[2:3]
	v_bfe_i32 v10, v10, 0, 16
	v_and_or_b32 v7, v10, s10, v7
	v_cmp_eq_f32_e64 s[2:3], v9, v7
	v_cndmask_b32_e64 v10, 0, 1, s[2:3]
	v_cmp_neq_f32_e64 s[2:3], v9, v7
	v_cndmask_b32_e64 v7, 0, 1, s[2:3]
	v_cndmask_b32_e64 v7, v7, v10, s[0:1]
	v_mov_b32_e32 v9, 1
	v_and_b32_sdwa v7, v7, v9 dst_sel:BYTE_1 dst_unused:UNUSED_PAD src0_sel:DWORD src1_sel:DWORD
	v_or_b32_e32 v1, v1, v7
	v_and_b32_e32 v1, 0xffff, v1
.LBB229_12:
	s_or_b64 exec, exec, s[4:5]
	v_or_b32_e32 v7, 0x200, v0
	v_cmp_gt_i32_e64 s[2:3], s19, v7
	s_and_saveexec_b64 s[4:5], s[2:3]
	s_cbranch_execz .LBB229_14
; %bb.13:
	v_lshlrev_b16_e32 v7, 8, v6
	v_lshlrev_b32_e32 v6, 25, v6
	v_lshrrev_b32_e32 v9, 4, v6
	s_movk_i32 s6, 0x7f00
	v_or_b32_e32 v9, 0x70000000, v9
	v_and_or_b32 v10, v7, s6, 0.5
	s_brev_b32 s7, 16
	v_add_f32_e32 v10, -0.5, v10
	v_mul_f32_e32 v9, 0x7800000, v9
	v_cmp_gt_u32_e64 s[2:3], s7, v6
	v_cndmask_b32_e64 v6, v9, v10, s[2:3]
	v_bfe_i32 v7, v7, 0, 16
	s_brev_b32 s10, 1
	v_and_or_b32 v6, v7, s10, v6
	v_lshlrev_b16_e32 v7, 8, v5
	v_lshlrev_b32_e32 v5, 25, v5
	v_lshrrev_b32_e32 v9, 4, v5
	v_or_b32_e32 v9, 0x70000000, v9
	v_and_or_b32 v10, v7, s6, 0.5
	v_add_f32_e32 v10, -0.5, v10
	v_mul_f32_e32 v9, 0x7800000, v9
	v_cmp_gt_u32_e64 s[2:3], s7, v5
	v_cndmask_b32_e64 v5, v9, v10, s[2:3]
	v_bfe_i32 v7, v7, 0, 16
	v_and_or_b32 v5, v7, s10, v5
	v_cmp_eq_f32_e64 s[2:3], v6, v5
	v_cndmask_b32_e64 v7, 0, 1, s[2:3]
	v_cmp_neq_f32_e64 s[2:3], v6, v5
	v_cndmask_b32_e64 v5, 0, 1, s[2:3]
	v_cndmask_b32_e64 v5, v5, v7, s[0:1]
	v_and_b32_e32 v5, 1, v5
	v_lshl_or_b32 v1, v5, 16, v1
.LBB229_14:
	s_or_b64 exec, exec, s[4:5]
	v_or_b32_e32 v5, 0x300, v0
	v_cmp_gt_i32_e64 s[2:3], s19, v5
	s_and_saveexec_b64 s[4:5], s[2:3]
	s_cbranch_execnz .LBB229_20
; %bb.15:
	s_or_b64 exec, exec, s[4:5]
	s_and_saveexec_b64 s[0:1], vcc
	s_xor_b64 s[0:1], exec, s[0:1]
	s_cbranch_execnz .LBB229_21
.LBB229_16:
	s_or_b64 exec, exec, s[0:1]
	v_cmp_gt_i32_e32 vcc, s19, v0
	s_and_saveexec_b64 s[0:1], vcc
	s_cbranch_execnz .LBB229_22
.LBB229_17:
	s_or_b64 exec, exec, s[0:1]
	v_cmp_gt_i32_e32 vcc, s19, v0
	s_and_saveexec_b64 s[0:1], vcc
	s_cbranch_execnz .LBB229_23
.LBB229_18:
	s_or_b64 exec, exec, s[0:1]
	v_cmp_gt_i32_e32 vcc, s19, v0
	s_and_saveexec_b64 s[0:1], vcc
	s_cbranch_execnz .LBB229_24
.LBB229_19:
	s_endpgm
.LBB229_20:
	v_lshlrev_b16_e32 v5, 8, v4
	v_lshlrev_b32_e32 v4, 25, v4
	v_lshrrev_b32_e32 v6, 4, v4
	s_movk_i32 s6, 0x7f00
	v_or_b32_e32 v6, 0x70000000, v6
	v_and_or_b32 v7, v5, s6, 0.5
	s_brev_b32 s7, 16
	v_add_f32_e32 v7, -0.5, v7
	v_mul_f32_e32 v6, 0x7800000, v6
	v_cmp_gt_u32_e64 s[2:3], s7, v4
	v_cndmask_b32_e64 v4, v6, v7, s[2:3]
	v_bfe_i32 v5, v5, 0, 16
	s_brev_b32 s10, 1
	v_and_or_b32 v4, v5, s10, v4
	v_lshlrev_b16_e32 v5, 8, v3
	v_lshlrev_b32_e32 v3, 25, v3
	v_lshrrev_b32_e32 v6, 4, v3
	v_or_b32_e32 v6, 0x70000000, v6
	v_and_or_b32 v7, v5, s6, 0.5
	v_add_f32_e32 v7, -0.5, v7
	v_mul_f32_e32 v6, 0x7800000, v6
	v_cmp_gt_u32_e64 s[2:3], s7, v3
	v_cndmask_b32_e64 v3, v6, v7, s[2:3]
	v_bfe_i32 v5, v5, 0, 16
	v_and_or_b32 v3, v5, s10, v3
	v_cmp_eq_f32_e64 s[2:3], v4, v3
	v_cndmask_b32_e64 v5, 0, 1, s[2:3]
	v_cmp_neq_f32_e64 s[2:3], v4, v3
	v_cndmask_b32_e64 v3, 0, 1, s[2:3]
	v_cndmask_b32_e64 v3, v3, v5, s[0:1]
	v_mov_b32_e32 v4, 1
	v_and_b32_sdwa v3, v3, v4 dst_sel:BYTE_1 dst_unused:UNUSED_PAD src0_sel:DWORD src1_sel:DWORD
	v_or_b32_sdwa v3, v1, v3 dst_sel:WORD_1 dst_unused:UNUSED_PAD src0_sel:WORD_1 src1_sel:DWORD
	s_mov_b32 s0, 0xffff
	v_and_or_b32 v1, v1, s0, v3
	s_or_b64 exec, exec, s[4:5]
	s_and_saveexec_b64 s[0:1], vcc
	s_xor_b64 s[0:1], exec, s[0:1]
	s_cbranch_execz .LBB229_16
.LBB229_21:
	v_mov_b32_e32 v0, v8
	global_store_byte v2, v1, s[8:9]
	s_or_b64 exec, exec, s[0:1]
	v_cmp_gt_i32_e32 vcc, s19, v0
	s_and_saveexec_b64 s[0:1], vcc
	s_cbranch_execz .LBB229_17
.LBB229_22:
	v_add_u32_e32 v2, 0x100, v0
	v_add_u32_e32 v0, s18, v0
	v_lshrrev_b32_e32 v3, 8, v1
	global_store_byte v0, v3, s[8:9]
	v_mov_b32_e32 v0, v2
	s_or_b64 exec, exec, s[0:1]
	v_cmp_gt_i32_e32 vcc, s19, v0
	s_and_saveexec_b64 s[0:1], vcc
	s_cbranch_execz .LBB229_18
.LBB229_23:
	v_add_u32_e32 v2, 0x100, v0
	v_add_u32_e32 v0, s18, v0
	global_store_byte_d16_hi v0, v1, s[8:9]
	v_mov_b32_e32 v0, v2
	s_or_b64 exec, exec, s[0:1]
	v_cmp_gt_i32_e32 vcc, s19, v0
	s_and_saveexec_b64 s[0:1], vcc
	s_cbranch_execz .LBB229_19
.LBB229_24:
	v_add_u32_e32 v0, s18, v0
	v_lshrrev_b32_e32 v1, 24, v1
	global_store_byte v0, v1, s[8:9]
	s_endpgm
	.section	.rodata,"a",@progbits
	.p2align	6, 0x0
	.amdhsa_kernel _ZN2at6native27unrolled_elementwise_kernelINS0_13BinaryFunctorIN3c1011Float8_e5m2ES4_bNS0_12_GLOBAL__N_116CompareEqFunctorIS4_EEEESt5arrayIPcLm3EELi4E23TrivialOffsetCalculatorILi2EjESC_ILi1EjENS0_6memory15LoadWithoutCastENSF_16StoreWithoutCastEEEviT_T0_T2_T3_T4_T5_
		.amdhsa_group_segment_fixed_size 0
		.amdhsa_private_segment_fixed_size 0
		.amdhsa_kernarg_size 36
		.amdhsa_user_sgpr_count 6
		.amdhsa_user_sgpr_private_segment_buffer 1
		.amdhsa_user_sgpr_dispatch_ptr 0
		.amdhsa_user_sgpr_queue_ptr 0
		.amdhsa_user_sgpr_kernarg_segment_ptr 1
		.amdhsa_user_sgpr_dispatch_id 0
		.amdhsa_user_sgpr_flat_scratch_init 0
		.amdhsa_user_sgpr_private_segment_size 0
		.amdhsa_uses_dynamic_stack 0
		.amdhsa_system_sgpr_private_segment_wavefront_offset 0
		.amdhsa_system_sgpr_workgroup_id_x 1
		.amdhsa_system_sgpr_workgroup_id_y 0
		.amdhsa_system_sgpr_workgroup_id_z 0
		.amdhsa_system_sgpr_workgroup_info 0
		.amdhsa_system_vgpr_workitem_id 0
		.amdhsa_next_free_vgpr 13
		.amdhsa_next_free_sgpr 20
		.amdhsa_reserve_vcc 1
		.amdhsa_reserve_flat_scratch 0
		.amdhsa_float_round_mode_32 0
		.amdhsa_float_round_mode_16_64 0
		.amdhsa_float_denorm_mode_32 3
		.amdhsa_float_denorm_mode_16_64 3
		.amdhsa_dx10_clamp 1
		.amdhsa_ieee_mode 1
		.amdhsa_fp16_overflow 0
		.amdhsa_exception_fp_ieee_invalid_op 0
		.amdhsa_exception_fp_denorm_src 0
		.amdhsa_exception_fp_ieee_div_zero 0
		.amdhsa_exception_fp_ieee_overflow 0
		.amdhsa_exception_fp_ieee_underflow 0
		.amdhsa_exception_fp_ieee_inexact 0
		.amdhsa_exception_int_div_zero 0
	.end_amdhsa_kernel
	.section	.text._ZN2at6native27unrolled_elementwise_kernelINS0_13BinaryFunctorIN3c1011Float8_e5m2ES4_bNS0_12_GLOBAL__N_116CompareEqFunctorIS4_EEEESt5arrayIPcLm3EELi4E23TrivialOffsetCalculatorILi2EjESC_ILi1EjENS0_6memory15LoadWithoutCastENSF_16StoreWithoutCastEEEviT_T0_T2_T3_T4_T5_,"axG",@progbits,_ZN2at6native27unrolled_elementwise_kernelINS0_13BinaryFunctorIN3c1011Float8_e5m2ES4_bNS0_12_GLOBAL__N_116CompareEqFunctorIS4_EEEESt5arrayIPcLm3EELi4E23TrivialOffsetCalculatorILi2EjESC_ILi1EjENS0_6memory15LoadWithoutCastENSF_16StoreWithoutCastEEEviT_T0_T2_T3_T4_T5_,comdat
.Lfunc_end229:
	.size	_ZN2at6native27unrolled_elementwise_kernelINS0_13BinaryFunctorIN3c1011Float8_e5m2ES4_bNS0_12_GLOBAL__N_116CompareEqFunctorIS4_EEEESt5arrayIPcLm3EELi4E23TrivialOffsetCalculatorILi2EjESC_ILi1EjENS0_6memory15LoadWithoutCastENSF_16StoreWithoutCastEEEviT_T0_T2_T3_T4_T5_, .Lfunc_end229-_ZN2at6native27unrolled_elementwise_kernelINS0_13BinaryFunctorIN3c1011Float8_e5m2ES4_bNS0_12_GLOBAL__N_116CompareEqFunctorIS4_EEEESt5arrayIPcLm3EELi4E23TrivialOffsetCalculatorILi2EjESC_ILi1EjENS0_6memory15LoadWithoutCastENSF_16StoreWithoutCastEEEviT_T0_T2_T3_T4_T5_
                                        ; -- End function
	.set _ZN2at6native27unrolled_elementwise_kernelINS0_13BinaryFunctorIN3c1011Float8_e5m2ES4_bNS0_12_GLOBAL__N_116CompareEqFunctorIS4_EEEESt5arrayIPcLm3EELi4E23TrivialOffsetCalculatorILi2EjESC_ILi1EjENS0_6memory15LoadWithoutCastENSF_16StoreWithoutCastEEEviT_T0_T2_T3_T4_T5_.num_vgpr, 13
	.set _ZN2at6native27unrolled_elementwise_kernelINS0_13BinaryFunctorIN3c1011Float8_e5m2ES4_bNS0_12_GLOBAL__N_116CompareEqFunctorIS4_EEEESt5arrayIPcLm3EELi4E23TrivialOffsetCalculatorILi2EjESC_ILi1EjENS0_6memory15LoadWithoutCastENSF_16StoreWithoutCastEEEviT_T0_T2_T3_T4_T5_.num_agpr, 0
	.set _ZN2at6native27unrolled_elementwise_kernelINS0_13BinaryFunctorIN3c1011Float8_e5m2ES4_bNS0_12_GLOBAL__N_116CompareEqFunctorIS4_EEEESt5arrayIPcLm3EELi4E23TrivialOffsetCalculatorILi2EjESC_ILi1EjENS0_6memory15LoadWithoutCastENSF_16StoreWithoutCastEEEviT_T0_T2_T3_T4_T5_.numbered_sgpr, 20
	.set _ZN2at6native27unrolled_elementwise_kernelINS0_13BinaryFunctorIN3c1011Float8_e5m2ES4_bNS0_12_GLOBAL__N_116CompareEqFunctorIS4_EEEESt5arrayIPcLm3EELi4E23TrivialOffsetCalculatorILi2EjESC_ILi1EjENS0_6memory15LoadWithoutCastENSF_16StoreWithoutCastEEEviT_T0_T2_T3_T4_T5_.num_named_barrier, 0
	.set _ZN2at6native27unrolled_elementwise_kernelINS0_13BinaryFunctorIN3c1011Float8_e5m2ES4_bNS0_12_GLOBAL__N_116CompareEqFunctorIS4_EEEESt5arrayIPcLm3EELi4E23TrivialOffsetCalculatorILi2EjESC_ILi1EjENS0_6memory15LoadWithoutCastENSF_16StoreWithoutCastEEEviT_T0_T2_T3_T4_T5_.private_seg_size, 0
	.set _ZN2at6native27unrolled_elementwise_kernelINS0_13BinaryFunctorIN3c1011Float8_e5m2ES4_bNS0_12_GLOBAL__N_116CompareEqFunctorIS4_EEEESt5arrayIPcLm3EELi4E23TrivialOffsetCalculatorILi2EjESC_ILi1EjENS0_6memory15LoadWithoutCastENSF_16StoreWithoutCastEEEviT_T0_T2_T3_T4_T5_.uses_vcc, 1
	.set _ZN2at6native27unrolled_elementwise_kernelINS0_13BinaryFunctorIN3c1011Float8_e5m2ES4_bNS0_12_GLOBAL__N_116CompareEqFunctorIS4_EEEESt5arrayIPcLm3EELi4E23TrivialOffsetCalculatorILi2EjESC_ILi1EjENS0_6memory15LoadWithoutCastENSF_16StoreWithoutCastEEEviT_T0_T2_T3_T4_T5_.uses_flat_scratch, 0
	.set _ZN2at6native27unrolled_elementwise_kernelINS0_13BinaryFunctorIN3c1011Float8_e5m2ES4_bNS0_12_GLOBAL__N_116CompareEqFunctorIS4_EEEESt5arrayIPcLm3EELi4E23TrivialOffsetCalculatorILi2EjESC_ILi1EjENS0_6memory15LoadWithoutCastENSF_16StoreWithoutCastEEEviT_T0_T2_T3_T4_T5_.has_dyn_sized_stack, 0
	.set _ZN2at6native27unrolled_elementwise_kernelINS0_13BinaryFunctorIN3c1011Float8_e5m2ES4_bNS0_12_GLOBAL__N_116CompareEqFunctorIS4_EEEESt5arrayIPcLm3EELi4E23TrivialOffsetCalculatorILi2EjESC_ILi1EjENS0_6memory15LoadWithoutCastENSF_16StoreWithoutCastEEEviT_T0_T2_T3_T4_T5_.has_recursion, 0
	.set _ZN2at6native27unrolled_elementwise_kernelINS0_13BinaryFunctorIN3c1011Float8_e5m2ES4_bNS0_12_GLOBAL__N_116CompareEqFunctorIS4_EEEESt5arrayIPcLm3EELi4E23TrivialOffsetCalculatorILi2EjESC_ILi1EjENS0_6memory15LoadWithoutCastENSF_16StoreWithoutCastEEEviT_T0_T2_T3_T4_T5_.has_indirect_call, 0
	.section	.AMDGPU.csdata,"",@progbits
; Kernel info:
; codeLenInByte = 1488
; TotalNumSgprs: 24
; NumVgprs: 13
; ScratchSize: 0
; MemoryBound: 0
; FloatMode: 240
; IeeeMode: 1
; LDSByteSize: 0 bytes/workgroup (compile time only)
; SGPRBlocks: 2
; VGPRBlocks: 3
; NumSGPRsForWavesPerEU: 24
; NumVGPRsForWavesPerEU: 13
; Occupancy: 10
; WaveLimiterHint : 0
; COMPUTE_PGM_RSRC2:SCRATCH_EN: 0
; COMPUTE_PGM_RSRC2:USER_SGPR: 6
; COMPUTE_PGM_RSRC2:TRAP_HANDLER: 0
; COMPUTE_PGM_RSRC2:TGID_X_EN: 1
; COMPUTE_PGM_RSRC2:TGID_Y_EN: 0
; COMPUTE_PGM_RSRC2:TGID_Z_EN: 0
; COMPUTE_PGM_RSRC2:TIDIG_COMP_CNT: 0
	.section	.text._ZN2at6native32elementwise_kernel_manual_unrollILi128ELi8EZNS0_22gpu_kernel_impl_nocastINS0_13BinaryFunctorIN3c1011Float8_e5m2ES5_bNS0_12_GLOBAL__N_116CompareEqFunctorIS5_EEEEEEvRNS_18TensorIteratorBaseERKT_EUlibE_EEviT1_,"axG",@progbits,_ZN2at6native32elementwise_kernel_manual_unrollILi128ELi8EZNS0_22gpu_kernel_impl_nocastINS0_13BinaryFunctorIN3c1011Float8_e5m2ES5_bNS0_12_GLOBAL__N_116CompareEqFunctorIS5_EEEEEEvRNS_18TensorIteratorBaseERKT_EUlibE_EEviT1_,comdat
	.globl	_ZN2at6native32elementwise_kernel_manual_unrollILi128ELi8EZNS0_22gpu_kernel_impl_nocastINS0_13BinaryFunctorIN3c1011Float8_e5m2ES5_bNS0_12_GLOBAL__N_116CompareEqFunctorIS5_EEEEEEvRNS_18TensorIteratorBaseERKT_EUlibE_EEviT1_ ; -- Begin function _ZN2at6native32elementwise_kernel_manual_unrollILi128ELi8EZNS0_22gpu_kernel_impl_nocastINS0_13BinaryFunctorIN3c1011Float8_e5m2ES5_bNS0_12_GLOBAL__N_116CompareEqFunctorIS5_EEEEEEvRNS_18TensorIteratorBaseERKT_EUlibE_EEviT1_
	.p2align	8
	.type	_ZN2at6native32elementwise_kernel_manual_unrollILi128ELi8EZNS0_22gpu_kernel_impl_nocastINS0_13BinaryFunctorIN3c1011Float8_e5m2ES5_bNS0_12_GLOBAL__N_116CompareEqFunctorIS5_EEEEEEvRNS_18TensorIteratorBaseERKT_EUlibE_EEviT1_,@function
_ZN2at6native32elementwise_kernel_manual_unrollILi128ELi8EZNS0_22gpu_kernel_impl_nocastINS0_13BinaryFunctorIN3c1011Float8_e5m2ES5_bNS0_12_GLOBAL__N_116CompareEqFunctorIS5_EEEEEEvRNS_18TensorIteratorBaseERKT_EUlibE_EEviT1_: ; @_ZN2at6native32elementwise_kernel_manual_unrollILi128ELi8EZNS0_22gpu_kernel_impl_nocastINS0_13BinaryFunctorIN3c1011Float8_e5m2ES5_bNS0_12_GLOBAL__N_116CompareEqFunctorIS5_EEEEEEvRNS_18TensorIteratorBaseERKT_EUlibE_EEviT1_
; %bb.0:
	s_load_dword s38, s[4:5], 0x0
	s_load_dword s33, s[4:5], 0x8
	s_add_u32 s16, s4, 8
	s_addc_u32 s17, s5, 0
	v_lshl_or_b32 v26, s6, 10, v0
	v_or_b32_e32 v39, 0x380, v26
	s_waitcnt lgkmcnt(0)
	s_add_i32 s36, s33, -1
	s_cmp_gt_u32 s36, 1
	v_cmp_le_i32_e32 vcc, s38, v39
	s_cselect_b64 s[2:3], -1, 0
	s_and_saveexec_b64 s[0:1], vcc
	s_xor_b64 s[18:19], exec, s[0:1]
	s_cbranch_execz .LBB230_106
; %bb.1:
	s_load_dwordx4 s[12:15], s[16:17], 0x4
	s_load_dwordx2 s[24:25], s[16:17], 0x14
	s_load_dwordx4 s[8:11], s[16:17], 0xc4
	s_load_dwordx2 s[22:23], s[16:17], 0xd4
	s_load_dword s0, s[16:17], 0x1a0
	s_cmp_lg_u32 s33, 0
	s_load_dwordx2 s[20:21], s[16:17], 0x198
	s_load_dwordx4 s[4:7], s[16:17], 0x188
	s_cselect_b64 s[28:29], -1, 0
	s_min_u32 s37, s36, 15
	s_cmp_gt_u32 s33, 1
	s_cselect_b64 s[26:27], -1, 0
	s_waitcnt lgkmcnt(0)
	s_cmp_eq_u32 s0, 0
	s_cselect_b64 s[0:1], -1, 0
	v_cmp_gt_i32_e32 vcc, s38, v26
	s_and_saveexec_b64 s[30:31], vcc
	s_cbranch_execnz .LBB230_9
; %bb.2:
	s_or_b64 exec, exec, s[30:31]
	v_cmp_gt_i32_e32 vcc, s38, v26
	s_and_saveexec_b64 s[30:31], vcc
	s_cbranch_execnz .LBB230_21
.LBB230_3:
	s_or_b64 exec, exec, s[30:31]
	v_cmp_gt_i32_e32 vcc, s38, v26
	s_and_saveexec_b64 s[30:31], vcc
	s_cbranch_execnz .LBB230_33
.LBB230_4:
	s_or_b64 exec, exec, s[30:31]
	v_cmp_gt_i32_e32 vcc, s38, v26
	s_and_saveexec_b64 s[30:31], vcc
	s_cbranch_execnz .LBB230_45
.LBB230_5:
	s_or_b64 exec, exec, s[30:31]
	v_cmp_gt_i32_e32 vcc, s38, v26
	s_and_saveexec_b64 s[30:31], vcc
	s_cbranch_execnz .LBB230_57
.LBB230_6:
	s_or_b64 exec, exec, s[30:31]
	v_cmp_gt_i32_e32 vcc, s38, v26
	s_and_saveexec_b64 s[30:31], vcc
	s_cbranch_execnz .LBB230_69
.LBB230_7:
	s_or_b64 exec, exec, s[30:31]
	v_cmp_gt_i32_e32 vcc, s38, v26
	s_and_saveexec_b64 s[30:31], vcc
	s_cbranch_execnz .LBB230_81
.LBB230_8:
	s_or_b64 exec, exec, s[30:31]
	v_cmp_gt_i32_e32 vcc, s38, v26
	s_and_saveexec_b64 s[30:31], vcc
	s_cbranch_execnz .LBB230_93
	s_branch .LBB230_105
.LBB230_9:
	s_andn2_b64 vcc, exec, s[2:3]
	s_cbranch_vccnz .LBB230_15
; %bb.10:
	s_andn2_b64 vcc, exec, s[28:29]
	s_cbranch_vccnz .LBB230_16
; %bb.11:
	s_add_i32 s34, s37, 1
	s_and_b32 s39, s34, 30
	s_add_u32 s34, s16, 0xffffffe8
	s_addc_u32 s35, s17, -1
	v_mov_b32_e32 v2, 0
	v_mov_b32_e32 v4, 0
	;; [unrolled: 1-line block ×4, first 2 shown]
.LBB230_12:                             ; =>This Inner Loop Header: Depth=1
	s_load_dwordx4 s[40:43], s[34:35], 0x1c
	s_load_dwordx2 s[48:49], s[34:35], 0x2c
	s_load_dwordx2 s[50:51], s[34:35], 0xec
	s_load_dwordx4 s[44:47], s[34:35], 0xdc
	s_add_u32 s34, s34, 24
	s_waitcnt lgkmcnt(0)
	v_mul_hi_u32 v3, s41, v1
	s_addc_u32 s35, s35, 0
	s_add_i32 s39, s39, -2
	s_cmp_lg_u32 s39, 0
	v_add_u32_e32 v3, v1, v3
	v_lshrrev_b32_e32 v3, s42, v3
	v_mul_lo_u32 v5, v3, s40
	v_mul_hi_u32 v6, s48, v3
	v_sub_u32_e32 v5, v1, v5
	v_add_u32_e32 v1, v3, v6
	v_lshrrev_b32_e32 v1, s49, v1
	v_mul_lo_u32 v8, v1, s43
	v_mul_lo_u32 v6, v5, s44
	;; [unrolled: 1-line block ×4, first 2 shown]
	v_sub_u32_e32 v3, v3, v8
	v_mul_lo_u32 v8, v3, s47
	v_mul_lo_u32 v9, v3, s50
	;; [unrolled: 1-line block ×3, first 2 shown]
	v_add3_u32 v0, v6, v0, v8
	v_add3_u32 v4, v7, v4, v9
	;; [unrolled: 1-line block ×3, first 2 shown]
	s_cbranch_scc1 .LBB230_12
; %bb.13:
	s_bitcmp1_b32 s37, 0
	s_cselect_b64 s[40:41], -1, 0
	s_and_b64 vcc, exec, s[40:41]
	s_cbranch_vccnz .LBB230_17
; %bb.14:
	s_load_dwordx2 s[40:41], s[34:35], 0x1c
	s_load_dword s39, s[34:35], 0x24
	s_load_dwordx2 s[42:43], s[34:35], 0xdc
	s_waitcnt lgkmcnt(0)
	v_mul_hi_u32 v3, s41, v1
	v_add_u32_e32 v3, v1, v3
	v_lshrrev_b32_e32 v3, s39, v3
	v_mul_lo_u32 v3, v3, s40
	s_load_dword s39, s[34:35], 0xe4
	v_sub_u32_e32 v3, v1, v3
	v_mad_u64_u32 v[0:1], s[34:35], v3, s42, v[0:1]
	v_mad_u64_u32 v[4:5], s[34:35], v3, s43, v[4:5]
	s_waitcnt lgkmcnt(0)
	v_mad_u64_u32 v[2:3], s[34:35], v3, s39, v[2:3]
	s_cbranch_execz .LBB230_18
	s_branch .LBB230_20
.LBB230_15:
                                        ; implicit-def: $vgpr0
                                        ; implicit-def: $vgpr4
                                        ; implicit-def: $vgpr2
	s_branch .LBB230_18
.LBB230_16:
	v_mov_b32_e32 v0, 0
	v_mov_b32_e32 v4, 0
	;; [unrolled: 1-line block ×3, first 2 shown]
.LBB230_17:
	s_cbranch_execnz .LBB230_20
.LBB230_18:
	v_mul_hi_u32 v0, s13, v26
	s_andn2_b64 vcc, exec, s[26:27]
	v_add_u32_e32 v0, v26, v0
	v_lshrrev_b32_e32 v1, s14, v0
	v_mul_lo_u32 v0, v1, s12
	v_sub_u32_e32 v2, v26, v0
	v_mul_lo_u32 v0, v2, s8
	v_mul_lo_u32 v4, v2, s9
	;; [unrolled: 1-line block ×3, first 2 shown]
	s_cbranch_vccnz .LBB230_20
; %bb.19:
	v_mul_hi_u32 v3, s24, v1
	v_add_u32_e32 v3, v1, v3
	v_lshrrev_b32_e32 v3, s25, v3
	v_mul_lo_u32 v3, v3, s15
	v_sub_u32_e32 v3, v1, v3
	v_mad_u64_u32 v[0:1], s[34:35], v3, s11, v[0:1]
	v_mad_u64_u32 v[4:5], s[34:35], v3, s22, v[4:5]
	;; [unrolled: 1-line block ×3, first 2 shown]
.LBB230_20:
	global_load_ubyte v1, v4, s[6:7]
	global_load_ubyte v3, v2, s[20:21]
	s_mov_b32 s34, 0x5040100
	v_mov_b32_e32 v2, 0.5
	s_brev_b32 s35, 16
	s_brev_b32 s39, 1
	v_add_u32_e32 v26, 0x80, v26
	s_waitcnt vmcnt(0)
	v_perm_b32 v4, v3, v1, s34
	v_lshlrev_b32_e32 v3, 25, v3
	v_pk_lshlrev_b16 v4, 8, v4 op_sel_hi:[0,1]
	v_lshlrev_b32_e32 v1, 25, v1
	v_lshrrev_b32_e32 v5, 4, v3
	v_and_b32_e32 v7, 0x7f007f00, v4
	v_lshrrev_b32_e32 v6, 4, v1
	v_or_b32_e32 v5, 0x70000000, v5
	v_and_b32_e32 v9, 0x7f00, v7
	v_or_b32_sdwa v2, v7, v2 dst_sel:DWORD dst_unused:UNUSED_PAD src0_sel:WORD_1 src1_sel:DWORD
	v_or_b32_e32 v6, 0x70000000, v6
	v_mul_f32_e32 v5, 0x7800000, v5
	v_or_b32_e32 v7, 0.5, v9
	v_add_f32_e32 v2, -0.5, v2
	v_cmp_gt_u32_e32 vcc, s35, v3
	v_mul_f32_e32 v6, 0x7800000, v6
	v_add_f32_e32 v7, -0.5, v7
	v_cndmask_b32_e32 v2, v5, v2, vcc
	v_cmp_gt_u32_e32 vcc, s35, v1
	v_and_b32_sdwa v8, sext(v4), s39 dst_sel:DWORD dst_unused:UNUSED_PAD src0_sel:WORD_1 src1_sel:DWORD
	v_and_b32_sdwa v4, sext(v4), s39 dst_sel:DWORD dst_unused:UNUSED_PAD src0_sel:WORD_0 src1_sel:DWORD
	v_cndmask_b32_e32 v1, v6, v7, vcc
	v_or_b32_e32 v2, v8, v2
	v_or_b32_e32 v1, v4, v1
	v_cmp_eq_f32_e32 vcc, v1, v2
	v_cndmask_b32_e64 v3, 0, 1, vcc
	v_cmp_neq_f32_e32 vcc, v1, v2
	v_cndmask_b32_e64 v1, 0, 1, vcc
	v_cndmask_b32_e64 v1, v1, v3, s[0:1]
	v_and_b32_e32 v1, 1, v1
	global_store_byte v0, v1, s[4:5]
	s_or_b64 exec, exec, s[30:31]
	v_cmp_gt_i32_e32 vcc, s38, v26
	s_and_saveexec_b64 s[30:31], vcc
	s_cbranch_execz .LBB230_3
.LBB230_21:
	s_andn2_b64 vcc, exec, s[2:3]
	s_cbranch_vccnz .LBB230_27
; %bb.22:
	s_andn2_b64 vcc, exec, s[28:29]
	s_cbranch_vccnz .LBB230_28
; %bb.23:
	s_add_i32 s34, s37, 1
	s_and_b32 s39, s34, 30
	s_add_u32 s34, s16, 0xffffffe8
	s_addc_u32 s35, s17, -1
	v_mov_b32_e32 v2, 0
	v_mov_b32_e32 v4, 0
	;; [unrolled: 1-line block ×4, first 2 shown]
.LBB230_24:                             ; =>This Inner Loop Header: Depth=1
	s_load_dwordx4 s[40:43], s[34:35], 0x1c
	s_load_dwordx2 s[48:49], s[34:35], 0x2c
	s_load_dwordx2 s[50:51], s[34:35], 0xec
	s_load_dwordx4 s[44:47], s[34:35], 0xdc
	s_add_u32 s34, s34, 24
	s_waitcnt lgkmcnt(0)
	v_mul_hi_u32 v3, s41, v1
	s_addc_u32 s35, s35, 0
	s_add_i32 s39, s39, -2
	s_cmp_eq_u32 s39, 0
	v_add_u32_e32 v3, v1, v3
	v_lshrrev_b32_e32 v3, s42, v3
	v_mul_lo_u32 v5, v3, s40
	v_mul_hi_u32 v6, s48, v3
	v_sub_u32_e32 v5, v1, v5
	v_add_u32_e32 v1, v3, v6
	v_lshrrev_b32_e32 v1, s49, v1
	v_mul_lo_u32 v8, v1, s43
	v_mul_lo_u32 v6, v5, s44
	;; [unrolled: 1-line block ×4, first 2 shown]
	v_sub_u32_e32 v3, v3, v8
	v_mul_lo_u32 v8, v3, s47
	v_mul_lo_u32 v9, v3, s50
	;; [unrolled: 1-line block ×3, first 2 shown]
	v_add3_u32 v0, v6, v0, v8
	v_add3_u32 v4, v7, v4, v9
	;; [unrolled: 1-line block ×3, first 2 shown]
	s_cbranch_scc0 .LBB230_24
; %bb.25:
	s_bitcmp1_b32 s37, 0
	s_cselect_b64 s[40:41], -1, 0
	s_and_b64 vcc, exec, s[40:41]
	s_cbranch_vccnz .LBB230_29
; %bb.26:
	s_load_dwordx2 s[40:41], s[34:35], 0x1c
	s_load_dword s39, s[34:35], 0x24
	s_load_dwordx2 s[42:43], s[34:35], 0xdc
	s_waitcnt lgkmcnt(0)
	v_mul_hi_u32 v3, s41, v1
	v_add_u32_e32 v3, v1, v3
	v_lshrrev_b32_e32 v3, s39, v3
	v_mul_lo_u32 v3, v3, s40
	s_load_dword s39, s[34:35], 0xe4
	v_sub_u32_e32 v3, v1, v3
	v_mad_u64_u32 v[0:1], s[34:35], v3, s42, v[0:1]
	v_mad_u64_u32 v[4:5], s[34:35], v3, s43, v[4:5]
	s_waitcnt lgkmcnt(0)
	v_mad_u64_u32 v[2:3], s[34:35], v3, s39, v[2:3]
	s_branch .LBB230_29
.LBB230_27:
                                        ; implicit-def: $vgpr0
                                        ; implicit-def: $vgpr4
                                        ; implicit-def: $vgpr2
	s_branch .LBB230_30
.LBB230_28:
	v_mov_b32_e32 v0, 0
	v_mov_b32_e32 v4, 0
	;; [unrolled: 1-line block ×3, first 2 shown]
.LBB230_29:
	s_cbranch_execnz .LBB230_32
.LBB230_30:
	v_mul_hi_u32 v0, s13, v26
	s_andn2_b64 vcc, exec, s[26:27]
	v_add_u32_e32 v0, v26, v0
	v_lshrrev_b32_e32 v1, s14, v0
	v_mul_lo_u32 v0, v1, s12
	v_sub_u32_e32 v2, v26, v0
	v_mul_lo_u32 v0, v2, s8
	v_mul_lo_u32 v4, v2, s9
	;; [unrolled: 1-line block ×3, first 2 shown]
	s_cbranch_vccnz .LBB230_32
; %bb.31:
	v_mul_hi_u32 v3, s24, v1
	v_add_u32_e32 v3, v1, v3
	v_lshrrev_b32_e32 v3, s25, v3
	v_mul_lo_u32 v3, v3, s15
	v_sub_u32_e32 v3, v1, v3
	v_mad_u64_u32 v[0:1], s[34:35], v3, s11, v[0:1]
	v_mad_u64_u32 v[4:5], s[34:35], v3, s22, v[4:5]
	;; [unrolled: 1-line block ×3, first 2 shown]
.LBB230_32:
	global_load_ubyte v1, v4, s[6:7]
	global_load_ubyte v3, v2, s[20:21]
	s_mov_b32 s34, 0x5040100
	v_mov_b32_e32 v2, 0.5
	s_brev_b32 s35, 16
	s_brev_b32 s39, 1
	v_add_u32_e32 v26, 0x80, v26
	s_waitcnt vmcnt(0)
	v_perm_b32 v4, v3, v1, s34
	v_lshlrev_b32_e32 v3, 25, v3
	v_pk_lshlrev_b16 v4, 8, v4 op_sel_hi:[0,1]
	v_lshlrev_b32_e32 v1, 25, v1
	v_lshrrev_b32_e32 v5, 4, v3
	v_and_b32_e32 v7, 0x7f007f00, v4
	v_lshrrev_b32_e32 v6, 4, v1
	v_or_b32_e32 v5, 0x70000000, v5
	v_and_b32_e32 v9, 0x7f00, v7
	v_or_b32_sdwa v2, v7, v2 dst_sel:DWORD dst_unused:UNUSED_PAD src0_sel:WORD_1 src1_sel:DWORD
	v_or_b32_e32 v6, 0x70000000, v6
	v_mul_f32_e32 v5, 0x7800000, v5
	v_or_b32_e32 v7, 0.5, v9
	v_add_f32_e32 v2, -0.5, v2
	v_cmp_gt_u32_e32 vcc, s35, v3
	v_mul_f32_e32 v6, 0x7800000, v6
	v_add_f32_e32 v7, -0.5, v7
	v_cndmask_b32_e32 v2, v5, v2, vcc
	v_cmp_gt_u32_e32 vcc, s35, v1
	v_and_b32_sdwa v8, sext(v4), s39 dst_sel:DWORD dst_unused:UNUSED_PAD src0_sel:WORD_1 src1_sel:DWORD
	v_and_b32_sdwa v4, sext(v4), s39 dst_sel:DWORD dst_unused:UNUSED_PAD src0_sel:WORD_0 src1_sel:DWORD
	v_cndmask_b32_e32 v1, v6, v7, vcc
	v_or_b32_e32 v2, v8, v2
	v_or_b32_e32 v1, v4, v1
	v_cmp_eq_f32_e32 vcc, v1, v2
	v_cndmask_b32_e64 v3, 0, 1, vcc
	v_cmp_neq_f32_e32 vcc, v1, v2
	v_cndmask_b32_e64 v1, 0, 1, vcc
	v_cndmask_b32_e64 v1, v1, v3, s[0:1]
	v_and_b32_e32 v1, 1, v1
	global_store_byte v0, v1, s[4:5]
	s_or_b64 exec, exec, s[30:31]
	v_cmp_gt_i32_e32 vcc, s38, v26
	s_and_saveexec_b64 s[30:31], vcc
	s_cbranch_execz .LBB230_4
.LBB230_33:
	s_andn2_b64 vcc, exec, s[2:3]
	s_cbranch_vccnz .LBB230_39
; %bb.34:
	s_andn2_b64 vcc, exec, s[28:29]
	s_cbranch_vccnz .LBB230_40
; %bb.35:
	s_add_i32 s34, s37, 1
	s_and_b32 s39, s34, 30
	s_add_u32 s34, s16, 0xffffffe8
	s_addc_u32 s35, s17, -1
	v_mov_b32_e32 v2, 0
	v_mov_b32_e32 v4, 0
	;; [unrolled: 1-line block ×4, first 2 shown]
.LBB230_36:                             ; =>This Inner Loop Header: Depth=1
	s_load_dwordx4 s[40:43], s[34:35], 0x1c
	s_load_dwordx2 s[48:49], s[34:35], 0x2c
	s_load_dwordx2 s[50:51], s[34:35], 0xec
	s_load_dwordx4 s[44:47], s[34:35], 0xdc
	s_add_u32 s34, s34, 24
	s_waitcnt lgkmcnt(0)
	v_mul_hi_u32 v3, s41, v1
	s_addc_u32 s35, s35, 0
	s_add_i32 s39, s39, -2
	s_cmp_eq_u32 s39, 0
	v_add_u32_e32 v3, v1, v3
	v_lshrrev_b32_e32 v3, s42, v3
	v_mul_lo_u32 v5, v3, s40
	v_mul_hi_u32 v6, s48, v3
	v_sub_u32_e32 v5, v1, v5
	v_add_u32_e32 v1, v3, v6
	v_lshrrev_b32_e32 v1, s49, v1
	v_mul_lo_u32 v8, v1, s43
	v_mul_lo_u32 v6, v5, s44
	v_mul_lo_u32 v7, v5, s45
	v_mul_lo_u32 v5, v5, s46
	v_sub_u32_e32 v3, v3, v8
	v_mul_lo_u32 v8, v3, s47
	v_mul_lo_u32 v9, v3, s50
	;; [unrolled: 1-line block ×3, first 2 shown]
	v_add3_u32 v0, v6, v0, v8
	v_add3_u32 v4, v7, v4, v9
	;; [unrolled: 1-line block ×3, first 2 shown]
	s_cbranch_scc0 .LBB230_36
; %bb.37:
	s_bitcmp1_b32 s37, 0
	s_cselect_b64 s[40:41], -1, 0
	s_and_b64 vcc, exec, s[40:41]
	s_cbranch_vccnz .LBB230_41
; %bb.38:
	s_load_dwordx2 s[40:41], s[34:35], 0x1c
	s_load_dword s39, s[34:35], 0x24
	s_load_dwordx2 s[42:43], s[34:35], 0xdc
	s_waitcnt lgkmcnt(0)
	v_mul_hi_u32 v3, s41, v1
	v_add_u32_e32 v3, v1, v3
	v_lshrrev_b32_e32 v3, s39, v3
	v_mul_lo_u32 v3, v3, s40
	s_load_dword s39, s[34:35], 0xe4
	v_sub_u32_e32 v3, v1, v3
	v_mad_u64_u32 v[0:1], s[34:35], v3, s42, v[0:1]
	v_mad_u64_u32 v[4:5], s[34:35], v3, s43, v[4:5]
	s_waitcnt lgkmcnt(0)
	v_mad_u64_u32 v[2:3], s[34:35], v3, s39, v[2:3]
	s_branch .LBB230_41
.LBB230_39:
                                        ; implicit-def: $vgpr0
                                        ; implicit-def: $vgpr4
                                        ; implicit-def: $vgpr2
	s_branch .LBB230_42
.LBB230_40:
	v_mov_b32_e32 v0, 0
	v_mov_b32_e32 v4, 0
	;; [unrolled: 1-line block ×3, first 2 shown]
.LBB230_41:
	s_cbranch_execnz .LBB230_44
.LBB230_42:
	v_mul_hi_u32 v0, s13, v26
	s_andn2_b64 vcc, exec, s[26:27]
	v_add_u32_e32 v0, v26, v0
	v_lshrrev_b32_e32 v1, s14, v0
	v_mul_lo_u32 v0, v1, s12
	v_sub_u32_e32 v2, v26, v0
	v_mul_lo_u32 v0, v2, s8
	v_mul_lo_u32 v4, v2, s9
	;; [unrolled: 1-line block ×3, first 2 shown]
	s_cbranch_vccnz .LBB230_44
; %bb.43:
	v_mul_hi_u32 v3, s24, v1
	v_add_u32_e32 v3, v1, v3
	v_lshrrev_b32_e32 v3, s25, v3
	v_mul_lo_u32 v3, v3, s15
	v_sub_u32_e32 v3, v1, v3
	v_mad_u64_u32 v[0:1], s[34:35], v3, s11, v[0:1]
	v_mad_u64_u32 v[4:5], s[34:35], v3, s22, v[4:5]
	;; [unrolled: 1-line block ×3, first 2 shown]
.LBB230_44:
	global_load_ubyte v1, v4, s[6:7]
	global_load_ubyte v3, v2, s[20:21]
	s_mov_b32 s34, 0x5040100
	v_mov_b32_e32 v2, 0.5
	s_brev_b32 s35, 16
	s_brev_b32 s39, 1
	v_add_u32_e32 v26, 0x80, v26
	s_waitcnt vmcnt(0)
	v_perm_b32 v4, v3, v1, s34
	v_lshlrev_b32_e32 v3, 25, v3
	v_pk_lshlrev_b16 v4, 8, v4 op_sel_hi:[0,1]
	v_lshlrev_b32_e32 v1, 25, v1
	v_lshrrev_b32_e32 v5, 4, v3
	v_and_b32_e32 v7, 0x7f007f00, v4
	v_lshrrev_b32_e32 v6, 4, v1
	v_or_b32_e32 v5, 0x70000000, v5
	v_and_b32_e32 v9, 0x7f00, v7
	v_or_b32_sdwa v2, v7, v2 dst_sel:DWORD dst_unused:UNUSED_PAD src0_sel:WORD_1 src1_sel:DWORD
	v_or_b32_e32 v6, 0x70000000, v6
	v_mul_f32_e32 v5, 0x7800000, v5
	v_or_b32_e32 v7, 0.5, v9
	v_add_f32_e32 v2, -0.5, v2
	v_cmp_gt_u32_e32 vcc, s35, v3
	v_mul_f32_e32 v6, 0x7800000, v6
	v_add_f32_e32 v7, -0.5, v7
	v_cndmask_b32_e32 v2, v5, v2, vcc
	v_cmp_gt_u32_e32 vcc, s35, v1
	v_and_b32_sdwa v8, sext(v4), s39 dst_sel:DWORD dst_unused:UNUSED_PAD src0_sel:WORD_1 src1_sel:DWORD
	v_and_b32_sdwa v4, sext(v4), s39 dst_sel:DWORD dst_unused:UNUSED_PAD src0_sel:WORD_0 src1_sel:DWORD
	v_cndmask_b32_e32 v1, v6, v7, vcc
	v_or_b32_e32 v2, v8, v2
	v_or_b32_e32 v1, v4, v1
	v_cmp_eq_f32_e32 vcc, v1, v2
	v_cndmask_b32_e64 v3, 0, 1, vcc
	v_cmp_neq_f32_e32 vcc, v1, v2
	v_cndmask_b32_e64 v1, 0, 1, vcc
	v_cndmask_b32_e64 v1, v1, v3, s[0:1]
	v_and_b32_e32 v1, 1, v1
	global_store_byte v0, v1, s[4:5]
	s_or_b64 exec, exec, s[30:31]
	v_cmp_gt_i32_e32 vcc, s38, v26
	s_and_saveexec_b64 s[30:31], vcc
	s_cbranch_execz .LBB230_5
.LBB230_45:
	s_andn2_b64 vcc, exec, s[2:3]
	s_cbranch_vccnz .LBB230_51
; %bb.46:
	s_andn2_b64 vcc, exec, s[28:29]
	s_cbranch_vccnz .LBB230_52
; %bb.47:
	s_add_i32 s34, s37, 1
	s_and_b32 s39, s34, 30
	s_add_u32 s34, s16, 0xffffffe8
	s_addc_u32 s35, s17, -1
	v_mov_b32_e32 v2, 0
	v_mov_b32_e32 v4, 0
	;; [unrolled: 1-line block ×4, first 2 shown]
.LBB230_48:                             ; =>This Inner Loop Header: Depth=1
	s_load_dwordx4 s[40:43], s[34:35], 0x1c
	s_load_dwordx2 s[48:49], s[34:35], 0x2c
	s_load_dwordx2 s[50:51], s[34:35], 0xec
	s_load_dwordx4 s[44:47], s[34:35], 0xdc
	s_add_u32 s34, s34, 24
	s_waitcnt lgkmcnt(0)
	v_mul_hi_u32 v3, s41, v1
	s_addc_u32 s35, s35, 0
	s_add_i32 s39, s39, -2
	s_cmp_eq_u32 s39, 0
	v_add_u32_e32 v3, v1, v3
	v_lshrrev_b32_e32 v3, s42, v3
	v_mul_lo_u32 v5, v3, s40
	v_mul_hi_u32 v6, s48, v3
	v_sub_u32_e32 v5, v1, v5
	v_add_u32_e32 v1, v3, v6
	v_lshrrev_b32_e32 v1, s49, v1
	v_mul_lo_u32 v8, v1, s43
	v_mul_lo_u32 v6, v5, s44
	;; [unrolled: 1-line block ×4, first 2 shown]
	v_sub_u32_e32 v3, v3, v8
	v_mul_lo_u32 v8, v3, s47
	v_mul_lo_u32 v9, v3, s50
	;; [unrolled: 1-line block ×3, first 2 shown]
	v_add3_u32 v0, v6, v0, v8
	v_add3_u32 v4, v7, v4, v9
	v_add3_u32 v2, v5, v2, v3
	s_cbranch_scc0 .LBB230_48
; %bb.49:
	s_bitcmp1_b32 s37, 0
	s_cselect_b64 s[40:41], -1, 0
	s_and_b64 vcc, exec, s[40:41]
	s_cbranch_vccnz .LBB230_53
; %bb.50:
	s_load_dwordx2 s[40:41], s[34:35], 0x1c
	s_load_dword s39, s[34:35], 0x24
	s_load_dwordx2 s[42:43], s[34:35], 0xdc
	s_waitcnt lgkmcnt(0)
	v_mul_hi_u32 v3, s41, v1
	v_add_u32_e32 v3, v1, v3
	v_lshrrev_b32_e32 v3, s39, v3
	v_mul_lo_u32 v3, v3, s40
	s_load_dword s39, s[34:35], 0xe4
	v_sub_u32_e32 v3, v1, v3
	v_mad_u64_u32 v[0:1], s[34:35], v3, s42, v[0:1]
	v_mad_u64_u32 v[4:5], s[34:35], v3, s43, v[4:5]
	s_waitcnt lgkmcnt(0)
	v_mad_u64_u32 v[2:3], s[34:35], v3, s39, v[2:3]
	s_branch .LBB230_53
.LBB230_51:
                                        ; implicit-def: $vgpr0
                                        ; implicit-def: $vgpr4
                                        ; implicit-def: $vgpr2
	s_branch .LBB230_54
.LBB230_52:
	v_mov_b32_e32 v0, 0
	v_mov_b32_e32 v4, 0
	;; [unrolled: 1-line block ×3, first 2 shown]
.LBB230_53:
	s_cbranch_execnz .LBB230_56
.LBB230_54:
	v_mul_hi_u32 v0, s13, v26
	s_andn2_b64 vcc, exec, s[26:27]
	v_add_u32_e32 v0, v26, v0
	v_lshrrev_b32_e32 v1, s14, v0
	v_mul_lo_u32 v0, v1, s12
	v_sub_u32_e32 v2, v26, v0
	v_mul_lo_u32 v0, v2, s8
	v_mul_lo_u32 v4, v2, s9
	;; [unrolled: 1-line block ×3, first 2 shown]
	s_cbranch_vccnz .LBB230_56
; %bb.55:
	v_mul_hi_u32 v3, s24, v1
	v_add_u32_e32 v3, v1, v3
	v_lshrrev_b32_e32 v3, s25, v3
	v_mul_lo_u32 v3, v3, s15
	v_sub_u32_e32 v3, v1, v3
	v_mad_u64_u32 v[0:1], s[34:35], v3, s11, v[0:1]
	v_mad_u64_u32 v[4:5], s[34:35], v3, s22, v[4:5]
	;; [unrolled: 1-line block ×3, first 2 shown]
.LBB230_56:
	global_load_ubyte v1, v4, s[6:7]
	global_load_ubyte v3, v2, s[20:21]
	s_mov_b32 s34, 0x5040100
	v_mov_b32_e32 v2, 0.5
	s_brev_b32 s35, 16
	s_brev_b32 s39, 1
	v_add_u32_e32 v26, 0x80, v26
	s_waitcnt vmcnt(0)
	v_perm_b32 v4, v3, v1, s34
	v_lshlrev_b32_e32 v3, 25, v3
	v_pk_lshlrev_b16 v4, 8, v4 op_sel_hi:[0,1]
	v_lshlrev_b32_e32 v1, 25, v1
	v_lshrrev_b32_e32 v5, 4, v3
	v_and_b32_e32 v7, 0x7f007f00, v4
	v_lshrrev_b32_e32 v6, 4, v1
	v_or_b32_e32 v5, 0x70000000, v5
	v_and_b32_e32 v9, 0x7f00, v7
	v_or_b32_sdwa v2, v7, v2 dst_sel:DWORD dst_unused:UNUSED_PAD src0_sel:WORD_1 src1_sel:DWORD
	v_or_b32_e32 v6, 0x70000000, v6
	v_mul_f32_e32 v5, 0x7800000, v5
	v_or_b32_e32 v7, 0.5, v9
	v_add_f32_e32 v2, -0.5, v2
	v_cmp_gt_u32_e32 vcc, s35, v3
	v_mul_f32_e32 v6, 0x7800000, v6
	v_add_f32_e32 v7, -0.5, v7
	v_cndmask_b32_e32 v2, v5, v2, vcc
	v_cmp_gt_u32_e32 vcc, s35, v1
	v_and_b32_sdwa v8, sext(v4), s39 dst_sel:DWORD dst_unused:UNUSED_PAD src0_sel:WORD_1 src1_sel:DWORD
	v_and_b32_sdwa v4, sext(v4), s39 dst_sel:DWORD dst_unused:UNUSED_PAD src0_sel:WORD_0 src1_sel:DWORD
	v_cndmask_b32_e32 v1, v6, v7, vcc
	v_or_b32_e32 v2, v8, v2
	v_or_b32_e32 v1, v4, v1
	v_cmp_eq_f32_e32 vcc, v1, v2
	v_cndmask_b32_e64 v3, 0, 1, vcc
	v_cmp_neq_f32_e32 vcc, v1, v2
	v_cndmask_b32_e64 v1, 0, 1, vcc
	v_cndmask_b32_e64 v1, v1, v3, s[0:1]
	v_and_b32_e32 v1, 1, v1
	global_store_byte v0, v1, s[4:5]
	s_or_b64 exec, exec, s[30:31]
	v_cmp_gt_i32_e32 vcc, s38, v26
	s_and_saveexec_b64 s[30:31], vcc
	s_cbranch_execz .LBB230_6
.LBB230_57:
	s_andn2_b64 vcc, exec, s[2:3]
	s_cbranch_vccnz .LBB230_63
; %bb.58:
	s_andn2_b64 vcc, exec, s[28:29]
	s_cbranch_vccnz .LBB230_64
; %bb.59:
	s_add_i32 s34, s37, 1
	s_and_b32 s39, s34, 30
	s_add_u32 s34, s16, 0xffffffe8
	s_addc_u32 s35, s17, -1
	v_mov_b32_e32 v2, 0
	v_mov_b32_e32 v4, 0
	v_mov_b32_e32 v0, 0
	v_mov_b32_e32 v1, v26
.LBB230_60:                             ; =>This Inner Loop Header: Depth=1
	s_load_dwordx4 s[40:43], s[34:35], 0x1c
	s_load_dwordx2 s[48:49], s[34:35], 0x2c
	s_load_dwordx2 s[50:51], s[34:35], 0xec
	s_load_dwordx4 s[44:47], s[34:35], 0xdc
	s_add_u32 s34, s34, 24
	s_waitcnt lgkmcnt(0)
	v_mul_hi_u32 v3, s41, v1
	s_addc_u32 s35, s35, 0
	s_add_i32 s39, s39, -2
	s_cmp_eq_u32 s39, 0
	v_add_u32_e32 v3, v1, v3
	v_lshrrev_b32_e32 v3, s42, v3
	v_mul_lo_u32 v5, v3, s40
	v_mul_hi_u32 v6, s48, v3
	v_sub_u32_e32 v5, v1, v5
	v_add_u32_e32 v1, v3, v6
	v_lshrrev_b32_e32 v1, s49, v1
	v_mul_lo_u32 v8, v1, s43
	v_mul_lo_u32 v6, v5, s44
	v_mul_lo_u32 v7, v5, s45
	v_mul_lo_u32 v5, v5, s46
	v_sub_u32_e32 v3, v3, v8
	v_mul_lo_u32 v8, v3, s47
	v_mul_lo_u32 v9, v3, s50
	;; [unrolled: 1-line block ×3, first 2 shown]
	v_add3_u32 v0, v6, v0, v8
	v_add3_u32 v4, v7, v4, v9
	;; [unrolled: 1-line block ×3, first 2 shown]
	s_cbranch_scc0 .LBB230_60
; %bb.61:
	s_bitcmp1_b32 s37, 0
	s_cselect_b64 s[40:41], -1, 0
	s_and_b64 vcc, exec, s[40:41]
	s_cbranch_vccnz .LBB230_65
; %bb.62:
	s_load_dwordx2 s[40:41], s[34:35], 0x1c
	s_load_dword s39, s[34:35], 0x24
	s_load_dwordx2 s[42:43], s[34:35], 0xdc
	s_waitcnt lgkmcnt(0)
	v_mul_hi_u32 v3, s41, v1
	v_add_u32_e32 v3, v1, v3
	v_lshrrev_b32_e32 v3, s39, v3
	v_mul_lo_u32 v3, v3, s40
	s_load_dword s39, s[34:35], 0xe4
	v_sub_u32_e32 v3, v1, v3
	v_mad_u64_u32 v[0:1], s[34:35], v3, s42, v[0:1]
	v_mad_u64_u32 v[4:5], s[34:35], v3, s43, v[4:5]
	s_waitcnt lgkmcnt(0)
	v_mad_u64_u32 v[2:3], s[34:35], v3, s39, v[2:3]
	s_branch .LBB230_65
.LBB230_63:
                                        ; implicit-def: $vgpr0
                                        ; implicit-def: $vgpr4
                                        ; implicit-def: $vgpr2
	s_branch .LBB230_66
.LBB230_64:
	v_mov_b32_e32 v0, 0
	v_mov_b32_e32 v4, 0
	;; [unrolled: 1-line block ×3, first 2 shown]
.LBB230_65:
	s_cbranch_execnz .LBB230_68
.LBB230_66:
	v_mul_hi_u32 v0, s13, v26
	s_andn2_b64 vcc, exec, s[26:27]
	v_add_u32_e32 v0, v26, v0
	v_lshrrev_b32_e32 v1, s14, v0
	v_mul_lo_u32 v0, v1, s12
	v_sub_u32_e32 v2, v26, v0
	v_mul_lo_u32 v0, v2, s8
	v_mul_lo_u32 v4, v2, s9
	;; [unrolled: 1-line block ×3, first 2 shown]
	s_cbranch_vccnz .LBB230_68
; %bb.67:
	v_mul_hi_u32 v3, s24, v1
	v_add_u32_e32 v3, v1, v3
	v_lshrrev_b32_e32 v3, s25, v3
	v_mul_lo_u32 v3, v3, s15
	v_sub_u32_e32 v3, v1, v3
	v_mad_u64_u32 v[0:1], s[34:35], v3, s11, v[0:1]
	v_mad_u64_u32 v[4:5], s[34:35], v3, s22, v[4:5]
	;; [unrolled: 1-line block ×3, first 2 shown]
.LBB230_68:
	global_load_ubyte v1, v4, s[6:7]
	global_load_ubyte v3, v2, s[20:21]
	s_mov_b32 s34, 0x5040100
	v_mov_b32_e32 v2, 0.5
	s_brev_b32 s35, 16
	s_brev_b32 s39, 1
	v_add_u32_e32 v26, 0x80, v26
	s_waitcnt vmcnt(0)
	v_perm_b32 v4, v3, v1, s34
	v_lshlrev_b32_e32 v3, 25, v3
	v_pk_lshlrev_b16 v4, 8, v4 op_sel_hi:[0,1]
	v_lshlrev_b32_e32 v1, 25, v1
	v_lshrrev_b32_e32 v5, 4, v3
	v_and_b32_e32 v7, 0x7f007f00, v4
	v_lshrrev_b32_e32 v6, 4, v1
	v_or_b32_e32 v5, 0x70000000, v5
	v_and_b32_e32 v9, 0x7f00, v7
	v_or_b32_sdwa v2, v7, v2 dst_sel:DWORD dst_unused:UNUSED_PAD src0_sel:WORD_1 src1_sel:DWORD
	v_or_b32_e32 v6, 0x70000000, v6
	v_mul_f32_e32 v5, 0x7800000, v5
	v_or_b32_e32 v7, 0.5, v9
	v_add_f32_e32 v2, -0.5, v2
	v_cmp_gt_u32_e32 vcc, s35, v3
	v_mul_f32_e32 v6, 0x7800000, v6
	v_add_f32_e32 v7, -0.5, v7
	v_cndmask_b32_e32 v2, v5, v2, vcc
	v_cmp_gt_u32_e32 vcc, s35, v1
	v_and_b32_sdwa v8, sext(v4), s39 dst_sel:DWORD dst_unused:UNUSED_PAD src0_sel:WORD_1 src1_sel:DWORD
	v_and_b32_sdwa v4, sext(v4), s39 dst_sel:DWORD dst_unused:UNUSED_PAD src0_sel:WORD_0 src1_sel:DWORD
	v_cndmask_b32_e32 v1, v6, v7, vcc
	v_or_b32_e32 v2, v8, v2
	v_or_b32_e32 v1, v4, v1
	v_cmp_eq_f32_e32 vcc, v1, v2
	v_cndmask_b32_e64 v3, 0, 1, vcc
	v_cmp_neq_f32_e32 vcc, v1, v2
	v_cndmask_b32_e64 v1, 0, 1, vcc
	v_cndmask_b32_e64 v1, v1, v3, s[0:1]
	v_and_b32_e32 v1, 1, v1
	global_store_byte v0, v1, s[4:5]
	s_or_b64 exec, exec, s[30:31]
	v_cmp_gt_i32_e32 vcc, s38, v26
	s_and_saveexec_b64 s[30:31], vcc
	s_cbranch_execz .LBB230_7
.LBB230_69:
	s_andn2_b64 vcc, exec, s[2:3]
	s_cbranch_vccnz .LBB230_75
; %bb.70:
	s_andn2_b64 vcc, exec, s[28:29]
	s_cbranch_vccnz .LBB230_76
; %bb.71:
	s_add_i32 s34, s37, 1
	s_and_b32 s39, s34, 30
	s_add_u32 s34, s16, 0xffffffe8
	s_addc_u32 s35, s17, -1
	v_mov_b32_e32 v2, 0
	v_mov_b32_e32 v4, 0
	;; [unrolled: 1-line block ×4, first 2 shown]
.LBB230_72:                             ; =>This Inner Loop Header: Depth=1
	s_load_dwordx4 s[40:43], s[34:35], 0x1c
	s_load_dwordx2 s[48:49], s[34:35], 0x2c
	s_load_dwordx2 s[50:51], s[34:35], 0xec
	s_load_dwordx4 s[44:47], s[34:35], 0xdc
	s_add_u32 s34, s34, 24
	s_waitcnt lgkmcnt(0)
	v_mul_hi_u32 v3, s41, v1
	s_addc_u32 s35, s35, 0
	s_add_i32 s39, s39, -2
	s_cmp_eq_u32 s39, 0
	v_add_u32_e32 v3, v1, v3
	v_lshrrev_b32_e32 v3, s42, v3
	v_mul_lo_u32 v5, v3, s40
	v_mul_hi_u32 v6, s48, v3
	v_sub_u32_e32 v5, v1, v5
	v_add_u32_e32 v1, v3, v6
	v_lshrrev_b32_e32 v1, s49, v1
	v_mul_lo_u32 v8, v1, s43
	v_mul_lo_u32 v6, v5, s44
	;; [unrolled: 1-line block ×4, first 2 shown]
	v_sub_u32_e32 v3, v3, v8
	v_mul_lo_u32 v8, v3, s47
	v_mul_lo_u32 v9, v3, s50
	;; [unrolled: 1-line block ×3, first 2 shown]
	v_add3_u32 v0, v6, v0, v8
	v_add3_u32 v4, v7, v4, v9
	;; [unrolled: 1-line block ×3, first 2 shown]
	s_cbranch_scc0 .LBB230_72
; %bb.73:
	s_bitcmp1_b32 s37, 0
	s_cselect_b64 s[40:41], -1, 0
	s_and_b64 vcc, exec, s[40:41]
	s_cbranch_vccnz .LBB230_77
; %bb.74:
	s_load_dwordx2 s[40:41], s[34:35], 0x1c
	s_load_dword s39, s[34:35], 0x24
	s_load_dwordx2 s[42:43], s[34:35], 0xdc
	s_waitcnt lgkmcnt(0)
	v_mul_hi_u32 v3, s41, v1
	v_add_u32_e32 v3, v1, v3
	v_lshrrev_b32_e32 v3, s39, v3
	v_mul_lo_u32 v3, v3, s40
	s_load_dword s39, s[34:35], 0xe4
	v_sub_u32_e32 v3, v1, v3
	v_mad_u64_u32 v[0:1], s[34:35], v3, s42, v[0:1]
	v_mad_u64_u32 v[4:5], s[34:35], v3, s43, v[4:5]
	s_waitcnt lgkmcnt(0)
	v_mad_u64_u32 v[2:3], s[34:35], v3, s39, v[2:3]
	s_branch .LBB230_77
.LBB230_75:
                                        ; implicit-def: $vgpr0
                                        ; implicit-def: $vgpr4
                                        ; implicit-def: $vgpr2
	s_branch .LBB230_78
.LBB230_76:
	v_mov_b32_e32 v0, 0
	v_mov_b32_e32 v4, 0
	;; [unrolled: 1-line block ×3, first 2 shown]
.LBB230_77:
	s_cbranch_execnz .LBB230_80
.LBB230_78:
	v_mul_hi_u32 v0, s13, v26
	s_andn2_b64 vcc, exec, s[26:27]
	v_add_u32_e32 v0, v26, v0
	v_lshrrev_b32_e32 v1, s14, v0
	v_mul_lo_u32 v0, v1, s12
	v_sub_u32_e32 v2, v26, v0
	v_mul_lo_u32 v0, v2, s8
	v_mul_lo_u32 v4, v2, s9
	;; [unrolled: 1-line block ×3, first 2 shown]
	s_cbranch_vccnz .LBB230_80
; %bb.79:
	v_mul_hi_u32 v3, s24, v1
	v_add_u32_e32 v3, v1, v3
	v_lshrrev_b32_e32 v3, s25, v3
	v_mul_lo_u32 v3, v3, s15
	v_sub_u32_e32 v3, v1, v3
	v_mad_u64_u32 v[0:1], s[34:35], v3, s11, v[0:1]
	v_mad_u64_u32 v[4:5], s[34:35], v3, s22, v[4:5]
	;; [unrolled: 1-line block ×3, first 2 shown]
.LBB230_80:
	global_load_ubyte v1, v4, s[6:7]
	global_load_ubyte v3, v2, s[20:21]
	s_mov_b32 s34, 0x5040100
	v_mov_b32_e32 v2, 0.5
	s_brev_b32 s35, 16
	s_brev_b32 s39, 1
	v_add_u32_e32 v26, 0x80, v26
	s_waitcnt vmcnt(0)
	v_perm_b32 v4, v3, v1, s34
	v_lshlrev_b32_e32 v3, 25, v3
	v_pk_lshlrev_b16 v4, 8, v4 op_sel_hi:[0,1]
	v_lshlrev_b32_e32 v1, 25, v1
	v_lshrrev_b32_e32 v5, 4, v3
	v_and_b32_e32 v7, 0x7f007f00, v4
	v_lshrrev_b32_e32 v6, 4, v1
	v_or_b32_e32 v5, 0x70000000, v5
	v_and_b32_e32 v9, 0x7f00, v7
	v_or_b32_sdwa v2, v7, v2 dst_sel:DWORD dst_unused:UNUSED_PAD src0_sel:WORD_1 src1_sel:DWORD
	v_or_b32_e32 v6, 0x70000000, v6
	v_mul_f32_e32 v5, 0x7800000, v5
	v_or_b32_e32 v7, 0.5, v9
	v_add_f32_e32 v2, -0.5, v2
	v_cmp_gt_u32_e32 vcc, s35, v3
	v_mul_f32_e32 v6, 0x7800000, v6
	v_add_f32_e32 v7, -0.5, v7
	v_cndmask_b32_e32 v2, v5, v2, vcc
	v_cmp_gt_u32_e32 vcc, s35, v1
	v_and_b32_sdwa v8, sext(v4), s39 dst_sel:DWORD dst_unused:UNUSED_PAD src0_sel:WORD_1 src1_sel:DWORD
	v_and_b32_sdwa v4, sext(v4), s39 dst_sel:DWORD dst_unused:UNUSED_PAD src0_sel:WORD_0 src1_sel:DWORD
	v_cndmask_b32_e32 v1, v6, v7, vcc
	v_or_b32_e32 v2, v8, v2
	v_or_b32_e32 v1, v4, v1
	v_cmp_eq_f32_e32 vcc, v1, v2
	v_cndmask_b32_e64 v3, 0, 1, vcc
	v_cmp_neq_f32_e32 vcc, v1, v2
	v_cndmask_b32_e64 v1, 0, 1, vcc
	v_cndmask_b32_e64 v1, v1, v3, s[0:1]
	v_and_b32_e32 v1, 1, v1
	global_store_byte v0, v1, s[4:5]
	s_or_b64 exec, exec, s[30:31]
	v_cmp_gt_i32_e32 vcc, s38, v26
	s_and_saveexec_b64 s[30:31], vcc
	s_cbranch_execz .LBB230_8
.LBB230_81:
	s_andn2_b64 vcc, exec, s[2:3]
	s_cbranch_vccnz .LBB230_87
; %bb.82:
	s_andn2_b64 vcc, exec, s[28:29]
	s_cbranch_vccnz .LBB230_88
; %bb.83:
	s_add_i32 s34, s37, 1
	s_and_b32 s39, s34, 30
	s_add_u32 s34, s16, 0xffffffe8
	s_addc_u32 s35, s17, -1
	v_mov_b32_e32 v2, 0
	v_mov_b32_e32 v4, 0
	;; [unrolled: 1-line block ×4, first 2 shown]
.LBB230_84:                             ; =>This Inner Loop Header: Depth=1
	s_load_dwordx4 s[40:43], s[34:35], 0x1c
	s_load_dwordx2 s[48:49], s[34:35], 0x2c
	s_load_dwordx2 s[50:51], s[34:35], 0xec
	s_load_dwordx4 s[44:47], s[34:35], 0xdc
	s_add_u32 s34, s34, 24
	s_waitcnt lgkmcnt(0)
	v_mul_hi_u32 v3, s41, v1
	s_addc_u32 s35, s35, 0
	s_add_i32 s39, s39, -2
	s_cmp_eq_u32 s39, 0
	v_add_u32_e32 v3, v1, v3
	v_lshrrev_b32_e32 v3, s42, v3
	v_mul_lo_u32 v5, v3, s40
	v_mul_hi_u32 v6, s48, v3
	v_sub_u32_e32 v5, v1, v5
	v_add_u32_e32 v1, v3, v6
	v_lshrrev_b32_e32 v1, s49, v1
	v_mul_lo_u32 v8, v1, s43
	v_mul_lo_u32 v6, v5, s44
	;; [unrolled: 1-line block ×4, first 2 shown]
	v_sub_u32_e32 v3, v3, v8
	v_mul_lo_u32 v8, v3, s47
	v_mul_lo_u32 v9, v3, s50
	;; [unrolled: 1-line block ×3, first 2 shown]
	v_add3_u32 v0, v6, v0, v8
	v_add3_u32 v4, v7, v4, v9
	;; [unrolled: 1-line block ×3, first 2 shown]
	s_cbranch_scc0 .LBB230_84
; %bb.85:
	s_bitcmp1_b32 s37, 0
	s_cselect_b64 s[40:41], -1, 0
	s_and_b64 vcc, exec, s[40:41]
	s_cbranch_vccnz .LBB230_89
; %bb.86:
	s_load_dwordx2 s[40:41], s[34:35], 0x1c
	s_load_dword s39, s[34:35], 0x24
	s_load_dwordx2 s[42:43], s[34:35], 0xdc
	s_waitcnt lgkmcnt(0)
	v_mul_hi_u32 v3, s41, v1
	v_add_u32_e32 v3, v1, v3
	v_lshrrev_b32_e32 v3, s39, v3
	v_mul_lo_u32 v3, v3, s40
	s_load_dword s39, s[34:35], 0xe4
	v_sub_u32_e32 v3, v1, v3
	v_mad_u64_u32 v[0:1], s[34:35], v3, s42, v[0:1]
	v_mad_u64_u32 v[4:5], s[34:35], v3, s43, v[4:5]
	s_waitcnt lgkmcnt(0)
	v_mad_u64_u32 v[2:3], s[34:35], v3, s39, v[2:3]
	s_branch .LBB230_89
.LBB230_87:
                                        ; implicit-def: $vgpr0
                                        ; implicit-def: $vgpr4
                                        ; implicit-def: $vgpr2
	s_branch .LBB230_90
.LBB230_88:
	v_mov_b32_e32 v0, 0
	v_mov_b32_e32 v4, 0
	;; [unrolled: 1-line block ×3, first 2 shown]
.LBB230_89:
	s_cbranch_execnz .LBB230_92
.LBB230_90:
	v_mul_hi_u32 v0, s13, v26
	s_andn2_b64 vcc, exec, s[26:27]
	v_add_u32_e32 v0, v26, v0
	v_lshrrev_b32_e32 v1, s14, v0
	v_mul_lo_u32 v0, v1, s12
	v_sub_u32_e32 v2, v26, v0
	v_mul_lo_u32 v0, v2, s8
	v_mul_lo_u32 v4, v2, s9
	;; [unrolled: 1-line block ×3, first 2 shown]
	s_cbranch_vccnz .LBB230_92
; %bb.91:
	v_mul_hi_u32 v3, s24, v1
	v_add_u32_e32 v3, v1, v3
	v_lshrrev_b32_e32 v3, s25, v3
	v_mul_lo_u32 v3, v3, s15
	v_sub_u32_e32 v3, v1, v3
	v_mad_u64_u32 v[0:1], s[34:35], v3, s11, v[0:1]
	v_mad_u64_u32 v[4:5], s[34:35], v3, s22, v[4:5]
	;; [unrolled: 1-line block ×3, first 2 shown]
.LBB230_92:
	global_load_ubyte v1, v4, s[6:7]
	global_load_ubyte v3, v2, s[20:21]
	s_mov_b32 s34, 0x5040100
	v_mov_b32_e32 v2, 0.5
	s_brev_b32 s35, 16
	s_brev_b32 s39, 1
	v_add_u32_e32 v26, 0x80, v26
	s_waitcnt vmcnt(0)
	v_perm_b32 v4, v3, v1, s34
	v_lshlrev_b32_e32 v3, 25, v3
	v_pk_lshlrev_b16 v4, 8, v4 op_sel_hi:[0,1]
	v_lshlrev_b32_e32 v1, 25, v1
	v_lshrrev_b32_e32 v5, 4, v3
	v_and_b32_e32 v7, 0x7f007f00, v4
	v_lshrrev_b32_e32 v6, 4, v1
	v_or_b32_e32 v5, 0x70000000, v5
	v_and_b32_e32 v9, 0x7f00, v7
	v_or_b32_sdwa v2, v7, v2 dst_sel:DWORD dst_unused:UNUSED_PAD src0_sel:WORD_1 src1_sel:DWORD
	v_or_b32_e32 v6, 0x70000000, v6
	v_mul_f32_e32 v5, 0x7800000, v5
	v_or_b32_e32 v7, 0.5, v9
	v_add_f32_e32 v2, -0.5, v2
	v_cmp_gt_u32_e32 vcc, s35, v3
	v_mul_f32_e32 v6, 0x7800000, v6
	v_add_f32_e32 v7, -0.5, v7
	v_cndmask_b32_e32 v2, v5, v2, vcc
	v_cmp_gt_u32_e32 vcc, s35, v1
	v_and_b32_sdwa v8, sext(v4), s39 dst_sel:DWORD dst_unused:UNUSED_PAD src0_sel:WORD_1 src1_sel:DWORD
	v_and_b32_sdwa v4, sext(v4), s39 dst_sel:DWORD dst_unused:UNUSED_PAD src0_sel:WORD_0 src1_sel:DWORD
	v_cndmask_b32_e32 v1, v6, v7, vcc
	v_or_b32_e32 v2, v8, v2
	v_or_b32_e32 v1, v4, v1
	v_cmp_eq_f32_e32 vcc, v1, v2
	v_cndmask_b32_e64 v3, 0, 1, vcc
	v_cmp_neq_f32_e32 vcc, v1, v2
	v_cndmask_b32_e64 v1, 0, 1, vcc
	v_cndmask_b32_e64 v1, v1, v3, s[0:1]
	v_and_b32_e32 v1, 1, v1
	global_store_byte v0, v1, s[4:5]
	s_or_b64 exec, exec, s[30:31]
	v_cmp_gt_i32_e32 vcc, s38, v26
	s_and_saveexec_b64 s[30:31], vcc
	s_cbranch_execz .LBB230_105
.LBB230_93:
	s_andn2_b64 vcc, exec, s[2:3]
	s_cbranch_vccnz .LBB230_99
; %bb.94:
	s_andn2_b64 vcc, exec, s[28:29]
	s_cbranch_vccnz .LBB230_100
; %bb.95:
	s_add_i32 s28, s37, 1
	s_and_b32 s34, s28, 30
	s_add_u32 s28, s16, 0xffffffe8
	s_addc_u32 s29, s17, -1
	v_mov_b32_e32 v4, 0
	v_mov_b32_e32 v2, 0
	;; [unrolled: 1-line block ×4, first 2 shown]
.LBB230_96:                             ; =>This Inner Loop Header: Depth=1
	s_load_dwordx4 s[40:43], s[28:29], 0x1c
	s_load_dwordx2 s[38:39], s[28:29], 0x2c
	s_load_dwordx2 s[48:49], s[28:29], 0xec
	s_load_dwordx4 s[44:47], s[28:29], 0xdc
	s_add_u32 s28, s28, 24
	s_waitcnt lgkmcnt(0)
	v_mul_hi_u32 v3, s41, v1
	s_addc_u32 s29, s29, 0
	s_add_i32 s34, s34, -2
	s_cmp_eq_u32 s34, 0
	v_add_u32_e32 v3, v1, v3
	v_lshrrev_b32_e32 v3, s42, v3
	v_mul_lo_u32 v5, v3, s40
	v_mul_hi_u32 v6, s38, v3
	v_sub_u32_e32 v5, v1, v5
	v_add_u32_e32 v1, v3, v6
	v_lshrrev_b32_e32 v1, s39, v1
	v_mul_lo_u32 v8, v1, s43
	v_mul_lo_u32 v6, v5, s44
	;; [unrolled: 1-line block ×4, first 2 shown]
	v_sub_u32_e32 v3, v3, v8
	v_mul_lo_u32 v8, v3, s47
	v_mul_lo_u32 v9, v3, s48
	;; [unrolled: 1-line block ×3, first 2 shown]
	v_add3_u32 v0, v6, v0, v8
	v_add3_u32 v2, v7, v2, v9
	;; [unrolled: 1-line block ×3, first 2 shown]
	s_cbranch_scc0 .LBB230_96
; %bb.97:
	s_bitcmp1_b32 s37, 0
	s_cselect_b64 s[34:35], -1, 0
	s_and_b64 vcc, exec, s[34:35]
	s_cbranch_vccnz .LBB230_101
; %bb.98:
	s_load_dwordx2 s[34:35], s[28:29], 0x1c
	s_load_dword s37, s[28:29], 0x24
	s_load_dwordx2 s[38:39], s[28:29], 0xdc
	s_waitcnt lgkmcnt(0)
	v_mul_hi_u32 v3, s35, v1
	v_add_u32_e32 v3, v1, v3
	v_lshrrev_b32_e32 v3, s37, v3
	v_mul_lo_u32 v3, v3, s34
	s_load_dword s34, s[28:29], 0xe4
	v_sub_u32_e32 v5, v1, v3
	v_mad_u64_u32 v[0:1], s[28:29], v5, s38, v[0:1]
	v_mad_u64_u32 v[2:3], s[28:29], v5, s39, v[2:3]
	s_waitcnt lgkmcnt(0)
	v_mad_u64_u32 v[4:5], s[28:29], v5, s34, v[4:5]
	s_branch .LBB230_101
.LBB230_99:
                                        ; implicit-def: $vgpr0
                                        ; implicit-def: $vgpr2
                                        ; implicit-def: $vgpr4
	s_branch .LBB230_102
.LBB230_100:
	v_mov_b32_e32 v0, 0
	v_mov_b32_e32 v2, 0
	;; [unrolled: 1-line block ×3, first 2 shown]
.LBB230_101:
	s_cbranch_execnz .LBB230_104
.LBB230_102:
	v_mul_hi_u32 v0, s13, v26
	s_andn2_b64 vcc, exec, s[26:27]
	v_add_u32_e32 v0, v26, v0
	v_lshrrev_b32_e32 v1, s14, v0
	v_mul_lo_u32 v0, v1, s12
	v_sub_u32_e32 v3, v26, v0
	v_mul_lo_u32 v0, v3, s8
	v_mul_lo_u32 v2, v3, s9
	;; [unrolled: 1-line block ×3, first 2 shown]
	s_cbranch_vccnz .LBB230_104
; %bb.103:
	v_mul_hi_u32 v3, s24, v1
	v_add_u32_e32 v3, v1, v3
	v_lshrrev_b32_e32 v3, s25, v3
	v_mul_lo_u32 v3, v3, s15
	v_sub_u32_e32 v5, v1, v3
	v_mad_u64_u32 v[0:1], s[8:9], v5, s11, v[0:1]
	v_mad_u64_u32 v[2:3], s[8:9], v5, s22, v[2:3]
	;; [unrolled: 1-line block ×3, first 2 shown]
.LBB230_104:
	global_load_ubyte v1, v2, s[6:7]
	global_load_ubyte v3, v4, s[20:21]
	s_mov_b32 s6, 0x5040100
	v_mov_b32_e32 v2, 0.5
	s_brev_b32 s7, 16
	s_brev_b32 s8, 1
	s_waitcnt vmcnt(0)
	v_perm_b32 v4, v3, v1, s6
	v_lshlrev_b32_e32 v3, 25, v3
	v_pk_lshlrev_b16 v4, 8, v4 op_sel_hi:[0,1]
	v_lshlrev_b32_e32 v1, 25, v1
	v_lshrrev_b32_e32 v5, 4, v3
	v_and_b32_e32 v7, 0x7f007f00, v4
	v_lshrrev_b32_e32 v6, 4, v1
	v_or_b32_e32 v5, 0x70000000, v5
	v_and_b32_e32 v9, 0x7f00, v7
	v_or_b32_sdwa v2, v7, v2 dst_sel:DWORD dst_unused:UNUSED_PAD src0_sel:WORD_1 src1_sel:DWORD
	v_or_b32_e32 v6, 0x70000000, v6
	v_mul_f32_e32 v5, 0x7800000, v5
	v_or_b32_e32 v7, 0.5, v9
	v_add_f32_e32 v2, -0.5, v2
	v_cmp_gt_u32_e32 vcc, s7, v3
	v_mul_f32_e32 v6, 0x7800000, v6
	v_add_f32_e32 v7, -0.5, v7
	v_cndmask_b32_e32 v2, v5, v2, vcc
	v_cmp_gt_u32_e32 vcc, s7, v1
	v_and_b32_sdwa v8, sext(v4), s8 dst_sel:DWORD dst_unused:UNUSED_PAD src0_sel:WORD_1 src1_sel:DWORD
	v_and_b32_sdwa v4, sext(v4), s8 dst_sel:DWORD dst_unused:UNUSED_PAD src0_sel:WORD_0 src1_sel:DWORD
	v_cndmask_b32_e32 v1, v6, v7, vcc
	v_or_b32_e32 v2, v8, v2
	v_or_b32_e32 v1, v4, v1
	v_cmp_eq_f32_e32 vcc, v1, v2
	v_cndmask_b32_e64 v3, 0, 1, vcc
	v_cmp_neq_f32_e32 vcc, v1, v2
	v_cndmask_b32_e64 v1, 0, 1, vcc
	v_cndmask_b32_e64 v1, v1, v3, s[0:1]
	v_and_b32_e32 v1, 1, v1
	global_store_byte v0, v1, s[4:5]
.LBB230_105:
	s_or_b64 exec, exec, s[30:31]
                                        ; implicit-def: $vgpr39
                                        ; implicit-def: $vgpr26
.LBB230_106:
	s_andn2_saveexec_b64 s[0:1], s[18:19]
	s_cbranch_execz .LBB230_113
; %bb.107:
	v_cndmask_b32_e64 v0, 0, 1, s[2:3]
	v_cmp_ne_u32_e64 s[0:1], 1, v0
	s_andn2_b64 vcc, exec, s[2:3]
	s_cbranch_vccnz .LBB230_114
; %bb.108:
	s_cmp_lg_u32 s33, 0
	s_cbranch_scc0 .LBB230_115
; %bb.109:
	s_min_u32 s4, s36, 15
	s_add_i32 s2, s4, 1
	s_and_b32 s5, s2, 30
	s_add_u32 s2, s16, 0xffffffe8
	s_addc_u32 s3, s17, -1
	v_mov_b32_e32 v4, 0
	v_mov_b32_e32 v6, 0
	;; [unrolled: 1-line block ×4, first 2 shown]
.LBB230_110:                            ; =>This Inner Loop Header: Depth=1
	s_load_dwordx4 s[8:11], s[2:3], 0x1c
	s_load_dwordx2 s[6:7], s[2:3], 0x2c
	s_load_dwordx2 s[18:19], s[2:3], 0xec
	s_load_dwordx4 s[12:15], s[2:3], 0xdc
	s_add_u32 s2, s2, 24
	s_waitcnt lgkmcnt(0)
	v_mul_hi_u32 v2, s9, v1
	s_addc_u32 s3, s3, 0
	s_add_i32 s5, s5, -2
	s_cmp_lg_u32 s5, 0
	v_add_u32_e32 v2, v1, v2
	v_lshrrev_b32_e32 v2, s10, v2
	v_mul_lo_u32 v3, v2, s8
	v_mul_hi_u32 v5, s6, v2
	v_sub_u32_e32 v3, v1, v3
	v_add_u32_e32 v1, v2, v5
	v_lshrrev_b32_e32 v1, s7, v1
	v_mul_lo_u32 v8, v1, s11
	v_mul_lo_u32 v5, v3, s12
	;; [unrolled: 1-line block ×4, first 2 shown]
	v_sub_u32_e32 v2, v2, v8
	v_mul_lo_u32 v8, v2, s15
	v_mul_lo_u32 v9, v2, s18
	;; [unrolled: 1-line block ×3, first 2 shown]
	v_add3_u32 v0, v5, v0, v8
	v_add3_u32 v6, v7, v6, v9
	;; [unrolled: 1-line block ×3, first 2 shown]
	s_cbranch_scc1 .LBB230_110
; %bb.111:
	s_bitcmp1_b32 s4, 0
	s_cselect_b64 s[4:5], -1, 0
	s_and_b64 vcc, exec, s[4:5]
	s_cbranch_vccnz .LBB230_116
; %bb.112:
	s_load_dwordx2 s[4:5], s[2:3], 0x1c
	s_load_dword s8, s[2:3], 0x24
	s_load_dwordx2 s[6:7], s[2:3], 0xdc
	s_waitcnt lgkmcnt(0)
	v_mul_hi_u32 v2, s5, v1
	v_add_u32_e32 v2, v1, v2
	v_lshrrev_b32_e32 v2, s8, v2
	v_mul_lo_u32 v2, v2, s4
	s_load_dword s4, s[2:3], 0xe4
	v_sub_u32_e32 v2, v1, v2
	v_mad_u64_u32 v[0:1], s[2:3], v2, s6, v[0:1]
	v_mad_u64_u32 v[6:7], s[2:3], v2, s7, v[6:7]
	s_waitcnt lgkmcnt(0)
	v_mad_u64_u32 v[4:5], s[2:3], v2, s4, v[4:5]
	s_cbranch_execz .LBB230_117
	s_branch .LBB230_119
.LBB230_113:
	s_endpgm
.LBB230_114:
                                        ; implicit-def: $vgpr0
                                        ; implicit-def: $vgpr6
                                        ; implicit-def: $vgpr4
	s_branch .LBB230_117
.LBB230_115:
	v_mov_b32_e32 v0, 0
	v_mov_b32_e32 v6, 0
	;; [unrolled: 1-line block ×3, first 2 shown]
.LBB230_116:
	s_cbranch_execnz .LBB230_119
.LBB230_117:
	s_load_dwordx4 s[4:7], s[16:17], 0x4
	s_load_dwordx4 s[8:11], s[16:17], 0xc4
	s_cmp_lt_u32 s33, 2
	s_waitcnt lgkmcnt(0)
	v_mul_hi_u32 v0, s5, v26
	v_add_u32_e32 v0, v26, v0
	v_lshrrev_b32_e32 v1, s6, v0
	v_mul_lo_u32 v0, v1, s4
	v_sub_u32_e32 v2, v26, v0
	v_mul_lo_u32 v0, v2, s8
	v_mul_lo_u32 v6, v2, s9
	;; [unrolled: 1-line block ×3, first 2 shown]
	s_cbranch_scc1 .LBB230_119
; %bb.118:
	s_load_dwordx4 s[4:7], s[16:17], 0x10
	s_load_dwordx4 s[8:11], s[16:17], 0xd0
	s_waitcnt lgkmcnt(0)
	v_mul_hi_u32 v2, s5, v1
	v_add_u32_e32 v2, v1, v2
	v_lshrrev_b32_e32 v2, s6, v2
	v_mul_lo_u32 v2, v2, s4
	v_sub_u32_e32 v2, v1, v2
	v_mad_u64_u32 v[0:1], s[2:3], v2, s8, v[0:1]
	v_mad_u64_u32 v[6:7], s[2:3], v2, s9, v[6:7]
	;; [unrolled: 1-line block ×3, first 2 shown]
.LBB230_119:
	s_and_b64 vcc, exec, s[0:1]
	v_add_u32_e32 v3, 0x80, v26
	s_cbranch_vccnz .LBB230_125
; %bb.120:
	s_cmp_lg_u32 s33, 0
	s_cbranch_scc0 .LBB230_126
; %bb.121:
	s_min_u32 s4, s36, 15
	s_add_i32 s2, s4, 1
	s_and_b32 s5, s2, 30
	s_add_u32 s2, s16, 0xffffffe8
	s_addc_u32 s3, s17, -1
	v_mov_b32_e32 v7, 0
	v_mov_b32_e32 v9, 0
	;; [unrolled: 1-line block ×4, first 2 shown]
.LBB230_122:                            ; =>This Inner Loop Header: Depth=1
	s_load_dwordx4 s[8:11], s[2:3], 0x1c
	s_load_dwordx2 s[6:7], s[2:3], 0x2c
	s_load_dwordx2 s[18:19], s[2:3], 0xec
	s_load_dwordx4 s[12:15], s[2:3], 0xdc
	s_add_u32 s2, s2, 24
	s_waitcnt lgkmcnt(0)
	v_mul_hi_u32 v5, s9, v2
	s_addc_u32 s3, s3, 0
	s_add_i32 s5, s5, -2
	s_cmp_lg_u32 s5, 0
	v_add_u32_e32 v5, v2, v5
	v_lshrrev_b32_e32 v5, s10, v5
	v_mul_lo_u32 v8, v5, s8
	v_mul_hi_u32 v10, s6, v5
	v_sub_u32_e32 v8, v2, v8
	v_add_u32_e32 v2, v5, v10
	v_lshrrev_b32_e32 v2, s7, v2
	v_mul_lo_u32 v12, v2, s11
	v_mul_lo_u32 v10, v8, s12
	;; [unrolled: 1-line block ×4, first 2 shown]
	v_sub_u32_e32 v5, v5, v12
	v_mul_lo_u32 v12, v5, s15
	v_mul_lo_u32 v13, v5, s18
	;; [unrolled: 1-line block ×3, first 2 shown]
	v_add3_u32 v1, v10, v1, v12
	v_add3_u32 v9, v11, v9, v13
	;; [unrolled: 1-line block ×3, first 2 shown]
	s_cbranch_scc1 .LBB230_122
; %bb.123:
	s_bitcmp1_b32 s4, 0
	s_cselect_b64 s[4:5], -1, 0
	s_and_b64 vcc, exec, s[4:5]
	s_cbranch_vccnz .LBB230_127
; %bb.124:
	s_load_dwordx2 s[4:5], s[2:3], 0x1c
	s_load_dword s8, s[2:3], 0x24
	s_load_dwordx2 s[6:7], s[2:3], 0xdc
	s_waitcnt lgkmcnt(0)
	v_mul_hi_u32 v5, s5, v2
	v_add_u32_e32 v5, v2, v5
	v_lshrrev_b32_e32 v5, s8, v5
	v_mul_lo_u32 v5, v5, s4
	s_load_dword s4, s[2:3], 0xe4
	v_sub_u32_e32 v5, v2, v5
	v_mad_u64_u32 v[1:2], s[2:3], v5, s6, v[1:2]
	v_mad_u64_u32 v[9:10], s[2:3], v5, s7, v[9:10]
	s_waitcnt lgkmcnt(0)
	v_mad_u64_u32 v[7:8], s[2:3], v5, s4, v[7:8]
	s_cbranch_execz .LBB230_128
	s_branch .LBB230_130
.LBB230_125:
                                        ; implicit-def: $vgpr1
                                        ; implicit-def: $vgpr9
                                        ; implicit-def: $vgpr7
	s_branch .LBB230_128
.LBB230_126:
	v_mov_b32_e32 v1, 0
	v_mov_b32_e32 v9, 0
	;; [unrolled: 1-line block ×3, first 2 shown]
.LBB230_127:
	s_cbranch_execnz .LBB230_130
.LBB230_128:
	s_load_dwordx4 s[4:7], s[16:17], 0x4
	s_load_dwordx4 s[8:11], s[16:17], 0xc4
	s_cmp_lt_u32 s33, 2
	s_waitcnt lgkmcnt(0)
	v_mul_hi_u32 v1, s5, v3
	v_add_u32_e32 v1, v3, v1
	v_lshrrev_b32_e32 v2, s6, v1
	v_mul_lo_u32 v1, v2, s4
	v_sub_u32_e32 v3, v3, v1
	v_mul_lo_u32 v1, v3, s8
	v_mul_lo_u32 v9, v3, s9
	;; [unrolled: 1-line block ×3, first 2 shown]
	s_cbranch_scc1 .LBB230_130
; %bb.129:
	s_load_dwordx4 s[4:7], s[16:17], 0x10
	s_load_dwordx4 s[8:11], s[16:17], 0xd0
	s_waitcnt lgkmcnt(0)
	v_mul_hi_u32 v3, s5, v2
	v_add_u32_e32 v3, v2, v3
	v_lshrrev_b32_e32 v3, s6, v3
	v_mul_lo_u32 v3, v3, s4
	v_sub_u32_e32 v3, v2, v3
	v_mad_u64_u32 v[1:2], s[2:3], v3, s8, v[1:2]
	v_mad_u64_u32 v[9:10], s[2:3], v3, s9, v[9:10]
	;; [unrolled: 1-line block ×3, first 2 shown]
.LBB230_130:
	s_and_b64 vcc, exec, s[0:1]
	v_add_u32_e32 v5, 0x100, v26
	s_cbranch_vccnz .LBB230_136
; %bb.131:
	s_cmp_lg_u32 s33, 0
	s_cbranch_scc0 .LBB230_137
; %bb.132:
	s_min_u32 s4, s36, 15
	s_add_i32 s2, s4, 1
	s_and_b32 s5, s2, 30
	s_add_u32 s2, s16, 0xffffffe8
	s_addc_u32 s3, s17, -1
	v_mov_b32_e32 v12, 0
	v_mov_b32_e32 v14, 0
	;; [unrolled: 1-line block ×4, first 2 shown]
.LBB230_133:                            ; =>This Inner Loop Header: Depth=1
	s_load_dwordx4 s[8:11], s[2:3], 0x1c
	s_load_dwordx2 s[6:7], s[2:3], 0x2c
	s_load_dwordx2 s[18:19], s[2:3], 0xec
	s_load_dwordx4 s[12:15], s[2:3], 0xdc
	s_add_u32 s2, s2, 24
	s_waitcnt lgkmcnt(0)
	v_mul_hi_u32 v8, s9, v3
	s_addc_u32 s3, s3, 0
	s_add_i32 s5, s5, -2
	s_cmp_lg_u32 s5, 0
	v_add_u32_e32 v8, v3, v8
	v_lshrrev_b32_e32 v8, s10, v8
	v_mul_lo_u32 v10, v8, s8
	v_mul_hi_u32 v11, s6, v8
	v_sub_u32_e32 v10, v3, v10
	v_add_u32_e32 v3, v8, v11
	v_lshrrev_b32_e32 v3, s7, v3
	v_mul_lo_u32 v15, v3, s11
	v_mul_lo_u32 v11, v10, s12
	;; [unrolled: 1-line block ×4, first 2 shown]
	v_sub_u32_e32 v8, v8, v15
	v_mul_lo_u32 v15, v8, s15
	v_mul_lo_u32 v16, v8, s18
	;; [unrolled: 1-line block ×3, first 2 shown]
	v_add3_u32 v2, v11, v2, v15
	v_add3_u32 v14, v13, v14, v16
	;; [unrolled: 1-line block ×3, first 2 shown]
	s_cbranch_scc1 .LBB230_133
; %bb.134:
	s_bitcmp1_b32 s4, 0
	s_cselect_b64 s[4:5], -1, 0
	s_and_b64 vcc, exec, s[4:5]
	s_cbranch_vccnz .LBB230_138
; %bb.135:
	s_load_dwordx2 s[4:5], s[2:3], 0x1c
	s_load_dword s8, s[2:3], 0x24
	s_load_dwordx2 s[6:7], s[2:3], 0xdc
	s_waitcnt lgkmcnt(0)
	v_mul_hi_u32 v8, s5, v3
	v_add_u32_e32 v8, v3, v8
	v_lshrrev_b32_e32 v8, s8, v8
	v_mul_lo_u32 v8, v8, s4
	s_load_dword s4, s[2:3], 0xe4
	v_sub_u32_e32 v8, v3, v8
	v_mad_u64_u32 v[2:3], s[2:3], v8, s6, v[2:3]
	v_mad_u64_u32 v[14:15], s[2:3], v8, s7, v[14:15]
	s_waitcnt lgkmcnt(0)
	v_mad_u64_u32 v[12:13], s[2:3], v8, s4, v[12:13]
	s_cbranch_execz .LBB230_139
	s_branch .LBB230_141
.LBB230_136:
                                        ; implicit-def: $vgpr2
                                        ; implicit-def: $vgpr14
                                        ; implicit-def: $vgpr12
	s_branch .LBB230_139
.LBB230_137:
	v_mov_b32_e32 v2, 0
	v_mov_b32_e32 v14, 0
	;; [unrolled: 1-line block ×3, first 2 shown]
.LBB230_138:
	s_cbranch_execnz .LBB230_141
.LBB230_139:
	s_load_dwordx4 s[4:7], s[16:17], 0x4
	s_load_dwordx4 s[8:11], s[16:17], 0xc4
	s_cmp_lt_u32 s33, 2
	s_waitcnt lgkmcnt(0)
	v_mul_hi_u32 v2, s5, v5
	v_add_u32_e32 v2, v5, v2
	v_lshrrev_b32_e32 v3, s6, v2
	v_mul_lo_u32 v2, v3, s4
	v_sub_u32_e32 v5, v5, v2
	v_mul_lo_u32 v2, v5, s8
	v_mul_lo_u32 v14, v5, s9
	;; [unrolled: 1-line block ×3, first 2 shown]
	s_cbranch_scc1 .LBB230_141
; %bb.140:
	s_load_dwordx4 s[4:7], s[16:17], 0x10
	s_load_dwordx4 s[8:11], s[16:17], 0xd0
	s_waitcnt lgkmcnt(0)
	v_mul_hi_u32 v5, s5, v3
	v_add_u32_e32 v5, v3, v5
	v_lshrrev_b32_e32 v5, s6, v5
	v_mul_lo_u32 v5, v5, s4
	v_sub_u32_e32 v5, v3, v5
	v_mad_u64_u32 v[2:3], s[2:3], v5, s8, v[2:3]
	v_mad_u64_u32 v[14:15], s[2:3], v5, s9, v[14:15]
	;; [unrolled: 1-line block ×3, first 2 shown]
.LBB230_141:
	s_and_b64 vcc, exec, s[0:1]
	v_add_u32_e32 v3, 0x180, v26
	s_cbranch_vccnz .LBB230_147
; %bb.142:
	s_cmp_lg_u32 s33, 0
	s_cbranch_scc0 .LBB230_148
; %bb.143:
	s_min_u32 s4, s36, 15
	s_add_i32 s2, s4, 1
	s_and_b32 s5, s2, 30
	s_add_u32 s2, s16, 0xffffffe8
	s_addc_u32 s3, s17, -1
	v_mov_b32_e32 v19, 0
	v_mov_b32_e32 v17, 0
	;; [unrolled: 1-line block ×4, first 2 shown]
.LBB230_144:                            ; =>This Inner Loop Header: Depth=1
	s_load_dwordx4 s[8:11], s[2:3], 0x1c
	s_load_dwordx2 s[6:7], s[2:3], 0x2c
	s_load_dwordx2 s[18:19], s[2:3], 0xec
	s_load_dwordx4 s[12:15], s[2:3], 0xdc
	s_add_u32 s2, s2, 24
	s_waitcnt lgkmcnt(0)
	v_mul_hi_u32 v8, s9, v5
	s_addc_u32 s3, s3, 0
	s_add_i32 s5, s5, -2
	s_cmp_lg_u32 s5, 0
	v_add_u32_e32 v8, v5, v8
	v_lshrrev_b32_e32 v8, s10, v8
	v_mul_lo_u32 v11, v8, s8
	v_mul_hi_u32 v13, s6, v8
	v_sub_u32_e32 v11, v5, v11
	v_add_u32_e32 v5, v8, v13
	v_lshrrev_b32_e32 v5, s7, v5
	v_mul_lo_u32 v16, v5, s11
	v_mul_lo_u32 v13, v11, s12
	;; [unrolled: 1-line block ×4, first 2 shown]
	v_sub_u32_e32 v8, v8, v16
	v_mul_lo_u32 v16, v8, s15
	v_mul_lo_u32 v18, v8, s18
	;; [unrolled: 1-line block ×3, first 2 shown]
	v_add3_u32 v10, v13, v10, v16
	v_add3_u32 v17, v15, v17, v18
	;; [unrolled: 1-line block ×3, first 2 shown]
	s_cbranch_scc1 .LBB230_144
; %bb.145:
	s_bitcmp1_b32 s4, 0
	s_cselect_b64 s[4:5], -1, 0
	s_and_b64 vcc, exec, s[4:5]
	s_cbranch_vccnz .LBB230_149
; %bb.146:
	s_load_dwordx2 s[4:5], s[2:3], 0x1c
	s_load_dword s8, s[2:3], 0x24
	s_load_dwordx2 s[6:7], s[2:3], 0xdc
	s_waitcnt lgkmcnt(0)
	v_mul_hi_u32 v8, s5, v5
	v_add_u32_e32 v8, v5, v8
	v_lshrrev_b32_e32 v8, s8, v8
	v_mul_lo_u32 v8, v8, s4
	s_load_dword s4, s[2:3], 0xe4
	v_sub_u32_e32 v5, v5, v8
	v_mad_u64_u32 v[10:11], s[2:3], v5, s6, v[10:11]
	v_mad_u64_u32 v[17:18], s[2:3], v5, s7, v[17:18]
	s_waitcnt lgkmcnt(0)
	v_mad_u64_u32 v[19:20], s[2:3], v5, s4, v[19:20]
	s_cbranch_execz .LBB230_150
	s_branch .LBB230_152
.LBB230_147:
                                        ; implicit-def: $vgpr10
                                        ; implicit-def: $vgpr17
                                        ; implicit-def: $vgpr19
	s_branch .LBB230_150
.LBB230_148:
	v_mov_b32_e32 v10, 0
	v_mov_b32_e32 v17, 0
	;; [unrolled: 1-line block ×3, first 2 shown]
.LBB230_149:
	s_cbranch_execnz .LBB230_152
.LBB230_150:
	s_load_dwordx4 s[4:7], s[16:17], 0x4
	s_load_dwordx4 s[8:11], s[16:17], 0xc4
	s_cmp_lt_u32 s33, 2
	s_waitcnt lgkmcnt(0)
	v_mul_hi_u32 v5, s5, v3
	v_add_u32_e32 v5, v3, v5
	v_lshrrev_b32_e32 v5, s6, v5
	v_mul_lo_u32 v8, v5, s4
	v_sub_u32_e32 v3, v3, v8
	v_mul_lo_u32 v10, v3, s8
	v_mul_lo_u32 v17, v3, s9
	;; [unrolled: 1-line block ×3, first 2 shown]
	s_cbranch_scc1 .LBB230_152
; %bb.151:
	s_load_dwordx4 s[4:7], s[16:17], 0x10
	s_load_dwordx4 s[8:11], s[16:17], 0xd0
	s_waitcnt lgkmcnt(0)
	v_mul_hi_u32 v3, s5, v5
	v_add_u32_e32 v3, v5, v3
	v_lshrrev_b32_e32 v3, s6, v3
	v_mul_lo_u32 v3, v3, s4
	v_sub_u32_e32 v3, v5, v3
	v_mad_u64_u32 v[10:11], s[2:3], v3, s8, v[10:11]
	v_mad_u64_u32 v[17:18], s[2:3], v3, s9, v[17:18]
	;; [unrolled: 1-line block ×3, first 2 shown]
.LBB230_152:
	s_and_b64 vcc, exec, s[0:1]
	v_add_u32_e32 v3, 0x200, v26
	s_cbranch_vccnz .LBB230_158
; %bb.153:
	s_cmp_lg_u32 s33, 0
	s_cbranch_scc0 .LBB230_159
; %bb.154:
	s_min_u32 s4, s36, 15
	s_add_i32 s2, s4, 1
	s_and_b32 s5, s2, 30
	s_add_u32 s2, s16, 0xffffffe8
	s_addc_u32 s3, s17, -1
	v_mov_b32_e32 v24, 0
	v_mov_b32_e32 v22, 0
	;; [unrolled: 1-line block ×4, first 2 shown]
.LBB230_155:                            ; =>This Inner Loop Header: Depth=1
	s_load_dwordx4 s[8:11], s[2:3], 0x1c
	s_load_dwordx2 s[6:7], s[2:3], 0x2c
	s_load_dwordx2 s[18:19], s[2:3], 0xec
	s_load_dwordx4 s[12:15], s[2:3], 0xdc
	s_add_u32 s2, s2, 24
	s_waitcnt lgkmcnt(0)
	v_mul_hi_u32 v8, s9, v5
	s_addc_u32 s3, s3, 0
	s_add_i32 s5, s5, -2
	s_cmp_lg_u32 s5, 0
	v_add_u32_e32 v8, v5, v8
	v_lshrrev_b32_e32 v8, s10, v8
	v_mul_lo_u32 v11, v8, s8
	v_mul_hi_u32 v13, s6, v8
	v_sub_u32_e32 v11, v5, v11
	v_add_u32_e32 v5, v8, v13
	v_lshrrev_b32_e32 v5, s7, v5
	v_mul_lo_u32 v18, v5, s11
	v_mul_lo_u32 v13, v11, s12
	;; [unrolled: 1-line block ×4, first 2 shown]
	v_sub_u32_e32 v8, v8, v18
	v_mul_lo_u32 v18, v8, s15
	v_mul_lo_u32 v20, v8, s18
	v_mul_lo_u32 v8, v8, s19
	v_add3_u32 v15, v13, v15, v18
	v_add3_u32 v22, v16, v22, v20
	;; [unrolled: 1-line block ×3, first 2 shown]
	s_cbranch_scc1 .LBB230_155
; %bb.156:
	s_bitcmp1_b32 s4, 0
	s_cselect_b64 s[4:5], -1, 0
	s_and_b64 vcc, exec, s[4:5]
	s_cbranch_vccnz .LBB230_160
; %bb.157:
	s_load_dwordx2 s[4:5], s[2:3], 0x1c
	s_load_dword s8, s[2:3], 0x24
	s_load_dwordx2 s[6:7], s[2:3], 0xdc
	s_waitcnt lgkmcnt(0)
	v_mul_hi_u32 v8, s5, v5
	v_add_u32_e32 v8, v5, v8
	v_lshrrev_b32_e32 v8, s8, v8
	v_mul_lo_u32 v8, v8, s4
	s_load_dword s4, s[2:3], 0xe4
	v_sub_u32_e32 v5, v5, v8
	v_mad_u64_u32 v[15:16], s[2:3], v5, s6, v[15:16]
	v_mad_u64_u32 v[22:23], s[2:3], v5, s7, v[22:23]
	s_waitcnt lgkmcnt(0)
	v_mad_u64_u32 v[24:25], s[2:3], v5, s4, v[24:25]
	s_cbranch_execz .LBB230_161
	s_branch .LBB230_163
.LBB230_158:
                                        ; implicit-def: $vgpr15
                                        ; implicit-def: $vgpr22
                                        ; implicit-def: $vgpr24
	s_branch .LBB230_161
.LBB230_159:
	v_mov_b32_e32 v15, 0
	v_mov_b32_e32 v22, 0
	;; [unrolled: 1-line block ×3, first 2 shown]
.LBB230_160:
	s_cbranch_execnz .LBB230_163
.LBB230_161:
	s_load_dwordx4 s[4:7], s[16:17], 0x4
	s_load_dwordx4 s[8:11], s[16:17], 0xc4
	s_cmp_lt_u32 s33, 2
	s_waitcnt lgkmcnt(0)
	v_mul_hi_u32 v5, s5, v3
	v_add_u32_e32 v5, v3, v5
	v_lshrrev_b32_e32 v5, s6, v5
	v_mul_lo_u32 v8, v5, s4
	v_sub_u32_e32 v3, v3, v8
	v_mul_lo_u32 v15, v3, s8
	v_mul_lo_u32 v22, v3, s9
	;; [unrolled: 1-line block ×3, first 2 shown]
	s_cbranch_scc1 .LBB230_163
; %bb.162:
	s_load_dwordx4 s[4:7], s[16:17], 0x10
	s_load_dwordx4 s[8:11], s[16:17], 0xd0
	s_waitcnt lgkmcnt(0)
	v_mul_hi_u32 v3, s5, v5
	v_add_u32_e32 v3, v5, v3
	v_lshrrev_b32_e32 v3, s6, v3
	v_mul_lo_u32 v3, v3, s4
	v_sub_u32_e32 v3, v5, v3
	v_mad_u64_u32 v[15:16], s[2:3], v3, s8, v[15:16]
	v_mad_u64_u32 v[22:23], s[2:3], v3, s9, v[22:23]
	;; [unrolled: 1-line block ×3, first 2 shown]
.LBB230_163:
	s_and_b64 vcc, exec, s[0:1]
	v_add_u32_e32 v3, 0x280, v26
	s_cbranch_vccnz .LBB230_169
; %bb.164:
	s_cmp_lg_u32 s33, 0
	s_cbranch_scc0 .LBB230_170
; %bb.165:
	s_min_u32 s4, s36, 15
	s_add_i32 s2, s4, 1
	s_and_b32 s5, s2, 30
	s_add_u32 s2, s16, 0xffffffe8
	s_addc_u32 s3, s17, -1
	v_mov_b32_e32 v27, 0
	v_mov_b32_e32 v29, 0
	;; [unrolled: 1-line block ×4, first 2 shown]
.LBB230_166:                            ; =>This Inner Loop Header: Depth=1
	s_load_dwordx4 s[8:11], s[2:3], 0x1c
	s_load_dwordx2 s[6:7], s[2:3], 0x2c
	s_load_dwordx2 s[18:19], s[2:3], 0xec
	s_load_dwordx4 s[12:15], s[2:3], 0xdc
	s_add_u32 s2, s2, 24
	s_waitcnt lgkmcnt(0)
	v_mul_hi_u32 v8, s9, v5
	s_addc_u32 s3, s3, 0
	s_add_i32 s5, s5, -2
	s_cmp_lg_u32 s5, 0
	v_add_u32_e32 v8, v5, v8
	v_lshrrev_b32_e32 v8, s10, v8
	v_mul_lo_u32 v11, v8, s8
	v_mul_hi_u32 v13, s6, v8
	v_sub_u32_e32 v11, v5, v11
	v_add_u32_e32 v5, v8, v13
	v_lshrrev_b32_e32 v5, s7, v5
	v_mul_lo_u32 v18, v5, s11
	v_mul_lo_u32 v13, v11, s12
	;; [unrolled: 1-line block ×4, first 2 shown]
	v_sub_u32_e32 v8, v8, v18
	v_mul_lo_u32 v18, v8, s15
	v_mul_lo_u32 v21, v8, s18
	v_mul_lo_u32 v8, v8, s19
	v_add3_u32 v20, v13, v20, v18
	v_add3_u32 v29, v16, v29, v21
	;; [unrolled: 1-line block ×3, first 2 shown]
	s_cbranch_scc1 .LBB230_166
; %bb.167:
	s_bitcmp1_b32 s4, 0
	s_cselect_b64 s[4:5], -1, 0
	s_and_b64 vcc, exec, s[4:5]
	s_cbranch_vccnz .LBB230_171
; %bb.168:
	s_load_dwordx2 s[4:5], s[2:3], 0x1c
	s_load_dword s8, s[2:3], 0x24
	s_load_dwordx2 s[6:7], s[2:3], 0xdc
	s_waitcnt lgkmcnt(0)
	v_mul_hi_u32 v8, s5, v5
	v_add_u32_e32 v8, v5, v8
	v_lshrrev_b32_e32 v8, s8, v8
	v_mul_lo_u32 v8, v8, s4
	s_load_dword s4, s[2:3], 0xe4
	v_sub_u32_e32 v5, v5, v8
	v_mad_u64_u32 v[20:21], s[2:3], v5, s6, v[20:21]
	v_mad_u64_u32 v[29:30], s[2:3], v5, s7, v[29:30]
	s_waitcnt lgkmcnt(0)
	v_mad_u64_u32 v[27:28], s[2:3], v5, s4, v[27:28]
	s_cbranch_execz .LBB230_172
	s_branch .LBB230_174
.LBB230_169:
                                        ; implicit-def: $vgpr20
                                        ; implicit-def: $vgpr29
                                        ; implicit-def: $vgpr27
	s_branch .LBB230_172
.LBB230_170:
	v_mov_b32_e32 v20, 0
	v_mov_b32_e32 v29, 0
	;; [unrolled: 1-line block ×3, first 2 shown]
.LBB230_171:
	s_cbranch_execnz .LBB230_174
.LBB230_172:
	s_load_dwordx4 s[4:7], s[16:17], 0x4
	s_load_dwordx4 s[8:11], s[16:17], 0xc4
	s_cmp_lt_u32 s33, 2
	s_waitcnt lgkmcnt(0)
	v_mul_hi_u32 v5, s5, v3
	v_add_u32_e32 v5, v3, v5
	v_lshrrev_b32_e32 v5, s6, v5
	v_mul_lo_u32 v8, v5, s4
	v_sub_u32_e32 v3, v3, v8
	v_mul_lo_u32 v20, v3, s8
	v_mul_lo_u32 v29, v3, s9
	;; [unrolled: 1-line block ×3, first 2 shown]
	s_cbranch_scc1 .LBB230_174
; %bb.173:
	s_load_dwordx4 s[4:7], s[16:17], 0x10
	s_load_dwordx4 s[8:11], s[16:17], 0xd0
	s_waitcnt lgkmcnt(0)
	v_mul_hi_u32 v3, s5, v5
	v_add_u32_e32 v3, v5, v3
	v_lshrrev_b32_e32 v3, s6, v3
	v_mul_lo_u32 v3, v3, s4
	v_sub_u32_e32 v3, v5, v3
	v_mad_u64_u32 v[20:21], s[2:3], v3, s8, v[20:21]
	v_mad_u64_u32 v[29:30], s[2:3], v3, s9, v[29:30]
	;; [unrolled: 1-line block ×3, first 2 shown]
.LBB230_174:
	s_and_b64 vcc, exec, s[0:1]
	v_add_u32_e32 v3, 0x300, v26
	s_cbranch_vccnz .LBB230_180
; %bb.175:
	s_cmp_lg_u32 s33, 0
	s_cbranch_scc0 .LBB230_181
; %bb.176:
	s_min_u32 s4, s36, 15
	s_add_i32 s2, s4, 1
	s_and_b32 s5, s2, 30
	s_add_u32 s2, s16, 0xffffffe8
	s_addc_u32 s3, s17, -1
	v_mov_b32_e32 v30, 0
	v_mov_b32_e32 v32, 0
	;; [unrolled: 1-line block ×4, first 2 shown]
.LBB230_177:                            ; =>This Inner Loop Header: Depth=1
	s_load_dwordx4 s[8:11], s[2:3], 0x1c
	s_load_dwordx2 s[6:7], s[2:3], 0x2c
	s_load_dwordx2 s[18:19], s[2:3], 0xec
	s_load_dwordx4 s[12:15], s[2:3], 0xdc
	s_add_u32 s2, s2, 24
	s_waitcnt lgkmcnt(0)
	v_mul_hi_u32 v8, s9, v5
	s_addc_u32 s3, s3, 0
	s_add_i32 s5, s5, -2
	s_cmp_lg_u32 s5, 0
	v_add_u32_e32 v8, v5, v8
	v_lshrrev_b32_e32 v8, s10, v8
	v_mul_lo_u32 v11, v8, s8
	v_mul_hi_u32 v13, s6, v8
	v_sub_u32_e32 v11, v5, v11
	v_add_u32_e32 v5, v8, v13
	v_lshrrev_b32_e32 v5, s7, v5
	v_mul_lo_u32 v18, v5, s11
	v_mul_lo_u32 v13, v11, s12
	;; [unrolled: 1-line block ×4, first 2 shown]
	v_sub_u32_e32 v8, v8, v18
	v_mul_lo_u32 v18, v8, s15
	v_mul_lo_u32 v21, v8, s18
	;; [unrolled: 1-line block ×3, first 2 shown]
	v_add3_u32 v25, v13, v25, v18
	v_add3_u32 v32, v16, v32, v21
	;; [unrolled: 1-line block ×3, first 2 shown]
	s_cbranch_scc1 .LBB230_177
; %bb.178:
	s_bitcmp1_b32 s4, 0
	s_cselect_b64 s[4:5], -1, 0
	s_and_b64 vcc, exec, s[4:5]
	s_cbranch_vccnz .LBB230_182
; %bb.179:
	s_load_dwordx2 s[4:5], s[2:3], 0x1c
	s_load_dword s8, s[2:3], 0x24
	s_load_dwordx2 s[6:7], s[2:3], 0xdc
	s_waitcnt lgkmcnt(0)
	v_mul_hi_u32 v8, s5, v5
	v_add_u32_e32 v8, v5, v8
	v_lshrrev_b32_e32 v8, s8, v8
	v_mul_lo_u32 v8, v8, s4
	s_load_dword s4, s[2:3], 0xe4
	v_sub_u32_e32 v5, v5, v8
	v_mad_u64_u32 v[25:26], s[2:3], v5, s6, v[25:26]
	v_mad_u64_u32 v[32:33], s[2:3], v5, s7, v[32:33]
	s_waitcnt lgkmcnt(0)
	v_mad_u64_u32 v[30:31], s[2:3], v5, s4, v[30:31]
	s_cbranch_execz .LBB230_183
	s_branch .LBB230_185
.LBB230_180:
                                        ; implicit-def: $vgpr25
                                        ; implicit-def: $vgpr32
                                        ; implicit-def: $vgpr30
	s_branch .LBB230_183
.LBB230_181:
	v_mov_b32_e32 v25, 0
	v_mov_b32_e32 v32, 0
	;; [unrolled: 1-line block ×3, first 2 shown]
.LBB230_182:
	s_cbranch_execnz .LBB230_185
.LBB230_183:
	s_load_dwordx4 s[4:7], s[16:17], 0x4
	s_load_dwordx4 s[8:11], s[16:17], 0xc4
	s_cmp_lt_u32 s33, 2
	s_waitcnt lgkmcnt(0)
	v_mul_hi_u32 v5, s5, v3
	v_add_u32_e32 v5, v3, v5
	v_lshrrev_b32_e32 v5, s6, v5
	v_mul_lo_u32 v8, v5, s4
	v_sub_u32_e32 v3, v3, v8
	v_mul_lo_u32 v25, v3, s8
	v_mul_lo_u32 v32, v3, s9
	;; [unrolled: 1-line block ×3, first 2 shown]
	s_cbranch_scc1 .LBB230_185
; %bb.184:
	s_load_dwordx4 s[4:7], s[16:17], 0x10
	s_load_dwordx4 s[8:11], s[16:17], 0xd0
	s_waitcnt lgkmcnt(0)
	v_mul_hi_u32 v3, s5, v5
	v_add_u32_e32 v3, v5, v3
	v_lshrrev_b32_e32 v3, s6, v3
	v_mul_lo_u32 v3, v3, s4
	v_sub_u32_e32 v3, v5, v3
	v_mad_u64_u32 v[25:26], s[2:3], v3, s8, v[25:26]
	v_mad_u64_u32 v[32:33], s[2:3], v3, s9, v[32:33]
	;; [unrolled: 1-line block ×3, first 2 shown]
.LBB230_185:
	s_and_b64 vcc, exec, s[0:1]
	s_cbranch_vccnz .LBB230_191
; %bb.186:
	s_cmp_lg_u32 s33, 0
	s_cbranch_scc0 .LBB230_192
; %bb.187:
	s_min_u32 s2, s36, 15
	s_add_i32 s0, s2, 1
	s_and_b32 s3, s0, 30
	s_add_u32 s0, s16, 0xffffffe8
	s_addc_u32 s1, s17, -1
	v_mov_b32_e32 v35, 0
	v_mov_b32_e32 v37, 0
	;; [unrolled: 1-line block ×4, first 2 shown]
.LBB230_188:                            ; =>This Inner Loop Header: Depth=1
	s_load_dwordx4 s[4:7], s[0:1], 0x1c
	s_load_dwordx2 s[12:13], s[0:1], 0x2c
	s_load_dwordx2 s[14:15], s[0:1], 0xec
	s_load_dwordx4 s[8:11], s[0:1], 0xdc
	s_add_u32 s0, s0, 24
	s_waitcnt lgkmcnt(0)
	v_mul_hi_u32 v5, s5, v3
	s_addc_u32 s1, s1, 0
	s_add_i32 s3, s3, -2
	s_cmp_lg_u32 s3, 0
	v_add_u32_e32 v5, v3, v5
	v_lshrrev_b32_e32 v5, s6, v5
	v_mul_lo_u32 v8, v5, s4
	v_mul_hi_u32 v11, s12, v5
	v_sub_u32_e32 v8, v3, v8
	v_add_u32_e32 v3, v5, v11
	v_lshrrev_b32_e32 v3, s13, v3
	v_mul_lo_u32 v16, v3, s7
	v_mul_lo_u32 v11, v8, s8
	;; [unrolled: 1-line block ×4, first 2 shown]
	v_sub_u32_e32 v5, v5, v16
	v_mul_lo_u32 v16, v5, s11
	v_mul_lo_u32 v18, v5, s14
	;; [unrolled: 1-line block ×3, first 2 shown]
	v_add3_u32 v33, v11, v33, v16
	v_add3_u32 v37, v13, v37, v18
	;; [unrolled: 1-line block ×3, first 2 shown]
	s_cbranch_scc1 .LBB230_188
; %bb.189:
	s_bitcmp1_b32 s2, 0
	s_cselect_b64 s[2:3], -1, 0
	s_and_b64 vcc, exec, s[2:3]
	s_cbranch_vccnz .LBB230_193
; %bb.190:
	s_load_dwordx2 s[2:3], s[0:1], 0x1c
	s_load_dword s6, s[0:1], 0x24
	s_load_dwordx2 s[4:5], s[0:1], 0xdc
	s_waitcnt lgkmcnt(0)
	v_mul_hi_u32 v5, s3, v3
	v_add_u32_e32 v5, v3, v5
	v_lshrrev_b32_e32 v5, s6, v5
	v_mul_lo_u32 v5, v5, s2
	s_load_dword s2, s[0:1], 0xe4
	v_sub_u32_e32 v3, v3, v5
	v_mad_u64_u32 v[33:34], s[0:1], v3, s4, v[33:34]
	v_mad_u64_u32 v[37:38], s[0:1], v3, s5, v[37:38]
	s_waitcnt lgkmcnt(0)
	v_mad_u64_u32 v[35:36], s[0:1], v3, s2, v[35:36]
	s_cbranch_execz .LBB230_194
	s_branch .LBB230_196
.LBB230_191:
                                        ; implicit-def: $vgpr33
                                        ; implicit-def: $vgpr37
                                        ; implicit-def: $vgpr35
	s_branch .LBB230_194
.LBB230_192:
	v_mov_b32_e32 v33, 0
	v_mov_b32_e32 v37, 0
	;; [unrolled: 1-line block ×3, first 2 shown]
.LBB230_193:
	s_cbranch_execnz .LBB230_196
.LBB230_194:
	s_load_dwordx4 s[0:3], s[16:17], 0x4
	s_load_dwordx4 s[4:7], s[16:17], 0xc4
	s_cmp_lt_u32 s33, 2
	s_waitcnt lgkmcnt(0)
	v_mul_hi_u32 v3, s1, v39
	v_add_u32_e32 v3, v39, v3
	v_lshrrev_b32_e32 v3, s2, v3
	v_mul_lo_u32 v5, v3, s0
	v_sub_u32_e32 v5, v39, v5
	v_mul_lo_u32 v33, v5, s4
	v_mul_lo_u32 v37, v5, s5
	;; [unrolled: 1-line block ×3, first 2 shown]
	s_cbranch_scc1 .LBB230_196
; %bb.195:
	s_load_dwordx4 s[0:3], s[16:17], 0x10
	s_load_dwordx4 s[4:7], s[16:17], 0xd0
	s_waitcnt lgkmcnt(0)
	v_mul_hi_u32 v5, s1, v3
	v_add_u32_e32 v5, v3, v5
	v_lshrrev_b32_e32 v5, s2, v5
	v_mul_lo_u32 v5, v5, s0
	v_sub_u32_e32 v3, v3, v5
	v_mad_u64_u32 v[33:34], s[0:1], v3, s4, v[33:34]
	v_mad_u64_u32 v[37:38], s[0:1], v3, s5, v[37:38]
	;; [unrolled: 1-line block ×3, first 2 shown]
.LBB230_196:
	s_load_dwordx4 s[12:15], s[16:17], 0x188
	s_load_dwordx2 s[10:11], s[16:17], 0x198
	s_mov_b32 s19, 0x5040100
	s_brev_b32 s18, 16
	s_brev_b32 s20, 1
	s_load_dword s16, s[16:17], 0x1a0
	s_waitcnt lgkmcnt(0)
	global_load_ubyte v5, v6, s[14:15]
	global_load_ubyte v3, v4, s[10:11]
	s_cmp_eq_u32 s16, 0
	s_waitcnt vmcnt(0)
	v_lshlrev_b32_e32 v6, 25, v3
	v_perm_b32 v4, v3, v5, s19
	v_lshrrev_b32_e32 v3, 4, v6
	v_pk_lshlrev_b16 v4, 8, v4 op_sel_hi:[0,1]
	v_or_b32_e32 v3, 0x70000000, v3
	v_mul_f32_e32 v8, 0x7800000, v3
	v_mov_b32_e32 v3, 0.5
	v_and_b32_e32 v11, 0x7f007f00, v4
	v_or_b32_sdwa v13, v11, v3 dst_sel:DWORD dst_unused:UNUSED_PAD src0_sel:WORD_1 src1_sel:DWORD
	v_add_f32_e32 v13, -0.5, v13
	v_cmp_gt_u32_e32 vcc, s18, v6
	v_lshlrev_b32_e32 v5, 25, v5
	v_cndmask_b32_e32 v6, v8, v13, vcc
	v_lshrrev_b32_e32 v8, 4, v5
	v_and_b32_e32 v11, 0x7f00, v11
	v_or_b32_e32 v8, 0x70000000, v8
	v_or_b32_e32 v11, 0.5, v11
	v_mul_f32_e32 v8, 0x7800000, v8
	v_add_f32_e32 v11, -0.5, v11
	v_cmp_gt_u32_e32 vcc, s18, v5
	v_cndmask_b32_e32 v5, v8, v11, vcc
	v_and_b32_sdwa v8, sext(v4), s20 dst_sel:DWORD dst_unused:UNUSED_PAD src0_sel:WORD_1 src1_sel:DWORD
	v_and_b32_sdwa v4, sext(v4), s20 dst_sel:DWORD dst_unused:UNUSED_PAD src0_sel:WORD_0 src1_sel:DWORD
	v_or_b32_e32 v6, v8, v6
	v_or_b32_e32 v4, v4, v5
	v_cmp_eq_f32_e32 vcc, v4, v6
	v_cmp_neq_f32_e64 s[0:1], v4, v6
	global_load_ubyte v4, v9, s[14:15]
	global_load_ubyte v5, v7, s[10:11]
	v_cndmask_b32_e64 v11, 0, 1, vcc
	s_cselect_b64 vcc, -1, 0
	s_waitcnt vmcnt(0)
	v_perm_b32 v6, v5, v4, s19
	v_lshlrev_b32_e32 v5, 25, v5
	v_pk_lshlrev_b16 v6, 8, v6 op_sel_hi:[0,1]
	v_lshrrev_b32_e32 v7, 4, v5
	v_and_b32_e32 v8, 0x7f007f00, v6
	v_or_b32_e32 v7, 0x70000000, v7
	v_or_b32_sdwa v9, v8, v3 dst_sel:DWORD dst_unused:UNUSED_PAD src0_sel:WORD_1 src1_sel:DWORD
	v_mul_f32_e32 v7, 0x7800000, v7
	v_add_f32_e32 v9, -0.5, v9
	v_cmp_gt_u32_e64 s[2:3], s18, v5
	v_lshlrev_b32_e32 v4, 25, v4
	v_cndmask_b32_e64 v5, v7, v9, s[2:3]
	v_lshrrev_b32_e32 v7, 4, v4
	v_and_b32_e32 v8, 0x7f00, v8
	v_or_b32_e32 v7, 0x70000000, v7
	v_or_b32_e32 v8, 0.5, v8
	v_mul_f32_e32 v7, 0x7800000, v7
	v_add_f32_e32 v8, -0.5, v8
	v_cmp_gt_u32_e64 s[2:3], s18, v4
	v_cndmask_b32_e64 v4, v7, v8, s[2:3]
	v_and_b32_sdwa v7, sext(v6), s20 dst_sel:DWORD dst_unused:UNUSED_PAD src0_sel:WORD_1 src1_sel:DWORD
	v_and_b32_sdwa v6, sext(v6), s20 dst_sel:DWORD dst_unused:UNUSED_PAD src0_sel:WORD_0 src1_sel:DWORD
	v_or_b32_e32 v5, v7, v5
	v_or_b32_e32 v4, v6, v4
	v_cmp_eq_f32_e64 s[2:3], v4, v5
	v_cmp_neq_f32_e64 s[4:5], v4, v5
	global_load_ubyte v4, v14, s[14:15]
	global_load_ubyte v5, v12, s[10:11]
	v_cndmask_b32_e64 v12, 0, 1, s[0:1]
	v_cndmask_b32_e32 v11, v12, v11, vcc
	v_cndmask_b32_e64 v12, 0, 1, s[2:3]
	v_cndmask_b32_e64 v13, 0, 1, s[4:5]
	v_cndmask_b32_e32 v12, v13, v12, vcc
	v_and_b32_e32 v11, 1, v11
	v_and_b32_e32 v12, 1, v12
	s_waitcnt vmcnt(0)
	v_perm_b32 v6, v5, v4, s19
	v_lshlrev_b32_e32 v5, 25, v5
	v_pk_lshlrev_b16 v6, 8, v6 op_sel_hi:[0,1]
	v_lshrrev_b32_e32 v7, 4, v5
	v_and_b32_e32 v8, 0x7f007f00, v6
	v_or_b32_e32 v7, 0x70000000, v7
	v_or_b32_sdwa v9, v8, v3 dst_sel:DWORD dst_unused:UNUSED_PAD src0_sel:WORD_1 src1_sel:DWORD
	v_mul_f32_e32 v7, 0x7800000, v7
	v_add_f32_e32 v9, -0.5, v9
	v_cmp_gt_u32_e64 s[6:7], s18, v5
	v_lshlrev_b32_e32 v4, 25, v4
	v_cndmask_b32_e64 v5, v7, v9, s[6:7]
	v_lshrrev_b32_e32 v7, 4, v4
	v_and_b32_e32 v8, 0x7f00, v8
	v_or_b32_e32 v7, 0x70000000, v7
	v_or_b32_e32 v8, 0.5, v8
	v_mul_f32_e32 v7, 0x7800000, v7
	v_add_f32_e32 v8, -0.5, v8
	v_cmp_gt_u32_e64 s[6:7], s18, v4
	v_cndmask_b32_e64 v4, v7, v8, s[6:7]
	v_and_b32_sdwa v7, sext(v6), s20 dst_sel:DWORD dst_unused:UNUSED_PAD src0_sel:WORD_1 src1_sel:DWORD
	v_and_b32_sdwa v6, sext(v6), s20 dst_sel:DWORD dst_unused:UNUSED_PAD src0_sel:WORD_0 src1_sel:DWORD
	v_or_b32_e32 v5, v7, v5
	v_or_b32_e32 v4, v6, v4
	v_cmp_eq_f32_e64 s[6:7], v4, v5
	v_cmp_neq_f32_e64 s[8:9], v4, v5
	global_load_ubyte v7, v17, s[14:15]
	global_load_ubyte v8, v19, s[10:11]
	;; [unrolled: 1-line block ×6, first 2 shown]
	v_cndmask_b32_e64 v13, 0, 1, s[6:7]
	v_cndmask_b32_e64 v14, 0, 1, s[8:9]
	v_cndmask_b32_e32 v13, v14, v13, vcc
	v_and_b32_e32 v13, 1, v13
	s_waitcnt vmcnt(4)
	v_perm_b32 v14, v8, v7, s19
	v_pk_lshlrev_b16 v14, 8, v14 op_sel_hi:[0,1]
	v_lshlrev_b32_e32 v8, 25, v8
	v_lshrrev_b32_e32 v16, 4, v8
	v_and_b32_e32 v17, 0x7f007f00, v14
	v_or_b32_e32 v16, 0x70000000, v16
	v_or_b32_sdwa v18, v17, v3 dst_sel:DWORD dst_unused:UNUSED_PAD src0_sel:WORD_1 src1_sel:DWORD
	v_add_f32_e32 v18, -0.5, v18
	v_mul_f32_e32 v16, 0x7800000, v16
	v_cmp_gt_u32_e64 s[0:1], s18, v8
	v_cndmask_b32_e64 v8, v16, v18, s[0:1]
	global_load_ubyte v16, v32, s[14:15]
	global_load_ubyte v18, v30, s[10:11]
	v_lshlrev_b32_e32 v7, 25, v7
	v_lshrrev_b32_e32 v19, 4, v7
	v_and_b32_e32 v17, 0x7f00, v17
	v_or_b32_e32 v19, 0x70000000, v19
	v_or_b32_e32 v17, 0.5, v17
	v_add_f32_e32 v17, -0.5, v17
	v_mul_f32_e32 v19, 0x7800000, v19
	v_cmp_gt_u32_e64 s[0:1], s18, v7
	v_cndmask_b32_e64 v7, v19, v17, s[0:1]
	v_and_b32_sdwa v17, sext(v14), s20 dst_sel:DWORD dst_unused:UNUSED_PAD src0_sel:WORD_1 src1_sel:DWORD
	v_and_b32_sdwa v14, sext(v14), s20 dst_sel:DWORD dst_unused:UNUSED_PAD src0_sel:WORD_0 src1_sel:DWORD
	v_or_b32_e32 v8, v17, v8
	v_or_b32_e32 v7, v14, v7
	v_cmp_neq_f32_e64 s[0:1], v7, v8
	v_cmp_eq_f32_e64 s[2:3], v7, v8
	v_cndmask_b32_e64 v7, 0, 1, s[2:3]
	v_cndmask_b32_e64 v8, 0, 1, s[0:1]
	v_cndmask_b32_e32 v7, v8, v7, vcc
	s_waitcnt vmcnt(4)
	v_perm_b32 v8, v9, v4, s19
	v_lshlrev_b32_e32 v9, 25, v9
	v_lshrrev_b32_e32 v14, 4, v9
	v_cmp_gt_u32_e64 s[0:1], s18, v9
	global_load_ubyte v9, v37, s[14:15]
	global_load_ubyte v21, v35, s[10:11]
	v_pk_lshlrev_b16 v8, 8, v8 op_sel_hi:[0,1]
	v_and_b32_e32 v17, 0x7f007f00, v8
	v_or_b32_e32 v14, 0x70000000, v14
	v_or_b32_sdwa v19, v17, v3 dst_sel:DWORD dst_unused:UNUSED_PAD src0_sel:WORD_1 src1_sel:DWORD
	v_add_f32_e32 v19, -0.5, v19
	v_mul_f32_e32 v14, 0x7800000, v14
	v_lshlrev_b32_e32 v4, 25, v4
	v_cndmask_b32_e64 v14, v14, v19, s[0:1]
	v_lshrrev_b32_e32 v19, 4, v4
	v_and_b32_e32 v17, 0x7f00, v17
	v_or_b32_e32 v19, 0x70000000, v19
	v_or_b32_e32 v17, 0.5, v17
	v_add_f32_e32 v17, -0.5, v17
	v_mul_f32_e32 v19, 0x7800000, v19
	v_cmp_gt_u32_e64 s[0:1], s18, v4
	v_cndmask_b32_e64 v4, v19, v17, s[0:1]
	v_and_b32_sdwa v17, sext(v8), s20 dst_sel:DWORD dst_unused:UNUSED_PAD src0_sel:WORD_1 src1_sel:DWORD
	v_and_b32_sdwa v8, sext(v8), s20 dst_sel:DWORD dst_unused:UNUSED_PAD src0_sel:WORD_0 src1_sel:DWORD
	v_or_b32_e32 v14, v17, v14
	v_or_b32_e32 v4, v8, v4
	v_cmp_eq_f32_e64 s[0:1], v4, v14
	v_cndmask_b32_e64 v8, 0, 1, s[0:1]
	v_cmp_neq_f32_e64 s[0:1], v4, v14
	v_cndmask_b32_e64 v4, 0, 1, s[0:1]
	v_cndmask_b32_e32 v4, v4, v8, vcc
	s_waitcnt vmcnt(4)
	v_perm_b32 v8, v6, v5, s19
	v_pk_lshlrev_b16 v8, 8, v8 op_sel_hi:[0,1]
	v_lshlrev_b32_e32 v6, 25, v6
	v_lshlrev_b32_e32 v5, 25, v5
	v_lshrrev_b32_e32 v14, 4, v6
	v_and_b32_e32 v17, 0x7f007f00, v8
	v_or_b32_e32 v14, 0x70000000, v14
	v_or_b32_sdwa v19, v17, v3 dst_sel:DWORD dst_unused:UNUSED_PAD src0_sel:WORD_1 src1_sel:DWORD
	v_cmp_gt_u32_e64 s[0:1], s18, v6
	v_lshrrev_b32_e32 v6, 4, v5
	v_and_b32_e32 v17, 0x7f00, v17
	v_add_f32_e32 v19, -0.5, v19
	v_mul_f32_e32 v14, 0x7800000, v14
	v_or_b32_e32 v6, 0x70000000, v6
	v_or_b32_e32 v17, 0.5, v17
	v_add_f32_e32 v17, -0.5, v17
	v_mul_f32_e32 v6, 0x7800000, v6
	v_cndmask_b32_e64 v14, v14, v19, s[0:1]
	v_cmp_gt_u32_e64 s[0:1], s18, v5
	v_cndmask_b32_e64 v5, v6, v17, s[0:1]
	v_and_b32_sdwa v6, sext(v8), s20 dst_sel:DWORD dst_unused:UNUSED_PAD src0_sel:WORD_1 src1_sel:DWORD
	v_and_b32_sdwa v8, sext(v8), s20 dst_sel:DWORD dst_unused:UNUSED_PAD src0_sel:WORD_0 src1_sel:DWORD
	v_or_b32_e32 v6, v6, v14
	v_or_b32_e32 v5, v8, v5
	v_cmp_eq_f32_e64 s[0:1], v5, v6
	v_cndmask_b32_e64 v8, 0, 1, s[0:1]
	v_cmp_neq_f32_e64 s[0:1], v5, v6
	v_cndmask_b32_e64 v5, 0, 1, s[0:1]
	v_cndmask_b32_e32 v5, v5, v8, vcc
	v_and_b32_e32 v7, 1, v7
	s_waitcnt vmcnt(3)
	v_lshlrev_b32_e32 v8, 25, v16
	s_waitcnt vmcnt(2)
	v_perm_b32 v6, v18, v16, s19
	v_pk_lshlrev_b16 v6, 8, v6 op_sel_hi:[0,1]
	v_lshlrev_b32_e32 v14, 25, v18
	v_lshrrev_b32_e32 v16, 4, v14
	v_and_b32_e32 v18, 0x7f007f00, v6
	v_lshrrev_b32_e32 v17, 4, v8
	v_or_b32_e32 v16, 0x70000000, v16
	v_and_b32_e32 v19, 0x7f00, v18
	v_or_b32_sdwa v18, v18, v3 dst_sel:DWORD dst_unused:UNUSED_PAD src0_sel:WORD_1 src1_sel:DWORD
	v_or_b32_e32 v17, 0x70000000, v17
	v_or_b32_e32 v19, 0.5, v19
	v_add_f32_e32 v18, -0.5, v18
	v_mul_f32_e32 v16, 0x7800000, v16
	v_cmp_gt_u32_e64 s[0:1], s18, v14
	v_add_f32_e32 v19, -0.5, v19
	v_mul_f32_e32 v17, 0x7800000, v17
	v_cndmask_b32_e64 v14, v16, v18, s[0:1]
	v_cmp_gt_u32_e64 s[0:1], s18, v8
	v_cndmask_b32_e64 v8, v17, v19, s[0:1]
	v_and_b32_sdwa v16, sext(v6), s20 dst_sel:DWORD dst_unused:UNUSED_PAD src0_sel:WORD_1 src1_sel:DWORD
	v_and_b32_sdwa v6, sext(v6), s20 dst_sel:DWORD dst_unused:UNUSED_PAD src0_sel:WORD_0 src1_sel:DWORD
	v_or_b32_e32 v14, v16, v14
	v_or_b32_e32 v6, v6, v8
	v_cmp_eq_f32_e64 s[0:1], v6, v14
	v_cndmask_b32_e64 v8, 0, 1, s[0:1]
	v_cmp_neq_f32_e64 s[0:1], v6, v14
	v_cndmask_b32_e64 v6, 0, 1, s[0:1]
	v_cndmask_b32_e32 v6, v6, v8, vcc
	s_waitcnt vmcnt(0)
	v_perm_b32 v8, v21, v9, s19
	v_pk_lshlrev_b16 v8, 8, v8 op_sel_hi:[0,1]
	v_lshlrev_b32_e32 v14, 25, v21
	v_lshlrev_b32_e32 v9, 25, v9
	v_lshrrev_b32_e32 v16, 4, v14
	v_and_b32_e32 v18, 0x7f007f00, v8
	v_lshrrev_b32_e32 v17, 4, v9
	v_or_b32_e32 v16, 0x70000000, v16
	v_and_b32_e32 v19, 0x7f00, v18
	v_or_b32_sdwa v3, v18, v3 dst_sel:DWORD dst_unused:UNUSED_PAD src0_sel:WORD_1 src1_sel:DWORD
	v_or_b32_e32 v17, 0x70000000, v17
	v_or_b32_e32 v18, 0.5, v19
	v_add_f32_e32 v3, -0.5, v3
	v_mul_f32_e32 v16, 0x7800000, v16
	v_cmp_gt_u32_e64 s[0:1], s18, v14
	v_add_f32_e32 v18, -0.5, v18
	v_mul_f32_e32 v17, 0x7800000, v17
	v_cndmask_b32_e64 v3, v16, v3, s[0:1]
	v_cmp_gt_u32_e64 s[0:1], s18, v9
	v_cndmask_b32_e64 v9, v17, v18, s[0:1]
	v_and_b32_sdwa v14, sext(v8), s20 dst_sel:DWORD dst_unused:UNUSED_PAD src0_sel:WORD_1 src1_sel:DWORD
	v_and_b32_sdwa v8, sext(v8), s20 dst_sel:DWORD dst_unused:UNUSED_PAD src0_sel:WORD_0 src1_sel:DWORD
	v_or_b32_e32 v3, v14, v3
	v_or_b32_e32 v8, v8, v9
	v_cmp_eq_f32_e64 s[0:1], v8, v3
	v_cndmask_b32_e64 v9, 0, 1, s[0:1]
	v_cmp_neq_f32_e64 s[0:1], v8, v3
	v_cndmask_b32_e64 v3, 0, 1, s[0:1]
	v_cndmask_b32_e32 v3, v3, v9, vcc
	v_and_b32_e32 v4, 1, v4
	v_and_b32_e32 v5, 1, v5
	;; [unrolled: 1-line block ×4, first 2 shown]
	global_store_byte v0, v11, s[12:13]
	global_store_byte v1, v12, s[12:13]
	;; [unrolled: 1-line block ×8, first 2 shown]
	s_endpgm
	.section	.rodata,"a",@progbits
	.p2align	6, 0x0
	.amdhsa_kernel _ZN2at6native32elementwise_kernel_manual_unrollILi128ELi8EZNS0_22gpu_kernel_impl_nocastINS0_13BinaryFunctorIN3c1011Float8_e5m2ES5_bNS0_12_GLOBAL__N_116CompareEqFunctorIS5_EEEEEEvRNS_18TensorIteratorBaseERKT_EUlibE_EEviT1_
		.amdhsa_group_segment_fixed_size 0
		.amdhsa_private_segment_fixed_size 0
		.amdhsa_kernarg_size 432
		.amdhsa_user_sgpr_count 6
		.amdhsa_user_sgpr_private_segment_buffer 1
		.amdhsa_user_sgpr_dispatch_ptr 0
		.amdhsa_user_sgpr_queue_ptr 0
		.amdhsa_user_sgpr_kernarg_segment_ptr 1
		.amdhsa_user_sgpr_dispatch_id 0
		.amdhsa_user_sgpr_flat_scratch_init 0
		.amdhsa_user_sgpr_private_segment_size 0
		.amdhsa_uses_dynamic_stack 0
		.amdhsa_system_sgpr_private_segment_wavefront_offset 0
		.amdhsa_system_sgpr_workgroup_id_x 1
		.amdhsa_system_sgpr_workgroup_id_y 0
		.amdhsa_system_sgpr_workgroup_id_z 0
		.amdhsa_system_sgpr_workgroup_info 0
		.amdhsa_system_vgpr_workitem_id 0
		.amdhsa_next_free_vgpr 40
		.amdhsa_next_free_sgpr 52
		.amdhsa_reserve_vcc 1
		.amdhsa_reserve_flat_scratch 0
		.amdhsa_float_round_mode_32 0
		.amdhsa_float_round_mode_16_64 0
		.amdhsa_float_denorm_mode_32 3
		.amdhsa_float_denorm_mode_16_64 3
		.amdhsa_dx10_clamp 1
		.amdhsa_ieee_mode 1
		.amdhsa_fp16_overflow 0
		.amdhsa_exception_fp_ieee_invalid_op 0
		.amdhsa_exception_fp_denorm_src 0
		.amdhsa_exception_fp_ieee_div_zero 0
		.amdhsa_exception_fp_ieee_overflow 0
		.amdhsa_exception_fp_ieee_underflow 0
		.amdhsa_exception_fp_ieee_inexact 0
		.amdhsa_exception_int_div_zero 0
	.end_amdhsa_kernel
	.section	.text._ZN2at6native32elementwise_kernel_manual_unrollILi128ELi8EZNS0_22gpu_kernel_impl_nocastINS0_13BinaryFunctorIN3c1011Float8_e5m2ES5_bNS0_12_GLOBAL__N_116CompareEqFunctorIS5_EEEEEEvRNS_18TensorIteratorBaseERKT_EUlibE_EEviT1_,"axG",@progbits,_ZN2at6native32elementwise_kernel_manual_unrollILi128ELi8EZNS0_22gpu_kernel_impl_nocastINS0_13BinaryFunctorIN3c1011Float8_e5m2ES5_bNS0_12_GLOBAL__N_116CompareEqFunctorIS5_EEEEEEvRNS_18TensorIteratorBaseERKT_EUlibE_EEviT1_,comdat
.Lfunc_end230:
	.size	_ZN2at6native32elementwise_kernel_manual_unrollILi128ELi8EZNS0_22gpu_kernel_impl_nocastINS0_13BinaryFunctorIN3c1011Float8_e5m2ES5_bNS0_12_GLOBAL__N_116CompareEqFunctorIS5_EEEEEEvRNS_18TensorIteratorBaseERKT_EUlibE_EEviT1_, .Lfunc_end230-_ZN2at6native32elementwise_kernel_manual_unrollILi128ELi8EZNS0_22gpu_kernel_impl_nocastINS0_13BinaryFunctorIN3c1011Float8_e5m2ES5_bNS0_12_GLOBAL__N_116CompareEqFunctorIS5_EEEEEEvRNS_18TensorIteratorBaseERKT_EUlibE_EEviT1_
                                        ; -- End function
	.set _ZN2at6native32elementwise_kernel_manual_unrollILi128ELi8EZNS0_22gpu_kernel_impl_nocastINS0_13BinaryFunctorIN3c1011Float8_e5m2ES5_bNS0_12_GLOBAL__N_116CompareEqFunctorIS5_EEEEEEvRNS_18TensorIteratorBaseERKT_EUlibE_EEviT1_.num_vgpr, 40
	.set _ZN2at6native32elementwise_kernel_manual_unrollILi128ELi8EZNS0_22gpu_kernel_impl_nocastINS0_13BinaryFunctorIN3c1011Float8_e5m2ES5_bNS0_12_GLOBAL__N_116CompareEqFunctorIS5_EEEEEEvRNS_18TensorIteratorBaseERKT_EUlibE_EEviT1_.num_agpr, 0
	.set _ZN2at6native32elementwise_kernel_manual_unrollILi128ELi8EZNS0_22gpu_kernel_impl_nocastINS0_13BinaryFunctorIN3c1011Float8_e5m2ES5_bNS0_12_GLOBAL__N_116CompareEqFunctorIS5_EEEEEEvRNS_18TensorIteratorBaseERKT_EUlibE_EEviT1_.numbered_sgpr, 52
	.set _ZN2at6native32elementwise_kernel_manual_unrollILi128ELi8EZNS0_22gpu_kernel_impl_nocastINS0_13BinaryFunctorIN3c1011Float8_e5m2ES5_bNS0_12_GLOBAL__N_116CompareEqFunctorIS5_EEEEEEvRNS_18TensorIteratorBaseERKT_EUlibE_EEviT1_.num_named_barrier, 0
	.set _ZN2at6native32elementwise_kernel_manual_unrollILi128ELi8EZNS0_22gpu_kernel_impl_nocastINS0_13BinaryFunctorIN3c1011Float8_e5m2ES5_bNS0_12_GLOBAL__N_116CompareEqFunctorIS5_EEEEEEvRNS_18TensorIteratorBaseERKT_EUlibE_EEviT1_.private_seg_size, 0
	.set _ZN2at6native32elementwise_kernel_manual_unrollILi128ELi8EZNS0_22gpu_kernel_impl_nocastINS0_13BinaryFunctorIN3c1011Float8_e5m2ES5_bNS0_12_GLOBAL__N_116CompareEqFunctorIS5_EEEEEEvRNS_18TensorIteratorBaseERKT_EUlibE_EEviT1_.uses_vcc, 1
	.set _ZN2at6native32elementwise_kernel_manual_unrollILi128ELi8EZNS0_22gpu_kernel_impl_nocastINS0_13BinaryFunctorIN3c1011Float8_e5m2ES5_bNS0_12_GLOBAL__N_116CompareEqFunctorIS5_EEEEEEvRNS_18TensorIteratorBaseERKT_EUlibE_EEviT1_.uses_flat_scratch, 0
	.set _ZN2at6native32elementwise_kernel_manual_unrollILi128ELi8EZNS0_22gpu_kernel_impl_nocastINS0_13BinaryFunctorIN3c1011Float8_e5m2ES5_bNS0_12_GLOBAL__N_116CompareEqFunctorIS5_EEEEEEvRNS_18TensorIteratorBaseERKT_EUlibE_EEviT1_.has_dyn_sized_stack, 0
	.set _ZN2at6native32elementwise_kernel_manual_unrollILi128ELi8EZNS0_22gpu_kernel_impl_nocastINS0_13BinaryFunctorIN3c1011Float8_e5m2ES5_bNS0_12_GLOBAL__N_116CompareEqFunctorIS5_EEEEEEvRNS_18TensorIteratorBaseERKT_EUlibE_EEviT1_.has_recursion, 0
	.set _ZN2at6native32elementwise_kernel_manual_unrollILi128ELi8EZNS0_22gpu_kernel_impl_nocastINS0_13BinaryFunctorIN3c1011Float8_e5m2ES5_bNS0_12_GLOBAL__N_116CompareEqFunctorIS5_EEEEEEvRNS_18TensorIteratorBaseERKT_EUlibE_EEviT1_.has_indirect_call, 0
	.section	.AMDGPU.csdata,"",@progbits
; Kernel info:
; codeLenInByte = 12232
; TotalNumSgprs: 56
; NumVgprs: 40
; ScratchSize: 0
; MemoryBound: 0
; FloatMode: 240
; IeeeMode: 1
; LDSByteSize: 0 bytes/workgroup (compile time only)
; SGPRBlocks: 6
; VGPRBlocks: 9
; NumSGPRsForWavesPerEU: 56
; NumVGPRsForWavesPerEU: 40
; Occupancy: 6
; WaveLimiterHint : 1
; COMPUTE_PGM_RSRC2:SCRATCH_EN: 0
; COMPUTE_PGM_RSRC2:USER_SGPR: 6
; COMPUTE_PGM_RSRC2:TRAP_HANDLER: 0
; COMPUTE_PGM_RSRC2:TGID_X_EN: 1
; COMPUTE_PGM_RSRC2:TGID_Y_EN: 0
; COMPUTE_PGM_RSRC2:TGID_Z_EN: 0
; COMPUTE_PGM_RSRC2:TIDIG_COMP_CNT: 0
	.text
	.p2align	2                               ; -- Begin function _ZN2at6native6invokeINS0_13BinaryFunctorIN3c1011Float8_e5m2ES4_bNS0_12_GLOBAL__N_116CompareEqFunctorIS4_EEEEi15function_traitsIS8_EEENT1_11result_typeERKT_PrKPcPKT0_PKNS3_10ScalarTypeEi
	.type	_ZN2at6native6invokeINS0_13BinaryFunctorIN3c1011Float8_e5m2ES4_bNS0_12_GLOBAL__N_116CompareEqFunctorIS4_EEEEi15function_traitsIS8_EEENT1_11result_typeERKT_PrKPcPKT0_PKNS3_10ScalarTypeEi,@function
_ZN2at6native6invokeINS0_13BinaryFunctorIN3c1011Float8_e5m2ES4_bNS0_12_GLOBAL__N_116CompareEqFunctorIS4_EEEEi15function_traitsIS8_EEENT1_11result_typeERKT_PrKPcPKT0_PKNS3_10ScalarTypeEi: ; @_ZN2at6native6invokeINS0_13BinaryFunctorIN3c1011Float8_e5m2ES4_bNS0_12_GLOBAL__N_116CompareEqFunctorIS4_EEEEi15function_traitsIS8_EEENT1_11result_typeERKT_PrKPcPKT0_PKNS3_10ScalarTypeEi
; %bb.0:
	s_waitcnt vmcnt(0) expcnt(0) lgkmcnt(0)
	flat_load_dword v10, v[3:4]
	flat_load_ubyte v11, v[5:6]
	flat_load_dwordx2 v[8:9], v[1:2]
	s_mov_b64 s[10:11], 0
	s_mov_b64 s[6:7], 0
	s_waitcnt vmcnt(0) lgkmcnt(0)
	v_mul_lo_u32 v10, v10, v7
	v_cmp_lt_i16_e32 vcc, 10, v11
	v_ashrrev_i32_e32 v12, 31, v10
	v_add_co_u32_e64 v8, s[4:5], v8, v10
	v_addc_co_u32_e64 v9, s[4:5], v9, v12, s[4:5]
                                        ; implicit-def: $vgpr10
	s_and_saveexec_b64 s[4:5], vcc
	s_xor_b64 s[4:5], exec, s[4:5]
	s_cbranch_execz .LBB231_95
; %bb.1:
	v_cmp_lt_i16_e32 vcc, 25, v11
	s_mov_b64 s[12:13], 0
                                        ; implicit-def: $vgpr10
	s_and_saveexec_b64 s[8:9], vcc
	s_xor_b64 s[8:9], exec, s[8:9]
	s_cbranch_execz .LBB231_457
; %bb.2:
	v_cmp_lt_i16_e32 vcc, 28, v11
	s_mov_b64 s[14:15], 0
	;; [unrolled: 7-line block ×3, first 2 shown]
	s_mov_b64 s[18:19], 0
                                        ; implicit-def: $vgpr10
	s_and_saveexec_b64 s[12:13], vcc
	s_xor_b64 s[12:13], exec, s[12:13]
	s_cbranch_execz .LBB231_29
; %bb.4:
	v_cmp_lt_i16_e32 vcc, 45, v11
                                        ; implicit-def: $vgpr10
	s_and_saveexec_b64 s[18:19], vcc
	s_xor_b64 s[18:19], exec, s[18:19]
	s_cbranch_execz .LBB231_16
; %bb.5:
	v_cmp_eq_u16_e32 vcc, 46, v11
	s_mov_b64 s[20:21], -1
                                        ; implicit-def: $vgpr10
	s_and_saveexec_b64 s[14:15], vcc
	s_cbranch_execz .LBB231_15
; %bb.6:
	flat_load_dword v10, v[8:9]
	s_mov_b32 s16, 0x47800000
                                        ; implicit-def: $vgpr11
	s_waitcnt vmcnt(0) lgkmcnt(0)
	v_lshlrev_b32_e32 v10, 16, v10
	v_and_b32_e32 v12, 0x7fffffff, v10
	v_cmp_gt_u32_e32 vcc, s16, v12
	s_and_saveexec_b64 s[16:17], vcc
	s_xor_b64 s[16:17], exec, s[16:17]
	s_cbranch_execz .LBB231_12
; %bb.7:
	s_mov_b32 s20, 0x387fffff
	v_cmp_lt_u32_e32 vcc, s20, v12
                                        ; implicit-def: $vgpr11
	s_and_saveexec_b64 s[20:21], vcc
	s_xor_b64 s[20:21], exec, s[20:21]
; %bb.8:
	v_bfe_u32 v11, v10, 21, 1
	s_mov_b32 s22, 0x80fffff
	v_add3_u32 v11, v10, v11, s22
	v_lshrrev_b32_e32 v11, 21, v11
; %bb.9:
	s_andn2_saveexec_b64 s[20:21], s[20:21]
; %bb.10:
	s_mov_b32 s22, 0x43000000
	v_add_f32_e64 v11, |v10|, s22
; %bb.11:
	s_or_b64 exec, exec, s[20:21]
                                        ; implicit-def: $vgpr12
.LBB231_12:
	s_andn2_saveexec_b64 s[16:17], s[16:17]
; %bb.13:
	s_mov_b32 s20, 0x7f800000
	v_mov_b32_e32 v11, 0x7c
	v_mov_b32_e32 v13, 0x7f
	v_cmp_lt_u32_e32 vcc, s20, v12
	v_cndmask_b32_e32 v11, v11, v13, vcc
; %bb.14:
	s_or_b64 exec, exec, s[16:17]
	v_lshrrev_b32_e32 v10, 24, v10
	s_movk_i32 s20, 0x80
	s_mov_b64 s[16:17], exec
	v_and_or_b32 v10, v10, s20, v11
	s_xor_b64 s[20:21], exec, -1
.LBB231_15:
	s_or_b64 exec, exec, s[14:15]
	s_and_b64 s[16:17], s[16:17], exec
	s_and_b64 s[14:15], s[20:21], exec
                                        ; implicit-def: $vgpr11
.LBB231_16:
	s_andn2_saveexec_b64 s[18:19], s[18:19]
	s_cbranch_execz .LBB231_28
; %bb.17:
	v_cmp_eq_u16_e32 vcc, 44, v11
	s_mov_b64 s[22:23], -1
	s_mov_b64 s[24:25], s[16:17]
                                        ; implicit-def: $vgpr10
	s_and_saveexec_b64 s[20:21], vcc
	s_cbranch_execz .LBB231_27
; %bb.18:
	flat_load_ubyte v10, v[8:9]
	s_movk_i32 s22, 0xff
	v_mov_b32_e32 v11, 0x7f800001
	v_mov_b32_e32 v12, 0x400000
	s_waitcnt vmcnt(0) lgkmcnt(0)
	v_lshlrev_b32_e32 v13, 23, v10
	v_cmp_ne_u32_e32 vcc, s22, v10
	v_cndmask_b32_e32 v11, v11, v13, vcc
	v_cmp_ne_u32_e32 vcc, 0, v10
	v_cndmask_b32_e32 v11, v12, v11, vcc
	s_mov_b32 s22, 0x47800000
	v_cmp_gt_u32_e32 vcc, s22, v11
                                        ; implicit-def: $vgpr10
	s_and_saveexec_b64 s[22:23], vcc
	s_xor_b64 s[22:23], exec, s[22:23]
	s_cbranch_execz .LBB231_24
; %bb.19:
	s_mov_b32 s24, 0x387fffff
	v_cmp_lt_u32_e32 vcc, s24, v11
                                        ; implicit-def: $vgpr10
	s_and_saveexec_b64 s[24:25], vcc
	s_xor_b64 s[24:25], exec, s[24:25]
; %bb.20:
	v_bfe_u32 v10, v11, 21, 1
	s_mov_b32 s26, 0x80fffff
	v_add3_u32 v10, v11, v10, s26
	v_lshrrev_b32_e32 v10, 21, v10
                                        ; implicit-def: $vgpr11
; %bb.21:
	s_andn2_saveexec_b64 s[24:25], s[24:25]
; %bb.22:
	v_add_f32_e32 v10, 0x43000000, v11
; %bb.23:
	s_or_b64 exec, exec, s[24:25]
                                        ; implicit-def: $vgpr11
.LBB231_24:
	s_andn2_saveexec_b64 s[22:23], s[22:23]
; %bb.25:
	s_mov_b32 s24, 0x7f800000
	v_mov_b32_e32 v10, 0x7c
	v_mov_b32_e32 v12, 0x7f
	v_cmp_lt_u32_e32 vcc, s24, v11
	v_cndmask_b32_e32 v10, v10, v12, vcc
; %bb.26:
	s_or_b64 exec, exec, s[22:23]
	s_or_b64 s[24:25], s[16:17], exec
	s_xor_b64 s[22:23], exec, -1
.LBB231_27:
	s_or_b64 exec, exec, s[20:21]
	s_andn2_b64 s[16:17], s[16:17], exec
	s_and_b64 s[20:21], s[24:25], exec
	s_or_b64 s[16:17], s[16:17], s[20:21]
	s_andn2_b64 s[14:15], s[14:15], exec
	s_and_b64 s[20:21], s[22:23], exec
	s_or_b64 s[14:15], s[14:15], s[20:21]
.LBB231_28:
	s_or_b64 exec, exec, s[18:19]
	s_and_b64 s[18:19], s[16:17], exec
	s_and_b64 s[16:17], s[14:15], exec
                                        ; implicit-def: $vgpr11
.LBB231_29:
	s_andn2_saveexec_b64 s[12:13], s[12:13]
	s_cbranch_execz .LBB231_41
; %bb.30:
	v_cmp_eq_u16_e32 vcc, 29, v11
	s_mov_b64 s[20:21], -1
	s_mov_b64 s[22:23], s[18:19]
                                        ; implicit-def: $vgpr10
	s_and_saveexec_b64 s[14:15], vcc
	s_cbranch_execz .LBB231_40
; %bb.31:
	flat_load_dwordx2 v[10:11], v[8:9]
	s_mov_b32 s20, 0x47800000
	s_waitcnt vmcnt(0) lgkmcnt(0)
	v_ffbh_u32_e32 v12, v11
	v_min_u32_e32 v12, 32, v12
	v_lshlrev_b64 v[10:11], v12, v[10:11]
	v_min_u32_e32 v10, 1, v10
	v_or_b32_e32 v10, v11, v10
	v_cvt_f32_u32_e32 v10, v10
	v_sub_u32_e32 v11, 32, v12
	v_ldexp_f32 v11, v10, v11
	v_cmp_gt_u32_e32 vcc, s20, v11
                                        ; implicit-def: $vgpr10
	s_and_saveexec_b64 s[20:21], vcc
	s_xor_b64 s[20:21], exec, s[20:21]
	s_cbranch_execz .LBB231_37
; %bb.32:
	s_mov_b32 s22, 0x387fffff
	v_cmp_lt_u32_e32 vcc, s22, v11
                                        ; implicit-def: $vgpr10
	s_and_saveexec_b64 s[22:23], vcc
	s_xor_b64 s[22:23], exec, s[22:23]
; %bb.33:
	v_bfe_u32 v10, v11, 21, 1
	s_mov_b32 s24, 0x80fffff
	v_add3_u32 v10, v11, v10, s24
	v_lshrrev_b32_e32 v10, 21, v10
                                        ; implicit-def: $vgpr11
; %bb.34:
	s_andn2_saveexec_b64 s[22:23], s[22:23]
; %bb.35:
	v_add_f32_e32 v10, 0x43000000, v11
; %bb.36:
	s_or_b64 exec, exec, s[22:23]
                                        ; implicit-def: $vgpr11
.LBB231_37:
	s_andn2_saveexec_b64 s[20:21], s[20:21]
; %bb.38:
	s_mov_b32 s22, 0x7f800000
	v_mov_b32_e32 v10, 0x7c
	v_mov_b32_e32 v12, 0x7f
	v_cmp_lt_u32_e32 vcc, s22, v11
	v_cndmask_b32_e32 v10, v10, v12, vcc
; %bb.39:
	s_or_b64 exec, exec, s[20:21]
	s_or_b64 s[22:23], s[18:19], exec
	s_xor_b64 s[20:21], exec, -1
.LBB231_40:
	s_or_b64 exec, exec, s[14:15]
	s_andn2_b64 s[14:15], s[18:19], exec
	s_and_b64 s[18:19], s[22:23], exec
	s_or_b64 s[18:19], s[14:15], s[18:19]
	s_andn2_b64 s[14:15], s[16:17], exec
	s_and_b64 s[16:17], s[20:21], exec
	s_or_b64 s[16:17], s[14:15], s[16:17]
.LBB231_41:
	s_or_b64 exec, exec, s[12:13]
	s_and_b64 s[14:15], s[18:19], exec
	s_and_b64 s[12:13], s[16:17], exec
                                        ; implicit-def: $vgpr11
.LBB231_42:
	s_andn2_saveexec_b64 s[10:11], s[10:11]
	s_cbranch_execz .LBB231_82
; %bb.43:
	v_cmp_lt_i16_e32 vcc, 26, v11
                                        ; implicit-def: $vgpr10
	s_and_saveexec_b64 s[16:17], vcc
	s_xor_b64 s[16:17], exec, s[16:17]
	s_cbranch_execz .LBB231_65
; %bb.44:
	v_cmp_lt_i16_e32 vcc, 27, v11
                                        ; implicit-def: $vgpr10
	s_and_saveexec_b64 s[18:19], vcc
	s_xor_b64 s[18:19], exec, s[18:19]
	s_cbranch_execz .LBB231_54
; %bb.45:
	flat_load_dword v10, v[8:9]
	s_mov_b32 s20, 0x47800000
	s_waitcnt vmcnt(0) lgkmcnt(0)
	v_cvt_f32_u32_e32 v11, v10
                                        ; implicit-def: $vgpr10
	v_cmp_gt_u32_e32 vcc, s20, v11
	s_and_saveexec_b64 s[20:21], vcc
	s_xor_b64 s[20:21], exec, s[20:21]
	s_cbranch_execz .LBB231_51
; %bb.46:
	s_mov_b32 s22, 0x387fffff
	v_cmp_lt_u32_e32 vcc, s22, v11
                                        ; implicit-def: $vgpr10
	s_and_saveexec_b64 s[22:23], vcc
	s_xor_b64 s[22:23], exec, s[22:23]
; %bb.47:
	v_bfe_u32 v10, v11, 21, 1
	s_mov_b32 s24, 0x80fffff
	v_add3_u32 v10, v11, v10, s24
	v_lshrrev_b32_e32 v10, 21, v10
                                        ; implicit-def: $vgpr11
; %bb.48:
	s_andn2_saveexec_b64 s[22:23], s[22:23]
; %bb.49:
	v_add_f32_e32 v10, 0x43000000, v11
; %bb.50:
	s_or_b64 exec, exec, s[22:23]
                                        ; implicit-def: $vgpr11
.LBB231_51:
	s_andn2_saveexec_b64 s[20:21], s[20:21]
; %bb.52:
	s_mov_b32 s22, 0x7f800000
	v_mov_b32_e32 v10, 0x7c
	v_mov_b32_e32 v12, 0x7f
	v_cmp_lt_u32_e32 vcc, s22, v11
	v_cndmask_b32_e32 v10, v10, v12, vcc
; %bb.53:
	s_or_b64 exec, exec, s[20:21]
.LBB231_54:
	s_andn2_saveexec_b64 s[18:19], s[18:19]
	s_cbranch_execz .LBB231_64
; %bb.55:
	flat_load_ushort v10, v[8:9]
	s_mov_b32 s20, 0x47800000
	s_waitcnt vmcnt(0) lgkmcnt(0)
	v_cvt_f32_u32_e32 v11, v10
                                        ; implicit-def: $vgpr10
	v_cmp_gt_u32_e32 vcc, s20, v11
	s_and_saveexec_b64 s[20:21], vcc
	s_xor_b64 s[20:21], exec, s[20:21]
	s_cbranch_execz .LBB231_61
; %bb.56:
	s_mov_b32 s22, 0x387fffff
	v_cmp_lt_u32_e32 vcc, s22, v11
                                        ; implicit-def: $vgpr10
	s_and_saveexec_b64 s[22:23], vcc
	s_xor_b64 s[22:23], exec, s[22:23]
; %bb.57:
	v_bfe_u32 v10, v11, 21, 1
	s_mov_b32 s24, 0x80fffff
	v_add3_u32 v10, v11, v10, s24
	v_lshrrev_b32_e32 v10, 21, v10
                                        ; implicit-def: $vgpr11
; %bb.58:
	s_andn2_saveexec_b64 s[22:23], s[22:23]
; %bb.59:
	v_add_f32_e32 v10, 0x43000000, v11
; %bb.60:
	s_or_b64 exec, exec, s[22:23]
                                        ; implicit-def: $vgpr11
.LBB231_61:
	s_andn2_saveexec_b64 s[20:21], s[20:21]
; %bb.62:
	s_mov_b32 s22, 0x7f800000
	v_mov_b32_e32 v10, 0x7c
	v_mov_b32_e32 v12, 0x7f
	v_cmp_lt_u32_e32 vcc, s22, v11
	v_cndmask_b32_e32 v10, v10, v12, vcc
; %bb.63:
	s_or_b64 exec, exec, s[20:21]
.LBB231_64:
	s_or_b64 exec, exec, s[18:19]
.LBB231_65:
	s_andn2_saveexec_b64 s[16:17], s[16:17]
	s_cbranch_execz .LBB231_81
; %bb.66:
	flat_load_ubyte v11, v[8:9]
	s_movk_i32 s18, 0x7f
	s_waitcnt vmcnt(0) lgkmcnt(0)
	v_cmp_lt_i16_e32 vcc, s18, v11
	s_mov_b64 s[18:19], 0
	s_and_saveexec_b64 s[20:21], vcc
	s_xor_b64 s[20:21], exec, s[20:21]
	s_cbranch_execz .LBB231_559
; %bb.67:
	s_movk_i32 s18, 0x80
	v_cmp_eq_u16_e32 vcc, s18, v11
	s_mov_b64 s[18:19], -1
	s_and_saveexec_b64 s[22:23], vcc
; %bb.68:
	s_xor_b64 s[18:19], exec, -1
; %bb.69:
	s_or_b64 exec, exec, s[22:23]
	s_and_b64 s[18:19], s[18:19], exec
	s_or_saveexec_b64 s[20:21], s[20:21]
	v_mov_b32_e32 v10, 0x7f800001
	s_xor_b64 exec, exec, s[20:21]
	s_cbranch_execnz .LBB231_560
.LBB231_70:
	s_or_b64 exec, exec, s[20:21]
	s_and_saveexec_b64 s[20:21], s[18:19]
	s_cbranch_execz .LBB231_72
.LBB231_71:
	v_lshlrev_b32_e32 v10, 24, v11
	v_and_b32_e32 v11, 0xffff, v11
	v_and_b32_e32 v12, 7, v11
	v_ffbh_u32_e32 v14, v12
	v_min_u32_e32 v14, 32, v14
	v_subrev_u32_e32 v15, 28, v14
	v_bfe_u32 v13, v11, 3, 4
	v_lshlrev_b32_e32 v11, v15, v11
	v_sub_u32_e32 v14, 29, v14
	v_and_b32_e32 v11, 7, v11
	v_cmp_eq_u32_e32 vcc, 0, v13
	v_cndmask_b32_e32 v13, v13, v14, vcc
	v_cndmask_b32_e32 v11, v12, v11, vcc
	v_mov_b32_e32 v12, 0x3b800000
	v_lshlrev_b32_e32 v11, 20, v11
	v_and_b32_e32 v10, 0x80000000, v10
	v_lshl_add_u32 v12, v13, 23, v12
	v_or3_b32 v10, v10, v12, v11
.LBB231_72:
	s_or_b64 exec, exec, s[20:21]
	v_and_b32_e32 v12, 0x7fffffff, v10
	s_mov_b32 s18, 0x47800000
	v_cmp_gt_u32_e32 vcc, s18, v12
                                        ; implicit-def: $vgpr11
	s_and_saveexec_b64 s[18:19], vcc
	s_xor_b64 s[18:19], exec, s[18:19]
	s_cbranch_execz .LBB231_78
; %bb.73:
	s_mov_b32 s20, 0x387fffff
	v_cmp_lt_u32_e32 vcc, s20, v12
                                        ; implicit-def: $vgpr11
	s_and_saveexec_b64 s[20:21], vcc
	s_xor_b64 s[20:21], exec, s[20:21]
; %bb.74:
	v_bfe_u32 v11, v10, 21, 1
	s_mov_b32 s22, 0x80fffff
	v_add3_u32 v11, v10, v11, s22
	v_lshrrev_b32_e32 v11, 21, v11
; %bb.75:
	s_andn2_saveexec_b64 s[20:21], s[20:21]
; %bb.76:
	s_mov_b32 s22, 0x43000000
	v_add_f32_e64 v11, |v10|, s22
; %bb.77:
	s_or_b64 exec, exec, s[20:21]
                                        ; implicit-def: $vgpr12
.LBB231_78:
	s_andn2_saveexec_b64 s[18:19], s[18:19]
; %bb.79:
	s_mov_b32 s20, 0x7f800000
	v_mov_b32_e32 v11, 0x7c
	v_mov_b32_e32 v13, 0x7f
	v_cmp_lt_u32_e32 vcc, s20, v12
	v_cndmask_b32_e32 v11, v11, v13, vcc
; %bb.80:
	s_or_b64 exec, exec, s[18:19]
	v_lshrrev_b32_e32 v10, 24, v10
	s_movk_i32 s18, 0x80
	v_and_or_b32 v10, v10, s18, v11
.LBB231_81:
	s_or_b64 exec, exec, s[16:17]
	s_or_b64 s[14:15], s[14:15], exec
.LBB231_82:
	s_or_b64 exec, exec, s[10:11]
	s_and_b64 s[10:11], s[14:15], exec
	s_and_b64 s[12:13], s[12:13], exec
                                        ; implicit-def: $vgpr11
	s_andn2_saveexec_b64 s[8:9], s[8:9]
	s_cbranch_execnz .LBB231_458
.LBB231_83:
	s_or_b64 exec, exec, s[8:9]
	s_mov_b64 s[8:9], 0
	s_and_saveexec_b64 s[14:15], s[12:13]
	s_cbranch_execnz .LBB231_507
.LBB231_84:
	s_or_b64 exec, exec, s[14:15]
	s_and_saveexec_b64 s[12:13], s[6:7]
	s_cbranch_execz .LBB231_94
.LBB231_85:
	flat_load_ubyte v8, v[8:9]
	s_mov_b32 s6, 0x47800000
                                        ; implicit-def: $vgpr10
	s_waitcnt vmcnt(0) lgkmcnt(0)
	v_cmp_ne_u16_e32 vcc, 0, v8
	v_cndmask_b32_e64 v8, 0, 1.0, vcc
	v_cmp_gt_u32_e32 vcc, s6, v8
	s_and_saveexec_b64 s[6:7], vcc
	s_xor_b64 s[6:7], exec, s[6:7]
	s_cbranch_execz .LBB231_91
; %bb.86:
	s_mov_b32 s14, 0x387fffff
	v_cmp_lt_u32_e32 vcc, s14, v8
                                        ; implicit-def: $vgpr10
	s_and_saveexec_b64 s[14:15], vcc
	s_xor_b64 s[14:15], exec, s[14:15]
; %bb.87:
	v_bfe_u32 v9, v8, 21, 1
	s_mov_b32 s16, 0x80fffff
	v_add3_u32 v8, v8, v9, s16
	v_lshrrev_b32_e32 v10, 21, v8
                                        ; implicit-def: $vgpr8
; %bb.88:
	s_andn2_saveexec_b64 s[14:15], s[14:15]
; %bb.89:
	v_add_f32_e32 v10, 0x43000000, v8
; %bb.90:
	s_or_b64 exec, exec, s[14:15]
                                        ; implicit-def: $vgpr8
.LBB231_91:
	s_andn2_saveexec_b64 s[6:7], s[6:7]
; %bb.92:
	s_mov_b32 s14, 0x7f800000
	v_mov_b32_e32 v9, 0x7c
	v_mov_b32_e32 v10, 0x7f
	v_cmp_lt_u32_e32 vcc, s14, v8
	v_cndmask_b32_e32 v10, v9, v10, vcc
; %bb.93:
	s_or_b64 exec, exec, s[6:7]
	s_or_b64 s[10:11], s[10:11], exec
.LBB231_94:
	s_or_b64 exec, exec, s[12:13]
	s_and_b64 s[6:7], s[8:9], exec
	s_and_b64 s[10:11], s[10:11], exec
                                        ; implicit-def: $vgpr11
                                        ; implicit-def: $vgpr8_vgpr9
.LBB231_95:
	s_andn2_saveexec_b64 s[4:5], s[4:5]
	s_cbranch_execz .LBB231_225
; %bb.96:
	v_cmp_lt_i16_e32 vcc, 4, v11
                                        ; implicit-def: $vgpr10
	s_and_saveexec_b64 s[8:9], vcc
	s_xor_b64 s[8:9], exec, s[8:9]
	s_cbranch_execz .LBB231_166
; %bb.97:
	v_cmp_lt_i16_e32 vcc, 7, v11
                                        ; implicit-def: $vgpr10
	s_and_saveexec_b64 s[12:13], vcc
	s_xor_b64 s[12:13], exec, s[12:13]
	;; [unrolled: 6-line block ×4, first 2 shown]
	s_cbranch_execz .LBB231_109
; %bb.100:
	flat_load_dwordx2 v[8:9], v[8:9]
	s_mov_b32 s18, 0x47800000
	s_waitcnt vmcnt(0) lgkmcnt(0)
	v_cvt_f32_f64_e32 v8, v[8:9]
                                        ; implicit-def: $vgpr9
	v_and_b32_e32 v10, 0x7fffffff, v8
	v_cmp_gt_u32_e32 vcc, s18, v10
	s_and_saveexec_b64 s[18:19], vcc
	s_xor_b64 s[18:19], exec, s[18:19]
	s_cbranch_execz .LBB231_106
; %bb.101:
	s_mov_b32 s20, 0x387fffff
	v_cmp_lt_u32_e32 vcc, s20, v10
                                        ; implicit-def: $vgpr9
	s_and_saveexec_b64 s[20:21], vcc
	s_xor_b64 s[20:21], exec, s[20:21]
; %bb.102:
	v_bfe_u32 v9, v8, 21, 1
	s_mov_b32 s22, 0x80fffff
	v_add3_u32 v9, v8, v9, s22
	v_lshrrev_b32_e32 v9, 21, v9
; %bb.103:
	s_andn2_saveexec_b64 s[20:21], s[20:21]
; %bb.104:
	s_mov_b32 s22, 0x43000000
	v_add_f32_e64 v9, |v8|, s22
; %bb.105:
	s_or_b64 exec, exec, s[20:21]
                                        ; implicit-def: $vgpr10
.LBB231_106:
	s_andn2_saveexec_b64 s[18:19], s[18:19]
; %bb.107:
	s_mov_b32 s20, 0x7f800000
	v_mov_b32_e32 v9, 0x7c
	v_mov_b32_e32 v11, 0x7f
	v_cmp_lt_u32_e32 vcc, s20, v10
	v_cndmask_b32_e32 v9, v9, v11, vcc
; %bb.108:
	s_or_b64 exec, exec, s[18:19]
	v_lshrrev_b32_e32 v8, 24, v8
	s_movk_i32 s18, 0x80
	v_and_or_b32 v10, v8, s18, v9
                                        ; implicit-def: $vgpr8_vgpr9
.LBB231_109:
	s_andn2_saveexec_b64 s[16:17], s[16:17]
	s_cbranch_execz .LBB231_119
; %bb.110:
	flat_load_dword v8, v[8:9]
	s_mov_b32 s18, 0x47800000
                                        ; implicit-def: $vgpr9
	s_waitcnt vmcnt(0) lgkmcnt(0)
	v_and_b32_e32 v10, 0x7fffffff, v8
	v_cmp_gt_u32_e32 vcc, s18, v10
	s_and_saveexec_b64 s[18:19], vcc
	s_xor_b64 s[18:19], exec, s[18:19]
	s_cbranch_execz .LBB231_116
; %bb.111:
	s_mov_b32 s20, 0x387fffff
	v_cmp_lt_u32_e32 vcc, s20, v10
                                        ; implicit-def: $vgpr9
	s_and_saveexec_b64 s[20:21], vcc
	s_xor_b64 s[20:21], exec, s[20:21]
; %bb.112:
	v_bfe_u32 v9, v8, 21, 1
	s_mov_b32 s22, 0x80fffff
	v_add3_u32 v9, v8, v9, s22
	v_lshrrev_b32_e32 v9, 21, v9
; %bb.113:
	s_andn2_saveexec_b64 s[20:21], s[20:21]
; %bb.114:
	s_mov_b32 s22, 0x43000000
	v_add_f32_e64 v9, |v8|, s22
; %bb.115:
	s_or_b64 exec, exec, s[20:21]
                                        ; implicit-def: $vgpr10
.LBB231_116:
	s_andn2_saveexec_b64 s[18:19], s[18:19]
; %bb.117:
	s_mov_b32 s20, 0x7f800000
	v_mov_b32_e32 v9, 0x7c
	v_mov_b32_e32 v11, 0x7f
	v_cmp_lt_u32_e32 vcc, s20, v10
	v_cndmask_b32_e32 v9, v9, v11, vcc
; %bb.118:
	s_or_b64 exec, exec, s[18:19]
	v_lshrrev_b32_e32 v8, 24, v8
	s_movk_i32 s18, 0x80
	v_and_or_b32 v10, v8, s18, v9
.LBB231_119:
	s_or_b64 exec, exec, s[16:17]
                                        ; implicit-def: $vgpr8_vgpr9
.LBB231_120:
	s_andn2_saveexec_b64 s[14:15], s[14:15]
	s_cbranch_execz .LBB231_130
; %bb.121:
	flat_load_dword v8, v[8:9]
	s_mov_b32 s16, 0x47800000
                                        ; implicit-def: $vgpr9
	s_waitcnt vmcnt(0) lgkmcnt(0)
	v_cvt_f32_f16_e32 v8, v8
	v_and_b32_e32 v10, 0x7fffffff, v8
	v_cmp_gt_u32_e32 vcc, s16, v10
	s_and_saveexec_b64 s[16:17], vcc
	s_xor_b64 s[16:17], exec, s[16:17]
	s_cbranch_execz .LBB231_127
; %bb.122:
	s_mov_b32 s18, 0x387fffff
	v_cmp_lt_u32_e32 vcc, s18, v10
                                        ; implicit-def: $vgpr9
	s_and_saveexec_b64 s[18:19], vcc
	s_xor_b64 s[18:19], exec, s[18:19]
; %bb.123:
	v_bfe_u32 v9, v8, 21, 1
	s_mov_b32 s20, 0x80fffff
	v_add3_u32 v9, v8, v9, s20
	v_lshrrev_b32_e32 v9, 21, v9
; %bb.124:
	s_andn2_saveexec_b64 s[18:19], s[18:19]
; %bb.125:
	s_mov_b32 s20, 0x43000000
	v_add_f32_e64 v9, |v8|, s20
; %bb.126:
	s_or_b64 exec, exec, s[18:19]
                                        ; implicit-def: $vgpr10
.LBB231_127:
	s_andn2_saveexec_b64 s[16:17], s[16:17]
; %bb.128:
	s_mov_b32 s18, 0x7f800000
	v_mov_b32_e32 v9, 0x7c
	v_mov_b32_e32 v11, 0x7f
	v_cmp_lt_u32_e32 vcc, s18, v10
	v_cndmask_b32_e32 v9, v9, v11, vcc
; %bb.129:
	s_or_b64 exec, exec, s[16:17]
	v_lshrrev_b32_e32 v8, 24, v8
	s_movk_i32 s16, 0x80
	v_and_or_b32 v10, v8, s16, v9
.LBB231_130:
	s_or_b64 exec, exec, s[14:15]
                                        ; implicit-def: $vgpr11
                                        ; implicit-def: $vgpr8_vgpr9
.LBB231_131:
	s_andn2_saveexec_b64 s[12:13], s[12:13]
	s_cbranch_execz .LBB231_165
; %bb.132:
	v_cmp_lt_i16_e32 vcc, 5, v11
                                        ; implicit-def: $vgpr10
	s_and_saveexec_b64 s[14:15], vcc
	s_xor_b64 s[14:15], exec, s[14:15]
	s_cbranch_execz .LBB231_154
; %bb.133:
	v_cmp_lt_i16_e32 vcc, 6, v11
                                        ; implicit-def: $vgpr10
	s_and_saveexec_b64 s[16:17], vcc
	s_xor_b64 s[16:17], exec, s[16:17]
	s_cbranch_execz .LBB231_143
; %bb.134:
	flat_load_dwordx2 v[8:9], v[8:9]
	s_mov_b32 s18, 0x47800000
	s_waitcnt vmcnt(0) lgkmcnt(0)
	v_cvt_f32_f64_e32 v8, v[8:9]
                                        ; implicit-def: $vgpr9
	v_and_b32_e32 v10, 0x7fffffff, v8
	v_cmp_gt_u32_e32 vcc, s18, v10
	s_and_saveexec_b64 s[18:19], vcc
	s_xor_b64 s[18:19], exec, s[18:19]
	s_cbranch_execz .LBB231_140
; %bb.135:
	s_mov_b32 s20, 0x387fffff
	v_cmp_lt_u32_e32 vcc, s20, v10
                                        ; implicit-def: $vgpr9
	s_and_saveexec_b64 s[20:21], vcc
	s_xor_b64 s[20:21], exec, s[20:21]
; %bb.136:
	v_bfe_u32 v9, v8, 21, 1
	s_mov_b32 s22, 0x80fffff
	v_add3_u32 v9, v8, v9, s22
	v_lshrrev_b32_e32 v9, 21, v9
; %bb.137:
	s_andn2_saveexec_b64 s[20:21], s[20:21]
; %bb.138:
	s_mov_b32 s22, 0x43000000
	v_add_f32_e64 v9, |v8|, s22
; %bb.139:
	s_or_b64 exec, exec, s[20:21]
                                        ; implicit-def: $vgpr10
.LBB231_140:
	s_andn2_saveexec_b64 s[18:19], s[18:19]
; %bb.141:
	s_mov_b32 s20, 0x7f800000
	v_mov_b32_e32 v9, 0x7c
	v_mov_b32_e32 v11, 0x7f
	v_cmp_lt_u32_e32 vcc, s20, v10
	v_cndmask_b32_e32 v9, v9, v11, vcc
; %bb.142:
	s_or_b64 exec, exec, s[18:19]
	v_lshrrev_b32_e32 v8, 24, v8
	s_movk_i32 s18, 0x80
	v_and_or_b32 v10, v8, s18, v9
                                        ; implicit-def: $vgpr8_vgpr9
.LBB231_143:
	s_andn2_saveexec_b64 s[16:17], s[16:17]
	s_cbranch_execz .LBB231_153
; %bb.144:
	flat_load_dword v8, v[8:9]
	s_mov_b32 s18, 0x47800000
                                        ; implicit-def: $vgpr9
	s_waitcnt vmcnt(0) lgkmcnt(0)
	v_and_b32_e32 v10, 0x7fffffff, v8
	v_cmp_gt_u32_e32 vcc, s18, v10
	s_and_saveexec_b64 s[18:19], vcc
	s_xor_b64 s[18:19], exec, s[18:19]
	s_cbranch_execz .LBB231_150
; %bb.145:
	s_mov_b32 s20, 0x387fffff
	v_cmp_lt_u32_e32 vcc, s20, v10
                                        ; implicit-def: $vgpr9
	s_and_saveexec_b64 s[20:21], vcc
	s_xor_b64 s[20:21], exec, s[20:21]
; %bb.146:
	v_bfe_u32 v9, v8, 21, 1
	s_mov_b32 s22, 0x80fffff
	v_add3_u32 v9, v8, v9, s22
	v_lshrrev_b32_e32 v9, 21, v9
; %bb.147:
	s_andn2_saveexec_b64 s[20:21], s[20:21]
; %bb.148:
	s_mov_b32 s22, 0x43000000
	v_add_f32_e64 v9, |v8|, s22
; %bb.149:
	s_or_b64 exec, exec, s[20:21]
                                        ; implicit-def: $vgpr10
.LBB231_150:
	s_andn2_saveexec_b64 s[18:19], s[18:19]
; %bb.151:
	s_mov_b32 s20, 0x7f800000
	v_mov_b32_e32 v9, 0x7c
	v_mov_b32_e32 v11, 0x7f
	v_cmp_lt_u32_e32 vcc, s20, v10
	v_cndmask_b32_e32 v9, v9, v11, vcc
; %bb.152:
	s_or_b64 exec, exec, s[18:19]
	v_lshrrev_b32_e32 v8, 24, v8
	s_movk_i32 s18, 0x80
	v_and_or_b32 v10, v8, s18, v9
.LBB231_153:
	s_or_b64 exec, exec, s[16:17]
                                        ; implicit-def: $vgpr8_vgpr9
.LBB231_154:
	s_andn2_saveexec_b64 s[14:15], s[14:15]
	s_cbranch_execz .LBB231_164
; %bb.155:
	flat_load_ushort v8, v[8:9]
	s_mov_b32 s16, 0x47800000
                                        ; implicit-def: $vgpr9
	s_waitcnt vmcnt(0) lgkmcnt(0)
	v_cvt_f32_f16_e32 v8, v8
	v_and_b32_e32 v10, 0x7fffffff, v8
	v_cmp_gt_u32_e32 vcc, s16, v10
	s_and_saveexec_b64 s[16:17], vcc
	s_xor_b64 s[16:17], exec, s[16:17]
	s_cbranch_execz .LBB231_161
; %bb.156:
	s_mov_b32 s18, 0x387fffff
	v_cmp_lt_u32_e32 vcc, s18, v10
                                        ; implicit-def: $vgpr9
	s_and_saveexec_b64 s[18:19], vcc
	s_xor_b64 s[18:19], exec, s[18:19]
; %bb.157:
	v_bfe_u32 v9, v8, 21, 1
	s_mov_b32 s20, 0x80fffff
	v_add3_u32 v9, v8, v9, s20
	v_lshrrev_b32_e32 v9, 21, v9
; %bb.158:
	s_andn2_saveexec_b64 s[18:19], s[18:19]
; %bb.159:
	s_mov_b32 s20, 0x43000000
	v_add_f32_e64 v9, |v8|, s20
; %bb.160:
	s_or_b64 exec, exec, s[18:19]
                                        ; implicit-def: $vgpr10
.LBB231_161:
	s_andn2_saveexec_b64 s[16:17], s[16:17]
; %bb.162:
	s_mov_b32 s18, 0x7f800000
	v_mov_b32_e32 v9, 0x7c
	v_mov_b32_e32 v11, 0x7f
	v_cmp_lt_u32_e32 vcc, s18, v10
	v_cndmask_b32_e32 v9, v9, v11, vcc
; %bb.163:
	s_or_b64 exec, exec, s[16:17]
	v_lshrrev_b32_e32 v8, 24, v8
	s_movk_i32 s16, 0x80
	v_and_or_b32 v10, v8, s16, v9
.LBB231_164:
	s_or_b64 exec, exec, s[14:15]
.LBB231_165:
	s_or_b64 exec, exec, s[12:13]
                                        ; implicit-def: $vgpr11
                                        ; implicit-def: $vgpr8_vgpr9
.LBB231_166:
	s_andn2_saveexec_b64 s[8:9], s[8:9]
	s_cbranch_execz .LBB231_224
; %bb.167:
	v_cmp_lt_i16_e32 vcc, 1, v11
                                        ; implicit-def: $vgpr10
	s_and_saveexec_b64 s[12:13], vcc
	s_xor_b64 s[12:13], exec, s[12:13]
	s_cbranch_execz .LBB231_201
; %bb.168:
	v_cmp_lt_i16_e32 vcc, 2, v11
                                        ; implicit-def: $vgpr10
	s_and_saveexec_b64 s[14:15], vcc
	s_xor_b64 s[14:15], exec, s[14:15]
	;; [unrolled: 6-line block ×3, first 2 shown]
	s_cbranch_execz .LBB231_179
; %bb.170:
	flat_load_dwordx2 v[8:9], v[8:9]
	s_mov_b32 s18, 0x47800000
	s_waitcnt vmcnt(0) lgkmcnt(0)
	v_xor_b32_e32 v11, v8, v9
	v_ffbh_i32_e32 v10, v9
	v_ashrrev_i32_e32 v11, 31, v11
	v_add_u32_e32 v10, -1, v10
	v_add_u32_e32 v11, 32, v11
	v_min_u32_e32 v10, v10, v11
	v_lshlrev_b64 v[8:9], v10, v[8:9]
	v_min_u32_e32 v8, 1, v8
	v_or_b32_e32 v8, v9, v8
	v_cvt_f32_i32_e32 v8, v8
	v_sub_u32_e32 v9, 32, v10
	v_ldexp_f32 v8, v8, v9
	v_and_b32_e32 v10, 0x7fffffff, v8
	v_cmp_gt_u32_e32 vcc, s18, v10
                                        ; implicit-def: $vgpr9
	s_and_saveexec_b64 s[18:19], vcc
	s_xor_b64 s[18:19], exec, s[18:19]
	s_cbranch_execz .LBB231_176
; %bb.171:
	s_mov_b32 s20, 0x387fffff
	v_cmp_lt_u32_e32 vcc, s20, v10
                                        ; implicit-def: $vgpr9
	s_and_saveexec_b64 s[20:21], vcc
	s_xor_b64 s[20:21], exec, s[20:21]
; %bb.172:
	v_bfe_u32 v9, v8, 21, 1
	s_mov_b32 s22, 0x80fffff
	v_add3_u32 v9, v8, v9, s22
	v_lshrrev_b32_e32 v9, 21, v9
; %bb.173:
	s_andn2_saveexec_b64 s[20:21], s[20:21]
; %bb.174:
	s_mov_b32 s22, 0x43000000
	v_add_f32_e64 v9, |v8|, s22
; %bb.175:
	s_or_b64 exec, exec, s[20:21]
                                        ; implicit-def: $vgpr10
.LBB231_176:
	s_andn2_saveexec_b64 s[18:19], s[18:19]
; %bb.177:
	s_mov_b32 s20, 0x7f800000
	v_mov_b32_e32 v9, 0x7c
	v_mov_b32_e32 v11, 0x7f
	v_cmp_lt_u32_e32 vcc, s20, v10
	v_cndmask_b32_e32 v9, v9, v11, vcc
; %bb.178:
	s_or_b64 exec, exec, s[18:19]
	v_lshrrev_b32_e32 v8, 24, v8
	s_movk_i32 s18, 0x80
	v_and_or_b32 v10, v8, s18, v9
                                        ; implicit-def: $vgpr8_vgpr9
.LBB231_179:
	s_andn2_saveexec_b64 s[16:17], s[16:17]
	s_cbranch_execz .LBB231_189
; %bb.180:
	flat_load_dword v8, v[8:9]
	s_mov_b32 s18, 0x47800000
                                        ; implicit-def: $vgpr9
	s_waitcnt vmcnt(0) lgkmcnt(0)
	v_cvt_f32_i32_e32 v8, v8
	v_and_b32_e32 v10, 0x7fffffff, v8
	v_cmp_gt_u32_e32 vcc, s18, v10
	s_and_saveexec_b64 s[18:19], vcc
	s_xor_b64 s[18:19], exec, s[18:19]
	s_cbranch_execz .LBB231_186
; %bb.181:
	s_mov_b32 s20, 0x387fffff
	v_cmp_lt_u32_e32 vcc, s20, v10
                                        ; implicit-def: $vgpr9
	s_and_saveexec_b64 s[20:21], vcc
	s_xor_b64 s[20:21], exec, s[20:21]
; %bb.182:
	v_bfe_u32 v9, v8, 21, 1
	s_mov_b32 s22, 0x80fffff
	v_add3_u32 v9, v8, v9, s22
	v_lshrrev_b32_e32 v9, 21, v9
; %bb.183:
	s_andn2_saveexec_b64 s[20:21], s[20:21]
; %bb.184:
	s_mov_b32 s22, 0x43000000
	v_add_f32_e64 v9, |v8|, s22
; %bb.185:
	s_or_b64 exec, exec, s[20:21]
                                        ; implicit-def: $vgpr10
.LBB231_186:
	s_andn2_saveexec_b64 s[18:19], s[18:19]
; %bb.187:
	s_mov_b32 s20, 0x7f800000
	v_mov_b32_e32 v9, 0x7c
	v_mov_b32_e32 v11, 0x7f
	v_cmp_lt_u32_e32 vcc, s20, v10
	v_cndmask_b32_e32 v9, v9, v11, vcc
; %bb.188:
	s_or_b64 exec, exec, s[18:19]
	v_lshrrev_b32_e32 v8, 24, v8
	s_movk_i32 s18, 0x80
	v_and_or_b32 v10, v8, s18, v9
.LBB231_189:
	s_or_b64 exec, exec, s[16:17]
                                        ; implicit-def: $vgpr8_vgpr9
.LBB231_190:
	s_andn2_saveexec_b64 s[14:15], s[14:15]
	s_cbranch_execz .LBB231_200
; %bb.191:
	flat_load_sshort v8, v[8:9]
	s_mov_b32 s16, 0x47800000
                                        ; implicit-def: $vgpr9
	s_waitcnt vmcnt(0) lgkmcnt(0)
	v_cvt_f32_i32_e32 v8, v8
	v_and_b32_e32 v10, 0x7fffffff, v8
	v_cmp_gt_u32_e32 vcc, s16, v10
	s_and_saveexec_b64 s[16:17], vcc
	s_xor_b64 s[16:17], exec, s[16:17]
	s_cbranch_execz .LBB231_197
; %bb.192:
	s_mov_b32 s18, 0x387fffff
	v_cmp_lt_u32_e32 vcc, s18, v10
                                        ; implicit-def: $vgpr9
	s_and_saveexec_b64 s[18:19], vcc
	s_xor_b64 s[18:19], exec, s[18:19]
; %bb.193:
	v_bfe_u32 v9, v8, 21, 1
	s_mov_b32 s20, 0x80fffff
	v_add3_u32 v9, v8, v9, s20
	v_lshrrev_b32_e32 v9, 21, v9
; %bb.194:
	s_andn2_saveexec_b64 s[18:19], s[18:19]
; %bb.195:
	s_mov_b32 s20, 0x43000000
	v_add_f32_e64 v9, |v8|, s20
; %bb.196:
	s_or_b64 exec, exec, s[18:19]
                                        ; implicit-def: $vgpr10
.LBB231_197:
	s_andn2_saveexec_b64 s[16:17], s[16:17]
; %bb.198:
	s_mov_b32 s18, 0x7f800000
	v_mov_b32_e32 v9, 0x7c
	v_mov_b32_e32 v11, 0x7f
	v_cmp_lt_u32_e32 vcc, s18, v10
	v_cndmask_b32_e32 v9, v9, v11, vcc
; %bb.199:
	s_or_b64 exec, exec, s[16:17]
	v_lshrrev_b32_e32 v8, 24, v8
	s_movk_i32 s16, 0x80
	v_and_or_b32 v10, v8, s16, v9
.LBB231_200:
	s_or_b64 exec, exec, s[14:15]
                                        ; implicit-def: $vgpr11
                                        ; implicit-def: $vgpr8_vgpr9
.LBB231_201:
	s_andn2_saveexec_b64 s[12:13], s[12:13]
	s_cbranch_execz .LBB231_223
; %bb.202:
	v_cmp_lt_i16_e32 vcc, 0, v11
                                        ; implicit-def: $vgpr10
	s_and_saveexec_b64 s[14:15], vcc
	s_xor_b64 s[14:15], exec, s[14:15]
	s_cbranch_execz .LBB231_212
; %bb.203:
	flat_load_sbyte v8, v[8:9]
	s_mov_b32 s16, 0x47800000
                                        ; implicit-def: $vgpr9
	s_waitcnt vmcnt(0) lgkmcnt(0)
	v_cvt_f32_i32_e32 v8, v8
	v_and_b32_e32 v10, 0x7fffffff, v8
	v_cmp_gt_u32_e32 vcc, s16, v10
	s_and_saveexec_b64 s[16:17], vcc
	s_xor_b64 s[16:17], exec, s[16:17]
	s_cbranch_execz .LBB231_209
; %bb.204:
	s_mov_b32 s18, 0x387fffff
	v_cmp_lt_u32_e32 vcc, s18, v10
                                        ; implicit-def: $vgpr9
	s_and_saveexec_b64 s[18:19], vcc
	s_xor_b64 s[18:19], exec, s[18:19]
; %bb.205:
	v_bfe_u32 v9, v8, 21, 1
	s_mov_b32 s20, 0x80fffff
	v_add3_u32 v9, v8, v9, s20
	v_lshrrev_b32_e32 v9, 21, v9
; %bb.206:
	s_andn2_saveexec_b64 s[18:19], s[18:19]
; %bb.207:
	s_mov_b32 s20, 0x43000000
	v_add_f32_e64 v9, |v8|, s20
; %bb.208:
	s_or_b64 exec, exec, s[18:19]
                                        ; implicit-def: $vgpr10
.LBB231_209:
	s_andn2_saveexec_b64 s[16:17], s[16:17]
; %bb.210:
	s_mov_b32 s18, 0x7f800000
	v_mov_b32_e32 v9, 0x7c
	v_mov_b32_e32 v11, 0x7f
	v_cmp_lt_u32_e32 vcc, s18, v10
	v_cndmask_b32_e32 v9, v9, v11, vcc
; %bb.211:
	s_or_b64 exec, exec, s[16:17]
	v_lshrrev_b32_e32 v8, 24, v8
	s_movk_i32 s16, 0x80
	v_and_or_b32 v10, v8, s16, v9
                                        ; implicit-def: $vgpr8_vgpr9
.LBB231_212:
	s_andn2_saveexec_b64 s[14:15], s[14:15]
	s_cbranch_execz .LBB231_222
; %bb.213:
	flat_load_ubyte v8, v[8:9]
	s_mov_b32 s16, 0x47800000
                                        ; implicit-def: $vgpr10
	s_waitcnt vmcnt(0) lgkmcnt(0)
	v_cvt_f32_ubyte0_e32 v8, v8
	v_cmp_gt_u32_e32 vcc, s16, v8
	s_and_saveexec_b64 s[16:17], vcc
	s_xor_b64 s[16:17], exec, s[16:17]
	s_cbranch_execz .LBB231_219
; %bb.214:
	s_mov_b32 s18, 0x387fffff
	v_cmp_lt_u32_e32 vcc, s18, v8
                                        ; implicit-def: $vgpr10
	s_and_saveexec_b64 s[18:19], vcc
	s_xor_b64 s[18:19], exec, s[18:19]
; %bb.215:
	v_bfe_u32 v9, v8, 21, 1
	s_mov_b32 s20, 0x80fffff
	v_add3_u32 v8, v8, v9, s20
	v_lshrrev_b32_e32 v10, 21, v8
                                        ; implicit-def: $vgpr8
; %bb.216:
	s_andn2_saveexec_b64 s[18:19], s[18:19]
; %bb.217:
	v_add_f32_e32 v10, 0x43000000, v8
; %bb.218:
	s_or_b64 exec, exec, s[18:19]
                                        ; implicit-def: $vgpr8
.LBB231_219:
	s_andn2_saveexec_b64 s[16:17], s[16:17]
; %bb.220:
	s_mov_b32 s18, 0x7f800000
	v_mov_b32_e32 v9, 0x7c
	v_mov_b32_e32 v10, 0x7f
	v_cmp_lt_u32_e32 vcc, s18, v8
	v_cndmask_b32_e32 v10, v9, v10, vcc
; %bb.221:
	s_or_b64 exec, exec, s[16:17]
.LBB231_222:
	s_or_b64 exec, exec, s[14:15]
.LBB231_223:
	s_or_b64 exec, exec, s[12:13]
.LBB231_224:
	s_or_b64 exec, exec, s[8:9]
	s_or_b64 s[10:11], s[10:11], exec
.LBB231_225:
	s_or_b64 exec, exec, s[4:5]
	s_mov_b64 s[14:15], 0
	s_mov_b64 s[12:13], 0
	s_mov_b64 s[4:5], 0
                                        ; implicit-def: $vgpr11
                                        ; implicit-def: $vgpr8_vgpr9
                                        ; implicit-def: $vgpr12
	s_and_saveexec_b64 s[8:9], s[10:11]
	s_cbranch_execz .LBB231_324
; %bb.226:
	flat_load_dword v12, v[3:4] offset:4
	flat_load_ubyte v11, v[5:6] offset:1
	flat_load_dwordx2 v[8:9], v[1:2] offset:8
	s_mov_b64 s[12:13], -1
	s_mov_b64 s[10:11], 0
	s_mov_b64 s[16:17], s[6:7]
	s_waitcnt vmcnt(0) lgkmcnt(0)
	v_mul_lo_u32 v1, v12, v7
	v_cmp_lt_i16_e32 vcc, 10, v11
                                        ; implicit-def: $vgpr12
	v_ashrrev_i32_e32 v2, 31, v1
	v_add_co_u32_e64 v8, s[4:5], v8, v1
	v_addc_co_u32_e64 v9, s[4:5], v9, v2, s[4:5]
	s_and_saveexec_b64 s[4:5], vcc
	s_cbranch_execz .LBB231_311
; %bb.227:
	v_cmp_lt_i16_e32 vcc, 25, v11
	s_mov_b64 s[16:17], 0
                                        ; implicit-def: $vgpr12
	s_and_saveexec_b64 s[12:13], vcc
	s_xor_b64 s[12:13], exec, s[12:13]
	s_cbranch_execz .LBB231_508
; %bb.228:
	v_cmp_lt_i16_e32 vcc, 28, v11
	s_mov_b64 s[18:19], 0
                                        ; implicit-def: $vgpr12
	s_and_saveexec_b64 s[14:15], vcc
	s_xor_b64 s[14:15], exec, s[14:15]
	s_cbranch_execz .LBB231_268
; %bb.229:
	v_cmp_lt_i16_e32 vcc, 43, v11
	s_mov_b64 s[20:21], 0
	s_mov_b64 s[22:23], 0
                                        ; implicit-def: $vgpr12
	s_and_saveexec_b64 s[16:17], vcc
	s_xor_b64 s[16:17], exec, s[16:17]
	s_cbranch_execz .LBB231_255
; %bb.230:
	v_cmp_lt_i16_e32 vcc, 45, v11
                                        ; implicit-def: $vgpr12
	s_and_saveexec_b64 s[22:23], vcc
	s_xor_b64 s[22:23], exec, s[22:23]
	s_cbranch_execz .LBB231_242
; %bb.231:
	v_cmp_eq_u16_e32 vcc, 46, v11
	s_mov_b64 s[24:25], -1
                                        ; implicit-def: $vgpr12
	s_and_saveexec_b64 s[18:19], vcc
	s_cbranch_execz .LBB231_241
; %bb.232:
	flat_load_dword v1, v[8:9]
	s_mov_b32 s20, 0x47800000
                                        ; implicit-def: $vgpr2
	s_waitcnt vmcnt(0) lgkmcnt(0)
	v_lshlrev_b32_e32 v1, 16, v1
	v_and_b32_e32 v3, 0x7fffffff, v1
	v_cmp_gt_u32_e32 vcc, s20, v3
	s_and_saveexec_b64 s[20:21], vcc
	s_xor_b64 s[20:21], exec, s[20:21]
	s_cbranch_execz .LBB231_238
; %bb.233:
	s_mov_b32 s24, 0x387fffff
	v_cmp_lt_u32_e32 vcc, s24, v3
                                        ; implicit-def: $vgpr2
	s_and_saveexec_b64 s[24:25], vcc
	s_xor_b64 s[24:25], exec, s[24:25]
; %bb.234:
	v_bfe_u32 v2, v1, 21, 1
	s_mov_b32 s26, 0x80fffff
	v_add3_u32 v2, v1, v2, s26
	v_lshrrev_b32_e32 v2, 21, v2
; %bb.235:
	s_andn2_saveexec_b64 s[24:25], s[24:25]
; %bb.236:
	s_mov_b32 s26, 0x43000000
	v_add_f32_e64 v2, |v1|, s26
; %bb.237:
	s_or_b64 exec, exec, s[24:25]
                                        ; implicit-def: $vgpr3
.LBB231_238:
	s_andn2_saveexec_b64 s[20:21], s[20:21]
; %bb.239:
	s_mov_b32 s24, 0x7f800000
	v_mov_b32_e32 v2, 0x7c
	v_mov_b32_e32 v4, 0x7f
	v_cmp_lt_u32_e32 vcc, s24, v3
	v_cndmask_b32_e32 v2, v2, v4, vcc
; %bb.240:
	s_or_b64 exec, exec, s[20:21]
	v_lshrrev_b32_e32 v1, 24, v1
	s_movk_i32 s24, 0x80
	s_mov_b64 s[20:21], exec
	v_and_or_b32 v12, v1, s24, v2
	s_xor_b64 s[24:25], exec, -1
.LBB231_241:
	s_or_b64 exec, exec, s[18:19]
	s_and_b64 s[20:21], s[20:21], exec
	s_and_b64 s[18:19], s[24:25], exec
.LBB231_242:
	s_andn2_saveexec_b64 s[22:23], s[22:23]
	s_cbranch_execz .LBB231_254
; %bb.243:
	v_cmp_eq_u16_e32 vcc, 44, v11
	s_mov_b64 s[26:27], -1
	s_mov_b64 s[28:29], s[20:21]
                                        ; implicit-def: $vgpr12
	s_and_saveexec_b64 s[24:25], vcc
	s_cbranch_execz .LBB231_253
; %bb.244:
	flat_load_ubyte v1, v[8:9]
	s_movk_i32 s26, 0xff
	v_mov_b32_e32 v2, 0x7f800001
	v_mov_b32_e32 v3, 0x400000
                                        ; implicit-def: $vgpr12
	s_waitcnt vmcnt(0) lgkmcnt(0)
	v_lshlrev_b32_e32 v4, 23, v1
	v_cmp_ne_u32_e32 vcc, s26, v1
	v_cndmask_b32_e32 v2, v2, v4, vcc
	v_cmp_ne_u32_e32 vcc, 0, v1
	v_cndmask_b32_e32 v1, v3, v2, vcc
	s_mov_b32 s26, 0x47800000
	v_cmp_gt_u32_e32 vcc, s26, v1
	s_and_saveexec_b64 s[26:27], vcc
	s_xor_b64 s[26:27], exec, s[26:27]
	s_cbranch_execz .LBB231_250
; %bb.245:
	s_mov_b32 s28, 0x387fffff
	v_cmp_lt_u32_e32 vcc, s28, v1
                                        ; implicit-def: $vgpr12
	s_and_saveexec_b64 s[28:29], vcc
	s_xor_b64 s[28:29], exec, s[28:29]
; %bb.246:
	v_bfe_u32 v2, v1, 21, 1
	s_mov_b32 s40, 0x80fffff
	v_add3_u32 v1, v1, v2, s40
	v_lshrrev_b32_e32 v12, 21, v1
                                        ; implicit-def: $vgpr1
; %bb.247:
	s_andn2_saveexec_b64 s[28:29], s[28:29]
; %bb.248:
	v_add_f32_e32 v12, 0x43000000, v1
; %bb.249:
	s_or_b64 exec, exec, s[28:29]
                                        ; implicit-def: $vgpr1
.LBB231_250:
	s_andn2_saveexec_b64 s[26:27], s[26:27]
; %bb.251:
	s_mov_b32 s28, 0x7f800000
	v_mov_b32_e32 v2, 0x7c
	v_mov_b32_e32 v3, 0x7f
	v_cmp_lt_u32_e32 vcc, s28, v1
	v_cndmask_b32_e32 v12, v2, v3, vcc
; %bb.252:
	s_or_b64 exec, exec, s[26:27]
	s_or_b64 s[28:29], s[20:21], exec
	s_xor_b64 s[26:27], exec, -1
.LBB231_253:
	s_or_b64 exec, exec, s[24:25]
	s_andn2_b64 s[20:21], s[20:21], exec
	s_and_b64 s[24:25], s[28:29], exec
	s_or_b64 s[20:21], s[20:21], s[24:25]
	s_andn2_b64 s[18:19], s[18:19], exec
	s_and_b64 s[24:25], s[26:27], exec
	s_or_b64 s[18:19], s[18:19], s[24:25]
.LBB231_254:
	s_or_b64 exec, exec, s[22:23]
	s_and_b64 s[22:23], s[20:21], exec
	s_and_b64 s[20:21], s[18:19], exec
.LBB231_255:
	s_andn2_saveexec_b64 s[16:17], s[16:17]
	s_cbranch_execz .LBB231_267
; %bb.256:
	v_cmp_eq_u16_e32 vcc, 29, v11
	s_mov_b64 s[24:25], -1
	s_mov_b64 s[26:27], s[22:23]
                                        ; implicit-def: $vgpr12
	s_and_saveexec_b64 s[18:19], vcc
	s_cbranch_execz .LBB231_266
; %bb.257:
	flat_load_dwordx2 v[1:2], v[8:9]
	s_mov_b32 s24, 0x47800000
                                        ; implicit-def: $vgpr12
	s_waitcnt vmcnt(0) lgkmcnt(0)
	v_ffbh_u32_e32 v3, v2
	v_min_u32_e32 v3, 32, v3
	v_lshlrev_b64 v[1:2], v3, v[1:2]
	v_min_u32_e32 v1, 1, v1
	v_or_b32_e32 v1, v2, v1
	v_cvt_f32_u32_e32 v1, v1
	v_sub_u32_e32 v2, 32, v3
	v_ldexp_f32 v1, v1, v2
	v_cmp_gt_u32_e32 vcc, s24, v1
	s_and_saveexec_b64 s[24:25], vcc
	s_xor_b64 s[24:25], exec, s[24:25]
	s_cbranch_execz .LBB231_263
; %bb.258:
	s_mov_b32 s26, 0x387fffff
	v_cmp_lt_u32_e32 vcc, s26, v1
                                        ; implicit-def: $vgpr12
	s_and_saveexec_b64 s[26:27], vcc
	s_xor_b64 s[26:27], exec, s[26:27]
; %bb.259:
	v_bfe_u32 v2, v1, 21, 1
	s_mov_b32 s28, 0x80fffff
	v_add3_u32 v1, v1, v2, s28
	v_lshrrev_b32_e32 v12, 21, v1
                                        ; implicit-def: $vgpr1
; %bb.260:
	s_andn2_saveexec_b64 s[26:27], s[26:27]
; %bb.261:
	v_add_f32_e32 v12, 0x43000000, v1
; %bb.262:
	s_or_b64 exec, exec, s[26:27]
                                        ; implicit-def: $vgpr1
.LBB231_263:
	s_andn2_saveexec_b64 s[24:25], s[24:25]
; %bb.264:
	s_mov_b32 s26, 0x7f800000
	v_mov_b32_e32 v2, 0x7c
	v_mov_b32_e32 v3, 0x7f
	v_cmp_lt_u32_e32 vcc, s26, v1
	v_cndmask_b32_e32 v12, v2, v3, vcc
; %bb.265:
	s_or_b64 exec, exec, s[24:25]
	s_or_b64 s[26:27], s[22:23], exec
	s_xor_b64 s[24:25], exec, -1
.LBB231_266:
	s_or_b64 exec, exec, s[18:19]
	s_andn2_b64 s[18:19], s[22:23], exec
	s_and_b64 s[22:23], s[26:27], exec
	s_or_b64 s[22:23], s[18:19], s[22:23]
	s_andn2_b64 s[18:19], s[20:21], exec
	s_and_b64 s[20:21], s[24:25], exec
	s_or_b64 s[20:21], s[18:19], s[20:21]
.LBB231_267:
	s_or_b64 exec, exec, s[16:17]
	s_and_b64 s[18:19], s[22:23], exec
	s_and_b64 s[16:17], s[20:21], exec
.LBB231_268:
	s_andn2_saveexec_b64 s[14:15], s[14:15]
	s_cbranch_execz .LBB231_308
; %bb.269:
	v_cmp_lt_i16_e32 vcc, 26, v11
                                        ; implicit-def: $vgpr12
	s_and_saveexec_b64 s[20:21], vcc
	s_xor_b64 s[20:21], exec, s[20:21]
	s_cbranch_execz .LBB231_291
; %bb.270:
	v_cmp_lt_i16_e32 vcc, 27, v11
                                        ; implicit-def: $vgpr12
	s_and_saveexec_b64 s[22:23], vcc
	s_xor_b64 s[22:23], exec, s[22:23]
	s_cbranch_execz .LBB231_280
; %bb.271:
	flat_load_dword v1, v[8:9]
	s_mov_b32 s24, 0x47800000
                                        ; implicit-def: $vgpr12
	s_waitcnt vmcnt(0) lgkmcnt(0)
	v_cvt_f32_u32_e32 v1, v1
	v_cmp_gt_u32_e32 vcc, s24, v1
	s_and_saveexec_b64 s[24:25], vcc
	s_xor_b64 s[24:25], exec, s[24:25]
	s_cbranch_execz .LBB231_277
; %bb.272:
	s_mov_b32 s26, 0x387fffff
	v_cmp_lt_u32_e32 vcc, s26, v1
                                        ; implicit-def: $vgpr12
	s_and_saveexec_b64 s[26:27], vcc
	s_xor_b64 s[26:27], exec, s[26:27]
; %bb.273:
	v_bfe_u32 v2, v1, 21, 1
	s_mov_b32 s28, 0x80fffff
	v_add3_u32 v1, v1, v2, s28
	v_lshrrev_b32_e32 v12, 21, v1
                                        ; implicit-def: $vgpr1
; %bb.274:
	s_andn2_saveexec_b64 s[26:27], s[26:27]
; %bb.275:
	v_add_f32_e32 v12, 0x43000000, v1
; %bb.276:
	s_or_b64 exec, exec, s[26:27]
                                        ; implicit-def: $vgpr1
.LBB231_277:
	s_andn2_saveexec_b64 s[24:25], s[24:25]
; %bb.278:
	s_mov_b32 s26, 0x7f800000
	v_mov_b32_e32 v2, 0x7c
	v_mov_b32_e32 v3, 0x7f
	v_cmp_lt_u32_e32 vcc, s26, v1
	v_cndmask_b32_e32 v12, v2, v3, vcc
; %bb.279:
	s_or_b64 exec, exec, s[24:25]
.LBB231_280:
	s_andn2_saveexec_b64 s[22:23], s[22:23]
	s_cbranch_execz .LBB231_290
; %bb.281:
	flat_load_ushort v1, v[8:9]
	s_mov_b32 s24, 0x47800000
                                        ; implicit-def: $vgpr12
	s_waitcnt vmcnt(0) lgkmcnt(0)
	v_cvt_f32_u32_e32 v1, v1
	v_cmp_gt_u32_e32 vcc, s24, v1
	s_and_saveexec_b64 s[24:25], vcc
	s_xor_b64 s[24:25], exec, s[24:25]
	s_cbranch_execz .LBB231_287
; %bb.282:
	s_mov_b32 s26, 0x387fffff
	v_cmp_lt_u32_e32 vcc, s26, v1
                                        ; implicit-def: $vgpr12
	s_and_saveexec_b64 s[26:27], vcc
	s_xor_b64 s[26:27], exec, s[26:27]
; %bb.283:
	v_bfe_u32 v2, v1, 21, 1
	s_mov_b32 s28, 0x80fffff
	v_add3_u32 v1, v1, v2, s28
	v_lshrrev_b32_e32 v12, 21, v1
                                        ; implicit-def: $vgpr1
; %bb.284:
	s_andn2_saveexec_b64 s[26:27], s[26:27]
; %bb.285:
	v_add_f32_e32 v12, 0x43000000, v1
; %bb.286:
	s_or_b64 exec, exec, s[26:27]
                                        ; implicit-def: $vgpr1
.LBB231_287:
	s_andn2_saveexec_b64 s[24:25], s[24:25]
; %bb.288:
	s_mov_b32 s26, 0x7f800000
	v_mov_b32_e32 v2, 0x7c
	v_mov_b32_e32 v3, 0x7f
	v_cmp_lt_u32_e32 vcc, s26, v1
	v_cndmask_b32_e32 v12, v2, v3, vcc
; %bb.289:
	s_or_b64 exec, exec, s[24:25]
.LBB231_290:
	s_or_b64 exec, exec, s[22:23]
.LBB231_291:
	s_andn2_saveexec_b64 s[20:21], s[20:21]
	s_cbranch_execz .LBB231_307
; %bb.292:
	flat_load_ubyte v2, v[8:9]
	s_movk_i32 s22, 0x7f
	s_waitcnt vmcnt(0) lgkmcnt(0)
	v_cmp_lt_i16_e32 vcc, s22, v2
	s_mov_b64 s[22:23], 0
	s_and_saveexec_b64 s[24:25], vcc
	s_xor_b64 s[24:25], exec, s[24:25]
	s_cbranch_execz .LBB231_561
; %bb.293:
	s_movk_i32 s22, 0x80
	v_cmp_eq_u16_e32 vcc, s22, v2
	s_mov_b64 s[22:23], -1
	s_and_saveexec_b64 s[26:27], vcc
; %bb.294:
	s_xor_b64 s[22:23], exec, -1
; %bb.295:
	s_or_b64 exec, exec, s[26:27]
	s_and_b64 s[22:23], s[22:23], exec
	s_or_saveexec_b64 s[24:25], s[24:25]
	v_mov_b32_e32 v1, 0x7f800001
	s_xor_b64 exec, exec, s[24:25]
	s_cbranch_execnz .LBB231_562
.LBB231_296:
	s_or_b64 exec, exec, s[24:25]
	s_and_saveexec_b64 s[24:25], s[22:23]
	s_cbranch_execz .LBB231_298
.LBB231_297:
	v_lshlrev_b32_e32 v1, 24, v2
	v_and_b32_e32 v2, 0xffff, v2
	v_and_b32_e32 v3, 7, v2
	v_ffbh_u32_e32 v5, v3
	v_min_u32_e32 v5, 32, v5
	v_subrev_u32_e32 v6, 28, v5
	v_bfe_u32 v4, v2, 3, 4
	v_lshlrev_b32_e32 v2, v6, v2
	v_sub_u32_e32 v5, 29, v5
	v_and_b32_e32 v2, 7, v2
	v_cmp_eq_u32_e32 vcc, 0, v4
	v_cndmask_b32_e32 v4, v4, v5, vcc
	v_cndmask_b32_e32 v2, v3, v2, vcc
	v_mov_b32_e32 v3, 0x3b800000
	v_lshlrev_b32_e32 v2, 20, v2
	v_and_b32_e32 v1, 0x80000000, v1
	v_lshl_add_u32 v3, v4, 23, v3
	v_or3_b32 v1, v1, v3, v2
.LBB231_298:
	s_or_b64 exec, exec, s[24:25]
	v_and_b32_e32 v3, 0x7fffffff, v1
	s_mov_b32 s22, 0x47800000
	v_cmp_gt_u32_e32 vcc, s22, v3
                                        ; implicit-def: $vgpr2
	s_and_saveexec_b64 s[22:23], vcc
	s_xor_b64 s[22:23], exec, s[22:23]
	s_cbranch_execz .LBB231_304
; %bb.299:
	s_mov_b32 s24, 0x387fffff
	v_cmp_lt_u32_e32 vcc, s24, v3
                                        ; implicit-def: $vgpr2
	s_and_saveexec_b64 s[24:25], vcc
	s_xor_b64 s[24:25], exec, s[24:25]
; %bb.300:
	v_bfe_u32 v2, v1, 21, 1
	s_mov_b32 s26, 0x80fffff
	v_add3_u32 v2, v1, v2, s26
	v_lshrrev_b32_e32 v2, 21, v2
; %bb.301:
	s_andn2_saveexec_b64 s[24:25], s[24:25]
; %bb.302:
	s_mov_b32 s26, 0x43000000
	v_add_f32_e64 v2, |v1|, s26
; %bb.303:
	s_or_b64 exec, exec, s[24:25]
                                        ; implicit-def: $vgpr3
.LBB231_304:
	s_andn2_saveexec_b64 s[22:23], s[22:23]
; %bb.305:
	s_mov_b32 s24, 0x7f800000
	v_mov_b32_e32 v2, 0x7c
	v_mov_b32_e32 v4, 0x7f
	v_cmp_lt_u32_e32 vcc, s24, v3
	v_cndmask_b32_e32 v2, v2, v4, vcc
; %bb.306:
	s_or_b64 exec, exec, s[22:23]
	v_lshrrev_b32_e32 v1, 24, v1
	s_movk_i32 s22, 0x80
	v_and_or_b32 v12, v1, s22, v2
.LBB231_307:
	s_or_b64 exec, exec, s[20:21]
	s_or_b64 s[18:19], s[18:19], exec
.LBB231_308:
	s_or_b64 exec, exec, s[14:15]
	s_and_b64 s[14:15], s[18:19], exec
	s_and_b64 s[16:17], s[16:17], exec
	s_andn2_saveexec_b64 s[12:13], s[12:13]
	s_cbranch_execnz .LBB231_509
.LBB231_309:
	s_or_b64 exec, exec, s[12:13]
	s_mov_b64 s[18:19], s[6:7]
	s_and_saveexec_b64 s[12:13], s[16:17]
	s_cbranch_execnz .LBB231_558
.LBB231_310:
	s_or_b64 exec, exec, s[12:13]
	s_andn2_b64 s[16:17], s[6:7], exec
	s_and_b64 s[18:19], s[18:19], exec
	s_and_b64 s[14:15], s[14:15], exec
	s_xor_b64 s[12:13], exec, -1
	s_and_b64 s[10:11], s[10:11], exec
	s_or_b64 s[16:17], s[16:17], s[18:19]
.LBB231_311:
	s_or_b64 exec, exec, s[4:5]
	s_and_b64 s[4:5], s[14:15], exec
	s_and_b64 s[14:15], s[10:11], exec
	s_andn2_b64 s[6:7], s[6:7], exec
	s_and_b64 s[10:11], s[16:17], exec
	s_and_b64 s[12:13], s[12:13], exec
	s_or_b64 s[6:7], s[6:7], s[10:11]
	s_or_b64 exec, exec, s[8:9]
	s_and_saveexec_b64 s[8:9], s[6:7]
	s_cbranch_execnz .LBB231_325
.LBB231_312:
	s_or_b64 exec, exec, s[8:9]
	s_and_saveexec_b64 s[6:7], s[14:15]
	s_cbranch_execz .LBB231_326
.LBB231_313:
	flat_load_ubyte v1, v[8:9]
	s_mov_b32 s8, 0x47800000
                                        ; implicit-def: $vgpr12
	s_waitcnt vmcnt(0) lgkmcnt(0)
	v_cmp_ne_u16_e32 vcc, 0, v1
	v_cndmask_b32_e64 v1, 0, 1.0, vcc
	v_cmp_gt_u32_e32 vcc, s8, v1
	s_and_saveexec_b64 s[8:9], vcc
	s_xor_b64 s[8:9], exec, s[8:9]
	s_cbranch_execz .LBB231_319
; %bb.314:
	s_mov_b32 s10, 0x387fffff
	v_cmp_lt_u32_e32 vcc, s10, v1
                                        ; implicit-def: $vgpr12
	s_and_saveexec_b64 s[10:11], vcc
	s_xor_b64 s[10:11], exec, s[10:11]
; %bb.315:
	v_bfe_u32 v2, v1, 21, 1
	s_mov_b32 s14, 0x80fffff
	v_add3_u32 v1, v1, v2, s14
	v_lshrrev_b32_e32 v12, 21, v1
                                        ; implicit-def: $vgpr1
; %bb.316:
	s_andn2_saveexec_b64 s[10:11], s[10:11]
; %bb.317:
	v_add_f32_e32 v12, 0x43000000, v1
; %bb.318:
	s_or_b64 exec, exec, s[10:11]
                                        ; implicit-def: $vgpr1
.LBB231_319:
	s_andn2_saveexec_b64 s[8:9], s[8:9]
; %bb.320:
	s_mov_b32 s10, 0x7f800000
	v_mov_b32_e32 v2, 0x7c
	v_mov_b32_e32 v3, 0x7f
	v_cmp_lt_u32_e32 vcc, s10, v1
	v_cndmask_b32_e32 v12, v2, v3, vcc
; %bb.321:
	s_or_b64 exec, exec, s[8:9]
	s_or_b64 s[4:5], s[4:5], exec
	s_or_b64 exec, exec, s[6:7]
	s_and_saveexec_b64 s[6:7], s[12:13]
	s_cbranch_execnz .LBB231_327
.LBB231_322:
	s_or_b64 exec, exec, s[6:7]
                                        ; implicit-def: $sgpr8_sgpr9
	s_and_saveexec_b64 s[6:7], s[4:5]
	s_cbranch_execz .LBB231_456
.LBB231_323:
	s_waitcnt vmcnt(0) lgkmcnt(0)
	v_lshlrev_b32_e32 v2, 25, v10
	v_lshlrev_b16_e32 v1, 8, v10
	v_lshrrev_b32_e32 v3, 4, v2
	s_movk_i32 s4, 0x7f00
	v_or_b32_e32 v3, 0x70000000, v3
	v_and_or_b32 v4, v1, s4, 0.5
	s_brev_b32 s5, 16
	v_add_f32_e32 v4, -0.5, v4
	v_mul_f32_e32 v3, 0x7800000, v3
	v_cmp_gt_u32_e32 vcc, s5, v2
	v_cndmask_b32_e32 v2, v3, v4, vcc
	v_bfe_i32 v1, v1, 0, 16
	s_brev_b32 s8, 1
	v_lshlrev_b32_e32 v3, 25, v12
	v_and_or_b32 v1, v1, s8, v2
	v_lshlrev_b16_e32 v2, 8, v12
	v_lshrrev_b32_e32 v4, 4, v3
	v_or_b32_e32 v4, 0x70000000, v4
	v_and_or_b32 v5, v2, s4, 0.5
	v_add_f32_e32 v5, -0.5, v5
	v_mul_f32_e32 v4, 0x7800000, v4
	v_cmp_gt_u32_e32 vcc, s5, v3
	v_cndmask_b32_e32 v3, v4, v5, vcc
	v_bfe_i32 v2, v2, 0, 16
	v_and_or_b32 v2, v2, s8, v3
	v_cmp_eq_f32_e32 vcc, v1, v2
	v_cndmask_b32_e64 v3, 0, 1, vcc
	v_cmp_neq_f32_e32 vcc, v1, v2
	v_cndmask_b32_e64 v1, 0, 1, vcc
	v_cmp_eq_u32_e32 vcc, 0, v0
	v_cndmask_b32_e32 v0, v1, v3, vcc
	v_and_b32_e32 v0, 1, v0
	v_cmp_eq_u32_e64 s[8:9], 1, v0
	s_or_b64 exec, exec, s[6:7]
	v_cndmask_b32_e64 v0, 0, 1, s[8:9]
	s_setpc_b64 s[30:31]
.LBB231_324:
	s_or_b64 exec, exec, s[8:9]
	s_and_saveexec_b64 s[8:9], s[6:7]
	s_cbranch_execz .LBB231_312
.LBB231_325:
	; divergent unreachable
	s_or_b64 exec, exec, s[8:9]
	s_and_saveexec_b64 s[6:7], s[14:15]
	s_cbranch_execnz .LBB231_313
.LBB231_326:
	s_or_b64 exec, exec, s[6:7]
	s_and_saveexec_b64 s[6:7], s[12:13]
	s_cbranch_execz .LBB231_322
.LBB231_327:
	v_cmp_lt_i16_e32 vcc, 4, v11
                                        ; implicit-def: $vgpr12
	s_and_saveexec_b64 s[8:9], vcc
	s_xor_b64 s[8:9], exec, s[8:9]
	s_cbranch_execz .LBB231_397
; %bb.328:
	v_cmp_lt_i16_e32 vcc, 7, v11
                                        ; implicit-def: $vgpr12
	s_and_saveexec_b64 s[10:11], vcc
	s_xor_b64 s[10:11], exec, s[10:11]
	s_cbranch_execz .LBB231_362
; %bb.329:
	;; [unrolled: 6-line block ×4, first 2 shown]
	flat_load_dwordx2 v[1:2], v[8:9]
	s_mov_b32 s16, 0x47800000
	s_waitcnt vmcnt(0) lgkmcnt(0)
	v_cvt_f32_f64_e32 v1, v[1:2]
                                        ; implicit-def: $vgpr2
	v_and_b32_e32 v3, 0x7fffffff, v1
	v_cmp_gt_u32_e32 vcc, s16, v3
	s_and_saveexec_b64 s[16:17], vcc
	s_xor_b64 s[16:17], exec, s[16:17]
	s_cbranch_execz .LBB231_337
; %bb.332:
	s_mov_b32 s18, 0x387fffff
	v_cmp_lt_u32_e32 vcc, s18, v3
                                        ; implicit-def: $vgpr2
	s_and_saveexec_b64 s[18:19], vcc
	s_xor_b64 s[18:19], exec, s[18:19]
; %bb.333:
	v_bfe_u32 v2, v1, 21, 1
	s_mov_b32 s20, 0x80fffff
	v_add3_u32 v2, v1, v2, s20
	v_lshrrev_b32_e32 v2, 21, v2
; %bb.334:
	s_andn2_saveexec_b64 s[18:19], s[18:19]
; %bb.335:
	s_mov_b32 s20, 0x43000000
	v_add_f32_e64 v2, |v1|, s20
; %bb.336:
	s_or_b64 exec, exec, s[18:19]
                                        ; implicit-def: $vgpr3
.LBB231_337:
	s_andn2_saveexec_b64 s[16:17], s[16:17]
; %bb.338:
	s_mov_b32 s18, 0x7f800000
	v_mov_b32_e32 v2, 0x7c
	v_mov_b32_e32 v4, 0x7f
	v_cmp_lt_u32_e32 vcc, s18, v3
	v_cndmask_b32_e32 v2, v2, v4, vcc
; %bb.339:
	s_or_b64 exec, exec, s[16:17]
	v_lshrrev_b32_e32 v1, 24, v1
	s_movk_i32 s16, 0x80
	v_and_or_b32 v12, v1, s16, v2
                                        ; implicit-def: $vgpr8_vgpr9
.LBB231_340:
	s_andn2_saveexec_b64 s[14:15], s[14:15]
	s_cbranch_execz .LBB231_350
; %bb.341:
	flat_load_dword v1, v[8:9]
	s_mov_b32 s16, 0x47800000
                                        ; implicit-def: $vgpr2
	s_waitcnt vmcnt(0) lgkmcnt(0)
	v_and_b32_e32 v3, 0x7fffffff, v1
	v_cmp_gt_u32_e32 vcc, s16, v3
	s_and_saveexec_b64 s[16:17], vcc
	s_xor_b64 s[16:17], exec, s[16:17]
	s_cbranch_execz .LBB231_347
; %bb.342:
	s_mov_b32 s18, 0x387fffff
	v_cmp_lt_u32_e32 vcc, s18, v3
                                        ; implicit-def: $vgpr2
	s_and_saveexec_b64 s[18:19], vcc
	s_xor_b64 s[18:19], exec, s[18:19]
; %bb.343:
	v_bfe_u32 v2, v1, 21, 1
	s_mov_b32 s20, 0x80fffff
	v_add3_u32 v2, v1, v2, s20
	v_lshrrev_b32_e32 v2, 21, v2
; %bb.344:
	s_andn2_saveexec_b64 s[18:19], s[18:19]
; %bb.345:
	s_mov_b32 s20, 0x43000000
	v_add_f32_e64 v2, |v1|, s20
; %bb.346:
	s_or_b64 exec, exec, s[18:19]
                                        ; implicit-def: $vgpr3
.LBB231_347:
	s_andn2_saveexec_b64 s[16:17], s[16:17]
; %bb.348:
	s_mov_b32 s18, 0x7f800000
	v_mov_b32_e32 v2, 0x7c
	v_mov_b32_e32 v4, 0x7f
	v_cmp_lt_u32_e32 vcc, s18, v3
	v_cndmask_b32_e32 v2, v2, v4, vcc
; %bb.349:
	s_or_b64 exec, exec, s[16:17]
	v_lshrrev_b32_e32 v1, 24, v1
	s_movk_i32 s16, 0x80
	v_and_or_b32 v12, v1, s16, v2
.LBB231_350:
	s_or_b64 exec, exec, s[14:15]
                                        ; implicit-def: $vgpr8_vgpr9
.LBB231_351:
	s_andn2_saveexec_b64 s[12:13], s[12:13]
	s_cbranch_execz .LBB231_361
; %bb.352:
	flat_load_dword v1, v[8:9]
	s_mov_b32 s14, 0x47800000
                                        ; implicit-def: $vgpr2
	s_waitcnt vmcnt(0) lgkmcnt(0)
	v_cvt_f32_f16_e32 v1, v1
	v_and_b32_e32 v3, 0x7fffffff, v1
	v_cmp_gt_u32_e32 vcc, s14, v3
	s_and_saveexec_b64 s[14:15], vcc
	s_xor_b64 s[14:15], exec, s[14:15]
	s_cbranch_execz .LBB231_358
; %bb.353:
	s_mov_b32 s16, 0x387fffff
	v_cmp_lt_u32_e32 vcc, s16, v3
                                        ; implicit-def: $vgpr2
	s_and_saveexec_b64 s[16:17], vcc
	s_xor_b64 s[16:17], exec, s[16:17]
; %bb.354:
	v_bfe_u32 v2, v1, 21, 1
	s_mov_b32 s18, 0x80fffff
	v_add3_u32 v2, v1, v2, s18
	v_lshrrev_b32_e32 v2, 21, v2
; %bb.355:
	s_andn2_saveexec_b64 s[16:17], s[16:17]
; %bb.356:
	s_mov_b32 s18, 0x43000000
	v_add_f32_e64 v2, |v1|, s18
; %bb.357:
	s_or_b64 exec, exec, s[16:17]
                                        ; implicit-def: $vgpr3
.LBB231_358:
	s_andn2_saveexec_b64 s[14:15], s[14:15]
; %bb.359:
	s_mov_b32 s16, 0x7f800000
	v_mov_b32_e32 v2, 0x7c
	v_mov_b32_e32 v4, 0x7f
	v_cmp_lt_u32_e32 vcc, s16, v3
	v_cndmask_b32_e32 v2, v2, v4, vcc
; %bb.360:
	s_or_b64 exec, exec, s[14:15]
	v_lshrrev_b32_e32 v1, 24, v1
	s_movk_i32 s14, 0x80
	v_and_or_b32 v12, v1, s14, v2
.LBB231_361:
	s_or_b64 exec, exec, s[12:13]
                                        ; implicit-def: $vgpr8_vgpr9
.LBB231_362:
	s_andn2_saveexec_b64 s[10:11], s[10:11]
	s_cbranch_execz .LBB231_396
; %bb.363:
	v_cmp_lt_i16_e32 vcc, 5, v11
                                        ; implicit-def: $vgpr12
	s_and_saveexec_b64 s[12:13], vcc
	s_xor_b64 s[12:13], exec, s[12:13]
	s_cbranch_execz .LBB231_385
; %bb.364:
	v_cmp_lt_i16_e32 vcc, 6, v11
                                        ; implicit-def: $vgpr12
	s_and_saveexec_b64 s[14:15], vcc
	s_xor_b64 s[14:15], exec, s[14:15]
	s_cbranch_execz .LBB231_374
; %bb.365:
	flat_load_dwordx2 v[1:2], v[8:9]
	s_mov_b32 s16, 0x47800000
	s_waitcnt vmcnt(0) lgkmcnt(0)
	v_cvt_f32_f64_e32 v1, v[1:2]
                                        ; implicit-def: $vgpr2
	v_and_b32_e32 v3, 0x7fffffff, v1
	v_cmp_gt_u32_e32 vcc, s16, v3
	s_and_saveexec_b64 s[16:17], vcc
	s_xor_b64 s[16:17], exec, s[16:17]
	s_cbranch_execz .LBB231_371
; %bb.366:
	s_mov_b32 s18, 0x387fffff
	v_cmp_lt_u32_e32 vcc, s18, v3
                                        ; implicit-def: $vgpr2
	s_and_saveexec_b64 s[18:19], vcc
	s_xor_b64 s[18:19], exec, s[18:19]
; %bb.367:
	v_bfe_u32 v2, v1, 21, 1
	s_mov_b32 s20, 0x80fffff
	v_add3_u32 v2, v1, v2, s20
	v_lshrrev_b32_e32 v2, 21, v2
; %bb.368:
	s_andn2_saveexec_b64 s[18:19], s[18:19]
; %bb.369:
	s_mov_b32 s20, 0x43000000
	v_add_f32_e64 v2, |v1|, s20
; %bb.370:
	s_or_b64 exec, exec, s[18:19]
                                        ; implicit-def: $vgpr3
.LBB231_371:
	s_andn2_saveexec_b64 s[16:17], s[16:17]
; %bb.372:
	s_mov_b32 s18, 0x7f800000
	v_mov_b32_e32 v2, 0x7c
	v_mov_b32_e32 v4, 0x7f
	v_cmp_lt_u32_e32 vcc, s18, v3
	v_cndmask_b32_e32 v2, v2, v4, vcc
; %bb.373:
	s_or_b64 exec, exec, s[16:17]
	v_lshrrev_b32_e32 v1, 24, v1
	s_movk_i32 s16, 0x80
	v_and_or_b32 v12, v1, s16, v2
                                        ; implicit-def: $vgpr8_vgpr9
.LBB231_374:
	s_andn2_saveexec_b64 s[14:15], s[14:15]
	s_cbranch_execz .LBB231_384
; %bb.375:
	flat_load_dword v1, v[8:9]
	s_mov_b32 s16, 0x47800000
                                        ; implicit-def: $vgpr2
	s_waitcnt vmcnt(0) lgkmcnt(0)
	v_and_b32_e32 v3, 0x7fffffff, v1
	v_cmp_gt_u32_e32 vcc, s16, v3
	s_and_saveexec_b64 s[16:17], vcc
	s_xor_b64 s[16:17], exec, s[16:17]
	s_cbranch_execz .LBB231_381
; %bb.376:
	s_mov_b32 s18, 0x387fffff
	v_cmp_lt_u32_e32 vcc, s18, v3
                                        ; implicit-def: $vgpr2
	s_and_saveexec_b64 s[18:19], vcc
	s_xor_b64 s[18:19], exec, s[18:19]
; %bb.377:
	v_bfe_u32 v2, v1, 21, 1
	s_mov_b32 s20, 0x80fffff
	v_add3_u32 v2, v1, v2, s20
	v_lshrrev_b32_e32 v2, 21, v2
; %bb.378:
	s_andn2_saveexec_b64 s[18:19], s[18:19]
; %bb.379:
	s_mov_b32 s20, 0x43000000
	v_add_f32_e64 v2, |v1|, s20
; %bb.380:
	s_or_b64 exec, exec, s[18:19]
                                        ; implicit-def: $vgpr3
.LBB231_381:
	s_andn2_saveexec_b64 s[16:17], s[16:17]
; %bb.382:
	s_mov_b32 s18, 0x7f800000
	v_mov_b32_e32 v2, 0x7c
	v_mov_b32_e32 v4, 0x7f
	v_cmp_lt_u32_e32 vcc, s18, v3
	v_cndmask_b32_e32 v2, v2, v4, vcc
; %bb.383:
	s_or_b64 exec, exec, s[16:17]
	v_lshrrev_b32_e32 v1, 24, v1
	s_movk_i32 s16, 0x80
	v_and_or_b32 v12, v1, s16, v2
.LBB231_384:
	s_or_b64 exec, exec, s[14:15]
                                        ; implicit-def: $vgpr8_vgpr9
.LBB231_385:
	s_andn2_saveexec_b64 s[12:13], s[12:13]
	s_cbranch_execz .LBB231_395
; %bb.386:
	flat_load_ushort v1, v[8:9]
	s_mov_b32 s14, 0x47800000
                                        ; implicit-def: $vgpr2
	s_waitcnt vmcnt(0) lgkmcnt(0)
	v_cvt_f32_f16_e32 v1, v1
	v_and_b32_e32 v3, 0x7fffffff, v1
	v_cmp_gt_u32_e32 vcc, s14, v3
	s_and_saveexec_b64 s[14:15], vcc
	s_xor_b64 s[14:15], exec, s[14:15]
	s_cbranch_execz .LBB231_392
; %bb.387:
	s_mov_b32 s16, 0x387fffff
	v_cmp_lt_u32_e32 vcc, s16, v3
                                        ; implicit-def: $vgpr2
	s_and_saveexec_b64 s[16:17], vcc
	s_xor_b64 s[16:17], exec, s[16:17]
; %bb.388:
	v_bfe_u32 v2, v1, 21, 1
	s_mov_b32 s18, 0x80fffff
	v_add3_u32 v2, v1, v2, s18
	v_lshrrev_b32_e32 v2, 21, v2
; %bb.389:
	s_andn2_saveexec_b64 s[16:17], s[16:17]
; %bb.390:
	s_mov_b32 s18, 0x43000000
	v_add_f32_e64 v2, |v1|, s18
; %bb.391:
	s_or_b64 exec, exec, s[16:17]
                                        ; implicit-def: $vgpr3
.LBB231_392:
	s_andn2_saveexec_b64 s[14:15], s[14:15]
; %bb.393:
	s_mov_b32 s16, 0x7f800000
	v_mov_b32_e32 v2, 0x7c
	v_mov_b32_e32 v4, 0x7f
	v_cmp_lt_u32_e32 vcc, s16, v3
	v_cndmask_b32_e32 v2, v2, v4, vcc
; %bb.394:
	s_or_b64 exec, exec, s[14:15]
	v_lshrrev_b32_e32 v1, 24, v1
	s_movk_i32 s14, 0x80
	v_and_or_b32 v12, v1, s14, v2
.LBB231_395:
	s_or_b64 exec, exec, s[12:13]
.LBB231_396:
	s_or_b64 exec, exec, s[10:11]
                                        ; implicit-def: $vgpr8_vgpr9
.LBB231_397:
	s_andn2_saveexec_b64 s[8:9], s[8:9]
	s_cbranch_execz .LBB231_455
; %bb.398:
	v_cmp_lt_i16_e32 vcc, 1, v11
                                        ; implicit-def: $vgpr12
	s_and_saveexec_b64 s[10:11], vcc
	s_xor_b64 s[10:11], exec, s[10:11]
	s_cbranch_execz .LBB231_432
; %bb.399:
	v_cmp_lt_i16_e32 vcc, 2, v11
                                        ; implicit-def: $vgpr12
	s_and_saveexec_b64 s[12:13], vcc
	s_xor_b64 s[12:13], exec, s[12:13]
	;; [unrolled: 6-line block ×3, first 2 shown]
	s_cbranch_execz .LBB231_410
; %bb.401:
	flat_load_dwordx2 v[1:2], v[8:9]
	s_mov_b32 s16, 0x47800000
	s_waitcnt vmcnt(0) lgkmcnt(0)
	v_xor_b32_e32 v4, v1, v2
	v_ffbh_i32_e32 v3, v2
	v_ashrrev_i32_e32 v4, 31, v4
	v_add_u32_e32 v3, -1, v3
	v_add_u32_e32 v4, 32, v4
	v_min_u32_e32 v3, v3, v4
	v_lshlrev_b64 v[1:2], v3, v[1:2]
	v_min_u32_e32 v1, 1, v1
	v_or_b32_e32 v1, v2, v1
	v_cvt_f32_i32_e32 v1, v1
	v_sub_u32_e32 v2, 32, v3
	v_ldexp_f32 v1, v1, v2
	v_and_b32_e32 v3, 0x7fffffff, v1
	v_cmp_gt_u32_e32 vcc, s16, v3
                                        ; implicit-def: $vgpr2
	s_and_saveexec_b64 s[16:17], vcc
	s_xor_b64 s[16:17], exec, s[16:17]
	s_cbranch_execz .LBB231_407
; %bb.402:
	s_mov_b32 s18, 0x387fffff
	v_cmp_lt_u32_e32 vcc, s18, v3
                                        ; implicit-def: $vgpr2
	s_and_saveexec_b64 s[18:19], vcc
	s_xor_b64 s[18:19], exec, s[18:19]
; %bb.403:
	v_bfe_u32 v2, v1, 21, 1
	s_mov_b32 s20, 0x80fffff
	v_add3_u32 v2, v1, v2, s20
	v_lshrrev_b32_e32 v2, 21, v2
; %bb.404:
	s_andn2_saveexec_b64 s[18:19], s[18:19]
; %bb.405:
	s_mov_b32 s20, 0x43000000
	v_add_f32_e64 v2, |v1|, s20
; %bb.406:
	s_or_b64 exec, exec, s[18:19]
                                        ; implicit-def: $vgpr3
.LBB231_407:
	s_andn2_saveexec_b64 s[16:17], s[16:17]
; %bb.408:
	s_mov_b32 s18, 0x7f800000
	v_mov_b32_e32 v2, 0x7c
	v_mov_b32_e32 v4, 0x7f
	v_cmp_lt_u32_e32 vcc, s18, v3
	v_cndmask_b32_e32 v2, v2, v4, vcc
; %bb.409:
	s_or_b64 exec, exec, s[16:17]
	v_lshrrev_b32_e32 v1, 24, v1
	s_movk_i32 s16, 0x80
	v_and_or_b32 v12, v1, s16, v2
                                        ; implicit-def: $vgpr8_vgpr9
.LBB231_410:
	s_andn2_saveexec_b64 s[14:15], s[14:15]
	s_cbranch_execz .LBB231_420
; %bb.411:
	flat_load_dword v1, v[8:9]
	s_mov_b32 s16, 0x47800000
                                        ; implicit-def: $vgpr2
	s_waitcnt vmcnt(0) lgkmcnt(0)
	v_cvt_f32_i32_e32 v1, v1
	v_and_b32_e32 v3, 0x7fffffff, v1
	v_cmp_gt_u32_e32 vcc, s16, v3
	s_and_saveexec_b64 s[16:17], vcc
	s_xor_b64 s[16:17], exec, s[16:17]
	s_cbranch_execz .LBB231_417
; %bb.412:
	s_mov_b32 s18, 0x387fffff
	v_cmp_lt_u32_e32 vcc, s18, v3
                                        ; implicit-def: $vgpr2
	s_and_saveexec_b64 s[18:19], vcc
	s_xor_b64 s[18:19], exec, s[18:19]
; %bb.413:
	v_bfe_u32 v2, v1, 21, 1
	s_mov_b32 s20, 0x80fffff
	v_add3_u32 v2, v1, v2, s20
	v_lshrrev_b32_e32 v2, 21, v2
; %bb.414:
	s_andn2_saveexec_b64 s[18:19], s[18:19]
; %bb.415:
	s_mov_b32 s20, 0x43000000
	v_add_f32_e64 v2, |v1|, s20
; %bb.416:
	s_or_b64 exec, exec, s[18:19]
                                        ; implicit-def: $vgpr3
.LBB231_417:
	s_andn2_saveexec_b64 s[16:17], s[16:17]
; %bb.418:
	s_mov_b32 s18, 0x7f800000
	v_mov_b32_e32 v2, 0x7c
	v_mov_b32_e32 v4, 0x7f
	v_cmp_lt_u32_e32 vcc, s18, v3
	v_cndmask_b32_e32 v2, v2, v4, vcc
; %bb.419:
	s_or_b64 exec, exec, s[16:17]
	v_lshrrev_b32_e32 v1, 24, v1
	s_movk_i32 s16, 0x80
	v_and_or_b32 v12, v1, s16, v2
.LBB231_420:
	s_or_b64 exec, exec, s[14:15]
                                        ; implicit-def: $vgpr8_vgpr9
.LBB231_421:
	s_andn2_saveexec_b64 s[12:13], s[12:13]
	s_cbranch_execz .LBB231_431
; %bb.422:
	flat_load_sshort v1, v[8:9]
	s_mov_b32 s14, 0x47800000
                                        ; implicit-def: $vgpr2
	s_waitcnt vmcnt(0) lgkmcnt(0)
	v_cvt_f32_i32_e32 v1, v1
	v_and_b32_e32 v3, 0x7fffffff, v1
	v_cmp_gt_u32_e32 vcc, s14, v3
	s_and_saveexec_b64 s[14:15], vcc
	s_xor_b64 s[14:15], exec, s[14:15]
	s_cbranch_execz .LBB231_428
; %bb.423:
	s_mov_b32 s16, 0x387fffff
	v_cmp_lt_u32_e32 vcc, s16, v3
                                        ; implicit-def: $vgpr2
	s_and_saveexec_b64 s[16:17], vcc
	s_xor_b64 s[16:17], exec, s[16:17]
; %bb.424:
	v_bfe_u32 v2, v1, 21, 1
	s_mov_b32 s18, 0x80fffff
	v_add3_u32 v2, v1, v2, s18
	v_lshrrev_b32_e32 v2, 21, v2
; %bb.425:
	s_andn2_saveexec_b64 s[16:17], s[16:17]
; %bb.426:
	s_mov_b32 s18, 0x43000000
	v_add_f32_e64 v2, |v1|, s18
; %bb.427:
	s_or_b64 exec, exec, s[16:17]
                                        ; implicit-def: $vgpr3
.LBB231_428:
	s_andn2_saveexec_b64 s[14:15], s[14:15]
; %bb.429:
	s_mov_b32 s16, 0x7f800000
	v_mov_b32_e32 v2, 0x7c
	v_mov_b32_e32 v4, 0x7f
	v_cmp_lt_u32_e32 vcc, s16, v3
	v_cndmask_b32_e32 v2, v2, v4, vcc
; %bb.430:
	s_or_b64 exec, exec, s[14:15]
	v_lshrrev_b32_e32 v1, 24, v1
	s_movk_i32 s14, 0x80
	v_and_or_b32 v12, v1, s14, v2
.LBB231_431:
	s_or_b64 exec, exec, s[12:13]
                                        ; implicit-def: $vgpr8_vgpr9
.LBB231_432:
	s_andn2_saveexec_b64 s[10:11], s[10:11]
	s_cbranch_execz .LBB231_454
; %bb.433:
	v_cmp_lt_i16_e32 vcc, 0, v11
                                        ; implicit-def: $vgpr12
	s_and_saveexec_b64 s[12:13], vcc
	s_xor_b64 s[12:13], exec, s[12:13]
	s_cbranch_execz .LBB231_443
; %bb.434:
	flat_load_sbyte v1, v[8:9]
	s_mov_b32 s14, 0x47800000
                                        ; implicit-def: $vgpr2
	s_waitcnt vmcnt(0) lgkmcnt(0)
	v_cvt_f32_i32_e32 v1, v1
	v_and_b32_e32 v3, 0x7fffffff, v1
	v_cmp_gt_u32_e32 vcc, s14, v3
	s_and_saveexec_b64 s[14:15], vcc
	s_xor_b64 s[14:15], exec, s[14:15]
	s_cbranch_execz .LBB231_440
; %bb.435:
	s_mov_b32 s16, 0x387fffff
	v_cmp_lt_u32_e32 vcc, s16, v3
                                        ; implicit-def: $vgpr2
	s_and_saveexec_b64 s[16:17], vcc
	s_xor_b64 s[16:17], exec, s[16:17]
; %bb.436:
	v_bfe_u32 v2, v1, 21, 1
	s_mov_b32 s18, 0x80fffff
	v_add3_u32 v2, v1, v2, s18
	v_lshrrev_b32_e32 v2, 21, v2
; %bb.437:
	s_andn2_saveexec_b64 s[16:17], s[16:17]
; %bb.438:
	s_mov_b32 s18, 0x43000000
	v_add_f32_e64 v2, |v1|, s18
; %bb.439:
	s_or_b64 exec, exec, s[16:17]
                                        ; implicit-def: $vgpr3
.LBB231_440:
	s_andn2_saveexec_b64 s[14:15], s[14:15]
; %bb.441:
	s_mov_b32 s16, 0x7f800000
	v_mov_b32_e32 v2, 0x7c
	v_mov_b32_e32 v4, 0x7f
	v_cmp_lt_u32_e32 vcc, s16, v3
	v_cndmask_b32_e32 v2, v2, v4, vcc
; %bb.442:
	s_or_b64 exec, exec, s[14:15]
	v_lshrrev_b32_e32 v1, 24, v1
	s_movk_i32 s14, 0x80
	v_and_or_b32 v12, v1, s14, v2
                                        ; implicit-def: $vgpr8_vgpr9
.LBB231_443:
	s_andn2_saveexec_b64 s[12:13], s[12:13]
	s_cbranch_execz .LBB231_453
; %bb.444:
	flat_load_ubyte v1, v[8:9]
	s_mov_b32 s14, 0x47800000
                                        ; implicit-def: $vgpr12
	s_waitcnt vmcnt(0) lgkmcnt(0)
	v_cvt_f32_ubyte0_e32 v1, v1
	v_cmp_gt_u32_e32 vcc, s14, v1
	s_and_saveexec_b64 s[14:15], vcc
	s_xor_b64 s[14:15], exec, s[14:15]
	s_cbranch_execz .LBB231_450
; %bb.445:
	s_mov_b32 s16, 0x387fffff
	v_cmp_lt_u32_e32 vcc, s16, v1
                                        ; implicit-def: $vgpr12
	s_and_saveexec_b64 s[16:17], vcc
	s_xor_b64 s[16:17], exec, s[16:17]
; %bb.446:
	v_bfe_u32 v2, v1, 21, 1
	s_mov_b32 s18, 0x80fffff
	v_add3_u32 v1, v1, v2, s18
	v_lshrrev_b32_e32 v12, 21, v1
                                        ; implicit-def: $vgpr1
; %bb.447:
	s_andn2_saveexec_b64 s[16:17], s[16:17]
; %bb.448:
	v_add_f32_e32 v12, 0x43000000, v1
; %bb.449:
	s_or_b64 exec, exec, s[16:17]
                                        ; implicit-def: $vgpr1
.LBB231_450:
	s_andn2_saveexec_b64 s[14:15], s[14:15]
; %bb.451:
	s_mov_b32 s16, 0x7f800000
	v_mov_b32_e32 v2, 0x7c
	v_mov_b32_e32 v3, 0x7f
	v_cmp_lt_u32_e32 vcc, s16, v1
	v_cndmask_b32_e32 v12, v2, v3, vcc
; %bb.452:
	s_or_b64 exec, exec, s[14:15]
.LBB231_453:
	s_or_b64 exec, exec, s[12:13]
.LBB231_454:
	s_or_b64 exec, exec, s[10:11]
.LBB231_455:
	s_or_b64 exec, exec, s[8:9]
	s_or_b64 s[4:5], s[4:5], exec
	s_or_b64 exec, exec, s[6:7]
                                        ; implicit-def: $sgpr8_sgpr9
	s_and_saveexec_b64 s[6:7], s[4:5]
	s_cbranch_execnz .LBB231_323
.LBB231_456:
	s_or_b64 exec, exec, s[6:7]
	v_cndmask_b32_e64 v0, 0, 1, s[8:9]
	s_waitcnt vmcnt(0) lgkmcnt(0)
	s_setpc_b64 s[30:31]
.LBB231_457:
	s_andn2_saveexec_b64 s[8:9], s[8:9]
	s_cbranch_execz .LBB231_83
.LBB231_458:
	v_cmp_lt_i16_e32 vcc, 22, v11
	s_mov_b64 s[14:15], s[10:11]
                                        ; implicit-def: $vgpr10
	s_and_saveexec_b64 s[6:7], vcc
	s_xor_b64 s[6:7], exec, s[6:7]
	s_cbranch_execz .LBB231_490
; %bb.459:
	v_cmp_lt_i16_e32 vcc, 23, v11
                                        ; implicit-def: $vgpr10
	s_and_saveexec_b64 s[14:15], vcc
	s_xor_b64 s[14:15], exec, s[14:15]
	s_cbranch_execz .LBB231_487
; %bb.460:
	v_cmp_lt_i16_e32 vcc, 24, v11
                                        ; implicit-def: $vgpr10
	s_and_saveexec_b64 s[16:17], vcc
	s_xor_b64 s[16:17], exec, s[16:17]
	s_cbranch_execz .LBB231_476
; %bb.461:
	flat_load_ubyte v11, v[8:9]
	s_movk_i32 s18, 0x7f
	s_waitcnt vmcnt(0) lgkmcnt(0)
	v_cmp_lt_i16_e32 vcc, s18, v11
	s_mov_b64 s[18:19], 0
	s_and_saveexec_b64 s[20:21], vcc
	s_xor_b64 s[20:21], exec, s[20:21]
	s_cbranch_execz .LBB231_563
; %bb.462:
	s_movk_i32 s18, 0x80
	v_cmp_eq_u16_e32 vcc, s18, v11
	s_mov_b64 s[18:19], -1
	s_and_saveexec_b64 s[22:23], vcc
; %bb.463:
	s_xor_b64 s[18:19], exec, -1
; %bb.464:
	s_or_b64 exec, exec, s[22:23]
	s_and_b64 s[18:19], s[18:19], exec
	s_or_saveexec_b64 s[20:21], s[20:21]
	v_mov_b32_e32 v10, 0x7f800001
	s_xor_b64 exec, exec, s[20:21]
	s_cbranch_execnz .LBB231_564
.LBB231_465:
	s_or_b64 exec, exec, s[20:21]
	s_and_saveexec_b64 s[20:21], s[18:19]
	s_cbranch_execz .LBB231_467
.LBB231_466:
	v_lshlrev_b32_e32 v10, 24, v11
	v_and_b32_e32 v11, 0xffff, v11
	v_and_b32_e32 v12, 3, v11
	v_ffbh_u32_e32 v14, v12
	v_min_u32_e32 v14, 32, v14
	v_subrev_u32_e32 v15, 29, v14
	v_bfe_u32 v13, v11, 2, 5
	v_lshlrev_b32_e32 v11, v15, v11
	v_sub_u32_e32 v14, 30, v14
	v_and_b32_e32 v11, 3, v11
	v_cmp_eq_u32_e32 vcc, 0, v13
	v_cndmask_b32_e32 v13, v13, v14, vcc
	v_cndmask_b32_e32 v11, v12, v11, vcc
	v_mov_b32_e32 v12, 0x37800000
	v_lshlrev_b32_e32 v11, 21, v11
	v_and_b32_e32 v10, 0x80000000, v10
	v_lshl_add_u32 v12, v13, 23, v12
	v_or3_b32 v10, v10, v12, v11
.LBB231_467:
	s_or_b64 exec, exec, s[20:21]
	v_and_b32_e32 v12, 0x7fffffff, v10
	s_mov_b32 s18, 0x47800000
	v_cmp_gt_u32_e32 vcc, s18, v12
                                        ; implicit-def: $vgpr11
	s_and_saveexec_b64 s[18:19], vcc
	s_xor_b64 s[18:19], exec, s[18:19]
	s_cbranch_execz .LBB231_473
; %bb.468:
	s_mov_b32 s20, 0x387fffff
	v_cmp_lt_u32_e32 vcc, s20, v12
                                        ; implicit-def: $vgpr11
	s_and_saveexec_b64 s[20:21], vcc
	s_xor_b64 s[20:21], exec, s[20:21]
; %bb.469:
	v_bfe_u32 v11, v10, 21, 1
	s_mov_b32 s22, 0x80fffff
	v_add3_u32 v11, v10, v11, s22
	v_lshrrev_b32_e32 v11, 21, v11
; %bb.470:
	s_andn2_saveexec_b64 s[20:21], s[20:21]
; %bb.471:
	s_mov_b32 s22, 0x43000000
	v_add_f32_e64 v11, |v10|, s22
; %bb.472:
	s_or_b64 exec, exec, s[20:21]
                                        ; implicit-def: $vgpr12
.LBB231_473:
	s_andn2_saveexec_b64 s[18:19], s[18:19]
; %bb.474:
	s_mov_b32 s20, 0x7f800000
	v_mov_b32_e32 v11, 0x7c
	v_mov_b32_e32 v13, 0x7f
	v_cmp_lt_u32_e32 vcc, s20, v12
	v_cndmask_b32_e32 v11, v11, v13, vcc
; %bb.475:
	s_or_b64 exec, exec, s[18:19]
	v_lshrrev_b32_e32 v10, 24, v10
	s_movk_i32 s18, 0x80
	v_and_or_b32 v10, v10, s18, v11
.LBB231_476:
	s_andn2_saveexec_b64 s[16:17], s[16:17]
	s_cbranch_execz .LBB231_486
; %bb.477:
	flat_load_ubyte v10, v[8:9]
	s_mov_b32 s18, 0x7f800000
	s_brev_b32 s19, 1
	s_waitcnt vmcnt(0) lgkmcnt(0)
	v_lshlrev_b32_e32 v10, 24, v10
	v_and_b32_e32 v11, 0x7f000000, v10
	v_ffbh_u32_e32 v12, v11
	v_min_u32_e32 v12, 32, v12
	v_sub_u32_e64 v12, v12, 4 clamp
	v_lshlrev_b32_e32 v14, v12, v11
	v_lshlrev_b32_e32 v12, 23, v12
	v_lshrrev_b32_e32 v14, 4, v14
	v_add_u32_e32 v13, 0x1000000, v11
	v_sub_u32_e32 v12, v14, v12
	v_ashrrev_i32_e32 v13, 8, v13
	v_add_u32_e32 v12, 0x3c000000, v12
	v_and_or_b32 v12, v13, s18, v12
	v_cmp_ne_u32_e32 vcc, 0, v11
	v_cndmask_b32_e32 v13, 0, v12, vcc
	v_and_or_b32 v10, v10, s19, v13
	v_and_b32_e32 v12, 0x7fffffff, v10
	s_mov_b32 s18, 0x47800000
	v_cmp_gt_u32_e32 vcc, s18, v12
                                        ; implicit-def: $vgpr11
	s_and_saveexec_b64 s[18:19], vcc
	s_xor_b64 s[18:19], exec, s[18:19]
	s_cbranch_execz .LBB231_483
; %bb.478:
	s_mov_b32 s20, 0x387fffff
	v_cmp_lt_u32_e32 vcc, s20, v12
                                        ; implicit-def: $vgpr11
	s_and_saveexec_b64 s[20:21], vcc
	s_xor_b64 s[20:21], exec, s[20:21]
; %bb.479:
	v_bfe_u32 v11, v13, 21, 1
	s_mov_b32 s22, 0x80fffff
	v_add3_u32 v11, v10, v11, s22
	v_lshrrev_b32_e32 v11, 21, v11
; %bb.480:
	s_andn2_saveexec_b64 s[20:21], s[20:21]
; %bb.481:
	s_mov_b32 s22, 0x43000000
	v_add_f32_e64 v11, |v10|, s22
; %bb.482:
	s_or_b64 exec, exec, s[20:21]
                                        ; implicit-def: $vgpr12
.LBB231_483:
	s_andn2_saveexec_b64 s[18:19], s[18:19]
; %bb.484:
	s_mov_b32 s20, 0x7f800000
	v_mov_b32_e32 v11, 0x7c
	v_mov_b32_e32 v13, 0x7f
	v_cmp_lt_u32_e32 vcc, s20, v12
	v_cndmask_b32_e32 v11, v11, v13, vcc
; %bb.485:
	s_or_b64 exec, exec, s[18:19]
	v_lshrrev_b32_e32 v10, 24, v10
	s_movk_i32 s18, 0x80
	v_and_or_b32 v10, v10, s18, v11
.LBB231_486:
	s_or_b64 exec, exec, s[16:17]
.LBB231_487:
	s_andn2_saveexec_b64 s[14:15], s[14:15]
	s_cbranch_execz .LBB231_489
; %bb.488:
	flat_load_ubyte v10, v[8:9]
.LBB231_489:
	s_or_b64 exec, exec, s[14:15]
	s_or_b64 s[14:15], s[10:11], exec
                                        ; implicit-def: $vgpr11
.LBB231_490:
	s_or_saveexec_b64 s[6:7], s[6:7]
	s_mov_b64 s[16:17], 0
	s_mov_b64 s[18:19], s[12:13]
	s_xor_b64 exec, exec, s[6:7]
	s_cbranch_execz .LBB231_506
; %bb.491:
	v_cmp_lt_i16_e32 vcc, 14, v11
	s_mov_b64 s[18:19], s[12:13]
	s_mov_b64 s[20:21], s[14:15]
                                        ; implicit-def: $vgpr10
	s_and_saveexec_b64 s[16:17], vcc
	s_xor_b64 s[16:17], exec, s[16:17]
	s_cbranch_execz .LBB231_503
; %bb.492:
	v_cmp_eq_u16_e32 vcc, 15, v11
	s_mov_b64 s[22:23], -1
	s_mov_b64 s[20:21], s[14:15]
                                        ; implicit-def: $vgpr10
	s_and_saveexec_b64 s[18:19], vcc
	s_cbranch_execz .LBB231_502
; %bb.493:
	s_waitcnt vmcnt(0) lgkmcnt(0)
	flat_load_ushort v10, v[8:9]
	s_mov_b32 s20, 0x47800000
                                        ; implicit-def: $vgpr11
	s_waitcnt vmcnt(0) lgkmcnt(0)
	v_lshlrev_b32_e32 v12, 16, v10
	v_and_b32_e32 v13, 0x7fffffff, v12
	v_cmp_gt_u32_e32 vcc, s20, v13
	s_and_saveexec_b64 s[20:21], vcc
	s_xor_b64 s[20:21], exec, s[20:21]
	s_cbranch_execz .LBB231_499
; %bb.494:
	s_mov_b32 s22, 0x387fffff
	v_cmp_lt_u32_e32 vcc, s22, v13
                                        ; implicit-def: $vgpr11
	s_and_saveexec_b64 s[22:23], vcc
	s_xor_b64 s[22:23], exec, s[22:23]
; %bb.495:
	v_bfe_u32 v11, v10, 5, 1
	s_mov_b32 s24, 0x80fffff
	v_add3_u32 v11, v12, v11, s24
	v_lshrrev_b32_e32 v11, 21, v11
                                        ; implicit-def: $vgpr12
; %bb.496:
	s_andn2_saveexec_b64 s[22:23], s[22:23]
; %bb.497:
	s_mov_b32 s24, 0x43000000
	v_add_f32_e64 v11, |v12|, s24
; %bb.498:
	s_or_b64 exec, exec, s[22:23]
                                        ; implicit-def: $vgpr13
.LBB231_499:
	s_andn2_saveexec_b64 s[20:21], s[20:21]
; %bb.500:
	s_mov_b32 s22, 0x7f800000
	v_mov_b32_e32 v11, 0x7c
	v_mov_b32_e32 v12, 0x7f
	v_cmp_lt_u32_e32 vcc, s22, v13
	v_cndmask_b32_e32 v11, v11, v12, vcc
; %bb.501:
	s_or_b64 exec, exec, s[20:21]
	v_lshrrev_b32_e32 v10, 8, v10
	s_movk_i32 s20, 0x80
	v_and_or_b32 v10, v10, s20, v11
	s_or_b64 s[20:21], s[14:15], exec
	s_xor_b64 s[22:23], exec, -1
.LBB231_502:
	s_or_b64 exec, exec, s[18:19]
	s_andn2_b64 s[18:19], s[14:15], exec
	s_and_b64 s[20:21], s[20:21], exec
	s_or_b64 s[20:21], s[18:19], s[20:21]
	s_andn2_b64 s[18:19], s[12:13], exec
	s_and_b64 s[22:23], s[22:23], exec
	s_or_b64 s[18:19], s[18:19], s[22:23]
                                        ; implicit-def: $vgpr11
.LBB231_503:
	s_or_saveexec_b64 s[16:17], s[16:17]
	s_mov_b64 s[22:23], 0
	s_xor_b64 exec, exec, s[16:17]
; %bb.504:
	v_cmp_ne_u16_e32 vcc, 11, v11
	s_andn2_b64 s[18:19], s[18:19], exec
	s_and_b64 s[24:25], vcc, exec
	s_mov_b64 s[22:23], exec
	s_or_b64 s[18:19], s[18:19], s[24:25]
; %bb.505:
	s_or_b64 exec, exec, s[16:17]
	s_andn2_b64 s[14:15], s[14:15], exec
	s_and_b64 s[16:17], s[20:21], exec
	s_andn2_b64 s[20:21], s[12:13], exec
	s_and_b64 s[18:19], s[18:19], exec
	s_or_b64 s[14:15], s[14:15], s[16:17]
	s_and_b64 s[16:17], s[22:23], exec
	s_or_b64 s[18:19], s[20:21], s[18:19]
.LBB231_506:
	s_or_b64 exec, exec, s[6:7]
	s_andn2_b64 s[6:7], s[10:11], exec
	s_and_b64 s[10:11], s[14:15], exec
	s_andn2_b64 s[12:13], s[12:13], exec
	s_and_b64 s[14:15], s[18:19], exec
	s_or_b64 s[10:11], s[6:7], s[10:11]
	s_and_b64 s[6:7], s[16:17], exec
	s_or_b64 s[12:13], s[12:13], s[14:15]
	s_or_b64 exec, exec, s[8:9]
	s_mov_b64 s[8:9], 0
	s_and_saveexec_b64 s[14:15], s[12:13]
	s_cbranch_execz .LBB231_84
.LBB231_507:
	s_mov_b64 s[8:9], exec
	s_trap 2
	s_andn2_b64 s[6:7], s[6:7], exec
	s_or_b64 exec, exec, s[14:15]
	s_and_saveexec_b64 s[12:13], s[6:7]
	s_cbranch_execnz .LBB231_85
	s_branch .LBB231_94
.LBB231_508:
	s_andn2_saveexec_b64 s[12:13], s[12:13]
	s_cbranch_execz .LBB231_309
.LBB231_509:
	v_cmp_lt_i16_e32 vcc, 22, v11
	s_mov_b64 s[18:19], s[14:15]
                                        ; implicit-def: $vgpr12
	s_and_saveexec_b64 s[10:11], vcc
	s_xor_b64 s[10:11], exec, s[10:11]
	s_cbranch_execz .LBB231_541
; %bb.510:
	v_cmp_lt_i16_e32 vcc, 23, v11
                                        ; implicit-def: $vgpr12
	s_and_saveexec_b64 s[18:19], vcc
	s_xor_b64 s[18:19], exec, s[18:19]
	s_cbranch_execz .LBB231_538
; %bb.511:
	v_cmp_lt_i16_e32 vcc, 24, v11
                                        ; implicit-def: $vgpr12
	s_and_saveexec_b64 s[20:21], vcc
	s_xor_b64 s[20:21], exec, s[20:21]
	s_cbranch_execz .LBB231_527
; %bb.512:
	flat_load_ubyte v2, v[8:9]
	s_movk_i32 s22, 0x7f
	s_waitcnt vmcnt(0) lgkmcnt(0)
	v_cmp_lt_i16_e32 vcc, s22, v2
	s_mov_b64 s[22:23], 0
	s_and_saveexec_b64 s[24:25], vcc
	s_xor_b64 s[24:25], exec, s[24:25]
	s_cbranch_execz .LBB231_565
; %bb.513:
	s_movk_i32 s22, 0x80
	v_cmp_eq_u16_e32 vcc, s22, v2
	s_mov_b64 s[22:23], -1
	s_and_saveexec_b64 s[26:27], vcc
; %bb.514:
	s_xor_b64 s[22:23], exec, -1
; %bb.515:
	s_or_b64 exec, exec, s[26:27]
	s_and_b64 s[22:23], s[22:23], exec
	s_or_saveexec_b64 s[24:25], s[24:25]
	v_mov_b32_e32 v1, 0x7f800001
	s_xor_b64 exec, exec, s[24:25]
	s_cbranch_execnz .LBB231_566
.LBB231_516:
	s_or_b64 exec, exec, s[24:25]
	s_and_saveexec_b64 s[24:25], s[22:23]
	s_cbranch_execz .LBB231_518
.LBB231_517:
	v_lshlrev_b32_e32 v1, 24, v2
	v_and_b32_e32 v2, 0xffff, v2
	v_and_b32_e32 v3, 3, v2
	v_ffbh_u32_e32 v5, v3
	v_min_u32_e32 v5, 32, v5
	v_subrev_u32_e32 v6, 29, v5
	v_bfe_u32 v4, v2, 2, 5
	v_lshlrev_b32_e32 v2, v6, v2
	v_sub_u32_e32 v5, 30, v5
	v_and_b32_e32 v2, 3, v2
	v_cmp_eq_u32_e32 vcc, 0, v4
	v_cndmask_b32_e32 v4, v4, v5, vcc
	v_cndmask_b32_e32 v2, v3, v2, vcc
	v_mov_b32_e32 v3, 0x37800000
	v_lshlrev_b32_e32 v2, 21, v2
	v_and_b32_e32 v1, 0x80000000, v1
	v_lshl_add_u32 v3, v4, 23, v3
	v_or3_b32 v1, v1, v3, v2
.LBB231_518:
	s_or_b64 exec, exec, s[24:25]
	v_and_b32_e32 v3, 0x7fffffff, v1
	s_mov_b32 s22, 0x47800000
	v_cmp_gt_u32_e32 vcc, s22, v3
                                        ; implicit-def: $vgpr2
	s_and_saveexec_b64 s[22:23], vcc
	s_xor_b64 s[22:23], exec, s[22:23]
	s_cbranch_execz .LBB231_524
; %bb.519:
	s_mov_b32 s24, 0x387fffff
	v_cmp_lt_u32_e32 vcc, s24, v3
                                        ; implicit-def: $vgpr2
	s_and_saveexec_b64 s[24:25], vcc
	s_xor_b64 s[24:25], exec, s[24:25]
; %bb.520:
	v_bfe_u32 v2, v1, 21, 1
	s_mov_b32 s26, 0x80fffff
	v_add3_u32 v2, v1, v2, s26
	v_lshrrev_b32_e32 v2, 21, v2
; %bb.521:
	s_andn2_saveexec_b64 s[24:25], s[24:25]
; %bb.522:
	s_mov_b32 s26, 0x43000000
	v_add_f32_e64 v2, |v1|, s26
; %bb.523:
	s_or_b64 exec, exec, s[24:25]
                                        ; implicit-def: $vgpr3
.LBB231_524:
	s_andn2_saveexec_b64 s[22:23], s[22:23]
; %bb.525:
	s_mov_b32 s24, 0x7f800000
	v_mov_b32_e32 v2, 0x7c
	v_mov_b32_e32 v4, 0x7f
	v_cmp_lt_u32_e32 vcc, s24, v3
	v_cndmask_b32_e32 v2, v2, v4, vcc
; %bb.526:
	s_or_b64 exec, exec, s[22:23]
	v_lshrrev_b32_e32 v1, 24, v1
	s_movk_i32 s22, 0x80
	v_and_or_b32 v12, v1, s22, v2
.LBB231_527:
	s_andn2_saveexec_b64 s[20:21], s[20:21]
	s_cbranch_execz .LBB231_537
; %bb.528:
	flat_load_ubyte v1, v[8:9]
	s_mov_b32 s22, 0x7f800000
	s_brev_b32 s23, 1
	s_waitcnt vmcnt(0) lgkmcnt(0)
	v_lshlrev_b32_e32 v1, 24, v1
	v_and_b32_e32 v2, 0x7f000000, v1
	v_ffbh_u32_e32 v3, v2
	v_min_u32_e32 v3, 32, v3
	v_sub_u32_e64 v3, v3, 4 clamp
	v_lshlrev_b32_e32 v5, v3, v2
	v_lshlrev_b32_e32 v3, 23, v3
	v_lshrrev_b32_e32 v5, 4, v5
	v_add_u32_e32 v4, 0x1000000, v2
	v_sub_u32_e32 v3, v5, v3
	v_ashrrev_i32_e32 v4, 8, v4
	v_add_u32_e32 v3, 0x3c000000, v3
	v_and_or_b32 v3, v4, s22, v3
	v_cmp_ne_u32_e32 vcc, 0, v2
	v_cndmask_b32_e32 v4, 0, v3, vcc
	v_and_or_b32 v1, v1, s23, v4
	v_and_b32_e32 v3, 0x7fffffff, v1
	s_mov_b32 s22, 0x47800000
	v_cmp_gt_u32_e32 vcc, s22, v3
                                        ; implicit-def: $vgpr2
	s_and_saveexec_b64 s[22:23], vcc
	s_xor_b64 s[22:23], exec, s[22:23]
	s_cbranch_execz .LBB231_534
; %bb.529:
	s_mov_b32 s24, 0x387fffff
	v_cmp_lt_u32_e32 vcc, s24, v3
                                        ; implicit-def: $vgpr2
	s_and_saveexec_b64 s[24:25], vcc
	s_xor_b64 s[24:25], exec, s[24:25]
; %bb.530:
	v_bfe_u32 v2, v4, 21, 1
	s_mov_b32 s26, 0x80fffff
	v_add3_u32 v2, v1, v2, s26
	v_lshrrev_b32_e32 v2, 21, v2
; %bb.531:
	s_andn2_saveexec_b64 s[24:25], s[24:25]
; %bb.532:
	s_mov_b32 s26, 0x43000000
	v_add_f32_e64 v2, |v1|, s26
; %bb.533:
	s_or_b64 exec, exec, s[24:25]
                                        ; implicit-def: $vgpr3
.LBB231_534:
	s_andn2_saveexec_b64 s[22:23], s[22:23]
; %bb.535:
	s_mov_b32 s24, 0x7f800000
	v_mov_b32_e32 v2, 0x7c
	v_mov_b32_e32 v4, 0x7f
	v_cmp_lt_u32_e32 vcc, s24, v3
	v_cndmask_b32_e32 v2, v2, v4, vcc
; %bb.536:
	s_or_b64 exec, exec, s[22:23]
	v_lshrrev_b32_e32 v1, 24, v1
	s_movk_i32 s22, 0x80
	v_and_or_b32 v12, v1, s22, v2
.LBB231_537:
	s_or_b64 exec, exec, s[20:21]
.LBB231_538:
	s_andn2_saveexec_b64 s[18:19], s[18:19]
	s_cbranch_execz .LBB231_540
; %bb.539:
	flat_load_ubyte v12, v[8:9]
.LBB231_540:
	s_or_b64 exec, exec, s[18:19]
	s_or_b64 s[18:19], s[14:15], exec
.LBB231_541:
	s_or_saveexec_b64 s[10:11], s[10:11]
	s_mov_b64 s[20:21], 0
	s_mov_b64 s[22:23], s[16:17]
	s_xor_b64 exec, exec, s[10:11]
	s_cbranch_execz .LBB231_557
; %bb.542:
	v_cmp_lt_i16_e32 vcc, 14, v11
	s_mov_b64 s[22:23], s[16:17]
	s_mov_b64 s[24:25], s[18:19]
                                        ; implicit-def: $vgpr12
	s_and_saveexec_b64 s[20:21], vcc
	s_xor_b64 s[20:21], exec, s[20:21]
	s_cbranch_execz .LBB231_554
; %bb.543:
	v_cmp_eq_u16_e32 vcc, 15, v11
	s_mov_b64 s[26:27], -1
	s_mov_b64 s[24:25], s[18:19]
                                        ; implicit-def: $vgpr12
	s_and_saveexec_b64 s[22:23], vcc
	s_cbranch_execz .LBB231_553
; %bb.544:
	flat_load_ushort v1, v[8:9]
	s_mov_b32 s24, 0x47800000
                                        ; implicit-def: $vgpr2
	s_waitcnt vmcnt(0) lgkmcnt(0)
	v_lshlrev_b32_e32 v3, 16, v1
	v_and_b32_e32 v4, 0x7fffffff, v3
	v_cmp_gt_u32_e32 vcc, s24, v4
	s_and_saveexec_b64 s[24:25], vcc
	s_xor_b64 s[24:25], exec, s[24:25]
	s_cbranch_execz .LBB231_550
; %bb.545:
	s_mov_b32 s26, 0x387fffff
	v_cmp_lt_u32_e32 vcc, s26, v4
                                        ; implicit-def: $vgpr2
	s_and_saveexec_b64 s[26:27], vcc
	s_xor_b64 s[26:27], exec, s[26:27]
; %bb.546:
	v_bfe_u32 v2, v1, 5, 1
	s_mov_b32 s28, 0x80fffff
	v_add3_u32 v2, v3, v2, s28
	v_lshrrev_b32_e32 v2, 21, v2
                                        ; implicit-def: $vgpr3
; %bb.547:
	s_andn2_saveexec_b64 s[26:27], s[26:27]
; %bb.548:
	s_mov_b32 s28, 0x43000000
	v_add_f32_e64 v2, |v3|, s28
; %bb.549:
	s_or_b64 exec, exec, s[26:27]
                                        ; implicit-def: $vgpr4
.LBB231_550:
	s_andn2_saveexec_b64 s[24:25], s[24:25]
; %bb.551:
	s_mov_b32 s26, 0x7f800000
	v_mov_b32_e32 v2, 0x7c
	v_mov_b32_e32 v3, 0x7f
	v_cmp_lt_u32_e32 vcc, s26, v4
	v_cndmask_b32_e32 v2, v2, v3, vcc
; %bb.552:
	s_or_b64 exec, exec, s[24:25]
	v_lshrrev_b32_e32 v1, 8, v1
	s_movk_i32 s24, 0x80
	v_and_or_b32 v12, v1, s24, v2
	s_or_b64 s[24:25], s[18:19], exec
	s_xor_b64 s[26:27], exec, -1
.LBB231_553:
	s_or_b64 exec, exec, s[22:23]
	s_andn2_b64 s[22:23], s[18:19], exec
	s_and_b64 s[24:25], s[24:25], exec
	s_or_b64 s[24:25], s[22:23], s[24:25]
	s_andn2_b64 s[22:23], s[16:17], exec
	s_and_b64 s[26:27], s[26:27], exec
	s_or_b64 s[22:23], s[22:23], s[26:27]
.LBB231_554:
	s_or_saveexec_b64 s[20:21], s[20:21]
	s_mov_b64 s[26:27], 0
	s_xor_b64 exec, exec, s[20:21]
; %bb.555:
	v_cmp_ne_u16_e32 vcc, 11, v11
	s_andn2_b64 s[22:23], s[22:23], exec
	s_and_b64 s[28:29], vcc, exec
	s_mov_b64 s[26:27], exec
	s_or_b64 s[22:23], s[22:23], s[28:29]
; %bb.556:
	s_or_b64 exec, exec, s[20:21]
	s_andn2_b64 s[18:19], s[18:19], exec
	s_and_b64 s[20:21], s[24:25], exec
	s_andn2_b64 s[24:25], s[16:17], exec
	s_and_b64 s[22:23], s[22:23], exec
	s_or_b64 s[18:19], s[18:19], s[20:21]
	s_and_b64 s[20:21], s[26:27], exec
	s_or_b64 s[22:23], s[24:25], s[22:23]
.LBB231_557:
	s_or_b64 exec, exec, s[10:11]
	s_andn2_b64 s[10:11], s[14:15], exec
	s_and_b64 s[14:15], s[18:19], exec
	s_andn2_b64 s[16:17], s[16:17], exec
	s_and_b64 s[18:19], s[22:23], exec
	s_or_b64 s[14:15], s[10:11], s[14:15]
	s_and_b64 s[10:11], s[20:21], exec
	s_or_b64 s[16:17], s[16:17], s[18:19]
	s_or_b64 exec, exec, s[12:13]
	s_mov_b64 s[18:19], s[6:7]
	s_and_saveexec_b64 s[12:13], s[16:17]
	s_cbranch_execz .LBB231_310
.LBB231_558:
	s_andn2_b64 s[10:11], s[10:11], exec
	s_or_b64 s[18:19], s[6:7], exec
	s_trap 2
	s_branch .LBB231_310
.LBB231_559:
	s_or_saveexec_b64 s[20:21], s[20:21]
	v_mov_b32_e32 v10, 0x7f800001
	s_xor_b64 exec, exec, s[20:21]
	s_cbranch_execz .LBB231_70
.LBB231_560:
	v_cmp_ne_u16_e32 vcc, 0, v11
	s_andn2_b64 s[18:19], s[18:19], exec
	s_and_b64 s[22:23], vcc, exec
	v_mov_b32_e32 v10, 0
	s_or_b64 s[18:19], s[18:19], s[22:23]
	s_or_b64 exec, exec, s[20:21]
	s_and_saveexec_b64 s[20:21], s[18:19]
	s_cbranch_execnz .LBB231_71
	s_branch .LBB231_72
.LBB231_561:
	s_or_saveexec_b64 s[24:25], s[24:25]
	v_mov_b32_e32 v1, 0x7f800001
	s_xor_b64 exec, exec, s[24:25]
	s_cbranch_execz .LBB231_296
.LBB231_562:
	v_cmp_ne_u16_e32 vcc, 0, v2
	s_andn2_b64 s[22:23], s[22:23], exec
	s_and_b64 s[26:27], vcc, exec
	v_mov_b32_e32 v1, 0
	s_or_b64 s[22:23], s[22:23], s[26:27]
	s_or_b64 exec, exec, s[24:25]
	s_and_saveexec_b64 s[24:25], s[22:23]
	s_cbranch_execnz .LBB231_297
	s_branch .LBB231_298
.LBB231_563:
	s_or_saveexec_b64 s[20:21], s[20:21]
	v_mov_b32_e32 v10, 0x7f800001
	s_xor_b64 exec, exec, s[20:21]
	s_cbranch_execz .LBB231_465
.LBB231_564:
	v_cmp_ne_u16_e32 vcc, 0, v11
	s_andn2_b64 s[18:19], s[18:19], exec
	s_and_b64 s[22:23], vcc, exec
	v_mov_b32_e32 v10, 0
	s_or_b64 s[18:19], s[18:19], s[22:23]
	s_or_b64 exec, exec, s[20:21]
	s_and_saveexec_b64 s[20:21], s[18:19]
	s_cbranch_execnz .LBB231_466
	s_branch .LBB231_467
.LBB231_565:
	s_or_saveexec_b64 s[24:25], s[24:25]
	v_mov_b32_e32 v1, 0x7f800001
	s_xor_b64 exec, exec, s[24:25]
	s_cbranch_execz .LBB231_516
.LBB231_566:
	v_cmp_ne_u16_e32 vcc, 0, v2
	s_andn2_b64 s[22:23], s[22:23], exec
	s_and_b64 s[26:27], vcc, exec
	v_mov_b32_e32 v1, 0
	s_or_b64 s[22:23], s[22:23], s[26:27]
	s_or_b64 exec, exec, s[24:25]
	s_and_saveexec_b64 s[24:25], s[22:23]
	s_cbranch_execnz .LBB231_517
	s_branch .LBB231_518
.Lfunc_end231:
	.size	_ZN2at6native6invokeINS0_13BinaryFunctorIN3c1011Float8_e5m2ES4_bNS0_12_GLOBAL__N_116CompareEqFunctorIS4_EEEEi15function_traitsIS8_EEENT1_11result_typeERKT_PrKPcPKT0_PKNS3_10ScalarTypeEi, .Lfunc_end231-_ZN2at6native6invokeINS0_13BinaryFunctorIN3c1011Float8_e5m2ES4_bNS0_12_GLOBAL__N_116CompareEqFunctorIS4_EEEEi15function_traitsIS8_EEENT1_11result_typeERKT_PrKPcPKT0_PKNS3_10ScalarTypeEi
                                        ; -- End function
	.set .L_ZN2at6native6invokeINS0_13BinaryFunctorIN3c1011Float8_e5m2ES4_bNS0_12_GLOBAL__N_116CompareEqFunctorIS4_EEEEi15function_traitsIS8_EEENT1_11result_typeERKT_PrKPcPKT0_PKNS3_10ScalarTypeEi.num_vgpr, 16
	.set .L_ZN2at6native6invokeINS0_13BinaryFunctorIN3c1011Float8_e5m2ES4_bNS0_12_GLOBAL__N_116CompareEqFunctorIS4_EEEEi15function_traitsIS8_EEENT1_11result_typeERKT_PrKPcPKT0_PKNS3_10ScalarTypeEi.num_agpr, 0
	.set .L_ZN2at6native6invokeINS0_13BinaryFunctorIN3c1011Float8_e5m2ES4_bNS0_12_GLOBAL__N_116CompareEqFunctorIS4_EEEEi15function_traitsIS8_EEENT1_11result_typeERKT_PrKPcPKT0_PKNS3_10ScalarTypeEi.numbered_sgpr, 41
	.set .L_ZN2at6native6invokeINS0_13BinaryFunctorIN3c1011Float8_e5m2ES4_bNS0_12_GLOBAL__N_116CompareEqFunctorIS4_EEEEi15function_traitsIS8_EEENT1_11result_typeERKT_PrKPcPKT0_PKNS3_10ScalarTypeEi.num_named_barrier, 0
	.set .L_ZN2at6native6invokeINS0_13BinaryFunctorIN3c1011Float8_e5m2ES4_bNS0_12_GLOBAL__N_116CompareEqFunctorIS4_EEEEi15function_traitsIS8_EEENT1_11result_typeERKT_PrKPcPKT0_PKNS3_10ScalarTypeEi.private_seg_size, 0
	.set .L_ZN2at6native6invokeINS0_13BinaryFunctorIN3c1011Float8_e5m2ES4_bNS0_12_GLOBAL__N_116CompareEqFunctorIS4_EEEEi15function_traitsIS8_EEENT1_11result_typeERKT_PrKPcPKT0_PKNS3_10ScalarTypeEi.uses_vcc, 1
	.set .L_ZN2at6native6invokeINS0_13BinaryFunctorIN3c1011Float8_e5m2ES4_bNS0_12_GLOBAL__N_116CompareEqFunctorIS4_EEEEi15function_traitsIS8_EEENT1_11result_typeERKT_PrKPcPKT0_PKNS3_10ScalarTypeEi.uses_flat_scratch, 0
	.set .L_ZN2at6native6invokeINS0_13BinaryFunctorIN3c1011Float8_e5m2ES4_bNS0_12_GLOBAL__N_116CompareEqFunctorIS4_EEEEi15function_traitsIS8_EEENT1_11result_typeERKT_PrKPcPKT0_PKNS3_10ScalarTypeEi.has_dyn_sized_stack, 0
	.set .L_ZN2at6native6invokeINS0_13BinaryFunctorIN3c1011Float8_e5m2ES4_bNS0_12_GLOBAL__N_116CompareEqFunctorIS4_EEEEi15function_traitsIS8_EEENT1_11result_typeERKT_PrKPcPKT0_PKNS3_10ScalarTypeEi.has_recursion, 0
	.set .L_ZN2at6native6invokeINS0_13BinaryFunctorIN3c1011Float8_e5m2ES4_bNS0_12_GLOBAL__N_116CompareEqFunctorIS4_EEEEi15function_traitsIS8_EEENT1_11result_typeERKT_PrKPcPKT0_PKNS3_10ScalarTypeEi.has_indirect_call, 0
	.section	.AMDGPU.csdata,"",@progbits
; Function info:
; codeLenInByte = 10972
; TotalNumSgprs: 45
; NumVgprs: 16
; ScratchSize: 0
; MemoryBound: 0
	.section	.text._ZN2at6native32elementwise_kernel_manual_unrollILi128ELi4EZNS0_15gpu_kernel_implINS0_13BinaryFunctorIN3c1011Float8_e5m2ES5_bNS0_12_GLOBAL__N_116CompareEqFunctorIS5_EEEEEEvRNS_18TensorIteratorBaseERKT_EUlibE_EEviT1_,"axG",@progbits,_ZN2at6native32elementwise_kernel_manual_unrollILi128ELi4EZNS0_15gpu_kernel_implINS0_13BinaryFunctorIN3c1011Float8_e5m2ES5_bNS0_12_GLOBAL__N_116CompareEqFunctorIS5_EEEEEEvRNS_18TensorIteratorBaseERKT_EUlibE_EEviT1_,comdat
	.globl	_ZN2at6native32elementwise_kernel_manual_unrollILi128ELi4EZNS0_15gpu_kernel_implINS0_13BinaryFunctorIN3c1011Float8_e5m2ES5_bNS0_12_GLOBAL__N_116CompareEqFunctorIS5_EEEEEEvRNS_18TensorIteratorBaseERKT_EUlibE_EEviT1_ ; -- Begin function _ZN2at6native32elementwise_kernel_manual_unrollILi128ELi4EZNS0_15gpu_kernel_implINS0_13BinaryFunctorIN3c1011Float8_e5m2ES5_bNS0_12_GLOBAL__N_116CompareEqFunctorIS5_EEEEEEvRNS_18TensorIteratorBaseERKT_EUlibE_EEviT1_
	.p2align	8
	.type	_ZN2at6native32elementwise_kernel_manual_unrollILi128ELi4EZNS0_15gpu_kernel_implINS0_13BinaryFunctorIN3c1011Float8_e5m2ES5_bNS0_12_GLOBAL__N_116CompareEqFunctorIS5_EEEEEEvRNS_18TensorIteratorBaseERKT_EUlibE_EEviT1_,@function
_ZN2at6native32elementwise_kernel_manual_unrollILi128ELi4EZNS0_15gpu_kernel_implINS0_13BinaryFunctorIN3c1011Float8_e5m2ES5_bNS0_12_GLOBAL__N_116CompareEqFunctorIS5_EEEEEEvRNS_18TensorIteratorBaseERKT_EUlibE_EEviT1_: ; @_ZN2at6native32elementwise_kernel_manual_unrollILi128ELi4EZNS0_15gpu_kernel_implINS0_13BinaryFunctorIN3c1011Float8_e5m2ES5_bNS0_12_GLOBAL__N_116CompareEqFunctorIS5_EEEEEEvRNS_18TensorIteratorBaseERKT_EUlibE_EEviT1_
; %bb.0:
	s_add_u32 flat_scratch_lo, s6, s9
	s_load_dwordx8 s[12:19], s[4:5], 0x8
	s_load_dword s33, s[4:5], 0x0
	s_load_dwordx4 s[20:23], s[4:5], 0x28
	s_addc_u32 flat_scratch_hi, s7, 0
	s_add_u32 s0, s0, s9
	s_addc_u32 s1, s1, 0
	s_waitcnt lgkmcnt(0)
	v_mov_b32_e32 v1, s15
	buffer_store_dword v1, off, s[0:3], 0 offset:12
	v_mov_b32_e32 v1, s14
	buffer_store_dword v1, off, s[0:3], 0 offset:8
	;; [unrolled: 2-line block ×3, first 2 shown]
	v_mov_b32_e32 v1, s12
	buffer_store_dword v1, off, s[0:3], 0
	v_mov_b32_e32 v1, s19
	buffer_store_dword v1, off, s[0:3], 0 offset:28
	v_mov_b32_e32 v1, s18
	buffer_store_dword v1, off, s[0:3], 0 offset:24
	;; [unrolled: 2-line block ×5, first 2 shown]
	v_mov_b32_e32 v1, s22
	v_lshl_or_b32 v7, s8, 9, v0
	buffer_store_dword v1, off, s[0:3], 0 offset:40
	v_mov_b32_e32 v1, s21
	v_or_b32_e32 v0, 0x180, v7
	buffer_store_dword v1, off, s[0:3], 0 offset:36
	v_mov_b32_e32 v1, s20
	v_cmp_le_i32_e32 vcc, s33, v0
	s_mov_b64 s[38:39], 0
	s_mov_b64 s[34:35], 0
	s_movk_i32 s32, 0x1000
	buffer_store_dword v1, off, s[0:3], 0 offset:32
	s_and_saveexec_b64 s[4:5], vcc
	s_xor_b64 s[36:37], exec, s[4:5]
	s_cbranch_execz .LBB232_394
; %bb.1:
	buffer_load_dword v18, off, s[0:3], 0
	buffer_load_dword v19, off, s[0:3], 0 offset:4
	buffer_load_dword v20, off, s[0:3], 0 offset:24
	;; [unrolled: 1-line block ×3, first 2 shown]
	buffer_load_ubyte v17, off, s[0:3], 0 offset:40
	s_mov_b64 s[4:5], src_private_base
	s_add_u32 s41, 0, 8
	s_addc_u32 s54, s5, 0
	s_add_u32 s55, 0, 28
	s_addc_u32 s56, s5, 0
	;; [unrolled: 2-line block ×3, first 2 shown]
	v_cmp_gt_i32_e32 vcc, s33, v7
	s_mov_b64 s[4:5], -1
	s_mov_b64 s[46:47], 0
	s_and_saveexec_b64 s[42:43], vcc
	s_cbranch_execz .LBB232_87
; %bb.2:
	s_getpc_b64 s[4:5]
	s_add_u32 s4, s4, _ZN2at6native6invokeINS0_13BinaryFunctorIN3c1011Float8_e5m2ES4_bNS0_12_GLOBAL__N_116CompareEqFunctorIS4_EEEEi15function_traitsIS8_EEENT1_11result_typeERKT_PrKPcPKT0_PKNS3_10ScalarTypeEi@rel32@lo+4
	s_addc_u32 s5, s5, _ZN2at6native6invokeINS0_13BinaryFunctorIN3c1011Float8_e5m2ES4_bNS0_12_GLOBAL__N_116CompareEqFunctorIS4_EEEEi15function_traitsIS8_EEENT1_11result_typeERKT_PrKPcPKT0_PKNS3_10ScalarTypeEi@rel32@hi+12
	s_waitcnt vmcnt(1)
	v_mov_b32_e32 v0, v16
	v_mov_b32_e32 v1, s41
	;; [unrolled: 1-line block ×7, first 2 shown]
	s_swappc_b64 s[30:31], s[4:5]
	v_and_b32_e32 v0, 1, v0
	v_cmp_eq_u32_e32 vcc, 1, v0
	v_mul_lo_u32 v0, v20, v7
	v_mov_b32_e32 v2, 10
	v_cmp_gt_i16_sdwa s[8:9], v17, v2 src0_sel:BYTE_0 src1_sel:DWORD
	s_mov_b64 s[6:7], 0
	v_ashrrev_i32_e32 v1, 31, v0
	v_add_co_u32_e64 v0, s[4:5], v18, v0
	v_addc_co_u32_e64 v1, s[4:5], v19, v1, s[4:5]
	s_mov_b64 s[4:5], 0
	s_and_saveexec_b64 s[10:11], s[8:9]
	s_xor_b64 s[8:9], exec, s[10:11]
	s_cbranch_execz .LBB232_2096
; %bb.3:
	v_mov_b32_e32 v2, 25
	v_cmp_gt_i16_sdwa s[4:5], v17, v2 src0_sel:BYTE_0 src1_sel:DWORD
	s_mov_b64 s[10:11], 0
	s_and_saveexec_b64 s[12:13], s[4:5]
	s_xor_b64 s[12:13], exec, s[12:13]
	s_cbranch_execz .LBB232_39
; %bb.4:
	v_mov_b32_e32 v2, 28
	v_cmp_gt_i16_sdwa s[4:5], v17, v2 src0_sel:BYTE_0 src1_sel:DWORD
	;; [unrolled: 7-line block ×4, first 2 shown]
	s_mov_b64 s[16:17], 0
	s_mov_b64 s[18:19], 0
	s_and_saveexec_b64 s[6:7], s[4:5]
	s_xor_b64 s[4:5], exec, s[6:7]
	s_cbranch_execz .LBB232_10
; %bb.7:
	v_mov_b32_e32 v2, 46
	v_cmp_eq_u16_sdwa s[20:21], v17, v2 src0_sel:BYTE_0 src1_sel:DWORD
	s_mov_b64 s[6:7], 0
	s_mov_b64 s[18:19], -1
	s_and_saveexec_b64 s[16:17], s[20:21]
	s_cbranch_execz .LBB232_9
; %bb.8:
	v_cndmask_b32_e64 v2, 0, 1.0, vcc
	v_bfe_u32 v3, v2, 16, 1
	s_movk_i32 s18, 0x7fff
	v_add3_u32 v2, v2, v3, s18
	v_lshrrev_b32_e32 v2, 16, v2
	s_mov_b64 s[6:7], exec
	flat_store_dword v[0:1], v2
	s_xor_b64 s[18:19], exec, -1
.LBB232_9:
	s_or_b64 exec, exec, s[16:17]
	s_and_b64 s[18:19], s[18:19], exec
	s_and_b64 s[16:17], s[6:7], exec
                                        ; implicit-def: $vgpr0_vgpr1
.LBB232_10:
	s_andn2_saveexec_b64 s[20:21], s[4:5]
	s_cbranch_execz .LBB232_16
; %bb.11:
	v_mov_b32_e32 v2, 44
	v_cmp_eq_u16_sdwa s[24:25], v17, v2 src0_sel:BYTE_0 src1_sel:DWORD
	s_mov_b64 s[6:7], -1
	s_mov_b64 s[4:5], s[16:17]
	s_and_saveexec_b64 s[22:23], s[24:25]
	s_cbranch_execz .LBB232_15
; %bb.12:
	v_cndmask_b32_e64 v3, 0, 1.0, vcc
	v_lshrrev_b32_e32 v2, 23, v3
	s_movk_i32 s4, 0xff
	v_cmp_ne_u32_e64 s[4:5], s4, v2
	v_mov_b32_e32 v4, 0xff
	s_and_saveexec_b64 s[24:25], s[4:5]
; %bb.13:
	s_mov_b32 s6, 0x3fffff
	v_and_b32_e32 v4, 0x400000, v3
	v_and_or_b32 v3, v3, s6, v2
	v_cmp_ne_u32_e64 s[4:5], 0, v4
	v_cmp_ne_u32_e64 s[6:7], 0, v3
	s_and_b64 s[4:5], s[4:5], s[6:7]
	v_cndmask_b32_e64 v3, 0, 1, s[4:5]
	v_add_u32_e32 v4, v2, v3
; %bb.14:
	s_or_b64 exec, exec, s[24:25]
	s_xor_b64 s[6:7], exec, -1
	s_or_b64 s[4:5], s[16:17], exec
	flat_store_byte v[0:1], v4
.LBB232_15:
	s_or_b64 exec, exec, s[22:23]
	s_andn2_b64 s[18:19], s[18:19], exec
	s_and_b64 s[6:7], s[6:7], exec
	s_or_b64 s[18:19], s[18:19], s[6:7]
	s_andn2_b64 s[6:7], s[16:17], exec
	s_and_b64 s[4:5], s[4:5], exec
	s_or_b64 s[16:17], s[6:7], s[4:5]
.LBB232_16:
	s_or_b64 exec, exec, s[20:21]
	s_and_b64 s[6:7], s[18:19], exec
	s_and_b64 s[4:5], s[16:17], exec
                                        ; implicit-def: $vgpr0_vgpr1
.LBB232_17:
	s_andn2_saveexec_b64 s[14:15], s[14:15]
	s_cbranch_execz .LBB232_21
; %bb.18:
	v_mov_b32_e32 v2, 29
	v_cmp_eq_u16_sdwa s[22:23], v17, v2 src0_sel:BYTE_0 src1_sel:DWORD
	s_mov_b64 s[18:19], -1
	s_mov_b64 s[16:17], s[4:5]
	s_and_saveexec_b64 s[20:21], s[22:23]
	s_cbranch_execz .LBB232_20
; %bb.19:
	s_mov_b32 s16, 0
	v_cndmask_b32_e64 v2, 0, 1, vcc
	v_mov_b32_e32 v3, s16
	flat_store_dwordx2 v[0:1], v[2:3]
	s_xor_b64 s[18:19], exec, -1
	s_or_b64 s[16:17], s[4:5], exec
.LBB232_20:
	s_or_b64 exec, exec, s[20:21]
	s_andn2_b64 s[6:7], s[6:7], exec
	s_and_b64 s[18:19], s[18:19], exec
	s_andn2_b64 s[4:5], s[4:5], exec
	s_and_b64 s[16:17], s[16:17], exec
	s_or_b64 s[6:7], s[6:7], s[18:19]
	s_or_b64 s[4:5], s[4:5], s[16:17]
.LBB232_21:
	s_or_b64 exec, exec, s[14:15]
	s_and_b64 s[14:15], s[6:7], exec
	s_and_b64 s[6:7], s[4:5], exec
                                        ; implicit-def: $vgpr0_vgpr1
.LBB232_22:
	s_andn2_saveexec_b64 s[10:11], s[10:11]
	s_cbranch_execz .LBB232_38
; %bb.23:
	v_mov_b32_e32 v2, 26
	v_cmp_gt_i16_sdwa s[4:5], v17, v2 src0_sel:BYTE_0 src1_sel:DWORD
	s_and_saveexec_b64 s[16:17], s[4:5]
	s_xor_b64 s[4:5], exec, s[16:17]
	s_cbranch_execz .LBB232_29
; %bb.24:
	v_mov_b32_e32 v2, 27
	v_cmp_gt_i16_sdwa s[16:17], v17, v2 src0_sel:BYTE_0 src1_sel:DWORD
	s_and_saveexec_b64 s[18:19], s[16:17]
	s_xor_b64 s[16:17], exec, s[18:19]
	s_cbranch_execz .LBB232_26
; %bb.25:
	v_cndmask_b32_e64 v2, 0, 1, vcc
	flat_store_dword v[0:1], v2
                                        ; implicit-def: $vgpr0_vgpr1
.LBB232_26:
	s_andn2_saveexec_b64 s[16:17], s[16:17]
	s_cbranch_execz .LBB232_28
; %bb.27:
	v_cndmask_b32_e64 v2, 0, 1, vcc
	flat_store_short v[0:1], v2
.LBB232_28:
	s_or_b64 exec, exec, s[16:17]
                                        ; implicit-def: $vgpr0_vgpr1
.LBB232_29:
	s_andn2_saveexec_b64 s[16:17], s[4:5]
	s_cbranch_execz .LBB232_37
; %bb.30:
	v_cndmask_b32_e64 v3, 0, 1.0, vcc
	s_mov_b32 s4, 0x43800000
	v_cmp_gt_u32_e64 s[4:5], s4, v3
	v_mov_b32_e32 v4, 0x80
	s_and_saveexec_b64 s[18:19], s[4:5]
	s_cbranch_execz .LBB232_36
; %bb.31:
	s_mov_b32 s4, 0x3bffffff
	v_cmp_lt_u32_e64 s[4:5], s4, v3
	s_mov_b64 s[20:21], 0
                                        ; implicit-def: $vgpr2
	s_and_saveexec_b64 s[22:23], s[4:5]
	s_xor_b64 s[4:5], exec, s[22:23]
	s_cbranch_execz .LBB232_2483
; %bb.32:
	v_bfe_u32 v2, v3, 20, 1
	s_mov_b32 s22, 0x487ffff
	v_add3_u32 v2, v3, v2, s22
	s_mov_b64 s[20:21], exec
	v_lshrrev_b32_e32 v2, 20, v2
                                        ; implicit-def: $vgpr3
	s_andn2_saveexec_b64 s[22:23], s[4:5]
	s_cbranch_execnz .LBB232_2484
.LBB232_33:
	s_or_b64 exec, exec, s[22:23]
	v_mov_b32_e32 v4, 0
	s_and_saveexec_b64 s[4:5], s[20:21]
.LBB232_34:
	v_mov_b32_e32 v4, v2
.LBB232_35:
	s_or_b64 exec, exec, s[4:5]
.LBB232_36:
	s_or_b64 exec, exec, s[18:19]
	flat_store_byte v[0:1], v4
.LBB232_37:
	s_or_b64 exec, exec, s[16:17]
	s_or_b64 s[6:7], s[6:7], exec
.LBB232_38:
	s_or_b64 exec, exec, s[10:11]
	s_and_b64 s[10:11], s[14:15], exec
	s_and_b64 s[6:7], s[6:7], exec
                                        ; implicit-def: $vgpr0_vgpr1
.LBB232_39:
	s_andn2_saveexec_b64 s[12:13], s[12:13]
	s_cbranch_execz .LBB232_83
; %bb.40:
	v_mov_b32_e32 v2, 22
	v_cmp_gt_i16_sdwa s[14:15], v17, v2 src0_sel:BYTE_0 src1_sel:DWORD
	s_mov_b64 s[4:5], s[6:7]
	s_and_saveexec_b64 s[16:17], s[14:15]
	s_xor_b64 s[14:15], exec, s[16:17]
	s_cbranch_execz .LBB232_72
; %bb.41:
	v_mov_b32_e32 v2, 23
	v_cmp_gt_i16_sdwa s[4:5], v17, v2 src0_sel:BYTE_0 src1_sel:DWORD
	s_and_saveexec_b64 s[16:17], s[4:5]
	s_xor_b64 s[16:17], exec, s[16:17]
	s_cbranch_execz .LBB232_61
; %bb.42:
	v_mov_b32_e32 v2, 24
	v_cmp_gt_i16_sdwa s[4:5], v17, v2 src0_sel:BYTE_0 src1_sel:DWORD
	s_and_saveexec_b64 s[18:19], s[4:5]
	s_xor_b64 s[18:19], exec, s[18:19]
	s_cbranch_execz .LBB232_50
; %bb.43:
	v_cndmask_b32_e64 v3, 0, 1.0, vcc
	s_mov_b32 s4, 0x47800000
	v_cmp_gt_u32_e64 s[4:5], s4, v3
	v_mov_b32_e32 v4, 0x80
	s_and_saveexec_b64 s[20:21], s[4:5]
	s_cbranch_execz .LBB232_49
; %bb.44:
	s_mov_b32 s4, 0x37ffffff
	v_cmp_lt_u32_e64 s[4:5], s4, v3
	s_mov_b64 s[22:23], 0
                                        ; implicit-def: $vgpr2
	s_and_saveexec_b64 s[24:25], s[4:5]
	s_xor_b64 s[4:5], exec, s[24:25]
	s_cbranch_execz .LBB232_2540
; %bb.45:
	v_bfe_u32 v2, v3, 21, 1
	s_mov_b32 s24, 0x88fffff
	v_add3_u32 v2, v3, v2, s24
	s_mov_b64 s[22:23], exec
	v_lshrrev_b32_e32 v2, 21, v2
                                        ; implicit-def: $vgpr3
	s_andn2_saveexec_b64 s[24:25], s[4:5]
	s_cbranch_execnz .LBB232_2541
.LBB232_46:
	s_or_b64 exec, exec, s[24:25]
	v_mov_b32_e32 v4, 0
	s_and_saveexec_b64 s[4:5], s[22:23]
.LBB232_47:
	v_mov_b32_e32 v4, v2
.LBB232_48:
	s_or_b64 exec, exec, s[4:5]
.LBB232_49:
	s_or_b64 exec, exec, s[20:21]
	flat_store_byte v[0:1], v4
                                        ; implicit-def: $vgpr0_vgpr1
.LBB232_50:
	s_andn2_saveexec_b64 s[18:19], s[18:19]
	s_cbranch_execz .LBB232_60
; %bb.51:
	v_cndmask_b32_e64 v2, 0, 1.0, vcc
	s_mov_b32 s4, 0x43f00000
	v_cmp_gt_u32_e64 s[4:5], s4, v2
                                        ; implicit-def: $vgpr3
	s_and_saveexec_b64 s[20:21], s[4:5]
	s_xor_b64 s[20:21], exec, s[20:21]
	s_cbranch_execz .LBB232_57
; %bb.52:
	s_mov_b32 s4, 0x3c7fffff
	v_cmp_lt_u32_e64 s[4:5], s4, v2
                                        ; implicit-def: $vgpr3
	s_and_saveexec_b64 s[22:23], s[4:5]
	s_xor_b64 s[22:23], exec, s[22:23]
; %bb.53:
	v_bfe_u32 v3, v2, 20, 1
	s_mov_b32 s4, 0x407ffff
	v_add3_u32 v2, v2, v3, s4
	v_lshrrev_b32_e32 v3, 20, v2
	v_and_b32_e32 v2, 0xff00000, v2
	s_mov_b32 s4, 0x7f00000
	v_mov_b32_e32 v4, 0x7e
	v_cmp_ne_u32_e64 s[4:5], s4, v2
	v_cndmask_b32_e64 v3, v4, v3, s[4:5]
                                        ; implicit-def: $vgpr2
; %bb.54:
	s_andn2_saveexec_b64 s[4:5], s[22:23]
; %bb.55:
	v_add_f32_e32 v3, 0x46800000, v2
; %bb.56:
	s_or_b64 exec, exec, s[4:5]
                                        ; implicit-def: $vgpr2
.LBB232_57:
	s_andn2_saveexec_b64 s[20:21], s[20:21]
; %bb.58:
	s_mov_b32 s4, 0x7f800000
	v_mov_b32_e32 v3, 0x7e
	v_mov_b32_e32 v4, 0x7f
	v_cmp_lt_u32_e64 s[4:5], s4, v2
	v_cndmask_b32_e64 v3, v3, v4, s[4:5]
; %bb.59:
	s_or_b64 exec, exec, s[20:21]
	flat_store_byte v[0:1], v3
.LBB232_60:
	s_or_b64 exec, exec, s[18:19]
                                        ; implicit-def: $vgpr0_vgpr1
.LBB232_61:
	s_andn2_saveexec_b64 s[16:17], s[16:17]
	s_cbranch_execz .LBB232_71
; %bb.62:
	v_cndmask_b32_e64 v2, 0, 1.0, vcc
	s_mov_b32 s4, 0x47800000
	v_cmp_gt_u32_e64 s[4:5], s4, v2
                                        ; implicit-def: $vgpr3
	s_and_saveexec_b64 s[18:19], s[4:5]
	s_xor_b64 s[18:19], exec, s[18:19]
	s_cbranch_execz .LBB232_68
; %bb.63:
	s_mov_b32 s4, 0x387fffff
	v_cmp_lt_u32_e64 s[4:5], s4, v2
                                        ; implicit-def: $vgpr3
	s_and_saveexec_b64 s[20:21], s[4:5]
	s_xor_b64 s[4:5], exec, s[20:21]
; %bb.64:
	v_bfe_u32 v3, v2, 21, 1
	s_mov_b32 s20, 0x80fffff
	v_add3_u32 v2, v2, v3, s20
	v_lshrrev_b32_e32 v3, 21, v2
                                        ; implicit-def: $vgpr2
; %bb.65:
	s_andn2_saveexec_b64 s[4:5], s[4:5]
; %bb.66:
	v_add_f32_e32 v3, 0x43000000, v2
; %bb.67:
	s_or_b64 exec, exec, s[4:5]
                                        ; implicit-def: $vgpr2
.LBB232_68:
	s_andn2_saveexec_b64 s[18:19], s[18:19]
; %bb.69:
	s_mov_b32 s4, 0x7f800000
	v_mov_b32_e32 v3, 0x7c
	v_mov_b32_e32 v4, 0x7f
	v_cmp_lt_u32_e64 s[4:5], s4, v2
	v_cndmask_b32_e64 v3, v3, v4, s[4:5]
; %bb.70:
	s_or_b64 exec, exec, s[18:19]
	flat_store_byte v[0:1], v3
.LBB232_71:
	s_or_b64 exec, exec, s[16:17]
	s_or_b64 s[4:5], s[6:7], exec
                                        ; implicit-def: $vgpr0_vgpr1
.LBB232_72:
	s_or_saveexec_b64 s[14:15], s[14:15]
	s_mov_b64 s[18:19], s[10:11]
	s_xor_b64 exec, exec, s[14:15]
	s_cbranch_execz .LBB232_82
; %bb.73:
	v_mov_b32_e32 v2, 14
	v_cmp_gt_i16_sdwa s[20:21], v17, v2 src0_sel:BYTE_0 src1_sel:DWORD
	s_mov_b64 s[16:17], s[4:5]
	s_mov_b64 s[18:19], s[10:11]
	s_and_saveexec_b64 s[22:23], s[20:21]
	s_xor_b64 s[20:21], exec, s[22:23]
	s_cbranch_execz .LBB232_77
; %bb.74:
	v_mov_b32_e32 v2, 15
	v_cmp_eq_u16_sdwa s[24:25], v17, v2 src0_sel:BYTE_0 src1_sel:DWORD
	s_mov_b64 s[18:19], -1
	s_mov_b64 s[16:17], s[4:5]
	s_and_saveexec_b64 s[22:23], s[24:25]
	s_cbranch_execz .LBB232_76
; %bb.75:
	v_cndmask_b32_e64 v2, 0, 1.0, vcc
	v_bfe_u32 v3, v2, 16, 1
	s_movk_i32 s16, 0x7fff
	v_add3_u32 v2, v2, v3, s16
	flat_store_short_d16_hi v[0:1], v2
	s_xor_b64 s[18:19], exec, -1
	s_or_b64 s[16:17], s[4:5], exec
.LBB232_76:
	s_or_b64 exec, exec, s[22:23]
	s_andn2_b64 s[22:23], s[10:11], exec
	s_and_b64 s[18:19], s[18:19], exec
	s_or_b64 s[18:19], s[22:23], s[18:19]
	s_andn2_b64 s[22:23], s[4:5], exec
	s_and_b64 s[16:17], s[16:17], exec
	s_or_b64 s[16:17], s[22:23], s[16:17]
                                        ; implicit-def: $vgpr0_vgpr1
.LBB232_77:
	s_andn2_saveexec_b64 s[20:21], s[20:21]
	s_cbranch_execz .LBB232_81
; %bb.78:
	v_mov_b32_e32 v2, 11
	v_cmp_eq_u16_sdwa s[28:29], v17, v2 src0_sel:BYTE_0 src1_sel:DWORD
	s_mov_b64 s[24:25], -1
	s_mov_b64 s[22:23], s[16:17]
	s_and_saveexec_b64 s[26:27], s[28:29]
	s_cbranch_execz .LBB232_80
; %bb.79:
	v_cndmask_b32_e64 v2, 0, 1, vcc
	flat_store_byte v[0:1], v2
	s_xor_b64 s[24:25], exec, -1
	s_or_b64 s[22:23], s[16:17], exec
.LBB232_80:
	s_or_b64 exec, exec, s[26:27]
	s_andn2_b64 s[18:19], s[18:19], exec
	s_and_b64 s[24:25], s[24:25], exec
	s_andn2_b64 s[16:17], s[16:17], exec
	s_and_b64 s[22:23], s[22:23], exec
	s_or_b64 s[18:19], s[18:19], s[24:25]
	s_or_b64 s[16:17], s[16:17], s[22:23]
.LBB232_81:
	s_or_b64 exec, exec, s[20:21]
	s_andn2_b64 s[20:21], s[10:11], exec
	s_and_b64 s[18:19], s[18:19], exec
	s_andn2_b64 s[4:5], s[4:5], exec
	s_and_b64 s[16:17], s[16:17], exec
	s_or_b64 s[18:19], s[20:21], s[18:19]
	s_or_b64 s[4:5], s[4:5], s[16:17]
.LBB232_82:
	s_or_b64 exec, exec, s[14:15]
	s_andn2_b64 s[10:11], s[10:11], exec
	s_and_b64 s[14:15], s[18:19], exec
	s_andn2_b64 s[6:7], s[6:7], exec
	s_and_b64 s[4:5], s[4:5], exec
	s_or_b64 s[10:11], s[10:11], s[14:15]
	s_or_b64 s[6:7], s[6:7], s[4:5]
.LBB232_83:
	s_or_b64 exec, exec, s[12:13]
	s_and_b64 s[4:5], s[10:11], exec
	s_and_b64 s[6:7], s[6:7], exec
                                        ; implicit-def: $vgpr0_vgpr1
	s_andn2_saveexec_b64 s[8:9], s[8:9]
	s_cbranch_execnz .LBB232_2097
.LBB232_84:
	s_or_b64 exec, exec, s[8:9]
	s_mov_b64 s[8:9], 0
	s_and_saveexec_b64 s[10:11], s[6:7]
.LBB232_85:
	s_mov_b64 s[8:9], exec
	v_add_u32_e32 v7, 0x80, v7
.LBB232_86:
	s_or_b64 exec, exec, s[10:11]
	s_and_b64 s[34:35], s[4:5], exec
	s_orn2_b64 s[4:5], s[8:9], exec
.LBB232_87:
	s_or_b64 exec, exec, s[42:43]
	s_mov_b64 s[8:9], 0
                                        ; implicit-def: $sgpr6_sgpr7
                                        ; implicit-def: $vgpr2
                                        ; implicit-def: $vgpr0_vgpr1
	s_and_saveexec_b64 s[42:43], s[4:5]
	s_cbranch_execz .LBB232_349
; %bb.88:
	v_cmp_gt_i32_e32 vcc, s33, v7
	s_mov_b64 s[10:11], -1
	s_mov_b64 s[44:45], s[34:35]
	s_and_saveexec_b64 s[46:47], vcc
	s_cbranch_execz .LBB232_174
; %bb.89:
	s_getpc_b64 s[4:5]
	s_add_u32 s4, s4, _ZN2at6native6invokeINS0_13BinaryFunctorIN3c1011Float8_e5m2ES4_bNS0_12_GLOBAL__N_116CompareEqFunctorIS4_EEEEi15function_traitsIS8_EEENT1_11result_typeERKT_PrKPcPKT0_PKNS3_10ScalarTypeEi@rel32@lo+4
	s_addc_u32 s5, s5, _ZN2at6native6invokeINS0_13BinaryFunctorIN3c1011Float8_e5m2ES4_bNS0_12_GLOBAL__N_116CompareEqFunctorIS4_EEEEi15function_traitsIS8_EEENT1_11result_typeERKT_PrKPcPKT0_PKNS3_10ScalarTypeEi@rel32@hi+12
	s_waitcnt vmcnt(0)
	v_mov_b32_e32 v0, v16
	v_mov_b32_e32 v1, s41
	;; [unrolled: 1-line block ×7, first 2 shown]
	s_swappc_b64 s[30:31], s[4:5]
	v_and_b32_e32 v0, 1, v0
	v_cmp_eq_u32_e32 vcc, 1, v0
	v_mul_lo_u32 v0, v20, v7
	v_mov_b32_e32 v2, 10
	v_cmp_gt_i16_sdwa s[8:9], v17, v2 src0_sel:BYTE_0 src1_sel:DWORD
	s_mov_b64 s[6:7], 0
	v_ashrrev_i32_e32 v1, 31, v0
	v_add_co_u32_e64 v0, s[4:5], v18, v0
	v_addc_co_u32_e64 v1, s[4:5], v19, v1, s[4:5]
	s_mov_b64 s[4:5], s[34:35]
	s_and_saveexec_b64 s[10:11], s[8:9]
	s_xor_b64 s[8:9], exec, s[10:11]
	s_cbranch_execz .LBB232_2189
; %bb.90:
	v_mov_b32_e32 v2, 25
	v_cmp_gt_i16_sdwa s[4:5], v17, v2 src0_sel:BYTE_0 src1_sel:DWORD
	s_mov_b64 s[10:11], s[34:35]
	s_and_saveexec_b64 s[12:13], s[4:5]
	s_xor_b64 s[12:13], exec, s[12:13]
	s_cbranch_execz .LBB232_126
; %bb.91:
	v_mov_b32_e32 v2, 28
	v_cmp_gt_i16_sdwa s[4:5], v17, v2 src0_sel:BYTE_0 src1_sel:DWORD
	;; [unrolled: 7-line block ×3, first 2 shown]
	s_mov_b64 s[4:5], 0
	s_mov_b64 s[6:7], s[34:35]
	s_and_saveexec_b64 s[16:17], s[14:15]
	s_xor_b64 s[14:15], exec, s[16:17]
	s_cbranch_execz .LBB232_104
; %bb.93:
	v_mov_b32_e32 v2, 45
	v_cmp_gt_i16_sdwa s[4:5], v17, v2 src0_sel:BYTE_0 src1_sel:DWORD
	s_mov_b64 s[16:17], 0
	s_mov_b64 s[18:19], s[34:35]
	s_and_saveexec_b64 s[6:7], s[4:5]
	s_xor_b64 s[4:5], exec, s[6:7]
	s_cbranch_execz .LBB232_97
; %bb.94:
	v_mov_b32_e32 v2, 46
	v_cmp_eq_u16_sdwa s[20:21], v17, v2 src0_sel:BYTE_0 src1_sel:DWORD
	s_mov_b64 s[6:7], 0
	s_mov_b64 s[18:19], -1
	s_and_saveexec_b64 s[16:17], s[20:21]
	s_cbranch_execz .LBB232_96
; %bb.95:
	v_cndmask_b32_e64 v2, 0, 1.0, vcc
	v_bfe_u32 v3, v2, 16, 1
	s_movk_i32 s18, 0x7fff
	v_add3_u32 v2, v2, v3, s18
	v_lshrrev_b32_e32 v2, 16, v2
	s_mov_b64 s[6:7], exec
	flat_store_dword v[0:1], v2
	s_xor_b64 s[18:19], exec, -1
.LBB232_96:
	s_or_b64 exec, exec, s[16:17]
	s_andn2_b64 s[16:17], s[34:35], exec
	s_and_b64 s[18:19], s[18:19], exec
	s_or_b64 s[18:19], s[16:17], s[18:19]
	s_and_b64 s[16:17], s[6:7], exec
                                        ; implicit-def: $vgpr0_vgpr1
.LBB232_97:
	s_andn2_saveexec_b64 s[20:21], s[4:5]
	s_cbranch_execz .LBB232_103
; %bb.98:
	v_mov_b32_e32 v2, 44
	v_cmp_eq_u16_sdwa s[24:25], v17, v2 src0_sel:BYTE_0 src1_sel:DWORD
	s_mov_b64 s[6:7], -1
	s_mov_b64 s[4:5], s[16:17]
	s_and_saveexec_b64 s[22:23], s[24:25]
	s_cbranch_execz .LBB232_102
; %bb.99:
	v_cndmask_b32_e64 v3, 0, 1.0, vcc
	v_lshrrev_b32_e32 v2, 23, v3
	s_movk_i32 s4, 0xff
	v_cmp_ne_u32_e64 s[4:5], s4, v2
	v_mov_b32_e32 v4, 0xff
	s_and_saveexec_b64 s[24:25], s[4:5]
; %bb.100:
	s_mov_b32 s6, 0x3fffff
	v_and_b32_e32 v4, 0x400000, v3
	v_and_or_b32 v3, v3, s6, v2
	v_cmp_ne_u32_e64 s[4:5], 0, v4
	v_cmp_ne_u32_e64 s[6:7], 0, v3
	s_and_b64 s[4:5], s[4:5], s[6:7]
	v_cndmask_b32_e64 v3, 0, 1, s[4:5]
	v_add_u32_e32 v4, v2, v3
; %bb.101:
	s_or_b64 exec, exec, s[24:25]
	s_xor_b64 s[6:7], exec, -1
	s_or_b64 s[4:5], s[16:17], exec
	flat_store_byte v[0:1], v4
.LBB232_102:
	s_or_b64 exec, exec, s[22:23]
	s_andn2_b64 s[18:19], s[18:19], exec
	s_and_b64 s[6:7], s[6:7], exec
	s_or_b64 s[18:19], s[18:19], s[6:7]
	s_andn2_b64 s[6:7], s[16:17], exec
	s_and_b64 s[4:5], s[4:5], exec
	s_or_b64 s[16:17], s[6:7], s[4:5]
.LBB232_103:
	s_or_b64 exec, exec, s[20:21]
	s_andn2_b64 s[4:5], s[34:35], exec
	s_and_b64 s[6:7], s[18:19], exec
	s_or_b64 s[6:7], s[4:5], s[6:7]
	s_and_b64 s[4:5], s[16:17], exec
                                        ; implicit-def: $vgpr0_vgpr1
.LBB232_104:
	s_andn2_saveexec_b64 s[14:15], s[14:15]
	s_cbranch_execz .LBB232_108
; %bb.105:
	v_mov_b32_e32 v2, 29
	v_cmp_eq_u16_sdwa s[22:23], v17, v2 src0_sel:BYTE_0 src1_sel:DWORD
	s_mov_b64 s[18:19], -1
	s_mov_b64 s[16:17], s[4:5]
	s_and_saveexec_b64 s[20:21], s[22:23]
	s_cbranch_execz .LBB232_107
; %bb.106:
	s_mov_b32 s16, 0
	v_cndmask_b32_e64 v2, 0, 1, vcc
	v_mov_b32_e32 v3, s16
	flat_store_dwordx2 v[0:1], v[2:3]
	s_xor_b64 s[18:19], exec, -1
	s_or_b64 s[16:17], s[4:5], exec
.LBB232_107:
	s_or_b64 exec, exec, s[20:21]
	s_andn2_b64 s[6:7], s[6:7], exec
	s_and_b64 s[18:19], s[18:19], exec
	s_andn2_b64 s[4:5], s[4:5], exec
	s_and_b64 s[16:17], s[16:17], exec
	s_or_b64 s[6:7], s[6:7], s[18:19]
	s_or_b64 s[4:5], s[4:5], s[16:17]
.LBB232_108:
	s_or_b64 exec, exec, s[14:15]
	s_andn2_b64 s[14:15], s[34:35], exec
	s_and_b64 s[6:7], s[6:7], exec
	s_or_b64 s[14:15], s[14:15], s[6:7]
	s_and_b64 s[6:7], s[4:5], exec
                                        ; implicit-def: $vgpr0_vgpr1
.LBB232_109:
	s_andn2_saveexec_b64 s[10:11], s[10:11]
	s_cbranch_execz .LBB232_125
; %bb.110:
	v_mov_b32_e32 v2, 26
	v_cmp_gt_i16_sdwa s[4:5], v17, v2 src0_sel:BYTE_0 src1_sel:DWORD
	s_and_saveexec_b64 s[16:17], s[4:5]
	s_xor_b64 s[4:5], exec, s[16:17]
	s_cbranch_execz .LBB232_116
; %bb.111:
	v_mov_b32_e32 v2, 27
	v_cmp_gt_i16_sdwa s[16:17], v17, v2 src0_sel:BYTE_0 src1_sel:DWORD
	s_and_saveexec_b64 s[18:19], s[16:17]
	s_xor_b64 s[16:17], exec, s[18:19]
	s_cbranch_execz .LBB232_113
; %bb.112:
	v_cndmask_b32_e64 v2, 0, 1, vcc
	flat_store_dword v[0:1], v2
                                        ; implicit-def: $vgpr0_vgpr1
.LBB232_113:
	s_andn2_saveexec_b64 s[16:17], s[16:17]
	s_cbranch_execz .LBB232_115
; %bb.114:
	v_cndmask_b32_e64 v2, 0, 1, vcc
	flat_store_short v[0:1], v2
.LBB232_115:
	s_or_b64 exec, exec, s[16:17]
                                        ; implicit-def: $vgpr0_vgpr1
.LBB232_116:
	s_andn2_saveexec_b64 s[16:17], s[4:5]
	s_cbranch_execz .LBB232_124
; %bb.117:
	v_cndmask_b32_e64 v3, 0, 1.0, vcc
	s_mov_b32 s4, 0x43800000
	v_cmp_gt_u32_e64 s[4:5], s4, v3
	v_mov_b32_e32 v4, 0x80
	s_and_saveexec_b64 s[18:19], s[4:5]
	s_cbranch_execz .LBB232_123
; %bb.118:
	s_mov_b32 s4, 0x3bffffff
	v_cmp_lt_u32_e64 s[4:5], s4, v3
	s_mov_b64 s[20:21], 0
                                        ; implicit-def: $vgpr2
	s_and_saveexec_b64 s[22:23], s[4:5]
	s_xor_b64 s[4:5], exec, s[22:23]
	s_cbranch_execz .LBB232_2542
; %bb.119:
	v_bfe_u32 v2, v3, 20, 1
	s_mov_b32 s22, 0x487ffff
	v_add3_u32 v2, v3, v2, s22
	s_mov_b64 s[20:21], exec
	v_lshrrev_b32_e32 v2, 20, v2
                                        ; implicit-def: $vgpr3
	s_andn2_saveexec_b64 s[22:23], s[4:5]
	s_cbranch_execnz .LBB232_2543
.LBB232_120:
	s_or_b64 exec, exec, s[22:23]
	v_mov_b32_e32 v4, 0
	s_and_saveexec_b64 s[4:5], s[20:21]
.LBB232_121:
	v_mov_b32_e32 v4, v2
.LBB232_122:
	s_or_b64 exec, exec, s[4:5]
.LBB232_123:
	s_or_b64 exec, exec, s[18:19]
	flat_store_byte v[0:1], v4
.LBB232_124:
	s_or_b64 exec, exec, s[16:17]
	s_or_b64 s[6:7], s[6:7], exec
.LBB232_125:
	s_or_b64 exec, exec, s[10:11]
	s_andn2_b64 s[4:5], s[34:35], exec
	s_and_b64 s[10:11], s[14:15], exec
	s_or_b64 s[10:11], s[4:5], s[10:11]
	s_and_b64 s[6:7], s[6:7], exec
                                        ; implicit-def: $vgpr0_vgpr1
.LBB232_126:
	s_andn2_saveexec_b64 s[12:13], s[12:13]
	s_cbranch_execz .LBB232_170
; %bb.127:
	v_mov_b32_e32 v2, 22
	v_cmp_gt_i16_sdwa s[14:15], v17, v2 src0_sel:BYTE_0 src1_sel:DWORD
	s_mov_b64 s[4:5], s[6:7]
	s_and_saveexec_b64 s[16:17], s[14:15]
	s_xor_b64 s[14:15], exec, s[16:17]
	s_cbranch_execz .LBB232_159
; %bb.128:
	v_mov_b32_e32 v2, 23
	v_cmp_gt_i16_sdwa s[4:5], v17, v2 src0_sel:BYTE_0 src1_sel:DWORD
	s_and_saveexec_b64 s[16:17], s[4:5]
	s_xor_b64 s[16:17], exec, s[16:17]
	s_cbranch_execz .LBB232_148
; %bb.129:
	v_mov_b32_e32 v2, 24
	v_cmp_gt_i16_sdwa s[4:5], v17, v2 src0_sel:BYTE_0 src1_sel:DWORD
	s_and_saveexec_b64 s[18:19], s[4:5]
	s_xor_b64 s[18:19], exec, s[18:19]
	s_cbranch_execz .LBB232_137
; %bb.130:
	v_cndmask_b32_e64 v3, 0, 1.0, vcc
	s_mov_b32 s4, 0x47800000
	v_cmp_gt_u32_e64 s[4:5], s4, v3
	v_mov_b32_e32 v4, 0x80
	s_and_saveexec_b64 s[20:21], s[4:5]
	s_cbranch_execz .LBB232_136
; %bb.131:
	s_mov_b32 s4, 0x37ffffff
	v_cmp_lt_u32_e64 s[4:5], s4, v3
	s_mov_b64 s[22:23], 0
                                        ; implicit-def: $vgpr2
	s_and_saveexec_b64 s[24:25], s[4:5]
	s_xor_b64 s[4:5], exec, s[24:25]
	s_cbranch_execz .LBB232_2591
; %bb.132:
	v_bfe_u32 v2, v3, 21, 1
	s_mov_b32 s24, 0x88fffff
	v_add3_u32 v2, v3, v2, s24
	s_mov_b64 s[22:23], exec
	v_lshrrev_b32_e32 v2, 21, v2
                                        ; implicit-def: $vgpr3
	s_andn2_saveexec_b64 s[24:25], s[4:5]
	s_cbranch_execnz .LBB232_2592
.LBB232_133:
	s_or_b64 exec, exec, s[24:25]
	v_mov_b32_e32 v4, 0
	s_and_saveexec_b64 s[4:5], s[22:23]
.LBB232_134:
	v_mov_b32_e32 v4, v2
.LBB232_135:
	s_or_b64 exec, exec, s[4:5]
.LBB232_136:
	s_or_b64 exec, exec, s[20:21]
	flat_store_byte v[0:1], v4
                                        ; implicit-def: $vgpr0_vgpr1
.LBB232_137:
	s_andn2_saveexec_b64 s[18:19], s[18:19]
	s_cbranch_execz .LBB232_147
; %bb.138:
	v_cndmask_b32_e64 v2, 0, 1.0, vcc
	s_mov_b32 s4, 0x43f00000
	v_cmp_gt_u32_e64 s[4:5], s4, v2
                                        ; implicit-def: $vgpr3
	s_and_saveexec_b64 s[20:21], s[4:5]
	s_xor_b64 s[20:21], exec, s[20:21]
	s_cbranch_execz .LBB232_144
; %bb.139:
	s_mov_b32 s4, 0x3c7fffff
	v_cmp_lt_u32_e64 s[4:5], s4, v2
                                        ; implicit-def: $vgpr3
	s_and_saveexec_b64 s[22:23], s[4:5]
	s_xor_b64 s[22:23], exec, s[22:23]
; %bb.140:
	v_bfe_u32 v3, v2, 20, 1
	s_mov_b32 s4, 0x407ffff
	v_add3_u32 v2, v2, v3, s4
	v_lshrrev_b32_e32 v3, 20, v2
	v_and_b32_e32 v2, 0xff00000, v2
	s_mov_b32 s4, 0x7f00000
	v_mov_b32_e32 v4, 0x7e
	v_cmp_ne_u32_e64 s[4:5], s4, v2
	v_cndmask_b32_e64 v3, v4, v3, s[4:5]
                                        ; implicit-def: $vgpr2
; %bb.141:
	s_andn2_saveexec_b64 s[4:5], s[22:23]
; %bb.142:
	v_add_f32_e32 v3, 0x46800000, v2
; %bb.143:
	s_or_b64 exec, exec, s[4:5]
                                        ; implicit-def: $vgpr2
.LBB232_144:
	s_andn2_saveexec_b64 s[20:21], s[20:21]
; %bb.145:
	s_mov_b32 s4, 0x7f800000
	v_mov_b32_e32 v3, 0x7e
	v_mov_b32_e32 v4, 0x7f
	v_cmp_lt_u32_e64 s[4:5], s4, v2
	v_cndmask_b32_e64 v3, v3, v4, s[4:5]
; %bb.146:
	s_or_b64 exec, exec, s[20:21]
	flat_store_byte v[0:1], v3
.LBB232_147:
	s_or_b64 exec, exec, s[18:19]
                                        ; implicit-def: $vgpr0_vgpr1
.LBB232_148:
	s_andn2_saveexec_b64 s[16:17], s[16:17]
	s_cbranch_execz .LBB232_158
; %bb.149:
	v_cndmask_b32_e64 v2, 0, 1.0, vcc
	s_mov_b32 s4, 0x47800000
	v_cmp_gt_u32_e64 s[4:5], s4, v2
                                        ; implicit-def: $vgpr3
	s_and_saveexec_b64 s[18:19], s[4:5]
	s_xor_b64 s[18:19], exec, s[18:19]
	s_cbranch_execz .LBB232_155
; %bb.150:
	s_mov_b32 s4, 0x387fffff
	v_cmp_lt_u32_e64 s[4:5], s4, v2
                                        ; implicit-def: $vgpr3
	s_and_saveexec_b64 s[20:21], s[4:5]
	s_xor_b64 s[4:5], exec, s[20:21]
; %bb.151:
	v_bfe_u32 v3, v2, 21, 1
	s_mov_b32 s20, 0x80fffff
	v_add3_u32 v2, v2, v3, s20
	v_lshrrev_b32_e32 v3, 21, v2
                                        ; implicit-def: $vgpr2
; %bb.152:
	s_andn2_saveexec_b64 s[4:5], s[4:5]
; %bb.153:
	v_add_f32_e32 v3, 0x43000000, v2
; %bb.154:
	s_or_b64 exec, exec, s[4:5]
                                        ; implicit-def: $vgpr2
.LBB232_155:
	s_andn2_saveexec_b64 s[18:19], s[18:19]
; %bb.156:
	s_mov_b32 s4, 0x7f800000
	v_mov_b32_e32 v3, 0x7c
	v_mov_b32_e32 v4, 0x7f
	v_cmp_lt_u32_e64 s[4:5], s4, v2
	v_cndmask_b32_e64 v3, v3, v4, s[4:5]
; %bb.157:
	s_or_b64 exec, exec, s[18:19]
	flat_store_byte v[0:1], v3
.LBB232_158:
	s_or_b64 exec, exec, s[16:17]
	s_or_b64 s[4:5], s[6:7], exec
                                        ; implicit-def: $vgpr0_vgpr1
.LBB232_159:
	s_or_saveexec_b64 s[14:15], s[14:15]
	s_mov_b64 s[18:19], s[10:11]
	s_xor_b64 exec, exec, s[14:15]
	s_cbranch_execz .LBB232_169
; %bb.160:
	v_mov_b32_e32 v2, 14
	v_cmp_gt_i16_sdwa s[20:21], v17, v2 src0_sel:BYTE_0 src1_sel:DWORD
	s_mov_b64 s[16:17], s[4:5]
	s_mov_b64 s[18:19], s[10:11]
	s_and_saveexec_b64 s[22:23], s[20:21]
	s_xor_b64 s[20:21], exec, s[22:23]
	s_cbranch_execz .LBB232_164
; %bb.161:
	v_mov_b32_e32 v2, 15
	v_cmp_eq_u16_sdwa s[24:25], v17, v2 src0_sel:BYTE_0 src1_sel:DWORD
	s_mov_b64 s[18:19], -1
	s_mov_b64 s[16:17], s[4:5]
	s_and_saveexec_b64 s[22:23], s[24:25]
	s_cbranch_execz .LBB232_163
; %bb.162:
	v_cndmask_b32_e64 v2, 0, 1.0, vcc
	v_bfe_u32 v3, v2, 16, 1
	s_movk_i32 s16, 0x7fff
	v_add3_u32 v2, v2, v3, s16
	flat_store_short_d16_hi v[0:1], v2
	s_xor_b64 s[18:19], exec, -1
	s_or_b64 s[16:17], s[4:5], exec
.LBB232_163:
	s_or_b64 exec, exec, s[22:23]
	s_andn2_b64 s[22:23], s[10:11], exec
	s_and_b64 s[18:19], s[18:19], exec
	s_or_b64 s[18:19], s[22:23], s[18:19]
	s_andn2_b64 s[22:23], s[4:5], exec
	s_and_b64 s[16:17], s[16:17], exec
	s_or_b64 s[16:17], s[22:23], s[16:17]
                                        ; implicit-def: $vgpr0_vgpr1
.LBB232_164:
	s_andn2_saveexec_b64 s[20:21], s[20:21]
	s_cbranch_execz .LBB232_168
; %bb.165:
	v_mov_b32_e32 v2, 11
	v_cmp_eq_u16_sdwa s[28:29], v17, v2 src0_sel:BYTE_0 src1_sel:DWORD
	s_mov_b64 s[24:25], -1
	s_mov_b64 s[22:23], s[16:17]
	s_and_saveexec_b64 s[26:27], s[28:29]
	s_cbranch_execz .LBB232_167
; %bb.166:
	v_cndmask_b32_e64 v2, 0, 1, vcc
	flat_store_byte v[0:1], v2
	s_xor_b64 s[24:25], exec, -1
	s_or_b64 s[22:23], s[16:17], exec
.LBB232_167:
	s_or_b64 exec, exec, s[26:27]
	s_andn2_b64 s[18:19], s[18:19], exec
	s_and_b64 s[24:25], s[24:25], exec
	s_andn2_b64 s[16:17], s[16:17], exec
	s_and_b64 s[22:23], s[22:23], exec
	s_or_b64 s[18:19], s[18:19], s[24:25]
	s_or_b64 s[16:17], s[16:17], s[22:23]
.LBB232_168:
	s_or_b64 exec, exec, s[20:21]
	s_andn2_b64 s[20:21], s[10:11], exec
	s_and_b64 s[18:19], s[18:19], exec
	s_andn2_b64 s[4:5], s[4:5], exec
	s_and_b64 s[16:17], s[16:17], exec
	s_or_b64 s[18:19], s[20:21], s[18:19]
	s_or_b64 s[4:5], s[4:5], s[16:17]
.LBB232_169:
	s_or_b64 exec, exec, s[14:15]
	s_andn2_b64 s[10:11], s[10:11], exec
	s_and_b64 s[14:15], s[18:19], exec
	s_andn2_b64 s[6:7], s[6:7], exec
	s_and_b64 s[4:5], s[4:5], exec
	s_or_b64 s[10:11], s[10:11], s[14:15]
	s_or_b64 s[6:7], s[6:7], s[4:5]
.LBB232_170:
	s_or_b64 exec, exec, s[12:13]
	s_andn2_b64 s[4:5], s[34:35], exec
	s_and_b64 s[10:11], s[10:11], exec
	s_or_b64 s[4:5], s[4:5], s[10:11]
	s_and_b64 s[6:7], s[6:7], exec
                                        ; implicit-def: $vgpr0_vgpr1
	s_andn2_saveexec_b64 s[8:9], s[8:9]
	s_cbranch_execnz .LBB232_2190
.LBB232_171:
	s_or_b64 exec, exec, s[8:9]
	s_mov_b64 s[8:9], 0
	s_and_saveexec_b64 s[10:11], s[6:7]
.LBB232_172:
	s_mov_b64 s[8:9], exec
	v_add_u32_e32 v7, 0x80, v7
.LBB232_173:
	s_or_b64 exec, exec, s[10:11]
	s_andn2_b64 s[6:7], s[34:35], exec
	s_and_b64 s[4:5], s[4:5], exec
	s_or_b64 s[44:45], s[6:7], s[4:5]
	s_orn2_b64 s[10:11], s[8:9], exec
.LBB232_174:
	s_or_b64 exec, exec, s[46:47]
	s_mov_b64 s[4:5], 0
	s_mov_b64 s[8:9], 0
                                        ; implicit-def: $sgpr6_sgpr7
                                        ; implicit-def: $vgpr2
                                        ; implicit-def: $vgpr0_vgpr1
	s_and_saveexec_b64 s[46:47], s[10:11]
	s_cbranch_execz .LBB232_346
; %bb.175:
	v_cmp_gt_i32_e32 vcc, s33, v7
	s_mov_b64 s[8:9], -1
	s_mov_b64 s[50:51], s[44:45]
	s_and_saveexec_b64 s[48:49], vcc
	s_cbranch_execz .LBB232_261
; %bb.176:
	s_getpc_b64 s[4:5]
	s_add_u32 s4, s4, _ZN2at6native6invokeINS0_13BinaryFunctorIN3c1011Float8_e5m2ES4_bNS0_12_GLOBAL__N_116CompareEqFunctorIS4_EEEEi15function_traitsIS8_EEENT1_11result_typeERKT_PrKPcPKT0_PKNS3_10ScalarTypeEi@rel32@lo+4
	s_addc_u32 s5, s5, _ZN2at6native6invokeINS0_13BinaryFunctorIN3c1011Float8_e5m2ES4_bNS0_12_GLOBAL__N_116CompareEqFunctorIS4_EEEEi15function_traitsIS8_EEENT1_11result_typeERKT_PrKPcPKT0_PKNS3_10ScalarTypeEi@rel32@hi+12
	s_waitcnt vmcnt(0)
	v_mov_b32_e32 v0, v16
	v_mov_b32_e32 v1, s41
	;; [unrolled: 1-line block ×7, first 2 shown]
	s_swappc_b64 s[30:31], s[4:5]
	v_and_b32_e32 v0, 1, v0
	v_cmp_eq_u32_e32 vcc, 1, v0
	v_mul_lo_u32 v0, v20, v7
	v_mov_b32_e32 v2, 10
	v_cmp_gt_i16_sdwa s[8:9], v17, v2 src0_sel:BYTE_0 src1_sel:DWORD
	s_mov_b64 s[6:7], 0
	v_ashrrev_i32_e32 v1, 31, v0
	v_add_co_u32_e64 v0, s[4:5], v18, v0
	v_addc_co_u32_e64 v1, s[4:5], v19, v1, s[4:5]
	s_mov_b64 s[4:5], s[44:45]
	s_and_saveexec_b64 s[10:11], s[8:9]
	s_xor_b64 s[8:9], exec, s[10:11]
	s_cbranch_execz .LBB232_2282
; %bb.177:
	v_mov_b32_e32 v2, 25
	v_cmp_gt_i16_sdwa s[4:5], v17, v2 src0_sel:BYTE_0 src1_sel:DWORD
	s_mov_b64 s[10:11], s[44:45]
	s_and_saveexec_b64 s[12:13], s[4:5]
	s_xor_b64 s[12:13], exec, s[12:13]
	s_cbranch_execz .LBB232_213
; %bb.178:
	v_mov_b32_e32 v2, 28
	v_cmp_gt_i16_sdwa s[4:5], v17, v2 src0_sel:BYTE_0 src1_sel:DWORD
	;; [unrolled: 7-line block ×3, first 2 shown]
	s_mov_b64 s[4:5], 0
	s_mov_b64 s[6:7], s[44:45]
	s_and_saveexec_b64 s[16:17], s[14:15]
	s_xor_b64 s[14:15], exec, s[16:17]
	s_cbranch_execz .LBB232_191
; %bb.180:
	v_mov_b32_e32 v2, 45
	v_cmp_gt_i16_sdwa s[4:5], v17, v2 src0_sel:BYTE_0 src1_sel:DWORD
	s_mov_b64 s[16:17], 0
	s_mov_b64 s[18:19], s[44:45]
	s_and_saveexec_b64 s[6:7], s[4:5]
	s_xor_b64 s[4:5], exec, s[6:7]
	s_cbranch_execz .LBB232_184
; %bb.181:
	v_mov_b32_e32 v2, 46
	v_cmp_eq_u16_sdwa s[20:21], v17, v2 src0_sel:BYTE_0 src1_sel:DWORD
	s_mov_b64 s[6:7], 0
	s_mov_b64 s[18:19], -1
	s_and_saveexec_b64 s[16:17], s[20:21]
	s_cbranch_execz .LBB232_183
; %bb.182:
	v_cndmask_b32_e64 v2, 0, 1.0, vcc
	v_bfe_u32 v3, v2, 16, 1
	s_movk_i32 s18, 0x7fff
	v_add3_u32 v2, v2, v3, s18
	v_lshrrev_b32_e32 v2, 16, v2
	s_mov_b64 s[6:7], exec
	flat_store_dword v[0:1], v2
	s_xor_b64 s[18:19], exec, -1
.LBB232_183:
	s_or_b64 exec, exec, s[16:17]
	s_andn2_b64 s[16:17], s[44:45], exec
	s_and_b64 s[18:19], s[18:19], exec
	s_or_b64 s[18:19], s[16:17], s[18:19]
	s_and_b64 s[16:17], s[6:7], exec
                                        ; implicit-def: $vgpr0_vgpr1
.LBB232_184:
	s_andn2_saveexec_b64 s[20:21], s[4:5]
	s_cbranch_execz .LBB232_190
; %bb.185:
	v_mov_b32_e32 v2, 44
	v_cmp_eq_u16_sdwa s[24:25], v17, v2 src0_sel:BYTE_0 src1_sel:DWORD
	s_mov_b64 s[6:7], -1
	s_mov_b64 s[4:5], s[16:17]
	s_and_saveexec_b64 s[22:23], s[24:25]
	s_cbranch_execz .LBB232_189
; %bb.186:
	v_cndmask_b32_e64 v3, 0, 1.0, vcc
	v_lshrrev_b32_e32 v2, 23, v3
	s_movk_i32 s4, 0xff
	v_cmp_ne_u32_e64 s[4:5], s4, v2
	v_mov_b32_e32 v4, 0xff
	s_and_saveexec_b64 s[24:25], s[4:5]
; %bb.187:
	s_mov_b32 s6, 0x3fffff
	v_and_b32_e32 v4, 0x400000, v3
	v_and_or_b32 v3, v3, s6, v2
	v_cmp_ne_u32_e64 s[4:5], 0, v4
	v_cmp_ne_u32_e64 s[6:7], 0, v3
	s_and_b64 s[4:5], s[4:5], s[6:7]
	v_cndmask_b32_e64 v3, 0, 1, s[4:5]
	v_add_u32_e32 v4, v2, v3
; %bb.188:
	s_or_b64 exec, exec, s[24:25]
	s_xor_b64 s[6:7], exec, -1
	s_or_b64 s[4:5], s[16:17], exec
	flat_store_byte v[0:1], v4
.LBB232_189:
	s_or_b64 exec, exec, s[22:23]
	s_andn2_b64 s[18:19], s[18:19], exec
	s_and_b64 s[6:7], s[6:7], exec
	s_or_b64 s[18:19], s[18:19], s[6:7]
	s_andn2_b64 s[6:7], s[16:17], exec
	s_and_b64 s[4:5], s[4:5], exec
	s_or_b64 s[16:17], s[6:7], s[4:5]
.LBB232_190:
	s_or_b64 exec, exec, s[20:21]
	s_andn2_b64 s[4:5], s[44:45], exec
	s_and_b64 s[6:7], s[18:19], exec
	s_or_b64 s[6:7], s[4:5], s[6:7]
	s_and_b64 s[4:5], s[16:17], exec
                                        ; implicit-def: $vgpr0_vgpr1
.LBB232_191:
	s_andn2_saveexec_b64 s[14:15], s[14:15]
	s_cbranch_execz .LBB232_195
; %bb.192:
	v_mov_b32_e32 v2, 29
	v_cmp_eq_u16_sdwa s[22:23], v17, v2 src0_sel:BYTE_0 src1_sel:DWORD
	s_mov_b64 s[18:19], -1
	s_mov_b64 s[16:17], s[4:5]
	s_and_saveexec_b64 s[20:21], s[22:23]
	s_cbranch_execz .LBB232_194
; %bb.193:
	s_mov_b32 s16, 0
	v_cndmask_b32_e64 v2, 0, 1, vcc
	v_mov_b32_e32 v3, s16
	flat_store_dwordx2 v[0:1], v[2:3]
	s_xor_b64 s[18:19], exec, -1
	s_or_b64 s[16:17], s[4:5], exec
.LBB232_194:
	s_or_b64 exec, exec, s[20:21]
	s_andn2_b64 s[6:7], s[6:7], exec
	s_and_b64 s[18:19], s[18:19], exec
	s_andn2_b64 s[4:5], s[4:5], exec
	s_and_b64 s[16:17], s[16:17], exec
	s_or_b64 s[6:7], s[6:7], s[18:19]
	s_or_b64 s[4:5], s[4:5], s[16:17]
.LBB232_195:
	s_or_b64 exec, exec, s[14:15]
	s_andn2_b64 s[14:15], s[44:45], exec
	s_and_b64 s[6:7], s[6:7], exec
	s_or_b64 s[14:15], s[14:15], s[6:7]
	s_and_b64 s[6:7], s[4:5], exec
                                        ; implicit-def: $vgpr0_vgpr1
.LBB232_196:
	s_andn2_saveexec_b64 s[10:11], s[10:11]
	s_cbranch_execz .LBB232_212
; %bb.197:
	v_mov_b32_e32 v2, 26
	v_cmp_gt_i16_sdwa s[4:5], v17, v2 src0_sel:BYTE_0 src1_sel:DWORD
	s_and_saveexec_b64 s[16:17], s[4:5]
	s_xor_b64 s[4:5], exec, s[16:17]
	s_cbranch_execz .LBB232_203
; %bb.198:
	v_mov_b32_e32 v2, 27
	v_cmp_gt_i16_sdwa s[16:17], v17, v2 src0_sel:BYTE_0 src1_sel:DWORD
	s_and_saveexec_b64 s[18:19], s[16:17]
	s_xor_b64 s[16:17], exec, s[18:19]
	s_cbranch_execz .LBB232_200
; %bb.199:
	v_cndmask_b32_e64 v2, 0, 1, vcc
	flat_store_dword v[0:1], v2
                                        ; implicit-def: $vgpr0_vgpr1
.LBB232_200:
	s_andn2_saveexec_b64 s[16:17], s[16:17]
	s_cbranch_execz .LBB232_202
; %bb.201:
	v_cndmask_b32_e64 v2, 0, 1, vcc
	flat_store_short v[0:1], v2
.LBB232_202:
	s_or_b64 exec, exec, s[16:17]
                                        ; implicit-def: $vgpr0_vgpr1
.LBB232_203:
	s_andn2_saveexec_b64 s[16:17], s[4:5]
	s_cbranch_execz .LBB232_211
; %bb.204:
	v_cndmask_b32_e64 v3, 0, 1.0, vcc
	s_mov_b32 s4, 0x43800000
	v_cmp_gt_u32_e64 s[4:5], s4, v3
	v_mov_b32_e32 v4, 0x80
	s_and_saveexec_b64 s[18:19], s[4:5]
	s_cbranch_execz .LBB232_210
; %bb.205:
	s_mov_b32 s4, 0x3bffffff
	v_cmp_lt_u32_e64 s[4:5], s4, v3
	s_mov_b64 s[20:21], 0
                                        ; implicit-def: $vgpr2
	s_and_saveexec_b64 s[22:23], s[4:5]
	s_xor_b64 s[4:5], exec, s[22:23]
	s_cbranch_execz .LBB232_2593
; %bb.206:
	v_bfe_u32 v2, v3, 20, 1
	s_mov_b32 s22, 0x487ffff
	v_add3_u32 v2, v3, v2, s22
	s_mov_b64 s[20:21], exec
	v_lshrrev_b32_e32 v2, 20, v2
                                        ; implicit-def: $vgpr3
	s_andn2_saveexec_b64 s[22:23], s[4:5]
	s_cbranch_execnz .LBB232_2594
.LBB232_207:
	s_or_b64 exec, exec, s[22:23]
	v_mov_b32_e32 v4, 0
	s_and_saveexec_b64 s[4:5], s[20:21]
.LBB232_208:
	v_mov_b32_e32 v4, v2
.LBB232_209:
	s_or_b64 exec, exec, s[4:5]
.LBB232_210:
	s_or_b64 exec, exec, s[18:19]
	flat_store_byte v[0:1], v4
.LBB232_211:
	s_or_b64 exec, exec, s[16:17]
	s_or_b64 s[6:7], s[6:7], exec
.LBB232_212:
	s_or_b64 exec, exec, s[10:11]
	s_andn2_b64 s[4:5], s[44:45], exec
	s_and_b64 s[10:11], s[14:15], exec
	s_or_b64 s[10:11], s[4:5], s[10:11]
	s_and_b64 s[6:7], s[6:7], exec
                                        ; implicit-def: $vgpr0_vgpr1
.LBB232_213:
	s_andn2_saveexec_b64 s[12:13], s[12:13]
	s_cbranch_execz .LBB232_257
; %bb.214:
	v_mov_b32_e32 v2, 22
	v_cmp_gt_i16_sdwa s[14:15], v17, v2 src0_sel:BYTE_0 src1_sel:DWORD
	s_mov_b64 s[4:5], s[6:7]
	s_and_saveexec_b64 s[16:17], s[14:15]
	s_xor_b64 s[14:15], exec, s[16:17]
	s_cbranch_execz .LBB232_246
; %bb.215:
	v_mov_b32_e32 v2, 23
	v_cmp_gt_i16_sdwa s[4:5], v17, v2 src0_sel:BYTE_0 src1_sel:DWORD
	s_and_saveexec_b64 s[16:17], s[4:5]
	s_xor_b64 s[16:17], exec, s[16:17]
	s_cbranch_execz .LBB232_235
; %bb.216:
	v_mov_b32_e32 v2, 24
	v_cmp_gt_i16_sdwa s[4:5], v17, v2 src0_sel:BYTE_0 src1_sel:DWORD
	s_and_saveexec_b64 s[18:19], s[4:5]
	s_xor_b64 s[18:19], exec, s[18:19]
	s_cbranch_execz .LBB232_224
; %bb.217:
	v_cndmask_b32_e64 v3, 0, 1.0, vcc
	s_mov_b32 s4, 0x47800000
	v_cmp_gt_u32_e64 s[4:5], s4, v3
	v_mov_b32_e32 v4, 0x80
	s_and_saveexec_b64 s[20:21], s[4:5]
	s_cbranch_execz .LBB232_223
; %bb.218:
	s_mov_b32 s4, 0x37ffffff
	v_cmp_lt_u32_e64 s[4:5], s4, v3
	s_mov_b64 s[22:23], 0
                                        ; implicit-def: $vgpr2
	s_and_saveexec_b64 s[24:25], s[4:5]
	s_xor_b64 s[4:5], exec, s[24:25]
	s_cbranch_execz .LBB232_2642
; %bb.219:
	v_bfe_u32 v2, v3, 21, 1
	s_mov_b32 s24, 0x88fffff
	v_add3_u32 v2, v3, v2, s24
	s_mov_b64 s[22:23], exec
	v_lshrrev_b32_e32 v2, 21, v2
                                        ; implicit-def: $vgpr3
	s_andn2_saveexec_b64 s[24:25], s[4:5]
	s_cbranch_execnz .LBB232_2643
.LBB232_220:
	s_or_b64 exec, exec, s[24:25]
	v_mov_b32_e32 v4, 0
	s_and_saveexec_b64 s[4:5], s[22:23]
.LBB232_221:
	v_mov_b32_e32 v4, v2
.LBB232_222:
	s_or_b64 exec, exec, s[4:5]
.LBB232_223:
	s_or_b64 exec, exec, s[20:21]
	flat_store_byte v[0:1], v4
                                        ; implicit-def: $vgpr0_vgpr1
.LBB232_224:
	s_andn2_saveexec_b64 s[18:19], s[18:19]
	s_cbranch_execz .LBB232_234
; %bb.225:
	v_cndmask_b32_e64 v2, 0, 1.0, vcc
	s_mov_b32 s4, 0x43f00000
	v_cmp_gt_u32_e64 s[4:5], s4, v2
                                        ; implicit-def: $vgpr3
	s_and_saveexec_b64 s[20:21], s[4:5]
	s_xor_b64 s[20:21], exec, s[20:21]
	s_cbranch_execz .LBB232_231
; %bb.226:
	s_mov_b32 s4, 0x3c7fffff
	v_cmp_lt_u32_e64 s[4:5], s4, v2
                                        ; implicit-def: $vgpr3
	s_and_saveexec_b64 s[22:23], s[4:5]
	s_xor_b64 s[22:23], exec, s[22:23]
; %bb.227:
	v_bfe_u32 v3, v2, 20, 1
	s_mov_b32 s4, 0x407ffff
	v_add3_u32 v2, v2, v3, s4
	v_lshrrev_b32_e32 v3, 20, v2
	v_and_b32_e32 v2, 0xff00000, v2
	s_mov_b32 s4, 0x7f00000
	v_mov_b32_e32 v4, 0x7e
	v_cmp_ne_u32_e64 s[4:5], s4, v2
	v_cndmask_b32_e64 v3, v4, v3, s[4:5]
                                        ; implicit-def: $vgpr2
; %bb.228:
	s_andn2_saveexec_b64 s[4:5], s[22:23]
; %bb.229:
	v_add_f32_e32 v3, 0x46800000, v2
; %bb.230:
	s_or_b64 exec, exec, s[4:5]
                                        ; implicit-def: $vgpr2
.LBB232_231:
	s_andn2_saveexec_b64 s[20:21], s[20:21]
; %bb.232:
	s_mov_b32 s4, 0x7f800000
	v_mov_b32_e32 v3, 0x7e
	v_mov_b32_e32 v4, 0x7f
	v_cmp_lt_u32_e64 s[4:5], s4, v2
	v_cndmask_b32_e64 v3, v3, v4, s[4:5]
; %bb.233:
	s_or_b64 exec, exec, s[20:21]
	flat_store_byte v[0:1], v3
.LBB232_234:
	s_or_b64 exec, exec, s[18:19]
                                        ; implicit-def: $vgpr0_vgpr1
.LBB232_235:
	s_andn2_saveexec_b64 s[16:17], s[16:17]
	s_cbranch_execz .LBB232_245
; %bb.236:
	v_cndmask_b32_e64 v2, 0, 1.0, vcc
	s_mov_b32 s4, 0x47800000
	v_cmp_gt_u32_e64 s[4:5], s4, v2
                                        ; implicit-def: $vgpr3
	s_and_saveexec_b64 s[18:19], s[4:5]
	s_xor_b64 s[18:19], exec, s[18:19]
	s_cbranch_execz .LBB232_242
; %bb.237:
	s_mov_b32 s4, 0x387fffff
	v_cmp_lt_u32_e64 s[4:5], s4, v2
                                        ; implicit-def: $vgpr3
	s_and_saveexec_b64 s[20:21], s[4:5]
	s_xor_b64 s[4:5], exec, s[20:21]
; %bb.238:
	v_bfe_u32 v3, v2, 21, 1
	s_mov_b32 s20, 0x80fffff
	v_add3_u32 v2, v2, v3, s20
	v_lshrrev_b32_e32 v3, 21, v2
                                        ; implicit-def: $vgpr2
; %bb.239:
	s_andn2_saveexec_b64 s[4:5], s[4:5]
; %bb.240:
	v_add_f32_e32 v3, 0x43000000, v2
; %bb.241:
	s_or_b64 exec, exec, s[4:5]
                                        ; implicit-def: $vgpr2
.LBB232_242:
	s_andn2_saveexec_b64 s[18:19], s[18:19]
; %bb.243:
	s_mov_b32 s4, 0x7f800000
	v_mov_b32_e32 v3, 0x7c
	v_mov_b32_e32 v4, 0x7f
	v_cmp_lt_u32_e64 s[4:5], s4, v2
	v_cndmask_b32_e64 v3, v3, v4, s[4:5]
; %bb.244:
	s_or_b64 exec, exec, s[18:19]
	flat_store_byte v[0:1], v3
.LBB232_245:
	s_or_b64 exec, exec, s[16:17]
	s_or_b64 s[4:5], s[6:7], exec
                                        ; implicit-def: $vgpr0_vgpr1
.LBB232_246:
	s_or_saveexec_b64 s[14:15], s[14:15]
	s_mov_b64 s[18:19], s[10:11]
	s_xor_b64 exec, exec, s[14:15]
	s_cbranch_execz .LBB232_256
; %bb.247:
	v_mov_b32_e32 v2, 14
	v_cmp_gt_i16_sdwa s[20:21], v17, v2 src0_sel:BYTE_0 src1_sel:DWORD
	s_mov_b64 s[16:17], s[4:5]
	s_mov_b64 s[18:19], s[10:11]
	s_and_saveexec_b64 s[22:23], s[20:21]
	s_xor_b64 s[20:21], exec, s[22:23]
	s_cbranch_execz .LBB232_251
; %bb.248:
	v_mov_b32_e32 v2, 15
	v_cmp_eq_u16_sdwa s[24:25], v17, v2 src0_sel:BYTE_0 src1_sel:DWORD
	s_mov_b64 s[18:19], -1
	s_mov_b64 s[16:17], s[4:5]
	s_and_saveexec_b64 s[22:23], s[24:25]
	s_cbranch_execz .LBB232_250
; %bb.249:
	v_cndmask_b32_e64 v2, 0, 1.0, vcc
	v_bfe_u32 v3, v2, 16, 1
	s_movk_i32 s16, 0x7fff
	v_add3_u32 v2, v2, v3, s16
	flat_store_short_d16_hi v[0:1], v2
	s_xor_b64 s[18:19], exec, -1
	s_or_b64 s[16:17], s[4:5], exec
.LBB232_250:
	s_or_b64 exec, exec, s[22:23]
	s_andn2_b64 s[22:23], s[10:11], exec
	s_and_b64 s[18:19], s[18:19], exec
	s_or_b64 s[18:19], s[22:23], s[18:19]
	s_andn2_b64 s[22:23], s[4:5], exec
	s_and_b64 s[16:17], s[16:17], exec
	s_or_b64 s[16:17], s[22:23], s[16:17]
                                        ; implicit-def: $vgpr0_vgpr1
.LBB232_251:
	s_andn2_saveexec_b64 s[20:21], s[20:21]
	s_cbranch_execz .LBB232_255
; %bb.252:
	v_mov_b32_e32 v2, 11
	v_cmp_eq_u16_sdwa s[28:29], v17, v2 src0_sel:BYTE_0 src1_sel:DWORD
	s_mov_b64 s[24:25], -1
	s_mov_b64 s[22:23], s[16:17]
	s_and_saveexec_b64 s[26:27], s[28:29]
	s_cbranch_execz .LBB232_254
; %bb.253:
	v_cndmask_b32_e64 v2, 0, 1, vcc
	flat_store_byte v[0:1], v2
	s_xor_b64 s[24:25], exec, -1
	s_or_b64 s[22:23], s[16:17], exec
.LBB232_254:
	s_or_b64 exec, exec, s[26:27]
	s_andn2_b64 s[18:19], s[18:19], exec
	s_and_b64 s[24:25], s[24:25], exec
	s_andn2_b64 s[16:17], s[16:17], exec
	s_and_b64 s[22:23], s[22:23], exec
	s_or_b64 s[18:19], s[18:19], s[24:25]
	s_or_b64 s[16:17], s[16:17], s[22:23]
.LBB232_255:
	s_or_b64 exec, exec, s[20:21]
	s_andn2_b64 s[20:21], s[10:11], exec
	s_and_b64 s[18:19], s[18:19], exec
	s_andn2_b64 s[4:5], s[4:5], exec
	s_and_b64 s[16:17], s[16:17], exec
	s_or_b64 s[18:19], s[20:21], s[18:19]
	s_or_b64 s[4:5], s[4:5], s[16:17]
.LBB232_256:
	s_or_b64 exec, exec, s[14:15]
	s_andn2_b64 s[10:11], s[10:11], exec
	s_and_b64 s[14:15], s[18:19], exec
	s_andn2_b64 s[6:7], s[6:7], exec
	s_and_b64 s[4:5], s[4:5], exec
	s_or_b64 s[10:11], s[10:11], s[14:15]
	s_or_b64 s[6:7], s[6:7], s[4:5]
.LBB232_257:
	s_or_b64 exec, exec, s[12:13]
	s_andn2_b64 s[4:5], s[44:45], exec
	s_and_b64 s[10:11], s[10:11], exec
	s_or_b64 s[4:5], s[4:5], s[10:11]
	s_and_b64 s[6:7], s[6:7], exec
                                        ; implicit-def: $vgpr0_vgpr1
	s_andn2_saveexec_b64 s[8:9], s[8:9]
	s_cbranch_execnz .LBB232_2283
.LBB232_258:
	s_or_b64 exec, exec, s[8:9]
	s_mov_b64 s[8:9], 0
	s_and_saveexec_b64 s[10:11], s[6:7]
.LBB232_259:
	s_mov_b64 s[8:9], exec
	v_add_u32_e32 v7, 0x80, v7
.LBB232_260:
	s_or_b64 exec, exec, s[10:11]
	s_andn2_b64 s[6:7], s[44:45], exec
	s_and_b64 s[4:5], s[4:5], exec
	s_or_b64 s[50:51], s[6:7], s[4:5]
	s_orn2_b64 s[8:9], s[8:9], exec
.LBB232_261:
	s_or_b64 exec, exec, s[48:49]
	s_mov_b64 s[4:5], 0
	s_mov_b64 s[10:11], 0
                                        ; implicit-def: $sgpr6_sgpr7
                                        ; implicit-def: $vgpr2
                                        ; implicit-def: $vgpr0_vgpr1
	s_and_saveexec_b64 s[48:49], s[8:9]
	s_cbranch_execz .LBB232_345
; %bb.262:
	v_cmp_gt_i32_e32 vcc, s33, v7
	s_mov_b64 s[8:9], s[50:51]
                                        ; implicit-def: $sgpr6_sgpr7
                                        ; implicit-def: $vgpr2
                                        ; implicit-def: $vgpr0_vgpr1
	s_and_saveexec_b64 s[52:53], vcc
	s_cbranch_execz .LBB232_344
; %bb.263:
	s_getpc_b64 s[4:5]
	s_add_u32 s4, s4, _ZN2at6native6invokeINS0_13BinaryFunctorIN3c1011Float8_e5m2ES4_bNS0_12_GLOBAL__N_116CompareEqFunctorIS4_EEEEi15function_traitsIS8_EEENT1_11result_typeERKT_PrKPcPKT0_PKNS3_10ScalarTypeEi@rel32@lo+4
	s_addc_u32 s5, s5, _ZN2at6native6invokeINS0_13BinaryFunctorIN3c1011Float8_e5m2ES4_bNS0_12_GLOBAL__N_116CompareEqFunctorIS4_EEEEi15function_traitsIS8_EEENT1_11result_typeERKT_PrKPcPKT0_PKNS3_10ScalarTypeEi@rel32@hi+12
	s_waitcnt vmcnt(0)
	v_mov_b32_e32 v0, v16
	v_mov_b32_e32 v1, s41
	;; [unrolled: 1-line block ×7, first 2 shown]
	s_swappc_b64 s[30:31], s[4:5]
	v_and_b32_e32 v0, 1, v0
	v_cmp_eq_u32_e64 s[6:7], 1, v0
	v_mul_lo_u32 v0, v20, v7
	v_and_b32_e32 v2, 0xff, v17
	s_mov_b64 s[12:13], 0
	s_mov_b64 s[10:11], -1
	v_ashrrev_i32_e32 v1, 31, v0
	v_add_co_u32_e32 v0, vcc, v18, v0
	v_addc_co_u32_e32 v1, vcc, v19, v1, vcc
	v_cmp_lt_i16_e32 vcc, 10, v2
	s_mov_b64 s[14:15], s[50:51]
	s_and_saveexec_b64 s[8:9], vcc
	s_cbranch_execz .LBB232_343
; %bb.264:
	v_cmp_lt_i16_e32 vcc, 25, v2
	s_mov_b64 s[4:5], s[50:51]
	s_and_saveexec_b64 s[10:11], vcc
	s_xor_b64 s[10:11], exec, s[10:11]
	s_cbranch_execz .LBB232_300
; %bb.265:
	v_cmp_lt_i16_e32 vcc, 28, v2
	s_mov_b64 s[4:5], s[50:51]
	s_and_saveexec_b64 s[12:13], vcc
	s_xor_b64 s[12:13], exec, s[12:13]
	;; [unrolled: 6-line block ×4, first 2 shown]
	s_cbranch_execz .LBB232_271
; %bb.268:
	v_cmp_eq_u16_e32 vcc, 46, v2
	s_mov_b64 s[18:19], -1
	s_and_saveexec_b64 s[16:17], vcc
	s_cbranch_execz .LBB232_270
; %bb.269:
	v_cndmask_b32_e64 v3, 0, 1.0, s[6:7]
	v_bfe_u32 v4, v3, 16, 1
	s_movk_i32 s18, 0x7fff
	v_add3_u32 v3, v3, v4, s18
	v_lshrrev_b32_e32 v3, 16, v3
	flat_store_dword v[0:1], v3
	s_xor_b64 s[18:19], exec, -1
.LBB232_270:
	s_or_b64 exec, exec, s[16:17]
	s_andn2_b64 s[16:17], s[50:51], exec
	s_and_b64 s[18:19], s[18:19], exec
	s_or_b64 s[16:17], s[16:17], s[18:19]
.LBB232_271:
	s_andn2_saveexec_b64 s[18:19], s[4:5]
	s_cbranch_execz .LBB232_277
; %bb.272:
	v_cmp_eq_u16_e32 vcc, 44, v2
	s_mov_b64 s[4:5], -1
	s_and_saveexec_b64 s[20:21], vcc
	s_cbranch_execz .LBB232_276
; %bb.273:
	v_cndmask_b32_e64 v4, 0, 1.0, s[6:7]
	v_lshrrev_b32_e32 v3, 23, v4
	s_movk_i32 s4, 0xff
	v_cmp_ne_u32_e32 vcc, s4, v3
	v_mov_b32_e32 v5, 0xff
	s_and_saveexec_b64 s[22:23], vcc
; %bb.274:
	s_mov_b32 s4, 0x3fffff
	v_and_b32_e32 v5, 0x400000, v4
	v_and_or_b32 v4, v4, s4, v3
	v_cmp_ne_u32_e32 vcc, 0, v5
	v_cmp_ne_u32_e64 s[4:5], 0, v4
	s_and_b64 s[4:5], vcc, s[4:5]
	v_cndmask_b32_e64 v4, 0, 1, s[4:5]
	v_add_u32_e32 v5, v3, v4
; %bb.275:
	s_or_b64 exec, exec, s[22:23]
	s_xor_b64 s[4:5], exec, -1
	flat_store_byte v[0:1], v5
.LBB232_276:
	s_or_b64 exec, exec, s[20:21]
	s_andn2_b64 s[16:17], s[16:17], exec
	s_and_b64 s[4:5], s[4:5], exec
	s_or_b64 s[16:17], s[16:17], s[4:5]
.LBB232_277:
	s_or_b64 exec, exec, s[18:19]
	s_andn2_b64 s[4:5], s[50:51], exec
	s_and_b64 s[16:17], s[16:17], exec
	s_or_b64 s[4:5], s[4:5], s[16:17]
.LBB232_278:
	s_andn2_saveexec_b64 s[14:15], s[14:15]
	s_cbranch_execz .LBB232_282
; %bb.279:
	v_cmp_eq_u16_e32 vcc, 29, v2
	s_mov_b64 s[18:19], -1
	s_and_saveexec_b64 s[16:17], vcc
	s_cbranch_execz .LBB232_281
; %bb.280:
	s_mov_b32 s18, 0
	v_cndmask_b32_e64 v3, 0, 1, s[6:7]
	v_mov_b32_e32 v4, s18
	flat_store_dwordx2 v[0:1], v[3:4]
	s_xor_b64 s[18:19], exec, -1
.LBB232_281:
	s_or_b64 exec, exec, s[16:17]
	s_andn2_b64 s[4:5], s[4:5], exec
	s_and_b64 s[16:17], s[18:19], exec
	s_or_b64 s[4:5], s[4:5], s[16:17]
.LBB232_282:
	s_or_b64 exec, exec, s[14:15]
	s_andn2_b64 s[14:15], s[50:51], exec
	s_and_b64 s[4:5], s[4:5], exec
	s_or_b64 s[4:5], s[14:15], s[4:5]
.LBB232_283:
	s_andn2_saveexec_b64 s[12:13], s[12:13]
	s_cbranch_execz .LBB232_299
; %bb.284:
	v_cmp_lt_i16_e32 vcc, 26, v2
	s_and_saveexec_b64 s[14:15], vcc
	s_xor_b64 s[14:15], exec, s[14:15]
	s_cbranch_execz .LBB232_290
; %bb.285:
	v_cmp_lt_i16_e32 vcc, 27, v2
	v_cndmask_b32_e64 v3, 0, 1, s[6:7]
	s_and_saveexec_b64 s[16:17], vcc
	s_xor_b64 s[16:17], exec, s[16:17]
	s_cbranch_execz .LBB232_287
; %bb.286:
	flat_store_dword v[0:1], v3
                                        ; implicit-def: $vgpr3
.LBB232_287:
	s_andn2_saveexec_b64 s[16:17], s[16:17]
	s_cbranch_execz .LBB232_289
; %bb.288:
	flat_store_short v[0:1], v3
.LBB232_289:
	s_or_b64 exec, exec, s[16:17]
.LBB232_290:
	s_andn2_saveexec_b64 s[14:15], s[14:15]
	s_cbranch_execz .LBB232_298
; %bb.291:
	v_cndmask_b32_e64 v4, 0, 1.0, s[6:7]
	s_mov_b32 s16, 0x43800000
	v_cmp_gt_u32_e32 vcc, s16, v4
	v_mov_b32_e32 v5, 0x80
	s_and_saveexec_b64 s[16:17], vcc
	s_cbranch_execz .LBB232_297
; %bb.292:
	s_mov_b32 s18, 0x3bffffff
	v_cmp_lt_u32_e32 vcc, s18, v4
	s_mov_b64 s[18:19], 0
                                        ; implicit-def: $vgpr3
	s_and_saveexec_b64 s[20:21], vcc
	s_xor_b64 s[20:21], exec, s[20:21]
	s_cbranch_execz .LBB232_2644
; %bb.293:
	v_bfe_u32 v3, v4, 20, 1
	s_mov_b32 s22, 0x487ffff
	v_add3_u32 v3, v4, v3, s22
	s_mov_b64 s[18:19], exec
	v_lshrrev_b32_e32 v3, 20, v3
                                        ; implicit-def: $vgpr4
	s_andn2_saveexec_b64 s[20:21], s[20:21]
	s_cbranch_execnz .LBB232_2645
.LBB232_294:
	s_or_b64 exec, exec, s[20:21]
	v_mov_b32_e32 v5, 0
	s_and_saveexec_b64 s[20:21], s[18:19]
.LBB232_295:
	v_mov_b32_e32 v5, v3
.LBB232_296:
	s_or_b64 exec, exec, s[20:21]
.LBB232_297:
	s_or_b64 exec, exec, s[16:17]
	flat_store_byte v[0:1], v5
.LBB232_298:
	s_or_b64 exec, exec, s[14:15]
.LBB232_299:
	s_or_b64 exec, exec, s[12:13]
	s_andn2_b64 s[12:13], s[50:51], exec
	s_and_b64 s[4:5], s[4:5], exec
	s_or_b64 s[4:5], s[12:13], s[4:5]
.LBB232_300:
	s_or_saveexec_b64 s[10:11], s[10:11]
	s_mov_b64 s[12:13], 0
	s_xor_b64 exec, exec, s[10:11]
	s_cbranch_execz .LBB232_342
; %bb.301:
	v_cmp_lt_i16_e32 vcc, 22, v2
	s_and_saveexec_b64 s[12:13], vcc
	s_xor_b64 s[12:13], exec, s[12:13]
	s_cbranch_execz .LBB232_333
; %bb.302:
	v_cmp_lt_i16_e32 vcc, 23, v2
	s_and_saveexec_b64 s[14:15], vcc
	s_xor_b64 s[14:15], exec, s[14:15]
	;; [unrolled: 5-line block ×3, first 2 shown]
	s_cbranch_execz .LBB232_311
; %bb.304:
	v_cndmask_b32_e64 v4, 0, 1.0, s[6:7]
	s_mov_b32 s18, 0x47800000
	v_cmp_gt_u32_e32 vcc, s18, v4
	v_mov_b32_e32 v5, 0x80
	s_and_saveexec_b64 s[18:19], vcc
	s_cbranch_execz .LBB232_310
; %bb.305:
	s_mov_b32 s20, 0x37ffffff
	v_cmp_lt_u32_e32 vcc, s20, v4
	s_mov_b64 s[20:21], 0
                                        ; implicit-def: $vgpr3
	s_and_saveexec_b64 s[22:23], vcc
	s_xor_b64 s[22:23], exec, s[22:23]
	s_cbranch_execz .LBB232_2693
; %bb.306:
	v_bfe_u32 v3, v4, 21, 1
	s_mov_b32 s24, 0x88fffff
	v_add3_u32 v3, v4, v3, s24
	s_mov_b64 s[20:21], exec
	v_lshrrev_b32_e32 v3, 21, v3
                                        ; implicit-def: $vgpr4
	s_andn2_saveexec_b64 s[22:23], s[22:23]
	s_cbranch_execnz .LBB232_2694
.LBB232_307:
	s_or_b64 exec, exec, s[22:23]
	v_mov_b32_e32 v5, 0
	s_and_saveexec_b64 s[22:23], s[20:21]
.LBB232_308:
	v_mov_b32_e32 v5, v3
.LBB232_309:
	s_or_b64 exec, exec, s[22:23]
.LBB232_310:
	s_or_b64 exec, exec, s[18:19]
	flat_store_byte v[0:1], v5
.LBB232_311:
	s_andn2_saveexec_b64 s[16:17], s[16:17]
	s_cbranch_execz .LBB232_321
; %bb.312:
	v_cndmask_b32_e64 v3, 0, 1.0, s[6:7]
	s_mov_b32 s18, 0x43f00000
	v_cmp_gt_u32_e32 vcc, s18, v3
                                        ; implicit-def: $vgpr4
	s_and_saveexec_b64 s[18:19], vcc
	s_xor_b64 s[18:19], exec, s[18:19]
	s_cbranch_execz .LBB232_318
; %bb.313:
	s_mov_b32 s20, 0x3c7fffff
	v_cmp_lt_u32_e32 vcc, s20, v3
                                        ; implicit-def: $vgpr4
	s_and_saveexec_b64 s[20:21], vcc
	s_xor_b64 s[20:21], exec, s[20:21]
; %bb.314:
	v_bfe_u32 v4, v3, 20, 1
	s_mov_b32 s22, 0x407ffff
	v_add3_u32 v3, v3, v4, s22
	v_lshrrev_b32_e32 v4, 20, v3
	v_and_b32_e32 v3, 0xff00000, v3
	s_mov_b32 s22, 0x7f00000
	v_mov_b32_e32 v5, 0x7e
	v_cmp_ne_u32_e32 vcc, s22, v3
	v_cndmask_b32_e32 v4, v5, v4, vcc
                                        ; implicit-def: $vgpr3
; %bb.315:
	s_andn2_saveexec_b64 s[20:21], s[20:21]
; %bb.316:
	v_add_f32_e32 v4, 0x46800000, v3
; %bb.317:
	s_or_b64 exec, exec, s[20:21]
                                        ; implicit-def: $vgpr3
.LBB232_318:
	s_andn2_saveexec_b64 s[18:19], s[18:19]
; %bb.319:
	s_mov_b32 s20, 0x7f800000
	v_mov_b32_e32 v4, 0x7e
	v_mov_b32_e32 v5, 0x7f
	v_cmp_lt_u32_e32 vcc, s20, v3
	v_cndmask_b32_e32 v4, v4, v5, vcc
; %bb.320:
	s_or_b64 exec, exec, s[18:19]
	flat_store_byte v[0:1], v4
.LBB232_321:
	s_or_b64 exec, exec, s[16:17]
.LBB232_322:
	s_andn2_saveexec_b64 s[14:15], s[14:15]
	s_cbranch_execz .LBB232_332
; %bb.323:
	v_cndmask_b32_e64 v3, 0, 1.0, s[6:7]
	s_mov_b32 s16, 0x47800000
	v_cmp_gt_u32_e32 vcc, s16, v3
                                        ; implicit-def: $vgpr4
	s_and_saveexec_b64 s[16:17], vcc
	s_xor_b64 s[16:17], exec, s[16:17]
	s_cbranch_execz .LBB232_329
; %bb.324:
	s_mov_b32 s18, 0x387fffff
	v_cmp_lt_u32_e32 vcc, s18, v3
                                        ; implicit-def: $vgpr4
	s_and_saveexec_b64 s[18:19], vcc
	s_xor_b64 s[18:19], exec, s[18:19]
; %bb.325:
	v_bfe_u32 v4, v3, 21, 1
	s_mov_b32 s20, 0x80fffff
	v_add3_u32 v3, v3, v4, s20
	v_lshrrev_b32_e32 v4, 21, v3
                                        ; implicit-def: $vgpr3
; %bb.326:
	s_andn2_saveexec_b64 s[18:19], s[18:19]
; %bb.327:
	v_add_f32_e32 v4, 0x43000000, v3
; %bb.328:
	s_or_b64 exec, exec, s[18:19]
                                        ; implicit-def: $vgpr3
.LBB232_329:
	s_andn2_saveexec_b64 s[16:17], s[16:17]
; %bb.330:
	s_mov_b32 s18, 0x7f800000
	v_mov_b32_e32 v4, 0x7c
	v_mov_b32_e32 v5, 0x7f
	v_cmp_lt_u32_e32 vcc, s18, v3
	v_cndmask_b32_e32 v4, v4, v5, vcc
; %bb.331:
	s_or_b64 exec, exec, s[16:17]
	flat_store_byte v[0:1], v4
.LBB232_332:
	s_or_b64 exec, exec, s[14:15]
.LBB232_333:
	s_or_saveexec_b64 s[12:13], s[12:13]
	s_mov_b64 s[16:17], 0
	s_mov_b64 s[14:15], s[4:5]
	s_xor_b64 exec, exec, s[12:13]
	s_cbranch_execz .LBB232_341
; %bb.334:
	v_cmp_lt_i16_e32 vcc, 14, v2
	s_mov_b64 s[14:15], s[4:5]
	s_and_saveexec_b64 s[16:17], vcc
	s_xor_b64 s[16:17], exec, s[16:17]
	s_cbranch_execz .LBB232_338
; %bb.335:
	v_cmp_eq_u16_e32 vcc, 15, v2
	s_mov_b64 s[18:19], -1
	s_and_saveexec_b64 s[14:15], vcc
	s_cbranch_execz .LBB232_337
; %bb.336:
	v_cndmask_b32_e64 v3, 0, 1.0, s[6:7]
	v_bfe_u32 v4, v3, 16, 1
	s_movk_i32 s18, 0x7fff
	v_add3_u32 v3, v3, v4, s18
	flat_store_short_d16_hi v[0:1], v3
	s_xor_b64 s[18:19], exec, -1
.LBB232_337:
	s_or_b64 exec, exec, s[14:15]
	s_andn2_b64 s[14:15], s[4:5], exec
	s_and_b64 s[18:19], s[18:19], exec
	s_or_b64 s[14:15], s[14:15], s[18:19]
.LBB232_338:
	s_or_saveexec_b64 s[16:17], s[16:17]
	s_mov_b64 s[18:19], 0
	s_xor_b64 exec, exec, s[16:17]
; %bb.339:
	v_cmp_ne_u16_e32 vcc, 11, v2
	s_andn2_b64 s[14:15], s[14:15], exec
	s_and_b64 s[20:21], vcc, exec
	s_mov_b64 s[18:19], exec
	s_or_b64 s[14:15], s[14:15], s[20:21]
; %bb.340:
	s_or_b64 exec, exec, s[16:17]
	s_and_b64 s[16:17], s[18:19], exec
	s_andn2_b64 s[18:19], s[4:5], exec
	s_and_b64 s[14:15], s[14:15], exec
	s_or_b64 s[14:15], s[18:19], s[14:15]
.LBB232_341:
	s_or_b64 exec, exec, s[12:13]
	s_andn2_b64 s[4:5], s[4:5], exec
	s_and_b64 s[14:15], s[14:15], exec
	s_and_b64 s[12:13], s[16:17], exec
	s_or_b64 s[4:5], s[4:5], s[14:15]
.LBB232_342:
	s_or_b64 exec, exec, s[10:11]
	s_andn2_b64 s[14:15], s[50:51], exec
	s_and_b64 s[4:5], s[4:5], exec
	s_xor_b64 s[10:11], exec, -1
	s_and_b64 s[12:13], s[12:13], exec
	s_or_b64 s[14:15], s[14:15], s[4:5]
.LBB232_343:
	s_or_b64 exec, exec, s[8:9]
	s_and_b64 s[4:5], s[12:13], exec
	s_andn2_b64 s[8:9], s[50:51], exec
	s_and_b64 s[12:13], s[14:15], exec
	s_and_b64 s[10:11], s[10:11], exec
	s_or_b64 s[8:9], s[8:9], s[12:13]
.LBB232_344:
	s_or_b64 exec, exec, s[52:53]
	s_andn2_b64 s[12:13], s[50:51], exec
	s_and_b64 s[8:9], s[8:9], exec
	s_and_b64 s[10:11], s[10:11], exec
	;; [unrolled: 1-line block ×3, first 2 shown]
	s_or_b64 s[50:51], s[12:13], s[8:9]
.LBB232_345:
	s_or_b64 exec, exec, s[48:49]
	s_and_b64 s[8:9], s[10:11], exec
	s_andn2_b64 s[10:11], s[44:45], exec
	s_and_b64 s[12:13], s[50:51], exec
	s_and_b64 s[4:5], s[4:5], exec
	s_or_b64 s[44:45], s[10:11], s[12:13]
.LBB232_346:
	s_or_b64 exec, exec, s[46:47]
	s_and_b64 s[46:47], s[4:5], exec
	s_andn2_b64 s[4:5], s[34:35], exec
	s_and_b64 s[10:11], s[44:45], exec
	s_and_b64 s[8:9], s[8:9], exec
	s_or_b64 s[34:35], s[4:5], s[10:11]
	s_or_b64 exec, exec, s[42:43]
	s_mov_b64 s[4:5], 0
	s_and_saveexec_b64 s[10:11], s[34:35]
	s_cbranch_execz .LBB232_350
.LBB232_347:
	s_mov_b64 s[4:5], exec
	s_andn2_b64 s[46:47], s[46:47], exec
	s_trap 2
	s_or_b64 exec, exec, s[10:11]
	s_and_saveexec_b64 s[10:11], s[46:47]
	s_xor_b64 s[10:11], exec, s[10:11]
	s_cbranch_execnz .LBB232_351
.LBB232_348:
	s_or_b64 exec, exec, s[10:11]
	s_and_saveexec_b64 s[10:11], s[8:9]
	s_xor_b64 s[8:9], exec, s[10:11]
	s_cbranch_execnz .LBB232_352
	s_branch .LBB232_393
.LBB232_349:
	s_or_b64 exec, exec, s[42:43]
	s_mov_b64 s[4:5], 0
	s_and_saveexec_b64 s[10:11], s[34:35]
	s_cbranch_execnz .LBB232_347
.LBB232_350:
	s_or_b64 exec, exec, s[10:11]
	s_and_saveexec_b64 s[10:11], s[46:47]
	s_xor_b64 s[10:11], exec, s[10:11]
	s_cbranch_execz .LBB232_348
.LBB232_351:
	v_cndmask_b32_e64 v3, 0, 1, s[6:7]
	flat_store_byte v[0:1], v3
	s_or_b64 exec, exec, s[10:11]
	s_and_saveexec_b64 s[10:11], s[8:9]
	s_xor_b64 s[8:9], exec, s[10:11]
	s_cbranch_execz .LBB232_393
.LBB232_352:
	v_cmp_lt_i16_e32 vcc, 4, v2
	s_and_saveexec_b64 s[10:11], vcc
	s_xor_b64 s[10:11], exec, s[10:11]
	s_cbranch_execz .LBB232_374
; %bb.353:
	v_cmp_lt_i16_e32 vcc, 7, v2
	s_and_saveexec_b64 s[12:13], vcc
	s_xor_b64 s[12:13], exec, s[12:13]
	s_cbranch_execz .LBB232_363
; %bb.354:
	;; [unrolled: 5-line block ×4, first 2 shown]
	v_cndmask_b32_e64 v3, 0, 1, s[6:7]
	v_cvt_f64_u32_e32 v[3:4], v3
	v_mov_b32_e32 v5, 0
	v_mov_b32_e32 v6, v5
	flat_store_dwordx4 v[0:1], v[3:6]
.LBB232_357:
	s_andn2_saveexec_b64 s[16:17], s[16:17]
	s_cbranch_execz .LBB232_359
; %bb.358:
	v_cndmask_b32_e64 v3, 0, 1.0, s[6:7]
	v_mov_b32_e32 v4, 0
	flat_store_dwordx2 v[0:1], v[3:4]
.LBB232_359:
	s_or_b64 exec, exec, s[16:17]
.LBB232_360:
	s_andn2_saveexec_b64 s[14:15], s[14:15]
	s_cbranch_execz .LBB232_362
; %bb.361:
	v_cndmask_b32_e64 v3, 0, 1.0, s[6:7]
	v_cvt_f16_f32_e32 v3, v3
	flat_store_dword v[0:1], v3
.LBB232_362:
	s_or_b64 exec, exec, s[14:15]
.LBB232_363:
	s_andn2_saveexec_b64 s[12:13], s[12:13]
	s_cbranch_execz .LBB232_373
; %bb.364:
	v_cmp_lt_i16_e32 vcc, 5, v2
	s_and_saveexec_b64 s[14:15], vcc
	s_xor_b64 s[14:15], exec, s[14:15]
	s_cbranch_execz .LBB232_370
; %bb.365:
	v_cmp_lt_i16_e32 vcc, 6, v2
	s_and_saveexec_b64 s[16:17], vcc
	s_xor_b64 s[16:17], exec, s[16:17]
	s_cbranch_execz .LBB232_367
; %bb.366:
	v_cndmask_b32_e64 v3, 0, 1, s[6:7]
	v_cvt_f64_u32_e32 v[3:4], v3
	flat_store_dwordx2 v[0:1], v[3:4]
.LBB232_367:
	s_andn2_saveexec_b64 s[16:17], s[16:17]
	s_cbranch_execz .LBB232_369
; %bb.368:
	v_cndmask_b32_e64 v3, 0, 1.0, s[6:7]
	flat_store_dword v[0:1], v3
.LBB232_369:
	s_or_b64 exec, exec, s[16:17]
.LBB232_370:
	s_andn2_saveexec_b64 s[14:15], s[14:15]
	s_cbranch_execz .LBB232_372
; %bb.371:
	v_cndmask_b32_e64 v3, 0, 1.0, s[6:7]
	v_cvt_f16_f32_e32 v3, v3
	flat_store_short v[0:1], v3
.LBB232_372:
	s_or_b64 exec, exec, s[14:15]
.LBB232_373:
	s_or_b64 exec, exec, s[12:13]
.LBB232_374:
	s_andn2_saveexec_b64 s[10:11], s[10:11]
	s_cbranch_execz .LBB232_392
; %bb.375:
	v_cmp_lt_i16_e32 vcc, 1, v2
	s_and_saveexec_b64 s[12:13], vcc
	s_xor_b64 s[12:13], exec, s[12:13]
	s_cbranch_execz .LBB232_385
; %bb.376:
	v_cmp_lt_i16_e32 vcc, 2, v2
	s_and_saveexec_b64 s[14:15], vcc
	s_xor_b64 s[14:15], exec, s[14:15]
	;; [unrolled: 5-line block ×3, first 2 shown]
	s_cbranch_execz .LBB232_379
; %bb.378:
	s_mov_b32 s18, 0
	v_cndmask_b32_e64 v3, 0, 1, s[6:7]
	v_mov_b32_e32 v4, s18
	flat_store_dwordx2 v[0:1], v[3:4]
                                        ; implicit-def: $vgpr0_vgpr1
.LBB232_379:
	s_andn2_saveexec_b64 s[16:17], s[16:17]
	s_cbranch_execz .LBB232_381
; %bb.380:
	v_cndmask_b32_e64 v3, 0, 1, s[6:7]
	flat_store_dword v[0:1], v3
.LBB232_381:
	s_or_b64 exec, exec, s[16:17]
                                        ; implicit-def: $vgpr0_vgpr1
.LBB232_382:
	s_andn2_saveexec_b64 s[14:15], s[14:15]
	s_cbranch_execz .LBB232_384
; %bb.383:
	v_cndmask_b32_e64 v3, 0, 1, s[6:7]
	flat_store_short v[0:1], v3
.LBB232_384:
	s_or_b64 exec, exec, s[14:15]
                                        ; implicit-def: $vgpr0_vgpr1
.LBB232_385:
	s_andn2_saveexec_b64 s[12:13], s[12:13]
	s_cbranch_execz .LBB232_391
; %bb.386:
	v_cmp_lt_i16_e32 vcc, 0, v2
	v_cndmask_b32_e64 v2, 0, 1, s[6:7]
	s_and_saveexec_b64 s[6:7], vcc
	s_xor_b64 s[6:7], exec, s[6:7]
	s_cbranch_execz .LBB232_388
; %bb.387:
	flat_store_byte v[0:1], v2
                                        ; implicit-def: $vgpr0_vgpr1
                                        ; implicit-def: $vgpr2
.LBB232_388:
	s_andn2_saveexec_b64 s[6:7], s[6:7]
	s_cbranch_execz .LBB232_390
; %bb.389:
	flat_store_byte v[0:1], v2
.LBB232_390:
	s_or_b64 exec, exec, s[6:7]
.LBB232_391:
	s_or_b64 exec, exec, s[12:13]
.LBB232_392:
	s_or_b64 exec, exec, s[10:11]
.LBB232_393:
	s_or_b64 exec, exec, s[8:9]
	s_and_b64 s[34:35], s[4:5], exec
                                        ; implicit-def: $vgpr7
.LBB232_394:
	s_or_saveexec_b64 s[36:37], s[36:37]
	s_mov_b64 s[4:5], 0
                                        ; implicit-def: $sgpr6_sgpr7
                                        ; implicit-def: $vgpr0_vgpr1
                                        ; implicit-def: $vgpr21
	s_xor_b64 exec, exec, s[36:37]
	s_cbranch_execz .LBB232_2054
; %bb.395:
	buffer_load_dword v16, off, s[0:3], 0 offset:36
	s_mov_b64 s[4:5], src_private_base
	s_mov_b32 s33, 8
	s_mov_b32 s39, 28
	;; [unrolled: 1-line block ×3, first 2 shown]
	s_getpc_b64 s[6:7]
	s_add_u32 s6, s6, _ZN2at6native6invokeINS0_13BinaryFunctorIN3c1011Float8_e5m2ES4_bNS0_12_GLOBAL__N_116CompareEqFunctorIS4_EEEEi15function_traitsIS8_EEENT1_11result_typeERKT_PrKPcPKT0_PKNS3_10ScalarTypeEi@rel32@lo+4
	s_addc_u32 s7, s7, _ZN2at6native6invokeINS0_13BinaryFunctorIN3c1011Float8_e5m2ES4_bNS0_12_GLOBAL__N_116CompareEqFunctorIS4_EEEEi15function_traitsIS8_EEENT1_11result_typeERKT_PrKPcPKT0_PKNS3_10ScalarTypeEi@rel32@hi+12
	v_mov_b32_e32 v1, s33
	v_mov_b32_e32 v2, s5
	;; [unrolled: 1-line block ×6, first 2 shown]
	s_waitcnt vmcnt(0)
	v_mov_b32_e32 v0, v16
	s_swappc_b64 s[30:31], s[6:7]
	v_and_b32_e32 v0, 1, v0
	v_cmp_eq_u32_e32 vcc, 1, v0
	v_mov_b32_e32 v0, s39
	buffer_load_dword v8, v0, s[0:3], 0 offen
	v_mov_b32_e32 v0, s38
	buffer_load_ubyte v10, v0, s[0:3], 0 offen
	v_mov_b32_e32 v0, s33
	buffer_load_dword v13, v0, s[0:3], 0 offen
	buffer_load_dword v14, v0, s[0:3], 0 offen offset:4
                                        ; kill: killed $vgpr0
	buffer_load_dword v2, off, s[0:3], 0
	buffer_load_dword v3, off, s[0:3], 0 offset:4
	buffer_load_dword v4, off, s[0:3], 0 offset:24
	v_add_u32_e32 v6, 0x80, v7
	s_mov_b64 s[8:9], 0
	s_mov_b64 s[10:11], s[34:35]
                                        ; implicit-def: $vgpr5
	s_waitcnt vmcnt(6)
	v_mul_lo_u32 v15, v8, v6
	s_waitcnt vmcnt(5)
	v_cmp_lt_i16_e64 s[4:5], 10, v10
	v_ashrrev_i32_e32 v1, 31, v15
	s_waitcnt vmcnt(4)
	v_add_co_u32_e64 v0, s[6:7], v13, v15
	s_waitcnt vmcnt(3)
	v_addc_co_u32_e64 v1, s[6:7], v14, v1, s[6:7]
	s_and_saveexec_b64 s[6:7], s[4:5]
	s_xor_b64 s[6:7], exec, s[6:7]
	s_cbranch_execz .LBB232_490
; %bb.396:
	v_cmp_lt_i16_e64 s[4:5], 25, v10
	s_mov_b64 s[14:15], 0
	s_mov_b64 s[12:13], 0
                                        ; implicit-def: $vgpr5
	s_and_saveexec_b64 s[10:11], s[4:5]
	s_xor_b64 s[10:11], exec, s[10:11]
	s_cbranch_execz .LBB232_2138
; %bb.397:
	v_cmp_lt_i16_e64 s[4:5], 28, v10
	s_mov_b64 s[16:17], 0
                                        ; implicit-def: $vgpr5
	s_and_saveexec_b64 s[12:13], s[4:5]
	s_xor_b64 s[12:13], exec, s[12:13]
	s_cbranch_execz .LBB232_437
; %bb.398:
	v_cmp_lt_i16_e64 s[4:5], 43, v10
	s_mov_b64 s[18:19], 0
	s_mov_b64 s[20:21], 0
                                        ; implicit-def: $vgpr5
	s_and_saveexec_b64 s[14:15], s[4:5]
	s_xor_b64 s[14:15], exec, s[14:15]
	s_cbranch_execz .LBB232_424
; %bb.399:
	v_cmp_lt_i16_e64 s[4:5], 45, v10
                                        ; implicit-def: $vgpr5
	s_and_saveexec_b64 s[20:21], s[4:5]
	s_xor_b64 s[20:21], exec, s[20:21]
	s_cbranch_execz .LBB232_411
; %bb.400:
	v_cmp_eq_u16_e64 s[4:5], 46, v10
	s_mov_b64 s[22:23], -1
                                        ; implicit-def: $vgpr5
	s_and_saveexec_b64 s[16:17], s[4:5]
	s_cbranch_execz .LBB232_410
; %bb.401:
	flat_load_dword v5, v[0:1]
	s_mov_b32 s4, 0x47800000
                                        ; implicit-def: $vgpr9
	s_waitcnt vmcnt(0) lgkmcnt(0)
	v_lshlrev_b32_e32 v5, 16, v5
	v_and_b32_e32 v11, 0x7fffffff, v5
	v_cmp_gt_u32_e64 s[4:5], s4, v11
	s_and_saveexec_b64 s[18:19], s[4:5]
	s_xor_b64 s[18:19], exec, s[18:19]
	s_cbranch_execz .LBB232_407
; %bb.402:
	s_mov_b32 s4, 0x387fffff
	v_cmp_lt_u32_e64 s[4:5], s4, v11
                                        ; implicit-def: $vgpr9
	s_and_saveexec_b64 s[22:23], s[4:5]
	s_xor_b64 s[4:5], exec, s[22:23]
; %bb.403:
	v_bfe_u32 v9, v5, 21, 1
	s_mov_b32 s22, 0x80fffff
	v_add3_u32 v9, v5, v9, s22
	v_lshrrev_b32_e32 v9, 21, v9
; %bb.404:
	s_andn2_saveexec_b64 s[4:5], s[4:5]
; %bb.405:
	s_mov_b32 s22, 0x43000000
	v_add_f32_e64 v9, |v5|, s22
; %bb.406:
	s_or_b64 exec, exec, s[4:5]
                                        ; implicit-def: $vgpr11
.LBB232_407:
	s_andn2_saveexec_b64 s[18:19], s[18:19]
; %bb.408:
	s_mov_b32 s4, 0x7f800000
	v_mov_b32_e32 v9, 0x7c
	v_mov_b32_e32 v12, 0x7f
	v_cmp_lt_u32_e64 s[4:5], s4, v11
	v_cndmask_b32_e64 v9, v9, v12, s[4:5]
; %bb.409:
	s_or_b64 exec, exec, s[18:19]
	v_lshrrev_b32_e32 v5, 24, v5
	s_movk_i32 s4, 0x80
	s_mov_b64 s[18:19], exec
	v_and_or_b32 v5, v5, s4, v9
	s_xor_b64 s[22:23], exec, -1
.LBB232_410:
	s_or_b64 exec, exec, s[16:17]
	s_and_b64 s[18:19], s[18:19], exec
	s_and_b64 s[16:17], s[22:23], exec
.LBB232_411:
	s_andn2_saveexec_b64 s[20:21], s[20:21]
	s_cbranch_execz .LBB232_423
; %bb.412:
	v_cmp_eq_u16_e64 s[4:5], 44, v10
	s_mov_b64 s[24:25], -1
	s_mov_b64 s[26:27], s[18:19]
                                        ; implicit-def: $vgpr5
	s_and_saveexec_b64 s[22:23], s[4:5]
	s_cbranch_execz .LBB232_422
; %bb.413:
	flat_load_ubyte v5, v[0:1]
	s_movk_i32 s4, 0xff
	v_mov_b32_e32 v9, 0x7f800001
	v_mov_b32_e32 v11, 0x400000
	s_waitcnt vmcnt(0) lgkmcnt(0)
	v_lshlrev_b32_e32 v12, 23, v5
	v_cmp_ne_u32_e64 s[4:5], s4, v5
	v_cndmask_b32_e64 v9, v9, v12, s[4:5]
	v_cmp_ne_u32_e64 s[4:5], 0, v5
	v_cndmask_b32_e64 v9, v11, v9, s[4:5]
	s_mov_b32 s4, 0x47800000
	v_cmp_gt_u32_e64 s[4:5], s4, v9
                                        ; implicit-def: $vgpr5
	s_and_saveexec_b64 s[24:25], s[4:5]
	s_xor_b64 s[24:25], exec, s[24:25]
	s_cbranch_execz .LBB232_419
; %bb.414:
	s_mov_b32 s4, 0x387fffff
	v_cmp_lt_u32_e64 s[4:5], s4, v9
                                        ; implicit-def: $vgpr5
	s_and_saveexec_b64 s[26:27], s[4:5]
	s_xor_b64 s[4:5], exec, s[26:27]
; %bb.415:
	v_bfe_u32 v5, v9, 21, 1
	s_mov_b32 s26, 0x80fffff
	v_add3_u32 v5, v9, v5, s26
	v_lshrrev_b32_e32 v5, 21, v5
                                        ; implicit-def: $vgpr9
; %bb.416:
	s_andn2_saveexec_b64 s[4:5], s[4:5]
; %bb.417:
	v_add_f32_e32 v5, 0x43000000, v9
; %bb.418:
	s_or_b64 exec, exec, s[4:5]
                                        ; implicit-def: $vgpr9
.LBB232_419:
	s_andn2_saveexec_b64 s[24:25], s[24:25]
; %bb.420:
	s_mov_b32 s4, 0x7f800000
	v_mov_b32_e32 v5, 0x7c
	v_mov_b32_e32 v11, 0x7f
	v_cmp_lt_u32_e64 s[4:5], s4, v9
	v_cndmask_b32_e64 v5, v5, v11, s[4:5]
; %bb.421:
	s_or_b64 exec, exec, s[24:25]
	s_or_b64 s[26:27], s[18:19], exec
	s_xor_b64 s[24:25], exec, -1
.LBB232_422:
	s_or_b64 exec, exec, s[22:23]
	s_andn2_b64 s[4:5], s[18:19], exec
	s_and_b64 s[18:19], s[26:27], exec
	s_or_b64 s[18:19], s[4:5], s[18:19]
	s_andn2_b64 s[4:5], s[16:17], exec
	s_and_b64 s[16:17], s[24:25], exec
	s_or_b64 s[16:17], s[4:5], s[16:17]
.LBB232_423:
	s_or_b64 exec, exec, s[20:21]
	s_and_b64 s[20:21], s[18:19], exec
	s_and_b64 s[18:19], s[16:17], exec
.LBB232_424:
	s_andn2_saveexec_b64 s[14:15], s[14:15]
	s_cbranch_execz .LBB232_436
; %bb.425:
	v_cmp_eq_u16_e64 s[4:5], 29, v10
	s_mov_b64 s[22:23], -1
	s_mov_b64 s[24:25], s[20:21]
                                        ; implicit-def: $vgpr5
	s_and_saveexec_b64 s[16:17], s[4:5]
	s_cbranch_execz .LBB232_435
; %bb.426:
	flat_load_dwordx2 v[11:12], v[0:1]
	s_mov_b32 s4, 0x47800000
	s_waitcnt vmcnt(0) lgkmcnt(0)
	v_ffbh_u32_e32 v5, v12
	v_min_u32_e32 v5, 32, v5
	v_lshlrev_b64 v[11:12], v5, v[11:12]
	v_sub_u32_e32 v5, 32, v5
	v_min_u32_e32 v9, 1, v11
	v_or_b32_e32 v9, v12, v9
	v_cvt_f32_u32_e32 v9, v9
	v_ldexp_f32 v9, v9, v5
	v_cmp_gt_u32_e64 s[4:5], s4, v9
                                        ; implicit-def: $vgpr5
	s_and_saveexec_b64 s[22:23], s[4:5]
	s_xor_b64 s[22:23], exec, s[22:23]
	s_cbranch_execz .LBB232_432
; %bb.427:
	s_mov_b32 s4, 0x387fffff
	v_cmp_lt_u32_e64 s[4:5], s4, v9
                                        ; implicit-def: $vgpr5
	s_and_saveexec_b64 s[24:25], s[4:5]
	s_xor_b64 s[4:5], exec, s[24:25]
; %bb.428:
	v_bfe_u32 v5, v9, 21, 1
	s_mov_b32 s24, 0x80fffff
	v_add3_u32 v5, v9, v5, s24
	v_lshrrev_b32_e32 v5, 21, v5
                                        ; implicit-def: $vgpr9
; %bb.429:
	s_andn2_saveexec_b64 s[4:5], s[4:5]
; %bb.430:
	v_add_f32_e32 v5, 0x43000000, v9
; %bb.431:
	s_or_b64 exec, exec, s[4:5]
                                        ; implicit-def: $vgpr9
.LBB232_432:
	s_andn2_saveexec_b64 s[22:23], s[22:23]
; %bb.433:
	s_mov_b32 s4, 0x7f800000
	v_mov_b32_e32 v5, 0x7c
	v_mov_b32_e32 v11, 0x7f
	v_cmp_lt_u32_e64 s[4:5], s4, v9
	v_cndmask_b32_e64 v5, v5, v11, s[4:5]
; %bb.434:
	s_or_b64 exec, exec, s[22:23]
	s_or_b64 s[24:25], s[20:21], exec
	s_xor_b64 s[22:23], exec, -1
.LBB232_435:
	s_or_b64 exec, exec, s[16:17]
	s_andn2_b64 s[4:5], s[20:21], exec
	s_and_b64 s[16:17], s[24:25], exec
	s_or_b64 s[20:21], s[4:5], s[16:17]
	s_andn2_b64 s[4:5], s[18:19], exec
	s_and_b64 s[16:17], s[22:23], exec
	s_or_b64 s[18:19], s[4:5], s[16:17]
.LBB232_436:
	s_or_b64 exec, exec, s[14:15]
	s_and_b64 s[16:17], s[20:21], exec
	s_and_b64 s[14:15], s[18:19], exec
.LBB232_437:
	s_andn2_saveexec_b64 s[12:13], s[12:13]
	s_cbranch_execz .LBB232_477
; %bb.438:
	v_cmp_lt_i16_e64 s[4:5], 26, v10
                                        ; implicit-def: $vgpr5
	s_and_saveexec_b64 s[18:19], s[4:5]
	s_xor_b64 s[18:19], exec, s[18:19]
	s_cbranch_execz .LBB232_460
; %bb.439:
	v_cmp_lt_i16_e64 s[4:5], 27, v10
                                        ; implicit-def: $vgpr5
	s_and_saveexec_b64 s[20:21], s[4:5]
	s_xor_b64 s[20:21], exec, s[20:21]
	s_cbranch_execz .LBB232_449
; %bb.440:
	flat_load_dword v5, v[0:1]
	s_mov_b32 s4, 0x47800000
	s_waitcnt vmcnt(0) lgkmcnt(0)
	v_cvt_f32_u32_e32 v9, v5
                                        ; implicit-def: $vgpr5
	v_cmp_gt_u32_e64 s[4:5], s4, v9
	s_and_saveexec_b64 s[22:23], s[4:5]
	s_xor_b64 s[22:23], exec, s[22:23]
	s_cbranch_execz .LBB232_446
; %bb.441:
	s_mov_b32 s4, 0x387fffff
	v_cmp_lt_u32_e64 s[4:5], s4, v9
                                        ; implicit-def: $vgpr5
	s_and_saveexec_b64 s[24:25], s[4:5]
	s_xor_b64 s[4:5], exec, s[24:25]
; %bb.442:
	v_bfe_u32 v5, v9, 21, 1
	s_mov_b32 s24, 0x80fffff
	v_add3_u32 v5, v9, v5, s24
	v_lshrrev_b32_e32 v5, 21, v5
                                        ; implicit-def: $vgpr9
; %bb.443:
	s_andn2_saveexec_b64 s[4:5], s[4:5]
; %bb.444:
	v_add_f32_e32 v5, 0x43000000, v9
; %bb.445:
	s_or_b64 exec, exec, s[4:5]
                                        ; implicit-def: $vgpr9
.LBB232_446:
	s_andn2_saveexec_b64 s[22:23], s[22:23]
; %bb.447:
	s_mov_b32 s4, 0x7f800000
	v_mov_b32_e32 v5, 0x7c
	v_mov_b32_e32 v11, 0x7f
	v_cmp_lt_u32_e64 s[4:5], s4, v9
	v_cndmask_b32_e64 v5, v5, v11, s[4:5]
; %bb.448:
	s_or_b64 exec, exec, s[22:23]
.LBB232_449:
	s_andn2_saveexec_b64 s[20:21], s[20:21]
	s_cbranch_execz .LBB232_459
; %bb.450:
	flat_load_ushort v5, v[0:1]
	s_mov_b32 s4, 0x47800000
	s_waitcnt vmcnt(0) lgkmcnt(0)
	v_cvt_f32_u32_e32 v9, v5
                                        ; implicit-def: $vgpr5
	v_cmp_gt_u32_e64 s[4:5], s4, v9
	s_and_saveexec_b64 s[22:23], s[4:5]
	s_xor_b64 s[22:23], exec, s[22:23]
	s_cbranch_execz .LBB232_456
; %bb.451:
	s_mov_b32 s4, 0x387fffff
	v_cmp_lt_u32_e64 s[4:5], s4, v9
                                        ; implicit-def: $vgpr5
	s_and_saveexec_b64 s[24:25], s[4:5]
	s_xor_b64 s[4:5], exec, s[24:25]
; %bb.452:
	v_bfe_u32 v5, v9, 21, 1
	s_mov_b32 s24, 0x80fffff
	v_add3_u32 v5, v9, v5, s24
	v_lshrrev_b32_e32 v5, 21, v5
                                        ; implicit-def: $vgpr9
; %bb.453:
	s_andn2_saveexec_b64 s[4:5], s[4:5]
; %bb.454:
	v_add_f32_e32 v5, 0x43000000, v9
; %bb.455:
	s_or_b64 exec, exec, s[4:5]
                                        ; implicit-def: $vgpr9
.LBB232_456:
	s_andn2_saveexec_b64 s[22:23], s[22:23]
; %bb.457:
	s_mov_b32 s4, 0x7f800000
	v_mov_b32_e32 v5, 0x7c
	v_mov_b32_e32 v11, 0x7f
	v_cmp_lt_u32_e64 s[4:5], s4, v9
	v_cndmask_b32_e64 v5, v5, v11, s[4:5]
; %bb.458:
	s_or_b64 exec, exec, s[22:23]
.LBB232_459:
	s_or_b64 exec, exec, s[20:21]
.LBB232_460:
	s_andn2_saveexec_b64 s[18:19], s[18:19]
	s_cbranch_execz .LBB232_476
; %bb.461:
	flat_load_ubyte v9, v[0:1]
	s_movk_i32 s4, 0x7f
	s_mov_b64 s[20:21], 0
	s_waitcnt vmcnt(0) lgkmcnt(0)
	v_cmp_lt_i16_e64 s[4:5], s4, v9
	s_and_saveexec_b64 s[22:23], s[4:5]
	s_xor_b64 s[22:23], exec, s[22:23]
	s_cbranch_execz .LBB232_2375
; %bb.462:
	s_movk_i32 s4, 0x80
	v_cmp_eq_u16_e64 s[4:5], s4, v9
	s_mov_b64 s[20:21], -1
	s_and_saveexec_b64 s[24:25], s[4:5]
; %bb.463:
	s_xor_b64 s[20:21], exec, -1
; %bb.464:
	s_or_b64 exec, exec, s[24:25]
	s_and_b64 s[20:21], s[20:21], exec
	s_or_saveexec_b64 s[22:23], s[22:23]
	v_mov_b32_e32 v5, 0x7f800001
	s_xor_b64 exec, exec, s[22:23]
	s_cbranch_execnz .LBB232_2376
.LBB232_465:
	s_or_b64 exec, exec, s[22:23]
	s_and_saveexec_b64 s[22:23], s[20:21]
	s_cbranch_execz .LBB232_467
.LBB232_466:
	v_lshlrev_b32_e32 v5, 24, v9
	v_and_b32_e32 v9, 0xffff, v9
	v_and_b32_e32 v11, 7, v9
	v_ffbh_u32_e32 v17, v11
	v_min_u32_e32 v17, 32, v17
	v_subrev_u32_e32 v18, 28, v17
	v_bfe_u32 v12, v9, 3, 4
	v_lshlrev_b32_e32 v9, v18, v9
	v_sub_u32_e32 v17, 29, v17
	v_and_b32_e32 v9, 7, v9
	v_cmp_eq_u32_e64 s[4:5], 0, v12
	v_cndmask_b32_e64 v12, v12, v17, s[4:5]
	v_cndmask_b32_e64 v9, v11, v9, s[4:5]
	v_mov_b32_e32 v11, 0x3b800000
	v_lshlrev_b32_e32 v9, 20, v9
	v_and_b32_e32 v5, 0x80000000, v5
	v_lshl_add_u32 v11, v12, 23, v11
	v_or3_b32 v5, v5, v11, v9
.LBB232_467:
	s_or_b64 exec, exec, s[22:23]
	v_and_b32_e32 v11, 0x7fffffff, v5
	s_mov_b32 s4, 0x47800000
	v_cmp_gt_u32_e64 s[4:5], s4, v11
                                        ; implicit-def: $vgpr9
	s_and_saveexec_b64 s[20:21], s[4:5]
	s_xor_b64 s[20:21], exec, s[20:21]
	s_cbranch_execz .LBB232_473
; %bb.468:
	s_mov_b32 s4, 0x387fffff
	v_cmp_lt_u32_e64 s[4:5], s4, v11
                                        ; implicit-def: $vgpr9
	s_and_saveexec_b64 s[22:23], s[4:5]
	s_xor_b64 s[4:5], exec, s[22:23]
; %bb.469:
	v_bfe_u32 v9, v5, 21, 1
	s_mov_b32 s22, 0x80fffff
	v_add3_u32 v9, v5, v9, s22
	v_lshrrev_b32_e32 v9, 21, v9
; %bb.470:
	s_andn2_saveexec_b64 s[4:5], s[4:5]
; %bb.471:
	s_mov_b32 s22, 0x43000000
	v_add_f32_e64 v9, |v5|, s22
; %bb.472:
	s_or_b64 exec, exec, s[4:5]
                                        ; implicit-def: $vgpr11
.LBB232_473:
	s_andn2_saveexec_b64 s[20:21], s[20:21]
; %bb.474:
	s_mov_b32 s4, 0x7f800000
	v_mov_b32_e32 v9, 0x7c
	v_mov_b32_e32 v12, 0x7f
	v_cmp_lt_u32_e64 s[4:5], s4, v11
	v_cndmask_b32_e64 v9, v9, v12, s[4:5]
; %bb.475:
	s_or_b64 exec, exec, s[20:21]
	v_lshrrev_b32_e32 v5, 24, v5
	s_movk_i32 s4, 0x80
	v_and_or_b32 v5, v5, s4, v9
.LBB232_476:
	s_or_b64 exec, exec, s[18:19]
	s_or_b64 s[16:17], s[16:17], exec
.LBB232_477:
	s_or_b64 exec, exec, s[12:13]
	s_and_b64 s[12:13], s[16:17], exec
	s_and_b64 s[14:15], s[14:15], exec
	s_andn2_saveexec_b64 s[10:11], s[10:11]
	s_cbranch_execnz .LBB232_2139
.LBB232_478:
	s_or_b64 exec, exec, s[10:11]
	s_mov_b64 s[10:11], s[34:35]
	s_and_saveexec_b64 s[4:5], s[14:15]
	s_cbranch_execnz .LBB232_2188
.LBB232_479:
	s_or_b64 exec, exec, s[4:5]
	s_and_saveexec_b64 s[14:15], s[8:9]
	s_cbranch_execz .LBB232_489
.LBB232_480:
	flat_load_ubyte v0, v[0:1]
                                        ; implicit-def: $vgpr5
	s_waitcnt vmcnt(0) lgkmcnt(0)
	v_cmp_ne_u16_e64 s[4:5], 0, v0
	v_cndmask_b32_e64 v0, 0, 1.0, s[4:5]
	s_mov_b32 s4, 0x47800000
	v_cmp_gt_u32_e64 s[4:5], s4, v0
	s_and_saveexec_b64 s[8:9], s[4:5]
	s_xor_b64 s[8:9], exec, s[8:9]
	s_cbranch_execz .LBB232_486
; %bb.481:
	s_mov_b32 s4, 0x387fffff
	v_cmp_lt_u32_e64 s[4:5], s4, v0
                                        ; implicit-def: $vgpr5
	s_and_saveexec_b64 s[16:17], s[4:5]
	s_xor_b64 s[4:5], exec, s[16:17]
; %bb.482:
	v_bfe_u32 v1, v0, 21, 1
	s_mov_b32 s16, 0x80fffff
	v_add3_u32 v0, v0, v1, s16
	v_lshrrev_b32_e32 v5, 21, v0
                                        ; implicit-def: $vgpr0
; %bb.483:
	s_andn2_saveexec_b64 s[4:5], s[4:5]
; %bb.484:
	v_add_f32_e32 v5, 0x43000000, v0
; %bb.485:
	s_or_b64 exec, exec, s[4:5]
                                        ; implicit-def: $vgpr0
.LBB232_486:
	s_andn2_saveexec_b64 s[8:9], s[8:9]
; %bb.487:
	s_mov_b32 s4, 0x7f800000
	v_mov_b32_e32 v1, 0x7c
	v_mov_b32_e32 v5, 0x7f
	v_cmp_lt_u32_e64 s[4:5], s4, v0
	v_cndmask_b32_e64 v5, v1, v5, s[4:5]
; %bb.488:
	s_or_b64 exec, exec, s[8:9]
	s_or_b64 s[12:13], s[12:13], exec
.LBB232_489:
	s_or_b64 exec, exec, s[14:15]
	s_andn2_b64 s[4:5], s[34:35], exec
	s_and_b64 s[8:9], s[10:11], exec
	s_or_b64 s[10:11], s[4:5], s[8:9]
	s_and_b64 s[8:9], s[12:13], exec
                                        ; implicit-def: $vgpr0_vgpr1
.LBB232_490:
	s_andn2_saveexec_b64 s[6:7], s[6:7]
	s_cbranch_execz .LBB232_620
; %bb.491:
	v_cmp_lt_i16_e64 s[4:5], 4, v10
                                        ; implicit-def: $vgpr5
	s_and_saveexec_b64 s[12:13], s[4:5]
	s_xor_b64 s[12:13], exec, s[12:13]
	s_cbranch_execz .LBB232_561
; %bb.492:
	v_cmp_lt_i16_e64 s[4:5], 7, v10
                                        ; implicit-def: $vgpr5
	s_and_saveexec_b64 s[14:15], s[4:5]
	s_xor_b64 s[14:15], exec, s[14:15]
	;; [unrolled: 6-line block ×4, first 2 shown]
	s_cbranch_execz .LBB232_504
; %bb.495:
	flat_load_dwordx2 v[0:1], v[0:1]
	s_mov_b32 s4, 0x47800000
	s_waitcnt vmcnt(0) lgkmcnt(0)
	v_cvt_f32_f64_e32 v0, v[0:1]
                                        ; implicit-def: $vgpr1
	v_and_b32_e32 v5, 0x7fffffff, v0
	v_cmp_gt_u32_e64 s[4:5], s4, v5
	s_and_saveexec_b64 s[20:21], s[4:5]
	s_xor_b64 s[20:21], exec, s[20:21]
	s_cbranch_execz .LBB232_501
; %bb.496:
	s_mov_b32 s4, 0x387fffff
	v_cmp_lt_u32_e64 s[4:5], s4, v5
                                        ; implicit-def: $vgpr1
	s_and_saveexec_b64 s[22:23], s[4:5]
	s_xor_b64 s[4:5], exec, s[22:23]
; %bb.497:
	v_bfe_u32 v1, v0, 21, 1
	s_mov_b32 s22, 0x80fffff
	v_add3_u32 v1, v0, v1, s22
	v_lshrrev_b32_e32 v1, 21, v1
; %bb.498:
	s_andn2_saveexec_b64 s[4:5], s[4:5]
; %bb.499:
	s_mov_b32 s22, 0x43000000
	v_add_f32_e64 v1, |v0|, s22
; %bb.500:
	s_or_b64 exec, exec, s[4:5]
                                        ; implicit-def: $vgpr5
.LBB232_501:
	s_andn2_saveexec_b64 s[20:21], s[20:21]
; %bb.502:
	s_mov_b32 s4, 0x7f800000
	v_mov_b32_e32 v1, 0x7c
	v_mov_b32_e32 v9, 0x7f
	v_cmp_lt_u32_e64 s[4:5], s4, v5
	v_cndmask_b32_e64 v1, v1, v9, s[4:5]
; %bb.503:
	s_or_b64 exec, exec, s[20:21]
	v_lshrrev_b32_e32 v0, 24, v0
	s_movk_i32 s4, 0x80
	v_and_or_b32 v5, v0, s4, v1
                                        ; implicit-def: $vgpr0_vgpr1
.LBB232_504:
	s_andn2_saveexec_b64 s[18:19], s[18:19]
	s_cbranch_execz .LBB232_514
; %bb.505:
	flat_load_dword v0, v[0:1]
	s_mov_b32 s4, 0x47800000
                                        ; implicit-def: $vgpr1
	s_waitcnt vmcnt(0) lgkmcnt(0)
	v_and_b32_e32 v5, 0x7fffffff, v0
	v_cmp_gt_u32_e64 s[4:5], s4, v5
	s_and_saveexec_b64 s[20:21], s[4:5]
	s_xor_b64 s[20:21], exec, s[20:21]
	s_cbranch_execz .LBB232_511
; %bb.506:
	s_mov_b32 s4, 0x387fffff
	v_cmp_lt_u32_e64 s[4:5], s4, v5
                                        ; implicit-def: $vgpr1
	s_and_saveexec_b64 s[22:23], s[4:5]
	s_xor_b64 s[4:5], exec, s[22:23]
; %bb.507:
	v_bfe_u32 v1, v0, 21, 1
	s_mov_b32 s22, 0x80fffff
	v_add3_u32 v1, v0, v1, s22
	v_lshrrev_b32_e32 v1, 21, v1
; %bb.508:
	s_andn2_saveexec_b64 s[4:5], s[4:5]
; %bb.509:
	s_mov_b32 s22, 0x43000000
	v_add_f32_e64 v1, |v0|, s22
; %bb.510:
	s_or_b64 exec, exec, s[4:5]
                                        ; implicit-def: $vgpr5
.LBB232_511:
	s_andn2_saveexec_b64 s[20:21], s[20:21]
; %bb.512:
	s_mov_b32 s4, 0x7f800000
	v_mov_b32_e32 v1, 0x7c
	v_mov_b32_e32 v9, 0x7f
	v_cmp_lt_u32_e64 s[4:5], s4, v5
	v_cndmask_b32_e64 v1, v1, v9, s[4:5]
; %bb.513:
	s_or_b64 exec, exec, s[20:21]
	v_lshrrev_b32_e32 v0, 24, v0
	s_movk_i32 s4, 0x80
	v_and_or_b32 v5, v0, s4, v1
.LBB232_514:
	s_or_b64 exec, exec, s[18:19]
                                        ; implicit-def: $vgpr0_vgpr1
.LBB232_515:
	s_andn2_saveexec_b64 s[16:17], s[16:17]
	s_cbranch_execz .LBB232_525
; %bb.516:
	flat_load_dword v0, v[0:1]
	s_mov_b32 s4, 0x47800000
                                        ; implicit-def: $vgpr1
	s_waitcnt vmcnt(0) lgkmcnt(0)
	v_cvt_f32_f16_e32 v0, v0
	v_and_b32_e32 v5, 0x7fffffff, v0
	v_cmp_gt_u32_e64 s[4:5], s4, v5
	s_and_saveexec_b64 s[18:19], s[4:5]
	s_xor_b64 s[18:19], exec, s[18:19]
	s_cbranch_execz .LBB232_522
; %bb.517:
	s_mov_b32 s4, 0x387fffff
	v_cmp_lt_u32_e64 s[4:5], s4, v5
                                        ; implicit-def: $vgpr1
	s_and_saveexec_b64 s[20:21], s[4:5]
	s_xor_b64 s[4:5], exec, s[20:21]
; %bb.518:
	v_bfe_u32 v1, v0, 21, 1
	s_mov_b32 s20, 0x80fffff
	v_add3_u32 v1, v0, v1, s20
	v_lshrrev_b32_e32 v1, 21, v1
; %bb.519:
	s_andn2_saveexec_b64 s[4:5], s[4:5]
; %bb.520:
	s_mov_b32 s20, 0x43000000
	v_add_f32_e64 v1, |v0|, s20
; %bb.521:
	s_or_b64 exec, exec, s[4:5]
                                        ; implicit-def: $vgpr5
.LBB232_522:
	s_andn2_saveexec_b64 s[18:19], s[18:19]
; %bb.523:
	s_mov_b32 s4, 0x7f800000
	v_mov_b32_e32 v1, 0x7c
	v_mov_b32_e32 v9, 0x7f
	v_cmp_lt_u32_e64 s[4:5], s4, v5
	v_cndmask_b32_e64 v1, v1, v9, s[4:5]
; %bb.524:
	s_or_b64 exec, exec, s[18:19]
	v_lshrrev_b32_e32 v0, 24, v0
	s_movk_i32 s4, 0x80
	v_and_or_b32 v5, v0, s4, v1
.LBB232_525:
	s_or_b64 exec, exec, s[16:17]
                                        ; implicit-def: $vgpr0_vgpr1
.LBB232_526:
	s_andn2_saveexec_b64 s[14:15], s[14:15]
	s_cbranch_execz .LBB232_560
; %bb.527:
	v_cmp_lt_i16_e64 s[4:5], 5, v10
                                        ; implicit-def: $vgpr5
	s_and_saveexec_b64 s[16:17], s[4:5]
	s_xor_b64 s[16:17], exec, s[16:17]
	s_cbranch_execz .LBB232_549
; %bb.528:
	v_cmp_lt_i16_e64 s[4:5], 6, v10
                                        ; implicit-def: $vgpr5
	s_and_saveexec_b64 s[18:19], s[4:5]
	s_xor_b64 s[18:19], exec, s[18:19]
	s_cbranch_execz .LBB232_538
; %bb.529:
	flat_load_dwordx2 v[0:1], v[0:1]
	s_mov_b32 s4, 0x47800000
	s_waitcnt vmcnt(0) lgkmcnt(0)
	v_cvt_f32_f64_e32 v0, v[0:1]
                                        ; implicit-def: $vgpr1
	v_and_b32_e32 v5, 0x7fffffff, v0
	v_cmp_gt_u32_e64 s[4:5], s4, v5
	s_and_saveexec_b64 s[20:21], s[4:5]
	s_xor_b64 s[20:21], exec, s[20:21]
	s_cbranch_execz .LBB232_535
; %bb.530:
	s_mov_b32 s4, 0x387fffff
	v_cmp_lt_u32_e64 s[4:5], s4, v5
                                        ; implicit-def: $vgpr1
	s_and_saveexec_b64 s[22:23], s[4:5]
	s_xor_b64 s[4:5], exec, s[22:23]
; %bb.531:
	v_bfe_u32 v1, v0, 21, 1
	s_mov_b32 s22, 0x80fffff
	v_add3_u32 v1, v0, v1, s22
	v_lshrrev_b32_e32 v1, 21, v1
; %bb.532:
	s_andn2_saveexec_b64 s[4:5], s[4:5]
; %bb.533:
	s_mov_b32 s22, 0x43000000
	v_add_f32_e64 v1, |v0|, s22
; %bb.534:
	s_or_b64 exec, exec, s[4:5]
                                        ; implicit-def: $vgpr5
.LBB232_535:
	s_andn2_saveexec_b64 s[20:21], s[20:21]
; %bb.536:
	s_mov_b32 s4, 0x7f800000
	v_mov_b32_e32 v1, 0x7c
	v_mov_b32_e32 v9, 0x7f
	v_cmp_lt_u32_e64 s[4:5], s4, v5
	v_cndmask_b32_e64 v1, v1, v9, s[4:5]
; %bb.537:
	s_or_b64 exec, exec, s[20:21]
	v_lshrrev_b32_e32 v0, 24, v0
	s_movk_i32 s4, 0x80
	v_and_or_b32 v5, v0, s4, v1
                                        ; implicit-def: $vgpr0_vgpr1
.LBB232_538:
	s_andn2_saveexec_b64 s[18:19], s[18:19]
	s_cbranch_execz .LBB232_548
; %bb.539:
	flat_load_dword v0, v[0:1]
	s_mov_b32 s4, 0x47800000
                                        ; implicit-def: $vgpr1
	s_waitcnt vmcnt(0) lgkmcnt(0)
	v_and_b32_e32 v5, 0x7fffffff, v0
	v_cmp_gt_u32_e64 s[4:5], s4, v5
	s_and_saveexec_b64 s[20:21], s[4:5]
	s_xor_b64 s[20:21], exec, s[20:21]
	s_cbranch_execz .LBB232_545
; %bb.540:
	s_mov_b32 s4, 0x387fffff
	v_cmp_lt_u32_e64 s[4:5], s4, v5
                                        ; implicit-def: $vgpr1
	s_and_saveexec_b64 s[22:23], s[4:5]
	s_xor_b64 s[4:5], exec, s[22:23]
; %bb.541:
	v_bfe_u32 v1, v0, 21, 1
	s_mov_b32 s22, 0x80fffff
	v_add3_u32 v1, v0, v1, s22
	v_lshrrev_b32_e32 v1, 21, v1
; %bb.542:
	s_andn2_saveexec_b64 s[4:5], s[4:5]
; %bb.543:
	s_mov_b32 s22, 0x43000000
	v_add_f32_e64 v1, |v0|, s22
; %bb.544:
	s_or_b64 exec, exec, s[4:5]
                                        ; implicit-def: $vgpr5
.LBB232_545:
	s_andn2_saveexec_b64 s[20:21], s[20:21]
; %bb.546:
	s_mov_b32 s4, 0x7f800000
	v_mov_b32_e32 v1, 0x7c
	v_mov_b32_e32 v9, 0x7f
	v_cmp_lt_u32_e64 s[4:5], s4, v5
	v_cndmask_b32_e64 v1, v1, v9, s[4:5]
; %bb.547:
	s_or_b64 exec, exec, s[20:21]
	v_lshrrev_b32_e32 v0, 24, v0
	s_movk_i32 s4, 0x80
	v_and_or_b32 v5, v0, s4, v1
.LBB232_548:
	s_or_b64 exec, exec, s[18:19]
                                        ; implicit-def: $vgpr0_vgpr1
.LBB232_549:
	s_andn2_saveexec_b64 s[16:17], s[16:17]
	s_cbranch_execz .LBB232_559
; %bb.550:
	flat_load_ushort v0, v[0:1]
	s_mov_b32 s4, 0x47800000
                                        ; implicit-def: $vgpr1
	s_waitcnt vmcnt(0) lgkmcnt(0)
	v_cvt_f32_f16_e32 v0, v0
	v_and_b32_e32 v5, 0x7fffffff, v0
	v_cmp_gt_u32_e64 s[4:5], s4, v5
	s_and_saveexec_b64 s[18:19], s[4:5]
	s_xor_b64 s[18:19], exec, s[18:19]
	s_cbranch_execz .LBB232_556
; %bb.551:
	s_mov_b32 s4, 0x387fffff
	v_cmp_lt_u32_e64 s[4:5], s4, v5
                                        ; implicit-def: $vgpr1
	s_and_saveexec_b64 s[20:21], s[4:5]
	s_xor_b64 s[4:5], exec, s[20:21]
; %bb.552:
	v_bfe_u32 v1, v0, 21, 1
	s_mov_b32 s20, 0x80fffff
	v_add3_u32 v1, v0, v1, s20
	v_lshrrev_b32_e32 v1, 21, v1
; %bb.553:
	s_andn2_saveexec_b64 s[4:5], s[4:5]
; %bb.554:
	s_mov_b32 s20, 0x43000000
	v_add_f32_e64 v1, |v0|, s20
; %bb.555:
	s_or_b64 exec, exec, s[4:5]
                                        ; implicit-def: $vgpr5
.LBB232_556:
	s_andn2_saveexec_b64 s[18:19], s[18:19]
; %bb.557:
	s_mov_b32 s4, 0x7f800000
	v_mov_b32_e32 v1, 0x7c
	v_mov_b32_e32 v9, 0x7f
	v_cmp_lt_u32_e64 s[4:5], s4, v5
	v_cndmask_b32_e64 v1, v1, v9, s[4:5]
; %bb.558:
	s_or_b64 exec, exec, s[18:19]
	v_lshrrev_b32_e32 v0, 24, v0
	s_movk_i32 s4, 0x80
	v_and_or_b32 v5, v0, s4, v1
.LBB232_559:
	s_or_b64 exec, exec, s[16:17]
.LBB232_560:
	s_or_b64 exec, exec, s[14:15]
                                        ; implicit-def: $vgpr0_vgpr1
.LBB232_561:
	s_andn2_saveexec_b64 s[12:13], s[12:13]
	s_cbranch_execz .LBB232_619
; %bb.562:
	v_cmp_lt_i16_e64 s[4:5], 1, v10
                                        ; implicit-def: $vgpr5
	s_and_saveexec_b64 s[14:15], s[4:5]
	s_xor_b64 s[14:15], exec, s[14:15]
	s_cbranch_execz .LBB232_596
; %bb.563:
	v_cmp_lt_i16_e64 s[4:5], 2, v10
                                        ; implicit-def: $vgpr5
	s_and_saveexec_b64 s[16:17], s[4:5]
	s_xor_b64 s[16:17], exec, s[16:17]
	;; [unrolled: 6-line block ×3, first 2 shown]
	s_cbranch_execz .LBB232_574
; %bb.565:
	flat_load_dwordx2 v[0:1], v[0:1]
	s_mov_b32 s4, 0x47800000
	s_waitcnt vmcnt(0) lgkmcnt(0)
	v_xor_b32_e32 v9, v0, v1
	v_ffbh_i32_e32 v5, v1
	v_ashrrev_i32_e32 v9, 31, v9
	v_add_u32_e32 v5, -1, v5
	v_add_u32_e32 v9, 32, v9
	v_min_u32_e32 v5, v5, v9
	v_lshlrev_b64 v[0:1], v5, v[0:1]
	v_min_u32_e32 v0, 1, v0
	v_or_b32_e32 v0, v1, v0
	v_cvt_f32_i32_e32 v0, v0
	v_sub_u32_e32 v1, 32, v5
	v_ldexp_f32 v0, v0, v1
	v_and_b32_e32 v5, 0x7fffffff, v0
	v_cmp_gt_u32_e64 s[4:5], s4, v5
                                        ; implicit-def: $vgpr1
	s_and_saveexec_b64 s[20:21], s[4:5]
	s_xor_b64 s[20:21], exec, s[20:21]
	s_cbranch_execz .LBB232_571
; %bb.566:
	s_mov_b32 s4, 0x387fffff
	v_cmp_lt_u32_e64 s[4:5], s4, v5
                                        ; implicit-def: $vgpr1
	s_and_saveexec_b64 s[22:23], s[4:5]
	s_xor_b64 s[4:5], exec, s[22:23]
; %bb.567:
	v_bfe_u32 v1, v0, 21, 1
	s_mov_b32 s22, 0x80fffff
	v_add3_u32 v1, v0, v1, s22
	v_lshrrev_b32_e32 v1, 21, v1
; %bb.568:
	s_andn2_saveexec_b64 s[4:5], s[4:5]
; %bb.569:
	s_mov_b32 s22, 0x43000000
	v_add_f32_e64 v1, |v0|, s22
; %bb.570:
	s_or_b64 exec, exec, s[4:5]
                                        ; implicit-def: $vgpr5
.LBB232_571:
	s_andn2_saveexec_b64 s[20:21], s[20:21]
; %bb.572:
	s_mov_b32 s4, 0x7f800000
	v_mov_b32_e32 v1, 0x7c
	v_mov_b32_e32 v9, 0x7f
	v_cmp_lt_u32_e64 s[4:5], s4, v5
	v_cndmask_b32_e64 v1, v1, v9, s[4:5]
; %bb.573:
	s_or_b64 exec, exec, s[20:21]
	v_lshrrev_b32_e32 v0, 24, v0
	s_movk_i32 s4, 0x80
	v_and_or_b32 v5, v0, s4, v1
                                        ; implicit-def: $vgpr0_vgpr1
.LBB232_574:
	s_andn2_saveexec_b64 s[18:19], s[18:19]
	s_cbranch_execz .LBB232_584
; %bb.575:
	flat_load_dword v0, v[0:1]
	s_mov_b32 s4, 0x47800000
                                        ; implicit-def: $vgpr1
	s_waitcnt vmcnt(0) lgkmcnt(0)
	v_cvt_f32_i32_e32 v0, v0
	v_and_b32_e32 v5, 0x7fffffff, v0
	v_cmp_gt_u32_e64 s[4:5], s4, v5
	s_and_saveexec_b64 s[20:21], s[4:5]
	s_xor_b64 s[20:21], exec, s[20:21]
	s_cbranch_execz .LBB232_581
; %bb.576:
	s_mov_b32 s4, 0x387fffff
	v_cmp_lt_u32_e64 s[4:5], s4, v5
                                        ; implicit-def: $vgpr1
	s_and_saveexec_b64 s[22:23], s[4:5]
	s_xor_b64 s[4:5], exec, s[22:23]
; %bb.577:
	v_bfe_u32 v1, v0, 21, 1
	s_mov_b32 s22, 0x80fffff
	v_add3_u32 v1, v0, v1, s22
	v_lshrrev_b32_e32 v1, 21, v1
; %bb.578:
	s_andn2_saveexec_b64 s[4:5], s[4:5]
; %bb.579:
	s_mov_b32 s22, 0x43000000
	v_add_f32_e64 v1, |v0|, s22
; %bb.580:
	s_or_b64 exec, exec, s[4:5]
                                        ; implicit-def: $vgpr5
.LBB232_581:
	s_andn2_saveexec_b64 s[20:21], s[20:21]
; %bb.582:
	s_mov_b32 s4, 0x7f800000
	v_mov_b32_e32 v1, 0x7c
	v_mov_b32_e32 v9, 0x7f
	v_cmp_lt_u32_e64 s[4:5], s4, v5
	v_cndmask_b32_e64 v1, v1, v9, s[4:5]
; %bb.583:
	s_or_b64 exec, exec, s[20:21]
	v_lshrrev_b32_e32 v0, 24, v0
	s_movk_i32 s4, 0x80
	v_and_or_b32 v5, v0, s4, v1
.LBB232_584:
	s_or_b64 exec, exec, s[18:19]
                                        ; implicit-def: $vgpr0_vgpr1
.LBB232_585:
	s_andn2_saveexec_b64 s[16:17], s[16:17]
	s_cbranch_execz .LBB232_595
; %bb.586:
	flat_load_sshort v0, v[0:1]
	s_mov_b32 s4, 0x47800000
                                        ; implicit-def: $vgpr1
	s_waitcnt vmcnt(0) lgkmcnt(0)
	v_cvt_f32_i32_e32 v0, v0
	v_and_b32_e32 v5, 0x7fffffff, v0
	v_cmp_gt_u32_e64 s[4:5], s4, v5
	s_and_saveexec_b64 s[18:19], s[4:5]
	s_xor_b64 s[18:19], exec, s[18:19]
	s_cbranch_execz .LBB232_592
; %bb.587:
	s_mov_b32 s4, 0x387fffff
	v_cmp_lt_u32_e64 s[4:5], s4, v5
                                        ; implicit-def: $vgpr1
	s_and_saveexec_b64 s[20:21], s[4:5]
	s_xor_b64 s[4:5], exec, s[20:21]
; %bb.588:
	v_bfe_u32 v1, v0, 21, 1
	s_mov_b32 s20, 0x80fffff
	v_add3_u32 v1, v0, v1, s20
	v_lshrrev_b32_e32 v1, 21, v1
; %bb.589:
	s_andn2_saveexec_b64 s[4:5], s[4:5]
; %bb.590:
	s_mov_b32 s20, 0x43000000
	v_add_f32_e64 v1, |v0|, s20
; %bb.591:
	s_or_b64 exec, exec, s[4:5]
                                        ; implicit-def: $vgpr5
.LBB232_592:
	s_andn2_saveexec_b64 s[18:19], s[18:19]
; %bb.593:
	s_mov_b32 s4, 0x7f800000
	v_mov_b32_e32 v1, 0x7c
	v_mov_b32_e32 v9, 0x7f
	v_cmp_lt_u32_e64 s[4:5], s4, v5
	v_cndmask_b32_e64 v1, v1, v9, s[4:5]
; %bb.594:
	s_or_b64 exec, exec, s[18:19]
	v_lshrrev_b32_e32 v0, 24, v0
	s_movk_i32 s4, 0x80
	v_and_or_b32 v5, v0, s4, v1
.LBB232_595:
	s_or_b64 exec, exec, s[16:17]
                                        ; implicit-def: $vgpr0_vgpr1
.LBB232_596:
	s_andn2_saveexec_b64 s[14:15], s[14:15]
	s_cbranch_execz .LBB232_618
; %bb.597:
	v_cmp_lt_i16_e64 s[4:5], 0, v10
                                        ; implicit-def: $vgpr5
	s_and_saveexec_b64 s[16:17], s[4:5]
	s_xor_b64 s[16:17], exec, s[16:17]
	s_cbranch_execz .LBB232_607
; %bb.598:
	flat_load_sbyte v0, v[0:1]
	s_mov_b32 s4, 0x47800000
                                        ; implicit-def: $vgpr1
	s_waitcnt vmcnt(0) lgkmcnt(0)
	v_cvt_f32_i32_e32 v0, v0
	v_and_b32_e32 v5, 0x7fffffff, v0
	v_cmp_gt_u32_e64 s[4:5], s4, v5
	s_and_saveexec_b64 s[18:19], s[4:5]
	s_xor_b64 s[18:19], exec, s[18:19]
	s_cbranch_execz .LBB232_604
; %bb.599:
	s_mov_b32 s4, 0x387fffff
	v_cmp_lt_u32_e64 s[4:5], s4, v5
                                        ; implicit-def: $vgpr1
	s_and_saveexec_b64 s[20:21], s[4:5]
	s_xor_b64 s[4:5], exec, s[20:21]
; %bb.600:
	v_bfe_u32 v1, v0, 21, 1
	s_mov_b32 s20, 0x80fffff
	v_add3_u32 v1, v0, v1, s20
	v_lshrrev_b32_e32 v1, 21, v1
; %bb.601:
	s_andn2_saveexec_b64 s[4:5], s[4:5]
; %bb.602:
	s_mov_b32 s20, 0x43000000
	v_add_f32_e64 v1, |v0|, s20
; %bb.603:
	s_or_b64 exec, exec, s[4:5]
                                        ; implicit-def: $vgpr5
.LBB232_604:
	s_andn2_saveexec_b64 s[18:19], s[18:19]
; %bb.605:
	s_mov_b32 s4, 0x7f800000
	v_mov_b32_e32 v1, 0x7c
	v_mov_b32_e32 v9, 0x7f
	v_cmp_lt_u32_e64 s[4:5], s4, v5
	v_cndmask_b32_e64 v1, v1, v9, s[4:5]
; %bb.606:
	s_or_b64 exec, exec, s[18:19]
	v_lshrrev_b32_e32 v0, 24, v0
	s_movk_i32 s4, 0x80
	v_and_or_b32 v5, v0, s4, v1
                                        ; implicit-def: $vgpr0_vgpr1
.LBB232_607:
	s_andn2_saveexec_b64 s[16:17], s[16:17]
	s_cbranch_execz .LBB232_617
; %bb.608:
	flat_load_ubyte v0, v[0:1]
	s_mov_b32 s4, 0x47800000
                                        ; implicit-def: $vgpr5
	s_waitcnt vmcnt(0) lgkmcnt(0)
	v_cvt_f32_ubyte0_e32 v0, v0
	v_cmp_gt_u32_e64 s[4:5], s4, v0
	s_and_saveexec_b64 s[18:19], s[4:5]
	s_xor_b64 s[18:19], exec, s[18:19]
	s_cbranch_execz .LBB232_614
; %bb.609:
	s_mov_b32 s4, 0x387fffff
	v_cmp_lt_u32_e64 s[4:5], s4, v0
                                        ; implicit-def: $vgpr5
	s_and_saveexec_b64 s[20:21], s[4:5]
	s_xor_b64 s[4:5], exec, s[20:21]
; %bb.610:
	v_bfe_u32 v1, v0, 21, 1
	s_mov_b32 s20, 0x80fffff
	v_add3_u32 v0, v0, v1, s20
	v_lshrrev_b32_e32 v5, 21, v0
                                        ; implicit-def: $vgpr0
; %bb.611:
	s_andn2_saveexec_b64 s[4:5], s[4:5]
; %bb.612:
	v_add_f32_e32 v5, 0x43000000, v0
; %bb.613:
	s_or_b64 exec, exec, s[4:5]
                                        ; implicit-def: $vgpr0
.LBB232_614:
	s_andn2_saveexec_b64 s[18:19], s[18:19]
; %bb.615:
	s_mov_b32 s4, 0x7f800000
	v_mov_b32_e32 v1, 0x7c
	v_mov_b32_e32 v5, 0x7f
	v_cmp_lt_u32_e64 s[4:5], s4, v0
	v_cndmask_b32_e64 v5, v1, v5, s[4:5]
; %bb.616:
	s_or_b64 exec, exec, s[18:19]
.LBB232_617:
	s_or_b64 exec, exec, s[16:17]
.LBB232_618:
	s_or_b64 exec, exec, s[14:15]
.LBB232_619:
	s_or_b64 exec, exec, s[12:13]
	s_or_b64 s[8:9], s[8:9], exec
.LBB232_620:
	s_or_b64 exec, exec, s[6:7]
	s_mov_b64 s[16:17], 0
	s_mov_b64 s[18:19], 0
                                        ; implicit-def: $sgpr6_sgpr7
                                        ; implicit-def: $vgpr0_vgpr1
                                        ; implicit-def: $vgpr21
	s_and_saveexec_b64 s[12:13], s[8:9]
	s_cbranch_execz .LBB232_2051
; %bb.621:
	buffer_load_dword v17, off, s[0:3], 0 offset:32
	buffer_load_ubyte v9, off, s[0:3], 0 offset:42
	buffer_load_dword v11, off, s[0:3], 0 offset:16
	buffer_load_dword v12, off, s[0:3], 0 offset:20
	s_mov_b64 s[8:9], 0
	s_mov_b64 s[14:15], s[10:11]
	s_waitcnt vmcnt(0)
	v_mul_lo_u32 v18, v17, v6
	v_cmp_lt_i16_e64 s[4:5], 10, v9
                                        ; implicit-def: $vgpr6
	v_ashrrev_i32_e32 v1, 31, v18
	v_add_co_u32_e64 v0, s[6:7], v11, v18
	v_addc_co_u32_e64 v1, s[6:7], v12, v1, s[6:7]
	s_and_saveexec_b64 s[6:7], s[4:5]
	s_xor_b64 s[6:7], exec, s[6:7]
	s_cbranch_execz .LBB232_716
; %bb.622:
	v_cmp_lt_i16_e64 s[4:5], 25, v9
                                        ; implicit-def: $vgpr6
	s_and_saveexec_b64 s[14:15], s[4:5]
	s_xor_b64 s[14:15], exec, s[14:15]
	s_cbranch_execz .LBB232_2231
; %bb.623:
	v_cmp_lt_i16_e64 s[4:5], 28, v9
	s_mov_b64 s[20:21], 0
                                        ; implicit-def: $vgpr6
	s_and_saveexec_b64 s[16:17], s[4:5]
	s_xor_b64 s[16:17], exec, s[16:17]
	s_cbranch_execz .LBB232_663
; %bb.624:
	v_cmp_lt_i16_e64 s[4:5], 43, v9
	s_mov_b64 s[22:23], 0
	s_mov_b64 s[24:25], 0
                                        ; implicit-def: $vgpr6
	s_and_saveexec_b64 s[18:19], s[4:5]
	s_xor_b64 s[18:19], exec, s[18:19]
	s_cbranch_execz .LBB232_650
; %bb.625:
	v_cmp_lt_i16_e64 s[4:5], 45, v9
                                        ; implicit-def: $vgpr6
	s_and_saveexec_b64 s[24:25], s[4:5]
	s_xor_b64 s[24:25], exec, s[24:25]
	s_cbranch_execz .LBB232_637
; %bb.626:
	v_cmp_eq_u16_e64 s[4:5], 46, v9
	s_mov_b64 s[26:27], -1
                                        ; implicit-def: $vgpr6
	s_and_saveexec_b64 s[20:21], s[4:5]
	s_cbranch_execz .LBB232_636
; %bb.627:
	flat_load_dword v6, v[0:1]
	s_mov_b32 s4, 0x47800000
                                        ; implicit-def: $vgpr19
	s_waitcnt vmcnt(0) lgkmcnt(0)
	v_lshlrev_b32_e32 v6, 16, v6
	v_and_b32_e32 v20, 0x7fffffff, v6
	v_cmp_gt_u32_e64 s[4:5], s4, v20
	s_and_saveexec_b64 s[22:23], s[4:5]
	s_xor_b64 s[22:23], exec, s[22:23]
	s_cbranch_execz .LBB232_633
; %bb.628:
	s_mov_b32 s4, 0x387fffff
	v_cmp_lt_u32_e64 s[4:5], s4, v20
                                        ; implicit-def: $vgpr19
	s_and_saveexec_b64 s[26:27], s[4:5]
	s_xor_b64 s[4:5], exec, s[26:27]
; %bb.629:
	v_bfe_u32 v19, v6, 21, 1
	s_mov_b32 s26, 0x80fffff
	v_add3_u32 v19, v6, v19, s26
	v_lshrrev_b32_e32 v19, 21, v19
; %bb.630:
	s_andn2_saveexec_b64 s[4:5], s[4:5]
; %bb.631:
	s_mov_b32 s26, 0x43000000
	v_add_f32_e64 v19, |v6|, s26
; %bb.632:
	s_or_b64 exec, exec, s[4:5]
                                        ; implicit-def: $vgpr20
.LBB232_633:
	s_andn2_saveexec_b64 s[22:23], s[22:23]
; %bb.634:
	s_mov_b32 s4, 0x7f800000
	v_mov_b32_e32 v19, 0x7c
	v_mov_b32_e32 v21, 0x7f
	v_cmp_lt_u32_e64 s[4:5], s4, v20
	v_cndmask_b32_e64 v19, v19, v21, s[4:5]
; %bb.635:
	s_or_b64 exec, exec, s[22:23]
	v_lshrrev_b32_e32 v6, 24, v6
	s_movk_i32 s4, 0x80
	s_mov_b64 s[22:23], exec
	v_and_or_b32 v6, v6, s4, v19
	s_xor_b64 s[26:27], exec, -1
.LBB232_636:
	s_or_b64 exec, exec, s[20:21]
	s_and_b64 s[22:23], s[22:23], exec
	s_and_b64 s[20:21], s[26:27], exec
.LBB232_637:
	s_andn2_saveexec_b64 s[24:25], s[24:25]
	s_cbranch_execz .LBB232_649
; %bb.638:
	v_cmp_eq_u16_e64 s[4:5], 44, v9
	s_mov_b64 s[28:29], -1
	s_mov_b64 s[30:31], s[22:23]
                                        ; implicit-def: $vgpr6
	s_and_saveexec_b64 s[26:27], s[4:5]
	s_cbranch_execz .LBB232_648
; %bb.639:
	flat_load_ubyte v6, v[0:1]
	s_movk_i32 s4, 0xff
	v_mov_b32_e32 v19, 0x7f800001
	v_mov_b32_e32 v20, 0x400000
	s_waitcnt vmcnt(0) lgkmcnt(0)
	v_lshlrev_b32_e32 v21, 23, v6
	v_cmp_ne_u32_e64 s[4:5], s4, v6
	v_cndmask_b32_e64 v19, v19, v21, s[4:5]
	v_cmp_ne_u32_e64 s[4:5], 0, v6
	v_cndmask_b32_e64 v19, v20, v19, s[4:5]
	s_mov_b32 s4, 0x47800000
	v_cmp_gt_u32_e64 s[4:5], s4, v19
                                        ; implicit-def: $vgpr6
	s_and_saveexec_b64 s[28:29], s[4:5]
	s_xor_b64 s[28:29], exec, s[28:29]
	s_cbranch_execz .LBB232_645
; %bb.640:
	s_mov_b32 s4, 0x387fffff
	v_cmp_lt_u32_e64 s[4:5], s4, v19
                                        ; implicit-def: $vgpr6
	s_and_saveexec_b64 s[30:31], s[4:5]
	s_xor_b64 s[4:5], exec, s[30:31]
; %bb.641:
	v_bfe_u32 v6, v19, 21, 1
	s_mov_b32 s30, 0x80fffff
	v_add3_u32 v6, v19, v6, s30
	v_lshrrev_b32_e32 v6, 21, v6
                                        ; implicit-def: $vgpr19
; %bb.642:
	s_andn2_saveexec_b64 s[4:5], s[4:5]
; %bb.643:
	v_add_f32_e32 v6, 0x43000000, v19
; %bb.644:
	s_or_b64 exec, exec, s[4:5]
                                        ; implicit-def: $vgpr19
.LBB232_645:
	s_andn2_saveexec_b64 s[28:29], s[28:29]
; %bb.646:
	s_mov_b32 s4, 0x7f800000
	v_mov_b32_e32 v6, 0x7c
	v_mov_b32_e32 v20, 0x7f
	v_cmp_lt_u32_e64 s[4:5], s4, v19
	v_cndmask_b32_e64 v6, v6, v20, s[4:5]
; %bb.647:
	s_or_b64 exec, exec, s[28:29]
	s_or_b64 s[30:31], s[22:23], exec
	s_xor_b64 s[28:29], exec, -1
.LBB232_648:
	s_or_b64 exec, exec, s[26:27]
	s_andn2_b64 s[4:5], s[22:23], exec
	s_and_b64 s[22:23], s[30:31], exec
	s_or_b64 s[22:23], s[4:5], s[22:23]
	s_andn2_b64 s[4:5], s[20:21], exec
	s_and_b64 s[20:21], s[28:29], exec
	s_or_b64 s[20:21], s[4:5], s[20:21]
.LBB232_649:
	s_or_b64 exec, exec, s[24:25]
	s_and_b64 s[24:25], s[22:23], exec
	s_and_b64 s[22:23], s[20:21], exec
.LBB232_650:
	s_andn2_saveexec_b64 s[18:19], s[18:19]
	s_cbranch_execz .LBB232_662
; %bb.651:
	v_cmp_eq_u16_e64 s[4:5], 29, v9
	s_mov_b64 s[26:27], -1
	s_mov_b64 s[28:29], s[24:25]
                                        ; implicit-def: $vgpr6
	s_and_saveexec_b64 s[20:21], s[4:5]
	s_cbranch_execz .LBB232_661
; %bb.652:
	flat_load_dwordx2 v[19:20], v[0:1]
	s_mov_b32 s4, 0x47800000
	s_waitcnt vmcnt(0) lgkmcnt(0)
	v_ffbh_u32_e32 v6, v20
	v_min_u32_e32 v6, 32, v6
	v_lshlrev_b64 v[19:20], v6, v[19:20]
	v_sub_u32_e32 v6, 32, v6
	v_min_u32_e32 v19, 1, v19
	v_or_b32_e32 v19, v20, v19
	v_cvt_f32_u32_e32 v19, v19
	v_ldexp_f32 v19, v19, v6
	v_cmp_gt_u32_e64 s[4:5], s4, v19
                                        ; implicit-def: $vgpr6
	s_and_saveexec_b64 s[26:27], s[4:5]
	s_xor_b64 s[26:27], exec, s[26:27]
	s_cbranch_execz .LBB232_658
; %bb.653:
	s_mov_b32 s4, 0x387fffff
	v_cmp_lt_u32_e64 s[4:5], s4, v19
                                        ; implicit-def: $vgpr6
	s_and_saveexec_b64 s[28:29], s[4:5]
	s_xor_b64 s[4:5], exec, s[28:29]
; %bb.654:
	v_bfe_u32 v6, v19, 21, 1
	s_mov_b32 s28, 0x80fffff
	v_add3_u32 v6, v19, v6, s28
	v_lshrrev_b32_e32 v6, 21, v6
                                        ; implicit-def: $vgpr19
; %bb.655:
	s_andn2_saveexec_b64 s[4:5], s[4:5]
; %bb.656:
	v_add_f32_e32 v6, 0x43000000, v19
; %bb.657:
	s_or_b64 exec, exec, s[4:5]
                                        ; implicit-def: $vgpr19
.LBB232_658:
	s_andn2_saveexec_b64 s[26:27], s[26:27]
; %bb.659:
	s_mov_b32 s4, 0x7f800000
	v_mov_b32_e32 v6, 0x7c
	v_mov_b32_e32 v20, 0x7f
	v_cmp_lt_u32_e64 s[4:5], s4, v19
	v_cndmask_b32_e64 v6, v6, v20, s[4:5]
; %bb.660:
	s_or_b64 exec, exec, s[26:27]
	s_or_b64 s[28:29], s[24:25], exec
	s_xor_b64 s[26:27], exec, -1
.LBB232_661:
	s_or_b64 exec, exec, s[20:21]
	s_andn2_b64 s[4:5], s[24:25], exec
	s_and_b64 s[20:21], s[28:29], exec
	s_or_b64 s[24:25], s[4:5], s[20:21]
	s_andn2_b64 s[4:5], s[22:23], exec
	s_and_b64 s[20:21], s[26:27], exec
	s_or_b64 s[22:23], s[4:5], s[20:21]
.LBB232_662:
	s_or_b64 exec, exec, s[18:19]
	s_and_b64 s[20:21], s[24:25], exec
	s_and_b64 s[18:19], s[22:23], exec
.LBB232_663:
	s_andn2_saveexec_b64 s[16:17], s[16:17]
	s_cbranch_execz .LBB232_703
; %bb.664:
	v_cmp_lt_i16_e64 s[4:5], 26, v9
                                        ; implicit-def: $vgpr6
	s_and_saveexec_b64 s[22:23], s[4:5]
	s_xor_b64 s[22:23], exec, s[22:23]
	s_cbranch_execz .LBB232_686
; %bb.665:
	v_cmp_lt_i16_e64 s[4:5], 27, v9
                                        ; implicit-def: $vgpr6
	s_and_saveexec_b64 s[24:25], s[4:5]
	s_xor_b64 s[24:25], exec, s[24:25]
	s_cbranch_execz .LBB232_675
; %bb.666:
	flat_load_dword v6, v[0:1]
	s_mov_b32 s4, 0x47800000
	s_waitcnt vmcnt(0) lgkmcnt(0)
	v_cvt_f32_u32_e32 v19, v6
                                        ; implicit-def: $vgpr6
	v_cmp_gt_u32_e64 s[4:5], s4, v19
	s_and_saveexec_b64 s[26:27], s[4:5]
	s_xor_b64 s[26:27], exec, s[26:27]
	s_cbranch_execz .LBB232_672
; %bb.667:
	s_mov_b32 s4, 0x387fffff
	v_cmp_lt_u32_e64 s[4:5], s4, v19
                                        ; implicit-def: $vgpr6
	s_and_saveexec_b64 s[28:29], s[4:5]
	s_xor_b64 s[4:5], exec, s[28:29]
; %bb.668:
	v_bfe_u32 v6, v19, 21, 1
	s_mov_b32 s28, 0x80fffff
	v_add3_u32 v6, v19, v6, s28
	v_lshrrev_b32_e32 v6, 21, v6
                                        ; implicit-def: $vgpr19
; %bb.669:
	s_andn2_saveexec_b64 s[4:5], s[4:5]
; %bb.670:
	v_add_f32_e32 v6, 0x43000000, v19
; %bb.671:
	s_or_b64 exec, exec, s[4:5]
                                        ; implicit-def: $vgpr19
.LBB232_672:
	s_andn2_saveexec_b64 s[26:27], s[26:27]
; %bb.673:
	s_mov_b32 s4, 0x7f800000
	v_mov_b32_e32 v6, 0x7c
	v_mov_b32_e32 v20, 0x7f
	v_cmp_lt_u32_e64 s[4:5], s4, v19
	v_cndmask_b32_e64 v6, v6, v20, s[4:5]
; %bb.674:
	s_or_b64 exec, exec, s[26:27]
.LBB232_675:
	s_andn2_saveexec_b64 s[24:25], s[24:25]
	s_cbranch_execz .LBB232_685
; %bb.676:
	flat_load_ushort v6, v[0:1]
	s_mov_b32 s4, 0x47800000
	s_waitcnt vmcnt(0) lgkmcnt(0)
	v_cvt_f32_u32_e32 v19, v6
                                        ; implicit-def: $vgpr6
	v_cmp_gt_u32_e64 s[4:5], s4, v19
	s_and_saveexec_b64 s[26:27], s[4:5]
	s_xor_b64 s[26:27], exec, s[26:27]
	s_cbranch_execz .LBB232_682
; %bb.677:
	s_mov_b32 s4, 0x387fffff
	v_cmp_lt_u32_e64 s[4:5], s4, v19
                                        ; implicit-def: $vgpr6
	s_and_saveexec_b64 s[28:29], s[4:5]
	s_xor_b64 s[4:5], exec, s[28:29]
; %bb.678:
	v_bfe_u32 v6, v19, 21, 1
	s_mov_b32 s28, 0x80fffff
	v_add3_u32 v6, v19, v6, s28
	v_lshrrev_b32_e32 v6, 21, v6
                                        ; implicit-def: $vgpr19
; %bb.679:
	s_andn2_saveexec_b64 s[4:5], s[4:5]
; %bb.680:
	v_add_f32_e32 v6, 0x43000000, v19
; %bb.681:
	s_or_b64 exec, exec, s[4:5]
                                        ; implicit-def: $vgpr19
.LBB232_682:
	s_andn2_saveexec_b64 s[26:27], s[26:27]
; %bb.683:
	s_mov_b32 s4, 0x7f800000
	v_mov_b32_e32 v6, 0x7c
	v_mov_b32_e32 v20, 0x7f
	v_cmp_lt_u32_e64 s[4:5], s4, v19
	v_cndmask_b32_e64 v6, v6, v20, s[4:5]
; %bb.684:
	s_or_b64 exec, exec, s[26:27]
.LBB232_685:
	s_or_b64 exec, exec, s[24:25]
.LBB232_686:
	s_andn2_saveexec_b64 s[22:23], s[22:23]
	s_cbranch_execz .LBB232_702
; %bb.687:
	flat_load_ubyte v19, v[0:1]
	s_movk_i32 s4, 0x7f
	s_mov_b64 s[24:25], 0
	s_waitcnt vmcnt(0) lgkmcnt(0)
	v_cmp_lt_i16_e64 s[4:5], s4, v19
	s_and_saveexec_b64 s[26:27], s[4:5]
	s_xor_b64 s[26:27], exec, s[26:27]
	s_cbranch_execz .LBB232_2428
; %bb.688:
	s_movk_i32 s4, 0x80
	v_cmp_eq_u16_e64 s[4:5], s4, v19
	s_mov_b64 s[24:25], -1
	s_and_saveexec_b64 s[28:29], s[4:5]
; %bb.689:
	s_xor_b64 s[24:25], exec, -1
; %bb.690:
	s_or_b64 exec, exec, s[28:29]
	s_and_b64 s[24:25], s[24:25], exec
	s_or_saveexec_b64 s[26:27], s[26:27]
	v_mov_b32_e32 v6, 0x7f800001
	s_xor_b64 exec, exec, s[26:27]
	s_cbranch_execnz .LBB232_2429
.LBB232_691:
	s_or_b64 exec, exec, s[26:27]
	s_and_saveexec_b64 s[26:27], s[24:25]
	s_cbranch_execz .LBB232_693
.LBB232_692:
	v_lshlrev_b32_e32 v6, 24, v19
	v_and_b32_e32 v19, 0xffff, v19
	v_and_b32_e32 v20, 7, v19
	v_ffbh_u32_e32 v22, v20
	v_min_u32_e32 v22, 32, v22
	v_subrev_u32_e32 v23, 28, v22
	v_bfe_u32 v21, v19, 3, 4
	v_lshlrev_b32_e32 v19, v23, v19
	v_sub_u32_e32 v22, 29, v22
	v_and_b32_e32 v19, 7, v19
	v_cmp_eq_u32_e64 s[4:5], 0, v21
	v_cndmask_b32_e64 v21, v21, v22, s[4:5]
	v_cndmask_b32_e64 v19, v20, v19, s[4:5]
	v_mov_b32_e32 v20, 0x3b800000
	v_lshlrev_b32_e32 v19, 20, v19
	v_and_b32_e32 v6, 0x80000000, v6
	v_lshl_add_u32 v20, v21, 23, v20
	v_or3_b32 v6, v6, v20, v19
.LBB232_693:
	s_or_b64 exec, exec, s[26:27]
	v_and_b32_e32 v20, 0x7fffffff, v6
	s_mov_b32 s4, 0x47800000
	v_cmp_gt_u32_e64 s[4:5], s4, v20
                                        ; implicit-def: $vgpr19
	s_and_saveexec_b64 s[24:25], s[4:5]
	s_xor_b64 s[24:25], exec, s[24:25]
	s_cbranch_execz .LBB232_699
; %bb.694:
	s_mov_b32 s4, 0x387fffff
	v_cmp_lt_u32_e64 s[4:5], s4, v20
                                        ; implicit-def: $vgpr19
	s_and_saveexec_b64 s[26:27], s[4:5]
	s_xor_b64 s[4:5], exec, s[26:27]
; %bb.695:
	v_bfe_u32 v19, v6, 21, 1
	s_mov_b32 s26, 0x80fffff
	v_add3_u32 v19, v6, v19, s26
	v_lshrrev_b32_e32 v19, 21, v19
; %bb.696:
	s_andn2_saveexec_b64 s[4:5], s[4:5]
; %bb.697:
	s_mov_b32 s26, 0x43000000
	v_add_f32_e64 v19, |v6|, s26
; %bb.698:
	s_or_b64 exec, exec, s[4:5]
                                        ; implicit-def: $vgpr20
.LBB232_699:
	s_andn2_saveexec_b64 s[24:25], s[24:25]
; %bb.700:
	s_mov_b32 s4, 0x7f800000
	v_mov_b32_e32 v19, 0x7c
	v_mov_b32_e32 v21, 0x7f
	v_cmp_lt_u32_e64 s[4:5], s4, v20
	v_cndmask_b32_e64 v19, v19, v21, s[4:5]
; %bb.701:
	s_or_b64 exec, exec, s[24:25]
	v_lshrrev_b32_e32 v6, 24, v6
	s_movk_i32 s4, 0x80
	v_and_or_b32 v6, v6, s4, v19
.LBB232_702:
	s_or_b64 exec, exec, s[22:23]
	s_or_b64 s[20:21], s[20:21], exec
.LBB232_703:
	s_or_b64 exec, exec, s[16:17]
	s_and_b64 s[16:17], s[20:21], exec
	s_and_b64 s[18:19], s[18:19], exec
	s_andn2_saveexec_b64 s[14:15], s[14:15]
	s_cbranch_execnz .LBB232_2232
.LBB232_704:
	s_or_b64 exec, exec, s[14:15]
	s_mov_b64 s[14:15], s[10:11]
	s_and_saveexec_b64 s[4:5], s[18:19]
	s_cbranch_execnz .LBB232_2281
.LBB232_705:
	s_or_b64 exec, exec, s[4:5]
	s_and_saveexec_b64 s[18:19], s[8:9]
	s_cbranch_execz .LBB232_715
.LBB232_706:
	flat_load_ubyte v0, v[0:1]
                                        ; implicit-def: $vgpr6
	s_waitcnt vmcnt(0) lgkmcnt(0)
	v_cmp_ne_u16_e64 s[4:5], 0, v0
	v_cndmask_b32_e64 v0, 0, 1.0, s[4:5]
	s_mov_b32 s4, 0x47800000
	v_cmp_gt_u32_e64 s[4:5], s4, v0
	s_and_saveexec_b64 s[8:9], s[4:5]
	s_xor_b64 s[8:9], exec, s[8:9]
	s_cbranch_execz .LBB232_712
; %bb.707:
	s_mov_b32 s4, 0x387fffff
	v_cmp_lt_u32_e64 s[4:5], s4, v0
                                        ; implicit-def: $vgpr6
	s_and_saveexec_b64 s[20:21], s[4:5]
	s_xor_b64 s[4:5], exec, s[20:21]
; %bb.708:
	v_bfe_u32 v1, v0, 21, 1
	s_mov_b32 s20, 0x80fffff
	v_add3_u32 v0, v0, v1, s20
	v_lshrrev_b32_e32 v6, 21, v0
                                        ; implicit-def: $vgpr0
; %bb.709:
	s_andn2_saveexec_b64 s[4:5], s[4:5]
; %bb.710:
	v_add_f32_e32 v6, 0x43000000, v0
; %bb.711:
	s_or_b64 exec, exec, s[4:5]
                                        ; implicit-def: $vgpr0
.LBB232_712:
	s_andn2_saveexec_b64 s[8:9], s[8:9]
; %bb.713:
	s_mov_b32 s4, 0x7f800000
	v_mov_b32_e32 v1, 0x7c
	v_mov_b32_e32 v6, 0x7f
	v_cmp_lt_u32_e64 s[4:5], s4, v0
	v_cndmask_b32_e64 v6, v1, v6, s[4:5]
; %bb.714:
	s_or_b64 exec, exec, s[8:9]
	s_or_b64 s[16:17], s[16:17], exec
.LBB232_715:
	s_or_b64 exec, exec, s[18:19]
	s_andn2_b64 s[4:5], s[10:11], exec
	s_and_b64 s[8:9], s[14:15], exec
	s_or_b64 s[14:15], s[4:5], s[8:9]
	s_and_b64 s[8:9], s[16:17], exec
                                        ; implicit-def: $vgpr0_vgpr1
.LBB232_716:
	s_andn2_saveexec_b64 s[6:7], s[6:7]
	s_cbranch_execz .LBB232_846
; %bb.717:
	v_cmp_lt_i16_e64 s[4:5], 4, v9
                                        ; implicit-def: $vgpr6
	s_and_saveexec_b64 s[16:17], s[4:5]
	s_xor_b64 s[16:17], exec, s[16:17]
	s_cbranch_execz .LBB232_787
; %bb.718:
	v_cmp_lt_i16_e64 s[4:5], 7, v9
                                        ; implicit-def: $vgpr6
	s_and_saveexec_b64 s[18:19], s[4:5]
	s_xor_b64 s[18:19], exec, s[18:19]
	;; [unrolled: 6-line block ×4, first 2 shown]
	s_cbranch_execz .LBB232_730
; %bb.721:
	flat_load_dwordx2 v[0:1], v[0:1]
	s_mov_b32 s4, 0x47800000
	s_waitcnt vmcnt(0) lgkmcnt(0)
	v_cvt_f32_f64_e32 v0, v[0:1]
                                        ; implicit-def: $vgpr1
	v_and_b32_e32 v6, 0x7fffffff, v0
	v_cmp_gt_u32_e64 s[4:5], s4, v6
	s_and_saveexec_b64 s[24:25], s[4:5]
	s_xor_b64 s[24:25], exec, s[24:25]
	s_cbranch_execz .LBB232_727
; %bb.722:
	s_mov_b32 s4, 0x387fffff
	v_cmp_lt_u32_e64 s[4:5], s4, v6
                                        ; implicit-def: $vgpr1
	s_and_saveexec_b64 s[26:27], s[4:5]
	s_xor_b64 s[4:5], exec, s[26:27]
; %bb.723:
	v_bfe_u32 v1, v0, 21, 1
	s_mov_b32 s26, 0x80fffff
	v_add3_u32 v1, v0, v1, s26
	v_lshrrev_b32_e32 v1, 21, v1
; %bb.724:
	s_andn2_saveexec_b64 s[4:5], s[4:5]
; %bb.725:
	s_mov_b32 s26, 0x43000000
	v_add_f32_e64 v1, |v0|, s26
; %bb.726:
	s_or_b64 exec, exec, s[4:5]
                                        ; implicit-def: $vgpr6
.LBB232_727:
	s_andn2_saveexec_b64 s[24:25], s[24:25]
; %bb.728:
	s_mov_b32 s4, 0x7f800000
	v_mov_b32_e32 v1, 0x7c
	v_mov_b32_e32 v19, 0x7f
	v_cmp_lt_u32_e64 s[4:5], s4, v6
	v_cndmask_b32_e64 v1, v1, v19, s[4:5]
; %bb.729:
	s_or_b64 exec, exec, s[24:25]
	v_lshrrev_b32_e32 v0, 24, v0
	s_movk_i32 s4, 0x80
	v_and_or_b32 v6, v0, s4, v1
                                        ; implicit-def: $vgpr0_vgpr1
.LBB232_730:
	s_andn2_saveexec_b64 s[22:23], s[22:23]
	s_cbranch_execz .LBB232_740
; %bb.731:
	flat_load_dword v0, v[0:1]
	s_mov_b32 s4, 0x47800000
                                        ; implicit-def: $vgpr1
	s_waitcnt vmcnt(0) lgkmcnt(0)
	v_and_b32_e32 v6, 0x7fffffff, v0
	v_cmp_gt_u32_e64 s[4:5], s4, v6
	s_and_saveexec_b64 s[24:25], s[4:5]
	s_xor_b64 s[24:25], exec, s[24:25]
	s_cbranch_execz .LBB232_737
; %bb.732:
	s_mov_b32 s4, 0x387fffff
	v_cmp_lt_u32_e64 s[4:5], s4, v6
                                        ; implicit-def: $vgpr1
	s_and_saveexec_b64 s[26:27], s[4:5]
	s_xor_b64 s[4:5], exec, s[26:27]
; %bb.733:
	v_bfe_u32 v1, v0, 21, 1
	s_mov_b32 s26, 0x80fffff
	v_add3_u32 v1, v0, v1, s26
	v_lshrrev_b32_e32 v1, 21, v1
; %bb.734:
	s_andn2_saveexec_b64 s[4:5], s[4:5]
; %bb.735:
	s_mov_b32 s26, 0x43000000
	v_add_f32_e64 v1, |v0|, s26
; %bb.736:
	s_or_b64 exec, exec, s[4:5]
                                        ; implicit-def: $vgpr6
.LBB232_737:
	s_andn2_saveexec_b64 s[24:25], s[24:25]
; %bb.738:
	s_mov_b32 s4, 0x7f800000
	v_mov_b32_e32 v1, 0x7c
	v_mov_b32_e32 v19, 0x7f
	v_cmp_lt_u32_e64 s[4:5], s4, v6
	v_cndmask_b32_e64 v1, v1, v19, s[4:5]
; %bb.739:
	s_or_b64 exec, exec, s[24:25]
	v_lshrrev_b32_e32 v0, 24, v0
	s_movk_i32 s4, 0x80
	v_and_or_b32 v6, v0, s4, v1
.LBB232_740:
	s_or_b64 exec, exec, s[22:23]
                                        ; implicit-def: $vgpr0_vgpr1
.LBB232_741:
	s_andn2_saveexec_b64 s[20:21], s[20:21]
	s_cbranch_execz .LBB232_751
; %bb.742:
	flat_load_dword v0, v[0:1]
	s_mov_b32 s4, 0x47800000
                                        ; implicit-def: $vgpr1
	s_waitcnt vmcnt(0) lgkmcnt(0)
	v_cvt_f32_f16_e32 v0, v0
	v_and_b32_e32 v6, 0x7fffffff, v0
	v_cmp_gt_u32_e64 s[4:5], s4, v6
	s_and_saveexec_b64 s[22:23], s[4:5]
	s_xor_b64 s[22:23], exec, s[22:23]
	s_cbranch_execz .LBB232_748
; %bb.743:
	s_mov_b32 s4, 0x387fffff
	v_cmp_lt_u32_e64 s[4:5], s4, v6
                                        ; implicit-def: $vgpr1
	s_and_saveexec_b64 s[24:25], s[4:5]
	s_xor_b64 s[4:5], exec, s[24:25]
; %bb.744:
	v_bfe_u32 v1, v0, 21, 1
	s_mov_b32 s24, 0x80fffff
	v_add3_u32 v1, v0, v1, s24
	v_lshrrev_b32_e32 v1, 21, v1
; %bb.745:
	s_andn2_saveexec_b64 s[4:5], s[4:5]
; %bb.746:
	s_mov_b32 s24, 0x43000000
	v_add_f32_e64 v1, |v0|, s24
; %bb.747:
	s_or_b64 exec, exec, s[4:5]
                                        ; implicit-def: $vgpr6
.LBB232_748:
	s_andn2_saveexec_b64 s[22:23], s[22:23]
; %bb.749:
	s_mov_b32 s4, 0x7f800000
	v_mov_b32_e32 v1, 0x7c
	v_mov_b32_e32 v19, 0x7f
	v_cmp_lt_u32_e64 s[4:5], s4, v6
	v_cndmask_b32_e64 v1, v1, v19, s[4:5]
; %bb.750:
	s_or_b64 exec, exec, s[22:23]
	v_lshrrev_b32_e32 v0, 24, v0
	s_movk_i32 s4, 0x80
	v_and_or_b32 v6, v0, s4, v1
.LBB232_751:
	s_or_b64 exec, exec, s[20:21]
                                        ; implicit-def: $vgpr0_vgpr1
.LBB232_752:
	s_andn2_saveexec_b64 s[18:19], s[18:19]
	s_cbranch_execz .LBB232_786
; %bb.753:
	v_cmp_lt_i16_e64 s[4:5], 5, v9
                                        ; implicit-def: $vgpr6
	s_and_saveexec_b64 s[20:21], s[4:5]
	s_xor_b64 s[20:21], exec, s[20:21]
	s_cbranch_execz .LBB232_775
; %bb.754:
	v_cmp_lt_i16_e64 s[4:5], 6, v9
                                        ; implicit-def: $vgpr6
	s_and_saveexec_b64 s[22:23], s[4:5]
	s_xor_b64 s[22:23], exec, s[22:23]
	s_cbranch_execz .LBB232_764
; %bb.755:
	flat_load_dwordx2 v[0:1], v[0:1]
	s_mov_b32 s4, 0x47800000
	s_waitcnt vmcnt(0) lgkmcnt(0)
	v_cvt_f32_f64_e32 v0, v[0:1]
                                        ; implicit-def: $vgpr1
	v_and_b32_e32 v6, 0x7fffffff, v0
	v_cmp_gt_u32_e64 s[4:5], s4, v6
	s_and_saveexec_b64 s[24:25], s[4:5]
	s_xor_b64 s[24:25], exec, s[24:25]
	s_cbranch_execz .LBB232_761
; %bb.756:
	s_mov_b32 s4, 0x387fffff
	v_cmp_lt_u32_e64 s[4:5], s4, v6
                                        ; implicit-def: $vgpr1
	s_and_saveexec_b64 s[26:27], s[4:5]
	s_xor_b64 s[4:5], exec, s[26:27]
; %bb.757:
	v_bfe_u32 v1, v0, 21, 1
	s_mov_b32 s26, 0x80fffff
	v_add3_u32 v1, v0, v1, s26
	v_lshrrev_b32_e32 v1, 21, v1
; %bb.758:
	s_andn2_saveexec_b64 s[4:5], s[4:5]
; %bb.759:
	s_mov_b32 s26, 0x43000000
	v_add_f32_e64 v1, |v0|, s26
; %bb.760:
	s_or_b64 exec, exec, s[4:5]
                                        ; implicit-def: $vgpr6
.LBB232_761:
	s_andn2_saveexec_b64 s[24:25], s[24:25]
; %bb.762:
	s_mov_b32 s4, 0x7f800000
	v_mov_b32_e32 v1, 0x7c
	v_mov_b32_e32 v19, 0x7f
	v_cmp_lt_u32_e64 s[4:5], s4, v6
	v_cndmask_b32_e64 v1, v1, v19, s[4:5]
; %bb.763:
	s_or_b64 exec, exec, s[24:25]
	v_lshrrev_b32_e32 v0, 24, v0
	s_movk_i32 s4, 0x80
	v_and_or_b32 v6, v0, s4, v1
                                        ; implicit-def: $vgpr0_vgpr1
.LBB232_764:
	s_andn2_saveexec_b64 s[22:23], s[22:23]
	s_cbranch_execz .LBB232_774
; %bb.765:
	flat_load_dword v0, v[0:1]
	s_mov_b32 s4, 0x47800000
                                        ; implicit-def: $vgpr1
	s_waitcnt vmcnt(0) lgkmcnt(0)
	v_and_b32_e32 v6, 0x7fffffff, v0
	v_cmp_gt_u32_e64 s[4:5], s4, v6
	s_and_saveexec_b64 s[24:25], s[4:5]
	s_xor_b64 s[24:25], exec, s[24:25]
	s_cbranch_execz .LBB232_771
; %bb.766:
	s_mov_b32 s4, 0x387fffff
	v_cmp_lt_u32_e64 s[4:5], s4, v6
                                        ; implicit-def: $vgpr1
	s_and_saveexec_b64 s[26:27], s[4:5]
	s_xor_b64 s[4:5], exec, s[26:27]
; %bb.767:
	v_bfe_u32 v1, v0, 21, 1
	s_mov_b32 s26, 0x80fffff
	v_add3_u32 v1, v0, v1, s26
	v_lshrrev_b32_e32 v1, 21, v1
; %bb.768:
	s_andn2_saveexec_b64 s[4:5], s[4:5]
; %bb.769:
	s_mov_b32 s26, 0x43000000
	v_add_f32_e64 v1, |v0|, s26
; %bb.770:
	s_or_b64 exec, exec, s[4:5]
                                        ; implicit-def: $vgpr6
.LBB232_771:
	s_andn2_saveexec_b64 s[24:25], s[24:25]
; %bb.772:
	s_mov_b32 s4, 0x7f800000
	v_mov_b32_e32 v1, 0x7c
	v_mov_b32_e32 v19, 0x7f
	v_cmp_lt_u32_e64 s[4:5], s4, v6
	v_cndmask_b32_e64 v1, v1, v19, s[4:5]
; %bb.773:
	s_or_b64 exec, exec, s[24:25]
	v_lshrrev_b32_e32 v0, 24, v0
	s_movk_i32 s4, 0x80
	v_and_or_b32 v6, v0, s4, v1
.LBB232_774:
	s_or_b64 exec, exec, s[22:23]
                                        ; implicit-def: $vgpr0_vgpr1
.LBB232_775:
	s_andn2_saveexec_b64 s[20:21], s[20:21]
	s_cbranch_execz .LBB232_785
; %bb.776:
	flat_load_ushort v0, v[0:1]
	s_mov_b32 s4, 0x47800000
                                        ; implicit-def: $vgpr1
	s_waitcnt vmcnt(0) lgkmcnt(0)
	v_cvt_f32_f16_e32 v0, v0
	v_and_b32_e32 v6, 0x7fffffff, v0
	v_cmp_gt_u32_e64 s[4:5], s4, v6
	s_and_saveexec_b64 s[22:23], s[4:5]
	s_xor_b64 s[22:23], exec, s[22:23]
	s_cbranch_execz .LBB232_782
; %bb.777:
	s_mov_b32 s4, 0x387fffff
	v_cmp_lt_u32_e64 s[4:5], s4, v6
                                        ; implicit-def: $vgpr1
	s_and_saveexec_b64 s[24:25], s[4:5]
	s_xor_b64 s[4:5], exec, s[24:25]
; %bb.778:
	v_bfe_u32 v1, v0, 21, 1
	s_mov_b32 s24, 0x80fffff
	v_add3_u32 v1, v0, v1, s24
	v_lshrrev_b32_e32 v1, 21, v1
; %bb.779:
	s_andn2_saveexec_b64 s[4:5], s[4:5]
; %bb.780:
	s_mov_b32 s24, 0x43000000
	v_add_f32_e64 v1, |v0|, s24
; %bb.781:
	s_or_b64 exec, exec, s[4:5]
                                        ; implicit-def: $vgpr6
.LBB232_782:
	s_andn2_saveexec_b64 s[22:23], s[22:23]
; %bb.783:
	s_mov_b32 s4, 0x7f800000
	v_mov_b32_e32 v1, 0x7c
	v_mov_b32_e32 v19, 0x7f
	v_cmp_lt_u32_e64 s[4:5], s4, v6
	v_cndmask_b32_e64 v1, v1, v19, s[4:5]
; %bb.784:
	s_or_b64 exec, exec, s[22:23]
	v_lshrrev_b32_e32 v0, 24, v0
	s_movk_i32 s4, 0x80
	v_and_or_b32 v6, v0, s4, v1
.LBB232_785:
	s_or_b64 exec, exec, s[20:21]
.LBB232_786:
	s_or_b64 exec, exec, s[18:19]
                                        ; implicit-def: $vgpr0_vgpr1
.LBB232_787:
	s_andn2_saveexec_b64 s[16:17], s[16:17]
	s_cbranch_execz .LBB232_845
; %bb.788:
	v_cmp_lt_i16_e64 s[4:5], 1, v9
                                        ; implicit-def: $vgpr6
	s_and_saveexec_b64 s[18:19], s[4:5]
	s_xor_b64 s[18:19], exec, s[18:19]
	s_cbranch_execz .LBB232_822
; %bb.789:
	v_cmp_lt_i16_e64 s[4:5], 2, v9
                                        ; implicit-def: $vgpr6
	s_and_saveexec_b64 s[20:21], s[4:5]
	s_xor_b64 s[20:21], exec, s[20:21]
	;; [unrolled: 6-line block ×3, first 2 shown]
	s_cbranch_execz .LBB232_800
; %bb.791:
	flat_load_dwordx2 v[0:1], v[0:1]
	s_mov_b32 s4, 0x47800000
	s_waitcnt vmcnt(0) lgkmcnt(0)
	v_xor_b32_e32 v19, v0, v1
	v_ffbh_i32_e32 v6, v1
	v_ashrrev_i32_e32 v19, 31, v19
	v_add_u32_e32 v6, -1, v6
	v_add_u32_e32 v19, 32, v19
	v_min_u32_e32 v6, v6, v19
	v_lshlrev_b64 v[0:1], v6, v[0:1]
	v_min_u32_e32 v0, 1, v0
	v_or_b32_e32 v0, v1, v0
	v_cvt_f32_i32_e32 v0, v0
	v_sub_u32_e32 v1, 32, v6
	v_ldexp_f32 v0, v0, v1
	v_and_b32_e32 v6, 0x7fffffff, v0
	v_cmp_gt_u32_e64 s[4:5], s4, v6
                                        ; implicit-def: $vgpr1
	s_and_saveexec_b64 s[24:25], s[4:5]
	s_xor_b64 s[24:25], exec, s[24:25]
	s_cbranch_execz .LBB232_797
; %bb.792:
	s_mov_b32 s4, 0x387fffff
	v_cmp_lt_u32_e64 s[4:5], s4, v6
                                        ; implicit-def: $vgpr1
	s_and_saveexec_b64 s[26:27], s[4:5]
	s_xor_b64 s[4:5], exec, s[26:27]
; %bb.793:
	v_bfe_u32 v1, v0, 21, 1
	s_mov_b32 s26, 0x80fffff
	v_add3_u32 v1, v0, v1, s26
	v_lshrrev_b32_e32 v1, 21, v1
; %bb.794:
	s_andn2_saveexec_b64 s[4:5], s[4:5]
; %bb.795:
	s_mov_b32 s26, 0x43000000
	v_add_f32_e64 v1, |v0|, s26
; %bb.796:
	s_or_b64 exec, exec, s[4:5]
                                        ; implicit-def: $vgpr6
.LBB232_797:
	s_andn2_saveexec_b64 s[24:25], s[24:25]
; %bb.798:
	s_mov_b32 s4, 0x7f800000
	v_mov_b32_e32 v1, 0x7c
	v_mov_b32_e32 v19, 0x7f
	v_cmp_lt_u32_e64 s[4:5], s4, v6
	v_cndmask_b32_e64 v1, v1, v19, s[4:5]
; %bb.799:
	s_or_b64 exec, exec, s[24:25]
	v_lshrrev_b32_e32 v0, 24, v0
	s_movk_i32 s4, 0x80
	v_and_or_b32 v6, v0, s4, v1
                                        ; implicit-def: $vgpr0_vgpr1
.LBB232_800:
	s_andn2_saveexec_b64 s[22:23], s[22:23]
	s_cbranch_execz .LBB232_810
; %bb.801:
	flat_load_dword v0, v[0:1]
	s_mov_b32 s4, 0x47800000
                                        ; implicit-def: $vgpr1
	s_waitcnt vmcnt(0) lgkmcnt(0)
	v_cvt_f32_i32_e32 v0, v0
	v_and_b32_e32 v6, 0x7fffffff, v0
	v_cmp_gt_u32_e64 s[4:5], s4, v6
	s_and_saveexec_b64 s[24:25], s[4:5]
	s_xor_b64 s[24:25], exec, s[24:25]
	s_cbranch_execz .LBB232_807
; %bb.802:
	s_mov_b32 s4, 0x387fffff
	v_cmp_lt_u32_e64 s[4:5], s4, v6
                                        ; implicit-def: $vgpr1
	s_and_saveexec_b64 s[26:27], s[4:5]
	s_xor_b64 s[4:5], exec, s[26:27]
; %bb.803:
	v_bfe_u32 v1, v0, 21, 1
	s_mov_b32 s26, 0x80fffff
	v_add3_u32 v1, v0, v1, s26
	v_lshrrev_b32_e32 v1, 21, v1
; %bb.804:
	s_andn2_saveexec_b64 s[4:5], s[4:5]
; %bb.805:
	s_mov_b32 s26, 0x43000000
	v_add_f32_e64 v1, |v0|, s26
; %bb.806:
	s_or_b64 exec, exec, s[4:5]
                                        ; implicit-def: $vgpr6
.LBB232_807:
	s_andn2_saveexec_b64 s[24:25], s[24:25]
; %bb.808:
	s_mov_b32 s4, 0x7f800000
	v_mov_b32_e32 v1, 0x7c
	v_mov_b32_e32 v19, 0x7f
	v_cmp_lt_u32_e64 s[4:5], s4, v6
	v_cndmask_b32_e64 v1, v1, v19, s[4:5]
; %bb.809:
	s_or_b64 exec, exec, s[24:25]
	v_lshrrev_b32_e32 v0, 24, v0
	s_movk_i32 s4, 0x80
	v_and_or_b32 v6, v0, s4, v1
.LBB232_810:
	s_or_b64 exec, exec, s[22:23]
                                        ; implicit-def: $vgpr0_vgpr1
.LBB232_811:
	s_andn2_saveexec_b64 s[20:21], s[20:21]
	s_cbranch_execz .LBB232_821
; %bb.812:
	flat_load_sshort v0, v[0:1]
	s_mov_b32 s4, 0x47800000
                                        ; implicit-def: $vgpr1
	s_waitcnt vmcnt(0) lgkmcnt(0)
	v_cvt_f32_i32_e32 v0, v0
	v_and_b32_e32 v6, 0x7fffffff, v0
	v_cmp_gt_u32_e64 s[4:5], s4, v6
	s_and_saveexec_b64 s[22:23], s[4:5]
	s_xor_b64 s[22:23], exec, s[22:23]
	s_cbranch_execz .LBB232_818
; %bb.813:
	s_mov_b32 s4, 0x387fffff
	v_cmp_lt_u32_e64 s[4:5], s4, v6
                                        ; implicit-def: $vgpr1
	s_and_saveexec_b64 s[24:25], s[4:5]
	s_xor_b64 s[4:5], exec, s[24:25]
; %bb.814:
	v_bfe_u32 v1, v0, 21, 1
	s_mov_b32 s24, 0x80fffff
	v_add3_u32 v1, v0, v1, s24
	v_lshrrev_b32_e32 v1, 21, v1
; %bb.815:
	s_andn2_saveexec_b64 s[4:5], s[4:5]
; %bb.816:
	s_mov_b32 s24, 0x43000000
	v_add_f32_e64 v1, |v0|, s24
; %bb.817:
	s_or_b64 exec, exec, s[4:5]
                                        ; implicit-def: $vgpr6
.LBB232_818:
	s_andn2_saveexec_b64 s[22:23], s[22:23]
; %bb.819:
	s_mov_b32 s4, 0x7f800000
	v_mov_b32_e32 v1, 0x7c
	v_mov_b32_e32 v19, 0x7f
	v_cmp_lt_u32_e64 s[4:5], s4, v6
	v_cndmask_b32_e64 v1, v1, v19, s[4:5]
; %bb.820:
	s_or_b64 exec, exec, s[22:23]
	v_lshrrev_b32_e32 v0, 24, v0
	s_movk_i32 s4, 0x80
	v_and_or_b32 v6, v0, s4, v1
.LBB232_821:
	s_or_b64 exec, exec, s[20:21]
                                        ; implicit-def: $vgpr0_vgpr1
.LBB232_822:
	s_andn2_saveexec_b64 s[18:19], s[18:19]
	s_cbranch_execz .LBB232_844
; %bb.823:
	v_cmp_lt_i16_e64 s[4:5], 0, v9
                                        ; implicit-def: $vgpr6
	s_and_saveexec_b64 s[20:21], s[4:5]
	s_xor_b64 s[20:21], exec, s[20:21]
	s_cbranch_execz .LBB232_833
; %bb.824:
	flat_load_sbyte v0, v[0:1]
	s_mov_b32 s4, 0x47800000
                                        ; implicit-def: $vgpr1
	s_waitcnt vmcnt(0) lgkmcnt(0)
	v_cvt_f32_i32_e32 v0, v0
	v_and_b32_e32 v6, 0x7fffffff, v0
	v_cmp_gt_u32_e64 s[4:5], s4, v6
	s_and_saveexec_b64 s[22:23], s[4:5]
	s_xor_b64 s[22:23], exec, s[22:23]
	s_cbranch_execz .LBB232_830
; %bb.825:
	s_mov_b32 s4, 0x387fffff
	v_cmp_lt_u32_e64 s[4:5], s4, v6
                                        ; implicit-def: $vgpr1
	s_and_saveexec_b64 s[24:25], s[4:5]
	s_xor_b64 s[4:5], exec, s[24:25]
; %bb.826:
	v_bfe_u32 v1, v0, 21, 1
	s_mov_b32 s24, 0x80fffff
	v_add3_u32 v1, v0, v1, s24
	v_lshrrev_b32_e32 v1, 21, v1
; %bb.827:
	s_andn2_saveexec_b64 s[4:5], s[4:5]
; %bb.828:
	s_mov_b32 s24, 0x43000000
	v_add_f32_e64 v1, |v0|, s24
; %bb.829:
	s_or_b64 exec, exec, s[4:5]
                                        ; implicit-def: $vgpr6
.LBB232_830:
	s_andn2_saveexec_b64 s[22:23], s[22:23]
; %bb.831:
	s_mov_b32 s4, 0x7f800000
	v_mov_b32_e32 v1, 0x7c
	v_mov_b32_e32 v19, 0x7f
	v_cmp_lt_u32_e64 s[4:5], s4, v6
	v_cndmask_b32_e64 v1, v1, v19, s[4:5]
; %bb.832:
	s_or_b64 exec, exec, s[22:23]
	v_lshrrev_b32_e32 v0, 24, v0
	s_movk_i32 s4, 0x80
	v_and_or_b32 v6, v0, s4, v1
                                        ; implicit-def: $vgpr0_vgpr1
.LBB232_833:
	s_andn2_saveexec_b64 s[20:21], s[20:21]
	s_cbranch_execz .LBB232_843
; %bb.834:
	flat_load_ubyte v0, v[0:1]
	s_mov_b32 s4, 0x47800000
                                        ; implicit-def: $vgpr6
	s_waitcnt vmcnt(0) lgkmcnt(0)
	v_cvt_f32_ubyte0_e32 v0, v0
	v_cmp_gt_u32_e64 s[4:5], s4, v0
	s_and_saveexec_b64 s[22:23], s[4:5]
	s_xor_b64 s[22:23], exec, s[22:23]
	s_cbranch_execz .LBB232_840
; %bb.835:
	s_mov_b32 s4, 0x387fffff
	v_cmp_lt_u32_e64 s[4:5], s4, v0
                                        ; implicit-def: $vgpr6
	s_and_saveexec_b64 s[24:25], s[4:5]
	s_xor_b64 s[4:5], exec, s[24:25]
; %bb.836:
	v_bfe_u32 v1, v0, 21, 1
	s_mov_b32 s24, 0x80fffff
	v_add3_u32 v0, v0, v1, s24
	v_lshrrev_b32_e32 v6, 21, v0
                                        ; implicit-def: $vgpr0
; %bb.837:
	s_andn2_saveexec_b64 s[4:5], s[4:5]
; %bb.838:
	v_add_f32_e32 v6, 0x43000000, v0
; %bb.839:
	s_or_b64 exec, exec, s[4:5]
                                        ; implicit-def: $vgpr0
.LBB232_840:
	s_andn2_saveexec_b64 s[22:23], s[22:23]
; %bb.841:
	s_mov_b32 s4, 0x7f800000
	v_mov_b32_e32 v1, 0x7c
	v_mov_b32_e32 v6, 0x7f
	v_cmp_lt_u32_e64 s[4:5], s4, v0
	v_cndmask_b32_e64 v6, v1, v6, s[4:5]
; %bb.842:
	s_or_b64 exec, exec, s[22:23]
.LBB232_843:
	s_or_b64 exec, exec, s[20:21]
.LBB232_844:
	s_or_b64 exec, exec, s[18:19]
.LBB232_845:
	s_or_b64 exec, exec, s[16:17]
	s_or_b64 s[8:9], s[8:9], exec
.LBB232_846:
	s_or_b64 exec, exec, s[6:7]
	s_mov_b64 s[4:5], 0
	s_mov_b64 s[20:21], 0
                                        ; implicit-def: $sgpr6_sgpr7
                                        ; implicit-def: $vgpr0_vgpr1
                                        ; implicit-def: $vgpr21
	s_and_saveexec_b64 s[16:17], s[8:9]
	s_cbranch_execz .LBB232_2050
; %bb.847:
	v_lshlrev_b32_e32 v19, 7, v8
	v_add_u32_e32 v20, v15, v19
	v_ashrrev_i32_e32 v1, 31, v20
	v_add_co_u32_e64 v0, s[4:5], v13, v20
	v_addc_co_u32_e64 v1, s[4:5], v14, v1, s[4:5]
	v_cmp_lt_i16_e64 s[4:5], 10, v10
	s_mov_b64 s[8:9], 0
	s_mov_b64 s[18:19], s[14:15]
                                        ; implicit-def: $vgpr8
	s_and_saveexec_b64 s[6:7], s[4:5]
	s_xor_b64 s[6:7], exec, s[6:7]
	s_cbranch_execz .LBB232_942
; %bb.848:
	v_cmp_lt_i16_e64 s[4:5], 25, v10
	s_mov_b64 s[22:23], 0
                                        ; implicit-def: $vgpr8
	s_and_saveexec_b64 s[18:19], s[4:5]
	s_xor_b64 s[18:19], exec, s[18:19]
	s_cbranch_execz .LBB232_2324
; %bb.849:
	v_cmp_lt_i16_e64 s[4:5], 28, v10
	;; [unrolled: 7-line block ×3, first 2 shown]
	s_mov_b64 s[26:27], 0
	s_mov_b64 s[28:29], 0
                                        ; implicit-def: $vgpr8
	s_and_saveexec_b64 s[22:23], s[4:5]
	s_xor_b64 s[22:23], exec, s[22:23]
	s_cbranch_execz .LBB232_876
; %bb.851:
	v_cmp_lt_i16_e64 s[4:5], 45, v10
                                        ; implicit-def: $vgpr8
	s_and_saveexec_b64 s[28:29], s[4:5]
	s_xor_b64 s[28:29], exec, s[28:29]
	s_cbranch_execz .LBB232_863
; %bb.852:
	v_cmp_eq_u16_e64 s[4:5], 46, v10
	s_mov_b64 s[30:31], -1
                                        ; implicit-def: $vgpr8
	s_and_saveexec_b64 s[24:25], s[4:5]
	s_cbranch_execz .LBB232_862
; %bb.853:
	flat_load_dword v8, v[0:1]
	s_mov_b32 s4, 0x47800000
                                        ; implicit-def: $vgpr15
	s_waitcnt vmcnt(0) lgkmcnt(0)
	v_lshlrev_b32_e32 v8, 16, v8
	v_and_b32_e32 v21, 0x7fffffff, v8
	v_cmp_gt_u32_e64 s[4:5], s4, v21
	s_and_saveexec_b64 s[26:27], s[4:5]
	s_xor_b64 s[26:27], exec, s[26:27]
	s_cbranch_execz .LBB232_859
; %bb.854:
	s_mov_b32 s4, 0x387fffff
	v_cmp_lt_u32_e64 s[4:5], s4, v21
                                        ; implicit-def: $vgpr15
	s_and_saveexec_b64 s[30:31], s[4:5]
	s_xor_b64 s[4:5], exec, s[30:31]
; %bb.855:
	v_bfe_u32 v15, v8, 21, 1
	s_mov_b32 s30, 0x80fffff
	v_add3_u32 v15, v8, v15, s30
	v_lshrrev_b32_e32 v15, 21, v15
; %bb.856:
	s_andn2_saveexec_b64 s[4:5], s[4:5]
; %bb.857:
	s_mov_b32 s30, 0x43000000
	v_add_f32_e64 v15, |v8|, s30
; %bb.858:
	s_or_b64 exec, exec, s[4:5]
                                        ; implicit-def: $vgpr21
.LBB232_859:
	s_andn2_saveexec_b64 s[26:27], s[26:27]
; %bb.860:
	s_mov_b32 s4, 0x7f800000
	v_mov_b32_e32 v15, 0x7c
	v_mov_b32_e32 v22, 0x7f
	v_cmp_lt_u32_e64 s[4:5], s4, v21
	v_cndmask_b32_e64 v15, v15, v22, s[4:5]
; %bb.861:
	s_or_b64 exec, exec, s[26:27]
	v_lshrrev_b32_e32 v8, 24, v8
	s_movk_i32 s4, 0x80
	s_mov_b64 s[26:27], exec
	v_and_or_b32 v8, v8, s4, v15
	s_xor_b64 s[30:31], exec, -1
.LBB232_862:
	s_or_b64 exec, exec, s[24:25]
	s_and_b64 s[26:27], s[26:27], exec
	s_and_b64 s[24:25], s[30:31], exec
.LBB232_863:
	s_andn2_saveexec_b64 s[28:29], s[28:29]
	s_cbranch_execz .LBB232_875
; %bb.864:
	v_cmp_eq_u16_e64 s[4:5], 44, v10
	s_mov_b64 s[38:39], -1
	s_mov_b64 s[40:41], s[26:27]
                                        ; implicit-def: $vgpr8
	s_and_saveexec_b64 s[30:31], s[4:5]
	s_cbranch_execz .LBB232_874
; %bb.865:
	flat_load_ubyte v8, v[0:1]
	s_movk_i32 s4, 0xff
	v_mov_b32_e32 v15, 0x7f800001
	v_mov_b32_e32 v21, 0x400000
	s_waitcnt vmcnt(0) lgkmcnt(0)
	v_lshlrev_b32_e32 v22, 23, v8
	v_cmp_ne_u32_e64 s[4:5], s4, v8
	v_cndmask_b32_e64 v15, v15, v22, s[4:5]
	v_cmp_ne_u32_e64 s[4:5], 0, v8
	v_cndmask_b32_e64 v15, v21, v15, s[4:5]
	s_mov_b32 s4, 0x47800000
	v_cmp_gt_u32_e64 s[4:5], s4, v15
                                        ; implicit-def: $vgpr8
	s_and_saveexec_b64 s[38:39], s[4:5]
	s_xor_b64 s[38:39], exec, s[38:39]
	s_cbranch_execz .LBB232_871
; %bb.866:
	s_mov_b32 s4, 0x387fffff
	v_cmp_lt_u32_e64 s[4:5], s4, v15
                                        ; implicit-def: $vgpr8
	s_and_saveexec_b64 s[40:41], s[4:5]
	s_xor_b64 s[4:5], exec, s[40:41]
; %bb.867:
	v_bfe_u32 v8, v15, 21, 1
	s_mov_b32 s33, 0x80fffff
	v_add3_u32 v8, v15, v8, s33
	v_lshrrev_b32_e32 v8, 21, v8
                                        ; implicit-def: $vgpr15
; %bb.868:
	s_andn2_saveexec_b64 s[4:5], s[4:5]
; %bb.869:
	v_add_f32_e32 v8, 0x43000000, v15
; %bb.870:
	s_or_b64 exec, exec, s[4:5]
                                        ; implicit-def: $vgpr15
.LBB232_871:
	s_andn2_saveexec_b64 s[38:39], s[38:39]
; %bb.872:
	s_mov_b32 s4, 0x7f800000
	v_mov_b32_e32 v8, 0x7c
	v_mov_b32_e32 v21, 0x7f
	v_cmp_lt_u32_e64 s[4:5], s4, v15
	v_cndmask_b32_e64 v8, v8, v21, s[4:5]
; %bb.873:
	s_or_b64 exec, exec, s[38:39]
	s_or_b64 s[40:41], s[26:27], exec
	s_xor_b64 s[38:39], exec, -1
.LBB232_874:
	s_or_b64 exec, exec, s[30:31]
	s_andn2_b64 s[4:5], s[26:27], exec
	s_and_b64 s[26:27], s[40:41], exec
	s_or_b64 s[26:27], s[4:5], s[26:27]
	s_andn2_b64 s[4:5], s[24:25], exec
	s_and_b64 s[24:25], s[38:39], exec
	s_or_b64 s[24:25], s[4:5], s[24:25]
.LBB232_875:
	s_or_b64 exec, exec, s[28:29]
	s_and_b64 s[28:29], s[26:27], exec
	s_and_b64 s[26:27], s[24:25], exec
.LBB232_876:
	s_andn2_saveexec_b64 s[22:23], s[22:23]
	s_cbranch_execz .LBB232_888
; %bb.877:
	v_cmp_eq_u16_e64 s[4:5], 29, v10
	s_mov_b64 s[30:31], -1
	s_mov_b64 s[38:39], s[28:29]
                                        ; implicit-def: $vgpr8
	s_and_saveexec_b64 s[24:25], s[4:5]
	s_cbranch_execz .LBB232_887
; %bb.878:
	flat_load_dwordx2 v[21:22], v[0:1]
	s_mov_b32 s4, 0x47800000
	s_waitcnt vmcnt(0) lgkmcnt(0)
	v_ffbh_u32_e32 v8, v22
	v_min_u32_e32 v8, 32, v8
	v_lshlrev_b64 v[21:22], v8, v[21:22]
	v_sub_u32_e32 v8, 32, v8
	v_min_u32_e32 v15, 1, v21
	v_or_b32_e32 v15, v22, v15
	v_cvt_f32_u32_e32 v15, v15
	v_ldexp_f32 v15, v15, v8
	v_cmp_gt_u32_e64 s[4:5], s4, v15
                                        ; implicit-def: $vgpr8
	s_and_saveexec_b64 s[30:31], s[4:5]
	s_xor_b64 s[30:31], exec, s[30:31]
	s_cbranch_execz .LBB232_884
; %bb.879:
	s_mov_b32 s4, 0x387fffff
	v_cmp_lt_u32_e64 s[4:5], s4, v15
                                        ; implicit-def: $vgpr8
	s_and_saveexec_b64 s[38:39], s[4:5]
	s_xor_b64 s[4:5], exec, s[38:39]
; %bb.880:
	v_bfe_u32 v8, v15, 21, 1
	s_mov_b32 s33, 0x80fffff
	v_add3_u32 v8, v15, v8, s33
	v_lshrrev_b32_e32 v8, 21, v8
                                        ; implicit-def: $vgpr15
; %bb.881:
	s_andn2_saveexec_b64 s[4:5], s[4:5]
; %bb.882:
	v_add_f32_e32 v8, 0x43000000, v15
; %bb.883:
	s_or_b64 exec, exec, s[4:5]
                                        ; implicit-def: $vgpr15
.LBB232_884:
	s_andn2_saveexec_b64 s[30:31], s[30:31]
; %bb.885:
	s_mov_b32 s4, 0x7f800000
	v_mov_b32_e32 v8, 0x7c
	v_mov_b32_e32 v21, 0x7f
	v_cmp_lt_u32_e64 s[4:5], s4, v15
	v_cndmask_b32_e64 v8, v8, v21, s[4:5]
; %bb.886:
	s_or_b64 exec, exec, s[30:31]
	s_or_b64 s[38:39], s[28:29], exec
	s_xor_b64 s[30:31], exec, -1
.LBB232_887:
	s_or_b64 exec, exec, s[24:25]
	s_andn2_b64 s[4:5], s[28:29], exec
	s_and_b64 s[24:25], s[38:39], exec
	s_or_b64 s[28:29], s[4:5], s[24:25]
	s_andn2_b64 s[4:5], s[26:27], exec
	s_and_b64 s[24:25], s[30:31], exec
	s_or_b64 s[26:27], s[4:5], s[24:25]
.LBB232_888:
	s_or_b64 exec, exec, s[22:23]
	s_and_b64 s[24:25], s[28:29], exec
	s_and_b64 s[22:23], s[26:27], exec
.LBB232_889:
	s_andn2_saveexec_b64 s[20:21], s[20:21]
	s_cbranch_execz .LBB232_929
; %bb.890:
	v_cmp_lt_i16_e64 s[4:5], 26, v10
                                        ; implicit-def: $vgpr8
	s_and_saveexec_b64 s[26:27], s[4:5]
	s_xor_b64 s[26:27], exec, s[26:27]
	s_cbranch_execz .LBB232_912
; %bb.891:
	v_cmp_lt_i16_e64 s[4:5], 27, v10
                                        ; implicit-def: $vgpr8
	s_and_saveexec_b64 s[28:29], s[4:5]
	s_xor_b64 s[28:29], exec, s[28:29]
	s_cbranch_execz .LBB232_901
; %bb.892:
	flat_load_dword v8, v[0:1]
	s_mov_b32 s4, 0x47800000
	s_waitcnt vmcnt(0) lgkmcnt(0)
	v_cvt_f32_u32_e32 v15, v8
                                        ; implicit-def: $vgpr8
	v_cmp_gt_u32_e64 s[4:5], s4, v15
	s_and_saveexec_b64 s[30:31], s[4:5]
	s_xor_b64 s[30:31], exec, s[30:31]
	s_cbranch_execz .LBB232_898
; %bb.893:
	s_mov_b32 s4, 0x387fffff
	v_cmp_lt_u32_e64 s[4:5], s4, v15
                                        ; implicit-def: $vgpr8
	s_and_saveexec_b64 s[38:39], s[4:5]
	s_xor_b64 s[4:5], exec, s[38:39]
; %bb.894:
	v_bfe_u32 v8, v15, 21, 1
	s_mov_b32 s33, 0x80fffff
	v_add3_u32 v8, v15, v8, s33
	v_lshrrev_b32_e32 v8, 21, v8
                                        ; implicit-def: $vgpr15
; %bb.895:
	s_andn2_saveexec_b64 s[4:5], s[4:5]
; %bb.896:
	v_add_f32_e32 v8, 0x43000000, v15
; %bb.897:
	s_or_b64 exec, exec, s[4:5]
                                        ; implicit-def: $vgpr15
.LBB232_898:
	s_andn2_saveexec_b64 s[30:31], s[30:31]
; %bb.899:
	s_mov_b32 s4, 0x7f800000
	v_mov_b32_e32 v8, 0x7c
	v_mov_b32_e32 v21, 0x7f
	v_cmp_lt_u32_e64 s[4:5], s4, v15
	v_cndmask_b32_e64 v8, v8, v21, s[4:5]
; %bb.900:
	s_or_b64 exec, exec, s[30:31]
.LBB232_901:
	s_andn2_saveexec_b64 s[28:29], s[28:29]
	s_cbranch_execz .LBB232_911
; %bb.902:
	flat_load_ushort v8, v[0:1]
	s_mov_b32 s4, 0x47800000
	s_waitcnt vmcnt(0) lgkmcnt(0)
	v_cvt_f32_u32_e32 v15, v8
                                        ; implicit-def: $vgpr8
	v_cmp_gt_u32_e64 s[4:5], s4, v15
	s_and_saveexec_b64 s[30:31], s[4:5]
	s_xor_b64 s[30:31], exec, s[30:31]
	s_cbranch_execz .LBB232_908
; %bb.903:
	s_mov_b32 s4, 0x387fffff
	v_cmp_lt_u32_e64 s[4:5], s4, v15
                                        ; implicit-def: $vgpr8
	s_and_saveexec_b64 s[38:39], s[4:5]
	s_xor_b64 s[4:5], exec, s[38:39]
; %bb.904:
	v_bfe_u32 v8, v15, 21, 1
	s_mov_b32 s33, 0x80fffff
	v_add3_u32 v8, v15, v8, s33
	v_lshrrev_b32_e32 v8, 21, v8
                                        ; implicit-def: $vgpr15
; %bb.905:
	s_andn2_saveexec_b64 s[4:5], s[4:5]
; %bb.906:
	v_add_f32_e32 v8, 0x43000000, v15
; %bb.907:
	s_or_b64 exec, exec, s[4:5]
                                        ; implicit-def: $vgpr15
.LBB232_908:
	s_andn2_saveexec_b64 s[30:31], s[30:31]
; %bb.909:
	s_mov_b32 s4, 0x7f800000
	v_mov_b32_e32 v8, 0x7c
	v_mov_b32_e32 v21, 0x7f
	v_cmp_lt_u32_e64 s[4:5], s4, v15
	v_cndmask_b32_e64 v8, v8, v21, s[4:5]
; %bb.910:
	s_or_b64 exec, exec, s[30:31]
.LBB232_911:
	s_or_b64 exec, exec, s[28:29]
.LBB232_912:
	s_andn2_saveexec_b64 s[26:27], s[26:27]
	s_cbranch_execz .LBB232_928
; %bb.913:
	flat_load_ubyte v15, v[0:1]
	s_movk_i32 s4, 0x7f
	s_mov_b64 s[28:29], 0
	s_waitcnt vmcnt(0) lgkmcnt(0)
	v_cmp_lt_i16_e64 s[4:5], s4, v15
	s_and_saveexec_b64 s[30:31], s[4:5]
	s_xor_b64 s[30:31], exec, s[30:31]
	s_cbranch_execz .LBB232_2485
; %bb.914:
	s_movk_i32 s4, 0x80
	v_cmp_eq_u16_e64 s[4:5], s4, v15
	s_mov_b64 s[28:29], -1
	s_and_saveexec_b64 s[38:39], s[4:5]
; %bb.915:
	s_xor_b64 s[28:29], exec, -1
; %bb.916:
	s_or_b64 exec, exec, s[38:39]
	s_and_b64 s[28:29], s[28:29], exec
	s_or_saveexec_b64 s[30:31], s[30:31]
	v_mov_b32_e32 v8, 0x7f800001
	s_xor_b64 exec, exec, s[30:31]
	s_cbranch_execnz .LBB232_2486
.LBB232_917:
	s_or_b64 exec, exec, s[30:31]
	s_and_saveexec_b64 s[30:31], s[28:29]
	s_cbranch_execz .LBB232_919
.LBB232_918:
	v_lshlrev_b32_e32 v8, 24, v15
	v_and_b32_e32 v15, 0xffff, v15
	v_and_b32_e32 v21, 7, v15
	v_ffbh_u32_e32 v23, v21
	v_min_u32_e32 v23, 32, v23
	v_subrev_u32_e32 v24, 28, v23
	v_bfe_u32 v22, v15, 3, 4
	v_lshlrev_b32_e32 v15, v24, v15
	v_sub_u32_e32 v23, 29, v23
	v_and_b32_e32 v15, 7, v15
	v_cmp_eq_u32_e64 s[4:5], 0, v22
	v_cndmask_b32_e64 v22, v22, v23, s[4:5]
	v_cndmask_b32_e64 v15, v21, v15, s[4:5]
	v_mov_b32_e32 v21, 0x3b800000
	v_lshlrev_b32_e32 v15, 20, v15
	v_and_b32_e32 v8, 0x80000000, v8
	v_lshl_add_u32 v21, v22, 23, v21
	v_or3_b32 v8, v8, v21, v15
.LBB232_919:
	s_or_b64 exec, exec, s[30:31]
	v_and_b32_e32 v21, 0x7fffffff, v8
	s_mov_b32 s4, 0x47800000
	v_cmp_gt_u32_e64 s[4:5], s4, v21
                                        ; implicit-def: $vgpr15
	s_and_saveexec_b64 s[28:29], s[4:5]
	s_xor_b64 s[28:29], exec, s[28:29]
	s_cbranch_execz .LBB232_925
; %bb.920:
	s_mov_b32 s4, 0x387fffff
	v_cmp_lt_u32_e64 s[4:5], s4, v21
                                        ; implicit-def: $vgpr15
	s_and_saveexec_b64 s[30:31], s[4:5]
	s_xor_b64 s[4:5], exec, s[30:31]
; %bb.921:
	v_bfe_u32 v15, v8, 21, 1
	s_mov_b32 s30, 0x80fffff
	v_add3_u32 v15, v8, v15, s30
	v_lshrrev_b32_e32 v15, 21, v15
; %bb.922:
	s_andn2_saveexec_b64 s[4:5], s[4:5]
; %bb.923:
	s_mov_b32 s30, 0x43000000
	v_add_f32_e64 v15, |v8|, s30
; %bb.924:
	s_or_b64 exec, exec, s[4:5]
                                        ; implicit-def: $vgpr21
.LBB232_925:
	s_andn2_saveexec_b64 s[28:29], s[28:29]
; %bb.926:
	s_mov_b32 s4, 0x7f800000
	v_mov_b32_e32 v15, 0x7c
	v_mov_b32_e32 v22, 0x7f
	v_cmp_lt_u32_e64 s[4:5], s4, v21
	v_cndmask_b32_e64 v15, v15, v22, s[4:5]
; %bb.927:
	s_or_b64 exec, exec, s[28:29]
	v_lshrrev_b32_e32 v8, 24, v8
	s_movk_i32 s4, 0x80
	v_and_or_b32 v8, v8, s4, v15
.LBB232_928:
	s_or_b64 exec, exec, s[26:27]
	s_or_b64 s[24:25], s[24:25], exec
.LBB232_929:
	s_or_b64 exec, exec, s[20:21]
	s_and_b64 s[20:21], s[24:25], exec
	s_and_b64 s[22:23], s[22:23], exec
	s_andn2_saveexec_b64 s[18:19], s[18:19]
	s_cbranch_execnz .LBB232_2325
.LBB232_930:
	s_or_b64 exec, exec, s[18:19]
	s_mov_b64 s[18:19], s[14:15]
	s_and_saveexec_b64 s[4:5], s[22:23]
	s_cbranch_execnz .LBB232_2374
.LBB232_931:
	s_or_b64 exec, exec, s[4:5]
	s_and_saveexec_b64 s[22:23], s[8:9]
	s_cbranch_execz .LBB232_941
.LBB232_932:
	flat_load_ubyte v0, v[0:1]
                                        ; implicit-def: $vgpr8
	s_waitcnt vmcnt(0) lgkmcnt(0)
	v_cmp_ne_u16_e64 s[4:5], 0, v0
	v_cndmask_b32_e64 v0, 0, 1.0, s[4:5]
	s_mov_b32 s4, 0x47800000
	v_cmp_gt_u32_e64 s[4:5], s4, v0
	s_and_saveexec_b64 s[8:9], s[4:5]
	s_xor_b64 s[8:9], exec, s[8:9]
	s_cbranch_execz .LBB232_938
; %bb.933:
	s_mov_b32 s4, 0x387fffff
	v_cmp_lt_u32_e64 s[4:5], s4, v0
                                        ; implicit-def: $vgpr8
	s_and_saveexec_b64 s[24:25], s[4:5]
	s_xor_b64 s[4:5], exec, s[24:25]
; %bb.934:
	v_bfe_u32 v1, v0, 21, 1
	s_mov_b32 s24, 0x80fffff
	v_add3_u32 v0, v0, v1, s24
	v_lshrrev_b32_e32 v8, 21, v0
                                        ; implicit-def: $vgpr0
; %bb.935:
	s_andn2_saveexec_b64 s[4:5], s[4:5]
; %bb.936:
	v_add_f32_e32 v8, 0x43000000, v0
; %bb.937:
	s_or_b64 exec, exec, s[4:5]
                                        ; implicit-def: $vgpr0
.LBB232_938:
	s_andn2_saveexec_b64 s[8:9], s[8:9]
; %bb.939:
	s_mov_b32 s4, 0x7f800000
	v_mov_b32_e32 v1, 0x7c
	v_mov_b32_e32 v8, 0x7f
	v_cmp_lt_u32_e64 s[4:5], s4, v0
	v_cndmask_b32_e64 v8, v1, v8, s[4:5]
; %bb.940:
	s_or_b64 exec, exec, s[8:9]
	s_or_b64 s[20:21], s[20:21], exec
.LBB232_941:
	s_or_b64 exec, exec, s[22:23]
	s_andn2_b64 s[4:5], s[14:15], exec
	s_and_b64 s[8:9], s[18:19], exec
	s_or_b64 s[18:19], s[4:5], s[8:9]
	s_and_b64 s[8:9], s[20:21], exec
                                        ; implicit-def: $vgpr0_vgpr1
.LBB232_942:
	s_andn2_saveexec_b64 s[6:7], s[6:7]
	s_cbranch_execz .LBB232_1072
; %bb.943:
	v_cmp_lt_i16_e64 s[4:5], 4, v10
                                        ; implicit-def: $vgpr8
	s_and_saveexec_b64 s[20:21], s[4:5]
	s_xor_b64 s[20:21], exec, s[20:21]
	s_cbranch_execz .LBB232_1013
; %bb.944:
	v_cmp_lt_i16_e64 s[4:5], 7, v10
                                        ; implicit-def: $vgpr8
	s_and_saveexec_b64 s[22:23], s[4:5]
	s_xor_b64 s[22:23], exec, s[22:23]
	;; [unrolled: 6-line block ×4, first 2 shown]
	s_cbranch_execz .LBB232_956
; %bb.947:
	flat_load_dwordx2 v[0:1], v[0:1]
	s_mov_b32 s4, 0x47800000
	s_waitcnt vmcnt(0) lgkmcnt(0)
	v_cvt_f32_f64_e32 v0, v[0:1]
                                        ; implicit-def: $vgpr1
	v_and_b32_e32 v8, 0x7fffffff, v0
	v_cmp_gt_u32_e64 s[4:5], s4, v8
	s_and_saveexec_b64 s[28:29], s[4:5]
	s_xor_b64 s[28:29], exec, s[28:29]
	s_cbranch_execz .LBB232_953
; %bb.948:
	s_mov_b32 s4, 0x387fffff
	v_cmp_lt_u32_e64 s[4:5], s4, v8
                                        ; implicit-def: $vgpr1
	s_and_saveexec_b64 s[30:31], s[4:5]
	s_xor_b64 s[4:5], exec, s[30:31]
; %bb.949:
	v_bfe_u32 v1, v0, 21, 1
	s_mov_b32 s30, 0x80fffff
	v_add3_u32 v1, v0, v1, s30
	v_lshrrev_b32_e32 v1, 21, v1
; %bb.950:
	s_andn2_saveexec_b64 s[4:5], s[4:5]
; %bb.951:
	s_mov_b32 s30, 0x43000000
	v_add_f32_e64 v1, |v0|, s30
; %bb.952:
	s_or_b64 exec, exec, s[4:5]
                                        ; implicit-def: $vgpr8
.LBB232_953:
	s_andn2_saveexec_b64 s[28:29], s[28:29]
; %bb.954:
	s_mov_b32 s4, 0x7f800000
	v_mov_b32_e32 v1, 0x7c
	v_mov_b32_e32 v15, 0x7f
	v_cmp_lt_u32_e64 s[4:5], s4, v8
	v_cndmask_b32_e64 v1, v1, v15, s[4:5]
; %bb.955:
	s_or_b64 exec, exec, s[28:29]
	v_lshrrev_b32_e32 v0, 24, v0
	s_movk_i32 s4, 0x80
	v_and_or_b32 v8, v0, s4, v1
                                        ; implicit-def: $vgpr0_vgpr1
.LBB232_956:
	s_andn2_saveexec_b64 s[26:27], s[26:27]
	s_cbranch_execz .LBB232_966
; %bb.957:
	flat_load_dword v0, v[0:1]
	s_mov_b32 s4, 0x47800000
                                        ; implicit-def: $vgpr1
	s_waitcnt vmcnt(0) lgkmcnt(0)
	v_and_b32_e32 v8, 0x7fffffff, v0
	v_cmp_gt_u32_e64 s[4:5], s4, v8
	s_and_saveexec_b64 s[28:29], s[4:5]
	s_xor_b64 s[28:29], exec, s[28:29]
	s_cbranch_execz .LBB232_963
; %bb.958:
	s_mov_b32 s4, 0x387fffff
	v_cmp_lt_u32_e64 s[4:5], s4, v8
                                        ; implicit-def: $vgpr1
	s_and_saveexec_b64 s[30:31], s[4:5]
	s_xor_b64 s[4:5], exec, s[30:31]
; %bb.959:
	v_bfe_u32 v1, v0, 21, 1
	s_mov_b32 s30, 0x80fffff
	v_add3_u32 v1, v0, v1, s30
	v_lshrrev_b32_e32 v1, 21, v1
; %bb.960:
	s_andn2_saveexec_b64 s[4:5], s[4:5]
; %bb.961:
	s_mov_b32 s30, 0x43000000
	v_add_f32_e64 v1, |v0|, s30
; %bb.962:
	s_or_b64 exec, exec, s[4:5]
                                        ; implicit-def: $vgpr8
.LBB232_963:
	s_andn2_saveexec_b64 s[28:29], s[28:29]
; %bb.964:
	s_mov_b32 s4, 0x7f800000
	v_mov_b32_e32 v1, 0x7c
	v_mov_b32_e32 v15, 0x7f
	v_cmp_lt_u32_e64 s[4:5], s4, v8
	v_cndmask_b32_e64 v1, v1, v15, s[4:5]
; %bb.965:
	s_or_b64 exec, exec, s[28:29]
	v_lshrrev_b32_e32 v0, 24, v0
	s_movk_i32 s4, 0x80
	v_and_or_b32 v8, v0, s4, v1
.LBB232_966:
	s_or_b64 exec, exec, s[26:27]
                                        ; implicit-def: $vgpr0_vgpr1
.LBB232_967:
	s_andn2_saveexec_b64 s[24:25], s[24:25]
	s_cbranch_execz .LBB232_977
; %bb.968:
	flat_load_dword v0, v[0:1]
	s_mov_b32 s4, 0x47800000
                                        ; implicit-def: $vgpr1
	s_waitcnt vmcnt(0) lgkmcnt(0)
	v_cvt_f32_f16_e32 v0, v0
	v_and_b32_e32 v8, 0x7fffffff, v0
	v_cmp_gt_u32_e64 s[4:5], s4, v8
	s_and_saveexec_b64 s[26:27], s[4:5]
	s_xor_b64 s[26:27], exec, s[26:27]
	s_cbranch_execz .LBB232_974
; %bb.969:
	s_mov_b32 s4, 0x387fffff
	v_cmp_lt_u32_e64 s[4:5], s4, v8
                                        ; implicit-def: $vgpr1
	s_and_saveexec_b64 s[28:29], s[4:5]
	s_xor_b64 s[4:5], exec, s[28:29]
; %bb.970:
	v_bfe_u32 v1, v0, 21, 1
	s_mov_b32 s28, 0x80fffff
	v_add3_u32 v1, v0, v1, s28
	v_lshrrev_b32_e32 v1, 21, v1
; %bb.971:
	s_andn2_saveexec_b64 s[4:5], s[4:5]
; %bb.972:
	s_mov_b32 s28, 0x43000000
	v_add_f32_e64 v1, |v0|, s28
; %bb.973:
	s_or_b64 exec, exec, s[4:5]
                                        ; implicit-def: $vgpr8
.LBB232_974:
	s_andn2_saveexec_b64 s[26:27], s[26:27]
; %bb.975:
	s_mov_b32 s4, 0x7f800000
	v_mov_b32_e32 v1, 0x7c
	v_mov_b32_e32 v15, 0x7f
	v_cmp_lt_u32_e64 s[4:5], s4, v8
	v_cndmask_b32_e64 v1, v1, v15, s[4:5]
; %bb.976:
	s_or_b64 exec, exec, s[26:27]
	v_lshrrev_b32_e32 v0, 24, v0
	s_movk_i32 s4, 0x80
	v_and_or_b32 v8, v0, s4, v1
.LBB232_977:
	s_or_b64 exec, exec, s[24:25]
                                        ; implicit-def: $vgpr0_vgpr1
.LBB232_978:
	s_andn2_saveexec_b64 s[22:23], s[22:23]
	s_cbranch_execz .LBB232_1012
; %bb.979:
	v_cmp_lt_i16_e64 s[4:5], 5, v10
                                        ; implicit-def: $vgpr8
	s_and_saveexec_b64 s[24:25], s[4:5]
	s_xor_b64 s[24:25], exec, s[24:25]
	s_cbranch_execz .LBB232_1001
; %bb.980:
	v_cmp_lt_i16_e64 s[4:5], 6, v10
                                        ; implicit-def: $vgpr8
	s_and_saveexec_b64 s[26:27], s[4:5]
	s_xor_b64 s[26:27], exec, s[26:27]
	s_cbranch_execz .LBB232_990
; %bb.981:
	flat_load_dwordx2 v[0:1], v[0:1]
	s_mov_b32 s4, 0x47800000
	s_waitcnt vmcnt(0) lgkmcnt(0)
	v_cvt_f32_f64_e32 v0, v[0:1]
                                        ; implicit-def: $vgpr1
	v_and_b32_e32 v8, 0x7fffffff, v0
	v_cmp_gt_u32_e64 s[4:5], s4, v8
	s_and_saveexec_b64 s[28:29], s[4:5]
	s_xor_b64 s[28:29], exec, s[28:29]
	s_cbranch_execz .LBB232_987
; %bb.982:
	s_mov_b32 s4, 0x387fffff
	v_cmp_lt_u32_e64 s[4:5], s4, v8
                                        ; implicit-def: $vgpr1
	s_and_saveexec_b64 s[30:31], s[4:5]
	s_xor_b64 s[4:5], exec, s[30:31]
; %bb.983:
	v_bfe_u32 v1, v0, 21, 1
	s_mov_b32 s30, 0x80fffff
	v_add3_u32 v1, v0, v1, s30
	v_lshrrev_b32_e32 v1, 21, v1
; %bb.984:
	s_andn2_saveexec_b64 s[4:5], s[4:5]
; %bb.985:
	s_mov_b32 s30, 0x43000000
	v_add_f32_e64 v1, |v0|, s30
; %bb.986:
	s_or_b64 exec, exec, s[4:5]
                                        ; implicit-def: $vgpr8
.LBB232_987:
	s_andn2_saveexec_b64 s[28:29], s[28:29]
; %bb.988:
	s_mov_b32 s4, 0x7f800000
	v_mov_b32_e32 v1, 0x7c
	v_mov_b32_e32 v15, 0x7f
	v_cmp_lt_u32_e64 s[4:5], s4, v8
	v_cndmask_b32_e64 v1, v1, v15, s[4:5]
; %bb.989:
	s_or_b64 exec, exec, s[28:29]
	v_lshrrev_b32_e32 v0, 24, v0
	s_movk_i32 s4, 0x80
	v_and_or_b32 v8, v0, s4, v1
                                        ; implicit-def: $vgpr0_vgpr1
.LBB232_990:
	s_andn2_saveexec_b64 s[26:27], s[26:27]
	s_cbranch_execz .LBB232_1000
; %bb.991:
	flat_load_dword v0, v[0:1]
	s_mov_b32 s4, 0x47800000
                                        ; implicit-def: $vgpr1
	s_waitcnt vmcnt(0) lgkmcnt(0)
	v_and_b32_e32 v8, 0x7fffffff, v0
	v_cmp_gt_u32_e64 s[4:5], s4, v8
	s_and_saveexec_b64 s[28:29], s[4:5]
	s_xor_b64 s[28:29], exec, s[28:29]
	s_cbranch_execz .LBB232_997
; %bb.992:
	s_mov_b32 s4, 0x387fffff
	v_cmp_lt_u32_e64 s[4:5], s4, v8
                                        ; implicit-def: $vgpr1
	s_and_saveexec_b64 s[30:31], s[4:5]
	s_xor_b64 s[4:5], exec, s[30:31]
; %bb.993:
	v_bfe_u32 v1, v0, 21, 1
	s_mov_b32 s30, 0x80fffff
	v_add3_u32 v1, v0, v1, s30
	v_lshrrev_b32_e32 v1, 21, v1
; %bb.994:
	s_andn2_saveexec_b64 s[4:5], s[4:5]
; %bb.995:
	s_mov_b32 s30, 0x43000000
	v_add_f32_e64 v1, |v0|, s30
; %bb.996:
	s_or_b64 exec, exec, s[4:5]
                                        ; implicit-def: $vgpr8
.LBB232_997:
	s_andn2_saveexec_b64 s[28:29], s[28:29]
; %bb.998:
	s_mov_b32 s4, 0x7f800000
	v_mov_b32_e32 v1, 0x7c
	v_mov_b32_e32 v15, 0x7f
	v_cmp_lt_u32_e64 s[4:5], s4, v8
	v_cndmask_b32_e64 v1, v1, v15, s[4:5]
; %bb.999:
	s_or_b64 exec, exec, s[28:29]
	v_lshrrev_b32_e32 v0, 24, v0
	s_movk_i32 s4, 0x80
	v_and_or_b32 v8, v0, s4, v1
.LBB232_1000:
	s_or_b64 exec, exec, s[26:27]
                                        ; implicit-def: $vgpr0_vgpr1
.LBB232_1001:
	s_andn2_saveexec_b64 s[24:25], s[24:25]
	s_cbranch_execz .LBB232_1011
; %bb.1002:
	flat_load_ushort v0, v[0:1]
	s_mov_b32 s4, 0x47800000
                                        ; implicit-def: $vgpr1
	s_waitcnt vmcnt(0) lgkmcnt(0)
	v_cvt_f32_f16_e32 v0, v0
	v_and_b32_e32 v8, 0x7fffffff, v0
	v_cmp_gt_u32_e64 s[4:5], s4, v8
	s_and_saveexec_b64 s[26:27], s[4:5]
	s_xor_b64 s[26:27], exec, s[26:27]
	s_cbranch_execz .LBB232_1008
; %bb.1003:
	s_mov_b32 s4, 0x387fffff
	v_cmp_lt_u32_e64 s[4:5], s4, v8
                                        ; implicit-def: $vgpr1
	s_and_saveexec_b64 s[28:29], s[4:5]
	s_xor_b64 s[4:5], exec, s[28:29]
; %bb.1004:
	v_bfe_u32 v1, v0, 21, 1
	s_mov_b32 s28, 0x80fffff
	v_add3_u32 v1, v0, v1, s28
	v_lshrrev_b32_e32 v1, 21, v1
; %bb.1005:
	s_andn2_saveexec_b64 s[4:5], s[4:5]
; %bb.1006:
	s_mov_b32 s28, 0x43000000
	v_add_f32_e64 v1, |v0|, s28
; %bb.1007:
	s_or_b64 exec, exec, s[4:5]
                                        ; implicit-def: $vgpr8
.LBB232_1008:
	s_andn2_saveexec_b64 s[26:27], s[26:27]
; %bb.1009:
	s_mov_b32 s4, 0x7f800000
	v_mov_b32_e32 v1, 0x7c
	v_mov_b32_e32 v15, 0x7f
	v_cmp_lt_u32_e64 s[4:5], s4, v8
	v_cndmask_b32_e64 v1, v1, v15, s[4:5]
; %bb.1010:
	s_or_b64 exec, exec, s[26:27]
	v_lshrrev_b32_e32 v0, 24, v0
	s_movk_i32 s4, 0x80
	v_and_or_b32 v8, v0, s4, v1
.LBB232_1011:
	s_or_b64 exec, exec, s[24:25]
.LBB232_1012:
	s_or_b64 exec, exec, s[22:23]
                                        ; implicit-def: $vgpr0_vgpr1
.LBB232_1013:
	s_andn2_saveexec_b64 s[20:21], s[20:21]
	s_cbranch_execz .LBB232_1071
; %bb.1014:
	v_cmp_lt_i16_e64 s[4:5], 1, v10
                                        ; implicit-def: $vgpr8
	s_and_saveexec_b64 s[22:23], s[4:5]
	s_xor_b64 s[22:23], exec, s[22:23]
	s_cbranch_execz .LBB232_1048
; %bb.1015:
	v_cmp_lt_i16_e64 s[4:5], 2, v10
                                        ; implicit-def: $vgpr8
	s_and_saveexec_b64 s[24:25], s[4:5]
	s_xor_b64 s[24:25], exec, s[24:25]
	;; [unrolled: 6-line block ×3, first 2 shown]
	s_cbranch_execz .LBB232_1026
; %bb.1017:
	flat_load_dwordx2 v[0:1], v[0:1]
	s_mov_b32 s4, 0x47800000
	s_waitcnt vmcnt(0) lgkmcnt(0)
	v_xor_b32_e32 v15, v0, v1
	v_ffbh_i32_e32 v8, v1
	v_ashrrev_i32_e32 v15, 31, v15
	v_add_u32_e32 v8, -1, v8
	v_add_u32_e32 v15, 32, v15
	v_min_u32_e32 v8, v8, v15
	v_lshlrev_b64 v[0:1], v8, v[0:1]
	v_min_u32_e32 v0, 1, v0
	v_or_b32_e32 v0, v1, v0
	v_cvt_f32_i32_e32 v0, v0
	v_sub_u32_e32 v1, 32, v8
	v_ldexp_f32 v0, v0, v1
	v_and_b32_e32 v8, 0x7fffffff, v0
	v_cmp_gt_u32_e64 s[4:5], s4, v8
                                        ; implicit-def: $vgpr1
	s_and_saveexec_b64 s[28:29], s[4:5]
	s_xor_b64 s[28:29], exec, s[28:29]
	s_cbranch_execz .LBB232_1023
; %bb.1018:
	s_mov_b32 s4, 0x387fffff
	v_cmp_lt_u32_e64 s[4:5], s4, v8
                                        ; implicit-def: $vgpr1
	s_and_saveexec_b64 s[30:31], s[4:5]
	s_xor_b64 s[4:5], exec, s[30:31]
; %bb.1019:
	v_bfe_u32 v1, v0, 21, 1
	s_mov_b32 s30, 0x80fffff
	v_add3_u32 v1, v0, v1, s30
	v_lshrrev_b32_e32 v1, 21, v1
; %bb.1020:
	s_andn2_saveexec_b64 s[4:5], s[4:5]
; %bb.1021:
	s_mov_b32 s30, 0x43000000
	v_add_f32_e64 v1, |v0|, s30
; %bb.1022:
	s_or_b64 exec, exec, s[4:5]
                                        ; implicit-def: $vgpr8
.LBB232_1023:
	s_andn2_saveexec_b64 s[28:29], s[28:29]
; %bb.1024:
	s_mov_b32 s4, 0x7f800000
	v_mov_b32_e32 v1, 0x7c
	v_mov_b32_e32 v15, 0x7f
	v_cmp_lt_u32_e64 s[4:5], s4, v8
	v_cndmask_b32_e64 v1, v1, v15, s[4:5]
; %bb.1025:
	s_or_b64 exec, exec, s[28:29]
	v_lshrrev_b32_e32 v0, 24, v0
	s_movk_i32 s4, 0x80
	v_and_or_b32 v8, v0, s4, v1
                                        ; implicit-def: $vgpr0_vgpr1
.LBB232_1026:
	s_andn2_saveexec_b64 s[26:27], s[26:27]
	s_cbranch_execz .LBB232_1036
; %bb.1027:
	flat_load_dword v0, v[0:1]
	s_mov_b32 s4, 0x47800000
                                        ; implicit-def: $vgpr1
	s_waitcnt vmcnt(0) lgkmcnt(0)
	v_cvt_f32_i32_e32 v0, v0
	v_and_b32_e32 v8, 0x7fffffff, v0
	v_cmp_gt_u32_e64 s[4:5], s4, v8
	s_and_saveexec_b64 s[28:29], s[4:5]
	s_xor_b64 s[28:29], exec, s[28:29]
	s_cbranch_execz .LBB232_1033
; %bb.1028:
	s_mov_b32 s4, 0x387fffff
	v_cmp_lt_u32_e64 s[4:5], s4, v8
                                        ; implicit-def: $vgpr1
	s_and_saveexec_b64 s[30:31], s[4:5]
	s_xor_b64 s[4:5], exec, s[30:31]
; %bb.1029:
	v_bfe_u32 v1, v0, 21, 1
	s_mov_b32 s30, 0x80fffff
	v_add3_u32 v1, v0, v1, s30
	v_lshrrev_b32_e32 v1, 21, v1
; %bb.1030:
	s_andn2_saveexec_b64 s[4:5], s[4:5]
; %bb.1031:
	s_mov_b32 s30, 0x43000000
	v_add_f32_e64 v1, |v0|, s30
; %bb.1032:
	s_or_b64 exec, exec, s[4:5]
                                        ; implicit-def: $vgpr8
.LBB232_1033:
	s_andn2_saveexec_b64 s[28:29], s[28:29]
; %bb.1034:
	s_mov_b32 s4, 0x7f800000
	v_mov_b32_e32 v1, 0x7c
	v_mov_b32_e32 v15, 0x7f
	v_cmp_lt_u32_e64 s[4:5], s4, v8
	v_cndmask_b32_e64 v1, v1, v15, s[4:5]
; %bb.1035:
	s_or_b64 exec, exec, s[28:29]
	v_lshrrev_b32_e32 v0, 24, v0
	s_movk_i32 s4, 0x80
	v_and_or_b32 v8, v0, s4, v1
.LBB232_1036:
	s_or_b64 exec, exec, s[26:27]
                                        ; implicit-def: $vgpr0_vgpr1
.LBB232_1037:
	s_andn2_saveexec_b64 s[24:25], s[24:25]
	s_cbranch_execz .LBB232_1047
; %bb.1038:
	flat_load_sshort v0, v[0:1]
	s_mov_b32 s4, 0x47800000
                                        ; implicit-def: $vgpr1
	s_waitcnt vmcnt(0) lgkmcnt(0)
	v_cvt_f32_i32_e32 v0, v0
	v_and_b32_e32 v8, 0x7fffffff, v0
	v_cmp_gt_u32_e64 s[4:5], s4, v8
	s_and_saveexec_b64 s[26:27], s[4:5]
	s_xor_b64 s[26:27], exec, s[26:27]
	s_cbranch_execz .LBB232_1044
; %bb.1039:
	s_mov_b32 s4, 0x387fffff
	v_cmp_lt_u32_e64 s[4:5], s4, v8
                                        ; implicit-def: $vgpr1
	s_and_saveexec_b64 s[28:29], s[4:5]
	s_xor_b64 s[4:5], exec, s[28:29]
; %bb.1040:
	v_bfe_u32 v1, v0, 21, 1
	s_mov_b32 s28, 0x80fffff
	v_add3_u32 v1, v0, v1, s28
	v_lshrrev_b32_e32 v1, 21, v1
; %bb.1041:
	s_andn2_saveexec_b64 s[4:5], s[4:5]
; %bb.1042:
	s_mov_b32 s28, 0x43000000
	v_add_f32_e64 v1, |v0|, s28
; %bb.1043:
	s_or_b64 exec, exec, s[4:5]
                                        ; implicit-def: $vgpr8
.LBB232_1044:
	s_andn2_saveexec_b64 s[26:27], s[26:27]
; %bb.1045:
	s_mov_b32 s4, 0x7f800000
	v_mov_b32_e32 v1, 0x7c
	v_mov_b32_e32 v15, 0x7f
	v_cmp_lt_u32_e64 s[4:5], s4, v8
	v_cndmask_b32_e64 v1, v1, v15, s[4:5]
; %bb.1046:
	s_or_b64 exec, exec, s[26:27]
	v_lshrrev_b32_e32 v0, 24, v0
	s_movk_i32 s4, 0x80
	v_and_or_b32 v8, v0, s4, v1
.LBB232_1047:
	s_or_b64 exec, exec, s[24:25]
                                        ; implicit-def: $vgpr0_vgpr1
.LBB232_1048:
	s_andn2_saveexec_b64 s[22:23], s[22:23]
	s_cbranch_execz .LBB232_1070
; %bb.1049:
	v_cmp_lt_i16_e64 s[4:5], 0, v10
                                        ; implicit-def: $vgpr8
	s_and_saveexec_b64 s[24:25], s[4:5]
	s_xor_b64 s[24:25], exec, s[24:25]
	s_cbranch_execz .LBB232_1059
; %bb.1050:
	flat_load_sbyte v0, v[0:1]
	s_mov_b32 s4, 0x47800000
                                        ; implicit-def: $vgpr1
	s_waitcnt vmcnt(0) lgkmcnt(0)
	v_cvt_f32_i32_e32 v0, v0
	v_and_b32_e32 v8, 0x7fffffff, v0
	v_cmp_gt_u32_e64 s[4:5], s4, v8
	s_and_saveexec_b64 s[26:27], s[4:5]
	s_xor_b64 s[26:27], exec, s[26:27]
	s_cbranch_execz .LBB232_1056
; %bb.1051:
	s_mov_b32 s4, 0x387fffff
	v_cmp_lt_u32_e64 s[4:5], s4, v8
                                        ; implicit-def: $vgpr1
	s_and_saveexec_b64 s[28:29], s[4:5]
	s_xor_b64 s[4:5], exec, s[28:29]
; %bb.1052:
	v_bfe_u32 v1, v0, 21, 1
	s_mov_b32 s28, 0x80fffff
	v_add3_u32 v1, v0, v1, s28
	v_lshrrev_b32_e32 v1, 21, v1
; %bb.1053:
	s_andn2_saveexec_b64 s[4:5], s[4:5]
; %bb.1054:
	s_mov_b32 s28, 0x43000000
	v_add_f32_e64 v1, |v0|, s28
; %bb.1055:
	s_or_b64 exec, exec, s[4:5]
                                        ; implicit-def: $vgpr8
.LBB232_1056:
	s_andn2_saveexec_b64 s[26:27], s[26:27]
; %bb.1057:
	s_mov_b32 s4, 0x7f800000
	v_mov_b32_e32 v1, 0x7c
	v_mov_b32_e32 v15, 0x7f
	v_cmp_lt_u32_e64 s[4:5], s4, v8
	v_cndmask_b32_e64 v1, v1, v15, s[4:5]
; %bb.1058:
	s_or_b64 exec, exec, s[26:27]
	v_lshrrev_b32_e32 v0, 24, v0
	s_movk_i32 s4, 0x80
	v_and_or_b32 v8, v0, s4, v1
                                        ; implicit-def: $vgpr0_vgpr1
.LBB232_1059:
	s_andn2_saveexec_b64 s[24:25], s[24:25]
	s_cbranch_execz .LBB232_1069
; %bb.1060:
	flat_load_ubyte v0, v[0:1]
	s_mov_b32 s4, 0x47800000
                                        ; implicit-def: $vgpr8
	s_waitcnt vmcnt(0) lgkmcnt(0)
	v_cvt_f32_ubyte0_e32 v0, v0
	v_cmp_gt_u32_e64 s[4:5], s4, v0
	s_and_saveexec_b64 s[26:27], s[4:5]
	s_xor_b64 s[26:27], exec, s[26:27]
	s_cbranch_execz .LBB232_1066
; %bb.1061:
	s_mov_b32 s4, 0x387fffff
	v_cmp_lt_u32_e64 s[4:5], s4, v0
                                        ; implicit-def: $vgpr8
	s_and_saveexec_b64 s[28:29], s[4:5]
	s_xor_b64 s[4:5], exec, s[28:29]
; %bb.1062:
	v_bfe_u32 v1, v0, 21, 1
	s_mov_b32 s28, 0x80fffff
	v_add3_u32 v0, v0, v1, s28
	v_lshrrev_b32_e32 v8, 21, v0
                                        ; implicit-def: $vgpr0
; %bb.1063:
	s_andn2_saveexec_b64 s[4:5], s[4:5]
; %bb.1064:
	v_add_f32_e32 v8, 0x43000000, v0
; %bb.1065:
	s_or_b64 exec, exec, s[4:5]
                                        ; implicit-def: $vgpr0
.LBB232_1066:
	s_andn2_saveexec_b64 s[26:27], s[26:27]
; %bb.1067:
	s_mov_b32 s4, 0x7f800000
	v_mov_b32_e32 v1, 0x7c
	v_mov_b32_e32 v8, 0x7f
	v_cmp_lt_u32_e64 s[4:5], s4, v0
	v_cndmask_b32_e64 v8, v1, v8, s[4:5]
; %bb.1068:
	s_or_b64 exec, exec, s[26:27]
.LBB232_1069:
	s_or_b64 exec, exec, s[24:25]
.LBB232_1070:
	s_or_b64 exec, exec, s[22:23]
.LBB232_1071:
	s_or_b64 exec, exec, s[20:21]
	s_or_b64 s[8:9], s[8:9], exec
.LBB232_1072:
	s_or_b64 exec, exec, s[6:7]
	s_mov_b64 s[4:5], 0
	s_mov_b64 s[24:25], 0
                                        ; implicit-def: $sgpr6_sgpr7
                                        ; implicit-def: $vgpr0_vgpr1
                                        ; implicit-def: $vgpr21
	s_and_saveexec_b64 s[20:21], s[8:9]
	s_cbranch_execz .LBB232_2049
; %bb.1073:
	v_lshlrev_b32_e32 v17, 7, v17
	v_add_u32_e32 v18, v18, v17
	v_ashrrev_i32_e32 v1, 31, v18
	v_add_co_u32_e64 v0, s[4:5], v11, v18
	v_addc_co_u32_e64 v1, s[4:5], v12, v1, s[4:5]
	v_cmp_lt_i16_e64 s[4:5], 10, v9
	s_mov_b64 s[8:9], 0
	s_mov_b64 s[22:23], s[18:19]
                                        ; implicit-def: $vgpr15
	s_and_saveexec_b64 s[6:7], s[4:5]
	s_xor_b64 s[6:7], exec, s[6:7]
	s_cbranch_execz .LBB232_1168
; %bb.1074:
	v_cmp_lt_i16_e64 s[4:5], 25, v9
	s_mov_b64 s[26:27], 0
                                        ; implicit-def: $vgpr15
	s_and_saveexec_b64 s[22:23], s[4:5]
	s_xor_b64 s[22:23], exec, s[22:23]
	s_cbranch_execz .LBB232_2377
; %bb.1075:
	v_cmp_lt_i16_e64 s[4:5], 28, v9
	;; [unrolled: 7-line block ×3, first 2 shown]
	s_mov_b64 s[30:31], 0
	s_mov_b64 s[38:39], 0
                                        ; implicit-def: $vgpr15
	s_and_saveexec_b64 s[26:27], s[4:5]
	s_xor_b64 s[26:27], exec, s[26:27]
	s_cbranch_execz .LBB232_1102
; %bb.1077:
	v_cmp_lt_i16_e64 s[4:5], 45, v9
                                        ; implicit-def: $vgpr15
	s_and_saveexec_b64 s[38:39], s[4:5]
	s_xor_b64 s[38:39], exec, s[38:39]
	s_cbranch_execz .LBB232_1089
; %bb.1078:
	v_cmp_eq_u16_e64 s[4:5], 46, v9
	s_mov_b64 s[40:41], -1
                                        ; implicit-def: $vgpr15
	s_and_saveexec_b64 s[28:29], s[4:5]
	s_cbranch_execz .LBB232_1088
; %bb.1079:
	flat_load_dword v15, v[0:1]
	s_mov_b32 s4, 0x47800000
                                        ; implicit-def: $vgpr21
	s_waitcnt vmcnt(0) lgkmcnt(0)
	v_lshlrev_b32_e32 v15, 16, v15
	v_and_b32_e32 v22, 0x7fffffff, v15
	v_cmp_gt_u32_e64 s[4:5], s4, v22
	s_and_saveexec_b64 s[30:31], s[4:5]
	s_xor_b64 s[30:31], exec, s[30:31]
	s_cbranch_execz .LBB232_1085
; %bb.1080:
	s_mov_b32 s4, 0x387fffff
	v_cmp_lt_u32_e64 s[4:5], s4, v22
                                        ; implicit-def: $vgpr21
	s_and_saveexec_b64 s[40:41], s[4:5]
	s_xor_b64 s[4:5], exec, s[40:41]
; %bb.1081:
	v_bfe_u32 v21, v15, 21, 1
	s_mov_b32 s33, 0x80fffff
	v_add3_u32 v21, v15, v21, s33
	v_lshrrev_b32_e32 v21, 21, v21
; %bb.1082:
	s_andn2_saveexec_b64 s[4:5], s[4:5]
; %bb.1083:
	s_mov_b32 s33, 0x43000000
	v_add_f32_e64 v21, |v15|, s33
; %bb.1084:
	s_or_b64 exec, exec, s[4:5]
                                        ; implicit-def: $vgpr22
.LBB232_1085:
	s_andn2_saveexec_b64 s[30:31], s[30:31]
; %bb.1086:
	s_mov_b32 s4, 0x7f800000
	v_mov_b32_e32 v21, 0x7c
	v_mov_b32_e32 v23, 0x7f
	v_cmp_lt_u32_e64 s[4:5], s4, v22
	v_cndmask_b32_e64 v21, v21, v23, s[4:5]
; %bb.1087:
	s_or_b64 exec, exec, s[30:31]
	v_lshrrev_b32_e32 v15, 24, v15
	s_movk_i32 s4, 0x80
	s_mov_b64 s[30:31], exec
	v_and_or_b32 v15, v15, s4, v21
	s_xor_b64 s[40:41], exec, -1
.LBB232_1088:
	s_or_b64 exec, exec, s[28:29]
	s_and_b64 s[30:31], s[30:31], exec
	s_and_b64 s[28:29], s[40:41], exec
.LBB232_1089:
	s_andn2_saveexec_b64 s[38:39], s[38:39]
	s_cbranch_execz .LBB232_1101
; %bb.1090:
	v_cmp_eq_u16_e64 s[4:5], 44, v9
	s_mov_b64 s[42:43], -1
	s_mov_b64 s[44:45], s[30:31]
                                        ; implicit-def: $vgpr15
	s_and_saveexec_b64 s[40:41], s[4:5]
	s_cbranch_execz .LBB232_1100
; %bb.1091:
	flat_load_ubyte v15, v[0:1]
	s_movk_i32 s4, 0xff
	v_mov_b32_e32 v21, 0x7f800001
	v_mov_b32_e32 v22, 0x400000
	s_waitcnt vmcnt(0) lgkmcnt(0)
	v_lshlrev_b32_e32 v23, 23, v15
	v_cmp_ne_u32_e64 s[4:5], s4, v15
	v_cndmask_b32_e64 v21, v21, v23, s[4:5]
	v_cmp_ne_u32_e64 s[4:5], 0, v15
	v_cndmask_b32_e64 v21, v22, v21, s[4:5]
	s_mov_b32 s4, 0x47800000
	v_cmp_gt_u32_e64 s[4:5], s4, v21
                                        ; implicit-def: $vgpr15
	s_and_saveexec_b64 s[42:43], s[4:5]
	s_xor_b64 s[42:43], exec, s[42:43]
	s_cbranch_execz .LBB232_1097
; %bb.1092:
	s_mov_b32 s4, 0x387fffff
	v_cmp_lt_u32_e64 s[4:5], s4, v21
                                        ; implicit-def: $vgpr15
	s_and_saveexec_b64 s[44:45], s[4:5]
	s_xor_b64 s[4:5], exec, s[44:45]
; %bb.1093:
	v_bfe_u32 v15, v21, 21, 1
	s_mov_b32 s33, 0x80fffff
	v_add3_u32 v15, v21, v15, s33
	v_lshrrev_b32_e32 v15, 21, v15
                                        ; implicit-def: $vgpr21
; %bb.1094:
	s_andn2_saveexec_b64 s[4:5], s[4:5]
; %bb.1095:
	v_add_f32_e32 v15, 0x43000000, v21
; %bb.1096:
	s_or_b64 exec, exec, s[4:5]
                                        ; implicit-def: $vgpr21
.LBB232_1097:
	s_andn2_saveexec_b64 s[42:43], s[42:43]
; %bb.1098:
	s_mov_b32 s4, 0x7f800000
	v_mov_b32_e32 v15, 0x7c
	v_mov_b32_e32 v22, 0x7f
	v_cmp_lt_u32_e64 s[4:5], s4, v21
	v_cndmask_b32_e64 v15, v15, v22, s[4:5]
; %bb.1099:
	s_or_b64 exec, exec, s[42:43]
	s_or_b64 s[44:45], s[30:31], exec
	s_xor_b64 s[42:43], exec, -1
.LBB232_1100:
	s_or_b64 exec, exec, s[40:41]
	s_andn2_b64 s[4:5], s[30:31], exec
	s_and_b64 s[30:31], s[44:45], exec
	s_or_b64 s[30:31], s[4:5], s[30:31]
	s_andn2_b64 s[4:5], s[28:29], exec
	s_and_b64 s[28:29], s[42:43], exec
	s_or_b64 s[28:29], s[4:5], s[28:29]
.LBB232_1101:
	s_or_b64 exec, exec, s[38:39]
	s_and_b64 s[38:39], s[30:31], exec
	s_and_b64 s[30:31], s[28:29], exec
.LBB232_1102:
	s_andn2_saveexec_b64 s[26:27], s[26:27]
	s_cbranch_execz .LBB232_1114
; %bb.1103:
	v_cmp_eq_u16_e64 s[4:5], 29, v9
	s_mov_b64 s[40:41], -1
	s_mov_b64 s[42:43], s[38:39]
                                        ; implicit-def: $vgpr15
	s_and_saveexec_b64 s[28:29], s[4:5]
	s_cbranch_execz .LBB232_1113
; %bb.1104:
	flat_load_dwordx2 v[21:22], v[0:1]
	s_mov_b32 s4, 0x47800000
	s_waitcnt vmcnt(0) lgkmcnt(0)
	v_ffbh_u32_e32 v15, v22
	v_min_u32_e32 v15, 32, v15
	v_lshlrev_b64 v[21:22], v15, v[21:22]
	v_sub_u32_e32 v15, 32, v15
	v_min_u32_e32 v21, 1, v21
	v_or_b32_e32 v21, v22, v21
	v_cvt_f32_u32_e32 v21, v21
	v_ldexp_f32 v21, v21, v15
	v_cmp_gt_u32_e64 s[4:5], s4, v21
                                        ; implicit-def: $vgpr15
	s_and_saveexec_b64 s[40:41], s[4:5]
	s_xor_b64 s[40:41], exec, s[40:41]
	s_cbranch_execz .LBB232_1110
; %bb.1105:
	s_mov_b32 s4, 0x387fffff
	v_cmp_lt_u32_e64 s[4:5], s4, v21
                                        ; implicit-def: $vgpr15
	s_and_saveexec_b64 s[42:43], s[4:5]
	s_xor_b64 s[4:5], exec, s[42:43]
; %bb.1106:
	v_bfe_u32 v15, v21, 21, 1
	s_mov_b32 s33, 0x80fffff
	v_add3_u32 v15, v21, v15, s33
	v_lshrrev_b32_e32 v15, 21, v15
                                        ; implicit-def: $vgpr21
; %bb.1107:
	s_andn2_saveexec_b64 s[4:5], s[4:5]
; %bb.1108:
	v_add_f32_e32 v15, 0x43000000, v21
; %bb.1109:
	s_or_b64 exec, exec, s[4:5]
                                        ; implicit-def: $vgpr21
.LBB232_1110:
	s_andn2_saveexec_b64 s[40:41], s[40:41]
; %bb.1111:
	s_mov_b32 s4, 0x7f800000
	v_mov_b32_e32 v15, 0x7c
	v_mov_b32_e32 v22, 0x7f
	v_cmp_lt_u32_e64 s[4:5], s4, v21
	v_cndmask_b32_e64 v15, v15, v22, s[4:5]
; %bb.1112:
	s_or_b64 exec, exec, s[40:41]
	s_or_b64 s[42:43], s[38:39], exec
	s_xor_b64 s[40:41], exec, -1
.LBB232_1113:
	s_or_b64 exec, exec, s[28:29]
	s_andn2_b64 s[4:5], s[38:39], exec
	s_and_b64 s[28:29], s[42:43], exec
	s_or_b64 s[38:39], s[4:5], s[28:29]
	s_andn2_b64 s[4:5], s[30:31], exec
	s_and_b64 s[28:29], s[40:41], exec
	s_or_b64 s[30:31], s[4:5], s[28:29]
.LBB232_1114:
	s_or_b64 exec, exec, s[26:27]
	s_and_b64 s[28:29], s[38:39], exec
	s_and_b64 s[26:27], s[30:31], exec
.LBB232_1115:
	s_andn2_saveexec_b64 s[24:25], s[24:25]
	s_cbranch_execz .LBB232_1155
; %bb.1116:
	v_cmp_lt_i16_e64 s[4:5], 26, v9
                                        ; implicit-def: $vgpr15
	s_and_saveexec_b64 s[30:31], s[4:5]
	s_xor_b64 s[30:31], exec, s[30:31]
	s_cbranch_execz .LBB232_1138
; %bb.1117:
	v_cmp_lt_i16_e64 s[4:5], 27, v9
                                        ; implicit-def: $vgpr15
	s_and_saveexec_b64 s[38:39], s[4:5]
	s_xor_b64 s[38:39], exec, s[38:39]
	s_cbranch_execz .LBB232_1127
; %bb.1118:
	flat_load_dword v15, v[0:1]
	s_mov_b32 s4, 0x47800000
	s_waitcnt vmcnt(0) lgkmcnt(0)
	v_cvt_f32_u32_e32 v21, v15
                                        ; implicit-def: $vgpr15
	v_cmp_gt_u32_e64 s[4:5], s4, v21
	s_and_saveexec_b64 s[40:41], s[4:5]
	s_xor_b64 s[40:41], exec, s[40:41]
	s_cbranch_execz .LBB232_1124
; %bb.1119:
	s_mov_b32 s4, 0x387fffff
	v_cmp_lt_u32_e64 s[4:5], s4, v21
                                        ; implicit-def: $vgpr15
	s_and_saveexec_b64 s[42:43], s[4:5]
	s_xor_b64 s[4:5], exec, s[42:43]
; %bb.1120:
	v_bfe_u32 v15, v21, 21, 1
	s_mov_b32 s33, 0x80fffff
	v_add3_u32 v15, v21, v15, s33
	v_lshrrev_b32_e32 v15, 21, v15
                                        ; implicit-def: $vgpr21
; %bb.1121:
	s_andn2_saveexec_b64 s[4:5], s[4:5]
; %bb.1122:
	v_add_f32_e32 v15, 0x43000000, v21
; %bb.1123:
	s_or_b64 exec, exec, s[4:5]
                                        ; implicit-def: $vgpr21
.LBB232_1124:
	s_andn2_saveexec_b64 s[40:41], s[40:41]
; %bb.1125:
	s_mov_b32 s4, 0x7f800000
	v_mov_b32_e32 v15, 0x7c
	v_mov_b32_e32 v22, 0x7f
	v_cmp_lt_u32_e64 s[4:5], s4, v21
	v_cndmask_b32_e64 v15, v15, v22, s[4:5]
; %bb.1126:
	s_or_b64 exec, exec, s[40:41]
.LBB232_1127:
	s_andn2_saveexec_b64 s[38:39], s[38:39]
	s_cbranch_execz .LBB232_1137
; %bb.1128:
	flat_load_ushort v15, v[0:1]
	s_mov_b32 s4, 0x47800000
	s_waitcnt vmcnt(0) lgkmcnt(0)
	v_cvt_f32_u32_e32 v21, v15
                                        ; implicit-def: $vgpr15
	v_cmp_gt_u32_e64 s[4:5], s4, v21
	s_and_saveexec_b64 s[40:41], s[4:5]
	s_xor_b64 s[40:41], exec, s[40:41]
	s_cbranch_execz .LBB232_1134
; %bb.1129:
	s_mov_b32 s4, 0x387fffff
	v_cmp_lt_u32_e64 s[4:5], s4, v21
                                        ; implicit-def: $vgpr15
	s_and_saveexec_b64 s[42:43], s[4:5]
	s_xor_b64 s[4:5], exec, s[42:43]
; %bb.1130:
	v_bfe_u32 v15, v21, 21, 1
	s_mov_b32 s33, 0x80fffff
	v_add3_u32 v15, v21, v15, s33
	v_lshrrev_b32_e32 v15, 21, v15
                                        ; implicit-def: $vgpr21
; %bb.1131:
	s_andn2_saveexec_b64 s[4:5], s[4:5]
; %bb.1132:
	v_add_f32_e32 v15, 0x43000000, v21
; %bb.1133:
	s_or_b64 exec, exec, s[4:5]
                                        ; implicit-def: $vgpr21
.LBB232_1134:
	s_andn2_saveexec_b64 s[40:41], s[40:41]
; %bb.1135:
	s_mov_b32 s4, 0x7f800000
	v_mov_b32_e32 v15, 0x7c
	v_mov_b32_e32 v22, 0x7f
	v_cmp_lt_u32_e64 s[4:5], s4, v21
	v_cndmask_b32_e64 v15, v15, v22, s[4:5]
; %bb.1136:
	s_or_b64 exec, exec, s[40:41]
.LBB232_1137:
	s_or_b64 exec, exec, s[38:39]
.LBB232_1138:
	s_andn2_saveexec_b64 s[30:31], s[30:31]
	s_cbranch_execz .LBB232_1154
; %bb.1139:
	flat_load_ubyte v21, v[0:1]
	s_movk_i32 s4, 0x7f
	s_mov_b64 s[38:39], 0
	s_waitcnt vmcnt(0) lgkmcnt(0)
	v_cmp_lt_i16_e64 s[4:5], s4, v21
	s_and_saveexec_b64 s[40:41], s[4:5]
	s_xor_b64 s[40:41], exec, s[40:41]
	s_cbranch_execz .LBB232_2544
; %bb.1140:
	s_movk_i32 s4, 0x80
	v_cmp_eq_u16_e64 s[4:5], s4, v21
	s_mov_b64 s[38:39], -1
	s_and_saveexec_b64 s[42:43], s[4:5]
; %bb.1141:
	s_xor_b64 s[38:39], exec, -1
; %bb.1142:
	s_or_b64 exec, exec, s[42:43]
	s_and_b64 s[38:39], s[38:39], exec
	s_or_saveexec_b64 s[40:41], s[40:41]
	v_mov_b32_e32 v15, 0x7f800001
	s_xor_b64 exec, exec, s[40:41]
	s_cbranch_execnz .LBB232_2545
.LBB232_1143:
	s_or_b64 exec, exec, s[40:41]
	s_and_saveexec_b64 s[40:41], s[38:39]
	s_cbranch_execz .LBB232_1145
.LBB232_1144:
	v_lshlrev_b32_e32 v15, 24, v21
	v_and_b32_e32 v21, 0xffff, v21
	v_and_b32_e32 v22, 7, v21
	v_ffbh_u32_e32 v24, v22
	v_min_u32_e32 v24, 32, v24
	v_subrev_u32_e32 v25, 28, v24
	v_bfe_u32 v23, v21, 3, 4
	v_lshlrev_b32_e32 v21, v25, v21
	v_sub_u32_e32 v24, 29, v24
	v_and_b32_e32 v21, 7, v21
	v_cmp_eq_u32_e64 s[4:5], 0, v23
	v_cndmask_b32_e64 v23, v23, v24, s[4:5]
	v_cndmask_b32_e64 v21, v22, v21, s[4:5]
	v_mov_b32_e32 v22, 0x3b800000
	v_lshlrev_b32_e32 v21, 20, v21
	v_and_b32_e32 v15, 0x80000000, v15
	v_lshl_add_u32 v22, v23, 23, v22
	v_or3_b32 v15, v15, v22, v21
.LBB232_1145:
	s_or_b64 exec, exec, s[40:41]
	v_and_b32_e32 v22, 0x7fffffff, v15
	s_mov_b32 s4, 0x47800000
	v_cmp_gt_u32_e64 s[4:5], s4, v22
                                        ; implicit-def: $vgpr21
	s_and_saveexec_b64 s[38:39], s[4:5]
	s_xor_b64 s[38:39], exec, s[38:39]
	s_cbranch_execz .LBB232_1151
; %bb.1146:
	s_mov_b32 s4, 0x387fffff
	v_cmp_lt_u32_e64 s[4:5], s4, v22
                                        ; implicit-def: $vgpr21
	s_and_saveexec_b64 s[40:41], s[4:5]
	s_xor_b64 s[4:5], exec, s[40:41]
; %bb.1147:
	v_bfe_u32 v21, v15, 21, 1
	s_mov_b32 s33, 0x80fffff
	v_add3_u32 v21, v15, v21, s33
	v_lshrrev_b32_e32 v21, 21, v21
; %bb.1148:
	s_andn2_saveexec_b64 s[4:5], s[4:5]
; %bb.1149:
	s_mov_b32 s33, 0x43000000
	v_add_f32_e64 v21, |v15|, s33
; %bb.1150:
	s_or_b64 exec, exec, s[4:5]
                                        ; implicit-def: $vgpr22
.LBB232_1151:
	s_andn2_saveexec_b64 s[38:39], s[38:39]
; %bb.1152:
	s_mov_b32 s4, 0x7f800000
	v_mov_b32_e32 v21, 0x7c
	v_mov_b32_e32 v23, 0x7f
	v_cmp_lt_u32_e64 s[4:5], s4, v22
	v_cndmask_b32_e64 v21, v21, v23, s[4:5]
; %bb.1153:
	s_or_b64 exec, exec, s[38:39]
	v_lshrrev_b32_e32 v15, 24, v15
	s_movk_i32 s4, 0x80
	v_and_or_b32 v15, v15, s4, v21
.LBB232_1154:
	s_or_b64 exec, exec, s[30:31]
	s_or_b64 s[28:29], s[28:29], exec
.LBB232_1155:
	s_or_b64 exec, exec, s[24:25]
	s_and_b64 s[24:25], s[28:29], exec
	s_and_b64 s[26:27], s[26:27], exec
	s_andn2_saveexec_b64 s[22:23], s[22:23]
	s_cbranch_execnz .LBB232_2378
.LBB232_1156:
	s_or_b64 exec, exec, s[22:23]
	s_mov_b64 s[22:23], s[18:19]
	s_and_saveexec_b64 s[4:5], s[26:27]
	s_cbranch_execnz .LBB232_2427
.LBB232_1157:
	s_or_b64 exec, exec, s[4:5]
	s_and_saveexec_b64 s[26:27], s[8:9]
	s_cbranch_execz .LBB232_1167
.LBB232_1158:
	flat_load_ubyte v0, v[0:1]
                                        ; implicit-def: $vgpr15
	s_waitcnt vmcnt(0) lgkmcnt(0)
	v_cmp_ne_u16_e64 s[4:5], 0, v0
	v_cndmask_b32_e64 v0, 0, 1.0, s[4:5]
	s_mov_b32 s4, 0x47800000
	v_cmp_gt_u32_e64 s[4:5], s4, v0
	s_and_saveexec_b64 s[8:9], s[4:5]
	s_xor_b64 s[8:9], exec, s[8:9]
	s_cbranch_execz .LBB232_1164
; %bb.1159:
	s_mov_b32 s4, 0x387fffff
	v_cmp_lt_u32_e64 s[4:5], s4, v0
                                        ; implicit-def: $vgpr15
	s_and_saveexec_b64 s[28:29], s[4:5]
	s_xor_b64 s[4:5], exec, s[28:29]
; %bb.1160:
	v_bfe_u32 v1, v0, 21, 1
	s_mov_b32 s28, 0x80fffff
	v_add3_u32 v0, v0, v1, s28
	v_lshrrev_b32_e32 v15, 21, v0
                                        ; implicit-def: $vgpr0
; %bb.1161:
	s_andn2_saveexec_b64 s[4:5], s[4:5]
; %bb.1162:
	v_add_f32_e32 v15, 0x43000000, v0
; %bb.1163:
	s_or_b64 exec, exec, s[4:5]
                                        ; implicit-def: $vgpr0
.LBB232_1164:
	s_andn2_saveexec_b64 s[8:9], s[8:9]
; %bb.1165:
	s_mov_b32 s4, 0x7f800000
	v_mov_b32_e32 v1, 0x7c
	v_mov_b32_e32 v15, 0x7f
	v_cmp_lt_u32_e64 s[4:5], s4, v0
	v_cndmask_b32_e64 v15, v1, v15, s[4:5]
; %bb.1166:
	s_or_b64 exec, exec, s[8:9]
	s_or_b64 s[24:25], s[24:25], exec
.LBB232_1167:
	s_or_b64 exec, exec, s[26:27]
	s_andn2_b64 s[4:5], s[18:19], exec
	s_and_b64 s[8:9], s[22:23], exec
	s_or_b64 s[22:23], s[4:5], s[8:9]
	s_and_b64 s[8:9], s[24:25], exec
                                        ; implicit-def: $vgpr0_vgpr1
.LBB232_1168:
	s_andn2_saveexec_b64 s[6:7], s[6:7]
	s_cbranch_execz .LBB232_1298
; %bb.1169:
	v_cmp_lt_i16_e64 s[4:5], 4, v9
                                        ; implicit-def: $vgpr15
	s_and_saveexec_b64 s[24:25], s[4:5]
	s_xor_b64 s[24:25], exec, s[24:25]
	s_cbranch_execz .LBB232_1239
; %bb.1170:
	v_cmp_lt_i16_e64 s[4:5], 7, v9
                                        ; implicit-def: $vgpr15
	s_and_saveexec_b64 s[26:27], s[4:5]
	s_xor_b64 s[26:27], exec, s[26:27]
	;; [unrolled: 6-line block ×4, first 2 shown]
	s_cbranch_execz .LBB232_1182
; %bb.1173:
	flat_load_dwordx2 v[0:1], v[0:1]
	s_mov_b32 s4, 0x47800000
	s_waitcnt vmcnt(0) lgkmcnt(0)
	v_cvt_f32_f64_e32 v0, v[0:1]
                                        ; implicit-def: $vgpr1
	v_and_b32_e32 v15, 0x7fffffff, v0
	v_cmp_gt_u32_e64 s[4:5], s4, v15
	s_and_saveexec_b64 s[38:39], s[4:5]
	s_xor_b64 s[38:39], exec, s[38:39]
	s_cbranch_execz .LBB232_1179
; %bb.1174:
	s_mov_b32 s4, 0x387fffff
	v_cmp_lt_u32_e64 s[4:5], s4, v15
                                        ; implicit-def: $vgpr1
	s_and_saveexec_b64 s[40:41], s[4:5]
	s_xor_b64 s[4:5], exec, s[40:41]
; %bb.1175:
	v_bfe_u32 v1, v0, 21, 1
	s_mov_b32 s33, 0x80fffff
	v_add3_u32 v1, v0, v1, s33
	v_lshrrev_b32_e32 v1, 21, v1
; %bb.1176:
	s_andn2_saveexec_b64 s[4:5], s[4:5]
; %bb.1177:
	s_mov_b32 s33, 0x43000000
	v_add_f32_e64 v1, |v0|, s33
; %bb.1178:
	s_or_b64 exec, exec, s[4:5]
                                        ; implicit-def: $vgpr15
.LBB232_1179:
	s_andn2_saveexec_b64 s[38:39], s[38:39]
; %bb.1180:
	s_mov_b32 s4, 0x7f800000
	v_mov_b32_e32 v1, 0x7c
	v_mov_b32_e32 v21, 0x7f
	v_cmp_lt_u32_e64 s[4:5], s4, v15
	v_cndmask_b32_e64 v1, v1, v21, s[4:5]
; %bb.1181:
	s_or_b64 exec, exec, s[38:39]
	v_lshrrev_b32_e32 v0, 24, v0
	s_movk_i32 s4, 0x80
	v_and_or_b32 v15, v0, s4, v1
                                        ; implicit-def: $vgpr0_vgpr1
.LBB232_1182:
	s_andn2_saveexec_b64 s[30:31], s[30:31]
	s_cbranch_execz .LBB232_1192
; %bb.1183:
	flat_load_dword v0, v[0:1]
	s_mov_b32 s4, 0x47800000
                                        ; implicit-def: $vgpr1
	s_waitcnt vmcnt(0) lgkmcnt(0)
	v_and_b32_e32 v15, 0x7fffffff, v0
	v_cmp_gt_u32_e64 s[4:5], s4, v15
	s_and_saveexec_b64 s[38:39], s[4:5]
	s_xor_b64 s[38:39], exec, s[38:39]
	s_cbranch_execz .LBB232_1189
; %bb.1184:
	s_mov_b32 s4, 0x387fffff
	v_cmp_lt_u32_e64 s[4:5], s4, v15
                                        ; implicit-def: $vgpr1
	s_and_saveexec_b64 s[40:41], s[4:5]
	s_xor_b64 s[4:5], exec, s[40:41]
; %bb.1185:
	v_bfe_u32 v1, v0, 21, 1
	s_mov_b32 s33, 0x80fffff
	v_add3_u32 v1, v0, v1, s33
	v_lshrrev_b32_e32 v1, 21, v1
; %bb.1186:
	s_andn2_saveexec_b64 s[4:5], s[4:5]
; %bb.1187:
	s_mov_b32 s33, 0x43000000
	v_add_f32_e64 v1, |v0|, s33
; %bb.1188:
	s_or_b64 exec, exec, s[4:5]
                                        ; implicit-def: $vgpr15
.LBB232_1189:
	s_andn2_saveexec_b64 s[38:39], s[38:39]
; %bb.1190:
	s_mov_b32 s4, 0x7f800000
	v_mov_b32_e32 v1, 0x7c
	v_mov_b32_e32 v21, 0x7f
	v_cmp_lt_u32_e64 s[4:5], s4, v15
	v_cndmask_b32_e64 v1, v1, v21, s[4:5]
; %bb.1191:
	s_or_b64 exec, exec, s[38:39]
	v_lshrrev_b32_e32 v0, 24, v0
	s_movk_i32 s4, 0x80
	v_and_or_b32 v15, v0, s4, v1
.LBB232_1192:
	s_or_b64 exec, exec, s[30:31]
                                        ; implicit-def: $vgpr0_vgpr1
.LBB232_1193:
	s_andn2_saveexec_b64 s[28:29], s[28:29]
	s_cbranch_execz .LBB232_1203
; %bb.1194:
	flat_load_dword v0, v[0:1]
	s_mov_b32 s4, 0x47800000
                                        ; implicit-def: $vgpr1
	s_waitcnt vmcnt(0) lgkmcnt(0)
	v_cvt_f32_f16_e32 v0, v0
	v_and_b32_e32 v15, 0x7fffffff, v0
	v_cmp_gt_u32_e64 s[4:5], s4, v15
	s_and_saveexec_b64 s[30:31], s[4:5]
	s_xor_b64 s[30:31], exec, s[30:31]
	s_cbranch_execz .LBB232_1200
; %bb.1195:
	s_mov_b32 s4, 0x387fffff
	v_cmp_lt_u32_e64 s[4:5], s4, v15
                                        ; implicit-def: $vgpr1
	s_and_saveexec_b64 s[38:39], s[4:5]
	s_xor_b64 s[4:5], exec, s[38:39]
; %bb.1196:
	v_bfe_u32 v1, v0, 21, 1
	s_mov_b32 s33, 0x80fffff
	v_add3_u32 v1, v0, v1, s33
	v_lshrrev_b32_e32 v1, 21, v1
; %bb.1197:
	s_andn2_saveexec_b64 s[4:5], s[4:5]
; %bb.1198:
	s_mov_b32 s33, 0x43000000
	v_add_f32_e64 v1, |v0|, s33
; %bb.1199:
	s_or_b64 exec, exec, s[4:5]
                                        ; implicit-def: $vgpr15
.LBB232_1200:
	s_andn2_saveexec_b64 s[30:31], s[30:31]
; %bb.1201:
	s_mov_b32 s4, 0x7f800000
	v_mov_b32_e32 v1, 0x7c
	v_mov_b32_e32 v21, 0x7f
	v_cmp_lt_u32_e64 s[4:5], s4, v15
	v_cndmask_b32_e64 v1, v1, v21, s[4:5]
; %bb.1202:
	s_or_b64 exec, exec, s[30:31]
	v_lshrrev_b32_e32 v0, 24, v0
	s_movk_i32 s4, 0x80
	v_and_or_b32 v15, v0, s4, v1
.LBB232_1203:
	s_or_b64 exec, exec, s[28:29]
                                        ; implicit-def: $vgpr0_vgpr1
.LBB232_1204:
	s_andn2_saveexec_b64 s[26:27], s[26:27]
	s_cbranch_execz .LBB232_1238
; %bb.1205:
	v_cmp_lt_i16_e64 s[4:5], 5, v9
                                        ; implicit-def: $vgpr15
	s_and_saveexec_b64 s[28:29], s[4:5]
	s_xor_b64 s[28:29], exec, s[28:29]
	s_cbranch_execz .LBB232_1227
; %bb.1206:
	v_cmp_lt_i16_e64 s[4:5], 6, v9
                                        ; implicit-def: $vgpr15
	s_and_saveexec_b64 s[30:31], s[4:5]
	s_xor_b64 s[30:31], exec, s[30:31]
	s_cbranch_execz .LBB232_1216
; %bb.1207:
	flat_load_dwordx2 v[0:1], v[0:1]
	s_mov_b32 s4, 0x47800000
	s_waitcnt vmcnt(0) lgkmcnt(0)
	v_cvt_f32_f64_e32 v0, v[0:1]
                                        ; implicit-def: $vgpr1
	v_and_b32_e32 v15, 0x7fffffff, v0
	v_cmp_gt_u32_e64 s[4:5], s4, v15
	s_and_saveexec_b64 s[38:39], s[4:5]
	s_xor_b64 s[38:39], exec, s[38:39]
	s_cbranch_execz .LBB232_1213
; %bb.1208:
	s_mov_b32 s4, 0x387fffff
	v_cmp_lt_u32_e64 s[4:5], s4, v15
                                        ; implicit-def: $vgpr1
	s_and_saveexec_b64 s[40:41], s[4:5]
	s_xor_b64 s[4:5], exec, s[40:41]
; %bb.1209:
	v_bfe_u32 v1, v0, 21, 1
	s_mov_b32 s33, 0x80fffff
	v_add3_u32 v1, v0, v1, s33
	v_lshrrev_b32_e32 v1, 21, v1
; %bb.1210:
	s_andn2_saveexec_b64 s[4:5], s[4:5]
; %bb.1211:
	s_mov_b32 s33, 0x43000000
	v_add_f32_e64 v1, |v0|, s33
; %bb.1212:
	s_or_b64 exec, exec, s[4:5]
                                        ; implicit-def: $vgpr15
.LBB232_1213:
	s_andn2_saveexec_b64 s[38:39], s[38:39]
; %bb.1214:
	s_mov_b32 s4, 0x7f800000
	v_mov_b32_e32 v1, 0x7c
	v_mov_b32_e32 v21, 0x7f
	v_cmp_lt_u32_e64 s[4:5], s4, v15
	v_cndmask_b32_e64 v1, v1, v21, s[4:5]
; %bb.1215:
	s_or_b64 exec, exec, s[38:39]
	v_lshrrev_b32_e32 v0, 24, v0
	s_movk_i32 s4, 0x80
	v_and_or_b32 v15, v0, s4, v1
                                        ; implicit-def: $vgpr0_vgpr1
.LBB232_1216:
	s_andn2_saveexec_b64 s[30:31], s[30:31]
	s_cbranch_execz .LBB232_1226
; %bb.1217:
	flat_load_dword v0, v[0:1]
	s_mov_b32 s4, 0x47800000
                                        ; implicit-def: $vgpr1
	s_waitcnt vmcnt(0) lgkmcnt(0)
	v_and_b32_e32 v15, 0x7fffffff, v0
	v_cmp_gt_u32_e64 s[4:5], s4, v15
	s_and_saveexec_b64 s[38:39], s[4:5]
	s_xor_b64 s[38:39], exec, s[38:39]
	s_cbranch_execz .LBB232_1223
; %bb.1218:
	s_mov_b32 s4, 0x387fffff
	v_cmp_lt_u32_e64 s[4:5], s4, v15
                                        ; implicit-def: $vgpr1
	s_and_saveexec_b64 s[40:41], s[4:5]
	s_xor_b64 s[4:5], exec, s[40:41]
; %bb.1219:
	v_bfe_u32 v1, v0, 21, 1
	s_mov_b32 s33, 0x80fffff
	v_add3_u32 v1, v0, v1, s33
	v_lshrrev_b32_e32 v1, 21, v1
; %bb.1220:
	s_andn2_saveexec_b64 s[4:5], s[4:5]
; %bb.1221:
	s_mov_b32 s33, 0x43000000
	v_add_f32_e64 v1, |v0|, s33
; %bb.1222:
	s_or_b64 exec, exec, s[4:5]
                                        ; implicit-def: $vgpr15
.LBB232_1223:
	s_andn2_saveexec_b64 s[38:39], s[38:39]
; %bb.1224:
	s_mov_b32 s4, 0x7f800000
	v_mov_b32_e32 v1, 0x7c
	v_mov_b32_e32 v21, 0x7f
	v_cmp_lt_u32_e64 s[4:5], s4, v15
	v_cndmask_b32_e64 v1, v1, v21, s[4:5]
; %bb.1225:
	s_or_b64 exec, exec, s[38:39]
	v_lshrrev_b32_e32 v0, 24, v0
	s_movk_i32 s4, 0x80
	v_and_or_b32 v15, v0, s4, v1
.LBB232_1226:
	s_or_b64 exec, exec, s[30:31]
                                        ; implicit-def: $vgpr0_vgpr1
.LBB232_1227:
	s_andn2_saveexec_b64 s[28:29], s[28:29]
	s_cbranch_execz .LBB232_1237
; %bb.1228:
	flat_load_ushort v0, v[0:1]
	s_mov_b32 s4, 0x47800000
                                        ; implicit-def: $vgpr1
	s_waitcnt vmcnt(0) lgkmcnt(0)
	v_cvt_f32_f16_e32 v0, v0
	v_and_b32_e32 v15, 0x7fffffff, v0
	v_cmp_gt_u32_e64 s[4:5], s4, v15
	s_and_saveexec_b64 s[30:31], s[4:5]
	s_xor_b64 s[30:31], exec, s[30:31]
	s_cbranch_execz .LBB232_1234
; %bb.1229:
	s_mov_b32 s4, 0x387fffff
	v_cmp_lt_u32_e64 s[4:5], s4, v15
                                        ; implicit-def: $vgpr1
	s_and_saveexec_b64 s[38:39], s[4:5]
	s_xor_b64 s[4:5], exec, s[38:39]
; %bb.1230:
	v_bfe_u32 v1, v0, 21, 1
	s_mov_b32 s33, 0x80fffff
	v_add3_u32 v1, v0, v1, s33
	v_lshrrev_b32_e32 v1, 21, v1
; %bb.1231:
	s_andn2_saveexec_b64 s[4:5], s[4:5]
; %bb.1232:
	s_mov_b32 s33, 0x43000000
	v_add_f32_e64 v1, |v0|, s33
; %bb.1233:
	s_or_b64 exec, exec, s[4:5]
                                        ; implicit-def: $vgpr15
.LBB232_1234:
	s_andn2_saveexec_b64 s[30:31], s[30:31]
; %bb.1235:
	s_mov_b32 s4, 0x7f800000
	v_mov_b32_e32 v1, 0x7c
	v_mov_b32_e32 v21, 0x7f
	v_cmp_lt_u32_e64 s[4:5], s4, v15
	v_cndmask_b32_e64 v1, v1, v21, s[4:5]
; %bb.1236:
	s_or_b64 exec, exec, s[30:31]
	v_lshrrev_b32_e32 v0, 24, v0
	s_movk_i32 s4, 0x80
	v_and_or_b32 v15, v0, s4, v1
.LBB232_1237:
	s_or_b64 exec, exec, s[28:29]
.LBB232_1238:
	s_or_b64 exec, exec, s[26:27]
                                        ; implicit-def: $vgpr0_vgpr1
.LBB232_1239:
	s_andn2_saveexec_b64 s[24:25], s[24:25]
	s_cbranch_execz .LBB232_1297
; %bb.1240:
	v_cmp_lt_i16_e64 s[4:5], 1, v9
                                        ; implicit-def: $vgpr15
	s_and_saveexec_b64 s[26:27], s[4:5]
	s_xor_b64 s[26:27], exec, s[26:27]
	s_cbranch_execz .LBB232_1274
; %bb.1241:
	v_cmp_lt_i16_e64 s[4:5], 2, v9
                                        ; implicit-def: $vgpr15
	s_and_saveexec_b64 s[28:29], s[4:5]
	s_xor_b64 s[28:29], exec, s[28:29]
	;; [unrolled: 6-line block ×3, first 2 shown]
	s_cbranch_execz .LBB232_1252
; %bb.1243:
	flat_load_dwordx2 v[0:1], v[0:1]
	s_mov_b32 s4, 0x47800000
	s_waitcnt vmcnt(0) lgkmcnt(0)
	v_xor_b32_e32 v21, v0, v1
	v_ffbh_i32_e32 v15, v1
	v_ashrrev_i32_e32 v21, 31, v21
	v_add_u32_e32 v15, -1, v15
	v_add_u32_e32 v21, 32, v21
	v_min_u32_e32 v15, v15, v21
	v_lshlrev_b64 v[0:1], v15, v[0:1]
	v_min_u32_e32 v0, 1, v0
	v_or_b32_e32 v0, v1, v0
	v_cvt_f32_i32_e32 v0, v0
	v_sub_u32_e32 v1, 32, v15
	v_ldexp_f32 v0, v0, v1
	v_and_b32_e32 v15, 0x7fffffff, v0
	v_cmp_gt_u32_e64 s[4:5], s4, v15
                                        ; implicit-def: $vgpr1
	s_and_saveexec_b64 s[38:39], s[4:5]
	s_xor_b64 s[38:39], exec, s[38:39]
	s_cbranch_execz .LBB232_1249
; %bb.1244:
	s_mov_b32 s4, 0x387fffff
	v_cmp_lt_u32_e64 s[4:5], s4, v15
                                        ; implicit-def: $vgpr1
	s_and_saveexec_b64 s[40:41], s[4:5]
	s_xor_b64 s[4:5], exec, s[40:41]
; %bb.1245:
	v_bfe_u32 v1, v0, 21, 1
	s_mov_b32 s33, 0x80fffff
	v_add3_u32 v1, v0, v1, s33
	v_lshrrev_b32_e32 v1, 21, v1
; %bb.1246:
	s_andn2_saveexec_b64 s[4:5], s[4:5]
; %bb.1247:
	s_mov_b32 s33, 0x43000000
	v_add_f32_e64 v1, |v0|, s33
; %bb.1248:
	s_or_b64 exec, exec, s[4:5]
                                        ; implicit-def: $vgpr15
.LBB232_1249:
	s_andn2_saveexec_b64 s[38:39], s[38:39]
; %bb.1250:
	s_mov_b32 s4, 0x7f800000
	v_mov_b32_e32 v1, 0x7c
	v_mov_b32_e32 v21, 0x7f
	v_cmp_lt_u32_e64 s[4:5], s4, v15
	v_cndmask_b32_e64 v1, v1, v21, s[4:5]
; %bb.1251:
	s_or_b64 exec, exec, s[38:39]
	v_lshrrev_b32_e32 v0, 24, v0
	s_movk_i32 s4, 0x80
	v_and_or_b32 v15, v0, s4, v1
                                        ; implicit-def: $vgpr0_vgpr1
.LBB232_1252:
	s_andn2_saveexec_b64 s[30:31], s[30:31]
	s_cbranch_execz .LBB232_1262
; %bb.1253:
	flat_load_dword v0, v[0:1]
	s_mov_b32 s4, 0x47800000
                                        ; implicit-def: $vgpr1
	s_waitcnt vmcnt(0) lgkmcnt(0)
	v_cvt_f32_i32_e32 v0, v0
	v_and_b32_e32 v15, 0x7fffffff, v0
	v_cmp_gt_u32_e64 s[4:5], s4, v15
	s_and_saveexec_b64 s[38:39], s[4:5]
	s_xor_b64 s[38:39], exec, s[38:39]
	s_cbranch_execz .LBB232_1259
; %bb.1254:
	s_mov_b32 s4, 0x387fffff
	v_cmp_lt_u32_e64 s[4:5], s4, v15
                                        ; implicit-def: $vgpr1
	s_and_saveexec_b64 s[40:41], s[4:5]
	s_xor_b64 s[4:5], exec, s[40:41]
; %bb.1255:
	v_bfe_u32 v1, v0, 21, 1
	s_mov_b32 s33, 0x80fffff
	v_add3_u32 v1, v0, v1, s33
	v_lshrrev_b32_e32 v1, 21, v1
; %bb.1256:
	s_andn2_saveexec_b64 s[4:5], s[4:5]
; %bb.1257:
	s_mov_b32 s33, 0x43000000
	v_add_f32_e64 v1, |v0|, s33
; %bb.1258:
	s_or_b64 exec, exec, s[4:5]
                                        ; implicit-def: $vgpr15
.LBB232_1259:
	s_andn2_saveexec_b64 s[38:39], s[38:39]
; %bb.1260:
	s_mov_b32 s4, 0x7f800000
	v_mov_b32_e32 v1, 0x7c
	v_mov_b32_e32 v21, 0x7f
	v_cmp_lt_u32_e64 s[4:5], s4, v15
	v_cndmask_b32_e64 v1, v1, v21, s[4:5]
; %bb.1261:
	s_or_b64 exec, exec, s[38:39]
	v_lshrrev_b32_e32 v0, 24, v0
	s_movk_i32 s4, 0x80
	v_and_or_b32 v15, v0, s4, v1
.LBB232_1262:
	s_or_b64 exec, exec, s[30:31]
                                        ; implicit-def: $vgpr0_vgpr1
.LBB232_1263:
	s_andn2_saveexec_b64 s[28:29], s[28:29]
	s_cbranch_execz .LBB232_1273
; %bb.1264:
	flat_load_sshort v0, v[0:1]
	s_mov_b32 s4, 0x47800000
                                        ; implicit-def: $vgpr1
	s_waitcnt vmcnt(0) lgkmcnt(0)
	v_cvt_f32_i32_e32 v0, v0
	v_and_b32_e32 v15, 0x7fffffff, v0
	v_cmp_gt_u32_e64 s[4:5], s4, v15
	s_and_saveexec_b64 s[30:31], s[4:5]
	s_xor_b64 s[30:31], exec, s[30:31]
	s_cbranch_execz .LBB232_1270
; %bb.1265:
	s_mov_b32 s4, 0x387fffff
	v_cmp_lt_u32_e64 s[4:5], s4, v15
                                        ; implicit-def: $vgpr1
	s_and_saveexec_b64 s[38:39], s[4:5]
	s_xor_b64 s[4:5], exec, s[38:39]
; %bb.1266:
	v_bfe_u32 v1, v0, 21, 1
	s_mov_b32 s33, 0x80fffff
	v_add3_u32 v1, v0, v1, s33
	v_lshrrev_b32_e32 v1, 21, v1
; %bb.1267:
	s_andn2_saveexec_b64 s[4:5], s[4:5]
; %bb.1268:
	s_mov_b32 s33, 0x43000000
	v_add_f32_e64 v1, |v0|, s33
; %bb.1269:
	s_or_b64 exec, exec, s[4:5]
                                        ; implicit-def: $vgpr15
.LBB232_1270:
	s_andn2_saveexec_b64 s[30:31], s[30:31]
; %bb.1271:
	s_mov_b32 s4, 0x7f800000
	v_mov_b32_e32 v1, 0x7c
	v_mov_b32_e32 v21, 0x7f
	v_cmp_lt_u32_e64 s[4:5], s4, v15
	v_cndmask_b32_e64 v1, v1, v21, s[4:5]
; %bb.1272:
	s_or_b64 exec, exec, s[30:31]
	v_lshrrev_b32_e32 v0, 24, v0
	s_movk_i32 s4, 0x80
	v_and_or_b32 v15, v0, s4, v1
.LBB232_1273:
	s_or_b64 exec, exec, s[28:29]
                                        ; implicit-def: $vgpr0_vgpr1
.LBB232_1274:
	s_andn2_saveexec_b64 s[26:27], s[26:27]
	s_cbranch_execz .LBB232_1296
; %bb.1275:
	v_cmp_lt_i16_e64 s[4:5], 0, v9
                                        ; implicit-def: $vgpr15
	s_and_saveexec_b64 s[28:29], s[4:5]
	s_xor_b64 s[28:29], exec, s[28:29]
	s_cbranch_execz .LBB232_1285
; %bb.1276:
	flat_load_sbyte v0, v[0:1]
	s_mov_b32 s4, 0x47800000
                                        ; implicit-def: $vgpr1
	s_waitcnt vmcnt(0) lgkmcnt(0)
	v_cvt_f32_i32_e32 v0, v0
	v_and_b32_e32 v15, 0x7fffffff, v0
	v_cmp_gt_u32_e64 s[4:5], s4, v15
	s_and_saveexec_b64 s[30:31], s[4:5]
	s_xor_b64 s[30:31], exec, s[30:31]
	s_cbranch_execz .LBB232_1282
; %bb.1277:
	s_mov_b32 s4, 0x387fffff
	v_cmp_lt_u32_e64 s[4:5], s4, v15
                                        ; implicit-def: $vgpr1
	s_and_saveexec_b64 s[38:39], s[4:5]
	s_xor_b64 s[4:5], exec, s[38:39]
; %bb.1278:
	v_bfe_u32 v1, v0, 21, 1
	s_mov_b32 s33, 0x80fffff
	v_add3_u32 v1, v0, v1, s33
	v_lshrrev_b32_e32 v1, 21, v1
; %bb.1279:
	s_andn2_saveexec_b64 s[4:5], s[4:5]
; %bb.1280:
	s_mov_b32 s33, 0x43000000
	v_add_f32_e64 v1, |v0|, s33
; %bb.1281:
	s_or_b64 exec, exec, s[4:5]
                                        ; implicit-def: $vgpr15
.LBB232_1282:
	s_andn2_saveexec_b64 s[30:31], s[30:31]
; %bb.1283:
	s_mov_b32 s4, 0x7f800000
	v_mov_b32_e32 v1, 0x7c
	v_mov_b32_e32 v21, 0x7f
	v_cmp_lt_u32_e64 s[4:5], s4, v15
	v_cndmask_b32_e64 v1, v1, v21, s[4:5]
; %bb.1284:
	s_or_b64 exec, exec, s[30:31]
	v_lshrrev_b32_e32 v0, 24, v0
	s_movk_i32 s4, 0x80
	v_and_or_b32 v15, v0, s4, v1
                                        ; implicit-def: $vgpr0_vgpr1
.LBB232_1285:
	s_andn2_saveexec_b64 s[28:29], s[28:29]
	s_cbranch_execz .LBB232_1295
; %bb.1286:
	flat_load_ubyte v0, v[0:1]
	s_mov_b32 s4, 0x47800000
                                        ; implicit-def: $vgpr15
	s_waitcnt vmcnt(0) lgkmcnt(0)
	v_cvt_f32_ubyte0_e32 v0, v0
	v_cmp_gt_u32_e64 s[4:5], s4, v0
	s_and_saveexec_b64 s[30:31], s[4:5]
	s_xor_b64 s[30:31], exec, s[30:31]
	s_cbranch_execz .LBB232_1292
; %bb.1287:
	s_mov_b32 s4, 0x387fffff
	v_cmp_lt_u32_e64 s[4:5], s4, v0
                                        ; implicit-def: $vgpr15
	s_and_saveexec_b64 s[38:39], s[4:5]
	s_xor_b64 s[4:5], exec, s[38:39]
; %bb.1288:
	v_bfe_u32 v1, v0, 21, 1
	s_mov_b32 s33, 0x80fffff
	v_add3_u32 v0, v0, v1, s33
	v_lshrrev_b32_e32 v15, 21, v0
                                        ; implicit-def: $vgpr0
; %bb.1289:
	s_andn2_saveexec_b64 s[4:5], s[4:5]
; %bb.1290:
	v_add_f32_e32 v15, 0x43000000, v0
; %bb.1291:
	s_or_b64 exec, exec, s[4:5]
                                        ; implicit-def: $vgpr0
.LBB232_1292:
	s_andn2_saveexec_b64 s[30:31], s[30:31]
; %bb.1293:
	s_mov_b32 s4, 0x7f800000
	v_mov_b32_e32 v1, 0x7c
	v_mov_b32_e32 v15, 0x7f
	v_cmp_lt_u32_e64 s[4:5], s4, v0
	v_cndmask_b32_e64 v15, v1, v15, s[4:5]
; %bb.1294:
	s_or_b64 exec, exec, s[30:31]
.LBB232_1295:
	s_or_b64 exec, exec, s[28:29]
.LBB232_1296:
	s_or_b64 exec, exec, s[26:27]
.LBB232_1297:
	s_or_b64 exec, exec, s[24:25]
	s_or_b64 s[8:9], s[8:9], exec
.LBB232_1298:
	s_or_b64 exec, exec, s[6:7]
	s_mov_b64 s[4:5], 0
	s_mov_b64 s[28:29], 0
                                        ; implicit-def: $sgpr6_sgpr7
                                        ; implicit-def: $vgpr0_vgpr1
                                        ; implicit-def: $vgpr21
	s_and_saveexec_b64 s[24:25], s[8:9]
	s_cbranch_execz .LBB232_2048
; %bb.1299:
	v_add_u32_e32 v0, v20, v19
	v_ashrrev_i32_e32 v1, 31, v0
	v_add_co_u32_e64 v0, s[4:5], v13, v0
	v_addc_co_u32_e64 v1, s[4:5], v14, v1, s[4:5]
	v_cmp_lt_i16_e64 s[4:5], 10, v10
	s_mov_b64 s[8:9], 0
	s_mov_b64 s[26:27], s[22:23]
                                        ; implicit-def: $vgpr13
	s_and_saveexec_b64 s[6:7], s[4:5]
	s_xor_b64 s[6:7], exec, s[6:7]
	s_cbranch_execz .LBB232_1394
; %bb.1300:
	v_cmp_lt_i16_e64 s[4:5], 25, v10
	s_mov_b64 s[30:31], 0
                                        ; implicit-def: $vgpr13
	s_and_saveexec_b64 s[26:27], s[4:5]
	s_xor_b64 s[26:27], exec, s[26:27]
	s_cbranch_execz .LBB232_2430
; %bb.1301:
	v_cmp_lt_i16_e64 s[4:5], 28, v10
	;; [unrolled: 7-line block ×3, first 2 shown]
	s_mov_b64 s[40:41], 0
	s_mov_b64 s[42:43], 0
                                        ; implicit-def: $vgpr13
	s_and_saveexec_b64 s[30:31], s[4:5]
	s_xor_b64 s[30:31], exec, s[30:31]
	s_cbranch_execz .LBB232_1328
; %bb.1303:
	v_cmp_lt_i16_e64 s[4:5], 45, v10
                                        ; implicit-def: $vgpr13
	s_and_saveexec_b64 s[42:43], s[4:5]
	s_xor_b64 s[42:43], exec, s[42:43]
	s_cbranch_execz .LBB232_1315
; %bb.1304:
	v_cmp_eq_u16_e64 s[4:5], 46, v10
	s_mov_b64 s[44:45], -1
                                        ; implicit-def: $vgpr13
	s_and_saveexec_b64 s[38:39], s[4:5]
	s_cbranch_execz .LBB232_1314
; %bb.1305:
	flat_load_dword v10, v[0:1]
	s_mov_b32 s4, 0x47800000
                                        ; implicit-def: $vgpr13
	s_waitcnt vmcnt(0) lgkmcnt(0)
	v_lshlrev_b32_e32 v10, 16, v10
	v_and_b32_e32 v14, 0x7fffffff, v10
	v_cmp_gt_u32_e64 s[4:5], s4, v14
	s_and_saveexec_b64 s[40:41], s[4:5]
	s_xor_b64 s[40:41], exec, s[40:41]
	s_cbranch_execz .LBB232_1311
; %bb.1306:
	s_mov_b32 s4, 0x387fffff
	v_cmp_lt_u32_e64 s[4:5], s4, v14
                                        ; implicit-def: $vgpr13
	s_and_saveexec_b64 s[44:45], s[4:5]
	s_xor_b64 s[4:5], exec, s[44:45]
; %bb.1307:
	v_bfe_u32 v13, v10, 21, 1
	s_mov_b32 s33, 0x80fffff
	v_add3_u32 v13, v10, v13, s33
	v_lshrrev_b32_e32 v13, 21, v13
; %bb.1308:
	s_andn2_saveexec_b64 s[4:5], s[4:5]
; %bb.1309:
	s_mov_b32 s33, 0x43000000
	v_add_f32_e64 v13, |v10|, s33
; %bb.1310:
	s_or_b64 exec, exec, s[4:5]
                                        ; implicit-def: $vgpr14
.LBB232_1311:
	s_andn2_saveexec_b64 s[40:41], s[40:41]
; %bb.1312:
	s_mov_b32 s4, 0x7f800000
	v_mov_b32_e32 v13, 0x7c
	v_mov_b32_e32 v19, 0x7f
	v_cmp_lt_u32_e64 s[4:5], s4, v14
	v_cndmask_b32_e64 v13, v13, v19, s[4:5]
; %bb.1313:
	s_or_b64 exec, exec, s[40:41]
	v_lshrrev_b32_e32 v10, 24, v10
	s_movk_i32 s4, 0x80
	s_mov_b64 s[40:41], exec
	v_and_or_b32 v13, v10, s4, v13
	s_xor_b64 s[44:45], exec, -1
.LBB232_1314:
	s_or_b64 exec, exec, s[38:39]
	s_and_b64 s[40:41], s[40:41], exec
	s_and_b64 s[38:39], s[44:45], exec
                                        ; implicit-def: $vgpr10
.LBB232_1315:
	s_andn2_saveexec_b64 s[42:43], s[42:43]
	s_cbranch_execz .LBB232_1327
; %bb.1316:
	v_cmp_eq_u16_e64 s[4:5], 44, v10
	s_mov_b64 s[46:47], -1
	s_mov_b64 s[48:49], s[40:41]
                                        ; implicit-def: $vgpr13
	s_and_saveexec_b64 s[44:45], s[4:5]
	s_cbranch_execz .LBB232_1326
; %bb.1317:
	flat_load_ubyte v10, v[0:1]
	s_movk_i32 s4, 0xff
	v_mov_b32_e32 v13, 0x7f800001
	v_mov_b32_e32 v14, 0x400000
	s_waitcnt vmcnt(0) lgkmcnt(0)
	v_lshlrev_b32_e32 v19, 23, v10
	v_cmp_ne_u32_e64 s[4:5], s4, v10
	v_cndmask_b32_e64 v13, v13, v19, s[4:5]
	v_cmp_ne_u32_e64 s[4:5], 0, v10
	v_cndmask_b32_e64 v10, v14, v13, s[4:5]
	s_mov_b32 s4, 0x47800000
	v_cmp_gt_u32_e64 s[4:5], s4, v10
                                        ; implicit-def: $vgpr13
	s_and_saveexec_b64 s[46:47], s[4:5]
	s_xor_b64 s[46:47], exec, s[46:47]
	s_cbranch_execz .LBB232_1323
; %bb.1318:
	s_mov_b32 s4, 0x387fffff
	v_cmp_lt_u32_e64 s[4:5], s4, v10
                                        ; implicit-def: $vgpr13
	s_and_saveexec_b64 s[48:49], s[4:5]
	s_xor_b64 s[4:5], exec, s[48:49]
; %bb.1319:
	v_bfe_u32 v13, v10, 21, 1
	s_mov_b32 s33, 0x80fffff
	v_add3_u32 v10, v10, v13, s33
	v_lshrrev_b32_e32 v13, 21, v10
                                        ; implicit-def: $vgpr10
; %bb.1320:
	s_andn2_saveexec_b64 s[4:5], s[4:5]
; %bb.1321:
	v_add_f32_e32 v13, 0x43000000, v10
; %bb.1322:
	s_or_b64 exec, exec, s[4:5]
                                        ; implicit-def: $vgpr10
.LBB232_1323:
	s_andn2_saveexec_b64 s[46:47], s[46:47]
; %bb.1324:
	s_mov_b32 s4, 0x7f800000
	v_mov_b32_e32 v13, 0x7c
	v_mov_b32_e32 v14, 0x7f
	v_cmp_lt_u32_e64 s[4:5], s4, v10
	v_cndmask_b32_e64 v13, v13, v14, s[4:5]
; %bb.1325:
	s_or_b64 exec, exec, s[46:47]
	s_or_b64 s[48:49], s[40:41], exec
	s_xor_b64 s[46:47], exec, -1
.LBB232_1326:
	s_or_b64 exec, exec, s[44:45]
	s_andn2_b64 s[4:5], s[40:41], exec
	s_and_b64 s[40:41], s[48:49], exec
	s_or_b64 s[40:41], s[4:5], s[40:41]
	s_andn2_b64 s[4:5], s[38:39], exec
	s_and_b64 s[38:39], s[46:47], exec
	s_or_b64 s[38:39], s[4:5], s[38:39]
.LBB232_1327:
	s_or_b64 exec, exec, s[42:43]
	s_and_b64 s[42:43], s[40:41], exec
	s_and_b64 s[40:41], s[38:39], exec
                                        ; implicit-def: $vgpr10
.LBB232_1328:
	s_andn2_saveexec_b64 s[30:31], s[30:31]
	s_cbranch_execz .LBB232_1340
; %bb.1329:
	v_cmp_eq_u16_e64 s[4:5], 29, v10
	s_mov_b64 s[44:45], -1
	s_mov_b64 s[46:47], s[42:43]
                                        ; implicit-def: $vgpr13
	s_and_saveexec_b64 s[38:39], s[4:5]
	s_cbranch_execz .LBB232_1339
; %bb.1330:
	flat_load_dwordx2 v[13:14], v[0:1]
	s_mov_b32 s4, 0x47800000
	s_waitcnt vmcnt(0) lgkmcnt(0)
	v_ffbh_u32_e32 v10, v14
	v_min_u32_e32 v10, 32, v10
	v_lshlrev_b64 v[13:14], v10, v[13:14]
	v_sub_u32_e32 v10, 32, v10
	v_min_u32_e32 v13, 1, v13
	v_or_b32_e32 v13, v14, v13
	v_cvt_f32_u32_e32 v13, v13
	v_ldexp_f32 v10, v13, v10
	v_cmp_gt_u32_e64 s[4:5], s4, v10
                                        ; implicit-def: $vgpr13
	s_and_saveexec_b64 s[44:45], s[4:5]
	s_xor_b64 s[44:45], exec, s[44:45]
	s_cbranch_execz .LBB232_1336
; %bb.1331:
	s_mov_b32 s4, 0x387fffff
	v_cmp_lt_u32_e64 s[4:5], s4, v10
                                        ; implicit-def: $vgpr13
	s_and_saveexec_b64 s[46:47], s[4:5]
	s_xor_b64 s[4:5], exec, s[46:47]
; %bb.1332:
	v_bfe_u32 v13, v10, 21, 1
	s_mov_b32 s33, 0x80fffff
	v_add3_u32 v10, v10, v13, s33
	v_lshrrev_b32_e32 v13, 21, v10
                                        ; implicit-def: $vgpr10
; %bb.1333:
	s_andn2_saveexec_b64 s[4:5], s[4:5]
; %bb.1334:
	v_add_f32_e32 v13, 0x43000000, v10
; %bb.1335:
	s_or_b64 exec, exec, s[4:5]
                                        ; implicit-def: $vgpr10
.LBB232_1336:
	s_andn2_saveexec_b64 s[44:45], s[44:45]
; %bb.1337:
	s_mov_b32 s4, 0x7f800000
	v_mov_b32_e32 v13, 0x7c
	v_mov_b32_e32 v14, 0x7f
	v_cmp_lt_u32_e64 s[4:5], s4, v10
	v_cndmask_b32_e64 v13, v13, v14, s[4:5]
; %bb.1338:
	s_or_b64 exec, exec, s[44:45]
	s_or_b64 s[46:47], s[42:43], exec
	s_xor_b64 s[44:45], exec, -1
.LBB232_1339:
	s_or_b64 exec, exec, s[38:39]
	s_andn2_b64 s[4:5], s[42:43], exec
	s_and_b64 s[38:39], s[46:47], exec
	s_or_b64 s[42:43], s[4:5], s[38:39]
	s_andn2_b64 s[4:5], s[40:41], exec
	s_and_b64 s[38:39], s[44:45], exec
	s_or_b64 s[40:41], s[4:5], s[38:39]
.LBB232_1340:
	s_or_b64 exec, exec, s[30:31]
	s_and_b64 s[38:39], s[42:43], exec
	s_and_b64 s[30:31], s[40:41], exec
                                        ; implicit-def: $vgpr10
.LBB232_1341:
	s_andn2_saveexec_b64 s[28:29], s[28:29]
	s_cbranch_execz .LBB232_1381
; %bb.1342:
	v_cmp_lt_i16_e64 s[4:5], 26, v10
                                        ; implicit-def: $vgpr13
	s_and_saveexec_b64 s[40:41], s[4:5]
	s_xor_b64 s[40:41], exec, s[40:41]
	s_cbranch_execz .LBB232_1364
; %bb.1343:
	v_cmp_lt_i16_e64 s[4:5], 27, v10
                                        ; implicit-def: $vgpr13
	s_and_saveexec_b64 s[42:43], s[4:5]
	s_xor_b64 s[42:43], exec, s[42:43]
	s_cbranch_execz .LBB232_1353
; %bb.1344:
	flat_load_dword v10, v[0:1]
	s_mov_b32 s4, 0x47800000
                                        ; implicit-def: $vgpr13
	s_waitcnt vmcnt(0) lgkmcnt(0)
	v_cvt_f32_u32_e32 v10, v10
	v_cmp_gt_u32_e64 s[4:5], s4, v10
	s_and_saveexec_b64 s[44:45], s[4:5]
	s_xor_b64 s[44:45], exec, s[44:45]
	s_cbranch_execz .LBB232_1350
; %bb.1345:
	s_mov_b32 s4, 0x387fffff
	v_cmp_lt_u32_e64 s[4:5], s4, v10
                                        ; implicit-def: $vgpr13
	s_and_saveexec_b64 s[46:47], s[4:5]
	s_xor_b64 s[4:5], exec, s[46:47]
; %bb.1346:
	v_bfe_u32 v13, v10, 21, 1
	s_mov_b32 s33, 0x80fffff
	v_add3_u32 v10, v10, v13, s33
	v_lshrrev_b32_e32 v13, 21, v10
                                        ; implicit-def: $vgpr10
; %bb.1347:
	s_andn2_saveexec_b64 s[4:5], s[4:5]
; %bb.1348:
	v_add_f32_e32 v13, 0x43000000, v10
; %bb.1349:
	s_or_b64 exec, exec, s[4:5]
                                        ; implicit-def: $vgpr10
.LBB232_1350:
	s_andn2_saveexec_b64 s[44:45], s[44:45]
; %bb.1351:
	s_mov_b32 s4, 0x7f800000
	v_mov_b32_e32 v13, 0x7c
	v_mov_b32_e32 v14, 0x7f
	v_cmp_lt_u32_e64 s[4:5], s4, v10
	v_cndmask_b32_e64 v13, v13, v14, s[4:5]
; %bb.1352:
	s_or_b64 exec, exec, s[44:45]
.LBB232_1353:
	s_andn2_saveexec_b64 s[42:43], s[42:43]
	s_cbranch_execz .LBB232_1363
; %bb.1354:
	flat_load_ushort v10, v[0:1]
	s_mov_b32 s4, 0x47800000
                                        ; implicit-def: $vgpr13
	s_waitcnt vmcnt(0) lgkmcnt(0)
	v_cvt_f32_u32_e32 v10, v10
	v_cmp_gt_u32_e64 s[4:5], s4, v10
	s_and_saveexec_b64 s[44:45], s[4:5]
	s_xor_b64 s[44:45], exec, s[44:45]
	s_cbranch_execz .LBB232_1360
; %bb.1355:
	s_mov_b32 s4, 0x387fffff
	v_cmp_lt_u32_e64 s[4:5], s4, v10
                                        ; implicit-def: $vgpr13
	s_and_saveexec_b64 s[46:47], s[4:5]
	s_xor_b64 s[4:5], exec, s[46:47]
; %bb.1356:
	v_bfe_u32 v13, v10, 21, 1
	s_mov_b32 s33, 0x80fffff
	v_add3_u32 v10, v10, v13, s33
	v_lshrrev_b32_e32 v13, 21, v10
                                        ; implicit-def: $vgpr10
; %bb.1357:
	s_andn2_saveexec_b64 s[4:5], s[4:5]
; %bb.1358:
	v_add_f32_e32 v13, 0x43000000, v10
; %bb.1359:
	s_or_b64 exec, exec, s[4:5]
                                        ; implicit-def: $vgpr10
.LBB232_1360:
	s_andn2_saveexec_b64 s[44:45], s[44:45]
; %bb.1361:
	s_mov_b32 s4, 0x7f800000
	v_mov_b32_e32 v13, 0x7c
	v_mov_b32_e32 v14, 0x7f
	v_cmp_lt_u32_e64 s[4:5], s4, v10
	v_cndmask_b32_e64 v13, v13, v14, s[4:5]
; %bb.1362:
	s_or_b64 exec, exec, s[44:45]
.LBB232_1363:
	s_or_b64 exec, exec, s[42:43]
.LBB232_1364:
	s_andn2_saveexec_b64 s[40:41], s[40:41]
	s_cbranch_execz .LBB232_1380
; %bb.1365:
	flat_load_ubyte v13, v[0:1]
	s_movk_i32 s4, 0x7f
	s_mov_b64 s[42:43], 0
	s_waitcnt vmcnt(0) lgkmcnt(0)
	v_cmp_lt_i16_e64 s[4:5], s4, v13
	s_and_saveexec_b64 s[44:45], s[4:5]
	s_xor_b64 s[44:45], exec, s[44:45]
	s_cbranch_execz .LBB232_2595
; %bb.1366:
	s_movk_i32 s4, 0x80
	v_cmp_eq_u16_e64 s[4:5], s4, v13
	s_mov_b64 s[42:43], -1
	s_and_saveexec_b64 s[46:47], s[4:5]
; %bb.1367:
	s_xor_b64 s[42:43], exec, -1
; %bb.1368:
	s_or_b64 exec, exec, s[46:47]
	s_and_b64 s[42:43], s[42:43], exec
	s_or_saveexec_b64 s[44:45], s[44:45]
	v_mov_b32_e32 v10, 0x7f800001
	s_xor_b64 exec, exec, s[44:45]
	s_cbranch_execnz .LBB232_2596
.LBB232_1369:
	s_or_b64 exec, exec, s[44:45]
	s_and_saveexec_b64 s[44:45], s[42:43]
	s_cbranch_execz .LBB232_1371
.LBB232_1370:
	v_lshlrev_b32_e32 v10, 24, v13
	v_and_b32_e32 v13, 0xffff, v13
	v_and_b32_e32 v14, 7, v13
	v_ffbh_u32_e32 v20, v14
	v_min_u32_e32 v20, 32, v20
	v_subrev_u32_e32 v21, 28, v20
	v_bfe_u32 v19, v13, 3, 4
	v_lshlrev_b32_e32 v13, v21, v13
	v_sub_u32_e32 v20, 29, v20
	v_and_b32_e32 v13, 7, v13
	v_cmp_eq_u32_e64 s[4:5], 0, v19
	v_cndmask_b32_e64 v19, v19, v20, s[4:5]
	v_cndmask_b32_e64 v13, v14, v13, s[4:5]
	v_mov_b32_e32 v14, 0x3b800000
	v_lshlrev_b32_e32 v13, 20, v13
	v_and_b32_e32 v10, 0x80000000, v10
	v_lshl_add_u32 v14, v19, 23, v14
	v_or3_b32 v10, v10, v14, v13
.LBB232_1371:
	s_or_b64 exec, exec, s[44:45]
	v_and_b32_e32 v14, 0x7fffffff, v10
	s_mov_b32 s4, 0x47800000
	v_cmp_gt_u32_e64 s[4:5], s4, v14
                                        ; implicit-def: $vgpr13
	s_and_saveexec_b64 s[42:43], s[4:5]
	s_xor_b64 s[42:43], exec, s[42:43]
	s_cbranch_execz .LBB232_1377
; %bb.1372:
	s_mov_b32 s4, 0x387fffff
	v_cmp_lt_u32_e64 s[4:5], s4, v14
                                        ; implicit-def: $vgpr13
	s_and_saveexec_b64 s[44:45], s[4:5]
	s_xor_b64 s[4:5], exec, s[44:45]
; %bb.1373:
	v_bfe_u32 v13, v10, 21, 1
	s_mov_b32 s33, 0x80fffff
	v_add3_u32 v13, v10, v13, s33
	v_lshrrev_b32_e32 v13, 21, v13
; %bb.1374:
	s_andn2_saveexec_b64 s[4:5], s[4:5]
; %bb.1375:
	s_mov_b32 s33, 0x43000000
	v_add_f32_e64 v13, |v10|, s33
; %bb.1376:
	s_or_b64 exec, exec, s[4:5]
                                        ; implicit-def: $vgpr14
.LBB232_1377:
	s_andn2_saveexec_b64 s[42:43], s[42:43]
; %bb.1378:
	s_mov_b32 s4, 0x7f800000
	v_mov_b32_e32 v13, 0x7c
	v_mov_b32_e32 v19, 0x7f
	v_cmp_lt_u32_e64 s[4:5], s4, v14
	v_cndmask_b32_e64 v13, v13, v19, s[4:5]
; %bb.1379:
	s_or_b64 exec, exec, s[42:43]
	v_lshrrev_b32_e32 v10, 24, v10
	s_movk_i32 s4, 0x80
	v_and_or_b32 v13, v10, s4, v13
.LBB232_1380:
	s_or_b64 exec, exec, s[40:41]
	s_or_b64 s[38:39], s[38:39], exec
.LBB232_1381:
	s_or_b64 exec, exec, s[28:29]
	s_and_b64 s[28:29], s[38:39], exec
	s_and_b64 s[30:31], s[30:31], exec
                                        ; implicit-def: $vgpr10
	s_andn2_saveexec_b64 s[26:27], s[26:27]
	s_cbranch_execnz .LBB232_2431
.LBB232_1382:
	s_or_b64 exec, exec, s[26:27]
	s_mov_b64 s[26:27], s[22:23]
	s_and_saveexec_b64 s[4:5], s[30:31]
	s_cbranch_execnz .LBB232_2480
.LBB232_1383:
	s_or_b64 exec, exec, s[4:5]
	s_and_saveexec_b64 s[30:31], s[8:9]
	s_cbranch_execz .LBB232_1393
.LBB232_1384:
	flat_load_ubyte v0, v[0:1]
                                        ; implicit-def: $vgpr13
	s_waitcnt vmcnt(0) lgkmcnt(0)
	v_cmp_ne_u16_e64 s[4:5], 0, v0
	v_cndmask_b32_e64 v0, 0, 1.0, s[4:5]
	s_mov_b32 s4, 0x47800000
	v_cmp_gt_u32_e64 s[4:5], s4, v0
	s_and_saveexec_b64 s[8:9], s[4:5]
	s_xor_b64 s[8:9], exec, s[8:9]
	s_cbranch_execz .LBB232_1390
; %bb.1385:
	s_mov_b32 s4, 0x387fffff
	v_cmp_lt_u32_e64 s[4:5], s4, v0
                                        ; implicit-def: $vgpr13
	s_and_saveexec_b64 s[38:39], s[4:5]
	s_xor_b64 s[4:5], exec, s[38:39]
; %bb.1386:
	v_bfe_u32 v1, v0, 21, 1
	s_mov_b32 s33, 0x80fffff
	v_add3_u32 v0, v0, v1, s33
	v_lshrrev_b32_e32 v13, 21, v0
                                        ; implicit-def: $vgpr0
; %bb.1387:
	s_andn2_saveexec_b64 s[4:5], s[4:5]
; %bb.1388:
	v_add_f32_e32 v13, 0x43000000, v0
; %bb.1389:
	s_or_b64 exec, exec, s[4:5]
                                        ; implicit-def: $vgpr0
.LBB232_1390:
	s_andn2_saveexec_b64 s[8:9], s[8:9]
; %bb.1391:
	s_mov_b32 s4, 0x7f800000
	v_mov_b32_e32 v1, 0x7c
	v_mov_b32_e32 v10, 0x7f
	v_cmp_lt_u32_e64 s[4:5], s4, v0
	v_cndmask_b32_e64 v13, v1, v10, s[4:5]
; %bb.1392:
	s_or_b64 exec, exec, s[8:9]
	s_or_b64 s[28:29], s[28:29], exec
.LBB232_1393:
	s_or_b64 exec, exec, s[30:31]
	s_andn2_b64 s[4:5], s[22:23], exec
	s_and_b64 s[8:9], s[26:27], exec
	s_or_b64 s[26:27], s[4:5], s[8:9]
	s_and_b64 s[8:9], s[28:29], exec
                                        ; implicit-def: $vgpr10
                                        ; implicit-def: $vgpr0_vgpr1
.LBB232_1394:
	s_andn2_saveexec_b64 s[6:7], s[6:7]
	s_cbranch_execz .LBB232_1524
; %bb.1395:
	v_cmp_lt_i16_e64 s[4:5], 4, v10
                                        ; implicit-def: $vgpr13
	s_and_saveexec_b64 s[28:29], s[4:5]
	s_xor_b64 s[28:29], exec, s[28:29]
	s_cbranch_execz .LBB232_1465
; %bb.1396:
	v_cmp_lt_i16_e64 s[4:5], 7, v10
                                        ; implicit-def: $vgpr13
	s_and_saveexec_b64 s[30:31], s[4:5]
	s_xor_b64 s[30:31], exec, s[30:31]
	;; [unrolled: 6-line block ×4, first 2 shown]
	s_cbranch_execz .LBB232_1408
; %bb.1399:
	flat_load_dwordx2 v[0:1], v[0:1]
	s_mov_b32 s4, 0x47800000
	s_waitcnt vmcnt(0) lgkmcnt(0)
	v_cvt_f32_f64_e32 v0, v[0:1]
                                        ; implicit-def: $vgpr1
	v_and_b32_e32 v10, 0x7fffffff, v0
	v_cmp_gt_u32_e64 s[4:5], s4, v10
	s_and_saveexec_b64 s[42:43], s[4:5]
	s_xor_b64 s[42:43], exec, s[42:43]
	s_cbranch_execz .LBB232_1405
; %bb.1400:
	s_mov_b32 s4, 0x387fffff
	v_cmp_lt_u32_e64 s[4:5], s4, v10
                                        ; implicit-def: $vgpr1
	s_and_saveexec_b64 s[44:45], s[4:5]
	s_xor_b64 s[4:5], exec, s[44:45]
; %bb.1401:
	v_bfe_u32 v1, v0, 21, 1
	s_mov_b32 s33, 0x80fffff
	v_add3_u32 v1, v0, v1, s33
	v_lshrrev_b32_e32 v1, 21, v1
; %bb.1402:
	s_andn2_saveexec_b64 s[4:5], s[4:5]
; %bb.1403:
	s_mov_b32 s33, 0x43000000
	v_add_f32_e64 v1, |v0|, s33
; %bb.1404:
	s_or_b64 exec, exec, s[4:5]
                                        ; implicit-def: $vgpr10
.LBB232_1405:
	s_andn2_saveexec_b64 s[42:43], s[42:43]
; %bb.1406:
	s_mov_b32 s4, 0x7f800000
	v_mov_b32_e32 v1, 0x7c
	v_mov_b32_e32 v13, 0x7f
	v_cmp_lt_u32_e64 s[4:5], s4, v10
	v_cndmask_b32_e64 v1, v1, v13, s[4:5]
; %bb.1407:
	s_or_b64 exec, exec, s[42:43]
	v_lshrrev_b32_e32 v0, 24, v0
	s_movk_i32 s4, 0x80
	v_and_or_b32 v13, v0, s4, v1
                                        ; implicit-def: $vgpr0_vgpr1
.LBB232_1408:
	s_andn2_saveexec_b64 s[40:41], s[40:41]
	s_cbranch_execz .LBB232_1418
; %bb.1409:
	flat_load_dword v0, v[0:1]
	s_mov_b32 s4, 0x47800000
                                        ; implicit-def: $vgpr1
	s_waitcnt vmcnt(0) lgkmcnt(0)
	v_and_b32_e32 v10, 0x7fffffff, v0
	v_cmp_gt_u32_e64 s[4:5], s4, v10
	s_and_saveexec_b64 s[42:43], s[4:5]
	s_xor_b64 s[42:43], exec, s[42:43]
	s_cbranch_execz .LBB232_1415
; %bb.1410:
	s_mov_b32 s4, 0x387fffff
	v_cmp_lt_u32_e64 s[4:5], s4, v10
                                        ; implicit-def: $vgpr1
	s_and_saveexec_b64 s[44:45], s[4:5]
	s_xor_b64 s[4:5], exec, s[44:45]
; %bb.1411:
	v_bfe_u32 v1, v0, 21, 1
	s_mov_b32 s33, 0x80fffff
	v_add3_u32 v1, v0, v1, s33
	v_lshrrev_b32_e32 v1, 21, v1
; %bb.1412:
	s_andn2_saveexec_b64 s[4:5], s[4:5]
; %bb.1413:
	s_mov_b32 s33, 0x43000000
	v_add_f32_e64 v1, |v0|, s33
; %bb.1414:
	s_or_b64 exec, exec, s[4:5]
                                        ; implicit-def: $vgpr10
.LBB232_1415:
	s_andn2_saveexec_b64 s[42:43], s[42:43]
; %bb.1416:
	s_mov_b32 s4, 0x7f800000
	v_mov_b32_e32 v1, 0x7c
	v_mov_b32_e32 v13, 0x7f
	v_cmp_lt_u32_e64 s[4:5], s4, v10
	v_cndmask_b32_e64 v1, v1, v13, s[4:5]
; %bb.1417:
	s_or_b64 exec, exec, s[42:43]
	v_lshrrev_b32_e32 v0, 24, v0
	s_movk_i32 s4, 0x80
	v_and_or_b32 v13, v0, s4, v1
.LBB232_1418:
	s_or_b64 exec, exec, s[40:41]
                                        ; implicit-def: $vgpr0_vgpr1
.LBB232_1419:
	s_andn2_saveexec_b64 s[38:39], s[38:39]
	s_cbranch_execz .LBB232_1429
; %bb.1420:
	flat_load_dword v0, v[0:1]
	s_mov_b32 s4, 0x47800000
                                        ; implicit-def: $vgpr1
	s_waitcnt vmcnt(0) lgkmcnt(0)
	v_cvt_f32_f16_e32 v0, v0
	v_and_b32_e32 v10, 0x7fffffff, v0
	v_cmp_gt_u32_e64 s[4:5], s4, v10
	s_and_saveexec_b64 s[40:41], s[4:5]
	s_xor_b64 s[40:41], exec, s[40:41]
	s_cbranch_execz .LBB232_1426
; %bb.1421:
	s_mov_b32 s4, 0x387fffff
	v_cmp_lt_u32_e64 s[4:5], s4, v10
                                        ; implicit-def: $vgpr1
	s_and_saveexec_b64 s[42:43], s[4:5]
	s_xor_b64 s[4:5], exec, s[42:43]
; %bb.1422:
	v_bfe_u32 v1, v0, 21, 1
	s_mov_b32 s33, 0x80fffff
	v_add3_u32 v1, v0, v1, s33
	v_lshrrev_b32_e32 v1, 21, v1
; %bb.1423:
	s_andn2_saveexec_b64 s[4:5], s[4:5]
; %bb.1424:
	s_mov_b32 s33, 0x43000000
	v_add_f32_e64 v1, |v0|, s33
; %bb.1425:
	s_or_b64 exec, exec, s[4:5]
                                        ; implicit-def: $vgpr10
.LBB232_1426:
	s_andn2_saveexec_b64 s[40:41], s[40:41]
; %bb.1427:
	s_mov_b32 s4, 0x7f800000
	v_mov_b32_e32 v1, 0x7c
	v_mov_b32_e32 v13, 0x7f
	v_cmp_lt_u32_e64 s[4:5], s4, v10
	v_cndmask_b32_e64 v1, v1, v13, s[4:5]
; %bb.1428:
	s_or_b64 exec, exec, s[40:41]
	v_lshrrev_b32_e32 v0, 24, v0
	s_movk_i32 s4, 0x80
	v_and_or_b32 v13, v0, s4, v1
.LBB232_1429:
	s_or_b64 exec, exec, s[38:39]
                                        ; implicit-def: $vgpr10
                                        ; implicit-def: $vgpr0_vgpr1
.LBB232_1430:
	s_andn2_saveexec_b64 s[30:31], s[30:31]
	s_cbranch_execz .LBB232_1464
; %bb.1431:
	v_cmp_lt_i16_e64 s[4:5], 5, v10
                                        ; implicit-def: $vgpr13
	s_and_saveexec_b64 s[38:39], s[4:5]
	s_xor_b64 s[38:39], exec, s[38:39]
	s_cbranch_execz .LBB232_1453
; %bb.1432:
	v_cmp_lt_i16_e64 s[4:5], 6, v10
                                        ; implicit-def: $vgpr13
	s_and_saveexec_b64 s[40:41], s[4:5]
	s_xor_b64 s[40:41], exec, s[40:41]
	s_cbranch_execz .LBB232_1442
; %bb.1433:
	flat_load_dwordx2 v[0:1], v[0:1]
	s_mov_b32 s4, 0x47800000
	s_waitcnt vmcnt(0) lgkmcnt(0)
	v_cvt_f32_f64_e32 v0, v[0:1]
                                        ; implicit-def: $vgpr1
	v_and_b32_e32 v10, 0x7fffffff, v0
	v_cmp_gt_u32_e64 s[4:5], s4, v10
	s_and_saveexec_b64 s[42:43], s[4:5]
	s_xor_b64 s[42:43], exec, s[42:43]
	s_cbranch_execz .LBB232_1439
; %bb.1434:
	s_mov_b32 s4, 0x387fffff
	v_cmp_lt_u32_e64 s[4:5], s4, v10
                                        ; implicit-def: $vgpr1
	s_and_saveexec_b64 s[44:45], s[4:5]
	s_xor_b64 s[4:5], exec, s[44:45]
; %bb.1435:
	v_bfe_u32 v1, v0, 21, 1
	s_mov_b32 s33, 0x80fffff
	v_add3_u32 v1, v0, v1, s33
	v_lshrrev_b32_e32 v1, 21, v1
; %bb.1436:
	s_andn2_saveexec_b64 s[4:5], s[4:5]
; %bb.1437:
	s_mov_b32 s33, 0x43000000
	v_add_f32_e64 v1, |v0|, s33
; %bb.1438:
	s_or_b64 exec, exec, s[4:5]
                                        ; implicit-def: $vgpr10
.LBB232_1439:
	s_andn2_saveexec_b64 s[42:43], s[42:43]
; %bb.1440:
	s_mov_b32 s4, 0x7f800000
	v_mov_b32_e32 v1, 0x7c
	v_mov_b32_e32 v13, 0x7f
	v_cmp_lt_u32_e64 s[4:5], s4, v10
	v_cndmask_b32_e64 v1, v1, v13, s[4:5]
; %bb.1441:
	s_or_b64 exec, exec, s[42:43]
	v_lshrrev_b32_e32 v0, 24, v0
	s_movk_i32 s4, 0x80
	v_and_or_b32 v13, v0, s4, v1
                                        ; implicit-def: $vgpr0_vgpr1
.LBB232_1442:
	s_andn2_saveexec_b64 s[40:41], s[40:41]
	s_cbranch_execz .LBB232_1452
; %bb.1443:
	flat_load_dword v0, v[0:1]
	s_mov_b32 s4, 0x47800000
                                        ; implicit-def: $vgpr1
	s_waitcnt vmcnt(0) lgkmcnt(0)
	v_and_b32_e32 v10, 0x7fffffff, v0
	v_cmp_gt_u32_e64 s[4:5], s4, v10
	s_and_saveexec_b64 s[42:43], s[4:5]
	s_xor_b64 s[42:43], exec, s[42:43]
	s_cbranch_execz .LBB232_1449
; %bb.1444:
	s_mov_b32 s4, 0x387fffff
	v_cmp_lt_u32_e64 s[4:5], s4, v10
                                        ; implicit-def: $vgpr1
	s_and_saveexec_b64 s[44:45], s[4:5]
	s_xor_b64 s[4:5], exec, s[44:45]
; %bb.1445:
	v_bfe_u32 v1, v0, 21, 1
	s_mov_b32 s33, 0x80fffff
	v_add3_u32 v1, v0, v1, s33
	v_lshrrev_b32_e32 v1, 21, v1
; %bb.1446:
	s_andn2_saveexec_b64 s[4:5], s[4:5]
; %bb.1447:
	s_mov_b32 s33, 0x43000000
	v_add_f32_e64 v1, |v0|, s33
; %bb.1448:
	s_or_b64 exec, exec, s[4:5]
                                        ; implicit-def: $vgpr10
.LBB232_1449:
	s_andn2_saveexec_b64 s[42:43], s[42:43]
; %bb.1450:
	s_mov_b32 s4, 0x7f800000
	v_mov_b32_e32 v1, 0x7c
	v_mov_b32_e32 v13, 0x7f
	v_cmp_lt_u32_e64 s[4:5], s4, v10
	v_cndmask_b32_e64 v1, v1, v13, s[4:5]
; %bb.1451:
	s_or_b64 exec, exec, s[42:43]
	v_lshrrev_b32_e32 v0, 24, v0
	s_movk_i32 s4, 0x80
	v_and_or_b32 v13, v0, s4, v1
.LBB232_1452:
	s_or_b64 exec, exec, s[40:41]
                                        ; implicit-def: $vgpr0_vgpr1
.LBB232_1453:
	s_andn2_saveexec_b64 s[38:39], s[38:39]
	s_cbranch_execz .LBB232_1463
; %bb.1454:
	flat_load_ushort v0, v[0:1]
	s_mov_b32 s4, 0x47800000
                                        ; implicit-def: $vgpr1
	s_waitcnt vmcnt(0) lgkmcnt(0)
	v_cvt_f32_f16_e32 v0, v0
	v_and_b32_e32 v10, 0x7fffffff, v0
	v_cmp_gt_u32_e64 s[4:5], s4, v10
	s_and_saveexec_b64 s[40:41], s[4:5]
	s_xor_b64 s[40:41], exec, s[40:41]
	s_cbranch_execz .LBB232_1460
; %bb.1455:
	s_mov_b32 s4, 0x387fffff
	v_cmp_lt_u32_e64 s[4:5], s4, v10
                                        ; implicit-def: $vgpr1
	s_and_saveexec_b64 s[42:43], s[4:5]
	s_xor_b64 s[4:5], exec, s[42:43]
; %bb.1456:
	v_bfe_u32 v1, v0, 21, 1
	s_mov_b32 s33, 0x80fffff
	v_add3_u32 v1, v0, v1, s33
	v_lshrrev_b32_e32 v1, 21, v1
; %bb.1457:
	s_andn2_saveexec_b64 s[4:5], s[4:5]
; %bb.1458:
	s_mov_b32 s33, 0x43000000
	v_add_f32_e64 v1, |v0|, s33
; %bb.1459:
	s_or_b64 exec, exec, s[4:5]
                                        ; implicit-def: $vgpr10
.LBB232_1460:
	s_andn2_saveexec_b64 s[40:41], s[40:41]
; %bb.1461:
	s_mov_b32 s4, 0x7f800000
	v_mov_b32_e32 v1, 0x7c
	v_mov_b32_e32 v13, 0x7f
	v_cmp_lt_u32_e64 s[4:5], s4, v10
	v_cndmask_b32_e64 v1, v1, v13, s[4:5]
; %bb.1462:
	s_or_b64 exec, exec, s[40:41]
	v_lshrrev_b32_e32 v0, 24, v0
	s_movk_i32 s4, 0x80
	v_and_or_b32 v13, v0, s4, v1
.LBB232_1463:
	s_or_b64 exec, exec, s[38:39]
.LBB232_1464:
	s_or_b64 exec, exec, s[30:31]
                                        ; implicit-def: $vgpr10
                                        ; implicit-def: $vgpr0_vgpr1
.LBB232_1465:
	s_andn2_saveexec_b64 s[28:29], s[28:29]
	s_cbranch_execz .LBB232_1523
; %bb.1466:
	v_cmp_lt_i16_e64 s[4:5], 1, v10
                                        ; implicit-def: $vgpr13
	s_and_saveexec_b64 s[30:31], s[4:5]
	s_xor_b64 s[30:31], exec, s[30:31]
	s_cbranch_execz .LBB232_1500
; %bb.1467:
	v_cmp_lt_i16_e64 s[4:5], 2, v10
                                        ; implicit-def: $vgpr13
	s_and_saveexec_b64 s[38:39], s[4:5]
	s_xor_b64 s[38:39], exec, s[38:39]
	;; [unrolled: 6-line block ×3, first 2 shown]
	s_cbranch_execz .LBB232_1478
; %bb.1469:
	flat_load_dwordx2 v[0:1], v[0:1]
	s_mov_b32 s4, 0x47800000
	s_waitcnt vmcnt(0) lgkmcnt(0)
	v_xor_b32_e32 v13, v0, v1
	v_ffbh_i32_e32 v10, v1
	v_ashrrev_i32_e32 v13, 31, v13
	v_add_u32_e32 v10, -1, v10
	v_add_u32_e32 v13, 32, v13
	v_min_u32_e32 v10, v10, v13
	v_lshlrev_b64 v[0:1], v10, v[0:1]
	v_min_u32_e32 v0, 1, v0
	v_or_b32_e32 v0, v1, v0
	v_cvt_f32_i32_e32 v0, v0
	v_sub_u32_e32 v1, 32, v10
	v_ldexp_f32 v0, v0, v1
	v_and_b32_e32 v10, 0x7fffffff, v0
	v_cmp_gt_u32_e64 s[4:5], s4, v10
                                        ; implicit-def: $vgpr1
	s_and_saveexec_b64 s[42:43], s[4:5]
	s_xor_b64 s[42:43], exec, s[42:43]
	s_cbranch_execz .LBB232_1475
; %bb.1470:
	s_mov_b32 s4, 0x387fffff
	v_cmp_lt_u32_e64 s[4:5], s4, v10
                                        ; implicit-def: $vgpr1
	s_and_saveexec_b64 s[44:45], s[4:5]
	s_xor_b64 s[4:5], exec, s[44:45]
; %bb.1471:
	v_bfe_u32 v1, v0, 21, 1
	s_mov_b32 s33, 0x80fffff
	v_add3_u32 v1, v0, v1, s33
	v_lshrrev_b32_e32 v1, 21, v1
; %bb.1472:
	s_andn2_saveexec_b64 s[4:5], s[4:5]
; %bb.1473:
	s_mov_b32 s33, 0x43000000
	v_add_f32_e64 v1, |v0|, s33
; %bb.1474:
	s_or_b64 exec, exec, s[4:5]
                                        ; implicit-def: $vgpr10
.LBB232_1475:
	s_andn2_saveexec_b64 s[42:43], s[42:43]
; %bb.1476:
	s_mov_b32 s4, 0x7f800000
	v_mov_b32_e32 v1, 0x7c
	v_mov_b32_e32 v13, 0x7f
	v_cmp_lt_u32_e64 s[4:5], s4, v10
	v_cndmask_b32_e64 v1, v1, v13, s[4:5]
; %bb.1477:
	s_or_b64 exec, exec, s[42:43]
	v_lshrrev_b32_e32 v0, 24, v0
	s_movk_i32 s4, 0x80
	v_and_or_b32 v13, v0, s4, v1
                                        ; implicit-def: $vgpr0_vgpr1
.LBB232_1478:
	s_andn2_saveexec_b64 s[40:41], s[40:41]
	s_cbranch_execz .LBB232_1488
; %bb.1479:
	flat_load_dword v0, v[0:1]
	s_mov_b32 s4, 0x47800000
                                        ; implicit-def: $vgpr1
	s_waitcnt vmcnt(0) lgkmcnt(0)
	v_cvt_f32_i32_e32 v0, v0
	v_and_b32_e32 v10, 0x7fffffff, v0
	v_cmp_gt_u32_e64 s[4:5], s4, v10
	s_and_saveexec_b64 s[42:43], s[4:5]
	s_xor_b64 s[42:43], exec, s[42:43]
	s_cbranch_execz .LBB232_1485
; %bb.1480:
	s_mov_b32 s4, 0x387fffff
	v_cmp_lt_u32_e64 s[4:5], s4, v10
                                        ; implicit-def: $vgpr1
	s_and_saveexec_b64 s[44:45], s[4:5]
	s_xor_b64 s[4:5], exec, s[44:45]
; %bb.1481:
	v_bfe_u32 v1, v0, 21, 1
	s_mov_b32 s33, 0x80fffff
	v_add3_u32 v1, v0, v1, s33
	v_lshrrev_b32_e32 v1, 21, v1
; %bb.1482:
	s_andn2_saveexec_b64 s[4:5], s[4:5]
; %bb.1483:
	s_mov_b32 s33, 0x43000000
	v_add_f32_e64 v1, |v0|, s33
; %bb.1484:
	s_or_b64 exec, exec, s[4:5]
                                        ; implicit-def: $vgpr10
.LBB232_1485:
	s_andn2_saveexec_b64 s[42:43], s[42:43]
; %bb.1486:
	s_mov_b32 s4, 0x7f800000
	v_mov_b32_e32 v1, 0x7c
	v_mov_b32_e32 v13, 0x7f
	v_cmp_lt_u32_e64 s[4:5], s4, v10
	v_cndmask_b32_e64 v1, v1, v13, s[4:5]
; %bb.1487:
	s_or_b64 exec, exec, s[42:43]
	v_lshrrev_b32_e32 v0, 24, v0
	s_movk_i32 s4, 0x80
	v_and_or_b32 v13, v0, s4, v1
.LBB232_1488:
	s_or_b64 exec, exec, s[40:41]
                                        ; implicit-def: $vgpr0_vgpr1
.LBB232_1489:
	s_andn2_saveexec_b64 s[38:39], s[38:39]
	s_cbranch_execz .LBB232_1499
; %bb.1490:
	flat_load_sshort v0, v[0:1]
	s_mov_b32 s4, 0x47800000
                                        ; implicit-def: $vgpr1
	s_waitcnt vmcnt(0) lgkmcnt(0)
	v_cvt_f32_i32_e32 v0, v0
	v_and_b32_e32 v10, 0x7fffffff, v0
	v_cmp_gt_u32_e64 s[4:5], s4, v10
	s_and_saveexec_b64 s[40:41], s[4:5]
	s_xor_b64 s[40:41], exec, s[40:41]
	s_cbranch_execz .LBB232_1496
; %bb.1491:
	s_mov_b32 s4, 0x387fffff
	v_cmp_lt_u32_e64 s[4:5], s4, v10
                                        ; implicit-def: $vgpr1
	s_and_saveexec_b64 s[42:43], s[4:5]
	s_xor_b64 s[4:5], exec, s[42:43]
; %bb.1492:
	v_bfe_u32 v1, v0, 21, 1
	s_mov_b32 s33, 0x80fffff
	v_add3_u32 v1, v0, v1, s33
	v_lshrrev_b32_e32 v1, 21, v1
; %bb.1493:
	s_andn2_saveexec_b64 s[4:5], s[4:5]
; %bb.1494:
	s_mov_b32 s33, 0x43000000
	v_add_f32_e64 v1, |v0|, s33
; %bb.1495:
	s_or_b64 exec, exec, s[4:5]
                                        ; implicit-def: $vgpr10
.LBB232_1496:
	s_andn2_saveexec_b64 s[40:41], s[40:41]
; %bb.1497:
	s_mov_b32 s4, 0x7f800000
	v_mov_b32_e32 v1, 0x7c
	v_mov_b32_e32 v13, 0x7f
	v_cmp_lt_u32_e64 s[4:5], s4, v10
	v_cndmask_b32_e64 v1, v1, v13, s[4:5]
; %bb.1498:
	s_or_b64 exec, exec, s[40:41]
	v_lshrrev_b32_e32 v0, 24, v0
	s_movk_i32 s4, 0x80
	v_and_or_b32 v13, v0, s4, v1
.LBB232_1499:
	s_or_b64 exec, exec, s[38:39]
                                        ; implicit-def: $vgpr10
                                        ; implicit-def: $vgpr0_vgpr1
.LBB232_1500:
	s_andn2_saveexec_b64 s[30:31], s[30:31]
	s_cbranch_execz .LBB232_1522
; %bb.1501:
	v_cmp_lt_i16_e64 s[4:5], 0, v10
                                        ; implicit-def: $vgpr13
	s_and_saveexec_b64 s[38:39], s[4:5]
	s_xor_b64 s[38:39], exec, s[38:39]
	s_cbranch_execz .LBB232_1511
; %bb.1502:
	flat_load_sbyte v0, v[0:1]
	s_mov_b32 s4, 0x47800000
                                        ; implicit-def: $vgpr1
	s_waitcnt vmcnt(0) lgkmcnt(0)
	v_cvt_f32_i32_e32 v0, v0
	v_and_b32_e32 v10, 0x7fffffff, v0
	v_cmp_gt_u32_e64 s[4:5], s4, v10
	s_and_saveexec_b64 s[40:41], s[4:5]
	s_xor_b64 s[40:41], exec, s[40:41]
	s_cbranch_execz .LBB232_1508
; %bb.1503:
	s_mov_b32 s4, 0x387fffff
	v_cmp_lt_u32_e64 s[4:5], s4, v10
                                        ; implicit-def: $vgpr1
	s_and_saveexec_b64 s[42:43], s[4:5]
	s_xor_b64 s[4:5], exec, s[42:43]
; %bb.1504:
	v_bfe_u32 v1, v0, 21, 1
	s_mov_b32 s33, 0x80fffff
	v_add3_u32 v1, v0, v1, s33
	v_lshrrev_b32_e32 v1, 21, v1
; %bb.1505:
	s_andn2_saveexec_b64 s[4:5], s[4:5]
; %bb.1506:
	s_mov_b32 s33, 0x43000000
	v_add_f32_e64 v1, |v0|, s33
; %bb.1507:
	s_or_b64 exec, exec, s[4:5]
                                        ; implicit-def: $vgpr10
.LBB232_1508:
	s_andn2_saveexec_b64 s[40:41], s[40:41]
; %bb.1509:
	s_mov_b32 s4, 0x7f800000
	v_mov_b32_e32 v1, 0x7c
	v_mov_b32_e32 v13, 0x7f
	v_cmp_lt_u32_e64 s[4:5], s4, v10
	v_cndmask_b32_e64 v1, v1, v13, s[4:5]
; %bb.1510:
	s_or_b64 exec, exec, s[40:41]
	v_lshrrev_b32_e32 v0, 24, v0
	s_movk_i32 s4, 0x80
	v_and_or_b32 v13, v0, s4, v1
                                        ; implicit-def: $vgpr0_vgpr1
.LBB232_1511:
	s_andn2_saveexec_b64 s[38:39], s[38:39]
	s_cbranch_execz .LBB232_1521
; %bb.1512:
	flat_load_ubyte v0, v[0:1]
	s_mov_b32 s4, 0x47800000
                                        ; implicit-def: $vgpr13
	s_waitcnt vmcnt(0) lgkmcnt(0)
	v_cvt_f32_ubyte0_e32 v0, v0
	v_cmp_gt_u32_e64 s[4:5], s4, v0
	s_and_saveexec_b64 s[40:41], s[4:5]
	s_xor_b64 s[40:41], exec, s[40:41]
	s_cbranch_execz .LBB232_1518
; %bb.1513:
	s_mov_b32 s4, 0x387fffff
	v_cmp_lt_u32_e64 s[4:5], s4, v0
                                        ; implicit-def: $vgpr13
	s_and_saveexec_b64 s[42:43], s[4:5]
	s_xor_b64 s[4:5], exec, s[42:43]
; %bb.1514:
	v_bfe_u32 v1, v0, 21, 1
	s_mov_b32 s33, 0x80fffff
	v_add3_u32 v0, v0, v1, s33
	v_lshrrev_b32_e32 v13, 21, v0
                                        ; implicit-def: $vgpr0
; %bb.1515:
	s_andn2_saveexec_b64 s[4:5], s[4:5]
; %bb.1516:
	v_add_f32_e32 v13, 0x43000000, v0
; %bb.1517:
	s_or_b64 exec, exec, s[4:5]
                                        ; implicit-def: $vgpr0
.LBB232_1518:
	s_andn2_saveexec_b64 s[40:41], s[40:41]
; %bb.1519:
	s_mov_b32 s4, 0x7f800000
	v_mov_b32_e32 v1, 0x7c
	v_mov_b32_e32 v10, 0x7f
	v_cmp_lt_u32_e64 s[4:5], s4, v0
	v_cndmask_b32_e64 v13, v1, v10, s[4:5]
; %bb.1520:
	s_or_b64 exec, exec, s[40:41]
.LBB232_1521:
	s_or_b64 exec, exec, s[38:39]
.LBB232_1522:
	s_or_b64 exec, exec, s[30:31]
.LBB232_1523:
	s_or_b64 exec, exec, s[28:29]
	s_or_b64 s[8:9], s[8:9], exec
.LBB232_1524:
	s_or_b64 exec, exec, s[6:7]
	s_mov_b64 s[4:5], 0
	s_mov_b64 s[38:39], 0
                                        ; implicit-def: $sgpr6_sgpr7
                                        ; implicit-def: $vgpr0_vgpr1
                                        ; implicit-def: $vgpr21
	s_and_saveexec_b64 s[28:29], s[8:9]
	s_cbranch_execz .LBB232_2047
; %bb.1525:
	v_add_u32_e32 v0, v18, v17
	v_ashrrev_i32_e32 v1, 31, v0
	v_add_co_u32_e64 v0, s[4:5], v11, v0
	v_addc_co_u32_e64 v1, s[4:5], v12, v1, s[4:5]
	v_cmp_lt_i16_e64 s[4:5], 10, v9
	s_mov_b64 s[8:9], 0
	s_mov_b64 s[30:31], s[26:27]
                                        ; implicit-def: $vgpr10
	s_and_saveexec_b64 s[6:7], s[4:5]
	s_xor_b64 s[6:7], exec, s[6:7]
	s_cbranch_execz .LBB232_1620
; %bb.1526:
	v_cmp_lt_i16_e64 s[4:5], 25, v9
	s_mov_b64 s[40:41], 0
                                        ; implicit-def: $vgpr10
	s_and_saveexec_b64 s[30:31], s[4:5]
	s_xor_b64 s[30:31], exec, s[30:31]
	s_cbranch_execz .LBB232_2487
; %bb.1527:
	v_cmp_lt_i16_e64 s[4:5], 28, v9
	;; [unrolled: 7-line block ×3, first 2 shown]
	s_mov_b64 s[44:45], 0
	s_mov_b64 s[46:47], 0
                                        ; implicit-def: $vgpr10
	s_and_saveexec_b64 s[40:41], s[4:5]
	s_xor_b64 s[40:41], exec, s[40:41]
	s_cbranch_execz .LBB232_1554
; %bb.1529:
	v_cmp_lt_i16_e64 s[4:5], 45, v9
                                        ; implicit-def: $vgpr10
	s_and_saveexec_b64 s[46:47], s[4:5]
	s_xor_b64 s[46:47], exec, s[46:47]
	s_cbranch_execz .LBB232_1541
; %bb.1530:
	v_cmp_eq_u16_e64 s[4:5], 46, v9
	s_mov_b64 s[48:49], -1
                                        ; implicit-def: $vgpr10
	s_and_saveexec_b64 s[42:43], s[4:5]
	s_cbranch_execz .LBB232_1540
; %bb.1531:
	flat_load_dword v9, v[0:1]
	s_mov_b32 s4, 0x47800000
                                        ; implicit-def: $vgpr10
	s_waitcnt vmcnt(0) lgkmcnt(0)
	v_lshlrev_b32_e32 v9, 16, v9
	v_and_b32_e32 v11, 0x7fffffff, v9
	v_cmp_gt_u32_e64 s[4:5], s4, v11
	s_and_saveexec_b64 s[44:45], s[4:5]
	s_xor_b64 s[44:45], exec, s[44:45]
	s_cbranch_execz .LBB232_1537
; %bb.1532:
	s_mov_b32 s4, 0x387fffff
	v_cmp_lt_u32_e64 s[4:5], s4, v11
                                        ; implicit-def: $vgpr10
	s_and_saveexec_b64 s[48:49], s[4:5]
	s_xor_b64 s[4:5], exec, s[48:49]
; %bb.1533:
	v_bfe_u32 v10, v9, 21, 1
	s_mov_b32 s33, 0x80fffff
	v_add3_u32 v10, v9, v10, s33
	v_lshrrev_b32_e32 v10, 21, v10
; %bb.1534:
	s_andn2_saveexec_b64 s[4:5], s[4:5]
; %bb.1535:
	s_mov_b32 s33, 0x43000000
	v_add_f32_e64 v10, |v9|, s33
; %bb.1536:
	s_or_b64 exec, exec, s[4:5]
                                        ; implicit-def: $vgpr11
.LBB232_1537:
	s_andn2_saveexec_b64 s[44:45], s[44:45]
; %bb.1538:
	s_mov_b32 s4, 0x7f800000
	v_mov_b32_e32 v10, 0x7c
	v_mov_b32_e32 v12, 0x7f
	v_cmp_lt_u32_e64 s[4:5], s4, v11
	v_cndmask_b32_e64 v10, v10, v12, s[4:5]
; %bb.1539:
	s_or_b64 exec, exec, s[44:45]
	v_lshrrev_b32_e32 v9, 24, v9
	s_movk_i32 s4, 0x80
	s_mov_b64 s[44:45], exec
	v_and_or_b32 v10, v9, s4, v10
	s_xor_b64 s[48:49], exec, -1
.LBB232_1540:
	s_or_b64 exec, exec, s[42:43]
	s_and_b64 s[44:45], s[44:45], exec
	s_and_b64 s[42:43], s[48:49], exec
                                        ; implicit-def: $vgpr9
.LBB232_1541:
	s_andn2_saveexec_b64 s[46:47], s[46:47]
	s_cbranch_execz .LBB232_1553
; %bb.1542:
	v_cmp_eq_u16_e64 s[4:5], 44, v9
	s_mov_b64 s[50:51], -1
	s_mov_b64 s[52:53], s[44:45]
                                        ; implicit-def: $vgpr10
	s_and_saveexec_b64 s[48:49], s[4:5]
	s_cbranch_execz .LBB232_1552
; %bb.1543:
	flat_load_ubyte v9, v[0:1]
	s_movk_i32 s4, 0xff
	v_mov_b32_e32 v10, 0x7f800001
	v_mov_b32_e32 v11, 0x400000
	s_waitcnt vmcnt(0) lgkmcnt(0)
	v_lshlrev_b32_e32 v12, 23, v9
	v_cmp_ne_u32_e64 s[4:5], s4, v9
	v_cndmask_b32_e64 v10, v10, v12, s[4:5]
	v_cmp_ne_u32_e64 s[4:5], 0, v9
	v_cndmask_b32_e64 v9, v11, v10, s[4:5]
	s_mov_b32 s4, 0x47800000
	v_cmp_gt_u32_e64 s[4:5], s4, v9
                                        ; implicit-def: $vgpr10
	s_and_saveexec_b64 s[50:51], s[4:5]
	s_xor_b64 s[50:51], exec, s[50:51]
	s_cbranch_execz .LBB232_1549
; %bb.1544:
	s_mov_b32 s4, 0x387fffff
	v_cmp_lt_u32_e64 s[4:5], s4, v9
                                        ; implicit-def: $vgpr10
	s_and_saveexec_b64 s[52:53], s[4:5]
	s_xor_b64 s[4:5], exec, s[52:53]
; %bb.1545:
	v_bfe_u32 v10, v9, 21, 1
	s_mov_b32 s33, 0x80fffff
	v_add3_u32 v9, v9, v10, s33
	v_lshrrev_b32_e32 v10, 21, v9
                                        ; implicit-def: $vgpr9
; %bb.1546:
	s_andn2_saveexec_b64 s[4:5], s[4:5]
; %bb.1547:
	v_add_f32_e32 v10, 0x43000000, v9
; %bb.1548:
	s_or_b64 exec, exec, s[4:5]
                                        ; implicit-def: $vgpr9
.LBB232_1549:
	s_andn2_saveexec_b64 s[50:51], s[50:51]
; %bb.1550:
	s_mov_b32 s4, 0x7f800000
	v_mov_b32_e32 v10, 0x7c
	v_mov_b32_e32 v11, 0x7f
	v_cmp_lt_u32_e64 s[4:5], s4, v9
	v_cndmask_b32_e64 v10, v10, v11, s[4:5]
; %bb.1551:
	s_or_b64 exec, exec, s[50:51]
	s_or_b64 s[52:53], s[44:45], exec
	s_xor_b64 s[50:51], exec, -1
.LBB232_1552:
	s_or_b64 exec, exec, s[48:49]
	s_andn2_b64 s[4:5], s[44:45], exec
	s_and_b64 s[44:45], s[52:53], exec
	s_or_b64 s[44:45], s[4:5], s[44:45]
	s_andn2_b64 s[4:5], s[42:43], exec
	s_and_b64 s[42:43], s[50:51], exec
	s_or_b64 s[42:43], s[4:5], s[42:43]
.LBB232_1553:
	s_or_b64 exec, exec, s[46:47]
	s_and_b64 s[46:47], s[44:45], exec
	s_and_b64 s[44:45], s[42:43], exec
                                        ; implicit-def: $vgpr9
.LBB232_1554:
	s_andn2_saveexec_b64 s[40:41], s[40:41]
	s_cbranch_execz .LBB232_1566
; %bb.1555:
	v_cmp_eq_u16_e64 s[4:5], 29, v9
	s_mov_b64 s[48:49], -1
	s_mov_b64 s[50:51], s[46:47]
                                        ; implicit-def: $vgpr10
	s_and_saveexec_b64 s[42:43], s[4:5]
	s_cbranch_execz .LBB232_1565
; %bb.1556:
	flat_load_dwordx2 v[9:10], v[0:1]
	s_mov_b32 s4, 0x47800000
	s_waitcnt vmcnt(0) lgkmcnt(0)
	v_ffbh_u32_e32 v11, v10
	v_min_u32_e32 v11, 32, v11
	v_lshlrev_b64 v[9:10], v11, v[9:10]
	v_min_u32_e32 v9, 1, v9
	v_or_b32_e32 v9, v10, v9
	v_cvt_f32_u32_e32 v9, v9
	v_sub_u32_e32 v10, 32, v11
	v_ldexp_f32 v9, v9, v10
	v_cmp_gt_u32_e64 s[4:5], s4, v9
                                        ; implicit-def: $vgpr10
	s_and_saveexec_b64 s[48:49], s[4:5]
	s_xor_b64 s[48:49], exec, s[48:49]
	s_cbranch_execz .LBB232_1562
; %bb.1557:
	s_mov_b32 s4, 0x387fffff
	v_cmp_lt_u32_e64 s[4:5], s4, v9
                                        ; implicit-def: $vgpr10
	s_and_saveexec_b64 s[50:51], s[4:5]
	s_xor_b64 s[4:5], exec, s[50:51]
; %bb.1558:
	v_bfe_u32 v10, v9, 21, 1
	s_mov_b32 s33, 0x80fffff
	v_add3_u32 v9, v9, v10, s33
	v_lshrrev_b32_e32 v10, 21, v9
                                        ; implicit-def: $vgpr9
; %bb.1559:
	s_andn2_saveexec_b64 s[4:5], s[4:5]
; %bb.1560:
	v_add_f32_e32 v10, 0x43000000, v9
; %bb.1561:
	s_or_b64 exec, exec, s[4:5]
                                        ; implicit-def: $vgpr9
.LBB232_1562:
	s_andn2_saveexec_b64 s[48:49], s[48:49]
; %bb.1563:
	s_mov_b32 s4, 0x7f800000
	v_mov_b32_e32 v10, 0x7c
	v_mov_b32_e32 v11, 0x7f
	v_cmp_lt_u32_e64 s[4:5], s4, v9
	v_cndmask_b32_e64 v10, v10, v11, s[4:5]
; %bb.1564:
	s_or_b64 exec, exec, s[48:49]
	s_or_b64 s[50:51], s[46:47], exec
	s_xor_b64 s[48:49], exec, -1
.LBB232_1565:
	s_or_b64 exec, exec, s[42:43]
	s_andn2_b64 s[4:5], s[46:47], exec
	s_and_b64 s[42:43], s[50:51], exec
	s_or_b64 s[46:47], s[4:5], s[42:43]
	s_andn2_b64 s[4:5], s[44:45], exec
	s_and_b64 s[42:43], s[48:49], exec
	s_or_b64 s[44:45], s[4:5], s[42:43]
.LBB232_1566:
	s_or_b64 exec, exec, s[40:41]
	s_and_b64 s[42:43], s[46:47], exec
	s_and_b64 s[40:41], s[44:45], exec
                                        ; implicit-def: $vgpr9
.LBB232_1567:
	s_andn2_saveexec_b64 s[38:39], s[38:39]
	s_cbranch_execz .LBB232_1607
; %bb.1568:
	v_cmp_lt_i16_e64 s[4:5], 26, v9
                                        ; implicit-def: $vgpr10
	s_and_saveexec_b64 s[44:45], s[4:5]
	s_xor_b64 s[44:45], exec, s[44:45]
	s_cbranch_execz .LBB232_1590
; %bb.1569:
	v_cmp_lt_i16_e64 s[4:5], 27, v9
                                        ; implicit-def: $vgpr10
	s_and_saveexec_b64 s[46:47], s[4:5]
	s_xor_b64 s[46:47], exec, s[46:47]
	s_cbranch_execz .LBB232_1579
; %bb.1570:
	flat_load_dword v9, v[0:1]
	s_mov_b32 s4, 0x47800000
                                        ; implicit-def: $vgpr10
	s_waitcnt vmcnt(0) lgkmcnt(0)
	v_cvt_f32_u32_e32 v9, v9
	v_cmp_gt_u32_e64 s[4:5], s4, v9
	s_and_saveexec_b64 s[48:49], s[4:5]
	s_xor_b64 s[48:49], exec, s[48:49]
	s_cbranch_execz .LBB232_1576
; %bb.1571:
	s_mov_b32 s4, 0x387fffff
	v_cmp_lt_u32_e64 s[4:5], s4, v9
                                        ; implicit-def: $vgpr10
	s_and_saveexec_b64 s[50:51], s[4:5]
	s_xor_b64 s[4:5], exec, s[50:51]
; %bb.1572:
	v_bfe_u32 v10, v9, 21, 1
	s_mov_b32 s33, 0x80fffff
	v_add3_u32 v9, v9, v10, s33
	v_lshrrev_b32_e32 v10, 21, v9
                                        ; implicit-def: $vgpr9
; %bb.1573:
	s_andn2_saveexec_b64 s[4:5], s[4:5]
; %bb.1574:
	v_add_f32_e32 v10, 0x43000000, v9
; %bb.1575:
	s_or_b64 exec, exec, s[4:5]
                                        ; implicit-def: $vgpr9
.LBB232_1576:
	s_andn2_saveexec_b64 s[48:49], s[48:49]
; %bb.1577:
	s_mov_b32 s4, 0x7f800000
	v_mov_b32_e32 v10, 0x7c
	v_mov_b32_e32 v11, 0x7f
	v_cmp_lt_u32_e64 s[4:5], s4, v9
	v_cndmask_b32_e64 v10, v10, v11, s[4:5]
; %bb.1578:
	s_or_b64 exec, exec, s[48:49]
.LBB232_1579:
	s_andn2_saveexec_b64 s[46:47], s[46:47]
	s_cbranch_execz .LBB232_1589
; %bb.1580:
	flat_load_ushort v9, v[0:1]
	s_mov_b32 s4, 0x47800000
                                        ; implicit-def: $vgpr10
	s_waitcnt vmcnt(0) lgkmcnt(0)
	v_cvt_f32_u32_e32 v9, v9
	v_cmp_gt_u32_e64 s[4:5], s4, v9
	s_and_saveexec_b64 s[48:49], s[4:5]
	s_xor_b64 s[48:49], exec, s[48:49]
	s_cbranch_execz .LBB232_1586
; %bb.1581:
	s_mov_b32 s4, 0x387fffff
	v_cmp_lt_u32_e64 s[4:5], s4, v9
                                        ; implicit-def: $vgpr10
	s_and_saveexec_b64 s[50:51], s[4:5]
	s_xor_b64 s[4:5], exec, s[50:51]
; %bb.1582:
	v_bfe_u32 v10, v9, 21, 1
	s_mov_b32 s33, 0x80fffff
	v_add3_u32 v9, v9, v10, s33
	v_lshrrev_b32_e32 v10, 21, v9
                                        ; implicit-def: $vgpr9
; %bb.1583:
	s_andn2_saveexec_b64 s[4:5], s[4:5]
; %bb.1584:
	v_add_f32_e32 v10, 0x43000000, v9
; %bb.1585:
	s_or_b64 exec, exec, s[4:5]
                                        ; implicit-def: $vgpr9
.LBB232_1586:
	s_andn2_saveexec_b64 s[48:49], s[48:49]
; %bb.1587:
	s_mov_b32 s4, 0x7f800000
	v_mov_b32_e32 v10, 0x7c
	v_mov_b32_e32 v11, 0x7f
	v_cmp_lt_u32_e64 s[4:5], s4, v9
	v_cndmask_b32_e64 v10, v10, v11, s[4:5]
; %bb.1588:
	s_or_b64 exec, exec, s[48:49]
.LBB232_1589:
	s_or_b64 exec, exec, s[46:47]
.LBB232_1590:
	s_andn2_saveexec_b64 s[44:45], s[44:45]
	s_cbranch_execz .LBB232_1606
; %bb.1591:
	flat_load_ubyte v10, v[0:1]
	s_movk_i32 s4, 0x7f
	s_mov_b64 s[46:47], 0
	s_waitcnt vmcnt(0) lgkmcnt(0)
	v_cmp_lt_i16_e64 s[4:5], s4, v10
	s_and_saveexec_b64 s[48:49], s[4:5]
	s_xor_b64 s[48:49], exec, s[48:49]
	s_cbranch_execz .LBB232_2646
; %bb.1592:
	s_movk_i32 s4, 0x80
	v_cmp_eq_u16_e64 s[4:5], s4, v10
	s_mov_b64 s[46:47], -1
	s_and_saveexec_b64 s[50:51], s[4:5]
; %bb.1593:
	s_xor_b64 s[46:47], exec, -1
; %bb.1594:
	s_or_b64 exec, exec, s[50:51]
	s_and_b64 s[46:47], s[46:47], exec
	s_or_saveexec_b64 s[48:49], s[48:49]
	v_mov_b32_e32 v9, 0x7f800001
	s_xor_b64 exec, exec, s[48:49]
	s_cbranch_execnz .LBB232_2647
.LBB232_1595:
	s_or_b64 exec, exec, s[48:49]
	s_and_saveexec_b64 s[48:49], s[46:47]
	s_cbranch_execz .LBB232_1597
.LBB232_1596:
	v_lshlrev_b32_e32 v9, 24, v10
	v_and_b32_e32 v10, 0xffff, v10
	v_and_b32_e32 v11, 7, v10
	v_ffbh_u32_e32 v14, v11
	v_min_u32_e32 v14, 32, v14
	v_subrev_u32_e32 v17, 28, v14
	v_bfe_u32 v12, v10, 3, 4
	v_lshlrev_b32_e32 v10, v17, v10
	v_sub_u32_e32 v14, 29, v14
	v_and_b32_e32 v10, 7, v10
	v_cmp_eq_u32_e64 s[4:5], 0, v12
	v_cndmask_b32_e64 v12, v12, v14, s[4:5]
	v_cndmask_b32_e64 v10, v11, v10, s[4:5]
	v_mov_b32_e32 v11, 0x3b800000
	v_lshlrev_b32_e32 v10, 20, v10
	v_and_b32_e32 v9, 0x80000000, v9
	v_lshl_add_u32 v11, v12, 23, v11
	v_or3_b32 v9, v9, v11, v10
.LBB232_1597:
	s_or_b64 exec, exec, s[48:49]
	v_and_b32_e32 v11, 0x7fffffff, v9
	s_mov_b32 s4, 0x47800000
	v_cmp_gt_u32_e64 s[4:5], s4, v11
                                        ; implicit-def: $vgpr10
	s_and_saveexec_b64 s[46:47], s[4:5]
	s_xor_b64 s[46:47], exec, s[46:47]
	s_cbranch_execz .LBB232_1603
; %bb.1598:
	s_mov_b32 s4, 0x387fffff
	v_cmp_lt_u32_e64 s[4:5], s4, v11
                                        ; implicit-def: $vgpr10
	s_and_saveexec_b64 s[48:49], s[4:5]
	s_xor_b64 s[4:5], exec, s[48:49]
; %bb.1599:
	v_bfe_u32 v10, v9, 21, 1
	s_mov_b32 s33, 0x80fffff
	v_add3_u32 v10, v9, v10, s33
	v_lshrrev_b32_e32 v10, 21, v10
; %bb.1600:
	s_andn2_saveexec_b64 s[4:5], s[4:5]
; %bb.1601:
	s_mov_b32 s33, 0x43000000
	v_add_f32_e64 v10, |v9|, s33
; %bb.1602:
	s_or_b64 exec, exec, s[4:5]
                                        ; implicit-def: $vgpr11
.LBB232_1603:
	s_andn2_saveexec_b64 s[46:47], s[46:47]
; %bb.1604:
	s_mov_b32 s4, 0x7f800000
	v_mov_b32_e32 v10, 0x7c
	v_mov_b32_e32 v12, 0x7f
	v_cmp_lt_u32_e64 s[4:5], s4, v11
	v_cndmask_b32_e64 v10, v10, v12, s[4:5]
; %bb.1605:
	s_or_b64 exec, exec, s[46:47]
	v_lshrrev_b32_e32 v9, 24, v9
	s_movk_i32 s4, 0x80
	v_and_or_b32 v10, v9, s4, v10
.LBB232_1606:
	s_or_b64 exec, exec, s[44:45]
	s_or_b64 s[42:43], s[42:43], exec
.LBB232_1607:
	s_or_b64 exec, exec, s[38:39]
	s_and_b64 s[38:39], s[42:43], exec
	s_and_b64 s[40:41], s[40:41], exec
                                        ; implicit-def: $vgpr9
	s_andn2_saveexec_b64 s[30:31], s[30:31]
	s_cbranch_execnz .LBB232_2488
.LBB232_1608:
	s_or_b64 exec, exec, s[30:31]
	s_mov_b64 s[30:31], s[26:27]
	s_and_saveexec_b64 s[4:5], s[40:41]
	s_cbranch_execnz .LBB232_2537
.LBB232_1609:
	s_or_b64 exec, exec, s[4:5]
	s_and_saveexec_b64 s[40:41], s[8:9]
	s_cbranch_execz .LBB232_1619
.LBB232_1610:
	flat_load_ubyte v0, v[0:1]
                                        ; implicit-def: $vgpr10
	s_waitcnt vmcnt(0) lgkmcnt(0)
	v_cmp_ne_u16_e64 s[4:5], 0, v0
	v_cndmask_b32_e64 v0, 0, 1.0, s[4:5]
	s_mov_b32 s4, 0x47800000
	v_cmp_gt_u32_e64 s[4:5], s4, v0
	s_and_saveexec_b64 s[8:9], s[4:5]
	s_xor_b64 s[8:9], exec, s[8:9]
	s_cbranch_execz .LBB232_1616
; %bb.1611:
	s_mov_b32 s4, 0x387fffff
	v_cmp_lt_u32_e64 s[4:5], s4, v0
                                        ; implicit-def: $vgpr10
	s_and_saveexec_b64 s[42:43], s[4:5]
	s_xor_b64 s[4:5], exec, s[42:43]
; %bb.1612:
	v_bfe_u32 v1, v0, 21, 1
	s_mov_b32 s33, 0x80fffff
	v_add3_u32 v0, v0, v1, s33
	v_lshrrev_b32_e32 v10, 21, v0
                                        ; implicit-def: $vgpr0
; %bb.1613:
	s_andn2_saveexec_b64 s[4:5], s[4:5]
; %bb.1614:
	v_add_f32_e32 v10, 0x43000000, v0
; %bb.1615:
	s_or_b64 exec, exec, s[4:5]
                                        ; implicit-def: $vgpr0
.LBB232_1616:
	s_andn2_saveexec_b64 s[8:9], s[8:9]
; %bb.1617:
	s_mov_b32 s4, 0x7f800000
	v_mov_b32_e32 v1, 0x7c
	v_mov_b32_e32 v9, 0x7f
	v_cmp_lt_u32_e64 s[4:5], s4, v0
	v_cndmask_b32_e64 v10, v1, v9, s[4:5]
; %bb.1618:
	s_or_b64 exec, exec, s[8:9]
	s_or_b64 s[38:39], s[38:39], exec
.LBB232_1619:
	s_or_b64 exec, exec, s[40:41]
	s_andn2_b64 s[4:5], s[26:27], exec
	s_and_b64 s[8:9], s[30:31], exec
	s_or_b64 s[30:31], s[4:5], s[8:9]
	s_and_b64 s[8:9], s[38:39], exec
                                        ; implicit-def: $vgpr9
                                        ; implicit-def: $vgpr0_vgpr1
.LBB232_1620:
	s_andn2_saveexec_b64 s[6:7], s[6:7]
	s_cbranch_execz .LBB232_1750
; %bb.1621:
	v_cmp_lt_i16_e64 s[4:5], 4, v9
                                        ; implicit-def: $vgpr10
	s_and_saveexec_b64 s[38:39], s[4:5]
	s_xor_b64 s[38:39], exec, s[38:39]
	s_cbranch_execz .LBB232_1691
; %bb.1622:
	v_cmp_lt_i16_e64 s[4:5], 7, v9
                                        ; implicit-def: $vgpr10
	s_and_saveexec_b64 s[40:41], s[4:5]
	s_xor_b64 s[40:41], exec, s[40:41]
	s_cbranch_execz .LBB232_1656
; %bb.1623:
	v_cmp_lt_i16_e64 s[4:5], 8, v9
                                        ; implicit-def: $vgpr10
	s_and_saveexec_b64 s[42:43], s[4:5]
	s_xor_b64 s[42:43], exec, s[42:43]
	s_cbranch_execz .LBB232_1645
; %bb.1624:
	v_cmp_lt_i16_e64 s[4:5], 9, v9
                                        ; implicit-def: $vgpr10
	s_and_saveexec_b64 s[44:45], s[4:5]
	s_xor_b64 s[44:45], exec, s[44:45]
	s_cbranch_execz .LBB232_1634
; %bb.1625:
	flat_load_dwordx2 v[0:1], v[0:1]
	s_mov_b32 s4, 0x47800000
	s_waitcnt vmcnt(0) lgkmcnt(0)
	v_cvt_f32_f64_e32 v0, v[0:1]
                                        ; implicit-def: $vgpr1
	v_and_b32_e32 v9, 0x7fffffff, v0
	v_cmp_gt_u32_e64 s[4:5], s4, v9
	s_and_saveexec_b64 s[46:47], s[4:5]
	s_xor_b64 s[46:47], exec, s[46:47]
	s_cbranch_execz .LBB232_1631
; %bb.1626:
	s_mov_b32 s4, 0x387fffff
	v_cmp_lt_u32_e64 s[4:5], s4, v9
                                        ; implicit-def: $vgpr1
	s_and_saveexec_b64 s[48:49], s[4:5]
	s_xor_b64 s[4:5], exec, s[48:49]
; %bb.1627:
	v_bfe_u32 v1, v0, 21, 1
	s_mov_b32 s33, 0x80fffff
	v_add3_u32 v1, v0, v1, s33
	v_lshrrev_b32_e32 v1, 21, v1
; %bb.1628:
	s_andn2_saveexec_b64 s[4:5], s[4:5]
; %bb.1629:
	s_mov_b32 s33, 0x43000000
	v_add_f32_e64 v1, |v0|, s33
; %bb.1630:
	s_or_b64 exec, exec, s[4:5]
                                        ; implicit-def: $vgpr9
.LBB232_1631:
	s_andn2_saveexec_b64 s[46:47], s[46:47]
; %bb.1632:
	s_mov_b32 s4, 0x7f800000
	v_mov_b32_e32 v1, 0x7c
	v_mov_b32_e32 v10, 0x7f
	v_cmp_lt_u32_e64 s[4:5], s4, v9
	v_cndmask_b32_e64 v1, v1, v10, s[4:5]
; %bb.1633:
	s_or_b64 exec, exec, s[46:47]
	v_lshrrev_b32_e32 v0, 24, v0
	s_movk_i32 s4, 0x80
	v_and_or_b32 v10, v0, s4, v1
                                        ; implicit-def: $vgpr0_vgpr1
.LBB232_1634:
	s_andn2_saveexec_b64 s[44:45], s[44:45]
	s_cbranch_execz .LBB232_1644
; %bb.1635:
	flat_load_dword v0, v[0:1]
	s_mov_b32 s4, 0x47800000
                                        ; implicit-def: $vgpr1
	s_waitcnt vmcnt(0) lgkmcnt(0)
	v_and_b32_e32 v9, 0x7fffffff, v0
	v_cmp_gt_u32_e64 s[4:5], s4, v9
	s_and_saveexec_b64 s[46:47], s[4:5]
	s_xor_b64 s[46:47], exec, s[46:47]
	s_cbranch_execz .LBB232_1641
; %bb.1636:
	s_mov_b32 s4, 0x387fffff
	v_cmp_lt_u32_e64 s[4:5], s4, v9
                                        ; implicit-def: $vgpr1
	s_and_saveexec_b64 s[48:49], s[4:5]
	s_xor_b64 s[4:5], exec, s[48:49]
; %bb.1637:
	v_bfe_u32 v1, v0, 21, 1
	s_mov_b32 s33, 0x80fffff
	v_add3_u32 v1, v0, v1, s33
	v_lshrrev_b32_e32 v1, 21, v1
; %bb.1638:
	s_andn2_saveexec_b64 s[4:5], s[4:5]
; %bb.1639:
	s_mov_b32 s33, 0x43000000
	v_add_f32_e64 v1, |v0|, s33
; %bb.1640:
	s_or_b64 exec, exec, s[4:5]
                                        ; implicit-def: $vgpr9
.LBB232_1641:
	s_andn2_saveexec_b64 s[46:47], s[46:47]
; %bb.1642:
	s_mov_b32 s4, 0x7f800000
	v_mov_b32_e32 v1, 0x7c
	v_mov_b32_e32 v10, 0x7f
	v_cmp_lt_u32_e64 s[4:5], s4, v9
	v_cndmask_b32_e64 v1, v1, v10, s[4:5]
; %bb.1643:
	s_or_b64 exec, exec, s[46:47]
	v_lshrrev_b32_e32 v0, 24, v0
	s_movk_i32 s4, 0x80
	v_and_or_b32 v10, v0, s4, v1
.LBB232_1644:
	s_or_b64 exec, exec, s[44:45]
                                        ; implicit-def: $vgpr0_vgpr1
.LBB232_1645:
	s_andn2_saveexec_b64 s[42:43], s[42:43]
	s_cbranch_execz .LBB232_1655
; %bb.1646:
	flat_load_dword v0, v[0:1]
	s_mov_b32 s4, 0x47800000
                                        ; implicit-def: $vgpr1
	s_waitcnt vmcnt(0) lgkmcnt(0)
	v_cvt_f32_f16_e32 v0, v0
	v_and_b32_e32 v9, 0x7fffffff, v0
	v_cmp_gt_u32_e64 s[4:5], s4, v9
	s_and_saveexec_b64 s[44:45], s[4:5]
	s_xor_b64 s[44:45], exec, s[44:45]
	s_cbranch_execz .LBB232_1652
; %bb.1647:
	s_mov_b32 s4, 0x387fffff
	v_cmp_lt_u32_e64 s[4:5], s4, v9
                                        ; implicit-def: $vgpr1
	s_and_saveexec_b64 s[46:47], s[4:5]
	s_xor_b64 s[4:5], exec, s[46:47]
; %bb.1648:
	v_bfe_u32 v1, v0, 21, 1
	s_mov_b32 s33, 0x80fffff
	v_add3_u32 v1, v0, v1, s33
	v_lshrrev_b32_e32 v1, 21, v1
; %bb.1649:
	s_andn2_saveexec_b64 s[4:5], s[4:5]
; %bb.1650:
	s_mov_b32 s33, 0x43000000
	v_add_f32_e64 v1, |v0|, s33
; %bb.1651:
	s_or_b64 exec, exec, s[4:5]
                                        ; implicit-def: $vgpr9
.LBB232_1652:
	s_andn2_saveexec_b64 s[44:45], s[44:45]
; %bb.1653:
	s_mov_b32 s4, 0x7f800000
	v_mov_b32_e32 v1, 0x7c
	v_mov_b32_e32 v10, 0x7f
	v_cmp_lt_u32_e64 s[4:5], s4, v9
	v_cndmask_b32_e64 v1, v1, v10, s[4:5]
; %bb.1654:
	s_or_b64 exec, exec, s[44:45]
	v_lshrrev_b32_e32 v0, 24, v0
	s_movk_i32 s4, 0x80
	v_and_or_b32 v10, v0, s4, v1
.LBB232_1655:
	s_or_b64 exec, exec, s[42:43]
                                        ; implicit-def: $vgpr9
                                        ; implicit-def: $vgpr0_vgpr1
.LBB232_1656:
	s_andn2_saveexec_b64 s[40:41], s[40:41]
	s_cbranch_execz .LBB232_1690
; %bb.1657:
	v_cmp_lt_i16_e64 s[4:5], 5, v9
                                        ; implicit-def: $vgpr10
	s_and_saveexec_b64 s[42:43], s[4:5]
	s_xor_b64 s[42:43], exec, s[42:43]
	s_cbranch_execz .LBB232_1679
; %bb.1658:
	v_cmp_lt_i16_e64 s[4:5], 6, v9
                                        ; implicit-def: $vgpr10
	s_and_saveexec_b64 s[44:45], s[4:5]
	s_xor_b64 s[44:45], exec, s[44:45]
	s_cbranch_execz .LBB232_1668
; %bb.1659:
	flat_load_dwordx2 v[0:1], v[0:1]
	s_mov_b32 s4, 0x47800000
	s_waitcnt vmcnt(0) lgkmcnt(0)
	v_cvt_f32_f64_e32 v0, v[0:1]
                                        ; implicit-def: $vgpr1
	v_and_b32_e32 v9, 0x7fffffff, v0
	v_cmp_gt_u32_e64 s[4:5], s4, v9
	s_and_saveexec_b64 s[46:47], s[4:5]
	s_xor_b64 s[46:47], exec, s[46:47]
	s_cbranch_execz .LBB232_1665
; %bb.1660:
	s_mov_b32 s4, 0x387fffff
	v_cmp_lt_u32_e64 s[4:5], s4, v9
                                        ; implicit-def: $vgpr1
	s_and_saveexec_b64 s[48:49], s[4:5]
	s_xor_b64 s[4:5], exec, s[48:49]
; %bb.1661:
	v_bfe_u32 v1, v0, 21, 1
	s_mov_b32 s33, 0x80fffff
	v_add3_u32 v1, v0, v1, s33
	v_lshrrev_b32_e32 v1, 21, v1
; %bb.1662:
	s_andn2_saveexec_b64 s[4:5], s[4:5]
; %bb.1663:
	s_mov_b32 s33, 0x43000000
	v_add_f32_e64 v1, |v0|, s33
; %bb.1664:
	s_or_b64 exec, exec, s[4:5]
                                        ; implicit-def: $vgpr9
.LBB232_1665:
	s_andn2_saveexec_b64 s[46:47], s[46:47]
; %bb.1666:
	s_mov_b32 s4, 0x7f800000
	v_mov_b32_e32 v1, 0x7c
	v_mov_b32_e32 v10, 0x7f
	v_cmp_lt_u32_e64 s[4:5], s4, v9
	v_cndmask_b32_e64 v1, v1, v10, s[4:5]
; %bb.1667:
	s_or_b64 exec, exec, s[46:47]
	v_lshrrev_b32_e32 v0, 24, v0
	s_movk_i32 s4, 0x80
	v_and_or_b32 v10, v0, s4, v1
                                        ; implicit-def: $vgpr0_vgpr1
.LBB232_1668:
	s_andn2_saveexec_b64 s[44:45], s[44:45]
	s_cbranch_execz .LBB232_1678
; %bb.1669:
	flat_load_dword v0, v[0:1]
	s_mov_b32 s4, 0x47800000
                                        ; implicit-def: $vgpr1
	s_waitcnt vmcnt(0) lgkmcnt(0)
	v_and_b32_e32 v9, 0x7fffffff, v0
	v_cmp_gt_u32_e64 s[4:5], s4, v9
	s_and_saveexec_b64 s[46:47], s[4:5]
	s_xor_b64 s[46:47], exec, s[46:47]
	s_cbranch_execz .LBB232_1675
; %bb.1670:
	s_mov_b32 s4, 0x387fffff
	v_cmp_lt_u32_e64 s[4:5], s4, v9
                                        ; implicit-def: $vgpr1
	s_and_saveexec_b64 s[48:49], s[4:5]
	s_xor_b64 s[4:5], exec, s[48:49]
; %bb.1671:
	v_bfe_u32 v1, v0, 21, 1
	s_mov_b32 s33, 0x80fffff
	v_add3_u32 v1, v0, v1, s33
	v_lshrrev_b32_e32 v1, 21, v1
; %bb.1672:
	s_andn2_saveexec_b64 s[4:5], s[4:5]
; %bb.1673:
	s_mov_b32 s33, 0x43000000
	v_add_f32_e64 v1, |v0|, s33
; %bb.1674:
	s_or_b64 exec, exec, s[4:5]
                                        ; implicit-def: $vgpr9
.LBB232_1675:
	s_andn2_saveexec_b64 s[46:47], s[46:47]
; %bb.1676:
	s_mov_b32 s4, 0x7f800000
	v_mov_b32_e32 v1, 0x7c
	v_mov_b32_e32 v10, 0x7f
	v_cmp_lt_u32_e64 s[4:5], s4, v9
	v_cndmask_b32_e64 v1, v1, v10, s[4:5]
; %bb.1677:
	s_or_b64 exec, exec, s[46:47]
	v_lshrrev_b32_e32 v0, 24, v0
	s_movk_i32 s4, 0x80
	v_and_or_b32 v10, v0, s4, v1
.LBB232_1678:
	s_or_b64 exec, exec, s[44:45]
                                        ; implicit-def: $vgpr0_vgpr1
.LBB232_1679:
	s_andn2_saveexec_b64 s[42:43], s[42:43]
	s_cbranch_execz .LBB232_1689
; %bb.1680:
	flat_load_ushort v0, v[0:1]
	s_mov_b32 s4, 0x47800000
                                        ; implicit-def: $vgpr1
	s_waitcnt vmcnt(0) lgkmcnt(0)
	v_cvt_f32_f16_e32 v0, v0
	v_and_b32_e32 v9, 0x7fffffff, v0
	v_cmp_gt_u32_e64 s[4:5], s4, v9
	s_and_saveexec_b64 s[44:45], s[4:5]
	s_xor_b64 s[44:45], exec, s[44:45]
	s_cbranch_execz .LBB232_1686
; %bb.1681:
	s_mov_b32 s4, 0x387fffff
	v_cmp_lt_u32_e64 s[4:5], s4, v9
                                        ; implicit-def: $vgpr1
	s_and_saveexec_b64 s[46:47], s[4:5]
	s_xor_b64 s[4:5], exec, s[46:47]
; %bb.1682:
	v_bfe_u32 v1, v0, 21, 1
	s_mov_b32 s33, 0x80fffff
	v_add3_u32 v1, v0, v1, s33
	v_lshrrev_b32_e32 v1, 21, v1
; %bb.1683:
	s_andn2_saveexec_b64 s[4:5], s[4:5]
; %bb.1684:
	s_mov_b32 s33, 0x43000000
	v_add_f32_e64 v1, |v0|, s33
; %bb.1685:
	s_or_b64 exec, exec, s[4:5]
                                        ; implicit-def: $vgpr9
.LBB232_1686:
	s_andn2_saveexec_b64 s[44:45], s[44:45]
; %bb.1687:
	s_mov_b32 s4, 0x7f800000
	v_mov_b32_e32 v1, 0x7c
	v_mov_b32_e32 v10, 0x7f
	v_cmp_lt_u32_e64 s[4:5], s4, v9
	v_cndmask_b32_e64 v1, v1, v10, s[4:5]
; %bb.1688:
	s_or_b64 exec, exec, s[44:45]
	v_lshrrev_b32_e32 v0, 24, v0
	s_movk_i32 s4, 0x80
	v_and_or_b32 v10, v0, s4, v1
.LBB232_1689:
	s_or_b64 exec, exec, s[42:43]
.LBB232_1690:
	s_or_b64 exec, exec, s[40:41]
                                        ; implicit-def: $vgpr9
                                        ; implicit-def: $vgpr0_vgpr1
.LBB232_1691:
	s_andn2_saveexec_b64 s[38:39], s[38:39]
	s_cbranch_execz .LBB232_1749
; %bb.1692:
	v_cmp_lt_i16_e64 s[4:5], 1, v9
                                        ; implicit-def: $vgpr10
	s_and_saveexec_b64 s[40:41], s[4:5]
	s_xor_b64 s[40:41], exec, s[40:41]
	s_cbranch_execz .LBB232_1726
; %bb.1693:
	v_cmp_lt_i16_e64 s[4:5], 2, v9
                                        ; implicit-def: $vgpr10
	s_and_saveexec_b64 s[42:43], s[4:5]
	s_xor_b64 s[42:43], exec, s[42:43]
	;; [unrolled: 6-line block ×3, first 2 shown]
	s_cbranch_execz .LBB232_1704
; %bb.1695:
	flat_load_dwordx2 v[0:1], v[0:1]
	s_mov_b32 s4, 0x47800000
	s_waitcnt vmcnt(0) lgkmcnt(0)
	v_xor_b32_e32 v10, v0, v1
	v_ffbh_i32_e32 v9, v1
	v_ashrrev_i32_e32 v10, 31, v10
	v_add_u32_e32 v9, -1, v9
	v_add_u32_e32 v10, 32, v10
	v_min_u32_e32 v9, v9, v10
	v_lshlrev_b64 v[0:1], v9, v[0:1]
	v_min_u32_e32 v0, 1, v0
	v_or_b32_e32 v0, v1, v0
	v_cvt_f32_i32_e32 v0, v0
	v_sub_u32_e32 v1, 32, v9
	v_ldexp_f32 v0, v0, v1
	v_and_b32_e32 v9, 0x7fffffff, v0
	v_cmp_gt_u32_e64 s[4:5], s4, v9
                                        ; implicit-def: $vgpr1
	s_and_saveexec_b64 s[46:47], s[4:5]
	s_xor_b64 s[46:47], exec, s[46:47]
	s_cbranch_execz .LBB232_1701
; %bb.1696:
	s_mov_b32 s4, 0x387fffff
	v_cmp_lt_u32_e64 s[4:5], s4, v9
                                        ; implicit-def: $vgpr1
	s_and_saveexec_b64 s[48:49], s[4:5]
	s_xor_b64 s[4:5], exec, s[48:49]
; %bb.1697:
	v_bfe_u32 v1, v0, 21, 1
	s_mov_b32 s33, 0x80fffff
	v_add3_u32 v1, v0, v1, s33
	v_lshrrev_b32_e32 v1, 21, v1
; %bb.1698:
	s_andn2_saveexec_b64 s[4:5], s[4:5]
; %bb.1699:
	s_mov_b32 s33, 0x43000000
	v_add_f32_e64 v1, |v0|, s33
; %bb.1700:
	s_or_b64 exec, exec, s[4:5]
                                        ; implicit-def: $vgpr9
.LBB232_1701:
	s_andn2_saveexec_b64 s[46:47], s[46:47]
; %bb.1702:
	s_mov_b32 s4, 0x7f800000
	v_mov_b32_e32 v1, 0x7c
	v_mov_b32_e32 v10, 0x7f
	v_cmp_lt_u32_e64 s[4:5], s4, v9
	v_cndmask_b32_e64 v1, v1, v10, s[4:5]
; %bb.1703:
	s_or_b64 exec, exec, s[46:47]
	v_lshrrev_b32_e32 v0, 24, v0
	s_movk_i32 s4, 0x80
	v_and_or_b32 v10, v0, s4, v1
                                        ; implicit-def: $vgpr0_vgpr1
.LBB232_1704:
	s_andn2_saveexec_b64 s[44:45], s[44:45]
	s_cbranch_execz .LBB232_1714
; %bb.1705:
	flat_load_dword v0, v[0:1]
	s_mov_b32 s4, 0x47800000
                                        ; implicit-def: $vgpr1
	s_waitcnt vmcnt(0) lgkmcnt(0)
	v_cvt_f32_i32_e32 v0, v0
	v_and_b32_e32 v9, 0x7fffffff, v0
	v_cmp_gt_u32_e64 s[4:5], s4, v9
	s_and_saveexec_b64 s[46:47], s[4:5]
	s_xor_b64 s[46:47], exec, s[46:47]
	s_cbranch_execz .LBB232_1711
; %bb.1706:
	s_mov_b32 s4, 0x387fffff
	v_cmp_lt_u32_e64 s[4:5], s4, v9
                                        ; implicit-def: $vgpr1
	s_and_saveexec_b64 s[48:49], s[4:5]
	s_xor_b64 s[4:5], exec, s[48:49]
; %bb.1707:
	v_bfe_u32 v1, v0, 21, 1
	s_mov_b32 s33, 0x80fffff
	v_add3_u32 v1, v0, v1, s33
	v_lshrrev_b32_e32 v1, 21, v1
; %bb.1708:
	s_andn2_saveexec_b64 s[4:5], s[4:5]
; %bb.1709:
	s_mov_b32 s33, 0x43000000
	v_add_f32_e64 v1, |v0|, s33
; %bb.1710:
	s_or_b64 exec, exec, s[4:5]
                                        ; implicit-def: $vgpr9
.LBB232_1711:
	s_andn2_saveexec_b64 s[46:47], s[46:47]
; %bb.1712:
	s_mov_b32 s4, 0x7f800000
	v_mov_b32_e32 v1, 0x7c
	v_mov_b32_e32 v10, 0x7f
	v_cmp_lt_u32_e64 s[4:5], s4, v9
	v_cndmask_b32_e64 v1, v1, v10, s[4:5]
; %bb.1713:
	s_or_b64 exec, exec, s[46:47]
	v_lshrrev_b32_e32 v0, 24, v0
	s_movk_i32 s4, 0x80
	v_and_or_b32 v10, v0, s4, v1
.LBB232_1714:
	s_or_b64 exec, exec, s[44:45]
                                        ; implicit-def: $vgpr0_vgpr1
.LBB232_1715:
	s_andn2_saveexec_b64 s[42:43], s[42:43]
	s_cbranch_execz .LBB232_1725
; %bb.1716:
	flat_load_sshort v0, v[0:1]
	s_mov_b32 s4, 0x47800000
                                        ; implicit-def: $vgpr1
	s_waitcnt vmcnt(0) lgkmcnt(0)
	v_cvt_f32_i32_e32 v0, v0
	v_and_b32_e32 v9, 0x7fffffff, v0
	v_cmp_gt_u32_e64 s[4:5], s4, v9
	s_and_saveexec_b64 s[44:45], s[4:5]
	s_xor_b64 s[44:45], exec, s[44:45]
	s_cbranch_execz .LBB232_1722
; %bb.1717:
	s_mov_b32 s4, 0x387fffff
	v_cmp_lt_u32_e64 s[4:5], s4, v9
                                        ; implicit-def: $vgpr1
	s_and_saveexec_b64 s[46:47], s[4:5]
	s_xor_b64 s[4:5], exec, s[46:47]
; %bb.1718:
	v_bfe_u32 v1, v0, 21, 1
	s_mov_b32 s33, 0x80fffff
	v_add3_u32 v1, v0, v1, s33
	v_lshrrev_b32_e32 v1, 21, v1
; %bb.1719:
	s_andn2_saveexec_b64 s[4:5], s[4:5]
; %bb.1720:
	s_mov_b32 s33, 0x43000000
	v_add_f32_e64 v1, |v0|, s33
; %bb.1721:
	s_or_b64 exec, exec, s[4:5]
                                        ; implicit-def: $vgpr9
.LBB232_1722:
	s_andn2_saveexec_b64 s[44:45], s[44:45]
; %bb.1723:
	s_mov_b32 s4, 0x7f800000
	v_mov_b32_e32 v1, 0x7c
	v_mov_b32_e32 v10, 0x7f
	v_cmp_lt_u32_e64 s[4:5], s4, v9
	v_cndmask_b32_e64 v1, v1, v10, s[4:5]
; %bb.1724:
	s_or_b64 exec, exec, s[44:45]
	v_lshrrev_b32_e32 v0, 24, v0
	s_movk_i32 s4, 0x80
	v_and_or_b32 v10, v0, s4, v1
.LBB232_1725:
	s_or_b64 exec, exec, s[42:43]
                                        ; implicit-def: $vgpr9
                                        ; implicit-def: $vgpr0_vgpr1
.LBB232_1726:
	s_andn2_saveexec_b64 s[40:41], s[40:41]
	s_cbranch_execz .LBB232_1748
; %bb.1727:
	v_cmp_lt_i16_e64 s[4:5], 0, v9
                                        ; implicit-def: $vgpr10
	s_and_saveexec_b64 s[42:43], s[4:5]
	s_xor_b64 s[42:43], exec, s[42:43]
	s_cbranch_execz .LBB232_1737
; %bb.1728:
	flat_load_sbyte v0, v[0:1]
	s_mov_b32 s4, 0x47800000
                                        ; implicit-def: $vgpr1
	s_waitcnt vmcnt(0) lgkmcnt(0)
	v_cvt_f32_i32_e32 v0, v0
	v_and_b32_e32 v9, 0x7fffffff, v0
	v_cmp_gt_u32_e64 s[4:5], s4, v9
	s_and_saveexec_b64 s[44:45], s[4:5]
	s_xor_b64 s[44:45], exec, s[44:45]
	s_cbranch_execz .LBB232_1734
; %bb.1729:
	s_mov_b32 s4, 0x387fffff
	v_cmp_lt_u32_e64 s[4:5], s4, v9
                                        ; implicit-def: $vgpr1
	s_and_saveexec_b64 s[46:47], s[4:5]
	s_xor_b64 s[4:5], exec, s[46:47]
; %bb.1730:
	v_bfe_u32 v1, v0, 21, 1
	s_mov_b32 s33, 0x80fffff
	v_add3_u32 v1, v0, v1, s33
	v_lshrrev_b32_e32 v1, 21, v1
; %bb.1731:
	s_andn2_saveexec_b64 s[4:5], s[4:5]
; %bb.1732:
	s_mov_b32 s33, 0x43000000
	v_add_f32_e64 v1, |v0|, s33
; %bb.1733:
	s_or_b64 exec, exec, s[4:5]
                                        ; implicit-def: $vgpr9
.LBB232_1734:
	s_andn2_saveexec_b64 s[44:45], s[44:45]
; %bb.1735:
	s_mov_b32 s4, 0x7f800000
	v_mov_b32_e32 v1, 0x7c
	v_mov_b32_e32 v10, 0x7f
	v_cmp_lt_u32_e64 s[4:5], s4, v9
	v_cndmask_b32_e64 v1, v1, v10, s[4:5]
; %bb.1736:
	s_or_b64 exec, exec, s[44:45]
	v_lshrrev_b32_e32 v0, 24, v0
	s_movk_i32 s4, 0x80
	v_and_or_b32 v10, v0, s4, v1
                                        ; implicit-def: $vgpr0_vgpr1
.LBB232_1737:
	s_andn2_saveexec_b64 s[42:43], s[42:43]
	s_cbranch_execz .LBB232_1747
; %bb.1738:
	flat_load_ubyte v0, v[0:1]
	s_mov_b32 s4, 0x47800000
                                        ; implicit-def: $vgpr10
	s_waitcnt vmcnt(0) lgkmcnt(0)
	v_cvt_f32_ubyte0_e32 v0, v0
	v_cmp_gt_u32_e64 s[4:5], s4, v0
	s_and_saveexec_b64 s[44:45], s[4:5]
	s_xor_b64 s[44:45], exec, s[44:45]
	s_cbranch_execz .LBB232_1744
; %bb.1739:
	s_mov_b32 s4, 0x387fffff
	v_cmp_lt_u32_e64 s[4:5], s4, v0
                                        ; implicit-def: $vgpr10
	s_and_saveexec_b64 s[46:47], s[4:5]
	s_xor_b64 s[4:5], exec, s[46:47]
; %bb.1740:
	v_bfe_u32 v1, v0, 21, 1
	s_mov_b32 s33, 0x80fffff
	v_add3_u32 v0, v0, v1, s33
	v_lshrrev_b32_e32 v10, 21, v0
                                        ; implicit-def: $vgpr0
; %bb.1741:
	s_andn2_saveexec_b64 s[4:5], s[4:5]
; %bb.1742:
	v_add_f32_e32 v10, 0x43000000, v0
; %bb.1743:
	s_or_b64 exec, exec, s[4:5]
                                        ; implicit-def: $vgpr0
.LBB232_1744:
	s_andn2_saveexec_b64 s[44:45], s[44:45]
; %bb.1745:
	s_mov_b32 s4, 0x7f800000
	v_mov_b32_e32 v1, 0x7c
	v_mov_b32_e32 v9, 0x7f
	v_cmp_lt_u32_e64 s[4:5], s4, v0
	v_cndmask_b32_e64 v10, v1, v9, s[4:5]
; %bb.1746:
	s_or_b64 exec, exec, s[44:45]
.LBB232_1747:
	s_or_b64 exec, exec, s[42:43]
.LBB232_1748:
	s_or_b64 exec, exec, s[40:41]
.LBB232_1749:
	s_or_b64 exec, exec, s[38:39]
	s_or_b64 s[8:9], s[8:9], exec
.LBB232_1750:
	s_or_b64 exec, exec, s[6:7]
	s_mov_b64 s[4:5], 0
	s_mov_b64 s[42:43], 0
                                        ; implicit-def: $sgpr6_sgpr7
                                        ; implicit-def: $vgpr0_vgpr1
                                        ; implicit-def: $vgpr21
	s_and_saveexec_b64 s[38:39], s[8:9]
	s_cbranch_execz .LBB232_2046
; %bb.1751:
	buffer_load_ubyte v21, off, s[0:3], 0 offset:40
	v_mul_lo_u32 v7, v4, v7
	s_mov_b64 s[44:45], 0
	s_mov_b64 s[40:41], s[30:31]
	v_ashrrev_i32_e32 v1, 31, v7
	v_add_co_u32_e64 v0, s[4:5], v2, v7
	v_addc_co_u32_e64 v1, s[4:5], v3, v1, s[4:5]
	s_waitcnt vmcnt(0)
	v_cmp_lt_i16_e64 s[4:5], 10, v21
	s_and_saveexec_b64 s[6:7], s[4:5]
	s_xor_b64 s[8:9], exec, s[6:7]
	s_cbranch_execz .LBB232_1792
; %bb.1752:
	v_cmp_lt_i16_e64 s[4:5], 25, v21
	s_mov_b64 s[40:41], 0
	s_mov_b64 s[6:7], 0
	s_and_saveexec_b64 s[42:43], s[4:5]
	s_xor_b64 s[42:43], exec, s[42:43]
	s_cbranch_execz .LBB232_2546
; %bb.1753:
	v_cmp_lt_i16_e64 s[4:5], 28, v21
	s_mov_b64 s[46:47], 0
	s_and_saveexec_b64 s[40:41], s[4:5]
	s_xor_b64 s[40:41], exec, s[40:41]
	s_cbranch_execz .LBB232_1771
; %bb.1754:
	v_cmp_lt_i16_e64 s[4:5], 43, v21
	;; [unrolled: 6-line block ×3, first 2 shown]
	s_mov_b64 s[50:51], 0
	s_and_saveexec_b64 s[6:7], s[4:5]
	s_xor_b64 s[6:7], exec, s[6:7]
	s_cbranch_execz .LBB232_1759
; %bb.1756:
	v_cmp_eq_u16_e64 s[4:5], 46, v21
	s_mov_b64 s[52:53], -1
	s_and_saveexec_b64 s[50:51], s[4:5]
	s_cbranch_execz .LBB232_1758
; %bb.1757:
	v_cndmask_b32_e64 v9, 0, 1.0, vcc
	v_bfe_u32 v11, v9, 16, 1
	s_movk_i32 s4, 0x7fff
	v_add3_u32 v9, v9, v11, s4
	v_lshrrev_b32_e32 v9, 16, v9
	s_mov_b64 s[48:49], exec
	flat_store_dword v[0:1], v9
	s_xor_b64 s[52:53], exec, -1
.LBB232_1758:
	s_or_b64 exec, exec, s[50:51]
	s_and_b64 s[50:51], s[48:49], exec
	s_and_b64 s[48:49], s[52:53], exec
.LBB232_1759:
	s_andn2_saveexec_b64 s[52:53], s[6:7]
	s_cbranch_execz .LBB232_1765
; %bb.1760:
	v_cmp_eq_u16_e64 s[4:5], 44, v21
	s_mov_b64 s[6:7], -1
	s_mov_b64 s[56:57], s[50:51]
	s_and_saveexec_b64 s[54:55], s[4:5]
	s_cbranch_execz .LBB232_1764
; %bb.1761:
	v_cndmask_b32_e64 v11, 0, 1.0, vcc
	v_lshrrev_b32_e32 v9, 23, v11
	s_movk_i32 s4, 0xff
	v_cmp_ne_u32_e64 s[4:5], s4, v9
	v_mov_b32_e32 v12, 0xff
	s_and_saveexec_b64 s[56:57], s[4:5]
; %bb.1762:
	s_mov_b32 s6, 0x3fffff
	v_and_b32_e32 v12, 0x400000, v11
	v_and_or_b32 v11, v11, s6, v9
	v_cmp_ne_u32_e64 s[4:5], 0, v12
	v_cmp_ne_u32_e64 s[6:7], 0, v11
	s_and_b64 s[4:5], s[4:5], s[6:7]
	v_cndmask_b32_e64 v11, 0, 1, s[4:5]
	v_add_u32_e32 v12, v9, v11
; %bb.1763:
	s_or_b64 exec, exec, s[56:57]
	s_or_b64 s[56:57], s[50:51], exec
	s_xor_b64 s[6:7], exec, -1
	flat_store_byte v[0:1], v12
.LBB232_1764:
	s_or_b64 exec, exec, s[54:55]
	s_andn2_b64 s[4:5], s[50:51], exec
	s_and_b64 s[50:51], s[56:57], exec
	s_or_b64 s[50:51], s[4:5], s[50:51]
	s_andn2_b64 s[4:5], s[48:49], exec
	s_and_b64 s[6:7], s[6:7], exec
	s_or_b64 s[48:49], s[4:5], s[6:7]
.LBB232_1765:
	s_or_b64 exec, exec, s[52:53]
	s_and_b64 s[6:7], s[50:51], exec
	s_and_b64 s[48:49], s[48:49], exec
.LBB232_1766:
	s_andn2_saveexec_b64 s[46:47], s[46:47]
	s_cbranch_execz .LBB232_1770
; %bb.1767:
	v_cmp_eq_u16_e64 s[4:5], 29, v21
	s_mov_b64 s[50:51], -1
	s_mov_b64 s[54:55], s[6:7]
	s_and_saveexec_b64 s[52:53], s[4:5]
	s_cbranch_execz .LBB232_1769
; %bb.1768:
	s_mov_b32 s4, 0
	v_cndmask_b32_e64 v11, 0, 1, vcc
	v_mov_b32_e32 v12, s4
	flat_store_dwordx2 v[0:1], v[11:12]
	s_or_b64 s[54:55], s[6:7], exec
	s_xor_b64 s[50:51], exec, -1
.LBB232_1769:
	s_or_b64 exec, exec, s[52:53]
	s_andn2_b64 s[4:5], s[6:7], exec
	s_and_b64 s[6:7], s[54:55], exec
	s_or_b64 s[6:7], s[4:5], s[6:7]
	s_andn2_b64 s[4:5], s[48:49], exec
	s_and_b64 s[48:49], s[50:51], exec
	s_or_b64 s[48:49], s[4:5], s[48:49]
.LBB232_1770:
	s_or_b64 exec, exec, s[46:47]
	s_and_b64 s[6:7], s[6:7], exec
	s_and_b64 s[46:47], s[48:49], exec
.LBB232_1771:
	s_andn2_saveexec_b64 s[40:41], s[40:41]
	s_cbranch_execz .LBB232_1787
; %bb.1772:
	v_cmp_lt_i16_e64 s[4:5], 26, v21
	s_and_saveexec_b64 s[48:49], s[4:5]
	s_xor_b64 s[48:49], exec, s[48:49]
	s_cbranch_execz .LBB232_1778
; %bb.1773:
	v_cmp_lt_i16_e64 s[4:5], 27, v21
	s_and_saveexec_b64 s[50:51], s[4:5]
	s_xor_b64 s[4:5], exec, s[50:51]
	s_cbranch_execz .LBB232_1775
; %bb.1774:
	v_cndmask_b32_e64 v9, 0, 1, vcc
	flat_store_dword v[0:1], v9
.LBB232_1775:
	s_andn2_saveexec_b64 s[4:5], s[4:5]
	s_cbranch_execz .LBB232_1777
; %bb.1776:
	v_cndmask_b32_e64 v9, 0, 1, vcc
	flat_store_short v[0:1], v9
.LBB232_1777:
	s_or_b64 exec, exec, s[4:5]
.LBB232_1778:
	s_andn2_saveexec_b64 s[48:49], s[48:49]
	s_cbranch_execz .LBB232_1786
; %bb.1779:
	v_cndmask_b32_e64 v11, 0, 1.0, vcc
	s_mov_b32 s4, 0x43800000
	v_cmp_gt_u32_e64 s[4:5], s4, v11
	v_mov_b32_e32 v12, 0x80
	s_and_saveexec_b64 s[50:51], s[4:5]
	s_cbranch_execz .LBB232_1785
; %bb.1780:
	s_mov_b32 s4, 0x3bffffff
	v_cmp_lt_u32_e64 s[4:5], s4, v11
	s_mov_b64 s[52:53], 0
                                        ; implicit-def: $vgpr9
	s_and_saveexec_b64 s[54:55], s[4:5]
	s_xor_b64 s[4:5], exec, s[54:55]
	s_cbranch_execz .LBB232_2740
; %bb.1781:
	v_bfe_u32 v9, v11, 20, 1
	s_mov_b32 s33, 0x487ffff
	v_add3_u32 v9, v11, v9, s33
	s_mov_b64 s[52:53], exec
	v_lshrrev_b32_e32 v9, 20, v9
                                        ; implicit-def: $vgpr11
	s_andn2_saveexec_b64 s[54:55], s[4:5]
	s_cbranch_execnz .LBB232_2741
.LBB232_1782:
	s_or_b64 exec, exec, s[54:55]
	v_mov_b32_e32 v12, 0
	s_and_saveexec_b64 s[4:5], s[52:53]
.LBB232_1783:
	v_mov_b32_e32 v12, v9
.LBB232_1784:
	s_or_b64 exec, exec, s[4:5]
.LBB232_1785:
	s_or_b64 exec, exec, s[50:51]
	flat_store_byte v[0:1], v12
.LBB232_1786:
	s_or_b64 exec, exec, s[48:49]
	s_or_b64 s[6:7], s[6:7], exec
.LBB232_1787:
	s_or_b64 exec, exec, s[40:41]
	s_and_b64 s[6:7], s[6:7], exec
	s_and_b64 s[40:41], s[46:47], exec
	s_andn2_saveexec_b64 s[42:43], s[42:43]
	s_cbranch_execnz .LBB232_2547
.LBB232_1788:
	s_or_b64 exec, exec, s[42:43]
	s_mov_b64 s[4:5], s[30:31]
	s_and_saveexec_b64 s[42:43], s[40:41]
	s_cbranch_execnz .LBB232_2588
.LBB232_1789:
	s_or_b64 exec, exec, s[42:43]
	s_and_saveexec_b64 s[40:41], s[44:45]
	s_xor_b64 s[40:41], exec, s[40:41]
	s_cbranch_execz .LBB232_1791
.LBB232_1790:
	v_cndmask_b32_e64 v9, 0, 1, vcc
	flat_store_byte v[0:1], v9
	s_or_b64 s[6:7], s[6:7], exec
.LBB232_1791:
	s_or_b64 exec, exec, s[40:41]
	s_andn2_b64 s[40:41], s[30:31], exec
	s_and_b64 s[4:5], s[4:5], exec
	s_or_b64 s[40:41], s[40:41], s[4:5]
	s_and_b64 s[44:45], s[6:7], exec
                                        ; implicit-def: $vgpr0_vgpr1
.LBB232_1792:
	s_andn2_saveexec_b64 s[6:7], s[8:9]
	s_cbranch_execz .LBB232_1834
; %bb.1793:
	v_cmp_lt_i16_e64 s[4:5], 4, v21
	s_and_saveexec_b64 s[8:9], s[4:5]
	s_xor_b64 s[8:9], exec, s[8:9]
	s_cbranch_execz .LBB232_1815
; %bb.1794:
	v_cmp_lt_i16_e64 s[4:5], 7, v21
	s_and_saveexec_b64 s[42:43], s[4:5]
	s_xor_b64 s[42:43], exec, s[42:43]
	;; [unrolled: 5-line block ×4, first 2 shown]
	s_cbranch_execz .LBB232_1798
; %bb.1797:
	v_cndmask_b32_e64 v9, 0, 1, vcc
	v_cvt_f64_u32_e32 v[17:18], v9
	v_mov_b32_e32 v19, 0
	v_mov_b32_e32 v20, v19
	flat_store_dwordx4 v[0:1], v[17:20]
                                        ; implicit-def: $vgpr0_vgpr1
.LBB232_1798:
	s_andn2_saveexec_b64 s[4:5], s[4:5]
	s_cbranch_execz .LBB232_1800
; %bb.1799:
	v_cndmask_b32_e64 v11, 0, 1.0, vcc
	v_mov_b32_e32 v12, 0
	flat_store_dwordx2 v[0:1], v[11:12]
.LBB232_1800:
	s_or_b64 exec, exec, s[4:5]
                                        ; implicit-def: $vgpr0_vgpr1
.LBB232_1801:
	s_andn2_saveexec_b64 s[4:5], s[46:47]
	s_cbranch_execz .LBB232_1803
; %bb.1802:
	v_cndmask_b32_e64 v9, 0, 1.0, vcc
	v_cvt_f16_f32_e32 v9, v9
	flat_store_dword v[0:1], v9
.LBB232_1803:
	s_or_b64 exec, exec, s[4:5]
                                        ; implicit-def: $vgpr0_vgpr1
.LBB232_1804:
	s_andn2_saveexec_b64 s[42:43], s[42:43]
	s_cbranch_execz .LBB232_1814
; %bb.1805:
	v_cmp_lt_i16_e64 s[4:5], 5, v21
	s_and_saveexec_b64 s[46:47], s[4:5]
	s_xor_b64 s[46:47], exec, s[46:47]
	s_cbranch_execz .LBB232_1811
; %bb.1806:
	v_cmp_lt_i16_e64 s[4:5], 6, v21
	s_and_saveexec_b64 s[48:49], s[4:5]
	s_xor_b64 s[4:5], exec, s[48:49]
	s_cbranch_execz .LBB232_1808
; %bb.1807:
	v_cndmask_b32_e64 v9, 0, 1, vcc
	v_cvt_f64_u32_e32 v[11:12], v9
	flat_store_dwordx2 v[0:1], v[11:12]
                                        ; implicit-def: $vgpr0_vgpr1
.LBB232_1808:
	s_andn2_saveexec_b64 s[4:5], s[4:5]
	s_cbranch_execz .LBB232_1810
; %bb.1809:
	v_cndmask_b32_e64 v9, 0, 1.0, vcc
	flat_store_dword v[0:1], v9
.LBB232_1810:
	s_or_b64 exec, exec, s[4:5]
                                        ; implicit-def: $vgpr0_vgpr1
.LBB232_1811:
	s_andn2_saveexec_b64 s[4:5], s[46:47]
	s_cbranch_execz .LBB232_1813
; %bb.1812:
	v_cndmask_b32_e64 v9, 0, 1.0, vcc
	v_cvt_f16_f32_e32 v9, v9
	flat_store_short v[0:1], v9
.LBB232_1813:
	s_or_b64 exec, exec, s[4:5]
.LBB232_1814:
	s_or_b64 exec, exec, s[42:43]
                                        ; implicit-def: $vgpr0_vgpr1
.LBB232_1815:
	s_andn2_saveexec_b64 s[8:9], s[8:9]
	s_cbranch_execz .LBB232_1833
; %bb.1816:
	v_cmp_lt_i16_e64 s[4:5], 1, v21
	s_and_saveexec_b64 s[42:43], s[4:5]
	s_xor_b64 s[42:43], exec, s[42:43]
	s_cbranch_execz .LBB232_1826
; %bb.1817:
	v_cmp_lt_i16_e64 s[4:5], 2, v21
	s_and_saveexec_b64 s[46:47], s[4:5]
	s_xor_b64 s[46:47], exec, s[46:47]
	;; [unrolled: 5-line block ×3, first 2 shown]
	s_cbranch_execz .LBB232_1820
; %bb.1819:
	s_mov_b32 s33, 0
	v_cndmask_b32_e64 v11, 0, 1, vcc
	v_mov_b32_e32 v12, s33
	flat_store_dwordx2 v[0:1], v[11:12]
                                        ; implicit-def: $vgpr0_vgpr1
.LBB232_1820:
	s_andn2_saveexec_b64 s[4:5], s[4:5]
	s_cbranch_execz .LBB232_1822
; %bb.1821:
	v_cndmask_b32_e64 v9, 0, 1, vcc
	flat_store_dword v[0:1], v9
.LBB232_1822:
	s_or_b64 exec, exec, s[4:5]
                                        ; implicit-def: $vgpr0_vgpr1
.LBB232_1823:
	s_andn2_saveexec_b64 s[4:5], s[46:47]
	s_cbranch_execz .LBB232_1825
; %bb.1824:
	v_cndmask_b32_e64 v9, 0, 1, vcc
	flat_store_short v[0:1], v9
.LBB232_1825:
	s_or_b64 exec, exec, s[4:5]
                                        ; implicit-def: $vgpr0_vgpr1
.LBB232_1826:
	s_andn2_saveexec_b64 s[42:43], s[42:43]
	s_cbranch_execz .LBB232_1832
; %bb.1827:
	v_cmp_lt_i16_e64 s[4:5], 0, v21
	v_cndmask_b32_e64 v9, 0, 1, vcc
	s_and_saveexec_b64 s[46:47], s[4:5]
	s_xor_b64 s[4:5], exec, s[46:47]
	s_cbranch_execz .LBB232_1829
; %bb.1828:
	flat_store_byte v[0:1], v9
                                        ; implicit-def: $vgpr0_vgpr1
                                        ; implicit-def: $vgpr9
.LBB232_1829:
	s_andn2_saveexec_b64 s[4:5], s[4:5]
	s_cbranch_execz .LBB232_1831
; %bb.1830:
	flat_store_byte v[0:1], v9
.LBB232_1831:
	s_or_b64 exec, exec, s[4:5]
.LBB232_1832:
	s_or_b64 exec, exec, s[42:43]
.LBB232_1833:
	s_or_b64 exec, exec, s[8:9]
	s_or_b64 s[44:45], s[44:45], exec
.LBB232_1834:
	s_or_b64 exec, exec, s[6:7]
	s_mov_b64 s[4:5], 0
	s_mov_b64 s[8:9], 0
                                        ; implicit-def: $sgpr6_sgpr7
                                        ; implicit-def: $vgpr0_vgpr1
	s_and_saveexec_b64 s[42:43], s[44:45]
	s_cbranch_execz .LBB232_2045
; %bb.1835:
	s_waitcnt lgkmcnt(0)
	v_lshlrev_b32_e32 v1, 25, v5
	v_lshlrev_b16_e32 v0, 8, v5
	v_lshrrev_b32_e32 v5, 4, v1
	s_movk_i32 s4, 0x7f00
	v_or_b32_e32 v5, 0x70000000, v5
	v_and_or_b32 v9, v0, s4, 0.5
	s_brev_b32 s5, 16
	v_add_f32_e32 v9, -0.5, v9
	v_mul_f32_e32 v5, 0x7800000, v5
	v_cmp_gt_u32_e32 vcc, s5, v1
	v_cndmask_b32_e32 v1, v5, v9, vcc
	v_bfe_i32 v0, v0, 0, 16
	s_brev_b32 s6, 1
	v_lshlrev_b32_e32 v5, 25, v6
	v_and_or_b32 v0, v0, s6, v1
	v_lshlrev_b16_e32 v1, 8, v6
	v_lshrrev_b32_e32 v6, 4, v5
	v_or_b32_e32 v6, 0x70000000, v6
	v_and_or_b32 v9, v1, s4, 0.5
	v_add_f32_e32 v9, -0.5, v9
	v_mul_f32_e32 v6, 0x7800000, v6
	v_cmp_gt_u32_e32 vcc, s5, v5
	v_cndmask_b32_e32 v5, v6, v9, vcc
	v_bfe_i32 v1, v1, 0, 16
	v_and_or_b32 v1, v1, s6, v5
	v_cmp_eq_f32_e32 vcc, v0, v1
	v_cndmask_b32_e64 v5, 0, 1, vcc
	v_cmp_neq_f32_e32 vcc, v0, v1
	v_cndmask_b32_e64 v0, 0, 1, vcc
	v_cmp_eq_u32_e32 vcc, 0, v16
	v_cndmask_b32_e32 v0, v0, v5, vcc
	v_lshlrev_b32_e32 v4, 7, v4
	v_and_b32_e32 v0, 1, v0
	v_add_u32_e32 v5, v7, v4
	v_cmp_eq_u32_e64 s[4:5], 1, v0
	v_ashrrev_i32_e32 v1, 31, v5
	v_add_co_u32_e64 v0, s[6:7], v2, v5
	v_addc_co_u32_e64 v1, s[6:7], v3, v1, s[6:7]
	v_cmp_lt_i16_e64 s[6:7], 10, v21
	s_mov_b64 s[44:45], s[40:41]
	s_and_saveexec_b64 s[46:47], s[6:7]
	s_xor_b64 s[46:47], exec, s[46:47]
	s_cbranch_execz .LBB232_1876
; %bb.1836:
	v_cmp_lt_i16_e64 s[6:7], 25, v21
	s_mov_b64 s[50:51], 0
	s_mov_b64 s[44:45], 0
	s_and_saveexec_b64 s[48:49], s[6:7]
	s_xor_b64 s[48:49], exec, s[48:49]
	s_cbranch_execz .LBB232_2597
; %bb.1837:
	v_cmp_lt_i16_e64 s[6:7], 28, v21
	s_mov_b64 s[52:53], 0
	s_and_saveexec_b64 s[44:45], s[6:7]
	s_xor_b64 s[44:45], exec, s[44:45]
	s_cbranch_execz .LBB232_1855
; %bb.1838:
	v_cmp_lt_i16_e64 s[6:7], 43, v21
	s_mov_b64 s[54:55], 0
	s_and_saveexec_b64 s[52:53], s[6:7]
	s_xor_b64 s[52:53], exec, s[52:53]
	s_cbranch_execz .LBB232_1850
; %bb.1839:
	v_cmp_lt_i16_e64 s[6:7], 45, v21
	s_mov_b64 s[56:57], 0
	s_and_saveexec_b64 s[8:9], s[6:7]
	s_xor_b64 s[8:9], exec, s[8:9]
	s_cbranch_execz .LBB232_1843
; %bb.1840:
	v_cmp_eq_u16_e64 s[6:7], 46, v21
	s_mov_b64 s[58:59], -1
	s_and_saveexec_b64 s[56:57], s[6:7]
	s_cbranch_execz .LBB232_1842
; %bb.1841:
	v_cndmask_b32_e64 v6, 0, 1.0, s[4:5]
	v_bfe_u32 v7, v6, 16, 1
	s_movk_i32 s6, 0x7fff
	v_add3_u32 v6, v6, v7, s6
	v_lshrrev_b32_e32 v6, 16, v6
	s_mov_b64 s[54:55], exec
	flat_store_dword v[0:1], v6
	s_xor_b64 s[58:59], exec, -1
.LBB232_1842:
	s_or_b64 exec, exec, s[56:57]
	s_and_b64 s[56:57], s[54:55], exec
	s_and_b64 s[54:55], s[58:59], exec
.LBB232_1843:
	s_andn2_saveexec_b64 s[58:59], s[8:9]
	s_cbranch_execz .LBB232_1849
; %bb.1844:
	v_cmp_eq_u16_e64 s[6:7], 44, v21
	s_mov_b64 s[8:9], -1
	s_mov_b64 s[62:63], s[56:57]
	s_and_saveexec_b64 s[60:61], s[6:7]
	s_cbranch_execz .LBB232_1848
; %bb.1845:
	v_cndmask_b32_e64 v7, 0, 1.0, s[4:5]
	v_lshrrev_b32_e32 v6, 23, v7
	s_movk_i32 s6, 0xff
	v_cmp_ne_u32_e64 s[6:7], s6, v6
	v_mov_b32_e32 v9, 0xff
	s_and_saveexec_b64 s[62:63], s[6:7]
; %bb.1846:
	s_mov_b32 s8, 0x3fffff
	v_and_b32_e32 v9, 0x400000, v7
	v_and_or_b32 v7, v7, s8, v6
	v_cmp_ne_u32_e64 s[6:7], 0, v9
	v_cmp_ne_u32_e64 s[8:9], 0, v7
	s_and_b64 s[6:7], s[6:7], s[8:9]
	v_cndmask_b32_e64 v7, 0, 1, s[6:7]
	v_add_u32_e32 v9, v6, v7
; %bb.1847:
	s_or_b64 exec, exec, s[62:63]
	s_or_b64 s[62:63], s[56:57], exec
	s_xor_b64 s[8:9], exec, -1
	flat_store_byte v[0:1], v9
.LBB232_1848:
	s_or_b64 exec, exec, s[60:61]
	s_andn2_b64 s[6:7], s[56:57], exec
	s_and_b64 s[56:57], s[62:63], exec
	s_or_b64 s[56:57], s[6:7], s[56:57]
	s_andn2_b64 s[6:7], s[54:55], exec
	s_and_b64 s[8:9], s[8:9], exec
	s_or_b64 s[54:55], s[6:7], s[8:9]
.LBB232_1849:
	s_or_b64 exec, exec, s[58:59]
	s_and_b64 s[8:9], s[56:57], exec
	s_and_b64 s[54:55], s[54:55], exec
.LBB232_1850:
	s_andn2_saveexec_b64 s[52:53], s[52:53]
	s_cbranch_execz .LBB232_1854
; %bb.1851:
	v_cmp_eq_u16_e64 s[6:7], 29, v21
	s_mov_b64 s[56:57], -1
	s_mov_b64 s[60:61], s[8:9]
	s_and_saveexec_b64 s[58:59], s[6:7]
	s_cbranch_execz .LBB232_1853
; %bb.1852:
	s_mov_b32 s6, 0
	v_cndmask_b32_e64 v6, 0, 1, s[4:5]
	v_mov_b32_e32 v7, s6
	flat_store_dwordx2 v[0:1], v[6:7]
	s_or_b64 s[60:61], s[8:9], exec
	s_xor_b64 s[56:57], exec, -1
.LBB232_1853:
	s_or_b64 exec, exec, s[58:59]
	s_andn2_b64 s[6:7], s[8:9], exec
	s_and_b64 s[8:9], s[60:61], exec
	s_or_b64 s[8:9], s[6:7], s[8:9]
	s_andn2_b64 s[6:7], s[54:55], exec
	s_and_b64 s[54:55], s[56:57], exec
	s_or_b64 s[54:55], s[6:7], s[54:55]
.LBB232_1854:
	s_or_b64 exec, exec, s[52:53]
	s_and_b64 s[8:9], s[8:9], exec
	s_and_b64 s[52:53], s[54:55], exec
.LBB232_1855:
	s_andn2_saveexec_b64 s[44:45], s[44:45]
	s_cbranch_execz .LBB232_1871
; %bb.1856:
	v_cmp_lt_i16_e64 s[6:7], 26, v21
	s_and_saveexec_b64 s[54:55], s[6:7]
	s_xor_b64 s[54:55], exec, s[54:55]
	s_cbranch_execz .LBB232_1862
; %bb.1857:
	v_cmp_lt_i16_e64 s[6:7], 27, v21
	s_and_saveexec_b64 s[56:57], s[6:7]
	s_xor_b64 s[6:7], exec, s[56:57]
	s_cbranch_execz .LBB232_1859
; %bb.1858:
	v_cndmask_b32_e64 v6, 0, 1, s[4:5]
	flat_store_dword v[0:1], v6
.LBB232_1859:
	s_andn2_saveexec_b64 s[6:7], s[6:7]
	s_cbranch_execz .LBB232_1861
; %bb.1860:
	v_cndmask_b32_e64 v6, 0, 1, s[4:5]
	flat_store_short v[0:1], v6
.LBB232_1861:
	s_or_b64 exec, exec, s[6:7]
.LBB232_1862:
	s_andn2_saveexec_b64 s[54:55], s[54:55]
	s_cbranch_execz .LBB232_1870
; %bb.1863:
	v_cndmask_b32_e64 v7, 0, 1.0, s[4:5]
	s_mov_b32 s6, 0x43800000
	v_cmp_gt_u32_e64 s[6:7], s6, v7
	v_mov_b32_e32 v9, 0x80
	s_and_saveexec_b64 s[56:57], s[6:7]
	s_cbranch_execz .LBB232_1869
; %bb.1864:
	s_mov_b32 s6, 0x3bffffff
	v_cmp_lt_u32_e64 s[6:7], s6, v7
	s_mov_b64 s[58:59], 0
                                        ; implicit-def: $vgpr6
	s_and_saveexec_b64 s[60:61], s[6:7]
	s_xor_b64 s[6:7], exec, s[60:61]
	s_cbranch_execz .LBB232_2742
; %bb.1865:
	v_bfe_u32 v6, v7, 20, 1
	s_mov_b32 s33, 0x487ffff
	v_add3_u32 v6, v7, v6, s33
	s_mov_b64 s[58:59], exec
	v_lshrrev_b32_e32 v6, 20, v6
                                        ; implicit-def: $vgpr7
	s_andn2_saveexec_b64 s[60:61], s[6:7]
	s_cbranch_execnz .LBB232_2743
.LBB232_1866:
	s_or_b64 exec, exec, s[60:61]
	v_mov_b32_e32 v9, 0
	s_and_saveexec_b64 s[6:7], s[58:59]
.LBB232_1867:
	v_mov_b32_e32 v9, v6
.LBB232_1868:
	s_or_b64 exec, exec, s[6:7]
.LBB232_1869:
	s_or_b64 exec, exec, s[56:57]
	flat_store_byte v[0:1], v9
.LBB232_1870:
	s_or_b64 exec, exec, s[54:55]
	s_or_b64 s[8:9], s[8:9], exec
.LBB232_1871:
	s_or_b64 exec, exec, s[44:45]
	s_and_b64 s[8:9], s[8:9], exec
	s_and_b64 s[44:45], s[52:53], exec
	s_andn2_saveexec_b64 s[48:49], s[48:49]
	s_cbranch_execnz .LBB232_2598
.LBB232_1872:
	s_or_b64 exec, exec, s[48:49]
	s_mov_b64 s[6:7], s[40:41]
	s_and_saveexec_b64 s[48:49], s[44:45]
	s_cbranch_execnz .LBB232_2639
.LBB232_1873:
	s_or_b64 exec, exec, s[48:49]
	s_and_saveexec_b64 s[44:45], s[50:51]
	s_xor_b64 s[44:45], exec, s[44:45]
	s_cbranch_execz .LBB232_1875
.LBB232_1874:
	v_cndmask_b32_e64 v6, 0, 1, s[4:5]
	flat_store_byte v[0:1], v6
	s_or_b64 s[8:9], s[8:9], exec
.LBB232_1875:
	s_or_b64 exec, exec, s[44:45]
	s_andn2_b64 s[44:45], s[40:41], exec
	s_and_b64 s[6:7], s[6:7], exec
	s_or_b64 s[44:45], s[44:45], s[6:7]
	s_and_b64 s[8:9], s[8:9], exec
                                        ; implicit-def: $vgpr0_vgpr1
.LBB232_1876:
	s_andn2_saveexec_b64 s[46:47], s[46:47]
	s_cbranch_execz .LBB232_1918
; %bb.1877:
	v_cmp_lt_i16_e64 s[6:7], 4, v21
	s_and_saveexec_b64 s[48:49], s[6:7]
	s_xor_b64 s[48:49], exec, s[48:49]
	s_cbranch_execz .LBB232_1899
; %bb.1878:
	v_cmp_lt_i16_e64 s[6:7], 7, v21
	s_and_saveexec_b64 s[50:51], s[6:7]
	s_xor_b64 s[50:51], exec, s[50:51]
	;; [unrolled: 5-line block ×4, first 2 shown]
	s_cbranch_execz .LBB232_1882
; %bb.1881:
	v_cndmask_b32_e64 v6, 0, 1, s[4:5]
	v_cvt_f64_u32_e32 v[16:17], v6
	v_mov_b32_e32 v18, 0
	v_mov_b32_e32 v19, v18
	flat_store_dwordx4 v[0:1], v[16:19]
                                        ; implicit-def: $vgpr0_vgpr1
.LBB232_1882:
	s_andn2_saveexec_b64 s[6:7], s[6:7]
	s_cbranch_execz .LBB232_1884
; %bb.1883:
	v_cndmask_b32_e64 v6, 0, 1.0, s[4:5]
	v_mov_b32_e32 v7, 0
	flat_store_dwordx2 v[0:1], v[6:7]
.LBB232_1884:
	s_or_b64 exec, exec, s[6:7]
                                        ; implicit-def: $vgpr0_vgpr1
.LBB232_1885:
	s_andn2_saveexec_b64 s[6:7], s[52:53]
	s_cbranch_execz .LBB232_1887
; %bb.1886:
	v_cndmask_b32_e64 v6, 0, 1.0, s[4:5]
	v_cvt_f16_f32_e32 v6, v6
	flat_store_dword v[0:1], v6
.LBB232_1887:
	s_or_b64 exec, exec, s[6:7]
                                        ; implicit-def: $vgpr0_vgpr1
.LBB232_1888:
	s_andn2_saveexec_b64 s[50:51], s[50:51]
	s_cbranch_execz .LBB232_1898
; %bb.1889:
	v_cmp_lt_i16_e64 s[6:7], 5, v21
	s_and_saveexec_b64 s[52:53], s[6:7]
	s_xor_b64 s[52:53], exec, s[52:53]
	s_cbranch_execz .LBB232_1895
; %bb.1890:
	v_cmp_lt_i16_e64 s[6:7], 6, v21
	s_and_saveexec_b64 s[54:55], s[6:7]
	s_xor_b64 s[6:7], exec, s[54:55]
	s_cbranch_execz .LBB232_1892
; %bb.1891:
	v_cndmask_b32_e64 v6, 0, 1, s[4:5]
	v_cvt_f64_u32_e32 v[6:7], v6
	flat_store_dwordx2 v[0:1], v[6:7]
                                        ; implicit-def: $vgpr0_vgpr1
.LBB232_1892:
	s_andn2_saveexec_b64 s[6:7], s[6:7]
	s_cbranch_execz .LBB232_1894
; %bb.1893:
	v_cndmask_b32_e64 v6, 0, 1.0, s[4:5]
	flat_store_dword v[0:1], v6
.LBB232_1894:
	s_or_b64 exec, exec, s[6:7]
                                        ; implicit-def: $vgpr0_vgpr1
.LBB232_1895:
	s_andn2_saveexec_b64 s[6:7], s[52:53]
	s_cbranch_execz .LBB232_1897
; %bb.1896:
	v_cndmask_b32_e64 v6, 0, 1.0, s[4:5]
	v_cvt_f16_f32_e32 v6, v6
	flat_store_short v[0:1], v6
.LBB232_1897:
	s_or_b64 exec, exec, s[6:7]
.LBB232_1898:
	s_or_b64 exec, exec, s[50:51]
                                        ; implicit-def: $vgpr0_vgpr1
.LBB232_1899:
	s_andn2_saveexec_b64 s[48:49], s[48:49]
	s_cbranch_execz .LBB232_1917
; %bb.1900:
	v_cmp_lt_i16_e64 s[6:7], 1, v21
	s_and_saveexec_b64 s[50:51], s[6:7]
	s_xor_b64 s[50:51], exec, s[50:51]
	s_cbranch_execz .LBB232_1910
; %bb.1901:
	v_cmp_lt_i16_e64 s[6:7], 2, v21
	s_and_saveexec_b64 s[52:53], s[6:7]
	s_xor_b64 s[52:53], exec, s[52:53]
	;; [unrolled: 5-line block ×3, first 2 shown]
	s_cbranch_execz .LBB232_1904
; %bb.1903:
	s_mov_b32 s33, 0
	v_cndmask_b32_e64 v6, 0, 1, s[4:5]
	v_mov_b32_e32 v7, s33
	flat_store_dwordx2 v[0:1], v[6:7]
                                        ; implicit-def: $vgpr0_vgpr1
.LBB232_1904:
	s_andn2_saveexec_b64 s[6:7], s[6:7]
	s_cbranch_execz .LBB232_1906
; %bb.1905:
	v_cndmask_b32_e64 v6, 0, 1, s[4:5]
	flat_store_dword v[0:1], v6
.LBB232_1906:
	s_or_b64 exec, exec, s[6:7]
                                        ; implicit-def: $vgpr0_vgpr1
.LBB232_1907:
	s_andn2_saveexec_b64 s[6:7], s[52:53]
	s_cbranch_execz .LBB232_1909
; %bb.1908:
	v_cndmask_b32_e64 v6, 0, 1, s[4:5]
	flat_store_short v[0:1], v6
.LBB232_1909:
	s_or_b64 exec, exec, s[6:7]
                                        ; implicit-def: $vgpr0_vgpr1
.LBB232_1910:
	s_andn2_saveexec_b64 s[50:51], s[50:51]
	s_cbranch_execz .LBB232_1916
; %bb.1911:
	v_cmp_lt_i16_e64 s[6:7], 0, v21
	v_cndmask_b32_e64 v6, 0, 1, s[4:5]
	s_and_saveexec_b64 s[4:5], s[6:7]
	s_xor_b64 s[4:5], exec, s[4:5]
	s_cbranch_execz .LBB232_1913
; %bb.1912:
	flat_store_byte v[0:1], v6
                                        ; implicit-def: $vgpr0_vgpr1
                                        ; implicit-def: $vgpr6
.LBB232_1913:
	s_andn2_saveexec_b64 s[4:5], s[4:5]
	s_cbranch_execz .LBB232_1915
; %bb.1914:
	flat_store_byte v[0:1], v6
.LBB232_1915:
	s_or_b64 exec, exec, s[4:5]
.LBB232_1916:
	s_or_b64 exec, exec, s[50:51]
.LBB232_1917:
	s_or_b64 exec, exec, s[48:49]
	s_or_b64 s[8:9], s[8:9], exec
.LBB232_1918:
	s_or_b64 exec, exec, s[46:47]
	s_mov_b64 s[4:5], 0
	s_mov_b64 s[48:49], 0
                                        ; implicit-def: $sgpr6_sgpr7
                                        ; implicit-def: $vgpr0_vgpr1
	s_and_saveexec_b64 s[46:47], s[8:9]
	s_cbranch_execz .LBB232_2044
; %bb.1919:
	v_lshlrev_b32_e32 v1, 25, v8
	v_lshlrev_b16_e32 v0, 8, v8
	v_lshrrev_b32_e32 v6, 4, v1
	s_movk_i32 s6, 0x7f00
	v_or_b32_e32 v6, 0x70000000, v6
	v_and_or_b32 v7, v0, s6, 0.5
	s_brev_b32 s7, 16
	v_add_f32_e32 v7, -0.5, v7
	v_mul_f32_e32 v6, 0x7800000, v6
	v_cmp_gt_u32_e64 s[4:5], s7, v1
	v_cndmask_b32_e64 v1, v6, v7, s[4:5]
	v_bfe_i32 v0, v0, 0, 16
	s_brev_b32 s8, 1
	v_lshlrev_b32_e32 v6, 25, v15
	v_and_or_b32 v0, v0, s8, v1
	v_lshlrev_b16_e32 v1, 8, v15
	v_lshrrev_b32_e32 v7, 4, v6
	v_or_b32_e32 v7, 0x70000000, v7
	v_and_or_b32 v8, v1, s6, 0.5
	v_add_f32_e32 v8, -0.5, v8
	v_mul_f32_e32 v7, 0x7800000, v7
	v_cmp_gt_u32_e64 s[4:5], s7, v6
	v_cndmask_b32_e64 v6, v7, v8, s[4:5]
	v_bfe_i32 v1, v1, 0, 16
	v_and_or_b32 v1, v1, s8, v6
	v_cmp_eq_f32_e64 s[4:5], v0, v1
	v_cndmask_b32_e64 v6, 0, 1, s[4:5]
	v_cmp_neq_f32_e64 s[4:5], v0, v1
	v_cndmask_b32_e64 v0, 0, 1, s[4:5]
	v_cndmask_b32_e32 v0, v0, v6, vcc
	v_and_b32_e32 v0, 1, v0
	v_add_u32_e32 v5, v5, v4
	v_cmp_eq_u32_e64 s[4:5], 1, v0
	v_ashrrev_i32_e32 v1, 31, v5
	v_add_co_u32_e64 v0, s[6:7], v2, v5
	v_addc_co_u32_e64 v1, s[6:7], v3, v1, s[6:7]
	v_cmp_lt_i16_e64 s[6:7], 10, v21
	s_mov_b64 s[50:51], 0
	s_mov_b64 s[8:9], s[44:45]
	s_and_saveexec_b64 s[48:49], s[6:7]
	s_xor_b64 s[48:49], exec, s[48:49]
	s_cbranch_execz .LBB232_1960
; %bb.1920:
	v_cmp_lt_i16_e64 s[6:7], 25, v21
	s_mov_b64 s[54:55], 0
	s_mov_b64 s[8:9], 0
	s_and_saveexec_b64 s[52:53], s[6:7]
	s_xor_b64 s[52:53], exec, s[52:53]
	s_cbranch_execz .LBB232_2648
; %bb.1921:
	v_cmp_lt_i16_e64 s[6:7], 28, v21
	s_mov_b64 s[56:57], 0
	s_and_saveexec_b64 s[50:51], s[6:7]
	s_xor_b64 s[50:51], exec, s[50:51]
	s_cbranch_execz .LBB232_1939
; %bb.1922:
	v_cmp_lt_i16_e64 s[6:7], 43, v21
	;; [unrolled: 6-line block ×3, first 2 shown]
	s_mov_b64 s[58:59], 0
	s_and_saveexec_b64 s[8:9], s[6:7]
	s_xor_b64 s[8:9], exec, s[8:9]
	s_cbranch_execz .LBB232_1927
; %bb.1924:
	v_cmp_eq_u16_e64 s[6:7], 46, v21
	s_mov_b64 s[62:63], -1
	s_and_saveexec_b64 s[60:61], s[6:7]
	s_cbranch_execz .LBB232_1926
; %bb.1925:
	v_cndmask_b32_e64 v6, 0, 1.0, s[4:5]
	v_bfe_u32 v7, v6, 16, 1
	s_movk_i32 s6, 0x7fff
	v_add3_u32 v6, v6, v7, s6
	v_lshrrev_b32_e32 v6, 16, v6
	s_mov_b64 s[58:59], exec
	flat_store_dword v[0:1], v6
	s_xor_b64 s[62:63], exec, -1
.LBB232_1926:
	s_or_b64 exec, exec, s[60:61]
	s_and_b64 s[60:61], s[58:59], exec
	s_and_b64 s[58:59], s[62:63], exec
.LBB232_1927:
	s_andn2_saveexec_b64 s[62:63], s[8:9]
	s_cbranch_execz .LBB232_1933
; %bb.1928:
	v_cmp_eq_u16_e64 s[6:7], 44, v21
	s_mov_b64 s[8:9], -1
	s_mov_b64 s[66:67], s[60:61]
	s_and_saveexec_b64 s[64:65], s[6:7]
	s_cbranch_execz .LBB232_1932
; %bb.1929:
	v_cndmask_b32_e64 v7, 0, 1.0, s[4:5]
	v_lshrrev_b32_e32 v6, 23, v7
	s_movk_i32 s6, 0xff
	v_cmp_ne_u32_e64 s[6:7], s6, v6
	v_mov_b32_e32 v8, 0xff
	s_and_saveexec_b64 s[66:67], s[6:7]
; %bb.1930:
	s_mov_b32 s8, 0x3fffff
	v_and_b32_e32 v8, 0x400000, v7
	v_and_or_b32 v7, v7, s8, v6
	v_cmp_ne_u32_e64 s[6:7], 0, v8
	v_cmp_ne_u32_e64 s[8:9], 0, v7
	s_and_b64 s[6:7], s[6:7], s[8:9]
	v_cndmask_b32_e64 v7, 0, 1, s[6:7]
	v_add_u32_e32 v8, v6, v7
; %bb.1931:
	s_or_b64 exec, exec, s[66:67]
	s_or_b64 s[66:67], s[60:61], exec
	s_xor_b64 s[8:9], exec, -1
	flat_store_byte v[0:1], v8
.LBB232_1932:
	s_or_b64 exec, exec, s[64:65]
	s_andn2_b64 s[6:7], s[60:61], exec
	s_and_b64 s[60:61], s[66:67], exec
	s_or_b64 s[60:61], s[6:7], s[60:61]
	s_andn2_b64 s[6:7], s[58:59], exec
	s_and_b64 s[8:9], s[8:9], exec
	s_or_b64 s[58:59], s[6:7], s[8:9]
.LBB232_1933:
	s_or_b64 exec, exec, s[62:63]
	s_and_b64 s[60:61], s[60:61], exec
	s_and_b64 s[8:9], s[58:59], exec
.LBB232_1934:
	s_andn2_saveexec_b64 s[56:57], s[56:57]
	s_cbranch_execz .LBB232_1938
; %bb.1935:
	v_cmp_eq_u16_e64 s[6:7], 29, v21
	s_mov_b64 s[58:59], -1
	s_mov_b64 s[64:65], s[60:61]
	s_and_saveexec_b64 s[62:63], s[6:7]
	s_cbranch_execz .LBB232_1937
; %bb.1936:
	s_mov_b32 s6, 0
	v_cndmask_b32_e64 v6, 0, 1, s[4:5]
	v_mov_b32_e32 v7, s6
	flat_store_dwordx2 v[0:1], v[6:7]
	s_or_b64 s[64:65], s[60:61], exec
	s_xor_b64 s[58:59], exec, -1
.LBB232_1937:
	s_or_b64 exec, exec, s[62:63]
	s_andn2_b64 s[6:7], s[60:61], exec
	s_and_b64 s[60:61], s[64:65], exec
	s_or_b64 s[60:61], s[6:7], s[60:61]
	s_andn2_b64 s[6:7], s[8:9], exec
	s_and_b64 s[8:9], s[58:59], exec
	s_or_b64 s[8:9], s[6:7], s[8:9]
.LBB232_1938:
	s_or_b64 exec, exec, s[56:57]
	s_and_b64 s[56:57], s[60:61], exec
	s_and_b64 s[8:9], s[8:9], exec
.LBB232_1939:
	s_andn2_saveexec_b64 s[50:51], s[50:51]
	s_cbranch_execz .LBB232_1955
; %bb.1940:
	v_cmp_lt_i16_e64 s[6:7], 26, v21
	s_and_saveexec_b64 s[58:59], s[6:7]
	s_xor_b64 s[58:59], exec, s[58:59]
	s_cbranch_execz .LBB232_1946
; %bb.1941:
	v_cmp_lt_i16_e64 s[6:7], 27, v21
	s_and_saveexec_b64 s[60:61], s[6:7]
	s_xor_b64 s[6:7], exec, s[60:61]
	s_cbranch_execz .LBB232_1943
; %bb.1942:
	v_cndmask_b32_e64 v6, 0, 1, s[4:5]
	flat_store_dword v[0:1], v6
.LBB232_1943:
	s_andn2_saveexec_b64 s[6:7], s[6:7]
	s_cbranch_execz .LBB232_1945
; %bb.1944:
	v_cndmask_b32_e64 v6, 0, 1, s[4:5]
	flat_store_short v[0:1], v6
.LBB232_1945:
	s_or_b64 exec, exec, s[6:7]
.LBB232_1946:
	s_andn2_saveexec_b64 s[58:59], s[58:59]
	s_cbranch_execz .LBB232_1954
; %bb.1947:
	v_cndmask_b32_e64 v7, 0, 1.0, s[4:5]
	s_mov_b32 s6, 0x43800000
	v_cmp_gt_u32_e64 s[6:7], s6, v7
	v_mov_b32_e32 v8, 0x80
	s_and_saveexec_b64 s[60:61], s[6:7]
	s_cbranch_execz .LBB232_1953
; %bb.1948:
	s_mov_b32 s6, 0x3bffffff
	v_cmp_lt_u32_e64 s[6:7], s6, v7
	s_mov_b64 s[62:63], 0
                                        ; implicit-def: $vgpr6
	s_and_saveexec_b64 s[64:65], s[6:7]
	s_xor_b64 s[6:7], exec, s[64:65]
	s_cbranch_execz .LBB232_2746
; %bb.1949:
	v_bfe_u32 v6, v7, 20, 1
	s_mov_b32 s33, 0x487ffff
	v_add3_u32 v6, v7, v6, s33
	s_mov_b64 s[62:63], exec
	v_lshrrev_b32_e32 v6, 20, v6
                                        ; implicit-def: $vgpr7
	s_andn2_saveexec_b64 s[64:65], s[6:7]
	s_cbranch_execnz .LBB232_2747
.LBB232_1950:
	s_or_b64 exec, exec, s[64:65]
	v_mov_b32_e32 v8, 0
	s_and_saveexec_b64 s[6:7], s[62:63]
.LBB232_1951:
	v_mov_b32_e32 v8, v6
.LBB232_1952:
	s_or_b64 exec, exec, s[6:7]
.LBB232_1953:
	s_or_b64 exec, exec, s[60:61]
	flat_store_byte v[0:1], v8
.LBB232_1954:
	s_or_b64 exec, exec, s[58:59]
	s_or_b64 s[56:57], s[56:57], exec
.LBB232_1955:
	s_or_b64 exec, exec, s[50:51]
	s_and_b64 s[50:51], s[56:57], exec
	s_and_b64 s[8:9], s[8:9], exec
	s_andn2_saveexec_b64 s[52:53], s[52:53]
	s_cbranch_execnz .LBB232_2649
.LBB232_1956:
	s_or_b64 exec, exec, s[52:53]
	s_mov_b64 s[6:7], s[44:45]
	s_and_saveexec_b64 s[52:53], s[8:9]
	s_cbranch_execnz .LBB232_2690
.LBB232_1957:
	s_or_b64 exec, exec, s[52:53]
	s_and_saveexec_b64 s[8:9], s[54:55]
	s_xor_b64 s[8:9], exec, s[8:9]
	s_cbranch_execz .LBB232_1959
.LBB232_1958:
	v_cndmask_b32_e64 v6, 0, 1, s[4:5]
	flat_store_byte v[0:1], v6
	s_or_b64 s[50:51], s[50:51], exec
.LBB232_1959:
	s_or_b64 exec, exec, s[8:9]
	s_andn2_b64 s[8:9], s[44:45], exec
	s_and_b64 s[6:7], s[6:7], exec
	s_or_b64 s[8:9], s[8:9], s[6:7]
	s_and_b64 s[50:51], s[50:51], exec
                                        ; implicit-def: $vgpr0_vgpr1
.LBB232_1960:
	s_andn2_saveexec_b64 s[48:49], s[48:49]
	s_cbranch_execz .LBB232_2002
; %bb.1961:
	v_cmp_lt_i16_e64 s[6:7], 4, v21
	s_and_saveexec_b64 s[52:53], s[6:7]
	s_xor_b64 s[52:53], exec, s[52:53]
	s_cbranch_execz .LBB232_1983
; %bb.1962:
	v_cmp_lt_i16_e64 s[6:7], 7, v21
	s_and_saveexec_b64 s[54:55], s[6:7]
	s_xor_b64 s[54:55], exec, s[54:55]
	s_cbranch_execz .LBB232_1972
; %bb.1963:
	v_cmp_lt_i16_e64 s[6:7], 8, v21
	s_and_saveexec_b64 s[56:57], s[6:7]
	s_xor_b64 s[56:57], exec, s[56:57]
	s_cbranch_execz .LBB232_1969
; %bb.1964:
	v_cmp_lt_i16_e64 s[6:7], 9, v21
	s_and_saveexec_b64 s[58:59], s[6:7]
	s_xor_b64 s[6:7], exec, s[58:59]
	s_cbranch_execz .LBB232_1966
; %bb.1965:
	v_cndmask_b32_e64 v6, 0, 1, s[4:5]
	v_cvt_f64_u32_e32 v[6:7], v6
	v_mov_b32_e32 v8, 0
	v_mov_b32_e32 v9, v8
	flat_store_dwordx4 v[0:1], v[6:9]
                                        ; implicit-def: $vgpr0_vgpr1
.LBB232_1966:
	s_andn2_saveexec_b64 s[6:7], s[6:7]
	s_cbranch_execz .LBB232_1968
; %bb.1967:
	v_cndmask_b32_e64 v6, 0, 1.0, s[4:5]
	v_mov_b32_e32 v7, 0
	flat_store_dwordx2 v[0:1], v[6:7]
.LBB232_1968:
	s_or_b64 exec, exec, s[6:7]
                                        ; implicit-def: $vgpr0_vgpr1
.LBB232_1969:
	s_andn2_saveexec_b64 s[6:7], s[56:57]
	s_cbranch_execz .LBB232_1971
; %bb.1970:
	v_cndmask_b32_e64 v6, 0, 1.0, s[4:5]
	v_cvt_f16_f32_e32 v6, v6
	flat_store_dword v[0:1], v6
.LBB232_1971:
	s_or_b64 exec, exec, s[6:7]
                                        ; implicit-def: $vgpr0_vgpr1
.LBB232_1972:
	s_andn2_saveexec_b64 s[54:55], s[54:55]
	s_cbranch_execz .LBB232_1982
; %bb.1973:
	v_cmp_lt_i16_e64 s[6:7], 5, v21
	s_and_saveexec_b64 s[56:57], s[6:7]
	s_xor_b64 s[56:57], exec, s[56:57]
	s_cbranch_execz .LBB232_1979
; %bb.1974:
	v_cmp_lt_i16_e64 s[6:7], 6, v21
	s_and_saveexec_b64 s[58:59], s[6:7]
	s_xor_b64 s[6:7], exec, s[58:59]
	s_cbranch_execz .LBB232_1976
; %bb.1975:
	v_cndmask_b32_e64 v6, 0, 1, s[4:5]
	v_cvt_f64_u32_e32 v[6:7], v6
	flat_store_dwordx2 v[0:1], v[6:7]
                                        ; implicit-def: $vgpr0_vgpr1
.LBB232_1976:
	s_andn2_saveexec_b64 s[6:7], s[6:7]
	s_cbranch_execz .LBB232_1978
; %bb.1977:
	v_cndmask_b32_e64 v6, 0, 1.0, s[4:5]
	flat_store_dword v[0:1], v6
.LBB232_1978:
	s_or_b64 exec, exec, s[6:7]
                                        ; implicit-def: $vgpr0_vgpr1
.LBB232_1979:
	s_andn2_saveexec_b64 s[6:7], s[56:57]
	s_cbranch_execz .LBB232_1981
; %bb.1980:
	v_cndmask_b32_e64 v6, 0, 1.0, s[4:5]
	v_cvt_f16_f32_e32 v6, v6
	flat_store_short v[0:1], v6
.LBB232_1981:
	s_or_b64 exec, exec, s[6:7]
.LBB232_1982:
	s_or_b64 exec, exec, s[54:55]
                                        ; implicit-def: $vgpr0_vgpr1
.LBB232_1983:
	s_andn2_saveexec_b64 s[52:53], s[52:53]
	s_cbranch_execz .LBB232_2001
; %bb.1984:
	v_cmp_lt_i16_e64 s[6:7], 1, v21
	s_and_saveexec_b64 s[54:55], s[6:7]
	s_xor_b64 s[54:55], exec, s[54:55]
	s_cbranch_execz .LBB232_1994
; %bb.1985:
	v_cmp_lt_i16_e64 s[6:7], 2, v21
	s_and_saveexec_b64 s[56:57], s[6:7]
	s_xor_b64 s[56:57], exec, s[56:57]
	s_cbranch_execz .LBB232_1991
; %bb.1986:
	v_cmp_lt_i16_e64 s[6:7], 3, v21
	s_and_saveexec_b64 s[58:59], s[6:7]
	s_xor_b64 s[6:7], exec, s[58:59]
	s_cbranch_execz .LBB232_1988
; %bb.1987:
	s_mov_b32 s33, 0
	v_cndmask_b32_e64 v6, 0, 1, s[4:5]
	v_mov_b32_e32 v7, s33
	flat_store_dwordx2 v[0:1], v[6:7]
                                        ; implicit-def: $vgpr0_vgpr1
.LBB232_1988:
	s_andn2_saveexec_b64 s[6:7], s[6:7]
	s_cbranch_execz .LBB232_1990
; %bb.1989:
	v_cndmask_b32_e64 v6, 0, 1, s[4:5]
	flat_store_dword v[0:1], v6
.LBB232_1990:
	s_or_b64 exec, exec, s[6:7]
                                        ; implicit-def: $vgpr0_vgpr1
.LBB232_1991:
	s_andn2_saveexec_b64 s[6:7], s[56:57]
	s_cbranch_execz .LBB232_1993
; %bb.1992:
	v_cndmask_b32_e64 v6, 0, 1, s[4:5]
	flat_store_short v[0:1], v6
.LBB232_1993:
	s_or_b64 exec, exec, s[6:7]
                                        ; implicit-def: $vgpr0_vgpr1
.LBB232_1994:
	s_andn2_saveexec_b64 s[54:55], s[54:55]
	s_cbranch_execz .LBB232_2000
; %bb.1995:
	v_cmp_lt_i16_e64 s[6:7], 0, v21
	v_cndmask_b32_e64 v6, 0, 1, s[4:5]
	s_and_saveexec_b64 s[4:5], s[6:7]
	s_xor_b64 s[4:5], exec, s[4:5]
	s_cbranch_execz .LBB232_1997
; %bb.1996:
	flat_store_byte v[0:1], v6
                                        ; implicit-def: $vgpr0_vgpr1
                                        ; implicit-def: $vgpr6
.LBB232_1997:
	s_andn2_saveexec_b64 s[4:5], s[4:5]
	s_cbranch_execz .LBB232_1999
; %bb.1998:
	flat_store_byte v[0:1], v6
.LBB232_1999:
	s_or_b64 exec, exec, s[4:5]
.LBB232_2000:
	s_or_b64 exec, exec, s[54:55]
.LBB232_2001:
	s_or_b64 exec, exec, s[52:53]
	s_or_b64 s[50:51], s[50:51], exec
.LBB232_2002:
	s_or_b64 exec, exec, s[48:49]
	s_mov_b64 s[4:5], 0
	s_mov_b64 s[52:53], 0
                                        ; implicit-def: $sgpr6_sgpr7
                                        ; implicit-def: $vgpr0_vgpr1
	s_and_saveexec_b64 s[48:49], s[50:51]
	s_cbranch_execz .LBB232_2043
; %bb.2003:
	v_lshlrev_b32_e32 v1, 25, v13
	v_lshlrev_b16_e32 v0, 8, v13
	v_lshrrev_b32_e32 v6, 4, v1
	s_movk_i32 s6, 0x7f00
	v_or_b32_e32 v6, 0x70000000, v6
	v_and_or_b32 v7, v0, s6, 0.5
	s_brev_b32 s7, 16
	v_add_f32_e32 v7, -0.5, v7
	v_mul_f32_e32 v6, 0x7800000, v6
	v_cmp_gt_u32_e64 s[4:5], s7, v1
	v_cndmask_b32_e64 v1, v6, v7, s[4:5]
	v_bfe_i32 v0, v0, 0, 16
	s_brev_b32 s33, 1
	v_lshlrev_b32_e32 v6, 25, v10
	v_and_or_b32 v0, v0, s33, v1
	v_lshlrev_b16_e32 v1, 8, v10
	v_lshrrev_b32_e32 v7, 4, v6
	v_or_b32_e32 v7, 0x70000000, v7
	v_and_or_b32 v8, v1, s6, 0.5
	v_add_f32_e32 v8, -0.5, v8
	v_mul_f32_e32 v7, 0x7800000, v7
	v_cmp_gt_u32_e64 s[4:5], s7, v6
	v_cndmask_b32_e64 v6, v7, v8, s[4:5]
	v_bfe_i32 v1, v1, 0, 16
	v_and_or_b32 v1, v1, s33, v6
	v_cmp_eq_f32_e64 s[4:5], v0, v1
	v_cndmask_b32_e64 v6, 0, 1, s[4:5]
	v_cmp_neq_f32_e64 s[4:5], v0, v1
	v_cndmask_b32_e64 v0, 0, 1, s[4:5]
	v_cndmask_b32_e32 v0, v0, v6, vcc
	v_and_b32_e32 v0, 1, v0
	v_cmp_eq_u32_e64 s[6:7], 1, v0
	v_add_u32_e32 v0, v5, v4
	v_ashrrev_i32_e32 v1, 31, v0
	v_add_co_u32_e32 v0, vcc, v2, v0
	v_addc_co_u32_e32 v1, vcc, v3, v1, vcc
	v_cmp_lt_i16_e32 vcc, 10, v21
	s_mov_b64 s[4:5], 0
	s_mov_b64 s[52:53], -1
	s_mov_b64 s[54:55], s[8:9]
	s_and_saveexec_b64 s[50:51], vcc
	s_cbranch_execz .LBB232_2042
; %bb.2004:
	v_cmp_lt_i16_e32 vcc, 25, v21
	s_mov_b64 s[54:55], 0
	s_and_saveexec_b64 s[52:53], vcc
	s_xor_b64 s[52:53], exec, s[52:53]
	s_cbranch_execz .LBB232_2695
; %bb.2005:
	v_cmp_lt_i16_e32 vcc, 28, v21
	s_and_saveexec_b64 s[56:57], vcc
	s_xor_b64 s[56:57], exec, s[56:57]
	s_cbranch_execz .LBB232_2023
; %bb.2006:
	v_cmp_lt_i16_e32 vcc, 43, v21
	s_and_saveexec_b64 s[58:59], vcc
	s_xor_b64 s[58:59], exec, s[58:59]
	s_cbranch_execz .LBB232_2018
; %bb.2007:
	v_cmp_lt_i16_e32 vcc, 45, v21
	s_mov_b64 s[60:61], 0
	s_and_saveexec_b64 s[4:5], vcc
	s_xor_b64 s[4:5], exec, s[4:5]
	s_cbranch_execz .LBB232_2011
; %bb.2008:
	v_cmp_eq_u16_e32 vcc, 46, v21
	s_mov_b64 s[62:63], -1
	s_and_saveexec_b64 s[60:61], vcc
	s_cbranch_execz .LBB232_2010
; %bb.2009:
	v_cndmask_b32_e64 v2, 0, 1.0, s[6:7]
	v_bfe_u32 v3, v2, 16, 1
	s_movk_i32 s33, 0x7fff
	v_add3_u32 v2, v2, v3, s33
	v_lshrrev_b32_e32 v2, 16, v2
	flat_store_dword v[0:1], v2
	s_xor_b64 s[62:63], exec, -1
.LBB232_2010:
	s_or_b64 exec, exec, s[60:61]
	s_and_b64 s[60:61], s[62:63], exec
.LBB232_2011:
	s_andn2_saveexec_b64 s[62:63], s[4:5]
	s_cbranch_execz .LBB232_2017
; %bb.2012:
	v_cmp_eq_u16_e32 vcc, 44, v21
	s_mov_b64 s[4:5], -1
	s_and_saveexec_b64 s[64:65], vcc
	s_cbranch_execz .LBB232_2016
; %bb.2013:
	v_cndmask_b32_e64 v3, 0, 1.0, s[6:7]
	v_lshrrev_b32_e32 v2, 23, v3
	s_movk_i32 s4, 0xff
	v_cmp_ne_u32_e32 vcc, s4, v2
	v_mov_b32_e32 v4, 0xff
	s_and_saveexec_b64 s[66:67], vcc
; %bb.2014:
	s_mov_b32 s4, 0x3fffff
	v_and_b32_e32 v4, 0x400000, v3
	v_and_or_b32 v3, v3, s4, v2
	v_cmp_ne_u32_e32 vcc, 0, v4
	v_cmp_ne_u32_e64 s[4:5], 0, v3
	s_and_b64 s[4:5], vcc, s[4:5]
	v_cndmask_b32_e64 v3, 0, 1, s[4:5]
	v_add_u32_e32 v4, v2, v3
; %bb.2015:
	s_or_b64 exec, exec, s[66:67]
	s_xor_b64 s[4:5], exec, -1
	flat_store_byte v[0:1], v4
.LBB232_2016:
	s_or_b64 exec, exec, s[64:65]
	s_andn2_b64 s[60:61], s[60:61], exec
	s_and_b64 s[4:5], s[4:5], exec
	s_or_b64 s[60:61], s[60:61], s[4:5]
.LBB232_2017:
	s_or_b64 exec, exec, s[62:63]
	s_and_b64 s[4:5], s[60:61], exec
.LBB232_2018:
	s_andn2_saveexec_b64 s[58:59], s[58:59]
	s_cbranch_execz .LBB232_2022
; %bb.2019:
	v_cmp_eq_u16_e32 vcc, 29, v21
	s_mov_b64 s[62:63], -1
	s_and_saveexec_b64 s[60:61], vcc
	s_cbranch_execz .LBB232_2021
; %bb.2020:
	s_mov_b32 s33, 0
	v_cndmask_b32_e64 v2, 0, 1, s[6:7]
	v_mov_b32_e32 v3, s33
	flat_store_dwordx2 v[0:1], v[2:3]
	s_xor_b64 s[62:63], exec, -1
.LBB232_2021:
	s_or_b64 exec, exec, s[60:61]
	s_andn2_b64 s[4:5], s[4:5], exec
	s_and_b64 s[60:61], s[62:63], exec
	s_or_b64 s[4:5], s[4:5], s[60:61]
.LBB232_2022:
	s_or_b64 exec, exec, s[58:59]
	s_and_b64 s[4:5], s[4:5], exec
.LBB232_2023:
	s_andn2_saveexec_b64 s[56:57], s[56:57]
	s_cbranch_execz .LBB232_2039
; %bb.2024:
	v_cmp_lt_i16_e32 vcc, 26, v21
	s_and_saveexec_b64 s[58:59], vcc
	s_xor_b64 s[58:59], exec, s[58:59]
	s_cbranch_execz .LBB232_2030
; %bb.2025:
	v_cmp_lt_i16_e32 vcc, 27, v21
	v_cndmask_b32_e64 v2, 0, 1, s[6:7]
	s_and_saveexec_b64 s[60:61], vcc
	s_xor_b64 s[60:61], exec, s[60:61]
	s_cbranch_execz .LBB232_2027
; %bb.2026:
	flat_store_dword v[0:1], v2
                                        ; implicit-def: $vgpr2
.LBB232_2027:
	s_andn2_saveexec_b64 s[60:61], s[60:61]
	s_cbranch_execz .LBB232_2029
; %bb.2028:
	flat_store_short v[0:1], v2
.LBB232_2029:
	s_or_b64 exec, exec, s[60:61]
.LBB232_2030:
	s_andn2_saveexec_b64 s[58:59], s[58:59]
	s_cbranch_execz .LBB232_2038
; %bb.2031:
	v_cndmask_b32_e64 v3, 0, 1.0, s[6:7]
	s_mov_b32 s33, 0x43800000
	v_cmp_gt_u32_e32 vcc, s33, v3
	v_mov_b32_e32 v4, 0x80
	s_and_saveexec_b64 s[60:61], vcc
	s_cbranch_execz .LBB232_2037
; %bb.2032:
	s_mov_b32 s33, 0x3bffffff
	v_cmp_lt_u32_e32 vcc, s33, v3
	s_mov_b64 s[62:63], 0
                                        ; implicit-def: $vgpr2
	s_and_saveexec_b64 s[64:65], vcc
	s_xor_b64 s[64:65], exec, s[64:65]
	s_cbranch_execz .LBB232_2750
; %bb.2033:
	v_bfe_u32 v2, v3, 20, 1
	s_mov_b32 s33, 0x487ffff
	v_add3_u32 v2, v3, v2, s33
	s_mov_b64 s[62:63], exec
	v_lshrrev_b32_e32 v2, 20, v2
                                        ; implicit-def: $vgpr3
	s_andn2_saveexec_b64 s[64:65], s[64:65]
	s_cbranch_execnz .LBB232_2751
.LBB232_2034:
	s_or_b64 exec, exec, s[64:65]
	v_mov_b32_e32 v4, 0
	s_and_saveexec_b64 s[64:65], s[62:63]
.LBB232_2035:
	v_mov_b32_e32 v4, v2
.LBB232_2036:
	s_or_b64 exec, exec, s[64:65]
.LBB232_2037:
	s_or_b64 exec, exec, s[60:61]
	flat_store_byte v[0:1], v4
.LBB232_2038:
	s_or_b64 exec, exec, s[58:59]
.LBB232_2039:
	s_or_b64 exec, exec, s[56:57]
	s_and_b64 s[4:5], s[4:5], exec
	s_andn2_saveexec_b64 s[52:53], s[52:53]
	s_cbranch_execnz .LBB232_2696
.LBB232_2040:
	s_or_b64 exec, exec, s[52:53]
	s_mov_b64 s[56:57], s[8:9]
	s_and_saveexec_b64 s[52:53], s[4:5]
	s_cbranch_execnz .LBB232_2737
.LBB232_2041:
	s_or_b64 exec, exec, s[52:53]
	s_and_b64 s[4:5], s[54:55], exec
	s_andn2_b64 s[54:55], s[8:9], exec
	s_and_b64 s[56:57], s[56:57], exec
	s_xor_b64 s[52:53], exec, -1
	s_or_b64 s[54:55], s[54:55], s[56:57]
.LBB232_2042:
	s_or_b64 exec, exec, s[50:51]
	s_andn2_b64 s[8:9], s[8:9], exec
	s_and_b64 s[50:51], s[54:55], exec
	s_and_b64 s[52:53], s[52:53], exec
	;; [unrolled: 1-line block ×3, first 2 shown]
	s_or_b64 s[8:9], s[8:9], s[50:51]
.LBB232_2043:
	s_or_b64 exec, exec, s[48:49]
	s_andn2_b64 s[44:45], s[44:45], exec
	s_and_b64 s[8:9], s[8:9], exec
	s_and_b64 s[48:49], s[52:53], exec
	;; [unrolled: 1-line block ×3, first 2 shown]
	s_or_b64 s[44:45], s[44:45], s[8:9]
.LBB232_2044:
	s_or_b64 exec, exec, s[46:47]
	s_andn2_b64 s[40:41], s[40:41], exec
	s_and_b64 s[44:45], s[44:45], exec
	s_and_b64 s[8:9], s[48:49], exec
	;; [unrolled: 1-line block ×3, first 2 shown]
	s_or_b64 s[40:41], s[40:41], s[44:45]
.LBB232_2045:
	s_or_b64 exec, exec, s[42:43]
	s_and_b64 s[42:43], s[8:9], exec
	s_andn2_b64 s[8:9], s[30:31], exec
	s_and_b64 s[30:31], s[40:41], exec
	s_and_b64 s[4:5], s[4:5], exec
	s_or_b64 s[30:31], s[8:9], s[30:31]
.LBB232_2046:
	s_or_b64 exec, exec, s[38:39]
	s_andn2_b64 s[8:9], s[26:27], exec
	s_and_b64 s[26:27], s[30:31], exec
	s_and_b64 s[38:39], s[42:43], exec
	;; [unrolled: 1-line block ×3, first 2 shown]
	s_or_b64 s[26:27], s[8:9], s[26:27]
.LBB232_2047:
	s_or_b64 exec, exec, s[28:29]
	s_andn2_b64 s[8:9], s[22:23], exec
	s_and_b64 s[22:23], s[26:27], exec
	s_and_b64 s[28:29], s[38:39], exec
	;; [unrolled: 1-line block ×3, first 2 shown]
	s_or_b64 s[22:23], s[8:9], s[22:23]
.LBB232_2048:
	s_or_b64 exec, exec, s[24:25]
	s_andn2_b64 s[8:9], s[18:19], exec
	s_and_b64 s[18:19], s[22:23], exec
	s_and_b64 s[24:25], s[28:29], exec
	;; [unrolled: 1-line block ×3, first 2 shown]
	s_or_b64 s[18:19], s[8:9], s[18:19]
.LBB232_2049:
	s_or_b64 exec, exec, s[20:21]
	s_andn2_b64 s[8:9], s[14:15], exec
	s_and_b64 s[14:15], s[18:19], exec
	s_and_b64 s[20:21], s[24:25], exec
	s_and_b64 s[4:5], s[4:5], exec
	s_or_b64 s[14:15], s[8:9], s[14:15]
.LBB232_2050:
	s_or_b64 exec, exec, s[16:17]
	s_and_b64 s[16:17], s[4:5], exec
	s_andn2_b64 s[4:5], s[10:11], exec
	s_and_b64 s[8:9], s[14:15], exec
	s_and_b64 s[18:19], s[20:21], exec
	s_or_b64 s[10:11], s[4:5], s[8:9]
.LBB232_2051:
	s_or_b64 exec, exec, s[12:13]
	s_andn2_b64 s[8:9], s[34:35], exec
	s_and_b64 s[10:11], s[10:11], exec
	s_and_b64 s[4:5], s[18:19], exec
	;; [unrolled: 1-line block ×3, first 2 shown]
	s_or_b64 s[34:35], s[8:9], s[10:11]
	s_or_b64 exec, exec, s[36:37]
	s_and_saveexec_b64 s[8:9], s[34:35]
	s_cbranch_execnz .LBB232_2055
.LBB232_2052:
	s_or_b64 exec, exec, s[8:9]
	s_and_saveexec_b64 s[8:9], s[38:39]
	s_xor_b64 s[8:9], exec, s[8:9]
	s_cbranch_execz .LBB232_2056
.LBB232_2053:
	s_waitcnt vmcnt(0)
	v_cndmask_b32_e64 v2, 0, 1, s[6:7]
	flat_store_byte v[0:1], v2
	s_or_b64 exec, exec, s[8:9]
	s_and_saveexec_b64 s[8:9], s[4:5]
	s_cbranch_execz .LBB232_2095
	s_branch .LBB232_2057
.LBB232_2054:
	s_or_b64 exec, exec, s[36:37]
	s_and_saveexec_b64 s[8:9], s[34:35]
	s_cbranch_execz .LBB232_2052
.LBB232_2055:
	; divergent unreachable
	s_or_b64 exec, exec, s[8:9]
	s_and_saveexec_b64 s[8:9], s[38:39]
	s_xor_b64 s[8:9], exec, s[8:9]
	s_cbranch_execnz .LBB232_2053
.LBB232_2056:
	s_or_b64 exec, exec, s[8:9]
	s_and_saveexec_b64 s[8:9], s[4:5]
	s_cbranch_execz .LBB232_2095
.LBB232_2057:
	v_cmp_lt_i16_e32 vcc, 4, v21
	s_and_saveexec_b64 s[4:5], vcc
	s_xor_b64 s[4:5], exec, s[4:5]
	s_cbranch_execz .LBB232_2079
; %bb.2058:
	v_cmp_lt_i16_e32 vcc, 7, v21
	s_mov_b64 s[8:9], s[6:7]
	s_and_saveexec_b64 s[10:11], vcc
	s_xor_b64 s[10:11], exec, s[10:11]
	s_cbranch_execz .LBB232_2068
; %bb.2059:
	v_cmp_lt_i16_e32 vcc, 8, v21
	s_mov_b64 s[12:13], s[6:7]
	s_and_saveexec_b64 s[8:9], vcc
	s_xor_b64 s[8:9], exec, s[8:9]
	s_cbranch_execz .LBB232_2065
; %bb.2060:
	v_cmp_lt_i16_e32 vcc, 9, v21
	s_and_saveexec_b64 s[12:13], vcc
	s_xor_b64 s[12:13], exec, s[12:13]
	s_cbranch_execz .LBB232_2062
; %bb.2061:
	s_waitcnt vmcnt(0)
	v_cndmask_b32_e64 v2, 0, 1, s[6:7]
	v_cvt_f64_u32_e32 v[2:3], v2
	v_mov_b32_e32 v4, 0
	s_waitcnt lgkmcnt(0)
	v_mov_b32_e32 v5, v4
	flat_store_dwordx4 v[0:1], v[2:5]
.LBB232_2062:
	s_andn2_saveexec_b64 s[12:13], s[12:13]
	s_cbranch_execz .LBB232_2064
; %bb.2063:
	s_waitcnt vmcnt(0)
	v_cndmask_b32_e64 v2, 0, 1.0, s[6:7]
	v_mov_b32_e32 v3, 0
	flat_store_dwordx2 v[0:1], v[2:3]
.LBB232_2064:
	s_or_b64 exec, exec, s[12:13]
	s_andn2_b64 s[12:13], s[6:7], exec
	s_and_b64 s[14:15], s[6:7], exec
	s_or_b64 s[12:13], s[12:13], s[14:15]
.LBB232_2065:
	s_andn2_saveexec_b64 s[8:9], s[8:9]
	s_cbranch_execz .LBB232_2067
; %bb.2066:
	s_waitcnt vmcnt(0)
	v_cndmask_b32_e64 v2, 0, 1.0, s[12:13]
	v_cvt_f16_f32_e32 v2, v2
	flat_store_dword v[0:1], v2
.LBB232_2067:
	s_or_b64 exec, exec, s[8:9]
	s_andn2_b64 s[8:9], s[6:7], exec
	s_and_b64 s[12:13], s[12:13], exec
	s_or_b64 s[8:9], s[8:9], s[12:13]
.LBB232_2068:
	s_andn2_saveexec_b64 s[10:11], s[10:11]
	s_cbranch_execz .LBB232_2078
; %bb.2069:
	v_cmp_lt_i16_e32 vcc, 5, v21
	s_mov_b64 s[14:15], s[8:9]
	s_and_saveexec_b64 s[12:13], vcc
	s_xor_b64 s[12:13], exec, s[12:13]
	s_cbranch_execz .LBB232_2075
; %bb.2070:
	v_cmp_lt_i16_e32 vcc, 6, v21
	s_and_saveexec_b64 s[14:15], vcc
	s_xor_b64 s[14:15], exec, s[14:15]
	s_cbranch_execz .LBB232_2072
; %bb.2071:
	s_waitcnt vmcnt(0)
	v_cndmask_b32_e64 v2, 0, 1, s[8:9]
	v_cvt_f64_u32_e32 v[2:3], v2
	flat_store_dwordx2 v[0:1], v[2:3]
.LBB232_2072:
	s_andn2_saveexec_b64 s[14:15], s[14:15]
	s_cbranch_execz .LBB232_2074
; %bb.2073:
	s_waitcnt vmcnt(0)
	v_cndmask_b32_e64 v2, 0, 1.0, s[8:9]
	flat_store_dword v[0:1], v2
.LBB232_2074:
	s_or_b64 exec, exec, s[14:15]
	s_andn2_b64 s[14:15], s[8:9], exec
	s_and_b64 s[16:17], s[8:9], exec
	s_or_b64 s[14:15], s[14:15], s[16:17]
.LBB232_2075:
	s_andn2_saveexec_b64 s[12:13], s[12:13]
	s_cbranch_execz .LBB232_2077
; %bb.2076:
	s_waitcnt vmcnt(0)
	v_cndmask_b32_e64 v2, 0, 1.0, s[14:15]
	v_cvt_f16_f32_e32 v2, v2
	flat_store_short v[0:1], v2
.LBB232_2077:
	s_or_b64 exec, exec, s[12:13]
	s_andn2_b64 s[8:9], s[8:9], exec
	s_and_b64 s[12:13], s[14:15], exec
	s_or_b64 s[8:9], s[8:9], s[12:13]
.LBB232_2078:
	s_or_b64 exec, exec, s[10:11]
	s_andn2_b64 s[6:7], s[6:7], exec
	s_and_b64 s[8:9], s[8:9], exec
	s_or_b64 s[6:7], s[6:7], s[8:9]
.LBB232_2079:
	s_andn2_saveexec_b64 s[4:5], s[4:5]
	s_cbranch_execz .LBB232_2095
; %bb.2080:
	v_cmp_lt_i16_e32 vcc, 1, v21
	s_and_saveexec_b64 s[4:5], vcc
	s_xor_b64 s[4:5], exec, s[4:5]
	s_cbranch_execz .LBB232_2090
; %bb.2081:
	v_cmp_lt_i16_e32 vcc, 2, v21
	s_mov_b64 s[10:11], s[6:7]
	s_and_saveexec_b64 s[8:9], vcc
	s_xor_b64 s[8:9], exec, s[8:9]
	s_cbranch_execz .LBB232_2087
; %bb.2082:
	v_cmp_lt_i16_e32 vcc, 3, v21
	s_waitcnt vmcnt(0)
	v_cndmask_b32_e64 v2, 0, 1, s[6:7]
	s_and_saveexec_b64 s[10:11], vcc
	s_xor_b64 s[10:11], exec, s[10:11]
	s_cbranch_execz .LBB232_2084
; %bb.2083:
	s_mov_b32 s12, 0
	v_mov_b32_e32 v3, s12
	flat_store_dwordx2 v[0:1], v[2:3]
                                        ; implicit-def: $vgpr0_vgpr1
                                        ; implicit-def: $vgpr2
.LBB232_2084:
	s_andn2_saveexec_b64 s[10:11], s[10:11]
	s_cbranch_execz .LBB232_2086
; %bb.2085:
	flat_store_dword v[0:1], v2
.LBB232_2086:
	s_or_b64 exec, exec, s[10:11]
	s_andn2_b64 s[10:11], s[6:7], exec
	s_and_b64 s[12:13], s[6:7], exec
	s_or_b64 s[10:11], s[10:11], s[12:13]
                                        ; implicit-def: $vgpr0_vgpr1
.LBB232_2087:
	s_andn2_saveexec_b64 s[8:9], s[8:9]
	s_cbranch_execz .LBB232_2089
; %bb.2088:
	s_waitcnt vmcnt(0)
	v_cndmask_b32_e64 v2, 0, 1, s[10:11]
	flat_store_short v[0:1], v2
.LBB232_2089:
	s_or_b64 exec, exec, s[8:9]
	s_andn2_b64 s[6:7], s[6:7], exec
	s_and_b64 s[8:9], s[10:11], exec
	s_or_b64 s[6:7], s[6:7], s[8:9]
                                        ; implicit-def: $vgpr0_vgpr1
.LBB232_2090:
	s_andn2_saveexec_b64 s[4:5], s[4:5]
	s_cbranch_execz .LBB232_2095
; %bb.2091:
	v_cmp_lt_i16_e32 vcc, 0, v21
	s_waitcnt vmcnt(0)
	v_cndmask_b32_e64 v2, 0, 1, s[6:7]
	s_and_saveexec_b64 s[4:5], vcc
	s_xor_b64 s[4:5], exec, s[4:5]
	s_cbranch_execz .LBB232_2093
; %bb.2092:
	flat_store_byte v[0:1], v2
                                        ; implicit-def: $vgpr0_vgpr1
                                        ; implicit-def: $vgpr2
.LBB232_2093:
	s_andn2_saveexec_b64 s[4:5], s[4:5]
	s_cbranch_execz .LBB232_2095
; %bb.2094:
	flat_store_byte v[0:1], v2
	s_endpgm
.LBB232_2095:
	s_endpgm
.LBB232_2096:
	s_andn2_saveexec_b64 s[8:9], s[8:9]
	s_cbranch_execz .LBB232_84
.LBB232_2097:
	v_mov_b32_e32 v2, 4
	v_cmp_gt_i16_sdwa s[10:11], v17, v2 src0_sel:BYTE_0 src1_sel:DWORD
	s_and_saveexec_b64 s[12:13], s[10:11]
	s_xor_b64 s[10:11], exec, s[12:13]
	s_cbranch_execz .LBB232_2119
; %bb.2098:
	v_mov_b32_e32 v2, 7
	v_cmp_gt_i16_sdwa s[12:13], v17, v2 src0_sel:BYTE_0 src1_sel:DWORD
	s_and_saveexec_b64 s[14:15], s[12:13]
	s_xor_b64 s[12:13], exec, s[14:15]
	s_cbranch_execz .LBB232_2108
; %bb.2099:
	;; [unrolled: 6-line block ×4, first 2 shown]
	v_cndmask_b32_e64 v2, 0, 1, vcc
	v_cvt_f64_u32_e32 v[2:3], v2
	v_mov_b32_e32 v4, 0
	v_mov_b32_e32 v5, v4
	flat_store_dwordx4 v[0:1], v[2:5]
                                        ; implicit-def: $vgpr0_vgpr1
.LBB232_2102:
	s_andn2_saveexec_b64 s[16:17], s[16:17]
	s_cbranch_execz .LBB232_2104
; %bb.2103:
	v_cndmask_b32_e64 v2, 0, 1.0, vcc
	v_mov_b32_e32 v3, 0
	flat_store_dwordx2 v[0:1], v[2:3]
.LBB232_2104:
	s_or_b64 exec, exec, s[16:17]
                                        ; implicit-def: $vgpr0_vgpr1
.LBB232_2105:
	s_andn2_saveexec_b64 s[14:15], s[14:15]
	s_cbranch_execz .LBB232_2107
; %bb.2106:
	v_cndmask_b32_e64 v2, 0, 1.0, vcc
	v_cvt_f16_f32_e32 v2, v2
	flat_store_dword v[0:1], v2
.LBB232_2107:
	s_or_b64 exec, exec, s[14:15]
                                        ; implicit-def: $vgpr0_vgpr1
.LBB232_2108:
	s_andn2_saveexec_b64 s[12:13], s[12:13]
	s_cbranch_execz .LBB232_2118
; %bb.2109:
	v_mov_b32_e32 v2, 5
	v_cmp_gt_i16_sdwa s[14:15], v17, v2 src0_sel:BYTE_0 src1_sel:DWORD
	s_and_saveexec_b64 s[16:17], s[14:15]
	s_xor_b64 s[14:15], exec, s[16:17]
	s_cbranch_execz .LBB232_2115
; %bb.2110:
	v_mov_b32_e32 v2, 6
	v_cmp_gt_i16_sdwa s[16:17], v17, v2 src0_sel:BYTE_0 src1_sel:DWORD
	s_and_saveexec_b64 s[18:19], s[16:17]
	s_xor_b64 s[16:17], exec, s[18:19]
	s_cbranch_execz .LBB232_2112
; %bb.2111:
	v_cndmask_b32_e64 v2, 0, 1, vcc
	v_cvt_f64_u32_e32 v[2:3], v2
	flat_store_dwordx2 v[0:1], v[2:3]
                                        ; implicit-def: $vgpr0_vgpr1
.LBB232_2112:
	s_andn2_saveexec_b64 s[16:17], s[16:17]
	s_cbranch_execz .LBB232_2114
; %bb.2113:
	v_cndmask_b32_e64 v2, 0, 1.0, vcc
	flat_store_dword v[0:1], v2
.LBB232_2114:
	s_or_b64 exec, exec, s[16:17]
                                        ; implicit-def: $vgpr0_vgpr1
.LBB232_2115:
	s_andn2_saveexec_b64 s[14:15], s[14:15]
	s_cbranch_execz .LBB232_2117
; %bb.2116:
	v_cndmask_b32_e64 v2, 0, 1.0, vcc
	v_cvt_f16_f32_e32 v2, v2
	flat_store_short v[0:1], v2
.LBB232_2117:
	s_or_b64 exec, exec, s[14:15]
.LBB232_2118:
	s_or_b64 exec, exec, s[12:13]
                                        ; implicit-def: $vgpr0_vgpr1
.LBB232_2119:
	s_andn2_saveexec_b64 s[10:11], s[10:11]
	s_cbranch_execz .LBB232_2137
; %bb.2120:
	v_mov_b32_e32 v2, 1
	v_cmp_gt_i16_sdwa s[12:13], v17, v2 src0_sel:BYTE_0 src1_sel:DWORD
	s_and_saveexec_b64 s[14:15], s[12:13]
	s_xor_b64 s[12:13], exec, s[14:15]
	s_cbranch_execz .LBB232_2130
; %bb.2121:
	v_mov_b32_e32 v2, 2
	v_cmp_gt_i16_sdwa s[14:15], v17, v2 src0_sel:BYTE_0 src1_sel:DWORD
	s_and_saveexec_b64 s[16:17], s[14:15]
	s_xor_b64 s[14:15], exec, s[16:17]
	;; [unrolled: 6-line block ×3, first 2 shown]
	s_cbranch_execz .LBB232_2124
; %bb.2123:
	s_mov_b32 s18, 0
	v_cndmask_b32_e64 v2, 0, 1, vcc
	v_mov_b32_e32 v3, s18
	flat_store_dwordx2 v[0:1], v[2:3]
                                        ; implicit-def: $vgpr0_vgpr1
.LBB232_2124:
	s_andn2_saveexec_b64 s[16:17], s[16:17]
	s_cbranch_execz .LBB232_2126
; %bb.2125:
	v_cndmask_b32_e64 v2, 0, 1, vcc
	flat_store_dword v[0:1], v2
.LBB232_2126:
	s_or_b64 exec, exec, s[16:17]
                                        ; implicit-def: $vgpr0_vgpr1
.LBB232_2127:
	s_andn2_saveexec_b64 s[14:15], s[14:15]
	s_cbranch_execz .LBB232_2129
; %bb.2128:
	v_cndmask_b32_e64 v2, 0, 1, vcc
	flat_store_short v[0:1], v2
.LBB232_2129:
	s_or_b64 exec, exec, s[14:15]
                                        ; implicit-def: $vgpr0_vgpr1
.LBB232_2130:
	s_andn2_saveexec_b64 s[12:13], s[12:13]
	s_cbranch_execz .LBB232_2136
; %bb.2131:
	v_mov_b32_e32 v2, 0
	v_cmp_gt_i16_sdwa s[14:15], v17, v2 src0_sel:BYTE_0 src1_sel:DWORD
	v_cndmask_b32_e64 v2, 0, 1, vcc
	s_and_saveexec_b64 s[16:17], s[14:15]
	s_xor_b64 s[14:15], exec, s[16:17]
	s_cbranch_execz .LBB232_2133
; %bb.2132:
	flat_store_byte v[0:1], v2
                                        ; implicit-def: $vgpr0_vgpr1
                                        ; implicit-def: $vgpr2
.LBB232_2133:
	s_andn2_saveexec_b64 s[14:15], s[14:15]
	s_cbranch_execz .LBB232_2135
; %bb.2134:
	flat_store_byte v[0:1], v2
.LBB232_2135:
	s_or_b64 exec, exec, s[14:15]
.LBB232_2136:
	s_or_b64 exec, exec, s[12:13]
.LBB232_2137:
	s_or_b64 exec, exec, s[10:11]
	s_or_b64 s[6:7], s[6:7], exec
	s_or_b64 exec, exec, s[8:9]
	s_mov_b64 s[8:9], 0
	s_and_saveexec_b64 s[10:11], s[6:7]
	s_cbranch_execnz .LBB232_85
	s_branch .LBB232_86
.LBB232_2138:
	s_andn2_saveexec_b64 s[10:11], s[10:11]
	s_cbranch_execz .LBB232_478
.LBB232_2139:
	v_cmp_lt_i16_e64 s[4:5], 22, v10
	s_mov_b64 s[16:17], s[12:13]
                                        ; implicit-def: $vgpr5
	s_and_saveexec_b64 s[8:9], s[4:5]
	s_xor_b64 s[8:9], exec, s[8:9]
	s_cbranch_execz .LBB232_2171
; %bb.2140:
	v_cmp_lt_i16_e64 s[4:5], 23, v10
                                        ; implicit-def: $vgpr5
	s_and_saveexec_b64 s[16:17], s[4:5]
	s_xor_b64 s[16:17], exec, s[16:17]
	s_cbranch_execz .LBB232_2168
; %bb.2141:
	v_cmp_lt_i16_e64 s[4:5], 24, v10
                                        ; implicit-def: $vgpr5
	s_and_saveexec_b64 s[18:19], s[4:5]
	s_xor_b64 s[18:19], exec, s[18:19]
	s_cbranch_execz .LBB232_2157
; %bb.2142:
	flat_load_ubyte v9, v[0:1]
	s_movk_i32 s4, 0x7f
	s_mov_b64 s[20:21], 0
	s_waitcnt vmcnt(0) lgkmcnt(0)
	v_cmp_lt_i16_e64 s[4:5], s4, v9
	s_and_saveexec_b64 s[22:23], s[4:5]
	s_xor_b64 s[22:23], exec, s[22:23]
	s_cbranch_execz .LBB232_2481
; %bb.2143:
	s_movk_i32 s4, 0x80
	v_cmp_eq_u16_e64 s[4:5], s4, v9
	s_mov_b64 s[20:21], -1
	s_and_saveexec_b64 s[24:25], s[4:5]
; %bb.2144:
	s_xor_b64 s[20:21], exec, -1
; %bb.2145:
	s_or_b64 exec, exec, s[24:25]
	s_and_b64 s[20:21], s[20:21], exec
	s_or_saveexec_b64 s[22:23], s[22:23]
	v_mov_b32_e32 v5, 0x7f800001
	s_xor_b64 exec, exec, s[22:23]
	s_cbranch_execnz .LBB232_2482
.LBB232_2146:
	s_or_b64 exec, exec, s[22:23]
	s_and_saveexec_b64 s[22:23], s[20:21]
	s_cbranch_execz .LBB232_2148
.LBB232_2147:
	v_lshlrev_b32_e32 v5, 24, v9
	v_and_b32_e32 v9, 0xffff, v9
	v_and_b32_e32 v11, 3, v9
	v_ffbh_u32_e32 v17, v11
	v_min_u32_e32 v17, 32, v17
	v_subrev_u32_e32 v18, 29, v17
	v_bfe_u32 v12, v9, 2, 5
	v_lshlrev_b32_e32 v9, v18, v9
	v_sub_u32_e32 v17, 30, v17
	v_and_b32_e32 v9, 3, v9
	v_cmp_eq_u32_e64 s[4:5], 0, v12
	v_cndmask_b32_e64 v12, v12, v17, s[4:5]
	v_cndmask_b32_e64 v9, v11, v9, s[4:5]
	v_mov_b32_e32 v11, 0x37800000
	v_lshlrev_b32_e32 v9, 21, v9
	v_and_b32_e32 v5, 0x80000000, v5
	v_lshl_add_u32 v11, v12, 23, v11
	v_or3_b32 v5, v5, v11, v9
.LBB232_2148:
	s_or_b64 exec, exec, s[22:23]
	v_and_b32_e32 v11, 0x7fffffff, v5
	s_mov_b32 s4, 0x47800000
	v_cmp_gt_u32_e64 s[4:5], s4, v11
                                        ; implicit-def: $vgpr9
	s_and_saveexec_b64 s[20:21], s[4:5]
	s_xor_b64 s[20:21], exec, s[20:21]
	s_cbranch_execz .LBB232_2154
; %bb.2149:
	s_mov_b32 s4, 0x387fffff
	v_cmp_lt_u32_e64 s[4:5], s4, v11
                                        ; implicit-def: $vgpr9
	s_and_saveexec_b64 s[22:23], s[4:5]
	s_xor_b64 s[4:5], exec, s[22:23]
; %bb.2150:
	v_bfe_u32 v9, v5, 21, 1
	s_mov_b32 s22, 0x80fffff
	v_add3_u32 v9, v5, v9, s22
	v_lshrrev_b32_e32 v9, 21, v9
; %bb.2151:
	s_andn2_saveexec_b64 s[4:5], s[4:5]
; %bb.2152:
	s_mov_b32 s22, 0x43000000
	v_add_f32_e64 v9, |v5|, s22
; %bb.2153:
	s_or_b64 exec, exec, s[4:5]
                                        ; implicit-def: $vgpr11
.LBB232_2154:
	s_andn2_saveexec_b64 s[20:21], s[20:21]
; %bb.2155:
	s_mov_b32 s4, 0x7f800000
	v_mov_b32_e32 v9, 0x7c
	v_mov_b32_e32 v12, 0x7f
	v_cmp_lt_u32_e64 s[4:5], s4, v11
	v_cndmask_b32_e64 v9, v9, v12, s[4:5]
; %bb.2156:
	s_or_b64 exec, exec, s[20:21]
	v_lshrrev_b32_e32 v5, 24, v5
	s_movk_i32 s4, 0x80
	v_and_or_b32 v5, v5, s4, v9
.LBB232_2157:
	s_andn2_saveexec_b64 s[18:19], s[18:19]
	s_cbranch_execz .LBB232_2167
; %bb.2158:
	flat_load_ubyte v5, v[0:1]
	s_mov_b32 s4, 0x7f800000
	s_brev_b32 s20, 1
	s_waitcnt vmcnt(0) lgkmcnt(0)
	v_lshlrev_b32_e32 v5, 24, v5
	v_and_b32_e32 v9, 0x7f000000, v5
	v_ffbh_u32_e32 v11, v9
	v_min_u32_e32 v11, 32, v11
	v_sub_u32_e64 v11, v11, 4 clamp
	v_lshlrev_b32_e32 v17, v11, v9
	v_lshlrev_b32_e32 v11, 23, v11
	v_lshrrev_b32_e32 v17, 4, v17
	v_add_u32_e32 v12, 0x1000000, v9
	v_sub_u32_e32 v11, v17, v11
	v_ashrrev_i32_e32 v12, 8, v12
	v_add_u32_e32 v11, 0x3c000000, v11
	v_and_or_b32 v11, v12, s4, v11
	v_cmp_ne_u32_e64 s[4:5], 0, v9
	v_cndmask_b32_e64 v12, 0, v11, s[4:5]
	v_and_or_b32 v5, v5, s20, v12
	v_and_b32_e32 v11, 0x7fffffff, v5
	s_mov_b32 s4, 0x47800000
	v_cmp_gt_u32_e64 s[4:5], s4, v11
                                        ; implicit-def: $vgpr9
	s_and_saveexec_b64 s[20:21], s[4:5]
	s_xor_b64 s[20:21], exec, s[20:21]
	s_cbranch_execz .LBB232_2164
; %bb.2159:
	s_mov_b32 s4, 0x387fffff
	v_cmp_lt_u32_e64 s[4:5], s4, v11
                                        ; implicit-def: $vgpr9
	s_and_saveexec_b64 s[22:23], s[4:5]
	s_xor_b64 s[4:5], exec, s[22:23]
; %bb.2160:
	v_bfe_u32 v9, v12, 21, 1
	s_mov_b32 s22, 0x80fffff
	v_add3_u32 v9, v5, v9, s22
	v_lshrrev_b32_e32 v9, 21, v9
; %bb.2161:
	s_andn2_saveexec_b64 s[4:5], s[4:5]
; %bb.2162:
	s_mov_b32 s22, 0x43000000
	v_add_f32_e64 v9, |v5|, s22
; %bb.2163:
	s_or_b64 exec, exec, s[4:5]
                                        ; implicit-def: $vgpr11
.LBB232_2164:
	s_andn2_saveexec_b64 s[20:21], s[20:21]
; %bb.2165:
	s_mov_b32 s4, 0x7f800000
	v_mov_b32_e32 v9, 0x7c
	v_mov_b32_e32 v12, 0x7f
	v_cmp_lt_u32_e64 s[4:5], s4, v11
	v_cndmask_b32_e64 v9, v9, v12, s[4:5]
; %bb.2166:
	s_or_b64 exec, exec, s[20:21]
	v_lshrrev_b32_e32 v5, 24, v5
	s_movk_i32 s4, 0x80
	v_and_or_b32 v5, v5, s4, v9
.LBB232_2167:
	s_or_b64 exec, exec, s[18:19]
.LBB232_2168:
	s_andn2_saveexec_b64 s[4:5], s[16:17]
	s_cbranch_execz .LBB232_2170
; %bb.2169:
	flat_load_ubyte v5, v[0:1]
.LBB232_2170:
	s_or_b64 exec, exec, s[4:5]
	s_or_b64 s[16:17], s[12:13], exec
.LBB232_2171:
	s_or_saveexec_b64 s[8:9], s[8:9]
	s_mov_b64 s[4:5], 0
	s_mov_b64 s[18:19], s[14:15]
	s_xor_b64 exec, exec, s[8:9]
	s_cbranch_execz .LBB232_2187
; %bb.2172:
	v_cmp_lt_i16_e64 s[4:5], 14, v10
	s_mov_b64 s[20:21], s[14:15]
	s_mov_b64 s[22:23], s[16:17]
                                        ; implicit-def: $vgpr5
	s_and_saveexec_b64 s[18:19], s[4:5]
	s_xor_b64 s[18:19], exec, s[18:19]
	s_cbranch_execz .LBB232_2184
; %bb.2173:
	v_cmp_eq_u16_e64 s[4:5], 15, v10
	s_mov_b64 s[24:25], -1
	s_mov_b64 s[22:23], s[16:17]
                                        ; implicit-def: $vgpr5
	s_and_saveexec_b64 s[20:21], s[4:5]
	s_cbranch_execz .LBB232_2183
; %bb.2174:
	s_waitcnt vmcnt(0) lgkmcnt(0)
	flat_load_ushort v5, v[0:1]
	s_mov_b32 s4, 0x47800000
                                        ; implicit-def: $vgpr9
	s_waitcnt vmcnt(0) lgkmcnt(0)
	v_lshlrev_b32_e32 v11, 16, v5
	v_and_b32_e32 v12, 0x7fffffff, v11
	v_cmp_gt_u32_e64 s[4:5], s4, v12
	s_and_saveexec_b64 s[22:23], s[4:5]
	s_xor_b64 s[22:23], exec, s[22:23]
	s_cbranch_execz .LBB232_2180
; %bb.2175:
	s_mov_b32 s4, 0x387fffff
	v_cmp_lt_u32_e64 s[4:5], s4, v12
                                        ; implicit-def: $vgpr9
	s_and_saveexec_b64 s[24:25], s[4:5]
	s_xor_b64 s[4:5], exec, s[24:25]
; %bb.2176:
	v_bfe_u32 v9, v5, 5, 1
	s_mov_b32 s24, 0x80fffff
	v_add3_u32 v9, v11, v9, s24
	v_lshrrev_b32_e32 v9, 21, v9
                                        ; implicit-def: $vgpr11
; %bb.2177:
	s_andn2_saveexec_b64 s[4:5], s[4:5]
; %bb.2178:
	s_mov_b32 s24, 0x43000000
	v_add_f32_e64 v9, |v11|, s24
; %bb.2179:
	s_or_b64 exec, exec, s[4:5]
                                        ; implicit-def: $vgpr12
.LBB232_2180:
	s_andn2_saveexec_b64 s[22:23], s[22:23]
; %bb.2181:
	s_mov_b32 s4, 0x7f800000
	v_mov_b32_e32 v9, 0x7c
	v_mov_b32_e32 v11, 0x7f
	v_cmp_lt_u32_e64 s[4:5], s4, v12
	v_cndmask_b32_e64 v9, v9, v11, s[4:5]
; %bb.2182:
	s_or_b64 exec, exec, s[22:23]
	v_lshrrev_b32_e32 v5, 8, v5
	s_movk_i32 s4, 0x80
	v_and_or_b32 v5, v5, s4, v9
	s_or_b64 s[22:23], s[16:17], exec
	s_xor_b64 s[24:25], exec, -1
.LBB232_2183:
	s_or_b64 exec, exec, s[20:21]
	s_andn2_b64 s[4:5], s[16:17], exec
	s_and_b64 s[20:21], s[22:23], exec
	s_or_b64 s[22:23], s[4:5], s[20:21]
	s_andn2_b64 s[4:5], s[14:15], exec
	s_and_b64 s[20:21], s[24:25], exec
	s_or_b64 s[20:21], s[4:5], s[20:21]
.LBB232_2184:
	s_or_saveexec_b64 s[18:19], s[18:19]
	s_mov_b64 s[24:25], 0
	s_xor_b64 exec, exec, s[18:19]
; %bb.2185:
	v_cmp_ne_u16_e64 s[4:5], 11, v10
	s_andn2_b64 s[20:21], s[20:21], exec
	s_and_b64 s[4:5], s[4:5], exec
	s_mov_b64 s[24:25], exec
	s_or_b64 s[20:21], s[20:21], s[4:5]
; %bb.2186:
	s_or_b64 exec, exec, s[18:19]
	s_andn2_b64 s[4:5], s[16:17], exec
	s_and_b64 s[16:17], s[22:23], exec
	s_andn2_b64 s[18:19], s[14:15], exec
	s_and_b64 s[20:21], s[20:21], exec
	s_or_b64 s[16:17], s[4:5], s[16:17]
	s_and_b64 s[4:5], s[24:25], exec
	s_or_b64 s[18:19], s[18:19], s[20:21]
.LBB232_2187:
	s_or_b64 exec, exec, s[8:9]
	s_andn2_b64 s[8:9], s[12:13], exec
	s_and_b64 s[12:13], s[16:17], exec
	s_or_b64 s[12:13], s[8:9], s[12:13]
	s_and_b64 s[8:9], s[4:5], exec
	s_andn2_b64 s[4:5], s[14:15], exec
	s_and_b64 s[14:15], s[18:19], exec
	s_or_b64 s[14:15], s[4:5], s[14:15]
	s_or_b64 exec, exec, s[10:11]
	s_mov_b64 s[10:11], s[34:35]
	s_and_saveexec_b64 s[4:5], s[14:15]
	s_cbranch_execz .LBB232_479
.LBB232_2188:
	s_trap 2
	s_or_b64 s[10:11], s[34:35], exec
	s_andn2_b64 s[8:9], s[8:9], exec
	s_or_b64 exec, exec, s[4:5]
	s_and_saveexec_b64 s[14:15], s[8:9]
	s_cbranch_execnz .LBB232_480
	s_branch .LBB232_489
.LBB232_2189:
	s_andn2_saveexec_b64 s[8:9], s[8:9]
	s_cbranch_execz .LBB232_171
.LBB232_2190:
	v_mov_b32_e32 v2, 4
	v_cmp_gt_i16_sdwa s[10:11], v17, v2 src0_sel:BYTE_0 src1_sel:DWORD
	s_and_saveexec_b64 s[12:13], s[10:11]
	s_xor_b64 s[10:11], exec, s[12:13]
	s_cbranch_execz .LBB232_2212
; %bb.2191:
	v_mov_b32_e32 v2, 7
	v_cmp_gt_i16_sdwa s[12:13], v17, v2 src0_sel:BYTE_0 src1_sel:DWORD
	s_and_saveexec_b64 s[14:15], s[12:13]
	s_xor_b64 s[12:13], exec, s[14:15]
	s_cbranch_execz .LBB232_2201
; %bb.2192:
	;; [unrolled: 6-line block ×4, first 2 shown]
	v_cndmask_b32_e64 v2, 0, 1, vcc
	v_cvt_f64_u32_e32 v[2:3], v2
	v_mov_b32_e32 v4, 0
	v_mov_b32_e32 v5, v4
	flat_store_dwordx4 v[0:1], v[2:5]
                                        ; implicit-def: $vgpr0_vgpr1
.LBB232_2195:
	s_andn2_saveexec_b64 s[16:17], s[16:17]
	s_cbranch_execz .LBB232_2197
; %bb.2196:
	v_cndmask_b32_e64 v2, 0, 1.0, vcc
	v_mov_b32_e32 v3, 0
	flat_store_dwordx2 v[0:1], v[2:3]
.LBB232_2197:
	s_or_b64 exec, exec, s[16:17]
                                        ; implicit-def: $vgpr0_vgpr1
.LBB232_2198:
	s_andn2_saveexec_b64 s[14:15], s[14:15]
	s_cbranch_execz .LBB232_2200
; %bb.2199:
	v_cndmask_b32_e64 v2, 0, 1.0, vcc
	v_cvt_f16_f32_e32 v2, v2
	flat_store_dword v[0:1], v2
.LBB232_2200:
	s_or_b64 exec, exec, s[14:15]
                                        ; implicit-def: $vgpr0_vgpr1
.LBB232_2201:
	s_andn2_saveexec_b64 s[12:13], s[12:13]
	s_cbranch_execz .LBB232_2211
; %bb.2202:
	v_mov_b32_e32 v2, 5
	v_cmp_gt_i16_sdwa s[14:15], v17, v2 src0_sel:BYTE_0 src1_sel:DWORD
	s_and_saveexec_b64 s[16:17], s[14:15]
	s_xor_b64 s[14:15], exec, s[16:17]
	s_cbranch_execz .LBB232_2208
; %bb.2203:
	v_mov_b32_e32 v2, 6
	v_cmp_gt_i16_sdwa s[16:17], v17, v2 src0_sel:BYTE_0 src1_sel:DWORD
	s_and_saveexec_b64 s[18:19], s[16:17]
	s_xor_b64 s[16:17], exec, s[18:19]
	s_cbranch_execz .LBB232_2205
; %bb.2204:
	v_cndmask_b32_e64 v2, 0, 1, vcc
	v_cvt_f64_u32_e32 v[2:3], v2
	flat_store_dwordx2 v[0:1], v[2:3]
                                        ; implicit-def: $vgpr0_vgpr1
.LBB232_2205:
	s_andn2_saveexec_b64 s[16:17], s[16:17]
	s_cbranch_execz .LBB232_2207
; %bb.2206:
	v_cndmask_b32_e64 v2, 0, 1.0, vcc
	flat_store_dword v[0:1], v2
.LBB232_2207:
	s_or_b64 exec, exec, s[16:17]
                                        ; implicit-def: $vgpr0_vgpr1
.LBB232_2208:
	s_andn2_saveexec_b64 s[14:15], s[14:15]
	s_cbranch_execz .LBB232_2210
; %bb.2209:
	v_cndmask_b32_e64 v2, 0, 1.0, vcc
	v_cvt_f16_f32_e32 v2, v2
	flat_store_short v[0:1], v2
.LBB232_2210:
	s_or_b64 exec, exec, s[14:15]
.LBB232_2211:
	s_or_b64 exec, exec, s[12:13]
                                        ; implicit-def: $vgpr0_vgpr1
.LBB232_2212:
	s_andn2_saveexec_b64 s[10:11], s[10:11]
	s_cbranch_execz .LBB232_2230
; %bb.2213:
	v_mov_b32_e32 v2, 1
	v_cmp_gt_i16_sdwa s[12:13], v17, v2 src0_sel:BYTE_0 src1_sel:DWORD
	s_and_saveexec_b64 s[14:15], s[12:13]
	s_xor_b64 s[12:13], exec, s[14:15]
	s_cbranch_execz .LBB232_2223
; %bb.2214:
	v_mov_b32_e32 v2, 2
	v_cmp_gt_i16_sdwa s[14:15], v17, v2 src0_sel:BYTE_0 src1_sel:DWORD
	s_and_saveexec_b64 s[16:17], s[14:15]
	s_xor_b64 s[14:15], exec, s[16:17]
	;; [unrolled: 6-line block ×3, first 2 shown]
	s_cbranch_execz .LBB232_2217
; %bb.2216:
	s_mov_b32 s18, 0
	v_cndmask_b32_e64 v2, 0, 1, vcc
	v_mov_b32_e32 v3, s18
	flat_store_dwordx2 v[0:1], v[2:3]
                                        ; implicit-def: $vgpr0_vgpr1
.LBB232_2217:
	s_andn2_saveexec_b64 s[16:17], s[16:17]
	s_cbranch_execz .LBB232_2219
; %bb.2218:
	v_cndmask_b32_e64 v2, 0, 1, vcc
	flat_store_dword v[0:1], v2
.LBB232_2219:
	s_or_b64 exec, exec, s[16:17]
                                        ; implicit-def: $vgpr0_vgpr1
.LBB232_2220:
	s_andn2_saveexec_b64 s[14:15], s[14:15]
	s_cbranch_execz .LBB232_2222
; %bb.2221:
	v_cndmask_b32_e64 v2, 0, 1, vcc
	flat_store_short v[0:1], v2
.LBB232_2222:
	s_or_b64 exec, exec, s[14:15]
                                        ; implicit-def: $vgpr0_vgpr1
.LBB232_2223:
	s_andn2_saveexec_b64 s[12:13], s[12:13]
	s_cbranch_execz .LBB232_2229
; %bb.2224:
	v_mov_b32_e32 v2, 0
	v_cmp_gt_i16_sdwa s[14:15], v17, v2 src0_sel:BYTE_0 src1_sel:DWORD
	v_cndmask_b32_e64 v2, 0, 1, vcc
	s_and_saveexec_b64 s[16:17], s[14:15]
	s_xor_b64 s[14:15], exec, s[16:17]
	s_cbranch_execz .LBB232_2226
; %bb.2225:
	flat_store_byte v[0:1], v2
                                        ; implicit-def: $vgpr0_vgpr1
                                        ; implicit-def: $vgpr2
.LBB232_2226:
	s_andn2_saveexec_b64 s[14:15], s[14:15]
	s_cbranch_execz .LBB232_2228
; %bb.2227:
	flat_store_byte v[0:1], v2
.LBB232_2228:
	s_or_b64 exec, exec, s[14:15]
.LBB232_2229:
	s_or_b64 exec, exec, s[12:13]
.LBB232_2230:
	s_or_b64 exec, exec, s[10:11]
	s_or_b64 s[6:7], s[6:7], exec
	s_or_b64 exec, exec, s[8:9]
	s_mov_b64 s[8:9], 0
	s_and_saveexec_b64 s[10:11], s[6:7]
	s_cbranch_execnz .LBB232_172
	s_branch .LBB232_173
.LBB232_2231:
	s_andn2_saveexec_b64 s[14:15], s[14:15]
	s_cbranch_execz .LBB232_704
.LBB232_2232:
	v_cmp_lt_i16_e64 s[4:5], 22, v9
	s_mov_b64 s[20:21], s[16:17]
                                        ; implicit-def: $vgpr6
	s_and_saveexec_b64 s[8:9], s[4:5]
	s_xor_b64 s[8:9], exec, s[8:9]
	s_cbranch_execz .LBB232_2264
; %bb.2233:
	v_cmp_lt_i16_e64 s[4:5], 23, v9
                                        ; implicit-def: $vgpr6
	s_and_saveexec_b64 s[20:21], s[4:5]
	s_xor_b64 s[20:21], exec, s[20:21]
	s_cbranch_execz .LBB232_2261
; %bb.2234:
	v_cmp_lt_i16_e64 s[4:5], 24, v9
                                        ; implicit-def: $vgpr6
	s_and_saveexec_b64 s[22:23], s[4:5]
	s_xor_b64 s[22:23], exec, s[22:23]
	s_cbranch_execz .LBB232_2250
; %bb.2235:
	flat_load_ubyte v19, v[0:1]
	s_movk_i32 s4, 0x7f
	s_mov_b64 s[24:25], 0
	s_waitcnt vmcnt(0) lgkmcnt(0)
	v_cmp_lt_i16_e64 s[4:5], s4, v19
	s_and_saveexec_b64 s[26:27], s[4:5]
	s_xor_b64 s[26:27], exec, s[26:27]
	s_cbranch_execz .LBB232_2538
; %bb.2236:
	s_movk_i32 s4, 0x80
	v_cmp_eq_u16_e64 s[4:5], s4, v19
	s_mov_b64 s[24:25], -1
	s_and_saveexec_b64 s[28:29], s[4:5]
; %bb.2237:
	s_xor_b64 s[24:25], exec, -1
; %bb.2238:
	s_or_b64 exec, exec, s[28:29]
	s_and_b64 s[24:25], s[24:25], exec
	s_or_saveexec_b64 s[26:27], s[26:27]
	v_mov_b32_e32 v6, 0x7f800001
	s_xor_b64 exec, exec, s[26:27]
	s_cbranch_execnz .LBB232_2539
.LBB232_2239:
	s_or_b64 exec, exec, s[26:27]
	s_and_saveexec_b64 s[26:27], s[24:25]
	s_cbranch_execz .LBB232_2241
.LBB232_2240:
	v_lshlrev_b32_e32 v6, 24, v19
	v_and_b32_e32 v19, 0xffff, v19
	v_and_b32_e32 v20, 3, v19
	v_ffbh_u32_e32 v22, v20
	v_min_u32_e32 v22, 32, v22
	v_subrev_u32_e32 v23, 29, v22
	v_bfe_u32 v21, v19, 2, 5
	v_lshlrev_b32_e32 v19, v23, v19
	v_sub_u32_e32 v22, 30, v22
	v_and_b32_e32 v19, 3, v19
	v_cmp_eq_u32_e64 s[4:5], 0, v21
	v_cndmask_b32_e64 v21, v21, v22, s[4:5]
	v_cndmask_b32_e64 v19, v20, v19, s[4:5]
	v_mov_b32_e32 v20, 0x37800000
	v_lshlrev_b32_e32 v19, 21, v19
	v_and_b32_e32 v6, 0x80000000, v6
	v_lshl_add_u32 v20, v21, 23, v20
	v_or3_b32 v6, v6, v20, v19
.LBB232_2241:
	s_or_b64 exec, exec, s[26:27]
	v_and_b32_e32 v20, 0x7fffffff, v6
	s_mov_b32 s4, 0x47800000
	v_cmp_gt_u32_e64 s[4:5], s4, v20
                                        ; implicit-def: $vgpr19
	s_and_saveexec_b64 s[24:25], s[4:5]
	s_xor_b64 s[24:25], exec, s[24:25]
	s_cbranch_execz .LBB232_2247
; %bb.2242:
	s_mov_b32 s4, 0x387fffff
	v_cmp_lt_u32_e64 s[4:5], s4, v20
                                        ; implicit-def: $vgpr19
	s_and_saveexec_b64 s[26:27], s[4:5]
	s_xor_b64 s[4:5], exec, s[26:27]
; %bb.2243:
	v_bfe_u32 v19, v6, 21, 1
	s_mov_b32 s26, 0x80fffff
	v_add3_u32 v19, v6, v19, s26
	v_lshrrev_b32_e32 v19, 21, v19
; %bb.2244:
	s_andn2_saveexec_b64 s[4:5], s[4:5]
; %bb.2245:
	s_mov_b32 s26, 0x43000000
	v_add_f32_e64 v19, |v6|, s26
; %bb.2246:
	s_or_b64 exec, exec, s[4:5]
                                        ; implicit-def: $vgpr20
.LBB232_2247:
	s_andn2_saveexec_b64 s[24:25], s[24:25]
; %bb.2248:
	s_mov_b32 s4, 0x7f800000
	v_mov_b32_e32 v19, 0x7c
	v_mov_b32_e32 v21, 0x7f
	v_cmp_lt_u32_e64 s[4:5], s4, v20
	v_cndmask_b32_e64 v19, v19, v21, s[4:5]
; %bb.2249:
	s_or_b64 exec, exec, s[24:25]
	v_lshrrev_b32_e32 v6, 24, v6
	s_movk_i32 s4, 0x80
	v_and_or_b32 v6, v6, s4, v19
.LBB232_2250:
	s_andn2_saveexec_b64 s[22:23], s[22:23]
	s_cbranch_execz .LBB232_2260
; %bb.2251:
	flat_load_ubyte v6, v[0:1]
	s_mov_b32 s4, 0x7f800000
	s_brev_b32 s24, 1
	s_waitcnt vmcnt(0) lgkmcnt(0)
	v_lshlrev_b32_e32 v6, 24, v6
	v_and_b32_e32 v19, 0x7f000000, v6
	v_ffbh_u32_e32 v20, v19
	v_min_u32_e32 v20, 32, v20
	v_sub_u32_e64 v20, v20, 4 clamp
	v_lshlrev_b32_e32 v22, v20, v19
	v_lshlrev_b32_e32 v20, 23, v20
	v_lshrrev_b32_e32 v22, 4, v22
	v_add_u32_e32 v21, 0x1000000, v19
	v_sub_u32_e32 v20, v22, v20
	v_ashrrev_i32_e32 v21, 8, v21
	v_add_u32_e32 v20, 0x3c000000, v20
	v_and_or_b32 v20, v21, s4, v20
	v_cmp_ne_u32_e64 s[4:5], 0, v19
	v_cndmask_b32_e64 v21, 0, v20, s[4:5]
	v_and_or_b32 v6, v6, s24, v21
	v_and_b32_e32 v20, 0x7fffffff, v6
	s_mov_b32 s4, 0x47800000
	v_cmp_gt_u32_e64 s[4:5], s4, v20
                                        ; implicit-def: $vgpr19
	s_and_saveexec_b64 s[24:25], s[4:5]
	s_xor_b64 s[24:25], exec, s[24:25]
	s_cbranch_execz .LBB232_2257
; %bb.2252:
	s_mov_b32 s4, 0x387fffff
	v_cmp_lt_u32_e64 s[4:5], s4, v20
                                        ; implicit-def: $vgpr19
	s_and_saveexec_b64 s[26:27], s[4:5]
	s_xor_b64 s[4:5], exec, s[26:27]
; %bb.2253:
	v_bfe_u32 v19, v21, 21, 1
	s_mov_b32 s26, 0x80fffff
	v_add3_u32 v19, v6, v19, s26
	v_lshrrev_b32_e32 v19, 21, v19
; %bb.2254:
	s_andn2_saveexec_b64 s[4:5], s[4:5]
; %bb.2255:
	s_mov_b32 s26, 0x43000000
	v_add_f32_e64 v19, |v6|, s26
; %bb.2256:
	s_or_b64 exec, exec, s[4:5]
                                        ; implicit-def: $vgpr20
.LBB232_2257:
	s_andn2_saveexec_b64 s[24:25], s[24:25]
; %bb.2258:
	s_mov_b32 s4, 0x7f800000
	v_mov_b32_e32 v19, 0x7c
	v_mov_b32_e32 v21, 0x7f
	v_cmp_lt_u32_e64 s[4:5], s4, v20
	v_cndmask_b32_e64 v19, v19, v21, s[4:5]
; %bb.2259:
	s_or_b64 exec, exec, s[24:25]
	v_lshrrev_b32_e32 v6, 24, v6
	s_movk_i32 s4, 0x80
	v_and_or_b32 v6, v6, s4, v19
.LBB232_2260:
	s_or_b64 exec, exec, s[22:23]
.LBB232_2261:
	s_andn2_saveexec_b64 s[4:5], s[20:21]
	s_cbranch_execz .LBB232_2263
; %bb.2262:
	flat_load_ubyte v6, v[0:1]
.LBB232_2263:
	s_or_b64 exec, exec, s[4:5]
	s_or_b64 s[20:21], s[16:17], exec
.LBB232_2264:
	s_or_saveexec_b64 s[8:9], s[8:9]
	s_mov_b64 s[4:5], 0
	s_mov_b64 s[22:23], s[18:19]
	s_xor_b64 exec, exec, s[8:9]
	s_cbranch_execz .LBB232_2280
; %bb.2265:
	v_cmp_lt_i16_e64 s[4:5], 14, v9
	s_mov_b64 s[24:25], s[18:19]
	s_mov_b64 s[26:27], s[20:21]
                                        ; implicit-def: $vgpr6
	s_and_saveexec_b64 s[22:23], s[4:5]
	s_xor_b64 s[22:23], exec, s[22:23]
	s_cbranch_execz .LBB232_2277
; %bb.2266:
	v_cmp_eq_u16_e64 s[4:5], 15, v9
	s_mov_b64 s[28:29], -1
	s_mov_b64 s[26:27], s[20:21]
                                        ; implicit-def: $vgpr6
	s_and_saveexec_b64 s[24:25], s[4:5]
	s_cbranch_execz .LBB232_2276
; %bb.2267:
	s_waitcnt vmcnt(0) lgkmcnt(0)
	flat_load_ushort v6, v[0:1]
	s_mov_b32 s4, 0x47800000
                                        ; implicit-def: $vgpr19
	s_waitcnt vmcnt(0) lgkmcnt(0)
	v_lshlrev_b32_e32 v20, 16, v6
	v_and_b32_e32 v21, 0x7fffffff, v20
	v_cmp_gt_u32_e64 s[4:5], s4, v21
	s_and_saveexec_b64 s[26:27], s[4:5]
	s_xor_b64 s[26:27], exec, s[26:27]
	s_cbranch_execz .LBB232_2273
; %bb.2268:
	s_mov_b32 s4, 0x387fffff
	v_cmp_lt_u32_e64 s[4:5], s4, v21
                                        ; implicit-def: $vgpr19
	s_and_saveexec_b64 s[28:29], s[4:5]
	s_xor_b64 s[4:5], exec, s[28:29]
; %bb.2269:
	v_bfe_u32 v19, v6, 5, 1
	s_mov_b32 s28, 0x80fffff
	v_add3_u32 v19, v20, v19, s28
	v_lshrrev_b32_e32 v19, 21, v19
                                        ; implicit-def: $vgpr20
; %bb.2270:
	s_andn2_saveexec_b64 s[4:5], s[4:5]
; %bb.2271:
	s_mov_b32 s28, 0x43000000
	v_add_f32_e64 v19, |v20|, s28
; %bb.2272:
	s_or_b64 exec, exec, s[4:5]
                                        ; implicit-def: $vgpr21
.LBB232_2273:
	s_andn2_saveexec_b64 s[26:27], s[26:27]
; %bb.2274:
	s_mov_b32 s4, 0x7f800000
	v_mov_b32_e32 v19, 0x7c
	v_mov_b32_e32 v20, 0x7f
	v_cmp_lt_u32_e64 s[4:5], s4, v21
	v_cndmask_b32_e64 v19, v19, v20, s[4:5]
; %bb.2275:
	s_or_b64 exec, exec, s[26:27]
	v_lshrrev_b32_e32 v6, 8, v6
	s_movk_i32 s4, 0x80
	v_and_or_b32 v6, v6, s4, v19
	s_or_b64 s[26:27], s[20:21], exec
	s_xor_b64 s[28:29], exec, -1
.LBB232_2276:
	s_or_b64 exec, exec, s[24:25]
	s_andn2_b64 s[4:5], s[20:21], exec
	s_and_b64 s[24:25], s[26:27], exec
	s_or_b64 s[26:27], s[4:5], s[24:25]
	s_andn2_b64 s[4:5], s[18:19], exec
	s_and_b64 s[24:25], s[28:29], exec
	s_or_b64 s[24:25], s[4:5], s[24:25]
.LBB232_2277:
	s_or_saveexec_b64 s[22:23], s[22:23]
	s_mov_b64 s[28:29], 0
	s_xor_b64 exec, exec, s[22:23]
; %bb.2278:
	v_cmp_ne_u16_e64 s[4:5], 11, v9
	s_andn2_b64 s[24:25], s[24:25], exec
	s_and_b64 s[4:5], s[4:5], exec
	s_mov_b64 s[28:29], exec
	s_or_b64 s[24:25], s[24:25], s[4:5]
; %bb.2279:
	s_or_b64 exec, exec, s[22:23]
	s_andn2_b64 s[4:5], s[20:21], exec
	s_and_b64 s[20:21], s[26:27], exec
	s_andn2_b64 s[22:23], s[18:19], exec
	s_and_b64 s[24:25], s[24:25], exec
	s_or_b64 s[20:21], s[4:5], s[20:21]
	s_and_b64 s[4:5], s[28:29], exec
	s_or_b64 s[22:23], s[22:23], s[24:25]
.LBB232_2280:
	s_or_b64 exec, exec, s[8:9]
	s_andn2_b64 s[8:9], s[16:17], exec
	s_and_b64 s[16:17], s[20:21], exec
	s_or_b64 s[16:17], s[8:9], s[16:17]
	s_and_b64 s[8:9], s[4:5], exec
	s_andn2_b64 s[4:5], s[18:19], exec
	s_and_b64 s[18:19], s[22:23], exec
	s_or_b64 s[18:19], s[4:5], s[18:19]
	s_or_b64 exec, exec, s[14:15]
	s_mov_b64 s[14:15], s[10:11]
	s_and_saveexec_b64 s[4:5], s[18:19]
	s_cbranch_execz .LBB232_705
.LBB232_2281:
	s_trap 2
	s_or_b64 s[14:15], s[10:11], exec
	s_andn2_b64 s[8:9], s[8:9], exec
	s_or_b64 exec, exec, s[4:5]
	s_and_saveexec_b64 s[18:19], s[8:9]
	s_cbranch_execnz .LBB232_706
	s_branch .LBB232_715
.LBB232_2282:
	s_andn2_saveexec_b64 s[8:9], s[8:9]
	s_cbranch_execz .LBB232_258
.LBB232_2283:
	v_mov_b32_e32 v2, 4
	v_cmp_gt_i16_sdwa s[10:11], v17, v2 src0_sel:BYTE_0 src1_sel:DWORD
	s_and_saveexec_b64 s[12:13], s[10:11]
	s_xor_b64 s[10:11], exec, s[12:13]
	s_cbranch_execz .LBB232_2305
; %bb.2284:
	v_mov_b32_e32 v2, 7
	v_cmp_gt_i16_sdwa s[12:13], v17, v2 src0_sel:BYTE_0 src1_sel:DWORD
	s_and_saveexec_b64 s[14:15], s[12:13]
	s_xor_b64 s[12:13], exec, s[14:15]
	s_cbranch_execz .LBB232_2294
; %bb.2285:
	;; [unrolled: 6-line block ×4, first 2 shown]
	v_cndmask_b32_e64 v2, 0, 1, vcc
	v_cvt_f64_u32_e32 v[2:3], v2
	v_mov_b32_e32 v4, 0
	v_mov_b32_e32 v5, v4
	flat_store_dwordx4 v[0:1], v[2:5]
                                        ; implicit-def: $vgpr0_vgpr1
.LBB232_2288:
	s_andn2_saveexec_b64 s[16:17], s[16:17]
	s_cbranch_execz .LBB232_2290
; %bb.2289:
	v_cndmask_b32_e64 v2, 0, 1.0, vcc
	v_mov_b32_e32 v3, 0
	flat_store_dwordx2 v[0:1], v[2:3]
.LBB232_2290:
	s_or_b64 exec, exec, s[16:17]
                                        ; implicit-def: $vgpr0_vgpr1
.LBB232_2291:
	s_andn2_saveexec_b64 s[14:15], s[14:15]
	s_cbranch_execz .LBB232_2293
; %bb.2292:
	v_cndmask_b32_e64 v2, 0, 1.0, vcc
	v_cvt_f16_f32_e32 v2, v2
	flat_store_dword v[0:1], v2
.LBB232_2293:
	s_or_b64 exec, exec, s[14:15]
                                        ; implicit-def: $vgpr0_vgpr1
.LBB232_2294:
	s_andn2_saveexec_b64 s[12:13], s[12:13]
	s_cbranch_execz .LBB232_2304
; %bb.2295:
	v_mov_b32_e32 v2, 5
	v_cmp_gt_i16_sdwa s[14:15], v17, v2 src0_sel:BYTE_0 src1_sel:DWORD
	s_and_saveexec_b64 s[16:17], s[14:15]
	s_xor_b64 s[14:15], exec, s[16:17]
	s_cbranch_execz .LBB232_2301
; %bb.2296:
	v_mov_b32_e32 v2, 6
	v_cmp_gt_i16_sdwa s[16:17], v17, v2 src0_sel:BYTE_0 src1_sel:DWORD
	s_and_saveexec_b64 s[18:19], s[16:17]
	s_xor_b64 s[16:17], exec, s[18:19]
	s_cbranch_execz .LBB232_2298
; %bb.2297:
	v_cndmask_b32_e64 v2, 0, 1, vcc
	v_cvt_f64_u32_e32 v[2:3], v2
	flat_store_dwordx2 v[0:1], v[2:3]
                                        ; implicit-def: $vgpr0_vgpr1
.LBB232_2298:
	s_andn2_saveexec_b64 s[16:17], s[16:17]
	s_cbranch_execz .LBB232_2300
; %bb.2299:
	v_cndmask_b32_e64 v2, 0, 1.0, vcc
	flat_store_dword v[0:1], v2
.LBB232_2300:
	s_or_b64 exec, exec, s[16:17]
                                        ; implicit-def: $vgpr0_vgpr1
.LBB232_2301:
	s_andn2_saveexec_b64 s[14:15], s[14:15]
	s_cbranch_execz .LBB232_2303
; %bb.2302:
	v_cndmask_b32_e64 v2, 0, 1.0, vcc
	v_cvt_f16_f32_e32 v2, v2
	flat_store_short v[0:1], v2
.LBB232_2303:
	s_or_b64 exec, exec, s[14:15]
.LBB232_2304:
	s_or_b64 exec, exec, s[12:13]
                                        ; implicit-def: $vgpr0_vgpr1
.LBB232_2305:
	s_andn2_saveexec_b64 s[10:11], s[10:11]
	s_cbranch_execz .LBB232_2323
; %bb.2306:
	v_mov_b32_e32 v2, 1
	v_cmp_gt_i16_sdwa s[12:13], v17, v2 src0_sel:BYTE_0 src1_sel:DWORD
	s_and_saveexec_b64 s[14:15], s[12:13]
	s_xor_b64 s[12:13], exec, s[14:15]
	s_cbranch_execz .LBB232_2316
; %bb.2307:
	v_mov_b32_e32 v2, 2
	v_cmp_gt_i16_sdwa s[14:15], v17, v2 src0_sel:BYTE_0 src1_sel:DWORD
	s_and_saveexec_b64 s[16:17], s[14:15]
	s_xor_b64 s[14:15], exec, s[16:17]
	;; [unrolled: 6-line block ×3, first 2 shown]
	s_cbranch_execz .LBB232_2310
; %bb.2309:
	s_mov_b32 s18, 0
	v_cndmask_b32_e64 v2, 0, 1, vcc
	v_mov_b32_e32 v3, s18
	flat_store_dwordx2 v[0:1], v[2:3]
                                        ; implicit-def: $vgpr0_vgpr1
.LBB232_2310:
	s_andn2_saveexec_b64 s[16:17], s[16:17]
	s_cbranch_execz .LBB232_2312
; %bb.2311:
	v_cndmask_b32_e64 v2, 0, 1, vcc
	flat_store_dword v[0:1], v2
.LBB232_2312:
	s_or_b64 exec, exec, s[16:17]
                                        ; implicit-def: $vgpr0_vgpr1
.LBB232_2313:
	s_andn2_saveexec_b64 s[14:15], s[14:15]
	s_cbranch_execz .LBB232_2315
; %bb.2314:
	v_cndmask_b32_e64 v2, 0, 1, vcc
	flat_store_short v[0:1], v2
.LBB232_2315:
	s_or_b64 exec, exec, s[14:15]
                                        ; implicit-def: $vgpr0_vgpr1
.LBB232_2316:
	s_andn2_saveexec_b64 s[12:13], s[12:13]
	s_cbranch_execz .LBB232_2322
; %bb.2317:
	v_mov_b32_e32 v2, 0
	v_cmp_gt_i16_sdwa s[14:15], v17, v2 src0_sel:BYTE_0 src1_sel:DWORD
	v_cndmask_b32_e64 v2, 0, 1, vcc
	s_and_saveexec_b64 s[16:17], s[14:15]
	s_xor_b64 s[14:15], exec, s[16:17]
	s_cbranch_execz .LBB232_2319
; %bb.2318:
	flat_store_byte v[0:1], v2
                                        ; implicit-def: $vgpr0_vgpr1
                                        ; implicit-def: $vgpr2
.LBB232_2319:
	s_andn2_saveexec_b64 s[14:15], s[14:15]
	s_cbranch_execz .LBB232_2321
; %bb.2320:
	flat_store_byte v[0:1], v2
.LBB232_2321:
	s_or_b64 exec, exec, s[14:15]
.LBB232_2322:
	s_or_b64 exec, exec, s[12:13]
.LBB232_2323:
	s_or_b64 exec, exec, s[10:11]
	s_or_b64 s[6:7], s[6:7], exec
	s_or_b64 exec, exec, s[8:9]
	s_mov_b64 s[8:9], 0
	s_and_saveexec_b64 s[10:11], s[6:7]
	s_cbranch_execnz .LBB232_259
	s_branch .LBB232_260
.LBB232_2324:
	s_andn2_saveexec_b64 s[18:19], s[18:19]
	s_cbranch_execz .LBB232_930
.LBB232_2325:
	v_cmp_lt_i16_e64 s[4:5], 22, v10
	s_mov_b64 s[24:25], s[20:21]
                                        ; implicit-def: $vgpr8
	s_and_saveexec_b64 s[8:9], s[4:5]
	s_xor_b64 s[8:9], exec, s[8:9]
	s_cbranch_execz .LBB232_2357
; %bb.2326:
	v_cmp_lt_i16_e64 s[4:5], 23, v10
                                        ; implicit-def: $vgpr8
	s_and_saveexec_b64 s[24:25], s[4:5]
	s_xor_b64 s[24:25], exec, s[24:25]
	s_cbranch_execz .LBB232_2354
; %bb.2327:
	v_cmp_lt_i16_e64 s[4:5], 24, v10
                                        ; implicit-def: $vgpr8
	s_and_saveexec_b64 s[26:27], s[4:5]
	s_xor_b64 s[26:27], exec, s[26:27]
	s_cbranch_execz .LBB232_2343
; %bb.2328:
	flat_load_ubyte v15, v[0:1]
	s_movk_i32 s4, 0x7f
	s_mov_b64 s[28:29], 0
	s_waitcnt vmcnt(0) lgkmcnt(0)
	v_cmp_lt_i16_e64 s[4:5], s4, v15
	s_and_saveexec_b64 s[30:31], s[4:5]
	s_xor_b64 s[30:31], exec, s[30:31]
	s_cbranch_execz .LBB232_2589
; %bb.2329:
	s_movk_i32 s4, 0x80
	v_cmp_eq_u16_e64 s[4:5], s4, v15
	s_mov_b64 s[28:29], -1
	s_and_saveexec_b64 s[38:39], s[4:5]
; %bb.2330:
	s_xor_b64 s[28:29], exec, -1
; %bb.2331:
	s_or_b64 exec, exec, s[38:39]
	s_and_b64 s[28:29], s[28:29], exec
	s_or_saveexec_b64 s[30:31], s[30:31]
	v_mov_b32_e32 v8, 0x7f800001
	s_xor_b64 exec, exec, s[30:31]
	s_cbranch_execnz .LBB232_2590
.LBB232_2332:
	s_or_b64 exec, exec, s[30:31]
	s_and_saveexec_b64 s[30:31], s[28:29]
	s_cbranch_execz .LBB232_2334
.LBB232_2333:
	v_lshlrev_b32_e32 v8, 24, v15
	v_and_b32_e32 v15, 0xffff, v15
	v_and_b32_e32 v21, 3, v15
	v_ffbh_u32_e32 v23, v21
	v_min_u32_e32 v23, 32, v23
	v_subrev_u32_e32 v24, 29, v23
	v_bfe_u32 v22, v15, 2, 5
	v_lshlrev_b32_e32 v15, v24, v15
	v_sub_u32_e32 v23, 30, v23
	v_and_b32_e32 v15, 3, v15
	v_cmp_eq_u32_e64 s[4:5], 0, v22
	v_cndmask_b32_e64 v22, v22, v23, s[4:5]
	v_cndmask_b32_e64 v15, v21, v15, s[4:5]
	v_mov_b32_e32 v21, 0x37800000
	v_lshlrev_b32_e32 v15, 21, v15
	v_and_b32_e32 v8, 0x80000000, v8
	v_lshl_add_u32 v21, v22, 23, v21
	v_or3_b32 v8, v8, v21, v15
.LBB232_2334:
	s_or_b64 exec, exec, s[30:31]
	v_and_b32_e32 v21, 0x7fffffff, v8
	s_mov_b32 s4, 0x47800000
	v_cmp_gt_u32_e64 s[4:5], s4, v21
                                        ; implicit-def: $vgpr15
	s_and_saveexec_b64 s[28:29], s[4:5]
	s_xor_b64 s[28:29], exec, s[28:29]
	s_cbranch_execz .LBB232_2340
; %bb.2335:
	s_mov_b32 s4, 0x387fffff
	v_cmp_lt_u32_e64 s[4:5], s4, v21
                                        ; implicit-def: $vgpr15
	s_and_saveexec_b64 s[30:31], s[4:5]
	s_xor_b64 s[4:5], exec, s[30:31]
; %bb.2336:
	v_bfe_u32 v15, v8, 21, 1
	s_mov_b32 s30, 0x80fffff
	v_add3_u32 v15, v8, v15, s30
	v_lshrrev_b32_e32 v15, 21, v15
; %bb.2337:
	s_andn2_saveexec_b64 s[4:5], s[4:5]
; %bb.2338:
	s_mov_b32 s30, 0x43000000
	v_add_f32_e64 v15, |v8|, s30
; %bb.2339:
	s_or_b64 exec, exec, s[4:5]
                                        ; implicit-def: $vgpr21
.LBB232_2340:
	s_andn2_saveexec_b64 s[28:29], s[28:29]
; %bb.2341:
	s_mov_b32 s4, 0x7f800000
	v_mov_b32_e32 v15, 0x7c
	v_mov_b32_e32 v22, 0x7f
	v_cmp_lt_u32_e64 s[4:5], s4, v21
	v_cndmask_b32_e64 v15, v15, v22, s[4:5]
; %bb.2342:
	s_or_b64 exec, exec, s[28:29]
	v_lshrrev_b32_e32 v8, 24, v8
	s_movk_i32 s4, 0x80
	v_and_or_b32 v8, v8, s4, v15
.LBB232_2343:
	s_andn2_saveexec_b64 s[26:27], s[26:27]
	s_cbranch_execz .LBB232_2353
; %bb.2344:
	flat_load_ubyte v8, v[0:1]
	s_mov_b32 s4, 0x7f800000
	s_brev_b32 s28, 1
	s_waitcnt vmcnt(0) lgkmcnt(0)
	v_lshlrev_b32_e32 v8, 24, v8
	v_and_b32_e32 v15, 0x7f000000, v8
	v_ffbh_u32_e32 v21, v15
	v_min_u32_e32 v21, 32, v21
	v_sub_u32_e64 v21, v21, 4 clamp
	v_lshlrev_b32_e32 v23, v21, v15
	v_lshlrev_b32_e32 v21, 23, v21
	v_lshrrev_b32_e32 v23, 4, v23
	v_add_u32_e32 v22, 0x1000000, v15
	v_sub_u32_e32 v21, v23, v21
	v_ashrrev_i32_e32 v22, 8, v22
	v_add_u32_e32 v21, 0x3c000000, v21
	v_and_or_b32 v21, v22, s4, v21
	v_cmp_ne_u32_e64 s[4:5], 0, v15
	v_cndmask_b32_e64 v22, 0, v21, s[4:5]
	v_and_or_b32 v8, v8, s28, v22
	v_and_b32_e32 v21, 0x7fffffff, v8
	s_mov_b32 s4, 0x47800000
	v_cmp_gt_u32_e64 s[4:5], s4, v21
                                        ; implicit-def: $vgpr15
	s_and_saveexec_b64 s[28:29], s[4:5]
	s_xor_b64 s[28:29], exec, s[28:29]
	s_cbranch_execz .LBB232_2350
; %bb.2345:
	s_mov_b32 s4, 0x387fffff
	v_cmp_lt_u32_e64 s[4:5], s4, v21
                                        ; implicit-def: $vgpr15
	s_and_saveexec_b64 s[30:31], s[4:5]
	s_xor_b64 s[4:5], exec, s[30:31]
; %bb.2346:
	v_bfe_u32 v15, v22, 21, 1
	s_mov_b32 s30, 0x80fffff
	v_add3_u32 v15, v8, v15, s30
	v_lshrrev_b32_e32 v15, 21, v15
; %bb.2347:
	s_andn2_saveexec_b64 s[4:5], s[4:5]
; %bb.2348:
	s_mov_b32 s30, 0x43000000
	v_add_f32_e64 v15, |v8|, s30
; %bb.2349:
	s_or_b64 exec, exec, s[4:5]
                                        ; implicit-def: $vgpr21
.LBB232_2350:
	s_andn2_saveexec_b64 s[28:29], s[28:29]
; %bb.2351:
	s_mov_b32 s4, 0x7f800000
	v_mov_b32_e32 v15, 0x7c
	v_mov_b32_e32 v22, 0x7f
	v_cmp_lt_u32_e64 s[4:5], s4, v21
	v_cndmask_b32_e64 v15, v15, v22, s[4:5]
; %bb.2352:
	s_or_b64 exec, exec, s[28:29]
	v_lshrrev_b32_e32 v8, 24, v8
	s_movk_i32 s4, 0x80
	v_and_or_b32 v8, v8, s4, v15
.LBB232_2353:
	s_or_b64 exec, exec, s[26:27]
.LBB232_2354:
	s_andn2_saveexec_b64 s[4:5], s[24:25]
	s_cbranch_execz .LBB232_2356
; %bb.2355:
	flat_load_ubyte v8, v[0:1]
.LBB232_2356:
	s_or_b64 exec, exec, s[4:5]
	s_or_b64 s[24:25], s[20:21], exec
.LBB232_2357:
	s_or_saveexec_b64 s[8:9], s[8:9]
	s_mov_b64 s[4:5], 0
	s_mov_b64 s[26:27], s[22:23]
	s_xor_b64 exec, exec, s[8:9]
	s_cbranch_execz .LBB232_2373
; %bb.2358:
	v_cmp_lt_i16_e64 s[4:5], 14, v10
	s_mov_b64 s[28:29], s[22:23]
	s_mov_b64 s[30:31], s[24:25]
                                        ; implicit-def: $vgpr8
	s_and_saveexec_b64 s[26:27], s[4:5]
	s_xor_b64 s[26:27], exec, s[26:27]
	s_cbranch_execz .LBB232_2370
; %bb.2359:
	v_cmp_eq_u16_e64 s[4:5], 15, v10
	s_mov_b64 s[38:39], -1
	s_mov_b64 s[30:31], s[24:25]
                                        ; implicit-def: $vgpr8
	s_and_saveexec_b64 s[28:29], s[4:5]
	s_cbranch_execz .LBB232_2369
; %bb.2360:
	s_waitcnt vmcnt(0) lgkmcnt(0)
	flat_load_ushort v8, v[0:1]
	s_mov_b32 s4, 0x47800000
                                        ; implicit-def: $vgpr15
	s_waitcnt vmcnt(0) lgkmcnt(0)
	v_lshlrev_b32_e32 v21, 16, v8
	v_and_b32_e32 v22, 0x7fffffff, v21
	v_cmp_gt_u32_e64 s[4:5], s4, v22
	s_and_saveexec_b64 s[30:31], s[4:5]
	s_xor_b64 s[30:31], exec, s[30:31]
	s_cbranch_execz .LBB232_2366
; %bb.2361:
	s_mov_b32 s4, 0x387fffff
	v_cmp_lt_u32_e64 s[4:5], s4, v22
                                        ; implicit-def: $vgpr15
	s_and_saveexec_b64 s[38:39], s[4:5]
	s_xor_b64 s[4:5], exec, s[38:39]
; %bb.2362:
	v_bfe_u32 v15, v8, 5, 1
	s_mov_b32 s33, 0x80fffff
	v_add3_u32 v15, v21, v15, s33
	v_lshrrev_b32_e32 v15, 21, v15
                                        ; implicit-def: $vgpr21
; %bb.2363:
	s_andn2_saveexec_b64 s[4:5], s[4:5]
; %bb.2364:
	s_mov_b32 s33, 0x43000000
	v_add_f32_e64 v15, |v21|, s33
; %bb.2365:
	s_or_b64 exec, exec, s[4:5]
                                        ; implicit-def: $vgpr22
.LBB232_2366:
	s_andn2_saveexec_b64 s[30:31], s[30:31]
; %bb.2367:
	s_mov_b32 s4, 0x7f800000
	v_mov_b32_e32 v15, 0x7c
	v_mov_b32_e32 v21, 0x7f
	v_cmp_lt_u32_e64 s[4:5], s4, v22
	v_cndmask_b32_e64 v15, v15, v21, s[4:5]
; %bb.2368:
	s_or_b64 exec, exec, s[30:31]
	v_lshrrev_b32_e32 v8, 8, v8
	s_movk_i32 s4, 0x80
	v_and_or_b32 v8, v8, s4, v15
	s_or_b64 s[30:31], s[24:25], exec
	s_xor_b64 s[38:39], exec, -1
.LBB232_2369:
	s_or_b64 exec, exec, s[28:29]
	s_andn2_b64 s[4:5], s[24:25], exec
	s_and_b64 s[28:29], s[30:31], exec
	s_or_b64 s[30:31], s[4:5], s[28:29]
	s_andn2_b64 s[4:5], s[22:23], exec
	s_and_b64 s[28:29], s[38:39], exec
	s_or_b64 s[28:29], s[4:5], s[28:29]
.LBB232_2370:
	s_or_saveexec_b64 s[26:27], s[26:27]
	s_mov_b64 s[38:39], 0
	s_xor_b64 exec, exec, s[26:27]
; %bb.2371:
	v_cmp_ne_u16_e64 s[4:5], 11, v10
	s_andn2_b64 s[28:29], s[28:29], exec
	s_and_b64 s[4:5], s[4:5], exec
	s_mov_b64 s[38:39], exec
	s_or_b64 s[28:29], s[28:29], s[4:5]
; %bb.2372:
	s_or_b64 exec, exec, s[26:27]
	s_andn2_b64 s[4:5], s[24:25], exec
	s_and_b64 s[24:25], s[30:31], exec
	s_andn2_b64 s[26:27], s[22:23], exec
	s_and_b64 s[28:29], s[28:29], exec
	s_or_b64 s[24:25], s[4:5], s[24:25]
	s_and_b64 s[4:5], s[38:39], exec
	s_or_b64 s[26:27], s[26:27], s[28:29]
.LBB232_2373:
	s_or_b64 exec, exec, s[8:9]
	s_andn2_b64 s[8:9], s[20:21], exec
	s_and_b64 s[20:21], s[24:25], exec
	s_or_b64 s[20:21], s[8:9], s[20:21]
	s_and_b64 s[8:9], s[4:5], exec
	s_andn2_b64 s[4:5], s[22:23], exec
	s_and_b64 s[22:23], s[26:27], exec
	s_or_b64 s[22:23], s[4:5], s[22:23]
	s_or_b64 exec, exec, s[18:19]
	s_mov_b64 s[18:19], s[14:15]
	s_and_saveexec_b64 s[4:5], s[22:23]
	s_cbranch_execz .LBB232_931
.LBB232_2374:
	s_trap 2
	s_or_b64 s[18:19], s[14:15], exec
	s_andn2_b64 s[8:9], s[8:9], exec
	s_or_b64 exec, exec, s[4:5]
	s_and_saveexec_b64 s[22:23], s[8:9]
	s_cbranch_execnz .LBB232_932
	s_branch .LBB232_941
.LBB232_2375:
	s_or_saveexec_b64 s[22:23], s[22:23]
	v_mov_b32_e32 v5, 0x7f800001
	s_xor_b64 exec, exec, s[22:23]
	s_cbranch_execz .LBB232_465
.LBB232_2376:
	v_cmp_ne_u16_e64 s[4:5], 0, v9
	s_andn2_b64 s[20:21], s[20:21], exec
	s_and_b64 s[4:5], s[4:5], exec
	v_mov_b32_e32 v5, 0
	s_or_b64 s[20:21], s[20:21], s[4:5]
	s_or_b64 exec, exec, s[22:23]
	s_and_saveexec_b64 s[22:23], s[20:21]
	s_cbranch_execnz .LBB232_466
	s_branch .LBB232_467
.LBB232_2377:
	s_andn2_saveexec_b64 s[22:23], s[22:23]
	s_cbranch_execz .LBB232_1156
.LBB232_2378:
	v_cmp_lt_i16_e64 s[4:5], 22, v9
	s_mov_b64 s[28:29], s[24:25]
                                        ; implicit-def: $vgpr15
	s_and_saveexec_b64 s[8:9], s[4:5]
	s_xor_b64 s[8:9], exec, s[8:9]
	s_cbranch_execz .LBB232_2410
; %bb.2379:
	v_cmp_lt_i16_e64 s[4:5], 23, v9
                                        ; implicit-def: $vgpr15
	s_and_saveexec_b64 s[28:29], s[4:5]
	s_xor_b64 s[28:29], exec, s[28:29]
	s_cbranch_execz .LBB232_2407
; %bb.2380:
	v_cmp_lt_i16_e64 s[4:5], 24, v9
                                        ; implicit-def: $vgpr15
	s_and_saveexec_b64 s[30:31], s[4:5]
	s_xor_b64 s[30:31], exec, s[30:31]
	s_cbranch_execz .LBB232_2396
; %bb.2381:
	flat_load_ubyte v21, v[0:1]
	s_movk_i32 s4, 0x7f
	s_mov_b64 s[38:39], 0
	s_waitcnt vmcnt(0) lgkmcnt(0)
	v_cmp_lt_i16_e64 s[4:5], s4, v21
	s_and_saveexec_b64 s[40:41], s[4:5]
	s_xor_b64 s[40:41], exec, s[40:41]
	s_cbranch_execz .LBB232_2640
; %bb.2382:
	s_movk_i32 s4, 0x80
	v_cmp_eq_u16_e64 s[4:5], s4, v21
	s_mov_b64 s[38:39], -1
	s_and_saveexec_b64 s[42:43], s[4:5]
; %bb.2383:
	s_xor_b64 s[38:39], exec, -1
; %bb.2384:
	s_or_b64 exec, exec, s[42:43]
	s_and_b64 s[38:39], s[38:39], exec
	s_or_saveexec_b64 s[40:41], s[40:41]
	v_mov_b32_e32 v15, 0x7f800001
	s_xor_b64 exec, exec, s[40:41]
	s_cbranch_execnz .LBB232_2641
.LBB232_2385:
	s_or_b64 exec, exec, s[40:41]
	s_and_saveexec_b64 s[40:41], s[38:39]
	s_cbranch_execz .LBB232_2387
.LBB232_2386:
	v_lshlrev_b32_e32 v15, 24, v21
	v_and_b32_e32 v21, 0xffff, v21
	v_and_b32_e32 v22, 3, v21
	v_ffbh_u32_e32 v24, v22
	v_min_u32_e32 v24, 32, v24
	v_subrev_u32_e32 v25, 29, v24
	v_bfe_u32 v23, v21, 2, 5
	v_lshlrev_b32_e32 v21, v25, v21
	v_sub_u32_e32 v24, 30, v24
	v_and_b32_e32 v21, 3, v21
	v_cmp_eq_u32_e64 s[4:5], 0, v23
	v_cndmask_b32_e64 v23, v23, v24, s[4:5]
	v_cndmask_b32_e64 v21, v22, v21, s[4:5]
	v_mov_b32_e32 v22, 0x37800000
	v_lshlrev_b32_e32 v21, 21, v21
	v_and_b32_e32 v15, 0x80000000, v15
	v_lshl_add_u32 v22, v23, 23, v22
	v_or3_b32 v15, v15, v22, v21
.LBB232_2387:
	s_or_b64 exec, exec, s[40:41]
	v_and_b32_e32 v22, 0x7fffffff, v15
	s_mov_b32 s4, 0x47800000
	v_cmp_gt_u32_e64 s[4:5], s4, v22
                                        ; implicit-def: $vgpr21
	s_and_saveexec_b64 s[38:39], s[4:5]
	s_xor_b64 s[38:39], exec, s[38:39]
	s_cbranch_execz .LBB232_2393
; %bb.2388:
	s_mov_b32 s4, 0x387fffff
	v_cmp_lt_u32_e64 s[4:5], s4, v22
                                        ; implicit-def: $vgpr21
	s_and_saveexec_b64 s[40:41], s[4:5]
	s_xor_b64 s[4:5], exec, s[40:41]
; %bb.2389:
	v_bfe_u32 v21, v15, 21, 1
	s_mov_b32 s33, 0x80fffff
	v_add3_u32 v21, v15, v21, s33
	v_lshrrev_b32_e32 v21, 21, v21
; %bb.2390:
	s_andn2_saveexec_b64 s[4:5], s[4:5]
; %bb.2391:
	s_mov_b32 s33, 0x43000000
	v_add_f32_e64 v21, |v15|, s33
; %bb.2392:
	s_or_b64 exec, exec, s[4:5]
                                        ; implicit-def: $vgpr22
.LBB232_2393:
	s_andn2_saveexec_b64 s[38:39], s[38:39]
; %bb.2394:
	s_mov_b32 s4, 0x7f800000
	v_mov_b32_e32 v21, 0x7c
	v_mov_b32_e32 v23, 0x7f
	v_cmp_lt_u32_e64 s[4:5], s4, v22
	v_cndmask_b32_e64 v21, v21, v23, s[4:5]
; %bb.2395:
	s_or_b64 exec, exec, s[38:39]
	v_lshrrev_b32_e32 v15, 24, v15
	s_movk_i32 s4, 0x80
	v_and_or_b32 v15, v15, s4, v21
.LBB232_2396:
	s_andn2_saveexec_b64 s[30:31], s[30:31]
	s_cbranch_execz .LBB232_2406
; %bb.2397:
	flat_load_ubyte v15, v[0:1]
	s_mov_b32 s4, 0x7f800000
	s_brev_b32 s33, 1
	s_waitcnt vmcnt(0) lgkmcnt(0)
	v_lshlrev_b32_e32 v15, 24, v15
	v_and_b32_e32 v21, 0x7f000000, v15
	v_ffbh_u32_e32 v22, v21
	v_min_u32_e32 v22, 32, v22
	v_sub_u32_e64 v22, v22, 4 clamp
	v_lshlrev_b32_e32 v24, v22, v21
	v_lshlrev_b32_e32 v22, 23, v22
	v_lshrrev_b32_e32 v24, 4, v24
	v_add_u32_e32 v23, 0x1000000, v21
	v_sub_u32_e32 v22, v24, v22
	v_ashrrev_i32_e32 v23, 8, v23
	v_add_u32_e32 v22, 0x3c000000, v22
	v_and_or_b32 v22, v23, s4, v22
	v_cmp_ne_u32_e64 s[4:5], 0, v21
	v_cndmask_b32_e64 v23, 0, v22, s[4:5]
	v_and_or_b32 v15, v15, s33, v23
	v_and_b32_e32 v22, 0x7fffffff, v15
	s_mov_b32 s4, 0x47800000
	v_cmp_gt_u32_e64 s[4:5], s4, v22
                                        ; implicit-def: $vgpr21
	s_and_saveexec_b64 s[38:39], s[4:5]
	s_xor_b64 s[38:39], exec, s[38:39]
	s_cbranch_execz .LBB232_2403
; %bb.2398:
	s_mov_b32 s4, 0x387fffff
	v_cmp_lt_u32_e64 s[4:5], s4, v22
                                        ; implicit-def: $vgpr21
	s_and_saveexec_b64 s[40:41], s[4:5]
	s_xor_b64 s[4:5], exec, s[40:41]
; %bb.2399:
	v_bfe_u32 v21, v23, 21, 1
	s_mov_b32 s33, 0x80fffff
	v_add3_u32 v21, v15, v21, s33
	v_lshrrev_b32_e32 v21, 21, v21
; %bb.2400:
	s_andn2_saveexec_b64 s[4:5], s[4:5]
; %bb.2401:
	s_mov_b32 s33, 0x43000000
	v_add_f32_e64 v21, |v15|, s33
; %bb.2402:
	s_or_b64 exec, exec, s[4:5]
                                        ; implicit-def: $vgpr22
.LBB232_2403:
	s_andn2_saveexec_b64 s[38:39], s[38:39]
; %bb.2404:
	s_mov_b32 s4, 0x7f800000
	v_mov_b32_e32 v21, 0x7c
	v_mov_b32_e32 v23, 0x7f
	v_cmp_lt_u32_e64 s[4:5], s4, v22
	v_cndmask_b32_e64 v21, v21, v23, s[4:5]
; %bb.2405:
	s_or_b64 exec, exec, s[38:39]
	v_lshrrev_b32_e32 v15, 24, v15
	s_movk_i32 s4, 0x80
	v_and_or_b32 v15, v15, s4, v21
.LBB232_2406:
	s_or_b64 exec, exec, s[30:31]
.LBB232_2407:
	s_andn2_saveexec_b64 s[4:5], s[28:29]
	s_cbranch_execz .LBB232_2409
; %bb.2408:
	flat_load_ubyte v15, v[0:1]
.LBB232_2409:
	s_or_b64 exec, exec, s[4:5]
	s_or_b64 s[28:29], s[24:25], exec
.LBB232_2410:
	s_or_saveexec_b64 s[8:9], s[8:9]
	s_mov_b64 s[4:5], 0
	s_mov_b64 s[30:31], s[26:27]
	s_xor_b64 exec, exec, s[8:9]
	s_cbranch_execz .LBB232_2426
; %bb.2411:
	v_cmp_lt_i16_e64 s[4:5], 14, v9
	s_mov_b64 s[38:39], s[26:27]
	s_mov_b64 s[40:41], s[28:29]
                                        ; implicit-def: $vgpr15
	s_and_saveexec_b64 s[30:31], s[4:5]
	s_xor_b64 s[30:31], exec, s[30:31]
	s_cbranch_execz .LBB232_2423
; %bb.2412:
	v_cmp_eq_u16_e64 s[4:5], 15, v9
	s_mov_b64 s[42:43], -1
	s_mov_b64 s[40:41], s[28:29]
                                        ; implicit-def: $vgpr15
	s_and_saveexec_b64 s[38:39], s[4:5]
	s_cbranch_execz .LBB232_2422
; %bb.2413:
	s_waitcnt vmcnt(0) lgkmcnt(0)
	flat_load_ushort v15, v[0:1]
	s_mov_b32 s4, 0x47800000
                                        ; implicit-def: $vgpr21
	s_waitcnt vmcnt(0) lgkmcnt(0)
	v_lshlrev_b32_e32 v22, 16, v15
	v_and_b32_e32 v23, 0x7fffffff, v22
	v_cmp_gt_u32_e64 s[4:5], s4, v23
	s_and_saveexec_b64 s[40:41], s[4:5]
	s_xor_b64 s[40:41], exec, s[40:41]
	s_cbranch_execz .LBB232_2419
; %bb.2414:
	s_mov_b32 s4, 0x387fffff
	v_cmp_lt_u32_e64 s[4:5], s4, v23
                                        ; implicit-def: $vgpr21
	s_and_saveexec_b64 s[42:43], s[4:5]
	s_xor_b64 s[4:5], exec, s[42:43]
; %bb.2415:
	v_bfe_u32 v21, v15, 5, 1
	s_mov_b32 s33, 0x80fffff
	v_add3_u32 v21, v22, v21, s33
	v_lshrrev_b32_e32 v21, 21, v21
                                        ; implicit-def: $vgpr22
; %bb.2416:
	s_andn2_saveexec_b64 s[4:5], s[4:5]
; %bb.2417:
	s_mov_b32 s33, 0x43000000
	v_add_f32_e64 v21, |v22|, s33
; %bb.2418:
	s_or_b64 exec, exec, s[4:5]
                                        ; implicit-def: $vgpr23
.LBB232_2419:
	s_andn2_saveexec_b64 s[40:41], s[40:41]
; %bb.2420:
	s_mov_b32 s4, 0x7f800000
	v_mov_b32_e32 v21, 0x7c
	v_mov_b32_e32 v22, 0x7f
	v_cmp_lt_u32_e64 s[4:5], s4, v23
	v_cndmask_b32_e64 v21, v21, v22, s[4:5]
; %bb.2421:
	s_or_b64 exec, exec, s[40:41]
	v_lshrrev_b32_e32 v15, 8, v15
	s_movk_i32 s4, 0x80
	v_and_or_b32 v15, v15, s4, v21
	s_or_b64 s[40:41], s[28:29], exec
	s_xor_b64 s[42:43], exec, -1
.LBB232_2422:
	s_or_b64 exec, exec, s[38:39]
	s_andn2_b64 s[4:5], s[28:29], exec
	s_and_b64 s[38:39], s[40:41], exec
	s_or_b64 s[40:41], s[4:5], s[38:39]
	s_andn2_b64 s[4:5], s[26:27], exec
	s_and_b64 s[38:39], s[42:43], exec
	s_or_b64 s[38:39], s[4:5], s[38:39]
.LBB232_2423:
	s_or_saveexec_b64 s[30:31], s[30:31]
	s_mov_b64 s[42:43], 0
	s_xor_b64 exec, exec, s[30:31]
; %bb.2424:
	v_cmp_ne_u16_e64 s[4:5], 11, v9
	s_andn2_b64 s[38:39], s[38:39], exec
	s_and_b64 s[4:5], s[4:5], exec
	s_mov_b64 s[42:43], exec
	s_or_b64 s[38:39], s[38:39], s[4:5]
; %bb.2425:
	s_or_b64 exec, exec, s[30:31]
	s_andn2_b64 s[4:5], s[28:29], exec
	s_and_b64 s[28:29], s[40:41], exec
	s_andn2_b64 s[30:31], s[26:27], exec
	s_and_b64 s[38:39], s[38:39], exec
	s_or_b64 s[28:29], s[4:5], s[28:29]
	s_and_b64 s[4:5], s[42:43], exec
	s_or_b64 s[30:31], s[30:31], s[38:39]
.LBB232_2426:
	s_or_b64 exec, exec, s[8:9]
	s_andn2_b64 s[8:9], s[24:25], exec
	s_and_b64 s[24:25], s[28:29], exec
	s_or_b64 s[24:25], s[8:9], s[24:25]
	s_and_b64 s[8:9], s[4:5], exec
	s_andn2_b64 s[4:5], s[26:27], exec
	s_and_b64 s[26:27], s[30:31], exec
	s_or_b64 s[26:27], s[4:5], s[26:27]
	s_or_b64 exec, exec, s[22:23]
	s_mov_b64 s[22:23], s[18:19]
	s_and_saveexec_b64 s[4:5], s[26:27]
	s_cbranch_execz .LBB232_1157
.LBB232_2427:
	s_trap 2
	s_or_b64 s[22:23], s[18:19], exec
	s_andn2_b64 s[8:9], s[8:9], exec
	s_or_b64 exec, exec, s[4:5]
	s_and_saveexec_b64 s[26:27], s[8:9]
	s_cbranch_execnz .LBB232_1158
	s_branch .LBB232_1167
.LBB232_2428:
	s_or_saveexec_b64 s[26:27], s[26:27]
	v_mov_b32_e32 v6, 0x7f800001
	s_xor_b64 exec, exec, s[26:27]
	s_cbranch_execz .LBB232_691
.LBB232_2429:
	v_cmp_ne_u16_e64 s[4:5], 0, v19
	s_andn2_b64 s[24:25], s[24:25], exec
	s_and_b64 s[4:5], s[4:5], exec
	v_mov_b32_e32 v6, 0
	s_or_b64 s[24:25], s[24:25], s[4:5]
	s_or_b64 exec, exec, s[26:27]
	s_and_saveexec_b64 s[26:27], s[24:25]
	s_cbranch_execnz .LBB232_692
	s_branch .LBB232_693
.LBB232_2430:
	s_andn2_saveexec_b64 s[26:27], s[26:27]
	s_cbranch_execz .LBB232_1382
.LBB232_2431:
	v_cmp_lt_i16_e64 s[4:5], 22, v10
	s_mov_b64 s[38:39], s[28:29]
                                        ; implicit-def: $vgpr13
	s_and_saveexec_b64 s[8:9], s[4:5]
	s_xor_b64 s[8:9], exec, s[8:9]
	s_cbranch_execz .LBB232_2463
; %bb.2432:
	v_cmp_lt_i16_e64 s[4:5], 23, v10
                                        ; implicit-def: $vgpr13
	s_and_saveexec_b64 s[38:39], s[4:5]
	s_xor_b64 s[38:39], exec, s[38:39]
	s_cbranch_execz .LBB232_2460
; %bb.2433:
	v_cmp_lt_i16_e64 s[4:5], 24, v10
                                        ; implicit-def: $vgpr13
	s_and_saveexec_b64 s[40:41], s[4:5]
	s_xor_b64 s[40:41], exec, s[40:41]
	s_cbranch_execz .LBB232_2449
; %bb.2434:
	flat_load_ubyte v13, v[0:1]
	s_movk_i32 s4, 0x7f
	s_mov_b64 s[42:43], 0
	s_waitcnt vmcnt(0) lgkmcnt(0)
	v_cmp_lt_i16_e64 s[4:5], s4, v13
	s_and_saveexec_b64 s[44:45], s[4:5]
	s_xor_b64 s[44:45], exec, s[44:45]
	s_cbranch_execz .LBB232_2691
; %bb.2435:
	s_movk_i32 s4, 0x80
	v_cmp_eq_u16_e64 s[4:5], s4, v13
	s_mov_b64 s[42:43], -1
	s_and_saveexec_b64 s[46:47], s[4:5]
; %bb.2436:
	s_xor_b64 s[42:43], exec, -1
; %bb.2437:
	s_or_b64 exec, exec, s[46:47]
	s_and_b64 s[42:43], s[42:43], exec
	s_or_saveexec_b64 s[44:45], s[44:45]
	v_mov_b32_e32 v10, 0x7f800001
	s_xor_b64 exec, exec, s[44:45]
	s_cbranch_execnz .LBB232_2692
.LBB232_2438:
	s_or_b64 exec, exec, s[44:45]
	s_and_saveexec_b64 s[44:45], s[42:43]
	s_cbranch_execz .LBB232_2440
.LBB232_2439:
	v_lshlrev_b32_e32 v10, 24, v13
	v_and_b32_e32 v13, 0xffff, v13
	v_and_b32_e32 v14, 3, v13
	v_ffbh_u32_e32 v20, v14
	v_min_u32_e32 v20, 32, v20
	v_subrev_u32_e32 v21, 29, v20
	v_bfe_u32 v19, v13, 2, 5
	v_lshlrev_b32_e32 v13, v21, v13
	v_sub_u32_e32 v20, 30, v20
	v_and_b32_e32 v13, 3, v13
	v_cmp_eq_u32_e64 s[4:5], 0, v19
	v_cndmask_b32_e64 v19, v19, v20, s[4:5]
	v_cndmask_b32_e64 v13, v14, v13, s[4:5]
	v_mov_b32_e32 v14, 0x37800000
	v_lshlrev_b32_e32 v13, 21, v13
	v_and_b32_e32 v10, 0x80000000, v10
	v_lshl_add_u32 v14, v19, 23, v14
	v_or3_b32 v10, v10, v14, v13
.LBB232_2440:
	s_or_b64 exec, exec, s[44:45]
	v_and_b32_e32 v14, 0x7fffffff, v10
	s_mov_b32 s4, 0x47800000
	v_cmp_gt_u32_e64 s[4:5], s4, v14
                                        ; implicit-def: $vgpr13
	s_and_saveexec_b64 s[42:43], s[4:5]
	s_xor_b64 s[42:43], exec, s[42:43]
	s_cbranch_execz .LBB232_2446
; %bb.2441:
	s_mov_b32 s4, 0x387fffff
	v_cmp_lt_u32_e64 s[4:5], s4, v14
                                        ; implicit-def: $vgpr13
	s_and_saveexec_b64 s[44:45], s[4:5]
	s_xor_b64 s[4:5], exec, s[44:45]
; %bb.2442:
	v_bfe_u32 v13, v10, 21, 1
	s_mov_b32 s33, 0x80fffff
	v_add3_u32 v13, v10, v13, s33
	v_lshrrev_b32_e32 v13, 21, v13
; %bb.2443:
	s_andn2_saveexec_b64 s[4:5], s[4:5]
; %bb.2444:
	s_mov_b32 s33, 0x43000000
	v_add_f32_e64 v13, |v10|, s33
; %bb.2445:
	s_or_b64 exec, exec, s[4:5]
                                        ; implicit-def: $vgpr14
.LBB232_2446:
	s_andn2_saveexec_b64 s[42:43], s[42:43]
; %bb.2447:
	s_mov_b32 s4, 0x7f800000
	v_mov_b32_e32 v13, 0x7c
	v_mov_b32_e32 v19, 0x7f
	v_cmp_lt_u32_e64 s[4:5], s4, v14
	v_cndmask_b32_e64 v13, v13, v19, s[4:5]
; %bb.2448:
	s_or_b64 exec, exec, s[42:43]
	v_lshrrev_b32_e32 v10, 24, v10
	s_movk_i32 s4, 0x80
	v_and_or_b32 v13, v10, s4, v13
.LBB232_2449:
	s_andn2_saveexec_b64 s[40:41], s[40:41]
	s_cbranch_execz .LBB232_2459
; %bb.2450:
	flat_load_ubyte v10, v[0:1]
	s_mov_b32 s4, 0x7f800000
	s_brev_b32 s33, 1
	s_waitcnt vmcnt(0) lgkmcnt(0)
	v_lshlrev_b32_e32 v10, 24, v10
	v_and_b32_e32 v13, 0x7f000000, v10
	v_ffbh_u32_e32 v14, v13
	v_min_u32_e32 v14, 32, v14
	v_sub_u32_e64 v14, v14, 4 clamp
	v_lshlrev_b32_e32 v20, v14, v13
	v_lshlrev_b32_e32 v14, 23, v14
	v_lshrrev_b32_e32 v20, 4, v20
	v_add_u32_e32 v19, 0x1000000, v13
	v_sub_u32_e32 v14, v20, v14
	v_ashrrev_i32_e32 v19, 8, v19
	v_add_u32_e32 v14, 0x3c000000, v14
	v_and_or_b32 v14, v19, s4, v14
	v_cmp_ne_u32_e64 s[4:5], 0, v13
	v_cndmask_b32_e64 v19, 0, v14, s[4:5]
	v_and_or_b32 v10, v10, s33, v19
	v_and_b32_e32 v14, 0x7fffffff, v10
	s_mov_b32 s4, 0x47800000
	v_cmp_gt_u32_e64 s[4:5], s4, v14
                                        ; implicit-def: $vgpr13
	s_and_saveexec_b64 s[42:43], s[4:5]
	s_xor_b64 s[42:43], exec, s[42:43]
	s_cbranch_execz .LBB232_2456
; %bb.2451:
	s_mov_b32 s4, 0x387fffff
	v_cmp_lt_u32_e64 s[4:5], s4, v14
                                        ; implicit-def: $vgpr13
	s_and_saveexec_b64 s[44:45], s[4:5]
	s_xor_b64 s[4:5], exec, s[44:45]
; %bb.2452:
	v_bfe_u32 v13, v19, 21, 1
	s_mov_b32 s33, 0x80fffff
	v_add3_u32 v13, v10, v13, s33
	v_lshrrev_b32_e32 v13, 21, v13
; %bb.2453:
	s_andn2_saveexec_b64 s[4:5], s[4:5]
; %bb.2454:
	s_mov_b32 s33, 0x43000000
	v_add_f32_e64 v13, |v10|, s33
; %bb.2455:
	s_or_b64 exec, exec, s[4:5]
                                        ; implicit-def: $vgpr14
.LBB232_2456:
	s_andn2_saveexec_b64 s[42:43], s[42:43]
; %bb.2457:
	s_mov_b32 s4, 0x7f800000
	v_mov_b32_e32 v13, 0x7c
	v_mov_b32_e32 v19, 0x7f
	v_cmp_lt_u32_e64 s[4:5], s4, v14
	v_cndmask_b32_e64 v13, v13, v19, s[4:5]
; %bb.2458:
	s_or_b64 exec, exec, s[42:43]
	v_lshrrev_b32_e32 v10, 24, v10
	s_movk_i32 s4, 0x80
	v_and_or_b32 v13, v10, s4, v13
.LBB232_2459:
	s_or_b64 exec, exec, s[40:41]
.LBB232_2460:
	s_andn2_saveexec_b64 s[4:5], s[38:39]
	s_cbranch_execz .LBB232_2462
; %bb.2461:
	flat_load_ubyte v13, v[0:1]
.LBB232_2462:
	s_or_b64 exec, exec, s[4:5]
	s_or_b64 s[38:39], s[28:29], exec
                                        ; implicit-def: $vgpr10
.LBB232_2463:
	s_or_saveexec_b64 s[8:9], s[8:9]
	s_mov_b64 s[4:5], 0
	s_mov_b64 s[40:41], s[30:31]
	s_xor_b64 exec, exec, s[8:9]
	s_cbranch_execz .LBB232_2479
; %bb.2464:
	v_cmp_lt_i16_e64 s[4:5], 14, v10
	s_mov_b64 s[42:43], s[30:31]
	s_mov_b64 s[44:45], s[38:39]
                                        ; implicit-def: $vgpr13
	s_and_saveexec_b64 s[40:41], s[4:5]
	s_xor_b64 s[40:41], exec, s[40:41]
	s_cbranch_execz .LBB232_2476
; %bb.2465:
	v_cmp_eq_u16_e64 s[4:5], 15, v10
	s_mov_b64 s[46:47], -1
	s_mov_b64 s[44:45], s[38:39]
                                        ; implicit-def: $vgpr13
	s_and_saveexec_b64 s[42:43], s[4:5]
	s_cbranch_execz .LBB232_2475
; %bb.2466:
	flat_load_ushort v10, v[0:1]
	s_mov_b32 s4, 0x47800000
                                        ; implicit-def: $vgpr13
	s_waitcnt vmcnt(0) lgkmcnt(0)
	v_lshlrev_b32_e32 v14, 16, v10
	v_and_b32_e32 v19, 0x7fffffff, v14
	v_cmp_gt_u32_e64 s[4:5], s4, v19
	s_and_saveexec_b64 s[44:45], s[4:5]
	s_xor_b64 s[44:45], exec, s[44:45]
	s_cbranch_execz .LBB232_2472
; %bb.2467:
	s_mov_b32 s4, 0x387fffff
	v_cmp_lt_u32_e64 s[4:5], s4, v19
                                        ; implicit-def: $vgpr13
	s_and_saveexec_b64 s[46:47], s[4:5]
	s_xor_b64 s[4:5], exec, s[46:47]
; %bb.2468:
	v_bfe_u32 v13, v10, 5, 1
	s_mov_b32 s33, 0x80fffff
	v_add3_u32 v13, v14, v13, s33
	v_lshrrev_b32_e32 v13, 21, v13
                                        ; implicit-def: $vgpr14
; %bb.2469:
	s_andn2_saveexec_b64 s[4:5], s[4:5]
; %bb.2470:
	s_mov_b32 s33, 0x43000000
	v_add_f32_e64 v13, |v14|, s33
; %bb.2471:
	s_or_b64 exec, exec, s[4:5]
                                        ; implicit-def: $vgpr19
.LBB232_2472:
	s_andn2_saveexec_b64 s[44:45], s[44:45]
; %bb.2473:
	s_mov_b32 s4, 0x7f800000
	v_mov_b32_e32 v13, 0x7c
	v_mov_b32_e32 v14, 0x7f
	v_cmp_lt_u32_e64 s[4:5], s4, v19
	v_cndmask_b32_e64 v13, v13, v14, s[4:5]
; %bb.2474:
	s_or_b64 exec, exec, s[44:45]
	v_lshrrev_b32_e32 v10, 8, v10
	s_movk_i32 s4, 0x80
	v_and_or_b32 v13, v10, s4, v13
	s_or_b64 s[44:45], s[38:39], exec
	s_xor_b64 s[46:47], exec, -1
.LBB232_2475:
	s_or_b64 exec, exec, s[42:43]
	s_andn2_b64 s[4:5], s[38:39], exec
	s_and_b64 s[42:43], s[44:45], exec
	s_or_b64 s[44:45], s[4:5], s[42:43]
	s_andn2_b64 s[4:5], s[30:31], exec
	s_and_b64 s[42:43], s[46:47], exec
	s_or_b64 s[42:43], s[4:5], s[42:43]
                                        ; implicit-def: $vgpr10
.LBB232_2476:
	s_or_saveexec_b64 s[40:41], s[40:41]
	s_mov_b64 s[46:47], 0
	s_xor_b64 exec, exec, s[40:41]
; %bb.2477:
	v_cmp_ne_u16_e64 s[4:5], 11, v10
	s_andn2_b64 s[42:43], s[42:43], exec
	s_and_b64 s[4:5], s[4:5], exec
	s_mov_b64 s[46:47], exec
	s_or_b64 s[42:43], s[42:43], s[4:5]
; %bb.2478:
	s_or_b64 exec, exec, s[40:41]
	s_andn2_b64 s[4:5], s[38:39], exec
	s_and_b64 s[38:39], s[44:45], exec
	s_andn2_b64 s[40:41], s[30:31], exec
	s_and_b64 s[42:43], s[42:43], exec
	s_or_b64 s[38:39], s[4:5], s[38:39]
	s_and_b64 s[4:5], s[46:47], exec
	s_or_b64 s[40:41], s[40:41], s[42:43]
.LBB232_2479:
	s_or_b64 exec, exec, s[8:9]
	s_andn2_b64 s[8:9], s[28:29], exec
	s_and_b64 s[28:29], s[38:39], exec
	s_or_b64 s[28:29], s[8:9], s[28:29]
	s_and_b64 s[8:9], s[4:5], exec
	s_andn2_b64 s[4:5], s[30:31], exec
	s_and_b64 s[30:31], s[40:41], exec
	s_or_b64 s[30:31], s[4:5], s[30:31]
	s_or_b64 exec, exec, s[26:27]
	s_mov_b64 s[26:27], s[22:23]
	s_and_saveexec_b64 s[4:5], s[30:31]
	s_cbranch_execz .LBB232_1383
.LBB232_2480:
	s_trap 2
	s_or_b64 s[26:27], s[22:23], exec
	s_andn2_b64 s[8:9], s[8:9], exec
	s_or_b64 exec, exec, s[4:5]
	s_and_saveexec_b64 s[30:31], s[8:9]
	s_cbranch_execnz .LBB232_1384
	s_branch .LBB232_1393
.LBB232_2481:
	s_or_saveexec_b64 s[22:23], s[22:23]
	v_mov_b32_e32 v5, 0x7f800001
	s_xor_b64 exec, exec, s[22:23]
	s_cbranch_execz .LBB232_2146
.LBB232_2482:
	v_cmp_ne_u16_e64 s[4:5], 0, v9
	s_andn2_b64 s[20:21], s[20:21], exec
	s_and_b64 s[4:5], s[4:5], exec
	v_mov_b32_e32 v5, 0
	s_or_b64 s[20:21], s[20:21], s[4:5]
	s_or_b64 exec, exec, s[22:23]
	s_and_saveexec_b64 s[22:23], s[20:21]
	s_cbranch_execnz .LBB232_2147
	s_branch .LBB232_2148
.LBB232_2483:
	s_andn2_saveexec_b64 s[22:23], s[4:5]
	s_cbranch_execz .LBB232_33
.LBB232_2484:
	v_add_f32_e32 v2, 0x46000000, v3
	v_and_b32_e32 v2, 0xff, v2
	v_cmp_ne_u32_e64 s[4:5], 0, v2
	s_andn2_b64 s[20:21], s[20:21], exec
	s_and_b64 s[4:5], s[4:5], exec
	s_or_b64 s[20:21], s[20:21], s[4:5]
	s_or_b64 exec, exec, s[22:23]
	v_mov_b32_e32 v4, 0
	s_and_saveexec_b64 s[4:5], s[20:21]
	s_cbranch_execnz .LBB232_34
	s_branch .LBB232_35
.LBB232_2485:
	s_or_saveexec_b64 s[30:31], s[30:31]
	v_mov_b32_e32 v8, 0x7f800001
	s_xor_b64 exec, exec, s[30:31]
	s_cbranch_execz .LBB232_917
.LBB232_2486:
	v_cmp_ne_u16_e64 s[4:5], 0, v15
	s_andn2_b64 s[28:29], s[28:29], exec
	s_and_b64 s[4:5], s[4:5], exec
	v_mov_b32_e32 v8, 0
	s_or_b64 s[28:29], s[28:29], s[4:5]
	s_or_b64 exec, exec, s[30:31]
	s_and_saveexec_b64 s[30:31], s[28:29]
	s_cbranch_execnz .LBB232_918
	s_branch .LBB232_919
.LBB232_2487:
	s_andn2_saveexec_b64 s[30:31], s[30:31]
	s_cbranch_execz .LBB232_1608
.LBB232_2488:
	v_cmp_lt_i16_e64 s[4:5], 22, v9
	s_mov_b64 s[42:43], s[38:39]
                                        ; implicit-def: $vgpr10
	s_and_saveexec_b64 s[8:9], s[4:5]
	s_xor_b64 s[8:9], exec, s[8:9]
	s_cbranch_execz .LBB232_2520
; %bb.2489:
	v_cmp_lt_i16_e64 s[4:5], 23, v9
                                        ; implicit-def: $vgpr10
	s_and_saveexec_b64 s[42:43], s[4:5]
	s_xor_b64 s[42:43], exec, s[42:43]
	s_cbranch_execz .LBB232_2517
; %bb.2490:
	v_cmp_lt_i16_e64 s[4:5], 24, v9
                                        ; implicit-def: $vgpr10
	s_and_saveexec_b64 s[44:45], s[4:5]
	s_xor_b64 s[44:45], exec, s[44:45]
	s_cbranch_execz .LBB232_2506
; %bb.2491:
	flat_load_ubyte v10, v[0:1]
	s_movk_i32 s4, 0x7f
	s_mov_b64 s[46:47], 0
	s_waitcnt vmcnt(0) lgkmcnt(0)
	v_cmp_lt_i16_e64 s[4:5], s4, v10
	s_and_saveexec_b64 s[48:49], s[4:5]
	s_xor_b64 s[48:49], exec, s[48:49]
	s_cbranch_execz .LBB232_2738
; %bb.2492:
	s_movk_i32 s4, 0x80
	v_cmp_eq_u16_e64 s[4:5], s4, v10
	s_mov_b64 s[46:47], -1
	s_and_saveexec_b64 s[50:51], s[4:5]
; %bb.2493:
	s_xor_b64 s[46:47], exec, -1
; %bb.2494:
	s_or_b64 exec, exec, s[50:51]
	s_and_b64 s[46:47], s[46:47], exec
	s_or_saveexec_b64 s[48:49], s[48:49]
	v_mov_b32_e32 v9, 0x7f800001
	s_xor_b64 exec, exec, s[48:49]
	s_cbranch_execnz .LBB232_2739
.LBB232_2495:
	s_or_b64 exec, exec, s[48:49]
	s_and_saveexec_b64 s[48:49], s[46:47]
	s_cbranch_execz .LBB232_2497
.LBB232_2496:
	v_lshlrev_b32_e32 v9, 24, v10
	v_and_b32_e32 v10, 0xffff, v10
	v_and_b32_e32 v11, 3, v10
	v_ffbh_u32_e32 v14, v11
	v_min_u32_e32 v14, 32, v14
	v_subrev_u32_e32 v17, 29, v14
	v_bfe_u32 v12, v10, 2, 5
	v_lshlrev_b32_e32 v10, v17, v10
	v_sub_u32_e32 v14, 30, v14
	v_and_b32_e32 v10, 3, v10
	v_cmp_eq_u32_e64 s[4:5], 0, v12
	v_cndmask_b32_e64 v12, v12, v14, s[4:5]
	v_cndmask_b32_e64 v10, v11, v10, s[4:5]
	v_mov_b32_e32 v11, 0x37800000
	v_lshlrev_b32_e32 v10, 21, v10
	v_and_b32_e32 v9, 0x80000000, v9
	v_lshl_add_u32 v11, v12, 23, v11
	v_or3_b32 v9, v9, v11, v10
.LBB232_2497:
	s_or_b64 exec, exec, s[48:49]
	v_and_b32_e32 v11, 0x7fffffff, v9
	s_mov_b32 s4, 0x47800000
	v_cmp_gt_u32_e64 s[4:5], s4, v11
                                        ; implicit-def: $vgpr10
	s_and_saveexec_b64 s[46:47], s[4:5]
	s_xor_b64 s[46:47], exec, s[46:47]
	s_cbranch_execz .LBB232_2503
; %bb.2498:
	s_mov_b32 s4, 0x387fffff
	v_cmp_lt_u32_e64 s[4:5], s4, v11
                                        ; implicit-def: $vgpr10
	s_and_saveexec_b64 s[48:49], s[4:5]
	s_xor_b64 s[4:5], exec, s[48:49]
; %bb.2499:
	v_bfe_u32 v10, v9, 21, 1
	s_mov_b32 s33, 0x80fffff
	v_add3_u32 v10, v9, v10, s33
	v_lshrrev_b32_e32 v10, 21, v10
; %bb.2500:
	s_andn2_saveexec_b64 s[4:5], s[4:5]
; %bb.2501:
	s_mov_b32 s33, 0x43000000
	v_add_f32_e64 v10, |v9|, s33
; %bb.2502:
	s_or_b64 exec, exec, s[4:5]
                                        ; implicit-def: $vgpr11
.LBB232_2503:
	s_andn2_saveexec_b64 s[46:47], s[46:47]
; %bb.2504:
	s_mov_b32 s4, 0x7f800000
	v_mov_b32_e32 v10, 0x7c
	v_mov_b32_e32 v12, 0x7f
	v_cmp_lt_u32_e64 s[4:5], s4, v11
	v_cndmask_b32_e64 v10, v10, v12, s[4:5]
; %bb.2505:
	s_or_b64 exec, exec, s[46:47]
	v_lshrrev_b32_e32 v9, 24, v9
	s_movk_i32 s4, 0x80
	v_and_or_b32 v10, v9, s4, v10
.LBB232_2506:
	s_andn2_saveexec_b64 s[44:45], s[44:45]
	s_cbranch_execz .LBB232_2516
; %bb.2507:
	flat_load_ubyte v9, v[0:1]
	s_mov_b32 s4, 0x7f800000
	s_brev_b32 s33, 1
	s_waitcnt vmcnt(0) lgkmcnt(0)
	v_lshlrev_b32_e32 v9, 24, v9
	v_and_b32_e32 v10, 0x7f000000, v9
	v_ffbh_u32_e32 v11, v10
	v_min_u32_e32 v11, 32, v11
	v_sub_u32_e64 v11, v11, 4 clamp
	v_lshlrev_b32_e32 v14, v11, v10
	v_lshlrev_b32_e32 v11, 23, v11
	v_lshrrev_b32_e32 v14, 4, v14
	v_add_u32_e32 v12, 0x1000000, v10
	v_sub_u32_e32 v11, v14, v11
	v_ashrrev_i32_e32 v12, 8, v12
	v_add_u32_e32 v11, 0x3c000000, v11
	v_and_or_b32 v11, v12, s4, v11
	v_cmp_ne_u32_e64 s[4:5], 0, v10
	v_cndmask_b32_e64 v12, 0, v11, s[4:5]
	v_and_or_b32 v9, v9, s33, v12
	v_and_b32_e32 v11, 0x7fffffff, v9
	s_mov_b32 s4, 0x47800000
	v_cmp_gt_u32_e64 s[4:5], s4, v11
                                        ; implicit-def: $vgpr10
	s_and_saveexec_b64 s[46:47], s[4:5]
	s_xor_b64 s[46:47], exec, s[46:47]
	s_cbranch_execz .LBB232_2513
; %bb.2508:
	s_mov_b32 s4, 0x387fffff
	v_cmp_lt_u32_e64 s[4:5], s4, v11
                                        ; implicit-def: $vgpr10
	s_and_saveexec_b64 s[48:49], s[4:5]
	s_xor_b64 s[4:5], exec, s[48:49]
; %bb.2509:
	v_bfe_u32 v10, v12, 21, 1
	s_mov_b32 s33, 0x80fffff
	v_add3_u32 v10, v9, v10, s33
	v_lshrrev_b32_e32 v10, 21, v10
; %bb.2510:
	s_andn2_saveexec_b64 s[4:5], s[4:5]
; %bb.2511:
	s_mov_b32 s33, 0x43000000
	v_add_f32_e64 v10, |v9|, s33
; %bb.2512:
	s_or_b64 exec, exec, s[4:5]
                                        ; implicit-def: $vgpr11
.LBB232_2513:
	s_andn2_saveexec_b64 s[46:47], s[46:47]
; %bb.2514:
	s_mov_b32 s4, 0x7f800000
	v_mov_b32_e32 v10, 0x7c
	v_mov_b32_e32 v12, 0x7f
	v_cmp_lt_u32_e64 s[4:5], s4, v11
	v_cndmask_b32_e64 v10, v10, v12, s[4:5]
; %bb.2515:
	s_or_b64 exec, exec, s[46:47]
	v_lshrrev_b32_e32 v9, 24, v9
	s_movk_i32 s4, 0x80
	v_and_or_b32 v10, v9, s4, v10
.LBB232_2516:
	s_or_b64 exec, exec, s[44:45]
.LBB232_2517:
	s_andn2_saveexec_b64 s[4:5], s[42:43]
	s_cbranch_execz .LBB232_2519
; %bb.2518:
	flat_load_ubyte v10, v[0:1]
.LBB232_2519:
	s_or_b64 exec, exec, s[4:5]
	s_or_b64 s[42:43], s[38:39], exec
                                        ; implicit-def: $vgpr9
.LBB232_2520:
	s_or_saveexec_b64 s[8:9], s[8:9]
	s_mov_b64 s[4:5], 0
	s_mov_b64 s[44:45], s[40:41]
	s_xor_b64 exec, exec, s[8:9]
	s_cbranch_execz .LBB232_2536
; %bb.2521:
	v_cmp_lt_i16_e64 s[4:5], 14, v9
	s_mov_b64 s[46:47], s[40:41]
	s_mov_b64 s[48:49], s[42:43]
                                        ; implicit-def: $vgpr10
	s_and_saveexec_b64 s[44:45], s[4:5]
	s_xor_b64 s[44:45], exec, s[44:45]
	s_cbranch_execz .LBB232_2533
; %bb.2522:
	v_cmp_eq_u16_e64 s[4:5], 15, v9
	s_mov_b64 s[50:51], -1
	s_mov_b64 s[48:49], s[42:43]
                                        ; implicit-def: $vgpr10
	s_and_saveexec_b64 s[46:47], s[4:5]
	s_cbranch_execz .LBB232_2532
; %bb.2523:
	flat_load_ushort v9, v[0:1]
	s_mov_b32 s4, 0x47800000
                                        ; implicit-def: $vgpr10
	s_waitcnt vmcnt(0) lgkmcnt(0)
	v_lshlrev_b32_e32 v11, 16, v9
	v_and_b32_e32 v12, 0x7fffffff, v11
	v_cmp_gt_u32_e64 s[4:5], s4, v12
	s_and_saveexec_b64 s[48:49], s[4:5]
	s_xor_b64 s[48:49], exec, s[48:49]
	s_cbranch_execz .LBB232_2529
; %bb.2524:
	s_mov_b32 s4, 0x387fffff
	v_cmp_lt_u32_e64 s[4:5], s4, v12
                                        ; implicit-def: $vgpr10
	s_and_saveexec_b64 s[50:51], s[4:5]
	s_xor_b64 s[4:5], exec, s[50:51]
; %bb.2525:
	v_bfe_u32 v10, v9, 5, 1
	s_mov_b32 s33, 0x80fffff
	v_add3_u32 v10, v11, v10, s33
	v_lshrrev_b32_e32 v10, 21, v10
                                        ; implicit-def: $vgpr11
; %bb.2526:
	s_andn2_saveexec_b64 s[4:5], s[4:5]
; %bb.2527:
	s_mov_b32 s33, 0x43000000
	v_add_f32_e64 v10, |v11|, s33
; %bb.2528:
	s_or_b64 exec, exec, s[4:5]
                                        ; implicit-def: $vgpr12
.LBB232_2529:
	s_andn2_saveexec_b64 s[48:49], s[48:49]
; %bb.2530:
	s_mov_b32 s4, 0x7f800000
	v_mov_b32_e32 v10, 0x7c
	v_mov_b32_e32 v11, 0x7f
	v_cmp_lt_u32_e64 s[4:5], s4, v12
	v_cndmask_b32_e64 v10, v10, v11, s[4:5]
; %bb.2531:
	s_or_b64 exec, exec, s[48:49]
	v_lshrrev_b32_e32 v9, 8, v9
	s_movk_i32 s4, 0x80
	v_and_or_b32 v10, v9, s4, v10
	s_or_b64 s[48:49], s[42:43], exec
	s_xor_b64 s[50:51], exec, -1
.LBB232_2532:
	s_or_b64 exec, exec, s[46:47]
	s_andn2_b64 s[4:5], s[42:43], exec
	s_and_b64 s[46:47], s[48:49], exec
	s_or_b64 s[48:49], s[4:5], s[46:47]
	s_andn2_b64 s[4:5], s[40:41], exec
	s_and_b64 s[46:47], s[50:51], exec
	s_or_b64 s[46:47], s[4:5], s[46:47]
                                        ; implicit-def: $vgpr9
.LBB232_2533:
	s_or_saveexec_b64 s[44:45], s[44:45]
	s_mov_b64 s[50:51], 0
	s_xor_b64 exec, exec, s[44:45]
; %bb.2534:
	v_cmp_ne_u16_e64 s[4:5], 11, v9
	s_andn2_b64 s[46:47], s[46:47], exec
	s_and_b64 s[4:5], s[4:5], exec
	s_mov_b64 s[50:51], exec
	s_or_b64 s[46:47], s[46:47], s[4:5]
; %bb.2535:
	s_or_b64 exec, exec, s[44:45]
	s_andn2_b64 s[4:5], s[42:43], exec
	s_and_b64 s[42:43], s[48:49], exec
	s_andn2_b64 s[44:45], s[40:41], exec
	s_and_b64 s[46:47], s[46:47], exec
	s_or_b64 s[42:43], s[4:5], s[42:43]
	s_and_b64 s[4:5], s[50:51], exec
	s_or_b64 s[44:45], s[44:45], s[46:47]
.LBB232_2536:
	s_or_b64 exec, exec, s[8:9]
	s_andn2_b64 s[8:9], s[38:39], exec
	s_and_b64 s[38:39], s[42:43], exec
	s_or_b64 s[38:39], s[8:9], s[38:39]
	s_and_b64 s[8:9], s[4:5], exec
	s_andn2_b64 s[4:5], s[40:41], exec
	s_and_b64 s[40:41], s[44:45], exec
	s_or_b64 s[40:41], s[4:5], s[40:41]
	s_or_b64 exec, exec, s[30:31]
	s_mov_b64 s[30:31], s[26:27]
	s_and_saveexec_b64 s[4:5], s[40:41]
	s_cbranch_execz .LBB232_1609
.LBB232_2537:
	s_trap 2
	s_or_b64 s[30:31], s[26:27], exec
	s_andn2_b64 s[8:9], s[8:9], exec
	s_or_b64 exec, exec, s[4:5]
	s_and_saveexec_b64 s[40:41], s[8:9]
	s_cbranch_execnz .LBB232_1610
	s_branch .LBB232_1619
.LBB232_2538:
	s_or_saveexec_b64 s[26:27], s[26:27]
	v_mov_b32_e32 v6, 0x7f800001
	s_xor_b64 exec, exec, s[26:27]
	s_cbranch_execz .LBB232_2239
.LBB232_2539:
	v_cmp_ne_u16_e64 s[4:5], 0, v19
	s_andn2_b64 s[24:25], s[24:25], exec
	s_and_b64 s[4:5], s[4:5], exec
	v_mov_b32_e32 v6, 0
	s_or_b64 s[24:25], s[24:25], s[4:5]
	s_or_b64 exec, exec, s[26:27]
	s_and_saveexec_b64 s[26:27], s[24:25]
	s_cbranch_execnz .LBB232_2240
	s_branch .LBB232_2241
.LBB232_2540:
	s_andn2_saveexec_b64 s[24:25], s[4:5]
	s_cbranch_execz .LBB232_46
.LBB232_2541:
	v_add_f32_e32 v2, 0x42800000, v3
	v_and_b32_e32 v2, 0xff, v2
	v_cmp_ne_u32_e64 s[4:5], 0, v2
	s_andn2_b64 s[22:23], s[22:23], exec
	s_and_b64 s[4:5], s[4:5], exec
	s_or_b64 s[22:23], s[22:23], s[4:5]
	s_or_b64 exec, exec, s[24:25]
	v_mov_b32_e32 v4, 0
	s_and_saveexec_b64 s[4:5], s[22:23]
	s_cbranch_execnz .LBB232_47
	s_branch .LBB232_48
.LBB232_2542:
	s_andn2_saveexec_b64 s[22:23], s[4:5]
	s_cbranch_execz .LBB232_120
.LBB232_2543:
	v_add_f32_e32 v2, 0x46000000, v3
	v_and_b32_e32 v2, 0xff, v2
	v_cmp_ne_u32_e64 s[4:5], 0, v2
	s_andn2_b64 s[20:21], s[20:21], exec
	s_and_b64 s[4:5], s[4:5], exec
	s_or_b64 s[20:21], s[20:21], s[4:5]
	s_or_b64 exec, exec, s[22:23]
	v_mov_b32_e32 v4, 0
	s_and_saveexec_b64 s[4:5], s[20:21]
	s_cbranch_execnz .LBB232_121
	s_branch .LBB232_122
.LBB232_2544:
	s_or_saveexec_b64 s[40:41], s[40:41]
	v_mov_b32_e32 v15, 0x7f800001
	s_xor_b64 exec, exec, s[40:41]
	s_cbranch_execz .LBB232_1143
.LBB232_2545:
	v_cmp_ne_u16_e64 s[4:5], 0, v21
	s_andn2_b64 s[38:39], s[38:39], exec
	s_and_b64 s[4:5], s[4:5], exec
	v_mov_b32_e32 v15, 0
	s_or_b64 s[38:39], s[38:39], s[4:5]
	s_or_b64 exec, exec, s[40:41]
	s_and_saveexec_b64 s[40:41], s[38:39]
	s_cbranch_execnz .LBB232_1144
	s_branch .LBB232_1145
.LBB232_2546:
	s_andn2_saveexec_b64 s[42:43], s[42:43]
	s_cbranch_execz .LBB232_1788
.LBB232_2547:
	v_cmp_lt_i16_e64 s[4:5], 22, v21
	s_mov_b64 s[46:47], s[6:7]
	s_and_saveexec_b64 s[44:45], s[4:5]
	s_xor_b64 s[44:45], exec, s[44:45]
	s_cbranch_execz .LBB232_2579
; %bb.2548:
	v_cmp_lt_i16_e64 s[4:5], 23, v21
	s_and_saveexec_b64 s[46:47], s[4:5]
	s_xor_b64 s[46:47], exec, s[46:47]
	s_cbranch_execz .LBB232_2568
; %bb.2549:
	v_cmp_lt_i16_e64 s[4:5], 24, v21
	s_and_saveexec_b64 s[48:49], s[4:5]
	s_xor_b64 s[48:49], exec, s[48:49]
	s_cbranch_execz .LBB232_2557
; %bb.2550:
	v_cndmask_b32_e64 v11, 0, 1.0, vcc
	s_mov_b32 s4, 0x47800000
	v_cmp_gt_u32_e64 s[4:5], s4, v11
	v_mov_b32_e32 v12, 0x80
	s_and_saveexec_b64 s[50:51], s[4:5]
	s_cbranch_execz .LBB232_2556
; %bb.2551:
	s_mov_b32 s4, 0x37ffffff
	v_cmp_lt_u32_e64 s[4:5], s4, v11
	s_mov_b64 s[52:53], 0
                                        ; implicit-def: $vgpr9
	s_and_saveexec_b64 s[54:55], s[4:5]
	s_xor_b64 s[4:5], exec, s[54:55]
	s_cbranch_execz .LBB232_2744
; %bb.2552:
	v_bfe_u32 v9, v11, 21, 1
	s_mov_b32 s33, 0x88fffff
	v_add3_u32 v9, v11, v9, s33
	s_mov_b64 s[52:53], exec
	v_lshrrev_b32_e32 v9, 21, v9
                                        ; implicit-def: $vgpr11
	s_andn2_saveexec_b64 s[54:55], s[4:5]
	s_cbranch_execnz .LBB232_2745
.LBB232_2553:
	s_or_b64 exec, exec, s[54:55]
	v_mov_b32_e32 v12, 0
	s_and_saveexec_b64 s[4:5], s[52:53]
.LBB232_2554:
	v_mov_b32_e32 v12, v9
.LBB232_2555:
	s_or_b64 exec, exec, s[4:5]
.LBB232_2556:
	s_or_b64 exec, exec, s[50:51]
	flat_store_byte v[0:1], v12
.LBB232_2557:
	s_andn2_saveexec_b64 s[48:49], s[48:49]
	s_cbranch_execz .LBB232_2567
; %bb.2558:
	v_cndmask_b32_e64 v9, 0, 1.0, vcc
	s_mov_b32 s4, 0x43f00000
	v_cmp_gt_u32_e64 s[4:5], s4, v9
                                        ; implicit-def: $vgpr11
	s_and_saveexec_b64 s[50:51], s[4:5]
	s_xor_b64 s[50:51], exec, s[50:51]
	s_cbranch_execz .LBB232_2564
; %bb.2559:
	s_mov_b32 s4, 0x3c7fffff
	v_cmp_lt_u32_e64 s[4:5], s4, v9
                                        ; implicit-def: $vgpr11
	s_and_saveexec_b64 s[52:53], s[4:5]
	s_xor_b64 s[52:53], exec, s[52:53]
; %bb.2560:
	v_bfe_u32 v11, v9, 20, 1
	s_mov_b32 s4, 0x407ffff
	v_add3_u32 v9, v9, v11, s4
	v_lshrrev_b32_e32 v11, 20, v9
	v_and_b32_e32 v9, 0xff00000, v9
	s_mov_b32 s4, 0x7f00000
	v_mov_b32_e32 v12, 0x7e
	v_cmp_ne_u32_e64 s[4:5], s4, v9
	v_cndmask_b32_e64 v11, v12, v11, s[4:5]
                                        ; implicit-def: $vgpr9
; %bb.2561:
	s_andn2_saveexec_b64 s[4:5], s[52:53]
; %bb.2562:
	v_add_f32_e32 v11, 0x46800000, v9
; %bb.2563:
	s_or_b64 exec, exec, s[4:5]
                                        ; implicit-def: $vgpr9
.LBB232_2564:
	s_andn2_saveexec_b64 s[50:51], s[50:51]
; %bb.2565:
	s_mov_b32 s4, 0x7f800000
	v_mov_b32_e32 v11, 0x7e
	v_mov_b32_e32 v12, 0x7f
	v_cmp_lt_u32_e64 s[4:5], s4, v9
	v_cndmask_b32_e64 v11, v11, v12, s[4:5]
; %bb.2566:
	s_or_b64 exec, exec, s[50:51]
	flat_store_byte v[0:1], v11
.LBB232_2567:
	s_or_b64 exec, exec, s[48:49]
.LBB232_2568:
	s_andn2_saveexec_b64 s[46:47], s[46:47]
	s_cbranch_execz .LBB232_2578
; %bb.2569:
	v_cndmask_b32_e64 v9, 0, 1.0, vcc
	s_mov_b32 s4, 0x47800000
	v_cmp_gt_u32_e64 s[4:5], s4, v9
                                        ; implicit-def: $vgpr11
	s_and_saveexec_b64 s[48:49], s[4:5]
	s_xor_b64 s[48:49], exec, s[48:49]
	s_cbranch_execz .LBB232_2575
; %bb.2570:
	s_mov_b32 s4, 0x387fffff
	v_cmp_lt_u32_e64 s[4:5], s4, v9
                                        ; implicit-def: $vgpr11
	s_and_saveexec_b64 s[50:51], s[4:5]
	s_xor_b64 s[4:5], exec, s[50:51]
; %bb.2571:
	v_bfe_u32 v11, v9, 21, 1
	s_mov_b32 s33, 0x80fffff
	v_add3_u32 v9, v9, v11, s33
	v_lshrrev_b32_e32 v11, 21, v9
                                        ; implicit-def: $vgpr9
; %bb.2572:
	s_andn2_saveexec_b64 s[4:5], s[4:5]
; %bb.2573:
	v_add_f32_e32 v11, 0x43000000, v9
; %bb.2574:
	s_or_b64 exec, exec, s[4:5]
                                        ; implicit-def: $vgpr9
.LBB232_2575:
	s_andn2_saveexec_b64 s[48:49], s[48:49]
; %bb.2576:
	s_mov_b32 s4, 0x7f800000
	v_mov_b32_e32 v11, 0x7c
	v_mov_b32_e32 v12, 0x7f
	v_cmp_lt_u32_e64 s[4:5], s4, v9
	v_cndmask_b32_e64 v11, v11, v12, s[4:5]
; %bb.2577:
	s_or_b64 exec, exec, s[48:49]
	flat_store_byte v[0:1], v11
.LBB232_2578:
	s_or_b64 exec, exec, s[46:47]
	s_or_b64 s[46:47], s[6:7], exec
.LBB232_2579:
	s_or_saveexec_b64 s[44:45], s[44:45]
	s_mov_b64 s[4:5], 0
	s_mov_b64 s[48:49], s[40:41]
	s_xor_b64 exec, exec, s[44:45]
	s_cbranch_execz .LBB232_2587
; %bb.2580:
	v_cmp_lt_i16_e64 s[4:5], 14, v21
	s_mov_b64 s[48:49], s[40:41]
	s_mov_b64 s[50:51], s[46:47]
	s_and_saveexec_b64 s[52:53], s[4:5]
	s_xor_b64 s[52:53], exec, s[52:53]
	s_cbranch_execz .LBB232_2584
; %bb.2581:
	v_cmp_eq_u16_e64 s[4:5], 15, v21
	s_mov_b64 s[48:49], -1
	s_mov_b64 s[54:55], s[46:47]
	s_and_saveexec_b64 s[50:51], s[4:5]
	s_cbranch_execz .LBB232_2583
; %bb.2582:
	v_cndmask_b32_e64 v9, 0, 1.0, vcc
	v_bfe_u32 v11, v9, 16, 1
	s_movk_i32 s4, 0x7fff
	v_add3_u32 v9, v9, v11, s4
	flat_store_short_d16_hi v[0:1], v9
	s_or_b64 s[54:55], s[46:47], exec
	s_xor_b64 s[48:49], exec, -1
.LBB232_2583:
	s_or_b64 exec, exec, s[50:51]
	s_andn2_b64 s[4:5], s[46:47], exec
	s_and_b64 s[50:51], s[54:55], exec
	s_or_b64 s[50:51], s[4:5], s[50:51]
	s_andn2_b64 s[4:5], s[40:41], exec
	s_and_b64 s[48:49], s[48:49], exec
	s_or_b64 s[48:49], s[4:5], s[48:49]
.LBB232_2584:
	s_or_saveexec_b64 s[52:53], s[52:53]
	s_mov_b64 s[54:55], 0
	s_xor_b64 exec, exec, s[52:53]
; %bb.2585:
	v_cmp_ne_u16_e64 s[4:5], 11, v21
	s_andn2_b64 s[48:49], s[48:49], exec
	s_and_b64 s[4:5], s[4:5], exec
	s_mov_b64 s[54:55], exec
	s_or_b64 s[48:49], s[48:49], s[4:5]
; %bb.2586:
	s_or_b64 exec, exec, s[52:53]
	s_andn2_b64 s[4:5], s[46:47], exec
	s_and_b64 s[46:47], s[50:51], exec
	s_andn2_b64 s[50:51], s[40:41], exec
	s_and_b64 s[48:49], s[48:49], exec
	s_or_b64 s[46:47], s[4:5], s[46:47]
	s_and_b64 s[4:5], s[54:55], exec
	s_or_b64 s[48:49], s[50:51], s[48:49]
.LBB232_2587:
	s_or_b64 exec, exec, s[44:45]
	s_andn2_b64 s[6:7], s[6:7], exec
	s_and_b64 s[44:45], s[46:47], exec
	s_or_b64 s[6:7], s[6:7], s[44:45]
	s_and_b64 s[44:45], s[4:5], exec
	s_andn2_b64 s[4:5], s[40:41], exec
	s_and_b64 s[40:41], s[48:49], exec
	s_or_b64 s[40:41], s[4:5], s[40:41]
	s_or_b64 exec, exec, s[42:43]
	s_mov_b64 s[4:5], s[30:31]
	s_and_saveexec_b64 s[42:43], s[40:41]
	s_cbranch_execz .LBB232_1789
.LBB232_2588:
	s_trap 2
	s_or_b64 s[4:5], s[30:31], exec
	s_andn2_b64 s[44:45], s[44:45], exec
	s_or_b64 exec, exec, s[42:43]
	s_and_saveexec_b64 s[40:41], s[44:45]
	s_xor_b64 s[40:41], exec, s[40:41]
	s_cbranch_execnz .LBB232_1790
	s_branch .LBB232_1791
.LBB232_2589:
	s_or_saveexec_b64 s[30:31], s[30:31]
	v_mov_b32_e32 v8, 0x7f800001
	s_xor_b64 exec, exec, s[30:31]
	s_cbranch_execz .LBB232_2332
.LBB232_2590:
	v_cmp_ne_u16_e64 s[4:5], 0, v15
	s_andn2_b64 s[28:29], s[28:29], exec
	s_and_b64 s[4:5], s[4:5], exec
	v_mov_b32_e32 v8, 0
	s_or_b64 s[28:29], s[28:29], s[4:5]
	s_or_b64 exec, exec, s[30:31]
	s_and_saveexec_b64 s[30:31], s[28:29]
	s_cbranch_execnz .LBB232_2333
	s_branch .LBB232_2334
.LBB232_2591:
	s_andn2_saveexec_b64 s[24:25], s[4:5]
	s_cbranch_execz .LBB232_133
.LBB232_2592:
	v_add_f32_e32 v2, 0x42800000, v3
	v_and_b32_e32 v2, 0xff, v2
	v_cmp_ne_u32_e64 s[4:5], 0, v2
	s_andn2_b64 s[22:23], s[22:23], exec
	s_and_b64 s[4:5], s[4:5], exec
	s_or_b64 s[22:23], s[22:23], s[4:5]
	s_or_b64 exec, exec, s[24:25]
	v_mov_b32_e32 v4, 0
	s_and_saveexec_b64 s[4:5], s[22:23]
	s_cbranch_execnz .LBB232_134
	s_branch .LBB232_135
.LBB232_2593:
	s_andn2_saveexec_b64 s[22:23], s[4:5]
	s_cbranch_execz .LBB232_207
.LBB232_2594:
	v_add_f32_e32 v2, 0x46000000, v3
	v_and_b32_e32 v2, 0xff, v2
	v_cmp_ne_u32_e64 s[4:5], 0, v2
	s_andn2_b64 s[20:21], s[20:21], exec
	s_and_b64 s[4:5], s[4:5], exec
	s_or_b64 s[20:21], s[20:21], s[4:5]
	s_or_b64 exec, exec, s[22:23]
	v_mov_b32_e32 v4, 0
	s_and_saveexec_b64 s[4:5], s[20:21]
	s_cbranch_execnz .LBB232_208
	s_branch .LBB232_209
.LBB232_2595:
	s_or_saveexec_b64 s[44:45], s[44:45]
	v_mov_b32_e32 v10, 0x7f800001
	s_xor_b64 exec, exec, s[44:45]
	s_cbranch_execz .LBB232_1369
.LBB232_2596:
	v_cmp_ne_u16_e64 s[4:5], 0, v13
	s_andn2_b64 s[42:43], s[42:43], exec
	s_and_b64 s[4:5], s[4:5], exec
	v_mov_b32_e32 v10, 0
	s_or_b64 s[42:43], s[42:43], s[4:5]
	s_or_b64 exec, exec, s[44:45]
	s_and_saveexec_b64 s[44:45], s[42:43]
	s_cbranch_execnz .LBB232_1370
	s_branch .LBB232_1371
.LBB232_2597:
	s_andn2_saveexec_b64 s[48:49], s[48:49]
	s_cbranch_execz .LBB232_1872
.LBB232_2598:
	v_cmp_lt_i16_e64 s[6:7], 22, v21
	s_mov_b64 s[52:53], s[8:9]
	s_and_saveexec_b64 s[50:51], s[6:7]
	s_xor_b64 s[50:51], exec, s[50:51]
	s_cbranch_execz .LBB232_2630
; %bb.2599:
	v_cmp_lt_i16_e64 s[6:7], 23, v21
	s_and_saveexec_b64 s[52:53], s[6:7]
	s_xor_b64 s[52:53], exec, s[52:53]
	s_cbranch_execz .LBB232_2619
; %bb.2600:
	v_cmp_lt_i16_e64 s[6:7], 24, v21
	s_and_saveexec_b64 s[54:55], s[6:7]
	s_xor_b64 s[54:55], exec, s[54:55]
	s_cbranch_execz .LBB232_2608
; %bb.2601:
	v_cndmask_b32_e64 v7, 0, 1.0, s[4:5]
	s_mov_b32 s6, 0x47800000
	v_cmp_gt_u32_e64 s[6:7], s6, v7
	v_mov_b32_e32 v9, 0x80
	s_and_saveexec_b64 s[56:57], s[6:7]
	s_cbranch_execz .LBB232_2607
; %bb.2602:
	s_mov_b32 s6, 0x37ffffff
	v_cmp_lt_u32_e64 s[6:7], s6, v7
	s_mov_b64 s[58:59], 0
                                        ; implicit-def: $vgpr6
	s_and_saveexec_b64 s[60:61], s[6:7]
	s_xor_b64 s[6:7], exec, s[60:61]
	s_cbranch_execz .LBB232_2748
; %bb.2603:
	v_bfe_u32 v6, v7, 21, 1
	s_mov_b32 s33, 0x88fffff
	v_add3_u32 v6, v7, v6, s33
	s_mov_b64 s[58:59], exec
	v_lshrrev_b32_e32 v6, 21, v6
                                        ; implicit-def: $vgpr7
	s_andn2_saveexec_b64 s[60:61], s[6:7]
	s_cbranch_execnz .LBB232_2749
.LBB232_2604:
	s_or_b64 exec, exec, s[60:61]
	v_mov_b32_e32 v9, 0
	s_and_saveexec_b64 s[6:7], s[58:59]
.LBB232_2605:
	v_mov_b32_e32 v9, v6
.LBB232_2606:
	s_or_b64 exec, exec, s[6:7]
.LBB232_2607:
	s_or_b64 exec, exec, s[56:57]
	flat_store_byte v[0:1], v9
.LBB232_2608:
	s_andn2_saveexec_b64 s[54:55], s[54:55]
	s_cbranch_execz .LBB232_2618
; %bb.2609:
	v_cndmask_b32_e64 v6, 0, 1.0, s[4:5]
	s_mov_b32 s6, 0x43f00000
	v_cmp_gt_u32_e64 s[6:7], s6, v6
                                        ; implicit-def: $vgpr7
	s_and_saveexec_b64 s[56:57], s[6:7]
	s_xor_b64 s[56:57], exec, s[56:57]
	s_cbranch_execz .LBB232_2615
; %bb.2610:
	s_mov_b32 s6, 0x3c7fffff
	v_cmp_lt_u32_e64 s[6:7], s6, v6
                                        ; implicit-def: $vgpr7
	s_and_saveexec_b64 s[58:59], s[6:7]
	s_xor_b64 s[58:59], exec, s[58:59]
; %bb.2611:
	v_bfe_u32 v7, v6, 20, 1
	s_mov_b32 s6, 0x407ffff
	v_add3_u32 v6, v6, v7, s6
	v_lshrrev_b32_e32 v7, 20, v6
	v_and_b32_e32 v6, 0xff00000, v6
	s_mov_b32 s6, 0x7f00000
	v_mov_b32_e32 v9, 0x7e
	v_cmp_ne_u32_e64 s[6:7], s6, v6
	v_cndmask_b32_e64 v7, v9, v7, s[6:7]
                                        ; implicit-def: $vgpr6
; %bb.2612:
	s_andn2_saveexec_b64 s[6:7], s[58:59]
; %bb.2613:
	v_add_f32_e32 v7, 0x46800000, v6
; %bb.2614:
	s_or_b64 exec, exec, s[6:7]
                                        ; implicit-def: $vgpr6
.LBB232_2615:
	s_andn2_saveexec_b64 s[56:57], s[56:57]
; %bb.2616:
	s_mov_b32 s6, 0x7f800000
	v_mov_b32_e32 v7, 0x7e
	v_mov_b32_e32 v9, 0x7f
	v_cmp_lt_u32_e64 s[6:7], s6, v6
	v_cndmask_b32_e64 v7, v7, v9, s[6:7]
; %bb.2617:
	s_or_b64 exec, exec, s[56:57]
	flat_store_byte v[0:1], v7
.LBB232_2618:
	s_or_b64 exec, exec, s[54:55]
.LBB232_2619:
	s_andn2_saveexec_b64 s[52:53], s[52:53]
	s_cbranch_execz .LBB232_2629
; %bb.2620:
	v_cndmask_b32_e64 v6, 0, 1.0, s[4:5]
	s_mov_b32 s6, 0x47800000
	v_cmp_gt_u32_e64 s[6:7], s6, v6
                                        ; implicit-def: $vgpr7
	s_and_saveexec_b64 s[54:55], s[6:7]
	s_xor_b64 s[54:55], exec, s[54:55]
	s_cbranch_execz .LBB232_2626
; %bb.2621:
	s_mov_b32 s6, 0x387fffff
	v_cmp_lt_u32_e64 s[6:7], s6, v6
                                        ; implicit-def: $vgpr7
	s_and_saveexec_b64 s[56:57], s[6:7]
	s_xor_b64 s[6:7], exec, s[56:57]
; %bb.2622:
	v_bfe_u32 v7, v6, 21, 1
	s_mov_b32 s33, 0x80fffff
	v_add3_u32 v6, v6, v7, s33
	v_lshrrev_b32_e32 v7, 21, v6
                                        ; implicit-def: $vgpr6
; %bb.2623:
	s_andn2_saveexec_b64 s[6:7], s[6:7]
; %bb.2624:
	v_add_f32_e32 v7, 0x43000000, v6
; %bb.2625:
	s_or_b64 exec, exec, s[6:7]
                                        ; implicit-def: $vgpr6
.LBB232_2626:
	s_andn2_saveexec_b64 s[54:55], s[54:55]
; %bb.2627:
	s_mov_b32 s6, 0x7f800000
	v_mov_b32_e32 v7, 0x7c
	v_mov_b32_e32 v9, 0x7f
	v_cmp_lt_u32_e64 s[6:7], s6, v6
	v_cndmask_b32_e64 v7, v7, v9, s[6:7]
; %bb.2628:
	s_or_b64 exec, exec, s[54:55]
	flat_store_byte v[0:1], v7
.LBB232_2629:
	s_or_b64 exec, exec, s[52:53]
	s_or_b64 s[52:53], s[8:9], exec
.LBB232_2630:
	s_or_saveexec_b64 s[50:51], s[50:51]
	s_mov_b64 s[6:7], 0
	s_mov_b64 s[54:55], s[44:45]
	s_xor_b64 exec, exec, s[50:51]
	s_cbranch_execz .LBB232_2638
; %bb.2631:
	v_cmp_lt_i16_e64 s[6:7], 14, v21
	s_mov_b64 s[54:55], s[44:45]
	s_mov_b64 s[56:57], s[52:53]
	s_and_saveexec_b64 s[58:59], s[6:7]
	s_xor_b64 s[58:59], exec, s[58:59]
	s_cbranch_execz .LBB232_2635
; %bb.2632:
	v_cmp_eq_u16_e64 s[6:7], 15, v21
	s_mov_b64 s[54:55], -1
	s_mov_b64 s[60:61], s[52:53]
	s_and_saveexec_b64 s[56:57], s[6:7]
	s_cbranch_execz .LBB232_2634
; %bb.2633:
	v_cndmask_b32_e64 v6, 0, 1.0, s[4:5]
	v_bfe_u32 v7, v6, 16, 1
	s_movk_i32 s6, 0x7fff
	v_add3_u32 v6, v6, v7, s6
	flat_store_short_d16_hi v[0:1], v6
	s_or_b64 s[60:61], s[52:53], exec
	s_xor_b64 s[54:55], exec, -1
.LBB232_2634:
	s_or_b64 exec, exec, s[56:57]
	s_andn2_b64 s[6:7], s[52:53], exec
	s_and_b64 s[56:57], s[60:61], exec
	s_or_b64 s[56:57], s[6:7], s[56:57]
	s_andn2_b64 s[6:7], s[44:45], exec
	s_and_b64 s[54:55], s[54:55], exec
	s_or_b64 s[54:55], s[6:7], s[54:55]
.LBB232_2635:
	s_or_saveexec_b64 s[58:59], s[58:59]
	s_mov_b64 s[60:61], 0
	s_xor_b64 exec, exec, s[58:59]
; %bb.2636:
	v_cmp_ne_u16_e64 s[6:7], 11, v21
	s_andn2_b64 s[54:55], s[54:55], exec
	s_and_b64 s[6:7], s[6:7], exec
	s_mov_b64 s[60:61], exec
	s_or_b64 s[54:55], s[54:55], s[6:7]
; %bb.2637:
	s_or_b64 exec, exec, s[58:59]
	s_andn2_b64 s[6:7], s[52:53], exec
	s_and_b64 s[52:53], s[56:57], exec
	s_andn2_b64 s[56:57], s[44:45], exec
	s_and_b64 s[54:55], s[54:55], exec
	s_or_b64 s[52:53], s[6:7], s[52:53]
	s_and_b64 s[6:7], s[60:61], exec
	s_or_b64 s[54:55], s[56:57], s[54:55]
.LBB232_2638:
	s_or_b64 exec, exec, s[50:51]
	s_andn2_b64 s[8:9], s[8:9], exec
	s_and_b64 s[50:51], s[52:53], exec
	s_or_b64 s[8:9], s[8:9], s[50:51]
	s_and_b64 s[50:51], s[6:7], exec
	s_andn2_b64 s[6:7], s[44:45], exec
	s_and_b64 s[44:45], s[54:55], exec
	s_or_b64 s[44:45], s[6:7], s[44:45]
	s_or_b64 exec, exec, s[48:49]
	s_mov_b64 s[6:7], s[40:41]
	s_and_saveexec_b64 s[48:49], s[44:45]
	s_cbranch_execz .LBB232_1873
.LBB232_2639:
	s_trap 2
	s_or_b64 s[6:7], s[40:41], exec
	s_andn2_b64 s[50:51], s[50:51], exec
	s_or_b64 exec, exec, s[48:49]
	s_and_saveexec_b64 s[44:45], s[50:51]
	s_xor_b64 s[44:45], exec, s[44:45]
	s_cbranch_execnz .LBB232_1874
	s_branch .LBB232_1875
.LBB232_2640:
	s_or_saveexec_b64 s[40:41], s[40:41]
	v_mov_b32_e32 v15, 0x7f800001
	s_xor_b64 exec, exec, s[40:41]
	s_cbranch_execz .LBB232_2385
.LBB232_2641:
	v_cmp_ne_u16_e64 s[4:5], 0, v21
	s_andn2_b64 s[38:39], s[38:39], exec
	s_and_b64 s[4:5], s[4:5], exec
	v_mov_b32_e32 v15, 0
	s_or_b64 s[38:39], s[38:39], s[4:5]
	s_or_b64 exec, exec, s[40:41]
	s_and_saveexec_b64 s[40:41], s[38:39]
	s_cbranch_execnz .LBB232_2386
	s_branch .LBB232_2387
.LBB232_2642:
	s_andn2_saveexec_b64 s[24:25], s[4:5]
	s_cbranch_execz .LBB232_220
.LBB232_2643:
	v_add_f32_e32 v2, 0x42800000, v3
	v_and_b32_e32 v2, 0xff, v2
	v_cmp_ne_u32_e64 s[4:5], 0, v2
	s_andn2_b64 s[22:23], s[22:23], exec
	s_and_b64 s[4:5], s[4:5], exec
	s_or_b64 s[22:23], s[22:23], s[4:5]
	s_or_b64 exec, exec, s[24:25]
	v_mov_b32_e32 v4, 0
	s_and_saveexec_b64 s[4:5], s[22:23]
	s_cbranch_execnz .LBB232_221
	s_branch .LBB232_222
.LBB232_2644:
	s_andn2_saveexec_b64 s[20:21], s[20:21]
	s_cbranch_execz .LBB232_294
.LBB232_2645:
	v_add_f32_e32 v3, 0x46000000, v4
	v_and_b32_e32 v3, 0xff, v3
	v_cmp_ne_u32_e32 vcc, 0, v3
	s_andn2_b64 s[18:19], s[18:19], exec
	s_and_b64 s[22:23], vcc, exec
	s_or_b64 s[18:19], s[18:19], s[22:23]
	s_or_b64 exec, exec, s[20:21]
	v_mov_b32_e32 v5, 0
	s_and_saveexec_b64 s[20:21], s[18:19]
	s_cbranch_execnz .LBB232_295
	s_branch .LBB232_296
.LBB232_2646:
	s_or_saveexec_b64 s[48:49], s[48:49]
	v_mov_b32_e32 v9, 0x7f800001
	s_xor_b64 exec, exec, s[48:49]
	s_cbranch_execz .LBB232_1595
.LBB232_2647:
	v_cmp_ne_u16_e64 s[4:5], 0, v10
	s_andn2_b64 s[46:47], s[46:47], exec
	s_and_b64 s[4:5], s[4:5], exec
	v_mov_b32_e32 v9, 0
	s_or_b64 s[46:47], s[46:47], s[4:5]
	s_or_b64 exec, exec, s[48:49]
	s_and_saveexec_b64 s[48:49], s[46:47]
	s_cbranch_execnz .LBB232_1596
	s_branch .LBB232_1597
.LBB232_2648:
	s_andn2_saveexec_b64 s[52:53], s[52:53]
	s_cbranch_execz .LBB232_1956
.LBB232_2649:
	v_cmp_lt_i16_e64 s[6:7], 22, v21
	s_mov_b64 s[56:57], s[50:51]
	s_and_saveexec_b64 s[54:55], s[6:7]
	s_xor_b64 s[54:55], exec, s[54:55]
	s_cbranch_execz .LBB232_2681
; %bb.2650:
	v_cmp_lt_i16_e64 s[6:7], 23, v21
	s_and_saveexec_b64 s[56:57], s[6:7]
	s_xor_b64 s[56:57], exec, s[56:57]
	s_cbranch_execz .LBB232_2670
; %bb.2651:
	v_cmp_lt_i16_e64 s[6:7], 24, v21
	s_and_saveexec_b64 s[58:59], s[6:7]
	s_xor_b64 s[58:59], exec, s[58:59]
	s_cbranch_execz .LBB232_2659
; %bb.2652:
	v_cndmask_b32_e64 v7, 0, 1.0, s[4:5]
	s_mov_b32 s6, 0x47800000
	v_cmp_gt_u32_e64 s[6:7], s6, v7
	v_mov_b32_e32 v8, 0x80
	s_and_saveexec_b64 s[60:61], s[6:7]
	s_cbranch_execz .LBB232_2658
; %bb.2653:
	s_mov_b32 s6, 0x37ffffff
	v_cmp_lt_u32_e64 s[6:7], s6, v7
	s_mov_b64 s[62:63], 0
                                        ; implicit-def: $vgpr6
	s_and_saveexec_b64 s[64:65], s[6:7]
	s_xor_b64 s[6:7], exec, s[64:65]
	s_cbranch_execz .LBB232_2752
; %bb.2654:
	v_bfe_u32 v6, v7, 21, 1
	s_mov_b32 s33, 0x88fffff
	v_add3_u32 v6, v7, v6, s33
	s_mov_b64 s[62:63], exec
	v_lshrrev_b32_e32 v6, 21, v6
                                        ; implicit-def: $vgpr7
	s_andn2_saveexec_b64 s[64:65], s[6:7]
	s_cbranch_execnz .LBB232_2753
.LBB232_2655:
	s_or_b64 exec, exec, s[64:65]
	v_mov_b32_e32 v8, 0
	s_and_saveexec_b64 s[6:7], s[62:63]
.LBB232_2656:
	v_mov_b32_e32 v8, v6
.LBB232_2657:
	s_or_b64 exec, exec, s[6:7]
.LBB232_2658:
	s_or_b64 exec, exec, s[60:61]
	flat_store_byte v[0:1], v8
.LBB232_2659:
	s_andn2_saveexec_b64 s[58:59], s[58:59]
	s_cbranch_execz .LBB232_2669
; %bb.2660:
	v_cndmask_b32_e64 v6, 0, 1.0, s[4:5]
	s_mov_b32 s6, 0x43f00000
	v_cmp_gt_u32_e64 s[6:7], s6, v6
                                        ; implicit-def: $vgpr7
	s_and_saveexec_b64 s[60:61], s[6:7]
	s_xor_b64 s[60:61], exec, s[60:61]
	s_cbranch_execz .LBB232_2666
; %bb.2661:
	s_mov_b32 s6, 0x3c7fffff
	v_cmp_lt_u32_e64 s[6:7], s6, v6
                                        ; implicit-def: $vgpr7
	s_and_saveexec_b64 s[62:63], s[6:7]
	s_xor_b64 s[62:63], exec, s[62:63]
; %bb.2662:
	v_bfe_u32 v7, v6, 20, 1
	s_mov_b32 s6, 0x407ffff
	v_add3_u32 v6, v6, v7, s6
	v_lshrrev_b32_e32 v7, 20, v6
	v_and_b32_e32 v6, 0xff00000, v6
	s_mov_b32 s6, 0x7f00000
	v_mov_b32_e32 v8, 0x7e
	v_cmp_ne_u32_e64 s[6:7], s6, v6
	v_cndmask_b32_e64 v7, v8, v7, s[6:7]
                                        ; implicit-def: $vgpr6
; %bb.2663:
	s_andn2_saveexec_b64 s[6:7], s[62:63]
; %bb.2664:
	v_add_f32_e32 v7, 0x46800000, v6
; %bb.2665:
	s_or_b64 exec, exec, s[6:7]
                                        ; implicit-def: $vgpr6
.LBB232_2666:
	s_andn2_saveexec_b64 s[60:61], s[60:61]
; %bb.2667:
	s_mov_b32 s6, 0x7f800000
	v_mov_b32_e32 v7, 0x7e
	v_mov_b32_e32 v8, 0x7f
	v_cmp_lt_u32_e64 s[6:7], s6, v6
	v_cndmask_b32_e64 v7, v7, v8, s[6:7]
; %bb.2668:
	s_or_b64 exec, exec, s[60:61]
	flat_store_byte v[0:1], v7
.LBB232_2669:
	s_or_b64 exec, exec, s[58:59]
.LBB232_2670:
	s_andn2_saveexec_b64 s[56:57], s[56:57]
	s_cbranch_execz .LBB232_2680
; %bb.2671:
	v_cndmask_b32_e64 v6, 0, 1.0, s[4:5]
	s_mov_b32 s6, 0x47800000
	v_cmp_gt_u32_e64 s[6:7], s6, v6
                                        ; implicit-def: $vgpr7
	s_and_saveexec_b64 s[58:59], s[6:7]
	s_xor_b64 s[58:59], exec, s[58:59]
	s_cbranch_execz .LBB232_2677
; %bb.2672:
	s_mov_b32 s6, 0x387fffff
	v_cmp_lt_u32_e64 s[6:7], s6, v6
                                        ; implicit-def: $vgpr7
	s_and_saveexec_b64 s[60:61], s[6:7]
	s_xor_b64 s[6:7], exec, s[60:61]
; %bb.2673:
	v_bfe_u32 v7, v6, 21, 1
	s_mov_b32 s33, 0x80fffff
	v_add3_u32 v6, v6, v7, s33
	v_lshrrev_b32_e32 v7, 21, v6
                                        ; implicit-def: $vgpr6
; %bb.2674:
	s_andn2_saveexec_b64 s[6:7], s[6:7]
; %bb.2675:
	v_add_f32_e32 v7, 0x43000000, v6
; %bb.2676:
	s_or_b64 exec, exec, s[6:7]
                                        ; implicit-def: $vgpr6
.LBB232_2677:
	s_andn2_saveexec_b64 s[58:59], s[58:59]
; %bb.2678:
	s_mov_b32 s6, 0x7f800000
	v_mov_b32_e32 v7, 0x7c
	v_mov_b32_e32 v8, 0x7f
	v_cmp_lt_u32_e64 s[6:7], s6, v6
	v_cndmask_b32_e64 v7, v7, v8, s[6:7]
; %bb.2679:
	s_or_b64 exec, exec, s[58:59]
	flat_store_byte v[0:1], v7
.LBB232_2680:
	s_or_b64 exec, exec, s[56:57]
	s_or_b64 s[56:57], s[50:51], exec
.LBB232_2681:
	s_or_saveexec_b64 s[54:55], s[54:55]
	s_mov_b64 s[6:7], 0
	s_mov_b64 s[58:59], s[8:9]
	s_xor_b64 exec, exec, s[54:55]
	s_cbranch_execz .LBB232_2689
; %bb.2682:
	v_cmp_lt_i16_e64 s[6:7], 14, v21
	s_mov_b64 s[58:59], s[8:9]
	s_mov_b64 s[60:61], s[56:57]
	s_and_saveexec_b64 s[62:63], s[6:7]
	s_xor_b64 s[62:63], exec, s[62:63]
	s_cbranch_execz .LBB232_2686
; %bb.2683:
	v_cmp_eq_u16_e64 s[6:7], 15, v21
	s_mov_b64 s[58:59], -1
	s_mov_b64 s[64:65], s[56:57]
	s_and_saveexec_b64 s[60:61], s[6:7]
	s_cbranch_execz .LBB232_2685
; %bb.2684:
	v_cndmask_b32_e64 v6, 0, 1.0, s[4:5]
	v_bfe_u32 v7, v6, 16, 1
	s_movk_i32 s6, 0x7fff
	v_add3_u32 v6, v6, v7, s6
	flat_store_short_d16_hi v[0:1], v6
	s_or_b64 s[64:65], s[56:57], exec
	s_xor_b64 s[58:59], exec, -1
.LBB232_2685:
	s_or_b64 exec, exec, s[60:61]
	s_andn2_b64 s[6:7], s[56:57], exec
	s_and_b64 s[60:61], s[64:65], exec
	s_or_b64 s[60:61], s[6:7], s[60:61]
	s_andn2_b64 s[6:7], s[8:9], exec
	s_and_b64 s[58:59], s[58:59], exec
	s_or_b64 s[58:59], s[6:7], s[58:59]
.LBB232_2686:
	s_or_saveexec_b64 s[62:63], s[62:63]
	s_mov_b64 s[64:65], 0
	s_xor_b64 exec, exec, s[62:63]
; %bb.2687:
	v_cmp_ne_u16_e64 s[6:7], 11, v21
	s_andn2_b64 s[58:59], s[58:59], exec
	s_and_b64 s[6:7], s[6:7], exec
	s_mov_b64 s[64:65], exec
	s_or_b64 s[58:59], s[58:59], s[6:7]
; %bb.2688:
	s_or_b64 exec, exec, s[62:63]
	s_andn2_b64 s[6:7], s[56:57], exec
	s_and_b64 s[56:57], s[60:61], exec
	s_andn2_b64 s[60:61], s[8:9], exec
	s_and_b64 s[58:59], s[58:59], exec
	s_or_b64 s[56:57], s[6:7], s[56:57]
	s_and_b64 s[6:7], s[64:65], exec
	s_or_b64 s[58:59], s[60:61], s[58:59]
.LBB232_2689:
	s_or_b64 exec, exec, s[54:55]
	s_andn2_b64 s[50:51], s[50:51], exec
	s_and_b64 s[54:55], s[56:57], exec
	s_or_b64 s[50:51], s[50:51], s[54:55]
	s_and_b64 s[54:55], s[6:7], exec
	s_andn2_b64 s[6:7], s[8:9], exec
	s_and_b64 s[8:9], s[58:59], exec
	s_or_b64 s[8:9], s[6:7], s[8:9]
	s_or_b64 exec, exec, s[52:53]
	s_mov_b64 s[6:7], s[44:45]
	s_and_saveexec_b64 s[52:53], s[8:9]
	s_cbranch_execz .LBB232_1957
.LBB232_2690:
	s_trap 2
	s_or_b64 s[6:7], s[44:45], exec
	s_andn2_b64 s[54:55], s[54:55], exec
	s_or_b64 exec, exec, s[52:53]
	s_and_saveexec_b64 s[8:9], s[54:55]
	s_xor_b64 s[8:9], exec, s[8:9]
	s_cbranch_execnz .LBB232_1958
	s_branch .LBB232_1959
.LBB232_2691:
	s_or_saveexec_b64 s[44:45], s[44:45]
	v_mov_b32_e32 v10, 0x7f800001
	s_xor_b64 exec, exec, s[44:45]
	s_cbranch_execz .LBB232_2438
.LBB232_2692:
	v_cmp_ne_u16_e64 s[4:5], 0, v13
	s_andn2_b64 s[42:43], s[42:43], exec
	s_and_b64 s[4:5], s[4:5], exec
	v_mov_b32_e32 v10, 0
	s_or_b64 s[42:43], s[42:43], s[4:5]
	s_or_b64 exec, exec, s[44:45]
	s_and_saveexec_b64 s[44:45], s[42:43]
	s_cbranch_execnz .LBB232_2439
	s_branch .LBB232_2440
.LBB232_2693:
	s_andn2_saveexec_b64 s[22:23], s[22:23]
	s_cbranch_execz .LBB232_307
.LBB232_2694:
	v_add_f32_e32 v3, 0x42800000, v4
	v_and_b32_e32 v3, 0xff, v3
	v_cmp_ne_u32_e32 vcc, 0, v3
	s_andn2_b64 s[20:21], s[20:21], exec
	s_and_b64 s[24:25], vcc, exec
	s_or_b64 s[20:21], s[20:21], s[24:25]
	s_or_b64 exec, exec, s[22:23]
	v_mov_b32_e32 v5, 0
	s_and_saveexec_b64 s[22:23], s[20:21]
	s_cbranch_execnz .LBB232_308
	s_branch .LBB232_309
.LBB232_2695:
	s_andn2_saveexec_b64 s[52:53], s[52:53]
	s_cbranch_execz .LBB232_2040
.LBB232_2696:
	v_cmp_lt_i16_e32 vcc, 22, v21
	s_and_saveexec_b64 s[54:55], vcc
	s_xor_b64 s[54:55], exec, s[54:55]
	s_cbranch_execz .LBB232_2728
; %bb.2697:
	v_cmp_lt_i16_e32 vcc, 23, v21
	s_and_saveexec_b64 s[56:57], vcc
	s_xor_b64 s[56:57], exec, s[56:57]
	s_cbranch_execz .LBB232_2717
; %bb.2698:
	;; [unrolled: 5-line block ×3, first 2 shown]
	v_cndmask_b32_e64 v3, 0, 1.0, s[6:7]
	s_mov_b32 s33, 0x47800000
	v_cmp_gt_u32_e32 vcc, s33, v3
	v_mov_b32_e32 v4, 0x80
	s_and_saveexec_b64 s[60:61], vcc
	s_cbranch_execz .LBB232_2705
; %bb.2700:
	s_mov_b32 s33, 0x37ffffff
	v_cmp_lt_u32_e32 vcc, s33, v3
	s_mov_b64 s[62:63], 0
                                        ; implicit-def: $vgpr2
	s_and_saveexec_b64 s[64:65], vcc
	s_xor_b64 s[64:65], exec, s[64:65]
	s_cbranch_execz .LBB232_2754
; %bb.2701:
	v_bfe_u32 v2, v3, 21, 1
	s_mov_b32 s33, 0x88fffff
	v_add3_u32 v2, v3, v2, s33
	s_mov_b64 s[62:63], exec
	v_lshrrev_b32_e32 v2, 21, v2
                                        ; implicit-def: $vgpr3
	s_andn2_saveexec_b64 s[64:65], s[64:65]
	s_cbranch_execnz .LBB232_2755
.LBB232_2702:
	s_or_b64 exec, exec, s[64:65]
	v_mov_b32_e32 v4, 0
	s_and_saveexec_b64 s[64:65], s[62:63]
.LBB232_2703:
	v_mov_b32_e32 v4, v2
.LBB232_2704:
	s_or_b64 exec, exec, s[64:65]
.LBB232_2705:
	s_or_b64 exec, exec, s[60:61]
	flat_store_byte v[0:1], v4
.LBB232_2706:
	s_andn2_saveexec_b64 s[58:59], s[58:59]
	s_cbranch_execz .LBB232_2716
; %bb.2707:
	v_cndmask_b32_e64 v2, 0, 1.0, s[6:7]
	s_mov_b32 s33, 0x43f00000
	v_cmp_gt_u32_e32 vcc, s33, v2
                                        ; implicit-def: $vgpr3
	s_and_saveexec_b64 s[60:61], vcc
	s_xor_b64 s[60:61], exec, s[60:61]
	s_cbranch_execz .LBB232_2713
; %bb.2708:
	s_mov_b32 s33, 0x3c7fffff
	v_cmp_lt_u32_e32 vcc, s33, v2
                                        ; implicit-def: $vgpr3
	s_and_saveexec_b64 s[62:63], vcc
	s_xor_b64 s[62:63], exec, s[62:63]
; %bb.2709:
	v_bfe_u32 v3, v2, 20, 1
	s_mov_b32 s33, 0x407ffff
	v_add3_u32 v2, v2, v3, s33
	v_lshrrev_b32_e32 v3, 20, v2
	v_and_b32_e32 v2, 0xff00000, v2
	s_mov_b32 s33, 0x7f00000
	v_mov_b32_e32 v4, 0x7e
	v_cmp_ne_u32_e32 vcc, s33, v2
	v_cndmask_b32_e32 v3, v4, v3, vcc
                                        ; implicit-def: $vgpr2
; %bb.2710:
	s_andn2_saveexec_b64 s[62:63], s[62:63]
; %bb.2711:
	v_add_f32_e32 v3, 0x46800000, v2
; %bb.2712:
	s_or_b64 exec, exec, s[62:63]
                                        ; implicit-def: $vgpr2
.LBB232_2713:
	s_andn2_saveexec_b64 s[60:61], s[60:61]
; %bb.2714:
	s_mov_b32 s33, 0x7f800000
	v_mov_b32_e32 v3, 0x7e
	v_mov_b32_e32 v4, 0x7f
	v_cmp_lt_u32_e32 vcc, s33, v2
	v_cndmask_b32_e32 v3, v3, v4, vcc
; %bb.2715:
	s_or_b64 exec, exec, s[60:61]
	flat_store_byte v[0:1], v3
.LBB232_2716:
	s_or_b64 exec, exec, s[58:59]
.LBB232_2717:
	s_andn2_saveexec_b64 s[56:57], s[56:57]
	s_cbranch_execz .LBB232_2727
; %bb.2718:
	v_cndmask_b32_e64 v2, 0, 1.0, s[6:7]
	s_mov_b32 s33, 0x47800000
	v_cmp_gt_u32_e32 vcc, s33, v2
                                        ; implicit-def: $vgpr3
	s_and_saveexec_b64 s[58:59], vcc
	s_xor_b64 s[58:59], exec, s[58:59]
	s_cbranch_execz .LBB232_2724
; %bb.2719:
	s_mov_b32 s33, 0x387fffff
	v_cmp_lt_u32_e32 vcc, s33, v2
                                        ; implicit-def: $vgpr3
	s_and_saveexec_b64 s[60:61], vcc
	s_xor_b64 s[60:61], exec, s[60:61]
; %bb.2720:
	v_bfe_u32 v3, v2, 21, 1
	s_mov_b32 s33, 0x80fffff
	v_add3_u32 v2, v2, v3, s33
	v_lshrrev_b32_e32 v3, 21, v2
                                        ; implicit-def: $vgpr2
; %bb.2721:
	s_andn2_saveexec_b64 s[60:61], s[60:61]
; %bb.2722:
	v_add_f32_e32 v3, 0x43000000, v2
; %bb.2723:
	s_or_b64 exec, exec, s[60:61]
                                        ; implicit-def: $vgpr2
.LBB232_2724:
	s_andn2_saveexec_b64 s[58:59], s[58:59]
; %bb.2725:
	s_mov_b32 s33, 0x7f800000
	v_mov_b32_e32 v3, 0x7c
	v_mov_b32_e32 v4, 0x7f
	v_cmp_lt_u32_e32 vcc, s33, v2
	v_cndmask_b32_e32 v3, v3, v4, vcc
; %bb.2726:
	s_or_b64 exec, exec, s[58:59]
	flat_store_byte v[0:1], v3
.LBB232_2727:
	s_or_b64 exec, exec, s[56:57]
.LBB232_2728:
	s_or_saveexec_b64 s[54:55], s[54:55]
	s_mov_b64 s[58:59], 0
	s_mov_b64 s[56:57], s[4:5]
	s_xor_b64 exec, exec, s[54:55]
	s_cbranch_execz .LBB232_2736
; %bb.2729:
	v_cmp_lt_i16_e32 vcc, 14, v21
	s_mov_b64 s[56:57], s[4:5]
	s_and_saveexec_b64 s[58:59], vcc
	s_xor_b64 s[58:59], exec, s[58:59]
	s_cbranch_execz .LBB232_2733
; %bb.2730:
	v_cmp_eq_u16_e32 vcc, 15, v21
	s_mov_b64 s[60:61], -1
	s_and_saveexec_b64 s[56:57], vcc
	s_cbranch_execz .LBB232_2732
; %bb.2731:
	v_cndmask_b32_e64 v2, 0, 1.0, s[6:7]
	v_bfe_u32 v3, v2, 16, 1
	s_movk_i32 s33, 0x7fff
	v_add3_u32 v2, v2, v3, s33
	flat_store_short_d16_hi v[0:1], v2
	s_xor_b64 s[60:61], exec, -1
.LBB232_2732:
	s_or_b64 exec, exec, s[56:57]
	s_andn2_b64 s[56:57], s[4:5], exec
	s_and_b64 s[60:61], s[60:61], exec
	s_or_b64 s[56:57], s[56:57], s[60:61]
.LBB232_2733:
	s_or_saveexec_b64 s[58:59], s[58:59]
	s_mov_b64 s[60:61], 0
	s_xor_b64 exec, exec, s[58:59]
; %bb.2734:
	v_cmp_ne_u16_e32 vcc, 11, v21
	s_andn2_b64 s[56:57], s[56:57], exec
	s_and_b64 s[62:63], vcc, exec
	s_mov_b64 s[60:61], exec
	s_or_b64 s[56:57], s[56:57], s[62:63]
; %bb.2735:
	s_or_b64 exec, exec, s[58:59]
	s_and_b64 s[58:59], s[60:61], exec
	s_andn2_b64 s[60:61], s[4:5], exec
	s_and_b64 s[56:57], s[56:57], exec
	s_or_b64 s[56:57], s[60:61], s[56:57]
.LBB232_2736:
	s_or_b64 exec, exec, s[54:55]
	s_andn2_b64 s[4:5], s[4:5], exec
	s_and_b64 s[56:57], s[56:57], exec
	s_and_b64 s[54:55], s[58:59], exec
	s_or_b64 s[4:5], s[4:5], s[56:57]
	s_or_b64 exec, exec, s[52:53]
	s_mov_b64 s[56:57], s[8:9]
	s_and_saveexec_b64 s[52:53], s[4:5]
	s_cbranch_execz .LBB232_2041
.LBB232_2737:
	s_andn2_b64 s[54:55], s[54:55], exec
	s_or_b64 s[56:57], s[8:9], exec
	s_trap 2
	s_branch .LBB232_2041
.LBB232_2738:
	s_or_saveexec_b64 s[48:49], s[48:49]
	v_mov_b32_e32 v9, 0x7f800001
	s_xor_b64 exec, exec, s[48:49]
	s_cbranch_execz .LBB232_2495
.LBB232_2739:
	v_cmp_ne_u16_e64 s[4:5], 0, v10
	s_andn2_b64 s[46:47], s[46:47], exec
	s_and_b64 s[4:5], s[4:5], exec
	v_mov_b32_e32 v9, 0
	s_or_b64 s[46:47], s[46:47], s[4:5]
	s_or_b64 exec, exec, s[48:49]
	s_and_saveexec_b64 s[48:49], s[46:47]
	s_cbranch_execnz .LBB232_2496
	s_branch .LBB232_2497
.LBB232_2740:
	s_andn2_saveexec_b64 s[54:55], s[4:5]
	s_cbranch_execz .LBB232_1782
.LBB232_2741:
	v_add_f32_e32 v9, 0x46000000, v11
	v_and_b32_e32 v9, 0xff, v9
	v_cmp_ne_u32_e64 s[4:5], 0, v9
	s_andn2_b64 s[52:53], s[52:53], exec
	s_and_b64 s[4:5], s[4:5], exec
	s_or_b64 s[52:53], s[52:53], s[4:5]
	s_or_b64 exec, exec, s[54:55]
	v_mov_b32_e32 v12, 0
	s_and_saveexec_b64 s[4:5], s[52:53]
	s_cbranch_execnz .LBB232_1783
	s_branch .LBB232_1784
.LBB232_2742:
	s_andn2_saveexec_b64 s[60:61], s[6:7]
	s_cbranch_execz .LBB232_1866
.LBB232_2743:
	v_add_f32_e32 v6, 0x46000000, v7
	v_and_b32_e32 v6, 0xff, v6
	v_cmp_ne_u32_e64 s[6:7], 0, v6
	s_andn2_b64 s[58:59], s[58:59], exec
	s_and_b64 s[6:7], s[6:7], exec
	s_or_b64 s[58:59], s[58:59], s[6:7]
	s_or_b64 exec, exec, s[60:61]
	v_mov_b32_e32 v9, 0
	s_and_saveexec_b64 s[6:7], s[58:59]
	s_cbranch_execnz .LBB232_1867
	s_branch .LBB232_1868
.LBB232_2744:
	s_andn2_saveexec_b64 s[54:55], s[4:5]
	s_cbranch_execz .LBB232_2553
.LBB232_2745:
	v_add_f32_e32 v9, 0x42800000, v11
	v_and_b32_e32 v9, 0xff, v9
	v_cmp_ne_u32_e64 s[4:5], 0, v9
	s_andn2_b64 s[52:53], s[52:53], exec
	s_and_b64 s[4:5], s[4:5], exec
	s_or_b64 s[52:53], s[52:53], s[4:5]
	s_or_b64 exec, exec, s[54:55]
	v_mov_b32_e32 v12, 0
	s_and_saveexec_b64 s[4:5], s[52:53]
	s_cbranch_execnz .LBB232_2554
	s_branch .LBB232_2555
.LBB232_2746:
	s_andn2_saveexec_b64 s[64:65], s[6:7]
	s_cbranch_execz .LBB232_1950
.LBB232_2747:
	v_add_f32_e32 v6, 0x46000000, v7
	v_and_b32_e32 v6, 0xff, v6
	v_cmp_ne_u32_e64 s[6:7], 0, v6
	s_andn2_b64 s[62:63], s[62:63], exec
	s_and_b64 s[6:7], s[6:7], exec
	s_or_b64 s[62:63], s[62:63], s[6:7]
	s_or_b64 exec, exec, s[64:65]
	v_mov_b32_e32 v8, 0
	s_and_saveexec_b64 s[6:7], s[62:63]
	s_cbranch_execnz .LBB232_1951
	s_branch .LBB232_1952
.LBB232_2748:
	s_andn2_saveexec_b64 s[60:61], s[6:7]
	s_cbranch_execz .LBB232_2604
.LBB232_2749:
	v_add_f32_e32 v6, 0x42800000, v7
	v_and_b32_e32 v6, 0xff, v6
	v_cmp_ne_u32_e64 s[6:7], 0, v6
	s_andn2_b64 s[58:59], s[58:59], exec
	s_and_b64 s[6:7], s[6:7], exec
	s_or_b64 s[58:59], s[58:59], s[6:7]
	s_or_b64 exec, exec, s[60:61]
	v_mov_b32_e32 v9, 0
	s_and_saveexec_b64 s[6:7], s[58:59]
	s_cbranch_execnz .LBB232_2605
	s_branch .LBB232_2606
.LBB232_2750:
	s_andn2_saveexec_b64 s[64:65], s[64:65]
	s_cbranch_execz .LBB232_2034
.LBB232_2751:
	v_add_f32_e32 v2, 0x46000000, v3
	v_and_b32_e32 v2, 0xff, v2
	v_cmp_ne_u32_e32 vcc, 0, v2
	s_andn2_b64 s[62:63], s[62:63], exec
	s_and_b64 s[66:67], vcc, exec
	s_or_b64 s[62:63], s[62:63], s[66:67]
	s_or_b64 exec, exec, s[64:65]
	v_mov_b32_e32 v4, 0
	s_and_saveexec_b64 s[64:65], s[62:63]
	s_cbranch_execnz .LBB232_2035
	s_branch .LBB232_2036
.LBB232_2752:
	s_andn2_saveexec_b64 s[64:65], s[6:7]
	s_cbranch_execz .LBB232_2655
.LBB232_2753:
	v_add_f32_e32 v6, 0x42800000, v7
	v_and_b32_e32 v6, 0xff, v6
	v_cmp_ne_u32_e64 s[6:7], 0, v6
	s_andn2_b64 s[62:63], s[62:63], exec
	s_and_b64 s[6:7], s[6:7], exec
	s_or_b64 s[62:63], s[62:63], s[6:7]
	s_or_b64 exec, exec, s[64:65]
	v_mov_b32_e32 v8, 0
	s_and_saveexec_b64 s[6:7], s[62:63]
	s_cbranch_execnz .LBB232_2656
	s_branch .LBB232_2657
.LBB232_2754:
	s_andn2_saveexec_b64 s[64:65], s[64:65]
	s_cbranch_execz .LBB232_2702
.LBB232_2755:
	v_add_f32_e32 v2, 0x42800000, v3
	v_and_b32_e32 v2, 0xff, v2
	v_cmp_ne_u32_e32 vcc, 0, v2
	s_andn2_b64 s[62:63], s[62:63], exec
	s_and_b64 s[66:67], vcc, exec
	s_or_b64 s[62:63], s[62:63], s[66:67]
	s_or_b64 exec, exec, s[64:65]
	v_mov_b32_e32 v4, 0
	s_and_saveexec_b64 s[64:65], s[62:63]
	s_cbranch_execnz .LBB232_2703
	s_branch .LBB232_2704
	.section	.rodata,"a",@progbits
	.p2align	6, 0x0
	.amdhsa_kernel _ZN2at6native32elementwise_kernel_manual_unrollILi128ELi4EZNS0_15gpu_kernel_implINS0_13BinaryFunctorIN3c1011Float8_e5m2ES5_bNS0_12_GLOBAL__N_116CompareEqFunctorIS5_EEEEEEvRNS_18TensorIteratorBaseERKT_EUlibE_EEviT1_
		.amdhsa_group_segment_fixed_size 0
		.amdhsa_private_segment_fixed_size 64
		.amdhsa_kernarg_size 56
		.amdhsa_user_sgpr_count 8
		.amdhsa_user_sgpr_private_segment_buffer 1
		.amdhsa_user_sgpr_dispatch_ptr 0
		.amdhsa_user_sgpr_queue_ptr 0
		.amdhsa_user_sgpr_kernarg_segment_ptr 1
		.amdhsa_user_sgpr_dispatch_id 0
		.amdhsa_user_sgpr_flat_scratch_init 1
		.amdhsa_user_sgpr_private_segment_size 0
		.amdhsa_uses_dynamic_stack 0
		.amdhsa_system_sgpr_private_segment_wavefront_offset 1
		.amdhsa_system_sgpr_workgroup_id_x 1
		.amdhsa_system_sgpr_workgroup_id_y 0
		.amdhsa_system_sgpr_workgroup_id_z 0
		.amdhsa_system_sgpr_workgroup_info 0
		.amdhsa_system_vgpr_workitem_id 0
		.amdhsa_next_free_vgpr 26
		.amdhsa_next_free_sgpr 68
		.amdhsa_reserve_vcc 1
		.amdhsa_reserve_flat_scratch 1
		.amdhsa_float_round_mode_32 0
		.amdhsa_float_round_mode_16_64 0
		.amdhsa_float_denorm_mode_32 3
		.amdhsa_float_denorm_mode_16_64 3
		.amdhsa_dx10_clamp 1
		.amdhsa_ieee_mode 1
		.amdhsa_fp16_overflow 0
		.amdhsa_exception_fp_ieee_invalid_op 0
		.amdhsa_exception_fp_denorm_src 0
		.amdhsa_exception_fp_ieee_div_zero 0
		.amdhsa_exception_fp_ieee_overflow 0
		.amdhsa_exception_fp_ieee_underflow 0
		.amdhsa_exception_fp_ieee_inexact 0
		.amdhsa_exception_int_div_zero 0
	.end_amdhsa_kernel
	.section	.text._ZN2at6native32elementwise_kernel_manual_unrollILi128ELi4EZNS0_15gpu_kernel_implINS0_13BinaryFunctorIN3c1011Float8_e5m2ES5_bNS0_12_GLOBAL__N_116CompareEqFunctorIS5_EEEEEEvRNS_18TensorIteratorBaseERKT_EUlibE_EEviT1_,"axG",@progbits,_ZN2at6native32elementwise_kernel_manual_unrollILi128ELi4EZNS0_15gpu_kernel_implINS0_13BinaryFunctorIN3c1011Float8_e5m2ES5_bNS0_12_GLOBAL__N_116CompareEqFunctorIS5_EEEEEEvRNS_18TensorIteratorBaseERKT_EUlibE_EEviT1_,comdat
.Lfunc_end232:
	.size	_ZN2at6native32elementwise_kernel_manual_unrollILi128ELi4EZNS0_15gpu_kernel_implINS0_13BinaryFunctorIN3c1011Float8_e5m2ES5_bNS0_12_GLOBAL__N_116CompareEqFunctorIS5_EEEEEEvRNS_18TensorIteratorBaseERKT_EUlibE_EEviT1_, .Lfunc_end232-_ZN2at6native32elementwise_kernel_manual_unrollILi128ELi4EZNS0_15gpu_kernel_implINS0_13BinaryFunctorIN3c1011Float8_e5m2ES5_bNS0_12_GLOBAL__N_116CompareEqFunctorIS5_EEEEEEvRNS_18TensorIteratorBaseERKT_EUlibE_EEviT1_
                                        ; -- End function
	.set _ZN2at6native32elementwise_kernel_manual_unrollILi128ELi4EZNS0_15gpu_kernel_implINS0_13BinaryFunctorIN3c1011Float8_e5m2ES5_bNS0_12_GLOBAL__N_116CompareEqFunctorIS5_EEEEEEvRNS_18TensorIteratorBaseERKT_EUlibE_EEviT1_.num_vgpr, max(26, .L_ZN2at6native6invokeINS0_13BinaryFunctorIN3c1011Float8_e5m2ES4_bNS0_12_GLOBAL__N_116CompareEqFunctorIS4_EEEEi15function_traitsIS8_EEENT1_11result_typeERKT_PrKPcPKT0_PKNS3_10ScalarTypeEi.num_vgpr)
	.set _ZN2at6native32elementwise_kernel_manual_unrollILi128ELi4EZNS0_15gpu_kernel_implINS0_13BinaryFunctorIN3c1011Float8_e5m2ES5_bNS0_12_GLOBAL__N_116CompareEqFunctorIS5_EEEEEEvRNS_18TensorIteratorBaseERKT_EUlibE_EEviT1_.num_agpr, max(0, .L_ZN2at6native6invokeINS0_13BinaryFunctorIN3c1011Float8_e5m2ES4_bNS0_12_GLOBAL__N_116CompareEqFunctorIS4_EEEEi15function_traitsIS8_EEENT1_11result_typeERKT_PrKPcPKT0_PKNS3_10ScalarTypeEi.num_agpr)
	.set _ZN2at6native32elementwise_kernel_manual_unrollILi128ELi4EZNS0_15gpu_kernel_implINS0_13BinaryFunctorIN3c1011Float8_e5m2ES5_bNS0_12_GLOBAL__N_116CompareEqFunctorIS5_EEEEEEvRNS_18TensorIteratorBaseERKT_EUlibE_EEviT1_.numbered_sgpr, max(68, .L_ZN2at6native6invokeINS0_13BinaryFunctorIN3c1011Float8_e5m2ES4_bNS0_12_GLOBAL__N_116CompareEqFunctorIS4_EEEEi15function_traitsIS8_EEENT1_11result_typeERKT_PrKPcPKT0_PKNS3_10ScalarTypeEi.numbered_sgpr)
	.set _ZN2at6native32elementwise_kernel_manual_unrollILi128ELi4EZNS0_15gpu_kernel_implINS0_13BinaryFunctorIN3c1011Float8_e5m2ES5_bNS0_12_GLOBAL__N_116CompareEqFunctorIS5_EEEEEEvRNS_18TensorIteratorBaseERKT_EUlibE_EEviT1_.num_named_barrier, max(0, .L_ZN2at6native6invokeINS0_13BinaryFunctorIN3c1011Float8_e5m2ES4_bNS0_12_GLOBAL__N_116CompareEqFunctorIS4_EEEEi15function_traitsIS8_EEENT1_11result_typeERKT_PrKPcPKT0_PKNS3_10ScalarTypeEi.num_named_barrier)
	.set _ZN2at6native32elementwise_kernel_manual_unrollILi128ELi4EZNS0_15gpu_kernel_implINS0_13BinaryFunctorIN3c1011Float8_e5m2ES5_bNS0_12_GLOBAL__N_116CompareEqFunctorIS5_EEEEEEvRNS_18TensorIteratorBaseERKT_EUlibE_EEviT1_.private_seg_size, 64+max(.L_ZN2at6native6invokeINS0_13BinaryFunctorIN3c1011Float8_e5m2ES4_bNS0_12_GLOBAL__N_116CompareEqFunctorIS4_EEEEi15function_traitsIS8_EEENT1_11result_typeERKT_PrKPcPKT0_PKNS3_10ScalarTypeEi.private_seg_size)
	.set _ZN2at6native32elementwise_kernel_manual_unrollILi128ELi4EZNS0_15gpu_kernel_implINS0_13BinaryFunctorIN3c1011Float8_e5m2ES5_bNS0_12_GLOBAL__N_116CompareEqFunctorIS5_EEEEEEvRNS_18TensorIteratorBaseERKT_EUlibE_EEviT1_.uses_vcc, or(1, .L_ZN2at6native6invokeINS0_13BinaryFunctorIN3c1011Float8_e5m2ES4_bNS0_12_GLOBAL__N_116CompareEqFunctorIS4_EEEEi15function_traitsIS8_EEENT1_11result_typeERKT_PrKPcPKT0_PKNS3_10ScalarTypeEi.uses_vcc)
	.set _ZN2at6native32elementwise_kernel_manual_unrollILi128ELi4EZNS0_15gpu_kernel_implINS0_13BinaryFunctorIN3c1011Float8_e5m2ES5_bNS0_12_GLOBAL__N_116CompareEqFunctorIS5_EEEEEEvRNS_18TensorIteratorBaseERKT_EUlibE_EEviT1_.uses_flat_scratch, or(1, .L_ZN2at6native6invokeINS0_13BinaryFunctorIN3c1011Float8_e5m2ES4_bNS0_12_GLOBAL__N_116CompareEqFunctorIS4_EEEEi15function_traitsIS8_EEENT1_11result_typeERKT_PrKPcPKT0_PKNS3_10ScalarTypeEi.uses_flat_scratch)
	.set _ZN2at6native32elementwise_kernel_manual_unrollILi128ELi4EZNS0_15gpu_kernel_implINS0_13BinaryFunctorIN3c1011Float8_e5m2ES5_bNS0_12_GLOBAL__N_116CompareEqFunctorIS5_EEEEEEvRNS_18TensorIteratorBaseERKT_EUlibE_EEviT1_.has_dyn_sized_stack, or(0, .L_ZN2at6native6invokeINS0_13BinaryFunctorIN3c1011Float8_e5m2ES4_bNS0_12_GLOBAL__N_116CompareEqFunctorIS4_EEEEi15function_traitsIS8_EEENT1_11result_typeERKT_PrKPcPKT0_PKNS3_10ScalarTypeEi.has_dyn_sized_stack)
	.set _ZN2at6native32elementwise_kernel_manual_unrollILi128ELi4EZNS0_15gpu_kernel_implINS0_13BinaryFunctorIN3c1011Float8_e5m2ES5_bNS0_12_GLOBAL__N_116CompareEqFunctorIS5_EEEEEEvRNS_18TensorIteratorBaseERKT_EUlibE_EEviT1_.has_recursion, or(0, .L_ZN2at6native6invokeINS0_13BinaryFunctorIN3c1011Float8_e5m2ES4_bNS0_12_GLOBAL__N_116CompareEqFunctorIS4_EEEEi15function_traitsIS8_EEENT1_11result_typeERKT_PrKPcPKT0_PKNS3_10ScalarTypeEi.has_recursion)
	.set _ZN2at6native32elementwise_kernel_manual_unrollILi128ELi4EZNS0_15gpu_kernel_implINS0_13BinaryFunctorIN3c1011Float8_e5m2ES5_bNS0_12_GLOBAL__N_116CompareEqFunctorIS5_EEEEEEvRNS_18TensorIteratorBaseERKT_EUlibE_EEviT1_.has_indirect_call, or(0, .L_ZN2at6native6invokeINS0_13BinaryFunctorIN3c1011Float8_e5m2ES4_bNS0_12_GLOBAL__N_116CompareEqFunctorIS4_EEEEi15function_traitsIS8_EEENT1_11result_typeERKT_PrKPcPKT0_PKNS3_10ScalarTypeEi.has_indirect_call)
	.section	.AMDGPU.csdata,"",@progbits
; Kernel info:
; codeLenInByte = 56248
; TotalNumSgprs: 74
; NumVgprs: 26
; ScratchSize: 64
; MemoryBound: 0
; FloatMode: 240
; IeeeMode: 1
; LDSByteSize: 0 bytes/workgroup (compile time only)
; SGPRBlocks: 9
; VGPRBlocks: 6
; NumSGPRsForWavesPerEU: 74
; NumVGPRsForWavesPerEU: 26
; Occupancy: 9
; WaveLimiterHint : 1
; COMPUTE_PGM_RSRC2:SCRATCH_EN: 1
; COMPUTE_PGM_RSRC2:USER_SGPR: 8
; COMPUTE_PGM_RSRC2:TRAP_HANDLER: 0
; COMPUTE_PGM_RSRC2:TGID_X_EN: 1
; COMPUTE_PGM_RSRC2:TGID_Y_EN: 0
; COMPUTE_PGM_RSRC2:TGID_Z_EN: 0
; COMPUTE_PGM_RSRC2:TIDIG_COMP_CNT: 0
	.text
	.p2align	2                               ; -- Begin function _ZN2at6native6invokeINS0_13BinaryFunctorIN3c1011Float8_e5m2ES4_bNS0_12_GLOBAL__N_116CompareEqFunctorIS4_EEEEj15function_traitsIS8_EEENT1_11result_typeERKT_PrKPcPKT0_PKNS3_10ScalarTypeEi
	.type	_ZN2at6native6invokeINS0_13BinaryFunctorIN3c1011Float8_e5m2ES4_bNS0_12_GLOBAL__N_116CompareEqFunctorIS4_EEEEj15function_traitsIS8_EEENT1_11result_typeERKT_PrKPcPKT0_PKNS3_10ScalarTypeEi,@function
_ZN2at6native6invokeINS0_13BinaryFunctorIN3c1011Float8_e5m2ES4_bNS0_12_GLOBAL__N_116CompareEqFunctorIS4_EEEEj15function_traitsIS8_EEENT1_11result_typeERKT_PrKPcPKT0_PKNS3_10ScalarTypeEi: ; @_ZN2at6native6invokeINS0_13BinaryFunctorIN3c1011Float8_e5m2ES4_bNS0_12_GLOBAL__N_116CompareEqFunctorIS4_EEEEj15function_traitsIS8_EEENT1_11result_typeERKT_PrKPcPKT0_PKNS3_10ScalarTypeEi
; %bb.0:
	s_waitcnt vmcnt(0) expcnt(0) lgkmcnt(0)
	flat_load_dwordx2 v[7:8], v[1:2]
	flat_load_dword v9, v[3:4]
	flat_load_ubyte v10, v[5:6]
	s_mov_b64 s[10:11], 0
	s_mov_b64 s[4:5], 0
	s_waitcnt vmcnt(0) lgkmcnt(0)
	v_add_co_u32_e32 v7, vcc, v7, v9
	v_addc_co_u32_e32 v8, vcc, 0, v8, vcc
	v_cmp_lt_i16_e32 vcc, 10, v10
                                        ; implicit-def: $vgpr9
	s_and_saveexec_b64 s[6:7], vcc
	s_xor_b64 s[6:7], exec, s[6:7]
	s_cbranch_execz .LBB233_95
; %bb.1:
	v_cmp_lt_i16_e32 vcc, 25, v10
	s_mov_b64 s[12:13], 0
                                        ; implicit-def: $vgpr9
	s_and_saveexec_b64 s[8:9], vcc
	s_xor_b64 s[8:9], exec, s[8:9]
	s_cbranch_execz .LBB233_457
; %bb.2:
	v_cmp_lt_i16_e32 vcc, 28, v10
	s_mov_b64 s[14:15], 0
	;; [unrolled: 7-line block ×3, first 2 shown]
	s_mov_b64 s[18:19], 0
                                        ; implicit-def: $vgpr9
	s_and_saveexec_b64 s[12:13], vcc
	s_xor_b64 s[12:13], exec, s[12:13]
	s_cbranch_execz .LBB233_29
; %bb.4:
	v_cmp_lt_i16_e32 vcc, 45, v10
                                        ; implicit-def: $vgpr9
	s_and_saveexec_b64 s[18:19], vcc
	s_xor_b64 s[18:19], exec, s[18:19]
	s_cbranch_execz .LBB233_16
; %bb.5:
	v_cmp_eq_u16_e32 vcc, 46, v10
	s_mov_b64 s[20:21], -1
                                        ; implicit-def: $vgpr9
	s_and_saveexec_b64 s[14:15], vcc
	s_cbranch_execz .LBB233_15
; %bb.6:
	flat_load_dword v9, v[7:8]
	s_mov_b32 s16, 0x47800000
                                        ; implicit-def: $vgpr10
	s_waitcnt vmcnt(0) lgkmcnt(0)
	v_lshlrev_b32_e32 v9, 16, v9
	v_and_b32_e32 v11, 0x7fffffff, v9
	v_cmp_gt_u32_e32 vcc, s16, v11
	s_and_saveexec_b64 s[16:17], vcc
	s_xor_b64 s[16:17], exec, s[16:17]
	s_cbranch_execz .LBB233_12
; %bb.7:
	s_mov_b32 s20, 0x387fffff
	v_cmp_lt_u32_e32 vcc, s20, v11
                                        ; implicit-def: $vgpr10
	s_and_saveexec_b64 s[20:21], vcc
	s_xor_b64 s[20:21], exec, s[20:21]
; %bb.8:
	v_bfe_u32 v10, v9, 21, 1
	s_mov_b32 s22, 0x80fffff
	v_add3_u32 v10, v9, v10, s22
	v_lshrrev_b32_e32 v10, 21, v10
; %bb.9:
	s_andn2_saveexec_b64 s[20:21], s[20:21]
; %bb.10:
	s_mov_b32 s22, 0x43000000
	v_add_f32_e64 v10, |v9|, s22
; %bb.11:
	s_or_b64 exec, exec, s[20:21]
                                        ; implicit-def: $vgpr11
.LBB233_12:
	s_andn2_saveexec_b64 s[16:17], s[16:17]
; %bb.13:
	s_mov_b32 s20, 0x7f800000
	v_mov_b32_e32 v10, 0x7c
	v_mov_b32_e32 v12, 0x7f
	v_cmp_lt_u32_e32 vcc, s20, v11
	v_cndmask_b32_e32 v10, v10, v12, vcc
; %bb.14:
	s_or_b64 exec, exec, s[16:17]
	v_lshrrev_b32_e32 v9, 24, v9
	s_movk_i32 s20, 0x80
	s_mov_b64 s[16:17], exec
	v_and_or_b32 v9, v9, s20, v10
	s_xor_b64 s[20:21], exec, -1
.LBB233_15:
	s_or_b64 exec, exec, s[14:15]
	s_and_b64 s[16:17], s[16:17], exec
	s_and_b64 s[14:15], s[20:21], exec
                                        ; implicit-def: $vgpr10
.LBB233_16:
	s_andn2_saveexec_b64 s[18:19], s[18:19]
	s_cbranch_execz .LBB233_28
; %bb.17:
	v_cmp_eq_u16_e32 vcc, 44, v10
	s_mov_b64 s[22:23], -1
	s_mov_b64 s[24:25], s[16:17]
                                        ; implicit-def: $vgpr9
	s_and_saveexec_b64 s[20:21], vcc
	s_cbranch_execz .LBB233_27
; %bb.18:
	flat_load_ubyte v9, v[7:8]
	s_movk_i32 s22, 0xff
	v_mov_b32_e32 v10, 0x7f800001
	v_mov_b32_e32 v11, 0x400000
	s_waitcnt vmcnt(0) lgkmcnt(0)
	v_lshlrev_b32_e32 v12, 23, v9
	v_cmp_ne_u32_e32 vcc, s22, v9
	v_cndmask_b32_e32 v10, v10, v12, vcc
	v_cmp_ne_u32_e32 vcc, 0, v9
	v_cndmask_b32_e32 v10, v11, v10, vcc
	s_mov_b32 s22, 0x47800000
	v_cmp_gt_u32_e32 vcc, s22, v10
                                        ; implicit-def: $vgpr9
	s_and_saveexec_b64 s[22:23], vcc
	s_xor_b64 s[22:23], exec, s[22:23]
	s_cbranch_execz .LBB233_24
; %bb.19:
	s_mov_b32 s24, 0x387fffff
	v_cmp_lt_u32_e32 vcc, s24, v10
                                        ; implicit-def: $vgpr9
	s_and_saveexec_b64 s[24:25], vcc
	s_xor_b64 s[24:25], exec, s[24:25]
; %bb.20:
	v_bfe_u32 v9, v10, 21, 1
	s_mov_b32 s26, 0x80fffff
	v_add3_u32 v9, v10, v9, s26
	v_lshrrev_b32_e32 v9, 21, v9
                                        ; implicit-def: $vgpr10
; %bb.21:
	s_andn2_saveexec_b64 s[24:25], s[24:25]
; %bb.22:
	v_add_f32_e32 v9, 0x43000000, v10
; %bb.23:
	s_or_b64 exec, exec, s[24:25]
                                        ; implicit-def: $vgpr10
.LBB233_24:
	s_andn2_saveexec_b64 s[22:23], s[22:23]
; %bb.25:
	s_mov_b32 s24, 0x7f800000
	v_mov_b32_e32 v9, 0x7c
	v_mov_b32_e32 v11, 0x7f
	v_cmp_lt_u32_e32 vcc, s24, v10
	v_cndmask_b32_e32 v9, v9, v11, vcc
; %bb.26:
	s_or_b64 exec, exec, s[22:23]
	s_or_b64 s[24:25], s[16:17], exec
	s_xor_b64 s[22:23], exec, -1
.LBB233_27:
	s_or_b64 exec, exec, s[20:21]
	s_andn2_b64 s[16:17], s[16:17], exec
	s_and_b64 s[20:21], s[24:25], exec
	s_or_b64 s[16:17], s[16:17], s[20:21]
	s_andn2_b64 s[14:15], s[14:15], exec
	s_and_b64 s[20:21], s[22:23], exec
	s_or_b64 s[14:15], s[14:15], s[20:21]
.LBB233_28:
	s_or_b64 exec, exec, s[18:19]
	s_and_b64 s[18:19], s[16:17], exec
	s_and_b64 s[16:17], s[14:15], exec
                                        ; implicit-def: $vgpr10
.LBB233_29:
	s_andn2_saveexec_b64 s[12:13], s[12:13]
	s_cbranch_execz .LBB233_41
; %bb.30:
	v_cmp_eq_u16_e32 vcc, 29, v10
	s_mov_b64 s[20:21], -1
	s_mov_b64 s[22:23], s[18:19]
                                        ; implicit-def: $vgpr9
	s_and_saveexec_b64 s[14:15], vcc
	s_cbranch_execz .LBB233_40
; %bb.31:
	flat_load_dwordx2 v[9:10], v[7:8]
	s_mov_b32 s20, 0x47800000
	s_waitcnt vmcnt(0) lgkmcnt(0)
	v_ffbh_u32_e32 v11, v10
	v_min_u32_e32 v11, 32, v11
	v_lshlrev_b64 v[9:10], v11, v[9:10]
	v_min_u32_e32 v9, 1, v9
	v_or_b32_e32 v9, v10, v9
	v_cvt_f32_u32_e32 v9, v9
	v_sub_u32_e32 v10, 32, v11
	v_ldexp_f32 v10, v9, v10
	v_cmp_gt_u32_e32 vcc, s20, v10
                                        ; implicit-def: $vgpr9
	s_and_saveexec_b64 s[20:21], vcc
	s_xor_b64 s[20:21], exec, s[20:21]
	s_cbranch_execz .LBB233_37
; %bb.32:
	s_mov_b32 s22, 0x387fffff
	v_cmp_lt_u32_e32 vcc, s22, v10
                                        ; implicit-def: $vgpr9
	s_and_saveexec_b64 s[22:23], vcc
	s_xor_b64 s[22:23], exec, s[22:23]
; %bb.33:
	v_bfe_u32 v9, v10, 21, 1
	s_mov_b32 s24, 0x80fffff
	v_add3_u32 v9, v10, v9, s24
	v_lshrrev_b32_e32 v9, 21, v9
                                        ; implicit-def: $vgpr10
; %bb.34:
	s_andn2_saveexec_b64 s[22:23], s[22:23]
; %bb.35:
	v_add_f32_e32 v9, 0x43000000, v10
; %bb.36:
	s_or_b64 exec, exec, s[22:23]
                                        ; implicit-def: $vgpr10
.LBB233_37:
	s_andn2_saveexec_b64 s[20:21], s[20:21]
; %bb.38:
	s_mov_b32 s22, 0x7f800000
	v_mov_b32_e32 v9, 0x7c
	v_mov_b32_e32 v11, 0x7f
	v_cmp_lt_u32_e32 vcc, s22, v10
	v_cndmask_b32_e32 v9, v9, v11, vcc
; %bb.39:
	s_or_b64 exec, exec, s[20:21]
	s_or_b64 s[22:23], s[18:19], exec
	s_xor_b64 s[20:21], exec, -1
.LBB233_40:
	s_or_b64 exec, exec, s[14:15]
	s_andn2_b64 s[14:15], s[18:19], exec
	s_and_b64 s[18:19], s[22:23], exec
	s_or_b64 s[18:19], s[14:15], s[18:19]
	s_andn2_b64 s[14:15], s[16:17], exec
	s_and_b64 s[16:17], s[20:21], exec
	s_or_b64 s[16:17], s[14:15], s[16:17]
.LBB233_41:
	s_or_b64 exec, exec, s[12:13]
	s_and_b64 s[14:15], s[18:19], exec
	s_and_b64 s[12:13], s[16:17], exec
                                        ; implicit-def: $vgpr10
.LBB233_42:
	s_andn2_saveexec_b64 s[10:11], s[10:11]
	s_cbranch_execz .LBB233_82
; %bb.43:
	v_cmp_lt_i16_e32 vcc, 26, v10
                                        ; implicit-def: $vgpr9
	s_and_saveexec_b64 s[16:17], vcc
	s_xor_b64 s[16:17], exec, s[16:17]
	s_cbranch_execz .LBB233_65
; %bb.44:
	v_cmp_lt_i16_e32 vcc, 27, v10
                                        ; implicit-def: $vgpr9
	s_and_saveexec_b64 s[18:19], vcc
	s_xor_b64 s[18:19], exec, s[18:19]
	s_cbranch_execz .LBB233_54
; %bb.45:
	flat_load_dword v9, v[7:8]
	s_mov_b32 s20, 0x47800000
	s_waitcnt vmcnt(0) lgkmcnt(0)
	v_cvt_f32_u32_e32 v10, v9
                                        ; implicit-def: $vgpr9
	v_cmp_gt_u32_e32 vcc, s20, v10
	s_and_saveexec_b64 s[20:21], vcc
	s_xor_b64 s[20:21], exec, s[20:21]
	s_cbranch_execz .LBB233_51
; %bb.46:
	s_mov_b32 s22, 0x387fffff
	v_cmp_lt_u32_e32 vcc, s22, v10
                                        ; implicit-def: $vgpr9
	s_and_saveexec_b64 s[22:23], vcc
	s_xor_b64 s[22:23], exec, s[22:23]
; %bb.47:
	v_bfe_u32 v9, v10, 21, 1
	s_mov_b32 s24, 0x80fffff
	v_add3_u32 v9, v10, v9, s24
	v_lshrrev_b32_e32 v9, 21, v9
                                        ; implicit-def: $vgpr10
; %bb.48:
	s_andn2_saveexec_b64 s[22:23], s[22:23]
; %bb.49:
	v_add_f32_e32 v9, 0x43000000, v10
; %bb.50:
	s_or_b64 exec, exec, s[22:23]
                                        ; implicit-def: $vgpr10
.LBB233_51:
	s_andn2_saveexec_b64 s[20:21], s[20:21]
; %bb.52:
	s_mov_b32 s22, 0x7f800000
	v_mov_b32_e32 v9, 0x7c
	v_mov_b32_e32 v11, 0x7f
	v_cmp_lt_u32_e32 vcc, s22, v10
	v_cndmask_b32_e32 v9, v9, v11, vcc
; %bb.53:
	s_or_b64 exec, exec, s[20:21]
.LBB233_54:
	s_andn2_saveexec_b64 s[18:19], s[18:19]
	s_cbranch_execz .LBB233_64
; %bb.55:
	flat_load_ushort v9, v[7:8]
	s_mov_b32 s20, 0x47800000
	s_waitcnt vmcnt(0) lgkmcnt(0)
	v_cvt_f32_u32_e32 v10, v9
                                        ; implicit-def: $vgpr9
	v_cmp_gt_u32_e32 vcc, s20, v10
	s_and_saveexec_b64 s[20:21], vcc
	s_xor_b64 s[20:21], exec, s[20:21]
	s_cbranch_execz .LBB233_61
; %bb.56:
	s_mov_b32 s22, 0x387fffff
	v_cmp_lt_u32_e32 vcc, s22, v10
                                        ; implicit-def: $vgpr9
	s_and_saveexec_b64 s[22:23], vcc
	s_xor_b64 s[22:23], exec, s[22:23]
; %bb.57:
	v_bfe_u32 v9, v10, 21, 1
	s_mov_b32 s24, 0x80fffff
	v_add3_u32 v9, v10, v9, s24
	v_lshrrev_b32_e32 v9, 21, v9
                                        ; implicit-def: $vgpr10
; %bb.58:
	s_andn2_saveexec_b64 s[22:23], s[22:23]
; %bb.59:
	v_add_f32_e32 v9, 0x43000000, v10
; %bb.60:
	s_or_b64 exec, exec, s[22:23]
                                        ; implicit-def: $vgpr10
.LBB233_61:
	s_andn2_saveexec_b64 s[20:21], s[20:21]
; %bb.62:
	s_mov_b32 s22, 0x7f800000
	v_mov_b32_e32 v9, 0x7c
	v_mov_b32_e32 v11, 0x7f
	v_cmp_lt_u32_e32 vcc, s22, v10
	v_cndmask_b32_e32 v9, v9, v11, vcc
; %bb.63:
	s_or_b64 exec, exec, s[20:21]
.LBB233_64:
	s_or_b64 exec, exec, s[18:19]
.LBB233_65:
	s_andn2_saveexec_b64 s[16:17], s[16:17]
	s_cbranch_execz .LBB233_81
; %bb.66:
	flat_load_ubyte v10, v[7:8]
	s_movk_i32 s18, 0x7f
	s_waitcnt vmcnt(0) lgkmcnt(0)
	v_cmp_lt_i16_e32 vcc, s18, v10
	s_mov_b64 s[18:19], 0
	s_and_saveexec_b64 s[20:21], vcc
	s_xor_b64 s[20:21], exec, s[20:21]
	s_cbranch_execz .LBB233_559
; %bb.67:
	s_movk_i32 s18, 0x80
	v_cmp_eq_u16_e32 vcc, s18, v10
	s_mov_b64 s[18:19], -1
	s_and_saveexec_b64 s[22:23], vcc
; %bb.68:
	s_xor_b64 s[18:19], exec, -1
; %bb.69:
	s_or_b64 exec, exec, s[22:23]
	s_and_b64 s[18:19], s[18:19], exec
	s_or_saveexec_b64 s[20:21], s[20:21]
	v_mov_b32_e32 v9, 0x7f800001
	s_xor_b64 exec, exec, s[20:21]
	s_cbranch_execnz .LBB233_560
.LBB233_70:
	s_or_b64 exec, exec, s[20:21]
	s_and_saveexec_b64 s[20:21], s[18:19]
	s_cbranch_execz .LBB233_72
.LBB233_71:
	v_lshlrev_b32_e32 v9, 24, v10
	v_and_b32_e32 v10, 0xffff, v10
	v_and_b32_e32 v11, 7, v10
	v_ffbh_u32_e32 v13, v11
	v_min_u32_e32 v13, 32, v13
	v_subrev_u32_e32 v14, 28, v13
	v_bfe_u32 v12, v10, 3, 4
	v_lshlrev_b32_e32 v10, v14, v10
	v_sub_u32_e32 v13, 29, v13
	v_and_b32_e32 v10, 7, v10
	v_cmp_eq_u32_e32 vcc, 0, v12
	v_cndmask_b32_e32 v12, v12, v13, vcc
	v_cndmask_b32_e32 v10, v11, v10, vcc
	v_mov_b32_e32 v11, 0x3b800000
	v_lshlrev_b32_e32 v10, 20, v10
	v_and_b32_e32 v9, 0x80000000, v9
	v_lshl_add_u32 v11, v12, 23, v11
	v_or3_b32 v9, v9, v11, v10
.LBB233_72:
	s_or_b64 exec, exec, s[20:21]
	v_and_b32_e32 v11, 0x7fffffff, v9
	s_mov_b32 s18, 0x47800000
	v_cmp_gt_u32_e32 vcc, s18, v11
                                        ; implicit-def: $vgpr10
	s_and_saveexec_b64 s[18:19], vcc
	s_xor_b64 s[18:19], exec, s[18:19]
	s_cbranch_execz .LBB233_78
; %bb.73:
	s_mov_b32 s20, 0x387fffff
	v_cmp_lt_u32_e32 vcc, s20, v11
                                        ; implicit-def: $vgpr10
	s_and_saveexec_b64 s[20:21], vcc
	s_xor_b64 s[20:21], exec, s[20:21]
; %bb.74:
	v_bfe_u32 v10, v9, 21, 1
	s_mov_b32 s22, 0x80fffff
	v_add3_u32 v10, v9, v10, s22
	v_lshrrev_b32_e32 v10, 21, v10
; %bb.75:
	s_andn2_saveexec_b64 s[20:21], s[20:21]
; %bb.76:
	s_mov_b32 s22, 0x43000000
	v_add_f32_e64 v10, |v9|, s22
; %bb.77:
	s_or_b64 exec, exec, s[20:21]
                                        ; implicit-def: $vgpr11
.LBB233_78:
	s_andn2_saveexec_b64 s[18:19], s[18:19]
; %bb.79:
	s_mov_b32 s20, 0x7f800000
	v_mov_b32_e32 v10, 0x7c
	v_mov_b32_e32 v12, 0x7f
	v_cmp_lt_u32_e32 vcc, s20, v11
	v_cndmask_b32_e32 v10, v10, v12, vcc
; %bb.80:
	s_or_b64 exec, exec, s[18:19]
	v_lshrrev_b32_e32 v9, 24, v9
	s_movk_i32 s18, 0x80
	v_and_or_b32 v9, v9, s18, v10
.LBB233_81:
	s_or_b64 exec, exec, s[16:17]
	s_or_b64 s[14:15], s[14:15], exec
.LBB233_82:
	s_or_b64 exec, exec, s[10:11]
	s_and_b64 s[10:11], s[14:15], exec
	s_and_b64 s[12:13], s[12:13], exec
                                        ; implicit-def: $vgpr10
	s_andn2_saveexec_b64 s[8:9], s[8:9]
	s_cbranch_execnz .LBB233_458
.LBB233_83:
	s_or_b64 exec, exec, s[8:9]
	s_mov_b64 s[8:9], 0
	s_and_saveexec_b64 s[14:15], s[12:13]
	s_cbranch_execnz .LBB233_507
.LBB233_84:
	s_or_b64 exec, exec, s[14:15]
	s_and_saveexec_b64 s[12:13], s[4:5]
	s_cbranch_execz .LBB233_94
.LBB233_85:
	flat_load_ubyte v7, v[7:8]
	s_mov_b32 s4, 0x47800000
                                        ; implicit-def: $vgpr9
	s_waitcnt vmcnt(0) lgkmcnt(0)
	v_cmp_ne_u16_e32 vcc, 0, v7
	v_cndmask_b32_e64 v7, 0, 1.0, vcc
	v_cmp_gt_u32_e32 vcc, s4, v7
	s_and_saveexec_b64 s[4:5], vcc
	s_xor_b64 s[4:5], exec, s[4:5]
	s_cbranch_execz .LBB233_91
; %bb.86:
	s_mov_b32 s14, 0x387fffff
	v_cmp_lt_u32_e32 vcc, s14, v7
                                        ; implicit-def: $vgpr9
	s_and_saveexec_b64 s[14:15], vcc
	s_xor_b64 s[14:15], exec, s[14:15]
; %bb.87:
	v_bfe_u32 v8, v7, 21, 1
	s_mov_b32 s16, 0x80fffff
	v_add3_u32 v7, v7, v8, s16
	v_lshrrev_b32_e32 v9, 21, v7
                                        ; implicit-def: $vgpr7
; %bb.88:
	s_andn2_saveexec_b64 s[14:15], s[14:15]
; %bb.89:
	v_add_f32_e32 v9, 0x43000000, v7
; %bb.90:
	s_or_b64 exec, exec, s[14:15]
                                        ; implicit-def: $vgpr7
.LBB233_91:
	s_andn2_saveexec_b64 s[4:5], s[4:5]
; %bb.92:
	s_mov_b32 s14, 0x7f800000
	v_mov_b32_e32 v8, 0x7c
	v_mov_b32_e32 v9, 0x7f
	v_cmp_lt_u32_e32 vcc, s14, v7
	v_cndmask_b32_e32 v9, v8, v9, vcc
; %bb.93:
	s_or_b64 exec, exec, s[4:5]
	s_or_b64 s[10:11], s[10:11], exec
.LBB233_94:
	s_or_b64 exec, exec, s[12:13]
	s_and_b64 s[4:5], s[8:9], exec
	s_and_b64 s[10:11], s[10:11], exec
                                        ; implicit-def: $vgpr10
                                        ; implicit-def: $vgpr7_vgpr8
.LBB233_95:
	s_andn2_saveexec_b64 s[6:7], s[6:7]
	s_cbranch_execz .LBB233_225
; %bb.96:
	v_cmp_lt_i16_e32 vcc, 4, v10
                                        ; implicit-def: $vgpr9
	s_and_saveexec_b64 s[8:9], vcc
	s_xor_b64 s[8:9], exec, s[8:9]
	s_cbranch_execz .LBB233_166
; %bb.97:
	v_cmp_lt_i16_e32 vcc, 7, v10
                                        ; implicit-def: $vgpr9
	s_and_saveexec_b64 s[12:13], vcc
	s_xor_b64 s[12:13], exec, s[12:13]
	;; [unrolled: 6-line block ×4, first 2 shown]
	s_cbranch_execz .LBB233_109
; %bb.100:
	flat_load_dwordx2 v[7:8], v[7:8]
	s_mov_b32 s18, 0x47800000
	s_waitcnt vmcnt(0) lgkmcnt(0)
	v_cvt_f32_f64_e32 v7, v[7:8]
                                        ; implicit-def: $vgpr8
	v_and_b32_e32 v9, 0x7fffffff, v7
	v_cmp_gt_u32_e32 vcc, s18, v9
	s_and_saveexec_b64 s[18:19], vcc
	s_xor_b64 s[18:19], exec, s[18:19]
	s_cbranch_execz .LBB233_106
; %bb.101:
	s_mov_b32 s20, 0x387fffff
	v_cmp_lt_u32_e32 vcc, s20, v9
                                        ; implicit-def: $vgpr8
	s_and_saveexec_b64 s[20:21], vcc
	s_xor_b64 s[20:21], exec, s[20:21]
; %bb.102:
	v_bfe_u32 v8, v7, 21, 1
	s_mov_b32 s22, 0x80fffff
	v_add3_u32 v8, v7, v8, s22
	v_lshrrev_b32_e32 v8, 21, v8
; %bb.103:
	s_andn2_saveexec_b64 s[20:21], s[20:21]
; %bb.104:
	s_mov_b32 s22, 0x43000000
	v_add_f32_e64 v8, |v7|, s22
; %bb.105:
	s_or_b64 exec, exec, s[20:21]
                                        ; implicit-def: $vgpr9
.LBB233_106:
	s_andn2_saveexec_b64 s[18:19], s[18:19]
; %bb.107:
	s_mov_b32 s20, 0x7f800000
	v_mov_b32_e32 v8, 0x7c
	v_mov_b32_e32 v10, 0x7f
	v_cmp_lt_u32_e32 vcc, s20, v9
	v_cndmask_b32_e32 v8, v8, v10, vcc
; %bb.108:
	s_or_b64 exec, exec, s[18:19]
	v_lshrrev_b32_e32 v7, 24, v7
	s_movk_i32 s18, 0x80
	v_and_or_b32 v9, v7, s18, v8
                                        ; implicit-def: $vgpr7_vgpr8
.LBB233_109:
	s_andn2_saveexec_b64 s[16:17], s[16:17]
	s_cbranch_execz .LBB233_119
; %bb.110:
	flat_load_dword v7, v[7:8]
	s_mov_b32 s18, 0x47800000
                                        ; implicit-def: $vgpr8
	s_waitcnt vmcnt(0) lgkmcnt(0)
	v_and_b32_e32 v9, 0x7fffffff, v7
	v_cmp_gt_u32_e32 vcc, s18, v9
	s_and_saveexec_b64 s[18:19], vcc
	s_xor_b64 s[18:19], exec, s[18:19]
	s_cbranch_execz .LBB233_116
; %bb.111:
	s_mov_b32 s20, 0x387fffff
	v_cmp_lt_u32_e32 vcc, s20, v9
                                        ; implicit-def: $vgpr8
	s_and_saveexec_b64 s[20:21], vcc
	s_xor_b64 s[20:21], exec, s[20:21]
; %bb.112:
	v_bfe_u32 v8, v7, 21, 1
	s_mov_b32 s22, 0x80fffff
	v_add3_u32 v8, v7, v8, s22
	v_lshrrev_b32_e32 v8, 21, v8
; %bb.113:
	s_andn2_saveexec_b64 s[20:21], s[20:21]
; %bb.114:
	s_mov_b32 s22, 0x43000000
	v_add_f32_e64 v8, |v7|, s22
; %bb.115:
	s_or_b64 exec, exec, s[20:21]
                                        ; implicit-def: $vgpr9
.LBB233_116:
	s_andn2_saveexec_b64 s[18:19], s[18:19]
; %bb.117:
	s_mov_b32 s20, 0x7f800000
	v_mov_b32_e32 v8, 0x7c
	v_mov_b32_e32 v10, 0x7f
	v_cmp_lt_u32_e32 vcc, s20, v9
	v_cndmask_b32_e32 v8, v8, v10, vcc
; %bb.118:
	s_or_b64 exec, exec, s[18:19]
	v_lshrrev_b32_e32 v7, 24, v7
	s_movk_i32 s18, 0x80
	v_and_or_b32 v9, v7, s18, v8
.LBB233_119:
	s_or_b64 exec, exec, s[16:17]
                                        ; implicit-def: $vgpr7_vgpr8
.LBB233_120:
	s_andn2_saveexec_b64 s[14:15], s[14:15]
	s_cbranch_execz .LBB233_130
; %bb.121:
	flat_load_dword v7, v[7:8]
	s_mov_b32 s16, 0x47800000
                                        ; implicit-def: $vgpr8
	s_waitcnt vmcnt(0) lgkmcnt(0)
	v_cvt_f32_f16_e32 v7, v7
	v_and_b32_e32 v9, 0x7fffffff, v7
	v_cmp_gt_u32_e32 vcc, s16, v9
	s_and_saveexec_b64 s[16:17], vcc
	s_xor_b64 s[16:17], exec, s[16:17]
	s_cbranch_execz .LBB233_127
; %bb.122:
	s_mov_b32 s18, 0x387fffff
	v_cmp_lt_u32_e32 vcc, s18, v9
                                        ; implicit-def: $vgpr8
	s_and_saveexec_b64 s[18:19], vcc
	s_xor_b64 s[18:19], exec, s[18:19]
; %bb.123:
	v_bfe_u32 v8, v7, 21, 1
	s_mov_b32 s20, 0x80fffff
	v_add3_u32 v8, v7, v8, s20
	v_lshrrev_b32_e32 v8, 21, v8
; %bb.124:
	s_andn2_saveexec_b64 s[18:19], s[18:19]
; %bb.125:
	s_mov_b32 s20, 0x43000000
	v_add_f32_e64 v8, |v7|, s20
; %bb.126:
	s_or_b64 exec, exec, s[18:19]
                                        ; implicit-def: $vgpr9
.LBB233_127:
	s_andn2_saveexec_b64 s[16:17], s[16:17]
; %bb.128:
	s_mov_b32 s18, 0x7f800000
	v_mov_b32_e32 v8, 0x7c
	v_mov_b32_e32 v10, 0x7f
	v_cmp_lt_u32_e32 vcc, s18, v9
	v_cndmask_b32_e32 v8, v8, v10, vcc
; %bb.129:
	s_or_b64 exec, exec, s[16:17]
	v_lshrrev_b32_e32 v7, 24, v7
	s_movk_i32 s16, 0x80
	v_and_or_b32 v9, v7, s16, v8
.LBB233_130:
	s_or_b64 exec, exec, s[14:15]
                                        ; implicit-def: $vgpr10
                                        ; implicit-def: $vgpr7_vgpr8
.LBB233_131:
	s_andn2_saveexec_b64 s[12:13], s[12:13]
	s_cbranch_execz .LBB233_165
; %bb.132:
	v_cmp_lt_i16_e32 vcc, 5, v10
                                        ; implicit-def: $vgpr9
	s_and_saveexec_b64 s[14:15], vcc
	s_xor_b64 s[14:15], exec, s[14:15]
	s_cbranch_execz .LBB233_154
; %bb.133:
	v_cmp_lt_i16_e32 vcc, 6, v10
                                        ; implicit-def: $vgpr9
	s_and_saveexec_b64 s[16:17], vcc
	s_xor_b64 s[16:17], exec, s[16:17]
	s_cbranch_execz .LBB233_143
; %bb.134:
	flat_load_dwordx2 v[7:8], v[7:8]
	s_mov_b32 s18, 0x47800000
	s_waitcnt vmcnt(0) lgkmcnt(0)
	v_cvt_f32_f64_e32 v7, v[7:8]
                                        ; implicit-def: $vgpr8
	v_and_b32_e32 v9, 0x7fffffff, v7
	v_cmp_gt_u32_e32 vcc, s18, v9
	s_and_saveexec_b64 s[18:19], vcc
	s_xor_b64 s[18:19], exec, s[18:19]
	s_cbranch_execz .LBB233_140
; %bb.135:
	s_mov_b32 s20, 0x387fffff
	v_cmp_lt_u32_e32 vcc, s20, v9
                                        ; implicit-def: $vgpr8
	s_and_saveexec_b64 s[20:21], vcc
	s_xor_b64 s[20:21], exec, s[20:21]
; %bb.136:
	v_bfe_u32 v8, v7, 21, 1
	s_mov_b32 s22, 0x80fffff
	v_add3_u32 v8, v7, v8, s22
	v_lshrrev_b32_e32 v8, 21, v8
; %bb.137:
	s_andn2_saveexec_b64 s[20:21], s[20:21]
; %bb.138:
	s_mov_b32 s22, 0x43000000
	v_add_f32_e64 v8, |v7|, s22
; %bb.139:
	s_or_b64 exec, exec, s[20:21]
                                        ; implicit-def: $vgpr9
.LBB233_140:
	s_andn2_saveexec_b64 s[18:19], s[18:19]
; %bb.141:
	s_mov_b32 s20, 0x7f800000
	v_mov_b32_e32 v8, 0x7c
	v_mov_b32_e32 v10, 0x7f
	v_cmp_lt_u32_e32 vcc, s20, v9
	v_cndmask_b32_e32 v8, v8, v10, vcc
; %bb.142:
	s_or_b64 exec, exec, s[18:19]
	v_lshrrev_b32_e32 v7, 24, v7
	s_movk_i32 s18, 0x80
	v_and_or_b32 v9, v7, s18, v8
                                        ; implicit-def: $vgpr7_vgpr8
.LBB233_143:
	s_andn2_saveexec_b64 s[16:17], s[16:17]
	s_cbranch_execz .LBB233_153
; %bb.144:
	flat_load_dword v7, v[7:8]
	s_mov_b32 s18, 0x47800000
                                        ; implicit-def: $vgpr8
	s_waitcnt vmcnt(0) lgkmcnt(0)
	v_and_b32_e32 v9, 0x7fffffff, v7
	v_cmp_gt_u32_e32 vcc, s18, v9
	s_and_saveexec_b64 s[18:19], vcc
	s_xor_b64 s[18:19], exec, s[18:19]
	s_cbranch_execz .LBB233_150
; %bb.145:
	s_mov_b32 s20, 0x387fffff
	v_cmp_lt_u32_e32 vcc, s20, v9
                                        ; implicit-def: $vgpr8
	s_and_saveexec_b64 s[20:21], vcc
	s_xor_b64 s[20:21], exec, s[20:21]
; %bb.146:
	v_bfe_u32 v8, v7, 21, 1
	s_mov_b32 s22, 0x80fffff
	v_add3_u32 v8, v7, v8, s22
	v_lshrrev_b32_e32 v8, 21, v8
; %bb.147:
	s_andn2_saveexec_b64 s[20:21], s[20:21]
; %bb.148:
	s_mov_b32 s22, 0x43000000
	v_add_f32_e64 v8, |v7|, s22
; %bb.149:
	s_or_b64 exec, exec, s[20:21]
                                        ; implicit-def: $vgpr9
.LBB233_150:
	s_andn2_saveexec_b64 s[18:19], s[18:19]
; %bb.151:
	s_mov_b32 s20, 0x7f800000
	v_mov_b32_e32 v8, 0x7c
	v_mov_b32_e32 v10, 0x7f
	v_cmp_lt_u32_e32 vcc, s20, v9
	v_cndmask_b32_e32 v8, v8, v10, vcc
; %bb.152:
	s_or_b64 exec, exec, s[18:19]
	v_lshrrev_b32_e32 v7, 24, v7
	s_movk_i32 s18, 0x80
	v_and_or_b32 v9, v7, s18, v8
.LBB233_153:
	s_or_b64 exec, exec, s[16:17]
                                        ; implicit-def: $vgpr7_vgpr8
.LBB233_154:
	s_andn2_saveexec_b64 s[14:15], s[14:15]
	s_cbranch_execz .LBB233_164
; %bb.155:
	flat_load_ushort v7, v[7:8]
	s_mov_b32 s16, 0x47800000
                                        ; implicit-def: $vgpr8
	s_waitcnt vmcnt(0) lgkmcnt(0)
	v_cvt_f32_f16_e32 v7, v7
	v_and_b32_e32 v9, 0x7fffffff, v7
	v_cmp_gt_u32_e32 vcc, s16, v9
	s_and_saveexec_b64 s[16:17], vcc
	s_xor_b64 s[16:17], exec, s[16:17]
	s_cbranch_execz .LBB233_161
; %bb.156:
	s_mov_b32 s18, 0x387fffff
	v_cmp_lt_u32_e32 vcc, s18, v9
                                        ; implicit-def: $vgpr8
	s_and_saveexec_b64 s[18:19], vcc
	s_xor_b64 s[18:19], exec, s[18:19]
; %bb.157:
	v_bfe_u32 v8, v7, 21, 1
	s_mov_b32 s20, 0x80fffff
	v_add3_u32 v8, v7, v8, s20
	v_lshrrev_b32_e32 v8, 21, v8
; %bb.158:
	s_andn2_saveexec_b64 s[18:19], s[18:19]
; %bb.159:
	s_mov_b32 s20, 0x43000000
	v_add_f32_e64 v8, |v7|, s20
; %bb.160:
	s_or_b64 exec, exec, s[18:19]
                                        ; implicit-def: $vgpr9
.LBB233_161:
	s_andn2_saveexec_b64 s[16:17], s[16:17]
; %bb.162:
	s_mov_b32 s18, 0x7f800000
	v_mov_b32_e32 v8, 0x7c
	v_mov_b32_e32 v10, 0x7f
	v_cmp_lt_u32_e32 vcc, s18, v9
	v_cndmask_b32_e32 v8, v8, v10, vcc
; %bb.163:
	s_or_b64 exec, exec, s[16:17]
	v_lshrrev_b32_e32 v7, 24, v7
	s_movk_i32 s16, 0x80
	v_and_or_b32 v9, v7, s16, v8
.LBB233_164:
	s_or_b64 exec, exec, s[14:15]
.LBB233_165:
	s_or_b64 exec, exec, s[12:13]
                                        ; implicit-def: $vgpr10
                                        ; implicit-def: $vgpr7_vgpr8
.LBB233_166:
	s_andn2_saveexec_b64 s[8:9], s[8:9]
	s_cbranch_execz .LBB233_224
; %bb.167:
	v_cmp_lt_i16_e32 vcc, 1, v10
                                        ; implicit-def: $vgpr9
	s_and_saveexec_b64 s[12:13], vcc
	s_xor_b64 s[12:13], exec, s[12:13]
	s_cbranch_execz .LBB233_201
; %bb.168:
	v_cmp_lt_i16_e32 vcc, 2, v10
                                        ; implicit-def: $vgpr9
	s_and_saveexec_b64 s[14:15], vcc
	s_xor_b64 s[14:15], exec, s[14:15]
	;; [unrolled: 6-line block ×3, first 2 shown]
	s_cbranch_execz .LBB233_179
; %bb.170:
	flat_load_dwordx2 v[7:8], v[7:8]
	s_mov_b32 s18, 0x47800000
	s_waitcnt vmcnt(0) lgkmcnt(0)
	v_xor_b32_e32 v10, v7, v8
	v_ffbh_i32_e32 v9, v8
	v_ashrrev_i32_e32 v10, 31, v10
	v_add_u32_e32 v9, -1, v9
	v_add_u32_e32 v10, 32, v10
	v_min_u32_e32 v9, v9, v10
	v_lshlrev_b64 v[7:8], v9, v[7:8]
	v_min_u32_e32 v7, 1, v7
	v_or_b32_e32 v7, v8, v7
	v_cvt_f32_i32_e32 v7, v7
	v_sub_u32_e32 v8, 32, v9
	v_ldexp_f32 v7, v7, v8
	v_and_b32_e32 v9, 0x7fffffff, v7
	v_cmp_gt_u32_e32 vcc, s18, v9
                                        ; implicit-def: $vgpr8
	s_and_saveexec_b64 s[18:19], vcc
	s_xor_b64 s[18:19], exec, s[18:19]
	s_cbranch_execz .LBB233_176
; %bb.171:
	s_mov_b32 s20, 0x387fffff
	v_cmp_lt_u32_e32 vcc, s20, v9
                                        ; implicit-def: $vgpr8
	s_and_saveexec_b64 s[20:21], vcc
	s_xor_b64 s[20:21], exec, s[20:21]
; %bb.172:
	v_bfe_u32 v8, v7, 21, 1
	s_mov_b32 s22, 0x80fffff
	v_add3_u32 v8, v7, v8, s22
	v_lshrrev_b32_e32 v8, 21, v8
; %bb.173:
	s_andn2_saveexec_b64 s[20:21], s[20:21]
; %bb.174:
	s_mov_b32 s22, 0x43000000
	v_add_f32_e64 v8, |v7|, s22
; %bb.175:
	s_or_b64 exec, exec, s[20:21]
                                        ; implicit-def: $vgpr9
.LBB233_176:
	s_andn2_saveexec_b64 s[18:19], s[18:19]
; %bb.177:
	s_mov_b32 s20, 0x7f800000
	v_mov_b32_e32 v8, 0x7c
	v_mov_b32_e32 v10, 0x7f
	v_cmp_lt_u32_e32 vcc, s20, v9
	v_cndmask_b32_e32 v8, v8, v10, vcc
; %bb.178:
	s_or_b64 exec, exec, s[18:19]
	v_lshrrev_b32_e32 v7, 24, v7
	s_movk_i32 s18, 0x80
	v_and_or_b32 v9, v7, s18, v8
                                        ; implicit-def: $vgpr7_vgpr8
.LBB233_179:
	s_andn2_saveexec_b64 s[16:17], s[16:17]
	s_cbranch_execz .LBB233_189
; %bb.180:
	flat_load_dword v7, v[7:8]
	s_mov_b32 s18, 0x47800000
                                        ; implicit-def: $vgpr8
	s_waitcnt vmcnt(0) lgkmcnt(0)
	v_cvt_f32_i32_e32 v7, v7
	v_and_b32_e32 v9, 0x7fffffff, v7
	v_cmp_gt_u32_e32 vcc, s18, v9
	s_and_saveexec_b64 s[18:19], vcc
	s_xor_b64 s[18:19], exec, s[18:19]
	s_cbranch_execz .LBB233_186
; %bb.181:
	s_mov_b32 s20, 0x387fffff
	v_cmp_lt_u32_e32 vcc, s20, v9
                                        ; implicit-def: $vgpr8
	s_and_saveexec_b64 s[20:21], vcc
	s_xor_b64 s[20:21], exec, s[20:21]
; %bb.182:
	v_bfe_u32 v8, v7, 21, 1
	s_mov_b32 s22, 0x80fffff
	v_add3_u32 v8, v7, v8, s22
	v_lshrrev_b32_e32 v8, 21, v8
; %bb.183:
	s_andn2_saveexec_b64 s[20:21], s[20:21]
; %bb.184:
	s_mov_b32 s22, 0x43000000
	v_add_f32_e64 v8, |v7|, s22
; %bb.185:
	s_or_b64 exec, exec, s[20:21]
                                        ; implicit-def: $vgpr9
.LBB233_186:
	s_andn2_saveexec_b64 s[18:19], s[18:19]
; %bb.187:
	s_mov_b32 s20, 0x7f800000
	v_mov_b32_e32 v8, 0x7c
	v_mov_b32_e32 v10, 0x7f
	v_cmp_lt_u32_e32 vcc, s20, v9
	v_cndmask_b32_e32 v8, v8, v10, vcc
; %bb.188:
	s_or_b64 exec, exec, s[18:19]
	v_lshrrev_b32_e32 v7, 24, v7
	s_movk_i32 s18, 0x80
	v_and_or_b32 v9, v7, s18, v8
.LBB233_189:
	s_or_b64 exec, exec, s[16:17]
                                        ; implicit-def: $vgpr7_vgpr8
.LBB233_190:
	s_andn2_saveexec_b64 s[14:15], s[14:15]
	s_cbranch_execz .LBB233_200
; %bb.191:
	flat_load_sshort v7, v[7:8]
	s_mov_b32 s16, 0x47800000
                                        ; implicit-def: $vgpr8
	s_waitcnt vmcnt(0) lgkmcnt(0)
	v_cvt_f32_i32_e32 v7, v7
	v_and_b32_e32 v9, 0x7fffffff, v7
	v_cmp_gt_u32_e32 vcc, s16, v9
	s_and_saveexec_b64 s[16:17], vcc
	s_xor_b64 s[16:17], exec, s[16:17]
	s_cbranch_execz .LBB233_197
; %bb.192:
	s_mov_b32 s18, 0x387fffff
	v_cmp_lt_u32_e32 vcc, s18, v9
                                        ; implicit-def: $vgpr8
	s_and_saveexec_b64 s[18:19], vcc
	s_xor_b64 s[18:19], exec, s[18:19]
; %bb.193:
	v_bfe_u32 v8, v7, 21, 1
	s_mov_b32 s20, 0x80fffff
	v_add3_u32 v8, v7, v8, s20
	v_lshrrev_b32_e32 v8, 21, v8
; %bb.194:
	s_andn2_saveexec_b64 s[18:19], s[18:19]
; %bb.195:
	s_mov_b32 s20, 0x43000000
	v_add_f32_e64 v8, |v7|, s20
; %bb.196:
	s_or_b64 exec, exec, s[18:19]
                                        ; implicit-def: $vgpr9
.LBB233_197:
	s_andn2_saveexec_b64 s[16:17], s[16:17]
; %bb.198:
	s_mov_b32 s18, 0x7f800000
	v_mov_b32_e32 v8, 0x7c
	v_mov_b32_e32 v10, 0x7f
	v_cmp_lt_u32_e32 vcc, s18, v9
	v_cndmask_b32_e32 v8, v8, v10, vcc
; %bb.199:
	s_or_b64 exec, exec, s[16:17]
	v_lshrrev_b32_e32 v7, 24, v7
	s_movk_i32 s16, 0x80
	v_and_or_b32 v9, v7, s16, v8
.LBB233_200:
	s_or_b64 exec, exec, s[14:15]
                                        ; implicit-def: $vgpr10
                                        ; implicit-def: $vgpr7_vgpr8
.LBB233_201:
	s_andn2_saveexec_b64 s[12:13], s[12:13]
	s_cbranch_execz .LBB233_223
; %bb.202:
	v_cmp_lt_i16_e32 vcc, 0, v10
                                        ; implicit-def: $vgpr9
	s_and_saveexec_b64 s[14:15], vcc
	s_xor_b64 s[14:15], exec, s[14:15]
	s_cbranch_execz .LBB233_212
; %bb.203:
	flat_load_sbyte v7, v[7:8]
	s_mov_b32 s16, 0x47800000
                                        ; implicit-def: $vgpr8
	s_waitcnt vmcnt(0) lgkmcnt(0)
	v_cvt_f32_i32_e32 v7, v7
	v_and_b32_e32 v9, 0x7fffffff, v7
	v_cmp_gt_u32_e32 vcc, s16, v9
	s_and_saveexec_b64 s[16:17], vcc
	s_xor_b64 s[16:17], exec, s[16:17]
	s_cbranch_execz .LBB233_209
; %bb.204:
	s_mov_b32 s18, 0x387fffff
	v_cmp_lt_u32_e32 vcc, s18, v9
                                        ; implicit-def: $vgpr8
	s_and_saveexec_b64 s[18:19], vcc
	s_xor_b64 s[18:19], exec, s[18:19]
; %bb.205:
	v_bfe_u32 v8, v7, 21, 1
	s_mov_b32 s20, 0x80fffff
	v_add3_u32 v8, v7, v8, s20
	v_lshrrev_b32_e32 v8, 21, v8
; %bb.206:
	s_andn2_saveexec_b64 s[18:19], s[18:19]
; %bb.207:
	s_mov_b32 s20, 0x43000000
	v_add_f32_e64 v8, |v7|, s20
; %bb.208:
	s_or_b64 exec, exec, s[18:19]
                                        ; implicit-def: $vgpr9
.LBB233_209:
	s_andn2_saveexec_b64 s[16:17], s[16:17]
; %bb.210:
	s_mov_b32 s18, 0x7f800000
	v_mov_b32_e32 v8, 0x7c
	v_mov_b32_e32 v10, 0x7f
	v_cmp_lt_u32_e32 vcc, s18, v9
	v_cndmask_b32_e32 v8, v8, v10, vcc
; %bb.211:
	s_or_b64 exec, exec, s[16:17]
	v_lshrrev_b32_e32 v7, 24, v7
	s_movk_i32 s16, 0x80
	v_and_or_b32 v9, v7, s16, v8
                                        ; implicit-def: $vgpr7_vgpr8
.LBB233_212:
	s_andn2_saveexec_b64 s[14:15], s[14:15]
	s_cbranch_execz .LBB233_222
; %bb.213:
	flat_load_ubyte v7, v[7:8]
	s_mov_b32 s16, 0x47800000
                                        ; implicit-def: $vgpr9
	s_waitcnt vmcnt(0) lgkmcnt(0)
	v_cvt_f32_ubyte0_e32 v7, v7
	v_cmp_gt_u32_e32 vcc, s16, v7
	s_and_saveexec_b64 s[16:17], vcc
	s_xor_b64 s[16:17], exec, s[16:17]
	s_cbranch_execz .LBB233_219
; %bb.214:
	s_mov_b32 s18, 0x387fffff
	v_cmp_lt_u32_e32 vcc, s18, v7
                                        ; implicit-def: $vgpr9
	s_and_saveexec_b64 s[18:19], vcc
	s_xor_b64 s[18:19], exec, s[18:19]
; %bb.215:
	v_bfe_u32 v8, v7, 21, 1
	s_mov_b32 s20, 0x80fffff
	v_add3_u32 v7, v7, v8, s20
	v_lshrrev_b32_e32 v9, 21, v7
                                        ; implicit-def: $vgpr7
; %bb.216:
	s_andn2_saveexec_b64 s[18:19], s[18:19]
; %bb.217:
	v_add_f32_e32 v9, 0x43000000, v7
; %bb.218:
	s_or_b64 exec, exec, s[18:19]
                                        ; implicit-def: $vgpr7
.LBB233_219:
	s_andn2_saveexec_b64 s[16:17], s[16:17]
; %bb.220:
	s_mov_b32 s18, 0x7f800000
	v_mov_b32_e32 v8, 0x7c
	v_mov_b32_e32 v9, 0x7f
	v_cmp_lt_u32_e32 vcc, s18, v7
	v_cndmask_b32_e32 v9, v8, v9, vcc
; %bb.221:
	s_or_b64 exec, exec, s[16:17]
.LBB233_222:
	s_or_b64 exec, exec, s[14:15]
.LBB233_223:
	s_or_b64 exec, exec, s[12:13]
.LBB233_224:
	s_or_b64 exec, exec, s[8:9]
	s_or_b64 s[10:11], s[10:11], exec
.LBB233_225:
	s_or_b64 exec, exec, s[6:7]
	s_mov_b64 s[14:15], 0
	s_mov_b64 s[12:13], 0
	;; [unrolled: 1-line block ×3, first 2 shown]
                                        ; implicit-def: $vgpr10
                                        ; implicit-def: $vgpr7_vgpr8
                                        ; implicit-def: $vgpr11
	s_and_saveexec_b64 s[6:7], s[10:11]
	s_cbranch_execz .LBB233_324
; %bb.226:
	flat_load_dwordx2 v[7:8], v[1:2] offset:8
	flat_load_dword v11, v[3:4] offset:4
	flat_load_ubyte v10, v[5:6] offset:1
	s_mov_b64 s[12:13], -1
	s_mov_b64 s[10:11], 0
	s_mov_b64 s[16:17], s[4:5]
	s_waitcnt vmcnt(0) lgkmcnt(0)
	v_add_co_u32_e32 v7, vcc, v7, v11
	v_addc_co_u32_e32 v8, vcc, 0, v8, vcc
	v_cmp_lt_i16_e32 vcc, 10, v10
                                        ; implicit-def: $vgpr11
	s_and_saveexec_b64 s[8:9], vcc
	s_cbranch_execz .LBB233_311
; %bb.227:
	v_cmp_lt_i16_e32 vcc, 25, v10
	s_mov_b64 s[16:17], 0
                                        ; implicit-def: $vgpr11
	s_and_saveexec_b64 s[12:13], vcc
	s_xor_b64 s[12:13], exec, s[12:13]
	s_cbranch_execz .LBB233_508
; %bb.228:
	v_cmp_lt_i16_e32 vcc, 28, v10
	s_mov_b64 s[18:19], 0
                                        ; implicit-def: $vgpr11
	s_and_saveexec_b64 s[14:15], vcc
	s_xor_b64 s[14:15], exec, s[14:15]
	s_cbranch_execz .LBB233_268
; %bb.229:
	v_cmp_lt_i16_e32 vcc, 43, v10
	s_mov_b64 s[20:21], 0
	s_mov_b64 s[22:23], 0
                                        ; implicit-def: $vgpr11
	s_and_saveexec_b64 s[16:17], vcc
	s_xor_b64 s[16:17], exec, s[16:17]
	s_cbranch_execz .LBB233_255
; %bb.230:
	v_cmp_lt_i16_e32 vcc, 45, v10
                                        ; implicit-def: $vgpr11
	s_and_saveexec_b64 s[22:23], vcc
	s_xor_b64 s[22:23], exec, s[22:23]
	s_cbranch_execz .LBB233_242
; %bb.231:
	v_cmp_eq_u16_e32 vcc, 46, v10
	s_mov_b64 s[24:25], -1
                                        ; implicit-def: $vgpr11
	s_and_saveexec_b64 s[18:19], vcc
	s_cbranch_execz .LBB233_241
; %bb.232:
	flat_load_dword v1, v[7:8]
	s_mov_b32 s20, 0x47800000
                                        ; implicit-def: $vgpr2
	s_waitcnt vmcnt(0) lgkmcnt(0)
	v_lshlrev_b32_e32 v1, 16, v1
	v_and_b32_e32 v3, 0x7fffffff, v1
	v_cmp_gt_u32_e32 vcc, s20, v3
	s_and_saveexec_b64 s[20:21], vcc
	s_xor_b64 s[20:21], exec, s[20:21]
	s_cbranch_execz .LBB233_238
; %bb.233:
	s_mov_b32 s24, 0x387fffff
	v_cmp_lt_u32_e32 vcc, s24, v3
                                        ; implicit-def: $vgpr2
	s_and_saveexec_b64 s[24:25], vcc
	s_xor_b64 s[24:25], exec, s[24:25]
; %bb.234:
	v_bfe_u32 v2, v1, 21, 1
	s_mov_b32 s26, 0x80fffff
	v_add3_u32 v2, v1, v2, s26
	v_lshrrev_b32_e32 v2, 21, v2
; %bb.235:
	s_andn2_saveexec_b64 s[24:25], s[24:25]
; %bb.236:
	s_mov_b32 s26, 0x43000000
	v_add_f32_e64 v2, |v1|, s26
; %bb.237:
	s_or_b64 exec, exec, s[24:25]
                                        ; implicit-def: $vgpr3
.LBB233_238:
	s_andn2_saveexec_b64 s[20:21], s[20:21]
; %bb.239:
	s_mov_b32 s24, 0x7f800000
	v_mov_b32_e32 v2, 0x7c
	v_mov_b32_e32 v4, 0x7f
	v_cmp_lt_u32_e32 vcc, s24, v3
	v_cndmask_b32_e32 v2, v2, v4, vcc
; %bb.240:
	s_or_b64 exec, exec, s[20:21]
	v_lshrrev_b32_e32 v1, 24, v1
	s_movk_i32 s24, 0x80
	s_mov_b64 s[20:21], exec
	v_and_or_b32 v11, v1, s24, v2
	s_xor_b64 s[24:25], exec, -1
.LBB233_241:
	s_or_b64 exec, exec, s[18:19]
	s_and_b64 s[20:21], s[20:21], exec
	s_and_b64 s[18:19], s[24:25], exec
.LBB233_242:
	s_andn2_saveexec_b64 s[22:23], s[22:23]
	s_cbranch_execz .LBB233_254
; %bb.243:
	v_cmp_eq_u16_e32 vcc, 44, v10
	s_mov_b64 s[26:27], -1
	s_mov_b64 s[28:29], s[20:21]
                                        ; implicit-def: $vgpr11
	s_and_saveexec_b64 s[24:25], vcc
	s_cbranch_execz .LBB233_253
; %bb.244:
	flat_load_ubyte v1, v[7:8]
	s_movk_i32 s26, 0xff
	v_mov_b32_e32 v2, 0x7f800001
	v_mov_b32_e32 v3, 0x400000
                                        ; implicit-def: $vgpr11
	s_waitcnt vmcnt(0) lgkmcnt(0)
	v_lshlrev_b32_e32 v4, 23, v1
	v_cmp_ne_u32_e32 vcc, s26, v1
	v_cndmask_b32_e32 v2, v2, v4, vcc
	v_cmp_ne_u32_e32 vcc, 0, v1
	v_cndmask_b32_e32 v1, v3, v2, vcc
	s_mov_b32 s26, 0x47800000
	v_cmp_gt_u32_e32 vcc, s26, v1
	s_and_saveexec_b64 s[26:27], vcc
	s_xor_b64 s[26:27], exec, s[26:27]
	s_cbranch_execz .LBB233_250
; %bb.245:
	s_mov_b32 s28, 0x387fffff
	v_cmp_lt_u32_e32 vcc, s28, v1
                                        ; implicit-def: $vgpr11
	s_and_saveexec_b64 s[28:29], vcc
	s_xor_b64 s[28:29], exec, s[28:29]
; %bb.246:
	v_bfe_u32 v2, v1, 21, 1
	s_mov_b32 s40, 0x80fffff
	v_add3_u32 v1, v1, v2, s40
	v_lshrrev_b32_e32 v11, 21, v1
                                        ; implicit-def: $vgpr1
; %bb.247:
	s_andn2_saveexec_b64 s[28:29], s[28:29]
; %bb.248:
	v_add_f32_e32 v11, 0x43000000, v1
; %bb.249:
	s_or_b64 exec, exec, s[28:29]
                                        ; implicit-def: $vgpr1
.LBB233_250:
	s_andn2_saveexec_b64 s[26:27], s[26:27]
; %bb.251:
	s_mov_b32 s28, 0x7f800000
	v_mov_b32_e32 v2, 0x7c
	v_mov_b32_e32 v3, 0x7f
	v_cmp_lt_u32_e32 vcc, s28, v1
	v_cndmask_b32_e32 v11, v2, v3, vcc
; %bb.252:
	s_or_b64 exec, exec, s[26:27]
	s_or_b64 s[28:29], s[20:21], exec
	s_xor_b64 s[26:27], exec, -1
.LBB233_253:
	s_or_b64 exec, exec, s[24:25]
	s_andn2_b64 s[20:21], s[20:21], exec
	s_and_b64 s[24:25], s[28:29], exec
	s_or_b64 s[20:21], s[20:21], s[24:25]
	s_andn2_b64 s[18:19], s[18:19], exec
	s_and_b64 s[24:25], s[26:27], exec
	s_or_b64 s[18:19], s[18:19], s[24:25]
.LBB233_254:
	s_or_b64 exec, exec, s[22:23]
	s_and_b64 s[22:23], s[20:21], exec
	s_and_b64 s[20:21], s[18:19], exec
.LBB233_255:
	s_andn2_saveexec_b64 s[16:17], s[16:17]
	s_cbranch_execz .LBB233_267
; %bb.256:
	v_cmp_eq_u16_e32 vcc, 29, v10
	s_mov_b64 s[24:25], -1
	s_mov_b64 s[26:27], s[22:23]
                                        ; implicit-def: $vgpr11
	s_and_saveexec_b64 s[18:19], vcc
	s_cbranch_execz .LBB233_266
; %bb.257:
	flat_load_dwordx2 v[1:2], v[7:8]
	s_mov_b32 s24, 0x47800000
                                        ; implicit-def: $vgpr11
	s_waitcnt vmcnt(0) lgkmcnt(0)
	v_ffbh_u32_e32 v3, v2
	v_min_u32_e32 v3, 32, v3
	v_lshlrev_b64 v[1:2], v3, v[1:2]
	v_min_u32_e32 v1, 1, v1
	v_or_b32_e32 v1, v2, v1
	v_cvt_f32_u32_e32 v1, v1
	v_sub_u32_e32 v2, 32, v3
	v_ldexp_f32 v1, v1, v2
	v_cmp_gt_u32_e32 vcc, s24, v1
	s_and_saveexec_b64 s[24:25], vcc
	s_xor_b64 s[24:25], exec, s[24:25]
	s_cbranch_execz .LBB233_263
; %bb.258:
	s_mov_b32 s26, 0x387fffff
	v_cmp_lt_u32_e32 vcc, s26, v1
                                        ; implicit-def: $vgpr11
	s_and_saveexec_b64 s[26:27], vcc
	s_xor_b64 s[26:27], exec, s[26:27]
; %bb.259:
	v_bfe_u32 v2, v1, 21, 1
	s_mov_b32 s28, 0x80fffff
	v_add3_u32 v1, v1, v2, s28
	v_lshrrev_b32_e32 v11, 21, v1
                                        ; implicit-def: $vgpr1
; %bb.260:
	s_andn2_saveexec_b64 s[26:27], s[26:27]
; %bb.261:
	v_add_f32_e32 v11, 0x43000000, v1
; %bb.262:
	s_or_b64 exec, exec, s[26:27]
                                        ; implicit-def: $vgpr1
.LBB233_263:
	s_andn2_saveexec_b64 s[24:25], s[24:25]
; %bb.264:
	s_mov_b32 s26, 0x7f800000
	v_mov_b32_e32 v2, 0x7c
	v_mov_b32_e32 v3, 0x7f
	v_cmp_lt_u32_e32 vcc, s26, v1
	v_cndmask_b32_e32 v11, v2, v3, vcc
; %bb.265:
	s_or_b64 exec, exec, s[24:25]
	s_or_b64 s[26:27], s[22:23], exec
	s_xor_b64 s[24:25], exec, -1
.LBB233_266:
	s_or_b64 exec, exec, s[18:19]
	s_andn2_b64 s[18:19], s[22:23], exec
	s_and_b64 s[22:23], s[26:27], exec
	s_or_b64 s[22:23], s[18:19], s[22:23]
	s_andn2_b64 s[18:19], s[20:21], exec
	s_and_b64 s[20:21], s[24:25], exec
	s_or_b64 s[20:21], s[18:19], s[20:21]
.LBB233_267:
	s_or_b64 exec, exec, s[16:17]
	s_and_b64 s[18:19], s[22:23], exec
	s_and_b64 s[16:17], s[20:21], exec
.LBB233_268:
	s_andn2_saveexec_b64 s[14:15], s[14:15]
	s_cbranch_execz .LBB233_308
; %bb.269:
	v_cmp_lt_i16_e32 vcc, 26, v10
                                        ; implicit-def: $vgpr11
	s_and_saveexec_b64 s[20:21], vcc
	s_xor_b64 s[20:21], exec, s[20:21]
	s_cbranch_execz .LBB233_291
; %bb.270:
	v_cmp_lt_i16_e32 vcc, 27, v10
                                        ; implicit-def: $vgpr11
	s_and_saveexec_b64 s[22:23], vcc
	s_xor_b64 s[22:23], exec, s[22:23]
	s_cbranch_execz .LBB233_280
; %bb.271:
	flat_load_dword v1, v[7:8]
	s_mov_b32 s24, 0x47800000
                                        ; implicit-def: $vgpr11
	s_waitcnt vmcnt(0) lgkmcnt(0)
	v_cvt_f32_u32_e32 v1, v1
	v_cmp_gt_u32_e32 vcc, s24, v1
	s_and_saveexec_b64 s[24:25], vcc
	s_xor_b64 s[24:25], exec, s[24:25]
	s_cbranch_execz .LBB233_277
; %bb.272:
	s_mov_b32 s26, 0x387fffff
	v_cmp_lt_u32_e32 vcc, s26, v1
                                        ; implicit-def: $vgpr11
	s_and_saveexec_b64 s[26:27], vcc
	s_xor_b64 s[26:27], exec, s[26:27]
; %bb.273:
	v_bfe_u32 v2, v1, 21, 1
	s_mov_b32 s28, 0x80fffff
	v_add3_u32 v1, v1, v2, s28
	v_lshrrev_b32_e32 v11, 21, v1
                                        ; implicit-def: $vgpr1
; %bb.274:
	s_andn2_saveexec_b64 s[26:27], s[26:27]
; %bb.275:
	v_add_f32_e32 v11, 0x43000000, v1
; %bb.276:
	s_or_b64 exec, exec, s[26:27]
                                        ; implicit-def: $vgpr1
.LBB233_277:
	s_andn2_saveexec_b64 s[24:25], s[24:25]
; %bb.278:
	s_mov_b32 s26, 0x7f800000
	v_mov_b32_e32 v2, 0x7c
	v_mov_b32_e32 v3, 0x7f
	v_cmp_lt_u32_e32 vcc, s26, v1
	v_cndmask_b32_e32 v11, v2, v3, vcc
; %bb.279:
	s_or_b64 exec, exec, s[24:25]
.LBB233_280:
	s_andn2_saveexec_b64 s[22:23], s[22:23]
	s_cbranch_execz .LBB233_290
; %bb.281:
	flat_load_ushort v1, v[7:8]
	s_mov_b32 s24, 0x47800000
                                        ; implicit-def: $vgpr11
	s_waitcnt vmcnt(0) lgkmcnt(0)
	v_cvt_f32_u32_e32 v1, v1
	v_cmp_gt_u32_e32 vcc, s24, v1
	s_and_saveexec_b64 s[24:25], vcc
	s_xor_b64 s[24:25], exec, s[24:25]
	s_cbranch_execz .LBB233_287
; %bb.282:
	s_mov_b32 s26, 0x387fffff
	v_cmp_lt_u32_e32 vcc, s26, v1
                                        ; implicit-def: $vgpr11
	s_and_saveexec_b64 s[26:27], vcc
	s_xor_b64 s[26:27], exec, s[26:27]
; %bb.283:
	v_bfe_u32 v2, v1, 21, 1
	s_mov_b32 s28, 0x80fffff
	v_add3_u32 v1, v1, v2, s28
	v_lshrrev_b32_e32 v11, 21, v1
                                        ; implicit-def: $vgpr1
; %bb.284:
	s_andn2_saveexec_b64 s[26:27], s[26:27]
; %bb.285:
	v_add_f32_e32 v11, 0x43000000, v1
; %bb.286:
	s_or_b64 exec, exec, s[26:27]
                                        ; implicit-def: $vgpr1
.LBB233_287:
	s_andn2_saveexec_b64 s[24:25], s[24:25]
; %bb.288:
	s_mov_b32 s26, 0x7f800000
	v_mov_b32_e32 v2, 0x7c
	v_mov_b32_e32 v3, 0x7f
	v_cmp_lt_u32_e32 vcc, s26, v1
	v_cndmask_b32_e32 v11, v2, v3, vcc
; %bb.289:
	s_or_b64 exec, exec, s[24:25]
.LBB233_290:
	s_or_b64 exec, exec, s[22:23]
.LBB233_291:
	s_andn2_saveexec_b64 s[20:21], s[20:21]
	s_cbranch_execz .LBB233_307
; %bb.292:
	flat_load_ubyte v2, v[7:8]
	s_movk_i32 s22, 0x7f
	s_waitcnt vmcnt(0) lgkmcnt(0)
	v_cmp_lt_i16_e32 vcc, s22, v2
	s_mov_b64 s[22:23], 0
	s_and_saveexec_b64 s[24:25], vcc
	s_xor_b64 s[24:25], exec, s[24:25]
	s_cbranch_execz .LBB233_561
; %bb.293:
	s_movk_i32 s22, 0x80
	v_cmp_eq_u16_e32 vcc, s22, v2
	s_mov_b64 s[22:23], -1
	s_and_saveexec_b64 s[26:27], vcc
; %bb.294:
	s_xor_b64 s[22:23], exec, -1
; %bb.295:
	s_or_b64 exec, exec, s[26:27]
	s_and_b64 s[22:23], s[22:23], exec
	s_or_saveexec_b64 s[24:25], s[24:25]
	v_mov_b32_e32 v1, 0x7f800001
	s_xor_b64 exec, exec, s[24:25]
	s_cbranch_execnz .LBB233_562
.LBB233_296:
	s_or_b64 exec, exec, s[24:25]
	s_and_saveexec_b64 s[24:25], s[22:23]
	s_cbranch_execz .LBB233_298
.LBB233_297:
	v_lshlrev_b32_e32 v1, 24, v2
	v_and_b32_e32 v2, 0xffff, v2
	v_and_b32_e32 v3, 7, v2
	v_ffbh_u32_e32 v5, v3
	v_min_u32_e32 v5, 32, v5
	v_subrev_u32_e32 v6, 28, v5
	v_bfe_u32 v4, v2, 3, 4
	v_lshlrev_b32_e32 v2, v6, v2
	v_sub_u32_e32 v5, 29, v5
	v_and_b32_e32 v2, 7, v2
	v_cmp_eq_u32_e32 vcc, 0, v4
	v_cndmask_b32_e32 v4, v4, v5, vcc
	v_cndmask_b32_e32 v2, v3, v2, vcc
	v_mov_b32_e32 v3, 0x3b800000
	v_lshlrev_b32_e32 v2, 20, v2
	v_and_b32_e32 v1, 0x80000000, v1
	v_lshl_add_u32 v3, v4, 23, v3
	v_or3_b32 v1, v1, v3, v2
.LBB233_298:
	s_or_b64 exec, exec, s[24:25]
	v_and_b32_e32 v3, 0x7fffffff, v1
	s_mov_b32 s22, 0x47800000
	v_cmp_gt_u32_e32 vcc, s22, v3
                                        ; implicit-def: $vgpr2
	s_and_saveexec_b64 s[22:23], vcc
	s_xor_b64 s[22:23], exec, s[22:23]
	s_cbranch_execz .LBB233_304
; %bb.299:
	s_mov_b32 s24, 0x387fffff
	v_cmp_lt_u32_e32 vcc, s24, v3
                                        ; implicit-def: $vgpr2
	s_and_saveexec_b64 s[24:25], vcc
	s_xor_b64 s[24:25], exec, s[24:25]
; %bb.300:
	v_bfe_u32 v2, v1, 21, 1
	s_mov_b32 s26, 0x80fffff
	v_add3_u32 v2, v1, v2, s26
	v_lshrrev_b32_e32 v2, 21, v2
; %bb.301:
	s_andn2_saveexec_b64 s[24:25], s[24:25]
; %bb.302:
	s_mov_b32 s26, 0x43000000
	v_add_f32_e64 v2, |v1|, s26
; %bb.303:
	s_or_b64 exec, exec, s[24:25]
                                        ; implicit-def: $vgpr3
.LBB233_304:
	s_andn2_saveexec_b64 s[22:23], s[22:23]
; %bb.305:
	s_mov_b32 s24, 0x7f800000
	v_mov_b32_e32 v2, 0x7c
	v_mov_b32_e32 v4, 0x7f
	v_cmp_lt_u32_e32 vcc, s24, v3
	v_cndmask_b32_e32 v2, v2, v4, vcc
; %bb.306:
	s_or_b64 exec, exec, s[22:23]
	v_lshrrev_b32_e32 v1, 24, v1
	s_movk_i32 s22, 0x80
	v_and_or_b32 v11, v1, s22, v2
.LBB233_307:
	s_or_b64 exec, exec, s[20:21]
	s_or_b64 s[18:19], s[18:19], exec
.LBB233_308:
	s_or_b64 exec, exec, s[14:15]
	s_and_b64 s[14:15], s[18:19], exec
	s_and_b64 s[16:17], s[16:17], exec
	s_andn2_saveexec_b64 s[12:13], s[12:13]
	s_cbranch_execnz .LBB233_509
.LBB233_309:
	s_or_b64 exec, exec, s[12:13]
	s_mov_b64 s[18:19], s[4:5]
	s_and_saveexec_b64 s[12:13], s[16:17]
	s_cbranch_execnz .LBB233_558
.LBB233_310:
	s_or_b64 exec, exec, s[12:13]
	s_andn2_b64 s[16:17], s[4:5], exec
	s_and_b64 s[18:19], s[18:19], exec
	s_and_b64 s[14:15], s[14:15], exec
	s_xor_b64 s[12:13], exec, -1
	s_and_b64 s[10:11], s[10:11], exec
	s_or_b64 s[16:17], s[16:17], s[18:19]
.LBB233_311:
	s_or_b64 exec, exec, s[8:9]
	s_and_b64 s[8:9], s[14:15], exec
	s_and_b64 s[14:15], s[10:11], exec
	s_andn2_b64 s[4:5], s[4:5], exec
	s_and_b64 s[10:11], s[16:17], exec
	s_and_b64 s[12:13], s[12:13], exec
	s_or_b64 s[4:5], s[4:5], s[10:11]
	s_or_b64 exec, exec, s[6:7]
	s_and_saveexec_b64 s[6:7], s[4:5]
	s_cbranch_execnz .LBB233_325
.LBB233_312:
	s_or_b64 exec, exec, s[6:7]
	s_and_saveexec_b64 s[4:5], s[14:15]
	s_cbranch_execz .LBB233_326
.LBB233_313:
	flat_load_ubyte v1, v[7:8]
	s_mov_b32 s6, 0x47800000
                                        ; implicit-def: $vgpr11
	s_waitcnt vmcnt(0) lgkmcnt(0)
	v_cmp_ne_u16_e32 vcc, 0, v1
	v_cndmask_b32_e64 v1, 0, 1.0, vcc
	v_cmp_gt_u32_e32 vcc, s6, v1
	s_and_saveexec_b64 s[6:7], vcc
	s_xor_b64 s[6:7], exec, s[6:7]
	s_cbranch_execz .LBB233_319
; %bb.314:
	s_mov_b32 s10, 0x387fffff
	v_cmp_lt_u32_e32 vcc, s10, v1
                                        ; implicit-def: $vgpr11
	s_and_saveexec_b64 s[10:11], vcc
	s_xor_b64 s[10:11], exec, s[10:11]
; %bb.315:
	v_bfe_u32 v2, v1, 21, 1
	s_mov_b32 s14, 0x80fffff
	v_add3_u32 v1, v1, v2, s14
	v_lshrrev_b32_e32 v11, 21, v1
                                        ; implicit-def: $vgpr1
; %bb.316:
	s_andn2_saveexec_b64 s[10:11], s[10:11]
; %bb.317:
	v_add_f32_e32 v11, 0x43000000, v1
; %bb.318:
	s_or_b64 exec, exec, s[10:11]
                                        ; implicit-def: $vgpr1
.LBB233_319:
	s_andn2_saveexec_b64 s[6:7], s[6:7]
; %bb.320:
	s_mov_b32 s10, 0x7f800000
	v_mov_b32_e32 v2, 0x7c
	v_mov_b32_e32 v3, 0x7f
	v_cmp_lt_u32_e32 vcc, s10, v1
	v_cndmask_b32_e32 v11, v2, v3, vcc
; %bb.321:
	s_or_b64 exec, exec, s[6:7]
	s_or_b64 s[8:9], s[8:9], exec
	s_or_b64 exec, exec, s[4:5]
	s_and_saveexec_b64 s[4:5], s[12:13]
	s_cbranch_execnz .LBB233_327
.LBB233_322:
	s_or_b64 exec, exec, s[4:5]
                                        ; implicit-def: $sgpr6_sgpr7
	s_and_saveexec_b64 s[4:5], s[8:9]
	s_cbranch_execz .LBB233_456
.LBB233_323:
	s_waitcnt vmcnt(0) lgkmcnt(0)
	v_lshlrev_b32_e32 v2, 25, v9
	v_lshlrev_b16_e32 v1, 8, v9
	v_lshrrev_b32_e32 v3, 4, v2
	s_movk_i32 s6, 0x7f00
	v_or_b32_e32 v3, 0x70000000, v3
	v_and_or_b32 v4, v1, s6, 0.5
	s_brev_b32 s7, 16
	v_add_f32_e32 v4, -0.5, v4
	v_mul_f32_e32 v3, 0x7800000, v3
	v_cmp_gt_u32_e32 vcc, s7, v2
	v_cndmask_b32_e32 v2, v3, v4, vcc
	v_bfe_i32 v1, v1, 0, 16
	s_brev_b32 s8, 1
	v_lshlrev_b32_e32 v3, 25, v11
	v_and_or_b32 v1, v1, s8, v2
	v_lshlrev_b16_e32 v2, 8, v11
	v_lshrrev_b32_e32 v4, 4, v3
	v_or_b32_e32 v4, 0x70000000, v4
	v_and_or_b32 v5, v2, s6, 0.5
	v_add_f32_e32 v5, -0.5, v5
	v_mul_f32_e32 v4, 0x7800000, v4
	v_cmp_gt_u32_e32 vcc, s7, v3
	v_cndmask_b32_e32 v3, v4, v5, vcc
	v_bfe_i32 v2, v2, 0, 16
	v_and_or_b32 v2, v2, s8, v3
	v_cmp_eq_f32_e32 vcc, v1, v2
	v_cndmask_b32_e64 v3, 0, 1, vcc
	v_cmp_neq_f32_e32 vcc, v1, v2
	v_cndmask_b32_e64 v1, 0, 1, vcc
	v_cmp_eq_u32_e32 vcc, 0, v0
	v_cndmask_b32_e32 v0, v1, v3, vcc
	v_and_b32_e32 v0, 1, v0
	v_cmp_eq_u32_e64 s[6:7], 1, v0
	s_or_b64 exec, exec, s[4:5]
	v_cndmask_b32_e64 v0, 0, 1, s[6:7]
	s_setpc_b64 s[30:31]
.LBB233_324:
	s_or_b64 exec, exec, s[6:7]
	s_and_saveexec_b64 s[6:7], s[4:5]
	s_cbranch_execz .LBB233_312
.LBB233_325:
	; divergent unreachable
	s_or_b64 exec, exec, s[6:7]
	s_and_saveexec_b64 s[4:5], s[14:15]
	s_cbranch_execnz .LBB233_313
.LBB233_326:
	s_or_b64 exec, exec, s[4:5]
	s_and_saveexec_b64 s[4:5], s[12:13]
	s_cbranch_execz .LBB233_322
.LBB233_327:
	v_cmp_lt_i16_e32 vcc, 4, v10
                                        ; implicit-def: $vgpr11
	s_and_saveexec_b64 s[6:7], vcc
	s_xor_b64 s[6:7], exec, s[6:7]
	s_cbranch_execz .LBB233_397
; %bb.328:
	v_cmp_lt_i16_e32 vcc, 7, v10
                                        ; implicit-def: $vgpr11
	s_and_saveexec_b64 s[10:11], vcc
	s_xor_b64 s[10:11], exec, s[10:11]
	s_cbranch_execz .LBB233_362
; %bb.329:
	v_cmp_lt_i16_e32 vcc, 8, v10
                                        ; implicit-def: $vgpr11
	s_and_saveexec_b64 s[12:13], vcc
	s_xor_b64 s[12:13], exec, s[12:13]
	s_cbranch_execz .LBB233_351
; %bb.330:
	v_cmp_lt_i16_e32 vcc, 9, v10
                                        ; implicit-def: $vgpr11
	s_and_saveexec_b64 s[14:15], vcc
	s_xor_b64 s[14:15], exec, s[14:15]
	s_cbranch_execz .LBB233_340
; %bb.331:
	flat_load_dwordx2 v[1:2], v[7:8]
	s_mov_b32 s16, 0x47800000
	s_waitcnt vmcnt(0) lgkmcnt(0)
	v_cvt_f32_f64_e32 v1, v[1:2]
                                        ; implicit-def: $vgpr2
	v_and_b32_e32 v3, 0x7fffffff, v1
	v_cmp_gt_u32_e32 vcc, s16, v3
	s_and_saveexec_b64 s[16:17], vcc
	s_xor_b64 s[16:17], exec, s[16:17]
	s_cbranch_execz .LBB233_337
; %bb.332:
	s_mov_b32 s18, 0x387fffff
	v_cmp_lt_u32_e32 vcc, s18, v3
                                        ; implicit-def: $vgpr2
	s_and_saveexec_b64 s[18:19], vcc
	s_xor_b64 s[18:19], exec, s[18:19]
; %bb.333:
	v_bfe_u32 v2, v1, 21, 1
	s_mov_b32 s20, 0x80fffff
	v_add3_u32 v2, v1, v2, s20
	v_lshrrev_b32_e32 v2, 21, v2
; %bb.334:
	s_andn2_saveexec_b64 s[18:19], s[18:19]
; %bb.335:
	s_mov_b32 s20, 0x43000000
	v_add_f32_e64 v2, |v1|, s20
; %bb.336:
	s_or_b64 exec, exec, s[18:19]
                                        ; implicit-def: $vgpr3
.LBB233_337:
	s_andn2_saveexec_b64 s[16:17], s[16:17]
; %bb.338:
	s_mov_b32 s18, 0x7f800000
	v_mov_b32_e32 v2, 0x7c
	v_mov_b32_e32 v4, 0x7f
	v_cmp_lt_u32_e32 vcc, s18, v3
	v_cndmask_b32_e32 v2, v2, v4, vcc
; %bb.339:
	s_or_b64 exec, exec, s[16:17]
	v_lshrrev_b32_e32 v1, 24, v1
	s_movk_i32 s16, 0x80
	v_and_or_b32 v11, v1, s16, v2
                                        ; implicit-def: $vgpr7_vgpr8
.LBB233_340:
	s_andn2_saveexec_b64 s[14:15], s[14:15]
	s_cbranch_execz .LBB233_350
; %bb.341:
	flat_load_dword v1, v[7:8]
	s_mov_b32 s16, 0x47800000
                                        ; implicit-def: $vgpr2
	s_waitcnt vmcnt(0) lgkmcnt(0)
	v_and_b32_e32 v3, 0x7fffffff, v1
	v_cmp_gt_u32_e32 vcc, s16, v3
	s_and_saveexec_b64 s[16:17], vcc
	s_xor_b64 s[16:17], exec, s[16:17]
	s_cbranch_execz .LBB233_347
; %bb.342:
	s_mov_b32 s18, 0x387fffff
	v_cmp_lt_u32_e32 vcc, s18, v3
                                        ; implicit-def: $vgpr2
	s_and_saveexec_b64 s[18:19], vcc
	s_xor_b64 s[18:19], exec, s[18:19]
; %bb.343:
	v_bfe_u32 v2, v1, 21, 1
	s_mov_b32 s20, 0x80fffff
	v_add3_u32 v2, v1, v2, s20
	v_lshrrev_b32_e32 v2, 21, v2
; %bb.344:
	s_andn2_saveexec_b64 s[18:19], s[18:19]
; %bb.345:
	s_mov_b32 s20, 0x43000000
	v_add_f32_e64 v2, |v1|, s20
; %bb.346:
	s_or_b64 exec, exec, s[18:19]
                                        ; implicit-def: $vgpr3
.LBB233_347:
	s_andn2_saveexec_b64 s[16:17], s[16:17]
; %bb.348:
	s_mov_b32 s18, 0x7f800000
	v_mov_b32_e32 v2, 0x7c
	v_mov_b32_e32 v4, 0x7f
	v_cmp_lt_u32_e32 vcc, s18, v3
	v_cndmask_b32_e32 v2, v2, v4, vcc
; %bb.349:
	s_or_b64 exec, exec, s[16:17]
	v_lshrrev_b32_e32 v1, 24, v1
	s_movk_i32 s16, 0x80
	v_and_or_b32 v11, v1, s16, v2
.LBB233_350:
	s_or_b64 exec, exec, s[14:15]
                                        ; implicit-def: $vgpr7_vgpr8
.LBB233_351:
	s_andn2_saveexec_b64 s[12:13], s[12:13]
	s_cbranch_execz .LBB233_361
; %bb.352:
	flat_load_dword v1, v[7:8]
	s_mov_b32 s14, 0x47800000
                                        ; implicit-def: $vgpr2
	s_waitcnt vmcnt(0) lgkmcnt(0)
	v_cvt_f32_f16_e32 v1, v1
	v_and_b32_e32 v3, 0x7fffffff, v1
	v_cmp_gt_u32_e32 vcc, s14, v3
	s_and_saveexec_b64 s[14:15], vcc
	s_xor_b64 s[14:15], exec, s[14:15]
	s_cbranch_execz .LBB233_358
; %bb.353:
	s_mov_b32 s16, 0x387fffff
	v_cmp_lt_u32_e32 vcc, s16, v3
                                        ; implicit-def: $vgpr2
	s_and_saveexec_b64 s[16:17], vcc
	s_xor_b64 s[16:17], exec, s[16:17]
; %bb.354:
	v_bfe_u32 v2, v1, 21, 1
	s_mov_b32 s18, 0x80fffff
	v_add3_u32 v2, v1, v2, s18
	v_lshrrev_b32_e32 v2, 21, v2
; %bb.355:
	s_andn2_saveexec_b64 s[16:17], s[16:17]
; %bb.356:
	s_mov_b32 s18, 0x43000000
	v_add_f32_e64 v2, |v1|, s18
; %bb.357:
	s_or_b64 exec, exec, s[16:17]
                                        ; implicit-def: $vgpr3
.LBB233_358:
	s_andn2_saveexec_b64 s[14:15], s[14:15]
; %bb.359:
	s_mov_b32 s16, 0x7f800000
	v_mov_b32_e32 v2, 0x7c
	v_mov_b32_e32 v4, 0x7f
	v_cmp_lt_u32_e32 vcc, s16, v3
	v_cndmask_b32_e32 v2, v2, v4, vcc
; %bb.360:
	s_or_b64 exec, exec, s[14:15]
	v_lshrrev_b32_e32 v1, 24, v1
	s_movk_i32 s14, 0x80
	v_and_or_b32 v11, v1, s14, v2
.LBB233_361:
	s_or_b64 exec, exec, s[12:13]
                                        ; implicit-def: $vgpr7_vgpr8
.LBB233_362:
	s_andn2_saveexec_b64 s[10:11], s[10:11]
	s_cbranch_execz .LBB233_396
; %bb.363:
	v_cmp_lt_i16_e32 vcc, 5, v10
                                        ; implicit-def: $vgpr11
	s_and_saveexec_b64 s[12:13], vcc
	s_xor_b64 s[12:13], exec, s[12:13]
	s_cbranch_execz .LBB233_385
; %bb.364:
	v_cmp_lt_i16_e32 vcc, 6, v10
                                        ; implicit-def: $vgpr11
	s_and_saveexec_b64 s[14:15], vcc
	s_xor_b64 s[14:15], exec, s[14:15]
	s_cbranch_execz .LBB233_374
; %bb.365:
	flat_load_dwordx2 v[1:2], v[7:8]
	s_mov_b32 s16, 0x47800000
	s_waitcnt vmcnt(0) lgkmcnt(0)
	v_cvt_f32_f64_e32 v1, v[1:2]
                                        ; implicit-def: $vgpr2
	v_and_b32_e32 v3, 0x7fffffff, v1
	v_cmp_gt_u32_e32 vcc, s16, v3
	s_and_saveexec_b64 s[16:17], vcc
	s_xor_b64 s[16:17], exec, s[16:17]
	s_cbranch_execz .LBB233_371
; %bb.366:
	s_mov_b32 s18, 0x387fffff
	v_cmp_lt_u32_e32 vcc, s18, v3
                                        ; implicit-def: $vgpr2
	s_and_saveexec_b64 s[18:19], vcc
	s_xor_b64 s[18:19], exec, s[18:19]
; %bb.367:
	v_bfe_u32 v2, v1, 21, 1
	s_mov_b32 s20, 0x80fffff
	v_add3_u32 v2, v1, v2, s20
	v_lshrrev_b32_e32 v2, 21, v2
; %bb.368:
	s_andn2_saveexec_b64 s[18:19], s[18:19]
; %bb.369:
	s_mov_b32 s20, 0x43000000
	v_add_f32_e64 v2, |v1|, s20
; %bb.370:
	s_or_b64 exec, exec, s[18:19]
                                        ; implicit-def: $vgpr3
.LBB233_371:
	s_andn2_saveexec_b64 s[16:17], s[16:17]
; %bb.372:
	s_mov_b32 s18, 0x7f800000
	v_mov_b32_e32 v2, 0x7c
	v_mov_b32_e32 v4, 0x7f
	v_cmp_lt_u32_e32 vcc, s18, v3
	v_cndmask_b32_e32 v2, v2, v4, vcc
; %bb.373:
	s_or_b64 exec, exec, s[16:17]
	v_lshrrev_b32_e32 v1, 24, v1
	s_movk_i32 s16, 0x80
	v_and_or_b32 v11, v1, s16, v2
                                        ; implicit-def: $vgpr7_vgpr8
.LBB233_374:
	s_andn2_saveexec_b64 s[14:15], s[14:15]
	s_cbranch_execz .LBB233_384
; %bb.375:
	flat_load_dword v1, v[7:8]
	s_mov_b32 s16, 0x47800000
                                        ; implicit-def: $vgpr2
	s_waitcnt vmcnt(0) lgkmcnt(0)
	v_and_b32_e32 v3, 0x7fffffff, v1
	v_cmp_gt_u32_e32 vcc, s16, v3
	s_and_saveexec_b64 s[16:17], vcc
	s_xor_b64 s[16:17], exec, s[16:17]
	s_cbranch_execz .LBB233_381
; %bb.376:
	s_mov_b32 s18, 0x387fffff
	v_cmp_lt_u32_e32 vcc, s18, v3
                                        ; implicit-def: $vgpr2
	s_and_saveexec_b64 s[18:19], vcc
	s_xor_b64 s[18:19], exec, s[18:19]
; %bb.377:
	v_bfe_u32 v2, v1, 21, 1
	s_mov_b32 s20, 0x80fffff
	v_add3_u32 v2, v1, v2, s20
	v_lshrrev_b32_e32 v2, 21, v2
; %bb.378:
	s_andn2_saveexec_b64 s[18:19], s[18:19]
; %bb.379:
	s_mov_b32 s20, 0x43000000
	v_add_f32_e64 v2, |v1|, s20
; %bb.380:
	s_or_b64 exec, exec, s[18:19]
                                        ; implicit-def: $vgpr3
.LBB233_381:
	s_andn2_saveexec_b64 s[16:17], s[16:17]
; %bb.382:
	s_mov_b32 s18, 0x7f800000
	v_mov_b32_e32 v2, 0x7c
	v_mov_b32_e32 v4, 0x7f
	v_cmp_lt_u32_e32 vcc, s18, v3
	v_cndmask_b32_e32 v2, v2, v4, vcc
; %bb.383:
	s_or_b64 exec, exec, s[16:17]
	v_lshrrev_b32_e32 v1, 24, v1
	s_movk_i32 s16, 0x80
	v_and_or_b32 v11, v1, s16, v2
.LBB233_384:
	s_or_b64 exec, exec, s[14:15]
                                        ; implicit-def: $vgpr7_vgpr8
.LBB233_385:
	s_andn2_saveexec_b64 s[12:13], s[12:13]
	s_cbranch_execz .LBB233_395
; %bb.386:
	flat_load_ushort v1, v[7:8]
	s_mov_b32 s14, 0x47800000
                                        ; implicit-def: $vgpr2
	s_waitcnt vmcnt(0) lgkmcnt(0)
	v_cvt_f32_f16_e32 v1, v1
	v_and_b32_e32 v3, 0x7fffffff, v1
	v_cmp_gt_u32_e32 vcc, s14, v3
	s_and_saveexec_b64 s[14:15], vcc
	s_xor_b64 s[14:15], exec, s[14:15]
	s_cbranch_execz .LBB233_392
; %bb.387:
	s_mov_b32 s16, 0x387fffff
	v_cmp_lt_u32_e32 vcc, s16, v3
                                        ; implicit-def: $vgpr2
	s_and_saveexec_b64 s[16:17], vcc
	s_xor_b64 s[16:17], exec, s[16:17]
; %bb.388:
	v_bfe_u32 v2, v1, 21, 1
	s_mov_b32 s18, 0x80fffff
	v_add3_u32 v2, v1, v2, s18
	v_lshrrev_b32_e32 v2, 21, v2
; %bb.389:
	s_andn2_saveexec_b64 s[16:17], s[16:17]
; %bb.390:
	s_mov_b32 s18, 0x43000000
	v_add_f32_e64 v2, |v1|, s18
; %bb.391:
	s_or_b64 exec, exec, s[16:17]
                                        ; implicit-def: $vgpr3
.LBB233_392:
	s_andn2_saveexec_b64 s[14:15], s[14:15]
; %bb.393:
	s_mov_b32 s16, 0x7f800000
	v_mov_b32_e32 v2, 0x7c
	v_mov_b32_e32 v4, 0x7f
	v_cmp_lt_u32_e32 vcc, s16, v3
	v_cndmask_b32_e32 v2, v2, v4, vcc
; %bb.394:
	s_or_b64 exec, exec, s[14:15]
	v_lshrrev_b32_e32 v1, 24, v1
	s_movk_i32 s14, 0x80
	v_and_or_b32 v11, v1, s14, v2
.LBB233_395:
	s_or_b64 exec, exec, s[12:13]
.LBB233_396:
	s_or_b64 exec, exec, s[10:11]
                                        ; implicit-def: $vgpr7_vgpr8
.LBB233_397:
	s_andn2_saveexec_b64 s[6:7], s[6:7]
	s_cbranch_execz .LBB233_455
; %bb.398:
	v_cmp_lt_i16_e32 vcc, 1, v10
                                        ; implicit-def: $vgpr11
	s_and_saveexec_b64 s[10:11], vcc
	s_xor_b64 s[10:11], exec, s[10:11]
	s_cbranch_execz .LBB233_432
; %bb.399:
	v_cmp_lt_i16_e32 vcc, 2, v10
                                        ; implicit-def: $vgpr11
	s_and_saveexec_b64 s[12:13], vcc
	s_xor_b64 s[12:13], exec, s[12:13]
	;; [unrolled: 6-line block ×3, first 2 shown]
	s_cbranch_execz .LBB233_410
; %bb.401:
	flat_load_dwordx2 v[1:2], v[7:8]
	s_mov_b32 s16, 0x47800000
	s_waitcnt vmcnt(0) lgkmcnt(0)
	v_xor_b32_e32 v4, v1, v2
	v_ffbh_i32_e32 v3, v2
	v_ashrrev_i32_e32 v4, 31, v4
	v_add_u32_e32 v3, -1, v3
	v_add_u32_e32 v4, 32, v4
	v_min_u32_e32 v3, v3, v4
	v_lshlrev_b64 v[1:2], v3, v[1:2]
	v_min_u32_e32 v1, 1, v1
	v_or_b32_e32 v1, v2, v1
	v_cvt_f32_i32_e32 v1, v1
	v_sub_u32_e32 v2, 32, v3
	v_ldexp_f32 v1, v1, v2
	v_and_b32_e32 v3, 0x7fffffff, v1
	v_cmp_gt_u32_e32 vcc, s16, v3
                                        ; implicit-def: $vgpr2
	s_and_saveexec_b64 s[16:17], vcc
	s_xor_b64 s[16:17], exec, s[16:17]
	s_cbranch_execz .LBB233_407
; %bb.402:
	s_mov_b32 s18, 0x387fffff
	v_cmp_lt_u32_e32 vcc, s18, v3
                                        ; implicit-def: $vgpr2
	s_and_saveexec_b64 s[18:19], vcc
	s_xor_b64 s[18:19], exec, s[18:19]
; %bb.403:
	v_bfe_u32 v2, v1, 21, 1
	s_mov_b32 s20, 0x80fffff
	v_add3_u32 v2, v1, v2, s20
	v_lshrrev_b32_e32 v2, 21, v2
; %bb.404:
	s_andn2_saveexec_b64 s[18:19], s[18:19]
; %bb.405:
	s_mov_b32 s20, 0x43000000
	v_add_f32_e64 v2, |v1|, s20
; %bb.406:
	s_or_b64 exec, exec, s[18:19]
                                        ; implicit-def: $vgpr3
.LBB233_407:
	s_andn2_saveexec_b64 s[16:17], s[16:17]
; %bb.408:
	s_mov_b32 s18, 0x7f800000
	v_mov_b32_e32 v2, 0x7c
	v_mov_b32_e32 v4, 0x7f
	v_cmp_lt_u32_e32 vcc, s18, v3
	v_cndmask_b32_e32 v2, v2, v4, vcc
; %bb.409:
	s_or_b64 exec, exec, s[16:17]
	v_lshrrev_b32_e32 v1, 24, v1
	s_movk_i32 s16, 0x80
	v_and_or_b32 v11, v1, s16, v2
                                        ; implicit-def: $vgpr7_vgpr8
.LBB233_410:
	s_andn2_saveexec_b64 s[14:15], s[14:15]
	s_cbranch_execz .LBB233_420
; %bb.411:
	flat_load_dword v1, v[7:8]
	s_mov_b32 s16, 0x47800000
                                        ; implicit-def: $vgpr2
	s_waitcnt vmcnt(0) lgkmcnt(0)
	v_cvt_f32_i32_e32 v1, v1
	v_and_b32_e32 v3, 0x7fffffff, v1
	v_cmp_gt_u32_e32 vcc, s16, v3
	s_and_saveexec_b64 s[16:17], vcc
	s_xor_b64 s[16:17], exec, s[16:17]
	s_cbranch_execz .LBB233_417
; %bb.412:
	s_mov_b32 s18, 0x387fffff
	v_cmp_lt_u32_e32 vcc, s18, v3
                                        ; implicit-def: $vgpr2
	s_and_saveexec_b64 s[18:19], vcc
	s_xor_b64 s[18:19], exec, s[18:19]
; %bb.413:
	v_bfe_u32 v2, v1, 21, 1
	s_mov_b32 s20, 0x80fffff
	v_add3_u32 v2, v1, v2, s20
	v_lshrrev_b32_e32 v2, 21, v2
; %bb.414:
	s_andn2_saveexec_b64 s[18:19], s[18:19]
; %bb.415:
	s_mov_b32 s20, 0x43000000
	v_add_f32_e64 v2, |v1|, s20
; %bb.416:
	s_or_b64 exec, exec, s[18:19]
                                        ; implicit-def: $vgpr3
.LBB233_417:
	s_andn2_saveexec_b64 s[16:17], s[16:17]
; %bb.418:
	s_mov_b32 s18, 0x7f800000
	v_mov_b32_e32 v2, 0x7c
	v_mov_b32_e32 v4, 0x7f
	v_cmp_lt_u32_e32 vcc, s18, v3
	v_cndmask_b32_e32 v2, v2, v4, vcc
; %bb.419:
	s_or_b64 exec, exec, s[16:17]
	v_lshrrev_b32_e32 v1, 24, v1
	s_movk_i32 s16, 0x80
	v_and_or_b32 v11, v1, s16, v2
.LBB233_420:
	s_or_b64 exec, exec, s[14:15]
                                        ; implicit-def: $vgpr7_vgpr8
.LBB233_421:
	s_andn2_saveexec_b64 s[12:13], s[12:13]
	s_cbranch_execz .LBB233_431
; %bb.422:
	flat_load_sshort v1, v[7:8]
	s_mov_b32 s14, 0x47800000
                                        ; implicit-def: $vgpr2
	s_waitcnt vmcnt(0) lgkmcnt(0)
	v_cvt_f32_i32_e32 v1, v1
	v_and_b32_e32 v3, 0x7fffffff, v1
	v_cmp_gt_u32_e32 vcc, s14, v3
	s_and_saveexec_b64 s[14:15], vcc
	s_xor_b64 s[14:15], exec, s[14:15]
	s_cbranch_execz .LBB233_428
; %bb.423:
	s_mov_b32 s16, 0x387fffff
	v_cmp_lt_u32_e32 vcc, s16, v3
                                        ; implicit-def: $vgpr2
	s_and_saveexec_b64 s[16:17], vcc
	s_xor_b64 s[16:17], exec, s[16:17]
; %bb.424:
	v_bfe_u32 v2, v1, 21, 1
	s_mov_b32 s18, 0x80fffff
	v_add3_u32 v2, v1, v2, s18
	v_lshrrev_b32_e32 v2, 21, v2
; %bb.425:
	s_andn2_saveexec_b64 s[16:17], s[16:17]
; %bb.426:
	s_mov_b32 s18, 0x43000000
	v_add_f32_e64 v2, |v1|, s18
; %bb.427:
	s_or_b64 exec, exec, s[16:17]
                                        ; implicit-def: $vgpr3
.LBB233_428:
	s_andn2_saveexec_b64 s[14:15], s[14:15]
; %bb.429:
	s_mov_b32 s16, 0x7f800000
	v_mov_b32_e32 v2, 0x7c
	v_mov_b32_e32 v4, 0x7f
	v_cmp_lt_u32_e32 vcc, s16, v3
	v_cndmask_b32_e32 v2, v2, v4, vcc
; %bb.430:
	s_or_b64 exec, exec, s[14:15]
	v_lshrrev_b32_e32 v1, 24, v1
	s_movk_i32 s14, 0x80
	v_and_or_b32 v11, v1, s14, v2
.LBB233_431:
	s_or_b64 exec, exec, s[12:13]
                                        ; implicit-def: $vgpr7_vgpr8
.LBB233_432:
	s_andn2_saveexec_b64 s[10:11], s[10:11]
	s_cbranch_execz .LBB233_454
; %bb.433:
	v_cmp_lt_i16_e32 vcc, 0, v10
                                        ; implicit-def: $vgpr11
	s_and_saveexec_b64 s[12:13], vcc
	s_xor_b64 s[12:13], exec, s[12:13]
	s_cbranch_execz .LBB233_443
; %bb.434:
	flat_load_sbyte v1, v[7:8]
	s_mov_b32 s14, 0x47800000
                                        ; implicit-def: $vgpr2
	s_waitcnt vmcnt(0) lgkmcnt(0)
	v_cvt_f32_i32_e32 v1, v1
	v_and_b32_e32 v3, 0x7fffffff, v1
	v_cmp_gt_u32_e32 vcc, s14, v3
	s_and_saveexec_b64 s[14:15], vcc
	s_xor_b64 s[14:15], exec, s[14:15]
	s_cbranch_execz .LBB233_440
; %bb.435:
	s_mov_b32 s16, 0x387fffff
	v_cmp_lt_u32_e32 vcc, s16, v3
                                        ; implicit-def: $vgpr2
	s_and_saveexec_b64 s[16:17], vcc
	s_xor_b64 s[16:17], exec, s[16:17]
; %bb.436:
	v_bfe_u32 v2, v1, 21, 1
	s_mov_b32 s18, 0x80fffff
	v_add3_u32 v2, v1, v2, s18
	v_lshrrev_b32_e32 v2, 21, v2
; %bb.437:
	s_andn2_saveexec_b64 s[16:17], s[16:17]
; %bb.438:
	s_mov_b32 s18, 0x43000000
	v_add_f32_e64 v2, |v1|, s18
; %bb.439:
	s_or_b64 exec, exec, s[16:17]
                                        ; implicit-def: $vgpr3
.LBB233_440:
	s_andn2_saveexec_b64 s[14:15], s[14:15]
; %bb.441:
	s_mov_b32 s16, 0x7f800000
	v_mov_b32_e32 v2, 0x7c
	v_mov_b32_e32 v4, 0x7f
	v_cmp_lt_u32_e32 vcc, s16, v3
	v_cndmask_b32_e32 v2, v2, v4, vcc
; %bb.442:
	s_or_b64 exec, exec, s[14:15]
	v_lshrrev_b32_e32 v1, 24, v1
	s_movk_i32 s14, 0x80
	v_and_or_b32 v11, v1, s14, v2
                                        ; implicit-def: $vgpr7_vgpr8
.LBB233_443:
	s_andn2_saveexec_b64 s[12:13], s[12:13]
	s_cbranch_execz .LBB233_453
; %bb.444:
	flat_load_ubyte v1, v[7:8]
	s_mov_b32 s14, 0x47800000
                                        ; implicit-def: $vgpr11
	s_waitcnt vmcnt(0) lgkmcnt(0)
	v_cvt_f32_ubyte0_e32 v1, v1
	v_cmp_gt_u32_e32 vcc, s14, v1
	s_and_saveexec_b64 s[14:15], vcc
	s_xor_b64 s[14:15], exec, s[14:15]
	s_cbranch_execz .LBB233_450
; %bb.445:
	s_mov_b32 s16, 0x387fffff
	v_cmp_lt_u32_e32 vcc, s16, v1
                                        ; implicit-def: $vgpr11
	s_and_saveexec_b64 s[16:17], vcc
	s_xor_b64 s[16:17], exec, s[16:17]
; %bb.446:
	v_bfe_u32 v2, v1, 21, 1
	s_mov_b32 s18, 0x80fffff
	v_add3_u32 v1, v1, v2, s18
	v_lshrrev_b32_e32 v11, 21, v1
                                        ; implicit-def: $vgpr1
; %bb.447:
	s_andn2_saveexec_b64 s[16:17], s[16:17]
; %bb.448:
	v_add_f32_e32 v11, 0x43000000, v1
; %bb.449:
	s_or_b64 exec, exec, s[16:17]
                                        ; implicit-def: $vgpr1
.LBB233_450:
	s_andn2_saveexec_b64 s[14:15], s[14:15]
; %bb.451:
	s_mov_b32 s16, 0x7f800000
	v_mov_b32_e32 v2, 0x7c
	v_mov_b32_e32 v3, 0x7f
	v_cmp_lt_u32_e32 vcc, s16, v1
	v_cndmask_b32_e32 v11, v2, v3, vcc
; %bb.452:
	s_or_b64 exec, exec, s[14:15]
.LBB233_453:
	s_or_b64 exec, exec, s[12:13]
.LBB233_454:
	s_or_b64 exec, exec, s[10:11]
.LBB233_455:
	s_or_b64 exec, exec, s[6:7]
	s_or_b64 s[8:9], s[8:9], exec
	s_or_b64 exec, exec, s[4:5]
                                        ; implicit-def: $sgpr6_sgpr7
	s_and_saveexec_b64 s[4:5], s[8:9]
	s_cbranch_execnz .LBB233_323
.LBB233_456:
	s_or_b64 exec, exec, s[4:5]
	v_cndmask_b32_e64 v0, 0, 1, s[6:7]
	s_waitcnt vmcnt(0) lgkmcnt(0)
	s_setpc_b64 s[30:31]
.LBB233_457:
	s_andn2_saveexec_b64 s[8:9], s[8:9]
	s_cbranch_execz .LBB233_83
.LBB233_458:
	v_cmp_lt_i16_e32 vcc, 22, v10
	s_mov_b64 s[14:15], s[10:11]
                                        ; implicit-def: $vgpr9
	s_and_saveexec_b64 s[4:5], vcc
	s_xor_b64 s[4:5], exec, s[4:5]
	s_cbranch_execz .LBB233_490
; %bb.459:
	v_cmp_lt_i16_e32 vcc, 23, v10
                                        ; implicit-def: $vgpr9
	s_and_saveexec_b64 s[14:15], vcc
	s_xor_b64 s[14:15], exec, s[14:15]
	s_cbranch_execz .LBB233_487
; %bb.460:
	v_cmp_lt_i16_e32 vcc, 24, v10
                                        ; implicit-def: $vgpr9
	s_and_saveexec_b64 s[16:17], vcc
	s_xor_b64 s[16:17], exec, s[16:17]
	s_cbranch_execz .LBB233_476
; %bb.461:
	flat_load_ubyte v10, v[7:8]
	s_movk_i32 s18, 0x7f
	s_waitcnt vmcnt(0) lgkmcnt(0)
	v_cmp_lt_i16_e32 vcc, s18, v10
	s_mov_b64 s[18:19], 0
	s_and_saveexec_b64 s[20:21], vcc
	s_xor_b64 s[20:21], exec, s[20:21]
	s_cbranch_execz .LBB233_563
; %bb.462:
	s_movk_i32 s18, 0x80
	v_cmp_eq_u16_e32 vcc, s18, v10
	s_mov_b64 s[18:19], -1
	s_and_saveexec_b64 s[22:23], vcc
; %bb.463:
	s_xor_b64 s[18:19], exec, -1
; %bb.464:
	s_or_b64 exec, exec, s[22:23]
	s_and_b64 s[18:19], s[18:19], exec
	s_or_saveexec_b64 s[20:21], s[20:21]
	v_mov_b32_e32 v9, 0x7f800001
	s_xor_b64 exec, exec, s[20:21]
	s_cbranch_execnz .LBB233_564
.LBB233_465:
	s_or_b64 exec, exec, s[20:21]
	s_and_saveexec_b64 s[20:21], s[18:19]
	s_cbranch_execz .LBB233_467
.LBB233_466:
	v_lshlrev_b32_e32 v9, 24, v10
	v_and_b32_e32 v10, 0xffff, v10
	v_and_b32_e32 v11, 3, v10
	v_ffbh_u32_e32 v13, v11
	v_min_u32_e32 v13, 32, v13
	v_subrev_u32_e32 v14, 29, v13
	v_bfe_u32 v12, v10, 2, 5
	v_lshlrev_b32_e32 v10, v14, v10
	v_sub_u32_e32 v13, 30, v13
	v_and_b32_e32 v10, 3, v10
	v_cmp_eq_u32_e32 vcc, 0, v12
	v_cndmask_b32_e32 v12, v12, v13, vcc
	v_cndmask_b32_e32 v10, v11, v10, vcc
	v_mov_b32_e32 v11, 0x37800000
	v_lshlrev_b32_e32 v10, 21, v10
	v_and_b32_e32 v9, 0x80000000, v9
	v_lshl_add_u32 v11, v12, 23, v11
	v_or3_b32 v9, v9, v11, v10
.LBB233_467:
	s_or_b64 exec, exec, s[20:21]
	v_and_b32_e32 v11, 0x7fffffff, v9
	s_mov_b32 s18, 0x47800000
	v_cmp_gt_u32_e32 vcc, s18, v11
                                        ; implicit-def: $vgpr10
	s_and_saveexec_b64 s[18:19], vcc
	s_xor_b64 s[18:19], exec, s[18:19]
	s_cbranch_execz .LBB233_473
; %bb.468:
	s_mov_b32 s20, 0x387fffff
	v_cmp_lt_u32_e32 vcc, s20, v11
                                        ; implicit-def: $vgpr10
	s_and_saveexec_b64 s[20:21], vcc
	s_xor_b64 s[20:21], exec, s[20:21]
; %bb.469:
	v_bfe_u32 v10, v9, 21, 1
	s_mov_b32 s22, 0x80fffff
	v_add3_u32 v10, v9, v10, s22
	v_lshrrev_b32_e32 v10, 21, v10
; %bb.470:
	s_andn2_saveexec_b64 s[20:21], s[20:21]
; %bb.471:
	s_mov_b32 s22, 0x43000000
	v_add_f32_e64 v10, |v9|, s22
; %bb.472:
	s_or_b64 exec, exec, s[20:21]
                                        ; implicit-def: $vgpr11
.LBB233_473:
	s_andn2_saveexec_b64 s[18:19], s[18:19]
; %bb.474:
	s_mov_b32 s20, 0x7f800000
	v_mov_b32_e32 v10, 0x7c
	v_mov_b32_e32 v12, 0x7f
	v_cmp_lt_u32_e32 vcc, s20, v11
	v_cndmask_b32_e32 v10, v10, v12, vcc
; %bb.475:
	s_or_b64 exec, exec, s[18:19]
	v_lshrrev_b32_e32 v9, 24, v9
	s_movk_i32 s18, 0x80
	v_and_or_b32 v9, v9, s18, v10
.LBB233_476:
	s_andn2_saveexec_b64 s[16:17], s[16:17]
	s_cbranch_execz .LBB233_486
; %bb.477:
	flat_load_ubyte v9, v[7:8]
	s_mov_b32 s18, 0x7f800000
	s_brev_b32 s19, 1
	s_waitcnt vmcnt(0) lgkmcnt(0)
	v_lshlrev_b32_e32 v9, 24, v9
	v_and_b32_e32 v10, 0x7f000000, v9
	v_ffbh_u32_e32 v11, v10
	v_min_u32_e32 v11, 32, v11
	v_sub_u32_e64 v11, v11, 4 clamp
	v_lshlrev_b32_e32 v13, v11, v10
	v_lshlrev_b32_e32 v11, 23, v11
	v_lshrrev_b32_e32 v13, 4, v13
	v_add_u32_e32 v12, 0x1000000, v10
	v_sub_u32_e32 v11, v13, v11
	v_ashrrev_i32_e32 v12, 8, v12
	v_add_u32_e32 v11, 0x3c000000, v11
	v_and_or_b32 v11, v12, s18, v11
	v_cmp_ne_u32_e32 vcc, 0, v10
	v_cndmask_b32_e32 v12, 0, v11, vcc
	v_and_or_b32 v9, v9, s19, v12
	v_and_b32_e32 v11, 0x7fffffff, v9
	s_mov_b32 s18, 0x47800000
	v_cmp_gt_u32_e32 vcc, s18, v11
                                        ; implicit-def: $vgpr10
	s_and_saveexec_b64 s[18:19], vcc
	s_xor_b64 s[18:19], exec, s[18:19]
	s_cbranch_execz .LBB233_483
; %bb.478:
	s_mov_b32 s20, 0x387fffff
	v_cmp_lt_u32_e32 vcc, s20, v11
                                        ; implicit-def: $vgpr10
	s_and_saveexec_b64 s[20:21], vcc
	s_xor_b64 s[20:21], exec, s[20:21]
; %bb.479:
	v_bfe_u32 v10, v12, 21, 1
	s_mov_b32 s22, 0x80fffff
	v_add3_u32 v10, v9, v10, s22
	v_lshrrev_b32_e32 v10, 21, v10
; %bb.480:
	s_andn2_saveexec_b64 s[20:21], s[20:21]
; %bb.481:
	s_mov_b32 s22, 0x43000000
	v_add_f32_e64 v10, |v9|, s22
; %bb.482:
	s_or_b64 exec, exec, s[20:21]
                                        ; implicit-def: $vgpr11
.LBB233_483:
	s_andn2_saveexec_b64 s[18:19], s[18:19]
; %bb.484:
	s_mov_b32 s20, 0x7f800000
	v_mov_b32_e32 v10, 0x7c
	v_mov_b32_e32 v12, 0x7f
	v_cmp_lt_u32_e32 vcc, s20, v11
	v_cndmask_b32_e32 v10, v10, v12, vcc
; %bb.485:
	s_or_b64 exec, exec, s[18:19]
	v_lshrrev_b32_e32 v9, 24, v9
	s_movk_i32 s18, 0x80
	v_and_or_b32 v9, v9, s18, v10
.LBB233_486:
	s_or_b64 exec, exec, s[16:17]
.LBB233_487:
	s_andn2_saveexec_b64 s[14:15], s[14:15]
	s_cbranch_execz .LBB233_489
; %bb.488:
	flat_load_ubyte v9, v[7:8]
.LBB233_489:
	s_or_b64 exec, exec, s[14:15]
	s_or_b64 s[14:15], s[10:11], exec
                                        ; implicit-def: $vgpr10
.LBB233_490:
	s_or_saveexec_b64 s[4:5], s[4:5]
	s_mov_b64 s[16:17], 0
	s_mov_b64 s[18:19], s[12:13]
	s_xor_b64 exec, exec, s[4:5]
	s_cbranch_execz .LBB233_506
; %bb.491:
	v_cmp_lt_i16_e32 vcc, 14, v10
	s_mov_b64 s[18:19], s[12:13]
	s_mov_b64 s[20:21], s[14:15]
                                        ; implicit-def: $vgpr9
	s_and_saveexec_b64 s[16:17], vcc
	s_xor_b64 s[16:17], exec, s[16:17]
	s_cbranch_execz .LBB233_503
; %bb.492:
	v_cmp_eq_u16_e32 vcc, 15, v10
	s_mov_b64 s[22:23], -1
	s_mov_b64 s[20:21], s[14:15]
                                        ; implicit-def: $vgpr9
	s_and_saveexec_b64 s[18:19], vcc
	s_cbranch_execz .LBB233_502
; %bb.493:
	s_waitcnt vmcnt(0) lgkmcnt(0)
	flat_load_ushort v9, v[7:8]
	s_mov_b32 s20, 0x47800000
                                        ; implicit-def: $vgpr10
	s_waitcnt vmcnt(0) lgkmcnt(0)
	v_lshlrev_b32_e32 v11, 16, v9
	v_and_b32_e32 v12, 0x7fffffff, v11
	v_cmp_gt_u32_e32 vcc, s20, v12
	s_and_saveexec_b64 s[20:21], vcc
	s_xor_b64 s[20:21], exec, s[20:21]
	s_cbranch_execz .LBB233_499
; %bb.494:
	s_mov_b32 s22, 0x387fffff
	v_cmp_lt_u32_e32 vcc, s22, v12
                                        ; implicit-def: $vgpr10
	s_and_saveexec_b64 s[22:23], vcc
	s_xor_b64 s[22:23], exec, s[22:23]
; %bb.495:
	v_bfe_u32 v10, v9, 5, 1
	s_mov_b32 s24, 0x80fffff
	v_add3_u32 v10, v11, v10, s24
	v_lshrrev_b32_e32 v10, 21, v10
                                        ; implicit-def: $vgpr11
; %bb.496:
	s_andn2_saveexec_b64 s[22:23], s[22:23]
; %bb.497:
	s_mov_b32 s24, 0x43000000
	v_add_f32_e64 v10, |v11|, s24
; %bb.498:
	s_or_b64 exec, exec, s[22:23]
                                        ; implicit-def: $vgpr12
.LBB233_499:
	s_andn2_saveexec_b64 s[20:21], s[20:21]
; %bb.500:
	s_mov_b32 s22, 0x7f800000
	v_mov_b32_e32 v10, 0x7c
	v_mov_b32_e32 v11, 0x7f
	v_cmp_lt_u32_e32 vcc, s22, v12
	v_cndmask_b32_e32 v10, v10, v11, vcc
; %bb.501:
	s_or_b64 exec, exec, s[20:21]
	v_lshrrev_b32_e32 v9, 8, v9
	s_movk_i32 s20, 0x80
	v_and_or_b32 v9, v9, s20, v10
	s_or_b64 s[20:21], s[14:15], exec
	s_xor_b64 s[22:23], exec, -1
.LBB233_502:
	s_or_b64 exec, exec, s[18:19]
	s_andn2_b64 s[18:19], s[14:15], exec
	s_and_b64 s[20:21], s[20:21], exec
	s_or_b64 s[20:21], s[18:19], s[20:21]
	s_andn2_b64 s[18:19], s[12:13], exec
	s_and_b64 s[22:23], s[22:23], exec
	s_or_b64 s[18:19], s[18:19], s[22:23]
                                        ; implicit-def: $vgpr10
.LBB233_503:
	s_or_saveexec_b64 s[16:17], s[16:17]
	s_mov_b64 s[22:23], 0
	s_xor_b64 exec, exec, s[16:17]
; %bb.504:
	v_cmp_ne_u16_e32 vcc, 11, v10
	s_andn2_b64 s[18:19], s[18:19], exec
	s_and_b64 s[24:25], vcc, exec
	s_mov_b64 s[22:23], exec
	s_or_b64 s[18:19], s[18:19], s[24:25]
; %bb.505:
	s_or_b64 exec, exec, s[16:17]
	s_andn2_b64 s[14:15], s[14:15], exec
	s_and_b64 s[16:17], s[20:21], exec
	s_andn2_b64 s[20:21], s[12:13], exec
	s_and_b64 s[18:19], s[18:19], exec
	s_or_b64 s[14:15], s[14:15], s[16:17]
	s_and_b64 s[16:17], s[22:23], exec
	s_or_b64 s[18:19], s[20:21], s[18:19]
.LBB233_506:
	s_or_b64 exec, exec, s[4:5]
	s_andn2_b64 s[4:5], s[10:11], exec
	s_and_b64 s[10:11], s[14:15], exec
	s_andn2_b64 s[12:13], s[12:13], exec
	s_and_b64 s[14:15], s[18:19], exec
	s_or_b64 s[10:11], s[4:5], s[10:11]
	s_and_b64 s[4:5], s[16:17], exec
	s_or_b64 s[12:13], s[12:13], s[14:15]
	s_or_b64 exec, exec, s[8:9]
	s_mov_b64 s[8:9], 0
	s_and_saveexec_b64 s[14:15], s[12:13]
	s_cbranch_execz .LBB233_84
.LBB233_507:
	s_mov_b64 s[8:9], exec
	s_trap 2
	s_andn2_b64 s[4:5], s[4:5], exec
	s_or_b64 exec, exec, s[14:15]
	s_and_saveexec_b64 s[12:13], s[4:5]
	s_cbranch_execnz .LBB233_85
	s_branch .LBB233_94
.LBB233_508:
	s_andn2_saveexec_b64 s[12:13], s[12:13]
	s_cbranch_execz .LBB233_309
.LBB233_509:
	v_cmp_lt_i16_e32 vcc, 22, v10
	s_mov_b64 s[18:19], s[14:15]
                                        ; implicit-def: $vgpr11
	s_and_saveexec_b64 s[10:11], vcc
	s_xor_b64 s[10:11], exec, s[10:11]
	s_cbranch_execz .LBB233_541
; %bb.510:
	v_cmp_lt_i16_e32 vcc, 23, v10
                                        ; implicit-def: $vgpr11
	s_and_saveexec_b64 s[18:19], vcc
	s_xor_b64 s[18:19], exec, s[18:19]
	s_cbranch_execz .LBB233_538
; %bb.511:
	v_cmp_lt_i16_e32 vcc, 24, v10
                                        ; implicit-def: $vgpr11
	s_and_saveexec_b64 s[20:21], vcc
	s_xor_b64 s[20:21], exec, s[20:21]
	s_cbranch_execz .LBB233_527
; %bb.512:
	flat_load_ubyte v2, v[7:8]
	s_movk_i32 s22, 0x7f
	s_waitcnt vmcnt(0) lgkmcnt(0)
	v_cmp_lt_i16_e32 vcc, s22, v2
	s_mov_b64 s[22:23], 0
	s_and_saveexec_b64 s[24:25], vcc
	s_xor_b64 s[24:25], exec, s[24:25]
	s_cbranch_execz .LBB233_565
; %bb.513:
	s_movk_i32 s22, 0x80
	v_cmp_eq_u16_e32 vcc, s22, v2
	s_mov_b64 s[22:23], -1
	s_and_saveexec_b64 s[26:27], vcc
; %bb.514:
	s_xor_b64 s[22:23], exec, -1
; %bb.515:
	s_or_b64 exec, exec, s[26:27]
	s_and_b64 s[22:23], s[22:23], exec
	s_or_saveexec_b64 s[24:25], s[24:25]
	v_mov_b32_e32 v1, 0x7f800001
	s_xor_b64 exec, exec, s[24:25]
	s_cbranch_execnz .LBB233_566
.LBB233_516:
	s_or_b64 exec, exec, s[24:25]
	s_and_saveexec_b64 s[24:25], s[22:23]
	s_cbranch_execz .LBB233_518
.LBB233_517:
	v_lshlrev_b32_e32 v1, 24, v2
	v_and_b32_e32 v2, 0xffff, v2
	v_and_b32_e32 v3, 3, v2
	v_ffbh_u32_e32 v5, v3
	v_min_u32_e32 v5, 32, v5
	v_subrev_u32_e32 v6, 29, v5
	v_bfe_u32 v4, v2, 2, 5
	v_lshlrev_b32_e32 v2, v6, v2
	v_sub_u32_e32 v5, 30, v5
	v_and_b32_e32 v2, 3, v2
	v_cmp_eq_u32_e32 vcc, 0, v4
	v_cndmask_b32_e32 v4, v4, v5, vcc
	v_cndmask_b32_e32 v2, v3, v2, vcc
	v_mov_b32_e32 v3, 0x37800000
	v_lshlrev_b32_e32 v2, 21, v2
	v_and_b32_e32 v1, 0x80000000, v1
	v_lshl_add_u32 v3, v4, 23, v3
	v_or3_b32 v1, v1, v3, v2
.LBB233_518:
	s_or_b64 exec, exec, s[24:25]
	v_and_b32_e32 v3, 0x7fffffff, v1
	s_mov_b32 s22, 0x47800000
	v_cmp_gt_u32_e32 vcc, s22, v3
                                        ; implicit-def: $vgpr2
	s_and_saveexec_b64 s[22:23], vcc
	s_xor_b64 s[22:23], exec, s[22:23]
	s_cbranch_execz .LBB233_524
; %bb.519:
	s_mov_b32 s24, 0x387fffff
	v_cmp_lt_u32_e32 vcc, s24, v3
                                        ; implicit-def: $vgpr2
	s_and_saveexec_b64 s[24:25], vcc
	s_xor_b64 s[24:25], exec, s[24:25]
; %bb.520:
	v_bfe_u32 v2, v1, 21, 1
	s_mov_b32 s26, 0x80fffff
	v_add3_u32 v2, v1, v2, s26
	v_lshrrev_b32_e32 v2, 21, v2
; %bb.521:
	s_andn2_saveexec_b64 s[24:25], s[24:25]
; %bb.522:
	s_mov_b32 s26, 0x43000000
	v_add_f32_e64 v2, |v1|, s26
; %bb.523:
	s_or_b64 exec, exec, s[24:25]
                                        ; implicit-def: $vgpr3
.LBB233_524:
	s_andn2_saveexec_b64 s[22:23], s[22:23]
; %bb.525:
	s_mov_b32 s24, 0x7f800000
	v_mov_b32_e32 v2, 0x7c
	v_mov_b32_e32 v4, 0x7f
	v_cmp_lt_u32_e32 vcc, s24, v3
	v_cndmask_b32_e32 v2, v2, v4, vcc
; %bb.526:
	s_or_b64 exec, exec, s[22:23]
	v_lshrrev_b32_e32 v1, 24, v1
	s_movk_i32 s22, 0x80
	v_and_or_b32 v11, v1, s22, v2
.LBB233_527:
	s_andn2_saveexec_b64 s[20:21], s[20:21]
	s_cbranch_execz .LBB233_537
; %bb.528:
	flat_load_ubyte v1, v[7:8]
	s_mov_b32 s22, 0x7f800000
	s_brev_b32 s23, 1
	s_waitcnt vmcnt(0) lgkmcnt(0)
	v_lshlrev_b32_e32 v1, 24, v1
	v_and_b32_e32 v2, 0x7f000000, v1
	v_ffbh_u32_e32 v3, v2
	v_min_u32_e32 v3, 32, v3
	v_sub_u32_e64 v3, v3, 4 clamp
	v_lshlrev_b32_e32 v5, v3, v2
	v_lshlrev_b32_e32 v3, 23, v3
	v_lshrrev_b32_e32 v5, 4, v5
	v_add_u32_e32 v4, 0x1000000, v2
	v_sub_u32_e32 v3, v5, v3
	v_ashrrev_i32_e32 v4, 8, v4
	v_add_u32_e32 v3, 0x3c000000, v3
	v_and_or_b32 v3, v4, s22, v3
	v_cmp_ne_u32_e32 vcc, 0, v2
	v_cndmask_b32_e32 v4, 0, v3, vcc
	v_and_or_b32 v1, v1, s23, v4
	v_and_b32_e32 v3, 0x7fffffff, v1
	s_mov_b32 s22, 0x47800000
	v_cmp_gt_u32_e32 vcc, s22, v3
                                        ; implicit-def: $vgpr2
	s_and_saveexec_b64 s[22:23], vcc
	s_xor_b64 s[22:23], exec, s[22:23]
	s_cbranch_execz .LBB233_534
; %bb.529:
	s_mov_b32 s24, 0x387fffff
	v_cmp_lt_u32_e32 vcc, s24, v3
                                        ; implicit-def: $vgpr2
	s_and_saveexec_b64 s[24:25], vcc
	s_xor_b64 s[24:25], exec, s[24:25]
; %bb.530:
	v_bfe_u32 v2, v4, 21, 1
	s_mov_b32 s26, 0x80fffff
	v_add3_u32 v2, v1, v2, s26
	v_lshrrev_b32_e32 v2, 21, v2
; %bb.531:
	s_andn2_saveexec_b64 s[24:25], s[24:25]
; %bb.532:
	s_mov_b32 s26, 0x43000000
	v_add_f32_e64 v2, |v1|, s26
; %bb.533:
	s_or_b64 exec, exec, s[24:25]
                                        ; implicit-def: $vgpr3
.LBB233_534:
	s_andn2_saveexec_b64 s[22:23], s[22:23]
; %bb.535:
	s_mov_b32 s24, 0x7f800000
	v_mov_b32_e32 v2, 0x7c
	v_mov_b32_e32 v4, 0x7f
	v_cmp_lt_u32_e32 vcc, s24, v3
	v_cndmask_b32_e32 v2, v2, v4, vcc
; %bb.536:
	s_or_b64 exec, exec, s[22:23]
	v_lshrrev_b32_e32 v1, 24, v1
	s_movk_i32 s22, 0x80
	v_and_or_b32 v11, v1, s22, v2
.LBB233_537:
	s_or_b64 exec, exec, s[20:21]
.LBB233_538:
	s_andn2_saveexec_b64 s[18:19], s[18:19]
	s_cbranch_execz .LBB233_540
; %bb.539:
	flat_load_ubyte v11, v[7:8]
.LBB233_540:
	s_or_b64 exec, exec, s[18:19]
	s_or_b64 s[18:19], s[14:15], exec
.LBB233_541:
	s_or_saveexec_b64 s[10:11], s[10:11]
	s_mov_b64 s[20:21], 0
	s_mov_b64 s[22:23], s[16:17]
	s_xor_b64 exec, exec, s[10:11]
	s_cbranch_execz .LBB233_557
; %bb.542:
	v_cmp_lt_i16_e32 vcc, 14, v10
	s_mov_b64 s[22:23], s[16:17]
	s_mov_b64 s[24:25], s[18:19]
                                        ; implicit-def: $vgpr11
	s_and_saveexec_b64 s[20:21], vcc
	s_xor_b64 s[20:21], exec, s[20:21]
	s_cbranch_execz .LBB233_554
; %bb.543:
	v_cmp_eq_u16_e32 vcc, 15, v10
	s_mov_b64 s[26:27], -1
	s_mov_b64 s[24:25], s[18:19]
                                        ; implicit-def: $vgpr11
	s_and_saveexec_b64 s[22:23], vcc
	s_cbranch_execz .LBB233_553
; %bb.544:
	flat_load_ushort v1, v[7:8]
	s_mov_b32 s24, 0x47800000
                                        ; implicit-def: $vgpr2
	s_waitcnt vmcnt(0) lgkmcnt(0)
	v_lshlrev_b32_e32 v3, 16, v1
	v_and_b32_e32 v4, 0x7fffffff, v3
	v_cmp_gt_u32_e32 vcc, s24, v4
	s_and_saveexec_b64 s[24:25], vcc
	s_xor_b64 s[24:25], exec, s[24:25]
	s_cbranch_execz .LBB233_550
; %bb.545:
	s_mov_b32 s26, 0x387fffff
	v_cmp_lt_u32_e32 vcc, s26, v4
                                        ; implicit-def: $vgpr2
	s_and_saveexec_b64 s[26:27], vcc
	s_xor_b64 s[26:27], exec, s[26:27]
; %bb.546:
	v_bfe_u32 v2, v1, 5, 1
	s_mov_b32 s28, 0x80fffff
	v_add3_u32 v2, v3, v2, s28
	v_lshrrev_b32_e32 v2, 21, v2
                                        ; implicit-def: $vgpr3
; %bb.547:
	s_andn2_saveexec_b64 s[26:27], s[26:27]
; %bb.548:
	s_mov_b32 s28, 0x43000000
	v_add_f32_e64 v2, |v3|, s28
; %bb.549:
	s_or_b64 exec, exec, s[26:27]
                                        ; implicit-def: $vgpr4
.LBB233_550:
	s_andn2_saveexec_b64 s[24:25], s[24:25]
; %bb.551:
	s_mov_b32 s26, 0x7f800000
	v_mov_b32_e32 v2, 0x7c
	v_mov_b32_e32 v3, 0x7f
	v_cmp_lt_u32_e32 vcc, s26, v4
	v_cndmask_b32_e32 v2, v2, v3, vcc
; %bb.552:
	s_or_b64 exec, exec, s[24:25]
	v_lshrrev_b32_e32 v1, 8, v1
	s_movk_i32 s24, 0x80
	v_and_or_b32 v11, v1, s24, v2
	s_or_b64 s[24:25], s[18:19], exec
	s_xor_b64 s[26:27], exec, -1
.LBB233_553:
	s_or_b64 exec, exec, s[22:23]
	s_andn2_b64 s[22:23], s[18:19], exec
	s_and_b64 s[24:25], s[24:25], exec
	s_or_b64 s[24:25], s[22:23], s[24:25]
	s_andn2_b64 s[22:23], s[16:17], exec
	s_and_b64 s[26:27], s[26:27], exec
	s_or_b64 s[22:23], s[22:23], s[26:27]
.LBB233_554:
	s_or_saveexec_b64 s[20:21], s[20:21]
	s_mov_b64 s[26:27], 0
	s_xor_b64 exec, exec, s[20:21]
; %bb.555:
	v_cmp_ne_u16_e32 vcc, 11, v10
	s_andn2_b64 s[22:23], s[22:23], exec
	s_and_b64 s[28:29], vcc, exec
	s_mov_b64 s[26:27], exec
	s_or_b64 s[22:23], s[22:23], s[28:29]
; %bb.556:
	s_or_b64 exec, exec, s[20:21]
	s_andn2_b64 s[18:19], s[18:19], exec
	s_and_b64 s[20:21], s[24:25], exec
	s_andn2_b64 s[24:25], s[16:17], exec
	s_and_b64 s[22:23], s[22:23], exec
	s_or_b64 s[18:19], s[18:19], s[20:21]
	s_and_b64 s[20:21], s[26:27], exec
	s_or_b64 s[22:23], s[24:25], s[22:23]
.LBB233_557:
	s_or_b64 exec, exec, s[10:11]
	s_andn2_b64 s[10:11], s[14:15], exec
	s_and_b64 s[14:15], s[18:19], exec
	s_andn2_b64 s[16:17], s[16:17], exec
	s_and_b64 s[18:19], s[22:23], exec
	s_or_b64 s[14:15], s[10:11], s[14:15]
	s_and_b64 s[10:11], s[20:21], exec
	s_or_b64 s[16:17], s[16:17], s[18:19]
	s_or_b64 exec, exec, s[12:13]
	s_mov_b64 s[18:19], s[4:5]
	s_and_saveexec_b64 s[12:13], s[16:17]
	s_cbranch_execz .LBB233_310
.LBB233_558:
	s_andn2_b64 s[10:11], s[10:11], exec
	s_or_b64 s[18:19], s[4:5], exec
	s_trap 2
	s_branch .LBB233_310
.LBB233_559:
	s_or_saveexec_b64 s[20:21], s[20:21]
	v_mov_b32_e32 v9, 0x7f800001
	s_xor_b64 exec, exec, s[20:21]
	s_cbranch_execz .LBB233_70
.LBB233_560:
	v_cmp_ne_u16_e32 vcc, 0, v10
	s_andn2_b64 s[18:19], s[18:19], exec
	s_and_b64 s[22:23], vcc, exec
	v_mov_b32_e32 v9, 0
	s_or_b64 s[18:19], s[18:19], s[22:23]
	s_or_b64 exec, exec, s[20:21]
	s_and_saveexec_b64 s[20:21], s[18:19]
	s_cbranch_execnz .LBB233_71
	s_branch .LBB233_72
.LBB233_561:
	s_or_saveexec_b64 s[24:25], s[24:25]
	v_mov_b32_e32 v1, 0x7f800001
	s_xor_b64 exec, exec, s[24:25]
	s_cbranch_execz .LBB233_296
.LBB233_562:
	v_cmp_ne_u16_e32 vcc, 0, v2
	s_andn2_b64 s[22:23], s[22:23], exec
	s_and_b64 s[26:27], vcc, exec
	v_mov_b32_e32 v1, 0
	s_or_b64 s[22:23], s[22:23], s[26:27]
	s_or_b64 exec, exec, s[24:25]
	s_and_saveexec_b64 s[24:25], s[22:23]
	s_cbranch_execnz .LBB233_297
	s_branch .LBB233_298
.LBB233_563:
	s_or_saveexec_b64 s[20:21], s[20:21]
	v_mov_b32_e32 v9, 0x7f800001
	s_xor_b64 exec, exec, s[20:21]
	s_cbranch_execz .LBB233_465
.LBB233_564:
	v_cmp_ne_u16_e32 vcc, 0, v10
	s_andn2_b64 s[18:19], s[18:19], exec
	s_and_b64 s[22:23], vcc, exec
	v_mov_b32_e32 v9, 0
	s_or_b64 s[18:19], s[18:19], s[22:23]
	s_or_b64 exec, exec, s[20:21]
	s_and_saveexec_b64 s[20:21], s[18:19]
	s_cbranch_execnz .LBB233_466
	s_branch .LBB233_467
.LBB233_565:
	s_or_saveexec_b64 s[24:25], s[24:25]
	v_mov_b32_e32 v1, 0x7f800001
	s_xor_b64 exec, exec, s[24:25]
	s_cbranch_execz .LBB233_516
.LBB233_566:
	v_cmp_ne_u16_e32 vcc, 0, v2
	s_andn2_b64 s[22:23], s[22:23], exec
	s_and_b64 s[26:27], vcc, exec
	v_mov_b32_e32 v1, 0
	s_or_b64 s[22:23], s[22:23], s[26:27]
	s_or_b64 exec, exec, s[24:25]
	s_and_saveexec_b64 s[24:25], s[22:23]
	s_cbranch_execnz .LBB233_517
	s_branch .LBB233_518
.Lfunc_end233:
	.size	_ZN2at6native6invokeINS0_13BinaryFunctorIN3c1011Float8_e5m2ES4_bNS0_12_GLOBAL__N_116CompareEqFunctorIS4_EEEEj15function_traitsIS8_EEENT1_11result_typeERKT_PrKPcPKT0_PKNS3_10ScalarTypeEi, .Lfunc_end233-_ZN2at6native6invokeINS0_13BinaryFunctorIN3c1011Float8_e5m2ES4_bNS0_12_GLOBAL__N_116CompareEqFunctorIS4_EEEEj15function_traitsIS8_EEENT1_11result_typeERKT_PrKPcPKT0_PKNS3_10ScalarTypeEi
                                        ; -- End function
	.set .L_ZN2at6native6invokeINS0_13BinaryFunctorIN3c1011Float8_e5m2ES4_bNS0_12_GLOBAL__N_116CompareEqFunctorIS4_EEEEj15function_traitsIS8_EEENT1_11result_typeERKT_PrKPcPKT0_PKNS3_10ScalarTypeEi.num_vgpr, 15
	.set .L_ZN2at6native6invokeINS0_13BinaryFunctorIN3c1011Float8_e5m2ES4_bNS0_12_GLOBAL__N_116CompareEqFunctorIS4_EEEEj15function_traitsIS8_EEENT1_11result_typeERKT_PrKPcPKT0_PKNS3_10ScalarTypeEi.num_agpr, 0
	.set .L_ZN2at6native6invokeINS0_13BinaryFunctorIN3c1011Float8_e5m2ES4_bNS0_12_GLOBAL__N_116CompareEqFunctorIS4_EEEEj15function_traitsIS8_EEENT1_11result_typeERKT_PrKPcPKT0_PKNS3_10ScalarTypeEi.numbered_sgpr, 41
	.set .L_ZN2at6native6invokeINS0_13BinaryFunctorIN3c1011Float8_e5m2ES4_bNS0_12_GLOBAL__N_116CompareEqFunctorIS4_EEEEj15function_traitsIS8_EEENT1_11result_typeERKT_PrKPcPKT0_PKNS3_10ScalarTypeEi.num_named_barrier, 0
	.set .L_ZN2at6native6invokeINS0_13BinaryFunctorIN3c1011Float8_e5m2ES4_bNS0_12_GLOBAL__N_116CompareEqFunctorIS4_EEEEj15function_traitsIS8_EEENT1_11result_typeERKT_PrKPcPKT0_PKNS3_10ScalarTypeEi.private_seg_size, 0
	.set .L_ZN2at6native6invokeINS0_13BinaryFunctorIN3c1011Float8_e5m2ES4_bNS0_12_GLOBAL__N_116CompareEqFunctorIS4_EEEEj15function_traitsIS8_EEENT1_11result_typeERKT_PrKPcPKT0_PKNS3_10ScalarTypeEi.uses_vcc, 1
	.set .L_ZN2at6native6invokeINS0_13BinaryFunctorIN3c1011Float8_e5m2ES4_bNS0_12_GLOBAL__N_116CompareEqFunctorIS4_EEEEj15function_traitsIS8_EEENT1_11result_typeERKT_PrKPcPKT0_PKNS3_10ScalarTypeEi.uses_flat_scratch, 0
	.set .L_ZN2at6native6invokeINS0_13BinaryFunctorIN3c1011Float8_e5m2ES4_bNS0_12_GLOBAL__N_116CompareEqFunctorIS4_EEEEj15function_traitsIS8_EEENT1_11result_typeERKT_PrKPcPKT0_PKNS3_10ScalarTypeEi.has_dyn_sized_stack, 0
	.set .L_ZN2at6native6invokeINS0_13BinaryFunctorIN3c1011Float8_e5m2ES4_bNS0_12_GLOBAL__N_116CompareEqFunctorIS4_EEEEj15function_traitsIS8_EEENT1_11result_typeERKT_PrKPcPKT0_PKNS3_10ScalarTypeEi.has_recursion, 0
	.set .L_ZN2at6native6invokeINS0_13BinaryFunctorIN3c1011Float8_e5m2ES4_bNS0_12_GLOBAL__N_116CompareEqFunctorIS4_EEEEj15function_traitsIS8_EEENT1_11result_typeERKT_PrKPcPKT0_PKNS3_10ScalarTypeEi.has_indirect_call, 0
	.section	.AMDGPU.csdata,"",@progbits
; Function info:
; codeLenInByte = 10932
; TotalNumSgprs: 45
; NumVgprs: 15
; ScratchSize: 0
; MemoryBound: 0
	.section	.text._ZN2at6native32elementwise_kernel_manual_unrollILi128ELi4EZNS0_15gpu_kernel_implINS0_13BinaryFunctorIN3c1011Float8_e5m2ES5_bNS0_12_GLOBAL__N_116CompareEqFunctorIS5_EEEEEEvRNS_18TensorIteratorBaseERKT_EUlibE0_EEviT1_,"axG",@progbits,_ZN2at6native32elementwise_kernel_manual_unrollILi128ELi4EZNS0_15gpu_kernel_implINS0_13BinaryFunctorIN3c1011Float8_e5m2ES5_bNS0_12_GLOBAL__N_116CompareEqFunctorIS5_EEEEEEvRNS_18TensorIteratorBaseERKT_EUlibE0_EEviT1_,comdat
	.globl	_ZN2at6native32elementwise_kernel_manual_unrollILi128ELi4EZNS0_15gpu_kernel_implINS0_13BinaryFunctorIN3c1011Float8_e5m2ES5_bNS0_12_GLOBAL__N_116CompareEqFunctorIS5_EEEEEEvRNS_18TensorIteratorBaseERKT_EUlibE0_EEviT1_ ; -- Begin function _ZN2at6native32elementwise_kernel_manual_unrollILi128ELi4EZNS0_15gpu_kernel_implINS0_13BinaryFunctorIN3c1011Float8_e5m2ES5_bNS0_12_GLOBAL__N_116CompareEqFunctorIS5_EEEEEEvRNS_18TensorIteratorBaseERKT_EUlibE0_EEviT1_
	.p2align	8
	.type	_ZN2at6native32elementwise_kernel_manual_unrollILi128ELi4EZNS0_15gpu_kernel_implINS0_13BinaryFunctorIN3c1011Float8_e5m2ES5_bNS0_12_GLOBAL__N_116CompareEqFunctorIS5_EEEEEEvRNS_18TensorIteratorBaseERKT_EUlibE0_EEviT1_,@function
_ZN2at6native32elementwise_kernel_manual_unrollILi128ELi4EZNS0_15gpu_kernel_implINS0_13BinaryFunctorIN3c1011Float8_e5m2ES5_bNS0_12_GLOBAL__N_116CompareEqFunctorIS5_EEEEEEvRNS_18TensorIteratorBaseERKT_EUlibE0_EEviT1_: ; @_ZN2at6native32elementwise_kernel_manual_unrollILi128ELi4EZNS0_15gpu_kernel_implINS0_13BinaryFunctorIN3c1011Float8_e5m2ES5_bNS0_12_GLOBAL__N_116CompareEqFunctorIS5_EEEEEEvRNS_18TensorIteratorBaseERKT_EUlibE0_EEviT1_
; %bb.0:
	s_add_u32 flat_scratch_lo, s6, s9
	s_addc_u32 flat_scratch_hi, s7, 0
	s_load_dwordx8 s[12:19], s[4:5], 0xa8
	s_load_dword s33, s[4:5], 0x0
	s_load_dwordx8 s[36:43], s[4:5], 0x8
	s_load_dwordx8 s[20:27], s[4:5], 0x28
	s_add_u32 s0, s0, s9
	s_load_dwordx8 s[44:51], s[4:5], 0xc8
	s_addc_u32 s1, s1, 0
	s_waitcnt lgkmcnt(0)
	v_mov_b32_e32 v1, s19
	buffer_store_dword v1, off, s[0:3], 0 offset:212
	v_mov_b32_e32 v1, s18
	buffer_store_dword v1, off, s[0:3], 0 offset:208
	;; [unrolled: 2-line block ×7, first 2 shown]
	v_mov_b32_e32 v1, s44
	s_load_dwordx8 s[52:59], s[4:5], 0xe8
	buffer_store_dword v1, off, s[0:3], 0 offset:216
	v_mov_b32_e32 v1, s51
	buffer_store_dword v1, off, s[0:3], 0 offset:244
	v_mov_b32_e32 v1, s50
	buffer_store_dword v1, off, s[0:3], 0 offset:240
	v_mov_b32_e32 v1, s49
	buffer_store_dword v1, off, s[0:3], 0 offset:236
	v_mov_b32_e32 v1, s48
	buffer_store_dword v1, off, s[0:3], 0 offset:232
	s_waitcnt lgkmcnt(0)
	v_mov_b32_e32 v1, s55
	buffer_store_dword v1, off, s[0:3], 0 offset:260
	v_mov_b32_e32 v1, s54
	buffer_store_dword v1, off, s[0:3], 0 offset:256
	v_mov_b32_e32 v1, s53
	buffer_store_dword v1, off, s[0:3], 0 offset:252
	v_mov_b32_e32 v1, s52
	s_load_dwordx8 s[44:51], s[4:5], 0x108
	buffer_store_dword v1, off, s[0:3], 0 offset:248
	v_mov_b32_e32 v1, s59
	buffer_store_dword v1, off, s[0:3], 0 offset:276
	v_mov_b32_e32 v1, s58
	buffer_store_dword v1, off, s[0:3], 0 offset:272
	v_mov_b32_e32 v1, s57
	buffer_store_dword v1, off, s[0:3], 0 offset:268
	v_mov_b32_e32 v1, s56
	buffer_store_dword v1, off, s[0:3], 0 offset:264
	s_waitcnt lgkmcnt(0)
	v_mov_b32_e32 v1, s47
	buffer_store_dword v1, off, s[0:3], 0 offset:292
	v_mov_b32_e32 v1, s46
	buffer_store_dword v1, off, s[0:3], 0 offset:288
	v_mov_b32_e32 v1, s45
	buffer_store_dword v1, off, s[0:3], 0 offset:284
	;; [unrolled: 18-line block ×6, first 2 shown]
	v_mov_b32_e32 v1, s44
	s_load_dwordx4 s[16:19], s[4:5], 0x1a0
	buffer_store_dword v1, off, s[0:3], 0 offset:408
	v_mov_b32_e32 v1, s51
	buffer_store_dword v1, off, s[0:3], 0 offset:436
	v_mov_b32_e32 v1, s50
	;; [unrolled: 2-line block ×4, first 2 shown]
	buffer_store_dword v1, off, s[0:3], 0 offset:424
	s_waitcnt lgkmcnt(0)
	v_mov_b32_e32 v1, s19
	buffer_store_dword v1, off, s[0:3], 0 offset:444
	v_mov_b32_e32 v1, s18
	buffer_store_dword v1, off, s[0:3], 0 offset:440
	v_mov_b32_e32 v1, s17
	buffer_store_dword v1, off, s[0:3], 0 offset:436
	v_mov_b32_e32 v1, s16
	buffer_store_dword v1, off, s[0:3], 0 offset:432
	v_mov_b32_e32 v1, s39
	buffer_store_dword v1, off, s[0:3], 0 offset:36
	v_mov_b32_e32 v1, s38
	buffer_store_dword v1, off, s[0:3], 0 offset:32
	v_mov_b32_e32 v1, s37
	buffer_store_dword v1, off, s[0:3], 0 offset:28
	v_mov_b32_e32 v1, s36
	buffer_store_dword v1, off, s[0:3], 0 offset:24
	v_mov_b32_e32 v1, s43
	buffer_store_dword v1, off, s[0:3], 0 offset:52
	v_mov_b32_e32 v1, s42
	buffer_store_dword v1, off, s[0:3], 0 offset:48
	v_mov_b32_e32 v1, s41
	buffer_store_dword v1, off, s[0:3], 0 offset:44
	v_mov_b32_e32 v1, s40
	buffer_store_dword v1, off, s[0:3], 0 offset:40
	v_mov_b32_e32 v1, s23
	buffer_store_dword v1, off, s[0:3], 0 offset:68
	v_mov_b32_e32 v1, s22
	buffer_store_dword v1, off, s[0:3], 0 offset:64
	v_mov_b32_e32 v1, s21
	buffer_store_dword v1, off, s[0:3], 0 offset:60
	v_mov_b32_e32 v1, s20
	s_load_dwordx8 s[16:23], s[4:5], 0x48
	buffer_store_dword v1, off, s[0:3], 0 offset:56
	v_mov_b32_e32 v1, s27
	buffer_store_dword v1, off, s[0:3], 0 offset:84
	v_mov_b32_e32 v1, s26
	buffer_store_dword v1, off, s[0:3], 0 offset:80
	v_mov_b32_e32 v1, s25
	buffer_store_dword v1, off, s[0:3], 0 offset:76
	v_mov_b32_e32 v1, s24
	buffer_store_dword v1, off, s[0:3], 0 offset:72
	s_waitcnt lgkmcnt(0)
	v_mov_b32_e32 v1, s19
	buffer_store_dword v1, off, s[0:3], 0 offset:100
	v_mov_b32_e32 v1, s18
	buffer_store_dword v1, off, s[0:3], 0 offset:96
	v_mov_b32_e32 v1, s17
	buffer_store_dword v1, off, s[0:3], 0 offset:92
	v_mov_b32_e32 v1, s16
	s_load_dwordx8 s[24:31], s[4:5], 0x68
	buffer_store_dword v1, off, s[0:3], 0 offset:88
	v_mov_b32_e32 v1, s23
	buffer_store_dword v1, off, s[0:3], 0 offset:116
	v_mov_b32_e32 v1, s22
	buffer_store_dword v1, off, s[0:3], 0 offset:112
	v_mov_b32_e32 v1, s21
	buffer_store_dword v1, off, s[0:3], 0 offset:108
	v_mov_b32_e32 v1, s20
	buffer_store_dword v1, off, s[0:3], 0 offset:104
	s_waitcnt lgkmcnt(0)
	v_mov_b32_e32 v1, s27
	buffer_store_dword v1, off, s[0:3], 0 offset:132
	v_mov_b32_e32 v1, s26
	buffer_store_dword v1, off, s[0:3], 0 offset:128
	v_mov_b32_e32 v1, s25
	buffer_store_dword v1, off, s[0:3], 0 offset:124
	;; [unrolled: 18-line block ×3, first 2 shown]
	v_mov_b32_e32 v1, s16
	buffer_store_dword v1, off, s[0:3], 0 offset:152
	v_mov_b32_e32 v1, s23
	buffer_store_dword v1, off, s[0:3], 0 offset:180
	;; [unrolled: 2-line block ×6, first 2 shown]
	v_mov_b32_e32 v1, s14
	v_lshl_or_b32 v17, s8, 9, v0
	buffer_store_dword v1, off, s[0:3], 0 offset:192
	v_mov_b32_e32 v1, s13
	v_or_b32_e32 v12, 0x180, v17
	buffer_store_dword v1, off, s[0:3], 0 offset:188
	v_mov_b32_e32 v1, s12
	v_cmp_le_i32_e32 vcc, s33, v12
	s_mov_b64 s[42:43], 0
	s_mov_b64 s[34:35], 0
	s_movk_i32 s32, 0x7400
	buffer_store_dword v1, off, s[0:3], 0 offset:184
	s_and_saveexec_b64 s[4:5], vcc
	s_xor_b64 s[36:37], exec, s[4:5]
	s_cbranch_execz .LBB234_442
; %bb.1:
	s_mov_b64 s[4:5], src_private_base
	s_movk_i32 s4, 0x190
	s_add_u32 s41, 24, s4
	s_addc_u32 s54, s5, 0
	s_add_u32 s55, 0, 4
	s_addc_u32 s56, s5, 0
	s_movk_i32 s4, 0x1a5
	s_add_u32 s58, 24, s4
	s_addc_u32 s57, s5, 0
	v_cmp_gt_i32_e32 vcc, s33, v17
	s_mov_b64 s[8:9], -1
	s_mov_b64 s[46:47], 0
	s_and_saveexec_b64 s[38:39], vcc
	s_cbranch_execz .LBB234_99
; %bb.2:
	buffer_load_dword v0, off, s[0:3], 0 offset:24
                                        ; implicit-def: $vgpr15
                                        ; implicit-def: $vgpr3
                                        ; implicit-def: $vgpr1
	s_waitcnt vmcnt(0)
	v_add_u32_e32 v2, -1, v0
	v_cmp_lt_u32_e32 vcc, 1, v2
	s_and_saveexec_b64 s[4:5], vcc
	s_xor_b64 s[4:5], exec, s[4:5]
	s_cbranch_execz .LBB234_10
; %bb.3:
	v_mov_b32_e32 v15, 0
	v_cmp_ne_u32_e32 vcc, 0, v0
	v_mov_b32_e32 v3, 0
	v_mov_b32_e32 v1, 0
	s_and_saveexec_b64 s[6:7], vcc
	s_cbranch_execz .LBB234_9
; %bb.4:
	v_min_u32_e32 v2, 15, v2
	v_add_u32_e32 v0, 1, v2
	v_and_b32_e32 v4, 30, v0
	s_sub_i32 s10, 24, 24
	v_mov_b32_e32 v1, 0
	s_mov_b64 s[8:9], 0
	v_mov_b32_e32 v3, 0
	v_mov_b32_e32 v15, 0
	;; [unrolled: 1-line block ×3, first 2 shown]
.LBB234_5:                              ; =>This Inner Loop Header: Depth=1
	v_mov_b32_e32 v5, s10
	buffer_load_dword v6, v5, s[0:3], 0 offen offset:32
	buffer_load_dword v7, v5, s[0:3], 0 offen offset:28
	buffer_load_dword v8, v5, s[0:3], 0 offen offset:36
	buffer_load_dword v9, v5, s[0:3], 0 offen offset:44
	buffer_load_dword v10, v5, s[0:3], 0 offen offset:40
	buffer_load_dword v11, v5, s[0:3], 0 offen offset:48
	buffer_load_dword v12, v5, s[0:3], 0 offen offset:220
	buffer_load_dword v13, v5, s[0:3], 0 offen offset:224
	buffer_load_dword v14, v5, s[0:3], 0 offen offset:228
	buffer_load_dword v16, v5, s[0:3], 0 offen offset:232
	buffer_load_dword v18, v5, s[0:3], 0 offen offset:236
	buffer_load_dword v19, v5, s[0:3], 0 offen offset:240
	v_add_u32_e32 v4, -2, v4
	s_add_i32 s10, s10, 24
	v_cmp_eq_u32_e32 vcc, 0, v4
	v_mov_b32_e32 v5, s10
	s_or_b64 s[8:9], vcc, s[8:9]
	s_waitcnt vmcnt(11)
	v_mul_hi_u32 v6, v6, v0
	v_add_u32_e32 v6, v0, v6
	s_waitcnt vmcnt(9)
	v_lshrrev_b32_e32 v6, v8, v6
	v_mul_lo_u32 v7, v6, v7
	s_waitcnt vmcnt(8)
	v_mul_hi_u32 v8, v9, v6
	v_sub_u32_e32 v7, v0, v7
	v_add_u32_e32 v0, v6, v8
	s_waitcnt vmcnt(6)
	v_lshrrev_b32_e32 v0, v11, v0
	v_mul_lo_u32 v10, v0, v10
	s_waitcnt vmcnt(5)
	v_mul_lo_u32 v8, v7, v12
	s_waitcnt vmcnt(4)
	;; [unrolled: 2-line block ×3, first 2 shown]
	v_mul_lo_u32 v7, v7, v14
	v_sub_u32_e32 v6, v6, v10
	s_waitcnt vmcnt(2)
	v_mul_lo_u32 v10, v6, v16
	s_waitcnt vmcnt(1)
	v_mul_lo_u32 v11, v6, v18
	;; [unrolled: 2-line block ×3, first 2 shown]
	v_add3_u32 v15, v8, v15, v10
	v_add3_u32 v3, v9, v3, v11
	v_add3_u32 v1, v7, v1, v6
	s_andn2_b64 exec, exec, s[8:9]
	s_cbranch_execnz .LBB234_5
; %bb.6:
	s_or_b64 exec, exec, s[8:9]
	v_and_b32_e32 v2, 1, v2
	v_cmp_eq_u32_e32 vcc, 0, v2
	s_and_saveexec_b64 s[8:9], vcc
	s_cbranch_execz .LBB234_8
; %bb.7:
	buffer_load_dword v2, v5, s[0:3], 0 offen offset:32
	buffer_load_dword v4, v5, s[0:3], 0 offen offset:36
	;; [unrolled: 1-line block ×6, first 2 shown]
	s_waitcnt vmcnt(5)
	v_mul_hi_u32 v2, v2, v0
	v_add_u32_e32 v2, v0, v2
	s_waitcnt vmcnt(4)
	v_lshrrev_b32_e32 v2, v4, v2
	s_waitcnt vmcnt(3)
	v_mul_lo_u32 v2, v2, v6
	v_sub_u32_e32 v0, v0, v2
	s_waitcnt vmcnt(2)
	v_mad_u64_u32 v[15:16], s[10:11], v0, v7, v[15:16]
	s_waitcnt vmcnt(1)
	v_mad_u64_u32 v[3:4], s[10:11], v0, v8, v[3:4]
	;; [unrolled: 2-line block ×3, first 2 shown]
.LBB234_8:
	s_or_b64 exec, exec, s[8:9]
.LBB234_9:
	s_or_b64 exec, exec, s[6:7]
                                        ; implicit-def: $vgpr0
.LBB234_10:
	s_andn2_saveexec_b64 s[4:5], s[4:5]
	s_cbranch_execz .LBB234_14
; %bb.11:
	buffer_load_dword v1, off, s[0:3], 0 offset:32
	buffer_load_dword v2, off, s[0:3], 0 offset:36
	;; [unrolled: 1-line block ×6, first 2 shown]
	v_cmp_lt_u32_e32 vcc, 1, v0
	s_waitcnt vmcnt(5)
	v_mul_hi_u32 v1, v1, v17
	v_add_u32_e32 v1, v17, v1
	s_waitcnt vmcnt(4)
	v_lshrrev_b32_e32 v2, v2, v1
	s_waitcnt vmcnt(3)
	v_mul_lo_u32 v1, v2, v3
	v_sub_u32_e32 v1, v17, v1
	s_waitcnt vmcnt(2)
	v_mul_lo_u32 v15, v1, v4
	s_waitcnt vmcnt(1)
	v_mul_lo_u32 v3, v1, v5
	;; [unrolled: 2-line block ×3, first 2 shown]
	s_and_saveexec_b64 s[6:7], vcc
	s_cbranch_execz .LBB234_13
; %bb.12:
	buffer_load_dword v0, off, s[0:3], 0 offset:44
	buffer_load_dword v4, off, s[0:3], 0 offset:48
	;; [unrolled: 1-line block ×6, first 2 shown]
	s_waitcnt vmcnt(5)
	v_mul_hi_u32 v0, v0, v2
	v_add_u32_e32 v0, v2, v0
	s_waitcnt vmcnt(4)
	v_lshrrev_b32_e32 v0, v4, v0
	s_waitcnt vmcnt(3)
	v_mul_lo_u32 v0, v0, v5
	v_sub_u32_e32 v0, v2, v0
	s_waitcnt vmcnt(2)
	v_mad_u64_u32 v[15:16], s[8:9], v0, v6, v[15:16]
	s_waitcnt vmcnt(1)
	v_mad_u64_u32 v[3:4], s[8:9], v0, v7, v[3:4]
	;; [unrolled: 2-line block ×3, first 2 shown]
.LBB234_13:
	s_or_b64 exec, exec, s[6:7]
.LBB234_14:
	s_or_b64 exec, exec, s[4:5]
	buffer_load_dword v0, off, s[0:3], 0 offset:440
	s_nop 0
	buffer_store_dword v15, off, s[0:3], 0
	buffer_store_dword v3, off, s[0:3], 0 offset:4
	buffer_store_dword v1, off, s[0:3], 0 offset:8
	s_getpc_b64 s[4:5]
	s_add_u32 s4, s4, _ZN2at6native6invokeINS0_13BinaryFunctorIN3c1011Float8_e5m2ES4_bNS0_12_GLOBAL__N_116CompareEqFunctorIS4_EEEEj15function_traitsIS8_EEENT1_11result_typeERKT_PrKPcPKT0_PKNS3_10ScalarTypeEi@rel32@lo+4
	s_addc_u32 s5, s5, _ZN2at6native6invokeINS0_13BinaryFunctorIN3c1011Float8_e5m2ES4_bNS0_12_GLOBAL__N_116CompareEqFunctorIS4_EEEEj15function_traitsIS8_EEENT1_11result_typeERKT_PrKPcPKT0_PKNS3_10ScalarTypeEi@rel32@hi+12
	v_mov_b32_e32 v1, s41
	v_mov_b32_e32 v2, s54
	;; [unrolled: 1-line block ×6, first 2 shown]
	s_swappc_b64 s[30:31], s[4:5]
	v_and_b32_e32 v0, 1, v0
	v_cmp_eq_u32_e32 vcc, 1, v0
	buffer_load_dword v0, off, s[0:3], 0 offset:416
	buffer_load_dword v1, off, s[0:3], 0 offset:420
	buffer_load_ubyte v2, off, s[0:3], 0 offset:444
	s_mov_b64 s[6:7], 0
	s_mov_b64 s[10:11], 0
	s_waitcnt vmcnt(2)
	v_add_co_u32_e64 v0, s[4:5], v0, v15
	s_waitcnt vmcnt(1)
	v_addc_co_u32_e64 v1, s[4:5], 0, v1, s[4:5]
	s_waitcnt vmcnt(0)
	v_cmp_lt_i16_e64 s[4:5], 10, v2
	s_and_saveexec_b64 s[8:9], s[4:5]
	s_xor_b64 s[8:9], exec, s[8:9]
	s_cbranch_execz .LBB234_2195
; %bb.15:
	v_cmp_lt_i16_e64 s[4:5], 25, v2
	s_and_saveexec_b64 s[12:13], s[4:5]
	s_xor_b64 s[12:13], exec, s[12:13]
	s_cbranch_execz .LBB234_51
; %bb.16:
	v_cmp_lt_i16_e64 s[4:5], 28, v2
	s_mov_b64 s[14:15], 0
	s_and_saveexec_b64 s[10:11], s[4:5]
	s_xor_b64 s[10:11], exec, s[10:11]
	s_cbranch_execz .LBB234_34
; %bb.17:
	v_cmp_lt_i16_e64 s[4:5], 43, v2
	s_mov_b64 s[18:19], 0
	;; [unrolled: 6-line block ×3, first 2 shown]
	s_and_saveexec_b64 s[6:7], s[4:5]
	s_xor_b64 s[6:7], exec, s[6:7]
	s_cbranch_execz .LBB234_22
; %bb.19:
	v_cmp_eq_u16_e64 s[4:5], 46, v2
	s_mov_b64 s[20:21], -1
	s_and_saveexec_b64 s[18:19], s[4:5]
	s_cbranch_execz .LBB234_21
; %bb.20:
	v_cndmask_b32_e64 v2, 0, 1.0, vcc
	v_bfe_u32 v3, v2, 16, 1
	s_movk_i32 s4, 0x7fff
	v_add3_u32 v2, v2, v3, s4
	v_lshrrev_b32_e32 v2, 16, v2
	s_mov_b64 s[16:17], exec
	flat_store_dword v[0:1], v2
	s_xor_b64 s[20:21], exec, -1
.LBB234_21:
	s_or_b64 exec, exec, s[18:19]
	s_and_b64 s[18:19], s[20:21], exec
	s_and_b64 s[16:17], s[16:17], exec
                                        ; implicit-def: $vgpr2
                                        ; implicit-def: $vgpr0_vgpr1
.LBB234_22:
	s_andn2_saveexec_b64 s[20:21], s[6:7]
	s_cbranch_execz .LBB234_28
; %bb.23:
	v_cmp_eq_u16_e64 s[4:5], 44, v2
	s_mov_b64 s[24:25], -1
	s_mov_b64 s[6:7], s[16:17]
	s_and_saveexec_b64 s[22:23], s[4:5]
	s_cbranch_execz .LBB234_27
; %bb.24:
	v_cndmask_b32_e64 v3, 0, 1.0, vcc
	v_lshrrev_b32_e32 v2, 23, v3
	s_movk_i32 s4, 0xff
	v_cmp_ne_u32_e64 s[4:5], s4, v2
	v_mov_b32_e32 v4, 0xff
	s_and_saveexec_b64 s[24:25], s[4:5]
; %bb.25:
	s_mov_b32 s6, 0x3fffff
	v_and_b32_e32 v4, 0x400000, v3
	v_and_or_b32 v3, v3, s6, v2
	v_cmp_ne_u32_e64 s[4:5], 0, v4
	v_cmp_ne_u32_e64 s[6:7], 0, v3
	s_and_b64 s[4:5], s[4:5], s[6:7]
	v_cndmask_b32_e64 v3, 0, 1, s[4:5]
	v_add_u32_e32 v4, v2, v3
; %bb.26:
	s_or_b64 exec, exec, s[24:25]
	s_xor_b64 s[24:25], exec, -1
	s_or_b64 s[6:7], s[16:17], exec
	flat_store_byte v[0:1], v4
.LBB234_27:
	s_or_b64 exec, exec, s[22:23]
	s_andn2_b64 s[4:5], s[18:19], exec
	s_and_b64 s[18:19], s[24:25], exec
	s_or_b64 s[18:19], s[4:5], s[18:19]
	s_andn2_b64 s[4:5], s[16:17], exec
	s_and_b64 s[6:7], s[6:7], exec
	s_or_b64 s[16:17], s[4:5], s[6:7]
.LBB234_28:
	s_or_b64 exec, exec, s[20:21]
	s_and_b64 s[18:19], s[18:19], exec
	s_and_b64 s[6:7], s[16:17], exec
                                        ; implicit-def: $vgpr2
                                        ; implicit-def: $vgpr0_vgpr1
.LBB234_29:
	s_andn2_saveexec_b64 s[14:15], s[14:15]
	s_cbranch_execz .LBB234_33
; %bb.30:
	v_cmp_eq_u16_e64 s[4:5], 29, v2
	s_mov_b64 s[20:21], -1
	s_mov_b64 s[16:17], s[6:7]
	s_and_saveexec_b64 s[22:23], s[4:5]
	s_cbranch_execz .LBB234_32
; %bb.31:
	s_mov_b32 s4, 0
	v_cndmask_b32_e64 v2, 0, 1, vcc
	v_mov_b32_e32 v3, s4
	flat_store_dwordx2 v[0:1], v[2:3]
	s_xor_b64 s[20:21], exec, -1
	s_or_b64 s[16:17], s[6:7], exec
.LBB234_32:
	s_or_b64 exec, exec, s[22:23]
	s_andn2_b64 s[4:5], s[18:19], exec
	s_and_b64 s[18:19], s[20:21], exec
	s_or_b64 s[18:19], s[4:5], s[18:19]
	s_andn2_b64 s[4:5], s[6:7], exec
	s_and_b64 s[6:7], s[16:17], exec
	s_or_b64 s[6:7], s[4:5], s[6:7]
.LBB234_33:
	s_or_b64 exec, exec, s[14:15]
	s_and_b64 s[14:15], s[18:19], exec
	s_and_b64 s[6:7], s[6:7], exec
                                        ; implicit-def: $vgpr0_vgpr1
                                        ; implicit-def: $vgpr2
.LBB234_34:
	s_andn2_saveexec_b64 s[10:11], s[10:11]
	s_cbranch_execz .LBB234_50
; %bb.35:
	v_cmp_lt_i16_e64 s[4:5], 26, v2
	s_and_saveexec_b64 s[16:17], s[4:5]
	s_xor_b64 s[16:17], exec, s[16:17]
	s_cbranch_execz .LBB234_41
; %bb.36:
	v_cmp_lt_i16_e64 s[4:5], 27, v2
	s_and_saveexec_b64 s[18:19], s[4:5]
	s_xor_b64 s[4:5], exec, s[18:19]
	s_cbranch_execz .LBB234_38
; %bb.37:
	v_cndmask_b32_e64 v2, 0, 1, vcc
	flat_store_dword v[0:1], v2
                                        ; implicit-def: $vgpr0_vgpr1
.LBB234_38:
	s_andn2_saveexec_b64 s[4:5], s[4:5]
	s_cbranch_execz .LBB234_40
; %bb.39:
	v_cndmask_b32_e64 v2, 0, 1, vcc
	flat_store_short v[0:1], v2
.LBB234_40:
	s_or_b64 exec, exec, s[4:5]
                                        ; implicit-def: $vgpr0_vgpr1
.LBB234_41:
	s_andn2_saveexec_b64 s[16:17], s[16:17]
	s_cbranch_execz .LBB234_49
; %bb.42:
	v_cndmask_b32_e64 v3, 0, 1.0, vcc
	s_mov_b32 s4, 0x43800000
	v_cmp_gt_u32_e64 s[4:5], s4, v3
	v_mov_b32_e32 v4, 0x80
	s_and_saveexec_b64 s[18:19], s[4:5]
	s_cbranch_execz .LBB234_48
; %bb.43:
	s_mov_b32 s4, 0x3bffffff
	v_cmp_lt_u32_e64 s[4:5], s4, v3
	s_mov_b64 s[20:21], 0
                                        ; implicit-def: $vgpr2
	s_and_saveexec_b64 s[22:23], s[4:5]
	s_xor_b64 s[4:5], exec, s[22:23]
	s_cbranch_execz .LBB234_2582
; %bb.44:
	v_bfe_u32 v2, v3, 20, 1
	s_mov_b32 s22, 0x487ffff
	v_add3_u32 v2, v3, v2, s22
	s_mov_b64 s[20:21], exec
	v_lshrrev_b32_e32 v2, 20, v2
                                        ; implicit-def: $vgpr3
	s_andn2_saveexec_b64 s[22:23], s[4:5]
	s_cbranch_execnz .LBB234_2583
.LBB234_45:
	s_or_b64 exec, exec, s[22:23]
	v_mov_b32_e32 v4, 0
	s_and_saveexec_b64 s[4:5], s[20:21]
.LBB234_46:
	v_mov_b32_e32 v4, v2
.LBB234_47:
	s_or_b64 exec, exec, s[4:5]
.LBB234_48:
	s_or_b64 exec, exec, s[18:19]
	flat_store_byte v[0:1], v4
.LBB234_49:
	s_or_b64 exec, exec, s[16:17]
	s_or_b64 s[6:7], s[6:7], exec
.LBB234_50:
	s_or_b64 exec, exec, s[10:11]
	s_and_b64 s[10:11], s[14:15], exec
	s_and_b64 s[6:7], s[6:7], exec
                                        ; implicit-def: $vgpr2
                                        ; implicit-def: $vgpr0_vgpr1
.LBB234_51:
	s_andn2_saveexec_b64 s[12:13], s[12:13]
	s_cbranch_execz .LBB234_95
; %bb.52:
	v_cmp_lt_i16_e64 s[4:5], 22, v2
	s_mov_b64 s[16:17], s[6:7]
	s_and_saveexec_b64 s[14:15], s[4:5]
	s_xor_b64 s[14:15], exec, s[14:15]
	s_cbranch_execz .LBB234_84
; %bb.53:
	v_cmp_lt_i16_e64 s[4:5], 23, v2
	s_and_saveexec_b64 s[16:17], s[4:5]
	s_xor_b64 s[16:17], exec, s[16:17]
	s_cbranch_execz .LBB234_73
; %bb.54:
	v_cmp_lt_i16_e64 s[4:5], 24, v2
	s_and_saveexec_b64 s[18:19], s[4:5]
	s_xor_b64 s[18:19], exec, s[18:19]
	s_cbranch_execz .LBB234_62
; %bb.55:
	v_cndmask_b32_e64 v3, 0, 1.0, vcc
	s_mov_b32 s4, 0x47800000
	v_cmp_gt_u32_e64 s[4:5], s4, v3
	v_mov_b32_e32 v4, 0x80
	s_and_saveexec_b64 s[20:21], s[4:5]
	s_cbranch_execz .LBB234_61
; %bb.56:
	s_mov_b32 s4, 0x37ffffff
	v_cmp_lt_u32_e64 s[4:5], s4, v3
	s_mov_b64 s[22:23], 0
                                        ; implicit-def: $vgpr2
	s_and_saveexec_b64 s[24:25], s[4:5]
	s_xor_b64 s[4:5], exec, s[24:25]
	s_cbranch_execz .LBB234_2639
; %bb.57:
	v_bfe_u32 v2, v3, 21, 1
	s_mov_b32 s24, 0x88fffff
	v_add3_u32 v2, v3, v2, s24
	s_mov_b64 s[22:23], exec
	v_lshrrev_b32_e32 v2, 21, v2
                                        ; implicit-def: $vgpr3
	s_andn2_saveexec_b64 s[24:25], s[4:5]
	s_cbranch_execnz .LBB234_2640
.LBB234_58:
	s_or_b64 exec, exec, s[24:25]
	v_mov_b32_e32 v4, 0
	s_and_saveexec_b64 s[4:5], s[22:23]
.LBB234_59:
	v_mov_b32_e32 v4, v2
.LBB234_60:
	s_or_b64 exec, exec, s[4:5]
.LBB234_61:
	s_or_b64 exec, exec, s[20:21]
	flat_store_byte v[0:1], v4
                                        ; implicit-def: $vgpr0_vgpr1
.LBB234_62:
	s_andn2_saveexec_b64 s[18:19], s[18:19]
	s_cbranch_execz .LBB234_72
; %bb.63:
	v_cndmask_b32_e64 v2, 0, 1.0, vcc
	s_mov_b32 s4, 0x43f00000
	v_cmp_gt_u32_e64 s[4:5], s4, v2
                                        ; implicit-def: $vgpr3
	s_and_saveexec_b64 s[20:21], s[4:5]
	s_xor_b64 s[20:21], exec, s[20:21]
	s_cbranch_execz .LBB234_69
; %bb.64:
	s_mov_b32 s4, 0x3c7fffff
	v_cmp_lt_u32_e64 s[4:5], s4, v2
                                        ; implicit-def: $vgpr3
	s_and_saveexec_b64 s[22:23], s[4:5]
	s_xor_b64 s[22:23], exec, s[22:23]
; %bb.65:
	v_bfe_u32 v3, v2, 20, 1
	s_mov_b32 s4, 0x407ffff
	v_add3_u32 v2, v2, v3, s4
	v_lshrrev_b32_e32 v3, 20, v2
	v_and_b32_e32 v2, 0xff00000, v2
	s_mov_b32 s4, 0x7f00000
	v_mov_b32_e32 v4, 0x7e
	v_cmp_ne_u32_e64 s[4:5], s4, v2
	v_cndmask_b32_e64 v3, v4, v3, s[4:5]
                                        ; implicit-def: $vgpr2
; %bb.66:
	s_andn2_saveexec_b64 s[4:5], s[22:23]
; %bb.67:
	v_add_f32_e32 v3, 0x46800000, v2
; %bb.68:
	s_or_b64 exec, exec, s[4:5]
                                        ; implicit-def: $vgpr2
.LBB234_69:
	s_andn2_saveexec_b64 s[20:21], s[20:21]
; %bb.70:
	s_mov_b32 s4, 0x7f800000
	v_mov_b32_e32 v3, 0x7e
	v_mov_b32_e32 v4, 0x7f
	v_cmp_lt_u32_e64 s[4:5], s4, v2
	v_cndmask_b32_e64 v3, v3, v4, s[4:5]
; %bb.71:
	s_or_b64 exec, exec, s[20:21]
	flat_store_byte v[0:1], v3
.LBB234_72:
	s_or_b64 exec, exec, s[18:19]
                                        ; implicit-def: $vgpr0_vgpr1
.LBB234_73:
	s_andn2_saveexec_b64 s[16:17], s[16:17]
	s_cbranch_execz .LBB234_83
; %bb.74:
	v_cndmask_b32_e64 v2, 0, 1.0, vcc
	s_mov_b32 s4, 0x47800000
	v_cmp_gt_u32_e64 s[4:5], s4, v2
                                        ; implicit-def: $vgpr3
	s_and_saveexec_b64 s[18:19], s[4:5]
	s_xor_b64 s[18:19], exec, s[18:19]
	s_cbranch_execz .LBB234_80
; %bb.75:
	s_mov_b32 s4, 0x387fffff
	v_cmp_lt_u32_e64 s[4:5], s4, v2
                                        ; implicit-def: $vgpr3
	s_and_saveexec_b64 s[20:21], s[4:5]
	s_xor_b64 s[4:5], exec, s[20:21]
; %bb.76:
	v_bfe_u32 v3, v2, 21, 1
	s_mov_b32 s20, 0x80fffff
	v_add3_u32 v2, v2, v3, s20
	v_lshrrev_b32_e32 v3, 21, v2
                                        ; implicit-def: $vgpr2
; %bb.77:
	s_andn2_saveexec_b64 s[4:5], s[4:5]
; %bb.78:
	v_add_f32_e32 v3, 0x43000000, v2
; %bb.79:
	s_or_b64 exec, exec, s[4:5]
                                        ; implicit-def: $vgpr2
.LBB234_80:
	s_andn2_saveexec_b64 s[18:19], s[18:19]
; %bb.81:
	s_mov_b32 s4, 0x7f800000
	v_mov_b32_e32 v3, 0x7c
	v_mov_b32_e32 v4, 0x7f
	v_cmp_lt_u32_e64 s[4:5], s4, v2
	v_cndmask_b32_e64 v3, v3, v4, s[4:5]
; %bb.82:
	s_or_b64 exec, exec, s[18:19]
	flat_store_byte v[0:1], v3
.LBB234_83:
	s_or_b64 exec, exec, s[16:17]
	s_or_b64 s[16:17], s[6:7], exec
                                        ; implicit-def: $vgpr2
                                        ; implicit-def: $vgpr0_vgpr1
.LBB234_84:
	s_or_saveexec_b64 s[14:15], s[14:15]
	s_mov_b64 s[4:5], s[10:11]
	s_xor_b64 exec, exec, s[14:15]
	s_cbranch_execz .LBB234_94
; %bb.85:
	v_cmp_lt_i16_e64 s[4:5], 14, v2
	s_mov_b64 s[18:19], s[16:17]
	s_mov_b64 s[20:21], s[10:11]
	s_and_saveexec_b64 s[22:23], s[4:5]
	s_xor_b64 s[22:23], exec, s[22:23]
	s_cbranch_execz .LBB234_89
; %bb.86:
	v_cmp_eq_u16_e64 s[4:5], 15, v2
	s_mov_b64 s[20:21], -1
	s_mov_b64 s[18:19], s[16:17]
	s_and_saveexec_b64 s[24:25], s[4:5]
	s_cbranch_execz .LBB234_88
; %bb.87:
	v_cndmask_b32_e64 v2, 0, 1.0, vcc
	v_bfe_u32 v3, v2, 16, 1
	s_movk_i32 s4, 0x7fff
	v_add3_u32 v2, v2, v3, s4
	flat_store_short_d16_hi v[0:1], v2
	s_xor_b64 s[20:21], exec, -1
	s_or_b64 s[18:19], s[16:17], exec
.LBB234_88:
	s_or_b64 exec, exec, s[24:25]
	s_andn2_b64 s[4:5], s[10:11], exec
	s_and_b64 s[20:21], s[20:21], exec
	s_or_b64 s[20:21], s[4:5], s[20:21]
	s_andn2_b64 s[4:5], s[16:17], exec
	s_and_b64 s[18:19], s[18:19], exec
	s_or_b64 s[18:19], s[4:5], s[18:19]
                                        ; implicit-def: $vgpr2
                                        ; implicit-def: $vgpr0_vgpr1
.LBB234_89:
	s_andn2_saveexec_b64 s[22:23], s[22:23]
	s_cbranch_execz .LBB234_93
; %bb.90:
	v_cmp_eq_u16_e64 s[4:5], 11, v2
	s_mov_b64 s[26:27], -1
	s_mov_b64 s[24:25], s[18:19]
	s_and_saveexec_b64 s[28:29], s[4:5]
	s_cbranch_execz .LBB234_92
; %bb.91:
	v_cndmask_b32_e64 v2, 0, 1, vcc
	flat_store_byte v[0:1], v2
	s_xor_b64 s[26:27], exec, -1
	s_or_b64 s[24:25], s[18:19], exec
.LBB234_92:
	s_or_b64 exec, exec, s[28:29]
	s_andn2_b64 s[4:5], s[20:21], exec
	s_and_b64 s[20:21], s[26:27], exec
	s_or_b64 s[20:21], s[4:5], s[20:21]
	s_andn2_b64 s[4:5], s[18:19], exec
	s_and_b64 s[18:19], s[24:25], exec
	s_or_b64 s[18:19], s[4:5], s[18:19]
.LBB234_93:
	s_or_b64 exec, exec, s[22:23]
	s_andn2_b64 s[4:5], s[10:11], exec
	s_and_b64 s[20:21], s[20:21], exec
	s_andn2_b64 s[16:17], s[16:17], exec
	s_and_b64 s[18:19], s[18:19], exec
	s_or_b64 s[4:5], s[4:5], s[20:21]
	s_or_b64 s[16:17], s[16:17], s[18:19]
.LBB234_94:
	s_or_b64 exec, exec, s[14:15]
	s_andn2_b64 s[10:11], s[10:11], exec
	s_and_b64 s[4:5], s[4:5], exec
	s_or_b64 s[10:11], s[10:11], s[4:5]
	s_andn2_b64 s[4:5], s[6:7], exec
	s_and_b64 s[6:7], s[16:17], exec
	s_or_b64 s[6:7], s[4:5], s[6:7]
.LBB234_95:
	s_or_b64 exec, exec, s[12:13]
	s_and_b64 s[10:11], s[10:11], exec
	s_and_b64 s[6:7], s[6:7], exec
                                        ; implicit-def: $vgpr2
                                        ; implicit-def: $vgpr0_vgpr1
	s_andn2_saveexec_b64 s[8:9], s[8:9]
	s_cbranch_execnz .LBB234_2196
.LBB234_96:
	s_or_b64 exec, exec, s[8:9]
	s_mov_b64 s[4:5], 0
	s_and_saveexec_b64 s[8:9], s[6:7]
.LBB234_97:
	s_mov_b64 s[4:5], exec
	v_add_u32_e32 v17, 0x80, v17
.LBB234_98:
	s_or_b64 exec, exec, s[8:9]
	s_and_b64 s[34:35], s[10:11], exec
	s_orn2_b64 s[8:9], s[4:5], exec
.LBB234_99:
	s_or_b64 exec, exec, s[38:39]
	s_mov_b64 s[12:13], 0
	s_mov_b64 s[4:5], 0
                                        ; implicit-def: $sgpr6_sgpr7
                                        ; implicit-def: $vgpr4
                                        ; implicit-def: $vgpr0_vgpr1
	s_and_saveexec_b64 s[38:39], s[8:9]
	s_cbranch_execz .LBB234_397
; %bb.100:
	v_cmp_gt_i32_e32 vcc, s33, v17
	s_mov_b64 s[4:5], -1
	s_mov_b64 s[44:45], s[34:35]
	s_and_saveexec_b64 s[46:47], vcc
	s_cbranch_execz .LBB234_198
; %bb.101:
	buffer_load_dword v0, off, s[0:3], 0 offset:24
                                        ; implicit-def: $vgpr15
                                        ; implicit-def: $vgpr3
                                        ; implicit-def: $vgpr1
	s_waitcnt vmcnt(0)
	v_add_u32_e32 v2, -1, v0
	v_cmp_lt_u32_e32 vcc, 1, v2
	s_and_saveexec_b64 s[4:5], vcc
	s_xor_b64 s[4:5], exec, s[4:5]
	s_cbranch_execz .LBB234_109
; %bb.102:
	v_mov_b32_e32 v15, 0
	v_cmp_ne_u32_e32 vcc, 0, v0
	v_mov_b32_e32 v3, 0
	v_mov_b32_e32 v1, 0
	s_and_saveexec_b64 s[6:7], vcc
	s_cbranch_execz .LBB234_108
; %bb.103:
	v_min_u32_e32 v2, 15, v2
	v_add_u32_e32 v0, 1, v2
	v_and_b32_e32 v4, 30, v0
	s_sub_i32 s10, 24, 24
	v_mov_b32_e32 v1, 0
	s_mov_b64 s[8:9], 0
	v_mov_b32_e32 v3, 0
	v_mov_b32_e32 v15, 0
	;; [unrolled: 1-line block ×3, first 2 shown]
.LBB234_104:                            ; =>This Inner Loop Header: Depth=1
	v_mov_b32_e32 v5, s10
	buffer_load_dword v6, v5, s[0:3], 0 offen offset:32
	buffer_load_dword v7, v5, s[0:3], 0 offen offset:28
	;; [unrolled: 1-line block ×12, first 2 shown]
	v_add_u32_e32 v4, -2, v4
	s_add_i32 s10, s10, 24
	v_cmp_eq_u32_e32 vcc, 0, v4
	v_mov_b32_e32 v5, s10
	s_or_b64 s[8:9], vcc, s[8:9]
	s_waitcnt vmcnt(0)
	v_mul_hi_u32 v6, v6, v0
	v_add_u32_e32 v6, v0, v6
	v_lshrrev_b32_e32 v6, v8, v6
	v_mul_lo_u32 v7, v6, v7
	v_mul_hi_u32 v8, v9, v6
	v_sub_u32_e32 v7, v0, v7
	v_add_u32_e32 v0, v6, v8
	v_lshrrev_b32_e32 v0, v11, v0
	v_mul_lo_u32 v10, v0, v10
	v_mul_lo_u32 v8, v7, v12
	;; [unrolled: 1-line block ×4, first 2 shown]
	v_sub_u32_e32 v6, v6, v10
	v_mul_lo_u32 v10, v6, v16
	v_mul_lo_u32 v11, v6, v18
	;; [unrolled: 1-line block ×3, first 2 shown]
	v_add3_u32 v15, v8, v15, v10
	v_add3_u32 v3, v9, v3, v11
	;; [unrolled: 1-line block ×3, first 2 shown]
	s_andn2_b64 exec, exec, s[8:9]
	s_cbranch_execnz .LBB234_104
; %bb.105:
	s_or_b64 exec, exec, s[8:9]
	v_and_b32_e32 v2, 1, v2
	v_cmp_eq_u32_e32 vcc, 0, v2
	s_and_saveexec_b64 s[8:9], vcc
	s_cbranch_execz .LBB234_107
; %bb.106:
	buffer_load_dword v2, v5, s[0:3], 0 offen offset:32
	buffer_load_dword v4, v5, s[0:3], 0 offen offset:36
	;; [unrolled: 1-line block ×6, first 2 shown]
	s_waitcnt vmcnt(0)
	v_mul_hi_u32 v2, v2, v0
	v_add_u32_e32 v2, v0, v2
	v_lshrrev_b32_e32 v2, v4, v2
	v_mul_lo_u32 v2, v2, v6
	v_sub_u32_e32 v0, v0, v2
	v_mad_u64_u32 v[15:16], s[10:11], v0, v7, v[15:16]
	v_mad_u64_u32 v[3:4], s[10:11], v0, v8, v[3:4]
	v_mad_u64_u32 v[1:2], s[10:11], v0, v9, v[1:2]
.LBB234_107:
	s_or_b64 exec, exec, s[8:9]
.LBB234_108:
	s_or_b64 exec, exec, s[6:7]
                                        ; implicit-def: $vgpr0
.LBB234_109:
	s_andn2_saveexec_b64 s[4:5], s[4:5]
	s_cbranch_execz .LBB234_113
; %bb.110:
	buffer_load_dword v1, off, s[0:3], 0 offset:32
	buffer_load_dword v2, off, s[0:3], 0 offset:36
	;; [unrolled: 1-line block ×6, first 2 shown]
	v_cmp_lt_u32_e32 vcc, 1, v0
	s_waitcnt vmcnt(0)
	v_mul_hi_u32 v1, v1, v17
	v_add_u32_e32 v1, v17, v1
	v_lshrrev_b32_e32 v2, v2, v1
	v_mul_lo_u32 v1, v2, v3
	v_sub_u32_e32 v1, v17, v1
	v_mul_lo_u32 v15, v1, v4
	v_mul_lo_u32 v3, v1, v5
	;; [unrolled: 1-line block ×3, first 2 shown]
	s_and_saveexec_b64 s[6:7], vcc
	s_cbranch_execz .LBB234_112
; %bb.111:
	buffer_load_dword v0, off, s[0:3], 0 offset:44
	buffer_load_dword v4, off, s[0:3], 0 offset:48
	;; [unrolled: 1-line block ×6, first 2 shown]
	s_waitcnt vmcnt(0)
	v_mul_hi_u32 v0, v0, v2
	v_add_u32_e32 v0, v2, v0
	v_lshrrev_b32_e32 v0, v4, v0
	v_mul_lo_u32 v0, v0, v5
	v_sub_u32_e32 v0, v2, v0
	v_mad_u64_u32 v[15:16], s[8:9], v0, v6, v[15:16]
	v_mad_u64_u32 v[3:4], s[8:9], v0, v7, v[3:4]
	;; [unrolled: 1-line block ×3, first 2 shown]
.LBB234_112:
	s_or_b64 exec, exec, s[6:7]
.LBB234_113:
	s_or_b64 exec, exec, s[4:5]
	buffer_load_dword v0, off, s[0:3], 0 offset:440
	s_nop 0
	buffer_store_dword v15, off, s[0:3], 0
	buffer_store_dword v3, off, s[0:3], 0 offset:4
	buffer_store_dword v1, off, s[0:3], 0 offset:8
	s_getpc_b64 s[4:5]
	s_add_u32 s4, s4, _ZN2at6native6invokeINS0_13BinaryFunctorIN3c1011Float8_e5m2ES4_bNS0_12_GLOBAL__N_116CompareEqFunctorIS4_EEEEj15function_traitsIS8_EEENT1_11result_typeERKT_PrKPcPKT0_PKNS3_10ScalarTypeEi@rel32@lo+4
	s_addc_u32 s5, s5, _ZN2at6native6invokeINS0_13BinaryFunctorIN3c1011Float8_e5m2ES4_bNS0_12_GLOBAL__N_116CompareEqFunctorIS4_EEEEj15function_traitsIS8_EEENT1_11result_typeERKT_PrKPcPKT0_PKNS3_10ScalarTypeEi@rel32@hi+12
	v_mov_b32_e32 v1, s41
	v_mov_b32_e32 v2, s54
	v_mov_b32_e32 v3, s55
	v_mov_b32_e32 v4, s56
	v_mov_b32_e32 v5, s58
	v_mov_b32_e32 v6, s57
	s_swappc_b64 s[30:31], s[4:5]
	v_and_b32_e32 v0, 1, v0
	v_cmp_eq_u32_e32 vcc, 1, v0
	buffer_load_dword v0, off, s[0:3], 0 offset:416
	buffer_load_dword v1, off, s[0:3], 0 offset:420
	buffer_load_ubyte v2, off, s[0:3], 0 offset:444
	s_mov_b64 s[6:7], 0
	s_mov_b64 s[10:11], s[34:35]
	s_waitcnt vmcnt(2)
	v_add_co_u32_e64 v0, s[4:5], v0, v15
	s_waitcnt vmcnt(1)
	v_addc_co_u32_e64 v1, s[4:5], 0, v1, s[4:5]
	s_waitcnt vmcnt(0)
	v_cmp_lt_i16_e64 s[4:5], 10, v2
	s_and_saveexec_b64 s[8:9], s[4:5]
	s_xor_b64 s[8:9], exec, s[8:9]
	s_cbranch_execz .LBB234_2288
; %bb.114:
	v_cmp_lt_i16_e64 s[4:5], 25, v2
	s_mov_b64 s[10:11], s[34:35]
	s_and_saveexec_b64 s[12:13], s[4:5]
	s_xor_b64 s[12:13], exec, s[12:13]
	s_cbranch_execz .LBB234_150
; %bb.115:
	v_cmp_lt_i16_e64 s[4:5], 28, v2
	s_mov_b64 s[14:15], s[34:35]
	s_and_saveexec_b64 s[10:11], s[4:5]
	s_xor_b64 s[10:11], exec, s[10:11]
	s_cbranch_execz .LBB234_133
; %bb.116:
	v_cmp_lt_i16_e64 s[4:5], 43, v2
	s_mov_b64 s[18:19], s[34:35]
	s_and_saveexec_b64 s[14:15], s[4:5]
	s_xor_b64 s[14:15], exec, s[14:15]
	s_cbranch_execz .LBB234_128
; %bb.117:
	v_cmp_lt_i16_e64 s[4:5], 45, v2
	s_mov_b64 s[16:17], 0
	s_mov_b64 s[18:19], s[34:35]
	s_and_saveexec_b64 s[6:7], s[4:5]
	s_xor_b64 s[6:7], exec, s[6:7]
	s_cbranch_execz .LBB234_121
; %bb.118:
	v_cmp_eq_u16_e64 s[4:5], 46, v2
	s_mov_b64 s[20:21], -1
	s_and_saveexec_b64 s[18:19], s[4:5]
	s_cbranch_execz .LBB234_120
; %bb.119:
	v_cndmask_b32_e64 v2, 0, 1.0, vcc
	v_bfe_u32 v3, v2, 16, 1
	s_movk_i32 s4, 0x7fff
	v_add3_u32 v2, v2, v3, s4
	v_lshrrev_b32_e32 v2, 16, v2
	s_mov_b64 s[16:17], exec
	flat_store_dword v[0:1], v2
	s_xor_b64 s[20:21], exec, -1
.LBB234_120:
	s_or_b64 exec, exec, s[18:19]
	s_andn2_b64 s[4:5], s[34:35], exec
	s_and_b64 s[18:19], s[20:21], exec
	s_or_b64 s[18:19], s[4:5], s[18:19]
	s_and_b64 s[16:17], s[16:17], exec
                                        ; implicit-def: $vgpr2
                                        ; implicit-def: $vgpr0_vgpr1
.LBB234_121:
	s_andn2_saveexec_b64 s[20:21], s[6:7]
	s_cbranch_execz .LBB234_127
; %bb.122:
	v_cmp_eq_u16_e64 s[4:5], 44, v2
	s_mov_b64 s[24:25], -1
	s_mov_b64 s[6:7], s[16:17]
	s_and_saveexec_b64 s[22:23], s[4:5]
	s_cbranch_execz .LBB234_126
; %bb.123:
	v_cndmask_b32_e64 v3, 0, 1.0, vcc
	v_lshrrev_b32_e32 v2, 23, v3
	s_movk_i32 s4, 0xff
	v_cmp_ne_u32_e64 s[4:5], s4, v2
	v_mov_b32_e32 v4, 0xff
	s_and_saveexec_b64 s[24:25], s[4:5]
; %bb.124:
	s_mov_b32 s6, 0x3fffff
	v_and_b32_e32 v4, 0x400000, v3
	v_and_or_b32 v3, v3, s6, v2
	v_cmp_ne_u32_e64 s[4:5], 0, v4
	v_cmp_ne_u32_e64 s[6:7], 0, v3
	s_and_b64 s[4:5], s[4:5], s[6:7]
	v_cndmask_b32_e64 v3, 0, 1, s[4:5]
	v_add_u32_e32 v4, v2, v3
; %bb.125:
	s_or_b64 exec, exec, s[24:25]
	s_xor_b64 s[24:25], exec, -1
	s_or_b64 s[6:7], s[16:17], exec
	flat_store_byte v[0:1], v4
.LBB234_126:
	s_or_b64 exec, exec, s[22:23]
	s_andn2_b64 s[4:5], s[18:19], exec
	s_and_b64 s[18:19], s[24:25], exec
	s_or_b64 s[18:19], s[4:5], s[18:19]
	s_andn2_b64 s[4:5], s[16:17], exec
	s_and_b64 s[6:7], s[6:7], exec
	s_or_b64 s[16:17], s[4:5], s[6:7]
.LBB234_127:
	s_or_b64 exec, exec, s[20:21]
	s_andn2_b64 s[4:5], s[34:35], exec
	s_and_b64 s[6:7], s[18:19], exec
	s_or_b64 s[18:19], s[4:5], s[6:7]
	s_and_b64 s[6:7], s[16:17], exec
                                        ; implicit-def: $vgpr2
                                        ; implicit-def: $vgpr0_vgpr1
.LBB234_128:
	s_andn2_saveexec_b64 s[14:15], s[14:15]
	s_cbranch_execz .LBB234_132
; %bb.129:
	v_cmp_eq_u16_e64 s[4:5], 29, v2
	s_mov_b64 s[20:21], -1
	s_mov_b64 s[16:17], s[6:7]
	s_and_saveexec_b64 s[22:23], s[4:5]
	s_cbranch_execz .LBB234_131
; %bb.130:
	s_mov_b32 s4, 0
	v_cndmask_b32_e64 v2, 0, 1, vcc
	v_mov_b32_e32 v3, s4
	flat_store_dwordx2 v[0:1], v[2:3]
	s_xor_b64 s[20:21], exec, -1
	s_or_b64 s[16:17], s[6:7], exec
.LBB234_131:
	s_or_b64 exec, exec, s[22:23]
	s_andn2_b64 s[4:5], s[18:19], exec
	s_and_b64 s[18:19], s[20:21], exec
	s_or_b64 s[18:19], s[4:5], s[18:19]
	s_andn2_b64 s[4:5], s[6:7], exec
	s_and_b64 s[6:7], s[16:17], exec
	s_or_b64 s[6:7], s[4:5], s[6:7]
.LBB234_132:
	s_or_b64 exec, exec, s[14:15]
	s_andn2_b64 s[4:5], s[34:35], exec
	s_and_b64 s[14:15], s[18:19], exec
	s_or_b64 s[14:15], s[4:5], s[14:15]
	s_and_b64 s[6:7], s[6:7], exec
                                        ; implicit-def: $vgpr0_vgpr1
                                        ; implicit-def: $vgpr2
.LBB234_133:
	s_andn2_saveexec_b64 s[10:11], s[10:11]
	s_cbranch_execz .LBB234_149
; %bb.134:
	v_cmp_lt_i16_e64 s[4:5], 26, v2
	s_and_saveexec_b64 s[16:17], s[4:5]
	s_xor_b64 s[16:17], exec, s[16:17]
	s_cbranch_execz .LBB234_140
; %bb.135:
	v_cmp_lt_i16_e64 s[4:5], 27, v2
	s_and_saveexec_b64 s[18:19], s[4:5]
	s_xor_b64 s[4:5], exec, s[18:19]
	s_cbranch_execz .LBB234_137
; %bb.136:
	v_cndmask_b32_e64 v2, 0, 1, vcc
	flat_store_dword v[0:1], v2
                                        ; implicit-def: $vgpr0_vgpr1
.LBB234_137:
	s_andn2_saveexec_b64 s[4:5], s[4:5]
	s_cbranch_execz .LBB234_139
; %bb.138:
	v_cndmask_b32_e64 v2, 0, 1, vcc
	flat_store_short v[0:1], v2
.LBB234_139:
	s_or_b64 exec, exec, s[4:5]
                                        ; implicit-def: $vgpr0_vgpr1
.LBB234_140:
	s_andn2_saveexec_b64 s[16:17], s[16:17]
	s_cbranch_execz .LBB234_148
; %bb.141:
	v_cndmask_b32_e64 v3, 0, 1.0, vcc
	s_mov_b32 s4, 0x43800000
	v_cmp_gt_u32_e64 s[4:5], s4, v3
	v_mov_b32_e32 v4, 0x80
	s_and_saveexec_b64 s[18:19], s[4:5]
	s_cbranch_execz .LBB234_147
; %bb.142:
	s_mov_b32 s4, 0x3bffffff
	v_cmp_lt_u32_e64 s[4:5], s4, v3
	s_mov_b64 s[20:21], 0
                                        ; implicit-def: $vgpr2
	s_and_saveexec_b64 s[22:23], s[4:5]
	s_xor_b64 s[4:5], exec, s[22:23]
	s_cbranch_execz .LBB234_2641
; %bb.143:
	v_bfe_u32 v2, v3, 20, 1
	s_mov_b32 s22, 0x487ffff
	v_add3_u32 v2, v3, v2, s22
	s_mov_b64 s[20:21], exec
	v_lshrrev_b32_e32 v2, 20, v2
                                        ; implicit-def: $vgpr3
	s_andn2_saveexec_b64 s[22:23], s[4:5]
	s_cbranch_execnz .LBB234_2642
.LBB234_144:
	s_or_b64 exec, exec, s[22:23]
	v_mov_b32_e32 v4, 0
	s_and_saveexec_b64 s[4:5], s[20:21]
.LBB234_145:
	v_mov_b32_e32 v4, v2
.LBB234_146:
	s_or_b64 exec, exec, s[4:5]
.LBB234_147:
	s_or_b64 exec, exec, s[18:19]
	flat_store_byte v[0:1], v4
.LBB234_148:
	s_or_b64 exec, exec, s[16:17]
	s_or_b64 s[6:7], s[6:7], exec
.LBB234_149:
	s_or_b64 exec, exec, s[10:11]
	s_andn2_b64 s[4:5], s[34:35], exec
	s_and_b64 s[10:11], s[14:15], exec
	s_or_b64 s[10:11], s[4:5], s[10:11]
	s_and_b64 s[6:7], s[6:7], exec
                                        ; implicit-def: $vgpr2
                                        ; implicit-def: $vgpr0_vgpr1
.LBB234_150:
	s_andn2_saveexec_b64 s[12:13], s[12:13]
	s_cbranch_execz .LBB234_194
; %bb.151:
	v_cmp_lt_i16_e64 s[4:5], 22, v2
	s_mov_b64 s[16:17], s[6:7]
	s_and_saveexec_b64 s[14:15], s[4:5]
	s_xor_b64 s[14:15], exec, s[14:15]
	s_cbranch_execz .LBB234_183
; %bb.152:
	v_cmp_lt_i16_e64 s[4:5], 23, v2
	s_and_saveexec_b64 s[16:17], s[4:5]
	s_xor_b64 s[16:17], exec, s[16:17]
	s_cbranch_execz .LBB234_172
; %bb.153:
	v_cmp_lt_i16_e64 s[4:5], 24, v2
	s_and_saveexec_b64 s[18:19], s[4:5]
	s_xor_b64 s[18:19], exec, s[18:19]
	s_cbranch_execz .LBB234_161
; %bb.154:
	v_cndmask_b32_e64 v3, 0, 1.0, vcc
	s_mov_b32 s4, 0x47800000
	v_cmp_gt_u32_e64 s[4:5], s4, v3
	v_mov_b32_e32 v4, 0x80
	s_and_saveexec_b64 s[20:21], s[4:5]
	s_cbranch_execz .LBB234_160
; %bb.155:
	s_mov_b32 s4, 0x37ffffff
	v_cmp_lt_u32_e64 s[4:5], s4, v3
	s_mov_b64 s[22:23], 0
                                        ; implicit-def: $vgpr2
	s_and_saveexec_b64 s[24:25], s[4:5]
	s_xor_b64 s[4:5], exec, s[24:25]
	s_cbranch_execz .LBB234_2690
; %bb.156:
	v_bfe_u32 v2, v3, 21, 1
	s_mov_b32 s24, 0x88fffff
	v_add3_u32 v2, v3, v2, s24
	s_mov_b64 s[22:23], exec
	v_lshrrev_b32_e32 v2, 21, v2
                                        ; implicit-def: $vgpr3
	s_andn2_saveexec_b64 s[24:25], s[4:5]
	s_cbranch_execnz .LBB234_2691
.LBB234_157:
	s_or_b64 exec, exec, s[24:25]
	v_mov_b32_e32 v4, 0
	s_and_saveexec_b64 s[4:5], s[22:23]
.LBB234_158:
	v_mov_b32_e32 v4, v2
.LBB234_159:
	s_or_b64 exec, exec, s[4:5]
.LBB234_160:
	s_or_b64 exec, exec, s[20:21]
	flat_store_byte v[0:1], v4
                                        ; implicit-def: $vgpr0_vgpr1
.LBB234_161:
	s_andn2_saveexec_b64 s[18:19], s[18:19]
	s_cbranch_execz .LBB234_171
; %bb.162:
	v_cndmask_b32_e64 v2, 0, 1.0, vcc
	s_mov_b32 s4, 0x43f00000
	v_cmp_gt_u32_e64 s[4:5], s4, v2
                                        ; implicit-def: $vgpr3
	s_and_saveexec_b64 s[20:21], s[4:5]
	s_xor_b64 s[20:21], exec, s[20:21]
	s_cbranch_execz .LBB234_168
; %bb.163:
	s_mov_b32 s4, 0x3c7fffff
	v_cmp_lt_u32_e64 s[4:5], s4, v2
                                        ; implicit-def: $vgpr3
	s_and_saveexec_b64 s[22:23], s[4:5]
	s_xor_b64 s[22:23], exec, s[22:23]
; %bb.164:
	v_bfe_u32 v3, v2, 20, 1
	s_mov_b32 s4, 0x407ffff
	v_add3_u32 v2, v2, v3, s4
	v_lshrrev_b32_e32 v3, 20, v2
	v_and_b32_e32 v2, 0xff00000, v2
	s_mov_b32 s4, 0x7f00000
	v_mov_b32_e32 v4, 0x7e
	v_cmp_ne_u32_e64 s[4:5], s4, v2
	v_cndmask_b32_e64 v3, v4, v3, s[4:5]
                                        ; implicit-def: $vgpr2
; %bb.165:
	s_andn2_saveexec_b64 s[4:5], s[22:23]
; %bb.166:
	v_add_f32_e32 v3, 0x46800000, v2
; %bb.167:
	s_or_b64 exec, exec, s[4:5]
                                        ; implicit-def: $vgpr2
.LBB234_168:
	s_andn2_saveexec_b64 s[20:21], s[20:21]
; %bb.169:
	s_mov_b32 s4, 0x7f800000
	v_mov_b32_e32 v3, 0x7e
	v_mov_b32_e32 v4, 0x7f
	v_cmp_lt_u32_e64 s[4:5], s4, v2
	v_cndmask_b32_e64 v3, v3, v4, s[4:5]
; %bb.170:
	s_or_b64 exec, exec, s[20:21]
	flat_store_byte v[0:1], v3
.LBB234_171:
	s_or_b64 exec, exec, s[18:19]
                                        ; implicit-def: $vgpr0_vgpr1
.LBB234_172:
	s_andn2_saveexec_b64 s[16:17], s[16:17]
	s_cbranch_execz .LBB234_182
; %bb.173:
	v_cndmask_b32_e64 v2, 0, 1.0, vcc
	s_mov_b32 s4, 0x47800000
	v_cmp_gt_u32_e64 s[4:5], s4, v2
                                        ; implicit-def: $vgpr3
	s_and_saveexec_b64 s[18:19], s[4:5]
	s_xor_b64 s[18:19], exec, s[18:19]
	s_cbranch_execz .LBB234_179
; %bb.174:
	s_mov_b32 s4, 0x387fffff
	v_cmp_lt_u32_e64 s[4:5], s4, v2
                                        ; implicit-def: $vgpr3
	s_and_saveexec_b64 s[20:21], s[4:5]
	s_xor_b64 s[4:5], exec, s[20:21]
; %bb.175:
	v_bfe_u32 v3, v2, 21, 1
	s_mov_b32 s20, 0x80fffff
	v_add3_u32 v2, v2, v3, s20
	v_lshrrev_b32_e32 v3, 21, v2
                                        ; implicit-def: $vgpr2
; %bb.176:
	s_andn2_saveexec_b64 s[4:5], s[4:5]
; %bb.177:
	v_add_f32_e32 v3, 0x43000000, v2
; %bb.178:
	s_or_b64 exec, exec, s[4:5]
                                        ; implicit-def: $vgpr2
.LBB234_179:
	s_andn2_saveexec_b64 s[18:19], s[18:19]
; %bb.180:
	s_mov_b32 s4, 0x7f800000
	v_mov_b32_e32 v3, 0x7c
	v_mov_b32_e32 v4, 0x7f
	v_cmp_lt_u32_e64 s[4:5], s4, v2
	v_cndmask_b32_e64 v3, v3, v4, s[4:5]
; %bb.181:
	s_or_b64 exec, exec, s[18:19]
	flat_store_byte v[0:1], v3
.LBB234_182:
	s_or_b64 exec, exec, s[16:17]
	s_or_b64 s[16:17], s[6:7], exec
                                        ; implicit-def: $vgpr2
                                        ; implicit-def: $vgpr0_vgpr1
.LBB234_183:
	s_or_saveexec_b64 s[14:15], s[14:15]
	s_mov_b64 s[4:5], s[10:11]
	s_xor_b64 exec, exec, s[14:15]
	s_cbranch_execz .LBB234_193
; %bb.184:
	v_cmp_lt_i16_e64 s[4:5], 14, v2
	s_mov_b64 s[18:19], s[16:17]
	s_mov_b64 s[20:21], s[10:11]
	s_and_saveexec_b64 s[22:23], s[4:5]
	s_xor_b64 s[22:23], exec, s[22:23]
	s_cbranch_execz .LBB234_188
; %bb.185:
	v_cmp_eq_u16_e64 s[4:5], 15, v2
	s_mov_b64 s[20:21], -1
	s_mov_b64 s[18:19], s[16:17]
	s_and_saveexec_b64 s[24:25], s[4:5]
	s_cbranch_execz .LBB234_187
; %bb.186:
	v_cndmask_b32_e64 v2, 0, 1.0, vcc
	v_bfe_u32 v3, v2, 16, 1
	s_movk_i32 s4, 0x7fff
	v_add3_u32 v2, v2, v3, s4
	flat_store_short_d16_hi v[0:1], v2
	s_xor_b64 s[20:21], exec, -1
	s_or_b64 s[18:19], s[16:17], exec
.LBB234_187:
	s_or_b64 exec, exec, s[24:25]
	s_andn2_b64 s[4:5], s[10:11], exec
	s_and_b64 s[20:21], s[20:21], exec
	s_or_b64 s[20:21], s[4:5], s[20:21]
	s_andn2_b64 s[4:5], s[16:17], exec
	s_and_b64 s[18:19], s[18:19], exec
	s_or_b64 s[18:19], s[4:5], s[18:19]
                                        ; implicit-def: $vgpr2
                                        ; implicit-def: $vgpr0_vgpr1
.LBB234_188:
	s_andn2_saveexec_b64 s[22:23], s[22:23]
	s_cbranch_execz .LBB234_192
; %bb.189:
	v_cmp_eq_u16_e64 s[4:5], 11, v2
	s_mov_b64 s[26:27], -1
	s_mov_b64 s[24:25], s[18:19]
	s_and_saveexec_b64 s[28:29], s[4:5]
	s_cbranch_execz .LBB234_191
; %bb.190:
	v_cndmask_b32_e64 v2, 0, 1, vcc
	flat_store_byte v[0:1], v2
	s_xor_b64 s[26:27], exec, -1
	s_or_b64 s[24:25], s[18:19], exec
.LBB234_191:
	s_or_b64 exec, exec, s[28:29]
	s_andn2_b64 s[4:5], s[20:21], exec
	s_and_b64 s[20:21], s[26:27], exec
	s_or_b64 s[20:21], s[4:5], s[20:21]
	s_andn2_b64 s[4:5], s[18:19], exec
	s_and_b64 s[18:19], s[24:25], exec
	s_or_b64 s[18:19], s[4:5], s[18:19]
.LBB234_192:
	s_or_b64 exec, exec, s[22:23]
	s_andn2_b64 s[4:5], s[10:11], exec
	s_and_b64 s[20:21], s[20:21], exec
	s_andn2_b64 s[16:17], s[16:17], exec
	s_and_b64 s[18:19], s[18:19], exec
	s_or_b64 s[4:5], s[4:5], s[20:21]
	s_or_b64 s[16:17], s[16:17], s[18:19]
.LBB234_193:
	s_or_b64 exec, exec, s[14:15]
	s_andn2_b64 s[10:11], s[10:11], exec
	s_and_b64 s[4:5], s[4:5], exec
	s_or_b64 s[10:11], s[10:11], s[4:5]
	s_andn2_b64 s[4:5], s[6:7], exec
	s_and_b64 s[6:7], s[16:17], exec
	s_or_b64 s[6:7], s[4:5], s[6:7]
.LBB234_194:
	s_or_b64 exec, exec, s[12:13]
	s_andn2_b64 s[4:5], s[34:35], exec
	s_and_b64 s[10:11], s[10:11], exec
	s_or_b64 s[10:11], s[4:5], s[10:11]
	s_and_b64 s[6:7], s[6:7], exec
                                        ; implicit-def: $vgpr2
                                        ; implicit-def: $vgpr0_vgpr1
	s_andn2_saveexec_b64 s[8:9], s[8:9]
	s_cbranch_execnz .LBB234_2289
.LBB234_195:
	s_or_b64 exec, exec, s[8:9]
	s_mov_b64 s[4:5], 0
	s_and_saveexec_b64 s[8:9], s[6:7]
.LBB234_196:
	s_mov_b64 s[4:5], exec
	v_add_u32_e32 v17, 0x80, v17
.LBB234_197:
	s_or_b64 exec, exec, s[8:9]
	s_andn2_b64 s[6:7], s[34:35], exec
	s_and_b64 s[8:9], s[10:11], exec
	s_or_b64 s[44:45], s[6:7], s[8:9]
	s_orn2_b64 s[4:5], s[4:5], exec
.LBB234_198:
	s_or_b64 exec, exec, s[46:47]
	s_mov_b64 s[8:9], 0
	s_mov_b64 s[10:11], 0
	;; [unrolled: 1-line block ×3, first 2 shown]
                                        ; implicit-def: $sgpr6_sgpr7
                                        ; implicit-def: $vgpr4
                                        ; implicit-def: $vgpr0_vgpr1
	s_and_saveexec_b64 s[46:47], s[4:5]
	s_cbranch_execz .LBB234_394
; %bb.199:
	v_cmp_gt_i32_e32 vcc, s33, v17
	s_mov_b64 s[8:9], -1
	s_mov_b64 s[50:51], s[44:45]
	s_and_saveexec_b64 s[48:49], vcc
	s_cbranch_execz .LBB234_297
; %bb.200:
	buffer_load_dword v0, off, s[0:3], 0 offset:24
                                        ; implicit-def: $vgpr15
                                        ; implicit-def: $vgpr3
                                        ; implicit-def: $vgpr1
	s_waitcnt vmcnt(0)
	v_add_u32_e32 v2, -1, v0
	v_cmp_lt_u32_e32 vcc, 1, v2
	s_and_saveexec_b64 s[4:5], vcc
	s_xor_b64 s[4:5], exec, s[4:5]
	s_cbranch_execz .LBB234_208
; %bb.201:
	v_mov_b32_e32 v15, 0
	v_cmp_ne_u32_e32 vcc, 0, v0
	v_mov_b32_e32 v3, 0
	v_mov_b32_e32 v1, 0
	s_and_saveexec_b64 s[6:7], vcc
	s_cbranch_execz .LBB234_207
; %bb.202:
	v_min_u32_e32 v2, 15, v2
	v_add_u32_e32 v0, 1, v2
	v_and_b32_e32 v4, 30, v0
	s_sub_i32 s10, 24, 24
	v_mov_b32_e32 v1, 0
	s_mov_b64 s[8:9], 0
	v_mov_b32_e32 v3, 0
	v_mov_b32_e32 v15, 0
	;; [unrolled: 1-line block ×3, first 2 shown]
.LBB234_203:                            ; =>This Inner Loop Header: Depth=1
	v_mov_b32_e32 v5, s10
	buffer_load_dword v6, v5, s[0:3], 0 offen offset:32
	buffer_load_dword v7, v5, s[0:3], 0 offen offset:28
	;; [unrolled: 1-line block ×12, first 2 shown]
	v_add_u32_e32 v4, -2, v4
	s_add_i32 s10, s10, 24
	v_cmp_eq_u32_e32 vcc, 0, v4
	v_mov_b32_e32 v5, s10
	s_or_b64 s[8:9], vcc, s[8:9]
	s_waitcnt vmcnt(0)
	v_mul_hi_u32 v6, v6, v0
	v_add_u32_e32 v6, v0, v6
	v_lshrrev_b32_e32 v6, v8, v6
	v_mul_lo_u32 v7, v6, v7
	v_mul_hi_u32 v8, v9, v6
	v_sub_u32_e32 v7, v0, v7
	v_add_u32_e32 v0, v6, v8
	v_lshrrev_b32_e32 v0, v11, v0
	v_mul_lo_u32 v10, v0, v10
	v_mul_lo_u32 v8, v7, v12
	;; [unrolled: 1-line block ×4, first 2 shown]
	v_sub_u32_e32 v6, v6, v10
	v_mul_lo_u32 v10, v6, v16
	v_mul_lo_u32 v11, v6, v18
	;; [unrolled: 1-line block ×3, first 2 shown]
	v_add3_u32 v15, v8, v15, v10
	v_add3_u32 v3, v9, v3, v11
	;; [unrolled: 1-line block ×3, first 2 shown]
	s_andn2_b64 exec, exec, s[8:9]
	s_cbranch_execnz .LBB234_203
; %bb.204:
	s_or_b64 exec, exec, s[8:9]
	v_and_b32_e32 v2, 1, v2
	v_cmp_eq_u32_e32 vcc, 0, v2
	s_and_saveexec_b64 s[8:9], vcc
	s_cbranch_execz .LBB234_206
; %bb.205:
	buffer_load_dword v2, v5, s[0:3], 0 offen offset:32
	buffer_load_dword v4, v5, s[0:3], 0 offen offset:36
	;; [unrolled: 1-line block ×6, first 2 shown]
	s_waitcnt vmcnt(0)
	v_mul_hi_u32 v2, v2, v0
	v_add_u32_e32 v2, v0, v2
	v_lshrrev_b32_e32 v2, v4, v2
	v_mul_lo_u32 v2, v2, v6
	v_sub_u32_e32 v0, v0, v2
	v_mad_u64_u32 v[15:16], s[10:11], v0, v7, v[15:16]
	v_mad_u64_u32 v[3:4], s[10:11], v0, v8, v[3:4]
	;; [unrolled: 1-line block ×3, first 2 shown]
.LBB234_206:
	s_or_b64 exec, exec, s[8:9]
.LBB234_207:
	s_or_b64 exec, exec, s[6:7]
                                        ; implicit-def: $vgpr0
.LBB234_208:
	s_andn2_saveexec_b64 s[4:5], s[4:5]
	s_cbranch_execz .LBB234_212
; %bb.209:
	buffer_load_dword v1, off, s[0:3], 0 offset:32
	buffer_load_dword v2, off, s[0:3], 0 offset:36
	buffer_load_dword v3, off, s[0:3], 0 offset:28
	buffer_load_dword v4, off, s[0:3], 0 offset:220
	buffer_load_dword v5, off, s[0:3], 0 offset:224
	buffer_load_dword v6, off, s[0:3], 0 offset:228
	v_cmp_lt_u32_e32 vcc, 1, v0
	s_waitcnt vmcnt(0)
	v_mul_hi_u32 v1, v1, v17
	v_add_u32_e32 v1, v17, v1
	v_lshrrev_b32_e32 v2, v2, v1
	v_mul_lo_u32 v1, v2, v3
	v_sub_u32_e32 v1, v17, v1
	v_mul_lo_u32 v15, v1, v4
	v_mul_lo_u32 v3, v1, v5
	;; [unrolled: 1-line block ×3, first 2 shown]
	s_and_saveexec_b64 s[6:7], vcc
	s_cbranch_execz .LBB234_211
; %bb.210:
	buffer_load_dword v0, off, s[0:3], 0 offset:44
	buffer_load_dword v4, off, s[0:3], 0 offset:48
	;; [unrolled: 1-line block ×6, first 2 shown]
	s_waitcnt vmcnt(0)
	v_mul_hi_u32 v0, v0, v2
	v_add_u32_e32 v0, v2, v0
	v_lshrrev_b32_e32 v0, v4, v0
	v_mul_lo_u32 v0, v0, v5
	v_sub_u32_e32 v0, v2, v0
	v_mad_u64_u32 v[15:16], s[8:9], v0, v6, v[15:16]
	v_mad_u64_u32 v[3:4], s[8:9], v0, v7, v[3:4]
	;; [unrolled: 1-line block ×3, first 2 shown]
.LBB234_211:
	s_or_b64 exec, exec, s[6:7]
.LBB234_212:
	s_or_b64 exec, exec, s[4:5]
	buffer_load_dword v0, off, s[0:3], 0 offset:440
	s_nop 0
	buffer_store_dword v15, off, s[0:3], 0
	buffer_store_dword v3, off, s[0:3], 0 offset:4
	buffer_store_dword v1, off, s[0:3], 0 offset:8
	s_getpc_b64 s[4:5]
	s_add_u32 s4, s4, _ZN2at6native6invokeINS0_13BinaryFunctorIN3c1011Float8_e5m2ES4_bNS0_12_GLOBAL__N_116CompareEqFunctorIS4_EEEEj15function_traitsIS8_EEENT1_11result_typeERKT_PrKPcPKT0_PKNS3_10ScalarTypeEi@rel32@lo+4
	s_addc_u32 s5, s5, _ZN2at6native6invokeINS0_13BinaryFunctorIN3c1011Float8_e5m2ES4_bNS0_12_GLOBAL__N_116CompareEqFunctorIS4_EEEEj15function_traitsIS8_EEENT1_11result_typeERKT_PrKPcPKT0_PKNS3_10ScalarTypeEi@rel32@hi+12
	v_mov_b32_e32 v1, s41
	v_mov_b32_e32 v2, s54
	;; [unrolled: 1-line block ×6, first 2 shown]
	s_swappc_b64 s[30:31], s[4:5]
	v_and_b32_e32 v0, 1, v0
	v_cmp_eq_u32_e32 vcc, 1, v0
	buffer_load_dword v0, off, s[0:3], 0 offset:416
	buffer_load_dword v1, off, s[0:3], 0 offset:420
	buffer_load_ubyte v2, off, s[0:3], 0 offset:444
	s_mov_b64 s[6:7], 0
	s_mov_b64 s[10:11], s[44:45]
	s_waitcnt vmcnt(2)
	v_add_co_u32_e64 v0, s[4:5], v0, v15
	s_waitcnt vmcnt(1)
	v_addc_co_u32_e64 v1, s[4:5], 0, v1, s[4:5]
	s_waitcnt vmcnt(0)
	v_cmp_lt_i16_e64 s[4:5], 10, v2
	s_and_saveexec_b64 s[8:9], s[4:5]
	s_xor_b64 s[8:9], exec, s[8:9]
	s_cbranch_execz .LBB234_2381
; %bb.213:
	v_cmp_lt_i16_e64 s[4:5], 25, v2
	s_mov_b64 s[10:11], s[44:45]
	s_and_saveexec_b64 s[12:13], s[4:5]
	s_xor_b64 s[12:13], exec, s[12:13]
	s_cbranch_execz .LBB234_249
; %bb.214:
	v_cmp_lt_i16_e64 s[4:5], 28, v2
	s_mov_b64 s[14:15], s[44:45]
	s_and_saveexec_b64 s[10:11], s[4:5]
	s_xor_b64 s[10:11], exec, s[10:11]
	s_cbranch_execz .LBB234_232
; %bb.215:
	v_cmp_lt_i16_e64 s[4:5], 43, v2
	s_mov_b64 s[18:19], s[44:45]
	s_and_saveexec_b64 s[14:15], s[4:5]
	s_xor_b64 s[14:15], exec, s[14:15]
	s_cbranch_execz .LBB234_227
; %bb.216:
	v_cmp_lt_i16_e64 s[4:5], 45, v2
	s_mov_b64 s[16:17], 0
	s_mov_b64 s[18:19], s[44:45]
	s_and_saveexec_b64 s[6:7], s[4:5]
	s_xor_b64 s[6:7], exec, s[6:7]
	s_cbranch_execz .LBB234_220
; %bb.217:
	v_cmp_eq_u16_e64 s[4:5], 46, v2
	s_mov_b64 s[20:21], -1
	s_and_saveexec_b64 s[18:19], s[4:5]
	s_cbranch_execz .LBB234_219
; %bb.218:
	v_cndmask_b32_e64 v2, 0, 1.0, vcc
	v_bfe_u32 v3, v2, 16, 1
	s_movk_i32 s4, 0x7fff
	v_add3_u32 v2, v2, v3, s4
	v_lshrrev_b32_e32 v2, 16, v2
	s_mov_b64 s[16:17], exec
	flat_store_dword v[0:1], v2
	s_xor_b64 s[20:21], exec, -1
.LBB234_219:
	s_or_b64 exec, exec, s[18:19]
	s_andn2_b64 s[4:5], s[44:45], exec
	s_and_b64 s[18:19], s[20:21], exec
	s_or_b64 s[18:19], s[4:5], s[18:19]
	s_and_b64 s[16:17], s[16:17], exec
                                        ; implicit-def: $vgpr2
                                        ; implicit-def: $vgpr0_vgpr1
.LBB234_220:
	s_andn2_saveexec_b64 s[20:21], s[6:7]
	s_cbranch_execz .LBB234_226
; %bb.221:
	v_cmp_eq_u16_e64 s[4:5], 44, v2
	s_mov_b64 s[24:25], -1
	s_mov_b64 s[6:7], s[16:17]
	s_and_saveexec_b64 s[22:23], s[4:5]
	s_cbranch_execz .LBB234_225
; %bb.222:
	v_cndmask_b32_e64 v3, 0, 1.0, vcc
	v_lshrrev_b32_e32 v2, 23, v3
	s_movk_i32 s4, 0xff
	v_cmp_ne_u32_e64 s[4:5], s4, v2
	v_mov_b32_e32 v4, 0xff
	s_and_saveexec_b64 s[24:25], s[4:5]
; %bb.223:
	s_mov_b32 s6, 0x3fffff
	v_and_b32_e32 v4, 0x400000, v3
	v_and_or_b32 v3, v3, s6, v2
	v_cmp_ne_u32_e64 s[4:5], 0, v4
	v_cmp_ne_u32_e64 s[6:7], 0, v3
	s_and_b64 s[4:5], s[4:5], s[6:7]
	v_cndmask_b32_e64 v3, 0, 1, s[4:5]
	v_add_u32_e32 v4, v2, v3
; %bb.224:
	s_or_b64 exec, exec, s[24:25]
	s_xor_b64 s[24:25], exec, -1
	s_or_b64 s[6:7], s[16:17], exec
	flat_store_byte v[0:1], v4
.LBB234_225:
	s_or_b64 exec, exec, s[22:23]
	s_andn2_b64 s[4:5], s[18:19], exec
	s_and_b64 s[18:19], s[24:25], exec
	s_or_b64 s[18:19], s[4:5], s[18:19]
	s_andn2_b64 s[4:5], s[16:17], exec
	s_and_b64 s[6:7], s[6:7], exec
	s_or_b64 s[16:17], s[4:5], s[6:7]
.LBB234_226:
	s_or_b64 exec, exec, s[20:21]
	s_andn2_b64 s[4:5], s[44:45], exec
	s_and_b64 s[6:7], s[18:19], exec
	s_or_b64 s[18:19], s[4:5], s[6:7]
	s_and_b64 s[6:7], s[16:17], exec
                                        ; implicit-def: $vgpr2
                                        ; implicit-def: $vgpr0_vgpr1
.LBB234_227:
	s_andn2_saveexec_b64 s[14:15], s[14:15]
	s_cbranch_execz .LBB234_231
; %bb.228:
	v_cmp_eq_u16_e64 s[4:5], 29, v2
	s_mov_b64 s[20:21], -1
	s_mov_b64 s[16:17], s[6:7]
	s_and_saveexec_b64 s[22:23], s[4:5]
	s_cbranch_execz .LBB234_230
; %bb.229:
	s_mov_b32 s4, 0
	v_cndmask_b32_e64 v2, 0, 1, vcc
	v_mov_b32_e32 v3, s4
	flat_store_dwordx2 v[0:1], v[2:3]
	s_xor_b64 s[20:21], exec, -1
	s_or_b64 s[16:17], s[6:7], exec
.LBB234_230:
	s_or_b64 exec, exec, s[22:23]
	s_andn2_b64 s[4:5], s[18:19], exec
	s_and_b64 s[18:19], s[20:21], exec
	s_or_b64 s[18:19], s[4:5], s[18:19]
	s_andn2_b64 s[4:5], s[6:7], exec
	s_and_b64 s[6:7], s[16:17], exec
	s_or_b64 s[6:7], s[4:5], s[6:7]
.LBB234_231:
	s_or_b64 exec, exec, s[14:15]
	s_andn2_b64 s[4:5], s[44:45], exec
	s_and_b64 s[14:15], s[18:19], exec
	s_or_b64 s[14:15], s[4:5], s[14:15]
	s_and_b64 s[6:7], s[6:7], exec
                                        ; implicit-def: $vgpr0_vgpr1
                                        ; implicit-def: $vgpr2
.LBB234_232:
	s_andn2_saveexec_b64 s[10:11], s[10:11]
	s_cbranch_execz .LBB234_248
; %bb.233:
	v_cmp_lt_i16_e64 s[4:5], 26, v2
	s_and_saveexec_b64 s[16:17], s[4:5]
	s_xor_b64 s[16:17], exec, s[16:17]
	s_cbranch_execz .LBB234_239
; %bb.234:
	v_cmp_lt_i16_e64 s[4:5], 27, v2
	s_and_saveexec_b64 s[18:19], s[4:5]
	s_xor_b64 s[4:5], exec, s[18:19]
	s_cbranch_execz .LBB234_236
; %bb.235:
	v_cndmask_b32_e64 v2, 0, 1, vcc
	flat_store_dword v[0:1], v2
                                        ; implicit-def: $vgpr0_vgpr1
.LBB234_236:
	s_andn2_saveexec_b64 s[4:5], s[4:5]
	s_cbranch_execz .LBB234_238
; %bb.237:
	v_cndmask_b32_e64 v2, 0, 1, vcc
	flat_store_short v[0:1], v2
.LBB234_238:
	s_or_b64 exec, exec, s[4:5]
                                        ; implicit-def: $vgpr0_vgpr1
.LBB234_239:
	s_andn2_saveexec_b64 s[16:17], s[16:17]
	s_cbranch_execz .LBB234_247
; %bb.240:
	v_cndmask_b32_e64 v3, 0, 1.0, vcc
	s_mov_b32 s4, 0x43800000
	v_cmp_gt_u32_e64 s[4:5], s4, v3
	v_mov_b32_e32 v4, 0x80
	s_and_saveexec_b64 s[18:19], s[4:5]
	s_cbranch_execz .LBB234_246
; %bb.241:
	s_mov_b32 s4, 0x3bffffff
	v_cmp_lt_u32_e64 s[4:5], s4, v3
	s_mov_b64 s[20:21], 0
                                        ; implicit-def: $vgpr2
	s_and_saveexec_b64 s[22:23], s[4:5]
	s_xor_b64 s[4:5], exec, s[22:23]
	s_cbranch_execz .LBB234_2692
; %bb.242:
	v_bfe_u32 v2, v3, 20, 1
	s_mov_b32 s22, 0x487ffff
	v_add3_u32 v2, v3, v2, s22
	s_mov_b64 s[20:21], exec
	v_lshrrev_b32_e32 v2, 20, v2
                                        ; implicit-def: $vgpr3
	s_andn2_saveexec_b64 s[22:23], s[4:5]
	s_cbranch_execnz .LBB234_2693
.LBB234_243:
	s_or_b64 exec, exec, s[22:23]
	v_mov_b32_e32 v4, 0
	s_and_saveexec_b64 s[4:5], s[20:21]
.LBB234_244:
	v_mov_b32_e32 v4, v2
.LBB234_245:
	s_or_b64 exec, exec, s[4:5]
.LBB234_246:
	s_or_b64 exec, exec, s[18:19]
	flat_store_byte v[0:1], v4
.LBB234_247:
	s_or_b64 exec, exec, s[16:17]
	s_or_b64 s[6:7], s[6:7], exec
.LBB234_248:
	s_or_b64 exec, exec, s[10:11]
	s_andn2_b64 s[4:5], s[44:45], exec
	s_and_b64 s[10:11], s[14:15], exec
	s_or_b64 s[10:11], s[4:5], s[10:11]
	s_and_b64 s[6:7], s[6:7], exec
                                        ; implicit-def: $vgpr2
                                        ; implicit-def: $vgpr0_vgpr1
.LBB234_249:
	s_andn2_saveexec_b64 s[12:13], s[12:13]
	s_cbranch_execz .LBB234_293
; %bb.250:
	v_cmp_lt_i16_e64 s[4:5], 22, v2
	s_mov_b64 s[16:17], s[6:7]
	s_and_saveexec_b64 s[14:15], s[4:5]
	s_xor_b64 s[14:15], exec, s[14:15]
	s_cbranch_execz .LBB234_282
; %bb.251:
	v_cmp_lt_i16_e64 s[4:5], 23, v2
	s_and_saveexec_b64 s[16:17], s[4:5]
	s_xor_b64 s[16:17], exec, s[16:17]
	s_cbranch_execz .LBB234_271
; %bb.252:
	v_cmp_lt_i16_e64 s[4:5], 24, v2
	s_and_saveexec_b64 s[18:19], s[4:5]
	s_xor_b64 s[18:19], exec, s[18:19]
	s_cbranch_execz .LBB234_260
; %bb.253:
	v_cndmask_b32_e64 v3, 0, 1.0, vcc
	s_mov_b32 s4, 0x47800000
	v_cmp_gt_u32_e64 s[4:5], s4, v3
	v_mov_b32_e32 v4, 0x80
	s_and_saveexec_b64 s[20:21], s[4:5]
	s_cbranch_execz .LBB234_259
; %bb.254:
	s_mov_b32 s4, 0x37ffffff
	v_cmp_lt_u32_e64 s[4:5], s4, v3
	s_mov_b64 s[22:23], 0
                                        ; implicit-def: $vgpr2
	s_and_saveexec_b64 s[24:25], s[4:5]
	s_xor_b64 s[4:5], exec, s[24:25]
	s_cbranch_execz .LBB234_2741
; %bb.255:
	v_bfe_u32 v2, v3, 21, 1
	s_mov_b32 s24, 0x88fffff
	v_add3_u32 v2, v3, v2, s24
	s_mov_b64 s[22:23], exec
	v_lshrrev_b32_e32 v2, 21, v2
                                        ; implicit-def: $vgpr3
	s_andn2_saveexec_b64 s[24:25], s[4:5]
	s_cbranch_execnz .LBB234_2742
.LBB234_256:
	s_or_b64 exec, exec, s[24:25]
	v_mov_b32_e32 v4, 0
	s_and_saveexec_b64 s[4:5], s[22:23]
.LBB234_257:
	v_mov_b32_e32 v4, v2
.LBB234_258:
	s_or_b64 exec, exec, s[4:5]
.LBB234_259:
	s_or_b64 exec, exec, s[20:21]
	flat_store_byte v[0:1], v4
                                        ; implicit-def: $vgpr0_vgpr1
.LBB234_260:
	s_andn2_saveexec_b64 s[18:19], s[18:19]
	s_cbranch_execz .LBB234_270
; %bb.261:
	v_cndmask_b32_e64 v2, 0, 1.0, vcc
	s_mov_b32 s4, 0x43f00000
	v_cmp_gt_u32_e64 s[4:5], s4, v2
                                        ; implicit-def: $vgpr3
	s_and_saveexec_b64 s[20:21], s[4:5]
	s_xor_b64 s[20:21], exec, s[20:21]
	s_cbranch_execz .LBB234_267
; %bb.262:
	s_mov_b32 s4, 0x3c7fffff
	v_cmp_lt_u32_e64 s[4:5], s4, v2
                                        ; implicit-def: $vgpr3
	s_and_saveexec_b64 s[22:23], s[4:5]
	s_xor_b64 s[22:23], exec, s[22:23]
; %bb.263:
	v_bfe_u32 v3, v2, 20, 1
	s_mov_b32 s4, 0x407ffff
	v_add3_u32 v2, v2, v3, s4
	v_lshrrev_b32_e32 v3, 20, v2
	v_and_b32_e32 v2, 0xff00000, v2
	s_mov_b32 s4, 0x7f00000
	v_mov_b32_e32 v4, 0x7e
	v_cmp_ne_u32_e64 s[4:5], s4, v2
	v_cndmask_b32_e64 v3, v4, v3, s[4:5]
                                        ; implicit-def: $vgpr2
; %bb.264:
	s_andn2_saveexec_b64 s[4:5], s[22:23]
; %bb.265:
	v_add_f32_e32 v3, 0x46800000, v2
; %bb.266:
	s_or_b64 exec, exec, s[4:5]
                                        ; implicit-def: $vgpr2
.LBB234_267:
	s_andn2_saveexec_b64 s[20:21], s[20:21]
; %bb.268:
	s_mov_b32 s4, 0x7f800000
	v_mov_b32_e32 v3, 0x7e
	v_mov_b32_e32 v4, 0x7f
	v_cmp_lt_u32_e64 s[4:5], s4, v2
	v_cndmask_b32_e64 v3, v3, v4, s[4:5]
; %bb.269:
	s_or_b64 exec, exec, s[20:21]
	flat_store_byte v[0:1], v3
.LBB234_270:
	s_or_b64 exec, exec, s[18:19]
                                        ; implicit-def: $vgpr0_vgpr1
.LBB234_271:
	s_andn2_saveexec_b64 s[16:17], s[16:17]
	s_cbranch_execz .LBB234_281
; %bb.272:
	v_cndmask_b32_e64 v2, 0, 1.0, vcc
	s_mov_b32 s4, 0x47800000
	v_cmp_gt_u32_e64 s[4:5], s4, v2
                                        ; implicit-def: $vgpr3
	s_and_saveexec_b64 s[18:19], s[4:5]
	s_xor_b64 s[18:19], exec, s[18:19]
	s_cbranch_execz .LBB234_278
; %bb.273:
	s_mov_b32 s4, 0x387fffff
	v_cmp_lt_u32_e64 s[4:5], s4, v2
                                        ; implicit-def: $vgpr3
	s_and_saveexec_b64 s[20:21], s[4:5]
	s_xor_b64 s[4:5], exec, s[20:21]
; %bb.274:
	v_bfe_u32 v3, v2, 21, 1
	s_mov_b32 s20, 0x80fffff
	v_add3_u32 v2, v2, v3, s20
	v_lshrrev_b32_e32 v3, 21, v2
                                        ; implicit-def: $vgpr2
; %bb.275:
	s_andn2_saveexec_b64 s[4:5], s[4:5]
; %bb.276:
	v_add_f32_e32 v3, 0x43000000, v2
; %bb.277:
	s_or_b64 exec, exec, s[4:5]
                                        ; implicit-def: $vgpr2
.LBB234_278:
	s_andn2_saveexec_b64 s[18:19], s[18:19]
; %bb.279:
	s_mov_b32 s4, 0x7f800000
	v_mov_b32_e32 v3, 0x7c
	v_mov_b32_e32 v4, 0x7f
	v_cmp_lt_u32_e64 s[4:5], s4, v2
	v_cndmask_b32_e64 v3, v3, v4, s[4:5]
; %bb.280:
	s_or_b64 exec, exec, s[18:19]
	flat_store_byte v[0:1], v3
.LBB234_281:
	s_or_b64 exec, exec, s[16:17]
	s_or_b64 s[16:17], s[6:7], exec
                                        ; implicit-def: $vgpr2
                                        ; implicit-def: $vgpr0_vgpr1
.LBB234_282:
	s_or_saveexec_b64 s[14:15], s[14:15]
	s_mov_b64 s[4:5], s[10:11]
	s_xor_b64 exec, exec, s[14:15]
	s_cbranch_execz .LBB234_292
; %bb.283:
	v_cmp_lt_i16_e64 s[4:5], 14, v2
	s_mov_b64 s[18:19], s[16:17]
	s_mov_b64 s[20:21], s[10:11]
	s_and_saveexec_b64 s[22:23], s[4:5]
	s_xor_b64 s[22:23], exec, s[22:23]
	s_cbranch_execz .LBB234_287
; %bb.284:
	v_cmp_eq_u16_e64 s[4:5], 15, v2
	s_mov_b64 s[20:21], -1
	s_mov_b64 s[18:19], s[16:17]
	s_and_saveexec_b64 s[24:25], s[4:5]
	s_cbranch_execz .LBB234_286
; %bb.285:
	v_cndmask_b32_e64 v2, 0, 1.0, vcc
	v_bfe_u32 v3, v2, 16, 1
	s_movk_i32 s4, 0x7fff
	v_add3_u32 v2, v2, v3, s4
	flat_store_short_d16_hi v[0:1], v2
	s_xor_b64 s[20:21], exec, -1
	s_or_b64 s[18:19], s[16:17], exec
.LBB234_286:
	s_or_b64 exec, exec, s[24:25]
	s_andn2_b64 s[4:5], s[10:11], exec
	s_and_b64 s[20:21], s[20:21], exec
	s_or_b64 s[20:21], s[4:5], s[20:21]
	s_andn2_b64 s[4:5], s[16:17], exec
	s_and_b64 s[18:19], s[18:19], exec
	s_or_b64 s[18:19], s[4:5], s[18:19]
                                        ; implicit-def: $vgpr2
                                        ; implicit-def: $vgpr0_vgpr1
.LBB234_287:
	s_andn2_saveexec_b64 s[22:23], s[22:23]
	s_cbranch_execz .LBB234_291
; %bb.288:
	v_cmp_eq_u16_e64 s[4:5], 11, v2
	s_mov_b64 s[26:27], -1
	s_mov_b64 s[24:25], s[18:19]
	s_and_saveexec_b64 s[28:29], s[4:5]
	s_cbranch_execz .LBB234_290
; %bb.289:
	v_cndmask_b32_e64 v2, 0, 1, vcc
	flat_store_byte v[0:1], v2
	s_xor_b64 s[26:27], exec, -1
	s_or_b64 s[24:25], s[18:19], exec
.LBB234_290:
	s_or_b64 exec, exec, s[28:29]
	s_andn2_b64 s[4:5], s[20:21], exec
	s_and_b64 s[20:21], s[26:27], exec
	s_or_b64 s[20:21], s[4:5], s[20:21]
	s_andn2_b64 s[4:5], s[18:19], exec
	s_and_b64 s[18:19], s[24:25], exec
	s_or_b64 s[18:19], s[4:5], s[18:19]
.LBB234_291:
	s_or_b64 exec, exec, s[22:23]
	s_andn2_b64 s[4:5], s[10:11], exec
	s_and_b64 s[20:21], s[20:21], exec
	s_andn2_b64 s[16:17], s[16:17], exec
	s_and_b64 s[18:19], s[18:19], exec
	s_or_b64 s[4:5], s[4:5], s[20:21]
	s_or_b64 s[16:17], s[16:17], s[18:19]
.LBB234_292:
	s_or_b64 exec, exec, s[14:15]
	s_andn2_b64 s[10:11], s[10:11], exec
	s_and_b64 s[4:5], s[4:5], exec
	s_or_b64 s[10:11], s[10:11], s[4:5]
	s_andn2_b64 s[4:5], s[6:7], exec
	s_and_b64 s[6:7], s[16:17], exec
	s_or_b64 s[6:7], s[4:5], s[6:7]
.LBB234_293:
	s_or_b64 exec, exec, s[12:13]
	s_andn2_b64 s[4:5], s[44:45], exec
	s_and_b64 s[10:11], s[10:11], exec
	s_or_b64 s[10:11], s[4:5], s[10:11]
	s_and_b64 s[6:7], s[6:7], exec
                                        ; implicit-def: $vgpr2
                                        ; implicit-def: $vgpr0_vgpr1
	s_andn2_saveexec_b64 s[8:9], s[8:9]
	s_cbranch_execnz .LBB234_2382
.LBB234_294:
	s_or_b64 exec, exec, s[8:9]
	s_mov_b64 s[4:5], 0
	s_and_saveexec_b64 s[8:9], s[6:7]
.LBB234_295:
	s_mov_b64 s[4:5], exec
	v_add_u32_e32 v17, 0x80, v17
.LBB234_296:
	s_or_b64 exec, exec, s[8:9]
	s_andn2_b64 s[6:7], s[44:45], exec
	s_and_b64 s[8:9], s[10:11], exec
	s_or_b64 s[50:51], s[6:7], s[8:9]
	s_orn2_b64 s[8:9], s[4:5], exec
.LBB234_297:
	s_or_b64 exec, exec, s[48:49]
	s_mov_b64 s[4:5], 0
	s_mov_b64 s[10:11], 0
	;; [unrolled: 1-line block ×3, first 2 shown]
                                        ; implicit-def: $sgpr6_sgpr7
                                        ; implicit-def: $vgpr4
                                        ; implicit-def: $vgpr0_vgpr1
	s_and_saveexec_b64 s[48:49], s[8:9]
	s_cbranch_execz .LBB234_393
; %bb.298:
	v_cmp_gt_i32_e32 vcc, s33, v17
	s_mov_b64 s[8:9], s[50:51]
                                        ; implicit-def: $sgpr6_sgpr7
                                        ; implicit-def: $vgpr4
                                        ; implicit-def: $vgpr0_vgpr1
	s_and_saveexec_b64 s[52:53], vcc
	s_cbranch_execz .LBB234_392
; %bb.299:
	buffer_load_dword v0, off, s[0:3], 0 offset:24
                                        ; implicit-def: $vgpr15
                                        ; implicit-def: $vgpr3
                                        ; implicit-def: $vgpr1
	s_waitcnt vmcnt(0)
	v_add_u32_e32 v2, -1, v0
	v_cmp_lt_u32_e32 vcc, 1, v2
	s_and_saveexec_b64 s[4:5], vcc
	s_xor_b64 s[4:5], exec, s[4:5]
	s_cbranch_execz .LBB234_307
; %bb.300:
	v_mov_b32_e32 v15, 0
	v_cmp_ne_u32_e32 vcc, 0, v0
	v_mov_b32_e32 v3, 0
	v_mov_b32_e32 v1, 0
	s_and_saveexec_b64 s[6:7], vcc
	s_cbranch_execz .LBB234_306
; %bb.301:
	v_min_u32_e32 v0, 15, v2
	v_add_u32_e32 v1, 1, v0
	v_and_b32_e32 v2, 30, v1
	s_sub_i32 s10, 24, 24
	v_mov_b32_e32 v1, 0
	s_mov_b64 s[8:9], 0
	v_mov_b32_e32 v3, 0
	v_mov_b32_e32 v15, 0
.LBB234_302:                            ; =>This Inner Loop Header: Depth=1
	v_mov_b32_e32 v4, s10
	buffer_load_dword v5, v4, s[0:3], 0 offen offset:32
	buffer_load_dword v6, v4, s[0:3], 0 offen offset:28
	;; [unrolled: 1-line block ×12, first 2 shown]
	v_add_u32_e32 v2, -2, v2
	s_add_i32 s10, s10, 24
	v_cmp_eq_u32_e32 vcc, 0, v2
	v_mov_b32_e32 v4, s10
	s_or_b64 s[8:9], vcc, s[8:9]
	s_waitcnt vmcnt(0)
	v_mul_hi_u32 v5, v5, v17
	v_add_u32_e32 v5, v17, v5
	v_lshrrev_b32_e32 v5, v7, v5
	v_mul_hi_u32 v7, v8, v5
	v_mul_lo_u32 v6, v5, v6
	v_add_u32_e32 v7, v5, v7
	v_sub_u32_e32 v6, v17, v6
	v_lshrrev_b32_e32 v17, v10, v7
	v_mul_lo_u32 v7, v17, v9
	v_mul_lo_u32 v8, v6, v11
	;; [unrolled: 1-line block ×4, first 2 shown]
	v_sub_u32_e32 v5, v5, v7
	v_mul_lo_u32 v7, v5, v14
	v_mul_lo_u32 v9, v5, v16
	;; [unrolled: 1-line block ×3, first 2 shown]
	v_add3_u32 v15, v8, v15, v7
	v_add3_u32 v3, v11, v3, v9
	;; [unrolled: 1-line block ×3, first 2 shown]
	s_andn2_b64 exec, exec, s[8:9]
	s_cbranch_execnz .LBB234_302
; %bb.303:
	s_or_b64 exec, exec, s[8:9]
	v_and_b32_e32 v0, 1, v0
	v_cmp_eq_u32_e32 vcc, 0, v0
	s_and_saveexec_b64 s[8:9], vcc
	s_cbranch_execz .LBB234_305
; %bb.304:
	buffer_load_dword v0, v4, s[0:3], 0 offen offset:32
	buffer_load_dword v2, v4, s[0:3], 0 offen offset:36
	;; [unrolled: 1-line block ×6, first 2 shown]
	s_waitcnt vmcnt(0)
	v_mul_hi_u32 v0, v0, v17
	v_add_u32_e32 v0, v17, v0
	v_lshrrev_b32_e32 v0, v2, v0
	v_mul_lo_u32 v0, v0, v5
	v_sub_u32_e32 v0, v17, v0
	v_mad_u64_u32 v[15:16], s[10:11], v0, v6, v[15:16]
	v_mad_u64_u32 v[3:4], s[10:11], v0, v7, v[3:4]
	;; [unrolled: 1-line block ×3, first 2 shown]
.LBB234_305:
	s_or_b64 exec, exec, s[8:9]
.LBB234_306:
	s_or_b64 exec, exec, s[6:7]
                                        ; implicit-def: $vgpr17
                                        ; implicit-def: $vgpr0
.LBB234_307:
	s_andn2_saveexec_b64 s[4:5], s[4:5]
	s_cbranch_execz .LBB234_311
; %bb.308:
	buffer_load_dword v1, off, s[0:3], 0 offset:32
	buffer_load_dword v2, off, s[0:3], 0 offset:36
	;; [unrolled: 1-line block ×6, first 2 shown]
	v_cmp_lt_u32_e32 vcc, 1, v0
	s_waitcnt vmcnt(0)
	v_mul_hi_u32 v1, v1, v17
	v_add_u32_e32 v1, v17, v1
	v_lshrrev_b32_e32 v2, v2, v1
	v_mul_lo_u32 v1, v2, v3
	v_sub_u32_e32 v1, v17, v1
	v_mul_lo_u32 v15, v1, v4
	v_mul_lo_u32 v3, v1, v5
	;; [unrolled: 1-line block ×3, first 2 shown]
	s_and_saveexec_b64 s[6:7], vcc
	s_cbranch_execz .LBB234_310
; %bb.309:
	buffer_load_dword v0, off, s[0:3], 0 offset:44
	buffer_load_dword v4, off, s[0:3], 0 offset:48
	;; [unrolled: 1-line block ×6, first 2 shown]
	s_waitcnt vmcnt(0)
	v_mul_hi_u32 v0, v0, v2
	v_add_u32_e32 v0, v2, v0
	v_lshrrev_b32_e32 v0, v4, v0
	v_mul_lo_u32 v0, v0, v5
	v_sub_u32_e32 v0, v2, v0
	v_mad_u64_u32 v[15:16], s[8:9], v0, v6, v[15:16]
	v_mad_u64_u32 v[3:4], s[8:9], v0, v7, v[3:4]
	;; [unrolled: 1-line block ×3, first 2 shown]
.LBB234_310:
	s_or_b64 exec, exec, s[6:7]
.LBB234_311:
	s_or_b64 exec, exec, s[4:5]
	buffer_load_dword v0, off, s[0:3], 0 offset:440
	s_nop 0
	buffer_store_dword v15, off, s[0:3], 0
	buffer_store_dword v3, off, s[0:3], 0 offset:4
	buffer_store_dword v1, off, s[0:3], 0 offset:8
	s_getpc_b64 s[4:5]
	s_add_u32 s4, s4, _ZN2at6native6invokeINS0_13BinaryFunctorIN3c1011Float8_e5m2ES4_bNS0_12_GLOBAL__N_116CompareEqFunctorIS4_EEEEj15function_traitsIS8_EEENT1_11result_typeERKT_PrKPcPKT0_PKNS3_10ScalarTypeEi@rel32@lo+4
	s_addc_u32 s5, s5, _ZN2at6native6invokeINS0_13BinaryFunctorIN3c1011Float8_e5m2ES4_bNS0_12_GLOBAL__N_116CompareEqFunctorIS4_EEEEj15function_traitsIS8_EEENT1_11result_typeERKT_PrKPcPKT0_PKNS3_10ScalarTypeEi@rel32@hi+12
	v_mov_b32_e32 v1, s41
	v_mov_b32_e32 v2, s54
	;; [unrolled: 1-line block ×6, first 2 shown]
	s_swappc_b64 s[30:31], s[4:5]
	v_and_b32_e32 v0, 1, v0
	v_cmp_eq_u32_e64 s[6:7], 1, v0
	buffer_load_dword v0, off, s[0:3], 0 offset:416
	buffer_load_dword v1, off, s[0:3], 0 offset:420
	buffer_load_ubyte v4, off, s[0:3], 0 offset:444
	s_mov_b64 s[10:11], -1
	s_mov_b64 s[14:15], 0
	s_mov_b64 s[16:17], s[50:51]
	;; [unrolled: 1-line block ×3, first 2 shown]
	s_waitcnt vmcnt(2)
	v_add_co_u32_e32 v0, vcc, v0, v15
	s_waitcnt vmcnt(1)
	v_addc_co_u32_e32 v1, vcc, 0, v1, vcc
	s_waitcnt vmcnt(0)
	v_cmp_lt_i16_e32 vcc, 10, v4
	s_and_saveexec_b64 s[8:9], vcc
	s_cbranch_execz .LBB234_391
; %bb.312:
	v_cmp_lt_i16_e32 vcc, 25, v4
	s_mov_b64 s[4:5], s[50:51]
	s_mov_b64 s[10:11], 0
	s_and_saveexec_b64 s[12:13], vcc
	s_xor_b64 s[12:13], exec, s[12:13]
	s_cbranch_execz .LBB234_348
; %bb.313:
	v_cmp_lt_i16_e32 vcc, 28, v4
	s_mov_b64 s[4:5], 0
	s_mov_b64 s[16:17], s[50:51]
	s_and_saveexec_b64 s[10:11], vcc
	s_xor_b64 s[10:11], exec, s[10:11]
	s_cbranch_execz .LBB234_331
; %bb.314:
	v_cmp_lt_i16_e32 vcc, 43, v4
	s_mov_b64 s[18:19], s[50:51]
	s_and_saveexec_b64 s[16:17], vcc
	s_xor_b64 s[16:17], exec, s[16:17]
	s_cbranch_execz .LBB234_326
; %bb.315:
	v_cmp_lt_i16_e32 vcc, 45, v4
	s_mov_b64 s[18:19], 0
	s_mov_b64 s[20:21], s[50:51]
	s_and_saveexec_b64 s[4:5], vcc
	s_xor_b64 s[4:5], exec, s[4:5]
	s_cbranch_execz .LBB234_319
; %bb.316:
	v_cmp_eq_u16_e32 vcc, 46, v4
	s_mov_b64 s[20:21], -1
	s_and_saveexec_b64 s[22:23], vcc
	s_cbranch_execz .LBB234_318
; %bb.317:
	v_cndmask_b32_e64 v2, 0, 1.0, s[6:7]
	v_bfe_u32 v3, v2, 16, 1
	s_movk_i32 s20, 0x7fff
	v_add3_u32 v2, v2, v3, s20
	v_lshrrev_b32_e32 v2, 16, v2
	s_mov_b64 s[18:19], exec
	flat_store_dword v[0:1], v2
	s_xor_b64 s[20:21], exec, -1
.LBB234_318:
	s_or_b64 exec, exec, s[22:23]
	s_andn2_b64 s[22:23], s[50:51], exec
	s_and_b64 s[20:21], s[20:21], exec
	s_and_b64 s[18:19], s[18:19], exec
	s_or_b64 s[20:21], s[22:23], s[20:21]
.LBB234_319:
	s_andn2_saveexec_b64 s[22:23], s[4:5]
	s_cbranch_execz .LBB234_325
; %bb.320:
	v_cmp_eq_u16_e32 vcc, 44, v4
	s_mov_b64 s[4:5], -1
	s_mov_b64 s[26:27], s[18:19]
	s_and_saveexec_b64 s[24:25], vcc
	s_cbranch_execz .LBB234_324
; %bb.321:
	v_cndmask_b32_e64 v3, 0, 1.0, s[6:7]
	v_lshrrev_b32_e32 v2, 23, v3
	s_movk_i32 s4, 0xff
	v_cmp_ne_u32_e32 vcc, s4, v2
	v_mov_b32_e32 v5, 0xff
	s_and_saveexec_b64 s[26:27], vcc
; %bb.322:
	s_mov_b32 s4, 0x3fffff
	v_and_b32_e32 v5, 0x400000, v3
	v_and_or_b32 v3, v3, s4, v2
	v_cmp_ne_u32_e32 vcc, 0, v5
	v_cmp_ne_u32_e64 s[4:5], 0, v3
	s_and_b64 s[4:5], vcc, s[4:5]
	v_cndmask_b32_e64 v3, 0, 1, s[4:5]
	v_add_u32_e32 v5, v2, v3
; %bb.323:
	s_or_b64 exec, exec, s[26:27]
	s_or_b64 s[26:27], s[18:19], exec
	s_xor_b64 s[4:5], exec, -1
	flat_store_byte v[0:1], v5
.LBB234_324:
	s_or_b64 exec, exec, s[24:25]
	s_andn2_b64 s[18:19], s[18:19], exec
	s_and_b64 s[24:25], s[26:27], exec
	s_andn2_b64 s[20:21], s[20:21], exec
	s_and_b64 s[4:5], s[4:5], exec
	s_or_b64 s[18:19], s[18:19], s[24:25]
	s_or_b64 s[20:21], s[20:21], s[4:5]
.LBB234_325:
	s_or_b64 exec, exec, s[22:23]
	s_and_b64 s[4:5], s[18:19], exec
	s_andn2_b64 s[18:19], s[50:51], exec
	s_and_b64 s[20:21], s[20:21], exec
	s_or_b64 s[18:19], s[18:19], s[20:21]
.LBB234_326:
	s_andn2_saveexec_b64 s[16:17], s[16:17]
	s_cbranch_execz .LBB234_330
; %bb.327:
	v_cmp_eq_u16_e32 vcc, 29, v4
	s_mov_b64 s[20:21], -1
	s_mov_b64 s[24:25], s[4:5]
	s_and_saveexec_b64 s[22:23], vcc
	s_cbranch_execz .LBB234_329
; %bb.328:
	s_mov_b32 s20, 0
	v_cndmask_b32_e64 v2, 0, 1, s[6:7]
	v_mov_b32_e32 v3, s20
	flat_store_dwordx2 v[0:1], v[2:3]
	s_or_b64 s[24:25], s[4:5], exec
	s_xor_b64 s[20:21], exec, -1
.LBB234_329:
	s_or_b64 exec, exec, s[22:23]
	s_andn2_b64 s[4:5], s[4:5], exec
	s_and_b64 s[22:23], s[24:25], exec
	s_andn2_b64 s[18:19], s[18:19], exec
	s_and_b64 s[20:21], s[20:21], exec
	s_or_b64 s[4:5], s[4:5], s[22:23]
	s_or_b64 s[18:19], s[18:19], s[20:21]
.LBB234_330:
	s_or_b64 exec, exec, s[16:17]
	s_andn2_b64 s[16:17], s[50:51], exec
	s_and_b64 s[18:19], s[18:19], exec
	s_and_b64 s[4:5], s[4:5], exec
	s_or_b64 s[16:17], s[16:17], s[18:19]
.LBB234_331:
	s_andn2_saveexec_b64 s[10:11], s[10:11]
	s_cbranch_execz .LBB234_347
; %bb.332:
	v_cmp_lt_i16_e32 vcc, 26, v4
	s_and_saveexec_b64 s[18:19], vcc
	s_xor_b64 s[18:19], exec, s[18:19]
	s_cbranch_execz .LBB234_338
; %bb.333:
	v_cmp_lt_i16_e32 vcc, 27, v4
	v_cndmask_b32_e64 v2, 0, 1, s[6:7]
	s_and_saveexec_b64 s[20:21], vcc
	s_xor_b64 s[20:21], exec, s[20:21]
	s_cbranch_execz .LBB234_335
; %bb.334:
	flat_store_dword v[0:1], v2
                                        ; implicit-def: $vgpr2
.LBB234_335:
	s_andn2_saveexec_b64 s[20:21], s[20:21]
	s_cbranch_execz .LBB234_337
; %bb.336:
	flat_store_short v[0:1], v2
.LBB234_337:
	s_or_b64 exec, exec, s[20:21]
.LBB234_338:
	s_andn2_saveexec_b64 s[18:19], s[18:19]
	s_cbranch_execz .LBB234_346
; %bb.339:
	v_cndmask_b32_e64 v3, 0, 1.0, s[6:7]
	s_mov_b32 s20, 0x43800000
	v_cmp_gt_u32_e32 vcc, s20, v3
	v_mov_b32_e32 v5, 0x80
	s_and_saveexec_b64 s[20:21], vcc
	s_cbranch_execz .LBB234_345
; %bb.340:
	s_mov_b32 s22, 0x3bffffff
	v_cmp_lt_u32_e32 vcc, s22, v3
	s_mov_b64 s[22:23], 0
                                        ; implicit-def: $vgpr2
	s_and_saveexec_b64 s[24:25], vcc
	s_xor_b64 s[24:25], exec, s[24:25]
	s_cbranch_execz .LBB234_2743
; %bb.341:
	v_bfe_u32 v2, v3, 20, 1
	s_mov_b32 s26, 0x487ffff
	v_add3_u32 v2, v3, v2, s26
	s_mov_b64 s[22:23], exec
	v_lshrrev_b32_e32 v2, 20, v2
                                        ; implicit-def: $vgpr3
	s_andn2_saveexec_b64 s[24:25], s[24:25]
	s_cbranch_execnz .LBB234_2744
.LBB234_342:
	s_or_b64 exec, exec, s[24:25]
	v_mov_b32_e32 v5, 0
	s_and_saveexec_b64 s[24:25], s[22:23]
.LBB234_343:
	v_mov_b32_e32 v5, v2
.LBB234_344:
	s_or_b64 exec, exec, s[24:25]
.LBB234_345:
	s_or_b64 exec, exec, s[20:21]
	flat_store_byte v[0:1], v5
.LBB234_346:
	s_or_b64 exec, exec, s[18:19]
	s_or_b64 s[4:5], s[4:5], exec
.LBB234_347:
	s_or_b64 exec, exec, s[10:11]
	s_and_b64 s[10:11], s[4:5], exec
	s_andn2_b64 s[4:5], s[50:51], exec
	s_and_b64 s[16:17], s[16:17], exec
	s_or_b64 s[4:5], s[4:5], s[16:17]
.LBB234_348:
	s_andn2_saveexec_b64 s[12:13], s[12:13]
	s_cbranch_execz .LBB234_390
; %bb.349:
	v_cmp_lt_i16_e32 vcc, 22, v4
	s_mov_b64 s[16:17], s[10:11]
	s_and_saveexec_b64 s[14:15], vcc
	s_xor_b64 s[14:15], exec, s[14:15]
	s_cbranch_execz .LBB234_381
; %bb.350:
	v_cmp_lt_i16_e32 vcc, 23, v4
	s_and_saveexec_b64 s[16:17], vcc
	s_xor_b64 s[16:17], exec, s[16:17]
	s_cbranch_execz .LBB234_370
; %bb.351:
	v_cmp_lt_i16_e32 vcc, 24, v4
	s_and_saveexec_b64 s[18:19], vcc
	s_xor_b64 s[18:19], exec, s[18:19]
	s_cbranch_execz .LBB234_359
; %bb.352:
	v_cndmask_b32_e64 v3, 0, 1.0, s[6:7]
	s_mov_b32 s20, 0x47800000
	v_cmp_gt_u32_e32 vcc, s20, v3
	v_mov_b32_e32 v5, 0x80
	s_and_saveexec_b64 s[20:21], vcc
	s_cbranch_execz .LBB234_358
; %bb.353:
	s_mov_b32 s22, 0x37ffffff
	v_cmp_lt_u32_e32 vcc, s22, v3
	s_mov_b64 s[22:23], 0
                                        ; implicit-def: $vgpr2
	s_and_saveexec_b64 s[24:25], vcc
	s_xor_b64 s[24:25], exec, s[24:25]
	s_cbranch_execz .LBB234_2792
; %bb.354:
	v_bfe_u32 v2, v3, 21, 1
	s_mov_b32 s26, 0x88fffff
	v_add3_u32 v2, v3, v2, s26
	s_mov_b64 s[22:23], exec
	v_lshrrev_b32_e32 v2, 21, v2
                                        ; implicit-def: $vgpr3
	s_andn2_saveexec_b64 s[24:25], s[24:25]
	s_cbranch_execnz .LBB234_2793
.LBB234_355:
	s_or_b64 exec, exec, s[24:25]
	v_mov_b32_e32 v5, 0
	s_and_saveexec_b64 s[24:25], s[22:23]
.LBB234_356:
	v_mov_b32_e32 v5, v2
.LBB234_357:
	s_or_b64 exec, exec, s[24:25]
.LBB234_358:
	s_or_b64 exec, exec, s[20:21]
	flat_store_byte v[0:1], v5
.LBB234_359:
	s_andn2_saveexec_b64 s[18:19], s[18:19]
	s_cbranch_execz .LBB234_369
; %bb.360:
	v_cndmask_b32_e64 v2, 0, 1.0, s[6:7]
	s_mov_b32 s20, 0x43f00000
	v_cmp_gt_u32_e32 vcc, s20, v2
                                        ; implicit-def: $vgpr3
	s_and_saveexec_b64 s[20:21], vcc
	s_xor_b64 s[20:21], exec, s[20:21]
	s_cbranch_execz .LBB234_366
; %bb.361:
	s_mov_b32 s22, 0x3c7fffff
	v_cmp_lt_u32_e32 vcc, s22, v2
                                        ; implicit-def: $vgpr3
	s_and_saveexec_b64 s[22:23], vcc
	s_xor_b64 s[22:23], exec, s[22:23]
; %bb.362:
	v_bfe_u32 v3, v2, 20, 1
	s_mov_b32 s24, 0x407ffff
	v_add3_u32 v2, v2, v3, s24
	v_lshrrev_b32_e32 v3, 20, v2
	v_and_b32_e32 v2, 0xff00000, v2
	s_mov_b32 s24, 0x7f00000
	v_mov_b32_e32 v5, 0x7e
	v_cmp_ne_u32_e32 vcc, s24, v2
	v_cndmask_b32_e32 v3, v5, v3, vcc
                                        ; implicit-def: $vgpr2
; %bb.363:
	s_andn2_saveexec_b64 s[22:23], s[22:23]
; %bb.364:
	v_add_f32_e32 v3, 0x46800000, v2
; %bb.365:
	s_or_b64 exec, exec, s[22:23]
                                        ; implicit-def: $vgpr2
.LBB234_366:
	s_andn2_saveexec_b64 s[20:21], s[20:21]
; %bb.367:
	s_mov_b32 s22, 0x7f800000
	v_mov_b32_e32 v3, 0x7e
	v_mov_b32_e32 v5, 0x7f
	v_cmp_lt_u32_e32 vcc, s22, v2
	v_cndmask_b32_e32 v3, v3, v5, vcc
; %bb.368:
	s_or_b64 exec, exec, s[20:21]
	flat_store_byte v[0:1], v3
.LBB234_369:
	s_or_b64 exec, exec, s[18:19]
.LBB234_370:
	s_andn2_saveexec_b64 s[16:17], s[16:17]
	s_cbranch_execz .LBB234_380
; %bb.371:
	v_cndmask_b32_e64 v2, 0, 1.0, s[6:7]
	s_mov_b32 s18, 0x47800000
	v_cmp_gt_u32_e32 vcc, s18, v2
                                        ; implicit-def: $vgpr3
	s_and_saveexec_b64 s[18:19], vcc
	s_xor_b64 s[18:19], exec, s[18:19]
	s_cbranch_execz .LBB234_377
; %bb.372:
	s_mov_b32 s20, 0x387fffff
	v_cmp_lt_u32_e32 vcc, s20, v2
                                        ; implicit-def: $vgpr3
	s_and_saveexec_b64 s[20:21], vcc
	s_xor_b64 s[20:21], exec, s[20:21]
; %bb.373:
	v_bfe_u32 v3, v2, 21, 1
	s_mov_b32 s22, 0x80fffff
	v_add3_u32 v2, v2, v3, s22
	v_lshrrev_b32_e32 v3, 21, v2
                                        ; implicit-def: $vgpr2
; %bb.374:
	s_andn2_saveexec_b64 s[20:21], s[20:21]
; %bb.375:
	v_add_f32_e32 v3, 0x43000000, v2
; %bb.376:
	s_or_b64 exec, exec, s[20:21]
                                        ; implicit-def: $vgpr2
.LBB234_377:
	s_andn2_saveexec_b64 s[18:19], s[18:19]
; %bb.378:
	s_mov_b32 s20, 0x7f800000
	v_mov_b32_e32 v3, 0x7c
	v_mov_b32_e32 v5, 0x7f
	v_cmp_lt_u32_e32 vcc, s20, v2
	v_cndmask_b32_e32 v3, v3, v5, vcc
; %bb.379:
	s_or_b64 exec, exec, s[18:19]
	flat_store_byte v[0:1], v3
.LBB234_380:
	s_or_b64 exec, exec, s[16:17]
	s_or_b64 s[16:17], s[10:11], exec
.LBB234_381:
	s_or_saveexec_b64 s[14:15], s[14:15]
	s_mov_b64 s[20:21], 0
	s_mov_b64 s[18:19], s[4:5]
	s_xor_b64 exec, exec, s[14:15]
	s_cbranch_execz .LBB234_389
; %bb.382:
	v_cmp_lt_i16_e32 vcc, 14, v4
	s_mov_b64 s[18:19], s[4:5]
	s_mov_b64 s[20:21], s[16:17]
	s_and_saveexec_b64 s[22:23], vcc
	s_xor_b64 s[22:23], exec, s[22:23]
	s_cbranch_execz .LBB234_386
; %bb.383:
	v_cmp_eq_u16_e32 vcc, 15, v4
	s_mov_b64 s[18:19], -1
	s_mov_b64 s[24:25], s[16:17]
	s_and_saveexec_b64 s[20:21], vcc
	s_cbranch_execz .LBB234_385
; %bb.384:
	v_cndmask_b32_e64 v2, 0, 1.0, s[6:7]
	v_bfe_u32 v3, v2, 16, 1
	s_movk_i32 s18, 0x7fff
	v_add3_u32 v2, v2, v3, s18
	flat_store_short_d16_hi v[0:1], v2
	s_or_b64 s[24:25], s[16:17], exec
	s_xor_b64 s[18:19], exec, -1
.LBB234_385:
	s_or_b64 exec, exec, s[20:21]
	s_andn2_b64 s[20:21], s[16:17], exec
	s_and_b64 s[24:25], s[24:25], exec
	s_or_b64 s[20:21], s[20:21], s[24:25]
	s_andn2_b64 s[24:25], s[4:5], exec
	s_and_b64 s[18:19], s[18:19], exec
	s_or_b64 s[18:19], s[24:25], s[18:19]
.LBB234_386:
	s_or_saveexec_b64 s[22:23], s[22:23]
	s_mov_b64 s[24:25], 0
	s_xor_b64 exec, exec, s[22:23]
; %bb.387:
	v_cmp_ne_u16_e32 vcc, 11, v4
	s_andn2_b64 s[18:19], s[18:19], exec
	s_and_b64 s[26:27], vcc, exec
	s_mov_b64 s[24:25], exec
	s_or_b64 s[18:19], s[18:19], s[26:27]
; %bb.388:
	s_or_b64 exec, exec, s[22:23]
	s_andn2_b64 s[16:17], s[16:17], exec
	s_and_b64 s[20:21], s[20:21], exec
	s_andn2_b64 s[22:23], s[4:5], exec
	s_and_b64 s[18:19], s[18:19], exec
	s_or_b64 s[16:17], s[16:17], s[20:21]
	s_and_b64 s[20:21], s[24:25], exec
	s_or_b64 s[18:19], s[22:23], s[18:19]
.LBB234_389:
	s_or_b64 exec, exec, s[14:15]
	s_andn2_b64 s[10:11], s[10:11], exec
	s_and_b64 s[14:15], s[16:17], exec
	s_andn2_b64 s[4:5], s[4:5], exec
	s_and_b64 s[16:17], s[18:19], exec
	s_or_b64 s[10:11], s[10:11], s[14:15]
	s_and_b64 s[14:15], s[20:21], exec
	s_or_b64 s[4:5], s[4:5], s[16:17]
.LBB234_390:
	s_or_b64 exec, exec, s[12:13]
	s_andn2_b64 s[16:17], s[50:51], exec
	s_and_b64 s[4:5], s[4:5], exec
	s_and_b64 s[12:13], s[10:11], exec
	s_xor_b64 s[10:11], exec, -1
	s_and_b64 s[14:15], s[14:15], exec
	s_or_b64 s[16:17], s[16:17], s[4:5]
.LBB234_391:
	s_or_b64 exec, exec, s[8:9]
	s_and_b64 s[4:5], s[14:15], exec
	s_andn2_b64 s[8:9], s[50:51], exec
	s_and_b64 s[14:15], s[16:17], exec
	s_and_b64 s[12:13], s[12:13], exec
	;; [unrolled: 1-line block ×3, first 2 shown]
	s_or_b64 s[8:9], s[8:9], s[14:15]
.LBB234_392:
	s_or_b64 exec, exec, s[52:53]
	s_andn2_b64 s[14:15], s[50:51], exec
	s_and_b64 s[8:9], s[8:9], exec
	s_and_b64 s[12:13], s[12:13], exec
	;; [unrolled: 1-line block ×4, first 2 shown]
	s_or_b64 s[50:51], s[14:15], s[8:9]
.LBB234_393:
	s_or_b64 exec, exec, s[48:49]
	s_and_b64 s[8:9], s[4:5], exec
	s_andn2_b64 s[4:5], s[44:45], exec
	s_and_b64 s[14:15], s[50:51], exec
	s_and_b64 s[12:13], s[12:13], exec
	;; [unrolled: 1-line block ×3, first 2 shown]
	s_or_b64 s[44:45], s[4:5], s[14:15]
.LBB234_394:
	s_or_b64 exec, exec, s[46:47]
	s_and_b64 s[4:5], s[12:13], exec
	s_and_b64 s[12:13], s[10:11], exec
	;; [unrolled: 1-line block ×3, first 2 shown]
	s_andn2_b64 s[8:9], s[34:35], exec
	s_and_b64 s[10:11], s[44:45], exec
	s_or_b64 s[34:35], s[8:9], s[10:11]
	s_or_b64 exec, exec, s[38:39]
	s_mov_b64 s[8:9], 0
	s_and_saveexec_b64 s[10:11], s[34:35]
	s_cbranch_execz .LBB234_398
.LBB234_395:
	s_mov_b64 s[8:9], exec
	s_andn2_b64 s[46:47], s[46:47], exec
	s_trap 2
	s_or_b64 exec, exec, s[10:11]
	s_and_saveexec_b64 s[10:11], s[46:47]
	s_xor_b64 s[10:11], exec, s[10:11]
	s_cbranch_execnz .LBB234_399
.LBB234_396:
	s_or_b64 exec, exec, s[10:11]
	s_and_saveexec_b64 s[10:11], s[12:13]
	s_cbranch_execnz .LBB234_400
	s_branch .LBB234_441
.LBB234_397:
	s_or_b64 exec, exec, s[38:39]
	s_mov_b64 s[8:9], 0
	s_and_saveexec_b64 s[10:11], s[34:35]
	s_cbranch_execnz .LBB234_395
.LBB234_398:
	s_or_b64 exec, exec, s[10:11]
	s_and_saveexec_b64 s[10:11], s[46:47]
	s_xor_b64 s[10:11], exec, s[10:11]
	s_cbranch_execz .LBB234_396
.LBB234_399:
	v_cndmask_b32_e64 v2, 0, 1, s[6:7]
	s_or_b64 s[4:5], s[4:5], exec
	flat_store_byte v[0:1], v2
	s_or_b64 exec, exec, s[10:11]
	s_and_saveexec_b64 s[10:11], s[12:13]
	s_cbranch_execz .LBB234_441
.LBB234_400:
	v_cmp_lt_i16_e32 vcc, 4, v4
	s_and_saveexec_b64 s[12:13], vcc
	s_xor_b64 s[12:13], exec, s[12:13]
	s_cbranch_execz .LBB234_422
; %bb.401:
	v_cmp_lt_i16_e32 vcc, 7, v4
	s_mov_b64 s[14:15], s[6:7]
	s_and_saveexec_b64 s[16:17], vcc
	s_xor_b64 s[16:17], exec, s[16:17]
	s_cbranch_execz .LBB234_411
; %bb.402:
	v_cmp_lt_i16_e32 vcc, 8, v4
	s_mov_b64 s[18:19], s[6:7]
	s_and_saveexec_b64 s[14:15], vcc
	s_xor_b64 s[14:15], exec, s[14:15]
	s_cbranch_execz .LBB234_408
; %bb.403:
	v_cmp_lt_i16_e32 vcc, 9, v4
	s_and_saveexec_b64 s[18:19], vcc
	s_xor_b64 s[18:19], exec, s[18:19]
	s_cbranch_execz .LBB234_405
; %bb.404:
	v_cndmask_b32_e64 v2, 0, 1, s[6:7]
	v_cvt_f64_u32_e32 v[5:6], v2
	v_mov_b32_e32 v7, 0
	v_mov_b32_e32 v8, v7
	flat_store_dwordx4 v[0:1], v[5:8]
.LBB234_405:
	s_andn2_saveexec_b64 s[18:19], s[18:19]
	s_cbranch_execz .LBB234_407
; %bb.406:
	v_cndmask_b32_e64 v2, 0, 1.0, s[6:7]
	v_mov_b32_e32 v3, 0
	flat_store_dwordx2 v[0:1], v[2:3]
.LBB234_407:
	s_or_b64 exec, exec, s[18:19]
	s_andn2_b64 s[18:19], s[6:7], exec
	s_and_b64 s[20:21], s[6:7], exec
	s_or_b64 s[18:19], s[18:19], s[20:21]
.LBB234_408:
	s_andn2_saveexec_b64 s[14:15], s[14:15]
	s_cbranch_execz .LBB234_410
; %bb.409:
	v_cndmask_b32_e64 v2, 0, 1.0, s[18:19]
	v_cvt_f16_f32_e32 v2, v2
	flat_store_dword v[0:1], v2
.LBB234_410:
	s_or_b64 exec, exec, s[14:15]
	s_andn2_b64 s[14:15], s[6:7], exec
	s_and_b64 s[18:19], s[18:19], exec
	s_or_b64 s[14:15], s[14:15], s[18:19]
.LBB234_411:
	s_andn2_saveexec_b64 s[16:17], s[16:17]
	s_cbranch_execz .LBB234_421
; %bb.412:
	v_cmp_lt_i16_e32 vcc, 5, v4
	s_mov_b64 s[20:21], s[14:15]
	s_and_saveexec_b64 s[18:19], vcc
	s_xor_b64 s[18:19], exec, s[18:19]
	s_cbranch_execz .LBB234_418
; %bb.413:
	v_cmp_lt_i16_e32 vcc, 6, v4
	s_and_saveexec_b64 s[20:21], vcc
	s_xor_b64 s[20:21], exec, s[20:21]
	s_cbranch_execz .LBB234_415
; %bb.414:
	v_cndmask_b32_e64 v2, 0, 1, s[14:15]
	v_cvt_f64_u32_e32 v[2:3], v2
	flat_store_dwordx2 v[0:1], v[2:3]
.LBB234_415:
	s_andn2_saveexec_b64 s[20:21], s[20:21]
	s_cbranch_execz .LBB234_417
; %bb.416:
	v_cndmask_b32_e64 v2, 0, 1.0, s[14:15]
	flat_store_dword v[0:1], v2
.LBB234_417:
	s_or_b64 exec, exec, s[20:21]
	s_andn2_b64 s[20:21], s[14:15], exec
	s_and_b64 s[22:23], s[14:15], exec
	s_or_b64 s[20:21], s[20:21], s[22:23]
.LBB234_418:
	s_andn2_saveexec_b64 s[18:19], s[18:19]
	s_cbranch_execz .LBB234_420
; %bb.419:
	v_cndmask_b32_e64 v2, 0, 1.0, s[20:21]
	v_cvt_f16_f32_e32 v2, v2
	flat_store_short v[0:1], v2
.LBB234_420:
	s_or_b64 exec, exec, s[18:19]
	s_andn2_b64 s[14:15], s[14:15], exec
	s_and_b64 s[18:19], s[20:21], exec
	s_or_b64 s[14:15], s[14:15], s[18:19]
.LBB234_421:
	s_or_b64 exec, exec, s[16:17]
	s_andn2_b64 s[6:7], s[6:7], exec
	s_and_b64 s[14:15], s[14:15], exec
	s_or_b64 s[6:7], s[6:7], s[14:15]
.LBB234_422:
	s_andn2_saveexec_b64 s[12:13], s[12:13]
	s_cbranch_execz .LBB234_440
; %bb.423:
	v_cmp_lt_i16_e32 vcc, 1, v4
	s_and_saveexec_b64 s[14:15], vcc
	s_xor_b64 s[14:15], exec, s[14:15]
	s_cbranch_execz .LBB234_433
; %bb.424:
	v_cmp_lt_i16_e32 vcc, 2, v4
	s_mov_b64 s[18:19], s[6:7]
	s_and_saveexec_b64 s[16:17], vcc
	s_xor_b64 s[16:17], exec, s[16:17]
	s_cbranch_execz .LBB234_430
; %bb.425:
	v_cmp_lt_i16_e32 vcc, 3, v4
	v_cndmask_b32_e64 v2, 0, 1, s[6:7]
	s_and_saveexec_b64 s[18:19], vcc
	s_xor_b64 s[18:19], exec, s[18:19]
	s_cbranch_execz .LBB234_427
; %bb.426:
	s_mov_b32 s20, 0
	v_mov_b32_e32 v3, s20
	flat_store_dwordx2 v[0:1], v[2:3]
                                        ; implicit-def: $vgpr0_vgpr1
                                        ; implicit-def: $vgpr2
.LBB234_427:
	s_andn2_saveexec_b64 s[18:19], s[18:19]
	s_cbranch_execz .LBB234_429
; %bb.428:
	flat_store_dword v[0:1], v2
.LBB234_429:
	s_or_b64 exec, exec, s[18:19]
	s_andn2_b64 s[18:19], s[6:7], exec
	s_and_b64 s[20:21], s[6:7], exec
	s_or_b64 s[18:19], s[18:19], s[20:21]
                                        ; implicit-def: $vgpr0_vgpr1
.LBB234_430:
	s_andn2_saveexec_b64 s[16:17], s[16:17]
	s_cbranch_execz .LBB234_432
; %bb.431:
	v_cndmask_b32_e64 v2, 0, 1, s[18:19]
	flat_store_short v[0:1], v2
.LBB234_432:
	s_or_b64 exec, exec, s[16:17]
	s_andn2_b64 s[6:7], s[6:7], exec
	s_and_b64 s[16:17], s[18:19], exec
	s_or_b64 s[6:7], s[6:7], s[16:17]
                                        ; implicit-def: $vgpr0_vgpr1
.LBB234_433:
	s_andn2_saveexec_b64 s[14:15], s[14:15]
	s_cbranch_execz .LBB234_439
; %bb.434:
	v_cmp_lt_i16_e32 vcc, 0, v4
	v_cndmask_b32_e64 v2, 0, 1, s[6:7]
	s_and_saveexec_b64 s[6:7], vcc
	s_xor_b64 s[6:7], exec, s[6:7]
	s_cbranch_execz .LBB234_436
; %bb.435:
	flat_store_byte v[0:1], v2
                                        ; implicit-def: $vgpr0_vgpr1
                                        ; implicit-def: $vgpr2
.LBB234_436:
	s_andn2_saveexec_b64 s[6:7], s[6:7]
	s_cbranch_execz .LBB234_438
; %bb.437:
	flat_store_byte v[0:1], v2
.LBB234_438:
	s_or_b64 exec, exec, s[6:7]
.LBB234_439:
	s_or_b64 exec, exec, s[14:15]
.LBB234_440:
	s_or_b64 exec, exec, s[12:13]
	s_or_b64 s[4:5], s[4:5], exec
.LBB234_441:
	s_or_b64 exec, exec, s[10:11]
	s_and_saveexec_b64 s[6:7], s[4:5]
	s_xor_b64 s[4:5], exec, s[6:7]
	s_or_b64 exec, exec, s[4:5]
	s_and_b64 s[34:35], s[8:9], exec
                                        ; implicit-def: $vgpr12
                                        ; implicit-def: $vgpr17
.LBB234_442:
	s_or_saveexec_b64 s[36:37], s[36:37]
	s_mov_b64 s[8:9], 0
	s_mov_b64 s[4:5], 0
                                        ; implicit-def: $sgpr10_sgpr11
                                        ; implicit-def: $vgpr9_vgpr10
                                        ; implicit-def: $vgpr3
	s_xor_b64 exec, exec, s[36:37]
	s_cbranch_execz .LBB234_483
; %bb.443:
	buffer_load_dword v14, off, s[0:3], 0 offset:24
                                        ; implicit-def: $vgpr22
                                        ; implicit-def: $vgpr10
                                        ; implicit-def: $vgpr8
	s_waitcnt vmcnt(0)
	v_add_u32_e32 v15, -1, v14
	v_cmp_lt_u32_e32 vcc, 1, v15
	s_and_saveexec_b64 s[4:5], vcc
	s_xor_b64 s[6:7], exec, s[4:5]
	s_cbranch_execz .LBB234_451
; %bb.444:
	v_mov_b32_e32 v22, 0
	v_cmp_ne_u32_e64 s[4:5], 0, v14
	v_mov_b32_e32 v10, 0
	v_mov_b32_e32 v8, 0
	s_and_saveexec_b64 s[8:9], s[4:5]
	s_cbranch_execz .LBB234_450
; %bb.445:
	v_min_u32_e32 v1, 15, v15
	v_add_u32_e32 v0, 1, v1
	v_and_b32_e32 v2, 30, v0
	s_sub_i32 s12, 24, 24
	v_mov_b32_e32 v8, 0
	s_mov_b64 s[10:11], 0
	v_mov_b32_e32 v10, 0
	v_mov_b32_e32 v22, 0
	;; [unrolled: 1-line block ×3, first 2 shown]
.LBB234_446:                            ; =>This Inner Loop Header: Depth=1
	v_mov_b32_e32 v3, s12
	buffer_load_dword v4, v3, s[0:3], 0 offen offset:32
	buffer_load_dword v5, v3, s[0:3], 0 offen offset:36
	;; [unrolled: 1-line block ×12, first 2 shown]
	v_add_u32_e32 v2, -2, v2
	s_add_i32 s12, s12, 24
	v_cmp_eq_u32_e64 s[4:5], 0, v2
	v_mov_b32_e32 v3, s12
	s_or_b64 s[10:11], s[4:5], s[10:11]
	s_waitcnt vmcnt(0)
	v_mul_hi_u32 v4, v4, v0
	v_add_u32_e32 v4, v0, v4
	v_lshrrev_b32_e32 v4, v5, v4
	v_mul_hi_u32 v6, v6, v4
	v_mul_lo_u32 v5, v4, v16
	v_sub_u32_e32 v5, v0, v5
	v_add_u32_e32 v0, v4, v6
	v_lshrrev_b32_e32 v0, v7, v0
	v_mul_lo_u32 v7, v0, v13
	v_mul_lo_u32 v6, v5, v9
	;; [unrolled: 1-line block ×4, first 2 shown]
	v_sub_u32_e32 v4, v4, v7
	v_mul_lo_u32 v7, v4, v19
	v_mul_lo_u32 v11, v4, v20
	v_mul_lo_u32 v4, v4, v21
	v_add3_u32 v22, v6, v22, v7
	v_add3_u32 v10, v9, v10, v11
	;; [unrolled: 1-line block ×3, first 2 shown]
	s_andn2_b64 exec, exec, s[10:11]
	s_cbranch_execnz .LBB234_446
; %bb.447:
	s_or_b64 exec, exec, s[10:11]
	v_and_b32_e32 v1, 1, v1
	v_cmp_eq_u32_e64 s[4:5], 0, v1
	s_and_saveexec_b64 s[10:11], s[4:5]
	s_cbranch_execz .LBB234_449
; %bb.448:
	buffer_load_dword v1, v3, s[0:3], 0 offen offset:32
	buffer_load_dword v2, v3, s[0:3], 0 offen offset:36
	;; [unrolled: 1-line block ×6, first 2 shown]
	s_waitcnt vmcnt(0)
	v_mul_hi_u32 v1, v1, v0
	v_add_u32_e32 v1, v0, v1
	v_lshrrev_b32_e32 v1, v2, v1
	v_mul_lo_u32 v1, v1, v4
	v_sub_u32_e32 v0, v0, v1
	v_mad_u64_u32 v[22:23], s[4:5], v0, v5, v[22:23]
	v_mad_u64_u32 v[10:11], s[4:5], v0, v6, v[10:11]
	;; [unrolled: 1-line block ×3, first 2 shown]
.LBB234_449:
	s_or_b64 exec, exec, s[10:11]
.LBB234_450:
	s_or_b64 exec, exec, s[8:9]
.LBB234_451:
	s_andn2_saveexec_b64 s[6:7], s[6:7]
	s_cbranch_execz .LBB234_455
; %bb.452:
	buffer_load_dword v0, off, s[0:3], 0 offset:32
	buffer_load_dword v1, off, s[0:3], 0 offset:36
	buffer_load_dword v2, off, s[0:3], 0 offset:28
	buffer_load_dword v3, off, s[0:3], 0 offset:220
	buffer_load_dword v4, off, s[0:3], 0 offset:224
	buffer_load_dword v5, off, s[0:3], 0 offset:228
	v_cmp_lt_u32_e64 s[4:5], 1, v14
	s_waitcnt vmcnt(0)
	v_mul_hi_u32 v0, v0, v17
	v_add_u32_e32 v0, v17, v0
	v_lshrrev_b32_e32 v0, v1, v0
	v_mul_lo_u32 v1, v0, v2
	v_sub_u32_e32 v1, v17, v1
	v_mul_lo_u32 v22, v1, v3
	v_mul_lo_u32 v10, v1, v4
	;; [unrolled: 1-line block ×3, first 2 shown]
	s_and_saveexec_b64 s[8:9], s[4:5]
	s_cbranch_execz .LBB234_454
; %bb.453:
	buffer_load_dword v1, off, s[0:3], 0 offset:44
	buffer_load_dword v2, off, s[0:3], 0 offset:48
	;; [unrolled: 1-line block ×6, first 2 shown]
	s_waitcnt vmcnt(0)
	v_mul_hi_u32 v1, v1, v0
	v_add_u32_e32 v1, v0, v1
	v_lshrrev_b32_e32 v1, v2, v1
	v_mul_lo_u32 v1, v1, v3
	v_sub_u32_e32 v0, v0, v1
	v_mad_u64_u32 v[22:23], s[4:5], v0, v4, v[22:23]
	v_mad_u64_u32 v[10:11], s[4:5], v0, v5, v[10:11]
	v_mad_u64_u32 v[8:9], s[4:5], v0, v6, v[8:9]
.LBB234_454:
	s_or_b64 exec, exec, s[8:9]
.LBB234_455:
	s_or_b64 exec, exec, s[6:7]
	v_add_u32_e32 v0, 0x80, v17
                                        ; implicit-def: $vgpr20
                                        ; implicit-def: $vgpr6
                                        ; implicit-def: $vgpr4
	s_and_saveexec_b64 s[4:5], vcc
	s_xor_b64 s[6:7], exec, s[4:5]
	s_cbranch_execz .LBB234_463
; %bb.456:
	v_mov_b32_e32 v20, 0
	v_cmp_ne_u32_e64 s[4:5], 0, v14
	v_mov_b32_e32 v6, 0
	v_mov_b32_e32 v4, 0
	s_and_saveexec_b64 s[8:9], s[4:5]
	s_cbranch_execz .LBB234_462
; %bb.457:
	v_min_u32_e32 v1, 15, v15
	v_add_u32_e32 v2, 1, v1
	v_and_b32_e32 v2, 30, v2
	s_sub_i32 s12, 24, 24
	v_mov_b32_e32 v4, 0
	s_mov_b64 s[10:11], 0
	v_mov_b32_e32 v6, 0
	v_mov_b32_e32 v20, 0
.LBB234_458:                            ; =>This Inner Loop Header: Depth=1
	v_mov_b32_e32 v3, s12
	buffer_load_dword v5, v3, s[0:3], 0 offen offset:32
	buffer_load_dword v7, v3, s[0:3], 0 offen offset:36
	;; [unrolled: 1-line block ×12, first 2 shown]
	v_add_u32_e32 v2, -2, v2
	s_add_i32 s12, s12, 24
	v_cmp_eq_u32_e64 s[4:5], 0, v2
	v_mov_b32_e32 v3, s12
	s_or_b64 s[10:11], s[4:5], s[10:11]
	s_waitcnt vmcnt(0)
	v_mul_hi_u32 v5, v5, v0
	v_add_u32_e32 v5, v0, v5
	v_lshrrev_b32_e32 v5, v7, v5
	v_mul_hi_u32 v9, v9, v5
	v_mul_lo_u32 v7, v5, v19
	v_sub_u32_e32 v7, v0, v7
	v_add_u32_e32 v0, v5, v9
	v_lshrrev_b32_e32 v0, v11, v0
	v_mul_lo_u32 v11, v0, v18
	v_mul_lo_u32 v9, v7, v13
	;; [unrolled: 1-line block ×4, first 2 shown]
	v_sub_u32_e32 v5, v5, v11
	v_mul_lo_u32 v11, v5, v23
	v_mul_lo_u32 v16, v5, v24
	;; [unrolled: 1-line block ×3, first 2 shown]
	v_add3_u32 v20, v9, v20, v11
	v_add3_u32 v6, v13, v6, v16
	;; [unrolled: 1-line block ×3, first 2 shown]
	s_andn2_b64 exec, exec, s[10:11]
	s_cbranch_execnz .LBB234_458
; %bb.459:
	s_or_b64 exec, exec, s[10:11]
	v_and_b32_e32 v1, 1, v1
	v_cmp_eq_u32_e64 s[4:5], 0, v1
	s_and_saveexec_b64 s[10:11], s[4:5]
	s_cbranch_execz .LBB234_461
; %bb.460:
	buffer_load_dword v1, v3, s[0:3], 0 offen offset:32
	buffer_load_dword v2, v3, s[0:3], 0 offen offset:36
	;; [unrolled: 1-line block ×6, first 2 shown]
	s_waitcnt vmcnt(0)
	v_mul_hi_u32 v1, v1, v0
	v_add_u32_e32 v1, v0, v1
	v_lshrrev_b32_e32 v1, v2, v1
	v_mul_lo_u32 v1, v1, v5
	v_sub_u32_e32 v0, v0, v1
	v_mad_u64_u32 v[20:21], s[4:5], v0, v7, v[20:21]
	v_mad_u64_u32 v[6:7], s[4:5], v0, v9, v[6:7]
	;; [unrolled: 1-line block ×3, first 2 shown]
.LBB234_461:
	s_or_b64 exec, exec, s[10:11]
.LBB234_462:
	s_or_b64 exec, exec, s[8:9]
                                        ; implicit-def: $vgpr0
.LBB234_463:
	s_andn2_saveexec_b64 s[6:7], s[6:7]
	s_cbranch_execz .LBB234_467
; %bb.464:
	buffer_load_dword v1, off, s[0:3], 0 offset:32
	buffer_load_dword v2, off, s[0:3], 0 offset:36
	;; [unrolled: 1-line block ×6, first 2 shown]
	v_cmp_lt_u32_e64 s[4:5], 1, v14
	s_waitcnt vmcnt(0)
	v_mul_hi_u32 v1, v1, v0
	v_add_u32_e32 v1, v0, v1
	v_lshrrev_b32_e32 v1, v2, v1
	v_mul_lo_u32 v2, v1, v3
	v_sub_u32_e32 v0, v0, v2
	v_mul_lo_u32 v20, v0, v4
	v_mul_lo_u32 v6, v0, v5
	v_mul_lo_u32 v4, v0, v7
	s_and_saveexec_b64 s[8:9], s[4:5]
	s_cbranch_execz .LBB234_466
; %bb.465:
	buffer_load_dword v0, off, s[0:3], 0 offset:44
	buffer_load_dword v2, off, s[0:3], 0 offset:48
	;; [unrolled: 1-line block ×6, first 2 shown]
	s_waitcnt vmcnt(0)
	v_mul_hi_u32 v0, v0, v1
	v_add_u32_e32 v0, v1, v0
	v_lshrrev_b32_e32 v0, v2, v0
	v_mul_lo_u32 v0, v0, v3
	v_sub_u32_e32 v0, v1, v0
	v_mad_u64_u32 v[20:21], s[4:5], v0, v5, v[20:21]
	v_mad_u64_u32 v[6:7], s[4:5], v0, v7, v[6:7]
	;; [unrolled: 1-line block ×3, first 2 shown]
.LBB234_466:
	s_or_b64 exec, exec, s[8:9]
.LBB234_467:
	s_or_b64 exec, exec, s[6:7]
	v_add_u32_e32 v1, 0x100, v17
                                        ; implicit-def: $vgpr18
                                        ; implicit-def: $vgpr2
                                        ; implicit-def: $vgpr0
	s_and_saveexec_b64 s[4:5], vcc
	s_xor_b64 s[6:7], exec, s[4:5]
	s_cbranch_execz .LBB234_527
; %bb.468:
	v_mov_b32_e32 v18, 0
	v_cmp_ne_u32_e64 s[4:5], 0, v14
	v_mov_b32_e32 v2, 0
	v_mov_b32_e32 v0, 0
	s_and_saveexec_b64 s[8:9], s[4:5]
	s_cbranch_execz .LBB234_474
; %bb.469:
	v_min_u32_e32 v3, 15, v15
	v_add_u32_e32 v0, 1, v3
	v_and_b32_e32 v5, 30, v0
	s_sub_i32 s12, 24, 24
	v_mov_b32_e32 v0, 0
	s_mov_b64 s[10:11], 0
	v_mov_b32_e32 v2, 0
	v_mov_b32_e32 v18, 0
.LBB234_470:                            ; =>This Inner Loop Header: Depth=1
	v_mov_b32_e32 v7, s12
	buffer_load_dword v9, v7, s[0:3], 0 offen offset:32
	buffer_load_dword v11, v7, s[0:3], 0 offen offset:36
	;; [unrolled: 1-line block ×12, first 2 shown]
	v_add_u32_e32 v5, -2, v5
	s_add_i32 s12, s12, 24
	v_cmp_eq_u32_e64 s[4:5], 0, v5
	v_mov_b32_e32 v7, s12
	s_or_b64 s[10:11], s[4:5], s[10:11]
	s_waitcnt vmcnt(0)
	v_mul_hi_u32 v9, v9, v1
	v_add_u32_e32 v9, v1, v9
	v_lshrrev_b32_e32 v9, v11, v9
	v_mul_hi_u32 v13, v13, v9
	v_mul_lo_u32 v11, v9, v23
	v_sub_u32_e32 v11, v1, v11
	v_add_u32_e32 v1, v9, v13
	v_lshrrev_b32_e32 v1, v16, v1
	v_mul_lo_u32 v13, v11, v17
	v_mul_lo_u32 v17, v1, v21
	;; [unrolled: 1-line block ×4, first 2 shown]
	v_sub_u32_e32 v9, v9, v17
	v_mul_lo_u32 v17, v9, v25
	v_mul_lo_u32 v19, v9, v26
	;; [unrolled: 1-line block ×3, first 2 shown]
	v_add3_u32 v18, v13, v18, v17
	v_add3_u32 v2, v16, v2, v19
	;; [unrolled: 1-line block ×3, first 2 shown]
	s_andn2_b64 exec, exec, s[10:11]
	s_cbranch_execnz .LBB234_470
; %bb.471:
	s_or_b64 exec, exec, s[10:11]
	v_and_b32_e32 v3, 1, v3
	v_cmp_eq_u32_e64 s[4:5], 0, v3
	s_and_saveexec_b64 s[10:11], s[4:5]
	s_cbranch_execz .LBB234_473
; %bb.472:
	buffer_load_dword v3, v7, s[0:3], 0 offen offset:32
	buffer_load_dword v5, v7, s[0:3], 0 offen offset:36
	;; [unrolled: 1-line block ×6, first 2 shown]
	s_waitcnt vmcnt(0)
	v_mul_hi_u32 v3, v3, v1
	v_add_u32_e32 v3, v1, v3
	v_lshrrev_b32_e32 v3, v5, v3
	v_mul_lo_u32 v3, v3, v9
	v_sub_u32_e32 v1, v1, v3
	v_mad_u64_u32 v[18:19], s[4:5], v1, v11, v[18:19]
	v_mad_u64_u32 v[2:3], s[4:5], v1, v13, v[2:3]
	;; [unrolled: 1-line block ×3, first 2 shown]
.LBB234_473:
	s_or_b64 exec, exec, s[10:11]
.LBB234_474:
	s_or_b64 exec, exec, s[8:9]
                                        ; implicit-def: $vgpr1
	s_andn2_saveexec_b64 s[6:7], s[6:7]
	s_cbranch_execnz .LBB234_528
.LBB234_475:
	s_or_b64 exec, exec, s[6:7]
                                        ; implicit-def: $vgpr16
                                        ; implicit-def: $vgpr13
                                        ; implicit-def: $vgpr11
	s_and_saveexec_b64 s[4:5], vcc
	s_xor_b64 s[4:5], exec, s[4:5]
	s_cbranch_execz .LBB234_531
.LBB234_476:
	v_mov_b32_e32 v16, 0
	v_cmp_ne_u32_e32 vcc, 0, v14
	v_mov_b32_e32 v13, 0
	v_mov_b32_e32 v11, 0
	s_and_saveexec_b64 s[6:7], vcc
	s_cbranch_execz .LBB234_482
; %bb.477:
	v_min_u32_e32 v1, 15, v15
	v_add_u32_e32 v3, 1, v1
	v_and_b32_e32 v3, 30, v3
	s_sub_i32 s10, 24, 24
	v_mov_b32_e32 v11, 0
	s_mov_b64 s[8:9], 0
	v_mov_b32_e32 v13, 0
	v_mov_b32_e32 v16, 0
.LBB234_478:                            ; =>This Inner Loop Header: Depth=1
	v_mov_b32_e32 v5, s10
	buffer_load_dword v7, v5, s[0:3], 0 offen offset:32
	buffer_load_dword v9, v5, s[0:3], 0 offen offset:36
	buffer_load_dword v14, v5, s[0:3], 0 offen offset:44
	buffer_load_dword v15, v5, s[0:3], 0 offen offset:48
	buffer_load_dword v17, v5, s[0:3], 0 offen offset:220
	buffer_load_dword v19, v5, s[0:3], 0 offen offset:224
	buffer_load_dword v21, v5, s[0:3], 0 offen offset:40
	buffer_load_dword v23, v5, s[0:3], 0 offen offset:28
	buffer_load_dword v24, v5, s[0:3], 0 offen offset:228
	buffer_load_dword v25, v5, s[0:3], 0 offen offset:232
	buffer_load_dword v26, v5, s[0:3], 0 offen offset:236
	buffer_load_dword v27, v5, s[0:3], 0 offen offset:240
	v_add_u32_e32 v3, -2, v3
	s_add_i32 s10, s10, 24
	v_cmp_eq_u32_e32 vcc, 0, v3
	v_mov_b32_e32 v5, s10
	s_or_b64 s[8:9], vcc, s[8:9]
	s_waitcnt vmcnt(0)
	v_mul_hi_u32 v7, v7, v12
	v_add_u32_e32 v7, v12, v7
	v_lshrrev_b32_e32 v7, v9, v7
	v_mul_hi_u32 v14, v14, v7
	v_mul_lo_u32 v9, v7, v23
	v_sub_u32_e32 v9, v12, v9
	v_add_u32_e32 v12, v7, v14
	v_lshrrev_b32_e32 v12, v15, v12
	v_mul_lo_u32 v14, v9, v17
	v_mul_lo_u32 v17, v12, v21
	;; [unrolled: 1-line block ×4, first 2 shown]
	v_sub_u32_e32 v7, v7, v17
	v_mul_lo_u32 v17, v7, v25
	v_mul_lo_u32 v19, v7, v26
	;; [unrolled: 1-line block ×3, first 2 shown]
	v_add3_u32 v16, v14, v16, v17
	v_add3_u32 v13, v15, v13, v19
	;; [unrolled: 1-line block ×3, first 2 shown]
	s_andn2_b64 exec, exec, s[8:9]
	s_cbranch_execnz .LBB234_478
; %bb.479:
	s_or_b64 exec, exec, s[8:9]
	v_and_b32_e32 v1, 1, v1
	v_cmp_eq_u32_e32 vcc, 0, v1
	s_and_saveexec_b64 s[8:9], vcc
	s_cbranch_execz .LBB234_481
; %bb.480:
	buffer_load_dword v1, v5, s[0:3], 0 offen offset:32
	buffer_load_dword v3, v5, s[0:3], 0 offen offset:36
	;; [unrolled: 1-line block ×6, first 2 shown]
	s_waitcnt vmcnt(0)
	v_mul_hi_u32 v1, v1, v12
	v_add_u32_e32 v1, v12, v1
	v_lshrrev_b32_e32 v1, v3, v1
	v_mul_lo_u32 v1, v1, v7
	v_sub_u32_e32 v1, v12, v1
	v_mad_u64_u32 v[16:17], s[10:11], v1, v9, v[16:17]
	v_mad_u64_u32 v[13:14], s[10:11], v1, v14, v[13:14]
	;; [unrolled: 1-line block ×3, first 2 shown]
.LBB234_481:
	s_or_b64 exec, exec, s[8:9]
.LBB234_482:
	s_or_b64 exec, exec, s[6:7]
                                        ; implicit-def: $vgpr12
                                        ; implicit-def: $vgpr14
	s_andn2_saveexec_b64 s[4:5], s[4:5]
	s_cbranch_execz .LBB234_535
	s_branch .LBB234_532
.LBB234_483:
	s_or_b64 exec, exec, s[36:37]
	s_and_saveexec_b64 s[6:7], s[34:35]
	s_cbranch_execz .LBB234_2192
.LBB234_484:
	; divergent unreachable
	s_or_b64 exec, exec, s[6:7]
	s_and_saveexec_b64 s[6:7], s[42:43]
	s_xor_b64 s[6:7], exec, s[6:7]
	s_cbranch_execnz .LBB234_2193
.LBB234_485:
	s_or_b64 exec, exec, s[6:7]
	s_and_saveexec_b64 s[6:7], s[8:9]
	s_cbranch_execz .LBB234_2194
.LBB234_486:
	v_cmp_lt_i16_e32 vcc, 4, v3
	s_and_saveexec_b64 s[8:9], vcc
	s_xor_b64 s[8:9], exec, s[8:9]
	s_cbranch_execz .LBB234_508
; %bb.487:
	v_cmp_lt_i16_e32 vcc, 7, v3
	s_mov_b64 s[12:13], s[10:11]
	s_and_saveexec_b64 s[14:15], vcc
	s_xor_b64 s[14:15], exec, s[14:15]
	s_cbranch_execz .LBB234_497
; %bb.488:
	v_cmp_lt_i16_e32 vcc, 8, v3
	s_mov_b64 s[16:17], s[10:11]
	s_and_saveexec_b64 s[12:13], vcc
	s_xor_b64 s[12:13], exec, s[12:13]
	s_cbranch_execz .LBB234_494
; %bb.489:
	v_cmp_lt_i16_e32 vcc, 9, v3
	s_and_saveexec_b64 s[16:17], vcc
	s_xor_b64 s[16:17], exec, s[16:17]
	s_cbranch_execz .LBB234_491
; %bb.490:
	v_cndmask_b32_e64 v0, 0, 1, s[10:11]
	v_cvt_f64_u32_e32 v[4:5], v0
	v_mov_b32_e32 v6, 0
	v_mov_b32_e32 v7, v6
	flat_store_dwordx4 v[9:10], v[4:7]
.LBB234_491:
	s_andn2_saveexec_b64 s[16:17], s[16:17]
	s_cbranch_execz .LBB234_493
; %bb.492:
	v_cndmask_b32_e64 v0, 0, 1.0, s[10:11]
	v_mov_b32_e32 v1, 0
	flat_store_dwordx2 v[9:10], v[0:1]
.LBB234_493:
	s_or_b64 exec, exec, s[16:17]
	s_andn2_b64 s[16:17], s[10:11], exec
	s_and_b64 s[18:19], s[10:11], exec
	s_or_b64 s[16:17], s[16:17], s[18:19]
.LBB234_494:
	s_andn2_saveexec_b64 s[12:13], s[12:13]
	s_cbranch_execz .LBB234_496
; %bb.495:
	v_cndmask_b32_e64 v0, 0, 1.0, s[16:17]
	v_cvt_f16_f32_e32 v0, v0
	flat_store_dword v[9:10], v0
.LBB234_496:
	s_or_b64 exec, exec, s[12:13]
	s_andn2_b64 s[12:13], s[10:11], exec
	s_and_b64 s[16:17], s[16:17], exec
	s_or_b64 s[12:13], s[12:13], s[16:17]
.LBB234_497:
	s_andn2_saveexec_b64 s[14:15], s[14:15]
	s_cbranch_execz .LBB234_507
; %bb.498:
	v_cmp_lt_i16_e32 vcc, 5, v3
	s_mov_b64 s[18:19], s[12:13]
	s_and_saveexec_b64 s[16:17], vcc
	s_xor_b64 s[16:17], exec, s[16:17]
	s_cbranch_execz .LBB234_504
; %bb.499:
	v_cmp_lt_i16_e32 vcc, 6, v3
	s_and_saveexec_b64 s[18:19], vcc
	s_xor_b64 s[18:19], exec, s[18:19]
	s_cbranch_execz .LBB234_501
; %bb.500:
	v_cndmask_b32_e64 v0, 0, 1, s[12:13]
	v_cvt_f64_u32_e32 v[0:1], v0
	flat_store_dwordx2 v[9:10], v[0:1]
.LBB234_501:
	s_andn2_saveexec_b64 s[18:19], s[18:19]
	s_cbranch_execz .LBB234_503
; %bb.502:
	v_cndmask_b32_e64 v0, 0, 1.0, s[12:13]
	flat_store_dword v[9:10], v0
.LBB234_503:
	s_or_b64 exec, exec, s[18:19]
	s_andn2_b64 s[18:19], s[12:13], exec
	s_and_b64 s[20:21], s[12:13], exec
	s_or_b64 s[18:19], s[18:19], s[20:21]
.LBB234_504:
	s_andn2_saveexec_b64 s[16:17], s[16:17]
	s_cbranch_execz .LBB234_506
; %bb.505:
	v_cndmask_b32_e64 v0, 0, 1.0, s[18:19]
	v_cvt_f16_f32_e32 v0, v0
	flat_store_short v[9:10], v0
.LBB234_506:
	s_or_b64 exec, exec, s[16:17]
	s_andn2_b64 s[12:13], s[12:13], exec
	s_and_b64 s[16:17], s[18:19], exec
	s_or_b64 s[12:13], s[12:13], s[16:17]
.LBB234_507:
	s_or_b64 exec, exec, s[14:15]
	s_andn2_b64 s[10:11], s[10:11], exec
	s_and_b64 s[12:13], s[12:13], exec
	s_or_b64 s[10:11], s[10:11], s[12:13]
.LBB234_508:
	s_andn2_saveexec_b64 s[8:9], s[8:9]
	s_cbranch_execz .LBB234_526
; %bb.509:
	v_cmp_lt_i16_e32 vcc, 1, v3
	s_and_saveexec_b64 s[12:13], vcc
	s_xor_b64 s[12:13], exec, s[12:13]
	s_cbranch_execz .LBB234_519
; %bb.510:
	v_cmp_lt_i16_e32 vcc, 2, v3
	s_mov_b64 s[16:17], s[10:11]
	s_and_saveexec_b64 s[14:15], vcc
	s_xor_b64 s[14:15], exec, s[14:15]
	s_cbranch_execz .LBB234_516
; %bb.511:
	v_cmp_lt_i16_e32 vcc, 3, v3
	v_cndmask_b32_e64 v0, 0, 1, s[10:11]
	s_and_saveexec_b64 s[16:17], vcc
	s_xor_b64 s[16:17], exec, s[16:17]
	s_cbranch_execz .LBB234_513
; %bb.512:
	s_mov_b32 s18, 0
	v_mov_b32_e32 v1, s18
	flat_store_dwordx2 v[9:10], v[0:1]
                                        ; implicit-def: $vgpr9_vgpr10
                                        ; implicit-def: $vgpr0
.LBB234_513:
	s_andn2_saveexec_b64 s[16:17], s[16:17]
	s_cbranch_execz .LBB234_515
; %bb.514:
	flat_store_dword v[9:10], v0
.LBB234_515:
	s_or_b64 exec, exec, s[16:17]
	s_andn2_b64 s[16:17], s[10:11], exec
	s_and_b64 s[18:19], s[10:11], exec
	s_or_b64 s[16:17], s[16:17], s[18:19]
                                        ; implicit-def: $vgpr9_vgpr10
.LBB234_516:
	s_andn2_saveexec_b64 s[14:15], s[14:15]
	s_cbranch_execz .LBB234_518
; %bb.517:
	v_cndmask_b32_e64 v0, 0, 1, s[16:17]
	flat_store_short v[9:10], v0
.LBB234_518:
	s_or_b64 exec, exec, s[14:15]
	s_andn2_b64 s[10:11], s[10:11], exec
	s_and_b64 s[14:15], s[16:17], exec
	s_or_b64 s[10:11], s[10:11], s[14:15]
                                        ; implicit-def: $vgpr9_vgpr10
.LBB234_519:
	s_andn2_saveexec_b64 s[12:13], s[12:13]
	s_cbranch_execz .LBB234_525
; %bb.520:
	v_cmp_lt_i16_e32 vcc, 0, v3
	v_cndmask_b32_e64 v0, 0, 1, s[10:11]
	s_and_saveexec_b64 s[10:11], vcc
	s_xor_b64 s[10:11], exec, s[10:11]
	s_cbranch_execz .LBB234_522
; %bb.521:
	flat_store_byte v[9:10], v0
                                        ; implicit-def: $vgpr9_vgpr10
                                        ; implicit-def: $vgpr0
.LBB234_522:
	s_andn2_saveexec_b64 s[10:11], s[10:11]
	s_cbranch_execz .LBB234_524
; %bb.523:
	flat_store_byte v[9:10], v0
.LBB234_524:
	s_or_b64 exec, exec, s[10:11]
.LBB234_525:
	s_or_b64 exec, exec, s[12:13]
.LBB234_526:
	s_or_b64 exec, exec, s[8:9]
	s_or_b64 s[4:5], s[4:5], exec
	s_or_b64 exec, exec, s[6:7]
	s_and_saveexec_b64 s[6:7], s[4:5]
	s_endpgm
.LBB234_527:
	s_andn2_saveexec_b64 s[6:7], s[6:7]
	s_cbranch_execz .LBB234_475
.LBB234_528:
	buffer_load_dword v0, off, s[0:3], 0 offset:32
	buffer_load_dword v2, off, s[0:3], 0 offset:36
	;; [unrolled: 1-line block ×6, first 2 shown]
	v_cmp_lt_u32_e64 s[4:5], 1, v14
	s_waitcnt vmcnt(0)
	v_mul_hi_u32 v0, v0, v1
	v_add_u32_e32 v0, v1, v0
	v_lshrrev_b32_e32 v3, v2, v0
	v_mul_lo_u32 v0, v3, v5
	v_sub_u32_e32 v0, v1, v0
	v_mul_lo_u32 v18, v0, v7
	v_mul_lo_u32 v2, v0, v9
	;; [unrolled: 1-line block ×3, first 2 shown]
	s_and_saveexec_b64 s[8:9], s[4:5]
	s_cbranch_execz .LBB234_530
; %bb.529:
	buffer_load_dword v1, off, s[0:3], 0 offset:44
	buffer_load_dword v5, off, s[0:3], 0 offset:48
	;; [unrolled: 1-line block ×6, first 2 shown]
	s_waitcnt vmcnt(0)
	v_mul_hi_u32 v1, v1, v3
	v_add_u32_e32 v1, v3, v1
	v_lshrrev_b32_e32 v1, v5, v1
	v_mul_lo_u32 v1, v1, v7
	v_sub_u32_e32 v1, v3, v1
	v_mad_u64_u32 v[18:19], s[4:5], v1, v9, v[18:19]
	v_mad_u64_u32 v[2:3], s[4:5], v1, v11, v[2:3]
	;; [unrolled: 1-line block ×3, first 2 shown]
.LBB234_530:
	s_or_b64 exec, exec, s[8:9]
	s_or_b64 exec, exec, s[6:7]
                                        ; implicit-def: $vgpr16
                                        ; implicit-def: $vgpr13
                                        ; implicit-def: $vgpr11
	s_and_saveexec_b64 s[4:5], vcc
	s_xor_b64 s[4:5], exec, s[4:5]
	s_cbranch_execnz .LBB234_476
.LBB234_531:
	s_andn2_saveexec_b64 s[4:5], s[4:5]
	s_cbranch_execz .LBB234_535
.LBB234_532:
	buffer_load_dword v1, off, s[0:3], 0 offset:32
	buffer_load_dword v3, off, s[0:3], 0 offset:36
	;; [unrolled: 1-line block ×6, first 2 shown]
	v_cmp_lt_u32_e32 vcc, 1, v14
	s_waitcnt vmcnt(0)
	v_mul_hi_u32 v1, v1, v12
	v_add_u32_e32 v1, v12, v1
	v_lshrrev_b32_e32 v1, v3, v1
	v_mul_lo_u32 v3, v1, v5
	v_sub_u32_e32 v3, v12, v3
	v_mul_lo_u32 v16, v3, v7
	v_mul_lo_u32 v13, v3, v9
	;; [unrolled: 1-line block ×3, first 2 shown]
	s_and_saveexec_b64 s[6:7], vcc
	s_cbranch_execz .LBB234_534
; %bb.533:
	buffer_load_dword v3, off, s[0:3], 0 offset:44
	buffer_load_dword v5, off, s[0:3], 0 offset:48
	;; [unrolled: 1-line block ×6, first 2 shown]
	s_waitcnt vmcnt(0)
	v_mul_hi_u32 v3, v3, v1
	v_add_u32_e32 v3, v1, v3
	v_lshrrev_b32_e32 v3, v5, v3
	v_mul_lo_u32 v3, v3, v7
	v_sub_u32_e32 v1, v1, v3
	v_mad_u64_u32 v[16:17], s[8:9], v1, v9, v[16:17]
	v_mad_u64_u32 v[13:14], s[8:9], v1, v12, v[13:14]
	;; [unrolled: 1-line block ×3, first 2 shown]
.LBB234_534:
	s_or_b64 exec, exec, s[6:7]
.LBB234_535:
	s_or_b64 exec, exec, s[4:5]
	buffer_store_dword v16, off, s[0:3], 0 offset:12
	buffer_store_dword v13, off, s[0:3], 0 offset:16
	;; [unrolled: 1-line block ×3, first 2 shown]
	buffer_load_dword v1, off, s[0:3], 0 offset:424
	buffer_load_dword v17, off, s[0:3], 0 offset:416
	;; [unrolled: 1-line block ×3, first 2 shown]
	buffer_load_ubyte v12, off, s[0:3], 0 offset:445
	buffer_load_dword v19, off, s[0:3], 0 offset:420
	buffer_load_dword v15, off, s[0:3], 0 offset:440
	s_mov_b64 s[6:7], 0
	s_mov_b64 s[38:39], s[34:35]
                                        ; implicit-def: $vgpr21
	s_waitcnt vmcnt(0)
	v_add_co_u32_e32 v9, vcc, v1, v10
	v_addc_co_u32_e32 v10, vcc, 0, v24, vcc
	v_cmp_lt_i16_e32 vcc, 10, v12
	s_and_saveexec_b64 s[4:5], vcc
	s_xor_b64 s[4:5], exec, s[4:5]
	s_cbranch_execz .LBB234_630
; %bb.536:
	v_cmp_lt_i16_e32 vcc, 25, v12
	s_mov_b64 s[12:13], 0
	s_mov_b64 s[10:11], 0
                                        ; implicit-def: $vgpr21
	s_and_saveexec_b64 s[8:9], vcc
	s_xor_b64 s[8:9], exec, s[8:9]
	s_cbranch_execz .LBB234_2237
; %bb.537:
	v_cmp_lt_i16_e32 vcc, 28, v12
	s_mov_b64 s[14:15], 0
                                        ; implicit-def: $vgpr21
	s_and_saveexec_b64 s[10:11], vcc
	s_xor_b64 s[10:11], exec, s[10:11]
	s_cbranch_execz .LBB234_577
; %bb.538:
	v_cmp_lt_i16_e32 vcc, 43, v12
	s_mov_b64 s[16:17], 0
	s_mov_b64 s[18:19], 0
                                        ; implicit-def: $vgpr21
	s_and_saveexec_b64 s[12:13], vcc
	s_xor_b64 s[12:13], exec, s[12:13]
	s_cbranch_execz .LBB234_564
; %bb.539:
	v_cmp_lt_i16_e32 vcc, 45, v12
                                        ; implicit-def: $vgpr21
	s_and_saveexec_b64 s[18:19], vcc
	s_xor_b64 s[18:19], exec, s[18:19]
	s_cbranch_execz .LBB234_551
; %bb.540:
	v_cmp_eq_u16_e32 vcc, 46, v12
	s_mov_b64 s[20:21], -1
                                        ; implicit-def: $vgpr21
	s_and_saveexec_b64 s[14:15], vcc
	s_cbranch_execz .LBB234_550
; %bb.541:
	flat_load_dword v3, v[9:10]
	s_mov_b32 s16, 0x47800000
                                        ; implicit-def: $vgpr5
	s_waitcnt vmcnt(0) lgkmcnt(0)
	v_lshlrev_b32_e32 v3, 16, v3
	v_and_b32_e32 v7, 0x7fffffff, v3
	v_cmp_gt_u32_e32 vcc, s16, v7
	s_and_saveexec_b64 s[16:17], vcc
	s_xor_b64 s[16:17], exec, s[16:17]
	s_cbranch_execz .LBB234_547
; %bb.542:
	s_mov_b32 s20, 0x387fffff
	v_cmp_lt_u32_e32 vcc, s20, v7
                                        ; implicit-def: $vgpr5
	s_and_saveexec_b64 s[20:21], vcc
	s_xor_b64 s[20:21], exec, s[20:21]
; %bb.543:
	v_bfe_u32 v5, v3, 21, 1
	s_mov_b32 s22, 0x80fffff
	v_add3_u32 v5, v3, v5, s22
	v_lshrrev_b32_e32 v5, 21, v5
; %bb.544:
	s_andn2_saveexec_b64 s[20:21], s[20:21]
; %bb.545:
	s_mov_b32 s22, 0x43000000
	v_add_f32_e64 v5, |v3|, s22
; %bb.546:
	s_or_b64 exec, exec, s[20:21]
                                        ; implicit-def: $vgpr7
.LBB234_547:
	s_andn2_saveexec_b64 s[16:17], s[16:17]
; %bb.548:
	s_mov_b32 s20, 0x7f800000
	v_mov_b32_e32 v5, 0x7c
	v_mov_b32_e32 v11, 0x7f
	v_cmp_lt_u32_e32 vcc, s20, v7
	v_cndmask_b32_e32 v5, v5, v11, vcc
; %bb.549:
	s_or_b64 exec, exec, s[16:17]
	v_lshrrev_b32_e32 v3, 24, v3
	s_movk_i32 s20, 0x80
	s_mov_b64 s[16:17], exec
	v_and_or_b32 v21, v3, s20, v5
	s_xor_b64 s[20:21], exec, -1
.LBB234_550:
	s_or_b64 exec, exec, s[14:15]
	s_and_b64 s[16:17], s[16:17], exec
	s_and_b64 s[14:15], s[20:21], exec
.LBB234_551:
	s_andn2_saveexec_b64 s[18:19], s[18:19]
	s_cbranch_execz .LBB234_563
; %bb.552:
	v_cmp_eq_u16_e32 vcc, 44, v12
	s_mov_b64 s[22:23], -1
	s_mov_b64 s[24:25], s[16:17]
                                        ; implicit-def: $vgpr21
	s_and_saveexec_b64 s[20:21], vcc
	s_cbranch_execz .LBB234_562
; %bb.553:
	flat_load_ubyte v3, v[9:10]
	s_movk_i32 s22, 0xff
	v_mov_b32_e32 v5, 0x7f800001
	v_mov_b32_e32 v7, 0x400000
                                        ; implicit-def: $vgpr21
	s_waitcnt vmcnt(0) lgkmcnt(0)
	v_lshlrev_b32_e32 v11, 23, v3
	v_cmp_ne_u32_e32 vcc, s22, v3
	v_cndmask_b32_e32 v5, v5, v11, vcc
	v_cmp_ne_u32_e32 vcc, 0, v3
	v_cndmask_b32_e32 v3, v7, v5, vcc
	s_mov_b32 s22, 0x47800000
	v_cmp_gt_u32_e32 vcc, s22, v3
	s_and_saveexec_b64 s[22:23], vcc
	s_xor_b64 s[22:23], exec, s[22:23]
	s_cbranch_execz .LBB234_559
; %bb.554:
	s_mov_b32 s24, 0x387fffff
	v_cmp_lt_u32_e32 vcc, s24, v3
                                        ; implicit-def: $vgpr21
	s_and_saveexec_b64 s[24:25], vcc
	s_xor_b64 s[24:25], exec, s[24:25]
; %bb.555:
	v_bfe_u32 v5, v3, 21, 1
	s_mov_b32 s26, 0x80fffff
	v_add3_u32 v3, v3, v5, s26
	v_lshrrev_b32_e32 v21, 21, v3
                                        ; implicit-def: $vgpr3
; %bb.556:
	s_andn2_saveexec_b64 s[24:25], s[24:25]
; %bb.557:
	v_add_f32_e32 v21, 0x43000000, v3
; %bb.558:
	s_or_b64 exec, exec, s[24:25]
                                        ; implicit-def: $vgpr3
.LBB234_559:
	s_andn2_saveexec_b64 s[22:23], s[22:23]
; %bb.560:
	s_mov_b32 s24, 0x7f800000
	v_mov_b32_e32 v5, 0x7c
	v_mov_b32_e32 v7, 0x7f
	v_cmp_lt_u32_e32 vcc, s24, v3
	v_cndmask_b32_e32 v21, v5, v7, vcc
; %bb.561:
	s_or_b64 exec, exec, s[22:23]
	s_or_b64 s[24:25], s[16:17], exec
	s_xor_b64 s[22:23], exec, -1
.LBB234_562:
	s_or_b64 exec, exec, s[20:21]
	s_andn2_b64 s[16:17], s[16:17], exec
	s_and_b64 s[20:21], s[24:25], exec
	s_or_b64 s[16:17], s[16:17], s[20:21]
	s_andn2_b64 s[14:15], s[14:15], exec
	s_and_b64 s[20:21], s[22:23], exec
	s_or_b64 s[14:15], s[14:15], s[20:21]
.LBB234_563:
	s_or_b64 exec, exec, s[18:19]
	s_and_b64 s[18:19], s[16:17], exec
	s_and_b64 s[16:17], s[14:15], exec
.LBB234_564:
	s_andn2_saveexec_b64 s[12:13], s[12:13]
	s_cbranch_execz .LBB234_576
; %bb.565:
	v_cmp_eq_u16_e32 vcc, 29, v12
	s_mov_b64 s[20:21], -1
	s_mov_b64 s[22:23], s[18:19]
                                        ; implicit-def: $vgpr21
	s_and_saveexec_b64 s[14:15], vcc
	s_cbranch_execz .LBB234_575
; %bb.566:
	flat_load_dwordx2 v[13:14], v[9:10]
	s_mov_b32 s20, 0x47800000
                                        ; implicit-def: $vgpr21
	s_waitcnt vmcnt(0) lgkmcnt(0)
	v_ffbh_u32_e32 v3, v14
	v_min_u32_e32 v3, 32, v3
	v_lshlrev_b64 v[13:14], v3, v[13:14]
	v_sub_u32_e32 v3, 32, v3
	v_min_u32_e32 v5, 1, v13
	v_or_b32_e32 v5, v14, v5
	v_cvt_f32_u32_e32 v5, v5
	v_ldexp_f32 v3, v5, v3
	v_cmp_gt_u32_e32 vcc, s20, v3
	s_and_saveexec_b64 s[20:21], vcc
	s_xor_b64 s[20:21], exec, s[20:21]
	s_cbranch_execz .LBB234_572
; %bb.567:
	s_mov_b32 s22, 0x387fffff
	v_cmp_lt_u32_e32 vcc, s22, v3
                                        ; implicit-def: $vgpr21
	s_and_saveexec_b64 s[22:23], vcc
	s_xor_b64 s[22:23], exec, s[22:23]
; %bb.568:
	v_bfe_u32 v5, v3, 21, 1
	s_mov_b32 s24, 0x80fffff
	v_add3_u32 v3, v3, v5, s24
	v_lshrrev_b32_e32 v21, 21, v3
                                        ; implicit-def: $vgpr3
; %bb.569:
	s_andn2_saveexec_b64 s[22:23], s[22:23]
; %bb.570:
	v_add_f32_e32 v21, 0x43000000, v3
; %bb.571:
	s_or_b64 exec, exec, s[22:23]
                                        ; implicit-def: $vgpr3
.LBB234_572:
	s_andn2_saveexec_b64 s[20:21], s[20:21]
; %bb.573:
	s_mov_b32 s22, 0x7f800000
	v_mov_b32_e32 v5, 0x7c
	v_mov_b32_e32 v7, 0x7f
	v_cmp_lt_u32_e32 vcc, s22, v3
	v_cndmask_b32_e32 v21, v5, v7, vcc
; %bb.574:
	s_or_b64 exec, exec, s[20:21]
	s_or_b64 s[22:23], s[18:19], exec
	s_xor_b64 s[20:21], exec, -1
.LBB234_575:
	s_or_b64 exec, exec, s[14:15]
	s_andn2_b64 s[14:15], s[18:19], exec
	s_and_b64 s[18:19], s[22:23], exec
	s_or_b64 s[18:19], s[14:15], s[18:19]
	s_andn2_b64 s[14:15], s[16:17], exec
	s_and_b64 s[16:17], s[20:21], exec
	s_or_b64 s[16:17], s[14:15], s[16:17]
.LBB234_576:
	s_or_b64 exec, exec, s[12:13]
	s_and_b64 s[14:15], s[18:19], exec
	s_and_b64 s[12:13], s[16:17], exec
.LBB234_577:
	s_andn2_saveexec_b64 s[10:11], s[10:11]
	s_cbranch_execz .LBB234_617
; %bb.578:
	v_cmp_lt_i16_e32 vcc, 26, v12
                                        ; implicit-def: $vgpr21
	s_and_saveexec_b64 s[16:17], vcc
	s_xor_b64 s[16:17], exec, s[16:17]
	s_cbranch_execz .LBB234_600
; %bb.579:
	v_cmp_lt_i16_e32 vcc, 27, v12
                                        ; implicit-def: $vgpr21
	s_and_saveexec_b64 s[18:19], vcc
	s_xor_b64 s[18:19], exec, s[18:19]
	s_cbranch_execz .LBB234_589
; %bb.580:
	flat_load_dword v3, v[9:10]
	s_mov_b32 s20, 0x47800000
                                        ; implicit-def: $vgpr21
	s_waitcnt vmcnt(0) lgkmcnt(0)
	v_cvt_f32_u32_e32 v3, v3
	v_cmp_gt_u32_e32 vcc, s20, v3
	s_and_saveexec_b64 s[20:21], vcc
	s_xor_b64 s[20:21], exec, s[20:21]
	s_cbranch_execz .LBB234_586
; %bb.581:
	s_mov_b32 s22, 0x387fffff
	v_cmp_lt_u32_e32 vcc, s22, v3
                                        ; implicit-def: $vgpr21
	s_and_saveexec_b64 s[22:23], vcc
	s_xor_b64 s[22:23], exec, s[22:23]
; %bb.582:
	v_bfe_u32 v5, v3, 21, 1
	s_mov_b32 s24, 0x80fffff
	v_add3_u32 v3, v3, v5, s24
	v_lshrrev_b32_e32 v21, 21, v3
                                        ; implicit-def: $vgpr3
; %bb.583:
	s_andn2_saveexec_b64 s[22:23], s[22:23]
; %bb.584:
	v_add_f32_e32 v21, 0x43000000, v3
; %bb.585:
	s_or_b64 exec, exec, s[22:23]
                                        ; implicit-def: $vgpr3
.LBB234_586:
	s_andn2_saveexec_b64 s[20:21], s[20:21]
; %bb.587:
	s_mov_b32 s22, 0x7f800000
	v_mov_b32_e32 v5, 0x7c
	v_mov_b32_e32 v7, 0x7f
	v_cmp_lt_u32_e32 vcc, s22, v3
	v_cndmask_b32_e32 v21, v5, v7, vcc
; %bb.588:
	s_or_b64 exec, exec, s[20:21]
.LBB234_589:
	s_andn2_saveexec_b64 s[18:19], s[18:19]
	s_cbranch_execz .LBB234_599
; %bb.590:
	flat_load_ushort v3, v[9:10]
	s_mov_b32 s20, 0x47800000
                                        ; implicit-def: $vgpr21
	s_waitcnt vmcnt(0) lgkmcnt(0)
	v_cvt_f32_u32_e32 v3, v3
	v_cmp_gt_u32_e32 vcc, s20, v3
	s_and_saveexec_b64 s[20:21], vcc
	s_xor_b64 s[20:21], exec, s[20:21]
	s_cbranch_execz .LBB234_596
; %bb.591:
	s_mov_b32 s22, 0x387fffff
	v_cmp_lt_u32_e32 vcc, s22, v3
                                        ; implicit-def: $vgpr21
	s_and_saveexec_b64 s[22:23], vcc
	s_xor_b64 s[22:23], exec, s[22:23]
; %bb.592:
	v_bfe_u32 v5, v3, 21, 1
	s_mov_b32 s24, 0x80fffff
	v_add3_u32 v3, v3, v5, s24
	v_lshrrev_b32_e32 v21, 21, v3
                                        ; implicit-def: $vgpr3
; %bb.593:
	s_andn2_saveexec_b64 s[22:23], s[22:23]
; %bb.594:
	v_add_f32_e32 v21, 0x43000000, v3
; %bb.595:
	s_or_b64 exec, exec, s[22:23]
                                        ; implicit-def: $vgpr3
.LBB234_596:
	s_andn2_saveexec_b64 s[20:21], s[20:21]
; %bb.597:
	s_mov_b32 s22, 0x7f800000
	v_mov_b32_e32 v5, 0x7c
	v_mov_b32_e32 v7, 0x7f
	v_cmp_lt_u32_e32 vcc, s22, v3
	v_cndmask_b32_e32 v21, v5, v7, vcc
; %bb.598:
	s_or_b64 exec, exec, s[20:21]
.LBB234_599:
	s_or_b64 exec, exec, s[18:19]
.LBB234_600:
	s_andn2_saveexec_b64 s[16:17], s[16:17]
	s_cbranch_execz .LBB234_616
; %bb.601:
	flat_load_ubyte v5, v[9:10]
	s_movk_i32 s18, 0x7f
	s_waitcnt vmcnt(0) lgkmcnt(0)
	v_cmp_lt_i16_e32 vcc, s18, v5
	s_mov_b64 s[18:19], 0
	s_and_saveexec_b64 s[20:21], vcc
	s_xor_b64 s[20:21], exec, s[20:21]
	s_cbranch_execz .LBB234_2474
; %bb.602:
	s_movk_i32 s18, 0x80
	v_cmp_eq_u16_e32 vcc, s18, v5
	s_mov_b64 s[18:19], -1
	s_and_saveexec_b64 s[22:23], vcc
; %bb.603:
	s_xor_b64 s[18:19], exec, -1
; %bb.604:
	s_or_b64 exec, exec, s[22:23]
	s_and_b64 s[18:19], s[18:19], exec
	s_or_saveexec_b64 s[20:21], s[20:21]
	v_mov_b32_e32 v3, 0x7f800001
	s_xor_b64 exec, exec, s[20:21]
	s_cbranch_execnz .LBB234_2475
.LBB234_605:
	s_or_b64 exec, exec, s[20:21]
	s_and_saveexec_b64 s[20:21], s[18:19]
	s_cbranch_execz .LBB234_607
.LBB234_606:
	v_lshlrev_b32_e32 v3, 24, v5
	v_and_b32_e32 v5, 0xffff, v5
	v_and_b32_e32 v7, 7, v5
	v_ffbh_u32_e32 v13, v7
	v_min_u32_e32 v13, 32, v13
	v_subrev_u32_e32 v14, 28, v13
	v_bfe_u32 v11, v5, 3, 4
	v_lshlrev_b32_e32 v5, v14, v5
	v_sub_u32_e32 v13, 29, v13
	v_and_b32_e32 v5, 7, v5
	v_cmp_eq_u32_e32 vcc, 0, v11
	v_cndmask_b32_e32 v11, v11, v13, vcc
	v_cndmask_b32_e32 v5, v7, v5, vcc
	v_mov_b32_e32 v7, 0x3b800000
	v_lshlrev_b32_e32 v5, 20, v5
	v_and_b32_e32 v3, 0x80000000, v3
	v_lshl_add_u32 v7, v11, 23, v7
	v_or3_b32 v3, v3, v7, v5
.LBB234_607:
	s_or_b64 exec, exec, s[20:21]
	v_and_b32_e32 v7, 0x7fffffff, v3
	s_mov_b32 s18, 0x47800000
	v_cmp_gt_u32_e32 vcc, s18, v7
                                        ; implicit-def: $vgpr5
	s_and_saveexec_b64 s[18:19], vcc
	s_xor_b64 s[18:19], exec, s[18:19]
	s_cbranch_execz .LBB234_613
; %bb.608:
	s_mov_b32 s20, 0x387fffff
	v_cmp_lt_u32_e32 vcc, s20, v7
                                        ; implicit-def: $vgpr5
	s_and_saveexec_b64 s[20:21], vcc
	s_xor_b64 s[20:21], exec, s[20:21]
; %bb.609:
	v_bfe_u32 v5, v3, 21, 1
	s_mov_b32 s22, 0x80fffff
	v_add3_u32 v5, v3, v5, s22
	v_lshrrev_b32_e32 v5, 21, v5
; %bb.610:
	s_andn2_saveexec_b64 s[20:21], s[20:21]
; %bb.611:
	s_mov_b32 s22, 0x43000000
	v_add_f32_e64 v5, |v3|, s22
; %bb.612:
	s_or_b64 exec, exec, s[20:21]
                                        ; implicit-def: $vgpr7
.LBB234_613:
	s_andn2_saveexec_b64 s[18:19], s[18:19]
; %bb.614:
	s_mov_b32 s20, 0x7f800000
	v_mov_b32_e32 v5, 0x7c
	v_mov_b32_e32 v11, 0x7f
	v_cmp_lt_u32_e32 vcc, s20, v7
	v_cndmask_b32_e32 v5, v5, v11, vcc
; %bb.615:
	s_or_b64 exec, exec, s[18:19]
	v_lshrrev_b32_e32 v3, 24, v3
	s_movk_i32 s18, 0x80
	v_and_or_b32 v21, v3, s18, v5
.LBB234_616:
	s_or_b64 exec, exec, s[16:17]
	s_or_b64 s[14:15], s[14:15], exec
.LBB234_617:
	s_or_b64 exec, exec, s[10:11]
	s_and_b64 s[10:11], s[14:15], exec
	s_and_b64 s[12:13], s[12:13], exec
	s_andn2_saveexec_b64 s[8:9], s[8:9]
	s_cbranch_execnz .LBB234_2238
.LBB234_618:
	s_or_b64 exec, exec, s[8:9]
	s_mov_b64 s[8:9], s[34:35]
	s_and_saveexec_b64 s[14:15], s[12:13]
	s_cbranch_execnz .LBB234_2287
.LBB234_619:
	s_or_b64 exec, exec, s[14:15]
	s_and_saveexec_b64 s[12:13], s[6:7]
	s_cbranch_execz .LBB234_629
.LBB234_620:
	flat_load_ubyte v3, v[9:10]
	s_mov_b32 s6, 0x47800000
                                        ; implicit-def: $vgpr21
	s_waitcnt vmcnt(0) lgkmcnt(0)
	v_cmp_ne_u16_e32 vcc, 0, v3
	v_cndmask_b32_e64 v3, 0, 1.0, vcc
	v_cmp_gt_u32_e32 vcc, s6, v3
	s_and_saveexec_b64 s[6:7], vcc
	s_xor_b64 s[6:7], exec, s[6:7]
	s_cbranch_execz .LBB234_626
; %bb.621:
	s_mov_b32 s14, 0x387fffff
	v_cmp_lt_u32_e32 vcc, s14, v3
                                        ; implicit-def: $vgpr21
	s_and_saveexec_b64 s[14:15], vcc
	s_xor_b64 s[14:15], exec, s[14:15]
; %bb.622:
	v_bfe_u32 v5, v3, 21, 1
	s_mov_b32 s16, 0x80fffff
	v_add3_u32 v3, v3, v5, s16
	v_lshrrev_b32_e32 v21, 21, v3
                                        ; implicit-def: $vgpr3
; %bb.623:
	s_andn2_saveexec_b64 s[14:15], s[14:15]
; %bb.624:
	v_add_f32_e32 v21, 0x43000000, v3
; %bb.625:
	s_or_b64 exec, exec, s[14:15]
                                        ; implicit-def: $vgpr3
.LBB234_626:
	s_andn2_saveexec_b64 s[6:7], s[6:7]
; %bb.627:
	s_mov_b32 s14, 0x7f800000
	v_mov_b32_e32 v5, 0x7c
	v_mov_b32_e32 v7, 0x7f
	v_cmp_lt_u32_e32 vcc, s14, v3
	v_cndmask_b32_e32 v21, v5, v7, vcc
; %bb.628:
	s_or_b64 exec, exec, s[6:7]
	s_or_b64 s[10:11], s[10:11], exec
.LBB234_629:
	s_or_b64 exec, exec, s[12:13]
	s_andn2_b64 s[6:7], s[34:35], exec
	s_and_b64 s[8:9], s[8:9], exec
	s_or_b64 s[38:39], s[6:7], s[8:9]
	s_and_b64 s[6:7], s[10:11], exec
                                        ; implicit-def: $vgpr9_vgpr10
.LBB234_630:
	s_andn2_saveexec_b64 s[4:5], s[4:5]
	s_cbranch_execz .LBB234_760
; %bb.631:
	v_cmp_lt_i16_e32 vcc, 4, v12
                                        ; implicit-def: $vgpr21
	s_and_saveexec_b64 s[8:9], vcc
	s_xor_b64 s[8:9], exec, s[8:9]
	s_cbranch_execz .LBB234_701
; %bb.632:
	v_cmp_lt_i16_e32 vcc, 7, v12
                                        ; implicit-def: $vgpr21
	s_and_saveexec_b64 s[10:11], vcc
	s_xor_b64 s[10:11], exec, s[10:11]
	;; [unrolled: 6-line block ×4, first 2 shown]
	s_cbranch_execz .LBB234_644
; %bb.635:
	flat_load_dwordx2 v[9:10], v[9:10]
	s_mov_b32 s16, 0x47800000
                                        ; implicit-def: $vgpr5
	s_waitcnt vmcnt(0) lgkmcnt(0)
	v_cvt_f32_f64_e32 v3, v[9:10]
	v_and_b32_e32 v7, 0x7fffffff, v3
	v_cmp_gt_u32_e32 vcc, s16, v7
	s_and_saveexec_b64 s[16:17], vcc
	s_xor_b64 s[16:17], exec, s[16:17]
	s_cbranch_execz .LBB234_641
; %bb.636:
	s_mov_b32 s18, 0x387fffff
	v_cmp_lt_u32_e32 vcc, s18, v7
                                        ; implicit-def: $vgpr5
	s_and_saveexec_b64 s[18:19], vcc
	s_xor_b64 s[18:19], exec, s[18:19]
; %bb.637:
	v_bfe_u32 v5, v3, 21, 1
	s_mov_b32 s20, 0x80fffff
	v_add3_u32 v5, v3, v5, s20
	v_lshrrev_b32_e32 v5, 21, v5
; %bb.638:
	s_andn2_saveexec_b64 s[18:19], s[18:19]
; %bb.639:
	s_mov_b32 s20, 0x43000000
	v_add_f32_e64 v5, |v3|, s20
; %bb.640:
	s_or_b64 exec, exec, s[18:19]
                                        ; implicit-def: $vgpr7
.LBB234_641:
	s_andn2_saveexec_b64 s[16:17], s[16:17]
; %bb.642:
	s_mov_b32 s18, 0x7f800000
	v_mov_b32_e32 v5, 0x7c
	v_mov_b32_e32 v9, 0x7f
	v_cmp_lt_u32_e32 vcc, s18, v7
	v_cndmask_b32_e32 v5, v5, v9, vcc
; %bb.643:
	s_or_b64 exec, exec, s[16:17]
	v_lshrrev_b32_e32 v3, 24, v3
	s_movk_i32 s16, 0x80
	v_and_or_b32 v21, v3, s16, v5
                                        ; implicit-def: $vgpr9_vgpr10
.LBB234_644:
	s_andn2_saveexec_b64 s[14:15], s[14:15]
	s_cbranch_execz .LBB234_654
; %bb.645:
	flat_load_dword v3, v[9:10]
	s_mov_b32 s16, 0x47800000
                                        ; implicit-def: $vgpr5
	s_waitcnt vmcnt(0) lgkmcnt(0)
	v_and_b32_e32 v7, 0x7fffffff, v3
	v_cmp_gt_u32_e32 vcc, s16, v7
	s_and_saveexec_b64 s[16:17], vcc
	s_xor_b64 s[16:17], exec, s[16:17]
	s_cbranch_execz .LBB234_651
; %bb.646:
	s_mov_b32 s18, 0x387fffff
	v_cmp_lt_u32_e32 vcc, s18, v7
                                        ; implicit-def: $vgpr5
	s_and_saveexec_b64 s[18:19], vcc
	s_xor_b64 s[18:19], exec, s[18:19]
; %bb.647:
	v_bfe_u32 v5, v3, 21, 1
	s_mov_b32 s20, 0x80fffff
	v_add3_u32 v5, v3, v5, s20
	v_lshrrev_b32_e32 v5, 21, v5
; %bb.648:
	s_andn2_saveexec_b64 s[18:19], s[18:19]
; %bb.649:
	s_mov_b32 s20, 0x43000000
	v_add_f32_e64 v5, |v3|, s20
; %bb.650:
	s_or_b64 exec, exec, s[18:19]
                                        ; implicit-def: $vgpr7
.LBB234_651:
	s_andn2_saveexec_b64 s[16:17], s[16:17]
; %bb.652:
	s_mov_b32 s18, 0x7f800000
	v_mov_b32_e32 v5, 0x7c
	v_mov_b32_e32 v9, 0x7f
	v_cmp_lt_u32_e32 vcc, s18, v7
	v_cndmask_b32_e32 v5, v5, v9, vcc
; %bb.653:
	s_or_b64 exec, exec, s[16:17]
	v_lshrrev_b32_e32 v3, 24, v3
	s_movk_i32 s16, 0x80
	v_and_or_b32 v21, v3, s16, v5
.LBB234_654:
	s_or_b64 exec, exec, s[14:15]
                                        ; implicit-def: $vgpr9_vgpr10
.LBB234_655:
	s_andn2_saveexec_b64 s[12:13], s[12:13]
	s_cbranch_execz .LBB234_665
; %bb.656:
	flat_load_dword v3, v[9:10]
	s_mov_b32 s14, 0x47800000
                                        ; implicit-def: $vgpr5
	s_waitcnt vmcnt(0) lgkmcnt(0)
	v_cvt_f32_f16_e32 v3, v3
	v_and_b32_e32 v7, 0x7fffffff, v3
	v_cmp_gt_u32_e32 vcc, s14, v7
	s_and_saveexec_b64 s[14:15], vcc
	s_xor_b64 s[14:15], exec, s[14:15]
	s_cbranch_execz .LBB234_662
; %bb.657:
	s_mov_b32 s16, 0x387fffff
	v_cmp_lt_u32_e32 vcc, s16, v7
                                        ; implicit-def: $vgpr5
	s_and_saveexec_b64 s[16:17], vcc
	s_xor_b64 s[16:17], exec, s[16:17]
; %bb.658:
	v_bfe_u32 v5, v3, 21, 1
	s_mov_b32 s18, 0x80fffff
	v_add3_u32 v5, v3, v5, s18
	v_lshrrev_b32_e32 v5, 21, v5
; %bb.659:
	s_andn2_saveexec_b64 s[16:17], s[16:17]
; %bb.660:
	s_mov_b32 s18, 0x43000000
	v_add_f32_e64 v5, |v3|, s18
; %bb.661:
	s_or_b64 exec, exec, s[16:17]
                                        ; implicit-def: $vgpr7
.LBB234_662:
	s_andn2_saveexec_b64 s[14:15], s[14:15]
; %bb.663:
	s_mov_b32 s16, 0x7f800000
	v_mov_b32_e32 v5, 0x7c
	v_mov_b32_e32 v9, 0x7f
	v_cmp_lt_u32_e32 vcc, s16, v7
	v_cndmask_b32_e32 v5, v5, v9, vcc
; %bb.664:
	s_or_b64 exec, exec, s[14:15]
	v_lshrrev_b32_e32 v3, 24, v3
	s_movk_i32 s14, 0x80
	v_and_or_b32 v21, v3, s14, v5
.LBB234_665:
	s_or_b64 exec, exec, s[12:13]
                                        ; implicit-def: $vgpr9_vgpr10
.LBB234_666:
	s_andn2_saveexec_b64 s[10:11], s[10:11]
	s_cbranch_execz .LBB234_700
; %bb.667:
	v_cmp_lt_i16_e32 vcc, 5, v12
                                        ; implicit-def: $vgpr21
	s_and_saveexec_b64 s[12:13], vcc
	s_xor_b64 s[12:13], exec, s[12:13]
	s_cbranch_execz .LBB234_689
; %bb.668:
	v_cmp_lt_i16_e32 vcc, 6, v12
                                        ; implicit-def: $vgpr21
	s_and_saveexec_b64 s[14:15], vcc
	s_xor_b64 s[14:15], exec, s[14:15]
	s_cbranch_execz .LBB234_678
; %bb.669:
	flat_load_dwordx2 v[9:10], v[9:10]
	s_mov_b32 s16, 0x47800000
                                        ; implicit-def: $vgpr5
	s_waitcnt vmcnt(0) lgkmcnt(0)
	v_cvt_f32_f64_e32 v3, v[9:10]
	v_and_b32_e32 v7, 0x7fffffff, v3
	v_cmp_gt_u32_e32 vcc, s16, v7
	s_and_saveexec_b64 s[16:17], vcc
	s_xor_b64 s[16:17], exec, s[16:17]
	s_cbranch_execz .LBB234_675
; %bb.670:
	s_mov_b32 s18, 0x387fffff
	v_cmp_lt_u32_e32 vcc, s18, v7
                                        ; implicit-def: $vgpr5
	s_and_saveexec_b64 s[18:19], vcc
	s_xor_b64 s[18:19], exec, s[18:19]
; %bb.671:
	v_bfe_u32 v5, v3, 21, 1
	s_mov_b32 s20, 0x80fffff
	v_add3_u32 v5, v3, v5, s20
	v_lshrrev_b32_e32 v5, 21, v5
; %bb.672:
	s_andn2_saveexec_b64 s[18:19], s[18:19]
; %bb.673:
	s_mov_b32 s20, 0x43000000
	v_add_f32_e64 v5, |v3|, s20
; %bb.674:
	s_or_b64 exec, exec, s[18:19]
                                        ; implicit-def: $vgpr7
.LBB234_675:
	s_andn2_saveexec_b64 s[16:17], s[16:17]
; %bb.676:
	s_mov_b32 s18, 0x7f800000
	v_mov_b32_e32 v5, 0x7c
	v_mov_b32_e32 v9, 0x7f
	v_cmp_lt_u32_e32 vcc, s18, v7
	v_cndmask_b32_e32 v5, v5, v9, vcc
; %bb.677:
	s_or_b64 exec, exec, s[16:17]
	v_lshrrev_b32_e32 v3, 24, v3
	s_movk_i32 s16, 0x80
	v_and_or_b32 v21, v3, s16, v5
                                        ; implicit-def: $vgpr9_vgpr10
.LBB234_678:
	s_andn2_saveexec_b64 s[14:15], s[14:15]
	s_cbranch_execz .LBB234_688
; %bb.679:
	flat_load_dword v3, v[9:10]
	s_mov_b32 s16, 0x47800000
                                        ; implicit-def: $vgpr5
	s_waitcnt vmcnt(0) lgkmcnt(0)
	v_and_b32_e32 v7, 0x7fffffff, v3
	v_cmp_gt_u32_e32 vcc, s16, v7
	s_and_saveexec_b64 s[16:17], vcc
	s_xor_b64 s[16:17], exec, s[16:17]
	s_cbranch_execz .LBB234_685
; %bb.680:
	s_mov_b32 s18, 0x387fffff
	v_cmp_lt_u32_e32 vcc, s18, v7
                                        ; implicit-def: $vgpr5
	s_and_saveexec_b64 s[18:19], vcc
	s_xor_b64 s[18:19], exec, s[18:19]
; %bb.681:
	v_bfe_u32 v5, v3, 21, 1
	s_mov_b32 s20, 0x80fffff
	v_add3_u32 v5, v3, v5, s20
	v_lshrrev_b32_e32 v5, 21, v5
; %bb.682:
	s_andn2_saveexec_b64 s[18:19], s[18:19]
; %bb.683:
	s_mov_b32 s20, 0x43000000
	v_add_f32_e64 v5, |v3|, s20
; %bb.684:
	s_or_b64 exec, exec, s[18:19]
                                        ; implicit-def: $vgpr7
.LBB234_685:
	s_andn2_saveexec_b64 s[16:17], s[16:17]
; %bb.686:
	s_mov_b32 s18, 0x7f800000
	v_mov_b32_e32 v5, 0x7c
	v_mov_b32_e32 v9, 0x7f
	v_cmp_lt_u32_e32 vcc, s18, v7
	v_cndmask_b32_e32 v5, v5, v9, vcc
; %bb.687:
	s_or_b64 exec, exec, s[16:17]
	v_lshrrev_b32_e32 v3, 24, v3
	s_movk_i32 s16, 0x80
	v_and_or_b32 v21, v3, s16, v5
.LBB234_688:
	s_or_b64 exec, exec, s[14:15]
                                        ; implicit-def: $vgpr9_vgpr10
.LBB234_689:
	s_andn2_saveexec_b64 s[12:13], s[12:13]
	s_cbranch_execz .LBB234_699
; %bb.690:
	flat_load_ushort v3, v[9:10]
	s_mov_b32 s14, 0x47800000
                                        ; implicit-def: $vgpr5
	s_waitcnt vmcnt(0) lgkmcnt(0)
	v_cvt_f32_f16_e32 v3, v3
	v_and_b32_e32 v7, 0x7fffffff, v3
	v_cmp_gt_u32_e32 vcc, s14, v7
	s_and_saveexec_b64 s[14:15], vcc
	s_xor_b64 s[14:15], exec, s[14:15]
	s_cbranch_execz .LBB234_696
; %bb.691:
	s_mov_b32 s16, 0x387fffff
	v_cmp_lt_u32_e32 vcc, s16, v7
                                        ; implicit-def: $vgpr5
	s_and_saveexec_b64 s[16:17], vcc
	s_xor_b64 s[16:17], exec, s[16:17]
; %bb.692:
	v_bfe_u32 v5, v3, 21, 1
	s_mov_b32 s18, 0x80fffff
	v_add3_u32 v5, v3, v5, s18
	v_lshrrev_b32_e32 v5, 21, v5
; %bb.693:
	s_andn2_saveexec_b64 s[16:17], s[16:17]
; %bb.694:
	s_mov_b32 s18, 0x43000000
	v_add_f32_e64 v5, |v3|, s18
; %bb.695:
	s_or_b64 exec, exec, s[16:17]
                                        ; implicit-def: $vgpr7
.LBB234_696:
	s_andn2_saveexec_b64 s[14:15], s[14:15]
; %bb.697:
	s_mov_b32 s16, 0x7f800000
	v_mov_b32_e32 v5, 0x7c
	v_mov_b32_e32 v9, 0x7f
	v_cmp_lt_u32_e32 vcc, s16, v7
	v_cndmask_b32_e32 v5, v5, v9, vcc
; %bb.698:
	s_or_b64 exec, exec, s[14:15]
	v_lshrrev_b32_e32 v3, 24, v3
	s_movk_i32 s14, 0x80
	v_and_or_b32 v21, v3, s14, v5
.LBB234_699:
	s_or_b64 exec, exec, s[12:13]
.LBB234_700:
	s_or_b64 exec, exec, s[10:11]
                                        ; implicit-def: $vgpr9_vgpr10
.LBB234_701:
	s_andn2_saveexec_b64 s[8:9], s[8:9]
	s_cbranch_execz .LBB234_759
; %bb.702:
	v_cmp_lt_i16_e32 vcc, 1, v12
                                        ; implicit-def: $vgpr21
	s_and_saveexec_b64 s[10:11], vcc
	s_xor_b64 s[10:11], exec, s[10:11]
	s_cbranch_execz .LBB234_736
; %bb.703:
	v_cmp_lt_i16_e32 vcc, 2, v12
                                        ; implicit-def: $vgpr21
	s_and_saveexec_b64 s[12:13], vcc
	s_xor_b64 s[12:13], exec, s[12:13]
	;; [unrolled: 6-line block ×3, first 2 shown]
	s_cbranch_execz .LBB234_714
; %bb.705:
	flat_load_dwordx2 v[9:10], v[9:10]
	s_mov_b32 s16, 0x47800000
	s_waitcnt vmcnt(0) lgkmcnt(0)
	v_xor_b32_e32 v5, v9, v10
	v_ffbh_i32_e32 v3, v10
	v_ashrrev_i32_e32 v5, 31, v5
	v_add_u32_e32 v3, -1, v3
	v_add_u32_e32 v5, 32, v5
	v_min_u32_e32 v3, v3, v5
	v_lshlrev_b64 v[9:10], v3, v[9:10]
	v_sub_u32_e32 v3, 32, v3
	v_min_u32_e32 v5, 1, v9
	v_or_b32_e32 v5, v10, v5
	v_cvt_f32_i32_e32 v5, v5
	v_ldexp_f32 v3, v5, v3
	v_and_b32_e32 v7, 0x7fffffff, v3
	v_cmp_gt_u32_e32 vcc, s16, v7
                                        ; implicit-def: $vgpr5
	s_and_saveexec_b64 s[16:17], vcc
	s_xor_b64 s[16:17], exec, s[16:17]
	s_cbranch_execz .LBB234_711
; %bb.706:
	s_mov_b32 s18, 0x387fffff
	v_cmp_lt_u32_e32 vcc, s18, v7
                                        ; implicit-def: $vgpr5
	s_and_saveexec_b64 s[18:19], vcc
	s_xor_b64 s[18:19], exec, s[18:19]
; %bb.707:
	v_bfe_u32 v5, v3, 21, 1
	s_mov_b32 s20, 0x80fffff
	v_add3_u32 v5, v3, v5, s20
	v_lshrrev_b32_e32 v5, 21, v5
; %bb.708:
	s_andn2_saveexec_b64 s[18:19], s[18:19]
; %bb.709:
	s_mov_b32 s20, 0x43000000
	v_add_f32_e64 v5, |v3|, s20
; %bb.710:
	s_or_b64 exec, exec, s[18:19]
                                        ; implicit-def: $vgpr7
.LBB234_711:
	s_andn2_saveexec_b64 s[16:17], s[16:17]
; %bb.712:
	s_mov_b32 s18, 0x7f800000
	v_mov_b32_e32 v5, 0x7c
	v_mov_b32_e32 v9, 0x7f
	v_cmp_lt_u32_e32 vcc, s18, v7
	v_cndmask_b32_e32 v5, v5, v9, vcc
; %bb.713:
	s_or_b64 exec, exec, s[16:17]
	v_lshrrev_b32_e32 v3, 24, v3
	s_movk_i32 s16, 0x80
	v_and_or_b32 v21, v3, s16, v5
                                        ; implicit-def: $vgpr9_vgpr10
.LBB234_714:
	s_andn2_saveexec_b64 s[14:15], s[14:15]
	s_cbranch_execz .LBB234_724
; %bb.715:
	flat_load_dword v3, v[9:10]
	s_mov_b32 s16, 0x47800000
                                        ; implicit-def: $vgpr5
	s_waitcnt vmcnt(0) lgkmcnt(0)
	v_cvt_f32_i32_e32 v3, v3
	v_and_b32_e32 v7, 0x7fffffff, v3
	v_cmp_gt_u32_e32 vcc, s16, v7
	s_and_saveexec_b64 s[16:17], vcc
	s_xor_b64 s[16:17], exec, s[16:17]
	s_cbranch_execz .LBB234_721
; %bb.716:
	s_mov_b32 s18, 0x387fffff
	v_cmp_lt_u32_e32 vcc, s18, v7
                                        ; implicit-def: $vgpr5
	s_and_saveexec_b64 s[18:19], vcc
	s_xor_b64 s[18:19], exec, s[18:19]
; %bb.717:
	v_bfe_u32 v5, v3, 21, 1
	s_mov_b32 s20, 0x80fffff
	v_add3_u32 v5, v3, v5, s20
	v_lshrrev_b32_e32 v5, 21, v5
; %bb.718:
	s_andn2_saveexec_b64 s[18:19], s[18:19]
; %bb.719:
	s_mov_b32 s20, 0x43000000
	v_add_f32_e64 v5, |v3|, s20
; %bb.720:
	s_or_b64 exec, exec, s[18:19]
                                        ; implicit-def: $vgpr7
.LBB234_721:
	s_andn2_saveexec_b64 s[16:17], s[16:17]
; %bb.722:
	s_mov_b32 s18, 0x7f800000
	v_mov_b32_e32 v5, 0x7c
	v_mov_b32_e32 v9, 0x7f
	v_cmp_lt_u32_e32 vcc, s18, v7
	v_cndmask_b32_e32 v5, v5, v9, vcc
; %bb.723:
	s_or_b64 exec, exec, s[16:17]
	v_lshrrev_b32_e32 v3, 24, v3
	s_movk_i32 s16, 0x80
	v_and_or_b32 v21, v3, s16, v5
.LBB234_724:
	s_or_b64 exec, exec, s[14:15]
                                        ; implicit-def: $vgpr9_vgpr10
.LBB234_725:
	s_andn2_saveexec_b64 s[12:13], s[12:13]
	s_cbranch_execz .LBB234_735
; %bb.726:
	flat_load_sshort v3, v[9:10]
	s_mov_b32 s14, 0x47800000
                                        ; implicit-def: $vgpr5
	s_waitcnt vmcnt(0) lgkmcnt(0)
	v_cvt_f32_i32_e32 v3, v3
	v_and_b32_e32 v7, 0x7fffffff, v3
	v_cmp_gt_u32_e32 vcc, s14, v7
	s_and_saveexec_b64 s[14:15], vcc
	s_xor_b64 s[14:15], exec, s[14:15]
	s_cbranch_execz .LBB234_732
; %bb.727:
	s_mov_b32 s16, 0x387fffff
	v_cmp_lt_u32_e32 vcc, s16, v7
                                        ; implicit-def: $vgpr5
	s_and_saveexec_b64 s[16:17], vcc
	s_xor_b64 s[16:17], exec, s[16:17]
; %bb.728:
	v_bfe_u32 v5, v3, 21, 1
	s_mov_b32 s18, 0x80fffff
	v_add3_u32 v5, v3, v5, s18
	v_lshrrev_b32_e32 v5, 21, v5
; %bb.729:
	s_andn2_saveexec_b64 s[16:17], s[16:17]
; %bb.730:
	s_mov_b32 s18, 0x43000000
	v_add_f32_e64 v5, |v3|, s18
; %bb.731:
	s_or_b64 exec, exec, s[16:17]
                                        ; implicit-def: $vgpr7
.LBB234_732:
	s_andn2_saveexec_b64 s[14:15], s[14:15]
; %bb.733:
	s_mov_b32 s16, 0x7f800000
	v_mov_b32_e32 v5, 0x7c
	v_mov_b32_e32 v9, 0x7f
	v_cmp_lt_u32_e32 vcc, s16, v7
	v_cndmask_b32_e32 v5, v5, v9, vcc
; %bb.734:
	s_or_b64 exec, exec, s[14:15]
	v_lshrrev_b32_e32 v3, 24, v3
	s_movk_i32 s14, 0x80
	v_and_or_b32 v21, v3, s14, v5
.LBB234_735:
	s_or_b64 exec, exec, s[12:13]
                                        ; implicit-def: $vgpr9_vgpr10
.LBB234_736:
	s_andn2_saveexec_b64 s[10:11], s[10:11]
	s_cbranch_execz .LBB234_758
; %bb.737:
	v_cmp_lt_i16_e32 vcc, 0, v12
                                        ; implicit-def: $vgpr21
	s_and_saveexec_b64 s[12:13], vcc
	s_xor_b64 s[12:13], exec, s[12:13]
	s_cbranch_execz .LBB234_747
; %bb.738:
	flat_load_sbyte v3, v[9:10]
	s_mov_b32 s14, 0x47800000
                                        ; implicit-def: $vgpr5
	s_waitcnt vmcnt(0) lgkmcnt(0)
	v_cvt_f32_i32_e32 v3, v3
	v_and_b32_e32 v7, 0x7fffffff, v3
	v_cmp_gt_u32_e32 vcc, s14, v7
	s_and_saveexec_b64 s[14:15], vcc
	s_xor_b64 s[14:15], exec, s[14:15]
	s_cbranch_execz .LBB234_744
; %bb.739:
	s_mov_b32 s16, 0x387fffff
	v_cmp_lt_u32_e32 vcc, s16, v7
                                        ; implicit-def: $vgpr5
	s_and_saveexec_b64 s[16:17], vcc
	s_xor_b64 s[16:17], exec, s[16:17]
; %bb.740:
	v_bfe_u32 v5, v3, 21, 1
	s_mov_b32 s18, 0x80fffff
	v_add3_u32 v5, v3, v5, s18
	v_lshrrev_b32_e32 v5, 21, v5
; %bb.741:
	s_andn2_saveexec_b64 s[16:17], s[16:17]
; %bb.742:
	s_mov_b32 s18, 0x43000000
	v_add_f32_e64 v5, |v3|, s18
; %bb.743:
	s_or_b64 exec, exec, s[16:17]
                                        ; implicit-def: $vgpr7
.LBB234_744:
	s_andn2_saveexec_b64 s[14:15], s[14:15]
; %bb.745:
	s_mov_b32 s16, 0x7f800000
	v_mov_b32_e32 v5, 0x7c
	v_mov_b32_e32 v9, 0x7f
	v_cmp_lt_u32_e32 vcc, s16, v7
	v_cndmask_b32_e32 v5, v5, v9, vcc
; %bb.746:
	s_or_b64 exec, exec, s[14:15]
	v_lshrrev_b32_e32 v3, 24, v3
	s_movk_i32 s14, 0x80
	v_and_or_b32 v21, v3, s14, v5
                                        ; implicit-def: $vgpr9_vgpr10
.LBB234_747:
	s_andn2_saveexec_b64 s[12:13], s[12:13]
	s_cbranch_execz .LBB234_757
; %bb.748:
	flat_load_ubyte v3, v[9:10]
	s_mov_b32 s14, 0x47800000
                                        ; implicit-def: $vgpr21
	s_waitcnt vmcnt(0) lgkmcnt(0)
	v_cvt_f32_ubyte0_e32 v3, v3
	v_cmp_gt_u32_e32 vcc, s14, v3
	s_and_saveexec_b64 s[14:15], vcc
	s_xor_b64 s[14:15], exec, s[14:15]
	s_cbranch_execz .LBB234_754
; %bb.749:
	s_mov_b32 s16, 0x387fffff
	v_cmp_lt_u32_e32 vcc, s16, v3
                                        ; implicit-def: $vgpr21
	s_and_saveexec_b64 s[16:17], vcc
	s_xor_b64 s[16:17], exec, s[16:17]
; %bb.750:
	v_bfe_u32 v5, v3, 21, 1
	s_mov_b32 s18, 0x80fffff
	v_add3_u32 v3, v3, v5, s18
	v_lshrrev_b32_e32 v21, 21, v3
                                        ; implicit-def: $vgpr3
; %bb.751:
	s_andn2_saveexec_b64 s[16:17], s[16:17]
; %bb.752:
	v_add_f32_e32 v21, 0x43000000, v3
; %bb.753:
	s_or_b64 exec, exec, s[16:17]
                                        ; implicit-def: $vgpr3
.LBB234_754:
	s_andn2_saveexec_b64 s[14:15], s[14:15]
; %bb.755:
	s_mov_b32 s16, 0x7f800000
	v_mov_b32_e32 v5, 0x7c
	v_mov_b32_e32 v7, 0x7f
	v_cmp_lt_u32_e32 vcc, s16, v3
	v_cndmask_b32_e32 v21, v5, v7, vcc
; %bb.756:
	s_or_b64 exec, exec, s[14:15]
.LBB234_757:
	s_or_b64 exec, exec, s[12:13]
.LBB234_758:
	s_or_b64 exec, exec, s[10:11]
.LBB234_759:
	s_or_b64 exec, exec, s[8:9]
	s_or_b64 s[6:7], s[6:7], exec
.LBB234_760:
	s_or_b64 exec, exec, s[4:5]
	s_mov_b64 s[12:13], 0
	s_mov_b64 s[8:9], 0
	;; [unrolled: 1-line block ×3, first 2 shown]
                                        ; implicit-def: $sgpr10_sgpr11
                                        ; implicit-def: $vgpr9_vgpr10
                                        ; implicit-def: $vgpr3
	s_and_saveexec_b64 s[42:43], s[6:7]
	s_cbranch_execz .LBB234_2191
; %bb.761:
	buffer_load_dword v13, off, s[0:3], 0 offset:432
	buffer_load_dword v14, off, s[0:3], 0 offset:436
	buffer_load_ubyte v11, off, s[0:3], 0 offset:446
	s_movk_i32 s4, 0x1a5
	s_movk_i32 s27, 0x1a8
	s_add_i32 s26, s4, 24
	s_mov_b64 s[6:7], 0
	s_mov_b64 s[44:45], s[38:39]
                                        ; implicit-def: $vgpr23
	s_waitcnt vmcnt(0)
	v_add_co_u32_e32 v7, vcc, v13, v8
	v_addc_co_u32_e32 v8, vcc, 0, v14, vcc
	v_cmp_lt_i16_e32 vcc, 10, v11
	s_and_saveexec_b64 s[4:5], vcc
	s_xor_b64 s[4:5], exec, s[4:5]
	s_cbranch_execz .LBB234_856
; %bb.762:
	v_cmp_lt_i16_e32 vcc, 25, v11
	s_mov_b64 s[10:11], 0
                                        ; implicit-def: $vgpr23
	s_and_saveexec_b64 s[8:9], vcc
	s_xor_b64 s[8:9], exec, s[8:9]
	s_cbranch_execz .LBB234_2330
; %bb.763:
	v_cmp_lt_i16_e32 vcc, 28, v11
                                        ; implicit-def: $vgpr23
	s_and_saveexec_b64 s[10:11], vcc
	s_xor_b64 s[10:11], exec, s[10:11]
	s_cbranch_execz .LBB234_803
; %bb.764:
	v_cmp_lt_i16_e32 vcc, 43, v11
	s_mov_b64 s[16:17], 0
	s_mov_b64 s[18:19], 0
                                        ; implicit-def: $vgpr23
	s_and_saveexec_b64 s[12:13], vcc
	s_xor_b64 s[12:13], exec, s[12:13]
	s_cbranch_execz .LBB234_790
; %bb.765:
	v_cmp_lt_i16_e32 vcc, 45, v11
                                        ; implicit-def: $vgpr23
	s_and_saveexec_b64 s[18:19], vcc
	s_xor_b64 s[18:19], exec, s[18:19]
	s_cbranch_execz .LBB234_777
; %bb.766:
	v_cmp_eq_u16_e32 vcc, 46, v11
	s_mov_b64 s[20:21], -1
                                        ; implicit-def: $vgpr23
	s_and_saveexec_b64 s[14:15], vcc
	s_cbranch_execz .LBB234_776
; %bb.767:
	flat_load_dword v3, v[7:8]
	s_mov_b32 s16, 0x47800000
                                        ; implicit-def: $vgpr5
	s_waitcnt vmcnt(0) lgkmcnt(0)
	v_lshlrev_b32_e32 v3, 16, v3
	v_and_b32_e32 v9, 0x7fffffff, v3
	v_cmp_gt_u32_e32 vcc, s16, v9
	s_and_saveexec_b64 s[16:17], vcc
	s_xor_b64 s[16:17], exec, s[16:17]
	s_cbranch_execz .LBB234_773
; %bb.768:
	s_mov_b32 s20, 0x387fffff
	v_cmp_lt_u32_e32 vcc, s20, v9
                                        ; implicit-def: $vgpr5
	s_and_saveexec_b64 s[20:21], vcc
	s_xor_b64 s[20:21], exec, s[20:21]
; %bb.769:
	v_bfe_u32 v5, v3, 21, 1
	s_mov_b32 s22, 0x80fffff
	v_add3_u32 v5, v3, v5, s22
	v_lshrrev_b32_e32 v5, 21, v5
; %bb.770:
	s_andn2_saveexec_b64 s[20:21], s[20:21]
; %bb.771:
	s_mov_b32 s22, 0x43000000
	v_add_f32_e64 v5, |v3|, s22
; %bb.772:
	s_or_b64 exec, exec, s[20:21]
                                        ; implicit-def: $vgpr9
.LBB234_773:
	s_andn2_saveexec_b64 s[16:17], s[16:17]
; %bb.774:
	s_mov_b32 s20, 0x7f800000
	v_mov_b32_e32 v5, 0x7c
	v_mov_b32_e32 v10, 0x7f
	v_cmp_lt_u32_e32 vcc, s20, v9
	v_cndmask_b32_e32 v5, v5, v10, vcc
; %bb.775:
	s_or_b64 exec, exec, s[16:17]
	v_lshrrev_b32_e32 v3, 24, v3
	s_movk_i32 s20, 0x80
	s_mov_b64 s[16:17], exec
	v_and_or_b32 v23, v3, s20, v5
	s_xor_b64 s[20:21], exec, -1
.LBB234_776:
	s_or_b64 exec, exec, s[14:15]
	s_and_b64 s[16:17], s[16:17], exec
	s_and_b64 s[14:15], s[20:21], exec
.LBB234_777:
	s_andn2_saveexec_b64 s[18:19], s[18:19]
	s_cbranch_execz .LBB234_789
; %bb.778:
	v_cmp_eq_u16_e32 vcc, 44, v11
	s_mov_b64 s[22:23], -1
	s_mov_b64 s[24:25], s[16:17]
                                        ; implicit-def: $vgpr23
	s_and_saveexec_b64 s[20:21], vcc
	s_cbranch_execz .LBB234_788
; %bb.779:
	flat_load_ubyte v3, v[7:8]
	s_movk_i32 s22, 0xff
	v_mov_b32_e32 v5, 0x7f800001
	v_mov_b32_e32 v9, 0x400000
                                        ; implicit-def: $vgpr23
	s_waitcnt vmcnt(0) lgkmcnt(0)
	v_lshlrev_b32_e32 v10, 23, v3
	v_cmp_ne_u32_e32 vcc, s22, v3
	v_cndmask_b32_e32 v5, v5, v10, vcc
	v_cmp_ne_u32_e32 vcc, 0, v3
	v_cndmask_b32_e32 v3, v9, v5, vcc
	s_mov_b32 s22, 0x47800000
	v_cmp_gt_u32_e32 vcc, s22, v3
	s_and_saveexec_b64 s[22:23], vcc
	s_xor_b64 s[22:23], exec, s[22:23]
	s_cbranch_execz .LBB234_785
; %bb.780:
	s_mov_b32 s24, 0x387fffff
	v_cmp_lt_u32_e32 vcc, s24, v3
                                        ; implicit-def: $vgpr23
	s_and_saveexec_b64 s[24:25], vcc
	s_xor_b64 s[24:25], exec, s[24:25]
; %bb.781:
	v_bfe_u32 v5, v3, 21, 1
	s_mov_b32 s28, 0x80fffff
	v_add3_u32 v3, v3, v5, s28
	v_lshrrev_b32_e32 v23, 21, v3
                                        ; implicit-def: $vgpr3
; %bb.782:
	s_andn2_saveexec_b64 s[24:25], s[24:25]
; %bb.783:
	v_add_f32_e32 v23, 0x43000000, v3
; %bb.784:
	s_or_b64 exec, exec, s[24:25]
                                        ; implicit-def: $vgpr3
.LBB234_785:
	s_andn2_saveexec_b64 s[22:23], s[22:23]
; %bb.786:
	s_mov_b32 s24, 0x7f800000
	v_mov_b32_e32 v5, 0x7c
	v_mov_b32_e32 v9, 0x7f
	v_cmp_lt_u32_e32 vcc, s24, v3
	v_cndmask_b32_e32 v23, v5, v9, vcc
; %bb.787:
	s_or_b64 exec, exec, s[22:23]
	s_or_b64 s[24:25], s[16:17], exec
	s_xor_b64 s[22:23], exec, -1
.LBB234_788:
	s_or_b64 exec, exec, s[20:21]
	s_andn2_b64 s[16:17], s[16:17], exec
	s_and_b64 s[20:21], s[24:25], exec
	s_or_b64 s[16:17], s[16:17], s[20:21]
	s_andn2_b64 s[14:15], s[14:15], exec
	s_and_b64 s[20:21], s[22:23], exec
	s_or_b64 s[14:15], s[14:15], s[20:21]
.LBB234_789:
	s_or_b64 exec, exec, s[18:19]
	s_and_b64 s[18:19], s[16:17], exec
	s_and_b64 s[16:17], s[14:15], exec
.LBB234_790:
	s_andn2_saveexec_b64 s[12:13], s[12:13]
	s_cbranch_execz .LBB234_802
; %bb.791:
	v_cmp_eq_u16_e32 vcc, 29, v11
	s_mov_b64 s[20:21], -1
	s_mov_b64 s[22:23], s[18:19]
                                        ; implicit-def: $vgpr23
	s_and_saveexec_b64 s[14:15], vcc
	s_cbranch_execz .LBB234_801
; %bb.792:
	flat_load_dwordx2 v[9:10], v[7:8]
	s_mov_b32 s20, 0x47800000
                                        ; implicit-def: $vgpr23
	s_waitcnt vmcnt(0) lgkmcnt(0)
	v_ffbh_u32_e32 v3, v10
	v_min_u32_e32 v3, 32, v3
	v_lshlrev_b64 v[9:10], v3, v[9:10]
	v_sub_u32_e32 v3, 32, v3
	v_min_u32_e32 v5, 1, v9
	v_or_b32_e32 v5, v10, v5
	v_cvt_f32_u32_e32 v5, v5
	v_ldexp_f32 v3, v5, v3
	v_cmp_gt_u32_e32 vcc, s20, v3
	s_and_saveexec_b64 s[20:21], vcc
	s_xor_b64 s[20:21], exec, s[20:21]
	s_cbranch_execz .LBB234_798
; %bb.793:
	s_mov_b32 s22, 0x387fffff
	v_cmp_lt_u32_e32 vcc, s22, v3
                                        ; implicit-def: $vgpr23
	s_and_saveexec_b64 s[22:23], vcc
	s_xor_b64 s[22:23], exec, s[22:23]
; %bb.794:
	v_bfe_u32 v5, v3, 21, 1
	s_mov_b32 s24, 0x80fffff
	v_add3_u32 v3, v3, v5, s24
	v_lshrrev_b32_e32 v23, 21, v3
                                        ; implicit-def: $vgpr3
; %bb.795:
	s_andn2_saveexec_b64 s[22:23], s[22:23]
; %bb.796:
	v_add_f32_e32 v23, 0x43000000, v3
; %bb.797:
	s_or_b64 exec, exec, s[22:23]
                                        ; implicit-def: $vgpr3
.LBB234_798:
	s_andn2_saveexec_b64 s[20:21], s[20:21]
; %bb.799:
	s_mov_b32 s22, 0x7f800000
	v_mov_b32_e32 v5, 0x7c
	v_mov_b32_e32 v9, 0x7f
	v_cmp_lt_u32_e32 vcc, s22, v3
	v_cndmask_b32_e32 v23, v5, v9, vcc
; %bb.800:
	s_or_b64 exec, exec, s[20:21]
	s_or_b64 s[22:23], s[18:19], exec
	s_xor_b64 s[20:21], exec, -1
.LBB234_801:
	s_or_b64 exec, exec, s[14:15]
	s_andn2_b64 s[14:15], s[18:19], exec
	s_and_b64 s[18:19], s[22:23], exec
	s_or_b64 s[18:19], s[14:15], s[18:19]
	s_andn2_b64 s[14:15], s[16:17], exec
	s_and_b64 s[16:17], s[20:21], exec
	s_or_b64 s[16:17], s[14:15], s[16:17]
.LBB234_802:
	s_or_b64 exec, exec, s[12:13]
	s_and_b64 s[14:15], s[18:19], exec
	s_and_b64 s[12:13], s[16:17], exec
.LBB234_803:
	s_andn2_saveexec_b64 s[10:11], s[10:11]
	s_cbranch_execz .LBB234_843
; %bb.804:
	v_cmp_lt_i16_e32 vcc, 26, v11
                                        ; implicit-def: $vgpr23
	s_and_saveexec_b64 s[16:17], vcc
	s_xor_b64 s[16:17], exec, s[16:17]
	s_cbranch_execz .LBB234_826
; %bb.805:
	v_cmp_lt_i16_e32 vcc, 27, v11
                                        ; implicit-def: $vgpr23
	s_and_saveexec_b64 s[18:19], vcc
	s_xor_b64 s[18:19], exec, s[18:19]
	s_cbranch_execz .LBB234_815
; %bb.806:
	flat_load_dword v3, v[7:8]
	s_mov_b32 s20, 0x47800000
                                        ; implicit-def: $vgpr23
	s_waitcnt vmcnt(0) lgkmcnt(0)
	v_cvt_f32_u32_e32 v3, v3
	v_cmp_gt_u32_e32 vcc, s20, v3
	s_and_saveexec_b64 s[20:21], vcc
	s_xor_b64 s[20:21], exec, s[20:21]
	s_cbranch_execz .LBB234_812
; %bb.807:
	s_mov_b32 s22, 0x387fffff
	v_cmp_lt_u32_e32 vcc, s22, v3
                                        ; implicit-def: $vgpr23
	s_and_saveexec_b64 s[22:23], vcc
	s_xor_b64 s[22:23], exec, s[22:23]
; %bb.808:
	v_bfe_u32 v5, v3, 21, 1
	s_mov_b32 s24, 0x80fffff
	v_add3_u32 v3, v3, v5, s24
	v_lshrrev_b32_e32 v23, 21, v3
                                        ; implicit-def: $vgpr3
; %bb.809:
	s_andn2_saveexec_b64 s[22:23], s[22:23]
; %bb.810:
	v_add_f32_e32 v23, 0x43000000, v3
; %bb.811:
	s_or_b64 exec, exec, s[22:23]
                                        ; implicit-def: $vgpr3
.LBB234_812:
	s_andn2_saveexec_b64 s[20:21], s[20:21]
; %bb.813:
	s_mov_b32 s22, 0x7f800000
	v_mov_b32_e32 v5, 0x7c
	v_mov_b32_e32 v9, 0x7f
	v_cmp_lt_u32_e32 vcc, s22, v3
	v_cndmask_b32_e32 v23, v5, v9, vcc
; %bb.814:
	s_or_b64 exec, exec, s[20:21]
.LBB234_815:
	s_andn2_saveexec_b64 s[18:19], s[18:19]
	s_cbranch_execz .LBB234_825
; %bb.816:
	flat_load_ushort v3, v[7:8]
	s_mov_b32 s20, 0x47800000
                                        ; implicit-def: $vgpr23
	s_waitcnt vmcnt(0) lgkmcnt(0)
	v_cvt_f32_u32_e32 v3, v3
	v_cmp_gt_u32_e32 vcc, s20, v3
	s_and_saveexec_b64 s[20:21], vcc
	s_xor_b64 s[20:21], exec, s[20:21]
	s_cbranch_execz .LBB234_822
; %bb.817:
	s_mov_b32 s22, 0x387fffff
	v_cmp_lt_u32_e32 vcc, s22, v3
                                        ; implicit-def: $vgpr23
	s_and_saveexec_b64 s[22:23], vcc
	s_xor_b64 s[22:23], exec, s[22:23]
; %bb.818:
	v_bfe_u32 v5, v3, 21, 1
	s_mov_b32 s24, 0x80fffff
	v_add3_u32 v3, v3, v5, s24
	v_lshrrev_b32_e32 v23, 21, v3
                                        ; implicit-def: $vgpr3
; %bb.819:
	s_andn2_saveexec_b64 s[22:23], s[22:23]
; %bb.820:
	v_add_f32_e32 v23, 0x43000000, v3
; %bb.821:
	s_or_b64 exec, exec, s[22:23]
                                        ; implicit-def: $vgpr3
.LBB234_822:
	s_andn2_saveexec_b64 s[20:21], s[20:21]
; %bb.823:
	s_mov_b32 s22, 0x7f800000
	v_mov_b32_e32 v5, 0x7c
	v_mov_b32_e32 v9, 0x7f
	v_cmp_lt_u32_e32 vcc, s22, v3
	v_cndmask_b32_e32 v23, v5, v9, vcc
; %bb.824:
	s_or_b64 exec, exec, s[20:21]
.LBB234_825:
	s_or_b64 exec, exec, s[18:19]
.LBB234_826:
	s_andn2_saveexec_b64 s[16:17], s[16:17]
	s_cbranch_execz .LBB234_842
; %bb.827:
	flat_load_ubyte v5, v[7:8]
	s_movk_i32 s18, 0x7f
	s_waitcnt vmcnt(0) lgkmcnt(0)
	v_cmp_lt_i16_e32 vcc, s18, v5
	s_mov_b64 s[18:19], 0
	s_and_saveexec_b64 s[20:21], vcc
	s_xor_b64 s[20:21], exec, s[20:21]
	s_cbranch_execz .LBB234_2527
; %bb.828:
	s_movk_i32 s18, 0x80
	v_cmp_eq_u16_e32 vcc, s18, v5
	s_mov_b64 s[18:19], -1
	s_and_saveexec_b64 s[22:23], vcc
; %bb.829:
	s_xor_b64 s[18:19], exec, -1
; %bb.830:
	s_or_b64 exec, exec, s[22:23]
	s_and_b64 s[18:19], s[18:19], exec
	s_or_saveexec_b64 s[20:21], s[20:21]
	v_mov_b32_e32 v3, 0x7f800001
	s_xor_b64 exec, exec, s[20:21]
	s_cbranch_execnz .LBB234_2528
.LBB234_831:
	s_or_b64 exec, exec, s[20:21]
	s_and_saveexec_b64 s[20:21], s[18:19]
	s_cbranch_execz .LBB234_833
.LBB234_832:
	v_lshlrev_b32_e32 v3, 24, v5
	v_and_b32_e32 v5, 0xffff, v5
	v_and_b32_e32 v9, 7, v5
	v_ffbh_u32_e32 v23, v9
	v_min_u32_e32 v23, 32, v23
	v_subrev_u32_e32 v25, 28, v23
	v_bfe_u32 v10, v5, 3, 4
	v_lshlrev_b32_e32 v5, v25, v5
	v_sub_u32_e32 v23, 29, v23
	v_and_b32_e32 v5, 7, v5
	v_cmp_eq_u32_e32 vcc, 0, v10
	v_cndmask_b32_e32 v10, v10, v23, vcc
	v_cndmask_b32_e32 v5, v9, v5, vcc
	v_mov_b32_e32 v9, 0x3b800000
	v_lshlrev_b32_e32 v5, 20, v5
	v_and_b32_e32 v3, 0x80000000, v3
	v_lshl_add_u32 v9, v10, 23, v9
	v_or3_b32 v3, v3, v9, v5
.LBB234_833:
	s_or_b64 exec, exec, s[20:21]
	v_and_b32_e32 v9, 0x7fffffff, v3
	s_mov_b32 s18, 0x47800000
	v_cmp_gt_u32_e32 vcc, s18, v9
                                        ; implicit-def: $vgpr5
	s_and_saveexec_b64 s[18:19], vcc
	s_xor_b64 s[18:19], exec, s[18:19]
	s_cbranch_execz .LBB234_839
; %bb.834:
	s_mov_b32 s20, 0x387fffff
	v_cmp_lt_u32_e32 vcc, s20, v9
                                        ; implicit-def: $vgpr5
	s_and_saveexec_b64 s[20:21], vcc
	s_xor_b64 s[20:21], exec, s[20:21]
; %bb.835:
	v_bfe_u32 v5, v3, 21, 1
	s_mov_b32 s22, 0x80fffff
	v_add3_u32 v5, v3, v5, s22
	v_lshrrev_b32_e32 v5, 21, v5
; %bb.836:
	s_andn2_saveexec_b64 s[20:21], s[20:21]
; %bb.837:
	s_mov_b32 s22, 0x43000000
	v_add_f32_e64 v5, |v3|, s22
; %bb.838:
	s_or_b64 exec, exec, s[20:21]
                                        ; implicit-def: $vgpr9
.LBB234_839:
	s_andn2_saveexec_b64 s[18:19], s[18:19]
; %bb.840:
	s_mov_b32 s20, 0x7f800000
	v_mov_b32_e32 v5, 0x7c
	v_mov_b32_e32 v10, 0x7f
	v_cmp_lt_u32_e32 vcc, s20, v9
	v_cndmask_b32_e32 v5, v5, v10, vcc
; %bb.841:
	s_or_b64 exec, exec, s[18:19]
	v_lshrrev_b32_e32 v3, 24, v3
	s_movk_i32 s18, 0x80
	v_and_or_b32 v23, v3, s18, v5
.LBB234_842:
	s_or_b64 exec, exec, s[16:17]
	s_or_b64 s[14:15], s[14:15], exec
.LBB234_843:
	s_or_b64 exec, exec, s[10:11]
	s_and_b64 s[10:11], s[14:15], exec
	s_and_b64 s[12:13], s[12:13], exec
	s_andn2_saveexec_b64 s[8:9], s[8:9]
	s_cbranch_execnz .LBB234_2331
.LBB234_844:
	s_or_b64 exec, exec, s[8:9]
	s_mov_b64 s[8:9], s[38:39]
	s_and_saveexec_b64 s[14:15], s[12:13]
	s_cbranch_execnz .LBB234_2380
.LBB234_845:
	s_or_b64 exec, exec, s[14:15]
	s_and_saveexec_b64 s[12:13], s[6:7]
	s_cbranch_execz .LBB234_855
.LBB234_846:
	flat_load_ubyte v3, v[7:8]
	s_mov_b32 s6, 0x47800000
                                        ; implicit-def: $vgpr23
	s_waitcnt vmcnt(0) lgkmcnt(0)
	v_cmp_ne_u16_e32 vcc, 0, v3
	v_cndmask_b32_e64 v3, 0, 1.0, vcc
	v_cmp_gt_u32_e32 vcc, s6, v3
	s_and_saveexec_b64 s[6:7], vcc
	s_xor_b64 s[6:7], exec, s[6:7]
	s_cbranch_execz .LBB234_852
; %bb.847:
	s_mov_b32 s14, 0x387fffff
	v_cmp_lt_u32_e32 vcc, s14, v3
                                        ; implicit-def: $vgpr23
	s_and_saveexec_b64 s[14:15], vcc
	s_xor_b64 s[14:15], exec, s[14:15]
; %bb.848:
	v_bfe_u32 v5, v3, 21, 1
	s_mov_b32 s16, 0x80fffff
	v_add3_u32 v3, v3, v5, s16
	v_lshrrev_b32_e32 v23, 21, v3
                                        ; implicit-def: $vgpr3
; %bb.849:
	s_andn2_saveexec_b64 s[14:15], s[14:15]
; %bb.850:
	v_add_f32_e32 v23, 0x43000000, v3
; %bb.851:
	s_or_b64 exec, exec, s[14:15]
                                        ; implicit-def: $vgpr3
.LBB234_852:
	s_andn2_saveexec_b64 s[6:7], s[6:7]
; %bb.853:
	s_mov_b32 s14, 0x7f800000
	v_mov_b32_e32 v5, 0x7c
	v_mov_b32_e32 v7, 0x7f
	v_cmp_lt_u32_e32 vcc, s14, v3
	v_cndmask_b32_e32 v23, v5, v7, vcc
; %bb.854:
	s_or_b64 exec, exec, s[6:7]
	s_or_b64 s[10:11], s[10:11], exec
.LBB234_855:
	s_or_b64 exec, exec, s[12:13]
	s_andn2_b64 s[6:7], s[38:39], exec
	s_and_b64 s[8:9], s[8:9], exec
	s_or_b64 s[44:45], s[6:7], s[8:9]
	s_and_b64 s[6:7], s[10:11], exec
                                        ; implicit-def: $vgpr7_vgpr8
.LBB234_856:
	s_andn2_saveexec_b64 s[4:5], s[4:5]
	s_cbranch_execz .LBB234_986
; %bb.857:
	v_cmp_lt_i16_e32 vcc, 4, v11
                                        ; implicit-def: $vgpr23
	s_and_saveexec_b64 s[8:9], vcc
	s_xor_b64 s[8:9], exec, s[8:9]
	s_cbranch_execz .LBB234_927
; %bb.858:
	v_cmp_lt_i16_e32 vcc, 7, v11
                                        ; implicit-def: $vgpr23
	s_and_saveexec_b64 s[10:11], vcc
	s_xor_b64 s[10:11], exec, s[10:11]
	;; [unrolled: 6-line block ×4, first 2 shown]
	s_cbranch_execz .LBB234_870
; %bb.861:
	flat_load_dwordx2 v[7:8], v[7:8]
	s_mov_b32 s16, 0x47800000
                                        ; implicit-def: $vgpr5
	s_waitcnt vmcnt(0) lgkmcnt(0)
	v_cvt_f32_f64_e32 v3, v[7:8]
	v_and_b32_e32 v7, 0x7fffffff, v3
	v_cmp_gt_u32_e32 vcc, s16, v7
	s_and_saveexec_b64 s[16:17], vcc
	s_xor_b64 s[16:17], exec, s[16:17]
	s_cbranch_execz .LBB234_867
; %bb.862:
	s_mov_b32 s18, 0x387fffff
	v_cmp_lt_u32_e32 vcc, s18, v7
                                        ; implicit-def: $vgpr5
	s_and_saveexec_b64 s[18:19], vcc
	s_xor_b64 s[18:19], exec, s[18:19]
; %bb.863:
	v_bfe_u32 v5, v3, 21, 1
	s_mov_b32 s20, 0x80fffff
	v_add3_u32 v5, v3, v5, s20
	v_lshrrev_b32_e32 v5, 21, v5
; %bb.864:
	s_andn2_saveexec_b64 s[18:19], s[18:19]
; %bb.865:
	s_mov_b32 s20, 0x43000000
	v_add_f32_e64 v5, |v3|, s20
; %bb.866:
	s_or_b64 exec, exec, s[18:19]
                                        ; implicit-def: $vgpr7
.LBB234_867:
	s_andn2_saveexec_b64 s[16:17], s[16:17]
; %bb.868:
	s_mov_b32 s18, 0x7f800000
	v_mov_b32_e32 v5, 0x7c
	v_mov_b32_e32 v8, 0x7f
	v_cmp_lt_u32_e32 vcc, s18, v7
	v_cndmask_b32_e32 v5, v5, v8, vcc
; %bb.869:
	s_or_b64 exec, exec, s[16:17]
	v_lshrrev_b32_e32 v3, 24, v3
	s_movk_i32 s16, 0x80
	v_and_or_b32 v23, v3, s16, v5
                                        ; implicit-def: $vgpr7_vgpr8
.LBB234_870:
	s_andn2_saveexec_b64 s[14:15], s[14:15]
	s_cbranch_execz .LBB234_880
; %bb.871:
	flat_load_dword v3, v[7:8]
	s_mov_b32 s16, 0x47800000
                                        ; implicit-def: $vgpr5
	s_waitcnt vmcnt(0) lgkmcnt(0)
	v_and_b32_e32 v7, 0x7fffffff, v3
	v_cmp_gt_u32_e32 vcc, s16, v7
	s_and_saveexec_b64 s[16:17], vcc
	s_xor_b64 s[16:17], exec, s[16:17]
	s_cbranch_execz .LBB234_877
; %bb.872:
	s_mov_b32 s18, 0x387fffff
	v_cmp_lt_u32_e32 vcc, s18, v7
                                        ; implicit-def: $vgpr5
	s_and_saveexec_b64 s[18:19], vcc
	s_xor_b64 s[18:19], exec, s[18:19]
; %bb.873:
	v_bfe_u32 v5, v3, 21, 1
	s_mov_b32 s20, 0x80fffff
	v_add3_u32 v5, v3, v5, s20
	v_lshrrev_b32_e32 v5, 21, v5
; %bb.874:
	s_andn2_saveexec_b64 s[18:19], s[18:19]
; %bb.875:
	s_mov_b32 s20, 0x43000000
	v_add_f32_e64 v5, |v3|, s20
; %bb.876:
	s_or_b64 exec, exec, s[18:19]
                                        ; implicit-def: $vgpr7
.LBB234_877:
	s_andn2_saveexec_b64 s[16:17], s[16:17]
; %bb.878:
	s_mov_b32 s18, 0x7f800000
	v_mov_b32_e32 v5, 0x7c
	v_mov_b32_e32 v8, 0x7f
	v_cmp_lt_u32_e32 vcc, s18, v7
	v_cndmask_b32_e32 v5, v5, v8, vcc
; %bb.879:
	s_or_b64 exec, exec, s[16:17]
	v_lshrrev_b32_e32 v3, 24, v3
	s_movk_i32 s16, 0x80
	v_and_or_b32 v23, v3, s16, v5
.LBB234_880:
	s_or_b64 exec, exec, s[14:15]
                                        ; implicit-def: $vgpr7_vgpr8
.LBB234_881:
	s_andn2_saveexec_b64 s[12:13], s[12:13]
	s_cbranch_execz .LBB234_891
; %bb.882:
	flat_load_dword v3, v[7:8]
	s_mov_b32 s14, 0x47800000
                                        ; implicit-def: $vgpr5
	s_waitcnt vmcnt(0) lgkmcnt(0)
	v_cvt_f32_f16_e32 v3, v3
	v_and_b32_e32 v7, 0x7fffffff, v3
	v_cmp_gt_u32_e32 vcc, s14, v7
	s_and_saveexec_b64 s[14:15], vcc
	s_xor_b64 s[14:15], exec, s[14:15]
	s_cbranch_execz .LBB234_888
; %bb.883:
	s_mov_b32 s16, 0x387fffff
	v_cmp_lt_u32_e32 vcc, s16, v7
                                        ; implicit-def: $vgpr5
	s_and_saveexec_b64 s[16:17], vcc
	s_xor_b64 s[16:17], exec, s[16:17]
; %bb.884:
	v_bfe_u32 v5, v3, 21, 1
	s_mov_b32 s18, 0x80fffff
	v_add3_u32 v5, v3, v5, s18
	v_lshrrev_b32_e32 v5, 21, v5
; %bb.885:
	s_andn2_saveexec_b64 s[16:17], s[16:17]
; %bb.886:
	s_mov_b32 s18, 0x43000000
	v_add_f32_e64 v5, |v3|, s18
; %bb.887:
	s_or_b64 exec, exec, s[16:17]
                                        ; implicit-def: $vgpr7
.LBB234_888:
	s_andn2_saveexec_b64 s[14:15], s[14:15]
; %bb.889:
	s_mov_b32 s16, 0x7f800000
	v_mov_b32_e32 v5, 0x7c
	v_mov_b32_e32 v8, 0x7f
	v_cmp_lt_u32_e32 vcc, s16, v7
	v_cndmask_b32_e32 v5, v5, v8, vcc
; %bb.890:
	s_or_b64 exec, exec, s[14:15]
	v_lshrrev_b32_e32 v3, 24, v3
	s_movk_i32 s14, 0x80
	v_and_or_b32 v23, v3, s14, v5
.LBB234_891:
	s_or_b64 exec, exec, s[12:13]
                                        ; implicit-def: $vgpr7_vgpr8
.LBB234_892:
	s_andn2_saveexec_b64 s[10:11], s[10:11]
	s_cbranch_execz .LBB234_926
; %bb.893:
	v_cmp_lt_i16_e32 vcc, 5, v11
                                        ; implicit-def: $vgpr23
	s_and_saveexec_b64 s[12:13], vcc
	s_xor_b64 s[12:13], exec, s[12:13]
	s_cbranch_execz .LBB234_915
; %bb.894:
	v_cmp_lt_i16_e32 vcc, 6, v11
                                        ; implicit-def: $vgpr23
	s_and_saveexec_b64 s[14:15], vcc
	s_xor_b64 s[14:15], exec, s[14:15]
	s_cbranch_execz .LBB234_904
; %bb.895:
	flat_load_dwordx2 v[7:8], v[7:8]
	s_mov_b32 s16, 0x47800000
                                        ; implicit-def: $vgpr5
	s_waitcnt vmcnt(0) lgkmcnt(0)
	v_cvt_f32_f64_e32 v3, v[7:8]
	v_and_b32_e32 v7, 0x7fffffff, v3
	v_cmp_gt_u32_e32 vcc, s16, v7
	s_and_saveexec_b64 s[16:17], vcc
	s_xor_b64 s[16:17], exec, s[16:17]
	s_cbranch_execz .LBB234_901
; %bb.896:
	s_mov_b32 s18, 0x387fffff
	v_cmp_lt_u32_e32 vcc, s18, v7
                                        ; implicit-def: $vgpr5
	s_and_saveexec_b64 s[18:19], vcc
	s_xor_b64 s[18:19], exec, s[18:19]
; %bb.897:
	v_bfe_u32 v5, v3, 21, 1
	s_mov_b32 s20, 0x80fffff
	v_add3_u32 v5, v3, v5, s20
	v_lshrrev_b32_e32 v5, 21, v5
; %bb.898:
	s_andn2_saveexec_b64 s[18:19], s[18:19]
; %bb.899:
	s_mov_b32 s20, 0x43000000
	v_add_f32_e64 v5, |v3|, s20
; %bb.900:
	s_or_b64 exec, exec, s[18:19]
                                        ; implicit-def: $vgpr7
.LBB234_901:
	s_andn2_saveexec_b64 s[16:17], s[16:17]
; %bb.902:
	s_mov_b32 s18, 0x7f800000
	v_mov_b32_e32 v5, 0x7c
	v_mov_b32_e32 v8, 0x7f
	v_cmp_lt_u32_e32 vcc, s18, v7
	v_cndmask_b32_e32 v5, v5, v8, vcc
; %bb.903:
	s_or_b64 exec, exec, s[16:17]
	v_lshrrev_b32_e32 v3, 24, v3
	s_movk_i32 s16, 0x80
	v_and_or_b32 v23, v3, s16, v5
                                        ; implicit-def: $vgpr7_vgpr8
.LBB234_904:
	s_andn2_saveexec_b64 s[14:15], s[14:15]
	s_cbranch_execz .LBB234_914
; %bb.905:
	flat_load_dword v3, v[7:8]
	s_mov_b32 s16, 0x47800000
                                        ; implicit-def: $vgpr5
	s_waitcnt vmcnt(0) lgkmcnt(0)
	v_and_b32_e32 v7, 0x7fffffff, v3
	v_cmp_gt_u32_e32 vcc, s16, v7
	s_and_saveexec_b64 s[16:17], vcc
	s_xor_b64 s[16:17], exec, s[16:17]
	s_cbranch_execz .LBB234_911
; %bb.906:
	s_mov_b32 s18, 0x387fffff
	v_cmp_lt_u32_e32 vcc, s18, v7
                                        ; implicit-def: $vgpr5
	s_and_saveexec_b64 s[18:19], vcc
	s_xor_b64 s[18:19], exec, s[18:19]
; %bb.907:
	v_bfe_u32 v5, v3, 21, 1
	s_mov_b32 s20, 0x80fffff
	v_add3_u32 v5, v3, v5, s20
	v_lshrrev_b32_e32 v5, 21, v5
; %bb.908:
	s_andn2_saveexec_b64 s[18:19], s[18:19]
; %bb.909:
	s_mov_b32 s20, 0x43000000
	v_add_f32_e64 v5, |v3|, s20
; %bb.910:
	s_or_b64 exec, exec, s[18:19]
                                        ; implicit-def: $vgpr7
.LBB234_911:
	s_andn2_saveexec_b64 s[16:17], s[16:17]
; %bb.912:
	s_mov_b32 s18, 0x7f800000
	v_mov_b32_e32 v5, 0x7c
	v_mov_b32_e32 v8, 0x7f
	v_cmp_lt_u32_e32 vcc, s18, v7
	v_cndmask_b32_e32 v5, v5, v8, vcc
; %bb.913:
	s_or_b64 exec, exec, s[16:17]
	v_lshrrev_b32_e32 v3, 24, v3
	s_movk_i32 s16, 0x80
	v_and_or_b32 v23, v3, s16, v5
.LBB234_914:
	s_or_b64 exec, exec, s[14:15]
                                        ; implicit-def: $vgpr7_vgpr8
.LBB234_915:
	s_andn2_saveexec_b64 s[12:13], s[12:13]
	s_cbranch_execz .LBB234_925
; %bb.916:
	flat_load_ushort v3, v[7:8]
	s_mov_b32 s14, 0x47800000
                                        ; implicit-def: $vgpr5
	s_waitcnt vmcnt(0) lgkmcnt(0)
	v_cvt_f32_f16_e32 v3, v3
	v_and_b32_e32 v7, 0x7fffffff, v3
	v_cmp_gt_u32_e32 vcc, s14, v7
	s_and_saveexec_b64 s[14:15], vcc
	s_xor_b64 s[14:15], exec, s[14:15]
	s_cbranch_execz .LBB234_922
; %bb.917:
	s_mov_b32 s16, 0x387fffff
	v_cmp_lt_u32_e32 vcc, s16, v7
                                        ; implicit-def: $vgpr5
	s_and_saveexec_b64 s[16:17], vcc
	s_xor_b64 s[16:17], exec, s[16:17]
; %bb.918:
	v_bfe_u32 v5, v3, 21, 1
	s_mov_b32 s18, 0x80fffff
	v_add3_u32 v5, v3, v5, s18
	v_lshrrev_b32_e32 v5, 21, v5
; %bb.919:
	s_andn2_saveexec_b64 s[16:17], s[16:17]
; %bb.920:
	s_mov_b32 s18, 0x43000000
	v_add_f32_e64 v5, |v3|, s18
; %bb.921:
	s_or_b64 exec, exec, s[16:17]
                                        ; implicit-def: $vgpr7
.LBB234_922:
	s_andn2_saveexec_b64 s[14:15], s[14:15]
; %bb.923:
	s_mov_b32 s16, 0x7f800000
	v_mov_b32_e32 v5, 0x7c
	v_mov_b32_e32 v8, 0x7f
	v_cmp_lt_u32_e32 vcc, s16, v7
	v_cndmask_b32_e32 v5, v5, v8, vcc
; %bb.924:
	s_or_b64 exec, exec, s[14:15]
	v_lshrrev_b32_e32 v3, 24, v3
	s_movk_i32 s14, 0x80
	v_and_or_b32 v23, v3, s14, v5
.LBB234_925:
	s_or_b64 exec, exec, s[12:13]
.LBB234_926:
	s_or_b64 exec, exec, s[10:11]
                                        ; implicit-def: $vgpr7_vgpr8
.LBB234_927:
	s_andn2_saveexec_b64 s[8:9], s[8:9]
	s_cbranch_execz .LBB234_985
; %bb.928:
	v_cmp_lt_i16_e32 vcc, 1, v11
                                        ; implicit-def: $vgpr23
	s_and_saveexec_b64 s[10:11], vcc
	s_xor_b64 s[10:11], exec, s[10:11]
	s_cbranch_execz .LBB234_962
; %bb.929:
	v_cmp_lt_i16_e32 vcc, 2, v11
                                        ; implicit-def: $vgpr23
	s_and_saveexec_b64 s[12:13], vcc
	s_xor_b64 s[12:13], exec, s[12:13]
	;; [unrolled: 6-line block ×3, first 2 shown]
	s_cbranch_execz .LBB234_940
; %bb.931:
	flat_load_dwordx2 v[7:8], v[7:8]
	s_mov_b32 s16, 0x47800000
	s_waitcnt vmcnt(0) lgkmcnt(0)
	v_xor_b32_e32 v5, v7, v8
	v_ffbh_i32_e32 v3, v8
	v_ashrrev_i32_e32 v5, 31, v5
	v_add_u32_e32 v3, -1, v3
	v_add_u32_e32 v5, 32, v5
	v_min_u32_e32 v3, v3, v5
	v_lshlrev_b64 v[7:8], v3, v[7:8]
	v_sub_u32_e32 v3, 32, v3
	v_min_u32_e32 v5, 1, v7
	v_or_b32_e32 v5, v8, v5
	v_cvt_f32_i32_e32 v5, v5
	v_ldexp_f32 v3, v5, v3
	v_and_b32_e32 v7, 0x7fffffff, v3
	v_cmp_gt_u32_e32 vcc, s16, v7
                                        ; implicit-def: $vgpr5
	s_and_saveexec_b64 s[16:17], vcc
	s_xor_b64 s[16:17], exec, s[16:17]
	s_cbranch_execz .LBB234_937
; %bb.932:
	s_mov_b32 s18, 0x387fffff
	v_cmp_lt_u32_e32 vcc, s18, v7
                                        ; implicit-def: $vgpr5
	s_and_saveexec_b64 s[18:19], vcc
	s_xor_b64 s[18:19], exec, s[18:19]
; %bb.933:
	v_bfe_u32 v5, v3, 21, 1
	s_mov_b32 s20, 0x80fffff
	v_add3_u32 v5, v3, v5, s20
	v_lshrrev_b32_e32 v5, 21, v5
; %bb.934:
	s_andn2_saveexec_b64 s[18:19], s[18:19]
; %bb.935:
	s_mov_b32 s20, 0x43000000
	v_add_f32_e64 v5, |v3|, s20
; %bb.936:
	s_or_b64 exec, exec, s[18:19]
                                        ; implicit-def: $vgpr7
.LBB234_937:
	s_andn2_saveexec_b64 s[16:17], s[16:17]
; %bb.938:
	s_mov_b32 s18, 0x7f800000
	v_mov_b32_e32 v5, 0x7c
	v_mov_b32_e32 v8, 0x7f
	v_cmp_lt_u32_e32 vcc, s18, v7
	v_cndmask_b32_e32 v5, v5, v8, vcc
; %bb.939:
	s_or_b64 exec, exec, s[16:17]
	v_lshrrev_b32_e32 v3, 24, v3
	s_movk_i32 s16, 0x80
	v_and_or_b32 v23, v3, s16, v5
                                        ; implicit-def: $vgpr7_vgpr8
.LBB234_940:
	s_andn2_saveexec_b64 s[14:15], s[14:15]
	s_cbranch_execz .LBB234_950
; %bb.941:
	flat_load_dword v3, v[7:8]
	s_mov_b32 s16, 0x47800000
                                        ; implicit-def: $vgpr5
	s_waitcnt vmcnt(0) lgkmcnt(0)
	v_cvt_f32_i32_e32 v3, v3
	v_and_b32_e32 v7, 0x7fffffff, v3
	v_cmp_gt_u32_e32 vcc, s16, v7
	s_and_saveexec_b64 s[16:17], vcc
	s_xor_b64 s[16:17], exec, s[16:17]
	s_cbranch_execz .LBB234_947
; %bb.942:
	s_mov_b32 s18, 0x387fffff
	v_cmp_lt_u32_e32 vcc, s18, v7
                                        ; implicit-def: $vgpr5
	s_and_saveexec_b64 s[18:19], vcc
	s_xor_b64 s[18:19], exec, s[18:19]
; %bb.943:
	v_bfe_u32 v5, v3, 21, 1
	s_mov_b32 s20, 0x80fffff
	v_add3_u32 v5, v3, v5, s20
	v_lshrrev_b32_e32 v5, 21, v5
; %bb.944:
	s_andn2_saveexec_b64 s[18:19], s[18:19]
; %bb.945:
	s_mov_b32 s20, 0x43000000
	v_add_f32_e64 v5, |v3|, s20
; %bb.946:
	s_or_b64 exec, exec, s[18:19]
                                        ; implicit-def: $vgpr7
.LBB234_947:
	s_andn2_saveexec_b64 s[16:17], s[16:17]
; %bb.948:
	s_mov_b32 s18, 0x7f800000
	v_mov_b32_e32 v5, 0x7c
	v_mov_b32_e32 v8, 0x7f
	v_cmp_lt_u32_e32 vcc, s18, v7
	v_cndmask_b32_e32 v5, v5, v8, vcc
; %bb.949:
	s_or_b64 exec, exec, s[16:17]
	v_lshrrev_b32_e32 v3, 24, v3
	s_movk_i32 s16, 0x80
	v_and_or_b32 v23, v3, s16, v5
.LBB234_950:
	s_or_b64 exec, exec, s[14:15]
                                        ; implicit-def: $vgpr7_vgpr8
.LBB234_951:
	s_andn2_saveexec_b64 s[12:13], s[12:13]
	s_cbranch_execz .LBB234_961
; %bb.952:
	flat_load_sshort v3, v[7:8]
	s_mov_b32 s14, 0x47800000
                                        ; implicit-def: $vgpr5
	s_waitcnt vmcnt(0) lgkmcnt(0)
	v_cvt_f32_i32_e32 v3, v3
	v_and_b32_e32 v7, 0x7fffffff, v3
	v_cmp_gt_u32_e32 vcc, s14, v7
	s_and_saveexec_b64 s[14:15], vcc
	s_xor_b64 s[14:15], exec, s[14:15]
	s_cbranch_execz .LBB234_958
; %bb.953:
	s_mov_b32 s16, 0x387fffff
	v_cmp_lt_u32_e32 vcc, s16, v7
                                        ; implicit-def: $vgpr5
	s_and_saveexec_b64 s[16:17], vcc
	s_xor_b64 s[16:17], exec, s[16:17]
; %bb.954:
	v_bfe_u32 v5, v3, 21, 1
	s_mov_b32 s18, 0x80fffff
	v_add3_u32 v5, v3, v5, s18
	v_lshrrev_b32_e32 v5, 21, v5
; %bb.955:
	s_andn2_saveexec_b64 s[16:17], s[16:17]
; %bb.956:
	s_mov_b32 s18, 0x43000000
	v_add_f32_e64 v5, |v3|, s18
; %bb.957:
	s_or_b64 exec, exec, s[16:17]
                                        ; implicit-def: $vgpr7
.LBB234_958:
	s_andn2_saveexec_b64 s[14:15], s[14:15]
; %bb.959:
	s_mov_b32 s16, 0x7f800000
	v_mov_b32_e32 v5, 0x7c
	v_mov_b32_e32 v8, 0x7f
	v_cmp_lt_u32_e32 vcc, s16, v7
	v_cndmask_b32_e32 v5, v5, v8, vcc
; %bb.960:
	s_or_b64 exec, exec, s[14:15]
	v_lshrrev_b32_e32 v3, 24, v3
	s_movk_i32 s14, 0x80
	v_and_or_b32 v23, v3, s14, v5
.LBB234_961:
	s_or_b64 exec, exec, s[12:13]
                                        ; implicit-def: $vgpr7_vgpr8
.LBB234_962:
	s_andn2_saveexec_b64 s[10:11], s[10:11]
	s_cbranch_execz .LBB234_984
; %bb.963:
	v_cmp_lt_i16_e32 vcc, 0, v11
                                        ; implicit-def: $vgpr23
	s_and_saveexec_b64 s[12:13], vcc
	s_xor_b64 s[12:13], exec, s[12:13]
	s_cbranch_execz .LBB234_973
; %bb.964:
	flat_load_sbyte v3, v[7:8]
	s_mov_b32 s14, 0x47800000
                                        ; implicit-def: $vgpr5
	s_waitcnt vmcnt(0) lgkmcnt(0)
	v_cvt_f32_i32_e32 v3, v3
	v_and_b32_e32 v7, 0x7fffffff, v3
	v_cmp_gt_u32_e32 vcc, s14, v7
	s_and_saveexec_b64 s[14:15], vcc
	s_xor_b64 s[14:15], exec, s[14:15]
	s_cbranch_execz .LBB234_970
; %bb.965:
	s_mov_b32 s16, 0x387fffff
	v_cmp_lt_u32_e32 vcc, s16, v7
                                        ; implicit-def: $vgpr5
	s_and_saveexec_b64 s[16:17], vcc
	s_xor_b64 s[16:17], exec, s[16:17]
; %bb.966:
	v_bfe_u32 v5, v3, 21, 1
	s_mov_b32 s18, 0x80fffff
	v_add3_u32 v5, v3, v5, s18
	v_lshrrev_b32_e32 v5, 21, v5
; %bb.967:
	s_andn2_saveexec_b64 s[16:17], s[16:17]
; %bb.968:
	s_mov_b32 s18, 0x43000000
	v_add_f32_e64 v5, |v3|, s18
; %bb.969:
	s_or_b64 exec, exec, s[16:17]
                                        ; implicit-def: $vgpr7
.LBB234_970:
	s_andn2_saveexec_b64 s[14:15], s[14:15]
; %bb.971:
	s_mov_b32 s16, 0x7f800000
	v_mov_b32_e32 v5, 0x7c
	v_mov_b32_e32 v8, 0x7f
	v_cmp_lt_u32_e32 vcc, s16, v7
	v_cndmask_b32_e32 v5, v5, v8, vcc
; %bb.972:
	s_or_b64 exec, exec, s[14:15]
	v_lshrrev_b32_e32 v3, 24, v3
	s_movk_i32 s14, 0x80
	v_and_or_b32 v23, v3, s14, v5
                                        ; implicit-def: $vgpr7_vgpr8
.LBB234_973:
	s_andn2_saveexec_b64 s[12:13], s[12:13]
	s_cbranch_execz .LBB234_983
; %bb.974:
	flat_load_ubyte v3, v[7:8]
	s_mov_b32 s14, 0x47800000
                                        ; implicit-def: $vgpr23
	s_waitcnt vmcnt(0) lgkmcnt(0)
	v_cvt_f32_ubyte0_e32 v3, v3
	v_cmp_gt_u32_e32 vcc, s14, v3
	s_and_saveexec_b64 s[14:15], vcc
	s_xor_b64 s[14:15], exec, s[14:15]
	s_cbranch_execz .LBB234_980
; %bb.975:
	s_mov_b32 s16, 0x387fffff
	v_cmp_lt_u32_e32 vcc, s16, v3
                                        ; implicit-def: $vgpr23
	s_and_saveexec_b64 s[16:17], vcc
	s_xor_b64 s[16:17], exec, s[16:17]
; %bb.976:
	v_bfe_u32 v5, v3, 21, 1
	s_mov_b32 s18, 0x80fffff
	v_add3_u32 v3, v3, v5, s18
	v_lshrrev_b32_e32 v23, 21, v3
                                        ; implicit-def: $vgpr3
; %bb.977:
	s_andn2_saveexec_b64 s[16:17], s[16:17]
; %bb.978:
	v_add_f32_e32 v23, 0x43000000, v3
; %bb.979:
	s_or_b64 exec, exec, s[16:17]
                                        ; implicit-def: $vgpr3
.LBB234_980:
	s_andn2_saveexec_b64 s[14:15], s[14:15]
; %bb.981:
	s_mov_b32 s16, 0x7f800000
	v_mov_b32_e32 v5, 0x7c
	v_mov_b32_e32 v7, 0x7f
	v_cmp_lt_u32_e32 vcc, s16, v3
	v_cndmask_b32_e32 v23, v5, v7, vcc
; %bb.982:
	s_or_b64 exec, exec, s[14:15]
.LBB234_983:
	s_or_b64 exec, exec, s[12:13]
.LBB234_984:
	s_or_b64 exec, exec, s[10:11]
.LBB234_985:
	s_or_b64 exec, exec, s[8:9]
	s_or_b64 s[6:7], s[6:7], exec
.LBB234_986:
	s_or_b64 exec, exec, s[4:5]
	s_mov_b64 s[4:5], 0
	s_mov_b64 s[8:9], 0
	;; [unrolled: 1-line block ×3, first 2 shown]
                                        ; implicit-def: $sgpr10_sgpr11
                                        ; implicit-def: $vgpr9_vgpr10
                                        ; implicit-def: $vgpr3
	s_and_saveexec_b64 s[46:47], s[6:7]
	s_cbranch_execz .LBB234_2190
; %bb.987:
	v_add_co_u32_e32 v5, vcc, v1, v6
	v_addc_co_u32_e32 v6, vcc, 0, v24, vcc
	v_cmp_lt_i16_e32 vcc, 10, v12
	s_mov_b64 s[6:7], 0
	s_mov_b64 s[48:49], s[44:45]
                                        ; implicit-def: $vgpr25
	s_and_saveexec_b64 s[4:5], vcc
	s_xor_b64 s[4:5], exec, s[4:5]
	s_cbranch_execz .LBB234_1082
; %bb.988:
	v_cmp_lt_i16_e32 vcc, 25, v12
	s_mov_b64 s[10:11], 0
                                        ; implicit-def: $vgpr25
	s_and_saveexec_b64 s[8:9], vcc
	s_xor_b64 s[8:9], exec, s[8:9]
	s_cbranch_execz .LBB234_2423
; %bb.989:
	v_cmp_lt_i16_e32 vcc, 28, v12
	;; [unrolled: 7-line block ×3, first 2 shown]
	s_mov_b64 s[16:17], 0
	s_mov_b64 s[18:19], 0
                                        ; implicit-def: $vgpr25
	s_and_saveexec_b64 s[12:13], vcc
	s_xor_b64 s[12:13], exec, s[12:13]
	s_cbranch_execz .LBB234_1016
; %bb.991:
	v_cmp_lt_i16_e32 vcc, 45, v12
                                        ; implicit-def: $vgpr25
	s_and_saveexec_b64 s[18:19], vcc
	s_xor_b64 s[18:19], exec, s[18:19]
	s_cbranch_execz .LBB234_1003
; %bb.992:
	v_cmp_eq_u16_e32 vcc, 46, v12
	s_mov_b64 s[20:21], -1
                                        ; implicit-def: $vgpr25
	s_and_saveexec_b64 s[14:15], vcc
	s_cbranch_execz .LBB234_1002
; %bb.993:
	flat_load_dword v3, v[5:6]
	s_mov_b32 s16, 0x47800000
                                        ; implicit-def: $vgpr7
	s_waitcnt vmcnt(0) lgkmcnt(0)
	v_lshlrev_b32_e32 v3, 16, v3
	v_and_b32_e32 v8, 0x7fffffff, v3
	v_cmp_gt_u32_e32 vcc, s16, v8
	s_and_saveexec_b64 s[16:17], vcc
	s_xor_b64 s[16:17], exec, s[16:17]
	s_cbranch_execz .LBB234_999
; %bb.994:
	s_mov_b32 s20, 0x387fffff
	v_cmp_lt_u32_e32 vcc, s20, v8
                                        ; implicit-def: $vgpr7
	s_and_saveexec_b64 s[20:21], vcc
	s_xor_b64 s[20:21], exec, s[20:21]
; %bb.995:
	v_bfe_u32 v7, v3, 21, 1
	s_mov_b32 s22, 0x80fffff
	v_add3_u32 v7, v3, v7, s22
	v_lshrrev_b32_e32 v7, 21, v7
; %bb.996:
	s_andn2_saveexec_b64 s[20:21], s[20:21]
; %bb.997:
	s_mov_b32 s22, 0x43000000
	v_add_f32_e64 v7, |v3|, s22
; %bb.998:
	s_or_b64 exec, exec, s[20:21]
                                        ; implicit-def: $vgpr8
.LBB234_999:
	s_andn2_saveexec_b64 s[16:17], s[16:17]
; %bb.1000:
	s_mov_b32 s20, 0x7f800000
	v_mov_b32_e32 v7, 0x7c
	v_mov_b32_e32 v9, 0x7f
	v_cmp_lt_u32_e32 vcc, s20, v8
	v_cndmask_b32_e32 v7, v7, v9, vcc
; %bb.1001:
	s_or_b64 exec, exec, s[16:17]
	v_lshrrev_b32_e32 v3, 24, v3
	s_movk_i32 s20, 0x80
	s_mov_b64 s[16:17], exec
	v_and_or_b32 v25, v3, s20, v7
	s_xor_b64 s[20:21], exec, -1
.LBB234_1002:
	s_or_b64 exec, exec, s[14:15]
	s_and_b64 s[16:17], s[16:17], exec
	s_and_b64 s[14:15], s[20:21], exec
.LBB234_1003:
	s_andn2_saveexec_b64 s[18:19], s[18:19]
	s_cbranch_execz .LBB234_1015
; %bb.1004:
	v_cmp_eq_u16_e32 vcc, 44, v12
	s_mov_b64 s[22:23], -1
	s_mov_b64 s[24:25], s[16:17]
                                        ; implicit-def: $vgpr25
	s_and_saveexec_b64 s[20:21], vcc
	s_cbranch_execz .LBB234_1014
; %bb.1005:
	flat_load_ubyte v3, v[5:6]
	s_movk_i32 s22, 0xff
	v_mov_b32_e32 v7, 0x7f800001
	v_mov_b32_e32 v8, 0x400000
                                        ; implicit-def: $vgpr25
	s_waitcnt vmcnt(0) lgkmcnt(0)
	v_lshlrev_b32_e32 v9, 23, v3
	v_cmp_ne_u32_e32 vcc, s22, v3
	v_cndmask_b32_e32 v7, v7, v9, vcc
	v_cmp_ne_u32_e32 vcc, 0, v3
	v_cndmask_b32_e32 v3, v8, v7, vcc
	s_mov_b32 s22, 0x47800000
	v_cmp_gt_u32_e32 vcc, s22, v3
	s_and_saveexec_b64 s[22:23], vcc
	s_xor_b64 s[22:23], exec, s[22:23]
	s_cbranch_execz .LBB234_1011
; %bb.1006:
	s_mov_b32 s24, 0x387fffff
	v_cmp_lt_u32_e32 vcc, s24, v3
                                        ; implicit-def: $vgpr25
	s_and_saveexec_b64 s[24:25], vcc
	s_xor_b64 s[24:25], exec, s[24:25]
; %bb.1007:
	v_bfe_u32 v7, v3, 21, 1
	s_mov_b32 s28, 0x80fffff
	v_add3_u32 v3, v3, v7, s28
	v_lshrrev_b32_e32 v25, 21, v3
                                        ; implicit-def: $vgpr3
; %bb.1008:
	s_andn2_saveexec_b64 s[24:25], s[24:25]
; %bb.1009:
	v_add_f32_e32 v25, 0x43000000, v3
; %bb.1010:
	s_or_b64 exec, exec, s[24:25]
                                        ; implicit-def: $vgpr3
.LBB234_1011:
	s_andn2_saveexec_b64 s[22:23], s[22:23]
; %bb.1012:
	s_mov_b32 s24, 0x7f800000
	v_mov_b32_e32 v7, 0x7c
	v_mov_b32_e32 v8, 0x7f
	v_cmp_lt_u32_e32 vcc, s24, v3
	v_cndmask_b32_e32 v25, v7, v8, vcc
; %bb.1013:
	s_or_b64 exec, exec, s[22:23]
	s_or_b64 s[24:25], s[16:17], exec
	s_xor_b64 s[22:23], exec, -1
.LBB234_1014:
	s_or_b64 exec, exec, s[20:21]
	s_andn2_b64 s[16:17], s[16:17], exec
	s_and_b64 s[20:21], s[24:25], exec
	s_or_b64 s[16:17], s[16:17], s[20:21]
	s_andn2_b64 s[14:15], s[14:15], exec
	s_and_b64 s[20:21], s[22:23], exec
	s_or_b64 s[14:15], s[14:15], s[20:21]
.LBB234_1015:
	s_or_b64 exec, exec, s[18:19]
	s_and_b64 s[18:19], s[16:17], exec
	s_and_b64 s[16:17], s[14:15], exec
.LBB234_1016:
	s_andn2_saveexec_b64 s[12:13], s[12:13]
	s_cbranch_execz .LBB234_1028
; %bb.1017:
	v_cmp_eq_u16_e32 vcc, 29, v12
	s_mov_b64 s[20:21], -1
	s_mov_b64 s[22:23], s[18:19]
                                        ; implicit-def: $vgpr25
	s_and_saveexec_b64 s[14:15], vcc
	s_cbranch_execz .LBB234_1027
; %bb.1018:
	flat_load_dwordx2 v[7:8], v[5:6]
	s_mov_b32 s20, 0x47800000
                                        ; implicit-def: $vgpr25
	s_waitcnt vmcnt(0) lgkmcnt(0)
	v_ffbh_u32_e32 v3, v8
	v_min_u32_e32 v3, 32, v3
	v_lshlrev_b64 v[7:8], v3, v[7:8]
	v_sub_u32_e32 v3, 32, v3
	v_min_u32_e32 v7, 1, v7
	v_or_b32_e32 v7, v8, v7
	v_cvt_f32_u32_e32 v7, v7
	v_ldexp_f32 v3, v7, v3
	v_cmp_gt_u32_e32 vcc, s20, v3
	s_and_saveexec_b64 s[20:21], vcc
	s_xor_b64 s[20:21], exec, s[20:21]
	s_cbranch_execz .LBB234_1024
; %bb.1019:
	s_mov_b32 s22, 0x387fffff
	v_cmp_lt_u32_e32 vcc, s22, v3
                                        ; implicit-def: $vgpr25
	s_and_saveexec_b64 s[22:23], vcc
	s_xor_b64 s[22:23], exec, s[22:23]
; %bb.1020:
	v_bfe_u32 v7, v3, 21, 1
	s_mov_b32 s24, 0x80fffff
	v_add3_u32 v3, v3, v7, s24
	v_lshrrev_b32_e32 v25, 21, v3
                                        ; implicit-def: $vgpr3
; %bb.1021:
	s_andn2_saveexec_b64 s[22:23], s[22:23]
; %bb.1022:
	v_add_f32_e32 v25, 0x43000000, v3
; %bb.1023:
	s_or_b64 exec, exec, s[22:23]
                                        ; implicit-def: $vgpr3
.LBB234_1024:
	s_andn2_saveexec_b64 s[20:21], s[20:21]
; %bb.1025:
	s_mov_b32 s22, 0x7f800000
	v_mov_b32_e32 v7, 0x7c
	v_mov_b32_e32 v8, 0x7f
	v_cmp_lt_u32_e32 vcc, s22, v3
	v_cndmask_b32_e32 v25, v7, v8, vcc
; %bb.1026:
	s_or_b64 exec, exec, s[20:21]
	s_or_b64 s[22:23], s[18:19], exec
	s_xor_b64 s[20:21], exec, -1
.LBB234_1027:
	s_or_b64 exec, exec, s[14:15]
	s_andn2_b64 s[14:15], s[18:19], exec
	s_and_b64 s[18:19], s[22:23], exec
	s_or_b64 s[18:19], s[14:15], s[18:19]
	s_andn2_b64 s[14:15], s[16:17], exec
	s_and_b64 s[16:17], s[20:21], exec
	s_or_b64 s[16:17], s[14:15], s[16:17]
.LBB234_1028:
	s_or_b64 exec, exec, s[12:13]
	s_and_b64 s[14:15], s[18:19], exec
	s_and_b64 s[12:13], s[16:17], exec
.LBB234_1029:
	s_andn2_saveexec_b64 s[10:11], s[10:11]
	s_cbranch_execz .LBB234_1069
; %bb.1030:
	v_cmp_lt_i16_e32 vcc, 26, v12
                                        ; implicit-def: $vgpr25
	s_and_saveexec_b64 s[16:17], vcc
	s_xor_b64 s[16:17], exec, s[16:17]
	s_cbranch_execz .LBB234_1052
; %bb.1031:
	v_cmp_lt_i16_e32 vcc, 27, v12
                                        ; implicit-def: $vgpr25
	s_and_saveexec_b64 s[18:19], vcc
	s_xor_b64 s[18:19], exec, s[18:19]
	s_cbranch_execz .LBB234_1041
; %bb.1032:
	flat_load_dword v3, v[5:6]
	s_mov_b32 s20, 0x47800000
                                        ; implicit-def: $vgpr25
	s_waitcnt vmcnt(0) lgkmcnt(0)
	v_cvt_f32_u32_e32 v3, v3
	v_cmp_gt_u32_e32 vcc, s20, v3
	s_and_saveexec_b64 s[20:21], vcc
	s_xor_b64 s[20:21], exec, s[20:21]
	s_cbranch_execz .LBB234_1038
; %bb.1033:
	s_mov_b32 s22, 0x387fffff
	v_cmp_lt_u32_e32 vcc, s22, v3
                                        ; implicit-def: $vgpr25
	s_and_saveexec_b64 s[22:23], vcc
	s_xor_b64 s[22:23], exec, s[22:23]
; %bb.1034:
	v_bfe_u32 v7, v3, 21, 1
	s_mov_b32 s24, 0x80fffff
	v_add3_u32 v3, v3, v7, s24
	v_lshrrev_b32_e32 v25, 21, v3
                                        ; implicit-def: $vgpr3
; %bb.1035:
	s_andn2_saveexec_b64 s[22:23], s[22:23]
; %bb.1036:
	v_add_f32_e32 v25, 0x43000000, v3
; %bb.1037:
	s_or_b64 exec, exec, s[22:23]
                                        ; implicit-def: $vgpr3
.LBB234_1038:
	s_andn2_saveexec_b64 s[20:21], s[20:21]
; %bb.1039:
	s_mov_b32 s22, 0x7f800000
	v_mov_b32_e32 v7, 0x7c
	v_mov_b32_e32 v8, 0x7f
	v_cmp_lt_u32_e32 vcc, s22, v3
	v_cndmask_b32_e32 v25, v7, v8, vcc
; %bb.1040:
	s_or_b64 exec, exec, s[20:21]
.LBB234_1041:
	s_andn2_saveexec_b64 s[18:19], s[18:19]
	s_cbranch_execz .LBB234_1051
; %bb.1042:
	flat_load_ushort v3, v[5:6]
	s_mov_b32 s20, 0x47800000
                                        ; implicit-def: $vgpr25
	s_waitcnt vmcnt(0) lgkmcnt(0)
	v_cvt_f32_u32_e32 v3, v3
	v_cmp_gt_u32_e32 vcc, s20, v3
	s_and_saveexec_b64 s[20:21], vcc
	s_xor_b64 s[20:21], exec, s[20:21]
	s_cbranch_execz .LBB234_1048
; %bb.1043:
	s_mov_b32 s22, 0x387fffff
	v_cmp_lt_u32_e32 vcc, s22, v3
                                        ; implicit-def: $vgpr25
	s_and_saveexec_b64 s[22:23], vcc
	s_xor_b64 s[22:23], exec, s[22:23]
; %bb.1044:
	v_bfe_u32 v7, v3, 21, 1
	s_mov_b32 s24, 0x80fffff
	v_add3_u32 v3, v3, v7, s24
	v_lshrrev_b32_e32 v25, 21, v3
                                        ; implicit-def: $vgpr3
; %bb.1045:
	s_andn2_saveexec_b64 s[22:23], s[22:23]
; %bb.1046:
	v_add_f32_e32 v25, 0x43000000, v3
; %bb.1047:
	s_or_b64 exec, exec, s[22:23]
                                        ; implicit-def: $vgpr3
.LBB234_1048:
	s_andn2_saveexec_b64 s[20:21], s[20:21]
; %bb.1049:
	s_mov_b32 s22, 0x7f800000
	v_mov_b32_e32 v7, 0x7c
	v_mov_b32_e32 v8, 0x7f
	v_cmp_lt_u32_e32 vcc, s22, v3
	v_cndmask_b32_e32 v25, v7, v8, vcc
; %bb.1050:
	s_or_b64 exec, exec, s[20:21]
.LBB234_1051:
	s_or_b64 exec, exec, s[18:19]
.LBB234_1052:
	s_andn2_saveexec_b64 s[16:17], s[16:17]
	s_cbranch_execz .LBB234_1068
; %bb.1053:
	flat_load_ubyte v7, v[5:6]
	s_movk_i32 s18, 0x7f
	s_waitcnt vmcnt(0) lgkmcnt(0)
	v_cmp_lt_i16_e32 vcc, s18, v7
	s_mov_b64 s[18:19], 0
	s_and_saveexec_b64 s[20:21], vcc
	s_xor_b64 s[20:21], exec, s[20:21]
	s_cbranch_execz .LBB234_2584
; %bb.1054:
	s_movk_i32 s18, 0x80
	v_cmp_eq_u16_e32 vcc, s18, v7
	s_mov_b64 s[18:19], -1
	s_and_saveexec_b64 s[22:23], vcc
; %bb.1055:
	s_xor_b64 s[18:19], exec, -1
; %bb.1056:
	s_or_b64 exec, exec, s[22:23]
	s_and_b64 s[18:19], s[18:19], exec
	s_or_saveexec_b64 s[20:21], s[20:21]
	v_mov_b32_e32 v3, 0x7f800001
	s_xor_b64 exec, exec, s[20:21]
	s_cbranch_execnz .LBB234_2585
.LBB234_1057:
	s_or_b64 exec, exec, s[20:21]
	s_and_saveexec_b64 s[20:21], s[18:19]
	s_cbranch_execz .LBB234_1059
.LBB234_1058:
	v_lshlrev_b32_e32 v3, 24, v7
	v_and_b32_e32 v7, 0xffff, v7
	v_and_b32_e32 v8, 7, v7
	v_ffbh_u32_e32 v10, v8
	v_min_u32_e32 v10, 32, v10
	v_subrev_u32_e32 v25, 28, v10
	v_bfe_u32 v9, v7, 3, 4
	v_lshlrev_b32_e32 v7, v25, v7
	v_sub_u32_e32 v10, 29, v10
	v_and_b32_e32 v7, 7, v7
	v_cmp_eq_u32_e32 vcc, 0, v9
	v_cndmask_b32_e32 v9, v9, v10, vcc
	v_cndmask_b32_e32 v7, v8, v7, vcc
	v_mov_b32_e32 v8, 0x3b800000
	v_lshlrev_b32_e32 v7, 20, v7
	v_and_b32_e32 v3, 0x80000000, v3
	v_lshl_add_u32 v8, v9, 23, v8
	v_or3_b32 v3, v3, v8, v7
.LBB234_1059:
	s_or_b64 exec, exec, s[20:21]
	v_and_b32_e32 v8, 0x7fffffff, v3
	s_mov_b32 s18, 0x47800000
	v_cmp_gt_u32_e32 vcc, s18, v8
                                        ; implicit-def: $vgpr7
	s_and_saveexec_b64 s[18:19], vcc
	s_xor_b64 s[18:19], exec, s[18:19]
	s_cbranch_execz .LBB234_1065
; %bb.1060:
	s_mov_b32 s20, 0x387fffff
	v_cmp_lt_u32_e32 vcc, s20, v8
                                        ; implicit-def: $vgpr7
	s_and_saveexec_b64 s[20:21], vcc
	s_xor_b64 s[20:21], exec, s[20:21]
; %bb.1061:
	v_bfe_u32 v7, v3, 21, 1
	s_mov_b32 s22, 0x80fffff
	v_add3_u32 v7, v3, v7, s22
	v_lshrrev_b32_e32 v7, 21, v7
; %bb.1062:
	s_andn2_saveexec_b64 s[20:21], s[20:21]
; %bb.1063:
	s_mov_b32 s22, 0x43000000
	v_add_f32_e64 v7, |v3|, s22
; %bb.1064:
	s_or_b64 exec, exec, s[20:21]
                                        ; implicit-def: $vgpr8
.LBB234_1065:
	s_andn2_saveexec_b64 s[18:19], s[18:19]
; %bb.1066:
	s_mov_b32 s20, 0x7f800000
	v_mov_b32_e32 v7, 0x7c
	v_mov_b32_e32 v9, 0x7f
	v_cmp_lt_u32_e32 vcc, s20, v8
	v_cndmask_b32_e32 v7, v7, v9, vcc
; %bb.1067:
	s_or_b64 exec, exec, s[18:19]
	v_lshrrev_b32_e32 v3, 24, v3
	s_movk_i32 s18, 0x80
	v_and_or_b32 v25, v3, s18, v7
.LBB234_1068:
	s_or_b64 exec, exec, s[16:17]
	s_or_b64 s[14:15], s[14:15], exec
.LBB234_1069:
	s_or_b64 exec, exec, s[10:11]
	s_and_b64 s[10:11], s[14:15], exec
	s_and_b64 s[12:13], s[12:13], exec
	s_andn2_saveexec_b64 s[8:9], s[8:9]
	s_cbranch_execnz .LBB234_2424
.LBB234_1070:
	s_or_b64 exec, exec, s[8:9]
	s_mov_b64 s[8:9], s[44:45]
	s_and_saveexec_b64 s[14:15], s[12:13]
	s_cbranch_execnz .LBB234_2473
.LBB234_1071:
	s_or_b64 exec, exec, s[14:15]
	s_and_saveexec_b64 s[12:13], s[6:7]
	s_cbranch_execz .LBB234_1081
.LBB234_1072:
	flat_load_ubyte v3, v[5:6]
	s_mov_b32 s6, 0x47800000
                                        ; implicit-def: $vgpr25
	s_waitcnt vmcnt(0) lgkmcnt(0)
	v_cmp_ne_u16_e32 vcc, 0, v3
	v_cndmask_b32_e64 v3, 0, 1.0, vcc
	v_cmp_gt_u32_e32 vcc, s6, v3
	s_and_saveexec_b64 s[6:7], vcc
	s_xor_b64 s[6:7], exec, s[6:7]
	s_cbranch_execz .LBB234_1078
; %bb.1073:
	s_mov_b32 s14, 0x387fffff
	v_cmp_lt_u32_e32 vcc, s14, v3
                                        ; implicit-def: $vgpr25
	s_and_saveexec_b64 s[14:15], vcc
	s_xor_b64 s[14:15], exec, s[14:15]
; %bb.1074:
	v_bfe_u32 v5, v3, 21, 1
	s_mov_b32 s16, 0x80fffff
	v_add3_u32 v3, v3, v5, s16
	v_lshrrev_b32_e32 v25, 21, v3
                                        ; implicit-def: $vgpr3
; %bb.1075:
	s_andn2_saveexec_b64 s[14:15], s[14:15]
; %bb.1076:
	v_add_f32_e32 v25, 0x43000000, v3
; %bb.1077:
	s_or_b64 exec, exec, s[14:15]
                                        ; implicit-def: $vgpr3
.LBB234_1078:
	s_andn2_saveexec_b64 s[6:7], s[6:7]
; %bb.1079:
	s_mov_b32 s14, 0x7f800000
	v_mov_b32_e32 v5, 0x7c
	v_mov_b32_e32 v6, 0x7f
	v_cmp_lt_u32_e32 vcc, s14, v3
	v_cndmask_b32_e32 v25, v5, v6, vcc
; %bb.1080:
	s_or_b64 exec, exec, s[6:7]
	s_or_b64 s[10:11], s[10:11], exec
.LBB234_1081:
	s_or_b64 exec, exec, s[12:13]
	s_andn2_b64 s[6:7], s[44:45], exec
	s_and_b64 s[8:9], s[8:9], exec
	s_or_b64 s[48:49], s[6:7], s[8:9]
	s_and_b64 s[6:7], s[10:11], exec
                                        ; implicit-def: $vgpr5_vgpr6
.LBB234_1082:
	s_andn2_saveexec_b64 s[4:5], s[4:5]
	s_cbranch_execz .LBB234_1212
; %bb.1083:
	v_cmp_lt_i16_e32 vcc, 4, v12
                                        ; implicit-def: $vgpr25
	s_and_saveexec_b64 s[8:9], vcc
	s_xor_b64 s[8:9], exec, s[8:9]
	s_cbranch_execz .LBB234_1153
; %bb.1084:
	v_cmp_lt_i16_e32 vcc, 7, v12
                                        ; implicit-def: $vgpr25
	s_and_saveexec_b64 s[10:11], vcc
	s_xor_b64 s[10:11], exec, s[10:11]
	;; [unrolled: 6-line block ×4, first 2 shown]
	s_cbranch_execz .LBB234_1096
; %bb.1087:
	flat_load_dwordx2 v[5:6], v[5:6]
	s_mov_b32 s16, 0x47800000
	s_waitcnt vmcnt(0) lgkmcnt(0)
	v_cvt_f32_f64_e32 v3, v[5:6]
                                        ; implicit-def: $vgpr5
	v_and_b32_e32 v6, 0x7fffffff, v3
	v_cmp_gt_u32_e32 vcc, s16, v6
	s_and_saveexec_b64 s[16:17], vcc
	s_xor_b64 s[16:17], exec, s[16:17]
	s_cbranch_execz .LBB234_1093
; %bb.1088:
	s_mov_b32 s18, 0x387fffff
	v_cmp_lt_u32_e32 vcc, s18, v6
                                        ; implicit-def: $vgpr5
	s_and_saveexec_b64 s[18:19], vcc
	s_xor_b64 s[18:19], exec, s[18:19]
; %bb.1089:
	v_bfe_u32 v5, v3, 21, 1
	s_mov_b32 s20, 0x80fffff
	v_add3_u32 v5, v3, v5, s20
	v_lshrrev_b32_e32 v5, 21, v5
; %bb.1090:
	s_andn2_saveexec_b64 s[18:19], s[18:19]
; %bb.1091:
	s_mov_b32 s20, 0x43000000
	v_add_f32_e64 v5, |v3|, s20
; %bb.1092:
	s_or_b64 exec, exec, s[18:19]
                                        ; implicit-def: $vgpr6
.LBB234_1093:
	s_andn2_saveexec_b64 s[16:17], s[16:17]
; %bb.1094:
	s_mov_b32 s18, 0x7f800000
	v_mov_b32_e32 v5, 0x7c
	v_mov_b32_e32 v7, 0x7f
	v_cmp_lt_u32_e32 vcc, s18, v6
	v_cndmask_b32_e32 v5, v5, v7, vcc
; %bb.1095:
	s_or_b64 exec, exec, s[16:17]
	v_lshrrev_b32_e32 v3, 24, v3
	s_movk_i32 s16, 0x80
	v_and_or_b32 v25, v3, s16, v5
                                        ; implicit-def: $vgpr5_vgpr6
.LBB234_1096:
	s_andn2_saveexec_b64 s[14:15], s[14:15]
	s_cbranch_execz .LBB234_1106
; %bb.1097:
	flat_load_dword v3, v[5:6]
	s_mov_b32 s16, 0x47800000
                                        ; implicit-def: $vgpr5
	s_waitcnt vmcnt(0) lgkmcnt(0)
	v_and_b32_e32 v6, 0x7fffffff, v3
	v_cmp_gt_u32_e32 vcc, s16, v6
	s_and_saveexec_b64 s[16:17], vcc
	s_xor_b64 s[16:17], exec, s[16:17]
	s_cbranch_execz .LBB234_1103
; %bb.1098:
	s_mov_b32 s18, 0x387fffff
	v_cmp_lt_u32_e32 vcc, s18, v6
                                        ; implicit-def: $vgpr5
	s_and_saveexec_b64 s[18:19], vcc
	s_xor_b64 s[18:19], exec, s[18:19]
; %bb.1099:
	v_bfe_u32 v5, v3, 21, 1
	s_mov_b32 s20, 0x80fffff
	v_add3_u32 v5, v3, v5, s20
	v_lshrrev_b32_e32 v5, 21, v5
; %bb.1100:
	s_andn2_saveexec_b64 s[18:19], s[18:19]
; %bb.1101:
	s_mov_b32 s20, 0x43000000
	v_add_f32_e64 v5, |v3|, s20
; %bb.1102:
	s_or_b64 exec, exec, s[18:19]
                                        ; implicit-def: $vgpr6
.LBB234_1103:
	s_andn2_saveexec_b64 s[16:17], s[16:17]
; %bb.1104:
	s_mov_b32 s18, 0x7f800000
	v_mov_b32_e32 v5, 0x7c
	v_mov_b32_e32 v7, 0x7f
	v_cmp_lt_u32_e32 vcc, s18, v6
	v_cndmask_b32_e32 v5, v5, v7, vcc
; %bb.1105:
	s_or_b64 exec, exec, s[16:17]
	v_lshrrev_b32_e32 v3, 24, v3
	s_movk_i32 s16, 0x80
	v_and_or_b32 v25, v3, s16, v5
.LBB234_1106:
	s_or_b64 exec, exec, s[14:15]
                                        ; implicit-def: $vgpr5_vgpr6
.LBB234_1107:
	s_andn2_saveexec_b64 s[12:13], s[12:13]
	s_cbranch_execz .LBB234_1117
; %bb.1108:
	flat_load_dword v3, v[5:6]
	s_mov_b32 s14, 0x47800000
                                        ; implicit-def: $vgpr5
	s_waitcnt vmcnt(0) lgkmcnt(0)
	v_cvt_f32_f16_e32 v3, v3
	v_and_b32_e32 v6, 0x7fffffff, v3
	v_cmp_gt_u32_e32 vcc, s14, v6
	s_and_saveexec_b64 s[14:15], vcc
	s_xor_b64 s[14:15], exec, s[14:15]
	s_cbranch_execz .LBB234_1114
; %bb.1109:
	s_mov_b32 s16, 0x387fffff
	v_cmp_lt_u32_e32 vcc, s16, v6
                                        ; implicit-def: $vgpr5
	s_and_saveexec_b64 s[16:17], vcc
	s_xor_b64 s[16:17], exec, s[16:17]
; %bb.1110:
	v_bfe_u32 v5, v3, 21, 1
	s_mov_b32 s18, 0x80fffff
	v_add3_u32 v5, v3, v5, s18
	v_lshrrev_b32_e32 v5, 21, v5
; %bb.1111:
	s_andn2_saveexec_b64 s[16:17], s[16:17]
; %bb.1112:
	s_mov_b32 s18, 0x43000000
	v_add_f32_e64 v5, |v3|, s18
; %bb.1113:
	s_or_b64 exec, exec, s[16:17]
                                        ; implicit-def: $vgpr6
.LBB234_1114:
	s_andn2_saveexec_b64 s[14:15], s[14:15]
; %bb.1115:
	s_mov_b32 s16, 0x7f800000
	v_mov_b32_e32 v5, 0x7c
	v_mov_b32_e32 v7, 0x7f
	v_cmp_lt_u32_e32 vcc, s16, v6
	v_cndmask_b32_e32 v5, v5, v7, vcc
; %bb.1116:
	s_or_b64 exec, exec, s[14:15]
	v_lshrrev_b32_e32 v3, 24, v3
	s_movk_i32 s14, 0x80
	v_and_or_b32 v25, v3, s14, v5
.LBB234_1117:
	s_or_b64 exec, exec, s[12:13]
                                        ; implicit-def: $vgpr5_vgpr6
.LBB234_1118:
	s_andn2_saveexec_b64 s[10:11], s[10:11]
	s_cbranch_execz .LBB234_1152
; %bb.1119:
	v_cmp_lt_i16_e32 vcc, 5, v12
                                        ; implicit-def: $vgpr25
	s_and_saveexec_b64 s[12:13], vcc
	s_xor_b64 s[12:13], exec, s[12:13]
	s_cbranch_execz .LBB234_1141
; %bb.1120:
	v_cmp_lt_i16_e32 vcc, 6, v12
                                        ; implicit-def: $vgpr25
	s_and_saveexec_b64 s[14:15], vcc
	s_xor_b64 s[14:15], exec, s[14:15]
	s_cbranch_execz .LBB234_1130
; %bb.1121:
	flat_load_dwordx2 v[5:6], v[5:6]
	s_mov_b32 s16, 0x47800000
	s_waitcnt vmcnt(0) lgkmcnt(0)
	v_cvt_f32_f64_e32 v3, v[5:6]
                                        ; implicit-def: $vgpr5
	v_and_b32_e32 v6, 0x7fffffff, v3
	v_cmp_gt_u32_e32 vcc, s16, v6
	s_and_saveexec_b64 s[16:17], vcc
	s_xor_b64 s[16:17], exec, s[16:17]
	s_cbranch_execz .LBB234_1127
; %bb.1122:
	s_mov_b32 s18, 0x387fffff
	v_cmp_lt_u32_e32 vcc, s18, v6
                                        ; implicit-def: $vgpr5
	s_and_saveexec_b64 s[18:19], vcc
	s_xor_b64 s[18:19], exec, s[18:19]
; %bb.1123:
	v_bfe_u32 v5, v3, 21, 1
	s_mov_b32 s20, 0x80fffff
	v_add3_u32 v5, v3, v5, s20
	v_lshrrev_b32_e32 v5, 21, v5
; %bb.1124:
	s_andn2_saveexec_b64 s[18:19], s[18:19]
; %bb.1125:
	s_mov_b32 s20, 0x43000000
	v_add_f32_e64 v5, |v3|, s20
; %bb.1126:
	s_or_b64 exec, exec, s[18:19]
                                        ; implicit-def: $vgpr6
.LBB234_1127:
	s_andn2_saveexec_b64 s[16:17], s[16:17]
; %bb.1128:
	s_mov_b32 s18, 0x7f800000
	v_mov_b32_e32 v5, 0x7c
	v_mov_b32_e32 v7, 0x7f
	v_cmp_lt_u32_e32 vcc, s18, v6
	v_cndmask_b32_e32 v5, v5, v7, vcc
; %bb.1129:
	s_or_b64 exec, exec, s[16:17]
	v_lshrrev_b32_e32 v3, 24, v3
	s_movk_i32 s16, 0x80
	v_and_or_b32 v25, v3, s16, v5
                                        ; implicit-def: $vgpr5_vgpr6
.LBB234_1130:
	s_andn2_saveexec_b64 s[14:15], s[14:15]
	s_cbranch_execz .LBB234_1140
; %bb.1131:
	flat_load_dword v3, v[5:6]
	s_mov_b32 s16, 0x47800000
                                        ; implicit-def: $vgpr5
	s_waitcnt vmcnt(0) lgkmcnt(0)
	v_and_b32_e32 v6, 0x7fffffff, v3
	v_cmp_gt_u32_e32 vcc, s16, v6
	s_and_saveexec_b64 s[16:17], vcc
	s_xor_b64 s[16:17], exec, s[16:17]
	s_cbranch_execz .LBB234_1137
; %bb.1132:
	s_mov_b32 s18, 0x387fffff
	v_cmp_lt_u32_e32 vcc, s18, v6
                                        ; implicit-def: $vgpr5
	s_and_saveexec_b64 s[18:19], vcc
	s_xor_b64 s[18:19], exec, s[18:19]
; %bb.1133:
	v_bfe_u32 v5, v3, 21, 1
	s_mov_b32 s20, 0x80fffff
	v_add3_u32 v5, v3, v5, s20
	v_lshrrev_b32_e32 v5, 21, v5
; %bb.1134:
	s_andn2_saveexec_b64 s[18:19], s[18:19]
; %bb.1135:
	s_mov_b32 s20, 0x43000000
	v_add_f32_e64 v5, |v3|, s20
; %bb.1136:
	s_or_b64 exec, exec, s[18:19]
                                        ; implicit-def: $vgpr6
.LBB234_1137:
	s_andn2_saveexec_b64 s[16:17], s[16:17]
; %bb.1138:
	s_mov_b32 s18, 0x7f800000
	v_mov_b32_e32 v5, 0x7c
	v_mov_b32_e32 v7, 0x7f
	v_cmp_lt_u32_e32 vcc, s18, v6
	v_cndmask_b32_e32 v5, v5, v7, vcc
; %bb.1139:
	s_or_b64 exec, exec, s[16:17]
	v_lshrrev_b32_e32 v3, 24, v3
	s_movk_i32 s16, 0x80
	v_and_or_b32 v25, v3, s16, v5
.LBB234_1140:
	s_or_b64 exec, exec, s[14:15]
                                        ; implicit-def: $vgpr5_vgpr6
.LBB234_1141:
	s_andn2_saveexec_b64 s[12:13], s[12:13]
	s_cbranch_execz .LBB234_1151
; %bb.1142:
	flat_load_ushort v3, v[5:6]
	s_mov_b32 s14, 0x47800000
                                        ; implicit-def: $vgpr5
	s_waitcnt vmcnt(0) lgkmcnt(0)
	v_cvt_f32_f16_e32 v3, v3
	v_and_b32_e32 v6, 0x7fffffff, v3
	v_cmp_gt_u32_e32 vcc, s14, v6
	s_and_saveexec_b64 s[14:15], vcc
	s_xor_b64 s[14:15], exec, s[14:15]
	s_cbranch_execz .LBB234_1148
; %bb.1143:
	s_mov_b32 s16, 0x387fffff
	v_cmp_lt_u32_e32 vcc, s16, v6
                                        ; implicit-def: $vgpr5
	s_and_saveexec_b64 s[16:17], vcc
	s_xor_b64 s[16:17], exec, s[16:17]
; %bb.1144:
	v_bfe_u32 v5, v3, 21, 1
	s_mov_b32 s18, 0x80fffff
	v_add3_u32 v5, v3, v5, s18
	v_lshrrev_b32_e32 v5, 21, v5
; %bb.1145:
	s_andn2_saveexec_b64 s[16:17], s[16:17]
; %bb.1146:
	s_mov_b32 s18, 0x43000000
	v_add_f32_e64 v5, |v3|, s18
; %bb.1147:
	s_or_b64 exec, exec, s[16:17]
                                        ; implicit-def: $vgpr6
.LBB234_1148:
	s_andn2_saveexec_b64 s[14:15], s[14:15]
; %bb.1149:
	s_mov_b32 s16, 0x7f800000
	v_mov_b32_e32 v5, 0x7c
	v_mov_b32_e32 v7, 0x7f
	v_cmp_lt_u32_e32 vcc, s16, v6
	v_cndmask_b32_e32 v5, v5, v7, vcc
; %bb.1150:
	s_or_b64 exec, exec, s[14:15]
	v_lshrrev_b32_e32 v3, 24, v3
	s_movk_i32 s14, 0x80
	v_and_or_b32 v25, v3, s14, v5
.LBB234_1151:
	s_or_b64 exec, exec, s[12:13]
.LBB234_1152:
	s_or_b64 exec, exec, s[10:11]
                                        ; implicit-def: $vgpr5_vgpr6
.LBB234_1153:
	s_andn2_saveexec_b64 s[8:9], s[8:9]
	s_cbranch_execz .LBB234_1211
; %bb.1154:
	v_cmp_lt_i16_e32 vcc, 1, v12
                                        ; implicit-def: $vgpr25
	s_and_saveexec_b64 s[10:11], vcc
	s_xor_b64 s[10:11], exec, s[10:11]
	s_cbranch_execz .LBB234_1188
; %bb.1155:
	v_cmp_lt_i16_e32 vcc, 2, v12
                                        ; implicit-def: $vgpr25
	s_and_saveexec_b64 s[12:13], vcc
	s_xor_b64 s[12:13], exec, s[12:13]
	;; [unrolled: 6-line block ×3, first 2 shown]
	s_cbranch_execz .LBB234_1166
; %bb.1157:
	flat_load_dwordx2 v[5:6], v[5:6]
	s_mov_b32 s16, 0x47800000
	s_waitcnt vmcnt(0) lgkmcnt(0)
	v_xor_b32_e32 v7, v5, v6
	v_ffbh_i32_e32 v3, v6
	v_ashrrev_i32_e32 v7, 31, v7
	v_add_u32_e32 v3, -1, v3
	v_add_u32_e32 v7, 32, v7
	v_min_u32_e32 v3, v3, v7
	v_lshlrev_b64 v[5:6], v3, v[5:6]
	v_sub_u32_e32 v3, 32, v3
	v_min_u32_e32 v5, 1, v5
	v_or_b32_e32 v5, v6, v5
	v_cvt_f32_i32_e32 v5, v5
	v_ldexp_f32 v3, v5, v3
	v_and_b32_e32 v6, 0x7fffffff, v3
	v_cmp_gt_u32_e32 vcc, s16, v6
                                        ; implicit-def: $vgpr5
	s_and_saveexec_b64 s[16:17], vcc
	s_xor_b64 s[16:17], exec, s[16:17]
	s_cbranch_execz .LBB234_1163
; %bb.1158:
	s_mov_b32 s18, 0x387fffff
	v_cmp_lt_u32_e32 vcc, s18, v6
                                        ; implicit-def: $vgpr5
	s_and_saveexec_b64 s[18:19], vcc
	s_xor_b64 s[18:19], exec, s[18:19]
; %bb.1159:
	v_bfe_u32 v5, v3, 21, 1
	s_mov_b32 s20, 0x80fffff
	v_add3_u32 v5, v3, v5, s20
	v_lshrrev_b32_e32 v5, 21, v5
; %bb.1160:
	s_andn2_saveexec_b64 s[18:19], s[18:19]
; %bb.1161:
	s_mov_b32 s20, 0x43000000
	v_add_f32_e64 v5, |v3|, s20
; %bb.1162:
	s_or_b64 exec, exec, s[18:19]
                                        ; implicit-def: $vgpr6
.LBB234_1163:
	s_andn2_saveexec_b64 s[16:17], s[16:17]
; %bb.1164:
	s_mov_b32 s18, 0x7f800000
	v_mov_b32_e32 v5, 0x7c
	v_mov_b32_e32 v7, 0x7f
	v_cmp_lt_u32_e32 vcc, s18, v6
	v_cndmask_b32_e32 v5, v5, v7, vcc
; %bb.1165:
	s_or_b64 exec, exec, s[16:17]
	v_lshrrev_b32_e32 v3, 24, v3
	s_movk_i32 s16, 0x80
	v_and_or_b32 v25, v3, s16, v5
                                        ; implicit-def: $vgpr5_vgpr6
.LBB234_1166:
	s_andn2_saveexec_b64 s[14:15], s[14:15]
	s_cbranch_execz .LBB234_1176
; %bb.1167:
	flat_load_dword v3, v[5:6]
	s_mov_b32 s16, 0x47800000
                                        ; implicit-def: $vgpr5
	s_waitcnt vmcnt(0) lgkmcnt(0)
	v_cvt_f32_i32_e32 v3, v3
	v_and_b32_e32 v6, 0x7fffffff, v3
	v_cmp_gt_u32_e32 vcc, s16, v6
	s_and_saveexec_b64 s[16:17], vcc
	s_xor_b64 s[16:17], exec, s[16:17]
	s_cbranch_execz .LBB234_1173
; %bb.1168:
	s_mov_b32 s18, 0x387fffff
	v_cmp_lt_u32_e32 vcc, s18, v6
                                        ; implicit-def: $vgpr5
	s_and_saveexec_b64 s[18:19], vcc
	s_xor_b64 s[18:19], exec, s[18:19]
; %bb.1169:
	v_bfe_u32 v5, v3, 21, 1
	s_mov_b32 s20, 0x80fffff
	v_add3_u32 v5, v3, v5, s20
	v_lshrrev_b32_e32 v5, 21, v5
; %bb.1170:
	s_andn2_saveexec_b64 s[18:19], s[18:19]
; %bb.1171:
	s_mov_b32 s20, 0x43000000
	v_add_f32_e64 v5, |v3|, s20
; %bb.1172:
	s_or_b64 exec, exec, s[18:19]
                                        ; implicit-def: $vgpr6
.LBB234_1173:
	s_andn2_saveexec_b64 s[16:17], s[16:17]
; %bb.1174:
	s_mov_b32 s18, 0x7f800000
	v_mov_b32_e32 v5, 0x7c
	v_mov_b32_e32 v7, 0x7f
	v_cmp_lt_u32_e32 vcc, s18, v6
	v_cndmask_b32_e32 v5, v5, v7, vcc
; %bb.1175:
	s_or_b64 exec, exec, s[16:17]
	v_lshrrev_b32_e32 v3, 24, v3
	s_movk_i32 s16, 0x80
	v_and_or_b32 v25, v3, s16, v5
.LBB234_1176:
	s_or_b64 exec, exec, s[14:15]
                                        ; implicit-def: $vgpr5_vgpr6
.LBB234_1177:
	s_andn2_saveexec_b64 s[12:13], s[12:13]
	s_cbranch_execz .LBB234_1187
; %bb.1178:
	flat_load_sshort v3, v[5:6]
	s_mov_b32 s14, 0x47800000
                                        ; implicit-def: $vgpr5
	s_waitcnt vmcnt(0) lgkmcnt(0)
	v_cvt_f32_i32_e32 v3, v3
	v_and_b32_e32 v6, 0x7fffffff, v3
	v_cmp_gt_u32_e32 vcc, s14, v6
	s_and_saveexec_b64 s[14:15], vcc
	s_xor_b64 s[14:15], exec, s[14:15]
	s_cbranch_execz .LBB234_1184
; %bb.1179:
	s_mov_b32 s16, 0x387fffff
	v_cmp_lt_u32_e32 vcc, s16, v6
                                        ; implicit-def: $vgpr5
	s_and_saveexec_b64 s[16:17], vcc
	s_xor_b64 s[16:17], exec, s[16:17]
; %bb.1180:
	v_bfe_u32 v5, v3, 21, 1
	s_mov_b32 s18, 0x80fffff
	v_add3_u32 v5, v3, v5, s18
	v_lshrrev_b32_e32 v5, 21, v5
; %bb.1181:
	s_andn2_saveexec_b64 s[16:17], s[16:17]
; %bb.1182:
	s_mov_b32 s18, 0x43000000
	v_add_f32_e64 v5, |v3|, s18
; %bb.1183:
	s_or_b64 exec, exec, s[16:17]
                                        ; implicit-def: $vgpr6
.LBB234_1184:
	s_andn2_saveexec_b64 s[14:15], s[14:15]
; %bb.1185:
	s_mov_b32 s16, 0x7f800000
	v_mov_b32_e32 v5, 0x7c
	v_mov_b32_e32 v7, 0x7f
	v_cmp_lt_u32_e32 vcc, s16, v6
	v_cndmask_b32_e32 v5, v5, v7, vcc
; %bb.1186:
	s_or_b64 exec, exec, s[14:15]
	v_lshrrev_b32_e32 v3, 24, v3
	s_movk_i32 s14, 0x80
	v_and_or_b32 v25, v3, s14, v5
.LBB234_1187:
	s_or_b64 exec, exec, s[12:13]
                                        ; implicit-def: $vgpr5_vgpr6
.LBB234_1188:
	s_andn2_saveexec_b64 s[10:11], s[10:11]
	s_cbranch_execz .LBB234_1210
; %bb.1189:
	v_cmp_lt_i16_e32 vcc, 0, v12
                                        ; implicit-def: $vgpr25
	s_and_saveexec_b64 s[12:13], vcc
	s_xor_b64 s[12:13], exec, s[12:13]
	s_cbranch_execz .LBB234_1199
; %bb.1190:
	flat_load_sbyte v3, v[5:6]
	s_mov_b32 s14, 0x47800000
                                        ; implicit-def: $vgpr5
	s_waitcnt vmcnt(0) lgkmcnt(0)
	v_cvt_f32_i32_e32 v3, v3
	v_and_b32_e32 v6, 0x7fffffff, v3
	v_cmp_gt_u32_e32 vcc, s14, v6
	s_and_saveexec_b64 s[14:15], vcc
	s_xor_b64 s[14:15], exec, s[14:15]
	s_cbranch_execz .LBB234_1196
; %bb.1191:
	s_mov_b32 s16, 0x387fffff
	v_cmp_lt_u32_e32 vcc, s16, v6
                                        ; implicit-def: $vgpr5
	s_and_saveexec_b64 s[16:17], vcc
	s_xor_b64 s[16:17], exec, s[16:17]
; %bb.1192:
	v_bfe_u32 v5, v3, 21, 1
	s_mov_b32 s18, 0x80fffff
	v_add3_u32 v5, v3, v5, s18
	v_lshrrev_b32_e32 v5, 21, v5
; %bb.1193:
	s_andn2_saveexec_b64 s[16:17], s[16:17]
; %bb.1194:
	s_mov_b32 s18, 0x43000000
	v_add_f32_e64 v5, |v3|, s18
; %bb.1195:
	s_or_b64 exec, exec, s[16:17]
                                        ; implicit-def: $vgpr6
.LBB234_1196:
	s_andn2_saveexec_b64 s[14:15], s[14:15]
; %bb.1197:
	s_mov_b32 s16, 0x7f800000
	v_mov_b32_e32 v5, 0x7c
	v_mov_b32_e32 v7, 0x7f
	v_cmp_lt_u32_e32 vcc, s16, v6
	v_cndmask_b32_e32 v5, v5, v7, vcc
; %bb.1198:
	s_or_b64 exec, exec, s[14:15]
	v_lshrrev_b32_e32 v3, 24, v3
	s_movk_i32 s14, 0x80
	v_and_or_b32 v25, v3, s14, v5
                                        ; implicit-def: $vgpr5_vgpr6
.LBB234_1199:
	s_andn2_saveexec_b64 s[12:13], s[12:13]
	s_cbranch_execz .LBB234_1209
; %bb.1200:
	flat_load_ubyte v3, v[5:6]
	s_mov_b32 s14, 0x47800000
                                        ; implicit-def: $vgpr25
	s_waitcnt vmcnt(0) lgkmcnt(0)
	v_cvt_f32_ubyte0_e32 v3, v3
	v_cmp_gt_u32_e32 vcc, s14, v3
	s_and_saveexec_b64 s[14:15], vcc
	s_xor_b64 s[14:15], exec, s[14:15]
	s_cbranch_execz .LBB234_1206
; %bb.1201:
	s_mov_b32 s16, 0x387fffff
	v_cmp_lt_u32_e32 vcc, s16, v3
                                        ; implicit-def: $vgpr25
	s_and_saveexec_b64 s[16:17], vcc
	s_xor_b64 s[16:17], exec, s[16:17]
; %bb.1202:
	v_bfe_u32 v5, v3, 21, 1
	s_mov_b32 s18, 0x80fffff
	v_add3_u32 v3, v3, v5, s18
	v_lshrrev_b32_e32 v25, 21, v3
                                        ; implicit-def: $vgpr3
; %bb.1203:
	s_andn2_saveexec_b64 s[16:17], s[16:17]
; %bb.1204:
	v_add_f32_e32 v25, 0x43000000, v3
; %bb.1205:
	s_or_b64 exec, exec, s[16:17]
                                        ; implicit-def: $vgpr3
.LBB234_1206:
	s_andn2_saveexec_b64 s[14:15], s[14:15]
; %bb.1207:
	s_mov_b32 s16, 0x7f800000
	v_mov_b32_e32 v5, 0x7c
	v_mov_b32_e32 v6, 0x7f
	v_cmp_lt_u32_e32 vcc, s16, v3
	v_cndmask_b32_e32 v25, v5, v6, vcc
; %bb.1208:
	s_or_b64 exec, exec, s[14:15]
.LBB234_1209:
	s_or_b64 exec, exec, s[12:13]
.LBB234_1210:
	s_or_b64 exec, exec, s[10:11]
.LBB234_1211:
	s_or_b64 exec, exec, s[8:9]
	s_or_b64 s[6:7], s[6:7], exec
.LBB234_1212:
	s_or_b64 exec, exec, s[4:5]
	s_mov_b64 s[4:5], 0
	s_mov_b64 s[8:9], 0
	;; [unrolled: 1-line block ×3, first 2 shown]
                                        ; implicit-def: $sgpr10_sgpr11
                                        ; implicit-def: $vgpr9_vgpr10
                                        ; implicit-def: $vgpr3
	s_and_saveexec_b64 s[50:51], s[6:7]
	s_cbranch_execz .LBB234_2189
; %bb.1213:
	v_add_co_u32_e32 v3, vcc, v13, v4
	v_addc_co_u32_e32 v4, vcc, 0, v14, vcc
	v_cmp_lt_i16_e32 vcc, 10, v11
	s_mov_b64 s[6:7], 0
	s_mov_b64 s[52:53], s[48:49]
                                        ; implicit-def: $vgpr26
	s_and_saveexec_b64 s[4:5], vcc
	s_xor_b64 s[4:5], exec, s[4:5]
	s_cbranch_execz .LBB234_1308
; %bb.1214:
	v_cmp_lt_i16_e32 vcc, 25, v11
	s_mov_b64 s[10:11], 0
                                        ; implicit-def: $vgpr26
	s_and_saveexec_b64 s[8:9], vcc
	s_xor_b64 s[8:9], exec, s[8:9]
	s_cbranch_execz .LBB234_2476
; %bb.1215:
	v_cmp_lt_i16_e32 vcc, 28, v11
	;; [unrolled: 7-line block ×3, first 2 shown]
	s_mov_b64 s[16:17], 0
	s_mov_b64 s[18:19], 0
                                        ; implicit-def: $vgpr26
	s_and_saveexec_b64 s[12:13], vcc
	s_xor_b64 s[12:13], exec, s[12:13]
	s_cbranch_execz .LBB234_1242
; %bb.1217:
	v_cmp_lt_i16_e32 vcc, 45, v11
                                        ; implicit-def: $vgpr26
	s_and_saveexec_b64 s[18:19], vcc
	s_xor_b64 s[18:19], exec, s[18:19]
	s_cbranch_execz .LBB234_1229
; %bb.1218:
	v_cmp_eq_u16_e32 vcc, 46, v11
	s_mov_b64 s[20:21], -1
                                        ; implicit-def: $vgpr26
	s_and_saveexec_b64 s[14:15], vcc
	s_cbranch_execz .LBB234_1228
; %bb.1219:
	flat_load_dword v5, v[3:4]
	s_mov_b32 s16, 0x47800000
                                        ; implicit-def: $vgpr6
	s_waitcnt vmcnt(0) lgkmcnt(0)
	v_lshlrev_b32_e32 v5, 16, v5
	v_and_b32_e32 v7, 0x7fffffff, v5
	v_cmp_gt_u32_e32 vcc, s16, v7
	s_and_saveexec_b64 s[16:17], vcc
	s_xor_b64 s[16:17], exec, s[16:17]
	s_cbranch_execz .LBB234_1225
; %bb.1220:
	s_mov_b32 s20, 0x387fffff
	v_cmp_lt_u32_e32 vcc, s20, v7
                                        ; implicit-def: $vgpr6
	s_and_saveexec_b64 s[20:21], vcc
	s_xor_b64 s[20:21], exec, s[20:21]
; %bb.1221:
	v_bfe_u32 v6, v5, 21, 1
	s_mov_b32 s22, 0x80fffff
	v_add3_u32 v6, v5, v6, s22
	v_lshrrev_b32_e32 v6, 21, v6
; %bb.1222:
	s_andn2_saveexec_b64 s[20:21], s[20:21]
; %bb.1223:
	s_mov_b32 s22, 0x43000000
	v_add_f32_e64 v6, |v5|, s22
; %bb.1224:
	s_or_b64 exec, exec, s[20:21]
                                        ; implicit-def: $vgpr7
.LBB234_1225:
	s_andn2_saveexec_b64 s[16:17], s[16:17]
; %bb.1226:
	s_mov_b32 s20, 0x7f800000
	v_mov_b32_e32 v6, 0x7c
	v_mov_b32_e32 v8, 0x7f
	v_cmp_lt_u32_e32 vcc, s20, v7
	v_cndmask_b32_e32 v6, v6, v8, vcc
; %bb.1227:
	s_or_b64 exec, exec, s[16:17]
	v_lshrrev_b32_e32 v5, 24, v5
	s_movk_i32 s20, 0x80
	s_mov_b64 s[16:17], exec
	v_and_or_b32 v26, v5, s20, v6
	s_xor_b64 s[20:21], exec, -1
.LBB234_1228:
	s_or_b64 exec, exec, s[14:15]
	s_and_b64 s[16:17], s[16:17], exec
	s_and_b64 s[14:15], s[20:21], exec
.LBB234_1229:
	s_andn2_saveexec_b64 s[18:19], s[18:19]
	s_cbranch_execz .LBB234_1241
; %bb.1230:
	v_cmp_eq_u16_e32 vcc, 44, v11
	s_mov_b64 s[22:23], -1
	s_mov_b64 s[24:25], s[16:17]
                                        ; implicit-def: $vgpr26
	s_and_saveexec_b64 s[20:21], vcc
	s_cbranch_execz .LBB234_1240
; %bb.1231:
	flat_load_ubyte v5, v[3:4]
	s_movk_i32 s22, 0xff
	v_mov_b32_e32 v6, 0x7f800001
	v_mov_b32_e32 v7, 0x400000
                                        ; implicit-def: $vgpr26
	s_waitcnt vmcnt(0) lgkmcnt(0)
	v_lshlrev_b32_e32 v8, 23, v5
	v_cmp_ne_u32_e32 vcc, s22, v5
	v_cndmask_b32_e32 v6, v6, v8, vcc
	v_cmp_ne_u32_e32 vcc, 0, v5
	v_cndmask_b32_e32 v5, v7, v6, vcc
	s_mov_b32 s22, 0x47800000
	v_cmp_gt_u32_e32 vcc, s22, v5
	s_and_saveexec_b64 s[22:23], vcc
	s_xor_b64 s[22:23], exec, s[22:23]
	s_cbranch_execz .LBB234_1237
; %bb.1232:
	s_mov_b32 s24, 0x387fffff
	v_cmp_lt_u32_e32 vcc, s24, v5
                                        ; implicit-def: $vgpr26
	s_and_saveexec_b64 s[24:25], vcc
	s_xor_b64 s[24:25], exec, s[24:25]
; %bb.1233:
	v_bfe_u32 v6, v5, 21, 1
	s_mov_b32 s28, 0x80fffff
	v_add3_u32 v5, v5, v6, s28
	v_lshrrev_b32_e32 v26, 21, v5
                                        ; implicit-def: $vgpr5
; %bb.1234:
	s_andn2_saveexec_b64 s[24:25], s[24:25]
; %bb.1235:
	v_add_f32_e32 v26, 0x43000000, v5
; %bb.1236:
	s_or_b64 exec, exec, s[24:25]
                                        ; implicit-def: $vgpr5
.LBB234_1237:
	s_andn2_saveexec_b64 s[22:23], s[22:23]
; %bb.1238:
	s_mov_b32 s24, 0x7f800000
	v_mov_b32_e32 v6, 0x7c
	v_mov_b32_e32 v7, 0x7f
	v_cmp_lt_u32_e32 vcc, s24, v5
	v_cndmask_b32_e32 v26, v6, v7, vcc
; %bb.1239:
	s_or_b64 exec, exec, s[22:23]
	s_or_b64 s[24:25], s[16:17], exec
	s_xor_b64 s[22:23], exec, -1
.LBB234_1240:
	s_or_b64 exec, exec, s[20:21]
	s_andn2_b64 s[16:17], s[16:17], exec
	s_and_b64 s[20:21], s[24:25], exec
	s_or_b64 s[16:17], s[16:17], s[20:21]
	s_andn2_b64 s[14:15], s[14:15], exec
	s_and_b64 s[20:21], s[22:23], exec
	s_or_b64 s[14:15], s[14:15], s[20:21]
.LBB234_1241:
	s_or_b64 exec, exec, s[18:19]
	s_and_b64 s[18:19], s[16:17], exec
	s_and_b64 s[16:17], s[14:15], exec
.LBB234_1242:
	s_andn2_saveexec_b64 s[12:13], s[12:13]
	s_cbranch_execz .LBB234_1254
; %bb.1243:
	v_cmp_eq_u16_e32 vcc, 29, v11
	s_mov_b64 s[20:21], -1
	s_mov_b64 s[22:23], s[18:19]
                                        ; implicit-def: $vgpr26
	s_and_saveexec_b64 s[14:15], vcc
	s_cbranch_execz .LBB234_1253
; %bb.1244:
	flat_load_dwordx2 v[5:6], v[3:4]
	s_mov_b32 s20, 0x47800000
                                        ; implicit-def: $vgpr26
	s_waitcnt vmcnt(0) lgkmcnt(0)
	v_ffbh_u32_e32 v7, v6
	v_min_u32_e32 v7, 32, v7
	v_lshlrev_b64 v[5:6], v7, v[5:6]
	v_min_u32_e32 v5, 1, v5
	v_or_b32_e32 v5, v6, v5
	v_cvt_f32_u32_e32 v5, v5
	v_sub_u32_e32 v6, 32, v7
	v_ldexp_f32 v5, v5, v6
	v_cmp_gt_u32_e32 vcc, s20, v5
	s_and_saveexec_b64 s[20:21], vcc
	s_xor_b64 s[20:21], exec, s[20:21]
	s_cbranch_execz .LBB234_1250
; %bb.1245:
	s_mov_b32 s22, 0x387fffff
	v_cmp_lt_u32_e32 vcc, s22, v5
                                        ; implicit-def: $vgpr26
	s_and_saveexec_b64 s[22:23], vcc
	s_xor_b64 s[22:23], exec, s[22:23]
; %bb.1246:
	v_bfe_u32 v6, v5, 21, 1
	s_mov_b32 s24, 0x80fffff
	v_add3_u32 v5, v5, v6, s24
	v_lshrrev_b32_e32 v26, 21, v5
                                        ; implicit-def: $vgpr5
; %bb.1247:
	s_andn2_saveexec_b64 s[22:23], s[22:23]
; %bb.1248:
	v_add_f32_e32 v26, 0x43000000, v5
; %bb.1249:
	s_or_b64 exec, exec, s[22:23]
                                        ; implicit-def: $vgpr5
.LBB234_1250:
	s_andn2_saveexec_b64 s[20:21], s[20:21]
; %bb.1251:
	s_mov_b32 s22, 0x7f800000
	v_mov_b32_e32 v6, 0x7c
	v_mov_b32_e32 v7, 0x7f
	v_cmp_lt_u32_e32 vcc, s22, v5
	v_cndmask_b32_e32 v26, v6, v7, vcc
; %bb.1252:
	s_or_b64 exec, exec, s[20:21]
	s_or_b64 s[22:23], s[18:19], exec
	s_xor_b64 s[20:21], exec, -1
.LBB234_1253:
	s_or_b64 exec, exec, s[14:15]
	s_andn2_b64 s[14:15], s[18:19], exec
	s_and_b64 s[18:19], s[22:23], exec
	s_or_b64 s[18:19], s[14:15], s[18:19]
	s_andn2_b64 s[14:15], s[16:17], exec
	s_and_b64 s[16:17], s[20:21], exec
	s_or_b64 s[16:17], s[14:15], s[16:17]
.LBB234_1254:
	s_or_b64 exec, exec, s[12:13]
	s_and_b64 s[14:15], s[18:19], exec
	s_and_b64 s[12:13], s[16:17], exec
.LBB234_1255:
	s_andn2_saveexec_b64 s[10:11], s[10:11]
	s_cbranch_execz .LBB234_1295
; %bb.1256:
	v_cmp_lt_i16_e32 vcc, 26, v11
                                        ; implicit-def: $vgpr26
	s_and_saveexec_b64 s[16:17], vcc
	s_xor_b64 s[16:17], exec, s[16:17]
	s_cbranch_execz .LBB234_1278
; %bb.1257:
	v_cmp_lt_i16_e32 vcc, 27, v11
                                        ; implicit-def: $vgpr26
	s_and_saveexec_b64 s[18:19], vcc
	s_xor_b64 s[18:19], exec, s[18:19]
	s_cbranch_execz .LBB234_1267
; %bb.1258:
	flat_load_dword v5, v[3:4]
	s_mov_b32 s20, 0x47800000
                                        ; implicit-def: $vgpr26
	s_waitcnt vmcnt(0) lgkmcnt(0)
	v_cvt_f32_u32_e32 v5, v5
	v_cmp_gt_u32_e32 vcc, s20, v5
	s_and_saveexec_b64 s[20:21], vcc
	s_xor_b64 s[20:21], exec, s[20:21]
	s_cbranch_execz .LBB234_1264
; %bb.1259:
	s_mov_b32 s22, 0x387fffff
	v_cmp_lt_u32_e32 vcc, s22, v5
                                        ; implicit-def: $vgpr26
	s_and_saveexec_b64 s[22:23], vcc
	s_xor_b64 s[22:23], exec, s[22:23]
; %bb.1260:
	v_bfe_u32 v6, v5, 21, 1
	s_mov_b32 s24, 0x80fffff
	v_add3_u32 v5, v5, v6, s24
	v_lshrrev_b32_e32 v26, 21, v5
                                        ; implicit-def: $vgpr5
; %bb.1261:
	s_andn2_saveexec_b64 s[22:23], s[22:23]
; %bb.1262:
	v_add_f32_e32 v26, 0x43000000, v5
; %bb.1263:
	s_or_b64 exec, exec, s[22:23]
                                        ; implicit-def: $vgpr5
.LBB234_1264:
	s_andn2_saveexec_b64 s[20:21], s[20:21]
; %bb.1265:
	s_mov_b32 s22, 0x7f800000
	v_mov_b32_e32 v6, 0x7c
	v_mov_b32_e32 v7, 0x7f
	v_cmp_lt_u32_e32 vcc, s22, v5
	v_cndmask_b32_e32 v26, v6, v7, vcc
; %bb.1266:
	s_or_b64 exec, exec, s[20:21]
.LBB234_1267:
	s_andn2_saveexec_b64 s[18:19], s[18:19]
	s_cbranch_execz .LBB234_1277
; %bb.1268:
	flat_load_ushort v5, v[3:4]
	s_mov_b32 s20, 0x47800000
                                        ; implicit-def: $vgpr26
	s_waitcnt vmcnt(0) lgkmcnt(0)
	v_cvt_f32_u32_e32 v5, v5
	v_cmp_gt_u32_e32 vcc, s20, v5
	s_and_saveexec_b64 s[20:21], vcc
	s_xor_b64 s[20:21], exec, s[20:21]
	s_cbranch_execz .LBB234_1274
; %bb.1269:
	s_mov_b32 s22, 0x387fffff
	v_cmp_lt_u32_e32 vcc, s22, v5
                                        ; implicit-def: $vgpr26
	s_and_saveexec_b64 s[22:23], vcc
	s_xor_b64 s[22:23], exec, s[22:23]
; %bb.1270:
	v_bfe_u32 v6, v5, 21, 1
	s_mov_b32 s24, 0x80fffff
	v_add3_u32 v5, v5, v6, s24
	v_lshrrev_b32_e32 v26, 21, v5
                                        ; implicit-def: $vgpr5
; %bb.1271:
	s_andn2_saveexec_b64 s[22:23], s[22:23]
; %bb.1272:
	v_add_f32_e32 v26, 0x43000000, v5
; %bb.1273:
	s_or_b64 exec, exec, s[22:23]
                                        ; implicit-def: $vgpr5
.LBB234_1274:
	s_andn2_saveexec_b64 s[20:21], s[20:21]
; %bb.1275:
	s_mov_b32 s22, 0x7f800000
	v_mov_b32_e32 v6, 0x7c
	v_mov_b32_e32 v7, 0x7f
	v_cmp_lt_u32_e32 vcc, s22, v5
	v_cndmask_b32_e32 v26, v6, v7, vcc
; %bb.1276:
	s_or_b64 exec, exec, s[20:21]
.LBB234_1277:
	s_or_b64 exec, exec, s[18:19]
.LBB234_1278:
	s_andn2_saveexec_b64 s[16:17], s[16:17]
	s_cbranch_execz .LBB234_1294
; %bb.1279:
	flat_load_ubyte v6, v[3:4]
	s_movk_i32 s18, 0x7f
	s_waitcnt vmcnt(0) lgkmcnt(0)
	v_cmp_lt_i16_e32 vcc, s18, v6
	s_mov_b64 s[18:19], 0
	s_and_saveexec_b64 s[20:21], vcc
	s_xor_b64 s[20:21], exec, s[20:21]
	s_cbranch_execz .LBB234_2643
; %bb.1280:
	s_movk_i32 s18, 0x80
	v_cmp_eq_u16_e32 vcc, s18, v6
	s_mov_b64 s[18:19], -1
	s_and_saveexec_b64 s[22:23], vcc
; %bb.1281:
	s_xor_b64 s[18:19], exec, -1
; %bb.1282:
	s_or_b64 exec, exec, s[22:23]
	s_and_b64 s[18:19], s[18:19], exec
	s_or_saveexec_b64 s[20:21], s[20:21]
	v_mov_b32_e32 v5, 0x7f800001
	s_xor_b64 exec, exec, s[20:21]
	s_cbranch_execnz .LBB234_2644
.LBB234_1283:
	s_or_b64 exec, exec, s[20:21]
	s_and_saveexec_b64 s[20:21], s[18:19]
	s_cbranch_execz .LBB234_1285
.LBB234_1284:
	v_lshlrev_b32_e32 v5, 24, v6
	v_and_b32_e32 v6, 0xffff, v6
	v_and_b32_e32 v7, 7, v6
	v_ffbh_u32_e32 v9, v7
	v_min_u32_e32 v9, 32, v9
	v_subrev_u32_e32 v10, 28, v9
	v_bfe_u32 v8, v6, 3, 4
	v_lshlrev_b32_e32 v6, v10, v6
	v_sub_u32_e32 v9, 29, v9
	v_and_b32_e32 v6, 7, v6
	v_cmp_eq_u32_e32 vcc, 0, v8
	v_cndmask_b32_e32 v8, v8, v9, vcc
	v_cndmask_b32_e32 v6, v7, v6, vcc
	v_mov_b32_e32 v7, 0x3b800000
	v_lshlrev_b32_e32 v6, 20, v6
	v_and_b32_e32 v5, 0x80000000, v5
	v_lshl_add_u32 v7, v8, 23, v7
	v_or3_b32 v5, v5, v7, v6
.LBB234_1285:
	s_or_b64 exec, exec, s[20:21]
	v_and_b32_e32 v7, 0x7fffffff, v5
	s_mov_b32 s18, 0x47800000
	v_cmp_gt_u32_e32 vcc, s18, v7
                                        ; implicit-def: $vgpr6
	s_and_saveexec_b64 s[18:19], vcc
	s_xor_b64 s[18:19], exec, s[18:19]
	s_cbranch_execz .LBB234_1291
; %bb.1286:
	s_mov_b32 s20, 0x387fffff
	v_cmp_lt_u32_e32 vcc, s20, v7
                                        ; implicit-def: $vgpr6
	s_and_saveexec_b64 s[20:21], vcc
	s_xor_b64 s[20:21], exec, s[20:21]
; %bb.1287:
	v_bfe_u32 v6, v5, 21, 1
	s_mov_b32 s22, 0x80fffff
	v_add3_u32 v6, v5, v6, s22
	v_lshrrev_b32_e32 v6, 21, v6
; %bb.1288:
	s_andn2_saveexec_b64 s[20:21], s[20:21]
; %bb.1289:
	s_mov_b32 s22, 0x43000000
	v_add_f32_e64 v6, |v5|, s22
; %bb.1290:
	s_or_b64 exec, exec, s[20:21]
                                        ; implicit-def: $vgpr7
.LBB234_1291:
	s_andn2_saveexec_b64 s[18:19], s[18:19]
; %bb.1292:
	s_mov_b32 s20, 0x7f800000
	v_mov_b32_e32 v6, 0x7c
	v_mov_b32_e32 v8, 0x7f
	v_cmp_lt_u32_e32 vcc, s20, v7
	v_cndmask_b32_e32 v6, v6, v8, vcc
; %bb.1293:
	s_or_b64 exec, exec, s[18:19]
	v_lshrrev_b32_e32 v5, 24, v5
	s_movk_i32 s18, 0x80
	v_and_or_b32 v26, v5, s18, v6
.LBB234_1294:
	s_or_b64 exec, exec, s[16:17]
	s_or_b64 s[14:15], s[14:15], exec
.LBB234_1295:
	s_or_b64 exec, exec, s[10:11]
	s_and_b64 s[10:11], s[14:15], exec
	s_and_b64 s[12:13], s[12:13], exec
	s_andn2_saveexec_b64 s[8:9], s[8:9]
	s_cbranch_execnz .LBB234_2477
.LBB234_1296:
	s_or_b64 exec, exec, s[8:9]
	s_mov_b64 s[8:9], s[48:49]
	s_and_saveexec_b64 s[14:15], s[12:13]
	s_cbranch_execnz .LBB234_2526
.LBB234_1297:
	s_or_b64 exec, exec, s[14:15]
	s_and_saveexec_b64 s[12:13], s[6:7]
	s_cbranch_execz .LBB234_1307
.LBB234_1298:
	flat_load_ubyte v3, v[3:4]
	s_mov_b32 s6, 0x47800000
                                        ; implicit-def: $vgpr26
	s_waitcnt vmcnt(0) lgkmcnt(0)
	v_cmp_ne_u16_e32 vcc, 0, v3
	v_cndmask_b32_e64 v3, 0, 1.0, vcc
	v_cmp_gt_u32_e32 vcc, s6, v3
	s_and_saveexec_b64 s[6:7], vcc
	s_xor_b64 s[6:7], exec, s[6:7]
	s_cbranch_execz .LBB234_1304
; %bb.1299:
	s_mov_b32 s14, 0x387fffff
	v_cmp_lt_u32_e32 vcc, s14, v3
                                        ; implicit-def: $vgpr26
	s_and_saveexec_b64 s[14:15], vcc
	s_xor_b64 s[14:15], exec, s[14:15]
; %bb.1300:
	v_bfe_u32 v4, v3, 21, 1
	s_mov_b32 s16, 0x80fffff
	v_add3_u32 v3, v3, v4, s16
	v_lshrrev_b32_e32 v26, 21, v3
                                        ; implicit-def: $vgpr3
; %bb.1301:
	s_andn2_saveexec_b64 s[14:15], s[14:15]
; %bb.1302:
	v_add_f32_e32 v26, 0x43000000, v3
; %bb.1303:
	s_or_b64 exec, exec, s[14:15]
                                        ; implicit-def: $vgpr3
.LBB234_1304:
	s_andn2_saveexec_b64 s[6:7], s[6:7]
; %bb.1305:
	s_mov_b32 s14, 0x7f800000
	v_mov_b32_e32 v4, 0x7c
	v_mov_b32_e32 v5, 0x7f
	v_cmp_lt_u32_e32 vcc, s14, v3
	v_cndmask_b32_e32 v26, v4, v5, vcc
; %bb.1306:
	s_or_b64 exec, exec, s[6:7]
	s_or_b64 s[10:11], s[10:11], exec
.LBB234_1307:
	s_or_b64 exec, exec, s[12:13]
	s_andn2_b64 s[6:7], s[48:49], exec
	s_and_b64 s[8:9], s[8:9], exec
	s_or_b64 s[52:53], s[6:7], s[8:9]
	s_and_b64 s[6:7], s[10:11], exec
                                        ; implicit-def: $vgpr3_vgpr4
.LBB234_1308:
	s_andn2_saveexec_b64 s[4:5], s[4:5]
	s_cbranch_execz .LBB234_1438
; %bb.1309:
	v_cmp_lt_i16_e32 vcc, 4, v11
                                        ; implicit-def: $vgpr26
	s_and_saveexec_b64 s[8:9], vcc
	s_xor_b64 s[8:9], exec, s[8:9]
	s_cbranch_execz .LBB234_1379
; %bb.1310:
	v_cmp_lt_i16_e32 vcc, 7, v11
                                        ; implicit-def: $vgpr26
	s_and_saveexec_b64 s[10:11], vcc
	s_xor_b64 s[10:11], exec, s[10:11]
	;; [unrolled: 6-line block ×4, first 2 shown]
	s_cbranch_execz .LBB234_1322
; %bb.1313:
	flat_load_dwordx2 v[3:4], v[3:4]
	s_mov_b32 s16, 0x47800000
	s_waitcnt vmcnt(0) lgkmcnt(0)
	v_cvt_f32_f64_e32 v3, v[3:4]
                                        ; implicit-def: $vgpr4
	v_and_b32_e32 v5, 0x7fffffff, v3
	v_cmp_gt_u32_e32 vcc, s16, v5
	s_and_saveexec_b64 s[16:17], vcc
	s_xor_b64 s[16:17], exec, s[16:17]
	s_cbranch_execz .LBB234_1319
; %bb.1314:
	s_mov_b32 s18, 0x387fffff
	v_cmp_lt_u32_e32 vcc, s18, v5
                                        ; implicit-def: $vgpr4
	s_and_saveexec_b64 s[18:19], vcc
	s_xor_b64 s[18:19], exec, s[18:19]
; %bb.1315:
	v_bfe_u32 v4, v3, 21, 1
	s_mov_b32 s20, 0x80fffff
	v_add3_u32 v4, v3, v4, s20
	v_lshrrev_b32_e32 v4, 21, v4
; %bb.1316:
	s_andn2_saveexec_b64 s[18:19], s[18:19]
; %bb.1317:
	s_mov_b32 s20, 0x43000000
	v_add_f32_e64 v4, |v3|, s20
; %bb.1318:
	s_or_b64 exec, exec, s[18:19]
                                        ; implicit-def: $vgpr5
.LBB234_1319:
	s_andn2_saveexec_b64 s[16:17], s[16:17]
; %bb.1320:
	s_mov_b32 s18, 0x7f800000
	v_mov_b32_e32 v4, 0x7c
	v_mov_b32_e32 v6, 0x7f
	v_cmp_lt_u32_e32 vcc, s18, v5
	v_cndmask_b32_e32 v4, v4, v6, vcc
; %bb.1321:
	s_or_b64 exec, exec, s[16:17]
	v_lshrrev_b32_e32 v3, 24, v3
	s_movk_i32 s16, 0x80
	v_and_or_b32 v26, v3, s16, v4
                                        ; implicit-def: $vgpr3_vgpr4
.LBB234_1322:
	s_andn2_saveexec_b64 s[14:15], s[14:15]
	s_cbranch_execz .LBB234_1332
; %bb.1323:
	flat_load_dword v3, v[3:4]
	s_mov_b32 s16, 0x47800000
                                        ; implicit-def: $vgpr4
	s_waitcnt vmcnt(0) lgkmcnt(0)
	v_and_b32_e32 v5, 0x7fffffff, v3
	v_cmp_gt_u32_e32 vcc, s16, v5
	s_and_saveexec_b64 s[16:17], vcc
	s_xor_b64 s[16:17], exec, s[16:17]
	s_cbranch_execz .LBB234_1329
; %bb.1324:
	s_mov_b32 s18, 0x387fffff
	v_cmp_lt_u32_e32 vcc, s18, v5
                                        ; implicit-def: $vgpr4
	s_and_saveexec_b64 s[18:19], vcc
	s_xor_b64 s[18:19], exec, s[18:19]
; %bb.1325:
	v_bfe_u32 v4, v3, 21, 1
	s_mov_b32 s20, 0x80fffff
	v_add3_u32 v4, v3, v4, s20
	v_lshrrev_b32_e32 v4, 21, v4
; %bb.1326:
	s_andn2_saveexec_b64 s[18:19], s[18:19]
; %bb.1327:
	s_mov_b32 s20, 0x43000000
	v_add_f32_e64 v4, |v3|, s20
; %bb.1328:
	s_or_b64 exec, exec, s[18:19]
                                        ; implicit-def: $vgpr5
.LBB234_1329:
	s_andn2_saveexec_b64 s[16:17], s[16:17]
; %bb.1330:
	s_mov_b32 s18, 0x7f800000
	v_mov_b32_e32 v4, 0x7c
	v_mov_b32_e32 v6, 0x7f
	v_cmp_lt_u32_e32 vcc, s18, v5
	v_cndmask_b32_e32 v4, v4, v6, vcc
; %bb.1331:
	s_or_b64 exec, exec, s[16:17]
	v_lshrrev_b32_e32 v3, 24, v3
	s_movk_i32 s16, 0x80
	v_and_or_b32 v26, v3, s16, v4
.LBB234_1332:
	s_or_b64 exec, exec, s[14:15]
                                        ; implicit-def: $vgpr3_vgpr4
.LBB234_1333:
	s_andn2_saveexec_b64 s[12:13], s[12:13]
	s_cbranch_execz .LBB234_1343
; %bb.1334:
	flat_load_dword v3, v[3:4]
	s_mov_b32 s14, 0x47800000
                                        ; implicit-def: $vgpr4
	s_waitcnt vmcnt(0) lgkmcnt(0)
	v_cvt_f32_f16_e32 v3, v3
	v_and_b32_e32 v5, 0x7fffffff, v3
	v_cmp_gt_u32_e32 vcc, s14, v5
	s_and_saveexec_b64 s[14:15], vcc
	s_xor_b64 s[14:15], exec, s[14:15]
	s_cbranch_execz .LBB234_1340
; %bb.1335:
	s_mov_b32 s16, 0x387fffff
	v_cmp_lt_u32_e32 vcc, s16, v5
                                        ; implicit-def: $vgpr4
	s_and_saveexec_b64 s[16:17], vcc
	s_xor_b64 s[16:17], exec, s[16:17]
; %bb.1336:
	v_bfe_u32 v4, v3, 21, 1
	s_mov_b32 s18, 0x80fffff
	v_add3_u32 v4, v3, v4, s18
	v_lshrrev_b32_e32 v4, 21, v4
; %bb.1337:
	s_andn2_saveexec_b64 s[16:17], s[16:17]
; %bb.1338:
	s_mov_b32 s18, 0x43000000
	v_add_f32_e64 v4, |v3|, s18
; %bb.1339:
	s_or_b64 exec, exec, s[16:17]
                                        ; implicit-def: $vgpr5
.LBB234_1340:
	s_andn2_saveexec_b64 s[14:15], s[14:15]
; %bb.1341:
	s_mov_b32 s16, 0x7f800000
	v_mov_b32_e32 v4, 0x7c
	v_mov_b32_e32 v6, 0x7f
	v_cmp_lt_u32_e32 vcc, s16, v5
	v_cndmask_b32_e32 v4, v4, v6, vcc
; %bb.1342:
	s_or_b64 exec, exec, s[14:15]
	v_lshrrev_b32_e32 v3, 24, v3
	s_movk_i32 s14, 0x80
	v_and_or_b32 v26, v3, s14, v4
.LBB234_1343:
	s_or_b64 exec, exec, s[12:13]
                                        ; implicit-def: $vgpr3_vgpr4
.LBB234_1344:
	s_andn2_saveexec_b64 s[10:11], s[10:11]
	s_cbranch_execz .LBB234_1378
; %bb.1345:
	v_cmp_lt_i16_e32 vcc, 5, v11
                                        ; implicit-def: $vgpr26
	s_and_saveexec_b64 s[12:13], vcc
	s_xor_b64 s[12:13], exec, s[12:13]
	s_cbranch_execz .LBB234_1367
; %bb.1346:
	v_cmp_lt_i16_e32 vcc, 6, v11
                                        ; implicit-def: $vgpr26
	s_and_saveexec_b64 s[14:15], vcc
	s_xor_b64 s[14:15], exec, s[14:15]
	s_cbranch_execz .LBB234_1356
; %bb.1347:
	flat_load_dwordx2 v[3:4], v[3:4]
	s_mov_b32 s16, 0x47800000
	s_waitcnt vmcnt(0) lgkmcnt(0)
	v_cvt_f32_f64_e32 v3, v[3:4]
                                        ; implicit-def: $vgpr4
	v_and_b32_e32 v5, 0x7fffffff, v3
	v_cmp_gt_u32_e32 vcc, s16, v5
	s_and_saveexec_b64 s[16:17], vcc
	s_xor_b64 s[16:17], exec, s[16:17]
	s_cbranch_execz .LBB234_1353
; %bb.1348:
	s_mov_b32 s18, 0x387fffff
	v_cmp_lt_u32_e32 vcc, s18, v5
                                        ; implicit-def: $vgpr4
	s_and_saveexec_b64 s[18:19], vcc
	s_xor_b64 s[18:19], exec, s[18:19]
; %bb.1349:
	v_bfe_u32 v4, v3, 21, 1
	s_mov_b32 s20, 0x80fffff
	v_add3_u32 v4, v3, v4, s20
	v_lshrrev_b32_e32 v4, 21, v4
; %bb.1350:
	s_andn2_saveexec_b64 s[18:19], s[18:19]
; %bb.1351:
	s_mov_b32 s20, 0x43000000
	v_add_f32_e64 v4, |v3|, s20
; %bb.1352:
	s_or_b64 exec, exec, s[18:19]
                                        ; implicit-def: $vgpr5
.LBB234_1353:
	s_andn2_saveexec_b64 s[16:17], s[16:17]
; %bb.1354:
	s_mov_b32 s18, 0x7f800000
	v_mov_b32_e32 v4, 0x7c
	v_mov_b32_e32 v6, 0x7f
	v_cmp_lt_u32_e32 vcc, s18, v5
	v_cndmask_b32_e32 v4, v4, v6, vcc
; %bb.1355:
	s_or_b64 exec, exec, s[16:17]
	v_lshrrev_b32_e32 v3, 24, v3
	s_movk_i32 s16, 0x80
	v_and_or_b32 v26, v3, s16, v4
                                        ; implicit-def: $vgpr3_vgpr4
.LBB234_1356:
	s_andn2_saveexec_b64 s[14:15], s[14:15]
	s_cbranch_execz .LBB234_1366
; %bb.1357:
	flat_load_dword v3, v[3:4]
	s_mov_b32 s16, 0x47800000
                                        ; implicit-def: $vgpr4
	s_waitcnt vmcnt(0) lgkmcnt(0)
	v_and_b32_e32 v5, 0x7fffffff, v3
	v_cmp_gt_u32_e32 vcc, s16, v5
	s_and_saveexec_b64 s[16:17], vcc
	s_xor_b64 s[16:17], exec, s[16:17]
	s_cbranch_execz .LBB234_1363
; %bb.1358:
	s_mov_b32 s18, 0x387fffff
	v_cmp_lt_u32_e32 vcc, s18, v5
                                        ; implicit-def: $vgpr4
	s_and_saveexec_b64 s[18:19], vcc
	s_xor_b64 s[18:19], exec, s[18:19]
; %bb.1359:
	v_bfe_u32 v4, v3, 21, 1
	s_mov_b32 s20, 0x80fffff
	v_add3_u32 v4, v3, v4, s20
	v_lshrrev_b32_e32 v4, 21, v4
; %bb.1360:
	s_andn2_saveexec_b64 s[18:19], s[18:19]
; %bb.1361:
	s_mov_b32 s20, 0x43000000
	v_add_f32_e64 v4, |v3|, s20
; %bb.1362:
	s_or_b64 exec, exec, s[18:19]
                                        ; implicit-def: $vgpr5
.LBB234_1363:
	s_andn2_saveexec_b64 s[16:17], s[16:17]
; %bb.1364:
	s_mov_b32 s18, 0x7f800000
	v_mov_b32_e32 v4, 0x7c
	v_mov_b32_e32 v6, 0x7f
	v_cmp_lt_u32_e32 vcc, s18, v5
	v_cndmask_b32_e32 v4, v4, v6, vcc
; %bb.1365:
	s_or_b64 exec, exec, s[16:17]
	v_lshrrev_b32_e32 v3, 24, v3
	s_movk_i32 s16, 0x80
	v_and_or_b32 v26, v3, s16, v4
.LBB234_1366:
	s_or_b64 exec, exec, s[14:15]
                                        ; implicit-def: $vgpr3_vgpr4
.LBB234_1367:
	s_andn2_saveexec_b64 s[12:13], s[12:13]
	s_cbranch_execz .LBB234_1377
; %bb.1368:
	flat_load_ushort v3, v[3:4]
	s_mov_b32 s14, 0x47800000
                                        ; implicit-def: $vgpr4
	s_waitcnt vmcnt(0) lgkmcnt(0)
	v_cvt_f32_f16_e32 v3, v3
	v_and_b32_e32 v5, 0x7fffffff, v3
	v_cmp_gt_u32_e32 vcc, s14, v5
	s_and_saveexec_b64 s[14:15], vcc
	s_xor_b64 s[14:15], exec, s[14:15]
	s_cbranch_execz .LBB234_1374
; %bb.1369:
	s_mov_b32 s16, 0x387fffff
	v_cmp_lt_u32_e32 vcc, s16, v5
                                        ; implicit-def: $vgpr4
	s_and_saveexec_b64 s[16:17], vcc
	s_xor_b64 s[16:17], exec, s[16:17]
; %bb.1370:
	v_bfe_u32 v4, v3, 21, 1
	s_mov_b32 s18, 0x80fffff
	v_add3_u32 v4, v3, v4, s18
	v_lshrrev_b32_e32 v4, 21, v4
; %bb.1371:
	s_andn2_saveexec_b64 s[16:17], s[16:17]
; %bb.1372:
	s_mov_b32 s18, 0x43000000
	v_add_f32_e64 v4, |v3|, s18
; %bb.1373:
	s_or_b64 exec, exec, s[16:17]
                                        ; implicit-def: $vgpr5
.LBB234_1374:
	s_andn2_saveexec_b64 s[14:15], s[14:15]
; %bb.1375:
	s_mov_b32 s16, 0x7f800000
	v_mov_b32_e32 v4, 0x7c
	v_mov_b32_e32 v6, 0x7f
	v_cmp_lt_u32_e32 vcc, s16, v5
	v_cndmask_b32_e32 v4, v4, v6, vcc
; %bb.1376:
	s_or_b64 exec, exec, s[14:15]
	v_lshrrev_b32_e32 v3, 24, v3
	s_movk_i32 s14, 0x80
	v_and_or_b32 v26, v3, s14, v4
.LBB234_1377:
	s_or_b64 exec, exec, s[12:13]
.LBB234_1378:
	s_or_b64 exec, exec, s[10:11]
                                        ; implicit-def: $vgpr3_vgpr4
.LBB234_1379:
	s_andn2_saveexec_b64 s[8:9], s[8:9]
	s_cbranch_execz .LBB234_1437
; %bb.1380:
	v_cmp_lt_i16_e32 vcc, 1, v11
                                        ; implicit-def: $vgpr26
	s_and_saveexec_b64 s[10:11], vcc
	s_xor_b64 s[10:11], exec, s[10:11]
	s_cbranch_execz .LBB234_1414
; %bb.1381:
	v_cmp_lt_i16_e32 vcc, 2, v11
                                        ; implicit-def: $vgpr26
	s_and_saveexec_b64 s[12:13], vcc
	s_xor_b64 s[12:13], exec, s[12:13]
	;; [unrolled: 6-line block ×3, first 2 shown]
	s_cbranch_execz .LBB234_1392
; %bb.1383:
	flat_load_dwordx2 v[3:4], v[3:4]
	s_mov_b32 s16, 0x47800000
	s_waitcnt vmcnt(0) lgkmcnt(0)
	v_xor_b32_e32 v6, v3, v4
	v_ffbh_i32_e32 v5, v4
	v_ashrrev_i32_e32 v6, 31, v6
	v_add_u32_e32 v5, -1, v5
	v_add_u32_e32 v6, 32, v6
	v_min_u32_e32 v5, v5, v6
	v_lshlrev_b64 v[3:4], v5, v[3:4]
	v_min_u32_e32 v3, 1, v3
	v_or_b32_e32 v3, v4, v3
	v_cvt_f32_i32_e32 v3, v3
	v_sub_u32_e32 v4, 32, v5
	v_ldexp_f32 v3, v3, v4
	v_and_b32_e32 v5, 0x7fffffff, v3
	v_cmp_gt_u32_e32 vcc, s16, v5
                                        ; implicit-def: $vgpr4
	s_and_saveexec_b64 s[16:17], vcc
	s_xor_b64 s[16:17], exec, s[16:17]
	s_cbranch_execz .LBB234_1389
; %bb.1384:
	s_mov_b32 s18, 0x387fffff
	v_cmp_lt_u32_e32 vcc, s18, v5
                                        ; implicit-def: $vgpr4
	s_and_saveexec_b64 s[18:19], vcc
	s_xor_b64 s[18:19], exec, s[18:19]
; %bb.1385:
	v_bfe_u32 v4, v3, 21, 1
	s_mov_b32 s20, 0x80fffff
	v_add3_u32 v4, v3, v4, s20
	v_lshrrev_b32_e32 v4, 21, v4
; %bb.1386:
	s_andn2_saveexec_b64 s[18:19], s[18:19]
; %bb.1387:
	s_mov_b32 s20, 0x43000000
	v_add_f32_e64 v4, |v3|, s20
; %bb.1388:
	s_or_b64 exec, exec, s[18:19]
                                        ; implicit-def: $vgpr5
.LBB234_1389:
	s_andn2_saveexec_b64 s[16:17], s[16:17]
; %bb.1390:
	s_mov_b32 s18, 0x7f800000
	v_mov_b32_e32 v4, 0x7c
	v_mov_b32_e32 v6, 0x7f
	v_cmp_lt_u32_e32 vcc, s18, v5
	v_cndmask_b32_e32 v4, v4, v6, vcc
; %bb.1391:
	s_or_b64 exec, exec, s[16:17]
	v_lshrrev_b32_e32 v3, 24, v3
	s_movk_i32 s16, 0x80
	v_and_or_b32 v26, v3, s16, v4
                                        ; implicit-def: $vgpr3_vgpr4
.LBB234_1392:
	s_andn2_saveexec_b64 s[14:15], s[14:15]
	s_cbranch_execz .LBB234_1402
; %bb.1393:
	flat_load_dword v3, v[3:4]
	s_mov_b32 s16, 0x47800000
                                        ; implicit-def: $vgpr4
	s_waitcnt vmcnt(0) lgkmcnt(0)
	v_cvt_f32_i32_e32 v3, v3
	v_and_b32_e32 v5, 0x7fffffff, v3
	v_cmp_gt_u32_e32 vcc, s16, v5
	s_and_saveexec_b64 s[16:17], vcc
	s_xor_b64 s[16:17], exec, s[16:17]
	s_cbranch_execz .LBB234_1399
; %bb.1394:
	s_mov_b32 s18, 0x387fffff
	v_cmp_lt_u32_e32 vcc, s18, v5
                                        ; implicit-def: $vgpr4
	s_and_saveexec_b64 s[18:19], vcc
	s_xor_b64 s[18:19], exec, s[18:19]
; %bb.1395:
	v_bfe_u32 v4, v3, 21, 1
	s_mov_b32 s20, 0x80fffff
	v_add3_u32 v4, v3, v4, s20
	v_lshrrev_b32_e32 v4, 21, v4
; %bb.1396:
	s_andn2_saveexec_b64 s[18:19], s[18:19]
; %bb.1397:
	s_mov_b32 s20, 0x43000000
	v_add_f32_e64 v4, |v3|, s20
; %bb.1398:
	s_or_b64 exec, exec, s[18:19]
                                        ; implicit-def: $vgpr5
.LBB234_1399:
	s_andn2_saveexec_b64 s[16:17], s[16:17]
; %bb.1400:
	s_mov_b32 s18, 0x7f800000
	v_mov_b32_e32 v4, 0x7c
	v_mov_b32_e32 v6, 0x7f
	v_cmp_lt_u32_e32 vcc, s18, v5
	v_cndmask_b32_e32 v4, v4, v6, vcc
; %bb.1401:
	s_or_b64 exec, exec, s[16:17]
	v_lshrrev_b32_e32 v3, 24, v3
	s_movk_i32 s16, 0x80
	v_and_or_b32 v26, v3, s16, v4
.LBB234_1402:
	s_or_b64 exec, exec, s[14:15]
                                        ; implicit-def: $vgpr3_vgpr4
.LBB234_1403:
	s_andn2_saveexec_b64 s[12:13], s[12:13]
	s_cbranch_execz .LBB234_1413
; %bb.1404:
	flat_load_sshort v3, v[3:4]
	s_mov_b32 s14, 0x47800000
                                        ; implicit-def: $vgpr4
	s_waitcnt vmcnt(0) lgkmcnt(0)
	v_cvt_f32_i32_e32 v3, v3
	v_and_b32_e32 v5, 0x7fffffff, v3
	v_cmp_gt_u32_e32 vcc, s14, v5
	s_and_saveexec_b64 s[14:15], vcc
	s_xor_b64 s[14:15], exec, s[14:15]
	s_cbranch_execz .LBB234_1410
; %bb.1405:
	s_mov_b32 s16, 0x387fffff
	v_cmp_lt_u32_e32 vcc, s16, v5
                                        ; implicit-def: $vgpr4
	s_and_saveexec_b64 s[16:17], vcc
	s_xor_b64 s[16:17], exec, s[16:17]
; %bb.1406:
	v_bfe_u32 v4, v3, 21, 1
	s_mov_b32 s18, 0x80fffff
	v_add3_u32 v4, v3, v4, s18
	v_lshrrev_b32_e32 v4, 21, v4
; %bb.1407:
	s_andn2_saveexec_b64 s[16:17], s[16:17]
; %bb.1408:
	s_mov_b32 s18, 0x43000000
	v_add_f32_e64 v4, |v3|, s18
; %bb.1409:
	s_or_b64 exec, exec, s[16:17]
                                        ; implicit-def: $vgpr5
.LBB234_1410:
	s_andn2_saveexec_b64 s[14:15], s[14:15]
; %bb.1411:
	s_mov_b32 s16, 0x7f800000
	v_mov_b32_e32 v4, 0x7c
	v_mov_b32_e32 v6, 0x7f
	v_cmp_lt_u32_e32 vcc, s16, v5
	v_cndmask_b32_e32 v4, v4, v6, vcc
; %bb.1412:
	s_or_b64 exec, exec, s[14:15]
	v_lshrrev_b32_e32 v3, 24, v3
	s_movk_i32 s14, 0x80
	v_and_or_b32 v26, v3, s14, v4
.LBB234_1413:
	s_or_b64 exec, exec, s[12:13]
                                        ; implicit-def: $vgpr3_vgpr4
.LBB234_1414:
	s_andn2_saveexec_b64 s[10:11], s[10:11]
	s_cbranch_execz .LBB234_1436
; %bb.1415:
	v_cmp_lt_i16_e32 vcc, 0, v11
                                        ; implicit-def: $vgpr26
	s_and_saveexec_b64 s[12:13], vcc
	s_xor_b64 s[12:13], exec, s[12:13]
	s_cbranch_execz .LBB234_1425
; %bb.1416:
	flat_load_sbyte v3, v[3:4]
	s_mov_b32 s14, 0x47800000
                                        ; implicit-def: $vgpr4
	s_waitcnt vmcnt(0) lgkmcnt(0)
	v_cvt_f32_i32_e32 v3, v3
	v_and_b32_e32 v5, 0x7fffffff, v3
	v_cmp_gt_u32_e32 vcc, s14, v5
	s_and_saveexec_b64 s[14:15], vcc
	s_xor_b64 s[14:15], exec, s[14:15]
	s_cbranch_execz .LBB234_1422
; %bb.1417:
	s_mov_b32 s16, 0x387fffff
	v_cmp_lt_u32_e32 vcc, s16, v5
                                        ; implicit-def: $vgpr4
	s_and_saveexec_b64 s[16:17], vcc
	s_xor_b64 s[16:17], exec, s[16:17]
; %bb.1418:
	v_bfe_u32 v4, v3, 21, 1
	s_mov_b32 s18, 0x80fffff
	v_add3_u32 v4, v3, v4, s18
	v_lshrrev_b32_e32 v4, 21, v4
; %bb.1419:
	s_andn2_saveexec_b64 s[16:17], s[16:17]
; %bb.1420:
	s_mov_b32 s18, 0x43000000
	v_add_f32_e64 v4, |v3|, s18
; %bb.1421:
	s_or_b64 exec, exec, s[16:17]
                                        ; implicit-def: $vgpr5
.LBB234_1422:
	s_andn2_saveexec_b64 s[14:15], s[14:15]
; %bb.1423:
	s_mov_b32 s16, 0x7f800000
	v_mov_b32_e32 v4, 0x7c
	v_mov_b32_e32 v6, 0x7f
	v_cmp_lt_u32_e32 vcc, s16, v5
	v_cndmask_b32_e32 v4, v4, v6, vcc
; %bb.1424:
	s_or_b64 exec, exec, s[14:15]
	v_lshrrev_b32_e32 v3, 24, v3
	s_movk_i32 s14, 0x80
	v_and_or_b32 v26, v3, s14, v4
                                        ; implicit-def: $vgpr3_vgpr4
.LBB234_1425:
	s_andn2_saveexec_b64 s[12:13], s[12:13]
	s_cbranch_execz .LBB234_1435
; %bb.1426:
	flat_load_ubyte v3, v[3:4]
	s_mov_b32 s14, 0x47800000
                                        ; implicit-def: $vgpr26
	s_waitcnt vmcnt(0) lgkmcnt(0)
	v_cvt_f32_ubyte0_e32 v3, v3
	v_cmp_gt_u32_e32 vcc, s14, v3
	s_and_saveexec_b64 s[14:15], vcc
	s_xor_b64 s[14:15], exec, s[14:15]
	s_cbranch_execz .LBB234_1432
; %bb.1427:
	s_mov_b32 s16, 0x387fffff
	v_cmp_lt_u32_e32 vcc, s16, v3
                                        ; implicit-def: $vgpr26
	s_and_saveexec_b64 s[16:17], vcc
	s_xor_b64 s[16:17], exec, s[16:17]
; %bb.1428:
	v_bfe_u32 v4, v3, 21, 1
	s_mov_b32 s18, 0x80fffff
	v_add3_u32 v3, v3, v4, s18
	v_lshrrev_b32_e32 v26, 21, v3
                                        ; implicit-def: $vgpr3
; %bb.1429:
	s_andn2_saveexec_b64 s[16:17], s[16:17]
; %bb.1430:
	v_add_f32_e32 v26, 0x43000000, v3
; %bb.1431:
	s_or_b64 exec, exec, s[16:17]
                                        ; implicit-def: $vgpr3
.LBB234_1432:
	s_andn2_saveexec_b64 s[14:15], s[14:15]
; %bb.1433:
	s_mov_b32 s16, 0x7f800000
	v_mov_b32_e32 v4, 0x7c
	v_mov_b32_e32 v5, 0x7f
	v_cmp_lt_u32_e32 vcc, s16, v3
	v_cndmask_b32_e32 v26, v4, v5, vcc
; %bb.1434:
	s_or_b64 exec, exec, s[14:15]
.LBB234_1435:
	s_or_b64 exec, exec, s[12:13]
.LBB234_1436:
	s_or_b64 exec, exec, s[10:11]
.LBB234_1437:
	s_or_b64 exec, exec, s[8:9]
	s_or_b64 s[6:7], s[6:7], exec
.LBB234_1438:
	s_or_b64 exec, exec, s[4:5]
	s_mov_b64 s[4:5], 0
	s_mov_b64 s[8:9], 0
	;; [unrolled: 1-line block ×3, first 2 shown]
                                        ; implicit-def: $sgpr10_sgpr11
                                        ; implicit-def: $vgpr9_vgpr10
                                        ; implicit-def: $vgpr3
	s_and_saveexec_b64 s[54:55], s[6:7]
	s_cbranch_execz .LBB234_2188
; %bb.1439:
	v_add_co_u32_e32 v1, vcc, v1, v2
	v_addc_co_u32_e32 v2, vcc, 0, v24, vcc
	v_cmp_lt_i16_e32 vcc, 10, v12
	s_mov_b64 s[6:7], 0
	s_mov_b64 s[56:57], s[52:53]
                                        ; implicit-def: $vgpr24
	s_and_saveexec_b64 s[4:5], vcc
	s_xor_b64 s[4:5], exec, s[4:5]
	s_cbranch_execz .LBB234_1534
; %bb.1440:
	v_cmp_lt_i16_e32 vcc, 25, v12
	s_mov_b64 s[10:11], 0
                                        ; implicit-def: $vgpr24
	s_and_saveexec_b64 s[8:9], vcc
	s_xor_b64 s[8:9], exec, s[8:9]
	s_cbranch_execz .LBB234_2529
; %bb.1441:
	v_cmp_lt_i16_e32 vcc, 28, v12
	;; [unrolled: 7-line block ×3, first 2 shown]
	s_mov_b64 s[16:17], 0
	s_mov_b64 s[18:19], 0
                                        ; implicit-def: $vgpr24
	s_and_saveexec_b64 s[12:13], vcc
	s_xor_b64 s[12:13], exec, s[12:13]
	s_cbranch_execz .LBB234_1468
; %bb.1443:
	v_cmp_lt_i16_e32 vcc, 45, v12
                                        ; implicit-def: $vgpr24
	s_and_saveexec_b64 s[18:19], vcc
	s_xor_b64 s[18:19], exec, s[18:19]
	s_cbranch_execz .LBB234_1455
; %bb.1444:
	v_cmp_eq_u16_e32 vcc, 46, v12
	s_mov_b64 s[20:21], -1
                                        ; implicit-def: $vgpr24
	s_and_saveexec_b64 s[14:15], vcc
	s_cbranch_execz .LBB234_1454
; %bb.1445:
	flat_load_dword v3, v[1:2]
	s_mov_b32 s16, 0x47800000
                                        ; implicit-def: $vgpr4
	s_waitcnt vmcnt(0) lgkmcnt(0)
	v_lshlrev_b32_e32 v3, 16, v3
	v_and_b32_e32 v5, 0x7fffffff, v3
	v_cmp_gt_u32_e32 vcc, s16, v5
	s_and_saveexec_b64 s[16:17], vcc
	s_xor_b64 s[16:17], exec, s[16:17]
	s_cbranch_execz .LBB234_1451
; %bb.1446:
	s_mov_b32 s20, 0x387fffff
	v_cmp_lt_u32_e32 vcc, s20, v5
                                        ; implicit-def: $vgpr4
	s_and_saveexec_b64 s[20:21], vcc
	s_xor_b64 s[20:21], exec, s[20:21]
; %bb.1447:
	v_bfe_u32 v4, v3, 21, 1
	s_mov_b32 s22, 0x80fffff
	v_add3_u32 v4, v3, v4, s22
	v_lshrrev_b32_e32 v4, 21, v4
; %bb.1448:
	s_andn2_saveexec_b64 s[20:21], s[20:21]
; %bb.1449:
	s_mov_b32 s22, 0x43000000
	v_add_f32_e64 v4, |v3|, s22
; %bb.1450:
	s_or_b64 exec, exec, s[20:21]
                                        ; implicit-def: $vgpr5
.LBB234_1451:
	s_andn2_saveexec_b64 s[16:17], s[16:17]
; %bb.1452:
	s_mov_b32 s20, 0x7f800000
	v_mov_b32_e32 v4, 0x7c
	v_mov_b32_e32 v6, 0x7f
	v_cmp_lt_u32_e32 vcc, s20, v5
	v_cndmask_b32_e32 v4, v4, v6, vcc
; %bb.1453:
	s_or_b64 exec, exec, s[16:17]
	v_lshrrev_b32_e32 v3, 24, v3
	s_movk_i32 s20, 0x80
	s_mov_b64 s[16:17], exec
	v_and_or_b32 v24, v3, s20, v4
	s_xor_b64 s[20:21], exec, -1
.LBB234_1454:
	s_or_b64 exec, exec, s[14:15]
	s_and_b64 s[16:17], s[16:17], exec
	s_and_b64 s[14:15], s[20:21], exec
                                        ; implicit-def: $vgpr12
.LBB234_1455:
	s_andn2_saveexec_b64 s[18:19], s[18:19]
	s_cbranch_execz .LBB234_1467
; %bb.1456:
	v_cmp_eq_u16_e32 vcc, 44, v12
	s_mov_b64 s[22:23], -1
	s_mov_b64 s[24:25], s[16:17]
                                        ; implicit-def: $vgpr24
	s_and_saveexec_b64 s[20:21], vcc
	s_cbranch_execz .LBB234_1466
; %bb.1457:
	flat_load_ubyte v3, v[1:2]
	s_movk_i32 s22, 0xff
	v_mov_b32_e32 v4, 0x7f800001
	v_mov_b32_e32 v5, 0x400000
                                        ; implicit-def: $vgpr24
	s_waitcnt vmcnt(0) lgkmcnt(0)
	v_lshlrev_b32_e32 v6, 23, v3
	v_cmp_ne_u32_e32 vcc, s22, v3
	v_cndmask_b32_e32 v4, v4, v6, vcc
	v_cmp_ne_u32_e32 vcc, 0, v3
	v_cndmask_b32_e32 v3, v5, v4, vcc
	s_mov_b32 s22, 0x47800000
	v_cmp_gt_u32_e32 vcc, s22, v3
	s_and_saveexec_b64 s[22:23], vcc
	s_xor_b64 s[22:23], exec, s[22:23]
	s_cbranch_execz .LBB234_1463
; %bb.1458:
	s_mov_b32 s24, 0x387fffff
	v_cmp_lt_u32_e32 vcc, s24, v3
                                        ; implicit-def: $vgpr24
	s_and_saveexec_b64 s[24:25], vcc
	s_xor_b64 s[24:25], exec, s[24:25]
; %bb.1459:
	v_bfe_u32 v4, v3, 21, 1
	s_mov_b32 s28, 0x80fffff
	v_add3_u32 v3, v3, v4, s28
	v_lshrrev_b32_e32 v24, 21, v3
                                        ; implicit-def: $vgpr3
; %bb.1460:
	s_andn2_saveexec_b64 s[24:25], s[24:25]
; %bb.1461:
	v_add_f32_e32 v24, 0x43000000, v3
; %bb.1462:
	s_or_b64 exec, exec, s[24:25]
                                        ; implicit-def: $vgpr3
.LBB234_1463:
	s_andn2_saveexec_b64 s[22:23], s[22:23]
; %bb.1464:
	s_mov_b32 s24, 0x7f800000
	v_mov_b32_e32 v4, 0x7c
	v_mov_b32_e32 v5, 0x7f
	v_cmp_lt_u32_e32 vcc, s24, v3
	v_cndmask_b32_e32 v24, v4, v5, vcc
; %bb.1465:
	s_or_b64 exec, exec, s[22:23]
	s_or_b64 s[24:25], s[16:17], exec
	s_xor_b64 s[22:23], exec, -1
.LBB234_1466:
	s_or_b64 exec, exec, s[20:21]
	s_andn2_b64 s[16:17], s[16:17], exec
	s_and_b64 s[20:21], s[24:25], exec
	s_or_b64 s[16:17], s[16:17], s[20:21]
	s_andn2_b64 s[14:15], s[14:15], exec
	s_and_b64 s[20:21], s[22:23], exec
	s_or_b64 s[14:15], s[14:15], s[20:21]
.LBB234_1467:
	s_or_b64 exec, exec, s[18:19]
	s_and_b64 s[18:19], s[16:17], exec
	s_and_b64 s[16:17], s[14:15], exec
                                        ; implicit-def: $vgpr12
.LBB234_1468:
	s_andn2_saveexec_b64 s[12:13], s[12:13]
	s_cbranch_execz .LBB234_1480
; %bb.1469:
	v_cmp_eq_u16_e32 vcc, 29, v12
	s_mov_b64 s[20:21], -1
	s_mov_b64 s[22:23], s[18:19]
                                        ; implicit-def: $vgpr24
	s_and_saveexec_b64 s[14:15], vcc
	s_cbranch_execz .LBB234_1479
; %bb.1470:
	flat_load_dwordx2 v[3:4], v[1:2]
	s_mov_b32 s20, 0x47800000
                                        ; implicit-def: $vgpr24
	s_waitcnt vmcnt(0) lgkmcnt(0)
	v_ffbh_u32_e32 v5, v4
	v_min_u32_e32 v5, 32, v5
	v_lshlrev_b64 v[3:4], v5, v[3:4]
	v_min_u32_e32 v3, 1, v3
	v_or_b32_e32 v3, v4, v3
	v_cvt_f32_u32_e32 v3, v3
	v_sub_u32_e32 v4, 32, v5
	v_ldexp_f32 v3, v3, v4
	v_cmp_gt_u32_e32 vcc, s20, v3
	s_and_saveexec_b64 s[20:21], vcc
	s_xor_b64 s[20:21], exec, s[20:21]
	s_cbranch_execz .LBB234_1476
; %bb.1471:
	s_mov_b32 s22, 0x387fffff
	v_cmp_lt_u32_e32 vcc, s22, v3
                                        ; implicit-def: $vgpr24
	s_and_saveexec_b64 s[22:23], vcc
	s_xor_b64 s[22:23], exec, s[22:23]
; %bb.1472:
	v_bfe_u32 v4, v3, 21, 1
	s_mov_b32 s24, 0x80fffff
	v_add3_u32 v3, v3, v4, s24
	v_lshrrev_b32_e32 v24, 21, v3
                                        ; implicit-def: $vgpr3
; %bb.1473:
	s_andn2_saveexec_b64 s[22:23], s[22:23]
; %bb.1474:
	v_add_f32_e32 v24, 0x43000000, v3
; %bb.1475:
	s_or_b64 exec, exec, s[22:23]
                                        ; implicit-def: $vgpr3
.LBB234_1476:
	s_andn2_saveexec_b64 s[20:21], s[20:21]
; %bb.1477:
	s_mov_b32 s22, 0x7f800000
	v_mov_b32_e32 v4, 0x7c
	v_mov_b32_e32 v5, 0x7f
	v_cmp_lt_u32_e32 vcc, s22, v3
	v_cndmask_b32_e32 v24, v4, v5, vcc
; %bb.1478:
	s_or_b64 exec, exec, s[20:21]
	s_or_b64 s[22:23], s[18:19], exec
	s_xor_b64 s[20:21], exec, -1
.LBB234_1479:
	s_or_b64 exec, exec, s[14:15]
	s_andn2_b64 s[14:15], s[18:19], exec
	s_and_b64 s[18:19], s[22:23], exec
	s_or_b64 s[18:19], s[14:15], s[18:19]
	s_andn2_b64 s[14:15], s[16:17], exec
	s_and_b64 s[16:17], s[20:21], exec
	s_or_b64 s[16:17], s[14:15], s[16:17]
.LBB234_1480:
	s_or_b64 exec, exec, s[12:13]
	s_and_b64 s[14:15], s[18:19], exec
	s_and_b64 s[12:13], s[16:17], exec
                                        ; implicit-def: $vgpr12
.LBB234_1481:
	s_andn2_saveexec_b64 s[10:11], s[10:11]
	s_cbranch_execz .LBB234_1521
; %bb.1482:
	v_cmp_lt_i16_e32 vcc, 26, v12
                                        ; implicit-def: $vgpr24
	s_and_saveexec_b64 s[16:17], vcc
	s_xor_b64 s[16:17], exec, s[16:17]
	s_cbranch_execz .LBB234_1504
; %bb.1483:
	v_cmp_lt_i16_e32 vcc, 27, v12
                                        ; implicit-def: $vgpr24
	s_and_saveexec_b64 s[18:19], vcc
	s_xor_b64 s[18:19], exec, s[18:19]
	s_cbranch_execz .LBB234_1493
; %bb.1484:
	flat_load_dword v3, v[1:2]
	s_mov_b32 s20, 0x47800000
                                        ; implicit-def: $vgpr24
	s_waitcnt vmcnt(0) lgkmcnt(0)
	v_cvt_f32_u32_e32 v3, v3
	v_cmp_gt_u32_e32 vcc, s20, v3
	s_and_saveexec_b64 s[20:21], vcc
	s_xor_b64 s[20:21], exec, s[20:21]
	s_cbranch_execz .LBB234_1490
; %bb.1485:
	s_mov_b32 s22, 0x387fffff
	v_cmp_lt_u32_e32 vcc, s22, v3
                                        ; implicit-def: $vgpr24
	s_and_saveexec_b64 s[22:23], vcc
	s_xor_b64 s[22:23], exec, s[22:23]
; %bb.1486:
	v_bfe_u32 v4, v3, 21, 1
	s_mov_b32 s24, 0x80fffff
	v_add3_u32 v3, v3, v4, s24
	v_lshrrev_b32_e32 v24, 21, v3
                                        ; implicit-def: $vgpr3
; %bb.1487:
	s_andn2_saveexec_b64 s[22:23], s[22:23]
; %bb.1488:
	v_add_f32_e32 v24, 0x43000000, v3
; %bb.1489:
	s_or_b64 exec, exec, s[22:23]
                                        ; implicit-def: $vgpr3
.LBB234_1490:
	s_andn2_saveexec_b64 s[20:21], s[20:21]
; %bb.1491:
	s_mov_b32 s22, 0x7f800000
	v_mov_b32_e32 v4, 0x7c
	v_mov_b32_e32 v5, 0x7f
	v_cmp_lt_u32_e32 vcc, s22, v3
	v_cndmask_b32_e32 v24, v4, v5, vcc
; %bb.1492:
	s_or_b64 exec, exec, s[20:21]
.LBB234_1493:
	s_andn2_saveexec_b64 s[18:19], s[18:19]
	s_cbranch_execz .LBB234_1503
; %bb.1494:
	flat_load_ushort v3, v[1:2]
	s_mov_b32 s20, 0x47800000
                                        ; implicit-def: $vgpr24
	s_waitcnt vmcnt(0) lgkmcnt(0)
	v_cvt_f32_u32_e32 v3, v3
	v_cmp_gt_u32_e32 vcc, s20, v3
	s_and_saveexec_b64 s[20:21], vcc
	s_xor_b64 s[20:21], exec, s[20:21]
	s_cbranch_execz .LBB234_1500
; %bb.1495:
	s_mov_b32 s22, 0x387fffff
	v_cmp_lt_u32_e32 vcc, s22, v3
                                        ; implicit-def: $vgpr24
	s_and_saveexec_b64 s[22:23], vcc
	s_xor_b64 s[22:23], exec, s[22:23]
; %bb.1496:
	v_bfe_u32 v4, v3, 21, 1
	s_mov_b32 s24, 0x80fffff
	v_add3_u32 v3, v3, v4, s24
	v_lshrrev_b32_e32 v24, 21, v3
                                        ; implicit-def: $vgpr3
; %bb.1497:
	s_andn2_saveexec_b64 s[22:23], s[22:23]
; %bb.1498:
	v_add_f32_e32 v24, 0x43000000, v3
; %bb.1499:
	s_or_b64 exec, exec, s[22:23]
                                        ; implicit-def: $vgpr3
.LBB234_1500:
	s_andn2_saveexec_b64 s[20:21], s[20:21]
; %bb.1501:
	s_mov_b32 s22, 0x7f800000
	v_mov_b32_e32 v4, 0x7c
	v_mov_b32_e32 v5, 0x7f
	v_cmp_lt_u32_e32 vcc, s22, v3
	v_cndmask_b32_e32 v24, v4, v5, vcc
; %bb.1502:
	s_or_b64 exec, exec, s[20:21]
.LBB234_1503:
	s_or_b64 exec, exec, s[18:19]
.LBB234_1504:
	s_andn2_saveexec_b64 s[16:17], s[16:17]
	s_cbranch_execz .LBB234_1520
; %bb.1505:
	flat_load_ubyte v4, v[1:2]
	s_movk_i32 s18, 0x7f
	s_waitcnt vmcnt(0) lgkmcnt(0)
	v_cmp_lt_i16_e32 vcc, s18, v4
	s_mov_b64 s[18:19], 0
	s_and_saveexec_b64 s[20:21], vcc
	s_xor_b64 s[20:21], exec, s[20:21]
	s_cbranch_execz .LBB234_2694
; %bb.1506:
	s_movk_i32 s18, 0x80
	v_cmp_eq_u16_e32 vcc, s18, v4
	s_mov_b64 s[18:19], -1
	s_and_saveexec_b64 s[22:23], vcc
; %bb.1507:
	s_xor_b64 s[18:19], exec, -1
; %bb.1508:
	s_or_b64 exec, exec, s[22:23]
	s_and_b64 s[18:19], s[18:19], exec
	s_or_saveexec_b64 s[20:21], s[20:21]
	v_mov_b32_e32 v3, 0x7f800001
	s_xor_b64 exec, exec, s[20:21]
	s_cbranch_execnz .LBB234_2695
.LBB234_1509:
	s_or_b64 exec, exec, s[20:21]
	s_and_saveexec_b64 s[20:21], s[18:19]
	s_cbranch_execz .LBB234_1511
.LBB234_1510:
	v_lshlrev_b32_e32 v3, 24, v4
	v_and_b32_e32 v4, 0xffff, v4
	v_and_b32_e32 v5, 7, v4
	v_ffbh_u32_e32 v7, v5
	v_min_u32_e32 v7, 32, v7
	v_subrev_u32_e32 v8, 28, v7
	v_bfe_u32 v6, v4, 3, 4
	v_lshlrev_b32_e32 v4, v8, v4
	v_sub_u32_e32 v7, 29, v7
	v_and_b32_e32 v4, 7, v4
	v_cmp_eq_u32_e32 vcc, 0, v6
	v_cndmask_b32_e32 v6, v6, v7, vcc
	v_cndmask_b32_e32 v4, v5, v4, vcc
	v_mov_b32_e32 v5, 0x3b800000
	v_lshlrev_b32_e32 v4, 20, v4
	v_and_b32_e32 v3, 0x80000000, v3
	v_lshl_add_u32 v5, v6, 23, v5
	v_or3_b32 v3, v3, v5, v4
.LBB234_1511:
	s_or_b64 exec, exec, s[20:21]
	v_and_b32_e32 v5, 0x7fffffff, v3
	s_mov_b32 s18, 0x47800000
	v_cmp_gt_u32_e32 vcc, s18, v5
                                        ; implicit-def: $vgpr4
	s_and_saveexec_b64 s[18:19], vcc
	s_xor_b64 s[18:19], exec, s[18:19]
	s_cbranch_execz .LBB234_1517
; %bb.1512:
	s_mov_b32 s20, 0x387fffff
	v_cmp_lt_u32_e32 vcc, s20, v5
                                        ; implicit-def: $vgpr4
	s_and_saveexec_b64 s[20:21], vcc
	s_xor_b64 s[20:21], exec, s[20:21]
; %bb.1513:
	v_bfe_u32 v4, v3, 21, 1
	s_mov_b32 s22, 0x80fffff
	v_add3_u32 v4, v3, v4, s22
	v_lshrrev_b32_e32 v4, 21, v4
; %bb.1514:
	s_andn2_saveexec_b64 s[20:21], s[20:21]
; %bb.1515:
	s_mov_b32 s22, 0x43000000
	v_add_f32_e64 v4, |v3|, s22
; %bb.1516:
	s_or_b64 exec, exec, s[20:21]
                                        ; implicit-def: $vgpr5
.LBB234_1517:
	s_andn2_saveexec_b64 s[18:19], s[18:19]
; %bb.1518:
	s_mov_b32 s20, 0x7f800000
	v_mov_b32_e32 v4, 0x7c
	v_mov_b32_e32 v6, 0x7f
	v_cmp_lt_u32_e32 vcc, s20, v5
	v_cndmask_b32_e32 v4, v4, v6, vcc
; %bb.1519:
	s_or_b64 exec, exec, s[18:19]
	v_lshrrev_b32_e32 v3, 24, v3
	s_movk_i32 s18, 0x80
	v_and_or_b32 v24, v3, s18, v4
.LBB234_1520:
	s_or_b64 exec, exec, s[16:17]
	s_or_b64 s[14:15], s[14:15], exec
.LBB234_1521:
	s_or_b64 exec, exec, s[10:11]
	s_and_b64 s[10:11], s[14:15], exec
	s_and_b64 s[12:13], s[12:13], exec
                                        ; implicit-def: $vgpr12
	s_andn2_saveexec_b64 s[8:9], s[8:9]
	s_cbranch_execnz .LBB234_2530
.LBB234_1522:
	s_or_b64 exec, exec, s[8:9]
	s_mov_b64 s[8:9], s[52:53]
	s_and_saveexec_b64 s[14:15], s[12:13]
	s_cbranch_execnz .LBB234_2579
.LBB234_1523:
	s_or_b64 exec, exec, s[14:15]
	s_and_saveexec_b64 s[12:13], s[6:7]
	s_cbranch_execz .LBB234_1533
.LBB234_1524:
	flat_load_ubyte v1, v[1:2]
	s_mov_b32 s6, 0x47800000
                                        ; implicit-def: $vgpr24
	s_waitcnt vmcnt(0) lgkmcnt(0)
	v_cmp_ne_u16_e32 vcc, 0, v1
	v_cndmask_b32_e64 v1, 0, 1.0, vcc
	v_cmp_gt_u32_e32 vcc, s6, v1
	s_and_saveexec_b64 s[6:7], vcc
	s_xor_b64 s[6:7], exec, s[6:7]
	s_cbranch_execz .LBB234_1530
; %bb.1525:
	s_mov_b32 s14, 0x387fffff
	v_cmp_lt_u32_e32 vcc, s14, v1
                                        ; implicit-def: $vgpr24
	s_and_saveexec_b64 s[14:15], vcc
	s_xor_b64 s[14:15], exec, s[14:15]
; %bb.1526:
	v_bfe_u32 v2, v1, 21, 1
	s_mov_b32 s16, 0x80fffff
	v_add3_u32 v1, v1, v2, s16
	v_lshrrev_b32_e32 v24, 21, v1
                                        ; implicit-def: $vgpr1
; %bb.1527:
	s_andn2_saveexec_b64 s[14:15], s[14:15]
; %bb.1528:
	v_add_f32_e32 v24, 0x43000000, v1
; %bb.1529:
	s_or_b64 exec, exec, s[14:15]
                                        ; implicit-def: $vgpr1
.LBB234_1530:
	s_andn2_saveexec_b64 s[6:7], s[6:7]
; %bb.1531:
	s_mov_b32 s14, 0x7f800000
	v_mov_b32_e32 v2, 0x7c
	v_mov_b32_e32 v3, 0x7f
	v_cmp_lt_u32_e32 vcc, s14, v1
	v_cndmask_b32_e32 v24, v2, v3, vcc
; %bb.1532:
	s_or_b64 exec, exec, s[6:7]
	s_or_b64 s[10:11], s[10:11], exec
.LBB234_1533:
	s_or_b64 exec, exec, s[12:13]
	s_andn2_b64 s[6:7], s[52:53], exec
	s_and_b64 s[8:9], s[8:9], exec
	s_or_b64 s[56:57], s[6:7], s[8:9]
	s_and_b64 s[6:7], s[10:11], exec
                                        ; implicit-def: $vgpr12
                                        ; implicit-def: $vgpr1_vgpr2
.LBB234_1534:
	s_andn2_saveexec_b64 s[4:5], s[4:5]
	s_cbranch_execz .LBB234_1664
; %bb.1535:
	v_cmp_lt_i16_e32 vcc, 4, v12
                                        ; implicit-def: $vgpr24
	s_and_saveexec_b64 s[8:9], vcc
	s_xor_b64 s[8:9], exec, s[8:9]
	s_cbranch_execz .LBB234_1605
; %bb.1536:
	v_cmp_lt_i16_e32 vcc, 7, v12
                                        ; implicit-def: $vgpr24
	s_and_saveexec_b64 s[10:11], vcc
	s_xor_b64 s[10:11], exec, s[10:11]
	;; [unrolled: 6-line block ×4, first 2 shown]
	s_cbranch_execz .LBB234_1548
; %bb.1539:
	flat_load_dwordx2 v[1:2], v[1:2]
	s_mov_b32 s16, 0x47800000
	s_waitcnt vmcnt(0) lgkmcnt(0)
	v_cvt_f32_f64_e32 v1, v[1:2]
                                        ; implicit-def: $vgpr2
	v_and_b32_e32 v3, 0x7fffffff, v1
	v_cmp_gt_u32_e32 vcc, s16, v3
	s_and_saveexec_b64 s[16:17], vcc
	s_xor_b64 s[16:17], exec, s[16:17]
	s_cbranch_execz .LBB234_1545
; %bb.1540:
	s_mov_b32 s18, 0x387fffff
	v_cmp_lt_u32_e32 vcc, s18, v3
                                        ; implicit-def: $vgpr2
	s_and_saveexec_b64 s[18:19], vcc
	s_xor_b64 s[18:19], exec, s[18:19]
; %bb.1541:
	v_bfe_u32 v2, v1, 21, 1
	s_mov_b32 s20, 0x80fffff
	v_add3_u32 v2, v1, v2, s20
	v_lshrrev_b32_e32 v2, 21, v2
; %bb.1542:
	s_andn2_saveexec_b64 s[18:19], s[18:19]
; %bb.1543:
	s_mov_b32 s20, 0x43000000
	v_add_f32_e64 v2, |v1|, s20
; %bb.1544:
	s_or_b64 exec, exec, s[18:19]
                                        ; implicit-def: $vgpr3
.LBB234_1545:
	s_andn2_saveexec_b64 s[16:17], s[16:17]
; %bb.1546:
	s_mov_b32 s18, 0x7f800000
	v_mov_b32_e32 v2, 0x7c
	v_mov_b32_e32 v4, 0x7f
	v_cmp_lt_u32_e32 vcc, s18, v3
	v_cndmask_b32_e32 v2, v2, v4, vcc
; %bb.1547:
	s_or_b64 exec, exec, s[16:17]
	v_lshrrev_b32_e32 v1, 24, v1
	s_movk_i32 s16, 0x80
	v_and_or_b32 v24, v1, s16, v2
                                        ; implicit-def: $vgpr1_vgpr2
.LBB234_1548:
	s_andn2_saveexec_b64 s[14:15], s[14:15]
	s_cbranch_execz .LBB234_1558
; %bb.1549:
	flat_load_dword v1, v[1:2]
	s_mov_b32 s16, 0x47800000
                                        ; implicit-def: $vgpr2
	s_waitcnt vmcnt(0) lgkmcnt(0)
	v_and_b32_e32 v3, 0x7fffffff, v1
	v_cmp_gt_u32_e32 vcc, s16, v3
	s_and_saveexec_b64 s[16:17], vcc
	s_xor_b64 s[16:17], exec, s[16:17]
	s_cbranch_execz .LBB234_1555
; %bb.1550:
	s_mov_b32 s18, 0x387fffff
	v_cmp_lt_u32_e32 vcc, s18, v3
                                        ; implicit-def: $vgpr2
	s_and_saveexec_b64 s[18:19], vcc
	s_xor_b64 s[18:19], exec, s[18:19]
; %bb.1551:
	v_bfe_u32 v2, v1, 21, 1
	s_mov_b32 s20, 0x80fffff
	v_add3_u32 v2, v1, v2, s20
	v_lshrrev_b32_e32 v2, 21, v2
; %bb.1552:
	s_andn2_saveexec_b64 s[18:19], s[18:19]
; %bb.1553:
	s_mov_b32 s20, 0x43000000
	v_add_f32_e64 v2, |v1|, s20
; %bb.1554:
	s_or_b64 exec, exec, s[18:19]
                                        ; implicit-def: $vgpr3
.LBB234_1555:
	s_andn2_saveexec_b64 s[16:17], s[16:17]
; %bb.1556:
	s_mov_b32 s18, 0x7f800000
	v_mov_b32_e32 v2, 0x7c
	v_mov_b32_e32 v4, 0x7f
	v_cmp_lt_u32_e32 vcc, s18, v3
	v_cndmask_b32_e32 v2, v2, v4, vcc
; %bb.1557:
	s_or_b64 exec, exec, s[16:17]
	v_lshrrev_b32_e32 v1, 24, v1
	s_movk_i32 s16, 0x80
	v_and_or_b32 v24, v1, s16, v2
.LBB234_1558:
	s_or_b64 exec, exec, s[14:15]
                                        ; implicit-def: $vgpr1_vgpr2
.LBB234_1559:
	s_andn2_saveexec_b64 s[12:13], s[12:13]
	s_cbranch_execz .LBB234_1569
; %bb.1560:
	flat_load_dword v1, v[1:2]
	s_mov_b32 s14, 0x47800000
                                        ; implicit-def: $vgpr2
	s_waitcnt vmcnt(0) lgkmcnt(0)
	v_cvt_f32_f16_e32 v1, v1
	v_and_b32_e32 v3, 0x7fffffff, v1
	v_cmp_gt_u32_e32 vcc, s14, v3
	s_and_saveexec_b64 s[14:15], vcc
	s_xor_b64 s[14:15], exec, s[14:15]
	s_cbranch_execz .LBB234_1566
; %bb.1561:
	s_mov_b32 s16, 0x387fffff
	v_cmp_lt_u32_e32 vcc, s16, v3
                                        ; implicit-def: $vgpr2
	s_and_saveexec_b64 s[16:17], vcc
	s_xor_b64 s[16:17], exec, s[16:17]
; %bb.1562:
	v_bfe_u32 v2, v1, 21, 1
	s_mov_b32 s18, 0x80fffff
	v_add3_u32 v2, v1, v2, s18
	v_lshrrev_b32_e32 v2, 21, v2
; %bb.1563:
	s_andn2_saveexec_b64 s[16:17], s[16:17]
; %bb.1564:
	s_mov_b32 s18, 0x43000000
	v_add_f32_e64 v2, |v1|, s18
; %bb.1565:
	s_or_b64 exec, exec, s[16:17]
                                        ; implicit-def: $vgpr3
.LBB234_1566:
	s_andn2_saveexec_b64 s[14:15], s[14:15]
; %bb.1567:
	s_mov_b32 s16, 0x7f800000
	v_mov_b32_e32 v2, 0x7c
	v_mov_b32_e32 v4, 0x7f
	v_cmp_lt_u32_e32 vcc, s16, v3
	v_cndmask_b32_e32 v2, v2, v4, vcc
; %bb.1568:
	s_or_b64 exec, exec, s[14:15]
	v_lshrrev_b32_e32 v1, 24, v1
	s_movk_i32 s14, 0x80
	v_and_or_b32 v24, v1, s14, v2
.LBB234_1569:
	s_or_b64 exec, exec, s[12:13]
                                        ; implicit-def: $vgpr12
                                        ; implicit-def: $vgpr1_vgpr2
.LBB234_1570:
	s_andn2_saveexec_b64 s[10:11], s[10:11]
	s_cbranch_execz .LBB234_1604
; %bb.1571:
	v_cmp_lt_i16_e32 vcc, 5, v12
                                        ; implicit-def: $vgpr24
	s_and_saveexec_b64 s[12:13], vcc
	s_xor_b64 s[12:13], exec, s[12:13]
	s_cbranch_execz .LBB234_1593
; %bb.1572:
	v_cmp_lt_i16_e32 vcc, 6, v12
                                        ; implicit-def: $vgpr24
	s_and_saveexec_b64 s[14:15], vcc
	s_xor_b64 s[14:15], exec, s[14:15]
	s_cbranch_execz .LBB234_1582
; %bb.1573:
	flat_load_dwordx2 v[1:2], v[1:2]
	s_mov_b32 s16, 0x47800000
	s_waitcnt vmcnt(0) lgkmcnt(0)
	v_cvt_f32_f64_e32 v1, v[1:2]
                                        ; implicit-def: $vgpr2
	v_and_b32_e32 v3, 0x7fffffff, v1
	v_cmp_gt_u32_e32 vcc, s16, v3
	s_and_saveexec_b64 s[16:17], vcc
	s_xor_b64 s[16:17], exec, s[16:17]
	s_cbranch_execz .LBB234_1579
; %bb.1574:
	s_mov_b32 s18, 0x387fffff
	v_cmp_lt_u32_e32 vcc, s18, v3
                                        ; implicit-def: $vgpr2
	s_and_saveexec_b64 s[18:19], vcc
	s_xor_b64 s[18:19], exec, s[18:19]
; %bb.1575:
	v_bfe_u32 v2, v1, 21, 1
	s_mov_b32 s20, 0x80fffff
	v_add3_u32 v2, v1, v2, s20
	v_lshrrev_b32_e32 v2, 21, v2
; %bb.1576:
	s_andn2_saveexec_b64 s[18:19], s[18:19]
; %bb.1577:
	s_mov_b32 s20, 0x43000000
	v_add_f32_e64 v2, |v1|, s20
; %bb.1578:
	s_or_b64 exec, exec, s[18:19]
                                        ; implicit-def: $vgpr3
.LBB234_1579:
	s_andn2_saveexec_b64 s[16:17], s[16:17]
; %bb.1580:
	s_mov_b32 s18, 0x7f800000
	v_mov_b32_e32 v2, 0x7c
	v_mov_b32_e32 v4, 0x7f
	v_cmp_lt_u32_e32 vcc, s18, v3
	v_cndmask_b32_e32 v2, v2, v4, vcc
; %bb.1581:
	s_or_b64 exec, exec, s[16:17]
	v_lshrrev_b32_e32 v1, 24, v1
	s_movk_i32 s16, 0x80
	v_and_or_b32 v24, v1, s16, v2
                                        ; implicit-def: $vgpr1_vgpr2
.LBB234_1582:
	s_andn2_saveexec_b64 s[14:15], s[14:15]
	s_cbranch_execz .LBB234_1592
; %bb.1583:
	flat_load_dword v1, v[1:2]
	s_mov_b32 s16, 0x47800000
                                        ; implicit-def: $vgpr2
	s_waitcnt vmcnt(0) lgkmcnt(0)
	v_and_b32_e32 v3, 0x7fffffff, v1
	v_cmp_gt_u32_e32 vcc, s16, v3
	s_and_saveexec_b64 s[16:17], vcc
	s_xor_b64 s[16:17], exec, s[16:17]
	s_cbranch_execz .LBB234_1589
; %bb.1584:
	s_mov_b32 s18, 0x387fffff
	v_cmp_lt_u32_e32 vcc, s18, v3
                                        ; implicit-def: $vgpr2
	s_and_saveexec_b64 s[18:19], vcc
	s_xor_b64 s[18:19], exec, s[18:19]
; %bb.1585:
	v_bfe_u32 v2, v1, 21, 1
	s_mov_b32 s20, 0x80fffff
	v_add3_u32 v2, v1, v2, s20
	v_lshrrev_b32_e32 v2, 21, v2
; %bb.1586:
	s_andn2_saveexec_b64 s[18:19], s[18:19]
; %bb.1587:
	s_mov_b32 s20, 0x43000000
	v_add_f32_e64 v2, |v1|, s20
; %bb.1588:
	s_or_b64 exec, exec, s[18:19]
                                        ; implicit-def: $vgpr3
.LBB234_1589:
	s_andn2_saveexec_b64 s[16:17], s[16:17]
; %bb.1590:
	s_mov_b32 s18, 0x7f800000
	v_mov_b32_e32 v2, 0x7c
	v_mov_b32_e32 v4, 0x7f
	v_cmp_lt_u32_e32 vcc, s18, v3
	v_cndmask_b32_e32 v2, v2, v4, vcc
; %bb.1591:
	s_or_b64 exec, exec, s[16:17]
	v_lshrrev_b32_e32 v1, 24, v1
	s_movk_i32 s16, 0x80
	v_and_or_b32 v24, v1, s16, v2
.LBB234_1592:
	s_or_b64 exec, exec, s[14:15]
                                        ; implicit-def: $vgpr1_vgpr2
.LBB234_1593:
	s_andn2_saveexec_b64 s[12:13], s[12:13]
	s_cbranch_execz .LBB234_1603
; %bb.1594:
	flat_load_ushort v1, v[1:2]
	s_mov_b32 s14, 0x47800000
                                        ; implicit-def: $vgpr2
	s_waitcnt vmcnt(0) lgkmcnt(0)
	v_cvt_f32_f16_e32 v1, v1
	v_and_b32_e32 v3, 0x7fffffff, v1
	v_cmp_gt_u32_e32 vcc, s14, v3
	s_and_saveexec_b64 s[14:15], vcc
	s_xor_b64 s[14:15], exec, s[14:15]
	s_cbranch_execz .LBB234_1600
; %bb.1595:
	s_mov_b32 s16, 0x387fffff
	v_cmp_lt_u32_e32 vcc, s16, v3
                                        ; implicit-def: $vgpr2
	s_and_saveexec_b64 s[16:17], vcc
	s_xor_b64 s[16:17], exec, s[16:17]
; %bb.1596:
	v_bfe_u32 v2, v1, 21, 1
	s_mov_b32 s18, 0x80fffff
	v_add3_u32 v2, v1, v2, s18
	v_lshrrev_b32_e32 v2, 21, v2
; %bb.1597:
	s_andn2_saveexec_b64 s[16:17], s[16:17]
; %bb.1598:
	s_mov_b32 s18, 0x43000000
	v_add_f32_e64 v2, |v1|, s18
; %bb.1599:
	s_or_b64 exec, exec, s[16:17]
                                        ; implicit-def: $vgpr3
.LBB234_1600:
	s_andn2_saveexec_b64 s[14:15], s[14:15]
; %bb.1601:
	s_mov_b32 s16, 0x7f800000
	v_mov_b32_e32 v2, 0x7c
	v_mov_b32_e32 v4, 0x7f
	v_cmp_lt_u32_e32 vcc, s16, v3
	v_cndmask_b32_e32 v2, v2, v4, vcc
; %bb.1602:
	s_or_b64 exec, exec, s[14:15]
	v_lshrrev_b32_e32 v1, 24, v1
	s_movk_i32 s14, 0x80
	v_and_or_b32 v24, v1, s14, v2
.LBB234_1603:
	s_or_b64 exec, exec, s[12:13]
.LBB234_1604:
	s_or_b64 exec, exec, s[10:11]
                                        ; implicit-def: $vgpr12
                                        ; implicit-def: $vgpr1_vgpr2
.LBB234_1605:
	s_andn2_saveexec_b64 s[8:9], s[8:9]
	s_cbranch_execz .LBB234_1663
; %bb.1606:
	v_cmp_lt_i16_e32 vcc, 1, v12
                                        ; implicit-def: $vgpr24
	s_and_saveexec_b64 s[10:11], vcc
	s_xor_b64 s[10:11], exec, s[10:11]
	s_cbranch_execz .LBB234_1640
; %bb.1607:
	v_cmp_lt_i16_e32 vcc, 2, v12
                                        ; implicit-def: $vgpr24
	s_and_saveexec_b64 s[12:13], vcc
	s_xor_b64 s[12:13], exec, s[12:13]
	;; [unrolled: 6-line block ×3, first 2 shown]
	s_cbranch_execz .LBB234_1618
; %bb.1609:
	flat_load_dwordx2 v[1:2], v[1:2]
	s_mov_b32 s16, 0x47800000
	s_waitcnt vmcnt(0) lgkmcnt(0)
	v_xor_b32_e32 v4, v1, v2
	v_ffbh_i32_e32 v3, v2
	v_ashrrev_i32_e32 v4, 31, v4
	v_add_u32_e32 v3, -1, v3
	v_add_u32_e32 v4, 32, v4
	v_min_u32_e32 v3, v3, v4
	v_lshlrev_b64 v[1:2], v3, v[1:2]
	v_min_u32_e32 v1, 1, v1
	v_or_b32_e32 v1, v2, v1
	v_cvt_f32_i32_e32 v1, v1
	v_sub_u32_e32 v2, 32, v3
	v_ldexp_f32 v1, v1, v2
	v_and_b32_e32 v3, 0x7fffffff, v1
	v_cmp_gt_u32_e32 vcc, s16, v3
                                        ; implicit-def: $vgpr2
	s_and_saveexec_b64 s[16:17], vcc
	s_xor_b64 s[16:17], exec, s[16:17]
	s_cbranch_execz .LBB234_1615
; %bb.1610:
	s_mov_b32 s18, 0x387fffff
	v_cmp_lt_u32_e32 vcc, s18, v3
                                        ; implicit-def: $vgpr2
	s_and_saveexec_b64 s[18:19], vcc
	s_xor_b64 s[18:19], exec, s[18:19]
; %bb.1611:
	v_bfe_u32 v2, v1, 21, 1
	s_mov_b32 s20, 0x80fffff
	v_add3_u32 v2, v1, v2, s20
	v_lshrrev_b32_e32 v2, 21, v2
; %bb.1612:
	s_andn2_saveexec_b64 s[18:19], s[18:19]
; %bb.1613:
	s_mov_b32 s20, 0x43000000
	v_add_f32_e64 v2, |v1|, s20
; %bb.1614:
	s_or_b64 exec, exec, s[18:19]
                                        ; implicit-def: $vgpr3
.LBB234_1615:
	s_andn2_saveexec_b64 s[16:17], s[16:17]
; %bb.1616:
	s_mov_b32 s18, 0x7f800000
	v_mov_b32_e32 v2, 0x7c
	v_mov_b32_e32 v4, 0x7f
	v_cmp_lt_u32_e32 vcc, s18, v3
	v_cndmask_b32_e32 v2, v2, v4, vcc
; %bb.1617:
	s_or_b64 exec, exec, s[16:17]
	v_lshrrev_b32_e32 v1, 24, v1
	s_movk_i32 s16, 0x80
	v_and_or_b32 v24, v1, s16, v2
                                        ; implicit-def: $vgpr1_vgpr2
.LBB234_1618:
	s_andn2_saveexec_b64 s[14:15], s[14:15]
	s_cbranch_execz .LBB234_1628
; %bb.1619:
	flat_load_dword v1, v[1:2]
	s_mov_b32 s16, 0x47800000
                                        ; implicit-def: $vgpr2
	s_waitcnt vmcnt(0) lgkmcnt(0)
	v_cvt_f32_i32_e32 v1, v1
	v_and_b32_e32 v3, 0x7fffffff, v1
	v_cmp_gt_u32_e32 vcc, s16, v3
	s_and_saveexec_b64 s[16:17], vcc
	s_xor_b64 s[16:17], exec, s[16:17]
	s_cbranch_execz .LBB234_1625
; %bb.1620:
	s_mov_b32 s18, 0x387fffff
	v_cmp_lt_u32_e32 vcc, s18, v3
                                        ; implicit-def: $vgpr2
	s_and_saveexec_b64 s[18:19], vcc
	s_xor_b64 s[18:19], exec, s[18:19]
; %bb.1621:
	v_bfe_u32 v2, v1, 21, 1
	s_mov_b32 s20, 0x80fffff
	v_add3_u32 v2, v1, v2, s20
	v_lshrrev_b32_e32 v2, 21, v2
; %bb.1622:
	s_andn2_saveexec_b64 s[18:19], s[18:19]
; %bb.1623:
	s_mov_b32 s20, 0x43000000
	v_add_f32_e64 v2, |v1|, s20
; %bb.1624:
	s_or_b64 exec, exec, s[18:19]
                                        ; implicit-def: $vgpr3
.LBB234_1625:
	s_andn2_saveexec_b64 s[16:17], s[16:17]
; %bb.1626:
	s_mov_b32 s18, 0x7f800000
	v_mov_b32_e32 v2, 0x7c
	v_mov_b32_e32 v4, 0x7f
	v_cmp_lt_u32_e32 vcc, s18, v3
	v_cndmask_b32_e32 v2, v2, v4, vcc
; %bb.1627:
	s_or_b64 exec, exec, s[16:17]
	v_lshrrev_b32_e32 v1, 24, v1
	s_movk_i32 s16, 0x80
	v_and_or_b32 v24, v1, s16, v2
.LBB234_1628:
	s_or_b64 exec, exec, s[14:15]
                                        ; implicit-def: $vgpr1_vgpr2
.LBB234_1629:
	s_andn2_saveexec_b64 s[12:13], s[12:13]
	s_cbranch_execz .LBB234_1639
; %bb.1630:
	flat_load_sshort v1, v[1:2]
	s_mov_b32 s14, 0x47800000
                                        ; implicit-def: $vgpr2
	s_waitcnt vmcnt(0) lgkmcnt(0)
	v_cvt_f32_i32_e32 v1, v1
	v_and_b32_e32 v3, 0x7fffffff, v1
	v_cmp_gt_u32_e32 vcc, s14, v3
	s_and_saveexec_b64 s[14:15], vcc
	s_xor_b64 s[14:15], exec, s[14:15]
	s_cbranch_execz .LBB234_1636
; %bb.1631:
	s_mov_b32 s16, 0x387fffff
	v_cmp_lt_u32_e32 vcc, s16, v3
                                        ; implicit-def: $vgpr2
	s_and_saveexec_b64 s[16:17], vcc
	s_xor_b64 s[16:17], exec, s[16:17]
; %bb.1632:
	v_bfe_u32 v2, v1, 21, 1
	s_mov_b32 s18, 0x80fffff
	v_add3_u32 v2, v1, v2, s18
	v_lshrrev_b32_e32 v2, 21, v2
; %bb.1633:
	s_andn2_saveexec_b64 s[16:17], s[16:17]
; %bb.1634:
	s_mov_b32 s18, 0x43000000
	v_add_f32_e64 v2, |v1|, s18
; %bb.1635:
	s_or_b64 exec, exec, s[16:17]
                                        ; implicit-def: $vgpr3
.LBB234_1636:
	s_andn2_saveexec_b64 s[14:15], s[14:15]
; %bb.1637:
	s_mov_b32 s16, 0x7f800000
	v_mov_b32_e32 v2, 0x7c
	v_mov_b32_e32 v4, 0x7f
	v_cmp_lt_u32_e32 vcc, s16, v3
	v_cndmask_b32_e32 v2, v2, v4, vcc
; %bb.1638:
	s_or_b64 exec, exec, s[14:15]
	v_lshrrev_b32_e32 v1, 24, v1
	s_movk_i32 s14, 0x80
	v_and_or_b32 v24, v1, s14, v2
.LBB234_1639:
	s_or_b64 exec, exec, s[12:13]
                                        ; implicit-def: $vgpr12
                                        ; implicit-def: $vgpr1_vgpr2
.LBB234_1640:
	s_andn2_saveexec_b64 s[10:11], s[10:11]
	s_cbranch_execz .LBB234_1662
; %bb.1641:
	v_cmp_lt_i16_e32 vcc, 0, v12
                                        ; implicit-def: $vgpr24
	s_and_saveexec_b64 s[12:13], vcc
	s_xor_b64 s[12:13], exec, s[12:13]
	s_cbranch_execz .LBB234_1651
; %bb.1642:
	flat_load_sbyte v1, v[1:2]
	s_mov_b32 s14, 0x47800000
                                        ; implicit-def: $vgpr2
	s_waitcnt vmcnt(0) lgkmcnt(0)
	v_cvt_f32_i32_e32 v1, v1
	v_and_b32_e32 v3, 0x7fffffff, v1
	v_cmp_gt_u32_e32 vcc, s14, v3
	s_and_saveexec_b64 s[14:15], vcc
	s_xor_b64 s[14:15], exec, s[14:15]
	s_cbranch_execz .LBB234_1648
; %bb.1643:
	s_mov_b32 s16, 0x387fffff
	v_cmp_lt_u32_e32 vcc, s16, v3
                                        ; implicit-def: $vgpr2
	s_and_saveexec_b64 s[16:17], vcc
	s_xor_b64 s[16:17], exec, s[16:17]
; %bb.1644:
	v_bfe_u32 v2, v1, 21, 1
	s_mov_b32 s18, 0x80fffff
	v_add3_u32 v2, v1, v2, s18
	v_lshrrev_b32_e32 v2, 21, v2
; %bb.1645:
	s_andn2_saveexec_b64 s[16:17], s[16:17]
; %bb.1646:
	s_mov_b32 s18, 0x43000000
	v_add_f32_e64 v2, |v1|, s18
; %bb.1647:
	s_or_b64 exec, exec, s[16:17]
                                        ; implicit-def: $vgpr3
.LBB234_1648:
	s_andn2_saveexec_b64 s[14:15], s[14:15]
; %bb.1649:
	s_mov_b32 s16, 0x7f800000
	v_mov_b32_e32 v2, 0x7c
	v_mov_b32_e32 v4, 0x7f
	v_cmp_lt_u32_e32 vcc, s16, v3
	v_cndmask_b32_e32 v2, v2, v4, vcc
; %bb.1650:
	s_or_b64 exec, exec, s[14:15]
	v_lshrrev_b32_e32 v1, 24, v1
	s_movk_i32 s14, 0x80
	v_and_or_b32 v24, v1, s14, v2
                                        ; implicit-def: $vgpr1_vgpr2
.LBB234_1651:
	s_andn2_saveexec_b64 s[12:13], s[12:13]
	s_cbranch_execz .LBB234_1661
; %bb.1652:
	flat_load_ubyte v1, v[1:2]
	s_mov_b32 s14, 0x47800000
                                        ; implicit-def: $vgpr24
	s_waitcnt vmcnt(0) lgkmcnt(0)
	v_cvt_f32_ubyte0_e32 v1, v1
	v_cmp_gt_u32_e32 vcc, s14, v1
	s_and_saveexec_b64 s[14:15], vcc
	s_xor_b64 s[14:15], exec, s[14:15]
	s_cbranch_execz .LBB234_1658
; %bb.1653:
	s_mov_b32 s16, 0x387fffff
	v_cmp_lt_u32_e32 vcc, s16, v1
                                        ; implicit-def: $vgpr24
	s_and_saveexec_b64 s[16:17], vcc
	s_xor_b64 s[16:17], exec, s[16:17]
; %bb.1654:
	v_bfe_u32 v2, v1, 21, 1
	s_mov_b32 s18, 0x80fffff
	v_add3_u32 v1, v1, v2, s18
	v_lshrrev_b32_e32 v24, 21, v1
                                        ; implicit-def: $vgpr1
; %bb.1655:
	s_andn2_saveexec_b64 s[16:17], s[16:17]
; %bb.1656:
	v_add_f32_e32 v24, 0x43000000, v1
; %bb.1657:
	s_or_b64 exec, exec, s[16:17]
                                        ; implicit-def: $vgpr1
.LBB234_1658:
	s_andn2_saveexec_b64 s[14:15], s[14:15]
; %bb.1659:
	s_mov_b32 s16, 0x7f800000
	v_mov_b32_e32 v2, 0x7c
	v_mov_b32_e32 v3, 0x7f
	v_cmp_lt_u32_e32 vcc, s16, v1
	v_cndmask_b32_e32 v24, v2, v3, vcc
; %bb.1660:
	s_or_b64 exec, exec, s[14:15]
.LBB234_1661:
	s_or_b64 exec, exec, s[12:13]
.LBB234_1662:
	s_or_b64 exec, exec, s[10:11]
.LBB234_1663:
	s_or_b64 exec, exec, s[8:9]
	s_or_b64 s[6:7], s[6:7], exec
.LBB234_1664:
	s_or_b64 exec, exec, s[4:5]
	s_mov_b64 s[4:5], 0
	s_mov_b64 s[8:9], 0
	s_mov_b64 s[12:13], 0
                                        ; implicit-def: $sgpr10_sgpr11
                                        ; implicit-def: $vgpr9_vgpr10
                                        ; implicit-def: $vgpr3
	s_and_saveexec_b64 s[58:59], s[6:7]
	s_cbranch_execz .LBB234_2187
; %bb.1665:
	v_add_co_u32_e32 v0, vcc, v13, v0
	v_addc_co_u32_e32 v1, vcc, 0, v14, vcc
	v_cmp_lt_i16_e32 vcc, 10, v11
	s_mov_b64 s[6:7], 0
	s_mov_b64 s[60:61], s[56:57]
                                        ; implicit-def: $vgpr27
	s_and_saveexec_b64 s[4:5], vcc
	s_xor_b64 s[4:5], exec, s[4:5]
	s_cbranch_execz .LBB234_1760
; %bb.1666:
	v_cmp_lt_i16_e32 vcc, 25, v11
	s_mov_b64 s[10:11], 0
                                        ; implicit-def: $vgpr27
	s_and_saveexec_b64 s[8:9], vcc
	s_xor_b64 s[8:9], exec, s[8:9]
	s_cbranch_execz .LBB234_2586
; %bb.1667:
	v_cmp_lt_i16_e32 vcc, 28, v11
	;; [unrolled: 7-line block ×3, first 2 shown]
	s_mov_b64 s[16:17], 0
	s_mov_b64 s[18:19], 0
                                        ; implicit-def: $vgpr27
	s_and_saveexec_b64 s[12:13], vcc
	s_xor_b64 s[12:13], exec, s[12:13]
	s_cbranch_execz .LBB234_1694
; %bb.1669:
	v_cmp_lt_i16_e32 vcc, 45, v11
                                        ; implicit-def: $vgpr27
	s_and_saveexec_b64 s[18:19], vcc
	s_xor_b64 s[18:19], exec, s[18:19]
	s_cbranch_execz .LBB234_1681
; %bb.1670:
	v_cmp_eq_u16_e32 vcc, 46, v11
	s_mov_b64 s[20:21], -1
                                        ; implicit-def: $vgpr27
	s_and_saveexec_b64 s[14:15], vcc
	s_cbranch_execz .LBB234_1680
; %bb.1671:
	flat_load_dword v2, v[0:1]
	s_mov_b32 s16, 0x47800000
                                        ; implicit-def: $vgpr3
	s_waitcnt vmcnt(0) lgkmcnt(0)
	v_lshlrev_b32_e32 v2, 16, v2
	v_and_b32_e32 v4, 0x7fffffff, v2
	v_cmp_gt_u32_e32 vcc, s16, v4
	s_and_saveexec_b64 s[16:17], vcc
	s_xor_b64 s[16:17], exec, s[16:17]
	s_cbranch_execz .LBB234_1677
; %bb.1672:
	s_mov_b32 s20, 0x387fffff
	v_cmp_lt_u32_e32 vcc, s20, v4
                                        ; implicit-def: $vgpr3
	s_and_saveexec_b64 s[20:21], vcc
	s_xor_b64 s[20:21], exec, s[20:21]
; %bb.1673:
	v_bfe_u32 v3, v2, 21, 1
	s_mov_b32 s22, 0x80fffff
	v_add3_u32 v3, v2, v3, s22
	v_lshrrev_b32_e32 v3, 21, v3
; %bb.1674:
	s_andn2_saveexec_b64 s[20:21], s[20:21]
; %bb.1675:
	s_mov_b32 s22, 0x43000000
	v_add_f32_e64 v3, |v2|, s22
; %bb.1676:
	s_or_b64 exec, exec, s[20:21]
                                        ; implicit-def: $vgpr4
.LBB234_1677:
	s_andn2_saveexec_b64 s[16:17], s[16:17]
; %bb.1678:
	s_mov_b32 s20, 0x7f800000
	v_mov_b32_e32 v3, 0x7c
	v_mov_b32_e32 v5, 0x7f
	v_cmp_lt_u32_e32 vcc, s20, v4
	v_cndmask_b32_e32 v3, v3, v5, vcc
; %bb.1679:
	s_or_b64 exec, exec, s[16:17]
	v_lshrrev_b32_e32 v2, 24, v2
	s_movk_i32 s20, 0x80
	s_mov_b64 s[16:17], exec
	v_and_or_b32 v27, v2, s20, v3
	s_xor_b64 s[20:21], exec, -1
.LBB234_1680:
	s_or_b64 exec, exec, s[14:15]
	s_and_b64 s[16:17], s[16:17], exec
	s_and_b64 s[14:15], s[20:21], exec
                                        ; implicit-def: $vgpr11
.LBB234_1681:
	s_andn2_saveexec_b64 s[18:19], s[18:19]
	s_cbranch_execz .LBB234_1693
; %bb.1682:
	v_cmp_eq_u16_e32 vcc, 44, v11
	s_mov_b64 s[22:23], -1
	s_mov_b64 s[24:25], s[16:17]
                                        ; implicit-def: $vgpr27
	s_and_saveexec_b64 s[20:21], vcc
	s_cbranch_execz .LBB234_1692
; %bb.1683:
	flat_load_ubyte v2, v[0:1]
	s_movk_i32 s22, 0xff
	v_mov_b32_e32 v3, 0x7f800001
	v_mov_b32_e32 v4, 0x400000
                                        ; implicit-def: $vgpr27
	s_waitcnt vmcnt(0) lgkmcnt(0)
	v_lshlrev_b32_e32 v5, 23, v2
	v_cmp_ne_u32_e32 vcc, s22, v2
	v_cndmask_b32_e32 v3, v3, v5, vcc
	v_cmp_ne_u32_e32 vcc, 0, v2
	v_cndmask_b32_e32 v2, v4, v3, vcc
	s_mov_b32 s22, 0x47800000
	v_cmp_gt_u32_e32 vcc, s22, v2
	s_and_saveexec_b64 s[22:23], vcc
	s_xor_b64 s[22:23], exec, s[22:23]
	s_cbranch_execz .LBB234_1689
; %bb.1684:
	s_mov_b32 s24, 0x387fffff
	v_cmp_lt_u32_e32 vcc, s24, v2
                                        ; implicit-def: $vgpr27
	s_and_saveexec_b64 s[24:25], vcc
	s_xor_b64 s[24:25], exec, s[24:25]
; %bb.1685:
	v_bfe_u32 v3, v2, 21, 1
	s_mov_b32 s28, 0x80fffff
	v_add3_u32 v2, v2, v3, s28
	v_lshrrev_b32_e32 v27, 21, v2
                                        ; implicit-def: $vgpr2
; %bb.1686:
	s_andn2_saveexec_b64 s[24:25], s[24:25]
; %bb.1687:
	v_add_f32_e32 v27, 0x43000000, v2
; %bb.1688:
	s_or_b64 exec, exec, s[24:25]
                                        ; implicit-def: $vgpr2
.LBB234_1689:
	s_andn2_saveexec_b64 s[22:23], s[22:23]
; %bb.1690:
	s_mov_b32 s24, 0x7f800000
	v_mov_b32_e32 v3, 0x7c
	v_mov_b32_e32 v4, 0x7f
	v_cmp_lt_u32_e32 vcc, s24, v2
	v_cndmask_b32_e32 v27, v3, v4, vcc
; %bb.1691:
	s_or_b64 exec, exec, s[22:23]
	s_or_b64 s[24:25], s[16:17], exec
	s_xor_b64 s[22:23], exec, -1
.LBB234_1692:
	s_or_b64 exec, exec, s[20:21]
	s_andn2_b64 s[16:17], s[16:17], exec
	s_and_b64 s[20:21], s[24:25], exec
	s_or_b64 s[16:17], s[16:17], s[20:21]
	s_andn2_b64 s[14:15], s[14:15], exec
	s_and_b64 s[20:21], s[22:23], exec
	s_or_b64 s[14:15], s[14:15], s[20:21]
.LBB234_1693:
	s_or_b64 exec, exec, s[18:19]
	s_and_b64 s[18:19], s[16:17], exec
	s_and_b64 s[16:17], s[14:15], exec
                                        ; implicit-def: $vgpr11
.LBB234_1694:
	s_andn2_saveexec_b64 s[12:13], s[12:13]
	s_cbranch_execz .LBB234_1706
; %bb.1695:
	v_cmp_eq_u16_e32 vcc, 29, v11
	s_mov_b64 s[20:21], -1
	s_mov_b64 s[22:23], s[18:19]
                                        ; implicit-def: $vgpr27
	s_and_saveexec_b64 s[14:15], vcc
	s_cbranch_execz .LBB234_1705
; %bb.1696:
	flat_load_dwordx2 v[2:3], v[0:1]
	s_mov_b32 s20, 0x47800000
                                        ; implicit-def: $vgpr27
	s_waitcnt vmcnt(0) lgkmcnt(0)
	v_ffbh_u32_e32 v4, v3
	v_min_u32_e32 v4, 32, v4
	v_lshlrev_b64 v[2:3], v4, v[2:3]
	v_min_u32_e32 v2, 1, v2
	v_or_b32_e32 v2, v3, v2
	v_cvt_f32_u32_e32 v2, v2
	v_sub_u32_e32 v3, 32, v4
	v_ldexp_f32 v2, v2, v3
	v_cmp_gt_u32_e32 vcc, s20, v2
	s_and_saveexec_b64 s[20:21], vcc
	s_xor_b64 s[20:21], exec, s[20:21]
	s_cbranch_execz .LBB234_1702
; %bb.1697:
	s_mov_b32 s22, 0x387fffff
	v_cmp_lt_u32_e32 vcc, s22, v2
                                        ; implicit-def: $vgpr27
	s_and_saveexec_b64 s[22:23], vcc
	s_xor_b64 s[22:23], exec, s[22:23]
; %bb.1698:
	v_bfe_u32 v3, v2, 21, 1
	s_mov_b32 s24, 0x80fffff
	v_add3_u32 v2, v2, v3, s24
	v_lshrrev_b32_e32 v27, 21, v2
                                        ; implicit-def: $vgpr2
; %bb.1699:
	s_andn2_saveexec_b64 s[22:23], s[22:23]
; %bb.1700:
	v_add_f32_e32 v27, 0x43000000, v2
; %bb.1701:
	s_or_b64 exec, exec, s[22:23]
                                        ; implicit-def: $vgpr2
.LBB234_1702:
	s_andn2_saveexec_b64 s[20:21], s[20:21]
; %bb.1703:
	s_mov_b32 s22, 0x7f800000
	v_mov_b32_e32 v3, 0x7c
	v_mov_b32_e32 v4, 0x7f
	v_cmp_lt_u32_e32 vcc, s22, v2
	v_cndmask_b32_e32 v27, v3, v4, vcc
; %bb.1704:
	s_or_b64 exec, exec, s[20:21]
	s_or_b64 s[22:23], s[18:19], exec
	s_xor_b64 s[20:21], exec, -1
.LBB234_1705:
	s_or_b64 exec, exec, s[14:15]
	s_andn2_b64 s[14:15], s[18:19], exec
	s_and_b64 s[18:19], s[22:23], exec
	s_or_b64 s[18:19], s[14:15], s[18:19]
	s_andn2_b64 s[14:15], s[16:17], exec
	s_and_b64 s[16:17], s[20:21], exec
	s_or_b64 s[16:17], s[14:15], s[16:17]
.LBB234_1706:
	s_or_b64 exec, exec, s[12:13]
	s_and_b64 s[14:15], s[18:19], exec
	s_and_b64 s[12:13], s[16:17], exec
                                        ; implicit-def: $vgpr11
.LBB234_1707:
	s_andn2_saveexec_b64 s[10:11], s[10:11]
	s_cbranch_execz .LBB234_1747
; %bb.1708:
	v_cmp_lt_i16_e32 vcc, 26, v11
                                        ; implicit-def: $vgpr27
	s_and_saveexec_b64 s[16:17], vcc
	s_xor_b64 s[16:17], exec, s[16:17]
	s_cbranch_execz .LBB234_1730
; %bb.1709:
	v_cmp_lt_i16_e32 vcc, 27, v11
                                        ; implicit-def: $vgpr27
	s_and_saveexec_b64 s[18:19], vcc
	s_xor_b64 s[18:19], exec, s[18:19]
	s_cbranch_execz .LBB234_1719
; %bb.1710:
	flat_load_dword v2, v[0:1]
	s_mov_b32 s20, 0x47800000
                                        ; implicit-def: $vgpr27
	s_waitcnt vmcnt(0) lgkmcnt(0)
	v_cvt_f32_u32_e32 v2, v2
	v_cmp_gt_u32_e32 vcc, s20, v2
	s_and_saveexec_b64 s[20:21], vcc
	s_xor_b64 s[20:21], exec, s[20:21]
	s_cbranch_execz .LBB234_1716
; %bb.1711:
	s_mov_b32 s22, 0x387fffff
	v_cmp_lt_u32_e32 vcc, s22, v2
                                        ; implicit-def: $vgpr27
	s_and_saveexec_b64 s[22:23], vcc
	s_xor_b64 s[22:23], exec, s[22:23]
; %bb.1712:
	v_bfe_u32 v3, v2, 21, 1
	s_mov_b32 s24, 0x80fffff
	v_add3_u32 v2, v2, v3, s24
	v_lshrrev_b32_e32 v27, 21, v2
                                        ; implicit-def: $vgpr2
; %bb.1713:
	s_andn2_saveexec_b64 s[22:23], s[22:23]
; %bb.1714:
	v_add_f32_e32 v27, 0x43000000, v2
; %bb.1715:
	s_or_b64 exec, exec, s[22:23]
                                        ; implicit-def: $vgpr2
.LBB234_1716:
	s_andn2_saveexec_b64 s[20:21], s[20:21]
; %bb.1717:
	s_mov_b32 s22, 0x7f800000
	v_mov_b32_e32 v3, 0x7c
	v_mov_b32_e32 v4, 0x7f
	v_cmp_lt_u32_e32 vcc, s22, v2
	v_cndmask_b32_e32 v27, v3, v4, vcc
; %bb.1718:
	s_or_b64 exec, exec, s[20:21]
.LBB234_1719:
	s_andn2_saveexec_b64 s[18:19], s[18:19]
	s_cbranch_execz .LBB234_1729
; %bb.1720:
	flat_load_ushort v2, v[0:1]
	s_mov_b32 s20, 0x47800000
                                        ; implicit-def: $vgpr27
	s_waitcnt vmcnt(0) lgkmcnt(0)
	v_cvt_f32_u32_e32 v2, v2
	v_cmp_gt_u32_e32 vcc, s20, v2
	s_and_saveexec_b64 s[20:21], vcc
	s_xor_b64 s[20:21], exec, s[20:21]
	s_cbranch_execz .LBB234_1726
; %bb.1721:
	s_mov_b32 s22, 0x387fffff
	v_cmp_lt_u32_e32 vcc, s22, v2
                                        ; implicit-def: $vgpr27
	s_and_saveexec_b64 s[22:23], vcc
	s_xor_b64 s[22:23], exec, s[22:23]
; %bb.1722:
	v_bfe_u32 v3, v2, 21, 1
	s_mov_b32 s24, 0x80fffff
	v_add3_u32 v2, v2, v3, s24
	v_lshrrev_b32_e32 v27, 21, v2
                                        ; implicit-def: $vgpr2
; %bb.1723:
	s_andn2_saveexec_b64 s[22:23], s[22:23]
; %bb.1724:
	v_add_f32_e32 v27, 0x43000000, v2
; %bb.1725:
	s_or_b64 exec, exec, s[22:23]
                                        ; implicit-def: $vgpr2
.LBB234_1726:
	s_andn2_saveexec_b64 s[20:21], s[20:21]
; %bb.1727:
	s_mov_b32 s22, 0x7f800000
	v_mov_b32_e32 v3, 0x7c
	v_mov_b32_e32 v4, 0x7f
	v_cmp_lt_u32_e32 vcc, s22, v2
	v_cndmask_b32_e32 v27, v3, v4, vcc
; %bb.1728:
	s_or_b64 exec, exec, s[20:21]
.LBB234_1729:
	s_or_b64 exec, exec, s[18:19]
.LBB234_1730:
	s_andn2_saveexec_b64 s[16:17], s[16:17]
	s_cbranch_execz .LBB234_1746
; %bb.1731:
	flat_load_ubyte v3, v[0:1]
	s_movk_i32 s18, 0x7f
	s_waitcnt vmcnt(0) lgkmcnt(0)
	v_cmp_lt_i16_e32 vcc, s18, v3
	s_mov_b64 s[18:19], 0
	s_and_saveexec_b64 s[20:21], vcc
	s_xor_b64 s[20:21], exec, s[20:21]
	s_cbranch_execz .LBB234_2745
; %bb.1732:
	s_movk_i32 s18, 0x80
	v_cmp_eq_u16_e32 vcc, s18, v3
	s_mov_b64 s[18:19], -1
	s_and_saveexec_b64 s[22:23], vcc
; %bb.1733:
	s_xor_b64 s[18:19], exec, -1
; %bb.1734:
	s_or_b64 exec, exec, s[22:23]
	s_and_b64 s[18:19], s[18:19], exec
	s_or_saveexec_b64 s[20:21], s[20:21]
	v_mov_b32_e32 v2, 0x7f800001
	s_xor_b64 exec, exec, s[20:21]
	s_cbranch_execnz .LBB234_2746
.LBB234_1735:
	s_or_b64 exec, exec, s[20:21]
	s_and_saveexec_b64 s[20:21], s[18:19]
	s_cbranch_execz .LBB234_1737
.LBB234_1736:
	v_lshlrev_b32_e32 v2, 24, v3
	v_and_b32_e32 v3, 0xffff, v3
	v_and_b32_e32 v4, 7, v3
	v_ffbh_u32_e32 v6, v4
	v_min_u32_e32 v6, 32, v6
	v_subrev_u32_e32 v7, 28, v6
	v_bfe_u32 v5, v3, 3, 4
	v_lshlrev_b32_e32 v3, v7, v3
	v_sub_u32_e32 v6, 29, v6
	v_and_b32_e32 v3, 7, v3
	v_cmp_eq_u32_e32 vcc, 0, v5
	v_cndmask_b32_e32 v5, v5, v6, vcc
	v_cndmask_b32_e32 v3, v4, v3, vcc
	v_mov_b32_e32 v4, 0x3b800000
	v_lshlrev_b32_e32 v3, 20, v3
	v_and_b32_e32 v2, 0x80000000, v2
	v_lshl_add_u32 v4, v5, 23, v4
	v_or3_b32 v2, v2, v4, v3
.LBB234_1737:
	s_or_b64 exec, exec, s[20:21]
	v_and_b32_e32 v4, 0x7fffffff, v2
	s_mov_b32 s18, 0x47800000
	v_cmp_gt_u32_e32 vcc, s18, v4
                                        ; implicit-def: $vgpr3
	s_and_saveexec_b64 s[18:19], vcc
	s_xor_b64 s[18:19], exec, s[18:19]
	s_cbranch_execz .LBB234_1743
; %bb.1738:
	s_mov_b32 s20, 0x387fffff
	v_cmp_lt_u32_e32 vcc, s20, v4
                                        ; implicit-def: $vgpr3
	s_and_saveexec_b64 s[20:21], vcc
	s_xor_b64 s[20:21], exec, s[20:21]
; %bb.1739:
	v_bfe_u32 v3, v2, 21, 1
	s_mov_b32 s22, 0x80fffff
	v_add3_u32 v3, v2, v3, s22
	v_lshrrev_b32_e32 v3, 21, v3
; %bb.1740:
	s_andn2_saveexec_b64 s[20:21], s[20:21]
; %bb.1741:
	s_mov_b32 s22, 0x43000000
	v_add_f32_e64 v3, |v2|, s22
; %bb.1742:
	s_or_b64 exec, exec, s[20:21]
                                        ; implicit-def: $vgpr4
.LBB234_1743:
	s_andn2_saveexec_b64 s[18:19], s[18:19]
; %bb.1744:
	s_mov_b32 s20, 0x7f800000
	v_mov_b32_e32 v3, 0x7c
	v_mov_b32_e32 v5, 0x7f
	v_cmp_lt_u32_e32 vcc, s20, v4
	v_cndmask_b32_e32 v3, v3, v5, vcc
; %bb.1745:
	s_or_b64 exec, exec, s[18:19]
	v_lshrrev_b32_e32 v2, 24, v2
	s_movk_i32 s18, 0x80
	v_and_or_b32 v27, v2, s18, v3
.LBB234_1746:
	s_or_b64 exec, exec, s[16:17]
	s_or_b64 s[14:15], s[14:15], exec
.LBB234_1747:
	s_or_b64 exec, exec, s[10:11]
	s_and_b64 s[10:11], s[14:15], exec
	s_and_b64 s[12:13], s[12:13], exec
                                        ; implicit-def: $vgpr11
	s_andn2_saveexec_b64 s[8:9], s[8:9]
	s_cbranch_execnz .LBB234_2587
.LBB234_1748:
	s_or_b64 exec, exec, s[8:9]
	s_mov_b64 s[8:9], s[56:57]
	s_and_saveexec_b64 s[14:15], s[12:13]
	s_cbranch_execnz .LBB234_2636
.LBB234_1749:
	s_or_b64 exec, exec, s[14:15]
	s_and_saveexec_b64 s[12:13], s[6:7]
	s_cbranch_execz .LBB234_1759
.LBB234_1750:
	flat_load_ubyte v0, v[0:1]
	s_mov_b32 s6, 0x47800000
                                        ; implicit-def: $vgpr27
	s_waitcnt vmcnt(0) lgkmcnt(0)
	v_cmp_ne_u16_e32 vcc, 0, v0
	v_cndmask_b32_e64 v0, 0, 1.0, vcc
	v_cmp_gt_u32_e32 vcc, s6, v0
	s_and_saveexec_b64 s[6:7], vcc
	s_xor_b64 s[6:7], exec, s[6:7]
	s_cbranch_execz .LBB234_1756
; %bb.1751:
	s_mov_b32 s14, 0x387fffff
	v_cmp_lt_u32_e32 vcc, s14, v0
                                        ; implicit-def: $vgpr27
	s_and_saveexec_b64 s[14:15], vcc
	s_xor_b64 s[14:15], exec, s[14:15]
; %bb.1752:
	v_bfe_u32 v1, v0, 21, 1
	s_mov_b32 s16, 0x80fffff
	v_add3_u32 v0, v0, v1, s16
	v_lshrrev_b32_e32 v27, 21, v0
                                        ; implicit-def: $vgpr0
; %bb.1753:
	s_andn2_saveexec_b64 s[14:15], s[14:15]
; %bb.1754:
	v_add_f32_e32 v27, 0x43000000, v0
; %bb.1755:
	s_or_b64 exec, exec, s[14:15]
                                        ; implicit-def: $vgpr0
.LBB234_1756:
	s_andn2_saveexec_b64 s[6:7], s[6:7]
; %bb.1757:
	s_mov_b32 s14, 0x7f800000
	v_mov_b32_e32 v1, 0x7c
	v_mov_b32_e32 v2, 0x7f
	v_cmp_lt_u32_e32 vcc, s14, v0
	v_cndmask_b32_e32 v27, v1, v2, vcc
; %bb.1758:
	s_or_b64 exec, exec, s[6:7]
	s_or_b64 s[10:11], s[10:11], exec
.LBB234_1759:
	s_or_b64 exec, exec, s[12:13]
	s_andn2_b64 s[6:7], s[56:57], exec
	s_and_b64 s[8:9], s[8:9], exec
	s_or_b64 s[60:61], s[6:7], s[8:9]
	s_and_b64 s[6:7], s[10:11], exec
                                        ; implicit-def: $vgpr11
                                        ; implicit-def: $vgpr0_vgpr1
.LBB234_1760:
	s_andn2_saveexec_b64 s[4:5], s[4:5]
	s_cbranch_execz .LBB234_1890
; %bb.1761:
	v_cmp_lt_i16_e32 vcc, 4, v11
                                        ; implicit-def: $vgpr27
	s_and_saveexec_b64 s[8:9], vcc
	s_xor_b64 s[8:9], exec, s[8:9]
	s_cbranch_execz .LBB234_1831
; %bb.1762:
	v_cmp_lt_i16_e32 vcc, 7, v11
                                        ; implicit-def: $vgpr27
	s_and_saveexec_b64 s[10:11], vcc
	s_xor_b64 s[10:11], exec, s[10:11]
	;; [unrolled: 6-line block ×4, first 2 shown]
	s_cbranch_execz .LBB234_1774
; %bb.1765:
	flat_load_dwordx2 v[0:1], v[0:1]
	s_mov_b32 s16, 0x47800000
	s_waitcnt vmcnt(0) lgkmcnt(0)
	v_cvt_f32_f64_e32 v0, v[0:1]
                                        ; implicit-def: $vgpr1
	v_and_b32_e32 v2, 0x7fffffff, v0
	v_cmp_gt_u32_e32 vcc, s16, v2
	s_and_saveexec_b64 s[16:17], vcc
	s_xor_b64 s[16:17], exec, s[16:17]
	s_cbranch_execz .LBB234_1771
; %bb.1766:
	s_mov_b32 s18, 0x387fffff
	v_cmp_lt_u32_e32 vcc, s18, v2
                                        ; implicit-def: $vgpr1
	s_and_saveexec_b64 s[18:19], vcc
	s_xor_b64 s[18:19], exec, s[18:19]
; %bb.1767:
	v_bfe_u32 v1, v0, 21, 1
	s_mov_b32 s20, 0x80fffff
	v_add3_u32 v1, v0, v1, s20
	v_lshrrev_b32_e32 v1, 21, v1
; %bb.1768:
	s_andn2_saveexec_b64 s[18:19], s[18:19]
; %bb.1769:
	s_mov_b32 s20, 0x43000000
	v_add_f32_e64 v1, |v0|, s20
; %bb.1770:
	s_or_b64 exec, exec, s[18:19]
                                        ; implicit-def: $vgpr2
.LBB234_1771:
	s_andn2_saveexec_b64 s[16:17], s[16:17]
; %bb.1772:
	s_mov_b32 s18, 0x7f800000
	v_mov_b32_e32 v1, 0x7c
	v_mov_b32_e32 v3, 0x7f
	v_cmp_lt_u32_e32 vcc, s18, v2
	v_cndmask_b32_e32 v1, v1, v3, vcc
; %bb.1773:
	s_or_b64 exec, exec, s[16:17]
	v_lshrrev_b32_e32 v0, 24, v0
	s_movk_i32 s16, 0x80
	v_and_or_b32 v27, v0, s16, v1
                                        ; implicit-def: $vgpr0_vgpr1
.LBB234_1774:
	s_andn2_saveexec_b64 s[14:15], s[14:15]
	s_cbranch_execz .LBB234_1784
; %bb.1775:
	flat_load_dword v0, v[0:1]
	s_mov_b32 s16, 0x47800000
                                        ; implicit-def: $vgpr1
	s_waitcnt vmcnt(0) lgkmcnt(0)
	v_and_b32_e32 v2, 0x7fffffff, v0
	v_cmp_gt_u32_e32 vcc, s16, v2
	s_and_saveexec_b64 s[16:17], vcc
	s_xor_b64 s[16:17], exec, s[16:17]
	s_cbranch_execz .LBB234_1781
; %bb.1776:
	s_mov_b32 s18, 0x387fffff
	v_cmp_lt_u32_e32 vcc, s18, v2
                                        ; implicit-def: $vgpr1
	s_and_saveexec_b64 s[18:19], vcc
	s_xor_b64 s[18:19], exec, s[18:19]
; %bb.1777:
	v_bfe_u32 v1, v0, 21, 1
	s_mov_b32 s20, 0x80fffff
	v_add3_u32 v1, v0, v1, s20
	v_lshrrev_b32_e32 v1, 21, v1
; %bb.1778:
	s_andn2_saveexec_b64 s[18:19], s[18:19]
; %bb.1779:
	s_mov_b32 s20, 0x43000000
	v_add_f32_e64 v1, |v0|, s20
; %bb.1780:
	s_or_b64 exec, exec, s[18:19]
                                        ; implicit-def: $vgpr2
.LBB234_1781:
	s_andn2_saveexec_b64 s[16:17], s[16:17]
; %bb.1782:
	s_mov_b32 s18, 0x7f800000
	v_mov_b32_e32 v1, 0x7c
	v_mov_b32_e32 v3, 0x7f
	v_cmp_lt_u32_e32 vcc, s18, v2
	v_cndmask_b32_e32 v1, v1, v3, vcc
; %bb.1783:
	s_or_b64 exec, exec, s[16:17]
	v_lshrrev_b32_e32 v0, 24, v0
	s_movk_i32 s16, 0x80
	v_and_or_b32 v27, v0, s16, v1
.LBB234_1784:
	s_or_b64 exec, exec, s[14:15]
                                        ; implicit-def: $vgpr0_vgpr1
.LBB234_1785:
	s_andn2_saveexec_b64 s[12:13], s[12:13]
	s_cbranch_execz .LBB234_1795
; %bb.1786:
	flat_load_dword v0, v[0:1]
	s_mov_b32 s14, 0x47800000
                                        ; implicit-def: $vgpr1
	s_waitcnt vmcnt(0) lgkmcnt(0)
	v_cvt_f32_f16_e32 v0, v0
	v_and_b32_e32 v2, 0x7fffffff, v0
	v_cmp_gt_u32_e32 vcc, s14, v2
	s_and_saveexec_b64 s[14:15], vcc
	s_xor_b64 s[14:15], exec, s[14:15]
	s_cbranch_execz .LBB234_1792
; %bb.1787:
	s_mov_b32 s16, 0x387fffff
	v_cmp_lt_u32_e32 vcc, s16, v2
                                        ; implicit-def: $vgpr1
	s_and_saveexec_b64 s[16:17], vcc
	s_xor_b64 s[16:17], exec, s[16:17]
; %bb.1788:
	v_bfe_u32 v1, v0, 21, 1
	s_mov_b32 s18, 0x80fffff
	v_add3_u32 v1, v0, v1, s18
	v_lshrrev_b32_e32 v1, 21, v1
; %bb.1789:
	s_andn2_saveexec_b64 s[16:17], s[16:17]
; %bb.1790:
	s_mov_b32 s18, 0x43000000
	v_add_f32_e64 v1, |v0|, s18
; %bb.1791:
	s_or_b64 exec, exec, s[16:17]
                                        ; implicit-def: $vgpr2
.LBB234_1792:
	s_andn2_saveexec_b64 s[14:15], s[14:15]
; %bb.1793:
	s_mov_b32 s16, 0x7f800000
	v_mov_b32_e32 v1, 0x7c
	v_mov_b32_e32 v3, 0x7f
	v_cmp_lt_u32_e32 vcc, s16, v2
	v_cndmask_b32_e32 v1, v1, v3, vcc
; %bb.1794:
	s_or_b64 exec, exec, s[14:15]
	v_lshrrev_b32_e32 v0, 24, v0
	s_movk_i32 s14, 0x80
	v_and_or_b32 v27, v0, s14, v1
.LBB234_1795:
	s_or_b64 exec, exec, s[12:13]
                                        ; implicit-def: $vgpr11
                                        ; implicit-def: $vgpr0_vgpr1
.LBB234_1796:
	s_andn2_saveexec_b64 s[10:11], s[10:11]
	s_cbranch_execz .LBB234_1830
; %bb.1797:
	v_cmp_lt_i16_e32 vcc, 5, v11
                                        ; implicit-def: $vgpr27
	s_and_saveexec_b64 s[12:13], vcc
	s_xor_b64 s[12:13], exec, s[12:13]
	s_cbranch_execz .LBB234_1819
; %bb.1798:
	v_cmp_lt_i16_e32 vcc, 6, v11
                                        ; implicit-def: $vgpr27
	s_and_saveexec_b64 s[14:15], vcc
	s_xor_b64 s[14:15], exec, s[14:15]
	s_cbranch_execz .LBB234_1808
; %bb.1799:
	flat_load_dwordx2 v[0:1], v[0:1]
	s_mov_b32 s16, 0x47800000
	s_waitcnt vmcnt(0) lgkmcnt(0)
	v_cvt_f32_f64_e32 v0, v[0:1]
                                        ; implicit-def: $vgpr1
	v_and_b32_e32 v2, 0x7fffffff, v0
	v_cmp_gt_u32_e32 vcc, s16, v2
	s_and_saveexec_b64 s[16:17], vcc
	s_xor_b64 s[16:17], exec, s[16:17]
	s_cbranch_execz .LBB234_1805
; %bb.1800:
	s_mov_b32 s18, 0x387fffff
	v_cmp_lt_u32_e32 vcc, s18, v2
                                        ; implicit-def: $vgpr1
	s_and_saveexec_b64 s[18:19], vcc
	s_xor_b64 s[18:19], exec, s[18:19]
; %bb.1801:
	v_bfe_u32 v1, v0, 21, 1
	s_mov_b32 s20, 0x80fffff
	v_add3_u32 v1, v0, v1, s20
	v_lshrrev_b32_e32 v1, 21, v1
; %bb.1802:
	s_andn2_saveexec_b64 s[18:19], s[18:19]
; %bb.1803:
	s_mov_b32 s20, 0x43000000
	v_add_f32_e64 v1, |v0|, s20
; %bb.1804:
	s_or_b64 exec, exec, s[18:19]
                                        ; implicit-def: $vgpr2
.LBB234_1805:
	s_andn2_saveexec_b64 s[16:17], s[16:17]
; %bb.1806:
	s_mov_b32 s18, 0x7f800000
	v_mov_b32_e32 v1, 0x7c
	v_mov_b32_e32 v3, 0x7f
	v_cmp_lt_u32_e32 vcc, s18, v2
	v_cndmask_b32_e32 v1, v1, v3, vcc
; %bb.1807:
	s_or_b64 exec, exec, s[16:17]
	v_lshrrev_b32_e32 v0, 24, v0
	s_movk_i32 s16, 0x80
	v_and_or_b32 v27, v0, s16, v1
                                        ; implicit-def: $vgpr0_vgpr1
.LBB234_1808:
	s_andn2_saveexec_b64 s[14:15], s[14:15]
	s_cbranch_execz .LBB234_1818
; %bb.1809:
	flat_load_dword v0, v[0:1]
	s_mov_b32 s16, 0x47800000
                                        ; implicit-def: $vgpr1
	s_waitcnt vmcnt(0) lgkmcnt(0)
	v_and_b32_e32 v2, 0x7fffffff, v0
	v_cmp_gt_u32_e32 vcc, s16, v2
	s_and_saveexec_b64 s[16:17], vcc
	s_xor_b64 s[16:17], exec, s[16:17]
	s_cbranch_execz .LBB234_1815
; %bb.1810:
	s_mov_b32 s18, 0x387fffff
	v_cmp_lt_u32_e32 vcc, s18, v2
                                        ; implicit-def: $vgpr1
	s_and_saveexec_b64 s[18:19], vcc
	s_xor_b64 s[18:19], exec, s[18:19]
; %bb.1811:
	v_bfe_u32 v1, v0, 21, 1
	s_mov_b32 s20, 0x80fffff
	v_add3_u32 v1, v0, v1, s20
	v_lshrrev_b32_e32 v1, 21, v1
; %bb.1812:
	s_andn2_saveexec_b64 s[18:19], s[18:19]
; %bb.1813:
	s_mov_b32 s20, 0x43000000
	v_add_f32_e64 v1, |v0|, s20
; %bb.1814:
	s_or_b64 exec, exec, s[18:19]
                                        ; implicit-def: $vgpr2
.LBB234_1815:
	s_andn2_saveexec_b64 s[16:17], s[16:17]
; %bb.1816:
	s_mov_b32 s18, 0x7f800000
	v_mov_b32_e32 v1, 0x7c
	v_mov_b32_e32 v3, 0x7f
	v_cmp_lt_u32_e32 vcc, s18, v2
	v_cndmask_b32_e32 v1, v1, v3, vcc
; %bb.1817:
	s_or_b64 exec, exec, s[16:17]
	v_lshrrev_b32_e32 v0, 24, v0
	s_movk_i32 s16, 0x80
	v_and_or_b32 v27, v0, s16, v1
.LBB234_1818:
	s_or_b64 exec, exec, s[14:15]
                                        ; implicit-def: $vgpr0_vgpr1
.LBB234_1819:
	s_andn2_saveexec_b64 s[12:13], s[12:13]
	s_cbranch_execz .LBB234_1829
; %bb.1820:
	flat_load_ushort v0, v[0:1]
	s_mov_b32 s14, 0x47800000
                                        ; implicit-def: $vgpr1
	s_waitcnt vmcnt(0) lgkmcnt(0)
	v_cvt_f32_f16_e32 v0, v0
	v_and_b32_e32 v2, 0x7fffffff, v0
	v_cmp_gt_u32_e32 vcc, s14, v2
	s_and_saveexec_b64 s[14:15], vcc
	s_xor_b64 s[14:15], exec, s[14:15]
	s_cbranch_execz .LBB234_1826
; %bb.1821:
	s_mov_b32 s16, 0x387fffff
	v_cmp_lt_u32_e32 vcc, s16, v2
                                        ; implicit-def: $vgpr1
	s_and_saveexec_b64 s[16:17], vcc
	s_xor_b64 s[16:17], exec, s[16:17]
; %bb.1822:
	v_bfe_u32 v1, v0, 21, 1
	s_mov_b32 s18, 0x80fffff
	v_add3_u32 v1, v0, v1, s18
	v_lshrrev_b32_e32 v1, 21, v1
; %bb.1823:
	s_andn2_saveexec_b64 s[16:17], s[16:17]
; %bb.1824:
	s_mov_b32 s18, 0x43000000
	v_add_f32_e64 v1, |v0|, s18
; %bb.1825:
	s_or_b64 exec, exec, s[16:17]
                                        ; implicit-def: $vgpr2
.LBB234_1826:
	s_andn2_saveexec_b64 s[14:15], s[14:15]
; %bb.1827:
	s_mov_b32 s16, 0x7f800000
	v_mov_b32_e32 v1, 0x7c
	v_mov_b32_e32 v3, 0x7f
	v_cmp_lt_u32_e32 vcc, s16, v2
	v_cndmask_b32_e32 v1, v1, v3, vcc
; %bb.1828:
	s_or_b64 exec, exec, s[14:15]
	v_lshrrev_b32_e32 v0, 24, v0
	s_movk_i32 s14, 0x80
	v_and_or_b32 v27, v0, s14, v1
.LBB234_1829:
	s_or_b64 exec, exec, s[12:13]
.LBB234_1830:
	s_or_b64 exec, exec, s[10:11]
                                        ; implicit-def: $vgpr11
                                        ; implicit-def: $vgpr0_vgpr1
.LBB234_1831:
	s_andn2_saveexec_b64 s[8:9], s[8:9]
	s_cbranch_execz .LBB234_1889
; %bb.1832:
	v_cmp_lt_i16_e32 vcc, 1, v11
                                        ; implicit-def: $vgpr27
	s_and_saveexec_b64 s[10:11], vcc
	s_xor_b64 s[10:11], exec, s[10:11]
	s_cbranch_execz .LBB234_1866
; %bb.1833:
	v_cmp_lt_i16_e32 vcc, 2, v11
                                        ; implicit-def: $vgpr27
	s_and_saveexec_b64 s[12:13], vcc
	s_xor_b64 s[12:13], exec, s[12:13]
	s_cbranch_execz .LBB234_1855
; %bb.1834:
	v_cmp_lt_i16_e32 vcc, 3, v11
                                        ; implicit-def: $vgpr27
	s_and_saveexec_b64 s[14:15], vcc
	s_xor_b64 s[14:15], exec, s[14:15]
	s_cbranch_execz .LBB234_1844
; %bb.1835:
	flat_load_dwordx2 v[0:1], v[0:1]
	s_mov_b32 s16, 0x47800000
	s_waitcnt vmcnt(0) lgkmcnt(0)
	v_xor_b32_e32 v3, v0, v1
	v_ffbh_i32_e32 v2, v1
	v_ashrrev_i32_e32 v3, 31, v3
	v_add_u32_e32 v2, -1, v2
	v_add_u32_e32 v3, 32, v3
	v_min_u32_e32 v2, v2, v3
	v_lshlrev_b64 v[0:1], v2, v[0:1]
	v_min_u32_e32 v0, 1, v0
	v_or_b32_e32 v0, v1, v0
	v_cvt_f32_i32_e32 v0, v0
	v_sub_u32_e32 v1, 32, v2
	v_ldexp_f32 v0, v0, v1
	v_and_b32_e32 v2, 0x7fffffff, v0
	v_cmp_gt_u32_e32 vcc, s16, v2
                                        ; implicit-def: $vgpr1
	s_and_saveexec_b64 s[16:17], vcc
	s_xor_b64 s[16:17], exec, s[16:17]
	s_cbranch_execz .LBB234_1841
; %bb.1836:
	s_mov_b32 s18, 0x387fffff
	v_cmp_lt_u32_e32 vcc, s18, v2
                                        ; implicit-def: $vgpr1
	s_and_saveexec_b64 s[18:19], vcc
	s_xor_b64 s[18:19], exec, s[18:19]
; %bb.1837:
	v_bfe_u32 v1, v0, 21, 1
	s_mov_b32 s20, 0x80fffff
	v_add3_u32 v1, v0, v1, s20
	v_lshrrev_b32_e32 v1, 21, v1
; %bb.1838:
	s_andn2_saveexec_b64 s[18:19], s[18:19]
; %bb.1839:
	s_mov_b32 s20, 0x43000000
	v_add_f32_e64 v1, |v0|, s20
; %bb.1840:
	s_or_b64 exec, exec, s[18:19]
                                        ; implicit-def: $vgpr2
.LBB234_1841:
	s_andn2_saveexec_b64 s[16:17], s[16:17]
; %bb.1842:
	s_mov_b32 s18, 0x7f800000
	v_mov_b32_e32 v1, 0x7c
	v_mov_b32_e32 v3, 0x7f
	v_cmp_lt_u32_e32 vcc, s18, v2
	v_cndmask_b32_e32 v1, v1, v3, vcc
; %bb.1843:
	s_or_b64 exec, exec, s[16:17]
	v_lshrrev_b32_e32 v0, 24, v0
	s_movk_i32 s16, 0x80
	v_and_or_b32 v27, v0, s16, v1
                                        ; implicit-def: $vgpr0_vgpr1
.LBB234_1844:
	s_andn2_saveexec_b64 s[14:15], s[14:15]
	s_cbranch_execz .LBB234_1854
; %bb.1845:
	flat_load_dword v0, v[0:1]
	s_mov_b32 s16, 0x47800000
                                        ; implicit-def: $vgpr1
	s_waitcnt vmcnt(0) lgkmcnt(0)
	v_cvt_f32_i32_e32 v0, v0
	v_and_b32_e32 v2, 0x7fffffff, v0
	v_cmp_gt_u32_e32 vcc, s16, v2
	s_and_saveexec_b64 s[16:17], vcc
	s_xor_b64 s[16:17], exec, s[16:17]
	s_cbranch_execz .LBB234_1851
; %bb.1846:
	s_mov_b32 s18, 0x387fffff
	v_cmp_lt_u32_e32 vcc, s18, v2
                                        ; implicit-def: $vgpr1
	s_and_saveexec_b64 s[18:19], vcc
	s_xor_b64 s[18:19], exec, s[18:19]
; %bb.1847:
	v_bfe_u32 v1, v0, 21, 1
	s_mov_b32 s20, 0x80fffff
	v_add3_u32 v1, v0, v1, s20
	v_lshrrev_b32_e32 v1, 21, v1
; %bb.1848:
	s_andn2_saveexec_b64 s[18:19], s[18:19]
; %bb.1849:
	s_mov_b32 s20, 0x43000000
	v_add_f32_e64 v1, |v0|, s20
; %bb.1850:
	s_or_b64 exec, exec, s[18:19]
                                        ; implicit-def: $vgpr2
.LBB234_1851:
	s_andn2_saveexec_b64 s[16:17], s[16:17]
; %bb.1852:
	s_mov_b32 s18, 0x7f800000
	v_mov_b32_e32 v1, 0x7c
	v_mov_b32_e32 v3, 0x7f
	v_cmp_lt_u32_e32 vcc, s18, v2
	v_cndmask_b32_e32 v1, v1, v3, vcc
; %bb.1853:
	s_or_b64 exec, exec, s[16:17]
	v_lshrrev_b32_e32 v0, 24, v0
	s_movk_i32 s16, 0x80
	v_and_or_b32 v27, v0, s16, v1
.LBB234_1854:
	s_or_b64 exec, exec, s[14:15]
                                        ; implicit-def: $vgpr0_vgpr1
.LBB234_1855:
	s_andn2_saveexec_b64 s[12:13], s[12:13]
	s_cbranch_execz .LBB234_1865
; %bb.1856:
	flat_load_sshort v0, v[0:1]
	s_mov_b32 s14, 0x47800000
                                        ; implicit-def: $vgpr1
	s_waitcnt vmcnt(0) lgkmcnt(0)
	v_cvt_f32_i32_e32 v0, v0
	v_and_b32_e32 v2, 0x7fffffff, v0
	v_cmp_gt_u32_e32 vcc, s14, v2
	s_and_saveexec_b64 s[14:15], vcc
	s_xor_b64 s[14:15], exec, s[14:15]
	s_cbranch_execz .LBB234_1862
; %bb.1857:
	s_mov_b32 s16, 0x387fffff
	v_cmp_lt_u32_e32 vcc, s16, v2
                                        ; implicit-def: $vgpr1
	s_and_saveexec_b64 s[16:17], vcc
	s_xor_b64 s[16:17], exec, s[16:17]
; %bb.1858:
	v_bfe_u32 v1, v0, 21, 1
	s_mov_b32 s18, 0x80fffff
	v_add3_u32 v1, v0, v1, s18
	v_lshrrev_b32_e32 v1, 21, v1
; %bb.1859:
	s_andn2_saveexec_b64 s[16:17], s[16:17]
; %bb.1860:
	s_mov_b32 s18, 0x43000000
	v_add_f32_e64 v1, |v0|, s18
; %bb.1861:
	s_or_b64 exec, exec, s[16:17]
                                        ; implicit-def: $vgpr2
.LBB234_1862:
	s_andn2_saveexec_b64 s[14:15], s[14:15]
; %bb.1863:
	s_mov_b32 s16, 0x7f800000
	v_mov_b32_e32 v1, 0x7c
	v_mov_b32_e32 v3, 0x7f
	v_cmp_lt_u32_e32 vcc, s16, v2
	v_cndmask_b32_e32 v1, v1, v3, vcc
; %bb.1864:
	s_or_b64 exec, exec, s[14:15]
	v_lshrrev_b32_e32 v0, 24, v0
	s_movk_i32 s14, 0x80
	v_and_or_b32 v27, v0, s14, v1
.LBB234_1865:
	s_or_b64 exec, exec, s[12:13]
                                        ; implicit-def: $vgpr11
                                        ; implicit-def: $vgpr0_vgpr1
.LBB234_1866:
	s_andn2_saveexec_b64 s[10:11], s[10:11]
	s_cbranch_execz .LBB234_1888
; %bb.1867:
	v_cmp_lt_i16_e32 vcc, 0, v11
                                        ; implicit-def: $vgpr27
	s_and_saveexec_b64 s[12:13], vcc
	s_xor_b64 s[12:13], exec, s[12:13]
	s_cbranch_execz .LBB234_1877
; %bb.1868:
	flat_load_sbyte v0, v[0:1]
	s_mov_b32 s14, 0x47800000
                                        ; implicit-def: $vgpr1
	s_waitcnt vmcnt(0) lgkmcnt(0)
	v_cvt_f32_i32_e32 v0, v0
	v_and_b32_e32 v2, 0x7fffffff, v0
	v_cmp_gt_u32_e32 vcc, s14, v2
	s_and_saveexec_b64 s[14:15], vcc
	s_xor_b64 s[14:15], exec, s[14:15]
	s_cbranch_execz .LBB234_1874
; %bb.1869:
	s_mov_b32 s16, 0x387fffff
	v_cmp_lt_u32_e32 vcc, s16, v2
                                        ; implicit-def: $vgpr1
	s_and_saveexec_b64 s[16:17], vcc
	s_xor_b64 s[16:17], exec, s[16:17]
; %bb.1870:
	v_bfe_u32 v1, v0, 21, 1
	s_mov_b32 s18, 0x80fffff
	v_add3_u32 v1, v0, v1, s18
	v_lshrrev_b32_e32 v1, 21, v1
; %bb.1871:
	s_andn2_saveexec_b64 s[16:17], s[16:17]
; %bb.1872:
	s_mov_b32 s18, 0x43000000
	v_add_f32_e64 v1, |v0|, s18
; %bb.1873:
	s_or_b64 exec, exec, s[16:17]
                                        ; implicit-def: $vgpr2
.LBB234_1874:
	s_andn2_saveexec_b64 s[14:15], s[14:15]
; %bb.1875:
	s_mov_b32 s16, 0x7f800000
	v_mov_b32_e32 v1, 0x7c
	v_mov_b32_e32 v3, 0x7f
	v_cmp_lt_u32_e32 vcc, s16, v2
	v_cndmask_b32_e32 v1, v1, v3, vcc
; %bb.1876:
	s_or_b64 exec, exec, s[14:15]
	v_lshrrev_b32_e32 v0, 24, v0
	s_movk_i32 s14, 0x80
	v_and_or_b32 v27, v0, s14, v1
                                        ; implicit-def: $vgpr0_vgpr1
.LBB234_1877:
	s_andn2_saveexec_b64 s[12:13], s[12:13]
	s_cbranch_execz .LBB234_1887
; %bb.1878:
	flat_load_ubyte v0, v[0:1]
	s_mov_b32 s14, 0x47800000
                                        ; implicit-def: $vgpr27
	s_waitcnt vmcnt(0) lgkmcnt(0)
	v_cvt_f32_ubyte0_e32 v0, v0
	v_cmp_gt_u32_e32 vcc, s14, v0
	s_and_saveexec_b64 s[14:15], vcc
	s_xor_b64 s[14:15], exec, s[14:15]
	s_cbranch_execz .LBB234_1884
; %bb.1879:
	s_mov_b32 s16, 0x387fffff
	v_cmp_lt_u32_e32 vcc, s16, v0
                                        ; implicit-def: $vgpr27
	s_and_saveexec_b64 s[16:17], vcc
	s_xor_b64 s[16:17], exec, s[16:17]
; %bb.1880:
	v_bfe_u32 v1, v0, 21, 1
	s_mov_b32 s18, 0x80fffff
	v_add3_u32 v0, v0, v1, s18
	v_lshrrev_b32_e32 v27, 21, v0
                                        ; implicit-def: $vgpr0
; %bb.1881:
	s_andn2_saveexec_b64 s[16:17], s[16:17]
; %bb.1882:
	v_add_f32_e32 v27, 0x43000000, v0
; %bb.1883:
	s_or_b64 exec, exec, s[16:17]
                                        ; implicit-def: $vgpr0
.LBB234_1884:
	s_andn2_saveexec_b64 s[14:15], s[14:15]
; %bb.1885:
	s_mov_b32 s16, 0x7f800000
	v_mov_b32_e32 v1, 0x7c
	v_mov_b32_e32 v2, 0x7f
	v_cmp_lt_u32_e32 vcc, s16, v0
	v_cndmask_b32_e32 v27, v1, v2, vcc
; %bb.1886:
	s_or_b64 exec, exec, s[14:15]
.LBB234_1887:
	s_or_b64 exec, exec, s[12:13]
.LBB234_1888:
	s_or_b64 exec, exec, s[10:11]
.LBB234_1889:
	s_or_b64 exec, exec, s[8:9]
	s_or_b64 s[6:7], s[6:7], exec
.LBB234_1890:
	s_or_b64 exec, exec, s[4:5]
	s_mov_b64 s[4:5], 0
	s_mov_b64 s[8:9], 0
	;; [unrolled: 1-line block ×3, first 2 shown]
                                        ; implicit-def: $sgpr10_sgpr11
                                        ; implicit-def: $vgpr9_vgpr10
                                        ; implicit-def: $vgpr3
	s_and_saveexec_b64 s[62:63], s[6:7]
	s_cbranch_execz .LBB234_2186
; %bb.1891:
	s_mov_b64 s[4:5], src_private_base
	s_add_u32 s4, 0, 16
	s_addc_u32 s8, s5, 0
	s_getpc_b64 s[6:7]
	s_add_u32 s6, s6, _ZN2at6native6invokeINS0_13BinaryFunctorIN3c1011Float8_e5m2ES4_bNS0_12_GLOBAL__N_116CompareEqFunctorIS4_EEEEj15function_traitsIS8_EEENT1_11result_typeERKT_PrKPcPKT0_PKNS3_10ScalarTypeEi@rel32@lo+4
	s_addc_u32 s7, s7, _ZN2at6native6invokeINS0_13BinaryFunctorIN3c1011Float8_e5m2ES4_bNS0_12_GLOBAL__N_116CompareEqFunctorIS4_EEEEj15function_traitsIS8_EEENT1_11result_typeERKT_PrKPcPKT0_PKNS3_10ScalarTypeEi@rel32@hi+12
	v_mov_b32_e32 v0, v15
	v_mov_b32_e32 v1, s27
	;; [unrolled: 1-line block ×7, first 2 shown]
	s_swappc_b64 s[30:31], s[6:7]
	buffer_load_ubyte v2, off, s[0:3], 0 offset:444
	v_and_b32_e32 v0, 1, v0
	v_lshlrev_b32_e32 v4, 25, v21
	v_cmp_eq_u32_e64 s[10:11], 1, v0
	v_lshlrev_b16_e32 v3, 8, v21
	s_movk_i32 s4, 0x7f00
	v_lshlrev_b32_e32 v6, 25, v23
	v_add_co_u32_e32 v0, vcc, v17, v22
	v_lshrrev_b32_e32 v7, 4, v4
	s_brev_b32 s5, 16
	v_lshlrev_b16_e32 v5, 8, v23
	v_addc_co_u32_e32 v1, vcc, 0, v19, vcc
	v_and_or_b32 v8, v3, s4, 0.5
	v_lshrrev_b32_e32 v9, 4, v6
	v_or_b32_e32 v7, 0x70000000, v7
	v_and_or_b32 v10, v5, s4, 0.5
	v_add_f32_e32 v8, -0.5, v8
	v_or_b32_e32 v9, 0x70000000, v9
	v_mul_f32_e32 v7, 0x7800000, v7
	v_cmp_gt_u32_e32 vcc, s5, v4
	v_add_f32_e32 v10, -0.5, v10
	v_mul_f32_e32 v9, 0x7800000, v9
	v_cndmask_b32_e32 v4, v7, v8, vcc
	v_cmp_gt_u32_e32 vcc, s5, v6
	s_brev_b32 s6, 1
	v_bfe_i32 v3, v3, 0, 16
	v_bfe_i32 v5, v5, 0, 16
	v_cndmask_b32_e32 v6, v9, v10, vcc
	v_and_or_b32 v3, v3, s6, v4
	v_and_or_b32 v4, v5, s6, v6
	v_cmp_eq_f32_e32 vcc, v3, v4
	v_cndmask_b32_e64 v5, 0, 1, vcc
	v_cmp_neq_f32_e32 vcc, v3, v4
	v_cndmask_b32_e64 v3, 0, 1, vcc
	v_cmp_eq_u32_e32 vcc, 0, v15
	v_cndmask_b32_e32 v3, v3, v5, vcc
	v_and_b32_e32 v3, 1, v3
	s_mov_b64 s[8:9], 0
	v_cmp_eq_u32_e64 s[4:5], 1, v3
	s_mov_b64 s[12:13], s[60:61]
	s_waitcnt vmcnt(0)
	v_cmp_lt_i16_e64 s[6:7], 10, v2
	s_and_saveexec_b64 s[14:15], s[6:7]
	s_xor_b64 s[14:15], exec, s[14:15]
	s_cbranch_execz .LBB234_1932
; %bb.1892:
	v_cmp_lt_i16_e64 s[6:7], 25, v2
	s_mov_b64 s[16:17], 0
	s_mov_b64 s[12:13], 0
	s_and_saveexec_b64 s[18:19], s[6:7]
	s_xor_b64 s[18:19], exec, s[18:19]
	s_cbranch_execz .LBB234_2645
; %bb.1893:
	v_cmp_lt_i16_e64 s[6:7], 28, v2
	s_mov_b64 s[20:21], 0
	s_and_saveexec_b64 s[12:13], s[6:7]
	s_xor_b64 s[12:13], exec, s[12:13]
	s_cbranch_execz .LBB234_1911
; %bb.1894:
	v_cmp_lt_i16_e64 s[6:7], 43, v2
	;; [unrolled: 6-line block ×3, first 2 shown]
	s_mov_b64 s[24:25], 0
	s_and_saveexec_b64 s[8:9], s[6:7]
	s_xor_b64 s[8:9], exec, s[8:9]
	s_cbranch_execz .LBB234_1899
; %bb.1896:
	v_cmp_eq_u16_e64 s[6:7], 46, v2
	s_mov_b64 s[26:27], -1
	s_and_saveexec_b64 s[24:25], s[6:7]
	s_cbranch_execz .LBB234_1898
; %bb.1897:
	v_cndmask_b32_e64 v2, 0, 1.0, s[4:5]
	v_bfe_u32 v3, v2, 16, 1
	s_movk_i32 s6, 0x7fff
	v_add3_u32 v2, v2, v3, s6
	v_lshrrev_b32_e32 v2, 16, v2
	s_mov_b64 s[22:23], exec
	flat_store_dword v[0:1], v2
	s_xor_b64 s[26:27], exec, -1
.LBB234_1898:
	s_or_b64 exec, exec, s[24:25]
	s_and_b64 s[24:25], s[22:23], exec
	s_and_b64 s[22:23], s[26:27], exec
                                        ; implicit-def: $vgpr2
.LBB234_1899:
	s_andn2_saveexec_b64 s[26:27], s[8:9]
	s_cbranch_execz .LBB234_1905
; %bb.1900:
	v_cmp_eq_u16_e64 s[6:7], 44, v2
	s_mov_b64 s[8:9], -1
	s_mov_b64 s[30:31], s[24:25]
	s_and_saveexec_b64 s[28:29], s[6:7]
	s_cbranch_execz .LBB234_1904
; %bb.1901:
	v_cndmask_b32_e64 v3, 0, 1.0, s[4:5]
	v_lshrrev_b32_e32 v2, 23, v3
	s_movk_i32 s6, 0xff
	v_cmp_ne_u32_e64 s[6:7], s6, v2
	v_mov_b32_e32 v4, 0xff
	s_and_saveexec_b64 s[30:31], s[6:7]
; %bb.1902:
	s_mov_b32 s8, 0x3fffff
	v_and_b32_e32 v4, 0x400000, v3
	v_and_or_b32 v3, v3, s8, v2
	v_cmp_ne_u32_e64 s[6:7], 0, v4
	v_cmp_ne_u32_e64 s[8:9], 0, v3
	s_and_b64 s[6:7], s[6:7], s[8:9]
	v_cndmask_b32_e64 v3, 0, 1, s[6:7]
	v_add_u32_e32 v4, v2, v3
; %bb.1903:
	s_or_b64 exec, exec, s[30:31]
	s_or_b64 s[30:31], s[24:25], exec
	s_xor_b64 s[8:9], exec, -1
	flat_store_byte v[0:1], v4
.LBB234_1904:
	s_or_b64 exec, exec, s[28:29]
	s_andn2_b64 s[6:7], s[24:25], exec
	s_and_b64 s[24:25], s[30:31], exec
	s_or_b64 s[24:25], s[6:7], s[24:25]
	s_andn2_b64 s[6:7], s[22:23], exec
	s_and_b64 s[8:9], s[8:9], exec
	s_or_b64 s[22:23], s[6:7], s[8:9]
.LBB234_1905:
	s_or_b64 exec, exec, s[26:27]
	s_and_b64 s[8:9], s[24:25], exec
	s_and_b64 s[22:23], s[22:23], exec
                                        ; implicit-def: $vgpr2
.LBB234_1906:
	s_andn2_saveexec_b64 s[20:21], s[20:21]
	s_cbranch_execz .LBB234_1910
; %bb.1907:
	v_cmp_eq_u16_e64 s[6:7], 29, v2
	s_mov_b64 s[24:25], -1
	s_mov_b64 s[28:29], s[8:9]
	s_and_saveexec_b64 s[26:27], s[6:7]
	s_cbranch_execz .LBB234_1909
; %bb.1908:
	s_mov_b32 s6, 0
	v_cndmask_b32_e64 v2, 0, 1, s[4:5]
	v_mov_b32_e32 v3, s6
	flat_store_dwordx2 v[0:1], v[2:3]
	s_or_b64 s[28:29], s[8:9], exec
	s_xor_b64 s[24:25], exec, -1
.LBB234_1909:
	s_or_b64 exec, exec, s[26:27]
	s_andn2_b64 s[6:7], s[8:9], exec
	s_and_b64 s[8:9], s[28:29], exec
	s_or_b64 s[8:9], s[6:7], s[8:9]
	s_andn2_b64 s[6:7], s[22:23], exec
	s_and_b64 s[22:23], s[24:25], exec
	s_or_b64 s[22:23], s[6:7], s[22:23]
.LBB234_1910:
	s_or_b64 exec, exec, s[20:21]
	s_and_b64 s[8:9], s[8:9], exec
	s_and_b64 s[20:21], s[22:23], exec
                                        ; implicit-def: $vgpr2
.LBB234_1911:
	s_andn2_saveexec_b64 s[12:13], s[12:13]
	s_cbranch_execz .LBB234_1927
; %bb.1912:
	v_cmp_lt_i16_e64 s[6:7], 26, v2
	s_and_saveexec_b64 s[22:23], s[6:7]
	s_xor_b64 s[22:23], exec, s[22:23]
	s_cbranch_execz .LBB234_1918
; %bb.1913:
	v_cmp_lt_i16_e64 s[6:7], 27, v2
	s_and_saveexec_b64 s[24:25], s[6:7]
	s_xor_b64 s[6:7], exec, s[24:25]
	s_cbranch_execz .LBB234_1915
; %bb.1914:
	v_cndmask_b32_e64 v2, 0, 1, s[4:5]
	flat_store_dword v[0:1], v2
.LBB234_1915:
	s_andn2_saveexec_b64 s[6:7], s[6:7]
	s_cbranch_execz .LBB234_1917
; %bb.1916:
	v_cndmask_b32_e64 v2, 0, 1, s[4:5]
	flat_store_short v[0:1], v2
.LBB234_1917:
	s_or_b64 exec, exec, s[6:7]
.LBB234_1918:
	s_andn2_saveexec_b64 s[22:23], s[22:23]
	s_cbranch_execz .LBB234_1926
; %bb.1919:
	v_cndmask_b32_e64 v3, 0, 1.0, s[4:5]
	s_mov_b32 s6, 0x43800000
	v_cmp_gt_u32_e64 s[6:7], s6, v3
	v_mov_b32_e32 v4, 0x80
	s_and_saveexec_b64 s[24:25], s[6:7]
	s_cbranch_execz .LBB234_1925
; %bb.1920:
	s_mov_b32 s6, 0x3bffffff
	v_cmp_lt_u32_e64 s[6:7], s6, v3
	s_mov_b64 s[26:27], 0
                                        ; implicit-def: $vgpr2
	s_and_saveexec_b64 s[28:29], s[6:7]
	s_xor_b64 s[6:7], exec, s[28:29]
	s_cbranch_execz .LBB234_2839
; %bb.1921:
	v_bfe_u32 v2, v3, 20, 1
	s_mov_b32 s28, 0x487ffff
	v_add3_u32 v2, v3, v2, s28
	s_mov_b64 s[26:27], exec
	v_lshrrev_b32_e32 v2, 20, v2
                                        ; implicit-def: $vgpr3
	s_andn2_saveexec_b64 s[28:29], s[6:7]
	s_cbranch_execnz .LBB234_2840
.LBB234_1922:
	s_or_b64 exec, exec, s[28:29]
	v_mov_b32_e32 v4, 0
	s_and_saveexec_b64 s[6:7], s[26:27]
.LBB234_1923:
	v_mov_b32_e32 v4, v2
.LBB234_1924:
	s_or_b64 exec, exec, s[6:7]
.LBB234_1925:
	s_or_b64 exec, exec, s[24:25]
	flat_store_byte v[0:1], v4
.LBB234_1926:
	s_or_b64 exec, exec, s[22:23]
	s_or_b64 s[8:9], s[8:9], exec
.LBB234_1927:
	s_or_b64 exec, exec, s[12:13]
	s_and_b64 s[8:9], s[8:9], exec
	s_and_b64 s[12:13], s[20:21], exec
                                        ; implicit-def: $vgpr2
	s_andn2_saveexec_b64 s[18:19], s[18:19]
	s_cbranch_execnz .LBB234_2646
.LBB234_1928:
	s_or_b64 exec, exec, s[18:19]
	s_mov_b64 s[6:7], s[60:61]
	s_and_saveexec_b64 s[18:19], s[12:13]
	s_cbranch_execnz .LBB234_2687
.LBB234_1929:
	s_or_b64 exec, exec, s[18:19]
	s_and_saveexec_b64 s[12:13], s[16:17]
	s_xor_b64 s[12:13], exec, s[12:13]
	s_cbranch_execz .LBB234_1931
.LBB234_1930:
	v_cndmask_b32_e64 v2, 0, 1, s[4:5]
	flat_store_byte v[0:1], v2
	s_or_b64 s[8:9], s[8:9], exec
.LBB234_1931:
	s_or_b64 exec, exec, s[12:13]
	s_andn2_b64 s[12:13], s[60:61], exec
	s_and_b64 s[6:7], s[6:7], exec
	s_or_b64 s[12:13], s[12:13], s[6:7]
	s_and_b64 s[8:9], s[8:9], exec
                                        ; implicit-def: $vgpr2
                                        ; implicit-def: $vgpr0_vgpr1
.LBB234_1932:
	s_andn2_saveexec_b64 s[14:15], s[14:15]
	s_cbranch_execz .LBB234_1974
; %bb.1933:
	v_cmp_lt_i16_e64 s[6:7], 4, v2
	s_and_saveexec_b64 s[16:17], s[6:7]
	s_xor_b64 s[16:17], exec, s[16:17]
	s_cbranch_execz .LBB234_1955
; %bb.1934:
	v_cmp_lt_i16_e64 s[6:7], 7, v2
	s_and_saveexec_b64 s[18:19], s[6:7]
	s_xor_b64 s[18:19], exec, s[18:19]
	;; [unrolled: 5-line block ×4, first 2 shown]
	s_cbranch_execz .LBB234_1938
; %bb.1937:
	v_cndmask_b32_e64 v2, 0, 1, s[4:5]
	v_cvt_f64_u32_e32 v[2:3], v2
	v_mov_b32_e32 v4, 0
	v_mov_b32_e32 v5, v4
	flat_store_dwordx4 v[0:1], v[2:5]
                                        ; implicit-def: $vgpr0_vgpr1
.LBB234_1938:
	s_andn2_saveexec_b64 s[6:7], s[6:7]
	s_cbranch_execz .LBB234_1940
; %bb.1939:
	v_cndmask_b32_e64 v2, 0, 1.0, s[4:5]
	v_mov_b32_e32 v3, 0
	flat_store_dwordx2 v[0:1], v[2:3]
.LBB234_1940:
	s_or_b64 exec, exec, s[6:7]
                                        ; implicit-def: $vgpr0_vgpr1
.LBB234_1941:
	s_andn2_saveexec_b64 s[6:7], s[20:21]
	s_cbranch_execz .LBB234_1943
; %bb.1942:
	v_cndmask_b32_e64 v2, 0, 1.0, s[4:5]
	v_cvt_f16_f32_e32 v2, v2
	flat_store_dword v[0:1], v2
.LBB234_1943:
	s_or_b64 exec, exec, s[6:7]
                                        ; implicit-def: $vgpr0_vgpr1
                                        ; implicit-def: $vgpr2
.LBB234_1944:
	s_andn2_saveexec_b64 s[18:19], s[18:19]
	s_cbranch_execz .LBB234_1954
; %bb.1945:
	v_cmp_lt_i16_e64 s[6:7], 5, v2
	s_and_saveexec_b64 s[20:21], s[6:7]
	s_xor_b64 s[20:21], exec, s[20:21]
	s_cbranch_execz .LBB234_1951
; %bb.1946:
	v_cmp_lt_i16_e64 s[6:7], 6, v2
	s_and_saveexec_b64 s[22:23], s[6:7]
	s_xor_b64 s[6:7], exec, s[22:23]
	s_cbranch_execz .LBB234_1948
; %bb.1947:
	v_cndmask_b32_e64 v2, 0, 1, s[4:5]
	v_cvt_f64_u32_e32 v[2:3], v2
	flat_store_dwordx2 v[0:1], v[2:3]
                                        ; implicit-def: $vgpr0_vgpr1
.LBB234_1948:
	s_andn2_saveexec_b64 s[6:7], s[6:7]
	s_cbranch_execz .LBB234_1950
; %bb.1949:
	v_cndmask_b32_e64 v2, 0, 1.0, s[4:5]
	flat_store_dword v[0:1], v2
.LBB234_1950:
	s_or_b64 exec, exec, s[6:7]
                                        ; implicit-def: $vgpr0_vgpr1
.LBB234_1951:
	s_andn2_saveexec_b64 s[6:7], s[20:21]
	s_cbranch_execz .LBB234_1953
; %bb.1952:
	v_cndmask_b32_e64 v2, 0, 1.0, s[4:5]
	v_cvt_f16_f32_e32 v2, v2
	flat_store_short v[0:1], v2
.LBB234_1953:
	s_or_b64 exec, exec, s[6:7]
.LBB234_1954:
	s_or_b64 exec, exec, s[18:19]
                                        ; implicit-def: $vgpr2
                                        ; implicit-def: $vgpr0_vgpr1
.LBB234_1955:
	s_andn2_saveexec_b64 s[16:17], s[16:17]
	s_cbranch_execz .LBB234_1973
; %bb.1956:
	v_cmp_lt_i16_e64 s[6:7], 1, v2
	s_and_saveexec_b64 s[18:19], s[6:7]
	s_xor_b64 s[18:19], exec, s[18:19]
	s_cbranch_execz .LBB234_1966
; %bb.1957:
	v_cmp_lt_i16_e64 s[6:7], 2, v2
	s_and_saveexec_b64 s[20:21], s[6:7]
	s_xor_b64 s[20:21], exec, s[20:21]
	;; [unrolled: 5-line block ×3, first 2 shown]
	s_cbranch_execz .LBB234_1960
; %bb.1959:
	s_mov_b32 s22, 0
	v_cndmask_b32_e64 v2, 0, 1, s[4:5]
	v_mov_b32_e32 v3, s22
	flat_store_dwordx2 v[0:1], v[2:3]
                                        ; implicit-def: $vgpr0_vgpr1
.LBB234_1960:
	s_andn2_saveexec_b64 s[6:7], s[6:7]
	s_cbranch_execz .LBB234_1962
; %bb.1961:
	v_cndmask_b32_e64 v2, 0, 1, s[4:5]
	flat_store_dword v[0:1], v2
.LBB234_1962:
	s_or_b64 exec, exec, s[6:7]
                                        ; implicit-def: $vgpr0_vgpr1
.LBB234_1963:
	s_andn2_saveexec_b64 s[6:7], s[20:21]
	s_cbranch_execz .LBB234_1965
; %bb.1964:
	v_cndmask_b32_e64 v2, 0, 1, s[4:5]
	flat_store_short v[0:1], v2
.LBB234_1965:
	s_or_b64 exec, exec, s[6:7]
                                        ; implicit-def: $vgpr0_vgpr1
                                        ; implicit-def: $vgpr2
.LBB234_1966:
	s_andn2_saveexec_b64 s[18:19], s[18:19]
	s_cbranch_execz .LBB234_1972
; %bb.1967:
	v_cmp_lt_i16_e64 s[6:7], 0, v2
	v_cndmask_b32_e64 v2, 0, 1, s[4:5]
	s_and_saveexec_b64 s[4:5], s[6:7]
	s_xor_b64 s[4:5], exec, s[4:5]
	s_cbranch_execz .LBB234_1969
; %bb.1968:
	flat_store_byte v[0:1], v2
                                        ; implicit-def: $vgpr0_vgpr1
                                        ; implicit-def: $vgpr2
.LBB234_1969:
	s_andn2_saveexec_b64 s[4:5], s[4:5]
	s_cbranch_execz .LBB234_1971
; %bb.1970:
	flat_store_byte v[0:1], v2
.LBB234_1971:
	s_or_b64 exec, exec, s[4:5]
.LBB234_1972:
	s_or_b64 exec, exec, s[18:19]
.LBB234_1973:
	s_or_b64 exec, exec, s[16:17]
	s_or_b64 s[8:9], s[8:9], exec
.LBB234_1974:
	s_or_b64 exec, exec, s[14:15]
	s_mov_b64 s[4:5], 0
	s_mov_b64 s[6:7], 0
	;; [unrolled: 1-line block ×3, first 2 shown]
                                        ; implicit-def: $vgpr9_vgpr10
                                        ; implicit-def: $vgpr3
	s_and_saveexec_b64 s[14:15], s[8:9]
	s_cbranch_execz .LBB234_2185
; %bb.1975:
	buffer_load_ubyte v2, off, s[0:3], 0 offset:444
	v_lshlrev_b32_e32 v4, 25, v25
	v_lshlrev_b16_e32 v3, 8, v25
	s_movk_i32 s6, 0x7f00
	v_lshlrev_b32_e32 v6, 25, v26
	v_add_co_u32_e64 v0, s[4:5], v17, v20
	v_lshrrev_b32_e32 v7, 4, v4
	s_brev_b32 s7, 16
	v_lshlrev_b16_e32 v5, 8, v26
	v_addc_co_u32_e64 v1, s[4:5], 0, v19, s[4:5]
	v_and_or_b32 v8, v3, s6, 0.5
	v_lshrrev_b32_e32 v9, 4, v6
	v_or_b32_e32 v7, 0x70000000, v7
	v_and_or_b32 v10, v5, s6, 0.5
	v_add_f32_e32 v8, -0.5, v8
	v_or_b32_e32 v9, 0x70000000, v9
	v_mul_f32_e32 v7, 0x7800000, v7
	v_cmp_gt_u32_e64 s[4:5], s7, v4
	v_add_f32_e32 v10, -0.5, v10
	v_mul_f32_e32 v9, 0x7800000, v9
	v_cndmask_b32_e64 v4, v7, v8, s[4:5]
	v_cmp_gt_u32_e64 s[4:5], s7, v6
	s_brev_b32 s8, 1
	v_bfe_i32 v3, v3, 0, 16
	v_bfe_i32 v5, v5, 0, 16
	v_cndmask_b32_e64 v6, v9, v10, s[4:5]
	v_and_or_b32 v3, v3, s8, v4
	v_and_or_b32 v4, v5, s8, v6
	v_cmp_eq_f32_e64 s[4:5], v3, v4
	v_cndmask_b32_e64 v5, 0, 1, s[4:5]
	v_cmp_neq_f32_e64 s[4:5], v3, v4
	v_cndmask_b32_e64 v3, 0, 1, s[4:5]
	v_cndmask_b32_e32 v3, v3, v5, vcc
	v_and_b32_e32 v3, 1, v3
	s_mov_b64 s[18:19], 0
	v_cmp_eq_u32_e64 s[4:5], 1, v3
	s_mov_b64 s[8:9], s[12:13]
	s_waitcnt vmcnt(0)
	v_cmp_lt_i16_e64 s[6:7], 10, v2
	s_and_saveexec_b64 s[16:17], s[6:7]
	s_xor_b64 s[16:17], exec, s[16:17]
	s_cbranch_execz .LBB234_2016
; %bb.1976:
	v_cmp_lt_i16_e64 s[6:7], 25, v2
	s_mov_b64 s[20:21], 0
	s_mov_b64 s[8:9], 0
	s_and_saveexec_b64 s[22:23], s[6:7]
	s_xor_b64 s[22:23], exec, s[22:23]
	s_cbranch_execz .LBB234_2696
; %bb.1977:
	v_cmp_lt_i16_e64 s[6:7], 28, v2
	s_mov_b64 s[24:25], 0
	s_and_saveexec_b64 s[18:19], s[6:7]
	s_xor_b64 s[18:19], exec, s[18:19]
	s_cbranch_execz .LBB234_1995
; %bb.1978:
	v_cmp_lt_i16_e64 s[6:7], 43, v2
	;; [unrolled: 6-line block ×3, first 2 shown]
	s_mov_b64 s[26:27], 0
	s_and_saveexec_b64 s[8:9], s[6:7]
	s_xor_b64 s[8:9], exec, s[8:9]
	s_cbranch_execz .LBB234_1983
; %bb.1980:
	v_cmp_eq_u16_e64 s[6:7], 46, v2
	s_mov_b64 s[30:31], -1
	s_and_saveexec_b64 s[28:29], s[6:7]
	s_cbranch_execz .LBB234_1982
; %bb.1981:
	v_cndmask_b32_e64 v2, 0, 1.0, s[4:5]
	v_bfe_u32 v3, v2, 16, 1
	s_movk_i32 s6, 0x7fff
	v_add3_u32 v2, v2, v3, s6
	v_lshrrev_b32_e32 v2, 16, v2
	s_mov_b64 s[26:27], exec
	flat_store_dword v[0:1], v2
	s_xor_b64 s[30:31], exec, -1
.LBB234_1982:
	s_or_b64 exec, exec, s[28:29]
	s_and_b64 s[28:29], s[26:27], exec
	s_and_b64 s[26:27], s[30:31], exec
                                        ; implicit-def: $vgpr2
.LBB234_1983:
	s_andn2_saveexec_b64 s[30:31], s[8:9]
	s_cbranch_execz .LBB234_1989
; %bb.1984:
	v_cmp_eq_u16_e64 s[6:7], 44, v2
	s_mov_b64 s[8:9], -1
	s_mov_b64 s[64:65], s[28:29]
	s_and_saveexec_b64 s[40:41], s[6:7]
	s_cbranch_execz .LBB234_1988
; %bb.1985:
	v_cndmask_b32_e64 v3, 0, 1.0, s[4:5]
	v_lshrrev_b32_e32 v2, 23, v3
	s_movk_i32 s6, 0xff
	v_cmp_ne_u32_e64 s[6:7], s6, v2
	v_mov_b32_e32 v4, 0xff
	s_and_saveexec_b64 s[64:65], s[6:7]
; %bb.1986:
	s_mov_b32 s8, 0x3fffff
	v_and_b32_e32 v4, 0x400000, v3
	v_and_or_b32 v3, v3, s8, v2
	v_cmp_ne_u32_e64 s[6:7], 0, v4
	v_cmp_ne_u32_e64 s[8:9], 0, v3
	s_and_b64 s[6:7], s[6:7], s[8:9]
	v_cndmask_b32_e64 v3, 0, 1, s[6:7]
	v_add_u32_e32 v4, v2, v3
; %bb.1987:
	s_or_b64 exec, exec, s[64:65]
	s_or_b64 s[64:65], s[28:29], exec
	s_xor_b64 s[8:9], exec, -1
	flat_store_byte v[0:1], v4
.LBB234_1988:
	s_or_b64 exec, exec, s[40:41]
	s_andn2_b64 s[6:7], s[28:29], exec
	s_and_b64 s[28:29], s[64:65], exec
	s_or_b64 s[28:29], s[6:7], s[28:29]
	s_andn2_b64 s[6:7], s[26:27], exec
	s_and_b64 s[8:9], s[8:9], exec
	s_or_b64 s[26:27], s[6:7], s[8:9]
.LBB234_1989:
	s_or_b64 exec, exec, s[30:31]
	s_and_b64 s[28:29], s[28:29], exec
	s_and_b64 s[8:9], s[26:27], exec
                                        ; implicit-def: $vgpr2
.LBB234_1990:
	s_andn2_saveexec_b64 s[24:25], s[24:25]
	s_cbranch_execz .LBB234_1994
; %bb.1991:
	v_cmp_eq_u16_e64 s[6:7], 29, v2
	s_mov_b64 s[26:27], -1
	s_mov_b64 s[40:41], s[28:29]
	s_and_saveexec_b64 s[30:31], s[6:7]
	s_cbranch_execz .LBB234_1993
; %bb.1992:
	s_mov_b32 s6, 0
	v_cndmask_b32_e64 v2, 0, 1, s[4:5]
	v_mov_b32_e32 v3, s6
	flat_store_dwordx2 v[0:1], v[2:3]
	s_or_b64 s[40:41], s[28:29], exec
	s_xor_b64 s[26:27], exec, -1
.LBB234_1993:
	s_or_b64 exec, exec, s[30:31]
	s_andn2_b64 s[6:7], s[28:29], exec
	s_and_b64 s[28:29], s[40:41], exec
	s_or_b64 s[28:29], s[6:7], s[28:29]
	s_andn2_b64 s[6:7], s[8:9], exec
	s_and_b64 s[8:9], s[26:27], exec
	s_or_b64 s[8:9], s[6:7], s[8:9]
.LBB234_1994:
	s_or_b64 exec, exec, s[24:25]
	s_and_b64 s[24:25], s[28:29], exec
	s_and_b64 s[8:9], s[8:9], exec
                                        ; implicit-def: $vgpr2
.LBB234_1995:
	s_andn2_saveexec_b64 s[18:19], s[18:19]
	s_cbranch_execz .LBB234_2011
; %bb.1996:
	v_cmp_lt_i16_e64 s[6:7], 26, v2
	s_and_saveexec_b64 s[26:27], s[6:7]
	s_xor_b64 s[26:27], exec, s[26:27]
	s_cbranch_execz .LBB234_2002
; %bb.1997:
	v_cmp_lt_i16_e64 s[6:7], 27, v2
	s_and_saveexec_b64 s[28:29], s[6:7]
	s_xor_b64 s[6:7], exec, s[28:29]
	s_cbranch_execz .LBB234_1999
; %bb.1998:
	v_cndmask_b32_e64 v2, 0, 1, s[4:5]
	flat_store_dword v[0:1], v2
.LBB234_1999:
	s_andn2_saveexec_b64 s[6:7], s[6:7]
	s_cbranch_execz .LBB234_2001
; %bb.2000:
	v_cndmask_b32_e64 v2, 0, 1, s[4:5]
	flat_store_short v[0:1], v2
.LBB234_2001:
	s_or_b64 exec, exec, s[6:7]
.LBB234_2002:
	s_andn2_saveexec_b64 s[26:27], s[26:27]
	s_cbranch_execz .LBB234_2010
; %bb.2003:
	v_cndmask_b32_e64 v3, 0, 1.0, s[4:5]
	s_mov_b32 s6, 0x43800000
	v_cmp_gt_u32_e64 s[6:7], s6, v3
	v_mov_b32_e32 v4, 0x80
	s_and_saveexec_b64 s[28:29], s[6:7]
	s_cbranch_execz .LBB234_2009
; %bb.2004:
	s_mov_b32 s6, 0x3bffffff
	v_cmp_lt_u32_e64 s[6:7], s6, v3
	s_mov_b64 s[30:31], 0
                                        ; implicit-def: $vgpr2
	s_and_saveexec_b64 s[40:41], s[6:7]
	s_xor_b64 s[6:7], exec, s[40:41]
	s_cbranch_execz .LBB234_2841
; %bb.2005:
	v_bfe_u32 v2, v3, 20, 1
	s_mov_b32 s33, 0x487ffff
	v_add3_u32 v2, v3, v2, s33
	s_mov_b64 s[30:31], exec
	v_lshrrev_b32_e32 v2, 20, v2
                                        ; implicit-def: $vgpr3
	s_andn2_saveexec_b64 s[40:41], s[6:7]
	s_cbranch_execnz .LBB234_2842
.LBB234_2006:
	s_or_b64 exec, exec, s[40:41]
	v_mov_b32_e32 v4, 0
	s_and_saveexec_b64 s[6:7], s[30:31]
.LBB234_2007:
	v_mov_b32_e32 v4, v2
.LBB234_2008:
	s_or_b64 exec, exec, s[6:7]
.LBB234_2009:
	s_or_b64 exec, exec, s[28:29]
	flat_store_byte v[0:1], v4
.LBB234_2010:
	s_or_b64 exec, exec, s[26:27]
	s_or_b64 s[24:25], s[24:25], exec
.LBB234_2011:
	s_or_b64 exec, exec, s[18:19]
	s_and_b64 s[18:19], s[24:25], exec
	s_and_b64 s[8:9], s[8:9], exec
                                        ; implicit-def: $vgpr2
	s_andn2_saveexec_b64 s[22:23], s[22:23]
	s_cbranch_execnz .LBB234_2697
.LBB234_2012:
	s_or_b64 exec, exec, s[22:23]
	s_mov_b64 s[6:7], s[12:13]
	s_and_saveexec_b64 s[22:23], s[8:9]
	s_cbranch_execnz .LBB234_2738
.LBB234_2013:
	s_or_b64 exec, exec, s[22:23]
	s_and_saveexec_b64 s[8:9], s[20:21]
	s_xor_b64 s[8:9], exec, s[8:9]
	s_cbranch_execz .LBB234_2015
.LBB234_2014:
	v_cndmask_b32_e64 v2, 0, 1, s[4:5]
	flat_store_byte v[0:1], v2
	s_or_b64 s[18:19], s[18:19], exec
.LBB234_2015:
	s_or_b64 exec, exec, s[8:9]
	s_andn2_b64 s[8:9], s[12:13], exec
	s_and_b64 s[6:7], s[6:7], exec
	s_or_b64 s[8:9], s[8:9], s[6:7]
	s_and_b64 s[18:19], s[18:19], exec
                                        ; implicit-def: $vgpr2
                                        ; implicit-def: $vgpr0_vgpr1
.LBB234_2016:
	s_andn2_saveexec_b64 s[16:17], s[16:17]
	s_cbranch_execz .LBB234_2058
; %bb.2017:
	v_cmp_lt_i16_e64 s[6:7], 4, v2
	s_and_saveexec_b64 s[20:21], s[6:7]
	s_xor_b64 s[20:21], exec, s[20:21]
	s_cbranch_execz .LBB234_2039
; %bb.2018:
	v_cmp_lt_i16_e64 s[6:7], 7, v2
	s_and_saveexec_b64 s[22:23], s[6:7]
	s_xor_b64 s[22:23], exec, s[22:23]
	;; [unrolled: 5-line block ×4, first 2 shown]
	s_cbranch_execz .LBB234_2022
; %bb.2021:
	v_cndmask_b32_e64 v2, 0, 1, s[4:5]
	v_cvt_f64_u32_e32 v[2:3], v2
	v_mov_b32_e32 v4, 0
	v_mov_b32_e32 v5, v4
	flat_store_dwordx4 v[0:1], v[2:5]
                                        ; implicit-def: $vgpr0_vgpr1
.LBB234_2022:
	s_andn2_saveexec_b64 s[6:7], s[6:7]
	s_cbranch_execz .LBB234_2024
; %bb.2023:
	v_cndmask_b32_e64 v2, 0, 1.0, s[4:5]
	v_mov_b32_e32 v3, 0
	flat_store_dwordx2 v[0:1], v[2:3]
.LBB234_2024:
	s_or_b64 exec, exec, s[6:7]
                                        ; implicit-def: $vgpr0_vgpr1
.LBB234_2025:
	s_andn2_saveexec_b64 s[6:7], s[24:25]
	s_cbranch_execz .LBB234_2027
; %bb.2026:
	v_cndmask_b32_e64 v2, 0, 1.0, s[4:5]
	v_cvt_f16_f32_e32 v2, v2
	flat_store_dword v[0:1], v2
.LBB234_2027:
	s_or_b64 exec, exec, s[6:7]
                                        ; implicit-def: $vgpr0_vgpr1
                                        ; implicit-def: $vgpr2
.LBB234_2028:
	s_andn2_saveexec_b64 s[22:23], s[22:23]
	s_cbranch_execz .LBB234_2038
; %bb.2029:
	v_cmp_lt_i16_e64 s[6:7], 5, v2
	s_and_saveexec_b64 s[24:25], s[6:7]
	s_xor_b64 s[24:25], exec, s[24:25]
	s_cbranch_execz .LBB234_2035
; %bb.2030:
	v_cmp_lt_i16_e64 s[6:7], 6, v2
	s_and_saveexec_b64 s[26:27], s[6:7]
	s_xor_b64 s[6:7], exec, s[26:27]
	s_cbranch_execz .LBB234_2032
; %bb.2031:
	v_cndmask_b32_e64 v2, 0, 1, s[4:5]
	v_cvt_f64_u32_e32 v[2:3], v2
	flat_store_dwordx2 v[0:1], v[2:3]
                                        ; implicit-def: $vgpr0_vgpr1
.LBB234_2032:
	s_andn2_saveexec_b64 s[6:7], s[6:7]
	s_cbranch_execz .LBB234_2034
; %bb.2033:
	v_cndmask_b32_e64 v2, 0, 1.0, s[4:5]
	flat_store_dword v[0:1], v2
.LBB234_2034:
	s_or_b64 exec, exec, s[6:7]
                                        ; implicit-def: $vgpr0_vgpr1
.LBB234_2035:
	s_andn2_saveexec_b64 s[6:7], s[24:25]
	s_cbranch_execz .LBB234_2037
; %bb.2036:
	v_cndmask_b32_e64 v2, 0, 1.0, s[4:5]
	v_cvt_f16_f32_e32 v2, v2
	flat_store_short v[0:1], v2
.LBB234_2037:
	s_or_b64 exec, exec, s[6:7]
.LBB234_2038:
	s_or_b64 exec, exec, s[22:23]
                                        ; implicit-def: $vgpr2
                                        ; implicit-def: $vgpr0_vgpr1
.LBB234_2039:
	s_andn2_saveexec_b64 s[20:21], s[20:21]
	s_cbranch_execz .LBB234_2057
; %bb.2040:
	v_cmp_lt_i16_e64 s[6:7], 1, v2
	s_and_saveexec_b64 s[22:23], s[6:7]
	s_xor_b64 s[22:23], exec, s[22:23]
	s_cbranch_execz .LBB234_2050
; %bb.2041:
	v_cmp_lt_i16_e64 s[6:7], 2, v2
	s_and_saveexec_b64 s[24:25], s[6:7]
	s_xor_b64 s[24:25], exec, s[24:25]
	;; [unrolled: 5-line block ×3, first 2 shown]
	s_cbranch_execz .LBB234_2044
; %bb.2043:
	s_mov_b32 s26, 0
	v_cndmask_b32_e64 v2, 0, 1, s[4:5]
	v_mov_b32_e32 v3, s26
	flat_store_dwordx2 v[0:1], v[2:3]
                                        ; implicit-def: $vgpr0_vgpr1
.LBB234_2044:
	s_andn2_saveexec_b64 s[6:7], s[6:7]
	s_cbranch_execz .LBB234_2046
; %bb.2045:
	v_cndmask_b32_e64 v2, 0, 1, s[4:5]
	flat_store_dword v[0:1], v2
.LBB234_2046:
	s_or_b64 exec, exec, s[6:7]
                                        ; implicit-def: $vgpr0_vgpr1
.LBB234_2047:
	s_andn2_saveexec_b64 s[6:7], s[24:25]
	s_cbranch_execz .LBB234_2049
; %bb.2048:
	v_cndmask_b32_e64 v2, 0, 1, s[4:5]
	flat_store_short v[0:1], v2
.LBB234_2049:
	s_or_b64 exec, exec, s[6:7]
                                        ; implicit-def: $vgpr0_vgpr1
                                        ; implicit-def: $vgpr2
.LBB234_2050:
	s_andn2_saveexec_b64 s[22:23], s[22:23]
	s_cbranch_execz .LBB234_2056
; %bb.2051:
	v_cmp_lt_i16_e64 s[6:7], 0, v2
	v_cndmask_b32_e64 v2, 0, 1, s[4:5]
	s_and_saveexec_b64 s[4:5], s[6:7]
	s_xor_b64 s[4:5], exec, s[4:5]
	s_cbranch_execz .LBB234_2053
; %bb.2052:
	flat_store_byte v[0:1], v2
                                        ; implicit-def: $vgpr0_vgpr1
                                        ; implicit-def: $vgpr2
.LBB234_2053:
	s_andn2_saveexec_b64 s[4:5], s[4:5]
	s_cbranch_execz .LBB234_2055
; %bb.2054:
	flat_store_byte v[0:1], v2
.LBB234_2055:
	s_or_b64 exec, exec, s[4:5]
.LBB234_2056:
	s_or_b64 exec, exec, s[22:23]
.LBB234_2057:
	s_or_b64 exec, exec, s[20:21]
	s_or_b64 s[18:19], s[18:19], exec
.LBB234_2058:
	s_or_b64 exec, exec, s[16:17]
	s_mov_b64 s[4:5], 0
	s_mov_b64 s[20:21], 0
	;; [unrolled: 1-line block ×3, first 2 shown]
                                        ; implicit-def: $vgpr9_vgpr10
                                        ; implicit-def: $vgpr3
	s_and_saveexec_b64 s[16:17], s[18:19]
	s_cbranch_execz .LBB234_2184
; %bb.2059:
	buffer_load_ubyte v2, off, s[0:3], 0 offset:444
	v_lshlrev_b32_e32 v4, 25, v24
	v_lshlrev_b16_e32 v3, 8, v24
	s_movk_i32 s6, 0x7f00
	v_lshlrev_b32_e32 v6, 25, v27
	v_add_co_u32_e64 v0, s[4:5], v17, v18
	v_lshrrev_b32_e32 v7, 4, v4
	s_brev_b32 s7, 16
	v_lshlrev_b16_e32 v5, 8, v27
	v_addc_co_u32_e64 v1, s[4:5], 0, v19, s[4:5]
	v_and_or_b32 v8, v3, s6, 0.5
	v_lshrrev_b32_e32 v9, 4, v6
	v_or_b32_e32 v7, 0x70000000, v7
	v_and_or_b32 v10, v5, s6, 0.5
	v_add_f32_e32 v8, -0.5, v8
	v_or_b32_e32 v9, 0x70000000, v9
	v_mul_f32_e32 v7, 0x7800000, v7
	v_cmp_gt_u32_e64 s[4:5], s7, v4
	v_add_f32_e32 v10, -0.5, v10
	v_mul_f32_e32 v9, 0x7800000, v9
	v_cndmask_b32_e64 v4, v7, v8, s[4:5]
	v_cmp_gt_u32_e64 s[4:5], s7, v6
	s_brev_b32 s18, 1
	v_bfe_i32 v3, v3, 0, 16
	v_bfe_i32 v5, v5, 0, 16
	v_cndmask_b32_e64 v6, v9, v10, s[4:5]
	v_and_or_b32 v3, v3, s18, v4
	v_and_or_b32 v4, v5, s18, v6
	v_cmp_eq_f32_e64 s[4:5], v3, v4
	v_cndmask_b32_e64 v5, 0, 1, s[4:5]
	v_cmp_neq_f32_e64 s[4:5], v3, v4
	v_cndmask_b32_e64 v3, 0, 1, s[4:5]
	v_cndmask_b32_e32 v3, v3, v5, vcc
	v_and_b32_e32 v3, 1, v3
	v_cmp_eq_u32_e32 vcc, 1, v3
	s_mov_b64 s[6:7], s[8:9]
	s_waitcnt vmcnt(0)
	v_cmp_lt_i16_e64 s[4:5], 10, v2
	s_and_saveexec_b64 s[18:19], s[4:5]
	s_xor_b64 s[18:19], exec, s[18:19]
	s_cbranch_execz .LBB234_2100
; %bb.2060:
	v_cmp_lt_i16_e64 s[4:5], 25, v2
	s_mov_b64 s[22:23], 0
	s_mov_b64 s[6:7], 0
	s_and_saveexec_b64 s[24:25], s[4:5]
	s_xor_b64 s[24:25], exec, s[24:25]
	s_cbranch_execz .LBB234_2747
; %bb.2061:
	v_cmp_lt_i16_e64 s[4:5], 28, v2
	s_mov_b64 s[26:27], 0
	s_and_saveexec_b64 s[20:21], s[4:5]
	s_xor_b64 s[20:21], exec, s[20:21]
	s_cbranch_execz .LBB234_2079
; %bb.2062:
	v_cmp_lt_i16_e64 s[4:5], 43, v2
	;; [unrolled: 6-line block ×3, first 2 shown]
	s_mov_b64 s[28:29], 0
	s_and_saveexec_b64 s[6:7], s[4:5]
	s_xor_b64 s[6:7], exec, s[6:7]
	s_cbranch_execz .LBB234_2067
; %bb.2064:
	v_cmp_eq_u16_e64 s[4:5], 46, v2
	s_mov_b64 s[40:41], -1
	s_and_saveexec_b64 s[30:31], s[4:5]
	s_cbranch_execz .LBB234_2066
; %bb.2065:
	v_cndmask_b32_e64 v2, 0, 1.0, vcc
	v_bfe_u32 v3, v2, 16, 1
	s_movk_i32 s4, 0x7fff
	v_add3_u32 v2, v2, v3, s4
	v_lshrrev_b32_e32 v2, 16, v2
	s_mov_b64 s[28:29], exec
	flat_store_dword v[0:1], v2
	s_xor_b64 s[40:41], exec, -1
.LBB234_2066:
	s_or_b64 exec, exec, s[30:31]
	s_and_b64 s[30:31], s[28:29], exec
	s_and_b64 s[28:29], s[40:41], exec
                                        ; implicit-def: $vgpr2
.LBB234_2067:
	s_andn2_saveexec_b64 s[40:41], s[6:7]
	s_cbranch_execz .LBB234_2073
; %bb.2068:
	v_cmp_eq_u16_e64 s[4:5], 44, v2
	s_mov_b64 s[6:7], -1
	s_mov_b64 s[66:67], s[30:31]
	s_and_saveexec_b64 s[64:65], s[4:5]
	s_cbranch_execz .LBB234_2072
; %bb.2069:
	v_cndmask_b32_e64 v3, 0, 1.0, vcc
	v_lshrrev_b32_e32 v2, 23, v3
	s_movk_i32 s4, 0xff
	v_cmp_ne_u32_e64 s[4:5], s4, v2
	v_mov_b32_e32 v4, 0xff
	s_and_saveexec_b64 s[66:67], s[4:5]
; %bb.2070:
	s_mov_b32 s6, 0x3fffff
	v_and_b32_e32 v4, 0x400000, v3
	v_and_or_b32 v3, v3, s6, v2
	v_cmp_ne_u32_e64 s[4:5], 0, v4
	v_cmp_ne_u32_e64 s[6:7], 0, v3
	s_and_b64 s[4:5], s[4:5], s[6:7]
	v_cndmask_b32_e64 v3, 0, 1, s[4:5]
	v_add_u32_e32 v4, v2, v3
; %bb.2071:
	s_or_b64 exec, exec, s[66:67]
	s_or_b64 s[66:67], s[30:31], exec
	s_xor_b64 s[6:7], exec, -1
	flat_store_byte v[0:1], v4
.LBB234_2072:
	s_or_b64 exec, exec, s[64:65]
	s_andn2_b64 s[4:5], s[30:31], exec
	s_and_b64 s[30:31], s[66:67], exec
	s_or_b64 s[30:31], s[4:5], s[30:31]
	s_andn2_b64 s[4:5], s[28:29], exec
	s_and_b64 s[6:7], s[6:7], exec
	s_or_b64 s[28:29], s[4:5], s[6:7]
.LBB234_2073:
	s_or_b64 exec, exec, s[40:41]
	s_and_b64 s[30:31], s[30:31], exec
	s_and_b64 s[6:7], s[28:29], exec
                                        ; implicit-def: $vgpr2
.LBB234_2074:
	s_andn2_saveexec_b64 s[26:27], s[26:27]
	s_cbranch_execz .LBB234_2078
; %bb.2075:
	v_cmp_eq_u16_e64 s[4:5], 29, v2
	s_mov_b64 s[28:29], -1
	s_mov_b64 s[64:65], s[30:31]
	s_and_saveexec_b64 s[40:41], s[4:5]
	s_cbranch_execz .LBB234_2077
; %bb.2076:
	s_mov_b32 s4, 0
	v_cndmask_b32_e64 v2, 0, 1, vcc
	v_mov_b32_e32 v3, s4
	flat_store_dwordx2 v[0:1], v[2:3]
	s_or_b64 s[64:65], s[30:31], exec
	s_xor_b64 s[28:29], exec, -1
.LBB234_2077:
	s_or_b64 exec, exec, s[40:41]
	s_andn2_b64 s[4:5], s[30:31], exec
	s_and_b64 s[30:31], s[64:65], exec
	s_or_b64 s[30:31], s[4:5], s[30:31]
	s_andn2_b64 s[4:5], s[6:7], exec
	s_and_b64 s[6:7], s[28:29], exec
	s_or_b64 s[6:7], s[4:5], s[6:7]
.LBB234_2078:
	s_or_b64 exec, exec, s[26:27]
	s_and_b64 s[26:27], s[30:31], exec
	s_and_b64 s[6:7], s[6:7], exec
                                        ; implicit-def: $vgpr2
.LBB234_2079:
	s_andn2_saveexec_b64 s[20:21], s[20:21]
	s_cbranch_execz .LBB234_2095
; %bb.2080:
	v_cmp_lt_i16_e64 s[4:5], 26, v2
	s_and_saveexec_b64 s[28:29], s[4:5]
	s_xor_b64 s[28:29], exec, s[28:29]
	s_cbranch_execz .LBB234_2086
; %bb.2081:
	v_cmp_lt_i16_e64 s[4:5], 27, v2
	s_and_saveexec_b64 s[30:31], s[4:5]
	s_xor_b64 s[4:5], exec, s[30:31]
	s_cbranch_execz .LBB234_2083
; %bb.2082:
	v_cndmask_b32_e64 v2, 0, 1, vcc
	flat_store_dword v[0:1], v2
.LBB234_2083:
	s_andn2_saveexec_b64 s[4:5], s[4:5]
	s_cbranch_execz .LBB234_2085
; %bb.2084:
	v_cndmask_b32_e64 v2, 0, 1, vcc
	flat_store_short v[0:1], v2
.LBB234_2085:
	s_or_b64 exec, exec, s[4:5]
.LBB234_2086:
	s_andn2_saveexec_b64 s[28:29], s[28:29]
	s_cbranch_execz .LBB234_2094
; %bb.2087:
	v_cndmask_b32_e64 v3, 0, 1.0, vcc
	s_mov_b32 s4, 0x43800000
	v_cmp_gt_u32_e64 s[4:5], s4, v3
	v_mov_b32_e32 v4, 0x80
	s_and_saveexec_b64 s[30:31], s[4:5]
	s_cbranch_execz .LBB234_2093
; %bb.2088:
	s_mov_b32 s4, 0x3bffffff
	v_cmp_lt_u32_e64 s[4:5], s4, v3
	s_mov_b64 s[40:41], 0
                                        ; implicit-def: $vgpr2
	s_and_saveexec_b64 s[64:65], s[4:5]
	s_xor_b64 s[4:5], exec, s[64:65]
	s_cbranch_execz .LBB234_2845
; %bb.2089:
	v_bfe_u32 v2, v3, 20, 1
	s_mov_b32 s33, 0x487ffff
	v_add3_u32 v2, v3, v2, s33
	s_mov_b64 s[40:41], exec
	v_lshrrev_b32_e32 v2, 20, v2
                                        ; implicit-def: $vgpr3
	s_andn2_saveexec_b64 s[64:65], s[4:5]
	s_cbranch_execnz .LBB234_2846
.LBB234_2090:
	s_or_b64 exec, exec, s[64:65]
	v_mov_b32_e32 v4, 0
	s_and_saveexec_b64 s[4:5], s[40:41]
.LBB234_2091:
	v_mov_b32_e32 v4, v2
.LBB234_2092:
	s_or_b64 exec, exec, s[4:5]
.LBB234_2093:
	s_or_b64 exec, exec, s[30:31]
	flat_store_byte v[0:1], v4
.LBB234_2094:
	s_or_b64 exec, exec, s[28:29]
	s_or_b64 s[26:27], s[26:27], exec
.LBB234_2095:
	s_or_b64 exec, exec, s[20:21]
	s_and_b64 s[20:21], s[26:27], exec
	s_and_b64 s[6:7], s[6:7], exec
                                        ; implicit-def: $vgpr2
	s_andn2_saveexec_b64 s[24:25], s[24:25]
	s_cbranch_execnz .LBB234_2748
.LBB234_2096:
	s_or_b64 exec, exec, s[24:25]
	s_mov_b64 s[4:5], s[8:9]
	s_and_saveexec_b64 s[24:25], s[6:7]
	s_cbranch_execnz .LBB234_2789
.LBB234_2097:
	s_or_b64 exec, exec, s[24:25]
	s_and_saveexec_b64 s[6:7], s[22:23]
	s_xor_b64 s[6:7], exec, s[6:7]
	s_cbranch_execz .LBB234_2099
.LBB234_2098:
	v_cndmask_b32_e64 v2, 0, 1, vcc
	flat_store_byte v[0:1], v2
	s_or_b64 s[20:21], s[20:21], exec
.LBB234_2099:
	s_or_b64 exec, exec, s[6:7]
	s_andn2_b64 s[6:7], s[8:9], exec
	s_and_b64 s[4:5], s[4:5], exec
	s_or_b64 s[6:7], s[6:7], s[4:5]
	s_and_b64 s[20:21], s[20:21], exec
                                        ; implicit-def: $vgpr2
                                        ; implicit-def: $vgpr0_vgpr1
.LBB234_2100:
	s_andn2_saveexec_b64 s[18:19], s[18:19]
	s_cbranch_execz .LBB234_2142
; %bb.2101:
	v_cmp_lt_i16_e64 s[4:5], 4, v2
	s_and_saveexec_b64 s[22:23], s[4:5]
	s_xor_b64 s[22:23], exec, s[22:23]
	s_cbranch_execz .LBB234_2123
; %bb.2102:
	v_cmp_lt_i16_e64 s[4:5], 7, v2
	s_and_saveexec_b64 s[24:25], s[4:5]
	s_xor_b64 s[24:25], exec, s[24:25]
	;; [unrolled: 5-line block ×4, first 2 shown]
	s_cbranch_execz .LBB234_2106
; %bb.2105:
	v_cndmask_b32_e64 v2, 0, 1, vcc
	v_cvt_f64_u32_e32 v[2:3], v2
	v_mov_b32_e32 v4, 0
	v_mov_b32_e32 v5, v4
	flat_store_dwordx4 v[0:1], v[2:5]
                                        ; implicit-def: $vgpr0_vgpr1
.LBB234_2106:
	s_andn2_saveexec_b64 s[4:5], s[4:5]
	s_cbranch_execz .LBB234_2108
; %bb.2107:
	v_cndmask_b32_e64 v2, 0, 1.0, vcc
	v_mov_b32_e32 v3, 0
	flat_store_dwordx2 v[0:1], v[2:3]
.LBB234_2108:
	s_or_b64 exec, exec, s[4:5]
                                        ; implicit-def: $vgpr0_vgpr1
.LBB234_2109:
	s_andn2_saveexec_b64 s[4:5], s[26:27]
	s_cbranch_execz .LBB234_2111
; %bb.2110:
	v_cndmask_b32_e64 v2, 0, 1.0, vcc
	v_cvt_f16_f32_e32 v2, v2
	flat_store_dword v[0:1], v2
.LBB234_2111:
	s_or_b64 exec, exec, s[4:5]
                                        ; implicit-def: $vgpr0_vgpr1
                                        ; implicit-def: $vgpr2
.LBB234_2112:
	s_andn2_saveexec_b64 s[24:25], s[24:25]
	s_cbranch_execz .LBB234_2122
; %bb.2113:
	v_cmp_lt_i16_e64 s[4:5], 5, v2
	s_and_saveexec_b64 s[26:27], s[4:5]
	s_xor_b64 s[26:27], exec, s[26:27]
	s_cbranch_execz .LBB234_2119
; %bb.2114:
	v_cmp_lt_i16_e64 s[4:5], 6, v2
	s_and_saveexec_b64 s[28:29], s[4:5]
	s_xor_b64 s[4:5], exec, s[28:29]
	s_cbranch_execz .LBB234_2116
; %bb.2115:
	v_cndmask_b32_e64 v2, 0, 1, vcc
	v_cvt_f64_u32_e32 v[2:3], v2
	flat_store_dwordx2 v[0:1], v[2:3]
                                        ; implicit-def: $vgpr0_vgpr1
.LBB234_2116:
	s_andn2_saveexec_b64 s[4:5], s[4:5]
	s_cbranch_execz .LBB234_2118
; %bb.2117:
	v_cndmask_b32_e64 v2, 0, 1.0, vcc
	flat_store_dword v[0:1], v2
.LBB234_2118:
	s_or_b64 exec, exec, s[4:5]
                                        ; implicit-def: $vgpr0_vgpr1
.LBB234_2119:
	s_andn2_saveexec_b64 s[4:5], s[26:27]
	s_cbranch_execz .LBB234_2121
; %bb.2120:
	v_cndmask_b32_e64 v2, 0, 1.0, vcc
	v_cvt_f16_f32_e32 v2, v2
	flat_store_short v[0:1], v2
.LBB234_2121:
	s_or_b64 exec, exec, s[4:5]
.LBB234_2122:
	s_or_b64 exec, exec, s[24:25]
                                        ; implicit-def: $vgpr2
                                        ; implicit-def: $vgpr0_vgpr1
.LBB234_2123:
	s_andn2_saveexec_b64 s[22:23], s[22:23]
	s_cbranch_execz .LBB234_2141
; %bb.2124:
	v_cmp_lt_i16_e64 s[4:5], 1, v2
	s_and_saveexec_b64 s[24:25], s[4:5]
	s_xor_b64 s[24:25], exec, s[24:25]
	s_cbranch_execz .LBB234_2134
; %bb.2125:
	v_cmp_lt_i16_e64 s[4:5], 2, v2
	s_and_saveexec_b64 s[26:27], s[4:5]
	s_xor_b64 s[26:27], exec, s[26:27]
	;; [unrolled: 5-line block ×3, first 2 shown]
	s_cbranch_execz .LBB234_2128
; %bb.2127:
	s_mov_b32 s28, 0
	v_cndmask_b32_e64 v2, 0, 1, vcc
	v_mov_b32_e32 v3, s28
	flat_store_dwordx2 v[0:1], v[2:3]
                                        ; implicit-def: $vgpr0_vgpr1
.LBB234_2128:
	s_andn2_saveexec_b64 s[4:5], s[4:5]
	s_cbranch_execz .LBB234_2130
; %bb.2129:
	v_cndmask_b32_e64 v2, 0, 1, vcc
	flat_store_dword v[0:1], v2
.LBB234_2130:
	s_or_b64 exec, exec, s[4:5]
                                        ; implicit-def: $vgpr0_vgpr1
.LBB234_2131:
	s_andn2_saveexec_b64 s[4:5], s[26:27]
	s_cbranch_execz .LBB234_2133
; %bb.2132:
	v_cndmask_b32_e64 v2, 0, 1, vcc
	flat_store_short v[0:1], v2
.LBB234_2133:
	s_or_b64 exec, exec, s[4:5]
                                        ; implicit-def: $vgpr0_vgpr1
                                        ; implicit-def: $vgpr2
.LBB234_2134:
	s_andn2_saveexec_b64 s[24:25], s[24:25]
	s_cbranch_execz .LBB234_2140
; %bb.2135:
	v_cmp_lt_i16_e64 s[4:5], 0, v2
	v_cndmask_b32_e64 v2, 0, 1, vcc
	s_and_saveexec_b64 s[26:27], s[4:5]
	s_xor_b64 s[4:5], exec, s[26:27]
	s_cbranch_execz .LBB234_2137
; %bb.2136:
	flat_store_byte v[0:1], v2
                                        ; implicit-def: $vgpr0_vgpr1
                                        ; implicit-def: $vgpr2
.LBB234_2137:
	s_andn2_saveexec_b64 s[4:5], s[4:5]
	s_cbranch_execz .LBB234_2139
; %bb.2138:
	flat_store_byte v[0:1], v2
.LBB234_2139:
	s_or_b64 exec, exec, s[4:5]
.LBB234_2140:
	s_or_b64 exec, exec, s[24:25]
.LBB234_2141:
	s_or_b64 exec, exec, s[22:23]
	s_or_b64 s[20:21], s[20:21], exec
.LBB234_2142:
	s_or_b64 exec, exec, s[18:19]
	s_mov_b64 s[4:5], 0
	s_mov_b64 s[22:23], 0
	;; [unrolled: 1-line block ×3, first 2 shown]
                                        ; implicit-def: $vgpr9_vgpr10
                                        ; implicit-def: $vgpr3
	s_and_saveexec_b64 s[18:19], s[20:21]
	s_cbranch_execz .LBB234_2183
; %bb.2143:
	buffer_load_ubyte v3, off, s[0:3], 0 offset:444
	v_add_co_u32_e32 v9, vcc, v17, v16
	v_addc_co_u32_e32 v10, vcc, 0, v19, vcc
	s_mov_b64 s[22:23], -1
	s_mov_b64 s[26:27], s[6:7]
	s_mov_b64 s[28:29], 0
	s_waitcnt vmcnt(0)
	v_cmp_lt_i16_e32 vcc, 10, v3
	s_and_saveexec_b64 s[20:21], vcc
	s_cbranch_execz .LBB234_2182
; %bb.2144:
	v_cmp_lt_i16_e32 vcc, 25, v3
	s_mov_b64 s[22:23], 0
	s_and_saveexec_b64 s[26:27], vcc
	s_xor_b64 s[26:27], exec, s[26:27]
	s_cbranch_execz .LBB234_2794
; %bb.2145:
	v_cmp_lt_i16_e32 vcc, 28, v3
	s_and_saveexec_b64 s[22:23], vcc
	s_xor_b64 s[22:23], exec, s[22:23]
	s_cbranch_execz .LBB234_2163
; %bb.2146:
	v_cmp_lt_i16_e32 vcc, 43, v3
	s_mov_b64 s[30:31], 0
	s_and_saveexec_b64 s[28:29], vcc
	s_xor_b64 s[28:29], exec, s[28:29]
	s_cbranch_execz .LBB234_2158
; %bb.2147:
	v_cmp_lt_i16_e32 vcc, 45, v3
	s_mov_b64 s[40:41], 0
	s_and_saveexec_b64 s[4:5], vcc
	s_xor_b64 s[4:5], exec, s[4:5]
	s_cbranch_execz .LBB234_2151
; %bb.2148:
	v_cmp_eq_u16_e32 vcc, 46, v3
	s_mov_b64 s[64:65], -1
	s_and_saveexec_b64 s[40:41], vcc
	s_cbranch_execz .LBB234_2150
; %bb.2149:
	v_cndmask_b32_e64 v0, 0, 1.0, s[10:11]
	v_bfe_u32 v1, v0, 16, 1
	s_movk_i32 s33, 0x7fff
	v_add3_u32 v0, v0, v1, s33
	v_lshrrev_b32_e32 v0, 16, v0
	s_mov_b64 s[30:31], exec
	flat_store_dword v[9:10], v0
	s_xor_b64 s[64:65], exec, -1
.LBB234_2150:
	s_or_b64 exec, exec, s[40:41]
	s_and_b64 s[40:41], s[30:31], exec
	s_and_b64 s[30:31], s[64:65], exec
.LBB234_2151:
	s_andn2_saveexec_b64 s[64:65], s[4:5]
	s_cbranch_execz .LBB234_2157
; %bb.2152:
	v_cmp_eq_u16_e32 vcc, 44, v3
	s_mov_b64 s[4:5], -1
	s_mov_b64 s[68:69], s[40:41]
	s_and_saveexec_b64 s[66:67], vcc
	s_cbranch_execz .LBB234_2156
; %bb.2153:
	v_cndmask_b32_e64 v1, 0, 1.0, s[10:11]
	v_lshrrev_b32_e32 v0, 23, v1
	s_movk_i32 s4, 0xff
	v_cmp_ne_u32_e32 vcc, s4, v0
	v_mov_b32_e32 v2, 0xff
	s_and_saveexec_b64 s[68:69], vcc
; %bb.2154:
	s_mov_b32 s4, 0x3fffff
	v_and_b32_e32 v2, 0x400000, v1
	v_and_or_b32 v1, v1, s4, v0
	v_cmp_ne_u32_e32 vcc, 0, v2
	v_cmp_ne_u32_e64 s[4:5], 0, v1
	s_and_b64 s[4:5], vcc, s[4:5]
	v_cndmask_b32_e64 v1, 0, 1, s[4:5]
	v_add_u32_e32 v2, v0, v1
; %bb.2155:
	s_or_b64 exec, exec, s[68:69]
	s_or_b64 s[68:69], s[40:41], exec
	s_xor_b64 s[4:5], exec, -1
	flat_store_byte v[9:10], v2
.LBB234_2156:
	s_or_b64 exec, exec, s[66:67]
	s_andn2_b64 s[40:41], s[40:41], exec
	s_and_b64 s[66:67], s[68:69], exec
	s_andn2_b64 s[30:31], s[30:31], exec
	s_and_b64 s[4:5], s[4:5], exec
	s_or_b64 s[40:41], s[40:41], s[66:67]
	s_or_b64 s[30:31], s[30:31], s[4:5]
.LBB234_2157:
	s_or_b64 exec, exec, s[64:65]
	s_and_b64 s[4:5], s[40:41], exec
	s_and_b64 s[30:31], s[30:31], exec
.LBB234_2158:
	s_andn2_saveexec_b64 s[28:29], s[28:29]
	s_cbranch_execz .LBB234_2162
; %bb.2159:
	v_cmp_eq_u16_e32 vcc, 29, v3
	s_mov_b64 s[40:41], -1
	s_mov_b64 s[66:67], s[4:5]
	s_and_saveexec_b64 s[64:65], vcc
	s_cbranch_execz .LBB234_2161
; %bb.2160:
	s_mov_b32 s33, 0
	v_cndmask_b32_e64 v0, 0, 1, s[10:11]
	v_mov_b32_e32 v1, s33
	flat_store_dwordx2 v[9:10], v[0:1]
	s_or_b64 s[66:67], s[4:5], exec
	s_xor_b64 s[40:41], exec, -1
.LBB234_2161:
	s_or_b64 exec, exec, s[64:65]
	s_andn2_b64 s[4:5], s[4:5], exec
	s_and_b64 s[64:65], s[66:67], exec
	s_andn2_b64 s[30:31], s[30:31], exec
	s_and_b64 s[40:41], s[40:41], exec
	s_or_b64 s[4:5], s[4:5], s[64:65]
	s_or_b64 s[30:31], s[30:31], s[40:41]
.LBB234_2162:
	s_or_b64 exec, exec, s[28:29]
	s_and_b64 s[4:5], s[4:5], exec
	s_and_b64 s[28:29], s[30:31], exec
.LBB234_2163:
	s_andn2_saveexec_b64 s[22:23], s[22:23]
	s_cbranch_execz .LBB234_2179
; %bb.2164:
	v_cmp_lt_i16_e32 vcc, 26, v3
	s_and_saveexec_b64 s[30:31], vcc
	s_xor_b64 s[30:31], exec, s[30:31]
	s_cbranch_execz .LBB234_2170
; %bb.2165:
	v_cmp_lt_i16_e32 vcc, 27, v3
	v_cndmask_b32_e64 v0, 0, 1, s[10:11]
	s_and_saveexec_b64 s[40:41], vcc
	s_xor_b64 s[40:41], exec, s[40:41]
	s_cbranch_execz .LBB234_2167
; %bb.2166:
	flat_store_dword v[9:10], v0
                                        ; implicit-def: $vgpr0
.LBB234_2167:
	s_andn2_saveexec_b64 s[40:41], s[40:41]
	s_cbranch_execz .LBB234_2169
; %bb.2168:
	flat_store_short v[9:10], v0
.LBB234_2169:
	s_or_b64 exec, exec, s[40:41]
.LBB234_2170:
	s_andn2_saveexec_b64 s[30:31], s[30:31]
	s_cbranch_execz .LBB234_2178
; %bb.2171:
	v_cndmask_b32_e64 v1, 0, 1.0, s[10:11]
	s_mov_b32 s33, 0x43800000
	v_cmp_gt_u32_e32 vcc, s33, v1
	v_mov_b32_e32 v2, 0x80
	s_and_saveexec_b64 s[40:41], vcc
	s_cbranch_execz .LBB234_2177
; %bb.2172:
	s_mov_b32 s33, 0x3bffffff
	v_cmp_lt_u32_e32 vcc, s33, v1
	s_mov_b64 s[64:65], 0
                                        ; implicit-def: $vgpr0
	s_and_saveexec_b64 s[66:67], vcc
	s_xor_b64 s[66:67], exec, s[66:67]
	s_cbranch_execz .LBB234_2849
; %bb.2173:
	v_bfe_u32 v0, v1, 20, 1
	s_mov_b32 s33, 0x487ffff
	v_add3_u32 v0, v1, v0, s33
	s_mov_b64 s[64:65], exec
	v_lshrrev_b32_e32 v0, 20, v0
                                        ; implicit-def: $vgpr1
	s_andn2_saveexec_b64 s[66:67], s[66:67]
	s_cbranch_execnz .LBB234_2850
.LBB234_2174:
	s_or_b64 exec, exec, s[66:67]
	v_mov_b32_e32 v2, 0
	s_and_saveexec_b64 s[66:67], s[64:65]
.LBB234_2175:
	v_mov_b32_e32 v2, v0
.LBB234_2176:
	s_or_b64 exec, exec, s[66:67]
.LBB234_2177:
	s_or_b64 exec, exec, s[40:41]
	flat_store_byte v[9:10], v2
.LBB234_2178:
	s_or_b64 exec, exec, s[30:31]
	s_or_b64 s[4:5], s[4:5], exec
.LBB234_2179:
	s_or_b64 exec, exec, s[22:23]
	s_and_b64 s[4:5], s[4:5], exec
	s_and_b64 s[22:23], s[28:29], exec
	s_andn2_saveexec_b64 s[26:27], s[26:27]
	s_cbranch_execnz .LBB234_2795
.LBB234_2180:
	s_or_b64 exec, exec, s[26:27]
	s_mov_b64 s[26:27], s[6:7]
	s_and_saveexec_b64 s[28:29], s[22:23]
	s_cbranch_execnz .LBB234_2836
.LBB234_2181:
	s_or_b64 exec, exec, s[28:29]
	s_and_b64 s[28:29], s[4:5], exec
	s_and_b64 s[4:5], s[24:25], exec
	s_andn2_b64 s[24:25], s[6:7], exec
	s_and_b64 s[26:27], s[26:27], exec
	s_xor_b64 s[22:23], exec, -1
	s_or_b64 s[26:27], s[24:25], s[26:27]
.LBB234_2182:
	s_or_b64 exec, exec, s[20:21]
	s_andn2_b64 s[6:7], s[6:7], exec
	s_and_b64 s[20:21], s[26:27], exec
	s_and_b64 s[24:25], s[28:29], exec
	;; [unrolled: 1-line block ×4, first 2 shown]
	s_or_b64 s[6:7], s[6:7], s[20:21]
.LBB234_2183:
	s_or_b64 exec, exec, s[18:19]
	s_andn2_b64 s[8:9], s[8:9], exec
	s_and_b64 s[6:7], s[6:7], exec
	s_and_b64 s[24:25], s[24:25], exec
	;; [unrolled: 1-line block ×4, first 2 shown]
	s_or_b64 s[8:9], s[8:9], s[6:7]
.LBB234_2184:
	s_or_b64 exec, exec, s[16:17]
	s_andn2_b64 s[12:13], s[12:13], exec
	s_and_b64 s[8:9], s[8:9], exec
	s_and_b64 s[16:17], s[24:25], exec
	;; [unrolled: 1-line block ×4, first 2 shown]
	s_or_b64 s[12:13], s[12:13], s[8:9]
.LBB234_2185:
	s_or_b64 exec, exec, s[14:15]
	s_and_b64 s[8:9], s[6:7], exec
	s_andn2_b64 s[6:7], s[60:61], exec
	s_and_b64 s[12:13], s[12:13], exec
	s_and_b64 s[14:15], s[16:17], exec
	;; [unrolled: 1-line block ×3, first 2 shown]
	s_or_b64 s[60:61], s[6:7], s[12:13]
.LBB234_2186:
	s_or_b64 exec, exec, s[62:63]
	s_and_b64 s[12:13], s[14:15], exec
	s_andn2_b64 s[6:7], s[56:57], exec
	s_and_b64 s[14:15], s[60:61], exec
	s_and_b64 s[8:9], s[8:9], exec
	;; [unrolled: 1-line block ×3, first 2 shown]
	s_or_b64 s[56:57], s[6:7], s[14:15]
.LBB234_2187:
	s_or_b64 exec, exec, s[58:59]
	s_andn2_b64 s[6:7], s[52:53], exec
	s_and_b64 s[14:15], s[56:57], exec
	s_and_b64 s[12:13], s[12:13], exec
	s_and_b64 s[8:9], s[8:9], exec
	s_and_b64 s[4:5], s[4:5], exec
	s_or_b64 s[52:53], s[6:7], s[14:15]
.LBB234_2188:
	s_or_b64 exec, exec, s[54:55]
	s_andn2_b64 s[6:7], s[48:49], exec
	s_and_b64 s[14:15], s[52:53], exec
	s_and_b64 s[12:13], s[12:13], exec
	;; [unrolled: 1-line block ×4, first 2 shown]
	s_or_b64 s[48:49], s[6:7], s[14:15]
.LBB234_2189:
	s_or_b64 exec, exec, s[50:51]
	s_andn2_b64 s[6:7], s[44:45], exec
	s_and_b64 s[14:15], s[48:49], exec
	s_and_b64 s[12:13], s[12:13], exec
	;; [unrolled: 1-line block ×4, first 2 shown]
	s_or_b64 s[44:45], s[6:7], s[14:15]
.LBB234_2190:
	s_or_b64 exec, exec, s[46:47]
	s_and_b64 s[14:15], s[12:13], exec
	s_and_b64 s[12:13], s[4:5], exec
	s_andn2_b64 s[4:5], s[38:39], exec
	s_and_b64 s[6:7], s[44:45], exec
	s_and_b64 s[8:9], s[8:9], exec
	s_or_b64 s[38:39], s[4:5], s[6:7]
.LBB234_2191:
	s_or_b64 exec, exec, s[42:43]
	s_and_b64 s[42:43], s[12:13], exec
	s_andn2_b64 s[6:7], s[34:35], exec
	s_and_b64 s[12:13], s[38:39], exec
	s_and_b64 s[4:5], s[14:15], exec
	;; [unrolled: 1-line block ×3, first 2 shown]
	s_or_b64 s[34:35], s[6:7], s[12:13]
	s_or_b64 exec, exec, s[36:37]
	s_and_saveexec_b64 s[6:7], s[34:35]
	s_cbranch_execnz .LBB234_484
.LBB234_2192:
	s_or_b64 exec, exec, s[6:7]
	s_and_saveexec_b64 s[6:7], s[42:43]
	s_xor_b64 s[6:7], exec, s[6:7]
	s_cbranch_execz .LBB234_485
.LBB234_2193:
	v_cndmask_b32_e64 v0, 0, 1, s[10:11]
	s_or_b64 s[4:5], s[4:5], exec
	flat_store_byte v[9:10], v0
	s_or_b64 exec, exec, s[6:7]
	s_and_saveexec_b64 s[6:7], s[8:9]
	s_cbranch_execnz .LBB234_486
.LBB234_2194:
	s_or_b64 exec, exec, s[6:7]
	s_and_saveexec_b64 s[6:7], s[4:5]
	s_endpgm
.LBB234_2195:
	s_andn2_saveexec_b64 s[8:9], s[8:9]
	s_cbranch_execz .LBB234_96
.LBB234_2196:
	v_cmp_lt_i16_e64 s[4:5], 4, v2
	s_and_saveexec_b64 s[12:13], s[4:5]
	s_xor_b64 s[12:13], exec, s[12:13]
	s_cbranch_execz .LBB234_2218
; %bb.2197:
	v_cmp_lt_i16_e64 s[4:5], 7, v2
	s_and_saveexec_b64 s[14:15], s[4:5]
	s_xor_b64 s[14:15], exec, s[14:15]
	s_cbranch_execz .LBB234_2207
; %bb.2198:
	;; [unrolled: 5-line block ×4, first 2 shown]
	v_cndmask_b32_e64 v2, 0, 1, vcc
	v_cvt_f64_u32_e32 v[2:3], v2
	v_mov_b32_e32 v4, 0
	v_mov_b32_e32 v5, v4
	flat_store_dwordx4 v[0:1], v[2:5]
                                        ; implicit-def: $vgpr0_vgpr1
.LBB234_2201:
	s_andn2_saveexec_b64 s[4:5], s[4:5]
	s_cbranch_execz .LBB234_2203
; %bb.2202:
	v_cndmask_b32_e64 v2, 0, 1.0, vcc
	v_mov_b32_e32 v3, 0
	flat_store_dwordx2 v[0:1], v[2:3]
.LBB234_2203:
	s_or_b64 exec, exec, s[4:5]
                                        ; implicit-def: $vgpr0_vgpr1
.LBB234_2204:
	s_andn2_saveexec_b64 s[4:5], s[16:17]
	s_cbranch_execz .LBB234_2206
; %bb.2205:
	v_cndmask_b32_e64 v2, 0, 1.0, vcc
	v_cvt_f16_f32_e32 v2, v2
	flat_store_dword v[0:1], v2
.LBB234_2206:
	s_or_b64 exec, exec, s[4:5]
                                        ; implicit-def: $vgpr0_vgpr1
                                        ; implicit-def: $vgpr2
.LBB234_2207:
	s_andn2_saveexec_b64 s[14:15], s[14:15]
	s_cbranch_execz .LBB234_2217
; %bb.2208:
	v_cmp_lt_i16_e64 s[4:5], 5, v2
	s_and_saveexec_b64 s[16:17], s[4:5]
	s_xor_b64 s[16:17], exec, s[16:17]
	s_cbranch_execz .LBB234_2214
; %bb.2209:
	v_cmp_lt_i16_e64 s[4:5], 6, v2
	s_and_saveexec_b64 s[18:19], s[4:5]
	s_xor_b64 s[4:5], exec, s[18:19]
	s_cbranch_execz .LBB234_2211
; %bb.2210:
	v_cndmask_b32_e64 v2, 0, 1, vcc
	v_cvt_f64_u32_e32 v[2:3], v2
	flat_store_dwordx2 v[0:1], v[2:3]
                                        ; implicit-def: $vgpr0_vgpr1
.LBB234_2211:
	s_andn2_saveexec_b64 s[4:5], s[4:5]
	s_cbranch_execz .LBB234_2213
; %bb.2212:
	v_cndmask_b32_e64 v2, 0, 1.0, vcc
	flat_store_dword v[0:1], v2
.LBB234_2213:
	s_or_b64 exec, exec, s[4:5]
                                        ; implicit-def: $vgpr0_vgpr1
.LBB234_2214:
	s_andn2_saveexec_b64 s[4:5], s[16:17]
	s_cbranch_execz .LBB234_2216
; %bb.2215:
	v_cndmask_b32_e64 v2, 0, 1.0, vcc
	v_cvt_f16_f32_e32 v2, v2
	flat_store_short v[0:1], v2
.LBB234_2216:
	s_or_b64 exec, exec, s[4:5]
.LBB234_2217:
	s_or_b64 exec, exec, s[14:15]
                                        ; implicit-def: $vgpr2
                                        ; implicit-def: $vgpr0_vgpr1
.LBB234_2218:
	s_andn2_saveexec_b64 s[12:13], s[12:13]
	s_cbranch_execz .LBB234_2236
; %bb.2219:
	v_cmp_lt_i16_e64 s[4:5], 1, v2
	s_and_saveexec_b64 s[14:15], s[4:5]
	s_xor_b64 s[14:15], exec, s[14:15]
	s_cbranch_execz .LBB234_2229
; %bb.2220:
	v_cmp_lt_i16_e64 s[4:5], 2, v2
	s_and_saveexec_b64 s[16:17], s[4:5]
	s_xor_b64 s[16:17], exec, s[16:17]
	;; [unrolled: 5-line block ×3, first 2 shown]
	s_cbranch_execz .LBB234_2223
; %bb.2222:
	s_mov_b32 s18, 0
	v_cndmask_b32_e64 v2, 0, 1, vcc
	v_mov_b32_e32 v3, s18
	flat_store_dwordx2 v[0:1], v[2:3]
                                        ; implicit-def: $vgpr0_vgpr1
.LBB234_2223:
	s_andn2_saveexec_b64 s[4:5], s[4:5]
	s_cbranch_execz .LBB234_2225
; %bb.2224:
	v_cndmask_b32_e64 v2, 0, 1, vcc
	flat_store_dword v[0:1], v2
.LBB234_2225:
	s_or_b64 exec, exec, s[4:5]
                                        ; implicit-def: $vgpr0_vgpr1
.LBB234_2226:
	s_andn2_saveexec_b64 s[4:5], s[16:17]
	s_cbranch_execz .LBB234_2228
; %bb.2227:
	v_cndmask_b32_e64 v2, 0, 1, vcc
	flat_store_short v[0:1], v2
.LBB234_2228:
	s_or_b64 exec, exec, s[4:5]
                                        ; implicit-def: $vgpr0_vgpr1
                                        ; implicit-def: $vgpr2
.LBB234_2229:
	s_andn2_saveexec_b64 s[14:15], s[14:15]
	s_cbranch_execz .LBB234_2235
; %bb.2230:
	v_cmp_lt_i16_e64 s[4:5], 0, v2
	v_cndmask_b32_e64 v2, 0, 1, vcc
	s_and_saveexec_b64 s[16:17], s[4:5]
	s_xor_b64 s[4:5], exec, s[16:17]
	s_cbranch_execz .LBB234_2232
; %bb.2231:
	flat_store_byte v[0:1], v2
                                        ; implicit-def: $vgpr0_vgpr1
                                        ; implicit-def: $vgpr2
.LBB234_2232:
	s_andn2_saveexec_b64 s[4:5], s[4:5]
	s_cbranch_execz .LBB234_2234
; %bb.2233:
	flat_store_byte v[0:1], v2
.LBB234_2234:
	s_or_b64 exec, exec, s[4:5]
.LBB234_2235:
	s_or_b64 exec, exec, s[14:15]
.LBB234_2236:
	s_or_b64 exec, exec, s[12:13]
	s_or_b64 s[6:7], s[6:7], exec
	s_or_b64 exec, exec, s[8:9]
	s_mov_b64 s[4:5], 0
	s_and_saveexec_b64 s[8:9], s[6:7]
	s_cbranch_execnz .LBB234_97
	s_branch .LBB234_98
.LBB234_2237:
	s_andn2_saveexec_b64 s[8:9], s[8:9]
	s_cbranch_execz .LBB234_618
.LBB234_2238:
	v_cmp_lt_i16_e32 vcc, 22, v12
	s_mov_b64 s[14:15], s[10:11]
                                        ; implicit-def: $vgpr21
	s_and_saveexec_b64 s[6:7], vcc
	s_xor_b64 s[6:7], exec, s[6:7]
	s_cbranch_execz .LBB234_2270
; %bb.2239:
	v_cmp_lt_i16_e32 vcc, 23, v12
                                        ; implicit-def: $vgpr21
	s_and_saveexec_b64 s[14:15], vcc
	s_xor_b64 s[14:15], exec, s[14:15]
	s_cbranch_execz .LBB234_2267
; %bb.2240:
	v_cmp_lt_i16_e32 vcc, 24, v12
                                        ; implicit-def: $vgpr21
	s_and_saveexec_b64 s[16:17], vcc
	s_xor_b64 s[16:17], exec, s[16:17]
	s_cbranch_execz .LBB234_2256
; %bb.2241:
	flat_load_ubyte v5, v[9:10]
	s_movk_i32 s18, 0x7f
	s_waitcnt vmcnt(0) lgkmcnt(0)
	v_cmp_lt_i16_e32 vcc, s18, v5
	s_mov_b64 s[18:19], 0
	s_and_saveexec_b64 s[20:21], vcc
	s_xor_b64 s[20:21], exec, s[20:21]
	s_cbranch_execz .LBB234_2580
; %bb.2242:
	s_movk_i32 s18, 0x80
	v_cmp_eq_u16_e32 vcc, s18, v5
	s_mov_b64 s[18:19], -1
	s_and_saveexec_b64 s[22:23], vcc
; %bb.2243:
	s_xor_b64 s[18:19], exec, -1
; %bb.2244:
	s_or_b64 exec, exec, s[22:23]
	s_and_b64 s[18:19], s[18:19], exec
	s_or_saveexec_b64 s[20:21], s[20:21]
	v_mov_b32_e32 v3, 0x7f800001
	s_xor_b64 exec, exec, s[20:21]
	s_cbranch_execnz .LBB234_2581
.LBB234_2245:
	s_or_b64 exec, exec, s[20:21]
	s_and_saveexec_b64 s[20:21], s[18:19]
	s_cbranch_execz .LBB234_2247
.LBB234_2246:
	v_lshlrev_b32_e32 v3, 24, v5
	v_and_b32_e32 v5, 0xffff, v5
	v_and_b32_e32 v7, 3, v5
	v_ffbh_u32_e32 v13, v7
	v_min_u32_e32 v13, 32, v13
	v_subrev_u32_e32 v14, 29, v13
	v_bfe_u32 v11, v5, 2, 5
	v_lshlrev_b32_e32 v5, v14, v5
	v_sub_u32_e32 v13, 30, v13
	v_and_b32_e32 v5, 3, v5
	v_cmp_eq_u32_e32 vcc, 0, v11
	v_cndmask_b32_e32 v11, v11, v13, vcc
	v_cndmask_b32_e32 v5, v7, v5, vcc
	v_mov_b32_e32 v7, 0x37800000
	v_lshlrev_b32_e32 v5, 21, v5
	v_and_b32_e32 v3, 0x80000000, v3
	v_lshl_add_u32 v7, v11, 23, v7
	v_or3_b32 v3, v3, v7, v5
.LBB234_2247:
	s_or_b64 exec, exec, s[20:21]
	v_and_b32_e32 v7, 0x7fffffff, v3
	s_mov_b32 s18, 0x47800000
	v_cmp_gt_u32_e32 vcc, s18, v7
                                        ; implicit-def: $vgpr5
	s_and_saveexec_b64 s[18:19], vcc
	s_xor_b64 s[18:19], exec, s[18:19]
	s_cbranch_execz .LBB234_2253
; %bb.2248:
	s_mov_b32 s20, 0x387fffff
	v_cmp_lt_u32_e32 vcc, s20, v7
                                        ; implicit-def: $vgpr5
	s_and_saveexec_b64 s[20:21], vcc
	s_xor_b64 s[20:21], exec, s[20:21]
; %bb.2249:
	v_bfe_u32 v5, v3, 21, 1
	s_mov_b32 s22, 0x80fffff
	v_add3_u32 v5, v3, v5, s22
	v_lshrrev_b32_e32 v5, 21, v5
; %bb.2250:
	s_andn2_saveexec_b64 s[20:21], s[20:21]
; %bb.2251:
	s_mov_b32 s22, 0x43000000
	v_add_f32_e64 v5, |v3|, s22
; %bb.2252:
	s_or_b64 exec, exec, s[20:21]
                                        ; implicit-def: $vgpr7
.LBB234_2253:
	s_andn2_saveexec_b64 s[18:19], s[18:19]
; %bb.2254:
	s_mov_b32 s20, 0x7f800000
	v_mov_b32_e32 v5, 0x7c
	v_mov_b32_e32 v11, 0x7f
	v_cmp_lt_u32_e32 vcc, s20, v7
	v_cndmask_b32_e32 v5, v5, v11, vcc
; %bb.2255:
	s_or_b64 exec, exec, s[18:19]
	v_lshrrev_b32_e32 v3, 24, v3
	s_movk_i32 s18, 0x80
	v_and_or_b32 v21, v3, s18, v5
.LBB234_2256:
	s_andn2_saveexec_b64 s[16:17], s[16:17]
	s_cbranch_execz .LBB234_2266
; %bb.2257:
	flat_load_ubyte v3, v[9:10]
	s_mov_b32 s18, 0x7f800000
	s_brev_b32 s19, 1
	s_waitcnt vmcnt(0) lgkmcnt(0)
	v_lshlrev_b32_e32 v3, 24, v3
	v_and_b32_e32 v5, 0x7f000000, v3
	v_ffbh_u32_e32 v7, v5
	v_min_u32_e32 v7, 32, v7
	v_sub_u32_e64 v7, v7, 4 clamp
	v_lshlrev_b32_e32 v13, v7, v5
	v_lshlrev_b32_e32 v7, 23, v7
	v_lshrrev_b32_e32 v13, 4, v13
	v_add_u32_e32 v11, 0x1000000, v5
	v_sub_u32_e32 v7, v13, v7
	v_ashrrev_i32_e32 v11, 8, v11
	v_add_u32_e32 v7, 0x3c000000, v7
	v_and_or_b32 v7, v11, s18, v7
	v_cmp_ne_u32_e32 vcc, 0, v5
	v_cndmask_b32_e32 v11, 0, v7, vcc
	v_and_or_b32 v3, v3, s19, v11
	v_and_b32_e32 v7, 0x7fffffff, v3
	s_mov_b32 s18, 0x47800000
	v_cmp_gt_u32_e32 vcc, s18, v7
                                        ; implicit-def: $vgpr5
	s_and_saveexec_b64 s[18:19], vcc
	s_xor_b64 s[18:19], exec, s[18:19]
	s_cbranch_execz .LBB234_2263
; %bb.2258:
	s_mov_b32 s20, 0x387fffff
	v_cmp_lt_u32_e32 vcc, s20, v7
                                        ; implicit-def: $vgpr5
	s_and_saveexec_b64 s[20:21], vcc
	s_xor_b64 s[20:21], exec, s[20:21]
; %bb.2259:
	v_bfe_u32 v5, v11, 21, 1
	s_mov_b32 s22, 0x80fffff
	v_add3_u32 v5, v3, v5, s22
	v_lshrrev_b32_e32 v5, 21, v5
; %bb.2260:
	s_andn2_saveexec_b64 s[20:21], s[20:21]
; %bb.2261:
	s_mov_b32 s22, 0x43000000
	v_add_f32_e64 v5, |v3|, s22
; %bb.2262:
	s_or_b64 exec, exec, s[20:21]
                                        ; implicit-def: $vgpr7
.LBB234_2263:
	s_andn2_saveexec_b64 s[18:19], s[18:19]
; %bb.2264:
	s_mov_b32 s20, 0x7f800000
	v_mov_b32_e32 v5, 0x7c
	v_mov_b32_e32 v11, 0x7f
	v_cmp_lt_u32_e32 vcc, s20, v7
	v_cndmask_b32_e32 v5, v5, v11, vcc
; %bb.2265:
	s_or_b64 exec, exec, s[18:19]
	v_lshrrev_b32_e32 v3, 24, v3
	s_movk_i32 s18, 0x80
	v_and_or_b32 v21, v3, s18, v5
.LBB234_2266:
	s_or_b64 exec, exec, s[16:17]
.LBB234_2267:
	s_andn2_saveexec_b64 s[14:15], s[14:15]
	s_cbranch_execz .LBB234_2269
; %bb.2268:
	flat_load_ubyte v21, v[9:10]
.LBB234_2269:
	s_or_b64 exec, exec, s[14:15]
	s_or_b64 s[14:15], s[10:11], exec
.LBB234_2270:
	s_or_saveexec_b64 s[6:7], s[6:7]
	s_mov_b64 s[16:17], 0
	s_mov_b64 s[18:19], s[12:13]
	s_xor_b64 exec, exec, s[6:7]
	s_cbranch_execz .LBB234_2286
; %bb.2271:
	v_cmp_lt_i16_e32 vcc, 14, v12
	s_mov_b64 s[18:19], s[12:13]
	s_mov_b64 s[20:21], s[14:15]
                                        ; implicit-def: $vgpr21
	s_and_saveexec_b64 s[16:17], vcc
	s_xor_b64 s[16:17], exec, s[16:17]
	s_cbranch_execz .LBB234_2283
; %bb.2272:
	v_cmp_eq_u16_e32 vcc, 15, v12
	s_mov_b64 s[22:23], -1
	s_mov_b64 s[20:21], s[14:15]
                                        ; implicit-def: $vgpr21
	s_and_saveexec_b64 s[18:19], vcc
	s_cbranch_execz .LBB234_2282
; %bb.2273:
	flat_load_ushort v3, v[9:10]
	s_mov_b32 s20, 0x47800000
                                        ; implicit-def: $vgpr5
	s_waitcnt vmcnt(0) lgkmcnt(0)
	v_lshlrev_b32_e32 v7, 16, v3
	v_and_b32_e32 v11, 0x7fffffff, v7
	v_cmp_gt_u32_e32 vcc, s20, v11
	s_and_saveexec_b64 s[20:21], vcc
	s_xor_b64 s[20:21], exec, s[20:21]
	s_cbranch_execz .LBB234_2279
; %bb.2274:
	s_mov_b32 s22, 0x387fffff
	v_cmp_lt_u32_e32 vcc, s22, v11
                                        ; implicit-def: $vgpr5
	s_and_saveexec_b64 s[22:23], vcc
	s_xor_b64 s[22:23], exec, s[22:23]
; %bb.2275:
	v_bfe_u32 v5, v3, 5, 1
	s_mov_b32 s24, 0x80fffff
	v_add3_u32 v5, v7, v5, s24
	v_lshrrev_b32_e32 v5, 21, v5
                                        ; implicit-def: $vgpr7
; %bb.2276:
	s_andn2_saveexec_b64 s[22:23], s[22:23]
; %bb.2277:
	s_mov_b32 s24, 0x43000000
	v_add_f32_e64 v5, |v7|, s24
; %bb.2278:
	s_or_b64 exec, exec, s[22:23]
                                        ; implicit-def: $vgpr11
.LBB234_2279:
	s_andn2_saveexec_b64 s[20:21], s[20:21]
; %bb.2280:
	s_mov_b32 s22, 0x7f800000
	v_mov_b32_e32 v5, 0x7c
	v_mov_b32_e32 v7, 0x7f
	v_cmp_lt_u32_e32 vcc, s22, v11
	v_cndmask_b32_e32 v5, v5, v7, vcc
; %bb.2281:
	s_or_b64 exec, exec, s[20:21]
	v_lshrrev_b32_e32 v3, 8, v3
	s_movk_i32 s20, 0x80
	v_and_or_b32 v21, v3, s20, v5
	s_or_b64 s[20:21], s[14:15], exec
	s_xor_b64 s[22:23], exec, -1
.LBB234_2282:
	s_or_b64 exec, exec, s[18:19]
	s_andn2_b64 s[18:19], s[14:15], exec
	s_and_b64 s[20:21], s[20:21], exec
	s_or_b64 s[20:21], s[18:19], s[20:21]
	s_andn2_b64 s[18:19], s[12:13], exec
	s_and_b64 s[22:23], s[22:23], exec
	s_or_b64 s[18:19], s[18:19], s[22:23]
.LBB234_2283:
	s_or_saveexec_b64 s[16:17], s[16:17]
	s_mov_b64 s[22:23], 0
	s_xor_b64 exec, exec, s[16:17]
; %bb.2284:
	v_cmp_ne_u16_e32 vcc, 11, v12
	s_andn2_b64 s[18:19], s[18:19], exec
	s_and_b64 s[24:25], vcc, exec
	s_mov_b64 s[22:23], exec
	s_or_b64 s[18:19], s[18:19], s[24:25]
; %bb.2285:
	s_or_b64 exec, exec, s[16:17]
	s_andn2_b64 s[14:15], s[14:15], exec
	s_and_b64 s[16:17], s[20:21], exec
	s_andn2_b64 s[20:21], s[12:13], exec
	s_and_b64 s[18:19], s[18:19], exec
	s_or_b64 s[14:15], s[14:15], s[16:17]
	s_and_b64 s[16:17], s[22:23], exec
	s_or_b64 s[18:19], s[20:21], s[18:19]
.LBB234_2286:
	s_or_b64 exec, exec, s[6:7]
	s_andn2_b64 s[6:7], s[10:11], exec
	s_and_b64 s[10:11], s[14:15], exec
	s_andn2_b64 s[12:13], s[12:13], exec
	s_and_b64 s[14:15], s[18:19], exec
	s_or_b64 s[10:11], s[6:7], s[10:11]
	s_and_b64 s[6:7], s[16:17], exec
	s_or_b64 s[12:13], s[12:13], s[14:15]
	s_or_b64 exec, exec, s[8:9]
	s_mov_b64 s[8:9], s[34:35]
	s_and_saveexec_b64 s[14:15], s[12:13]
	s_cbranch_execz .LBB234_619
.LBB234_2287:
	s_trap 2
	s_or_b64 s[8:9], s[34:35], exec
	s_andn2_b64 s[6:7], s[6:7], exec
	s_or_b64 exec, exec, s[14:15]
	s_and_saveexec_b64 s[12:13], s[6:7]
	s_cbranch_execnz .LBB234_620
	s_branch .LBB234_629
.LBB234_2288:
	s_andn2_saveexec_b64 s[8:9], s[8:9]
	s_cbranch_execz .LBB234_195
.LBB234_2289:
	v_cmp_lt_i16_e64 s[4:5], 4, v2
	s_and_saveexec_b64 s[12:13], s[4:5]
	s_xor_b64 s[12:13], exec, s[12:13]
	s_cbranch_execz .LBB234_2311
; %bb.2290:
	v_cmp_lt_i16_e64 s[4:5], 7, v2
	s_and_saveexec_b64 s[14:15], s[4:5]
	s_xor_b64 s[14:15], exec, s[14:15]
	s_cbranch_execz .LBB234_2300
; %bb.2291:
	;; [unrolled: 5-line block ×4, first 2 shown]
	v_cndmask_b32_e64 v2, 0, 1, vcc
	v_cvt_f64_u32_e32 v[2:3], v2
	v_mov_b32_e32 v4, 0
	v_mov_b32_e32 v5, v4
	flat_store_dwordx4 v[0:1], v[2:5]
                                        ; implicit-def: $vgpr0_vgpr1
.LBB234_2294:
	s_andn2_saveexec_b64 s[4:5], s[4:5]
	s_cbranch_execz .LBB234_2296
; %bb.2295:
	v_cndmask_b32_e64 v2, 0, 1.0, vcc
	v_mov_b32_e32 v3, 0
	flat_store_dwordx2 v[0:1], v[2:3]
.LBB234_2296:
	s_or_b64 exec, exec, s[4:5]
                                        ; implicit-def: $vgpr0_vgpr1
.LBB234_2297:
	s_andn2_saveexec_b64 s[4:5], s[16:17]
	s_cbranch_execz .LBB234_2299
; %bb.2298:
	v_cndmask_b32_e64 v2, 0, 1.0, vcc
	v_cvt_f16_f32_e32 v2, v2
	flat_store_dword v[0:1], v2
.LBB234_2299:
	s_or_b64 exec, exec, s[4:5]
                                        ; implicit-def: $vgpr0_vgpr1
                                        ; implicit-def: $vgpr2
.LBB234_2300:
	s_andn2_saveexec_b64 s[14:15], s[14:15]
	s_cbranch_execz .LBB234_2310
; %bb.2301:
	v_cmp_lt_i16_e64 s[4:5], 5, v2
	s_and_saveexec_b64 s[16:17], s[4:5]
	s_xor_b64 s[16:17], exec, s[16:17]
	s_cbranch_execz .LBB234_2307
; %bb.2302:
	v_cmp_lt_i16_e64 s[4:5], 6, v2
	s_and_saveexec_b64 s[18:19], s[4:5]
	s_xor_b64 s[4:5], exec, s[18:19]
	s_cbranch_execz .LBB234_2304
; %bb.2303:
	v_cndmask_b32_e64 v2, 0, 1, vcc
	v_cvt_f64_u32_e32 v[2:3], v2
	flat_store_dwordx2 v[0:1], v[2:3]
                                        ; implicit-def: $vgpr0_vgpr1
.LBB234_2304:
	s_andn2_saveexec_b64 s[4:5], s[4:5]
	s_cbranch_execz .LBB234_2306
; %bb.2305:
	v_cndmask_b32_e64 v2, 0, 1.0, vcc
	flat_store_dword v[0:1], v2
.LBB234_2306:
	s_or_b64 exec, exec, s[4:5]
                                        ; implicit-def: $vgpr0_vgpr1
.LBB234_2307:
	s_andn2_saveexec_b64 s[4:5], s[16:17]
	s_cbranch_execz .LBB234_2309
; %bb.2308:
	v_cndmask_b32_e64 v2, 0, 1.0, vcc
	v_cvt_f16_f32_e32 v2, v2
	flat_store_short v[0:1], v2
.LBB234_2309:
	s_or_b64 exec, exec, s[4:5]
.LBB234_2310:
	s_or_b64 exec, exec, s[14:15]
                                        ; implicit-def: $vgpr2
                                        ; implicit-def: $vgpr0_vgpr1
.LBB234_2311:
	s_andn2_saveexec_b64 s[12:13], s[12:13]
	s_cbranch_execz .LBB234_2329
; %bb.2312:
	v_cmp_lt_i16_e64 s[4:5], 1, v2
	s_and_saveexec_b64 s[14:15], s[4:5]
	s_xor_b64 s[14:15], exec, s[14:15]
	s_cbranch_execz .LBB234_2322
; %bb.2313:
	v_cmp_lt_i16_e64 s[4:5], 2, v2
	s_and_saveexec_b64 s[16:17], s[4:5]
	s_xor_b64 s[16:17], exec, s[16:17]
	s_cbranch_execz .LBB234_2319
; %bb.2314:
	v_cmp_lt_i16_e64 s[4:5], 3, v2
	s_and_saveexec_b64 s[18:19], s[4:5]
	s_xor_b64 s[4:5], exec, s[18:19]
	s_cbranch_execz .LBB234_2316
; %bb.2315:
	s_mov_b32 s18, 0
	v_cndmask_b32_e64 v2, 0, 1, vcc
	v_mov_b32_e32 v3, s18
	flat_store_dwordx2 v[0:1], v[2:3]
                                        ; implicit-def: $vgpr0_vgpr1
.LBB234_2316:
	s_andn2_saveexec_b64 s[4:5], s[4:5]
	s_cbranch_execz .LBB234_2318
; %bb.2317:
	v_cndmask_b32_e64 v2, 0, 1, vcc
	flat_store_dword v[0:1], v2
.LBB234_2318:
	s_or_b64 exec, exec, s[4:5]
                                        ; implicit-def: $vgpr0_vgpr1
.LBB234_2319:
	s_andn2_saveexec_b64 s[4:5], s[16:17]
	s_cbranch_execz .LBB234_2321
; %bb.2320:
	v_cndmask_b32_e64 v2, 0, 1, vcc
	flat_store_short v[0:1], v2
.LBB234_2321:
	s_or_b64 exec, exec, s[4:5]
                                        ; implicit-def: $vgpr0_vgpr1
                                        ; implicit-def: $vgpr2
.LBB234_2322:
	s_andn2_saveexec_b64 s[14:15], s[14:15]
	s_cbranch_execz .LBB234_2328
; %bb.2323:
	v_cmp_lt_i16_e64 s[4:5], 0, v2
	v_cndmask_b32_e64 v2, 0, 1, vcc
	s_and_saveexec_b64 s[16:17], s[4:5]
	s_xor_b64 s[4:5], exec, s[16:17]
	s_cbranch_execz .LBB234_2325
; %bb.2324:
	flat_store_byte v[0:1], v2
                                        ; implicit-def: $vgpr0_vgpr1
                                        ; implicit-def: $vgpr2
.LBB234_2325:
	s_andn2_saveexec_b64 s[4:5], s[4:5]
	s_cbranch_execz .LBB234_2327
; %bb.2326:
	flat_store_byte v[0:1], v2
.LBB234_2327:
	s_or_b64 exec, exec, s[4:5]
.LBB234_2328:
	s_or_b64 exec, exec, s[14:15]
.LBB234_2329:
	s_or_b64 exec, exec, s[12:13]
	s_or_b64 s[6:7], s[6:7], exec
	s_or_b64 exec, exec, s[8:9]
	s_mov_b64 s[4:5], 0
	s_and_saveexec_b64 s[8:9], s[6:7]
	s_cbranch_execnz .LBB234_196
	s_branch .LBB234_197
.LBB234_2330:
	s_andn2_saveexec_b64 s[8:9], s[8:9]
	s_cbranch_execz .LBB234_844
.LBB234_2331:
	v_cmp_lt_i16_e32 vcc, 22, v11
	s_mov_b64 s[14:15], s[10:11]
                                        ; implicit-def: $vgpr23
	s_and_saveexec_b64 s[6:7], vcc
	s_xor_b64 s[6:7], exec, s[6:7]
	s_cbranch_execz .LBB234_2363
; %bb.2332:
	v_cmp_lt_i16_e32 vcc, 23, v11
                                        ; implicit-def: $vgpr23
	s_and_saveexec_b64 s[14:15], vcc
	s_xor_b64 s[14:15], exec, s[14:15]
	s_cbranch_execz .LBB234_2360
; %bb.2333:
	v_cmp_lt_i16_e32 vcc, 24, v11
                                        ; implicit-def: $vgpr23
	s_and_saveexec_b64 s[16:17], vcc
	s_xor_b64 s[16:17], exec, s[16:17]
	s_cbranch_execz .LBB234_2349
; %bb.2334:
	flat_load_ubyte v5, v[7:8]
	s_movk_i32 s18, 0x7f
	s_waitcnt vmcnt(0) lgkmcnt(0)
	v_cmp_lt_i16_e32 vcc, s18, v5
	s_mov_b64 s[18:19], 0
	s_and_saveexec_b64 s[20:21], vcc
	s_xor_b64 s[20:21], exec, s[20:21]
	s_cbranch_execz .LBB234_2637
; %bb.2335:
	s_movk_i32 s18, 0x80
	v_cmp_eq_u16_e32 vcc, s18, v5
	s_mov_b64 s[18:19], -1
	s_and_saveexec_b64 s[22:23], vcc
; %bb.2336:
	s_xor_b64 s[18:19], exec, -1
; %bb.2337:
	s_or_b64 exec, exec, s[22:23]
	s_and_b64 s[18:19], s[18:19], exec
	s_or_saveexec_b64 s[20:21], s[20:21]
	v_mov_b32_e32 v3, 0x7f800001
	s_xor_b64 exec, exec, s[20:21]
	s_cbranch_execnz .LBB234_2638
.LBB234_2338:
	s_or_b64 exec, exec, s[20:21]
	s_and_saveexec_b64 s[20:21], s[18:19]
	s_cbranch_execz .LBB234_2340
.LBB234_2339:
	v_lshlrev_b32_e32 v3, 24, v5
	v_and_b32_e32 v5, 0xffff, v5
	v_and_b32_e32 v9, 3, v5
	v_ffbh_u32_e32 v23, v9
	v_min_u32_e32 v23, 32, v23
	v_subrev_u32_e32 v25, 29, v23
	v_bfe_u32 v10, v5, 2, 5
	v_lshlrev_b32_e32 v5, v25, v5
	v_sub_u32_e32 v23, 30, v23
	v_and_b32_e32 v5, 3, v5
	v_cmp_eq_u32_e32 vcc, 0, v10
	v_cndmask_b32_e32 v10, v10, v23, vcc
	v_cndmask_b32_e32 v5, v9, v5, vcc
	v_mov_b32_e32 v9, 0x37800000
	v_lshlrev_b32_e32 v5, 21, v5
	v_and_b32_e32 v3, 0x80000000, v3
	v_lshl_add_u32 v9, v10, 23, v9
	v_or3_b32 v3, v3, v9, v5
.LBB234_2340:
	s_or_b64 exec, exec, s[20:21]
	v_and_b32_e32 v9, 0x7fffffff, v3
	s_mov_b32 s18, 0x47800000
	v_cmp_gt_u32_e32 vcc, s18, v9
                                        ; implicit-def: $vgpr5
	s_and_saveexec_b64 s[18:19], vcc
	s_xor_b64 s[18:19], exec, s[18:19]
	s_cbranch_execz .LBB234_2346
; %bb.2341:
	s_mov_b32 s20, 0x387fffff
	v_cmp_lt_u32_e32 vcc, s20, v9
                                        ; implicit-def: $vgpr5
	s_and_saveexec_b64 s[20:21], vcc
	s_xor_b64 s[20:21], exec, s[20:21]
; %bb.2342:
	v_bfe_u32 v5, v3, 21, 1
	s_mov_b32 s22, 0x80fffff
	v_add3_u32 v5, v3, v5, s22
	v_lshrrev_b32_e32 v5, 21, v5
; %bb.2343:
	s_andn2_saveexec_b64 s[20:21], s[20:21]
; %bb.2344:
	s_mov_b32 s22, 0x43000000
	v_add_f32_e64 v5, |v3|, s22
; %bb.2345:
	s_or_b64 exec, exec, s[20:21]
                                        ; implicit-def: $vgpr9
.LBB234_2346:
	s_andn2_saveexec_b64 s[18:19], s[18:19]
; %bb.2347:
	s_mov_b32 s20, 0x7f800000
	v_mov_b32_e32 v5, 0x7c
	v_mov_b32_e32 v10, 0x7f
	v_cmp_lt_u32_e32 vcc, s20, v9
	v_cndmask_b32_e32 v5, v5, v10, vcc
; %bb.2348:
	s_or_b64 exec, exec, s[18:19]
	v_lshrrev_b32_e32 v3, 24, v3
	s_movk_i32 s18, 0x80
	v_and_or_b32 v23, v3, s18, v5
.LBB234_2349:
	s_andn2_saveexec_b64 s[16:17], s[16:17]
	s_cbranch_execz .LBB234_2359
; %bb.2350:
	flat_load_ubyte v3, v[7:8]
	s_mov_b32 s18, 0x7f800000
	s_brev_b32 s19, 1
	s_waitcnt vmcnt(0) lgkmcnt(0)
	v_lshlrev_b32_e32 v3, 24, v3
	v_and_b32_e32 v5, 0x7f000000, v3
	v_ffbh_u32_e32 v9, v5
	v_min_u32_e32 v9, 32, v9
	v_sub_u32_e64 v9, v9, 4 clamp
	v_lshlrev_b32_e32 v23, v9, v5
	v_lshlrev_b32_e32 v9, 23, v9
	v_lshrrev_b32_e32 v23, 4, v23
	v_add_u32_e32 v10, 0x1000000, v5
	v_sub_u32_e32 v9, v23, v9
	v_ashrrev_i32_e32 v10, 8, v10
	v_add_u32_e32 v9, 0x3c000000, v9
	v_and_or_b32 v9, v10, s18, v9
	v_cmp_ne_u32_e32 vcc, 0, v5
	v_cndmask_b32_e32 v10, 0, v9, vcc
	v_and_or_b32 v3, v3, s19, v10
	v_and_b32_e32 v9, 0x7fffffff, v3
	s_mov_b32 s18, 0x47800000
	v_cmp_gt_u32_e32 vcc, s18, v9
                                        ; implicit-def: $vgpr5
	s_and_saveexec_b64 s[18:19], vcc
	s_xor_b64 s[18:19], exec, s[18:19]
	s_cbranch_execz .LBB234_2356
; %bb.2351:
	s_mov_b32 s20, 0x387fffff
	v_cmp_lt_u32_e32 vcc, s20, v9
                                        ; implicit-def: $vgpr5
	s_and_saveexec_b64 s[20:21], vcc
	s_xor_b64 s[20:21], exec, s[20:21]
; %bb.2352:
	v_bfe_u32 v5, v10, 21, 1
	s_mov_b32 s22, 0x80fffff
	v_add3_u32 v5, v3, v5, s22
	v_lshrrev_b32_e32 v5, 21, v5
; %bb.2353:
	s_andn2_saveexec_b64 s[20:21], s[20:21]
; %bb.2354:
	s_mov_b32 s22, 0x43000000
	v_add_f32_e64 v5, |v3|, s22
; %bb.2355:
	s_or_b64 exec, exec, s[20:21]
                                        ; implicit-def: $vgpr9
.LBB234_2356:
	s_andn2_saveexec_b64 s[18:19], s[18:19]
; %bb.2357:
	s_mov_b32 s20, 0x7f800000
	v_mov_b32_e32 v5, 0x7c
	v_mov_b32_e32 v10, 0x7f
	v_cmp_lt_u32_e32 vcc, s20, v9
	v_cndmask_b32_e32 v5, v5, v10, vcc
; %bb.2358:
	s_or_b64 exec, exec, s[18:19]
	v_lshrrev_b32_e32 v3, 24, v3
	s_movk_i32 s18, 0x80
	v_and_or_b32 v23, v3, s18, v5
.LBB234_2359:
	s_or_b64 exec, exec, s[16:17]
.LBB234_2360:
	s_andn2_saveexec_b64 s[14:15], s[14:15]
	s_cbranch_execz .LBB234_2362
; %bb.2361:
	flat_load_ubyte v23, v[7:8]
.LBB234_2362:
	s_or_b64 exec, exec, s[14:15]
	s_or_b64 s[14:15], s[10:11], exec
.LBB234_2363:
	s_or_saveexec_b64 s[6:7], s[6:7]
	s_mov_b64 s[16:17], 0
	s_mov_b64 s[18:19], s[12:13]
	s_xor_b64 exec, exec, s[6:7]
	s_cbranch_execz .LBB234_2379
; %bb.2364:
	v_cmp_lt_i16_e32 vcc, 14, v11
	s_mov_b64 s[18:19], s[12:13]
	s_mov_b64 s[20:21], s[14:15]
                                        ; implicit-def: $vgpr23
	s_and_saveexec_b64 s[16:17], vcc
	s_xor_b64 s[16:17], exec, s[16:17]
	s_cbranch_execz .LBB234_2376
; %bb.2365:
	v_cmp_eq_u16_e32 vcc, 15, v11
	s_mov_b64 s[22:23], -1
	s_mov_b64 s[20:21], s[14:15]
                                        ; implicit-def: $vgpr23
	s_and_saveexec_b64 s[18:19], vcc
	s_cbranch_execz .LBB234_2375
; %bb.2366:
	flat_load_ushort v3, v[7:8]
	s_mov_b32 s20, 0x47800000
                                        ; implicit-def: $vgpr5
	s_waitcnt vmcnt(0) lgkmcnt(0)
	v_lshlrev_b32_e32 v9, 16, v3
	v_and_b32_e32 v10, 0x7fffffff, v9
	v_cmp_gt_u32_e32 vcc, s20, v10
	s_and_saveexec_b64 s[20:21], vcc
	s_xor_b64 s[20:21], exec, s[20:21]
	s_cbranch_execz .LBB234_2372
; %bb.2367:
	s_mov_b32 s22, 0x387fffff
	v_cmp_lt_u32_e32 vcc, s22, v10
                                        ; implicit-def: $vgpr5
	s_and_saveexec_b64 s[22:23], vcc
	s_xor_b64 s[22:23], exec, s[22:23]
; %bb.2368:
	v_bfe_u32 v5, v3, 5, 1
	s_mov_b32 s24, 0x80fffff
	v_add3_u32 v5, v9, v5, s24
	v_lshrrev_b32_e32 v5, 21, v5
                                        ; implicit-def: $vgpr9
; %bb.2369:
	s_andn2_saveexec_b64 s[22:23], s[22:23]
; %bb.2370:
	s_mov_b32 s24, 0x43000000
	v_add_f32_e64 v5, |v9|, s24
; %bb.2371:
	s_or_b64 exec, exec, s[22:23]
                                        ; implicit-def: $vgpr10
.LBB234_2372:
	s_andn2_saveexec_b64 s[20:21], s[20:21]
; %bb.2373:
	s_mov_b32 s22, 0x7f800000
	v_mov_b32_e32 v5, 0x7c
	v_mov_b32_e32 v9, 0x7f
	v_cmp_lt_u32_e32 vcc, s22, v10
	v_cndmask_b32_e32 v5, v5, v9, vcc
; %bb.2374:
	s_or_b64 exec, exec, s[20:21]
	v_lshrrev_b32_e32 v3, 8, v3
	s_movk_i32 s20, 0x80
	v_and_or_b32 v23, v3, s20, v5
	s_or_b64 s[20:21], s[14:15], exec
	s_xor_b64 s[22:23], exec, -1
.LBB234_2375:
	s_or_b64 exec, exec, s[18:19]
	s_andn2_b64 s[18:19], s[14:15], exec
	s_and_b64 s[20:21], s[20:21], exec
	s_or_b64 s[20:21], s[18:19], s[20:21]
	s_andn2_b64 s[18:19], s[12:13], exec
	s_and_b64 s[22:23], s[22:23], exec
	s_or_b64 s[18:19], s[18:19], s[22:23]
.LBB234_2376:
	s_or_saveexec_b64 s[16:17], s[16:17]
	s_mov_b64 s[22:23], 0
	s_xor_b64 exec, exec, s[16:17]
; %bb.2377:
	v_cmp_ne_u16_e32 vcc, 11, v11
	s_andn2_b64 s[18:19], s[18:19], exec
	s_and_b64 s[24:25], vcc, exec
	s_mov_b64 s[22:23], exec
	s_or_b64 s[18:19], s[18:19], s[24:25]
; %bb.2378:
	s_or_b64 exec, exec, s[16:17]
	s_andn2_b64 s[14:15], s[14:15], exec
	s_and_b64 s[16:17], s[20:21], exec
	s_andn2_b64 s[20:21], s[12:13], exec
	s_and_b64 s[18:19], s[18:19], exec
	s_or_b64 s[14:15], s[14:15], s[16:17]
	s_and_b64 s[16:17], s[22:23], exec
	s_or_b64 s[18:19], s[20:21], s[18:19]
.LBB234_2379:
	s_or_b64 exec, exec, s[6:7]
	s_andn2_b64 s[6:7], s[10:11], exec
	s_and_b64 s[10:11], s[14:15], exec
	s_andn2_b64 s[12:13], s[12:13], exec
	s_and_b64 s[14:15], s[18:19], exec
	s_or_b64 s[10:11], s[6:7], s[10:11]
	s_and_b64 s[6:7], s[16:17], exec
	s_or_b64 s[12:13], s[12:13], s[14:15]
	s_or_b64 exec, exec, s[8:9]
	s_mov_b64 s[8:9], s[38:39]
	s_and_saveexec_b64 s[14:15], s[12:13]
	s_cbranch_execz .LBB234_845
.LBB234_2380:
	s_trap 2
	s_or_b64 s[8:9], s[38:39], exec
	s_andn2_b64 s[6:7], s[6:7], exec
	s_or_b64 exec, exec, s[14:15]
	s_and_saveexec_b64 s[12:13], s[6:7]
	s_cbranch_execnz .LBB234_846
	s_branch .LBB234_855
.LBB234_2381:
	s_andn2_saveexec_b64 s[8:9], s[8:9]
	s_cbranch_execz .LBB234_294
.LBB234_2382:
	v_cmp_lt_i16_e64 s[4:5], 4, v2
	s_and_saveexec_b64 s[12:13], s[4:5]
	s_xor_b64 s[12:13], exec, s[12:13]
	s_cbranch_execz .LBB234_2404
; %bb.2383:
	v_cmp_lt_i16_e64 s[4:5], 7, v2
	s_and_saveexec_b64 s[14:15], s[4:5]
	s_xor_b64 s[14:15], exec, s[14:15]
	s_cbranch_execz .LBB234_2393
; %bb.2384:
	;; [unrolled: 5-line block ×4, first 2 shown]
	v_cndmask_b32_e64 v2, 0, 1, vcc
	v_cvt_f64_u32_e32 v[2:3], v2
	v_mov_b32_e32 v4, 0
	v_mov_b32_e32 v5, v4
	flat_store_dwordx4 v[0:1], v[2:5]
                                        ; implicit-def: $vgpr0_vgpr1
.LBB234_2387:
	s_andn2_saveexec_b64 s[4:5], s[4:5]
	s_cbranch_execz .LBB234_2389
; %bb.2388:
	v_cndmask_b32_e64 v2, 0, 1.0, vcc
	v_mov_b32_e32 v3, 0
	flat_store_dwordx2 v[0:1], v[2:3]
.LBB234_2389:
	s_or_b64 exec, exec, s[4:5]
                                        ; implicit-def: $vgpr0_vgpr1
.LBB234_2390:
	s_andn2_saveexec_b64 s[4:5], s[16:17]
	s_cbranch_execz .LBB234_2392
; %bb.2391:
	v_cndmask_b32_e64 v2, 0, 1.0, vcc
	v_cvt_f16_f32_e32 v2, v2
	flat_store_dword v[0:1], v2
.LBB234_2392:
	s_or_b64 exec, exec, s[4:5]
                                        ; implicit-def: $vgpr0_vgpr1
                                        ; implicit-def: $vgpr2
.LBB234_2393:
	s_andn2_saveexec_b64 s[14:15], s[14:15]
	s_cbranch_execz .LBB234_2403
; %bb.2394:
	v_cmp_lt_i16_e64 s[4:5], 5, v2
	s_and_saveexec_b64 s[16:17], s[4:5]
	s_xor_b64 s[16:17], exec, s[16:17]
	s_cbranch_execz .LBB234_2400
; %bb.2395:
	v_cmp_lt_i16_e64 s[4:5], 6, v2
	s_and_saveexec_b64 s[18:19], s[4:5]
	s_xor_b64 s[4:5], exec, s[18:19]
	s_cbranch_execz .LBB234_2397
; %bb.2396:
	v_cndmask_b32_e64 v2, 0, 1, vcc
	v_cvt_f64_u32_e32 v[2:3], v2
	flat_store_dwordx2 v[0:1], v[2:3]
                                        ; implicit-def: $vgpr0_vgpr1
.LBB234_2397:
	s_andn2_saveexec_b64 s[4:5], s[4:5]
	s_cbranch_execz .LBB234_2399
; %bb.2398:
	v_cndmask_b32_e64 v2, 0, 1.0, vcc
	flat_store_dword v[0:1], v2
.LBB234_2399:
	s_or_b64 exec, exec, s[4:5]
                                        ; implicit-def: $vgpr0_vgpr1
.LBB234_2400:
	s_andn2_saveexec_b64 s[4:5], s[16:17]
	s_cbranch_execz .LBB234_2402
; %bb.2401:
	v_cndmask_b32_e64 v2, 0, 1.0, vcc
	v_cvt_f16_f32_e32 v2, v2
	flat_store_short v[0:1], v2
.LBB234_2402:
	s_or_b64 exec, exec, s[4:5]
.LBB234_2403:
	s_or_b64 exec, exec, s[14:15]
                                        ; implicit-def: $vgpr2
                                        ; implicit-def: $vgpr0_vgpr1
.LBB234_2404:
	s_andn2_saveexec_b64 s[12:13], s[12:13]
	s_cbranch_execz .LBB234_2422
; %bb.2405:
	v_cmp_lt_i16_e64 s[4:5], 1, v2
	s_and_saveexec_b64 s[14:15], s[4:5]
	s_xor_b64 s[14:15], exec, s[14:15]
	s_cbranch_execz .LBB234_2415
; %bb.2406:
	v_cmp_lt_i16_e64 s[4:5], 2, v2
	s_and_saveexec_b64 s[16:17], s[4:5]
	s_xor_b64 s[16:17], exec, s[16:17]
	;; [unrolled: 5-line block ×3, first 2 shown]
	s_cbranch_execz .LBB234_2409
; %bb.2408:
	s_mov_b32 s18, 0
	v_cndmask_b32_e64 v2, 0, 1, vcc
	v_mov_b32_e32 v3, s18
	flat_store_dwordx2 v[0:1], v[2:3]
                                        ; implicit-def: $vgpr0_vgpr1
.LBB234_2409:
	s_andn2_saveexec_b64 s[4:5], s[4:5]
	s_cbranch_execz .LBB234_2411
; %bb.2410:
	v_cndmask_b32_e64 v2, 0, 1, vcc
	flat_store_dword v[0:1], v2
.LBB234_2411:
	s_or_b64 exec, exec, s[4:5]
                                        ; implicit-def: $vgpr0_vgpr1
.LBB234_2412:
	s_andn2_saveexec_b64 s[4:5], s[16:17]
	s_cbranch_execz .LBB234_2414
; %bb.2413:
	v_cndmask_b32_e64 v2, 0, 1, vcc
	flat_store_short v[0:1], v2
.LBB234_2414:
	s_or_b64 exec, exec, s[4:5]
                                        ; implicit-def: $vgpr0_vgpr1
                                        ; implicit-def: $vgpr2
.LBB234_2415:
	s_andn2_saveexec_b64 s[14:15], s[14:15]
	s_cbranch_execz .LBB234_2421
; %bb.2416:
	v_cmp_lt_i16_e64 s[4:5], 0, v2
	v_cndmask_b32_e64 v2, 0, 1, vcc
	s_and_saveexec_b64 s[16:17], s[4:5]
	s_xor_b64 s[4:5], exec, s[16:17]
	s_cbranch_execz .LBB234_2418
; %bb.2417:
	flat_store_byte v[0:1], v2
                                        ; implicit-def: $vgpr0_vgpr1
                                        ; implicit-def: $vgpr2
.LBB234_2418:
	s_andn2_saveexec_b64 s[4:5], s[4:5]
	s_cbranch_execz .LBB234_2420
; %bb.2419:
	flat_store_byte v[0:1], v2
.LBB234_2420:
	s_or_b64 exec, exec, s[4:5]
.LBB234_2421:
	s_or_b64 exec, exec, s[14:15]
.LBB234_2422:
	s_or_b64 exec, exec, s[12:13]
	s_or_b64 s[6:7], s[6:7], exec
	s_or_b64 exec, exec, s[8:9]
	s_mov_b64 s[4:5], 0
	s_and_saveexec_b64 s[8:9], s[6:7]
	s_cbranch_execnz .LBB234_295
	s_branch .LBB234_296
.LBB234_2423:
	s_andn2_saveexec_b64 s[8:9], s[8:9]
	s_cbranch_execz .LBB234_1070
.LBB234_2424:
	v_cmp_lt_i16_e32 vcc, 22, v12
	s_mov_b64 s[14:15], s[10:11]
                                        ; implicit-def: $vgpr25
	s_and_saveexec_b64 s[6:7], vcc
	s_xor_b64 s[6:7], exec, s[6:7]
	s_cbranch_execz .LBB234_2456
; %bb.2425:
	v_cmp_lt_i16_e32 vcc, 23, v12
                                        ; implicit-def: $vgpr25
	s_and_saveexec_b64 s[14:15], vcc
	s_xor_b64 s[14:15], exec, s[14:15]
	s_cbranch_execz .LBB234_2453
; %bb.2426:
	v_cmp_lt_i16_e32 vcc, 24, v12
                                        ; implicit-def: $vgpr25
	s_and_saveexec_b64 s[16:17], vcc
	s_xor_b64 s[16:17], exec, s[16:17]
	s_cbranch_execz .LBB234_2442
; %bb.2427:
	flat_load_ubyte v7, v[5:6]
	s_movk_i32 s18, 0x7f
	s_waitcnt vmcnt(0) lgkmcnt(0)
	v_cmp_lt_i16_e32 vcc, s18, v7
	s_mov_b64 s[18:19], 0
	s_and_saveexec_b64 s[20:21], vcc
	s_xor_b64 s[20:21], exec, s[20:21]
	s_cbranch_execz .LBB234_2688
; %bb.2428:
	s_movk_i32 s18, 0x80
	v_cmp_eq_u16_e32 vcc, s18, v7
	s_mov_b64 s[18:19], -1
	s_and_saveexec_b64 s[22:23], vcc
; %bb.2429:
	s_xor_b64 s[18:19], exec, -1
; %bb.2430:
	s_or_b64 exec, exec, s[22:23]
	s_and_b64 s[18:19], s[18:19], exec
	s_or_saveexec_b64 s[20:21], s[20:21]
	v_mov_b32_e32 v3, 0x7f800001
	s_xor_b64 exec, exec, s[20:21]
	s_cbranch_execnz .LBB234_2689
.LBB234_2431:
	s_or_b64 exec, exec, s[20:21]
	s_and_saveexec_b64 s[20:21], s[18:19]
	s_cbranch_execz .LBB234_2433
.LBB234_2432:
	v_lshlrev_b32_e32 v3, 24, v7
	v_and_b32_e32 v7, 0xffff, v7
	v_and_b32_e32 v8, 3, v7
	v_ffbh_u32_e32 v10, v8
	v_min_u32_e32 v10, 32, v10
	v_subrev_u32_e32 v25, 29, v10
	v_bfe_u32 v9, v7, 2, 5
	v_lshlrev_b32_e32 v7, v25, v7
	v_sub_u32_e32 v10, 30, v10
	v_and_b32_e32 v7, 3, v7
	v_cmp_eq_u32_e32 vcc, 0, v9
	v_cndmask_b32_e32 v9, v9, v10, vcc
	v_cndmask_b32_e32 v7, v8, v7, vcc
	v_mov_b32_e32 v8, 0x37800000
	v_lshlrev_b32_e32 v7, 21, v7
	v_and_b32_e32 v3, 0x80000000, v3
	v_lshl_add_u32 v8, v9, 23, v8
	v_or3_b32 v3, v3, v8, v7
.LBB234_2433:
	s_or_b64 exec, exec, s[20:21]
	v_and_b32_e32 v8, 0x7fffffff, v3
	s_mov_b32 s18, 0x47800000
	v_cmp_gt_u32_e32 vcc, s18, v8
                                        ; implicit-def: $vgpr7
	s_and_saveexec_b64 s[18:19], vcc
	s_xor_b64 s[18:19], exec, s[18:19]
	s_cbranch_execz .LBB234_2439
; %bb.2434:
	s_mov_b32 s20, 0x387fffff
	v_cmp_lt_u32_e32 vcc, s20, v8
                                        ; implicit-def: $vgpr7
	s_and_saveexec_b64 s[20:21], vcc
	s_xor_b64 s[20:21], exec, s[20:21]
; %bb.2435:
	v_bfe_u32 v7, v3, 21, 1
	s_mov_b32 s22, 0x80fffff
	v_add3_u32 v7, v3, v7, s22
	v_lshrrev_b32_e32 v7, 21, v7
; %bb.2436:
	s_andn2_saveexec_b64 s[20:21], s[20:21]
; %bb.2437:
	s_mov_b32 s22, 0x43000000
	v_add_f32_e64 v7, |v3|, s22
; %bb.2438:
	s_or_b64 exec, exec, s[20:21]
                                        ; implicit-def: $vgpr8
.LBB234_2439:
	s_andn2_saveexec_b64 s[18:19], s[18:19]
; %bb.2440:
	s_mov_b32 s20, 0x7f800000
	v_mov_b32_e32 v7, 0x7c
	v_mov_b32_e32 v9, 0x7f
	v_cmp_lt_u32_e32 vcc, s20, v8
	v_cndmask_b32_e32 v7, v7, v9, vcc
; %bb.2441:
	s_or_b64 exec, exec, s[18:19]
	v_lshrrev_b32_e32 v3, 24, v3
	s_movk_i32 s18, 0x80
	v_and_or_b32 v25, v3, s18, v7
.LBB234_2442:
	s_andn2_saveexec_b64 s[16:17], s[16:17]
	s_cbranch_execz .LBB234_2452
; %bb.2443:
	flat_load_ubyte v3, v[5:6]
	s_mov_b32 s18, 0x7f800000
	s_brev_b32 s19, 1
	s_waitcnt vmcnt(0) lgkmcnt(0)
	v_lshlrev_b32_e32 v3, 24, v3
	v_and_b32_e32 v7, 0x7f000000, v3
	v_ffbh_u32_e32 v8, v7
	v_min_u32_e32 v8, 32, v8
	v_sub_u32_e64 v8, v8, 4 clamp
	v_lshlrev_b32_e32 v10, v8, v7
	v_lshlrev_b32_e32 v8, 23, v8
	v_lshrrev_b32_e32 v10, 4, v10
	v_add_u32_e32 v9, 0x1000000, v7
	v_sub_u32_e32 v8, v10, v8
	v_ashrrev_i32_e32 v9, 8, v9
	v_add_u32_e32 v8, 0x3c000000, v8
	v_and_or_b32 v8, v9, s18, v8
	v_cmp_ne_u32_e32 vcc, 0, v7
	v_cndmask_b32_e32 v9, 0, v8, vcc
	v_and_or_b32 v3, v3, s19, v9
	v_and_b32_e32 v8, 0x7fffffff, v3
	s_mov_b32 s18, 0x47800000
	v_cmp_gt_u32_e32 vcc, s18, v8
                                        ; implicit-def: $vgpr7
	s_and_saveexec_b64 s[18:19], vcc
	s_xor_b64 s[18:19], exec, s[18:19]
	s_cbranch_execz .LBB234_2449
; %bb.2444:
	s_mov_b32 s20, 0x387fffff
	v_cmp_lt_u32_e32 vcc, s20, v8
                                        ; implicit-def: $vgpr7
	s_and_saveexec_b64 s[20:21], vcc
	s_xor_b64 s[20:21], exec, s[20:21]
; %bb.2445:
	v_bfe_u32 v7, v9, 21, 1
	s_mov_b32 s22, 0x80fffff
	v_add3_u32 v7, v3, v7, s22
	v_lshrrev_b32_e32 v7, 21, v7
; %bb.2446:
	s_andn2_saveexec_b64 s[20:21], s[20:21]
; %bb.2447:
	s_mov_b32 s22, 0x43000000
	v_add_f32_e64 v7, |v3|, s22
; %bb.2448:
	s_or_b64 exec, exec, s[20:21]
                                        ; implicit-def: $vgpr8
.LBB234_2449:
	s_andn2_saveexec_b64 s[18:19], s[18:19]
; %bb.2450:
	s_mov_b32 s20, 0x7f800000
	v_mov_b32_e32 v7, 0x7c
	v_mov_b32_e32 v9, 0x7f
	v_cmp_lt_u32_e32 vcc, s20, v8
	v_cndmask_b32_e32 v7, v7, v9, vcc
; %bb.2451:
	s_or_b64 exec, exec, s[18:19]
	v_lshrrev_b32_e32 v3, 24, v3
	s_movk_i32 s18, 0x80
	v_and_or_b32 v25, v3, s18, v7
.LBB234_2452:
	s_or_b64 exec, exec, s[16:17]
.LBB234_2453:
	s_andn2_saveexec_b64 s[14:15], s[14:15]
	s_cbranch_execz .LBB234_2455
; %bb.2454:
	flat_load_ubyte v25, v[5:6]
.LBB234_2455:
	s_or_b64 exec, exec, s[14:15]
	s_or_b64 s[14:15], s[10:11], exec
.LBB234_2456:
	s_or_saveexec_b64 s[6:7], s[6:7]
	s_mov_b64 s[16:17], 0
	s_mov_b64 s[18:19], s[12:13]
	s_xor_b64 exec, exec, s[6:7]
	s_cbranch_execz .LBB234_2472
; %bb.2457:
	v_cmp_lt_i16_e32 vcc, 14, v12
	s_mov_b64 s[18:19], s[12:13]
	s_mov_b64 s[20:21], s[14:15]
                                        ; implicit-def: $vgpr25
	s_and_saveexec_b64 s[16:17], vcc
	s_xor_b64 s[16:17], exec, s[16:17]
	s_cbranch_execz .LBB234_2469
; %bb.2458:
	v_cmp_eq_u16_e32 vcc, 15, v12
	s_mov_b64 s[22:23], -1
	s_mov_b64 s[20:21], s[14:15]
                                        ; implicit-def: $vgpr25
	s_and_saveexec_b64 s[18:19], vcc
	s_cbranch_execz .LBB234_2468
; %bb.2459:
	flat_load_ushort v3, v[5:6]
	s_mov_b32 s20, 0x47800000
                                        ; implicit-def: $vgpr7
	s_waitcnt vmcnt(0) lgkmcnt(0)
	v_lshlrev_b32_e32 v8, 16, v3
	v_and_b32_e32 v9, 0x7fffffff, v8
	v_cmp_gt_u32_e32 vcc, s20, v9
	s_and_saveexec_b64 s[20:21], vcc
	s_xor_b64 s[20:21], exec, s[20:21]
	s_cbranch_execz .LBB234_2465
; %bb.2460:
	s_mov_b32 s22, 0x387fffff
	v_cmp_lt_u32_e32 vcc, s22, v9
                                        ; implicit-def: $vgpr7
	s_and_saveexec_b64 s[22:23], vcc
	s_xor_b64 s[22:23], exec, s[22:23]
; %bb.2461:
	v_bfe_u32 v7, v3, 5, 1
	s_mov_b32 s24, 0x80fffff
	v_add3_u32 v7, v8, v7, s24
	v_lshrrev_b32_e32 v7, 21, v7
                                        ; implicit-def: $vgpr8
; %bb.2462:
	s_andn2_saveexec_b64 s[22:23], s[22:23]
; %bb.2463:
	s_mov_b32 s24, 0x43000000
	v_add_f32_e64 v7, |v8|, s24
; %bb.2464:
	s_or_b64 exec, exec, s[22:23]
                                        ; implicit-def: $vgpr9
.LBB234_2465:
	s_andn2_saveexec_b64 s[20:21], s[20:21]
; %bb.2466:
	s_mov_b32 s22, 0x7f800000
	v_mov_b32_e32 v7, 0x7c
	v_mov_b32_e32 v8, 0x7f
	v_cmp_lt_u32_e32 vcc, s22, v9
	v_cndmask_b32_e32 v7, v7, v8, vcc
; %bb.2467:
	s_or_b64 exec, exec, s[20:21]
	v_lshrrev_b32_e32 v3, 8, v3
	s_movk_i32 s20, 0x80
	v_and_or_b32 v25, v3, s20, v7
	s_or_b64 s[20:21], s[14:15], exec
	s_xor_b64 s[22:23], exec, -1
.LBB234_2468:
	s_or_b64 exec, exec, s[18:19]
	s_andn2_b64 s[18:19], s[14:15], exec
	s_and_b64 s[20:21], s[20:21], exec
	s_or_b64 s[20:21], s[18:19], s[20:21]
	s_andn2_b64 s[18:19], s[12:13], exec
	s_and_b64 s[22:23], s[22:23], exec
	s_or_b64 s[18:19], s[18:19], s[22:23]
.LBB234_2469:
	s_or_saveexec_b64 s[16:17], s[16:17]
	s_mov_b64 s[22:23], 0
	s_xor_b64 exec, exec, s[16:17]
; %bb.2470:
	v_cmp_ne_u16_e32 vcc, 11, v12
	s_andn2_b64 s[18:19], s[18:19], exec
	s_and_b64 s[24:25], vcc, exec
	s_mov_b64 s[22:23], exec
	s_or_b64 s[18:19], s[18:19], s[24:25]
; %bb.2471:
	s_or_b64 exec, exec, s[16:17]
	s_andn2_b64 s[14:15], s[14:15], exec
	s_and_b64 s[16:17], s[20:21], exec
	s_andn2_b64 s[20:21], s[12:13], exec
	s_and_b64 s[18:19], s[18:19], exec
	s_or_b64 s[14:15], s[14:15], s[16:17]
	s_and_b64 s[16:17], s[22:23], exec
	s_or_b64 s[18:19], s[20:21], s[18:19]
.LBB234_2472:
	s_or_b64 exec, exec, s[6:7]
	s_andn2_b64 s[6:7], s[10:11], exec
	s_and_b64 s[10:11], s[14:15], exec
	s_andn2_b64 s[12:13], s[12:13], exec
	s_and_b64 s[14:15], s[18:19], exec
	s_or_b64 s[10:11], s[6:7], s[10:11]
	s_and_b64 s[6:7], s[16:17], exec
	s_or_b64 s[12:13], s[12:13], s[14:15]
	s_or_b64 exec, exec, s[8:9]
	s_mov_b64 s[8:9], s[44:45]
	s_and_saveexec_b64 s[14:15], s[12:13]
	s_cbranch_execz .LBB234_1071
.LBB234_2473:
	s_trap 2
	s_or_b64 s[8:9], s[44:45], exec
	s_andn2_b64 s[6:7], s[6:7], exec
	s_or_b64 exec, exec, s[14:15]
	s_and_saveexec_b64 s[12:13], s[6:7]
	s_cbranch_execnz .LBB234_1072
	s_branch .LBB234_1081
.LBB234_2474:
	s_or_saveexec_b64 s[20:21], s[20:21]
	v_mov_b32_e32 v3, 0x7f800001
	s_xor_b64 exec, exec, s[20:21]
	s_cbranch_execz .LBB234_605
.LBB234_2475:
	v_cmp_ne_u16_e32 vcc, 0, v5
	s_andn2_b64 s[18:19], s[18:19], exec
	s_and_b64 s[22:23], vcc, exec
	v_mov_b32_e32 v3, 0
	s_or_b64 s[18:19], s[18:19], s[22:23]
	s_or_b64 exec, exec, s[20:21]
	s_and_saveexec_b64 s[20:21], s[18:19]
	s_cbranch_execnz .LBB234_606
	s_branch .LBB234_607
.LBB234_2476:
	s_andn2_saveexec_b64 s[8:9], s[8:9]
	s_cbranch_execz .LBB234_1296
.LBB234_2477:
	v_cmp_lt_i16_e32 vcc, 22, v11
	s_mov_b64 s[14:15], s[10:11]
                                        ; implicit-def: $vgpr26
	s_and_saveexec_b64 s[6:7], vcc
	s_xor_b64 s[6:7], exec, s[6:7]
	s_cbranch_execz .LBB234_2509
; %bb.2478:
	v_cmp_lt_i16_e32 vcc, 23, v11
                                        ; implicit-def: $vgpr26
	s_and_saveexec_b64 s[14:15], vcc
	s_xor_b64 s[14:15], exec, s[14:15]
	s_cbranch_execz .LBB234_2506
; %bb.2479:
	v_cmp_lt_i16_e32 vcc, 24, v11
                                        ; implicit-def: $vgpr26
	s_and_saveexec_b64 s[16:17], vcc
	s_xor_b64 s[16:17], exec, s[16:17]
	s_cbranch_execz .LBB234_2495
; %bb.2480:
	flat_load_ubyte v6, v[3:4]
	s_movk_i32 s18, 0x7f
	s_waitcnt vmcnt(0) lgkmcnt(0)
	v_cmp_lt_i16_e32 vcc, s18, v6
	s_mov_b64 s[18:19], 0
	s_and_saveexec_b64 s[20:21], vcc
	s_xor_b64 s[20:21], exec, s[20:21]
	s_cbranch_execz .LBB234_2739
; %bb.2481:
	s_movk_i32 s18, 0x80
	v_cmp_eq_u16_e32 vcc, s18, v6
	s_mov_b64 s[18:19], -1
	s_and_saveexec_b64 s[22:23], vcc
; %bb.2482:
	s_xor_b64 s[18:19], exec, -1
; %bb.2483:
	s_or_b64 exec, exec, s[22:23]
	s_and_b64 s[18:19], s[18:19], exec
	s_or_saveexec_b64 s[20:21], s[20:21]
	v_mov_b32_e32 v5, 0x7f800001
	s_xor_b64 exec, exec, s[20:21]
	s_cbranch_execnz .LBB234_2740
.LBB234_2484:
	s_or_b64 exec, exec, s[20:21]
	s_and_saveexec_b64 s[20:21], s[18:19]
	s_cbranch_execz .LBB234_2486
.LBB234_2485:
	v_lshlrev_b32_e32 v5, 24, v6
	v_and_b32_e32 v6, 0xffff, v6
	v_and_b32_e32 v7, 3, v6
	v_ffbh_u32_e32 v9, v7
	v_min_u32_e32 v9, 32, v9
	v_subrev_u32_e32 v10, 29, v9
	v_bfe_u32 v8, v6, 2, 5
	v_lshlrev_b32_e32 v6, v10, v6
	v_sub_u32_e32 v9, 30, v9
	v_and_b32_e32 v6, 3, v6
	v_cmp_eq_u32_e32 vcc, 0, v8
	v_cndmask_b32_e32 v8, v8, v9, vcc
	v_cndmask_b32_e32 v6, v7, v6, vcc
	v_mov_b32_e32 v7, 0x37800000
	v_lshlrev_b32_e32 v6, 21, v6
	v_and_b32_e32 v5, 0x80000000, v5
	v_lshl_add_u32 v7, v8, 23, v7
	v_or3_b32 v5, v5, v7, v6
.LBB234_2486:
	s_or_b64 exec, exec, s[20:21]
	v_and_b32_e32 v7, 0x7fffffff, v5
	s_mov_b32 s18, 0x47800000
	v_cmp_gt_u32_e32 vcc, s18, v7
                                        ; implicit-def: $vgpr6
	s_and_saveexec_b64 s[18:19], vcc
	s_xor_b64 s[18:19], exec, s[18:19]
	s_cbranch_execz .LBB234_2492
; %bb.2487:
	s_mov_b32 s20, 0x387fffff
	v_cmp_lt_u32_e32 vcc, s20, v7
                                        ; implicit-def: $vgpr6
	s_and_saveexec_b64 s[20:21], vcc
	s_xor_b64 s[20:21], exec, s[20:21]
; %bb.2488:
	v_bfe_u32 v6, v5, 21, 1
	s_mov_b32 s22, 0x80fffff
	v_add3_u32 v6, v5, v6, s22
	v_lshrrev_b32_e32 v6, 21, v6
; %bb.2489:
	s_andn2_saveexec_b64 s[20:21], s[20:21]
; %bb.2490:
	s_mov_b32 s22, 0x43000000
	v_add_f32_e64 v6, |v5|, s22
; %bb.2491:
	s_or_b64 exec, exec, s[20:21]
                                        ; implicit-def: $vgpr7
.LBB234_2492:
	s_andn2_saveexec_b64 s[18:19], s[18:19]
; %bb.2493:
	s_mov_b32 s20, 0x7f800000
	v_mov_b32_e32 v6, 0x7c
	v_mov_b32_e32 v8, 0x7f
	v_cmp_lt_u32_e32 vcc, s20, v7
	v_cndmask_b32_e32 v6, v6, v8, vcc
; %bb.2494:
	s_or_b64 exec, exec, s[18:19]
	v_lshrrev_b32_e32 v5, 24, v5
	s_movk_i32 s18, 0x80
	v_and_or_b32 v26, v5, s18, v6
.LBB234_2495:
	s_andn2_saveexec_b64 s[16:17], s[16:17]
	s_cbranch_execz .LBB234_2505
; %bb.2496:
	flat_load_ubyte v5, v[3:4]
	s_mov_b32 s18, 0x7f800000
	s_brev_b32 s19, 1
	s_waitcnt vmcnt(0) lgkmcnt(0)
	v_lshlrev_b32_e32 v5, 24, v5
	v_and_b32_e32 v6, 0x7f000000, v5
	v_ffbh_u32_e32 v7, v6
	v_min_u32_e32 v7, 32, v7
	v_sub_u32_e64 v7, v7, 4 clamp
	v_lshlrev_b32_e32 v9, v7, v6
	v_lshlrev_b32_e32 v7, 23, v7
	v_lshrrev_b32_e32 v9, 4, v9
	v_add_u32_e32 v8, 0x1000000, v6
	v_sub_u32_e32 v7, v9, v7
	v_ashrrev_i32_e32 v8, 8, v8
	v_add_u32_e32 v7, 0x3c000000, v7
	v_and_or_b32 v7, v8, s18, v7
	v_cmp_ne_u32_e32 vcc, 0, v6
	v_cndmask_b32_e32 v8, 0, v7, vcc
	v_and_or_b32 v5, v5, s19, v8
	v_and_b32_e32 v7, 0x7fffffff, v5
	s_mov_b32 s18, 0x47800000
	v_cmp_gt_u32_e32 vcc, s18, v7
                                        ; implicit-def: $vgpr6
	s_and_saveexec_b64 s[18:19], vcc
	s_xor_b64 s[18:19], exec, s[18:19]
	s_cbranch_execz .LBB234_2502
; %bb.2497:
	s_mov_b32 s20, 0x387fffff
	v_cmp_lt_u32_e32 vcc, s20, v7
                                        ; implicit-def: $vgpr6
	s_and_saveexec_b64 s[20:21], vcc
	s_xor_b64 s[20:21], exec, s[20:21]
; %bb.2498:
	v_bfe_u32 v6, v8, 21, 1
	s_mov_b32 s22, 0x80fffff
	v_add3_u32 v6, v5, v6, s22
	v_lshrrev_b32_e32 v6, 21, v6
; %bb.2499:
	s_andn2_saveexec_b64 s[20:21], s[20:21]
; %bb.2500:
	s_mov_b32 s22, 0x43000000
	v_add_f32_e64 v6, |v5|, s22
; %bb.2501:
	s_or_b64 exec, exec, s[20:21]
                                        ; implicit-def: $vgpr7
.LBB234_2502:
	s_andn2_saveexec_b64 s[18:19], s[18:19]
; %bb.2503:
	s_mov_b32 s20, 0x7f800000
	v_mov_b32_e32 v6, 0x7c
	v_mov_b32_e32 v8, 0x7f
	v_cmp_lt_u32_e32 vcc, s20, v7
	v_cndmask_b32_e32 v6, v6, v8, vcc
; %bb.2504:
	s_or_b64 exec, exec, s[18:19]
	v_lshrrev_b32_e32 v5, 24, v5
	s_movk_i32 s18, 0x80
	v_and_or_b32 v26, v5, s18, v6
.LBB234_2505:
	s_or_b64 exec, exec, s[16:17]
.LBB234_2506:
	s_andn2_saveexec_b64 s[14:15], s[14:15]
	s_cbranch_execz .LBB234_2508
; %bb.2507:
	flat_load_ubyte v26, v[3:4]
.LBB234_2508:
	s_or_b64 exec, exec, s[14:15]
	s_or_b64 s[14:15], s[10:11], exec
.LBB234_2509:
	s_or_saveexec_b64 s[6:7], s[6:7]
	s_mov_b64 s[16:17], 0
	s_mov_b64 s[18:19], s[12:13]
	s_xor_b64 exec, exec, s[6:7]
	s_cbranch_execz .LBB234_2525
; %bb.2510:
	v_cmp_lt_i16_e32 vcc, 14, v11
	s_mov_b64 s[18:19], s[12:13]
	s_mov_b64 s[20:21], s[14:15]
                                        ; implicit-def: $vgpr26
	s_and_saveexec_b64 s[16:17], vcc
	s_xor_b64 s[16:17], exec, s[16:17]
	s_cbranch_execz .LBB234_2522
; %bb.2511:
	v_cmp_eq_u16_e32 vcc, 15, v11
	s_mov_b64 s[22:23], -1
	s_mov_b64 s[20:21], s[14:15]
                                        ; implicit-def: $vgpr26
	s_and_saveexec_b64 s[18:19], vcc
	s_cbranch_execz .LBB234_2521
; %bb.2512:
	flat_load_ushort v5, v[3:4]
	s_mov_b32 s20, 0x47800000
                                        ; implicit-def: $vgpr6
	s_waitcnt vmcnt(0) lgkmcnt(0)
	v_lshlrev_b32_e32 v7, 16, v5
	v_and_b32_e32 v8, 0x7fffffff, v7
	v_cmp_gt_u32_e32 vcc, s20, v8
	s_and_saveexec_b64 s[20:21], vcc
	s_xor_b64 s[20:21], exec, s[20:21]
	s_cbranch_execz .LBB234_2518
; %bb.2513:
	s_mov_b32 s22, 0x387fffff
	v_cmp_lt_u32_e32 vcc, s22, v8
                                        ; implicit-def: $vgpr6
	s_and_saveexec_b64 s[22:23], vcc
	s_xor_b64 s[22:23], exec, s[22:23]
; %bb.2514:
	v_bfe_u32 v6, v5, 5, 1
	s_mov_b32 s24, 0x80fffff
	v_add3_u32 v6, v7, v6, s24
	v_lshrrev_b32_e32 v6, 21, v6
                                        ; implicit-def: $vgpr7
; %bb.2515:
	s_andn2_saveexec_b64 s[22:23], s[22:23]
; %bb.2516:
	s_mov_b32 s24, 0x43000000
	v_add_f32_e64 v6, |v7|, s24
; %bb.2517:
	s_or_b64 exec, exec, s[22:23]
                                        ; implicit-def: $vgpr8
.LBB234_2518:
	s_andn2_saveexec_b64 s[20:21], s[20:21]
; %bb.2519:
	s_mov_b32 s22, 0x7f800000
	v_mov_b32_e32 v6, 0x7c
	v_mov_b32_e32 v7, 0x7f
	v_cmp_lt_u32_e32 vcc, s22, v8
	v_cndmask_b32_e32 v6, v6, v7, vcc
; %bb.2520:
	s_or_b64 exec, exec, s[20:21]
	v_lshrrev_b32_e32 v5, 8, v5
	s_movk_i32 s20, 0x80
	v_and_or_b32 v26, v5, s20, v6
	s_or_b64 s[20:21], s[14:15], exec
	s_xor_b64 s[22:23], exec, -1
.LBB234_2521:
	s_or_b64 exec, exec, s[18:19]
	s_andn2_b64 s[18:19], s[14:15], exec
	s_and_b64 s[20:21], s[20:21], exec
	s_or_b64 s[20:21], s[18:19], s[20:21]
	s_andn2_b64 s[18:19], s[12:13], exec
	s_and_b64 s[22:23], s[22:23], exec
	s_or_b64 s[18:19], s[18:19], s[22:23]
.LBB234_2522:
	s_or_saveexec_b64 s[16:17], s[16:17]
	s_mov_b64 s[22:23], 0
	s_xor_b64 exec, exec, s[16:17]
; %bb.2523:
	v_cmp_ne_u16_e32 vcc, 11, v11
	s_andn2_b64 s[18:19], s[18:19], exec
	s_and_b64 s[24:25], vcc, exec
	s_mov_b64 s[22:23], exec
	s_or_b64 s[18:19], s[18:19], s[24:25]
; %bb.2524:
	s_or_b64 exec, exec, s[16:17]
	s_andn2_b64 s[14:15], s[14:15], exec
	s_and_b64 s[16:17], s[20:21], exec
	s_andn2_b64 s[20:21], s[12:13], exec
	s_and_b64 s[18:19], s[18:19], exec
	s_or_b64 s[14:15], s[14:15], s[16:17]
	s_and_b64 s[16:17], s[22:23], exec
	s_or_b64 s[18:19], s[20:21], s[18:19]
.LBB234_2525:
	s_or_b64 exec, exec, s[6:7]
	s_andn2_b64 s[6:7], s[10:11], exec
	s_and_b64 s[10:11], s[14:15], exec
	s_andn2_b64 s[12:13], s[12:13], exec
	s_and_b64 s[14:15], s[18:19], exec
	s_or_b64 s[10:11], s[6:7], s[10:11]
	s_and_b64 s[6:7], s[16:17], exec
	s_or_b64 s[12:13], s[12:13], s[14:15]
	s_or_b64 exec, exec, s[8:9]
	s_mov_b64 s[8:9], s[48:49]
	s_and_saveexec_b64 s[14:15], s[12:13]
	s_cbranch_execz .LBB234_1297
.LBB234_2526:
	s_trap 2
	s_or_b64 s[8:9], s[48:49], exec
	s_andn2_b64 s[6:7], s[6:7], exec
	s_or_b64 exec, exec, s[14:15]
	s_and_saveexec_b64 s[12:13], s[6:7]
	s_cbranch_execnz .LBB234_1298
	s_branch .LBB234_1307
.LBB234_2527:
	s_or_saveexec_b64 s[20:21], s[20:21]
	v_mov_b32_e32 v3, 0x7f800001
	s_xor_b64 exec, exec, s[20:21]
	s_cbranch_execz .LBB234_831
.LBB234_2528:
	v_cmp_ne_u16_e32 vcc, 0, v5
	s_andn2_b64 s[18:19], s[18:19], exec
	s_and_b64 s[22:23], vcc, exec
	v_mov_b32_e32 v3, 0
	s_or_b64 s[18:19], s[18:19], s[22:23]
	s_or_b64 exec, exec, s[20:21]
	s_and_saveexec_b64 s[20:21], s[18:19]
	s_cbranch_execnz .LBB234_832
	s_branch .LBB234_833
.LBB234_2529:
	s_andn2_saveexec_b64 s[8:9], s[8:9]
	s_cbranch_execz .LBB234_1522
.LBB234_2530:
	v_cmp_lt_i16_e32 vcc, 22, v12
	s_mov_b64 s[14:15], s[10:11]
                                        ; implicit-def: $vgpr24
	s_and_saveexec_b64 s[6:7], vcc
	s_xor_b64 s[6:7], exec, s[6:7]
	s_cbranch_execz .LBB234_2562
; %bb.2531:
	v_cmp_lt_i16_e32 vcc, 23, v12
                                        ; implicit-def: $vgpr24
	s_and_saveexec_b64 s[14:15], vcc
	s_xor_b64 s[14:15], exec, s[14:15]
	s_cbranch_execz .LBB234_2559
; %bb.2532:
	v_cmp_lt_i16_e32 vcc, 24, v12
                                        ; implicit-def: $vgpr24
	s_and_saveexec_b64 s[16:17], vcc
	s_xor_b64 s[16:17], exec, s[16:17]
	s_cbranch_execz .LBB234_2548
; %bb.2533:
	flat_load_ubyte v4, v[1:2]
	s_movk_i32 s18, 0x7f
	s_waitcnt vmcnt(0) lgkmcnt(0)
	v_cmp_lt_i16_e32 vcc, s18, v4
	s_mov_b64 s[18:19], 0
	s_and_saveexec_b64 s[20:21], vcc
	s_xor_b64 s[20:21], exec, s[20:21]
	s_cbranch_execz .LBB234_2790
; %bb.2534:
	s_movk_i32 s18, 0x80
	v_cmp_eq_u16_e32 vcc, s18, v4
	s_mov_b64 s[18:19], -1
	s_and_saveexec_b64 s[22:23], vcc
; %bb.2535:
	s_xor_b64 s[18:19], exec, -1
; %bb.2536:
	s_or_b64 exec, exec, s[22:23]
	s_and_b64 s[18:19], s[18:19], exec
	s_or_saveexec_b64 s[20:21], s[20:21]
	v_mov_b32_e32 v3, 0x7f800001
	s_xor_b64 exec, exec, s[20:21]
	s_cbranch_execnz .LBB234_2791
.LBB234_2537:
	s_or_b64 exec, exec, s[20:21]
	s_and_saveexec_b64 s[20:21], s[18:19]
	s_cbranch_execz .LBB234_2539
.LBB234_2538:
	v_lshlrev_b32_e32 v3, 24, v4
	v_and_b32_e32 v4, 0xffff, v4
	v_and_b32_e32 v5, 3, v4
	v_ffbh_u32_e32 v7, v5
	v_min_u32_e32 v7, 32, v7
	v_subrev_u32_e32 v8, 29, v7
	v_bfe_u32 v6, v4, 2, 5
	v_lshlrev_b32_e32 v4, v8, v4
	v_sub_u32_e32 v7, 30, v7
	v_and_b32_e32 v4, 3, v4
	v_cmp_eq_u32_e32 vcc, 0, v6
	v_cndmask_b32_e32 v6, v6, v7, vcc
	v_cndmask_b32_e32 v4, v5, v4, vcc
	v_mov_b32_e32 v5, 0x37800000
	v_lshlrev_b32_e32 v4, 21, v4
	v_and_b32_e32 v3, 0x80000000, v3
	v_lshl_add_u32 v5, v6, 23, v5
	v_or3_b32 v3, v3, v5, v4
.LBB234_2539:
	s_or_b64 exec, exec, s[20:21]
	v_and_b32_e32 v5, 0x7fffffff, v3
	s_mov_b32 s18, 0x47800000
	v_cmp_gt_u32_e32 vcc, s18, v5
                                        ; implicit-def: $vgpr4
	s_and_saveexec_b64 s[18:19], vcc
	s_xor_b64 s[18:19], exec, s[18:19]
	s_cbranch_execz .LBB234_2545
; %bb.2540:
	s_mov_b32 s20, 0x387fffff
	v_cmp_lt_u32_e32 vcc, s20, v5
                                        ; implicit-def: $vgpr4
	s_and_saveexec_b64 s[20:21], vcc
	s_xor_b64 s[20:21], exec, s[20:21]
; %bb.2541:
	v_bfe_u32 v4, v3, 21, 1
	s_mov_b32 s22, 0x80fffff
	v_add3_u32 v4, v3, v4, s22
	v_lshrrev_b32_e32 v4, 21, v4
; %bb.2542:
	s_andn2_saveexec_b64 s[20:21], s[20:21]
; %bb.2543:
	s_mov_b32 s22, 0x43000000
	v_add_f32_e64 v4, |v3|, s22
; %bb.2544:
	s_or_b64 exec, exec, s[20:21]
                                        ; implicit-def: $vgpr5
.LBB234_2545:
	s_andn2_saveexec_b64 s[18:19], s[18:19]
; %bb.2546:
	s_mov_b32 s20, 0x7f800000
	v_mov_b32_e32 v4, 0x7c
	v_mov_b32_e32 v6, 0x7f
	v_cmp_lt_u32_e32 vcc, s20, v5
	v_cndmask_b32_e32 v4, v4, v6, vcc
; %bb.2547:
	s_or_b64 exec, exec, s[18:19]
	v_lshrrev_b32_e32 v3, 24, v3
	s_movk_i32 s18, 0x80
	v_and_or_b32 v24, v3, s18, v4
.LBB234_2548:
	s_andn2_saveexec_b64 s[16:17], s[16:17]
	s_cbranch_execz .LBB234_2558
; %bb.2549:
	flat_load_ubyte v3, v[1:2]
	s_mov_b32 s18, 0x7f800000
	s_brev_b32 s19, 1
	s_waitcnt vmcnt(0) lgkmcnt(0)
	v_lshlrev_b32_e32 v3, 24, v3
	v_and_b32_e32 v4, 0x7f000000, v3
	v_ffbh_u32_e32 v5, v4
	v_min_u32_e32 v5, 32, v5
	v_sub_u32_e64 v5, v5, 4 clamp
	v_lshlrev_b32_e32 v7, v5, v4
	v_lshlrev_b32_e32 v5, 23, v5
	v_lshrrev_b32_e32 v7, 4, v7
	v_add_u32_e32 v6, 0x1000000, v4
	v_sub_u32_e32 v5, v7, v5
	v_ashrrev_i32_e32 v6, 8, v6
	v_add_u32_e32 v5, 0x3c000000, v5
	v_and_or_b32 v5, v6, s18, v5
	v_cmp_ne_u32_e32 vcc, 0, v4
	v_cndmask_b32_e32 v6, 0, v5, vcc
	v_and_or_b32 v3, v3, s19, v6
	v_and_b32_e32 v5, 0x7fffffff, v3
	s_mov_b32 s18, 0x47800000
	v_cmp_gt_u32_e32 vcc, s18, v5
                                        ; implicit-def: $vgpr4
	s_and_saveexec_b64 s[18:19], vcc
	s_xor_b64 s[18:19], exec, s[18:19]
	s_cbranch_execz .LBB234_2555
; %bb.2550:
	s_mov_b32 s20, 0x387fffff
	v_cmp_lt_u32_e32 vcc, s20, v5
                                        ; implicit-def: $vgpr4
	s_and_saveexec_b64 s[20:21], vcc
	s_xor_b64 s[20:21], exec, s[20:21]
; %bb.2551:
	v_bfe_u32 v4, v6, 21, 1
	s_mov_b32 s22, 0x80fffff
	v_add3_u32 v4, v3, v4, s22
	v_lshrrev_b32_e32 v4, 21, v4
; %bb.2552:
	s_andn2_saveexec_b64 s[20:21], s[20:21]
; %bb.2553:
	s_mov_b32 s22, 0x43000000
	v_add_f32_e64 v4, |v3|, s22
; %bb.2554:
	s_or_b64 exec, exec, s[20:21]
                                        ; implicit-def: $vgpr5
.LBB234_2555:
	s_andn2_saveexec_b64 s[18:19], s[18:19]
; %bb.2556:
	s_mov_b32 s20, 0x7f800000
	v_mov_b32_e32 v4, 0x7c
	v_mov_b32_e32 v6, 0x7f
	v_cmp_lt_u32_e32 vcc, s20, v5
	v_cndmask_b32_e32 v4, v4, v6, vcc
; %bb.2557:
	s_or_b64 exec, exec, s[18:19]
	v_lshrrev_b32_e32 v3, 24, v3
	s_movk_i32 s18, 0x80
	v_and_or_b32 v24, v3, s18, v4
.LBB234_2558:
	s_or_b64 exec, exec, s[16:17]
.LBB234_2559:
	s_andn2_saveexec_b64 s[14:15], s[14:15]
	s_cbranch_execz .LBB234_2561
; %bb.2560:
	flat_load_ubyte v24, v[1:2]
.LBB234_2561:
	s_or_b64 exec, exec, s[14:15]
	s_or_b64 s[14:15], s[10:11], exec
                                        ; implicit-def: $vgpr12
.LBB234_2562:
	s_or_saveexec_b64 s[6:7], s[6:7]
	s_mov_b64 s[16:17], 0
	s_mov_b64 s[18:19], s[12:13]
	s_xor_b64 exec, exec, s[6:7]
	s_cbranch_execz .LBB234_2578
; %bb.2563:
	v_cmp_lt_i16_e32 vcc, 14, v12
	s_mov_b64 s[18:19], s[12:13]
	s_mov_b64 s[20:21], s[14:15]
                                        ; implicit-def: $vgpr24
	s_and_saveexec_b64 s[16:17], vcc
	s_xor_b64 s[16:17], exec, s[16:17]
	s_cbranch_execz .LBB234_2575
; %bb.2564:
	v_cmp_eq_u16_e32 vcc, 15, v12
	s_mov_b64 s[22:23], -1
	s_mov_b64 s[20:21], s[14:15]
                                        ; implicit-def: $vgpr24
	s_and_saveexec_b64 s[18:19], vcc
	s_cbranch_execz .LBB234_2574
; %bb.2565:
	flat_load_ushort v3, v[1:2]
	s_mov_b32 s20, 0x47800000
                                        ; implicit-def: $vgpr4
	s_waitcnt vmcnt(0) lgkmcnt(0)
	v_lshlrev_b32_e32 v5, 16, v3
	v_and_b32_e32 v6, 0x7fffffff, v5
	v_cmp_gt_u32_e32 vcc, s20, v6
	s_and_saveexec_b64 s[20:21], vcc
	s_xor_b64 s[20:21], exec, s[20:21]
	s_cbranch_execz .LBB234_2571
; %bb.2566:
	s_mov_b32 s22, 0x387fffff
	v_cmp_lt_u32_e32 vcc, s22, v6
                                        ; implicit-def: $vgpr4
	s_and_saveexec_b64 s[22:23], vcc
	s_xor_b64 s[22:23], exec, s[22:23]
; %bb.2567:
	v_bfe_u32 v4, v3, 5, 1
	s_mov_b32 s24, 0x80fffff
	v_add3_u32 v4, v5, v4, s24
	v_lshrrev_b32_e32 v4, 21, v4
                                        ; implicit-def: $vgpr5
; %bb.2568:
	s_andn2_saveexec_b64 s[22:23], s[22:23]
; %bb.2569:
	s_mov_b32 s24, 0x43000000
	v_add_f32_e64 v4, |v5|, s24
; %bb.2570:
	s_or_b64 exec, exec, s[22:23]
                                        ; implicit-def: $vgpr6
.LBB234_2571:
	s_andn2_saveexec_b64 s[20:21], s[20:21]
; %bb.2572:
	s_mov_b32 s22, 0x7f800000
	v_mov_b32_e32 v4, 0x7c
	v_mov_b32_e32 v5, 0x7f
	v_cmp_lt_u32_e32 vcc, s22, v6
	v_cndmask_b32_e32 v4, v4, v5, vcc
; %bb.2573:
	s_or_b64 exec, exec, s[20:21]
	v_lshrrev_b32_e32 v3, 8, v3
	s_movk_i32 s20, 0x80
	v_and_or_b32 v24, v3, s20, v4
	s_or_b64 s[20:21], s[14:15], exec
	s_xor_b64 s[22:23], exec, -1
.LBB234_2574:
	s_or_b64 exec, exec, s[18:19]
	s_andn2_b64 s[18:19], s[14:15], exec
	s_and_b64 s[20:21], s[20:21], exec
	s_or_b64 s[20:21], s[18:19], s[20:21]
	s_andn2_b64 s[18:19], s[12:13], exec
	s_and_b64 s[22:23], s[22:23], exec
	s_or_b64 s[18:19], s[18:19], s[22:23]
                                        ; implicit-def: $vgpr12
.LBB234_2575:
	s_or_saveexec_b64 s[16:17], s[16:17]
	s_mov_b64 s[22:23], 0
	s_xor_b64 exec, exec, s[16:17]
; %bb.2576:
	v_cmp_ne_u16_e32 vcc, 11, v12
	s_andn2_b64 s[18:19], s[18:19], exec
	s_and_b64 s[24:25], vcc, exec
	s_mov_b64 s[22:23], exec
	s_or_b64 s[18:19], s[18:19], s[24:25]
; %bb.2577:
	s_or_b64 exec, exec, s[16:17]
	s_andn2_b64 s[14:15], s[14:15], exec
	s_and_b64 s[16:17], s[20:21], exec
	s_andn2_b64 s[20:21], s[12:13], exec
	s_and_b64 s[18:19], s[18:19], exec
	s_or_b64 s[14:15], s[14:15], s[16:17]
	s_and_b64 s[16:17], s[22:23], exec
	s_or_b64 s[18:19], s[20:21], s[18:19]
.LBB234_2578:
	s_or_b64 exec, exec, s[6:7]
	s_andn2_b64 s[6:7], s[10:11], exec
	s_and_b64 s[10:11], s[14:15], exec
	s_andn2_b64 s[12:13], s[12:13], exec
	s_and_b64 s[14:15], s[18:19], exec
	s_or_b64 s[10:11], s[6:7], s[10:11]
	s_and_b64 s[6:7], s[16:17], exec
	s_or_b64 s[12:13], s[12:13], s[14:15]
	s_or_b64 exec, exec, s[8:9]
	s_mov_b64 s[8:9], s[52:53]
	s_and_saveexec_b64 s[14:15], s[12:13]
	s_cbranch_execz .LBB234_1523
.LBB234_2579:
	s_trap 2
	s_or_b64 s[8:9], s[52:53], exec
	s_andn2_b64 s[6:7], s[6:7], exec
	s_or_b64 exec, exec, s[14:15]
	s_and_saveexec_b64 s[12:13], s[6:7]
	s_cbranch_execnz .LBB234_1524
	s_branch .LBB234_1533
.LBB234_2580:
	s_or_saveexec_b64 s[20:21], s[20:21]
	v_mov_b32_e32 v3, 0x7f800001
	s_xor_b64 exec, exec, s[20:21]
	s_cbranch_execz .LBB234_2245
.LBB234_2581:
	v_cmp_ne_u16_e32 vcc, 0, v5
	s_andn2_b64 s[18:19], s[18:19], exec
	s_and_b64 s[22:23], vcc, exec
	v_mov_b32_e32 v3, 0
	s_or_b64 s[18:19], s[18:19], s[22:23]
	s_or_b64 exec, exec, s[20:21]
	s_and_saveexec_b64 s[20:21], s[18:19]
	s_cbranch_execnz .LBB234_2246
	s_branch .LBB234_2247
.LBB234_2582:
	s_andn2_saveexec_b64 s[22:23], s[4:5]
	s_cbranch_execz .LBB234_45
.LBB234_2583:
	v_add_f32_e32 v2, 0x46000000, v3
	v_and_b32_e32 v2, 0xff, v2
	v_cmp_ne_u32_e64 s[4:5], 0, v2
	s_andn2_b64 s[20:21], s[20:21], exec
	s_and_b64 s[4:5], s[4:5], exec
	s_or_b64 s[20:21], s[20:21], s[4:5]
	s_or_b64 exec, exec, s[22:23]
	v_mov_b32_e32 v4, 0
	s_and_saveexec_b64 s[4:5], s[20:21]
	s_cbranch_execnz .LBB234_46
	s_branch .LBB234_47
.LBB234_2584:
	s_or_saveexec_b64 s[20:21], s[20:21]
	v_mov_b32_e32 v3, 0x7f800001
	s_xor_b64 exec, exec, s[20:21]
	s_cbranch_execz .LBB234_1057
.LBB234_2585:
	v_cmp_ne_u16_e32 vcc, 0, v7
	s_andn2_b64 s[18:19], s[18:19], exec
	s_and_b64 s[22:23], vcc, exec
	v_mov_b32_e32 v3, 0
	s_or_b64 s[18:19], s[18:19], s[22:23]
	s_or_b64 exec, exec, s[20:21]
	s_and_saveexec_b64 s[20:21], s[18:19]
	s_cbranch_execnz .LBB234_1058
	s_branch .LBB234_1059
.LBB234_2586:
	s_andn2_saveexec_b64 s[8:9], s[8:9]
	s_cbranch_execz .LBB234_1748
.LBB234_2587:
	v_cmp_lt_i16_e32 vcc, 22, v11
	s_mov_b64 s[14:15], s[10:11]
                                        ; implicit-def: $vgpr27
	s_and_saveexec_b64 s[6:7], vcc
	s_xor_b64 s[6:7], exec, s[6:7]
	s_cbranch_execz .LBB234_2619
; %bb.2588:
	v_cmp_lt_i16_e32 vcc, 23, v11
                                        ; implicit-def: $vgpr27
	s_and_saveexec_b64 s[14:15], vcc
	s_xor_b64 s[14:15], exec, s[14:15]
	s_cbranch_execz .LBB234_2616
; %bb.2589:
	v_cmp_lt_i16_e32 vcc, 24, v11
                                        ; implicit-def: $vgpr27
	s_and_saveexec_b64 s[16:17], vcc
	s_xor_b64 s[16:17], exec, s[16:17]
	s_cbranch_execz .LBB234_2605
; %bb.2590:
	flat_load_ubyte v3, v[0:1]
	s_movk_i32 s18, 0x7f
	s_waitcnt vmcnt(0) lgkmcnt(0)
	v_cmp_lt_i16_e32 vcc, s18, v3
	s_mov_b64 s[18:19], 0
	s_and_saveexec_b64 s[20:21], vcc
	s_xor_b64 s[20:21], exec, s[20:21]
	s_cbranch_execz .LBB234_2837
; %bb.2591:
	s_movk_i32 s18, 0x80
	v_cmp_eq_u16_e32 vcc, s18, v3
	s_mov_b64 s[18:19], -1
	s_and_saveexec_b64 s[22:23], vcc
; %bb.2592:
	s_xor_b64 s[18:19], exec, -1
; %bb.2593:
	s_or_b64 exec, exec, s[22:23]
	s_and_b64 s[18:19], s[18:19], exec
	s_or_saveexec_b64 s[20:21], s[20:21]
	v_mov_b32_e32 v2, 0x7f800001
	s_xor_b64 exec, exec, s[20:21]
	s_cbranch_execnz .LBB234_2838
.LBB234_2594:
	s_or_b64 exec, exec, s[20:21]
	s_and_saveexec_b64 s[20:21], s[18:19]
	s_cbranch_execz .LBB234_2596
.LBB234_2595:
	v_lshlrev_b32_e32 v2, 24, v3
	v_and_b32_e32 v3, 0xffff, v3
	v_and_b32_e32 v4, 3, v3
	v_ffbh_u32_e32 v6, v4
	v_min_u32_e32 v6, 32, v6
	v_subrev_u32_e32 v7, 29, v6
	v_bfe_u32 v5, v3, 2, 5
	v_lshlrev_b32_e32 v3, v7, v3
	v_sub_u32_e32 v6, 30, v6
	v_and_b32_e32 v3, 3, v3
	v_cmp_eq_u32_e32 vcc, 0, v5
	v_cndmask_b32_e32 v5, v5, v6, vcc
	v_cndmask_b32_e32 v3, v4, v3, vcc
	v_mov_b32_e32 v4, 0x37800000
	v_lshlrev_b32_e32 v3, 21, v3
	v_and_b32_e32 v2, 0x80000000, v2
	v_lshl_add_u32 v4, v5, 23, v4
	v_or3_b32 v2, v2, v4, v3
.LBB234_2596:
	s_or_b64 exec, exec, s[20:21]
	v_and_b32_e32 v4, 0x7fffffff, v2
	s_mov_b32 s18, 0x47800000
	v_cmp_gt_u32_e32 vcc, s18, v4
                                        ; implicit-def: $vgpr3
	s_and_saveexec_b64 s[18:19], vcc
	s_xor_b64 s[18:19], exec, s[18:19]
	s_cbranch_execz .LBB234_2602
; %bb.2597:
	s_mov_b32 s20, 0x387fffff
	v_cmp_lt_u32_e32 vcc, s20, v4
                                        ; implicit-def: $vgpr3
	s_and_saveexec_b64 s[20:21], vcc
	s_xor_b64 s[20:21], exec, s[20:21]
; %bb.2598:
	v_bfe_u32 v3, v2, 21, 1
	s_mov_b32 s22, 0x80fffff
	v_add3_u32 v3, v2, v3, s22
	v_lshrrev_b32_e32 v3, 21, v3
; %bb.2599:
	s_andn2_saveexec_b64 s[20:21], s[20:21]
; %bb.2600:
	s_mov_b32 s22, 0x43000000
	v_add_f32_e64 v3, |v2|, s22
; %bb.2601:
	s_or_b64 exec, exec, s[20:21]
                                        ; implicit-def: $vgpr4
.LBB234_2602:
	s_andn2_saveexec_b64 s[18:19], s[18:19]
; %bb.2603:
	s_mov_b32 s20, 0x7f800000
	v_mov_b32_e32 v3, 0x7c
	v_mov_b32_e32 v5, 0x7f
	v_cmp_lt_u32_e32 vcc, s20, v4
	v_cndmask_b32_e32 v3, v3, v5, vcc
; %bb.2604:
	s_or_b64 exec, exec, s[18:19]
	v_lshrrev_b32_e32 v2, 24, v2
	s_movk_i32 s18, 0x80
	v_and_or_b32 v27, v2, s18, v3
.LBB234_2605:
	s_andn2_saveexec_b64 s[16:17], s[16:17]
	s_cbranch_execz .LBB234_2615
; %bb.2606:
	flat_load_ubyte v2, v[0:1]
	s_mov_b32 s18, 0x7f800000
	s_brev_b32 s19, 1
	s_waitcnt vmcnt(0) lgkmcnt(0)
	v_lshlrev_b32_e32 v2, 24, v2
	v_and_b32_e32 v3, 0x7f000000, v2
	v_ffbh_u32_e32 v4, v3
	v_min_u32_e32 v4, 32, v4
	v_sub_u32_e64 v4, v4, 4 clamp
	v_lshlrev_b32_e32 v6, v4, v3
	v_lshlrev_b32_e32 v4, 23, v4
	v_lshrrev_b32_e32 v6, 4, v6
	v_add_u32_e32 v5, 0x1000000, v3
	v_sub_u32_e32 v4, v6, v4
	v_ashrrev_i32_e32 v5, 8, v5
	v_add_u32_e32 v4, 0x3c000000, v4
	v_and_or_b32 v4, v5, s18, v4
	v_cmp_ne_u32_e32 vcc, 0, v3
	v_cndmask_b32_e32 v5, 0, v4, vcc
	v_and_or_b32 v2, v2, s19, v5
	v_and_b32_e32 v4, 0x7fffffff, v2
	s_mov_b32 s18, 0x47800000
	v_cmp_gt_u32_e32 vcc, s18, v4
                                        ; implicit-def: $vgpr3
	s_and_saveexec_b64 s[18:19], vcc
	s_xor_b64 s[18:19], exec, s[18:19]
	s_cbranch_execz .LBB234_2612
; %bb.2607:
	s_mov_b32 s20, 0x387fffff
	v_cmp_lt_u32_e32 vcc, s20, v4
                                        ; implicit-def: $vgpr3
	s_and_saveexec_b64 s[20:21], vcc
	s_xor_b64 s[20:21], exec, s[20:21]
; %bb.2608:
	v_bfe_u32 v3, v5, 21, 1
	s_mov_b32 s22, 0x80fffff
	v_add3_u32 v3, v2, v3, s22
	v_lshrrev_b32_e32 v3, 21, v3
; %bb.2609:
	s_andn2_saveexec_b64 s[20:21], s[20:21]
; %bb.2610:
	s_mov_b32 s22, 0x43000000
	v_add_f32_e64 v3, |v2|, s22
; %bb.2611:
	s_or_b64 exec, exec, s[20:21]
                                        ; implicit-def: $vgpr4
.LBB234_2612:
	s_andn2_saveexec_b64 s[18:19], s[18:19]
; %bb.2613:
	s_mov_b32 s20, 0x7f800000
	v_mov_b32_e32 v3, 0x7c
	v_mov_b32_e32 v5, 0x7f
	v_cmp_lt_u32_e32 vcc, s20, v4
	v_cndmask_b32_e32 v3, v3, v5, vcc
; %bb.2614:
	s_or_b64 exec, exec, s[18:19]
	v_lshrrev_b32_e32 v2, 24, v2
	s_movk_i32 s18, 0x80
	v_and_or_b32 v27, v2, s18, v3
.LBB234_2615:
	s_or_b64 exec, exec, s[16:17]
.LBB234_2616:
	s_andn2_saveexec_b64 s[14:15], s[14:15]
	s_cbranch_execz .LBB234_2618
; %bb.2617:
	flat_load_ubyte v27, v[0:1]
.LBB234_2618:
	s_or_b64 exec, exec, s[14:15]
	s_or_b64 s[14:15], s[10:11], exec
                                        ; implicit-def: $vgpr11
.LBB234_2619:
	s_or_saveexec_b64 s[6:7], s[6:7]
	s_mov_b64 s[16:17], 0
	s_mov_b64 s[18:19], s[12:13]
	s_xor_b64 exec, exec, s[6:7]
	s_cbranch_execz .LBB234_2635
; %bb.2620:
	v_cmp_lt_i16_e32 vcc, 14, v11
	s_mov_b64 s[18:19], s[12:13]
	s_mov_b64 s[20:21], s[14:15]
                                        ; implicit-def: $vgpr27
	s_and_saveexec_b64 s[16:17], vcc
	s_xor_b64 s[16:17], exec, s[16:17]
	s_cbranch_execz .LBB234_2632
; %bb.2621:
	v_cmp_eq_u16_e32 vcc, 15, v11
	s_mov_b64 s[22:23], -1
	s_mov_b64 s[20:21], s[14:15]
                                        ; implicit-def: $vgpr27
	s_and_saveexec_b64 s[18:19], vcc
	s_cbranch_execz .LBB234_2631
; %bb.2622:
	flat_load_ushort v2, v[0:1]
	s_mov_b32 s20, 0x47800000
                                        ; implicit-def: $vgpr3
	s_waitcnt vmcnt(0) lgkmcnt(0)
	v_lshlrev_b32_e32 v4, 16, v2
	v_and_b32_e32 v5, 0x7fffffff, v4
	v_cmp_gt_u32_e32 vcc, s20, v5
	s_and_saveexec_b64 s[20:21], vcc
	s_xor_b64 s[20:21], exec, s[20:21]
	s_cbranch_execz .LBB234_2628
; %bb.2623:
	s_mov_b32 s22, 0x387fffff
	v_cmp_lt_u32_e32 vcc, s22, v5
                                        ; implicit-def: $vgpr3
	s_and_saveexec_b64 s[22:23], vcc
	s_xor_b64 s[22:23], exec, s[22:23]
; %bb.2624:
	v_bfe_u32 v3, v2, 5, 1
	s_mov_b32 s24, 0x80fffff
	v_add3_u32 v3, v4, v3, s24
	v_lshrrev_b32_e32 v3, 21, v3
                                        ; implicit-def: $vgpr4
; %bb.2625:
	s_andn2_saveexec_b64 s[22:23], s[22:23]
; %bb.2626:
	s_mov_b32 s24, 0x43000000
	v_add_f32_e64 v3, |v4|, s24
; %bb.2627:
	s_or_b64 exec, exec, s[22:23]
                                        ; implicit-def: $vgpr5
.LBB234_2628:
	s_andn2_saveexec_b64 s[20:21], s[20:21]
; %bb.2629:
	s_mov_b32 s22, 0x7f800000
	v_mov_b32_e32 v3, 0x7c
	v_mov_b32_e32 v4, 0x7f
	v_cmp_lt_u32_e32 vcc, s22, v5
	v_cndmask_b32_e32 v3, v3, v4, vcc
; %bb.2630:
	s_or_b64 exec, exec, s[20:21]
	v_lshrrev_b32_e32 v2, 8, v2
	s_movk_i32 s20, 0x80
	v_and_or_b32 v27, v2, s20, v3
	s_or_b64 s[20:21], s[14:15], exec
	s_xor_b64 s[22:23], exec, -1
.LBB234_2631:
	s_or_b64 exec, exec, s[18:19]
	s_andn2_b64 s[18:19], s[14:15], exec
	s_and_b64 s[20:21], s[20:21], exec
	s_or_b64 s[20:21], s[18:19], s[20:21]
	s_andn2_b64 s[18:19], s[12:13], exec
	s_and_b64 s[22:23], s[22:23], exec
	s_or_b64 s[18:19], s[18:19], s[22:23]
                                        ; implicit-def: $vgpr11
.LBB234_2632:
	s_or_saveexec_b64 s[16:17], s[16:17]
	s_mov_b64 s[22:23], 0
	s_xor_b64 exec, exec, s[16:17]
; %bb.2633:
	v_cmp_ne_u16_e32 vcc, 11, v11
	s_andn2_b64 s[18:19], s[18:19], exec
	s_and_b64 s[24:25], vcc, exec
	s_mov_b64 s[22:23], exec
	s_or_b64 s[18:19], s[18:19], s[24:25]
; %bb.2634:
	s_or_b64 exec, exec, s[16:17]
	s_andn2_b64 s[14:15], s[14:15], exec
	s_and_b64 s[16:17], s[20:21], exec
	s_andn2_b64 s[20:21], s[12:13], exec
	s_and_b64 s[18:19], s[18:19], exec
	s_or_b64 s[14:15], s[14:15], s[16:17]
	s_and_b64 s[16:17], s[22:23], exec
	s_or_b64 s[18:19], s[20:21], s[18:19]
.LBB234_2635:
	s_or_b64 exec, exec, s[6:7]
	s_andn2_b64 s[6:7], s[10:11], exec
	s_and_b64 s[10:11], s[14:15], exec
	s_andn2_b64 s[12:13], s[12:13], exec
	s_and_b64 s[14:15], s[18:19], exec
	s_or_b64 s[10:11], s[6:7], s[10:11]
	s_and_b64 s[6:7], s[16:17], exec
	s_or_b64 s[12:13], s[12:13], s[14:15]
	s_or_b64 exec, exec, s[8:9]
	s_mov_b64 s[8:9], s[56:57]
	s_and_saveexec_b64 s[14:15], s[12:13]
	s_cbranch_execz .LBB234_1749
.LBB234_2636:
	s_trap 2
	s_or_b64 s[8:9], s[56:57], exec
	s_andn2_b64 s[6:7], s[6:7], exec
	s_or_b64 exec, exec, s[14:15]
	s_and_saveexec_b64 s[12:13], s[6:7]
	s_cbranch_execnz .LBB234_1750
	s_branch .LBB234_1759
.LBB234_2637:
	s_or_saveexec_b64 s[20:21], s[20:21]
	v_mov_b32_e32 v3, 0x7f800001
	s_xor_b64 exec, exec, s[20:21]
	s_cbranch_execz .LBB234_2338
.LBB234_2638:
	v_cmp_ne_u16_e32 vcc, 0, v5
	s_andn2_b64 s[18:19], s[18:19], exec
	s_and_b64 s[22:23], vcc, exec
	v_mov_b32_e32 v3, 0
	s_or_b64 s[18:19], s[18:19], s[22:23]
	s_or_b64 exec, exec, s[20:21]
	s_and_saveexec_b64 s[20:21], s[18:19]
	s_cbranch_execnz .LBB234_2339
	s_branch .LBB234_2340
.LBB234_2639:
	s_andn2_saveexec_b64 s[24:25], s[4:5]
	s_cbranch_execz .LBB234_58
.LBB234_2640:
	v_add_f32_e32 v2, 0x42800000, v3
	v_and_b32_e32 v2, 0xff, v2
	v_cmp_ne_u32_e64 s[4:5], 0, v2
	s_andn2_b64 s[22:23], s[22:23], exec
	s_and_b64 s[4:5], s[4:5], exec
	s_or_b64 s[22:23], s[22:23], s[4:5]
	s_or_b64 exec, exec, s[24:25]
	v_mov_b32_e32 v4, 0
	s_and_saveexec_b64 s[4:5], s[22:23]
	s_cbranch_execnz .LBB234_59
	s_branch .LBB234_60
.LBB234_2641:
	s_andn2_saveexec_b64 s[22:23], s[4:5]
	s_cbranch_execz .LBB234_144
.LBB234_2642:
	v_add_f32_e32 v2, 0x46000000, v3
	v_and_b32_e32 v2, 0xff, v2
	v_cmp_ne_u32_e64 s[4:5], 0, v2
	s_andn2_b64 s[20:21], s[20:21], exec
	s_and_b64 s[4:5], s[4:5], exec
	s_or_b64 s[20:21], s[20:21], s[4:5]
	s_or_b64 exec, exec, s[22:23]
	v_mov_b32_e32 v4, 0
	s_and_saveexec_b64 s[4:5], s[20:21]
	s_cbranch_execnz .LBB234_145
	s_branch .LBB234_146
.LBB234_2643:
	s_or_saveexec_b64 s[20:21], s[20:21]
	v_mov_b32_e32 v5, 0x7f800001
	s_xor_b64 exec, exec, s[20:21]
	s_cbranch_execz .LBB234_1283
.LBB234_2644:
	v_cmp_ne_u16_e32 vcc, 0, v6
	s_andn2_b64 s[18:19], s[18:19], exec
	s_and_b64 s[22:23], vcc, exec
	v_mov_b32_e32 v5, 0
	s_or_b64 s[18:19], s[18:19], s[22:23]
	s_or_b64 exec, exec, s[20:21]
	s_and_saveexec_b64 s[20:21], s[18:19]
	s_cbranch_execnz .LBB234_1284
	s_branch .LBB234_1285
.LBB234_2645:
	s_andn2_saveexec_b64 s[18:19], s[18:19]
	s_cbranch_execz .LBB234_1928
.LBB234_2646:
	v_cmp_lt_i16_e64 s[6:7], 22, v2
	s_mov_b64 s[20:21], s[8:9]
	s_and_saveexec_b64 s[16:17], s[6:7]
	s_xor_b64 s[16:17], exec, s[16:17]
	s_cbranch_execz .LBB234_2678
; %bb.2647:
	v_cmp_lt_i16_e64 s[6:7], 23, v2
	s_and_saveexec_b64 s[20:21], s[6:7]
	s_xor_b64 s[20:21], exec, s[20:21]
	s_cbranch_execz .LBB234_2667
; %bb.2648:
	v_cmp_lt_i16_e64 s[6:7], 24, v2
	s_and_saveexec_b64 s[22:23], s[6:7]
	s_xor_b64 s[22:23], exec, s[22:23]
	s_cbranch_execz .LBB234_2656
; %bb.2649:
	v_cndmask_b32_e64 v3, 0, 1.0, s[4:5]
	s_mov_b32 s6, 0x47800000
	v_cmp_gt_u32_e64 s[6:7], s6, v3
	v_mov_b32_e32 v4, 0x80
	s_and_saveexec_b64 s[24:25], s[6:7]
	s_cbranch_execz .LBB234_2655
; %bb.2650:
	s_mov_b32 s6, 0x37ffffff
	v_cmp_lt_u32_e64 s[6:7], s6, v3
	s_mov_b64 s[26:27], 0
                                        ; implicit-def: $vgpr2
	s_and_saveexec_b64 s[28:29], s[6:7]
	s_xor_b64 s[6:7], exec, s[28:29]
	s_cbranch_execz .LBB234_2843
; %bb.2651:
	v_bfe_u32 v2, v3, 21, 1
	s_mov_b32 s28, 0x88fffff
	v_add3_u32 v2, v3, v2, s28
	s_mov_b64 s[26:27], exec
	v_lshrrev_b32_e32 v2, 21, v2
                                        ; implicit-def: $vgpr3
	s_andn2_saveexec_b64 s[28:29], s[6:7]
	s_cbranch_execnz .LBB234_2844
.LBB234_2652:
	s_or_b64 exec, exec, s[28:29]
	v_mov_b32_e32 v4, 0
	s_and_saveexec_b64 s[6:7], s[26:27]
.LBB234_2653:
	v_mov_b32_e32 v4, v2
.LBB234_2654:
	s_or_b64 exec, exec, s[6:7]
.LBB234_2655:
	s_or_b64 exec, exec, s[24:25]
	flat_store_byte v[0:1], v4
.LBB234_2656:
	s_andn2_saveexec_b64 s[22:23], s[22:23]
	s_cbranch_execz .LBB234_2666
; %bb.2657:
	v_cndmask_b32_e64 v2, 0, 1.0, s[4:5]
	s_mov_b32 s6, 0x43f00000
	v_cmp_gt_u32_e64 s[6:7], s6, v2
                                        ; implicit-def: $vgpr3
	s_and_saveexec_b64 s[24:25], s[6:7]
	s_xor_b64 s[24:25], exec, s[24:25]
	s_cbranch_execz .LBB234_2663
; %bb.2658:
	s_mov_b32 s6, 0x3c7fffff
	v_cmp_lt_u32_e64 s[6:7], s6, v2
                                        ; implicit-def: $vgpr3
	s_and_saveexec_b64 s[26:27], s[6:7]
	s_xor_b64 s[26:27], exec, s[26:27]
; %bb.2659:
	v_bfe_u32 v3, v2, 20, 1
	s_mov_b32 s6, 0x407ffff
	v_add3_u32 v2, v2, v3, s6
	v_lshrrev_b32_e32 v3, 20, v2
	v_and_b32_e32 v2, 0xff00000, v2
	s_mov_b32 s6, 0x7f00000
	v_mov_b32_e32 v4, 0x7e
	v_cmp_ne_u32_e64 s[6:7], s6, v2
	v_cndmask_b32_e64 v3, v4, v3, s[6:7]
                                        ; implicit-def: $vgpr2
; %bb.2660:
	s_andn2_saveexec_b64 s[6:7], s[26:27]
; %bb.2661:
	v_add_f32_e32 v3, 0x46800000, v2
; %bb.2662:
	s_or_b64 exec, exec, s[6:7]
                                        ; implicit-def: $vgpr2
.LBB234_2663:
	s_andn2_saveexec_b64 s[24:25], s[24:25]
; %bb.2664:
	s_mov_b32 s6, 0x7f800000
	v_mov_b32_e32 v3, 0x7e
	v_mov_b32_e32 v4, 0x7f
	v_cmp_lt_u32_e64 s[6:7], s6, v2
	v_cndmask_b32_e64 v3, v3, v4, s[6:7]
; %bb.2665:
	s_or_b64 exec, exec, s[24:25]
	flat_store_byte v[0:1], v3
.LBB234_2666:
	s_or_b64 exec, exec, s[22:23]
.LBB234_2667:
	s_andn2_saveexec_b64 s[20:21], s[20:21]
	s_cbranch_execz .LBB234_2677
; %bb.2668:
	v_cndmask_b32_e64 v2, 0, 1.0, s[4:5]
	s_mov_b32 s6, 0x47800000
	v_cmp_gt_u32_e64 s[6:7], s6, v2
                                        ; implicit-def: $vgpr3
	s_and_saveexec_b64 s[22:23], s[6:7]
	s_xor_b64 s[22:23], exec, s[22:23]
	s_cbranch_execz .LBB234_2674
; %bb.2669:
	s_mov_b32 s6, 0x387fffff
	v_cmp_lt_u32_e64 s[6:7], s6, v2
                                        ; implicit-def: $vgpr3
	s_and_saveexec_b64 s[24:25], s[6:7]
	s_xor_b64 s[6:7], exec, s[24:25]
; %bb.2670:
	v_bfe_u32 v3, v2, 21, 1
	s_mov_b32 s24, 0x80fffff
	v_add3_u32 v2, v2, v3, s24
	v_lshrrev_b32_e32 v3, 21, v2
                                        ; implicit-def: $vgpr2
; %bb.2671:
	s_andn2_saveexec_b64 s[6:7], s[6:7]
; %bb.2672:
	v_add_f32_e32 v3, 0x43000000, v2
; %bb.2673:
	s_or_b64 exec, exec, s[6:7]
                                        ; implicit-def: $vgpr2
.LBB234_2674:
	s_andn2_saveexec_b64 s[22:23], s[22:23]
; %bb.2675:
	s_mov_b32 s6, 0x7f800000
	v_mov_b32_e32 v3, 0x7c
	v_mov_b32_e32 v4, 0x7f
	v_cmp_lt_u32_e64 s[6:7], s6, v2
	v_cndmask_b32_e64 v3, v3, v4, s[6:7]
; %bb.2676:
	s_or_b64 exec, exec, s[22:23]
	flat_store_byte v[0:1], v3
.LBB234_2677:
	s_or_b64 exec, exec, s[20:21]
	s_or_b64 s[20:21], s[8:9], exec
                                        ; implicit-def: $vgpr2
.LBB234_2678:
	s_or_saveexec_b64 s[16:17], s[16:17]
	s_mov_b64 s[6:7], 0
	s_mov_b64 s[22:23], s[12:13]
	s_xor_b64 exec, exec, s[16:17]
	s_cbranch_execz .LBB234_2686
; %bb.2679:
	v_cmp_lt_i16_e64 s[6:7], 14, v2
	s_mov_b64 s[22:23], s[12:13]
	s_mov_b64 s[24:25], s[20:21]
	s_and_saveexec_b64 s[26:27], s[6:7]
	s_xor_b64 s[26:27], exec, s[26:27]
	s_cbranch_execz .LBB234_2683
; %bb.2680:
	v_cmp_eq_u16_e64 s[6:7], 15, v2
	s_mov_b64 s[22:23], -1
	s_mov_b64 s[28:29], s[20:21]
	s_and_saveexec_b64 s[24:25], s[6:7]
	s_cbranch_execz .LBB234_2682
; %bb.2681:
	v_cndmask_b32_e64 v2, 0, 1.0, s[4:5]
	v_bfe_u32 v3, v2, 16, 1
	s_movk_i32 s6, 0x7fff
	v_add3_u32 v2, v2, v3, s6
	flat_store_short_d16_hi v[0:1], v2
	s_or_b64 s[28:29], s[20:21], exec
	s_xor_b64 s[22:23], exec, -1
.LBB234_2682:
	s_or_b64 exec, exec, s[24:25]
	s_andn2_b64 s[6:7], s[20:21], exec
	s_and_b64 s[24:25], s[28:29], exec
	s_or_b64 s[24:25], s[6:7], s[24:25]
	s_andn2_b64 s[6:7], s[12:13], exec
	s_and_b64 s[22:23], s[22:23], exec
	s_or_b64 s[22:23], s[6:7], s[22:23]
                                        ; implicit-def: $vgpr2
.LBB234_2683:
	s_or_saveexec_b64 s[26:27], s[26:27]
	s_mov_b64 s[28:29], 0
	s_xor_b64 exec, exec, s[26:27]
; %bb.2684:
	v_cmp_ne_u16_e64 s[6:7], 11, v2
	s_andn2_b64 s[22:23], s[22:23], exec
	s_and_b64 s[6:7], s[6:7], exec
	s_mov_b64 s[28:29], exec
	s_or_b64 s[22:23], s[22:23], s[6:7]
; %bb.2685:
	s_or_b64 exec, exec, s[26:27]
	s_andn2_b64 s[6:7], s[20:21], exec
	s_and_b64 s[20:21], s[24:25], exec
	s_andn2_b64 s[24:25], s[12:13], exec
	s_and_b64 s[22:23], s[22:23], exec
	s_or_b64 s[20:21], s[6:7], s[20:21]
	s_and_b64 s[6:7], s[28:29], exec
	s_or_b64 s[22:23], s[24:25], s[22:23]
.LBB234_2686:
	s_or_b64 exec, exec, s[16:17]
	s_andn2_b64 s[8:9], s[8:9], exec
	s_and_b64 s[16:17], s[20:21], exec
	s_or_b64 s[8:9], s[8:9], s[16:17]
	s_and_b64 s[16:17], s[6:7], exec
	s_andn2_b64 s[6:7], s[12:13], exec
	s_and_b64 s[12:13], s[22:23], exec
	s_or_b64 s[12:13], s[6:7], s[12:13]
	s_or_b64 exec, exec, s[18:19]
	s_mov_b64 s[6:7], s[60:61]
	s_and_saveexec_b64 s[18:19], s[12:13]
	s_cbranch_execz .LBB234_1929
.LBB234_2687:
	s_trap 2
	s_or_b64 s[6:7], s[60:61], exec
	s_andn2_b64 s[16:17], s[16:17], exec
	s_or_b64 exec, exec, s[18:19]
	s_and_saveexec_b64 s[12:13], s[16:17]
	s_xor_b64 s[12:13], exec, s[12:13]
	s_cbranch_execnz .LBB234_1930
	s_branch .LBB234_1931
.LBB234_2688:
	s_or_saveexec_b64 s[20:21], s[20:21]
	v_mov_b32_e32 v3, 0x7f800001
	s_xor_b64 exec, exec, s[20:21]
	s_cbranch_execz .LBB234_2431
.LBB234_2689:
	v_cmp_ne_u16_e32 vcc, 0, v7
	s_andn2_b64 s[18:19], s[18:19], exec
	s_and_b64 s[22:23], vcc, exec
	v_mov_b32_e32 v3, 0
	s_or_b64 s[18:19], s[18:19], s[22:23]
	s_or_b64 exec, exec, s[20:21]
	s_and_saveexec_b64 s[20:21], s[18:19]
	s_cbranch_execnz .LBB234_2432
	s_branch .LBB234_2433
.LBB234_2690:
	s_andn2_saveexec_b64 s[24:25], s[4:5]
	s_cbranch_execz .LBB234_157
.LBB234_2691:
	v_add_f32_e32 v2, 0x42800000, v3
	v_and_b32_e32 v2, 0xff, v2
	v_cmp_ne_u32_e64 s[4:5], 0, v2
	s_andn2_b64 s[22:23], s[22:23], exec
	s_and_b64 s[4:5], s[4:5], exec
	s_or_b64 s[22:23], s[22:23], s[4:5]
	s_or_b64 exec, exec, s[24:25]
	v_mov_b32_e32 v4, 0
	s_and_saveexec_b64 s[4:5], s[22:23]
	s_cbranch_execnz .LBB234_158
	s_branch .LBB234_159
.LBB234_2692:
	s_andn2_saveexec_b64 s[22:23], s[4:5]
	s_cbranch_execz .LBB234_243
.LBB234_2693:
	v_add_f32_e32 v2, 0x46000000, v3
	v_and_b32_e32 v2, 0xff, v2
	v_cmp_ne_u32_e64 s[4:5], 0, v2
	s_andn2_b64 s[20:21], s[20:21], exec
	s_and_b64 s[4:5], s[4:5], exec
	s_or_b64 s[20:21], s[20:21], s[4:5]
	s_or_b64 exec, exec, s[22:23]
	v_mov_b32_e32 v4, 0
	s_and_saveexec_b64 s[4:5], s[20:21]
	s_cbranch_execnz .LBB234_244
	s_branch .LBB234_245
.LBB234_2694:
	s_or_saveexec_b64 s[20:21], s[20:21]
	v_mov_b32_e32 v3, 0x7f800001
	s_xor_b64 exec, exec, s[20:21]
	s_cbranch_execz .LBB234_1509
.LBB234_2695:
	v_cmp_ne_u16_e32 vcc, 0, v4
	s_andn2_b64 s[18:19], s[18:19], exec
	s_and_b64 s[22:23], vcc, exec
	v_mov_b32_e32 v3, 0
	s_or_b64 s[18:19], s[18:19], s[22:23]
	s_or_b64 exec, exec, s[20:21]
	s_and_saveexec_b64 s[20:21], s[18:19]
	s_cbranch_execnz .LBB234_1510
	s_branch .LBB234_1511
.LBB234_2696:
	s_andn2_saveexec_b64 s[22:23], s[22:23]
	s_cbranch_execz .LBB234_2012
.LBB234_2697:
	v_cmp_lt_i16_e64 s[6:7], 22, v2
	s_mov_b64 s[24:25], s[18:19]
	s_and_saveexec_b64 s[20:21], s[6:7]
	s_xor_b64 s[20:21], exec, s[20:21]
	s_cbranch_execz .LBB234_2729
; %bb.2698:
	v_cmp_lt_i16_e64 s[6:7], 23, v2
	s_and_saveexec_b64 s[24:25], s[6:7]
	s_xor_b64 s[24:25], exec, s[24:25]
	s_cbranch_execz .LBB234_2718
; %bb.2699:
	v_cmp_lt_i16_e64 s[6:7], 24, v2
	s_and_saveexec_b64 s[26:27], s[6:7]
	s_xor_b64 s[26:27], exec, s[26:27]
	s_cbranch_execz .LBB234_2707
; %bb.2700:
	v_cndmask_b32_e64 v3, 0, 1.0, s[4:5]
	s_mov_b32 s6, 0x47800000
	v_cmp_gt_u32_e64 s[6:7], s6, v3
	v_mov_b32_e32 v4, 0x80
	s_and_saveexec_b64 s[28:29], s[6:7]
	s_cbranch_execz .LBB234_2706
; %bb.2701:
	s_mov_b32 s6, 0x37ffffff
	v_cmp_lt_u32_e64 s[6:7], s6, v3
	s_mov_b64 s[30:31], 0
                                        ; implicit-def: $vgpr2
	s_and_saveexec_b64 s[40:41], s[6:7]
	s_xor_b64 s[6:7], exec, s[40:41]
	s_cbranch_execz .LBB234_2847
; %bb.2702:
	v_bfe_u32 v2, v3, 21, 1
	s_mov_b32 s33, 0x88fffff
	v_add3_u32 v2, v3, v2, s33
	s_mov_b64 s[30:31], exec
	v_lshrrev_b32_e32 v2, 21, v2
                                        ; implicit-def: $vgpr3
	s_andn2_saveexec_b64 s[40:41], s[6:7]
	s_cbranch_execnz .LBB234_2848
.LBB234_2703:
	s_or_b64 exec, exec, s[40:41]
	v_mov_b32_e32 v4, 0
	s_and_saveexec_b64 s[6:7], s[30:31]
.LBB234_2704:
	v_mov_b32_e32 v4, v2
.LBB234_2705:
	s_or_b64 exec, exec, s[6:7]
.LBB234_2706:
	s_or_b64 exec, exec, s[28:29]
	flat_store_byte v[0:1], v4
.LBB234_2707:
	s_andn2_saveexec_b64 s[26:27], s[26:27]
	s_cbranch_execz .LBB234_2717
; %bb.2708:
	v_cndmask_b32_e64 v2, 0, 1.0, s[4:5]
	s_mov_b32 s6, 0x43f00000
	v_cmp_gt_u32_e64 s[6:7], s6, v2
                                        ; implicit-def: $vgpr3
	s_and_saveexec_b64 s[28:29], s[6:7]
	s_xor_b64 s[28:29], exec, s[28:29]
	s_cbranch_execz .LBB234_2714
; %bb.2709:
	s_mov_b32 s6, 0x3c7fffff
	v_cmp_lt_u32_e64 s[6:7], s6, v2
                                        ; implicit-def: $vgpr3
	s_and_saveexec_b64 s[30:31], s[6:7]
	s_xor_b64 s[30:31], exec, s[30:31]
; %bb.2710:
	v_bfe_u32 v3, v2, 20, 1
	s_mov_b32 s6, 0x407ffff
	v_add3_u32 v2, v2, v3, s6
	v_lshrrev_b32_e32 v3, 20, v2
	v_and_b32_e32 v2, 0xff00000, v2
	s_mov_b32 s6, 0x7f00000
	v_mov_b32_e32 v4, 0x7e
	v_cmp_ne_u32_e64 s[6:7], s6, v2
	v_cndmask_b32_e64 v3, v4, v3, s[6:7]
                                        ; implicit-def: $vgpr2
; %bb.2711:
	s_andn2_saveexec_b64 s[6:7], s[30:31]
; %bb.2712:
	v_add_f32_e32 v3, 0x46800000, v2
; %bb.2713:
	s_or_b64 exec, exec, s[6:7]
                                        ; implicit-def: $vgpr2
.LBB234_2714:
	s_andn2_saveexec_b64 s[28:29], s[28:29]
; %bb.2715:
	s_mov_b32 s6, 0x7f800000
	v_mov_b32_e32 v3, 0x7e
	v_mov_b32_e32 v4, 0x7f
	v_cmp_lt_u32_e64 s[6:7], s6, v2
	v_cndmask_b32_e64 v3, v3, v4, s[6:7]
; %bb.2716:
	s_or_b64 exec, exec, s[28:29]
	flat_store_byte v[0:1], v3
.LBB234_2717:
	s_or_b64 exec, exec, s[26:27]
.LBB234_2718:
	s_andn2_saveexec_b64 s[24:25], s[24:25]
	s_cbranch_execz .LBB234_2728
; %bb.2719:
	v_cndmask_b32_e64 v2, 0, 1.0, s[4:5]
	s_mov_b32 s6, 0x47800000
	v_cmp_gt_u32_e64 s[6:7], s6, v2
                                        ; implicit-def: $vgpr3
	s_and_saveexec_b64 s[26:27], s[6:7]
	s_xor_b64 s[26:27], exec, s[26:27]
	s_cbranch_execz .LBB234_2725
; %bb.2720:
	s_mov_b32 s6, 0x387fffff
	v_cmp_lt_u32_e64 s[6:7], s6, v2
                                        ; implicit-def: $vgpr3
	s_and_saveexec_b64 s[28:29], s[6:7]
	s_xor_b64 s[6:7], exec, s[28:29]
; %bb.2721:
	v_bfe_u32 v3, v2, 21, 1
	s_mov_b32 s28, 0x80fffff
	v_add3_u32 v2, v2, v3, s28
	v_lshrrev_b32_e32 v3, 21, v2
                                        ; implicit-def: $vgpr2
; %bb.2722:
	s_andn2_saveexec_b64 s[6:7], s[6:7]
; %bb.2723:
	v_add_f32_e32 v3, 0x43000000, v2
; %bb.2724:
	s_or_b64 exec, exec, s[6:7]
                                        ; implicit-def: $vgpr2
.LBB234_2725:
	s_andn2_saveexec_b64 s[26:27], s[26:27]
; %bb.2726:
	s_mov_b32 s6, 0x7f800000
	v_mov_b32_e32 v3, 0x7c
	v_mov_b32_e32 v4, 0x7f
	v_cmp_lt_u32_e64 s[6:7], s6, v2
	v_cndmask_b32_e64 v3, v3, v4, s[6:7]
; %bb.2727:
	s_or_b64 exec, exec, s[26:27]
	flat_store_byte v[0:1], v3
.LBB234_2728:
	s_or_b64 exec, exec, s[24:25]
	s_or_b64 s[24:25], s[18:19], exec
                                        ; implicit-def: $vgpr2
.LBB234_2729:
	s_or_saveexec_b64 s[20:21], s[20:21]
	s_mov_b64 s[6:7], 0
	s_mov_b64 s[26:27], s[8:9]
	s_xor_b64 exec, exec, s[20:21]
	s_cbranch_execz .LBB234_2737
; %bb.2730:
	v_cmp_lt_i16_e64 s[6:7], 14, v2
	s_mov_b64 s[26:27], s[8:9]
	s_mov_b64 s[28:29], s[24:25]
	s_and_saveexec_b64 s[30:31], s[6:7]
	s_xor_b64 s[30:31], exec, s[30:31]
	s_cbranch_execz .LBB234_2734
; %bb.2731:
	v_cmp_eq_u16_e64 s[6:7], 15, v2
	s_mov_b64 s[26:27], -1
	s_mov_b64 s[40:41], s[24:25]
	s_and_saveexec_b64 s[28:29], s[6:7]
	s_cbranch_execz .LBB234_2733
; %bb.2732:
	v_cndmask_b32_e64 v2, 0, 1.0, s[4:5]
	v_bfe_u32 v3, v2, 16, 1
	s_movk_i32 s6, 0x7fff
	v_add3_u32 v2, v2, v3, s6
	flat_store_short_d16_hi v[0:1], v2
	s_or_b64 s[40:41], s[24:25], exec
	s_xor_b64 s[26:27], exec, -1
.LBB234_2733:
	s_or_b64 exec, exec, s[28:29]
	s_andn2_b64 s[6:7], s[24:25], exec
	s_and_b64 s[28:29], s[40:41], exec
	s_or_b64 s[28:29], s[6:7], s[28:29]
	s_andn2_b64 s[6:7], s[8:9], exec
	s_and_b64 s[26:27], s[26:27], exec
	s_or_b64 s[26:27], s[6:7], s[26:27]
                                        ; implicit-def: $vgpr2
.LBB234_2734:
	s_or_saveexec_b64 s[30:31], s[30:31]
	s_mov_b64 s[40:41], 0
	s_xor_b64 exec, exec, s[30:31]
; %bb.2735:
	v_cmp_ne_u16_e64 s[6:7], 11, v2
	s_andn2_b64 s[26:27], s[26:27], exec
	s_and_b64 s[6:7], s[6:7], exec
	s_mov_b64 s[40:41], exec
	s_or_b64 s[26:27], s[26:27], s[6:7]
; %bb.2736:
	s_or_b64 exec, exec, s[30:31]
	s_andn2_b64 s[6:7], s[24:25], exec
	s_and_b64 s[24:25], s[28:29], exec
	s_andn2_b64 s[28:29], s[8:9], exec
	s_and_b64 s[26:27], s[26:27], exec
	s_or_b64 s[24:25], s[6:7], s[24:25]
	s_and_b64 s[6:7], s[40:41], exec
	s_or_b64 s[26:27], s[28:29], s[26:27]
.LBB234_2737:
	s_or_b64 exec, exec, s[20:21]
	s_andn2_b64 s[18:19], s[18:19], exec
	s_and_b64 s[20:21], s[24:25], exec
	s_or_b64 s[18:19], s[18:19], s[20:21]
	s_and_b64 s[20:21], s[6:7], exec
	s_andn2_b64 s[6:7], s[8:9], exec
	s_and_b64 s[8:9], s[26:27], exec
	s_or_b64 s[8:9], s[6:7], s[8:9]
	s_or_b64 exec, exec, s[22:23]
	s_mov_b64 s[6:7], s[12:13]
	s_and_saveexec_b64 s[22:23], s[8:9]
	s_cbranch_execz .LBB234_2013
.LBB234_2738:
	s_trap 2
	s_or_b64 s[6:7], s[12:13], exec
	s_andn2_b64 s[20:21], s[20:21], exec
	s_or_b64 exec, exec, s[22:23]
	s_and_saveexec_b64 s[8:9], s[20:21]
	s_xor_b64 s[8:9], exec, s[8:9]
	s_cbranch_execnz .LBB234_2014
	s_branch .LBB234_2015
.LBB234_2739:
	s_or_saveexec_b64 s[20:21], s[20:21]
	v_mov_b32_e32 v5, 0x7f800001
	s_xor_b64 exec, exec, s[20:21]
	s_cbranch_execz .LBB234_2484
.LBB234_2740:
	v_cmp_ne_u16_e32 vcc, 0, v6
	s_andn2_b64 s[18:19], s[18:19], exec
	s_and_b64 s[22:23], vcc, exec
	v_mov_b32_e32 v5, 0
	s_or_b64 s[18:19], s[18:19], s[22:23]
	s_or_b64 exec, exec, s[20:21]
	s_and_saveexec_b64 s[20:21], s[18:19]
	s_cbranch_execnz .LBB234_2485
	s_branch .LBB234_2486
.LBB234_2741:
	s_andn2_saveexec_b64 s[24:25], s[4:5]
	s_cbranch_execz .LBB234_256
.LBB234_2742:
	v_add_f32_e32 v2, 0x42800000, v3
	v_and_b32_e32 v2, 0xff, v2
	v_cmp_ne_u32_e64 s[4:5], 0, v2
	s_andn2_b64 s[22:23], s[22:23], exec
	s_and_b64 s[4:5], s[4:5], exec
	s_or_b64 s[22:23], s[22:23], s[4:5]
	s_or_b64 exec, exec, s[24:25]
	v_mov_b32_e32 v4, 0
	s_and_saveexec_b64 s[4:5], s[22:23]
	s_cbranch_execnz .LBB234_257
	s_branch .LBB234_258
.LBB234_2743:
	s_andn2_saveexec_b64 s[24:25], s[24:25]
	s_cbranch_execz .LBB234_342
.LBB234_2744:
	v_add_f32_e32 v2, 0x46000000, v3
	v_and_b32_e32 v2, 0xff, v2
	v_cmp_ne_u32_e32 vcc, 0, v2
	s_andn2_b64 s[22:23], s[22:23], exec
	s_and_b64 s[26:27], vcc, exec
	s_or_b64 s[22:23], s[22:23], s[26:27]
	s_or_b64 exec, exec, s[24:25]
	v_mov_b32_e32 v5, 0
	s_and_saveexec_b64 s[24:25], s[22:23]
	s_cbranch_execnz .LBB234_343
	s_branch .LBB234_344
.LBB234_2745:
	s_or_saveexec_b64 s[20:21], s[20:21]
	v_mov_b32_e32 v2, 0x7f800001
	s_xor_b64 exec, exec, s[20:21]
	s_cbranch_execz .LBB234_1735
.LBB234_2746:
	v_cmp_ne_u16_e32 vcc, 0, v3
	s_andn2_b64 s[18:19], s[18:19], exec
	s_and_b64 s[22:23], vcc, exec
	v_mov_b32_e32 v2, 0
	s_or_b64 s[18:19], s[18:19], s[22:23]
	s_or_b64 exec, exec, s[20:21]
	s_and_saveexec_b64 s[20:21], s[18:19]
	s_cbranch_execnz .LBB234_1736
	s_branch .LBB234_1737
.LBB234_2747:
	s_andn2_saveexec_b64 s[24:25], s[24:25]
	s_cbranch_execz .LBB234_2096
.LBB234_2748:
	v_cmp_lt_i16_e64 s[4:5], 22, v2
	s_mov_b64 s[26:27], s[20:21]
	s_and_saveexec_b64 s[22:23], s[4:5]
	s_xor_b64 s[22:23], exec, s[22:23]
	s_cbranch_execz .LBB234_2780
; %bb.2749:
	v_cmp_lt_i16_e64 s[4:5], 23, v2
	s_and_saveexec_b64 s[26:27], s[4:5]
	s_xor_b64 s[26:27], exec, s[26:27]
	s_cbranch_execz .LBB234_2769
; %bb.2750:
	v_cmp_lt_i16_e64 s[4:5], 24, v2
	s_and_saveexec_b64 s[28:29], s[4:5]
	s_xor_b64 s[28:29], exec, s[28:29]
	s_cbranch_execz .LBB234_2758
; %bb.2751:
	v_cndmask_b32_e64 v3, 0, 1.0, vcc
	s_mov_b32 s4, 0x47800000
	v_cmp_gt_u32_e64 s[4:5], s4, v3
	v_mov_b32_e32 v4, 0x80
	s_and_saveexec_b64 s[30:31], s[4:5]
	s_cbranch_execz .LBB234_2757
; %bb.2752:
	s_mov_b32 s4, 0x37ffffff
	v_cmp_lt_u32_e64 s[4:5], s4, v3
	s_mov_b64 s[40:41], 0
                                        ; implicit-def: $vgpr2
	s_and_saveexec_b64 s[64:65], s[4:5]
	s_xor_b64 s[4:5], exec, s[64:65]
	s_cbranch_execz .LBB234_2851
; %bb.2753:
	v_bfe_u32 v2, v3, 21, 1
	s_mov_b32 s33, 0x88fffff
	v_add3_u32 v2, v3, v2, s33
	s_mov_b64 s[40:41], exec
	v_lshrrev_b32_e32 v2, 21, v2
                                        ; implicit-def: $vgpr3
	s_andn2_saveexec_b64 s[64:65], s[4:5]
	s_cbranch_execnz .LBB234_2852
.LBB234_2754:
	s_or_b64 exec, exec, s[64:65]
	v_mov_b32_e32 v4, 0
	s_and_saveexec_b64 s[4:5], s[40:41]
.LBB234_2755:
	v_mov_b32_e32 v4, v2
.LBB234_2756:
	s_or_b64 exec, exec, s[4:5]
.LBB234_2757:
	s_or_b64 exec, exec, s[30:31]
	flat_store_byte v[0:1], v4
.LBB234_2758:
	s_andn2_saveexec_b64 s[28:29], s[28:29]
	s_cbranch_execz .LBB234_2768
; %bb.2759:
	v_cndmask_b32_e64 v2, 0, 1.0, vcc
	s_mov_b32 s4, 0x43f00000
	v_cmp_gt_u32_e64 s[4:5], s4, v2
                                        ; implicit-def: $vgpr3
	s_and_saveexec_b64 s[30:31], s[4:5]
	s_xor_b64 s[30:31], exec, s[30:31]
	s_cbranch_execz .LBB234_2765
; %bb.2760:
	s_mov_b32 s4, 0x3c7fffff
	v_cmp_lt_u32_e64 s[4:5], s4, v2
                                        ; implicit-def: $vgpr3
	s_and_saveexec_b64 s[40:41], s[4:5]
	s_xor_b64 s[40:41], exec, s[40:41]
; %bb.2761:
	v_bfe_u32 v3, v2, 20, 1
	s_mov_b32 s4, 0x407ffff
	v_add3_u32 v2, v2, v3, s4
	v_lshrrev_b32_e32 v3, 20, v2
	v_and_b32_e32 v2, 0xff00000, v2
	s_mov_b32 s4, 0x7f00000
	v_mov_b32_e32 v4, 0x7e
	v_cmp_ne_u32_e64 s[4:5], s4, v2
	v_cndmask_b32_e64 v3, v4, v3, s[4:5]
                                        ; implicit-def: $vgpr2
; %bb.2762:
	s_andn2_saveexec_b64 s[4:5], s[40:41]
; %bb.2763:
	v_add_f32_e32 v3, 0x46800000, v2
; %bb.2764:
	s_or_b64 exec, exec, s[4:5]
                                        ; implicit-def: $vgpr2
.LBB234_2765:
	s_andn2_saveexec_b64 s[30:31], s[30:31]
; %bb.2766:
	s_mov_b32 s4, 0x7f800000
	v_mov_b32_e32 v3, 0x7e
	v_mov_b32_e32 v4, 0x7f
	v_cmp_lt_u32_e64 s[4:5], s4, v2
	v_cndmask_b32_e64 v3, v3, v4, s[4:5]
; %bb.2767:
	s_or_b64 exec, exec, s[30:31]
	flat_store_byte v[0:1], v3
.LBB234_2768:
	s_or_b64 exec, exec, s[28:29]
.LBB234_2769:
	s_andn2_saveexec_b64 s[26:27], s[26:27]
	s_cbranch_execz .LBB234_2779
; %bb.2770:
	v_cndmask_b32_e64 v2, 0, 1.0, vcc
	s_mov_b32 s4, 0x47800000
	v_cmp_gt_u32_e64 s[4:5], s4, v2
                                        ; implicit-def: $vgpr3
	s_and_saveexec_b64 s[28:29], s[4:5]
	s_xor_b64 s[28:29], exec, s[28:29]
	s_cbranch_execz .LBB234_2776
; %bb.2771:
	s_mov_b32 s4, 0x387fffff
	v_cmp_lt_u32_e64 s[4:5], s4, v2
                                        ; implicit-def: $vgpr3
	s_and_saveexec_b64 s[30:31], s[4:5]
	s_xor_b64 s[4:5], exec, s[30:31]
; %bb.2772:
	v_bfe_u32 v3, v2, 21, 1
	s_mov_b32 s30, 0x80fffff
	v_add3_u32 v2, v2, v3, s30
	v_lshrrev_b32_e32 v3, 21, v2
                                        ; implicit-def: $vgpr2
; %bb.2773:
	s_andn2_saveexec_b64 s[4:5], s[4:5]
; %bb.2774:
	v_add_f32_e32 v3, 0x43000000, v2
; %bb.2775:
	s_or_b64 exec, exec, s[4:5]
                                        ; implicit-def: $vgpr2
.LBB234_2776:
	s_andn2_saveexec_b64 s[28:29], s[28:29]
; %bb.2777:
	s_mov_b32 s4, 0x7f800000
	v_mov_b32_e32 v3, 0x7c
	v_mov_b32_e32 v4, 0x7f
	v_cmp_lt_u32_e64 s[4:5], s4, v2
	v_cndmask_b32_e64 v3, v3, v4, s[4:5]
; %bb.2778:
	s_or_b64 exec, exec, s[28:29]
	flat_store_byte v[0:1], v3
.LBB234_2779:
	s_or_b64 exec, exec, s[26:27]
	s_or_b64 s[26:27], s[20:21], exec
                                        ; implicit-def: $vgpr2
.LBB234_2780:
	s_or_saveexec_b64 s[22:23], s[22:23]
	s_mov_b64 s[4:5], 0
	s_mov_b64 s[28:29], s[6:7]
	s_xor_b64 exec, exec, s[22:23]
	s_cbranch_execz .LBB234_2788
; %bb.2781:
	v_cmp_lt_i16_e64 s[4:5], 14, v2
	s_mov_b64 s[28:29], s[6:7]
	s_mov_b64 s[30:31], s[26:27]
	s_and_saveexec_b64 s[40:41], s[4:5]
	s_xor_b64 s[40:41], exec, s[40:41]
	s_cbranch_execz .LBB234_2785
; %bb.2782:
	v_cmp_eq_u16_e64 s[4:5], 15, v2
	s_mov_b64 s[28:29], -1
	s_mov_b64 s[64:65], s[26:27]
	s_and_saveexec_b64 s[30:31], s[4:5]
	s_cbranch_execz .LBB234_2784
; %bb.2783:
	v_cndmask_b32_e64 v2, 0, 1.0, vcc
	v_bfe_u32 v3, v2, 16, 1
	s_movk_i32 s4, 0x7fff
	v_add3_u32 v2, v2, v3, s4
	flat_store_short_d16_hi v[0:1], v2
	s_or_b64 s[64:65], s[26:27], exec
	s_xor_b64 s[28:29], exec, -1
.LBB234_2784:
	s_or_b64 exec, exec, s[30:31]
	s_andn2_b64 s[4:5], s[26:27], exec
	s_and_b64 s[30:31], s[64:65], exec
	s_or_b64 s[30:31], s[4:5], s[30:31]
	s_andn2_b64 s[4:5], s[6:7], exec
	s_and_b64 s[28:29], s[28:29], exec
	s_or_b64 s[28:29], s[4:5], s[28:29]
                                        ; implicit-def: $vgpr2
.LBB234_2785:
	s_or_saveexec_b64 s[40:41], s[40:41]
	s_mov_b64 s[64:65], 0
	s_xor_b64 exec, exec, s[40:41]
; %bb.2786:
	v_cmp_ne_u16_e64 s[4:5], 11, v2
	s_andn2_b64 s[28:29], s[28:29], exec
	s_and_b64 s[4:5], s[4:5], exec
	s_mov_b64 s[64:65], exec
	s_or_b64 s[28:29], s[28:29], s[4:5]
; %bb.2787:
	s_or_b64 exec, exec, s[40:41]
	s_andn2_b64 s[4:5], s[26:27], exec
	s_and_b64 s[26:27], s[30:31], exec
	s_andn2_b64 s[30:31], s[6:7], exec
	s_and_b64 s[28:29], s[28:29], exec
	s_or_b64 s[26:27], s[4:5], s[26:27]
	s_and_b64 s[4:5], s[64:65], exec
	s_or_b64 s[28:29], s[30:31], s[28:29]
.LBB234_2788:
	s_or_b64 exec, exec, s[22:23]
	s_andn2_b64 s[20:21], s[20:21], exec
	s_and_b64 s[22:23], s[26:27], exec
	s_or_b64 s[20:21], s[20:21], s[22:23]
	s_and_b64 s[22:23], s[4:5], exec
	s_andn2_b64 s[4:5], s[6:7], exec
	s_and_b64 s[6:7], s[28:29], exec
	s_or_b64 s[6:7], s[4:5], s[6:7]
	s_or_b64 exec, exec, s[24:25]
	s_mov_b64 s[4:5], s[8:9]
	s_and_saveexec_b64 s[24:25], s[6:7]
	s_cbranch_execz .LBB234_2097
.LBB234_2789:
	s_trap 2
	s_or_b64 s[4:5], s[8:9], exec
	s_andn2_b64 s[22:23], s[22:23], exec
	s_or_b64 exec, exec, s[24:25]
	s_and_saveexec_b64 s[6:7], s[22:23]
	s_xor_b64 s[6:7], exec, s[6:7]
	s_cbranch_execnz .LBB234_2098
	s_branch .LBB234_2099
.LBB234_2790:
	s_or_saveexec_b64 s[20:21], s[20:21]
	v_mov_b32_e32 v3, 0x7f800001
	s_xor_b64 exec, exec, s[20:21]
	s_cbranch_execz .LBB234_2537
.LBB234_2791:
	v_cmp_ne_u16_e32 vcc, 0, v4
	s_andn2_b64 s[18:19], s[18:19], exec
	s_and_b64 s[22:23], vcc, exec
	v_mov_b32_e32 v3, 0
	s_or_b64 s[18:19], s[18:19], s[22:23]
	s_or_b64 exec, exec, s[20:21]
	s_and_saveexec_b64 s[20:21], s[18:19]
	s_cbranch_execnz .LBB234_2538
	s_branch .LBB234_2539
.LBB234_2792:
	s_andn2_saveexec_b64 s[24:25], s[24:25]
	s_cbranch_execz .LBB234_355
.LBB234_2793:
	v_add_f32_e32 v2, 0x42800000, v3
	v_and_b32_e32 v2, 0xff, v2
	v_cmp_ne_u32_e32 vcc, 0, v2
	s_andn2_b64 s[22:23], s[22:23], exec
	s_and_b64 s[26:27], vcc, exec
	s_or_b64 s[22:23], s[22:23], s[26:27]
	s_or_b64 exec, exec, s[24:25]
	v_mov_b32_e32 v5, 0
	s_and_saveexec_b64 s[24:25], s[22:23]
	s_cbranch_execnz .LBB234_356
	s_branch .LBB234_357
.LBB234_2794:
	s_andn2_saveexec_b64 s[26:27], s[26:27]
	s_cbranch_execz .LBB234_2180
.LBB234_2795:
	v_cmp_lt_i16_e32 vcc, 22, v3
	s_mov_b64 s[28:29], s[4:5]
	s_and_saveexec_b64 s[24:25], vcc
	s_xor_b64 s[24:25], exec, s[24:25]
	s_cbranch_execz .LBB234_2827
; %bb.2796:
	v_cmp_lt_i16_e32 vcc, 23, v3
	s_and_saveexec_b64 s[28:29], vcc
	s_xor_b64 s[28:29], exec, s[28:29]
	s_cbranch_execz .LBB234_2816
; %bb.2797:
	v_cmp_lt_i16_e32 vcc, 24, v3
	s_and_saveexec_b64 s[30:31], vcc
	s_xor_b64 s[30:31], exec, s[30:31]
	s_cbranch_execz .LBB234_2805
; %bb.2798:
	v_cndmask_b32_e64 v1, 0, 1.0, s[10:11]
	s_mov_b32 s33, 0x47800000
	v_cmp_gt_u32_e32 vcc, s33, v1
	v_mov_b32_e32 v2, 0x80
	s_and_saveexec_b64 s[40:41], vcc
	s_cbranch_execz .LBB234_2804
; %bb.2799:
	s_mov_b32 s33, 0x37ffffff
	v_cmp_lt_u32_e32 vcc, s33, v1
	s_mov_b64 s[64:65], 0
                                        ; implicit-def: $vgpr0
	s_and_saveexec_b64 s[66:67], vcc
	s_xor_b64 s[66:67], exec, s[66:67]
	s_cbranch_execz .LBB234_2853
; %bb.2800:
	v_bfe_u32 v0, v1, 21, 1
	s_mov_b32 s33, 0x88fffff
	v_add3_u32 v0, v1, v0, s33
	s_mov_b64 s[64:65], exec
	v_lshrrev_b32_e32 v0, 21, v0
                                        ; implicit-def: $vgpr1
	s_andn2_saveexec_b64 s[66:67], s[66:67]
	s_cbranch_execnz .LBB234_2854
.LBB234_2801:
	s_or_b64 exec, exec, s[66:67]
	v_mov_b32_e32 v2, 0
	s_and_saveexec_b64 s[66:67], s[64:65]
.LBB234_2802:
	v_mov_b32_e32 v2, v0
.LBB234_2803:
	s_or_b64 exec, exec, s[66:67]
.LBB234_2804:
	s_or_b64 exec, exec, s[40:41]
	flat_store_byte v[9:10], v2
.LBB234_2805:
	s_andn2_saveexec_b64 s[30:31], s[30:31]
	s_cbranch_execz .LBB234_2815
; %bb.2806:
	v_cndmask_b32_e64 v0, 0, 1.0, s[10:11]
	s_mov_b32 s33, 0x43f00000
	v_cmp_gt_u32_e32 vcc, s33, v0
                                        ; implicit-def: $vgpr1
	s_and_saveexec_b64 s[40:41], vcc
	s_xor_b64 s[40:41], exec, s[40:41]
	s_cbranch_execz .LBB234_2812
; %bb.2807:
	s_mov_b32 s33, 0x3c7fffff
	v_cmp_lt_u32_e32 vcc, s33, v0
                                        ; implicit-def: $vgpr1
	s_and_saveexec_b64 s[64:65], vcc
	s_xor_b64 s[64:65], exec, s[64:65]
; %bb.2808:
	v_bfe_u32 v1, v0, 20, 1
	s_mov_b32 s33, 0x407ffff
	v_add3_u32 v0, v0, v1, s33
	v_lshrrev_b32_e32 v1, 20, v0
	v_and_b32_e32 v0, 0xff00000, v0
	s_mov_b32 s33, 0x7f00000
	v_mov_b32_e32 v2, 0x7e
	v_cmp_ne_u32_e32 vcc, s33, v0
	v_cndmask_b32_e32 v1, v2, v1, vcc
                                        ; implicit-def: $vgpr0
; %bb.2809:
	s_andn2_saveexec_b64 s[64:65], s[64:65]
; %bb.2810:
	v_add_f32_e32 v1, 0x46800000, v0
; %bb.2811:
	s_or_b64 exec, exec, s[64:65]
                                        ; implicit-def: $vgpr0
.LBB234_2812:
	s_andn2_saveexec_b64 s[40:41], s[40:41]
; %bb.2813:
	s_mov_b32 s33, 0x7f800000
	v_mov_b32_e32 v1, 0x7e
	v_mov_b32_e32 v2, 0x7f
	v_cmp_lt_u32_e32 vcc, s33, v0
	v_cndmask_b32_e32 v1, v1, v2, vcc
; %bb.2814:
	s_or_b64 exec, exec, s[40:41]
	flat_store_byte v[9:10], v1
.LBB234_2815:
	s_or_b64 exec, exec, s[30:31]
.LBB234_2816:
	s_andn2_saveexec_b64 s[28:29], s[28:29]
	s_cbranch_execz .LBB234_2826
; %bb.2817:
	v_cndmask_b32_e64 v0, 0, 1.0, s[10:11]
	s_mov_b32 s30, 0x47800000
	v_cmp_gt_u32_e32 vcc, s30, v0
                                        ; implicit-def: $vgpr1
	s_and_saveexec_b64 s[30:31], vcc
	s_xor_b64 s[30:31], exec, s[30:31]
	s_cbranch_execz .LBB234_2823
; %bb.2818:
	s_mov_b32 s33, 0x387fffff
	v_cmp_lt_u32_e32 vcc, s33, v0
                                        ; implicit-def: $vgpr1
	s_and_saveexec_b64 s[40:41], vcc
	s_xor_b64 s[40:41], exec, s[40:41]
; %bb.2819:
	v_bfe_u32 v1, v0, 21, 1
	s_mov_b32 s33, 0x80fffff
	v_add3_u32 v0, v0, v1, s33
	v_lshrrev_b32_e32 v1, 21, v0
                                        ; implicit-def: $vgpr0
; %bb.2820:
	s_andn2_saveexec_b64 s[40:41], s[40:41]
; %bb.2821:
	v_add_f32_e32 v1, 0x43000000, v0
; %bb.2822:
	s_or_b64 exec, exec, s[40:41]
                                        ; implicit-def: $vgpr0
.LBB234_2823:
	s_andn2_saveexec_b64 s[30:31], s[30:31]
; %bb.2824:
	s_mov_b32 s33, 0x7f800000
	v_mov_b32_e32 v1, 0x7c
	v_mov_b32_e32 v2, 0x7f
	v_cmp_lt_u32_e32 vcc, s33, v0
	v_cndmask_b32_e32 v1, v1, v2, vcc
; %bb.2825:
	s_or_b64 exec, exec, s[30:31]
	flat_store_byte v[9:10], v1
.LBB234_2826:
	s_or_b64 exec, exec, s[28:29]
	s_or_b64 s[28:29], s[4:5], exec
.LBB234_2827:
	s_or_saveexec_b64 s[24:25], s[24:25]
	s_mov_b64 s[40:41], 0
	s_mov_b64 s[30:31], s[22:23]
	s_xor_b64 exec, exec, s[24:25]
	s_cbranch_execz .LBB234_2835
; %bb.2828:
	v_cmp_lt_i16_e32 vcc, 14, v3
	s_mov_b64 s[30:31], s[22:23]
	s_mov_b64 s[40:41], s[28:29]
	s_and_saveexec_b64 s[64:65], vcc
	s_xor_b64 s[64:65], exec, s[64:65]
	s_cbranch_execz .LBB234_2832
; %bb.2829:
	v_cmp_eq_u16_e32 vcc, 15, v3
	s_mov_b64 s[30:31], -1
	s_mov_b64 s[66:67], s[28:29]
	s_and_saveexec_b64 s[40:41], vcc
	s_cbranch_execz .LBB234_2831
; %bb.2830:
	v_cndmask_b32_e64 v0, 0, 1.0, s[10:11]
	v_bfe_u32 v1, v0, 16, 1
	s_movk_i32 s30, 0x7fff
	v_add3_u32 v0, v0, v1, s30
	flat_store_short_d16_hi v[9:10], v0
	s_or_b64 s[66:67], s[28:29], exec
	s_xor_b64 s[30:31], exec, -1
.LBB234_2831:
	s_or_b64 exec, exec, s[40:41]
	s_andn2_b64 s[40:41], s[28:29], exec
	s_and_b64 s[66:67], s[66:67], exec
	s_or_b64 s[40:41], s[40:41], s[66:67]
	s_andn2_b64 s[66:67], s[22:23], exec
	s_and_b64 s[30:31], s[30:31], exec
	s_or_b64 s[30:31], s[66:67], s[30:31]
.LBB234_2832:
	s_or_saveexec_b64 s[64:65], s[64:65]
	s_mov_b64 s[66:67], 0
	s_xor_b64 exec, exec, s[64:65]
; %bb.2833:
	v_cmp_ne_u16_e32 vcc, 11, v3
	s_andn2_b64 s[30:31], s[30:31], exec
	s_and_b64 s[68:69], vcc, exec
	s_mov_b64 s[66:67], exec
	s_or_b64 s[30:31], s[30:31], s[68:69]
; %bb.2834:
	s_or_b64 exec, exec, s[64:65]
	s_andn2_b64 s[28:29], s[28:29], exec
	s_and_b64 s[40:41], s[40:41], exec
	s_andn2_b64 s[64:65], s[22:23], exec
	s_and_b64 s[30:31], s[30:31], exec
	s_or_b64 s[28:29], s[28:29], s[40:41]
	s_and_b64 s[40:41], s[66:67], exec
	s_or_b64 s[30:31], s[64:65], s[30:31]
.LBB234_2835:
	s_or_b64 exec, exec, s[24:25]
	s_andn2_b64 s[4:5], s[4:5], exec
	s_and_b64 s[24:25], s[28:29], exec
	s_andn2_b64 s[22:23], s[22:23], exec
	s_and_b64 s[28:29], s[30:31], exec
	s_or_b64 s[4:5], s[4:5], s[24:25]
	s_and_b64 s[24:25], s[40:41], exec
	s_or_b64 s[22:23], s[22:23], s[28:29]
	s_or_b64 exec, exec, s[26:27]
	s_mov_b64 s[26:27], s[6:7]
	s_and_saveexec_b64 s[28:29], s[22:23]
	s_cbranch_execz .LBB234_2181
.LBB234_2836:
	s_andn2_b64 s[24:25], s[24:25], exec
	s_or_b64 s[26:27], s[6:7], exec
	s_trap 2
	s_branch .LBB234_2181
.LBB234_2837:
	s_or_saveexec_b64 s[20:21], s[20:21]
	v_mov_b32_e32 v2, 0x7f800001
	s_xor_b64 exec, exec, s[20:21]
	s_cbranch_execz .LBB234_2594
.LBB234_2838:
	v_cmp_ne_u16_e32 vcc, 0, v3
	s_andn2_b64 s[18:19], s[18:19], exec
	s_and_b64 s[22:23], vcc, exec
	v_mov_b32_e32 v2, 0
	s_or_b64 s[18:19], s[18:19], s[22:23]
	s_or_b64 exec, exec, s[20:21]
	s_and_saveexec_b64 s[20:21], s[18:19]
	s_cbranch_execnz .LBB234_2595
	s_branch .LBB234_2596
.LBB234_2839:
	s_andn2_saveexec_b64 s[28:29], s[6:7]
	s_cbranch_execz .LBB234_1922
.LBB234_2840:
	v_add_f32_e32 v2, 0x46000000, v3
	v_and_b32_e32 v2, 0xff, v2
	v_cmp_ne_u32_e64 s[6:7], 0, v2
	s_andn2_b64 s[26:27], s[26:27], exec
	s_and_b64 s[6:7], s[6:7], exec
	s_or_b64 s[26:27], s[26:27], s[6:7]
	s_or_b64 exec, exec, s[28:29]
	v_mov_b32_e32 v4, 0
	s_and_saveexec_b64 s[6:7], s[26:27]
	s_cbranch_execnz .LBB234_1923
	s_branch .LBB234_1924
.LBB234_2841:
	s_andn2_saveexec_b64 s[40:41], s[6:7]
	s_cbranch_execz .LBB234_2006
.LBB234_2842:
	v_add_f32_e32 v2, 0x46000000, v3
	v_and_b32_e32 v2, 0xff, v2
	v_cmp_ne_u32_e64 s[6:7], 0, v2
	s_andn2_b64 s[30:31], s[30:31], exec
	s_and_b64 s[6:7], s[6:7], exec
	s_or_b64 s[30:31], s[30:31], s[6:7]
	s_or_b64 exec, exec, s[40:41]
	v_mov_b32_e32 v4, 0
	s_and_saveexec_b64 s[6:7], s[30:31]
	s_cbranch_execnz .LBB234_2007
	s_branch .LBB234_2008
.LBB234_2843:
	s_andn2_saveexec_b64 s[28:29], s[6:7]
	s_cbranch_execz .LBB234_2652
.LBB234_2844:
	v_add_f32_e32 v2, 0x42800000, v3
	v_and_b32_e32 v2, 0xff, v2
	v_cmp_ne_u32_e64 s[6:7], 0, v2
	s_andn2_b64 s[26:27], s[26:27], exec
	s_and_b64 s[6:7], s[6:7], exec
	s_or_b64 s[26:27], s[26:27], s[6:7]
	s_or_b64 exec, exec, s[28:29]
	v_mov_b32_e32 v4, 0
	s_and_saveexec_b64 s[6:7], s[26:27]
	s_cbranch_execnz .LBB234_2653
	s_branch .LBB234_2654
.LBB234_2845:
	s_andn2_saveexec_b64 s[64:65], s[4:5]
	s_cbranch_execz .LBB234_2090
.LBB234_2846:
	v_add_f32_e32 v2, 0x46000000, v3
	v_and_b32_e32 v2, 0xff, v2
	v_cmp_ne_u32_e64 s[4:5], 0, v2
	s_andn2_b64 s[40:41], s[40:41], exec
	s_and_b64 s[4:5], s[4:5], exec
	s_or_b64 s[40:41], s[40:41], s[4:5]
	s_or_b64 exec, exec, s[64:65]
	v_mov_b32_e32 v4, 0
	s_and_saveexec_b64 s[4:5], s[40:41]
	s_cbranch_execnz .LBB234_2091
	s_branch .LBB234_2092
.LBB234_2847:
	s_andn2_saveexec_b64 s[40:41], s[6:7]
	s_cbranch_execz .LBB234_2703
.LBB234_2848:
	v_add_f32_e32 v2, 0x42800000, v3
	v_and_b32_e32 v2, 0xff, v2
	v_cmp_ne_u32_e64 s[6:7], 0, v2
	s_andn2_b64 s[30:31], s[30:31], exec
	s_and_b64 s[6:7], s[6:7], exec
	s_or_b64 s[30:31], s[30:31], s[6:7]
	s_or_b64 exec, exec, s[40:41]
	v_mov_b32_e32 v4, 0
	s_and_saveexec_b64 s[6:7], s[30:31]
	s_cbranch_execnz .LBB234_2704
	s_branch .LBB234_2705
.LBB234_2849:
	s_andn2_saveexec_b64 s[66:67], s[66:67]
	s_cbranch_execz .LBB234_2174
.LBB234_2850:
	v_add_f32_e32 v0, 0x46000000, v1
	v_and_b32_e32 v0, 0xff, v0
	v_cmp_ne_u32_e32 vcc, 0, v0
	s_andn2_b64 s[64:65], s[64:65], exec
	s_and_b64 s[68:69], vcc, exec
	s_or_b64 s[64:65], s[64:65], s[68:69]
	s_or_b64 exec, exec, s[66:67]
	v_mov_b32_e32 v2, 0
	s_and_saveexec_b64 s[66:67], s[64:65]
	s_cbranch_execnz .LBB234_2175
	s_branch .LBB234_2176
.LBB234_2851:
	s_andn2_saveexec_b64 s[64:65], s[4:5]
	s_cbranch_execz .LBB234_2754
.LBB234_2852:
	v_add_f32_e32 v2, 0x42800000, v3
	v_and_b32_e32 v2, 0xff, v2
	v_cmp_ne_u32_e64 s[4:5], 0, v2
	s_andn2_b64 s[40:41], s[40:41], exec
	s_and_b64 s[4:5], s[4:5], exec
	s_or_b64 s[40:41], s[40:41], s[4:5]
	s_or_b64 exec, exec, s[64:65]
	v_mov_b32_e32 v4, 0
	s_and_saveexec_b64 s[4:5], s[40:41]
	s_cbranch_execnz .LBB234_2755
	s_branch .LBB234_2756
.LBB234_2853:
	s_andn2_saveexec_b64 s[66:67], s[66:67]
	s_cbranch_execz .LBB234_2801
.LBB234_2854:
	v_add_f32_e32 v0, 0x42800000, v1
	v_and_b32_e32 v0, 0xff, v0
	v_cmp_ne_u32_e32 vcc, 0, v0
	s_andn2_b64 s[64:65], s[64:65], exec
	s_and_b64 s[68:69], vcc, exec
	s_or_b64 s[64:65], s[64:65], s[68:69]
	s_or_b64 exec, exec, s[66:67]
	v_mov_b32_e32 v2, 0
	s_and_saveexec_b64 s[66:67], s[64:65]
	s_cbranch_execnz .LBB234_2802
	s_branch .LBB234_2803
	.section	.rodata,"a",@progbits
	.p2align	6, 0x0
	.amdhsa_kernel _ZN2at6native32elementwise_kernel_manual_unrollILi128ELi4EZNS0_15gpu_kernel_implINS0_13BinaryFunctorIN3c1011Float8_e5m2ES5_bNS0_12_GLOBAL__N_116CompareEqFunctorIS5_EEEEEEvRNS_18TensorIteratorBaseERKT_EUlibE0_EEviT1_
		.amdhsa_group_segment_fixed_size 0
		.amdhsa_private_segment_fixed_size 464
		.amdhsa_kernarg_size 432
		.amdhsa_user_sgpr_count 8
		.amdhsa_user_sgpr_private_segment_buffer 1
		.amdhsa_user_sgpr_dispatch_ptr 0
		.amdhsa_user_sgpr_queue_ptr 0
		.amdhsa_user_sgpr_kernarg_segment_ptr 1
		.amdhsa_user_sgpr_dispatch_id 0
		.amdhsa_user_sgpr_flat_scratch_init 1
		.amdhsa_user_sgpr_private_segment_size 0
		.amdhsa_uses_dynamic_stack 0
		.amdhsa_system_sgpr_private_segment_wavefront_offset 1
		.amdhsa_system_sgpr_workgroup_id_x 1
		.amdhsa_system_sgpr_workgroup_id_y 0
		.amdhsa_system_sgpr_workgroup_id_z 0
		.amdhsa_system_sgpr_workgroup_info 0
		.amdhsa_system_vgpr_workitem_id 0
		.amdhsa_next_free_vgpr 28
		.amdhsa_next_free_sgpr 70
		.amdhsa_reserve_vcc 1
		.amdhsa_reserve_flat_scratch 1
		.amdhsa_float_round_mode_32 0
		.amdhsa_float_round_mode_16_64 0
		.amdhsa_float_denorm_mode_32 3
		.amdhsa_float_denorm_mode_16_64 3
		.amdhsa_dx10_clamp 1
		.amdhsa_ieee_mode 1
		.amdhsa_fp16_overflow 0
		.amdhsa_exception_fp_ieee_invalid_op 0
		.amdhsa_exception_fp_denorm_src 0
		.amdhsa_exception_fp_ieee_div_zero 0
		.amdhsa_exception_fp_ieee_overflow 0
		.amdhsa_exception_fp_ieee_underflow 0
		.amdhsa_exception_fp_ieee_inexact 0
		.amdhsa_exception_int_div_zero 0
	.end_amdhsa_kernel
	.section	.text._ZN2at6native32elementwise_kernel_manual_unrollILi128ELi4EZNS0_15gpu_kernel_implINS0_13BinaryFunctorIN3c1011Float8_e5m2ES5_bNS0_12_GLOBAL__N_116CompareEqFunctorIS5_EEEEEEvRNS_18TensorIteratorBaseERKT_EUlibE0_EEviT1_,"axG",@progbits,_ZN2at6native32elementwise_kernel_manual_unrollILi128ELi4EZNS0_15gpu_kernel_implINS0_13BinaryFunctorIN3c1011Float8_e5m2ES5_bNS0_12_GLOBAL__N_116CompareEqFunctorIS5_EEEEEEvRNS_18TensorIteratorBaseERKT_EUlibE0_EEviT1_,comdat
.Lfunc_end234:
	.size	_ZN2at6native32elementwise_kernel_manual_unrollILi128ELi4EZNS0_15gpu_kernel_implINS0_13BinaryFunctorIN3c1011Float8_e5m2ES5_bNS0_12_GLOBAL__N_116CompareEqFunctorIS5_EEEEEEvRNS_18TensorIteratorBaseERKT_EUlibE0_EEviT1_, .Lfunc_end234-_ZN2at6native32elementwise_kernel_manual_unrollILi128ELi4EZNS0_15gpu_kernel_implINS0_13BinaryFunctorIN3c1011Float8_e5m2ES5_bNS0_12_GLOBAL__N_116CompareEqFunctorIS5_EEEEEEvRNS_18TensorIteratorBaseERKT_EUlibE0_EEviT1_
                                        ; -- End function
	.set _ZN2at6native32elementwise_kernel_manual_unrollILi128ELi4EZNS0_15gpu_kernel_implINS0_13BinaryFunctorIN3c1011Float8_e5m2ES5_bNS0_12_GLOBAL__N_116CompareEqFunctorIS5_EEEEEEvRNS_18TensorIteratorBaseERKT_EUlibE0_EEviT1_.num_vgpr, max(28, .L_ZN2at6native6invokeINS0_13BinaryFunctorIN3c1011Float8_e5m2ES4_bNS0_12_GLOBAL__N_116CompareEqFunctorIS4_EEEEj15function_traitsIS8_EEENT1_11result_typeERKT_PrKPcPKT0_PKNS3_10ScalarTypeEi.num_vgpr)
	.set _ZN2at6native32elementwise_kernel_manual_unrollILi128ELi4EZNS0_15gpu_kernel_implINS0_13BinaryFunctorIN3c1011Float8_e5m2ES5_bNS0_12_GLOBAL__N_116CompareEqFunctorIS5_EEEEEEvRNS_18TensorIteratorBaseERKT_EUlibE0_EEviT1_.num_agpr, max(0, .L_ZN2at6native6invokeINS0_13BinaryFunctorIN3c1011Float8_e5m2ES4_bNS0_12_GLOBAL__N_116CompareEqFunctorIS4_EEEEj15function_traitsIS8_EEENT1_11result_typeERKT_PrKPcPKT0_PKNS3_10ScalarTypeEi.num_agpr)
	.set _ZN2at6native32elementwise_kernel_manual_unrollILi128ELi4EZNS0_15gpu_kernel_implINS0_13BinaryFunctorIN3c1011Float8_e5m2ES5_bNS0_12_GLOBAL__N_116CompareEqFunctorIS5_EEEEEEvRNS_18TensorIteratorBaseERKT_EUlibE0_EEviT1_.numbered_sgpr, max(70, .L_ZN2at6native6invokeINS0_13BinaryFunctorIN3c1011Float8_e5m2ES4_bNS0_12_GLOBAL__N_116CompareEqFunctorIS4_EEEEj15function_traitsIS8_EEENT1_11result_typeERKT_PrKPcPKT0_PKNS3_10ScalarTypeEi.numbered_sgpr)
	.set _ZN2at6native32elementwise_kernel_manual_unrollILi128ELi4EZNS0_15gpu_kernel_implINS0_13BinaryFunctorIN3c1011Float8_e5m2ES5_bNS0_12_GLOBAL__N_116CompareEqFunctorIS5_EEEEEEvRNS_18TensorIteratorBaseERKT_EUlibE0_EEviT1_.num_named_barrier, max(0, .L_ZN2at6native6invokeINS0_13BinaryFunctorIN3c1011Float8_e5m2ES4_bNS0_12_GLOBAL__N_116CompareEqFunctorIS4_EEEEj15function_traitsIS8_EEENT1_11result_typeERKT_PrKPcPKT0_PKNS3_10ScalarTypeEi.num_named_barrier)
	.set _ZN2at6native32elementwise_kernel_manual_unrollILi128ELi4EZNS0_15gpu_kernel_implINS0_13BinaryFunctorIN3c1011Float8_e5m2ES5_bNS0_12_GLOBAL__N_116CompareEqFunctorIS5_EEEEEEvRNS_18TensorIteratorBaseERKT_EUlibE0_EEviT1_.private_seg_size, 464+max(.L_ZN2at6native6invokeINS0_13BinaryFunctorIN3c1011Float8_e5m2ES4_bNS0_12_GLOBAL__N_116CompareEqFunctorIS4_EEEEj15function_traitsIS8_EEENT1_11result_typeERKT_PrKPcPKT0_PKNS3_10ScalarTypeEi.private_seg_size)
	.set _ZN2at6native32elementwise_kernel_manual_unrollILi128ELi4EZNS0_15gpu_kernel_implINS0_13BinaryFunctorIN3c1011Float8_e5m2ES5_bNS0_12_GLOBAL__N_116CompareEqFunctorIS5_EEEEEEvRNS_18TensorIteratorBaseERKT_EUlibE0_EEviT1_.uses_vcc, or(1, .L_ZN2at6native6invokeINS0_13BinaryFunctorIN3c1011Float8_e5m2ES4_bNS0_12_GLOBAL__N_116CompareEqFunctorIS4_EEEEj15function_traitsIS8_EEENT1_11result_typeERKT_PrKPcPKT0_PKNS3_10ScalarTypeEi.uses_vcc)
	.set _ZN2at6native32elementwise_kernel_manual_unrollILi128ELi4EZNS0_15gpu_kernel_implINS0_13BinaryFunctorIN3c1011Float8_e5m2ES5_bNS0_12_GLOBAL__N_116CompareEqFunctorIS5_EEEEEEvRNS_18TensorIteratorBaseERKT_EUlibE0_EEviT1_.uses_flat_scratch, or(1, .L_ZN2at6native6invokeINS0_13BinaryFunctorIN3c1011Float8_e5m2ES4_bNS0_12_GLOBAL__N_116CompareEqFunctorIS4_EEEEj15function_traitsIS8_EEENT1_11result_typeERKT_PrKPcPKT0_PKNS3_10ScalarTypeEi.uses_flat_scratch)
	.set _ZN2at6native32elementwise_kernel_manual_unrollILi128ELi4EZNS0_15gpu_kernel_implINS0_13BinaryFunctorIN3c1011Float8_e5m2ES5_bNS0_12_GLOBAL__N_116CompareEqFunctorIS5_EEEEEEvRNS_18TensorIteratorBaseERKT_EUlibE0_EEviT1_.has_dyn_sized_stack, or(0, .L_ZN2at6native6invokeINS0_13BinaryFunctorIN3c1011Float8_e5m2ES4_bNS0_12_GLOBAL__N_116CompareEqFunctorIS4_EEEEj15function_traitsIS8_EEENT1_11result_typeERKT_PrKPcPKT0_PKNS3_10ScalarTypeEi.has_dyn_sized_stack)
	.set _ZN2at6native32elementwise_kernel_manual_unrollILi128ELi4EZNS0_15gpu_kernel_implINS0_13BinaryFunctorIN3c1011Float8_e5m2ES5_bNS0_12_GLOBAL__N_116CompareEqFunctorIS5_EEEEEEvRNS_18TensorIteratorBaseERKT_EUlibE0_EEviT1_.has_recursion, or(0, .L_ZN2at6native6invokeINS0_13BinaryFunctorIN3c1011Float8_e5m2ES4_bNS0_12_GLOBAL__N_116CompareEqFunctorIS4_EEEEj15function_traitsIS8_EEENT1_11result_typeERKT_PrKPcPKT0_PKNS3_10ScalarTypeEi.has_recursion)
	.set _ZN2at6native32elementwise_kernel_manual_unrollILi128ELi4EZNS0_15gpu_kernel_implINS0_13BinaryFunctorIN3c1011Float8_e5m2ES5_bNS0_12_GLOBAL__N_116CompareEqFunctorIS5_EEEEEEvRNS_18TensorIteratorBaseERKT_EUlibE0_EEviT1_.has_indirect_call, or(0, .L_ZN2at6native6invokeINS0_13BinaryFunctorIN3c1011Float8_e5m2ES4_bNS0_12_GLOBAL__N_116CompareEqFunctorIS4_EEEEj15function_traitsIS8_EEENT1_11result_typeERKT_PrKPcPKT0_PKNS3_10ScalarTypeEi.has_indirect_call)
	.section	.AMDGPU.csdata,"",@progbits
; Kernel info:
; codeLenInByte = 60436
; TotalNumSgprs: 76
; NumVgprs: 28
; ScratchSize: 464
; MemoryBound: 0
; FloatMode: 240
; IeeeMode: 1
; LDSByteSize: 0 bytes/workgroup (compile time only)
; SGPRBlocks: 9
; VGPRBlocks: 6
; NumSGPRsForWavesPerEU: 76
; NumVGPRsForWavesPerEU: 28
; Occupancy: 9
; WaveLimiterHint : 1
; COMPUTE_PGM_RSRC2:SCRATCH_EN: 1
; COMPUTE_PGM_RSRC2:USER_SGPR: 8
; COMPUTE_PGM_RSRC2:TRAP_HANDLER: 0
; COMPUTE_PGM_RSRC2:TGID_X_EN: 1
; COMPUTE_PGM_RSRC2:TGID_Y_EN: 0
; COMPUTE_PGM_RSRC2:TGID_Z_EN: 0
; COMPUTE_PGM_RSRC2:TIDIG_COMP_CNT: 0
	.section	.text._ZN2at6native29vectorized_elementwise_kernelILi16ENS0_13AUnaryFunctorIN3c1011Float8_e5m2ES4_bNS0_12_GLOBAL__N_116CompareEqFunctorIS4_EEEESt5arrayIPcLm2EEEEviT0_T1_,"axG",@progbits,_ZN2at6native29vectorized_elementwise_kernelILi16ENS0_13AUnaryFunctorIN3c1011Float8_e5m2ES4_bNS0_12_GLOBAL__N_116CompareEqFunctorIS4_EEEESt5arrayIPcLm2EEEEviT0_T1_,comdat
	.globl	_ZN2at6native29vectorized_elementwise_kernelILi16ENS0_13AUnaryFunctorIN3c1011Float8_e5m2ES4_bNS0_12_GLOBAL__N_116CompareEqFunctorIS4_EEEESt5arrayIPcLm2EEEEviT0_T1_ ; -- Begin function _ZN2at6native29vectorized_elementwise_kernelILi16ENS0_13AUnaryFunctorIN3c1011Float8_e5m2ES4_bNS0_12_GLOBAL__N_116CompareEqFunctorIS4_EEEESt5arrayIPcLm2EEEEviT0_T1_
	.p2align	8
	.type	_ZN2at6native29vectorized_elementwise_kernelILi16ENS0_13AUnaryFunctorIN3c1011Float8_e5m2ES4_bNS0_12_GLOBAL__N_116CompareEqFunctorIS4_EEEESt5arrayIPcLm2EEEEviT0_T1_,@function
_ZN2at6native29vectorized_elementwise_kernelILi16ENS0_13AUnaryFunctorIN3c1011Float8_e5m2ES4_bNS0_12_GLOBAL__N_116CompareEqFunctorIS4_EEEESt5arrayIPcLm2EEEEviT0_T1_: ; @_ZN2at6native29vectorized_elementwise_kernelILi16ENS0_13AUnaryFunctorIN3c1011Float8_e5m2ES4_bNS0_12_GLOBAL__N_116CompareEqFunctorIS4_EEEESt5arrayIPcLm2EEEEviT0_T1_
; %bb.0:
	s_load_dwordx8 s[8:15], s[4:5], 0x0
	s_waitcnt lgkmcnt(0)
	s_lshl_b32 s11, s6, 12
	s_mov_b64 s[0:1], -1
	s_sub_i32 s8, s8, s11
	s_cmpk_gt_i32 s8, 0xfff
	s_cbranch_scc0 .LBB235_2
; %bb.1:
	s_ashr_i32 s2, s11, 31
	s_add_u32 s0, s14, s11
	s_addc_u32 s1, s15, s2
	v_lshlrev_b32_e32 v5, 4, v0
	global_load_dwordx4 v[1:4], v5, s[0:1]
	s_cmp_eq_u32 s9, 0
	s_cselect_b64 vcc, -1, 0
	s_lshl_b32 s0, s10, 8
	s_lshl_b32 s1, s10, 25
	s_lshr_b32 s3, s1, 4
	s_and_b32 s0, s0, 0x7f00
	s_or_b32 s3, s3, 0x70000000
	s_or_b32 s0, s0, 0.5
	v_mov_b32_e32 v6, 0x7800000
	s_cmp_lt_u32 s1, 0x8000000
	s_mov_b32 s18, 0x5040100
	v_add_f32_e64 v8, s0, -0.5
	v_mul_f32_e32 v6, s3, v6
	s_cselect_b64 s[0:1], -1, 0
	v_mov_b32_e32 v7, 25
	v_cndmask_b32_e64 v6, v6, v8, s[0:1]
	s_movk_i32 s17, 0x7f00
	s_lshl_b32 s0, s10, 24
	s_brev_b32 s16, 16
	s_and_b32 s0, s0, 0x80000000
	v_or_b32_e32 v6, s0, v6
	s_add_u32 s6, s12, s11
	s_addc_u32 s7, s13, s2
	s_waitcnt vmcnt(0)
	v_lshrrev_b16_e32 v9, 8, v1
	v_lshrrev_b32_e32 v8, 24, v1
	v_lshlrev_b32_e32 v16, 25, v1
	v_perm_b32 v17, v9, v1, s18
	v_lshlrev_b32_sdwa v15, v7, v1 dst_sel:DWORD dst_unused:UNUSED_PAD src0_sel:DWORD src1_sel:WORD_1
	v_alignbit_b32 v1, v8, v1, 16
	v_lshrrev_b32_e32 v18, 4, v16
	v_pk_lshlrev_b16 v17, 8, v17 op_sel_hi:[0,1]
	v_lshrrev_b32_e32 v19, 4, v15
	v_pk_lshlrev_b16 v1, 8, v1 op_sel_hi:[0,1]
	v_or_b32_e32 v18, 0x70000000, v18
	v_and_or_b32 v22, v17, s17, 0.5
	v_lshlrev_b32_e32 v8, 25, v8
	v_lshlrev_b32_e32 v9, 25, v9
	v_or_b32_e32 v19, 0x70000000, v19
	v_mul_f32_e32 v18, 0x7800000, v18
	v_add_f32_e32 v22, -0.5, v22
	v_cmp_gt_u32_e64 s[0:1], s16, v16
	v_and_or_b32 v16, v1, s17, 0.5
	v_lshrrev_b32_e32 v20, 4, v9
	v_lshrrev_b32_e32 v21, 4, v8
	v_mul_f32_e32 v19, 0x7800000, v19
	v_add_f32_e32 v16, -0.5, v16
	v_cmp_gt_u32_e64 s[2:3], s16, v15
	v_lshrrev_b32_e32 v15, 16, v1
	v_cmp_gt_u32_e64 s[4:5], s16, v8
	v_lshrrev_b32_e32 v8, 16, v17
	v_cndmask_b32_e64 v18, v18, v22, s[0:1]
	v_lshlrev_b32_e32 v22, 16, v1
	v_or_b32_e32 v21, 0x70000000, v21
	v_or_b32_e32 v20, 0x70000000, v20
	v_and_or_b32 v15, v15, s17, 0.5
	v_cndmask_b32_e64 v16, v19, v16, s[2:3]
	v_and_or_b32 v8, v8, s17, 0.5
	v_and_b32_e32 v22, 0x80000000, v22
	v_mul_f32_e32 v21, 0x7800000, v21
	v_add_f32_e32 v15, -0.5, v15
	v_mul_f32_e32 v20, 0x7800000, v20
	v_add_f32_e32 v8, -0.5, v8
	v_cmp_gt_u32_e64 s[0:1], s16, v9
	v_or_b32_e32 v16, v22, v16
	v_and_b32_e32 v1, 0x80000000, v1
	v_cndmask_b32_e64 v15, v21, v15, s[4:5]
	v_cndmask_b32_e64 v8, v20, v8, s[0:1]
	v_cmp_eq_f32_e64 s[0:1], v6, v16
	v_or_b32_e32 v1, v1, v15
	v_cndmask_b32_e64 v15, 0, 1, s[0:1]
	v_cmp_neq_f32_e64 s[0:1], v6, v16
	v_lshlrev_b32_e32 v19, 16, v17
	v_and_b32_e32 v17, 0x80000000, v17
	v_cndmask_b32_e64 v16, 0, 1, s[0:1]
	v_cmp_eq_f32_e64 s[0:1], v6, v1
	v_or_b32_e32 v8, v17, v8
	v_cndmask_b32_e64 v17, 0, 1, s[0:1]
	v_cmp_neq_f32_e64 s[0:1], v6, v1
	v_and_b32_e32 v19, 0x80000000, v19
	v_cndmask_b32_e64 v1, 0, 1, s[0:1]
	v_cmp_eq_f32_e64 s[0:1], v6, v8
	v_or_b32_e32 v9, v19, v18
	v_cndmask_b32_e32 v15, v16, v15, vcc
	v_cndmask_b32_e64 v16, 0, 1, s[0:1]
	v_cmp_neq_f32_e64 s[0:1], v6, v8
	v_cndmask_b32_e64 v8, 0, 1, s[0:1]
	v_cmp_eq_f32_e64 s[0:1], v6, v9
	v_cndmask_b32_e32 v8, v8, v16, vcc
	v_cndmask_b32_e64 v16, 0, 1, s[0:1]
	v_cmp_neq_f32_e64 s[0:1], v6, v9
	v_cndmask_b32_e64 v9, 0, 1, s[0:1]
	v_cndmask_b32_e32 v9, v9, v16, vcc
	v_mov_b32_e32 v16, 1
	v_cndmask_b32_e32 v1, v1, v17, vcc
	v_and_b32_e32 v9, 1, v9
	v_and_b32_sdwa v8, v8, v16 dst_sel:BYTE_1 dst_unused:UNUSED_PAD src0_sel:DWORD src1_sel:DWORD
	v_lshrrev_b32_e32 v10, 24, v2
	v_lshrrev_b16_e32 v11, 8, v2
	v_or_b32_e32 v8, v9, v8
	v_and_b32_e32 v9, 1, v15
	v_and_b32_sdwa v1, v1, v16 dst_sel:BYTE_1 dst_unused:UNUSED_PAD src0_sel:DWORD src1_sel:DWORD
	v_or_b32_sdwa v1, v9, v1 dst_sel:WORD_1 dst_unused:UNUSED_PAD src0_sel:DWORD src1_sel:DWORD
	v_perm_b32 v9, v11, v2, s18
	v_alignbit_b32 v15, v10, v2, 16
	v_lshlrev_b32_sdwa v17, v7, v2 dst_sel:DWORD dst_unused:UNUSED_PAD src0_sel:DWORD src1_sel:WORD_1
	v_lshlrev_b32_e32 v2, 25, v2
	v_pk_lshlrev_b16 v9, 8, v9 op_sel_hi:[0,1]
	v_lshrrev_b32_e32 v18, 4, v2
	v_or_b32_e32 v18, 0x70000000, v18
	v_and_or_b32 v21, v9, s17, 0.5
	v_pk_lshlrev_b16 v15, 8, v15 op_sel_hi:[0,1]
	v_lshlrev_b32_e32 v10, 25, v10
	v_add_f32_e32 v21, -0.5, v21
	v_mul_f32_e32 v18, 0x7800000, v18
	v_cmp_gt_u32_e64 s[0:1], s16, v2
	v_or_b32_sdwa v1, v8, v1 dst_sel:DWORD dst_unused:UNUSED_PAD src0_sel:WORD_0 src1_sel:DWORD
	v_lshlrev_b32_e32 v8, 25, v11
	v_lshrrev_b32_e32 v19, 4, v10
	v_lshrrev_b32_e32 v20, 4, v17
	v_lshrrev_b32_e32 v2, 16, v15
	v_cmp_gt_u32_e64 s[4:5], s16, v17
	v_lshrrev_b32_e32 v11, 4, v8
	v_cndmask_b32_e64 v17, v18, v21, s[0:1]
	v_lshrrev_b32_e32 v18, 16, v9
	v_or_b32_e32 v19, 0x70000000, v19
	v_and_or_b32 v2, v2, s17, 0.5
	v_or_b32_e32 v11, 0x70000000, v11
	v_and_or_b32 v18, v18, s17, 0.5
	v_add_f32_e32 v2, -0.5, v2
	v_mul_f32_e32 v19, 0x7800000, v19
	v_cmp_gt_u32_e64 s[2:3], s16, v10
	v_add_f32_e32 v18, -0.5, v18
	v_mul_f32_e32 v11, 0x7800000, v11
	v_cmp_gt_u32_e64 s[0:1], s16, v8
	v_or_b32_e32 v20, 0x70000000, v20
	v_and_or_b32 v10, v15, s17, 0.5
	v_cndmask_b32_e64 v2, v19, v2, s[2:3]
	v_cndmask_b32_e64 v8, v11, v18, s[0:1]
	v_lshlrev_b32_e32 v18, 16, v15
	v_and_b32_e32 v15, 0x80000000, v15
	v_add_f32_e32 v10, -0.5, v10
	v_mul_f32_e32 v20, 0x7800000, v20
	v_lshlrev_b32_e32 v11, 16, v9
	v_or_b32_e32 v2, v15, v2
	v_cndmask_b32_e64 v10, v20, v10, s[4:5]
	v_and_b32_e32 v18, 0x80000000, v18
	v_and_b32_e32 v9, 0x80000000, v9
	;; [unrolled: 1-line block ×3, first 2 shown]
	v_cmp_eq_f32_e64 s[0:1], v6, v2
	v_or_b32_e32 v8, v9, v8
	v_or_b32_e32 v9, v11, v17
	;; [unrolled: 1-line block ×3, first 2 shown]
	v_cndmask_b32_e64 v11, 0, 1, s[0:1]
	v_cmp_neq_f32_e64 s[0:1], v6, v2
	v_cndmask_b32_e64 v2, 0, 1, s[0:1]
	v_cmp_eq_f32_e64 s[0:1], v6, v10
	v_cndmask_b32_e32 v2, v2, v11, vcc
	v_cndmask_b32_e64 v11, 0, 1, s[0:1]
	v_cmp_neq_f32_e64 s[0:1], v6, v10
	v_cndmask_b32_e64 v10, 0, 1, s[0:1]
	v_cmp_eq_f32_e64 s[0:1], v6, v8
	v_cndmask_b32_e32 v10, v10, v11, vcc
	;; [unrolled: 5-line block ×3, first 2 shown]
	v_cndmask_b32_e64 v11, 0, 1, s[0:1]
	v_cmp_neq_f32_e64 s[0:1], v6, v9
	v_cndmask_b32_e64 v9, 0, 1, s[0:1]
	v_cndmask_b32_e32 v9, v9, v11, vcc
	v_and_b32_e32 v9, 1, v9
	v_and_b32_sdwa v8, v8, v16 dst_sel:BYTE_1 dst_unused:UNUSED_PAD src0_sel:DWORD src1_sel:DWORD
	v_lshrrev_b32_e32 v12, 24, v3
	v_or_b32_e32 v8, v9, v8
	v_and_b32_e32 v9, 1, v10
	v_and_b32_sdwa v2, v2, v16 dst_sel:BYTE_1 dst_unused:UNUSED_PAD src0_sel:DWORD src1_sel:DWORD
	v_lshrrev_b16_e32 v13, 8, v3
	v_or_b32_sdwa v2, v9, v2 dst_sel:WORD_1 dst_unused:UNUSED_PAD src0_sel:DWORD src1_sel:DWORD
	v_alignbit_b32 v9, v12, v3, 16
	v_or_b32_sdwa v2, v8, v2 dst_sel:DWORD dst_unused:UNUSED_PAD src0_sel:WORD_0 src1_sel:DWORD
	v_perm_b32 v8, v13, v3, s18
	v_pk_lshlrev_b16 v9, 8, v9 op_sel_hi:[0,1]
	v_lshlrev_b32_sdwa v10, v7, v3 dst_sel:DWORD dst_unused:UNUSED_PAD src0_sel:DWORD src1_sel:WORD_1
	v_lshlrev_b32_e32 v11, 25, v12
	v_lshlrev_b32_e32 v3, 25, v3
	v_lshrrev_b32_e32 v12, 4, v3
	v_lshrrev_b32_e32 v15, 4, v11
	;; [unrolled: 1-line block ×3, first 2 shown]
	v_cmp_gt_u32_e64 s[0:1], s16, v3
	v_lshrrev_b32_e32 v3, 16, v9
	v_or_b32_e32 v17, 0x70000000, v17
	v_or_b32_e32 v15, 0x70000000, v15
	v_and_or_b32 v3, v3, s17, 0.5
	v_cmp_gt_u32_e64 s[2:3], s16, v11
	v_and_or_b32 v11, v9, s17, 0.5
	v_pk_lshlrev_b16 v8, 8, v8 op_sel_hi:[0,1]
	v_add_f32_e32 v3, -0.5, v3
	v_mul_f32_e32 v15, 0x7800000, v15
	v_add_f32_e32 v11, -0.5, v11
	v_mul_f32_e32 v17, 0x7800000, v17
	v_cmp_gt_u32_e64 s[4:5], s16, v10
	v_lshlrev_b32_e32 v13, 25, v13
	v_or_b32_e32 v12, 0x70000000, v12
	v_and_or_b32 v18, v8, s17, 0.5
	v_cndmask_b32_e64 v11, v17, v11, s[4:5]
	v_lshrrev_b32_e32 v17, 4, v13
	v_cndmask_b32_e64 v3, v15, v3, s[2:3]
	v_lshrrev_b32_e32 v15, 16, v8
	v_add_f32_e32 v18, -0.5, v18
	v_mul_f32_e32 v12, 0x7800000, v12
	v_or_b32_e32 v17, 0x70000000, v17
	v_and_or_b32 v15, v15, s17, 0.5
	v_add_f32_e32 v15, -0.5, v15
	v_mul_f32_e32 v17, 0x7800000, v17
	v_cndmask_b32_e64 v12, v12, v18, s[0:1]
	v_cmp_gt_u32_e64 s[0:1], s16, v13
	v_cndmask_b32_e64 v13, v17, v15, s[0:1]
	v_lshlrev_b32_e32 v17, 16, v9
	v_and_b32_e32 v9, 0x80000000, v9
	v_or_b32_e32 v3, v9, v3
	v_and_b32_e32 v17, 0x80000000, v17
	v_cmp_eq_f32_e64 s[0:1], v6, v3
	v_or_b32_e32 v9, v17, v11
	v_cndmask_b32_e64 v11, 0, 1, s[0:1]
	v_cmp_neq_f32_e64 s[0:1], v6, v3
	v_lshlrev_b32_e32 v15, 16, v8
	v_and_b32_e32 v8, 0x80000000, v8
	v_cndmask_b32_e64 v3, 0, 1, s[0:1]
	v_cmp_eq_f32_e64 s[0:1], v6, v9
	v_or_b32_e32 v8, v8, v13
	v_cndmask_b32_e32 v3, v3, v11, vcc
	v_cndmask_b32_e64 v11, 0, 1, s[0:1]
	v_cmp_neq_f32_e64 s[0:1], v6, v9
	v_and_b32_e32 v15, 0x80000000, v15
	v_cndmask_b32_e64 v9, 0, 1, s[0:1]
	v_cmp_eq_f32_e64 s[0:1], v6, v8
	v_or_b32_e32 v12, v15, v12
	v_cndmask_b32_e32 v9, v9, v11, vcc
	v_cndmask_b32_e64 v11, 0, 1, s[0:1]
	v_cmp_neq_f32_e64 s[0:1], v6, v8
	v_cndmask_b32_e64 v8, 0, 1, s[0:1]
	v_cmp_eq_f32_e64 s[0:1], v6, v12
	v_cndmask_b32_e32 v8, v8, v11, vcc
	v_cndmask_b32_e64 v11, 0, 1, s[0:1]
	v_cmp_neq_f32_e64 s[0:1], v6, v12
	v_cndmask_b32_e64 v12, 0, 1, s[0:1]
	v_lshrrev_b32_e32 v14, 24, v4
	v_cndmask_b32_e32 v11, v12, v11, vcc
	v_and_b32_e32 v9, 1, v9
	v_and_b32_sdwa v3, v3, v16 dst_sel:BYTE_1 dst_unused:UNUSED_PAD src0_sel:DWORD src1_sel:DWORD
	v_and_b32_e32 v11, 1, v11
	v_and_b32_sdwa v8, v8, v16 dst_sel:BYTE_1 dst_unused:UNUSED_PAD src0_sel:DWORD src1_sel:DWORD
	v_or_b32_sdwa v3, v9, v3 dst_sel:WORD_1 dst_unused:UNUSED_PAD src0_sel:DWORD src1_sel:DWORD
	v_alignbit_b32 v9, v14, v4, 16
	v_lshlrev_b32_sdwa v7, v7, v4 dst_sel:DWORD dst_unused:UNUSED_PAD src0_sel:DWORD src1_sel:WORD_1
	v_lshrrev_b16_e32 v10, 8, v4
	v_or_b32_e32 v8, v11, v8
	v_pk_lshlrev_b16 v9, 8, v9 op_sel_hi:[0,1]
	v_lshlrev_b32_e32 v11, 25, v14
	v_lshrrev_b32_e32 v15, 4, v7
	v_or_b32_sdwa v3, v8, v3 dst_sel:DWORD dst_unused:UNUSED_PAD src0_sel:WORD_0 src1_sel:DWORD
	v_perm_b32 v8, v10, v4, s18
	v_lshlrev_b32_e32 v4, 25, v4
	v_lshrrev_b32_e32 v14, 4, v11
	v_or_b32_e32 v15, 0x70000000, v15
	v_and_or_b32 v17, v9, s17, 0.5
	v_lshrrev_b32_e32 v18, 16, v9
	v_pk_lshlrev_b16 v8, 8, v8 op_sel_hi:[0,1]
	v_lshrrev_b32_e32 v13, 4, v4
	v_or_b32_e32 v14, 0x70000000, v14
	v_and_or_b32 v18, v18, s17, 0.5
	v_add_f32_e32 v17, -0.5, v17
	v_mul_f32_e32 v15, 0x7800000, v15
	v_cmp_gt_u32_e64 s[0:1], s16, v7
	v_lshlrev_b32_e32 v10, 25, v10
	v_or_b32_e32 v13, 0x70000000, v13
	v_and_or_b32 v19, v8, s17, 0.5
	v_add_f32_e32 v18, -0.5, v18
	v_mul_f32_e32 v14, 0x7800000, v14
	v_cndmask_b32_e64 v7, v15, v17, s[0:1]
	v_cmp_gt_u32_e64 s[0:1], s16, v11
	v_lshrrev_b32_e32 v12, 4, v10
	v_lshrrev_b32_e32 v20, 16, v8
	v_add_f32_e32 v19, -0.5, v19
	v_mul_f32_e32 v13, 0x7800000, v13
	v_cndmask_b32_e64 v11, v14, v18, s[0:1]
	v_cmp_gt_u32_e64 s[0:1], s16, v4
	v_or_b32_e32 v12, 0x70000000, v12
	v_and_or_b32 v20, v20, s17, 0.5
	v_cndmask_b32_e64 v4, v13, v19, s[0:1]
	v_lshlrev_b32_e32 v13, 16, v9
	v_and_b32_e32 v9, 0x80000000, v9
	v_add_f32_e32 v20, -0.5, v20
	v_mul_f32_e32 v12, 0x7800000, v12
	v_cmp_gt_u32_e64 s[0:1], s16, v10
	v_or_b32_e32 v9, v9, v11
	v_cndmask_b32_e64 v10, v12, v20, s[0:1]
	v_lshlrev_b32_e32 v12, 16, v8
	v_and_b32_e32 v13, 0x80000000, v13
	v_and_b32_e32 v8, 0x80000000, v8
	v_cmp_eq_f32_e64 s[0:1], v6, v9
	v_or_b32_e32 v8, v8, v10
	v_or_b32_e32 v7, v13, v7
	v_cndmask_b32_e64 v10, 0, 1, s[0:1]
	v_cmp_neq_f32_e64 s[0:1], v6, v9
	v_cndmask_b32_e64 v9, 0, 1, s[0:1]
	v_cmp_eq_f32_e64 s[0:1], v6, v7
	v_cndmask_b32_e32 v9, v9, v10, vcc
	v_cndmask_b32_e64 v10, 0, 1, s[0:1]
	v_cmp_neq_f32_e64 s[0:1], v6, v7
	v_and_b32_e32 v12, 0x80000000, v12
	v_cndmask_b32_e64 v7, 0, 1, s[0:1]
	v_cmp_eq_f32_e64 s[0:1], v6, v8
	v_or_b32_e32 v4, v12, v4
	v_cndmask_b32_e32 v7, v7, v10, vcc
	v_cndmask_b32_e64 v10, 0, 1, s[0:1]
	v_cmp_neq_f32_e64 s[0:1], v6, v8
	v_cndmask_b32_e64 v8, 0, 1, s[0:1]
	v_cmp_eq_f32_e64 s[0:1], v6, v4
	v_cndmask_b32_e32 v8, v8, v10, vcc
	v_cndmask_b32_e64 v10, 0, 1, s[0:1]
	v_cmp_neq_f32_e64 s[0:1], v6, v4
	v_cndmask_b32_e64 v4, 0, 1, s[0:1]
	v_cndmask_b32_e32 v4, v4, v10, vcc
	v_and_b32_e32 v4, 1, v4
	v_and_b32_sdwa v6, v8, v16 dst_sel:BYTE_1 dst_unused:UNUSED_PAD src0_sel:DWORD src1_sel:DWORD
	v_or_b32_e32 v4, v4, v6
	v_and_b32_e32 v6, 1, v7
	v_and_b32_sdwa v7, v9, v16 dst_sel:BYTE_1 dst_unused:UNUSED_PAD src0_sel:DWORD src1_sel:DWORD
	v_or_b32_sdwa v6, v6, v7 dst_sel:WORD_1 dst_unused:UNUSED_PAD src0_sel:DWORD src1_sel:DWORD
	v_or_b32_sdwa v4, v4, v6 dst_sel:DWORD dst_unused:UNUSED_PAD src0_sel:WORD_0 src1_sel:DWORD
	global_store_dwordx4 v5, v[1:4], s[6:7]
	s_mov_b64 s[0:1], 0
.LBB235_2:
	s_andn2_b64 vcc, exec, s[0:1]
	s_cbranch_vccnz .LBB235_83
; %bb.3:
	v_cmp_gt_i32_e32 vcc, s8, v0
	v_mov_b32_e32 v3, 0
	v_or_b32_e32 v4, s11, v0
	v_mov_b32_e32 v5, 0
	v_mov_b32_e32 v6, 0
	;; [unrolled: 1-line block ×16, first 2 shown]
	s_and_saveexec_b64 s[2:3], vcc
	s_cbranch_execz .LBB235_35
; %bb.4:
	global_load_ubyte v21, v4, s[14:15]
	v_or_b32_e32 v1, 0x100, v0
	v_cmp_gt_u32_e64 s[0:1], s8, v1
	v_mov_b32_e32 v22, 0
	v_mov_b32_e32 v20, 0
	;; [unrolled: 1-line block ×15, first 2 shown]
	s_and_saveexec_b64 s[4:5], s[0:1]
	s_cbranch_execz .LBB235_34
; %bb.5:
	v_add_u32_e32 v1, s11, v0
	global_load_ubyte v22, v1, s[14:15] offset:256
	v_or_b32_e32 v2, 0x200, v0
	v_mov_b32_e32 v20, 0
	v_cmp_gt_u32_e64 s[0:1], s8, v2
	v_mov_b32_e32 v18, 0
	v_mov_b32_e32 v17, 0
	;; [unrolled: 1-line block ×13, first 2 shown]
	s_and_saveexec_b64 s[6:7], s[0:1]
	s_cbranch_execz .LBB235_33
; %bb.6:
	v_mov_b32_e32 v2, s15
	v_add_co_u32_e64 v1, s[0:1], s14, v1
	v_addc_co_u32_e64 v2, s[0:1], 0, v2, s[0:1]
	global_load_ubyte v20, v[1:2], off offset:512
	v_or_b32_e32 v5, 0x300, v0
	v_cmp_gt_u32_e64 s[0:1], s8, v5
	v_mov_b32_e32 v18, 0
	v_mov_b32_e32 v17, 0
	;; [unrolled: 1-line block ×13, first 2 shown]
	s_and_saveexec_b64 s[14:15], s[0:1]
	s_cbranch_execz .LBB235_32
; %bb.7:
	global_load_ubyte v18, v[1:2], off offset:768
	v_or_b32_e32 v5, 0x400, v0
	v_cmp_gt_u32_e64 s[0:1], s8, v5
	v_mov_b32_e32 v17, 0
	v_mov_b32_e32 v16, 0
	;; [unrolled: 1-line block ×12, first 2 shown]
	s_and_saveexec_b64 s[16:17], s[0:1]
	s_cbranch_execz .LBB235_31
; %bb.8:
	global_load_ubyte v17, v[1:2], off offset:1024
	v_or_b32_e32 v5, 0x500, v0
	v_cmp_gt_u32_e64 s[0:1], s8, v5
	v_mov_b32_e32 v16, 0
	v_mov_b32_e32 v14, 0
	;; [unrolled: 1-line block ×11, first 2 shown]
	s_and_saveexec_b64 s[18:19], s[0:1]
	s_cbranch_execz .LBB235_30
; %bb.9:
	global_load_ubyte v16, v[1:2], off offset:1280
	v_or_b32_e32 v5, 0x600, v0
	v_cmp_gt_u32_e64 s[0:1], s8, v5
	v_mov_b32_e32 v14, 0
	v_mov_b32_e32 v13, 0
	;; [unrolled: 1-line block ×10, first 2 shown]
	s_and_saveexec_b64 s[20:21], s[0:1]
	s_cbranch_execz .LBB235_29
; %bb.10:
	global_load_ubyte v14, v[1:2], off offset:1536
	v_or_b32_e32 v5, 0x700, v0
	v_cmp_gt_u32_e64 s[0:1], s8, v5
	v_mov_b32_e32 v13, 0
	v_mov_b32_e32 v12, 0
	;; [unrolled: 1-line block ×9, first 2 shown]
	s_and_saveexec_b64 s[22:23], s[0:1]
	s_cbranch_execz .LBB235_28
; %bb.11:
	global_load_ubyte v13, v[1:2], off offset:1792
	v_or_b32_e32 v5, 0x800, v0
	v_cmp_gt_u32_e64 s[0:1], s8, v5
	v_mov_b32_e32 v12, 0
	v_mov_b32_e32 v11, 0
	v_mov_b32_e32 v10, 0
	v_mov_b32_e32 v9, 0
	v_mov_b32_e32 v8, 0
	v_mov_b32_e32 v7, 0
	v_mov_b32_e32 v6, 0
	v_mov_b32_e32 v5, 0
	s_and_saveexec_b64 s[24:25], s[0:1]
	s_cbranch_execz .LBB235_27
; %bb.12:
	global_load_ubyte v12, v[1:2], off offset:2048
	v_or_b32_e32 v5, 0x900, v0
	v_cmp_gt_u32_e64 s[0:1], s8, v5
	v_mov_b32_e32 v11, 0
	v_mov_b32_e32 v10, 0
	;; [unrolled: 1-line block ×7, first 2 shown]
	s_and_saveexec_b64 s[26:27], s[0:1]
	s_cbranch_execz .LBB235_26
; %bb.13:
	global_load_ubyte v11, v[1:2], off offset:2304
	v_or_b32_e32 v5, 0xa00, v0
	v_cmp_gt_u32_e64 s[0:1], s8, v5
	v_mov_b32_e32 v10, 0
	v_mov_b32_e32 v9, 0
	;; [unrolled: 1-line block ×6, first 2 shown]
	s_and_saveexec_b64 s[28:29], s[0:1]
	s_cbranch_execz .LBB235_25
; %bb.14:
	global_load_ubyte v10, v[1:2], off offset:2560
	v_or_b32_e32 v5, 0xb00, v0
	v_cmp_gt_u32_e64 s[0:1], s8, v5
	v_mov_b32_e32 v9, 0
	v_mov_b32_e32 v8, 0
	;; [unrolled: 1-line block ×5, first 2 shown]
	s_and_saveexec_b64 s[30:31], s[0:1]
	s_cbranch_execz .LBB235_24
; %bb.15:
	global_load_ubyte v9, v[1:2], off offset:2816
	v_or_b32_e32 v5, 0xc00, v0
	v_cmp_gt_u32_e64 s[0:1], s8, v5
	v_mov_b32_e32 v8, 0
	v_mov_b32_e32 v7, 0
	;; [unrolled: 1-line block ×4, first 2 shown]
	s_and_saveexec_b64 s[34:35], s[0:1]
	s_cbranch_execz .LBB235_23
; %bb.16:
	global_load_ubyte v8, v[1:2], off offset:3072
	v_or_b32_e32 v5, 0xd00, v0
	v_cmp_gt_u32_e64 s[0:1], s8, v5
	v_mov_b32_e32 v7, 0
	v_mov_b32_e32 v6, 0
	;; [unrolled: 1-line block ×3, first 2 shown]
	s_and_saveexec_b64 s[36:37], s[0:1]
	s_cbranch_execz .LBB235_22
; %bb.17:
	global_load_ubyte v7, v[1:2], off offset:3328
	v_or_b32_e32 v5, 0xe00, v0
	v_cmp_gt_u32_e64 s[0:1], s8, v5
	v_mov_b32_e32 v6, 0
	v_mov_b32_e32 v5, 0
	s_and_saveexec_b64 s[38:39], s[0:1]
	s_cbranch_execz .LBB235_21
; %bb.18:
	global_load_ubyte v6, v[1:2], off offset:3584
	v_or_b32_e32 v5, 0xf00, v0
	v_cmp_gt_u32_e64 s[0:1], s8, v5
	v_mov_b32_e32 v5, 0
	s_and_saveexec_b64 s[40:41], s[0:1]
	s_cbranch_execz .LBB235_20
; %bb.19:
	global_load_ubyte v5, v[1:2], off offset:3840
.LBB235_20:
	s_or_b64 exec, exec, s[40:41]
.LBB235_21:
	s_or_b64 exec, exec, s[38:39]
.LBB235_22:
	s_or_b64 exec, exec, s[36:37]
.LBB235_23:
	s_or_b64 exec, exec, s[34:35]
.LBB235_24:
	s_or_b64 exec, exec, s[30:31]
.LBB235_25:
	s_or_b64 exec, exec, s[28:29]
.LBB235_26:
	s_or_b64 exec, exec, s[26:27]
.LBB235_27:
	s_or_b64 exec, exec, s[24:25]
.LBB235_28:
	s_or_b64 exec, exec, s[22:23]
.LBB235_29:
	s_or_b64 exec, exec, s[20:21]
.LBB235_30:
	s_or_b64 exec, exec, s[18:19]
.LBB235_31:
	s_or_b64 exec, exec, s[16:17]
.LBB235_32:
	s_or_b64 exec, exec, s[14:15]
.LBB235_33:
	s_or_b64 exec, exec, s[6:7]
.LBB235_34:
	s_or_b64 exec, exec, s[4:5]
.LBB235_35:
	s_or_b64 exec, exec, s[2:3]
	s_cmp_eq_u32 s9, 0
	s_cselect_b64 s[0:1], -1, 0
	s_lshl_b32 s2, s10, 8
	s_lshl_b32 s3, s10, 25
	s_lshr_b32 s4, s3, 4
	s_and_b32 s2, s2, 0x7f00
	s_or_b32 s4, s4, 0x70000000
	s_or_b32 s2, s2, 0.5
	s_cmp_lt_u32 s3, 0x8000000
	v_mov_b32_e32 v2, 0x7800000
	v_add_f32_e64 v1, s2, -0.5
	v_mul_f32_e32 v2, s4, v2
	s_cselect_b64 s[2:3], -1, 0
	v_cndmask_b32_e64 v1, v2, v1, s[2:3]
	s_lshl_b32 s2, s10, 24
	s_and_b32 s2, s2, 0x80000000
	s_movk_i32 s7, 0x7f00
	s_brev_b32 s6, 16
	s_brev_b32 s9, 1
	v_or_b32_e32 v19, s2, v1
	v_mov_b32_e32 v15, v3
	v_mov_b32_e32 v2, v3
	;; [unrolled: 1-line block ×3, first 2 shown]
	s_and_saveexec_b64 s[4:5], vcc
	s_cbranch_execz .LBB235_37
; %bb.36:
	s_waitcnt vmcnt(0)
	v_lshlrev_b32_e32 v2, 25, v21
	v_lshlrev_b16_e32 v1, 8, v21
	v_lshrrev_b32_e32 v3, 4, v2
	v_or_b32_e32 v3, 0x70000000, v3
	v_and_or_b32 v15, v1, s7, 0.5
	v_add_f32_e32 v15, -0.5, v15
	v_mul_f32_e32 v3, 0x7800000, v3
	v_cmp_gt_u32_e64 s[2:3], s6, v2
	v_cndmask_b32_e64 v2, v3, v15, s[2:3]
	v_bfe_i32 v1, v1, 0, 16
	v_and_or_b32 v1, v1, s9, v2
	v_cmp_eq_f32_e64 s[2:3], v19, v1
	v_cndmask_b32_e64 v2, 0, 1, s[2:3]
	v_cmp_neq_f32_e64 s[2:3], v19, v1
	v_cndmask_b32_e64 v1, 0, 1, s[2:3]
	v_cndmask_b32_e64 v1, v1, v2, s[0:1]
	v_and_b32_e32 v1, 1, v1
	v_mov_b32_e32 v15, 0
	v_and_b32_e32 v3, 0xffff, v1
	v_mov_b32_e32 v2, v15
	v_mov_b32_e32 v1, v15
.LBB235_37:
	s_or_b64 exec, exec, s[4:5]
	s_waitcnt vmcnt(0)
	v_or_b32_e32 v21, 0x100, v0
	v_cmp_gt_i32_e64 s[2:3], s8, v21
	s_and_saveexec_b64 s[4:5], s[2:3]
	s_cbranch_execz .LBB235_39
; %bb.38:
	v_lshlrev_b16_e32 v23, 8, v22
	v_lshlrev_b32_e32 v22, 25, v22
	v_lshrrev_b32_e32 v24, 4, v22
	s_movk_i32 s2, 0x7f00
	v_or_b32_e32 v24, 0x70000000, v24
	v_and_or_b32 v25, v23, s2, 0.5
	s_brev_b32 s2, 16
	v_add_f32_e32 v25, -0.5, v25
	v_mul_f32_e32 v24, 0x7800000, v24
	v_cmp_gt_u32_e64 s[2:3], s2, v22
	v_cndmask_b32_e64 v22, v24, v25, s[2:3]
	v_bfe_i32 v23, v23, 0, 16
	s_brev_b32 s2, 1
	v_and_or_b32 v22, v23, s2, v22
	v_cmp_eq_f32_e64 s[2:3], v19, v22
	v_cndmask_b32_e64 v23, 0, 1, s[2:3]
	v_cmp_neq_f32_e64 s[2:3], v19, v22
	v_cndmask_b32_e64 v22, 0, 1, s[2:3]
	v_cndmask_b32_e64 v22, v22, v23, s[0:1]
	v_mov_b32_e32 v23, 1
	v_and_b32_sdwa v22, v22, v23 dst_sel:BYTE_1 dst_unused:UNUSED_PAD src0_sel:DWORD src1_sel:DWORD
	v_or_b32_sdwa v22, v3, v22 dst_sel:DWORD dst_unused:UNUSED_PAD src0_sel:BYTE_0 src1_sel:DWORD
	v_and_b32_e32 v22, 0xffff, v22
	s_mov_b32 s2, 0xffff0000
	v_and_or_b32 v3, v3, s2, v22
.LBB235_39:
	s_or_b64 exec, exec, s[4:5]
	v_or_b32_e32 v22, 0x200, v0
	v_cmp_gt_i32_e64 s[2:3], s8, v22
	s_and_saveexec_b64 s[4:5], s[2:3]
	s_cbranch_execz .LBB235_41
; %bb.40:
	s_movk_i32 s2, 0xff00
	v_lshlrev_b16_e32 v23, 8, v20
	v_lshlrev_b32_e32 v20, 25, v20
	v_and_b32_sdwa v22, v3, s2 dst_sel:DWORD dst_unused:UNUSED_PAD src0_sel:WORD_1 src1_sel:DWORD
	v_lshrrev_b32_e32 v24, 4, v20
	s_movk_i32 s2, 0x7f00
	v_or_b32_e32 v24, 0x70000000, v24
	v_and_or_b32 v25, v23, s2, 0.5
	s_brev_b32 s2, 16
	v_add_f32_e32 v25, -0.5, v25
	v_mul_f32_e32 v24, 0x7800000, v24
	v_cmp_gt_u32_e64 s[2:3], s2, v20
	v_cndmask_b32_e64 v20, v24, v25, s[2:3]
	v_bfe_i32 v23, v23, 0, 16
	s_brev_b32 s2, 1
	v_and_or_b32 v20, v23, s2, v20
	v_cmp_eq_f32_e64 s[2:3], v19, v20
	v_cndmask_b32_e64 v23, 0, 1, s[2:3]
	v_cmp_neq_f32_e64 s[2:3], v19, v20
	v_cndmask_b32_e64 v20, 0, 1, s[2:3]
	v_cndmask_b32_e64 v20, v20, v23, s[0:1]
	v_and_b32_e32 v20, 1, v20
	v_or_b32_sdwa v20, v20, v22 dst_sel:WORD_1 dst_unused:UNUSED_PAD src0_sel:DWORD src1_sel:DWORD
	s_mov_b32 s2, 0xffff
	v_and_or_b32 v3, v3, s2, v20
.LBB235_41:
	s_or_b64 exec, exec, s[4:5]
	v_or_b32_e32 v20, 0x300, v0
	v_cmp_gt_i32_e64 s[2:3], s8, v20
	s_and_saveexec_b64 s[4:5], s[2:3]
	s_cbranch_execz .LBB235_43
; %bb.42:
	s_movk_i32 s2, 0xff
	v_lshlrev_b16_e32 v22, 8, v18
	v_lshlrev_b32_e32 v18, 25, v18
	v_and_b32_sdwa v20, v3, s2 dst_sel:DWORD dst_unused:UNUSED_PAD src0_sel:WORD_1 src1_sel:DWORD
	v_lshrrev_b32_e32 v23, 4, v18
	s_movk_i32 s2, 0x7f00
	v_or_b32_e32 v23, 0x70000000, v23
	v_and_or_b32 v24, v22, s2, 0.5
	s_brev_b32 s2, 16
	v_add_f32_e32 v24, -0.5, v24
	v_mul_f32_e32 v23, 0x7800000, v23
	v_cmp_gt_u32_e64 s[2:3], s2, v18
	v_cndmask_b32_e64 v18, v23, v24, s[2:3]
	v_bfe_i32 v22, v22, 0, 16
	s_brev_b32 s2, 1
	v_and_or_b32 v18, v22, s2, v18
	v_cmp_eq_f32_e64 s[2:3], v19, v18
	v_cndmask_b32_e64 v22, 0, 1, s[2:3]
	v_cmp_neq_f32_e64 s[2:3], v19, v18
	v_cndmask_b32_e64 v18, 0, 1, s[2:3]
	v_cndmask_b32_e64 v18, v18, v22, s[0:1]
	v_mov_b32_e32 v22, 1
	v_and_b32_sdwa v18, v18, v22 dst_sel:BYTE_1 dst_unused:UNUSED_PAD src0_sel:DWORD src1_sel:DWORD
	v_or_b32_sdwa v18, v20, v18 dst_sel:WORD_1 dst_unused:UNUSED_PAD src0_sel:DWORD src1_sel:DWORD
	s_mov_b32 s2, 0xffff
	v_and_or_b32 v3, v3, s2, v18
.LBB235_43:
	s_or_b64 exec, exec, s[4:5]
	v_or_b32_e32 v18, 0x400, v0
	v_cmp_gt_i32_e64 s[2:3], s8, v18
	s_and_saveexec_b64 s[4:5], s[2:3]
	s_cbranch_execz .LBB235_45
; %bb.44:
	v_lshlrev_b16_e32 v20, 8, v17
	v_lshlrev_b32_e32 v17, 25, v17
	v_lshrrev_b32_e32 v22, 4, v17
	s_movk_i32 s2, 0x7f00
	v_or_b32_e32 v22, 0x70000000, v22
	v_and_or_b32 v23, v20, s2, 0.5
	s_brev_b32 s2, 16
	v_add_f32_e32 v23, -0.5, v23
	v_mul_f32_e32 v22, 0x7800000, v22
	v_cmp_gt_u32_e64 s[2:3], s2, v17
	v_cndmask_b32_e64 v17, v22, v23, s[2:3]
	v_bfe_i32 v20, v20, 0, 16
	s_brev_b32 s2, 1
	v_and_or_b32 v17, v20, s2, v17
	v_cmp_eq_f32_e64 s[2:3], v19, v17
	v_cndmask_b32_e64 v20, 0, 1, s[2:3]
	v_cmp_neq_f32_e64 s[2:3], v19, v17
	v_cndmask_b32_e64 v17, 0, 1, s[2:3]
	v_cndmask_b32_e64 v17, v17, v20, s[0:1]
	v_and_b32_e32 v18, 0xffffff00, v15
	v_and_b32_e32 v17, 1, v17
	v_or_b32_e32 v17, v17, v18
	v_and_b32_e32 v17, 0xffff, v17
	s_mov_b32 s2, 0xffff0000
	v_and_or_b32 v15, v15, s2, v17
.LBB235_45:
	s_or_b64 exec, exec, s[4:5]
	v_or_b32_e32 v17, 0x500, v0
	v_cmp_gt_i32_e64 s[2:3], s8, v17
	s_and_saveexec_b64 s[4:5], s[2:3]
	s_cbranch_execz .LBB235_47
; %bb.46:
	v_lshlrev_b16_e32 v17, 8, v16
	v_lshlrev_b32_e32 v16, 25, v16
	v_lshrrev_b32_e32 v18, 4, v16
	s_movk_i32 s2, 0x7f00
	v_or_b32_e32 v18, 0x70000000, v18
	v_and_or_b32 v20, v17, s2, 0.5
	s_brev_b32 s2, 16
	v_add_f32_e32 v20, -0.5, v20
	v_mul_f32_e32 v18, 0x7800000, v18
	v_cmp_gt_u32_e64 s[2:3], s2, v16
	v_cndmask_b32_e64 v16, v18, v20, s[2:3]
	v_bfe_i32 v17, v17, 0, 16
	s_brev_b32 s2, 1
	v_and_or_b32 v16, v17, s2, v16
	v_cmp_eq_f32_e64 s[2:3], v19, v16
	v_cndmask_b32_e64 v17, 0, 1, s[2:3]
	v_cmp_neq_f32_e64 s[2:3], v19, v16
	v_cndmask_b32_e64 v16, 0, 1, s[2:3]
	v_cndmask_b32_e64 v16, v16, v17, s[0:1]
	v_mov_b32_e32 v17, 1
	v_and_b32_sdwa v16, v16, v17 dst_sel:BYTE_1 dst_unused:UNUSED_PAD src0_sel:DWORD src1_sel:DWORD
	v_or_b32_sdwa v16, v15, v16 dst_sel:DWORD dst_unused:UNUSED_PAD src0_sel:BYTE_0 src1_sel:DWORD
	v_and_b32_e32 v16, 0xffff, v16
	s_mov_b32 s2, 0xffff0000
	v_and_or_b32 v15, v15, s2, v16
.LBB235_47:
	s_or_b64 exec, exec, s[4:5]
	v_or_b32_e32 v16, 0x600, v0
	v_cmp_gt_i32_e64 s[2:3], s8, v16
	s_and_saveexec_b64 s[4:5], s[2:3]
	s_cbranch_execz .LBB235_49
; %bb.48:
	s_movk_i32 s2, 0xff00
	v_lshlrev_b16_e32 v17, 8, v14
	v_lshlrev_b32_e32 v14, 25, v14
	v_and_b32_sdwa v16, v15, s2 dst_sel:DWORD dst_unused:UNUSED_PAD src0_sel:WORD_1 src1_sel:DWORD
	v_lshrrev_b32_e32 v18, 4, v14
	s_movk_i32 s2, 0x7f00
	v_or_b32_e32 v18, 0x70000000, v18
	v_and_or_b32 v20, v17, s2, 0.5
	s_brev_b32 s2, 16
	v_add_f32_e32 v20, -0.5, v20
	v_mul_f32_e32 v18, 0x7800000, v18
	v_cmp_gt_u32_e64 s[2:3], s2, v14
	v_cndmask_b32_e64 v14, v18, v20, s[2:3]
	v_bfe_i32 v17, v17, 0, 16
	s_brev_b32 s2, 1
	v_and_or_b32 v14, v17, s2, v14
	v_cmp_eq_f32_e64 s[2:3], v19, v14
	v_cndmask_b32_e64 v17, 0, 1, s[2:3]
	v_cmp_neq_f32_e64 s[2:3], v19, v14
	v_cndmask_b32_e64 v14, 0, 1, s[2:3]
	v_cndmask_b32_e64 v14, v14, v17, s[0:1]
	v_and_b32_e32 v14, 1, v14
	v_or_b32_sdwa v14, v14, v16 dst_sel:WORD_1 dst_unused:UNUSED_PAD src0_sel:DWORD src1_sel:DWORD
	s_mov_b32 s2, 0xffff
	v_and_or_b32 v15, v15, s2, v14
.LBB235_49:
	s_or_b64 exec, exec, s[4:5]
	v_or_b32_e32 v14, 0x700, v0
	v_cmp_gt_i32_e64 s[2:3], s8, v14
	s_and_saveexec_b64 s[4:5], s[2:3]
	s_cbranch_execz .LBB235_51
; %bb.50:
	s_movk_i32 s2, 0xff
	v_lshlrev_b16_e32 v16, 8, v13
	v_lshlrev_b32_e32 v13, 25, v13
	v_and_b32_sdwa v14, v15, s2 dst_sel:DWORD dst_unused:UNUSED_PAD src0_sel:WORD_1 src1_sel:DWORD
	v_lshrrev_b32_e32 v17, 4, v13
	s_movk_i32 s2, 0x7f00
	v_or_b32_e32 v17, 0x70000000, v17
	v_and_or_b32 v18, v16, s2, 0.5
	s_brev_b32 s2, 16
	v_add_f32_e32 v18, -0.5, v18
	v_mul_f32_e32 v17, 0x7800000, v17
	v_cmp_gt_u32_e64 s[2:3], s2, v13
	v_cndmask_b32_e64 v13, v17, v18, s[2:3]
	v_bfe_i32 v16, v16, 0, 16
	s_brev_b32 s2, 1
	v_and_or_b32 v13, v16, s2, v13
	v_cmp_eq_f32_e64 s[2:3], v19, v13
	v_cndmask_b32_e64 v16, 0, 1, s[2:3]
	v_cmp_neq_f32_e64 s[2:3], v19, v13
	v_cndmask_b32_e64 v13, 0, 1, s[2:3]
	v_cndmask_b32_e64 v13, v13, v16, s[0:1]
	v_mov_b32_e32 v16, 1
	v_and_b32_sdwa v13, v13, v16 dst_sel:BYTE_1 dst_unused:UNUSED_PAD src0_sel:DWORD src1_sel:DWORD
	v_or_b32_sdwa v13, v14, v13 dst_sel:WORD_1 dst_unused:UNUSED_PAD src0_sel:DWORD src1_sel:DWORD
	s_mov_b32 s2, 0xffff
	v_and_or_b32 v15, v15, s2, v13
.LBB235_51:
	s_or_b64 exec, exec, s[4:5]
	v_or_b32_e32 v13, 0x800, v0
	v_cmp_gt_i32_e64 s[2:3], s8, v13
	s_and_saveexec_b64 s[4:5], s[2:3]
	s_cbranch_execz .LBB235_53
; %bb.52:
	v_lshlrev_b16_e32 v14, 8, v12
	v_lshlrev_b32_e32 v12, 25, v12
	v_lshrrev_b32_e32 v16, 4, v12
	s_movk_i32 s2, 0x7f00
	v_or_b32_e32 v16, 0x70000000, v16
	v_and_or_b32 v17, v14, s2, 0.5
	s_brev_b32 s2, 16
	v_add_f32_e32 v17, -0.5, v17
	v_mul_f32_e32 v16, 0x7800000, v16
	v_cmp_gt_u32_e64 s[2:3], s2, v12
	v_cndmask_b32_e64 v12, v16, v17, s[2:3]
	v_bfe_i32 v14, v14, 0, 16
	s_brev_b32 s2, 1
	v_and_or_b32 v12, v14, s2, v12
	v_cmp_eq_f32_e64 s[2:3], v19, v12
	v_cndmask_b32_e64 v14, 0, 1, s[2:3]
	v_cmp_neq_f32_e64 s[2:3], v19, v12
	v_cndmask_b32_e64 v12, 0, 1, s[2:3]
	v_cndmask_b32_e64 v12, v12, v14, s[0:1]
	v_and_b32_e32 v13, 0xffffff00, v2
	v_and_b32_e32 v12, 1, v12
	v_or_b32_e32 v12, v12, v13
	v_and_b32_e32 v12, 0xffff, v12
	s_mov_b32 s2, 0xffff0000
	v_and_or_b32 v2, v2, s2, v12
.LBB235_53:
	s_or_b64 exec, exec, s[4:5]
	v_or_b32_e32 v12, 0x900, v0
	v_cmp_gt_i32_e64 s[2:3], s8, v12
	s_and_saveexec_b64 s[4:5], s[2:3]
	s_cbranch_execz .LBB235_55
; %bb.54:
	v_lshlrev_b16_e32 v12, 8, v11
	v_lshlrev_b32_e32 v11, 25, v11
	v_lshrrev_b32_e32 v13, 4, v11
	s_movk_i32 s2, 0x7f00
	v_or_b32_e32 v13, 0x70000000, v13
	v_and_or_b32 v14, v12, s2, 0.5
	s_brev_b32 s2, 16
	v_add_f32_e32 v14, -0.5, v14
	v_mul_f32_e32 v13, 0x7800000, v13
	v_cmp_gt_u32_e64 s[2:3], s2, v11
	v_cndmask_b32_e64 v11, v13, v14, s[2:3]
	v_bfe_i32 v12, v12, 0, 16
	s_brev_b32 s2, 1
	v_and_or_b32 v11, v12, s2, v11
	v_cmp_eq_f32_e64 s[2:3], v19, v11
	v_cndmask_b32_e64 v12, 0, 1, s[2:3]
	v_cmp_neq_f32_e64 s[2:3], v19, v11
	v_cndmask_b32_e64 v11, 0, 1, s[2:3]
	v_cndmask_b32_e64 v11, v11, v12, s[0:1]
	v_mov_b32_e32 v12, 1
	v_and_b32_sdwa v11, v11, v12 dst_sel:BYTE_1 dst_unused:UNUSED_PAD src0_sel:DWORD src1_sel:DWORD
	v_or_b32_sdwa v11, v2, v11 dst_sel:DWORD dst_unused:UNUSED_PAD src0_sel:BYTE_0 src1_sel:DWORD
	v_and_b32_e32 v11, 0xffff, v11
	s_mov_b32 s2, 0xffff0000
	v_and_or_b32 v2, v2, s2, v11
.LBB235_55:
	s_or_b64 exec, exec, s[4:5]
	v_or_b32_e32 v11, 0xa00, v0
	v_cmp_gt_i32_e64 s[2:3], s8, v11
	s_and_saveexec_b64 s[4:5], s[2:3]
	s_cbranch_execz .LBB235_57
; %bb.56:
	s_movk_i32 s2, 0xff00
	v_lshlrev_b16_e32 v12, 8, v10
	v_lshlrev_b32_e32 v10, 25, v10
	v_and_b32_sdwa v11, v2, s2 dst_sel:DWORD dst_unused:UNUSED_PAD src0_sel:WORD_1 src1_sel:DWORD
	v_lshrrev_b32_e32 v13, 4, v10
	s_movk_i32 s2, 0x7f00
	v_or_b32_e32 v13, 0x70000000, v13
	v_and_or_b32 v14, v12, s2, 0.5
	s_brev_b32 s2, 16
	v_add_f32_e32 v14, -0.5, v14
	v_mul_f32_e32 v13, 0x7800000, v13
	v_cmp_gt_u32_e64 s[2:3], s2, v10
	v_cndmask_b32_e64 v10, v13, v14, s[2:3]
	v_bfe_i32 v12, v12, 0, 16
	s_brev_b32 s2, 1
	v_and_or_b32 v10, v12, s2, v10
	v_cmp_eq_f32_e64 s[2:3], v19, v10
	v_cndmask_b32_e64 v12, 0, 1, s[2:3]
	v_cmp_neq_f32_e64 s[2:3], v19, v10
	v_cndmask_b32_e64 v10, 0, 1, s[2:3]
	v_cndmask_b32_e64 v10, v10, v12, s[0:1]
	v_and_b32_e32 v10, 1, v10
	v_or_b32_sdwa v10, v10, v11 dst_sel:WORD_1 dst_unused:UNUSED_PAD src0_sel:DWORD src1_sel:DWORD
	s_mov_b32 s2, 0xffff
	v_and_or_b32 v2, v2, s2, v10
.LBB235_57:
	s_or_b64 exec, exec, s[4:5]
	v_or_b32_e32 v10, 0xb00, v0
	v_cmp_gt_i32_e64 s[2:3], s8, v10
	s_and_saveexec_b64 s[4:5], s[2:3]
	s_cbranch_execz .LBB235_59
; %bb.58:
	s_movk_i32 s2, 0xff
	v_lshlrev_b16_e32 v11, 8, v9
	v_lshlrev_b32_e32 v9, 25, v9
	v_and_b32_sdwa v10, v2, s2 dst_sel:DWORD dst_unused:UNUSED_PAD src0_sel:WORD_1 src1_sel:DWORD
	v_lshrrev_b32_e32 v12, 4, v9
	s_movk_i32 s2, 0x7f00
	v_or_b32_e32 v12, 0x70000000, v12
	v_and_or_b32 v13, v11, s2, 0.5
	s_brev_b32 s2, 16
	v_add_f32_e32 v13, -0.5, v13
	v_mul_f32_e32 v12, 0x7800000, v12
	v_cmp_gt_u32_e64 s[2:3], s2, v9
	v_cndmask_b32_e64 v9, v12, v13, s[2:3]
	v_bfe_i32 v11, v11, 0, 16
	s_brev_b32 s2, 1
	v_and_or_b32 v9, v11, s2, v9
	v_cmp_eq_f32_e64 s[2:3], v19, v9
	v_cndmask_b32_e64 v11, 0, 1, s[2:3]
	v_cmp_neq_f32_e64 s[2:3], v19, v9
	v_cndmask_b32_e64 v9, 0, 1, s[2:3]
	v_cndmask_b32_e64 v9, v9, v11, s[0:1]
	v_mov_b32_e32 v11, 1
	v_and_b32_sdwa v9, v9, v11 dst_sel:BYTE_1 dst_unused:UNUSED_PAD src0_sel:DWORD src1_sel:DWORD
	v_or_b32_sdwa v9, v10, v9 dst_sel:WORD_1 dst_unused:UNUSED_PAD src0_sel:DWORD src1_sel:DWORD
	s_mov_b32 s2, 0xffff
	v_and_or_b32 v2, v2, s2, v9
.LBB235_59:
	s_or_b64 exec, exec, s[4:5]
	v_or_b32_e32 v9, 0xc00, v0
	v_cmp_gt_i32_e64 s[2:3], s8, v9
	s_and_saveexec_b64 s[4:5], s[2:3]
	s_cbranch_execz .LBB235_61
; %bb.60:
	v_lshlrev_b16_e32 v10, 8, v8
	v_lshlrev_b32_e32 v8, 25, v8
	v_lshrrev_b32_e32 v11, 4, v8
	s_movk_i32 s2, 0x7f00
	v_or_b32_e32 v11, 0x70000000, v11
	v_and_or_b32 v12, v10, s2, 0.5
	s_brev_b32 s2, 16
	v_add_f32_e32 v12, -0.5, v12
	v_mul_f32_e32 v11, 0x7800000, v11
	v_cmp_gt_u32_e64 s[2:3], s2, v8
	v_cndmask_b32_e64 v8, v11, v12, s[2:3]
	v_bfe_i32 v10, v10, 0, 16
	s_brev_b32 s2, 1
	v_and_or_b32 v8, v10, s2, v8
	v_cmp_eq_f32_e64 s[2:3], v19, v8
	v_cndmask_b32_e64 v10, 0, 1, s[2:3]
	v_cmp_neq_f32_e64 s[2:3], v19, v8
	v_cndmask_b32_e64 v8, 0, 1, s[2:3]
	v_cndmask_b32_e64 v8, v8, v10, s[0:1]
	v_and_b32_e32 v9, 0xffffff00, v1
	v_and_b32_e32 v8, 1, v8
	v_or_b32_e32 v8, v8, v9
	v_and_b32_e32 v8, 0xffff, v8
	s_mov_b32 s2, 0xffff0000
	v_and_or_b32 v1, v1, s2, v8
.LBB235_61:
	s_or_b64 exec, exec, s[4:5]
	v_or_b32_e32 v8, 0xd00, v0
	v_cmp_gt_i32_e64 s[2:3], s8, v8
	s_and_saveexec_b64 s[4:5], s[2:3]
	s_cbranch_execz .LBB235_63
; %bb.62:
	v_lshlrev_b16_e32 v8, 8, v7
	v_lshlrev_b32_e32 v7, 25, v7
	v_lshrrev_b32_e32 v9, 4, v7
	s_movk_i32 s2, 0x7f00
	v_or_b32_e32 v9, 0x70000000, v9
	v_and_or_b32 v10, v8, s2, 0.5
	s_brev_b32 s2, 16
	v_add_f32_e32 v10, -0.5, v10
	v_mul_f32_e32 v9, 0x7800000, v9
	v_cmp_gt_u32_e64 s[2:3], s2, v7
	v_cndmask_b32_e64 v7, v9, v10, s[2:3]
	v_bfe_i32 v8, v8, 0, 16
	s_brev_b32 s2, 1
	v_and_or_b32 v7, v8, s2, v7
	v_cmp_eq_f32_e64 s[2:3], v19, v7
	v_cndmask_b32_e64 v8, 0, 1, s[2:3]
	v_cmp_neq_f32_e64 s[2:3], v19, v7
	v_cndmask_b32_e64 v7, 0, 1, s[2:3]
	v_cndmask_b32_e64 v7, v7, v8, s[0:1]
	v_mov_b32_e32 v8, 1
	v_and_b32_sdwa v7, v7, v8 dst_sel:BYTE_1 dst_unused:UNUSED_PAD src0_sel:DWORD src1_sel:DWORD
	v_or_b32_sdwa v7, v1, v7 dst_sel:DWORD dst_unused:UNUSED_PAD src0_sel:BYTE_0 src1_sel:DWORD
	v_and_b32_e32 v7, 0xffff, v7
	s_mov_b32 s2, 0xffff0000
	v_and_or_b32 v1, v1, s2, v7
.LBB235_63:
	s_or_b64 exec, exec, s[4:5]
	v_or_b32_e32 v7, 0xe00, v0
	v_cmp_gt_i32_e64 s[2:3], s8, v7
	s_and_saveexec_b64 s[4:5], s[2:3]
	s_cbranch_execz .LBB235_65
; %bb.64:
	s_movk_i32 s2, 0xff00
	v_lshlrev_b16_e32 v8, 8, v6
	v_lshlrev_b32_e32 v6, 25, v6
	v_and_b32_sdwa v7, v1, s2 dst_sel:DWORD dst_unused:UNUSED_PAD src0_sel:WORD_1 src1_sel:DWORD
	v_lshrrev_b32_e32 v9, 4, v6
	s_movk_i32 s2, 0x7f00
	v_or_b32_e32 v9, 0x70000000, v9
	v_and_or_b32 v10, v8, s2, 0.5
	s_brev_b32 s2, 16
	v_add_f32_e32 v10, -0.5, v10
	v_mul_f32_e32 v9, 0x7800000, v9
	v_cmp_gt_u32_e64 s[2:3], s2, v6
	v_cndmask_b32_e64 v6, v9, v10, s[2:3]
	v_bfe_i32 v8, v8, 0, 16
	s_brev_b32 s2, 1
	v_and_or_b32 v6, v8, s2, v6
	v_cmp_eq_f32_e64 s[2:3], v19, v6
	v_cndmask_b32_e64 v8, 0, 1, s[2:3]
	v_cmp_neq_f32_e64 s[2:3], v19, v6
	v_cndmask_b32_e64 v6, 0, 1, s[2:3]
	v_cndmask_b32_e64 v6, v6, v8, s[0:1]
	v_and_b32_e32 v6, 1, v6
	v_or_b32_sdwa v6, v6, v7 dst_sel:WORD_1 dst_unused:UNUSED_PAD src0_sel:DWORD src1_sel:DWORD
	s_mov_b32 s2, 0xffff
	v_and_or_b32 v1, v1, s2, v6
.LBB235_65:
	s_or_b64 exec, exec, s[4:5]
	v_or_b32_e32 v6, 0xf00, v0
	v_cmp_gt_i32_e64 s[2:3], s8, v6
	s_and_saveexec_b64 s[4:5], s[2:3]
	s_cbranch_execnz .LBB235_84
; %bb.66:
	s_or_b64 exec, exec, s[4:5]
	s_and_saveexec_b64 s[0:1], vcc
	s_xor_b64 s[0:1], exec, s[0:1]
	s_cbranch_execnz .LBB235_85
.LBB235_67:
	s_or_b64 exec, exec, s[0:1]
	v_cmp_gt_i32_e32 vcc, s8, v0
	s_and_saveexec_b64 s[0:1], vcc
	s_cbranch_execnz .LBB235_86
.LBB235_68:
	s_or_b64 exec, exec, s[0:1]
	v_cmp_gt_i32_e32 vcc, s8, v0
	s_and_saveexec_b64 s[0:1], vcc
	s_cbranch_execnz .LBB235_87
.LBB235_69:
	s_or_b64 exec, exec, s[0:1]
	v_cmp_gt_i32_e32 vcc, s8, v0
	s_and_saveexec_b64 s[0:1], vcc
	s_cbranch_execnz .LBB235_88
.LBB235_70:
	s_or_b64 exec, exec, s[0:1]
	v_cmp_gt_i32_e32 vcc, s8, v0
	s_and_saveexec_b64 s[0:1], vcc
	s_cbranch_execnz .LBB235_89
.LBB235_71:
	s_or_b64 exec, exec, s[0:1]
	v_cmp_gt_i32_e32 vcc, s8, v0
	s_and_saveexec_b64 s[0:1], vcc
	s_cbranch_execnz .LBB235_90
.LBB235_72:
	s_or_b64 exec, exec, s[0:1]
	v_cmp_gt_i32_e32 vcc, s8, v0
	s_and_saveexec_b64 s[0:1], vcc
	s_cbranch_execnz .LBB235_91
.LBB235_73:
	s_or_b64 exec, exec, s[0:1]
	v_cmp_gt_i32_e32 vcc, s8, v0
	s_and_saveexec_b64 s[0:1], vcc
	s_cbranch_execnz .LBB235_92
.LBB235_74:
	s_or_b64 exec, exec, s[0:1]
	v_cmp_gt_i32_e32 vcc, s8, v0
	s_and_saveexec_b64 s[0:1], vcc
	s_cbranch_execnz .LBB235_93
.LBB235_75:
	s_or_b64 exec, exec, s[0:1]
	v_cmp_gt_i32_e32 vcc, s8, v0
	s_and_saveexec_b64 s[0:1], vcc
	s_cbranch_execnz .LBB235_94
.LBB235_76:
	s_or_b64 exec, exec, s[0:1]
	v_cmp_gt_i32_e32 vcc, s8, v0
	s_and_saveexec_b64 s[0:1], vcc
	s_cbranch_execnz .LBB235_95
.LBB235_77:
	s_or_b64 exec, exec, s[0:1]
	v_cmp_gt_i32_e32 vcc, s8, v0
	s_and_saveexec_b64 s[0:1], vcc
	s_cbranch_execnz .LBB235_96
.LBB235_78:
	s_or_b64 exec, exec, s[0:1]
	v_cmp_gt_i32_e32 vcc, s8, v0
	s_and_saveexec_b64 s[0:1], vcc
	s_cbranch_execnz .LBB235_97
.LBB235_79:
	s_or_b64 exec, exec, s[0:1]
	v_cmp_gt_i32_e32 vcc, s8, v0
	s_and_saveexec_b64 s[0:1], vcc
	s_cbranch_execnz .LBB235_98
.LBB235_80:
	s_or_b64 exec, exec, s[0:1]
	v_cmp_gt_i32_e32 vcc, s8, v0
	s_and_saveexec_b64 s[0:1], vcc
	s_cbranch_execnz .LBB235_99
.LBB235_81:
	s_or_b64 exec, exec, s[0:1]
	v_cmp_gt_i32_e32 vcc, s8, v0
	s_and_saveexec_b64 s[0:1], vcc
	s_cbranch_execz .LBB235_83
.LBB235_82:
	v_lshrrev_b32_e32 v1, 24, v1
	v_add_u32_e32 v0, s11, v0
	global_store_byte v0, v1, s[12:13]
.LBB235_83:
	s_endpgm
.LBB235_84:
	s_movk_i32 s2, 0xff
	v_lshlrev_b16_e32 v7, 8, v5
	v_lshlrev_b32_e32 v5, 25, v5
	v_and_b32_sdwa v6, v1, s2 dst_sel:DWORD dst_unused:UNUSED_PAD src0_sel:WORD_1 src1_sel:DWORD
	v_lshrrev_b32_e32 v8, 4, v5
	s_movk_i32 s2, 0x7f00
	v_or_b32_e32 v8, 0x70000000, v8
	v_and_or_b32 v9, v7, s2, 0.5
	s_brev_b32 s2, 16
	v_add_f32_e32 v9, -0.5, v9
	v_mul_f32_e32 v8, 0x7800000, v8
	v_cmp_gt_u32_e64 s[2:3], s2, v5
	v_cndmask_b32_e64 v5, v8, v9, s[2:3]
	v_bfe_i32 v7, v7, 0, 16
	s_brev_b32 s2, 1
	v_and_or_b32 v5, v7, s2, v5
	v_cmp_eq_f32_e64 s[2:3], v19, v5
	v_cndmask_b32_e64 v7, 0, 1, s[2:3]
	v_cmp_neq_f32_e64 s[2:3], v19, v5
	v_cndmask_b32_e64 v5, 0, 1, s[2:3]
	v_cndmask_b32_e64 v5, v5, v7, s[0:1]
	v_mov_b32_e32 v7, 1
	v_and_b32_sdwa v5, v5, v7 dst_sel:BYTE_1 dst_unused:UNUSED_PAD src0_sel:DWORD src1_sel:DWORD
	v_or_b32_sdwa v5, v6, v5 dst_sel:WORD_1 dst_unused:UNUSED_PAD src0_sel:DWORD src1_sel:DWORD
	s_mov_b32 s0, 0xffff
	v_and_or_b32 v1, v1, s0, v5
	s_or_b64 exec, exec, s[4:5]
	s_and_saveexec_b64 s[0:1], vcc
	s_xor_b64 s[0:1], exec, s[0:1]
	s_cbranch_execz .LBB235_67
.LBB235_85:
	v_mov_b32_e32 v0, v21
	global_store_byte v4, v3, s[12:13]
	s_or_b64 exec, exec, s[0:1]
	v_cmp_gt_i32_e32 vcc, s8, v0
	s_and_saveexec_b64 s[0:1], vcc
	s_cbranch_execz .LBB235_68
.LBB235_86:
	v_lshrrev_b32_e32 v4, 8, v3
	v_add_u32_e32 v5, s11, v0
	v_add_u32_e32 v0, 0x100, v0
	global_store_byte v5, v4, s[12:13]
	s_or_b64 exec, exec, s[0:1]
	v_cmp_gt_i32_e32 vcc, s8, v0
	s_and_saveexec_b64 s[0:1], vcc
	s_cbranch_execz .LBB235_69
.LBB235_87:
	v_add_u32_e32 v4, s11, v0
	v_add_u32_e32 v0, 0x100, v0
	global_store_byte_d16_hi v4, v3, s[12:13]
	s_or_b64 exec, exec, s[0:1]
	v_cmp_gt_i32_e32 vcc, s8, v0
	s_and_saveexec_b64 s[0:1], vcc
	s_cbranch_execz .LBB235_70
.LBB235_88:
	v_lshrrev_b32_e32 v3, 24, v3
	v_add_u32_e32 v4, s11, v0
	v_add_u32_e32 v0, 0x100, v0
	global_store_byte v4, v3, s[12:13]
	s_or_b64 exec, exec, s[0:1]
	v_cmp_gt_i32_e32 vcc, s8, v0
	s_and_saveexec_b64 s[0:1], vcc
	s_cbranch_execz .LBB235_71
.LBB235_89:
	v_add_u32_e32 v3, s11, v0
	v_add_u32_e32 v0, 0x100, v0
	global_store_byte v3, v15, s[12:13]
	s_or_b64 exec, exec, s[0:1]
	v_cmp_gt_i32_e32 vcc, s8, v0
	s_and_saveexec_b64 s[0:1], vcc
	s_cbranch_execz .LBB235_72
.LBB235_90:
	v_lshrrev_b32_e32 v3, 8, v15
	v_add_u32_e32 v4, s11, v0
	v_add_u32_e32 v0, 0x100, v0
	global_store_byte v4, v3, s[12:13]
	s_or_b64 exec, exec, s[0:1]
	v_cmp_gt_i32_e32 vcc, s8, v0
	s_and_saveexec_b64 s[0:1], vcc
	s_cbranch_execz .LBB235_73
.LBB235_91:
	v_add_u32_e32 v3, s11, v0
	v_add_u32_e32 v0, 0x100, v0
	global_store_byte_d16_hi v3, v15, s[12:13]
	s_or_b64 exec, exec, s[0:1]
	v_cmp_gt_i32_e32 vcc, s8, v0
	s_and_saveexec_b64 s[0:1], vcc
	s_cbranch_execz .LBB235_74
.LBB235_92:
	v_lshrrev_b32_e32 v3, 24, v15
	v_add_u32_e32 v4, s11, v0
	v_add_u32_e32 v0, 0x100, v0
	global_store_byte v4, v3, s[12:13]
	s_or_b64 exec, exec, s[0:1]
	v_cmp_gt_i32_e32 vcc, s8, v0
	s_and_saveexec_b64 s[0:1], vcc
	s_cbranch_execz .LBB235_75
.LBB235_93:
	v_add_u32_e32 v3, s11, v0
	v_add_u32_e32 v0, 0x100, v0
	global_store_byte v3, v2, s[12:13]
	s_or_b64 exec, exec, s[0:1]
	v_cmp_gt_i32_e32 vcc, s8, v0
	s_and_saveexec_b64 s[0:1], vcc
	s_cbranch_execz .LBB235_76
.LBB235_94:
	v_lshrrev_b32_e32 v3, 8, v2
	v_add_u32_e32 v4, s11, v0
	v_add_u32_e32 v0, 0x100, v0
	global_store_byte v4, v3, s[12:13]
	s_or_b64 exec, exec, s[0:1]
	v_cmp_gt_i32_e32 vcc, s8, v0
	s_and_saveexec_b64 s[0:1], vcc
	s_cbranch_execz .LBB235_77
.LBB235_95:
	v_add_u32_e32 v3, s11, v0
	v_add_u32_e32 v0, 0x100, v0
	global_store_byte_d16_hi v3, v2, s[12:13]
	s_or_b64 exec, exec, s[0:1]
	v_cmp_gt_i32_e32 vcc, s8, v0
	s_and_saveexec_b64 s[0:1], vcc
	s_cbranch_execz .LBB235_78
.LBB235_96:
	v_lshrrev_b32_e32 v2, 24, v2
	v_add_u32_e32 v3, s11, v0
	v_add_u32_e32 v0, 0x100, v0
	global_store_byte v3, v2, s[12:13]
	s_or_b64 exec, exec, s[0:1]
	v_cmp_gt_i32_e32 vcc, s8, v0
	s_and_saveexec_b64 s[0:1], vcc
	s_cbranch_execz .LBB235_79
.LBB235_97:
	v_add_u32_e32 v2, s11, v0
	v_add_u32_e32 v0, 0x100, v0
	global_store_byte v2, v1, s[12:13]
	s_or_b64 exec, exec, s[0:1]
	v_cmp_gt_i32_e32 vcc, s8, v0
	s_and_saveexec_b64 s[0:1], vcc
	s_cbranch_execz .LBB235_80
.LBB235_98:
	v_lshrrev_b32_e32 v2, 8, v1
	v_add_u32_e32 v3, s11, v0
	v_add_u32_e32 v0, 0x100, v0
	global_store_byte v3, v2, s[12:13]
	s_or_b64 exec, exec, s[0:1]
	v_cmp_gt_i32_e32 vcc, s8, v0
	s_and_saveexec_b64 s[0:1], vcc
	s_cbranch_execz .LBB235_81
.LBB235_99:
	v_add_u32_e32 v2, s11, v0
	v_add_u32_e32 v0, 0x100, v0
	global_store_byte_d16_hi v2, v1, s[12:13]
	s_or_b64 exec, exec, s[0:1]
	v_cmp_gt_i32_e32 vcc, s8, v0
	s_and_saveexec_b64 s[0:1], vcc
	s_cbranch_execnz .LBB235_82
	s_branch .LBB235_83
	.section	.rodata,"a",@progbits
	.p2align	6, 0x0
	.amdhsa_kernel _ZN2at6native29vectorized_elementwise_kernelILi16ENS0_13AUnaryFunctorIN3c1011Float8_e5m2ES4_bNS0_12_GLOBAL__N_116CompareEqFunctorIS4_EEEESt5arrayIPcLm2EEEEviT0_T1_
		.amdhsa_group_segment_fixed_size 0
		.amdhsa_private_segment_fixed_size 0
		.amdhsa_kernarg_size 32
		.amdhsa_user_sgpr_count 6
		.amdhsa_user_sgpr_private_segment_buffer 1
		.amdhsa_user_sgpr_dispatch_ptr 0
		.amdhsa_user_sgpr_queue_ptr 0
		.amdhsa_user_sgpr_kernarg_segment_ptr 1
		.amdhsa_user_sgpr_dispatch_id 0
		.amdhsa_user_sgpr_flat_scratch_init 0
		.amdhsa_user_sgpr_private_segment_size 0
		.amdhsa_uses_dynamic_stack 0
		.amdhsa_system_sgpr_private_segment_wavefront_offset 0
		.amdhsa_system_sgpr_workgroup_id_x 1
		.amdhsa_system_sgpr_workgroup_id_y 0
		.amdhsa_system_sgpr_workgroup_id_z 0
		.amdhsa_system_sgpr_workgroup_info 0
		.amdhsa_system_vgpr_workitem_id 0
		.amdhsa_next_free_vgpr 26
		.amdhsa_next_free_sgpr 42
		.amdhsa_reserve_vcc 1
		.amdhsa_reserve_flat_scratch 0
		.amdhsa_float_round_mode_32 0
		.amdhsa_float_round_mode_16_64 0
		.amdhsa_float_denorm_mode_32 3
		.amdhsa_float_denorm_mode_16_64 3
		.amdhsa_dx10_clamp 1
		.amdhsa_ieee_mode 1
		.amdhsa_fp16_overflow 0
		.amdhsa_exception_fp_ieee_invalid_op 0
		.amdhsa_exception_fp_denorm_src 0
		.amdhsa_exception_fp_ieee_div_zero 0
		.amdhsa_exception_fp_ieee_overflow 0
		.amdhsa_exception_fp_ieee_underflow 0
		.amdhsa_exception_fp_ieee_inexact 0
		.amdhsa_exception_int_div_zero 0
	.end_amdhsa_kernel
	.section	.text._ZN2at6native29vectorized_elementwise_kernelILi16ENS0_13AUnaryFunctorIN3c1011Float8_e5m2ES4_bNS0_12_GLOBAL__N_116CompareEqFunctorIS4_EEEESt5arrayIPcLm2EEEEviT0_T1_,"axG",@progbits,_ZN2at6native29vectorized_elementwise_kernelILi16ENS0_13AUnaryFunctorIN3c1011Float8_e5m2ES4_bNS0_12_GLOBAL__N_116CompareEqFunctorIS4_EEEESt5arrayIPcLm2EEEEviT0_T1_,comdat
.Lfunc_end235:
	.size	_ZN2at6native29vectorized_elementwise_kernelILi16ENS0_13AUnaryFunctorIN3c1011Float8_e5m2ES4_bNS0_12_GLOBAL__N_116CompareEqFunctorIS4_EEEESt5arrayIPcLm2EEEEviT0_T1_, .Lfunc_end235-_ZN2at6native29vectorized_elementwise_kernelILi16ENS0_13AUnaryFunctorIN3c1011Float8_e5m2ES4_bNS0_12_GLOBAL__N_116CompareEqFunctorIS4_EEEESt5arrayIPcLm2EEEEviT0_T1_
                                        ; -- End function
	.set _ZN2at6native29vectorized_elementwise_kernelILi16ENS0_13AUnaryFunctorIN3c1011Float8_e5m2ES4_bNS0_12_GLOBAL__N_116CompareEqFunctorIS4_EEEESt5arrayIPcLm2EEEEviT0_T1_.num_vgpr, 26
	.set _ZN2at6native29vectorized_elementwise_kernelILi16ENS0_13AUnaryFunctorIN3c1011Float8_e5m2ES4_bNS0_12_GLOBAL__N_116CompareEqFunctorIS4_EEEESt5arrayIPcLm2EEEEviT0_T1_.num_agpr, 0
	.set _ZN2at6native29vectorized_elementwise_kernelILi16ENS0_13AUnaryFunctorIN3c1011Float8_e5m2ES4_bNS0_12_GLOBAL__N_116CompareEqFunctorIS4_EEEESt5arrayIPcLm2EEEEviT0_T1_.numbered_sgpr, 42
	.set _ZN2at6native29vectorized_elementwise_kernelILi16ENS0_13AUnaryFunctorIN3c1011Float8_e5m2ES4_bNS0_12_GLOBAL__N_116CompareEqFunctorIS4_EEEESt5arrayIPcLm2EEEEviT0_T1_.num_named_barrier, 0
	.set _ZN2at6native29vectorized_elementwise_kernelILi16ENS0_13AUnaryFunctorIN3c1011Float8_e5m2ES4_bNS0_12_GLOBAL__N_116CompareEqFunctorIS4_EEEESt5arrayIPcLm2EEEEviT0_T1_.private_seg_size, 0
	.set _ZN2at6native29vectorized_elementwise_kernelILi16ENS0_13AUnaryFunctorIN3c1011Float8_e5m2ES4_bNS0_12_GLOBAL__N_116CompareEqFunctorIS4_EEEESt5arrayIPcLm2EEEEviT0_T1_.uses_vcc, 1
	.set _ZN2at6native29vectorized_elementwise_kernelILi16ENS0_13AUnaryFunctorIN3c1011Float8_e5m2ES4_bNS0_12_GLOBAL__N_116CompareEqFunctorIS4_EEEESt5arrayIPcLm2EEEEviT0_T1_.uses_flat_scratch, 0
	.set _ZN2at6native29vectorized_elementwise_kernelILi16ENS0_13AUnaryFunctorIN3c1011Float8_e5m2ES4_bNS0_12_GLOBAL__N_116CompareEqFunctorIS4_EEEESt5arrayIPcLm2EEEEviT0_T1_.has_dyn_sized_stack, 0
	.set _ZN2at6native29vectorized_elementwise_kernelILi16ENS0_13AUnaryFunctorIN3c1011Float8_e5m2ES4_bNS0_12_GLOBAL__N_116CompareEqFunctorIS4_EEEESt5arrayIPcLm2EEEEviT0_T1_.has_recursion, 0
	.set _ZN2at6native29vectorized_elementwise_kernelILi16ENS0_13AUnaryFunctorIN3c1011Float8_e5m2ES4_bNS0_12_GLOBAL__N_116CompareEqFunctorIS4_EEEESt5arrayIPcLm2EEEEviT0_T1_.has_indirect_call, 0
	.section	.AMDGPU.csdata,"",@progbits
; Kernel info:
; codeLenInByte = 7420
; TotalNumSgprs: 46
; NumVgprs: 26
; ScratchSize: 0
; MemoryBound: 0
; FloatMode: 240
; IeeeMode: 1
; LDSByteSize: 0 bytes/workgroup (compile time only)
; SGPRBlocks: 5
; VGPRBlocks: 6
; NumSGPRsForWavesPerEU: 46
; NumVGPRsForWavesPerEU: 26
; Occupancy: 9
; WaveLimiterHint : 0
; COMPUTE_PGM_RSRC2:SCRATCH_EN: 0
; COMPUTE_PGM_RSRC2:USER_SGPR: 6
; COMPUTE_PGM_RSRC2:TRAP_HANDLER: 0
; COMPUTE_PGM_RSRC2:TGID_X_EN: 1
; COMPUTE_PGM_RSRC2:TGID_Y_EN: 0
; COMPUTE_PGM_RSRC2:TGID_Z_EN: 0
; COMPUTE_PGM_RSRC2:TIDIG_COMP_CNT: 0
	.section	.text._ZN2at6native29vectorized_elementwise_kernelILi8ENS0_13AUnaryFunctorIN3c1011Float8_e5m2ES4_bNS0_12_GLOBAL__N_116CompareEqFunctorIS4_EEEESt5arrayIPcLm2EEEEviT0_T1_,"axG",@progbits,_ZN2at6native29vectorized_elementwise_kernelILi8ENS0_13AUnaryFunctorIN3c1011Float8_e5m2ES4_bNS0_12_GLOBAL__N_116CompareEqFunctorIS4_EEEESt5arrayIPcLm2EEEEviT0_T1_,comdat
	.globl	_ZN2at6native29vectorized_elementwise_kernelILi8ENS0_13AUnaryFunctorIN3c1011Float8_e5m2ES4_bNS0_12_GLOBAL__N_116CompareEqFunctorIS4_EEEESt5arrayIPcLm2EEEEviT0_T1_ ; -- Begin function _ZN2at6native29vectorized_elementwise_kernelILi8ENS0_13AUnaryFunctorIN3c1011Float8_e5m2ES4_bNS0_12_GLOBAL__N_116CompareEqFunctorIS4_EEEESt5arrayIPcLm2EEEEviT0_T1_
	.p2align	8
	.type	_ZN2at6native29vectorized_elementwise_kernelILi8ENS0_13AUnaryFunctorIN3c1011Float8_e5m2ES4_bNS0_12_GLOBAL__N_116CompareEqFunctorIS4_EEEESt5arrayIPcLm2EEEEviT0_T1_,@function
_ZN2at6native29vectorized_elementwise_kernelILi8ENS0_13AUnaryFunctorIN3c1011Float8_e5m2ES4_bNS0_12_GLOBAL__N_116CompareEqFunctorIS4_EEEESt5arrayIPcLm2EEEEviT0_T1_: ; @_ZN2at6native29vectorized_elementwise_kernelILi8ENS0_13AUnaryFunctorIN3c1011Float8_e5m2ES4_bNS0_12_GLOBAL__N_116CompareEqFunctorIS4_EEEESt5arrayIPcLm2EEEEviT0_T1_
; %bb.0:
	s_load_dwordx8 s[12:19], s[4:5], 0x0
	s_waitcnt lgkmcnt(0)
	s_lshl_b32 s15, s6, 12
	s_mov_b64 s[0:1], -1
	s_sub_i32 s12, s12, s15
	s_cmpk_gt_i32 s12, 0xfff
	s_cbranch_scc0 .LBB236_2
; %bb.1:
	s_ashr_i32 s10, s15, 31
	s_add_u32 s0, s18, s15
	s_addc_u32 s1, s19, s10
	v_lshlrev_b32_e32 v5, 3, v0
	global_load_dwordx2 v[1:2], v5, s[0:1]
	global_load_dwordx2 v[3:4], v5, s[0:1] offset:2048
	s_cmp_eq_u32 s13, 0
	s_cselect_b64 vcc, -1, 0
	s_lshl_b32 s0, s14, 8
	s_lshl_b32 s1, s14, 25
	s_lshr_b32 s2, s1, 4
	s_and_b32 s0, s0, 0x7f00
	s_or_b32 s2, s2, 0x70000000
	s_or_b32 s0, s0, 0.5
	s_movk_i32 s21, 0x7f00
	v_mov_b32_e32 v6, 0x7800000
	s_cmp_lt_u32 s1, 0x8000000
	s_brev_b32 s20, 16
	v_add_f32_e64 v7, s0, -0.5
	v_mul_f32_e32 v6, s2, v6
	s_cselect_b64 s[0:1], -1, 0
	v_cndmask_b32_e64 v6, v6, v7, s[0:1]
	s_brev_b32 s11, 1
	s_waitcnt vmcnt(1)
	v_lshlrev_b32_e32 v12, 13, v1
	v_lshrrev_b32_e32 v8, 16, v1
	v_lshlrev_b32_e32 v15, 5, v1
	v_lshrrev_b32_e32 v16, 3, v1
	v_and_b32_e32 v12, 0xfe00000, v12
	v_lshrrev_b32_e32 v9, 8, v1
	v_lshlrev_b32_e32 v10, 17, v1
	v_lshlrev_b32_e32 v11, 25, v1
	v_and_or_b32 v17, v1, s21, 0.5
	v_lshlrev_b32_e32 v23, 17, v8
	v_and_b32_e32 v16, 0xfe00000, v16
	v_and_b32_e32 v15, 0xfe00000, v15
	v_or_b32_e32 v12, 0x70000000, v12
	v_lshlrev_b32_e32 v21, 17, v2
	v_lshlrev_b32_e32 v22, 17, v9
	v_and_or_b32 v8, v8, s21, 0.5
	v_or_b32_e32 v16, 0x70000000, v16
	v_cmp_gt_u32_e64 s[0:1], s20, v23
	v_lshrrev_b32_e32 v23, 4, v11
	v_and_or_b32 v9, v9, s21, 0.5
	v_or_b32_e32 v15, 0x70000000, v15
	v_cmp_gt_u32_e64 s[4:5], s20, v11
	v_lshlrev_b32_e32 v11, 13, v2
	v_add_f32_e32 v17, -0.5, v17
	v_mul_f32_e32 v12, 0x7800000, v12
	v_cmp_gt_u32_e64 s[6:7], s20, v10
	v_lshlrev_b16_e32 v7, 8, v1
	v_lshlrev_b32_e32 v13, 16, v1
	v_add_f32_e32 v8, -0.5, v8
	v_mul_f32_e32 v16, 0x7800000, v16
	v_add_f32_e32 v9, -0.5, v9
	v_mul_f32_e32 v15, 0x7800000, v15
	v_cmp_gt_u32_e64 s[2:3], s20, v22
	v_and_b32_e32 v11, 0xfe00000, v11
	v_cmp_gt_u32_e64 s[8:9], s20, v21
	v_lshlrev_b32_e32 v21, 25, v2
	v_cndmask_b32_e64 v12, v12, v17, s[6:7]
	v_lshlrev_b16_e32 v18, 8, v2
	v_and_or_b32 v22, v7, s21, 0.5
	v_or_b32_e32 v23, 0x70000000, v23
	v_and_or_b32 v10, v2, s21, 0.5
	v_or_b32_e32 v11, 0x70000000, v11
	v_cndmask_b32_e64 v9, v15, v9, s[2:3]
	v_lshlrev_b32_e32 v15, 5, v2
	v_cndmask_b32_e64 v8, v16, v8, s[0:1]
	v_lshrrev_b32_e32 v16, 3, v2
	v_and_or_b32 v12, v13, s11, v12
	v_lshrrev_b32_e32 v13, 4, v21
	v_lshlrev_b32_e32 v14, 8, v1
	v_lshrrev_b32_e32 v20, 8, v2
	v_add_f32_e32 v22, -0.5, v22
	v_mul_f32_e32 v23, 0x7800000, v23
	v_add_f32_e32 v10, -0.5, v10
	v_mul_f32_e32 v11, 0x7800000, v11
	v_and_or_b32 v1, v1, s11, v8
	v_and_b32_e32 v8, 0xfe00000, v16
	v_and_b32_e32 v15, 0xfe00000, v15
	v_or_b32_e32 v13, 0x70000000, v13
	v_and_or_b32 v16, v18, s21, 0.5
	v_lshrrev_b32_e32 v19, 16, v2
	v_cndmask_b32_e64 v22, v23, v22, s[4:5]
	v_bfe_i32 v7, v7, 0, 16
	v_cndmask_b32_e64 v10, v11, v10, s[8:9]
	v_bfe_i32 v11, v18, 0, 16
	v_and_or_b32 v9, v14, s11, v9
	v_lshlrev_b32_e32 v14, 17, v20
	v_or_b32_e32 v15, 0x70000000, v15
	v_and_or_b32 v18, v20, s21, 0.5
	v_add_f32_e32 v16, -0.5, v16
	v_mul_f32_e32 v13, 0x7800000, v13
	v_cmp_gt_u32_e64 s[0:1], s20, v21
	v_and_or_b32 v7, v7, s11, v22
	v_lshlrev_b32_e32 v22, 17, v19
	v_or_b32_e32 v8, 0x70000000, v8
	v_and_or_b32 v19, v19, s21, 0.5
	v_add_f32_e32 v18, -0.5, v18
	v_mul_f32_e32 v15, 0x7800000, v15
	v_cndmask_b32_e64 v13, v13, v16, s[0:1]
	v_cmp_gt_u32_e64 s[0:1], s20, v14
	v_add_f32_e32 v19, -0.5, v19
	v_mul_f32_e32 v8, 0x7800000, v8
	v_cndmask_b32_e64 v14, v15, v18, s[0:1]
	v_cmp_gt_u32_e64 s[0:1], s20, v22
	s_waitcnt vmcnt(0)
	v_lshlrev_b32_e32 v21, 13, v3
	v_lshlrev_b32_e32 v17, 16, v2
	;; [unrolled: 1-line block ×3, first 2 shown]
	v_cndmask_b32_e64 v8, v8, v19, s[0:1]
	v_lshlrev_b32_e32 v20, 25, v3
	v_and_b32_e32 v21, 0xfe00000, v21
	v_and_or_b32 v2, v2, s11, v8
	v_and_or_b32 v8, v23, s11, v14
	;; [unrolled: 1-line block ×4, first 2 shown]
	v_lshlrev_b16_e32 v13, 8, v3
	v_lshlrev_b32_e32 v17, 17, v3
	v_lshrrev_b32_e32 v23, 4, v20
	v_or_b32_e32 v21, 0x70000000, v21
	v_cmp_gt_u32_e64 s[0:1], s20, v20
	v_and_or_b32 v20, v3, s21, 0.5
	v_bfe_i32 v14, v13, 0, 16
	v_or_b32_e32 v23, 0x70000000, v23
	v_and_or_b32 v13, v13, s21, 0.5
	v_add_f32_e32 v20, -0.5, v20
	v_mul_f32_e32 v21, 0x7800000, v21
	v_cmp_gt_u32_e64 s[2:3], s20, v17
	v_lshrrev_b32_e32 v16, 8, v3
	v_add_f32_e32 v13, -0.5, v13
	v_mul_f32_e32 v23, 0x7800000, v23
	v_cndmask_b32_e64 v20, v21, v20, s[2:3]
	v_lshlrev_b32_e32 v21, 5, v3
	v_lshlrev_b32_e32 v18, 17, v16
	;; [unrolled: 1-line block ×3, first 2 shown]
	v_cndmask_b32_e64 v13, v23, v13, s[0:1]
	v_and_b32_e32 v21, 0xfe00000, v21
	v_lshrrev_b32_e32 v15, 16, v3
	v_or_b32_e32 v21, 0x70000000, v21
	v_and_or_b32 v16, v16, s21, 0.5
	v_cmp_gt_u32_e64 s[0:1], s20, v18
	v_and_or_b32 v13, v14, s11, v13
	v_and_or_b32 v14, v22, s11, v20
	v_lshrrev_b32_e32 v18, 8, v4
	v_lshlrev_b32_e32 v22, 13, v4
	v_lshlrev_b32_e32 v19, 17, v15
	v_add_f32_e32 v16, -0.5, v16
	v_mul_f32_e32 v21, 0x7800000, v21
	v_lshlrev_b32_e32 v20, 17, v18
	v_and_b32_e32 v22, 0xfe00000, v22
	v_lshrrev_b32_e32 v23, 3, v3
	v_cndmask_b32_e64 v16, v21, v16, s[0:1]
	v_cmp_gt_u32_e64 s[0:1], s20, v19
	v_lshlrev_b32_e32 v19, 17, v4
	v_or_b32_e32 v22, 0x70000000, v22
	v_cmp_gt_u32_e64 s[2:3], s20, v20
	v_and_or_b32 v20, v4, s21, 0.5
	v_and_b32_e32 v23, 0xfe00000, v23
	v_add_f32_e32 v20, -0.5, v20
	v_mul_f32_e32 v22, 0x7800000, v22
	v_cmp_gt_u32_e64 s[4:5], s20, v19
	v_lshlrev_b32_e32 v19, 25, v4
	v_or_b32_e32 v23, 0x70000000, v23
	v_and_or_b32 v15, v15, s21, 0.5
	v_cndmask_b32_e64 v20, v22, v20, s[4:5]
	v_lshrrev_b32_e32 v22, 4, v19
	v_lshlrev_b16_e32 v24, 8, v4
	v_add_f32_e32 v15, -0.5, v15
	v_mul_f32_e32 v23, 0x7800000, v23
	v_or_b32_e32 v22, 0x70000000, v22
	v_and_or_b32 v25, v24, s21, 0.5
	v_lshlrev_b32_e32 v17, 8, v3
	v_cndmask_b32_e64 v15, v23, v15, s[0:1]
	v_lshrrev_b32_e32 v23, 3, v4
	v_add_f32_e32 v25, -0.5, v25
	v_mul_f32_e32 v22, 0x7800000, v22
	v_cmp_gt_u32_e64 s[4:5], s20, v19
	v_and_or_b32 v16, v17, s11, v16
	v_lshrrev_b32_e32 v17, 16, v4
	v_and_b32_e32 v23, 0xfe00000, v23
	v_cndmask_b32_e64 v19, v22, v25, s[4:5]
	s_lshl_b32 s4, s14, 24
	v_lshlrev_b32_e32 v21, 17, v17
	v_or_b32_e32 v23, 0x70000000, v23
	v_and_or_b32 v17, v17, s21, 0.5
	s_and_b32 s4, s4, 0x80000000
	v_add_f32_e32 v17, -0.5, v17
	v_mul_f32_e32 v23, 0x7800000, v23
	v_cmp_gt_u32_e64 s[0:1], s20, v21
	v_or_b32_e32 v6, s4, v6
	v_and_or_b32 v3, v3, s11, v15
	v_bfe_i32 v15, v24, 0, 16
	v_cndmask_b32_e64 v17, v23, v17, s[0:1]
	v_cmp_eq_f32_e64 s[0:1], v6, v1
	v_and_or_b32 v15, v15, s11, v19
	v_cndmask_b32_e64 v19, 0, 1, s[0:1]
	v_cmp_neq_f32_e64 s[0:1], v6, v1
	v_cndmask_b32_e64 v1, 0, 1, s[0:1]
	v_cmp_eq_f32_e64 s[0:1], v6, v9
	v_cndmask_b32_e32 v19, v1, v19, vcc
	v_cndmask_b32_e64 v1, 0, 1, s[0:1]
	v_cmp_neq_f32_e64 s[0:1], v6, v9
	v_cndmask_b32_e64 v9, 0, 1, s[0:1]
	v_cmp_eq_f32_e64 s[0:1], v6, v7
	v_cndmask_b32_e32 v9, v9, v1, vcc
	v_cndmask_b32_e64 v1, 0, 1, s[0:1]
	v_cmp_neq_f32_e64 s[0:1], v6, v7
	v_lshlrev_b32_e32 v21, 5, v4
	v_cndmask_b32_e64 v7, 0, 1, s[0:1]
	v_cmp_eq_f32_e64 s[0:1], v6, v12
	v_and_b32_e32 v21, 0xfe00000, v21
	v_cndmask_b32_e32 v7, v7, v1, vcc
	v_cndmask_b32_e64 v1, 0, 1, s[0:1]
	v_cmp_neq_f32_e64 s[0:1], v6, v12
	v_or_b32_e32 v21, 0x70000000, v21
	v_and_or_b32 v18, v18, s21, 0.5
	v_cndmask_b32_e64 v12, 0, 1, s[0:1]
	v_cmp_eq_f32_e64 s[0:1], v6, v2
	v_add_f32_e32 v18, -0.5, v18
	v_mul_f32_e32 v21, 0x7800000, v21
	v_cndmask_b32_e32 v12, v12, v1, vcc
	v_cndmask_b32_e64 v1, 0, 1, s[0:1]
	v_cmp_neq_f32_e64 s[0:1], v6, v2
	v_cndmask_b32_e64 v18, v21, v18, s[2:3]
	v_lshlrev_b32_e32 v21, 16, v4
	v_lshlrev_b32_e32 v22, 8, v4
	v_cndmask_b32_e64 v2, 0, 1, s[0:1]
	v_cmp_eq_f32_e64 s[0:1], v6, v8
	v_and_or_b32 v4, v4, s11, v17
	v_and_or_b32 v17, v22, s11, v18
	;; [unrolled: 1-line block ×3, first 2 shown]
	v_cndmask_b32_e32 v20, v2, v1, vcc
	v_cndmask_b32_e64 v1, 0, 1, s[0:1]
	v_cmp_neq_f32_e64 s[0:1], v6, v8
	v_cndmask_b32_e64 v2, 0, 1, s[0:1]
	v_cmp_eq_f32_e64 s[0:1], v6, v11
	v_cndmask_b32_e32 v8, v2, v1, vcc
	v_cndmask_b32_e64 v1, 0, 1, s[0:1]
	v_cmp_neq_f32_e64 s[0:1], v6, v11
	v_cndmask_b32_e64 v2, 0, 1, s[0:1]
	v_cmp_eq_f32_e64 s[0:1], v6, v10
	;; [unrolled: 5-line block ×10, first 2 shown]
	v_cndmask_b32_e32 v15, v15, v16, vcc
	v_cndmask_b32_e64 v16, 0, 1, s[0:1]
	v_cmp_neq_f32_e64 s[0:1], v6, v18
	v_cndmask_b32_e64 v6, 0, 1, s[0:1]
	v_cndmask_b32_e32 v6, v6, v16, vcc
	v_mov_b32_e32 v16, 1
	v_and_b32_sdwa v6, v6, v16 dst_sel:BYTE_1 dst_unused:UNUSED_PAD src0_sel:DWORD src1_sel:DWORD
	v_and_b32_e32 v15, 1, v15
	v_and_b32_e32 v4, 1, v4
	v_and_b32_sdwa v2, v2, v16 dst_sel:BYTE_1 dst_unused:UNUSED_PAD src0_sel:DWORD src1_sel:DWORD
	v_or_b32_e32 v6, v15, v6
	v_or_b32_sdwa v2, v4, v2 dst_sel:WORD_1 dst_unused:UNUSED_PAD src0_sel:DWORD src1_sel:DWORD
	v_or_b32_sdwa v2, v6, v2 dst_sel:DWORD dst_unused:UNUSED_PAD src0_sel:WORD_0 src1_sel:DWORD
	v_and_b32_sdwa v4, v14, v16 dst_sel:BYTE_1 dst_unused:UNUSED_PAD src0_sel:DWORD src1_sel:DWORD
	v_and_b32_e32 v6, 1, v13
	v_and_b32_e32 v3, 1, v3
	v_and_b32_sdwa v1, v1, v16 dst_sel:BYTE_1 dst_unused:UNUSED_PAD src0_sel:DWORD src1_sel:DWORD
	v_or_b32_e32 v4, v6, v4
	v_or_b32_sdwa v1, v3, v1 dst_sel:WORD_1 dst_unused:UNUSED_PAD src0_sel:DWORD src1_sel:DWORD
	v_or_b32_sdwa v1, v4, v1 dst_sel:DWORD dst_unused:UNUSED_PAD src0_sel:WORD_0 src1_sel:DWORD
	v_and_b32_sdwa v3, v10, v16 dst_sel:BYTE_1 dst_unused:UNUSED_PAD src0_sel:DWORD src1_sel:DWORD
	v_and_b32_e32 v4, 1, v11
	v_or_b32_e32 v3, v4, v3
	v_and_b32_e32 v4, 1, v8
	v_and_b32_sdwa v6, v20, v16 dst_sel:BYTE_1 dst_unused:UNUSED_PAD src0_sel:DWORD src1_sel:DWORD
	v_or_b32_sdwa v4, v4, v6 dst_sel:WORD_1 dst_unused:UNUSED_PAD src0_sel:DWORD src1_sel:DWORD
	v_or_b32_sdwa v4, v3, v4 dst_sel:DWORD dst_unused:UNUSED_PAD src0_sel:WORD_0 src1_sel:DWORD
	v_and_b32_sdwa v3, v12, v16 dst_sel:BYTE_1 dst_unused:UNUSED_PAD src0_sel:DWORD src1_sel:DWORD
	v_and_b32_e32 v6, 1, v7
	v_or_b32_e32 v3, v6, v3
	v_and_b32_e32 v6, 1, v9
	v_and_b32_sdwa v7, v19, v16 dst_sel:BYTE_1 dst_unused:UNUSED_PAD src0_sel:DWORD src1_sel:DWORD
	v_or_b32_sdwa v6, v6, v7 dst_sel:WORD_1 dst_unused:UNUSED_PAD src0_sel:DWORD src1_sel:DWORD
	s_add_u32 s0, s16, s15
	v_or_b32_sdwa v3, v3, v6 dst_sel:DWORD dst_unused:UNUSED_PAD src0_sel:WORD_0 src1_sel:DWORD
	s_addc_u32 s1, s17, s10
	global_store_dwordx2 v5, v[3:4], s[0:1]
	global_store_dwordx2 v5, v[1:2], s[0:1] offset:2048
	s_mov_b64 s[0:1], 0
.LBB236_2:
	s_andn2_b64 vcc, exec, s[0:1]
	s_cbranch_vccnz .LBB236_83
; %bb.3:
	v_cmp_gt_i32_e32 vcc, s12, v0
	v_mov_b32_e32 v3, 0
	v_or_b32_e32 v4, s15, v0
	v_mov_b32_e32 v5, 0
	v_mov_b32_e32 v6, 0
	;; [unrolled: 1-line block ×16, first 2 shown]
	s_and_saveexec_b64 s[2:3], vcc
	s_cbranch_execz .LBB236_35
; %bb.4:
	global_load_ubyte v21, v4, s[18:19]
	v_or_b32_e32 v1, 0x100, v0
	v_cmp_gt_u32_e64 s[0:1], s12, v1
	v_mov_b32_e32 v22, 0
	v_mov_b32_e32 v20, 0
	;; [unrolled: 1-line block ×15, first 2 shown]
	s_and_saveexec_b64 s[4:5], s[0:1]
	s_cbranch_execz .LBB236_34
; %bb.5:
	v_add_u32_e32 v1, s15, v0
	global_load_ubyte v22, v1, s[18:19] offset:256
	v_or_b32_e32 v2, 0x200, v0
	v_mov_b32_e32 v20, 0
	v_cmp_gt_u32_e64 s[0:1], s12, v2
	v_mov_b32_e32 v18, 0
	v_mov_b32_e32 v17, 0
	;; [unrolled: 1-line block ×13, first 2 shown]
	s_and_saveexec_b64 s[6:7], s[0:1]
	s_cbranch_execz .LBB236_33
; %bb.6:
	v_mov_b32_e32 v2, s19
	v_add_co_u32_e64 v1, s[0:1], s18, v1
	v_addc_co_u32_e64 v2, s[0:1], 0, v2, s[0:1]
	global_load_ubyte v20, v[1:2], off offset:512
	v_or_b32_e32 v5, 0x300, v0
	v_cmp_gt_u32_e64 s[0:1], s12, v5
	v_mov_b32_e32 v18, 0
	v_mov_b32_e32 v17, 0
	;; [unrolled: 1-line block ×13, first 2 shown]
	s_and_saveexec_b64 s[8:9], s[0:1]
	s_cbranch_execz .LBB236_32
; %bb.7:
	global_load_ubyte v18, v[1:2], off offset:768
	v_or_b32_e32 v5, 0x400, v0
	v_cmp_gt_u32_e64 s[0:1], s12, v5
	v_mov_b32_e32 v17, 0
	v_mov_b32_e32 v16, 0
	v_mov_b32_e32 v14, 0
	v_mov_b32_e32 v13, 0
	v_mov_b32_e32 v12, 0
	v_mov_b32_e32 v11, 0
	v_mov_b32_e32 v10, 0
	v_mov_b32_e32 v9, 0
	v_mov_b32_e32 v8, 0
	v_mov_b32_e32 v7, 0
	v_mov_b32_e32 v6, 0
	v_mov_b32_e32 v5, 0
	s_and_saveexec_b64 s[10:11], s[0:1]
	s_cbranch_execz .LBB236_31
; %bb.8:
	global_load_ubyte v17, v[1:2], off offset:1024
	v_or_b32_e32 v5, 0x500, v0
	v_cmp_gt_u32_e64 s[0:1], s12, v5
	v_mov_b32_e32 v16, 0
	v_mov_b32_e32 v14, 0
	;; [unrolled: 1-line block ×11, first 2 shown]
	s_and_saveexec_b64 s[18:19], s[0:1]
	s_cbranch_execz .LBB236_30
; %bb.9:
	global_load_ubyte v16, v[1:2], off offset:1280
	v_or_b32_e32 v5, 0x600, v0
	v_cmp_gt_u32_e64 s[0:1], s12, v5
	v_mov_b32_e32 v14, 0
	v_mov_b32_e32 v13, 0
	;; [unrolled: 1-line block ×10, first 2 shown]
	s_and_saveexec_b64 s[20:21], s[0:1]
	s_cbranch_execz .LBB236_29
; %bb.10:
	global_load_ubyte v14, v[1:2], off offset:1536
	v_or_b32_e32 v5, 0x700, v0
	v_cmp_gt_u32_e64 s[0:1], s12, v5
	v_mov_b32_e32 v13, 0
	v_mov_b32_e32 v12, 0
	;; [unrolled: 1-line block ×9, first 2 shown]
	s_and_saveexec_b64 s[22:23], s[0:1]
	s_cbranch_execz .LBB236_28
; %bb.11:
	global_load_ubyte v13, v[1:2], off offset:1792
	v_or_b32_e32 v5, 0x800, v0
	v_cmp_gt_u32_e64 s[0:1], s12, v5
	v_mov_b32_e32 v12, 0
	v_mov_b32_e32 v11, 0
	;; [unrolled: 1-line block ×8, first 2 shown]
	s_and_saveexec_b64 s[24:25], s[0:1]
	s_cbranch_execz .LBB236_27
; %bb.12:
	global_load_ubyte v12, v[1:2], off offset:2048
	v_or_b32_e32 v5, 0x900, v0
	v_cmp_gt_u32_e64 s[0:1], s12, v5
	v_mov_b32_e32 v11, 0
	v_mov_b32_e32 v10, 0
	;; [unrolled: 1-line block ×7, first 2 shown]
	s_and_saveexec_b64 s[26:27], s[0:1]
	s_cbranch_execz .LBB236_26
; %bb.13:
	global_load_ubyte v11, v[1:2], off offset:2304
	v_or_b32_e32 v5, 0xa00, v0
	v_cmp_gt_u32_e64 s[0:1], s12, v5
	v_mov_b32_e32 v10, 0
	v_mov_b32_e32 v9, 0
	;; [unrolled: 1-line block ×6, first 2 shown]
	s_and_saveexec_b64 s[28:29], s[0:1]
	s_cbranch_execz .LBB236_25
; %bb.14:
	global_load_ubyte v10, v[1:2], off offset:2560
	v_or_b32_e32 v5, 0xb00, v0
	v_cmp_gt_u32_e64 s[0:1], s12, v5
	v_mov_b32_e32 v9, 0
	v_mov_b32_e32 v8, 0
	v_mov_b32_e32 v7, 0
	v_mov_b32_e32 v6, 0
	v_mov_b32_e32 v5, 0
	s_and_saveexec_b64 s[30:31], s[0:1]
	s_cbranch_execz .LBB236_24
; %bb.15:
	global_load_ubyte v9, v[1:2], off offset:2816
	v_or_b32_e32 v5, 0xc00, v0
	v_cmp_gt_u32_e64 s[0:1], s12, v5
	v_mov_b32_e32 v8, 0
	v_mov_b32_e32 v7, 0
	;; [unrolled: 1-line block ×4, first 2 shown]
	s_and_saveexec_b64 s[34:35], s[0:1]
	s_cbranch_execz .LBB236_23
; %bb.16:
	global_load_ubyte v8, v[1:2], off offset:3072
	v_or_b32_e32 v5, 0xd00, v0
	v_cmp_gt_u32_e64 s[0:1], s12, v5
	v_mov_b32_e32 v7, 0
	v_mov_b32_e32 v6, 0
	;; [unrolled: 1-line block ×3, first 2 shown]
	s_and_saveexec_b64 s[36:37], s[0:1]
	s_cbranch_execz .LBB236_22
; %bb.17:
	global_load_ubyte v7, v[1:2], off offset:3328
	v_or_b32_e32 v5, 0xe00, v0
	v_cmp_gt_u32_e64 s[0:1], s12, v5
	v_mov_b32_e32 v6, 0
	v_mov_b32_e32 v5, 0
	s_and_saveexec_b64 s[38:39], s[0:1]
	s_cbranch_execz .LBB236_21
; %bb.18:
	global_load_ubyte v6, v[1:2], off offset:3584
	v_or_b32_e32 v5, 0xf00, v0
	v_cmp_gt_u32_e64 s[0:1], s12, v5
	v_mov_b32_e32 v5, 0
	s_and_saveexec_b64 s[40:41], s[0:1]
	s_cbranch_execz .LBB236_20
; %bb.19:
	global_load_ubyte v5, v[1:2], off offset:3840
.LBB236_20:
	s_or_b64 exec, exec, s[40:41]
.LBB236_21:
	s_or_b64 exec, exec, s[38:39]
.LBB236_22:
	s_or_b64 exec, exec, s[36:37]
.LBB236_23:
	s_or_b64 exec, exec, s[34:35]
.LBB236_24:
	s_or_b64 exec, exec, s[30:31]
.LBB236_25:
	s_or_b64 exec, exec, s[28:29]
.LBB236_26:
	s_or_b64 exec, exec, s[26:27]
.LBB236_27:
	s_or_b64 exec, exec, s[24:25]
.LBB236_28:
	s_or_b64 exec, exec, s[22:23]
.LBB236_29:
	s_or_b64 exec, exec, s[20:21]
.LBB236_30:
	s_or_b64 exec, exec, s[18:19]
.LBB236_31:
	s_or_b64 exec, exec, s[10:11]
.LBB236_32:
	s_or_b64 exec, exec, s[8:9]
.LBB236_33:
	s_or_b64 exec, exec, s[6:7]
.LBB236_34:
	s_or_b64 exec, exec, s[4:5]
.LBB236_35:
	s_or_b64 exec, exec, s[2:3]
	s_cmp_eq_u32 s13, 0
	s_cselect_b64 s[0:1], -1, 0
	s_lshl_b32 s2, s14, 8
	s_lshl_b32 s3, s14, 25
	s_lshr_b32 s4, s3, 4
	s_and_b32 s2, s2, 0x7f00
	s_or_b32 s4, s4, 0x70000000
	s_or_b32 s2, s2, 0.5
	s_cmp_lt_u32 s3, 0x8000000
	v_mov_b32_e32 v2, 0x7800000
	v_add_f32_e64 v1, s2, -0.5
	v_mul_f32_e32 v2, s4, v2
	s_cselect_b64 s[2:3], -1, 0
	v_cndmask_b32_e64 v1, v2, v1, s[2:3]
	s_lshl_b32 s2, s14, 24
	s_and_b32 s2, s2, 0x80000000
	s_movk_i32 s7, 0x7f00
	s_brev_b32 s6, 16
	s_brev_b32 s8, 1
	v_or_b32_e32 v19, s2, v1
	v_mov_b32_e32 v15, v3
	v_mov_b32_e32 v2, v3
	;; [unrolled: 1-line block ×3, first 2 shown]
	s_and_saveexec_b64 s[4:5], vcc
	s_cbranch_execz .LBB236_37
; %bb.36:
	s_waitcnt vmcnt(0)
	v_lshlrev_b32_e32 v2, 25, v21
	v_lshlrev_b16_e32 v1, 8, v21
	v_lshrrev_b32_e32 v3, 4, v2
	v_or_b32_e32 v3, 0x70000000, v3
	v_and_or_b32 v15, v1, s7, 0.5
	v_add_f32_e32 v15, -0.5, v15
	v_mul_f32_e32 v3, 0x7800000, v3
	v_cmp_gt_u32_e64 s[2:3], s6, v2
	v_cndmask_b32_e64 v2, v3, v15, s[2:3]
	v_bfe_i32 v1, v1, 0, 16
	v_and_or_b32 v1, v1, s8, v2
	v_cmp_eq_f32_e64 s[2:3], v19, v1
	v_cndmask_b32_e64 v2, 0, 1, s[2:3]
	v_cmp_neq_f32_e64 s[2:3], v19, v1
	v_cndmask_b32_e64 v1, 0, 1, s[2:3]
	v_cndmask_b32_e64 v1, v1, v2, s[0:1]
	v_and_b32_e32 v1, 1, v1
	v_mov_b32_e32 v15, 0
	v_and_b32_e32 v3, 0xffff, v1
	v_mov_b32_e32 v2, v15
	v_mov_b32_e32 v1, v15
.LBB236_37:
	s_or_b64 exec, exec, s[4:5]
	s_waitcnt vmcnt(0)
	v_or_b32_e32 v21, 0x100, v0
	v_cmp_gt_i32_e64 s[2:3], s12, v21
	s_and_saveexec_b64 s[4:5], s[2:3]
	s_cbranch_execz .LBB236_39
; %bb.38:
	v_lshlrev_b16_e32 v23, 8, v22
	v_lshlrev_b32_e32 v22, 25, v22
	v_lshrrev_b32_e32 v24, 4, v22
	s_movk_i32 s2, 0x7f00
	v_or_b32_e32 v24, 0x70000000, v24
	v_and_or_b32 v25, v23, s2, 0.5
	s_brev_b32 s2, 16
	v_add_f32_e32 v25, -0.5, v25
	v_mul_f32_e32 v24, 0x7800000, v24
	v_cmp_gt_u32_e64 s[2:3], s2, v22
	v_cndmask_b32_e64 v22, v24, v25, s[2:3]
	v_bfe_i32 v23, v23, 0, 16
	s_brev_b32 s2, 1
	v_and_or_b32 v22, v23, s2, v22
	v_cmp_eq_f32_e64 s[2:3], v19, v22
	v_cndmask_b32_e64 v23, 0, 1, s[2:3]
	v_cmp_neq_f32_e64 s[2:3], v19, v22
	v_cndmask_b32_e64 v22, 0, 1, s[2:3]
	v_cndmask_b32_e64 v22, v22, v23, s[0:1]
	v_mov_b32_e32 v23, 1
	v_and_b32_sdwa v22, v22, v23 dst_sel:BYTE_1 dst_unused:UNUSED_PAD src0_sel:DWORD src1_sel:DWORD
	v_or_b32_sdwa v22, v3, v22 dst_sel:DWORD dst_unused:UNUSED_PAD src0_sel:BYTE_0 src1_sel:DWORD
	v_and_b32_e32 v22, 0xffff, v22
	s_mov_b32 s2, 0xffff0000
	v_and_or_b32 v3, v3, s2, v22
.LBB236_39:
	s_or_b64 exec, exec, s[4:5]
	v_or_b32_e32 v22, 0x200, v0
	v_cmp_gt_i32_e64 s[2:3], s12, v22
	s_and_saveexec_b64 s[4:5], s[2:3]
	s_cbranch_execz .LBB236_41
; %bb.40:
	s_movk_i32 s2, 0xff00
	v_lshlrev_b16_e32 v23, 8, v20
	v_lshlrev_b32_e32 v20, 25, v20
	v_and_b32_sdwa v22, v3, s2 dst_sel:DWORD dst_unused:UNUSED_PAD src0_sel:WORD_1 src1_sel:DWORD
	v_lshrrev_b32_e32 v24, 4, v20
	s_movk_i32 s2, 0x7f00
	v_or_b32_e32 v24, 0x70000000, v24
	v_and_or_b32 v25, v23, s2, 0.5
	s_brev_b32 s2, 16
	v_add_f32_e32 v25, -0.5, v25
	v_mul_f32_e32 v24, 0x7800000, v24
	v_cmp_gt_u32_e64 s[2:3], s2, v20
	v_cndmask_b32_e64 v20, v24, v25, s[2:3]
	v_bfe_i32 v23, v23, 0, 16
	s_brev_b32 s2, 1
	v_and_or_b32 v20, v23, s2, v20
	v_cmp_eq_f32_e64 s[2:3], v19, v20
	v_cndmask_b32_e64 v23, 0, 1, s[2:3]
	v_cmp_neq_f32_e64 s[2:3], v19, v20
	v_cndmask_b32_e64 v20, 0, 1, s[2:3]
	v_cndmask_b32_e64 v20, v20, v23, s[0:1]
	v_and_b32_e32 v20, 1, v20
	v_or_b32_sdwa v20, v20, v22 dst_sel:WORD_1 dst_unused:UNUSED_PAD src0_sel:DWORD src1_sel:DWORD
	s_mov_b32 s2, 0xffff
	v_and_or_b32 v3, v3, s2, v20
.LBB236_41:
	s_or_b64 exec, exec, s[4:5]
	v_or_b32_e32 v20, 0x300, v0
	v_cmp_gt_i32_e64 s[2:3], s12, v20
	s_and_saveexec_b64 s[4:5], s[2:3]
	s_cbranch_execz .LBB236_43
; %bb.42:
	s_movk_i32 s2, 0xff
	v_lshlrev_b16_e32 v22, 8, v18
	v_lshlrev_b32_e32 v18, 25, v18
	v_and_b32_sdwa v20, v3, s2 dst_sel:DWORD dst_unused:UNUSED_PAD src0_sel:WORD_1 src1_sel:DWORD
	v_lshrrev_b32_e32 v23, 4, v18
	s_movk_i32 s2, 0x7f00
	v_or_b32_e32 v23, 0x70000000, v23
	v_and_or_b32 v24, v22, s2, 0.5
	s_brev_b32 s2, 16
	v_add_f32_e32 v24, -0.5, v24
	v_mul_f32_e32 v23, 0x7800000, v23
	v_cmp_gt_u32_e64 s[2:3], s2, v18
	v_cndmask_b32_e64 v18, v23, v24, s[2:3]
	v_bfe_i32 v22, v22, 0, 16
	s_brev_b32 s2, 1
	v_and_or_b32 v18, v22, s2, v18
	v_cmp_eq_f32_e64 s[2:3], v19, v18
	v_cndmask_b32_e64 v22, 0, 1, s[2:3]
	v_cmp_neq_f32_e64 s[2:3], v19, v18
	v_cndmask_b32_e64 v18, 0, 1, s[2:3]
	v_cndmask_b32_e64 v18, v18, v22, s[0:1]
	v_mov_b32_e32 v22, 1
	v_and_b32_sdwa v18, v18, v22 dst_sel:BYTE_1 dst_unused:UNUSED_PAD src0_sel:DWORD src1_sel:DWORD
	v_or_b32_sdwa v18, v20, v18 dst_sel:WORD_1 dst_unused:UNUSED_PAD src0_sel:DWORD src1_sel:DWORD
	s_mov_b32 s2, 0xffff
	v_and_or_b32 v3, v3, s2, v18
.LBB236_43:
	s_or_b64 exec, exec, s[4:5]
	v_or_b32_e32 v18, 0x400, v0
	v_cmp_gt_i32_e64 s[2:3], s12, v18
	s_and_saveexec_b64 s[4:5], s[2:3]
	s_cbranch_execz .LBB236_45
; %bb.44:
	v_lshlrev_b16_e32 v20, 8, v17
	v_lshlrev_b32_e32 v17, 25, v17
	v_lshrrev_b32_e32 v22, 4, v17
	s_movk_i32 s2, 0x7f00
	v_or_b32_e32 v22, 0x70000000, v22
	v_and_or_b32 v23, v20, s2, 0.5
	s_brev_b32 s2, 16
	v_add_f32_e32 v23, -0.5, v23
	v_mul_f32_e32 v22, 0x7800000, v22
	v_cmp_gt_u32_e64 s[2:3], s2, v17
	v_cndmask_b32_e64 v17, v22, v23, s[2:3]
	v_bfe_i32 v20, v20, 0, 16
	s_brev_b32 s2, 1
	v_and_or_b32 v17, v20, s2, v17
	v_cmp_eq_f32_e64 s[2:3], v19, v17
	v_cndmask_b32_e64 v20, 0, 1, s[2:3]
	v_cmp_neq_f32_e64 s[2:3], v19, v17
	v_cndmask_b32_e64 v17, 0, 1, s[2:3]
	v_cndmask_b32_e64 v17, v17, v20, s[0:1]
	v_and_b32_e32 v18, 0xffffff00, v15
	v_and_b32_e32 v17, 1, v17
	v_or_b32_e32 v17, v17, v18
	v_and_b32_e32 v17, 0xffff, v17
	s_mov_b32 s2, 0xffff0000
	v_and_or_b32 v15, v15, s2, v17
.LBB236_45:
	s_or_b64 exec, exec, s[4:5]
	v_or_b32_e32 v17, 0x500, v0
	v_cmp_gt_i32_e64 s[2:3], s12, v17
	s_and_saveexec_b64 s[4:5], s[2:3]
	s_cbranch_execz .LBB236_47
; %bb.46:
	v_lshlrev_b16_e32 v17, 8, v16
	v_lshlrev_b32_e32 v16, 25, v16
	v_lshrrev_b32_e32 v18, 4, v16
	s_movk_i32 s2, 0x7f00
	v_or_b32_e32 v18, 0x70000000, v18
	v_and_or_b32 v20, v17, s2, 0.5
	s_brev_b32 s2, 16
	v_add_f32_e32 v20, -0.5, v20
	v_mul_f32_e32 v18, 0x7800000, v18
	v_cmp_gt_u32_e64 s[2:3], s2, v16
	v_cndmask_b32_e64 v16, v18, v20, s[2:3]
	v_bfe_i32 v17, v17, 0, 16
	s_brev_b32 s2, 1
	v_and_or_b32 v16, v17, s2, v16
	v_cmp_eq_f32_e64 s[2:3], v19, v16
	v_cndmask_b32_e64 v17, 0, 1, s[2:3]
	v_cmp_neq_f32_e64 s[2:3], v19, v16
	v_cndmask_b32_e64 v16, 0, 1, s[2:3]
	v_cndmask_b32_e64 v16, v16, v17, s[0:1]
	v_mov_b32_e32 v17, 1
	v_and_b32_sdwa v16, v16, v17 dst_sel:BYTE_1 dst_unused:UNUSED_PAD src0_sel:DWORD src1_sel:DWORD
	v_or_b32_sdwa v16, v15, v16 dst_sel:DWORD dst_unused:UNUSED_PAD src0_sel:BYTE_0 src1_sel:DWORD
	v_and_b32_e32 v16, 0xffff, v16
	s_mov_b32 s2, 0xffff0000
	v_and_or_b32 v15, v15, s2, v16
.LBB236_47:
	s_or_b64 exec, exec, s[4:5]
	v_or_b32_e32 v16, 0x600, v0
	v_cmp_gt_i32_e64 s[2:3], s12, v16
	s_and_saveexec_b64 s[4:5], s[2:3]
	s_cbranch_execz .LBB236_49
; %bb.48:
	s_movk_i32 s2, 0xff00
	v_lshlrev_b16_e32 v17, 8, v14
	v_lshlrev_b32_e32 v14, 25, v14
	v_and_b32_sdwa v16, v15, s2 dst_sel:DWORD dst_unused:UNUSED_PAD src0_sel:WORD_1 src1_sel:DWORD
	v_lshrrev_b32_e32 v18, 4, v14
	s_movk_i32 s2, 0x7f00
	v_or_b32_e32 v18, 0x70000000, v18
	v_and_or_b32 v20, v17, s2, 0.5
	s_brev_b32 s2, 16
	v_add_f32_e32 v20, -0.5, v20
	v_mul_f32_e32 v18, 0x7800000, v18
	v_cmp_gt_u32_e64 s[2:3], s2, v14
	v_cndmask_b32_e64 v14, v18, v20, s[2:3]
	v_bfe_i32 v17, v17, 0, 16
	s_brev_b32 s2, 1
	v_and_or_b32 v14, v17, s2, v14
	v_cmp_eq_f32_e64 s[2:3], v19, v14
	v_cndmask_b32_e64 v17, 0, 1, s[2:3]
	v_cmp_neq_f32_e64 s[2:3], v19, v14
	v_cndmask_b32_e64 v14, 0, 1, s[2:3]
	v_cndmask_b32_e64 v14, v14, v17, s[0:1]
	v_and_b32_e32 v14, 1, v14
	v_or_b32_sdwa v14, v14, v16 dst_sel:WORD_1 dst_unused:UNUSED_PAD src0_sel:DWORD src1_sel:DWORD
	s_mov_b32 s2, 0xffff
	v_and_or_b32 v15, v15, s2, v14
.LBB236_49:
	s_or_b64 exec, exec, s[4:5]
	v_or_b32_e32 v14, 0x700, v0
	v_cmp_gt_i32_e64 s[2:3], s12, v14
	s_and_saveexec_b64 s[4:5], s[2:3]
	s_cbranch_execz .LBB236_51
; %bb.50:
	s_movk_i32 s2, 0xff
	v_lshlrev_b16_e32 v16, 8, v13
	v_lshlrev_b32_e32 v13, 25, v13
	v_and_b32_sdwa v14, v15, s2 dst_sel:DWORD dst_unused:UNUSED_PAD src0_sel:WORD_1 src1_sel:DWORD
	v_lshrrev_b32_e32 v17, 4, v13
	s_movk_i32 s2, 0x7f00
	v_or_b32_e32 v17, 0x70000000, v17
	v_and_or_b32 v18, v16, s2, 0.5
	s_brev_b32 s2, 16
	v_add_f32_e32 v18, -0.5, v18
	v_mul_f32_e32 v17, 0x7800000, v17
	v_cmp_gt_u32_e64 s[2:3], s2, v13
	v_cndmask_b32_e64 v13, v17, v18, s[2:3]
	v_bfe_i32 v16, v16, 0, 16
	s_brev_b32 s2, 1
	v_and_or_b32 v13, v16, s2, v13
	v_cmp_eq_f32_e64 s[2:3], v19, v13
	v_cndmask_b32_e64 v16, 0, 1, s[2:3]
	v_cmp_neq_f32_e64 s[2:3], v19, v13
	v_cndmask_b32_e64 v13, 0, 1, s[2:3]
	v_cndmask_b32_e64 v13, v13, v16, s[0:1]
	v_mov_b32_e32 v16, 1
	v_and_b32_sdwa v13, v13, v16 dst_sel:BYTE_1 dst_unused:UNUSED_PAD src0_sel:DWORD src1_sel:DWORD
	v_or_b32_sdwa v13, v14, v13 dst_sel:WORD_1 dst_unused:UNUSED_PAD src0_sel:DWORD src1_sel:DWORD
	s_mov_b32 s2, 0xffff
	v_and_or_b32 v15, v15, s2, v13
.LBB236_51:
	s_or_b64 exec, exec, s[4:5]
	v_or_b32_e32 v13, 0x800, v0
	v_cmp_gt_i32_e64 s[2:3], s12, v13
	s_and_saveexec_b64 s[4:5], s[2:3]
	s_cbranch_execz .LBB236_53
; %bb.52:
	v_lshlrev_b16_e32 v14, 8, v12
	v_lshlrev_b32_e32 v12, 25, v12
	v_lshrrev_b32_e32 v16, 4, v12
	s_movk_i32 s2, 0x7f00
	v_or_b32_e32 v16, 0x70000000, v16
	v_and_or_b32 v17, v14, s2, 0.5
	s_brev_b32 s2, 16
	v_add_f32_e32 v17, -0.5, v17
	v_mul_f32_e32 v16, 0x7800000, v16
	v_cmp_gt_u32_e64 s[2:3], s2, v12
	v_cndmask_b32_e64 v12, v16, v17, s[2:3]
	v_bfe_i32 v14, v14, 0, 16
	s_brev_b32 s2, 1
	v_and_or_b32 v12, v14, s2, v12
	v_cmp_eq_f32_e64 s[2:3], v19, v12
	v_cndmask_b32_e64 v14, 0, 1, s[2:3]
	v_cmp_neq_f32_e64 s[2:3], v19, v12
	v_cndmask_b32_e64 v12, 0, 1, s[2:3]
	v_cndmask_b32_e64 v12, v12, v14, s[0:1]
	v_and_b32_e32 v13, 0xffffff00, v2
	v_and_b32_e32 v12, 1, v12
	v_or_b32_e32 v12, v12, v13
	v_and_b32_e32 v12, 0xffff, v12
	s_mov_b32 s2, 0xffff0000
	v_and_or_b32 v2, v2, s2, v12
.LBB236_53:
	s_or_b64 exec, exec, s[4:5]
	v_or_b32_e32 v12, 0x900, v0
	v_cmp_gt_i32_e64 s[2:3], s12, v12
	s_and_saveexec_b64 s[4:5], s[2:3]
	s_cbranch_execz .LBB236_55
; %bb.54:
	v_lshlrev_b16_e32 v12, 8, v11
	v_lshlrev_b32_e32 v11, 25, v11
	v_lshrrev_b32_e32 v13, 4, v11
	s_movk_i32 s2, 0x7f00
	v_or_b32_e32 v13, 0x70000000, v13
	v_and_or_b32 v14, v12, s2, 0.5
	s_brev_b32 s2, 16
	v_add_f32_e32 v14, -0.5, v14
	v_mul_f32_e32 v13, 0x7800000, v13
	v_cmp_gt_u32_e64 s[2:3], s2, v11
	v_cndmask_b32_e64 v11, v13, v14, s[2:3]
	v_bfe_i32 v12, v12, 0, 16
	s_brev_b32 s2, 1
	v_and_or_b32 v11, v12, s2, v11
	v_cmp_eq_f32_e64 s[2:3], v19, v11
	v_cndmask_b32_e64 v12, 0, 1, s[2:3]
	v_cmp_neq_f32_e64 s[2:3], v19, v11
	v_cndmask_b32_e64 v11, 0, 1, s[2:3]
	v_cndmask_b32_e64 v11, v11, v12, s[0:1]
	v_mov_b32_e32 v12, 1
	v_and_b32_sdwa v11, v11, v12 dst_sel:BYTE_1 dst_unused:UNUSED_PAD src0_sel:DWORD src1_sel:DWORD
	v_or_b32_sdwa v11, v2, v11 dst_sel:DWORD dst_unused:UNUSED_PAD src0_sel:BYTE_0 src1_sel:DWORD
	v_and_b32_e32 v11, 0xffff, v11
	s_mov_b32 s2, 0xffff0000
	v_and_or_b32 v2, v2, s2, v11
.LBB236_55:
	s_or_b64 exec, exec, s[4:5]
	v_or_b32_e32 v11, 0xa00, v0
	v_cmp_gt_i32_e64 s[2:3], s12, v11
	s_and_saveexec_b64 s[4:5], s[2:3]
	s_cbranch_execz .LBB236_57
; %bb.56:
	s_movk_i32 s2, 0xff00
	v_lshlrev_b16_e32 v12, 8, v10
	v_lshlrev_b32_e32 v10, 25, v10
	v_and_b32_sdwa v11, v2, s2 dst_sel:DWORD dst_unused:UNUSED_PAD src0_sel:WORD_1 src1_sel:DWORD
	v_lshrrev_b32_e32 v13, 4, v10
	s_movk_i32 s2, 0x7f00
	v_or_b32_e32 v13, 0x70000000, v13
	v_and_or_b32 v14, v12, s2, 0.5
	s_brev_b32 s2, 16
	v_add_f32_e32 v14, -0.5, v14
	v_mul_f32_e32 v13, 0x7800000, v13
	v_cmp_gt_u32_e64 s[2:3], s2, v10
	v_cndmask_b32_e64 v10, v13, v14, s[2:3]
	v_bfe_i32 v12, v12, 0, 16
	s_brev_b32 s2, 1
	v_and_or_b32 v10, v12, s2, v10
	v_cmp_eq_f32_e64 s[2:3], v19, v10
	v_cndmask_b32_e64 v12, 0, 1, s[2:3]
	v_cmp_neq_f32_e64 s[2:3], v19, v10
	v_cndmask_b32_e64 v10, 0, 1, s[2:3]
	v_cndmask_b32_e64 v10, v10, v12, s[0:1]
	v_and_b32_e32 v10, 1, v10
	v_or_b32_sdwa v10, v10, v11 dst_sel:WORD_1 dst_unused:UNUSED_PAD src0_sel:DWORD src1_sel:DWORD
	s_mov_b32 s2, 0xffff
	v_and_or_b32 v2, v2, s2, v10
.LBB236_57:
	s_or_b64 exec, exec, s[4:5]
	v_or_b32_e32 v10, 0xb00, v0
	v_cmp_gt_i32_e64 s[2:3], s12, v10
	s_and_saveexec_b64 s[4:5], s[2:3]
	s_cbranch_execz .LBB236_59
; %bb.58:
	s_movk_i32 s2, 0xff
	v_lshlrev_b16_e32 v11, 8, v9
	v_lshlrev_b32_e32 v9, 25, v9
	v_and_b32_sdwa v10, v2, s2 dst_sel:DWORD dst_unused:UNUSED_PAD src0_sel:WORD_1 src1_sel:DWORD
	v_lshrrev_b32_e32 v12, 4, v9
	s_movk_i32 s2, 0x7f00
	v_or_b32_e32 v12, 0x70000000, v12
	v_and_or_b32 v13, v11, s2, 0.5
	s_brev_b32 s2, 16
	v_add_f32_e32 v13, -0.5, v13
	v_mul_f32_e32 v12, 0x7800000, v12
	v_cmp_gt_u32_e64 s[2:3], s2, v9
	v_cndmask_b32_e64 v9, v12, v13, s[2:3]
	v_bfe_i32 v11, v11, 0, 16
	s_brev_b32 s2, 1
	v_and_or_b32 v9, v11, s2, v9
	v_cmp_eq_f32_e64 s[2:3], v19, v9
	v_cndmask_b32_e64 v11, 0, 1, s[2:3]
	v_cmp_neq_f32_e64 s[2:3], v19, v9
	v_cndmask_b32_e64 v9, 0, 1, s[2:3]
	v_cndmask_b32_e64 v9, v9, v11, s[0:1]
	v_mov_b32_e32 v11, 1
	v_and_b32_sdwa v9, v9, v11 dst_sel:BYTE_1 dst_unused:UNUSED_PAD src0_sel:DWORD src1_sel:DWORD
	v_or_b32_sdwa v9, v10, v9 dst_sel:WORD_1 dst_unused:UNUSED_PAD src0_sel:DWORD src1_sel:DWORD
	s_mov_b32 s2, 0xffff
	v_and_or_b32 v2, v2, s2, v9
.LBB236_59:
	s_or_b64 exec, exec, s[4:5]
	v_or_b32_e32 v9, 0xc00, v0
	v_cmp_gt_i32_e64 s[2:3], s12, v9
	s_and_saveexec_b64 s[4:5], s[2:3]
	s_cbranch_execz .LBB236_61
; %bb.60:
	v_lshlrev_b16_e32 v10, 8, v8
	v_lshlrev_b32_e32 v8, 25, v8
	v_lshrrev_b32_e32 v11, 4, v8
	s_movk_i32 s2, 0x7f00
	v_or_b32_e32 v11, 0x70000000, v11
	v_and_or_b32 v12, v10, s2, 0.5
	s_brev_b32 s2, 16
	v_add_f32_e32 v12, -0.5, v12
	v_mul_f32_e32 v11, 0x7800000, v11
	v_cmp_gt_u32_e64 s[2:3], s2, v8
	v_cndmask_b32_e64 v8, v11, v12, s[2:3]
	v_bfe_i32 v10, v10, 0, 16
	s_brev_b32 s2, 1
	v_and_or_b32 v8, v10, s2, v8
	v_cmp_eq_f32_e64 s[2:3], v19, v8
	v_cndmask_b32_e64 v10, 0, 1, s[2:3]
	v_cmp_neq_f32_e64 s[2:3], v19, v8
	v_cndmask_b32_e64 v8, 0, 1, s[2:3]
	v_cndmask_b32_e64 v8, v8, v10, s[0:1]
	v_and_b32_e32 v9, 0xffffff00, v1
	v_and_b32_e32 v8, 1, v8
	v_or_b32_e32 v8, v8, v9
	v_and_b32_e32 v8, 0xffff, v8
	s_mov_b32 s2, 0xffff0000
	v_and_or_b32 v1, v1, s2, v8
.LBB236_61:
	s_or_b64 exec, exec, s[4:5]
	v_or_b32_e32 v8, 0xd00, v0
	v_cmp_gt_i32_e64 s[2:3], s12, v8
	s_and_saveexec_b64 s[4:5], s[2:3]
	s_cbranch_execz .LBB236_63
; %bb.62:
	v_lshlrev_b16_e32 v8, 8, v7
	v_lshlrev_b32_e32 v7, 25, v7
	v_lshrrev_b32_e32 v9, 4, v7
	s_movk_i32 s2, 0x7f00
	v_or_b32_e32 v9, 0x70000000, v9
	v_and_or_b32 v10, v8, s2, 0.5
	s_brev_b32 s2, 16
	v_add_f32_e32 v10, -0.5, v10
	v_mul_f32_e32 v9, 0x7800000, v9
	v_cmp_gt_u32_e64 s[2:3], s2, v7
	v_cndmask_b32_e64 v7, v9, v10, s[2:3]
	v_bfe_i32 v8, v8, 0, 16
	s_brev_b32 s2, 1
	v_and_or_b32 v7, v8, s2, v7
	v_cmp_eq_f32_e64 s[2:3], v19, v7
	v_cndmask_b32_e64 v8, 0, 1, s[2:3]
	v_cmp_neq_f32_e64 s[2:3], v19, v7
	v_cndmask_b32_e64 v7, 0, 1, s[2:3]
	v_cndmask_b32_e64 v7, v7, v8, s[0:1]
	v_mov_b32_e32 v8, 1
	v_and_b32_sdwa v7, v7, v8 dst_sel:BYTE_1 dst_unused:UNUSED_PAD src0_sel:DWORD src1_sel:DWORD
	v_or_b32_sdwa v7, v1, v7 dst_sel:DWORD dst_unused:UNUSED_PAD src0_sel:BYTE_0 src1_sel:DWORD
	v_and_b32_e32 v7, 0xffff, v7
	s_mov_b32 s2, 0xffff0000
	v_and_or_b32 v1, v1, s2, v7
.LBB236_63:
	s_or_b64 exec, exec, s[4:5]
	v_or_b32_e32 v7, 0xe00, v0
	v_cmp_gt_i32_e64 s[2:3], s12, v7
	s_and_saveexec_b64 s[4:5], s[2:3]
	s_cbranch_execz .LBB236_65
; %bb.64:
	s_movk_i32 s2, 0xff00
	v_lshlrev_b16_e32 v8, 8, v6
	v_lshlrev_b32_e32 v6, 25, v6
	v_and_b32_sdwa v7, v1, s2 dst_sel:DWORD dst_unused:UNUSED_PAD src0_sel:WORD_1 src1_sel:DWORD
	v_lshrrev_b32_e32 v9, 4, v6
	s_movk_i32 s2, 0x7f00
	v_or_b32_e32 v9, 0x70000000, v9
	v_and_or_b32 v10, v8, s2, 0.5
	s_brev_b32 s2, 16
	v_add_f32_e32 v10, -0.5, v10
	v_mul_f32_e32 v9, 0x7800000, v9
	v_cmp_gt_u32_e64 s[2:3], s2, v6
	v_cndmask_b32_e64 v6, v9, v10, s[2:3]
	v_bfe_i32 v8, v8, 0, 16
	s_brev_b32 s2, 1
	v_and_or_b32 v6, v8, s2, v6
	v_cmp_eq_f32_e64 s[2:3], v19, v6
	v_cndmask_b32_e64 v8, 0, 1, s[2:3]
	v_cmp_neq_f32_e64 s[2:3], v19, v6
	v_cndmask_b32_e64 v6, 0, 1, s[2:3]
	v_cndmask_b32_e64 v6, v6, v8, s[0:1]
	v_and_b32_e32 v6, 1, v6
	v_or_b32_sdwa v6, v6, v7 dst_sel:WORD_1 dst_unused:UNUSED_PAD src0_sel:DWORD src1_sel:DWORD
	s_mov_b32 s2, 0xffff
	v_and_or_b32 v1, v1, s2, v6
.LBB236_65:
	s_or_b64 exec, exec, s[4:5]
	v_or_b32_e32 v6, 0xf00, v0
	v_cmp_gt_i32_e64 s[2:3], s12, v6
	s_and_saveexec_b64 s[4:5], s[2:3]
	s_cbranch_execnz .LBB236_84
; %bb.66:
	s_or_b64 exec, exec, s[4:5]
	s_and_saveexec_b64 s[0:1], vcc
	s_xor_b64 s[0:1], exec, s[0:1]
	s_cbranch_execnz .LBB236_85
.LBB236_67:
	s_or_b64 exec, exec, s[0:1]
	v_cmp_gt_i32_e32 vcc, s12, v0
	s_and_saveexec_b64 s[0:1], vcc
	s_cbranch_execnz .LBB236_86
.LBB236_68:
	s_or_b64 exec, exec, s[0:1]
	v_cmp_gt_i32_e32 vcc, s12, v0
	s_and_saveexec_b64 s[0:1], vcc
	s_cbranch_execnz .LBB236_87
.LBB236_69:
	s_or_b64 exec, exec, s[0:1]
	v_cmp_gt_i32_e32 vcc, s12, v0
	s_and_saveexec_b64 s[0:1], vcc
	s_cbranch_execnz .LBB236_88
.LBB236_70:
	s_or_b64 exec, exec, s[0:1]
	v_cmp_gt_i32_e32 vcc, s12, v0
	s_and_saveexec_b64 s[0:1], vcc
	s_cbranch_execnz .LBB236_89
.LBB236_71:
	s_or_b64 exec, exec, s[0:1]
	v_cmp_gt_i32_e32 vcc, s12, v0
	s_and_saveexec_b64 s[0:1], vcc
	s_cbranch_execnz .LBB236_90
.LBB236_72:
	s_or_b64 exec, exec, s[0:1]
	v_cmp_gt_i32_e32 vcc, s12, v0
	s_and_saveexec_b64 s[0:1], vcc
	s_cbranch_execnz .LBB236_91
.LBB236_73:
	s_or_b64 exec, exec, s[0:1]
	v_cmp_gt_i32_e32 vcc, s12, v0
	s_and_saveexec_b64 s[0:1], vcc
	s_cbranch_execnz .LBB236_92
.LBB236_74:
	s_or_b64 exec, exec, s[0:1]
	v_cmp_gt_i32_e32 vcc, s12, v0
	s_and_saveexec_b64 s[0:1], vcc
	s_cbranch_execnz .LBB236_93
.LBB236_75:
	s_or_b64 exec, exec, s[0:1]
	v_cmp_gt_i32_e32 vcc, s12, v0
	s_and_saveexec_b64 s[0:1], vcc
	s_cbranch_execnz .LBB236_94
.LBB236_76:
	s_or_b64 exec, exec, s[0:1]
	v_cmp_gt_i32_e32 vcc, s12, v0
	s_and_saveexec_b64 s[0:1], vcc
	s_cbranch_execnz .LBB236_95
.LBB236_77:
	s_or_b64 exec, exec, s[0:1]
	v_cmp_gt_i32_e32 vcc, s12, v0
	s_and_saveexec_b64 s[0:1], vcc
	s_cbranch_execnz .LBB236_96
.LBB236_78:
	s_or_b64 exec, exec, s[0:1]
	v_cmp_gt_i32_e32 vcc, s12, v0
	s_and_saveexec_b64 s[0:1], vcc
	s_cbranch_execnz .LBB236_97
.LBB236_79:
	s_or_b64 exec, exec, s[0:1]
	v_cmp_gt_i32_e32 vcc, s12, v0
	s_and_saveexec_b64 s[0:1], vcc
	s_cbranch_execnz .LBB236_98
.LBB236_80:
	s_or_b64 exec, exec, s[0:1]
	v_cmp_gt_i32_e32 vcc, s12, v0
	s_and_saveexec_b64 s[0:1], vcc
	s_cbranch_execnz .LBB236_99
.LBB236_81:
	s_or_b64 exec, exec, s[0:1]
	v_cmp_gt_i32_e32 vcc, s12, v0
	s_and_saveexec_b64 s[0:1], vcc
	s_cbranch_execz .LBB236_83
.LBB236_82:
	v_lshrrev_b32_e32 v1, 24, v1
	v_add_u32_e32 v0, s15, v0
	global_store_byte v0, v1, s[16:17]
.LBB236_83:
	s_endpgm
.LBB236_84:
	s_movk_i32 s2, 0xff
	v_lshlrev_b16_e32 v7, 8, v5
	v_lshlrev_b32_e32 v5, 25, v5
	v_and_b32_sdwa v6, v1, s2 dst_sel:DWORD dst_unused:UNUSED_PAD src0_sel:WORD_1 src1_sel:DWORD
	v_lshrrev_b32_e32 v8, 4, v5
	s_movk_i32 s2, 0x7f00
	v_or_b32_e32 v8, 0x70000000, v8
	v_and_or_b32 v9, v7, s2, 0.5
	s_brev_b32 s2, 16
	v_add_f32_e32 v9, -0.5, v9
	v_mul_f32_e32 v8, 0x7800000, v8
	v_cmp_gt_u32_e64 s[2:3], s2, v5
	v_cndmask_b32_e64 v5, v8, v9, s[2:3]
	v_bfe_i32 v7, v7, 0, 16
	s_brev_b32 s2, 1
	v_and_or_b32 v5, v7, s2, v5
	v_cmp_eq_f32_e64 s[2:3], v19, v5
	v_cndmask_b32_e64 v7, 0, 1, s[2:3]
	v_cmp_neq_f32_e64 s[2:3], v19, v5
	v_cndmask_b32_e64 v5, 0, 1, s[2:3]
	v_cndmask_b32_e64 v5, v5, v7, s[0:1]
	v_mov_b32_e32 v7, 1
	v_and_b32_sdwa v5, v5, v7 dst_sel:BYTE_1 dst_unused:UNUSED_PAD src0_sel:DWORD src1_sel:DWORD
	v_or_b32_sdwa v5, v6, v5 dst_sel:WORD_1 dst_unused:UNUSED_PAD src0_sel:DWORD src1_sel:DWORD
	s_mov_b32 s0, 0xffff
	v_and_or_b32 v1, v1, s0, v5
	s_or_b64 exec, exec, s[4:5]
	s_and_saveexec_b64 s[0:1], vcc
	s_xor_b64 s[0:1], exec, s[0:1]
	s_cbranch_execz .LBB236_67
.LBB236_85:
	v_mov_b32_e32 v0, v21
	global_store_byte v4, v3, s[16:17]
	s_or_b64 exec, exec, s[0:1]
	v_cmp_gt_i32_e32 vcc, s12, v0
	s_and_saveexec_b64 s[0:1], vcc
	s_cbranch_execz .LBB236_68
.LBB236_86:
	v_lshrrev_b32_e32 v4, 8, v3
	v_add_u32_e32 v5, s15, v0
	v_add_u32_e32 v0, 0x100, v0
	global_store_byte v5, v4, s[16:17]
	s_or_b64 exec, exec, s[0:1]
	v_cmp_gt_i32_e32 vcc, s12, v0
	s_and_saveexec_b64 s[0:1], vcc
	s_cbranch_execz .LBB236_69
.LBB236_87:
	v_add_u32_e32 v4, s15, v0
	v_add_u32_e32 v0, 0x100, v0
	global_store_byte_d16_hi v4, v3, s[16:17]
	s_or_b64 exec, exec, s[0:1]
	v_cmp_gt_i32_e32 vcc, s12, v0
	s_and_saveexec_b64 s[0:1], vcc
	s_cbranch_execz .LBB236_70
.LBB236_88:
	v_lshrrev_b32_e32 v3, 24, v3
	v_add_u32_e32 v4, s15, v0
	v_add_u32_e32 v0, 0x100, v0
	global_store_byte v4, v3, s[16:17]
	s_or_b64 exec, exec, s[0:1]
	v_cmp_gt_i32_e32 vcc, s12, v0
	s_and_saveexec_b64 s[0:1], vcc
	s_cbranch_execz .LBB236_71
.LBB236_89:
	v_add_u32_e32 v3, s15, v0
	v_add_u32_e32 v0, 0x100, v0
	global_store_byte v3, v15, s[16:17]
	s_or_b64 exec, exec, s[0:1]
	v_cmp_gt_i32_e32 vcc, s12, v0
	s_and_saveexec_b64 s[0:1], vcc
	s_cbranch_execz .LBB236_72
.LBB236_90:
	v_lshrrev_b32_e32 v3, 8, v15
	v_add_u32_e32 v4, s15, v0
	v_add_u32_e32 v0, 0x100, v0
	global_store_byte v4, v3, s[16:17]
	s_or_b64 exec, exec, s[0:1]
	v_cmp_gt_i32_e32 vcc, s12, v0
	s_and_saveexec_b64 s[0:1], vcc
	s_cbranch_execz .LBB236_73
.LBB236_91:
	v_add_u32_e32 v3, s15, v0
	v_add_u32_e32 v0, 0x100, v0
	global_store_byte_d16_hi v3, v15, s[16:17]
	s_or_b64 exec, exec, s[0:1]
	v_cmp_gt_i32_e32 vcc, s12, v0
	s_and_saveexec_b64 s[0:1], vcc
	s_cbranch_execz .LBB236_74
.LBB236_92:
	v_lshrrev_b32_e32 v3, 24, v15
	v_add_u32_e32 v4, s15, v0
	v_add_u32_e32 v0, 0x100, v0
	global_store_byte v4, v3, s[16:17]
	s_or_b64 exec, exec, s[0:1]
	v_cmp_gt_i32_e32 vcc, s12, v0
	s_and_saveexec_b64 s[0:1], vcc
	s_cbranch_execz .LBB236_75
.LBB236_93:
	v_add_u32_e32 v3, s15, v0
	v_add_u32_e32 v0, 0x100, v0
	global_store_byte v3, v2, s[16:17]
	s_or_b64 exec, exec, s[0:1]
	v_cmp_gt_i32_e32 vcc, s12, v0
	s_and_saveexec_b64 s[0:1], vcc
	s_cbranch_execz .LBB236_76
.LBB236_94:
	v_lshrrev_b32_e32 v3, 8, v2
	v_add_u32_e32 v4, s15, v0
	v_add_u32_e32 v0, 0x100, v0
	global_store_byte v4, v3, s[16:17]
	s_or_b64 exec, exec, s[0:1]
	v_cmp_gt_i32_e32 vcc, s12, v0
	s_and_saveexec_b64 s[0:1], vcc
	s_cbranch_execz .LBB236_77
.LBB236_95:
	v_add_u32_e32 v3, s15, v0
	v_add_u32_e32 v0, 0x100, v0
	global_store_byte_d16_hi v3, v2, s[16:17]
	s_or_b64 exec, exec, s[0:1]
	v_cmp_gt_i32_e32 vcc, s12, v0
	s_and_saveexec_b64 s[0:1], vcc
	s_cbranch_execz .LBB236_78
.LBB236_96:
	v_lshrrev_b32_e32 v2, 24, v2
	v_add_u32_e32 v3, s15, v0
	v_add_u32_e32 v0, 0x100, v0
	global_store_byte v3, v2, s[16:17]
	s_or_b64 exec, exec, s[0:1]
	v_cmp_gt_i32_e32 vcc, s12, v0
	s_and_saveexec_b64 s[0:1], vcc
	s_cbranch_execz .LBB236_79
.LBB236_97:
	v_add_u32_e32 v2, s15, v0
	v_add_u32_e32 v0, 0x100, v0
	global_store_byte v2, v1, s[16:17]
	s_or_b64 exec, exec, s[0:1]
	v_cmp_gt_i32_e32 vcc, s12, v0
	s_and_saveexec_b64 s[0:1], vcc
	s_cbranch_execz .LBB236_80
.LBB236_98:
	v_lshrrev_b32_e32 v2, 8, v1
	v_add_u32_e32 v3, s15, v0
	v_add_u32_e32 v0, 0x100, v0
	global_store_byte v3, v2, s[16:17]
	s_or_b64 exec, exec, s[0:1]
	v_cmp_gt_i32_e32 vcc, s12, v0
	s_and_saveexec_b64 s[0:1], vcc
	s_cbranch_execz .LBB236_81
.LBB236_99:
	v_add_u32_e32 v2, s15, v0
	v_add_u32_e32 v0, 0x100, v0
	global_store_byte_d16_hi v2, v1, s[16:17]
	s_or_b64 exec, exec, s[0:1]
	v_cmp_gt_i32_e32 vcc, s12, v0
	s_and_saveexec_b64 s[0:1], vcc
	s_cbranch_execnz .LBB236_82
	s_branch .LBB236_83
	.section	.rodata,"a",@progbits
	.p2align	6, 0x0
	.amdhsa_kernel _ZN2at6native29vectorized_elementwise_kernelILi8ENS0_13AUnaryFunctorIN3c1011Float8_e5m2ES4_bNS0_12_GLOBAL__N_116CompareEqFunctorIS4_EEEESt5arrayIPcLm2EEEEviT0_T1_
		.amdhsa_group_segment_fixed_size 0
		.amdhsa_private_segment_fixed_size 0
		.amdhsa_kernarg_size 32
		.amdhsa_user_sgpr_count 6
		.amdhsa_user_sgpr_private_segment_buffer 1
		.amdhsa_user_sgpr_dispatch_ptr 0
		.amdhsa_user_sgpr_queue_ptr 0
		.amdhsa_user_sgpr_kernarg_segment_ptr 1
		.amdhsa_user_sgpr_dispatch_id 0
		.amdhsa_user_sgpr_flat_scratch_init 0
		.amdhsa_user_sgpr_private_segment_size 0
		.amdhsa_uses_dynamic_stack 0
		.amdhsa_system_sgpr_private_segment_wavefront_offset 0
		.amdhsa_system_sgpr_workgroup_id_x 1
		.amdhsa_system_sgpr_workgroup_id_y 0
		.amdhsa_system_sgpr_workgroup_id_z 0
		.amdhsa_system_sgpr_workgroup_info 0
		.amdhsa_system_vgpr_workitem_id 0
		.amdhsa_next_free_vgpr 26
		.amdhsa_next_free_sgpr 42
		.amdhsa_reserve_vcc 1
		.amdhsa_reserve_flat_scratch 0
		.amdhsa_float_round_mode_32 0
		.amdhsa_float_round_mode_16_64 0
		.amdhsa_float_denorm_mode_32 3
		.amdhsa_float_denorm_mode_16_64 3
		.amdhsa_dx10_clamp 1
		.amdhsa_ieee_mode 1
		.amdhsa_fp16_overflow 0
		.amdhsa_exception_fp_ieee_invalid_op 0
		.amdhsa_exception_fp_denorm_src 0
		.amdhsa_exception_fp_ieee_div_zero 0
		.amdhsa_exception_fp_ieee_overflow 0
		.amdhsa_exception_fp_ieee_underflow 0
		.amdhsa_exception_fp_ieee_inexact 0
		.amdhsa_exception_int_div_zero 0
	.end_amdhsa_kernel
	.section	.text._ZN2at6native29vectorized_elementwise_kernelILi8ENS0_13AUnaryFunctorIN3c1011Float8_e5m2ES4_bNS0_12_GLOBAL__N_116CompareEqFunctorIS4_EEEESt5arrayIPcLm2EEEEviT0_T1_,"axG",@progbits,_ZN2at6native29vectorized_elementwise_kernelILi8ENS0_13AUnaryFunctorIN3c1011Float8_e5m2ES4_bNS0_12_GLOBAL__N_116CompareEqFunctorIS4_EEEESt5arrayIPcLm2EEEEviT0_T1_,comdat
.Lfunc_end236:
	.size	_ZN2at6native29vectorized_elementwise_kernelILi8ENS0_13AUnaryFunctorIN3c1011Float8_e5m2ES4_bNS0_12_GLOBAL__N_116CompareEqFunctorIS4_EEEESt5arrayIPcLm2EEEEviT0_T1_, .Lfunc_end236-_ZN2at6native29vectorized_elementwise_kernelILi8ENS0_13AUnaryFunctorIN3c1011Float8_e5m2ES4_bNS0_12_GLOBAL__N_116CompareEqFunctorIS4_EEEESt5arrayIPcLm2EEEEviT0_T1_
                                        ; -- End function
	.set _ZN2at6native29vectorized_elementwise_kernelILi8ENS0_13AUnaryFunctorIN3c1011Float8_e5m2ES4_bNS0_12_GLOBAL__N_116CompareEqFunctorIS4_EEEESt5arrayIPcLm2EEEEviT0_T1_.num_vgpr, 26
	.set _ZN2at6native29vectorized_elementwise_kernelILi8ENS0_13AUnaryFunctorIN3c1011Float8_e5m2ES4_bNS0_12_GLOBAL__N_116CompareEqFunctorIS4_EEEESt5arrayIPcLm2EEEEviT0_T1_.num_agpr, 0
	.set _ZN2at6native29vectorized_elementwise_kernelILi8ENS0_13AUnaryFunctorIN3c1011Float8_e5m2ES4_bNS0_12_GLOBAL__N_116CompareEqFunctorIS4_EEEESt5arrayIPcLm2EEEEviT0_T1_.numbered_sgpr, 42
	.set _ZN2at6native29vectorized_elementwise_kernelILi8ENS0_13AUnaryFunctorIN3c1011Float8_e5m2ES4_bNS0_12_GLOBAL__N_116CompareEqFunctorIS4_EEEESt5arrayIPcLm2EEEEviT0_T1_.num_named_barrier, 0
	.set _ZN2at6native29vectorized_elementwise_kernelILi8ENS0_13AUnaryFunctorIN3c1011Float8_e5m2ES4_bNS0_12_GLOBAL__N_116CompareEqFunctorIS4_EEEESt5arrayIPcLm2EEEEviT0_T1_.private_seg_size, 0
	.set _ZN2at6native29vectorized_elementwise_kernelILi8ENS0_13AUnaryFunctorIN3c1011Float8_e5m2ES4_bNS0_12_GLOBAL__N_116CompareEqFunctorIS4_EEEESt5arrayIPcLm2EEEEviT0_T1_.uses_vcc, 1
	.set _ZN2at6native29vectorized_elementwise_kernelILi8ENS0_13AUnaryFunctorIN3c1011Float8_e5m2ES4_bNS0_12_GLOBAL__N_116CompareEqFunctorIS4_EEEESt5arrayIPcLm2EEEEviT0_T1_.uses_flat_scratch, 0
	.set _ZN2at6native29vectorized_elementwise_kernelILi8ENS0_13AUnaryFunctorIN3c1011Float8_e5m2ES4_bNS0_12_GLOBAL__N_116CompareEqFunctorIS4_EEEESt5arrayIPcLm2EEEEviT0_T1_.has_dyn_sized_stack, 0
	.set _ZN2at6native29vectorized_elementwise_kernelILi8ENS0_13AUnaryFunctorIN3c1011Float8_e5m2ES4_bNS0_12_GLOBAL__N_116CompareEqFunctorIS4_EEEESt5arrayIPcLm2EEEEviT0_T1_.has_recursion, 0
	.set _ZN2at6native29vectorized_elementwise_kernelILi8ENS0_13AUnaryFunctorIN3c1011Float8_e5m2ES4_bNS0_12_GLOBAL__N_116CompareEqFunctorIS4_EEEESt5arrayIPcLm2EEEEviT0_T1_.has_indirect_call, 0
	.section	.AMDGPU.csdata,"",@progbits
; Kernel info:
; codeLenInByte = 7336
; TotalNumSgprs: 46
; NumVgprs: 26
; ScratchSize: 0
; MemoryBound: 0
; FloatMode: 240
; IeeeMode: 1
; LDSByteSize: 0 bytes/workgroup (compile time only)
; SGPRBlocks: 5
; VGPRBlocks: 6
; NumSGPRsForWavesPerEU: 46
; NumVGPRsForWavesPerEU: 26
; Occupancy: 9
; WaveLimiterHint : 1
; COMPUTE_PGM_RSRC2:SCRATCH_EN: 0
; COMPUTE_PGM_RSRC2:USER_SGPR: 6
; COMPUTE_PGM_RSRC2:TRAP_HANDLER: 0
; COMPUTE_PGM_RSRC2:TGID_X_EN: 1
; COMPUTE_PGM_RSRC2:TGID_Y_EN: 0
; COMPUTE_PGM_RSRC2:TGID_Z_EN: 0
; COMPUTE_PGM_RSRC2:TIDIG_COMP_CNT: 0
	.section	.text._ZN2at6native29vectorized_elementwise_kernelILi4ENS0_13AUnaryFunctorIN3c1011Float8_e5m2ES4_bNS0_12_GLOBAL__N_116CompareEqFunctorIS4_EEEESt5arrayIPcLm2EEEEviT0_T1_,"axG",@progbits,_ZN2at6native29vectorized_elementwise_kernelILi4ENS0_13AUnaryFunctorIN3c1011Float8_e5m2ES4_bNS0_12_GLOBAL__N_116CompareEqFunctorIS4_EEEESt5arrayIPcLm2EEEEviT0_T1_,comdat
	.globl	_ZN2at6native29vectorized_elementwise_kernelILi4ENS0_13AUnaryFunctorIN3c1011Float8_e5m2ES4_bNS0_12_GLOBAL__N_116CompareEqFunctorIS4_EEEESt5arrayIPcLm2EEEEviT0_T1_ ; -- Begin function _ZN2at6native29vectorized_elementwise_kernelILi4ENS0_13AUnaryFunctorIN3c1011Float8_e5m2ES4_bNS0_12_GLOBAL__N_116CompareEqFunctorIS4_EEEESt5arrayIPcLm2EEEEviT0_T1_
	.p2align	8
	.type	_ZN2at6native29vectorized_elementwise_kernelILi4ENS0_13AUnaryFunctorIN3c1011Float8_e5m2ES4_bNS0_12_GLOBAL__N_116CompareEqFunctorIS4_EEEESt5arrayIPcLm2EEEEviT0_T1_,@function
_ZN2at6native29vectorized_elementwise_kernelILi4ENS0_13AUnaryFunctorIN3c1011Float8_e5m2ES4_bNS0_12_GLOBAL__N_116CompareEqFunctorIS4_EEEESt5arrayIPcLm2EEEEviT0_T1_: ; @_ZN2at6native29vectorized_elementwise_kernelILi4ENS0_13AUnaryFunctorIN3c1011Float8_e5m2ES4_bNS0_12_GLOBAL__N_116CompareEqFunctorIS4_EEEESt5arrayIPcLm2EEEEviT0_T1_
; %bb.0:
	s_load_dwordx8 s[12:19], s[4:5], 0x0
	s_waitcnt lgkmcnt(0)
	s_lshl_b32 s15, s6, 12
	s_mov_b64 s[0:1], -1
	s_sub_i32 s12, s12, s15
	s_cmpk_gt_i32 s12, 0xfff
	s_cbranch_scc0 .LBB237_2
; %bb.1:
	s_ashr_i32 s10, s15, 31
	s_add_u32 s0, s18, s15
	s_addc_u32 s1, s19, s10
	v_lshlrev_b32_e32 v1, 2, v0
	global_load_dword v2, v1, s[0:1]
	global_load_dword v3, v1, s[0:1] offset:1024
	global_load_dword v5, v1, s[0:1] offset:2048
	;; [unrolled: 1-line block ×3, first 2 shown]
	s_cmp_eq_u32 s13, 0
	s_cselect_b64 vcc, -1, 0
	s_lshl_b32 s0, s14, 8
	s_lshl_b32 s1, s14, 25
	s_lshr_b32 s2, s1, 4
	s_and_b32 s0, s0, 0x7f00
	s_movk_i32 s21, 0x7f00
	s_or_b32 s2, s2, 0x70000000
	s_or_b32 s0, s0, 0.5
	s_brev_b32 s20, 16
	v_mov_b32_e32 v4, 0x7800000
	s_cmp_lt_u32 s1, 0x8000000
	v_add_f32_e64 v7, s0, -0.5
	v_mul_f32_e32 v4, s2, v4
	s_cselect_b64 s[0:1], -1, 0
	s_brev_b32 s11, 1
	v_cndmask_b32_e64 v4, v4, v7, s[0:1]
	s_waitcnt vmcnt(3)
	v_lshlrev_b32_e32 v12, 13, v2
	v_lshlrev_b32_e32 v15, 5, v2
	v_lshrrev_b32_e32 v16, 3, v2
	v_and_b32_e32 v12, 0xfe00000, v12
	v_lshrrev_b32_e32 v8, 16, v2
	v_lshrrev_b32_e32 v9, 8, v2
	v_lshlrev_b32_e32 v10, 17, v2
	v_and_or_b32 v17, v2, s21, 0.5
	v_and_b32_e32 v16, 0xfe00000, v16
	v_and_b32_e32 v15, 0xfe00000, v15
	v_or_b32_e32 v12, 0x70000000, v12
	v_lshlrev_b32_e32 v11, 25, v2
	s_waitcnt vmcnt(2)
	v_lshlrev_b32_e32 v21, 17, v3
	v_lshlrev_b32_e32 v22, 17, v9
	;; [unrolled: 1-line block ×3, first 2 shown]
	v_and_or_b32 v8, v8, s21, 0.5
	v_or_b32_e32 v16, 0x70000000, v16
	v_and_or_b32 v9, v9, s21, 0.5
	v_or_b32_e32 v15, 0x70000000, v15
	v_add_f32_e32 v17, -0.5, v17
	v_mul_f32_e32 v12, 0x7800000, v12
	v_cmp_gt_u32_e64 s[6:7], s20, v10
	v_lshlrev_b16_e32 v7, 8, v2
	v_lshlrev_b32_e32 v13, 16, v2
	v_add_f32_e32 v8, -0.5, v8
	v_mul_f32_e32 v16, 0x7800000, v16
	v_cmp_gt_u32_e64 s[0:1], s20, v23
	v_lshrrev_b32_e32 v23, 4, v11
	v_add_f32_e32 v9, -0.5, v9
	v_mul_f32_e32 v15, 0x7800000, v15
	v_cmp_gt_u32_e64 s[2:3], s20, v22
	v_cmp_gt_u32_e64 s[4:5], s20, v11
	v_lshlrev_b32_e32 v11, 13, v3
	v_cmp_gt_u32_e64 s[8:9], s20, v21
	v_lshlrev_b32_e32 v21, 25, v3
	v_cndmask_b32_e64 v12, v12, v17, s[6:7]
	v_lshlrev_b16_e32 v18, 8, v3
	v_and_or_b32 v22, v7, s21, 0.5
	v_or_b32_e32 v23, 0x70000000, v23
	v_and_b32_e32 v11, 0xfe00000, v11
	v_cndmask_b32_e64 v9, v15, v9, s[2:3]
	v_lshlrev_b32_e32 v15, 5, v3
	v_cndmask_b32_e64 v8, v16, v8, s[0:1]
	v_and_or_b32 v12, v13, s11, v12
	v_lshrrev_b32_e32 v13, 4, v21
	v_lshlrev_b32_e32 v14, 8, v2
	v_lshrrev_b32_e32 v20, 8, v3
	v_add_f32_e32 v22, -0.5, v22
	v_mul_f32_e32 v23, 0x7800000, v23
	v_and_or_b32 v10, v3, s21, 0.5
	v_or_b32_e32 v11, 0x70000000, v11
	v_lshrrev_b32_e32 v16, 3, v3
	v_and_or_b32 v2, v2, s11, v8
	v_bfe_i32 v8, v18, 0, 16
	v_and_b32_e32 v15, 0xfe00000, v15
	v_or_b32_e32 v13, 0x70000000, v13
	v_and_or_b32 v18, v18, s21, 0.5
	v_lshrrev_b32_e32 v19, 16, v3
	v_add_f32_e32 v10, -0.5, v10
	v_mul_f32_e32 v11, 0x7800000, v11
	v_cndmask_b32_e64 v22, v23, v22, s[4:5]
	v_bfe_i32 v7, v7, 0, 16
	v_and_or_b32 v9, v14, s11, v9
	v_lshlrev_b32_e32 v14, 17, v20
	v_and_b32_e32 v16, 0xfe00000, v16
	v_or_b32_e32 v15, 0x70000000, v15
	v_and_or_b32 v20, v20, s21, 0.5
	v_add_f32_e32 v18, -0.5, v18
	v_mul_f32_e32 v13, 0x7800000, v13
	v_cmp_gt_u32_e64 s[0:1], s20, v21
	v_and_or_b32 v7, v7, s11, v22
	v_lshlrev_b32_e32 v22, 17, v19
	v_or_b32_e32 v16, 0x70000000, v16
	v_and_or_b32 v19, v19, s21, 0.5
	v_add_f32_e32 v20, -0.5, v20
	v_mul_f32_e32 v15, 0x7800000, v15
	v_cndmask_b32_e64 v10, v11, v10, s[8:9]
	v_cndmask_b32_e64 v11, v13, v18, s[0:1]
	v_cmp_gt_u32_e64 s[0:1], s20, v14
	s_waitcnt vmcnt(1)
	v_lshlrev_b32_e32 v21, 13, v5
	v_lshlrev_b32_e32 v17, 16, v3
	;; [unrolled: 1-line block ×3, first 2 shown]
	v_add_f32_e32 v19, -0.5, v19
	v_mul_f32_e32 v16, 0x7800000, v16
	v_cndmask_b32_e64 v13, v15, v20, s[0:1]
	v_cmp_gt_u32_e64 s[0:1], s20, v22
	v_lshlrev_b32_e32 v20, 25, v5
	v_and_b32_e32 v21, 0xfe00000, v21
	v_cndmask_b32_e64 v14, v16, v19, s[0:1]
	v_and_or_b32 v13, v23, s11, v13
	v_and_or_b32 v8, v8, s11, v11
	;; [unrolled: 1-line block ×3, first 2 shown]
	v_lshlrev_b16_e32 v11, 8, v5
	v_lshlrev_b32_e32 v17, 17, v5
	v_lshrrev_b32_e32 v23, 4, v20
	v_or_b32_e32 v21, 0x70000000, v21
	v_cmp_gt_u32_e64 s[0:1], s20, v20
	v_and_or_b32 v20, v5, s21, 0.5
	v_and_or_b32 v3, v3, s11, v14
	v_bfe_i32 v14, v11, 0, 16
	v_or_b32_e32 v23, 0x70000000, v23
	v_and_or_b32 v11, v11, s21, 0.5
	v_add_f32_e32 v20, -0.5, v20
	v_mul_f32_e32 v21, 0x7800000, v21
	v_cmp_gt_u32_e64 s[2:3], s20, v17
	v_add_f32_e32 v11, -0.5, v11
	v_mul_f32_e32 v23, 0x7800000, v23
	v_cndmask_b32_e64 v20, v21, v20, s[2:3]
	v_lshlrev_b32_e32 v21, 5, v5
	v_lshrrev_b32_e32 v16, 8, v5
	v_cndmask_b32_e64 v11, v23, v11, s[0:1]
	v_lshrrev_b32_e32 v23, 3, v5
	v_and_b32_e32 v21, 0xfe00000, v21
	v_lshrrev_b32_e32 v15, 16, v5
	v_lshlrev_b32_e32 v18, 17, v16
	v_and_b32_e32 v23, 0xfe00000, v23
	v_or_b32_e32 v21, 0x70000000, v21
	v_and_or_b32 v16, v16, s21, 0.5
	v_lshlrev_b32_e32 v19, 17, v15
	v_or_b32_e32 v23, 0x70000000, v23
	v_and_or_b32 v15, v15, s21, 0.5
	v_add_f32_e32 v16, -0.5, v16
	v_mul_f32_e32 v21, 0x7800000, v21
	v_cmp_gt_u32_e64 s[0:1], s20, v18
	v_add_f32_e32 v15, -0.5, v15
	v_mul_f32_e32 v23, 0x7800000, v23
	v_cndmask_b32_e64 v16, v21, v16, s[0:1]
	v_cmp_gt_u32_e64 s[0:1], s20, v19
	v_lshlrev_b32_e32 v17, 8, v5
	v_cndmask_b32_e64 v15, v23, v15, s[0:1]
	v_lshlrev_b32_e32 v22, 16, v5
	v_and_or_b32 v5, v5, s11, v15
	v_and_or_b32 v15, v17, s11, v16
	s_waitcnt vmcnt(0)
	v_lshrrev_b32_e32 v17, 16, v6
	v_and_or_b32 v11, v14, s11, v11
	v_and_or_b32 v14, v22, s11, v20
	v_lshlrev_b32_e32 v20, 17, v17
	v_lshlrev_b32_e32 v21, 25, v6
	v_cmp_gt_u32_e64 s[0:1], s20, v20
	v_lshrrev_b32_e32 v20, 4, v21
	v_cmp_gt_u32_e64 s[4:5], s20, v21
	v_lshlrev_b32_e32 v21, 13, v6
	v_and_b32_e32 v21, 0xfe00000, v21
	v_or_b32_e32 v21, 0x70000000, v21
	v_and_or_b32 v24, v6, s21, 0.5
	v_lshlrev_b32_e32 v25, 17, v6
	v_lshrrev_b32_e32 v18, 8, v6
	v_lshrrev_b32_e32 v23, 3, v6
	v_add_f32_e32 v24, -0.5, v24
	v_mul_f32_e32 v21, 0x7800000, v21
	v_cmp_gt_u32_e64 s[6:7], s20, v25
	v_lshlrev_b16_e32 v16, 8, v6
	v_lshlrev_b32_e32 v19, 17, v18
	v_and_b32_e32 v23, 0xfe00000, v23
	v_cndmask_b32_e64 v21, v21, v24, s[6:7]
	s_lshl_b32 s6, s14, 24
	v_or_b32_e32 v23, 0x70000000, v23
	v_and_or_b32 v17, v17, s21, 0.5
	v_or_b32_e32 v20, 0x70000000, v20
	v_cmp_gt_u32_e64 s[2:3], s20, v19
	v_and_or_b32 v19, v16, s21, 0.5
	s_and_b32 s6, s6, 0x80000000
	v_add_f32_e32 v17, -0.5, v17
	v_mul_f32_e32 v23, 0x7800000, v23
	v_add_f32_e32 v19, -0.5, v19
	v_mul_f32_e32 v20, 0x7800000, v20
	v_or_b32_e32 v4, s6, v4
	v_bfe_i32 v16, v16, 0, 16
	v_cndmask_b32_e64 v19, v20, v19, s[4:5]
	v_cndmask_b32_e64 v17, v23, v17, s[0:1]
	v_cmp_eq_f32_e64 s[0:1], v4, v2
	v_and_or_b32 v16, v16, s11, v19
	v_cndmask_b32_e64 v19, 0, 1, s[0:1]
	v_cmp_neq_f32_e64 s[0:1], v4, v2
	v_cndmask_b32_e64 v2, 0, 1, s[0:1]
	v_cmp_eq_f32_e64 s[0:1], v4, v9
	v_cndmask_b32_e32 v2, v2, v19, vcc
	v_cndmask_b32_e64 v19, 0, 1, s[0:1]
	v_cmp_neq_f32_e64 s[0:1], v4, v9
	v_cndmask_b32_e64 v9, 0, 1, s[0:1]
	v_cmp_eq_f32_e64 s[0:1], v4, v7
	v_cndmask_b32_e32 v9, v9, v19, vcc
	v_cndmask_b32_e64 v19, 0, 1, s[0:1]
	v_cmp_neq_f32_e64 s[0:1], v4, v7
	v_cndmask_b32_e64 v7, 0, 1, s[0:1]
	v_cmp_eq_f32_e64 s[0:1], v4, v12
	v_cndmask_b32_e32 v7, v7, v19, vcc
	v_cndmask_b32_e64 v19, 0, 1, s[0:1]
	v_cmp_neq_f32_e64 s[0:1], v4, v12
	v_cndmask_b32_e64 v12, 0, 1, s[0:1]
	v_cmp_eq_f32_e64 s[0:1], v4, v3
	v_cndmask_b32_e32 v12, v12, v19, vcc
	v_cndmask_b32_e64 v19, 0, 1, s[0:1]
	v_cmp_neq_f32_e64 s[0:1], v4, v3
	v_cndmask_b32_e64 v3, 0, 1, s[0:1]
	v_cmp_eq_f32_e64 s[0:1], v4, v13
	v_cndmask_b32_e32 v3, v3, v19, vcc
	v_cndmask_b32_e64 v19, 0, 1, s[0:1]
	v_cmp_neq_f32_e64 s[0:1], v4, v13
	v_cndmask_b32_e64 v13, 0, 1, s[0:1]
	v_cmp_eq_f32_e64 s[0:1], v4, v8
	v_cndmask_b32_e32 v13, v13, v19, vcc
	v_cndmask_b32_e64 v19, 0, 1, s[0:1]
	v_cmp_neq_f32_e64 s[0:1], v4, v8
	v_cndmask_b32_e64 v8, 0, 1, s[0:1]
	v_cmp_eq_f32_e64 s[0:1], v4, v10
	v_cndmask_b32_e32 v8, v8, v19, vcc
	v_cndmask_b32_e64 v19, 0, 1, s[0:1]
	v_cmp_neq_f32_e64 s[0:1], v4, v10
	v_cndmask_b32_e64 v10, 0, 1, s[0:1]
	v_cmp_eq_f32_e64 s[0:1], v4, v5
	v_cndmask_b32_e32 v10, v10, v19, vcc
	v_cndmask_b32_e64 v19, 0, 1, s[0:1]
	v_cmp_neq_f32_e64 s[0:1], v4, v5
	v_cndmask_b32_e64 v5, 0, 1, s[0:1]
	v_cmp_eq_f32_e64 s[0:1], v4, v15
	v_lshlrev_b32_e32 v22, 5, v6
	v_cndmask_b32_e32 v5, v5, v19, vcc
	v_cndmask_b32_e64 v19, 0, 1, s[0:1]
	v_cmp_neq_f32_e64 s[0:1], v4, v15
	v_and_b32_e32 v22, 0xfe00000, v22
	v_cndmask_b32_e64 v15, 0, 1, s[0:1]
	v_cmp_eq_f32_e64 s[0:1], v4, v11
	v_or_b32_e32 v22, 0x70000000, v22
	v_and_or_b32 v18, v18, s21, 0.5
	v_cndmask_b32_e32 v15, v15, v19, vcc
	v_cndmask_b32_e64 v19, 0, 1, s[0:1]
	v_cmp_neq_f32_e64 s[0:1], v4, v11
	v_add_f32_e32 v18, -0.5, v18
	v_mul_f32_e32 v22, 0x7800000, v22
	v_cndmask_b32_e64 v11, 0, 1, s[0:1]
	v_cmp_eq_f32_e64 s[0:1], v4, v14
	v_lshlrev_b32_e32 v20, 16, v6
	v_cndmask_b32_e64 v18, v22, v18, s[2:3]
	v_lshlrev_b32_e32 v22, 8, v6
	v_and_or_b32 v6, v6, s11, v17
	v_cndmask_b32_e32 v11, v11, v19, vcc
	v_cndmask_b32_e64 v19, 0, 1, s[0:1]
	v_cmp_neq_f32_e64 s[0:1], v4, v14
	v_cndmask_b32_e64 v14, 0, 1, s[0:1]
	v_cmp_eq_f32_e64 s[0:1], v4, v6
	v_and_or_b32 v17, v22, s11, v18
	v_cndmask_b32_e32 v14, v14, v19, vcc
	v_cndmask_b32_e64 v19, 0, 1, s[0:1]
	v_cmp_neq_f32_e64 s[0:1], v4, v6
	v_cndmask_b32_e64 v6, 0, 1, s[0:1]
	v_cmp_eq_f32_e64 s[0:1], v4, v17
	v_cndmask_b32_e32 v6, v6, v19, vcc
	v_cndmask_b32_e64 v19, 0, 1, s[0:1]
	v_cmp_neq_f32_e64 s[0:1], v4, v17
	v_cndmask_b32_e64 v17, 0, 1, s[0:1]
	v_cmp_eq_f32_e64 s[0:1], v4, v16
	v_and_or_b32 v18, v20, s11, v21
	v_cndmask_b32_e32 v17, v17, v19, vcc
	v_cndmask_b32_e64 v19, 0, 1, s[0:1]
	v_cmp_neq_f32_e64 s[0:1], v4, v16
	v_cndmask_b32_e64 v16, 0, 1, s[0:1]
	v_cmp_eq_f32_e64 s[0:1], v4, v18
	v_cndmask_b32_e32 v16, v16, v19, vcc
	v_cndmask_b32_e64 v19, 0, 1, s[0:1]
	v_cmp_neq_f32_e64 s[0:1], v4, v18
	v_cndmask_b32_e64 v4, 0, 1, s[0:1]
	v_cndmask_b32_e32 v4, v4, v19, vcc
	v_mov_b32_e32 v18, 1
	v_and_b32_sdwa v4, v4, v18 dst_sel:BYTE_1 dst_unused:UNUSED_PAD src0_sel:DWORD src1_sel:DWORD
	v_and_b32_e32 v16, 1, v16
	v_or_b32_e32 v4, v16, v4
	v_and_b32_e32 v16, 1, v17
	v_and_b32_sdwa v6, v6, v18 dst_sel:BYTE_1 dst_unused:UNUSED_PAD src0_sel:DWORD src1_sel:DWORD
	v_or_b32_sdwa v6, v16, v6 dst_sel:WORD_1 dst_unused:UNUSED_PAD src0_sel:DWORD src1_sel:DWORD
	v_or_b32_sdwa v4, v4, v6 dst_sel:DWORD dst_unused:UNUSED_PAD src0_sel:WORD_0 src1_sel:DWORD
	v_and_b32_sdwa v6, v14, v18 dst_sel:BYTE_1 dst_unused:UNUSED_PAD src0_sel:DWORD src1_sel:DWORD
	v_and_b32_e32 v11, 1, v11
	v_or_b32_e32 v6, v11, v6
	v_and_b32_e32 v11, 1, v15
	v_and_b32_sdwa v5, v5, v18 dst_sel:BYTE_1 dst_unused:UNUSED_PAD src0_sel:DWORD src1_sel:DWORD
	v_or_b32_sdwa v5, v11, v5 dst_sel:WORD_1 dst_unused:UNUSED_PAD src0_sel:DWORD src1_sel:DWORD
	v_or_b32_sdwa v5, v6, v5 dst_sel:DWORD dst_unused:UNUSED_PAD src0_sel:WORD_0 src1_sel:DWORD
	;; [unrolled: 7-line block ×3, first 2 shown]
	v_and_b32_sdwa v6, v12, v18 dst_sel:BYTE_1 dst_unused:UNUSED_PAD src0_sel:DWORD src1_sel:DWORD
	v_and_b32_e32 v7, 1, v7
	v_or_b32_e32 v6, v7, v6
	v_and_b32_e32 v7, 1, v9
	v_and_b32_sdwa v2, v2, v18 dst_sel:BYTE_1 dst_unused:UNUSED_PAD src0_sel:DWORD src1_sel:DWORD
	v_or_b32_sdwa v2, v7, v2 dst_sel:WORD_1 dst_unused:UNUSED_PAD src0_sel:DWORD src1_sel:DWORD
	s_add_u32 s0, s16, s15
	v_or_b32_sdwa v2, v6, v2 dst_sel:DWORD dst_unused:UNUSED_PAD src0_sel:WORD_0 src1_sel:DWORD
	s_addc_u32 s1, s17, s10
	global_store_dword v1, v2, s[0:1]
	global_store_dword v1, v3, s[0:1] offset:1024
	global_store_dword v1, v5, s[0:1] offset:2048
	;; [unrolled: 1-line block ×3, first 2 shown]
	s_mov_b64 s[0:1], 0
.LBB237_2:
	s_andn2_b64 vcc, exec, s[0:1]
	s_cbranch_vccnz .LBB237_83
; %bb.3:
	v_cmp_gt_i32_e32 vcc, s12, v0
	v_mov_b32_e32 v3, 0
	v_or_b32_e32 v4, s15, v0
	v_mov_b32_e32 v5, 0
	v_mov_b32_e32 v6, 0
	;; [unrolled: 1-line block ×16, first 2 shown]
	s_and_saveexec_b64 s[2:3], vcc
	s_cbranch_execz .LBB237_35
; %bb.4:
	global_load_ubyte v21, v4, s[18:19]
	v_or_b32_e32 v1, 0x100, v0
	v_cmp_gt_u32_e64 s[0:1], s12, v1
	v_mov_b32_e32 v22, 0
	v_mov_b32_e32 v20, 0
	;; [unrolled: 1-line block ×15, first 2 shown]
	s_and_saveexec_b64 s[4:5], s[0:1]
	s_cbranch_execz .LBB237_34
; %bb.5:
	v_add_u32_e32 v1, s15, v0
	global_load_ubyte v22, v1, s[18:19] offset:256
	v_or_b32_e32 v2, 0x200, v0
	v_mov_b32_e32 v20, 0
	v_cmp_gt_u32_e64 s[0:1], s12, v2
	v_mov_b32_e32 v18, 0
	v_mov_b32_e32 v17, 0
	;; [unrolled: 1-line block ×13, first 2 shown]
	s_and_saveexec_b64 s[6:7], s[0:1]
	s_cbranch_execz .LBB237_33
; %bb.6:
	v_mov_b32_e32 v2, s19
	v_add_co_u32_e64 v1, s[0:1], s18, v1
	v_addc_co_u32_e64 v2, s[0:1], 0, v2, s[0:1]
	global_load_ubyte v20, v[1:2], off offset:512
	v_or_b32_e32 v5, 0x300, v0
	v_cmp_gt_u32_e64 s[0:1], s12, v5
	v_mov_b32_e32 v18, 0
	v_mov_b32_e32 v17, 0
	;; [unrolled: 1-line block ×13, first 2 shown]
	s_and_saveexec_b64 s[8:9], s[0:1]
	s_cbranch_execz .LBB237_32
; %bb.7:
	global_load_ubyte v18, v[1:2], off offset:768
	v_or_b32_e32 v5, 0x400, v0
	v_cmp_gt_u32_e64 s[0:1], s12, v5
	v_mov_b32_e32 v17, 0
	v_mov_b32_e32 v16, 0
	;; [unrolled: 1-line block ×12, first 2 shown]
	s_and_saveexec_b64 s[10:11], s[0:1]
	s_cbranch_execz .LBB237_31
; %bb.8:
	global_load_ubyte v17, v[1:2], off offset:1024
	v_or_b32_e32 v5, 0x500, v0
	v_cmp_gt_u32_e64 s[0:1], s12, v5
	v_mov_b32_e32 v16, 0
	v_mov_b32_e32 v14, 0
	;; [unrolled: 1-line block ×11, first 2 shown]
	s_and_saveexec_b64 s[18:19], s[0:1]
	s_cbranch_execz .LBB237_30
; %bb.9:
	global_load_ubyte v16, v[1:2], off offset:1280
	v_or_b32_e32 v5, 0x600, v0
	v_cmp_gt_u32_e64 s[0:1], s12, v5
	v_mov_b32_e32 v14, 0
	v_mov_b32_e32 v13, 0
	;; [unrolled: 1-line block ×10, first 2 shown]
	s_and_saveexec_b64 s[20:21], s[0:1]
	s_cbranch_execz .LBB237_29
; %bb.10:
	global_load_ubyte v14, v[1:2], off offset:1536
	v_or_b32_e32 v5, 0x700, v0
	v_cmp_gt_u32_e64 s[0:1], s12, v5
	v_mov_b32_e32 v13, 0
	v_mov_b32_e32 v12, 0
	v_mov_b32_e32 v11, 0
	v_mov_b32_e32 v10, 0
	v_mov_b32_e32 v9, 0
	v_mov_b32_e32 v8, 0
	v_mov_b32_e32 v7, 0
	v_mov_b32_e32 v6, 0
	v_mov_b32_e32 v5, 0
	s_and_saveexec_b64 s[22:23], s[0:1]
	s_cbranch_execz .LBB237_28
; %bb.11:
	global_load_ubyte v13, v[1:2], off offset:1792
	v_or_b32_e32 v5, 0x800, v0
	v_cmp_gt_u32_e64 s[0:1], s12, v5
	v_mov_b32_e32 v12, 0
	v_mov_b32_e32 v11, 0
	;; [unrolled: 1-line block ×8, first 2 shown]
	s_and_saveexec_b64 s[24:25], s[0:1]
	s_cbranch_execz .LBB237_27
; %bb.12:
	global_load_ubyte v12, v[1:2], off offset:2048
	v_or_b32_e32 v5, 0x900, v0
	v_cmp_gt_u32_e64 s[0:1], s12, v5
	v_mov_b32_e32 v11, 0
	v_mov_b32_e32 v10, 0
	;; [unrolled: 1-line block ×7, first 2 shown]
	s_and_saveexec_b64 s[26:27], s[0:1]
	s_cbranch_execz .LBB237_26
; %bb.13:
	global_load_ubyte v11, v[1:2], off offset:2304
	v_or_b32_e32 v5, 0xa00, v0
	v_cmp_gt_u32_e64 s[0:1], s12, v5
	v_mov_b32_e32 v10, 0
	v_mov_b32_e32 v9, 0
	;; [unrolled: 1-line block ×6, first 2 shown]
	s_and_saveexec_b64 s[28:29], s[0:1]
	s_cbranch_execz .LBB237_25
; %bb.14:
	global_load_ubyte v10, v[1:2], off offset:2560
	v_or_b32_e32 v5, 0xb00, v0
	v_cmp_gt_u32_e64 s[0:1], s12, v5
	v_mov_b32_e32 v9, 0
	v_mov_b32_e32 v8, 0
	;; [unrolled: 1-line block ×5, first 2 shown]
	s_and_saveexec_b64 s[30:31], s[0:1]
	s_cbranch_execz .LBB237_24
; %bb.15:
	global_load_ubyte v9, v[1:2], off offset:2816
	v_or_b32_e32 v5, 0xc00, v0
	v_cmp_gt_u32_e64 s[0:1], s12, v5
	v_mov_b32_e32 v8, 0
	v_mov_b32_e32 v7, 0
	;; [unrolled: 1-line block ×4, first 2 shown]
	s_and_saveexec_b64 s[34:35], s[0:1]
	s_cbranch_execz .LBB237_23
; %bb.16:
	global_load_ubyte v8, v[1:2], off offset:3072
	v_or_b32_e32 v5, 0xd00, v0
	v_cmp_gt_u32_e64 s[0:1], s12, v5
	v_mov_b32_e32 v7, 0
	v_mov_b32_e32 v6, 0
	;; [unrolled: 1-line block ×3, first 2 shown]
	s_and_saveexec_b64 s[36:37], s[0:1]
	s_cbranch_execz .LBB237_22
; %bb.17:
	global_load_ubyte v7, v[1:2], off offset:3328
	v_or_b32_e32 v5, 0xe00, v0
	v_cmp_gt_u32_e64 s[0:1], s12, v5
	v_mov_b32_e32 v6, 0
	v_mov_b32_e32 v5, 0
	s_and_saveexec_b64 s[38:39], s[0:1]
	s_cbranch_execz .LBB237_21
; %bb.18:
	global_load_ubyte v6, v[1:2], off offset:3584
	v_or_b32_e32 v5, 0xf00, v0
	v_cmp_gt_u32_e64 s[0:1], s12, v5
	v_mov_b32_e32 v5, 0
	s_and_saveexec_b64 s[40:41], s[0:1]
	s_cbranch_execz .LBB237_20
; %bb.19:
	global_load_ubyte v5, v[1:2], off offset:3840
.LBB237_20:
	s_or_b64 exec, exec, s[40:41]
.LBB237_21:
	s_or_b64 exec, exec, s[38:39]
.LBB237_22:
	s_or_b64 exec, exec, s[36:37]
.LBB237_23:
	s_or_b64 exec, exec, s[34:35]
.LBB237_24:
	s_or_b64 exec, exec, s[30:31]
.LBB237_25:
	s_or_b64 exec, exec, s[28:29]
.LBB237_26:
	s_or_b64 exec, exec, s[26:27]
.LBB237_27:
	s_or_b64 exec, exec, s[24:25]
.LBB237_28:
	s_or_b64 exec, exec, s[22:23]
.LBB237_29:
	s_or_b64 exec, exec, s[20:21]
.LBB237_30:
	s_or_b64 exec, exec, s[18:19]
.LBB237_31:
	s_or_b64 exec, exec, s[10:11]
.LBB237_32:
	s_or_b64 exec, exec, s[8:9]
.LBB237_33:
	s_or_b64 exec, exec, s[6:7]
.LBB237_34:
	s_or_b64 exec, exec, s[4:5]
.LBB237_35:
	s_or_b64 exec, exec, s[2:3]
	s_cmp_eq_u32 s13, 0
	s_cselect_b64 s[0:1], -1, 0
	s_lshl_b32 s2, s14, 8
	s_lshl_b32 s3, s14, 25
	s_lshr_b32 s4, s3, 4
	s_and_b32 s2, s2, 0x7f00
	s_or_b32 s4, s4, 0x70000000
	s_or_b32 s2, s2, 0.5
	s_cmp_lt_u32 s3, 0x8000000
	v_mov_b32_e32 v2, 0x7800000
	v_add_f32_e64 v1, s2, -0.5
	v_mul_f32_e32 v2, s4, v2
	s_cselect_b64 s[2:3], -1, 0
	v_cndmask_b32_e64 v1, v2, v1, s[2:3]
	s_lshl_b32 s2, s14, 24
	s_and_b32 s2, s2, 0x80000000
	s_movk_i32 s7, 0x7f00
	s_brev_b32 s6, 16
	s_brev_b32 s8, 1
	v_or_b32_e32 v19, s2, v1
	v_mov_b32_e32 v15, v3
	v_mov_b32_e32 v2, v3
	;; [unrolled: 1-line block ×3, first 2 shown]
	s_and_saveexec_b64 s[4:5], vcc
	s_cbranch_execz .LBB237_37
; %bb.36:
	s_waitcnt vmcnt(0)
	v_lshlrev_b32_e32 v2, 25, v21
	v_lshlrev_b16_e32 v1, 8, v21
	v_lshrrev_b32_e32 v3, 4, v2
	v_or_b32_e32 v3, 0x70000000, v3
	v_and_or_b32 v15, v1, s7, 0.5
	v_add_f32_e32 v15, -0.5, v15
	v_mul_f32_e32 v3, 0x7800000, v3
	v_cmp_gt_u32_e64 s[2:3], s6, v2
	v_cndmask_b32_e64 v2, v3, v15, s[2:3]
	v_bfe_i32 v1, v1, 0, 16
	v_and_or_b32 v1, v1, s8, v2
	v_cmp_eq_f32_e64 s[2:3], v19, v1
	v_cndmask_b32_e64 v2, 0, 1, s[2:3]
	v_cmp_neq_f32_e64 s[2:3], v19, v1
	v_cndmask_b32_e64 v1, 0, 1, s[2:3]
	v_cndmask_b32_e64 v1, v1, v2, s[0:1]
	v_and_b32_e32 v1, 1, v1
	v_mov_b32_e32 v15, 0
	v_and_b32_e32 v3, 0xffff, v1
	v_mov_b32_e32 v2, v15
	v_mov_b32_e32 v1, v15
.LBB237_37:
	s_or_b64 exec, exec, s[4:5]
	s_waitcnt vmcnt(0)
	v_or_b32_e32 v21, 0x100, v0
	v_cmp_gt_i32_e64 s[2:3], s12, v21
	s_and_saveexec_b64 s[4:5], s[2:3]
	s_cbranch_execz .LBB237_39
; %bb.38:
	v_lshlrev_b16_e32 v23, 8, v22
	v_lshlrev_b32_e32 v22, 25, v22
	v_lshrrev_b32_e32 v24, 4, v22
	s_movk_i32 s2, 0x7f00
	v_or_b32_e32 v24, 0x70000000, v24
	v_and_or_b32 v25, v23, s2, 0.5
	s_brev_b32 s2, 16
	v_add_f32_e32 v25, -0.5, v25
	v_mul_f32_e32 v24, 0x7800000, v24
	v_cmp_gt_u32_e64 s[2:3], s2, v22
	v_cndmask_b32_e64 v22, v24, v25, s[2:3]
	v_bfe_i32 v23, v23, 0, 16
	s_brev_b32 s2, 1
	v_and_or_b32 v22, v23, s2, v22
	v_cmp_eq_f32_e64 s[2:3], v19, v22
	v_cndmask_b32_e64 v23, 0, 1, s[2:3]
	v_cmp_neq_f32_e64 s[2:3], v19, v22
	v_cndmask_b32_e64 v22, 0, 1, s[2:3]
	v_cndmask_b32_e64 v22, v22, v23, s[0:1]
	v_mov_b32_e32 v23, 1
	v_and_b32_sdwa v22, v22, v23 dst_sel:BYTE_1 dst_unused:UNUSED_PAD src0_sel:DWORD src1_sel:DWORD
	v_or_b32_sdwa v22, v3, v22 dst_sel:DWORD dst_unused:UNUSED_PAD src0_sel:BYTE_0 src1_sel:DWORD
	v_and_b32_e32 v22, 0xffff, v22
	s_mov_b32 s2, 0xffff0000
	v_and_or_b32 v3, v3, s2, v22
.LBB237_39:
	s_or_b64 exec, exec, s[4:5]
	v_or_b32_e32 v22, 0x200, v0
	v_cmp_gt_i32_e64 s[2:3], s12, v22
	s_and_saveexec_b64 s[4:5], s[2:3]
	s_cbranch_execz .LBB237_41
; %bb.40:
	s_movk_i32 s2, 0xff00
	v_lshlrev_b16_e32 v23, 8, v20
	v_lshlrev_b32_e32 v20, 25, v20
	v_and_b32_sdwa v22, v3, s2 dst_sel:DWORD dst_unused:UNUSED_PAD src0_sel:WORD_1 src1_sel:DWORD
	v_lshrrev_b32_e32 v24, 4, v20
	s_movk_i32 s2, 0x7f00
	v_or_b32_e32 v24, 0x70000000, v24
	v_and_or_b32 v25, v23, s2, 0.5
	s_brev_b32 s2, 16
	v_add_f32_e32 v25, -0.5, v25
	v_mul_f32_e32 v24, 0x7800000, v24
	v_cmp_gt_u32_e64 s[2:3], s2, v20
	v_cndmask_b32_e64 v20, v24, v25, s[2:3]
	v_bfe_i32 v23, v23, 0, 16
	s_brev_b32 s2, 1
	v_and_or_b32 v20, v23, s2, v20
	v_cmp_eq_f32_e64 s[2:3], v19, v20
	v_cndmask_b32_e64 v23, 0, 1, s[2:3]
	v_cmp_neq_f32_e64 s[2:3], v19, v20
	v_cndmask_b32_e64 v20, 0, 1, s[2:3]
	v_cndmask_b32_e64 v20, v20, v23, s[0:1]
	v_and_b32_e32 v20, 1, v20
	v_or_b32_sdwa v20, v20, v22 dst_sel:WORD_1 dst_unused:UNUSED_PAD src0_sel:DWORD src1_sel:DWORD
	s_mov_b32 s2, 0xffff
	v_and_or_b32 v3, v3, s2, v20
.LBB237_41:
	s_or_b64 exec, exec, s[4:5]
	v_or_b32_e32 v20, 0x300, v0
	v_cmp_gt_i32_e64 s[2:3], s12, v20
	s_and_saveexec_b64 s[4:5], s[2:3]
	s_cbranch_execz .LBB237_43
; %bb.42:
	s_movk_i32 s2, 0xff
	v_lshlrev_b16_e32 v22, 8, v18
	v_lshlrev_b32_e32 v18, 25, v18
	v_and_b32_sdwa v20, v3, s2 dst_sel:DWORD dst_unused:UNUSED_PAD src0_sel:WORD_1 src1_sel:DWORD
	v_lshrrev_b32_e32 v23, 4, v18
	s_movk_i32 s2, 0x7f00
	v_or_b32_e32 v23, 0x70000000, v23
	v_and_or_b32 v24, v22, s2, 0.5
	s_brev_b32 s2, 16
	v_add_f32_e32 v24, -0.5, v24
	v_mul_f32_e32 v23, 0x7800000, v23
	v_cmp_gt_u32_e64 s[2:3], s2, v18
	v_cndmask_b32_e64 v18, v23, v24, s[2:3]
	v_bfe_i32 v22, v22, 0, 16
	s_brev_b32 s2, 1
	v_and_or_b32 v18, v22, s2, v18
	v_cmp_eq_f32_e64 s[2:3], v19, v18
	v_cndmask_b32_e64 v22, 0, 1, s[2:3]
	v_cmp_neq_f32_e64 s[2:3], v19, v18
	v_cndmask_b32_e64 v18, 0, 1, s[2:3]
	v_cndmask_b32_e64 v18, v18, v22, s[0:1]
	v_mov_b32_e32 v22, 1
	v_and_b32_sdwa v18, v18, v22 dst_sel:BYTE_1 dst_unused:UNUSED_PAD src0_sel:DWORD src1_sel:DWORD
	v_or_b32_sdwa v18, v20, v18 dst_sel:WORD_1 dst_unused:UNUSED_PAD src0_sel:DWORD src1_sel:DWORD
	s_mov_b32 s2, 0xffff
	v_and_or_b32 v3, v3, s2, v18
.LBB237_43:
	s_or_b64 exec, exec, s[4:5]
	v_or_b32_e32 v18, 0x400, v0
	v_cmp_gt_i32_e64 s[2:3], s12, v18
	s_and_saveexec_b64 s[4:5], s[2:3]
	s_cbranch_execz .LBB237_45
; %bb.44:
	v_lshlrev_b16_e32 v20, 8, v17
	v_lshlrev_b32_e32 v17, 25, v17
	v_lshrrev_b32_e32 v22, 4, v17
	s_movk_i32 s2, 0x7f00
	v_or_b32_e32 v22, 0x70000000, v22
	v_and_or_b32 v23, v20, s2, 0.5
	s_brev_b32 s2, 16
	v_add_f32_e32 v23, -0.5, v23
	v_mul_f32_e32 v22, 0x7800000, v22
	v_cmp_gt_u32_e64 s[2:3], s2, v17
	v_cndmask_b32_e64 v17, v22, v23, s[2:3]
	v_bfe_i32 v20, v20, 0, 16
	s_brev_b32 s2, 1
	v_and_or_b32 v17, v20, s2, v17
	v_cmp_eq_f32_e64 s[2:3], v19, v17
	v_cndmask_b32_e64 v20, 0, 1, s[2:3]
	v_cmp_neq_f32_e64 s[2:3], v19, v17
	v_cndmask_b32_e64 v17, 0, 1, s[2:3]
	v_cndmask_b32_e64 v17, v17, v20, s[0:1]
	v_and_b32_e32 v18, 0xffffff00, v15
	v_and_b32_e32 v17, 1, v17
	v_or_b32_e32 v17, v17, v18
	v_and_b32_e32 v17, 0xffff, v17
	s_mov_b32 s2, 0xffff0000
	v_and_or_b32 v15, v15, s2, v17
.LBB237_45:
	s_or_b64 exec, exec, s[4:5]
	v_or_b32_e32 v17, 0x500, v0
	v_cmp_gt_i32_e64 s[2:3], s12, v17
	s_and_saveexec_b64 s[4:5], s[2:3]
	s_cbranch_execz .LBB237_47
; %bb.46:
	v_lshlrev_b16_e32 v17, 8, v16
	v_lshlrev_b32_e32 v16, 25, v16
	v_lshrrev_b32_e32 v18, 4, v16
	s_movk_i32 s2, 0x7f00
	v_or_b32_e32 v18, 0x70000000, v18
	v_and_or_b32 v20, v17, s2, 0.5
	s_brev_b32 s2, 16
	v_add_f32_e32 v20, -0.5, v20
	v_mul_f32_e32 v18, 0x7800000, v18
	v_cmp_gt_u32_e64 s[2:3], s2, v16
	v_cndmask_b32_e64 v16, v18, v20, s[2:3]
	v_bfe_i32 v17, v17, 0, 16
	s_brev_b32 s2, 1
	v_and_or_b32 v16, v17, s2, v16
	v_cmp_eq_f32_e64 s[2:3], v19, v16
	v_cndmask_b32_e64 v17, 0, 1, s[2:3]
	v_cmp_neq_f32_e64 s[2:3], v19, v16
	v_cndmask_b32_e64 v16, 0, 1, s[2:3]
	v_cndmask_b32_e64 v16, v16, v17, s[0:1]
	v_mov_b32_e32 v17, 1
	v_and_b32_sdwa v16, v16, v17 dst_sel:BYTE_1 dst_unused:UNUSED_PAD src0_sel:DWORD src1_sel:DWORD
	v_or_b32_sdwa v16, v15, v16 dst_sel:DWORD dst_unused:UNUSED_PAD src0_sel:BYTE_0 src1_sel:DWORD
	v_and_b32_e32 v16, 0xffff, v16
	s_mov_b32 s2, 0xffff0000
	v_and_or_b32 v15, v15, s2, v16
.LBB237_47:
	s_or_b64 exec, exec, s[4:5]
	v_or_b32_e32 v16, 0x600, v0
	v_cmp_gt_i32_e64 s[2:3], s12, v16
	s_and_saveexec_b64 s[4:5], s[2:3]
	s_cbranch_execz .LBB237_49
; %bb.48:
	s_movk_i32 s2, 0xff00
	v_lshlrev_b16_e32 v17, 8, v14
	v_lshlrev_b32_e32 v14, 25, v14
	v_and_b32_sdwa v16, v15, s2 dst_sel:DWORD dst_unused:UNUSED_PAD src0_sel:WORD_1 src1_sel:DWORD
	v_lshrrev_b32_e32 v18, 4, v14
	s_movk_i32 s2, 0x7f00
	v_or_b32_e32 v18, 0x70000000, v18
	v_and_or_b32 v20, v17, s2, 0.5
	s_brev_b32 s2, 16
	v_add_f32_e32 v20, -0.5, v20
	v_mul_f32_e32 v18, 0x7800000, v18
	v_cmp_gt_u32_e64 s[2:3], s2, v14
	v_cndmask_b32_e64 v14, v18, v20, s[2:3]
	v_bfe_i32 v17, v17, 0, 16
	s_brev_b32 s2, 1
	v_and_or_b32 v14, v17, s2, v14
	v_cmp_eq_f32_e64 s[2:3], v19, v14
	v_cndmask_b32_e64 v17, 0, 1, s[2:3]
	v_cmp_neq_f32_e64 s[2:3], v19, v14
	v_cndmask_b32_e64 v14, 0, 1, s[2:3]
	v_cndmask_b32_e64 v14, v14, v17, s[0:1]
	v_and_b32_e32 v14, 1, v14
	v_or_b32_sdwa v14, v14, v16 dst_sel:WORD_1 dst_unused:UNUSED_PAD src0_sel:DWORD src1_sel:DWORD
	s_mov_b32 s2, 0xffff
	v_and_or_b32 v15, v15, s2, v14
.LBB237_49:
	s_or_b64 exec, exec, s[4:5]
	v_or_b32_e32 v14, 0x700, v0
	v_cmp_gt_i32_e64 s[2:3], s12, v14
	s_and_saveexec_b64 s[4:5], s[2:3]
	s_cbranch_execz .LBB237_51
; %bb.50:
	s_movk_i32 s2, 0xff
	v_lshlrev_b16_e32 v16, 8, v13
	v_lshlrev_b32_e32 v13, 25, v13
	v_and_b32_sdwa v14, v15, s2 dst_sel:DWORD dst_unused:UNUSED_PAD src0_sel:WORD_1 src1_sel:DWORD
	v_lshrrev_b32_e32 v17, 4, v13
	s_movk_i32 s2, 0x7f00
	v_or_b32_e32 v17, 0x70000000, v17
	v_and_or_b32 v18, v16, s2, 0.5
	s_brev_b32 s2, 16
	v_add_f32_e32 v18, -0.5, v18
	v_mul_f32_e32 v17, 0x7800000, v17
	v_cmp_gt_u32_e64 s[2:3], s2, v13
	v_cndmask_b32_e64 v13, v17, v18, s[2:3]
	v_bfe_i32 v16, v16, 0, 16
	s_brev_b32 s2, 1
	v_and_or_b32 v13, v16, s2, v13
	v_cmp_eq_f32_e64 s[2:3], v19, v13
	v_cndmask_b32_e64 v16, 0, 1, s[2:3]
	v_cmp_neq_f32_e64 s[2:3], v19, v13
	v_cndmask_b32_e64 v13, 0, 1, s[2:3]
	v_cndmask_b32_e64 v13, v13, v16, s[0:1]
	v_mov_b32_e32 v16, 1
	v_and_b32_sdwa v13, v13, v16 dst_sel:BYTE_1 dst_unused:UNUSED_PAD src0_sel:DWORD src1_sel:DWORD
	v_or_b32_sdwa v13, v14, v13 dst_sel:WORD_1 dst_unused:UNUSED_PAD src0_sel:DWORD src1_sel:DWORD
	s_mov_b32 s2, 0xffff
	v_and_or_b32 v15, v15, s2, v13
.LBB237_51:
	s_or_b64 exec, exec, s[4:5]
	v_or_b32_e32 v13, 0x800, v0
	v_cmp_gt_i32_e64 s[2:3], s12, v13
	s_and_saveexec_b64 s[4:5], s[2:3]
	s_cbranch_execz .LBB237_53
; %bb.52:
	v_lshlrev_b16_e32 v14, 8, v12
	v_lshlrev_b32_e32 v12, 25, v12
	v_lshrrev_b32_e32 v16, 4, v12
	s_movk_i32 s2, 0x7f00
	v_or_b32_e32 v16, 0x70000000, v16
	v_and_or_b32 v17, v14, s2, 0.5
	s_brev_b32 s2, 16
	v_add_f32_e32 v17, -0.5, v17
	v_mul_f32_e32 v16, 0x7800000, v16
	v_cmp_gt_u32_e64 s[2:3], s2, v12
	v_cndmask_b32_e64 v12, v16, v17, s[2:3]
	v_bfe_i32 v14, v14, 0, 16
	s_brev_b32 s2, 1
	v_and_or_b32 v12, v14, s2, v12
	v_cmp_eq_f32_e64 s[2:3], v19, v12
	v_cndmask_b32_e64 v14, 0, 1, s[2:3]
	v_cmp_neq_f32_e64 s[2:3], v19, v12
	v_cndmask_b32_e64 v12, 0, 1, s[2:3]
	v_cndmask_b32_e64 v12, v12, v14, s[0:1]
	v_and_b32_e32 v13, 0xffffff00, v2
	v_and_b32_e32 v12, 1, v12
	v_or_b32_e32 v12, v12, v13
	v_and_b32_e32 v12, 0xffff, v12
	s_mov_b32 s2, 0xffff0000
	v_and_or_b32 v2, v2, s2, v12
.LBB237_53:
	s_or_b64 exec, exec, s[4:5]
	v_or_b32_e32 v12, 0x900, v0
	v_cmp_gt_i32_e64 s[2:3], s12, v12
	s_and_saveexec_b64 s[4:5], s[2:3]
	s_cbranch_execz .LBB237_55
; %bb.54:
	v_lshlrev_b16_e32 v12, 8, v11
	v_lshlrev_b32_e32 v11, 25, v11
	v_lshrrev_b32_e32 v13, 4, v11
	s_movk_i32 s2, 0x7f00
	v_or_b32_e32 v13, 0x70000000, v13
	v_and_or_b32 v14, v12, s2, 0.5
	s_brev_b32 s2, 16
	v_add_f32_e32 v14, -0.5, v14
	v_mul_f32_e32 v13, 0x7800000, v13
	v_cmp_gt_u32_e64 s[2:3], s2, v11
	v_cndmask_b32_e64 v11, v13, v14, s[2:3]
	v_bfe_i32 v12, v12, 0, 16
	s_brev_b32 s2, 1
	v_and_or_b32 v11, v12, s2, v11
	v_cmp_eq_f32_e64 s[2:3], v19, v11
	v_cndmask_b32_e64 v12, 0, 1, s[2:3]
	v_cmp_neq_f32_e64 s[2:3], v19, v11
	v_cndmask_b32_e64 v11, 0, 1, s[2:3]
	v_cndmask_b32_e64 v11, v11, v12, s[0:1]
	v_mov_b32_e32 v12, 1
	v_and_b32_sdwa v11, v11, v12 dst_sel:BYTE_1 dst_unused:UNUSED_PAD src0_sel:DWORD src1_sel:DWORD
	v_or_b32_sdwa v11, v2, v11 dst_sel:DWORD dst_unused:UNUSED_PAD src0_sel:BYTE_0 src1_sel:DWORD
	v_and_b32_e32 v11, 0xffff, v11
	s_mov_b32 s2, 0xffff0000
	v_and_or_b32 v2, v2, s2, v11
.LBB237_55:
	s_or_b64 exec, exec, s[4:5]
	v_or_b32_e32 v11, 0xa00, v0
	v_cmp_gt_i32_e64 s[2:3], s12, v11
	s_and_saveexec_b64 s[4:5], s[2:3]
	s_cbranch_execz .LBB237_57
; %bb.56:
	s_movk_i32 s2, 0xff00
	v_lshlrev_b16_e32 v12, 8, v10
	v_lshlrev_b32_e32 v10, 25, v10
	v_and_b32_sdwa v11, v2, s2 dst_sel:DWORD dst_unused:UNUSED_PAD src0_sel:WORD_1 src1_sel:DWORD
	v_lshrrev_b32_e32 v13, 4, v10
	s_movk_i32 s2, 0x7f00
	v_or_b32_e32 v13, 0x70000000, v13
	v_and_or_b32 v14, v12, s2, 0.5
	s_brev_b32 s2, 16
	v_add_f32_e32 v14, -0.5, v14
	v_mul_f32_e32 v13, 0x7800000, v13
	v_cmp_gt_u32_e64 s[2:3], s2, v10
	v_cndmask_b32_e64 v10, v13, v14, s[2:3]
	v_bfe_i32 v12, v12, 0, 16
	s_brev_b32 s2, 1
	v_and_or_b32 v10, v12, s2, v10
	v_cmp_eq_f32_e64 s[2:3], v19, v10
	v_cndmask_b32_e64 v12, 0, 1, s[2:3]
	v_cmp_neq_f32_e64 s[2:3], v19, v10
	v_cndmask_b32_e64 v10, 0, 1, s[2:3]
	v_cndmask_b32_e64 v10, v10, v12, s[0:1]
	v_and_b32_e32 v10, 1, v10
	v_or_b32_sdwa v10, v10, v11 dst_sel:WORD_1 dst_unused:UNUSED_PAD src0_sel:DWORD src1_sel:DWORD
	s_mov_b32 s2, 0xffff
	v_and_or_b32 v2, v2, s2, v10
.LBB237_57:
	s_or_b64 exec, exec, s[4:5]
	v_or_b32_e32 v10, 0xb00, v0
	v_cmp_gt_i32_e64 s[2:3], s12, v10
	s_and_saveexec_b64 s[4:5], s[2:3]
	s_cbranch_execz .LBB237_59
; %bb.58:
	s_movk_i32 s2, 0xff
	v_lshlrev_b16_e32 v11, 8, v9
	v_lshlrev_b32_e32 v9, 25, v9
	v_and_b32_sdwa v10, v2, s2 dst_sel:DWORD dst_unused:UNUSED_PAD src0_sel:WORD_1 src1_sel:DWORD
	v_lshrrev_b32_e32 v12, 4, v9
	s_movk_i32 s2, 0x7f00
	v_or_b32_e32 v12, 0x70000000, v12
	v_and_or_b32 v13, v11, s2, 0.5
	s_brev_b32 s2, 16
	v_add_f32_e32 v13, -0.5, v13
	v_mul_f32_e32 v12, 0x7800000, v12
	v_cmp_gt_u32_e64 s[2:3], s2, v9
	v_cndmask_b32_e64 v9, v12, v13, s[2:3]
	v_bfe_i32 v11, v11, 0, 16
	s_brev_b32 s2, 1
	v_and_or_b32 v9, v11, s2, v9
	v_cmp_eq_f32_e64 s[2:3], v19, v9
	v_cndmask_b32_e64 v11, 0, 1, s[2:3]
	v_cmp_neq_f32_e64 s[2:3], v19, v9
	v_cndmask_b32_e64 v9, 0, 1, s[2:3]
	v_cndmask_b32_e64 v9, v9, v11, s[0:1]
	v_mov_b32_e32 v11, 1
	v_and_b32_sdwa v9, v9, v11 dst_sel:BYTE_1 dst_unused:UNUSED_PAD src0_sel:DWORD src1_sel:DWORD
	v_or_b32_sdwa v9, v10, v9 dst_sel:WORD_1 dst_unused:UNUSED_PAD src0_sel:DWORD src1_sel:DWORD
	s_mov_b32 s2, 0xffff
	v_and_or_b32 v2, v2, s2, v9
.LBB237_59:
	s_or_b64 exec, exec, s[4:5]
	v_or_b32_e32 v9, 0xc00, v0
	v_cmp_gt_i32_e64 s[2:3], s12, v9
	s_and_saveexec_b64 s[4:5], s[2:3]
	s_cbranch_execz .LBB237_61
; %bb.60:
	v_lshlrev_b16_e32 v10, 8, v8
	v_lshlrev_b32_e32 v8, 25, v8
	v_lshrrev_b32_e32 v11, 4, v8
	s_movk_i32 s2, 0x7f00
	v_or_b32_e32 v11, 0x70000000, v11
	v_and_or_b32 v12, v10, s2, 0.5
	s_brev_b32 s2, 16
	v_add_f32_e32 v12, -0.5, v12
	v_mul_f32_e32 v11, 0x7800000, v11
	v_cmp_gt_u32_e64 s[2:3], s2, v8
	v_cndmask_b32_e64 v8, v11, v12, s[2:3]
	v_bfe_i32 v10, v10, 0, 16
	s_brev_b32 s2, 1
	v_and_or_b32 v8, v10, s2, v8
	v_cmp_eq_f32_e64 s[2:3], v19, v8
	v_cndmask_b32_e64 v10, 0, 1, s[2:3]
	v_cmp_neq_f32_e64 s[2:3], v19, v8
	v_cndmask_b32_e64 v8, 0, 1, s[2:3]
	v_cndmask_b32_e64 v8, v8, v10, s[0:1]
	v_and_b32_e32 v9, 0xffffff00, v1
	v_and_b32_e32 v8, 1, v8
	v_or_b32_e32 v8, v8, v9
	v_and_b32_e32 v8, 0xffff, v8
	s_mov_b32 s2, 0xffff0000
	v_and_or_b32 v1, v1, s2, v8
.LBB237_61:
	s_or_b64 exec, exec, s[4:5]
	v_or_b32_e32 v8, 0xd00, v0
	v_cmp_gt_i32_e64 s[2:3], s12, v8
	s_and_saveexec_b64 s[4:5], s[2:3]
	s_cbranch_execz .LBB237_63
; %bb.62:
	v_lshlrev_b16_e32 v8, 8, v7
	v_lshlrev_b32_e32 v7, 25, v7
	v_lshrrev_b32_e32 v9, 4, v7
	s_movk_i32 s2, 0x7f00
	v_or_b32_e32 v9, 0x70000000, v9
	v_and_or_b32 v10, v8, s2, 0.5
	s_brev_b32 s2, 16
	v_add_f32_e32 v10, -0.5, v10
	v_mul_f32_e32 v9, 0x7800000, v9
	v_cmp_gt_u32_e64 s[2:3], s2, v7
	v_cndmask_b32_e64 v7, v9, v10, s[2:3]
	v_bfe_i32 v8, v8, 0, 16
	s_brev_b32 s2, 1
	v_and_or_b32 v7, v8, s2, v7
	v_cmp_eq_f32_e64 s[2:3], v19, v7
	v_cndmask_b32_e64 v8, 0, 1, s[2:3]
	v_cmp_neq_f32_e64 s[2:3], v19, v7
	v_cndmask_b32_e64 v7, 0, 1, s[2:3]
	v_cndmask_b32_e64 v7, v7, v8, s[0:1]
	v_mov_b32_e32 v8, 1
	v_and_b32_sdwa v7, v7, v8 dst_sel:BYTE_1 dst_unused:UNUSED_PAD src0_sel:DWORD src1_sel:DWORD
	v_or_b32_sdwa v7, v1, v7 dst_sel:DWORD dst_unused:UNUSED_PAD src0_sel:BYTE_0 src1_sel:DWORD
	v_and_b32_e32 v7, 0xffff, v7
	s_mov_b32 s2, 0xffff0000
	v_and_or_b32 v1, v1, s2, v7
.LBB237_63:
	s_or_b64 exec, exec, s[4:5]
	v_or_b32_e32 v7, 0xe00, v0
	v_cmp_gt_i32_e64 s[2:3], s12, v7
	s_and_saveexec_b64 s[4:5], s[2:3]
	s_cbranch_execz .LBB237_65
; %bb.64:
	s_movk_i32 s2, 0xff00
	v_lshlrev_b16_e32 v8, 8, v6
	v_lshlrev_b32_e32 v6, 25, v6
	v_and_b32_sdwa v7, v1, s2 dst_sel:DWORD dst_unused:UNUSED_PAD src0_sel:WORD_1 src1_sel:DWORD
	v_lshrrev_b32_e32 v9, 4, v6
	s_movk_i32 s2, 0x7f00
	v_or_b32_e32 v9, 0x70000000, v9
	v_and_or_b32 v10, v8, s2, 0.5
	s_brev_b32 s2, 16
	v_add_f32_e32 v10, -0.5, v10
	v_mul_f32_e32 v9, 0x7800000, v9
	v_cmp_gt_u32_e64 s[2:3], s2, v6
	v_cndmask_b32_e64 v6, v9, v10, s[2:3]
	v_bfe_i32 v8, v8, 0, 16
	s_brev_b32 s2, 1
	v_and_or_b32 v6, v8, s2, v6
	v_cmp_eq_f32_e64 s[2:3], v19, v6
	v_cndmask_b32_e64 v8, 0, 1, s[2:3]
	v_cmp_neq_f32_e64 s[2:3], v19, v6
	v_cndmask_b32_e64 v6, 0, 1, s[2:3]
	v_cndmask_b32_e64 v6, v6, v8, s[0:1]
	v_and_b32_e32 v6, 1, v6
	v_or_b32_sdwa v6, v6, v7 dst_sel:WORD_1 dst_unused:UNUSED_PAD src0_sel:DWORD src1_sel:DWORD
	s_mov_b32 s2, 0xffff
	v_and_or_b32 v1, v1, s2, v6
.LBB237_65:
	s_or_b64 exec, exec, s[4:5]
	v_or_b32_e32 v6, 0xf00, v0
	v_cmp_gt_i32_e64 s[2:3], s12, v6
	s_and_saveexec_b64 s[4:5], s[2:3]
	s_cbranch_execnz .LBB237_84
; %bb.66:
	s_or_b64 exec, exec, s[4:5]
	s_and_saveexec_b64 s[0:1], vcc
	s_xor_b64 s[0:1], exec, s[0:1]
	s_cbranch_execnz .LBB237_85
.LBB237_67:
	s_or_b64 exec, exec, s[0:1]
	v_cmp_gt_i32_e32 vcc, s12, v0
	s_and_saveexec_b64 s[0:1], vcc
	s_cbranch_execnz .LBB237_86
.LBB237_68:
	s_or_b64 exec, exec, s[0:1]
	v_cmp_gt_i32_e32 vcc, s12, v0
	s_and_saveexec_b64 s[0:1], vcc
	s_cbranch_execnz .LBB237_87
.LBB237_69:
	s_or_b64 exec, exec, s[0:1]
	v_cmp_gt_i32_e32 vcc, s12, v0
	s_and_saveexec_b64 s[0:1], vcc
	s_cbranch_execnz .LBB237_88
.LBB237_70:
	s_or_b64 exec, exec, s[0:1]
	v_cmp_gt_i32_e32 vcc, s12, v0
	s_and_saveexec_b64 s[0:1], vcc
	s_cbranch_execnz .LBB237_89
.LBB237_71:
	s_or_b64 exec, exec, s[0:1]
	v_cmp_gt_i32_e32 vcc, s12, v0
	s_and_saveexec_b64 s[0:1], vcc
	s_cbranch_execnz .LBB237_90
.LBB237_72:
	s_or_b64 exec, exec, s[0:1]
	v_cmp_gt_i32_e32 vcc, s12, v0
	s_and_saveexec_b64 s[0:1], vcc
	s_cbranch_execnz .LBB237_91
.LBB237_73:
	s_or_b64 exec, exec, s[0:1]
	v_cmp_gt_i32_e32 vcc, s12, v0
	s_and_saveexec_b64 s[0:1], vcc
	s_cbranch_execnz .LBB237_92
.LBB237_74:
	s_or_b64 exec, exec, s[0:1]
	v_cmp_gt_i32_e32 vcc, s12, v0
	s_and_saveexec_b64 s[0:1], vcc
	s_cbranch_execnz .LBB237_93
.LBB237_75:
	s_or_b64 exec, exec, s[0:1]
	v_cmp_gt_i32_e32 vcc, s12, v0
	s_and_saveexec_b64 s[0:1], vcc
	s_cbranch_execnz .LBB237_94
.LBB237_76:
	s_or_b64 exec, exec, s[0:1]
	v_cmp_gt_i32_e32 vcc, s12, v0
	s_and_saveexec_b64 s[0:1], vcc
	s_cbranch_execnz .LBB237_95
.LBB237_77:
	s_or_b64 exec, exec, s[0:1]
	v_cmp_gt_i32_e32 vcc, s12, v0
	s_and_saveexec_b64 s[0:1], vcc
	s_cbranch_execnz .LBB237_96
.LBB237_78:
	s_or_b64 exec, exec, s[0:1]
	v_cmp_gt_i32_e32 vcc, s12, v0
	s_and_saveexec_b64 s[0:1], vcc
	s_cbranch_execnz .LBB237_97
.LBB237_79:
	s_or_b64 exec, exec, s[0:1]
	v_cmp_gt_i32_e32 vcc, s12, v0
	s_and_saveexec_b64 s[0:1], vcc
	s_cbranch_execnz .LBB237_98
.LBB237_80:
	s_or_b64 exec, exec, s[0:1]
	v_cmp_gt_i32_e32 vcc, s12, v0
	s_and_saveexec_b64 s[0:1], vcc
	s_cbranch_execnz .LBB237_99
.LBB237_81:
	s_or_b64 exec, exec, s[0:1]
	v_cmp_gt_i32_e32 vcc, s12, v0
	s_and_saveexec_b64 s[0:1], vcc
	s_cbranch_execz .LBB237_83
.LBB237_82:
	v_lshrrev_b32_e32 v1, 24, v1
	v_add_u32_e32 v0, s15, v0
	global_store_byte v0, v1, s[16:17]
.LBB237_83:
	s_endpgm
.LBB237_84:
	s_movk_i32 s2, 0xff
	v_lshlrev_b16_e32 v7, 8, v5
	v_lshlrev_b32_e32 v5, 25, v5
	v_and_b32_sdwa v6, v1, s2 dst_sel:DWORD dst_unused:UNUSED_PAD src0_sel:WORD_1 src1_sel:DWORD
	v_lshrrev_b32_e32 v8, 4, v5
	s_movk_i32 s2, 0x7f00
	v_or_b32_e32 v8, 0x70000000, v8
	v_and_or_b32 v9, v7, s2, 0.5
	s_brev_b32 s2, 16
	v_add_f32_e32 v9, -0.5, v9
	v_mul_f32_e32 v8, 0x7800000, v8
	v_cmp_gt_u32_e64 s[2:3], s2, v5
	v_cndmask_b32_e64 v5, v8, v9, s[2:3]
	v_bfe_i32 v7, v7, 0, 16
	s_brev_b32 s2, 1
	v_and_or_b32 v5, v7, s2, v5
	v_cmp_eq_f32_e64 s[2:3], v19, v5
	v_cndmask_b32_e64 v7, 0, 1, s[2:3]
	v_cmp_neq_f32_e64 s[2:3], v19, v5
	v_cndmask_b32_e64 v5, 0, 1, s[2:3]
	v_cndmask_b32_e64 v5, v5, v7, s[0:1]
	v_mov_b32_e32 v7, 1
	v_and_b32_sdwa v5, v5, v7 dst_sel:BYTE_1 dst_unused:UNUSED_PAD src0_sel:DWORD src1_sel:DWORD
	v_or_b32_sdwa v5, v6, v5 dst_sel:WORD_1 dst_unused:UNUSED_PAD src0_sel:DWORD src1_sel:DWORD
	s_mov_b32 s0, 0xffff
	v_and_or_b32 v1, v1, s0, v5
	s_or_b64 exec, exec, s[4:5]
	s_and_saveexec_b64 s[0:1], vcc
	s_xor_b64 s[0:1], exec, s[0:1]
	s_cbranch_execz .LBB237_67
.LBB237_85:
	v_mov_b32_e32 v0, v21
	global_store_byte v4, v3, s[16:17]
	s_or_b64 exec, exec, s[0:1]
	v_cmp_gt_i32_e32 vcc, s12, v0
	s_and_saveexec_b64 s[0:1], vcc
	s_cbranch_execz .LBB237_68
.LBB237_86:
	v_lshrrev_b32_e32 v4, 8, v3
	v_add_u32_e32 v5, s15, v0
	v_add_u32_e32 v0, 0x100, v0
	global_store_byte v5, v4, s[16:17]
	s_or_b64 exec, exec, s[0:1]
	v_cmp_gt_i32_e32 vcc, s12, v0
	s_and_saveexec_b64 s[0:1], vcc
	s_cbranch_execz .LBB237_69
.LBB237_87:
	v_add_u32_e32 v4, s15, v0
	v_add_u32_e32 v0, 0x100, v0
	global_store_byte_d16_hi v4, v3, s[16:17]
	s_or_b64 exec, exec, s[0:1]
	v_cmp_gt_i32_e32 vcc, s12, v0
	s_and_saveexec_b64 s[0:1], vcc
	s_cbranch_execz .LBB237_70
.LBB237_88:
	v_lshrrev_b32_e32 v3, 24, v3
	v_add_u32_e32 v4, s15, v0
	v_add_u32_e32 v0, 0x100, v0
	global_store_byte v4, v3, s[16:17]
	s_or_b64 exec, exec, s[0:1]
	v_cmp_gt_i32_e32 vcc, s12, v0
	s_and_saveexec_b64 s[0:1], vcc
	s_cbranch_execz .LBB237_71
.LBB237_89:
	v_add_u32_e32 v3, s15, v0
	v_add_u32_e32 v0, 0x100, v0
	global_store_byte v3, v15, s[16:17]
	s_or_b64 exec, exec, s[0:1]
	v_cmp_gt_i32_e32 vcc, s12, v0
	s_and_saveexec_b64 s[0:1], vcc
	s_cbranch_execz .LBB237_72
.LBB237_90:
	v_lshrrev_b32_e32 v3, 8, v15
	v_add_u32_e32 v4, s15, v0
	v_add_u32_e32 v0, 0x100, v0
	global_store_byte v4, v3, s[16:17]
	s_or_b64 exec, exec, s[0:1]
	v_cmp_gt_i32_e32 vcc, s12, v0
	s_and_saveexec_b64 s[0:1], vcc
	s_cbranch_execz .LBB237_73
.LBB237_91:
	v_add_u32_e32 v3, s15, v0
	v_add_u32_e32 v0, 0x100, v0
	global_store_byte_d16_hi v3, v15, s[16:17]
	s_or_b64 exec, exec, s[0:1]
	v_cmp_gt_i32_e32 vcc, s12, v0
	s_and_saveexec_b64 s[0:1], vcc
	s_cbranch_execz .LBB237_74
.LBB237_92:
	v_lshrrev_b32_e32 v3, 24, v15
	v_add_u32_e32 v4, s15, v0
	v_add_u32_e32 v0, 0x100, v0
	global_store_byte v4, v3, s[16:17]
	s_or_b64 exec, exec, s[0:1]
	v_cmp_gt_i32_e32 vcc, s12, v0
	s_and_saveexec_b64 s[0:1], vcc
	s_cbranch_execz .LBB237_75
.LBB237_93:
	v_add_u32_e32 v3, s15, v0
	v_add_u32_e32 v0, 0x100, v0
	global_store_byte v3, v2, s[16:17]
	s_or_b64 exec, exec, s[0:1]
	v_cmp_gt_i32_e32 vcc, s12, v0
	s_and_saveexec_b64 s[0:1], vcc
	s_cbranch_execz .LBB237_76
.LBB237_94:
	v_lshrrev_b32_e32 v3, 8, v2
	v_add_u32_e32 v4, s15, v0
	v_add_u32_e32 v0, 0x100, v0
	global_store_byte v4, v3, s[16:17]
	s_or_b64 exec, exec, s[0:1]
	v_cmp_gt_i32_e32 vcc, s12, v0
	s_and_saveexec_b64 s[0:1], vcc
	s_cbranch_execz .LBB237_77
.LBB237_95:
	v_add_u32_e32 v3, s15, v0
	v_add_u32_e32 v0, 0x100, v0
	global_store_byte_d16_hi v3, v2, s[16:17]
	s_or_b64 exec, exec, s[0:1]
	v_cmp_gt_i32_e32 vcc, s12, v0
	s_and_saveexec_b64 s[0:1], vcc
	s_cbranch_execz .LBB237_78
.LBB237_96:
	v_lshrrev_b32_e32 v2, 24, v2
	v_add_u32_e32 v3, s15, v0
	v_add_u32_e32 v0, 0x100, v0
	global_store_byte v3, v2, s[16:17]
	s_or_b64 exec, exec, s[0:1]
	v_cmp_gt_i32_e32 vcc, s12, v0
	s_and_saveexec_b64 s[0:1], vcc
	s_cbranch_execz .LBB237_79
.LBB237_97:
	v_add_u32_e32 v2, s15, v0
	v_add_u32_e32 v0, 0x100, v0
	global_store_byte v2, v1, s[16:17]
	s_or_b64 exec, exec, s[0:1]
	v_cmp_gt_i32_e32 vcc, s12, v0
	s_and_saveexec_b64 s[0:1], vcc
	s_cbranch_execz .LBB237_80
.LBB237_98:
	v_lshrrev_b32_e32 v2, 8, v1
	v_add_u32_e32 v3, s15, v0
	v_add_u32_e32 v0, 0x100, v0
	global_store_byte v3, v2, s[16:17]
	s_or_b64 exec, exec, s[0:1]
	v_cmp_gt_i32_e32 vcc, s12, v0
	s_and_saveexec_b64 s[0:1], vcc
	s_cbranch_execz .LBB237_81
.LBB237_99:
	v_add_u32_e32 v2, s15, v0
	v_add_u32_e32 v0, 0x100, v0
	global_store_byte_d16_hi v2, v1, s[16:17]
	s_or_b64 exec, exec, s[0:1]
	v_cmp_gt_i32_e32 vcc, s12, v0
	s_and_saveexec_b64 s[0:1], vcc
	s_cbranch_execnz .LBB237_82
	s_branch .LBB237_83
	.section	.rodata,"a",@progbits
	.p2align	6, 0x0
	.amdhsa_kernel _ZN2at6native29vectorized_elementwise_kernelILi4ENS0_13AUnaryFunctorIN3c1011Float8_e5m2ES4_bNS0_12_GLOBAL__N_116CompareEqFunctorIS4_EEEESt5arrayIPcLm2EEEEviT0_T1_
		.amdhsa_group_segment_fixed_size 0
		.amdhsa_private_segment_fixed_size 0
		.amdhsa_kernarg_size 32
		.amdhsa_user_sgpr_count 6
		.amdhsa_user_sgpr_private_segment_buffer 1
		.amdhsa_user_sgpr_dispatch_ptr 0
		.amdhsa_user_sgpr_queue_ptr 0
		.amdhsa_user_sgpr_kernarg_segment_ptr 1
		.amdhsa_user_sgpr_dispatch_id 0
		.amdhsa_user_sgpr_flat_scratch_init 0
		.amdhsa_user_sgpr_private_segment_size 0
		.amdhsa_uses_dynamic_stack 0
		.amdhsa_system_sgpr_private_segment_wavefront_offset 0
		.amdhsa_system_sgpr_workgroup_id_x 1
		.amdhsa_system_sgpr_workgroup_id_y 0
		.amdhsa_system_sgpr_workgroup_id_z 0
		.amdhsa_system_sgpr_workgroup_info 0
		.amdhsa_system_vgpr_workitem_id 0
		.amdhsa_next_free_vgpr 26
		.amdhsa_next_free_sgpr 42
		.amdhsa_reserve_vcc 1
		.amdhsa_reserve_flat_scratch 0
		.amdhsa_float_round_mode_32 0
		.amdhsa_float_round_mode_16_64 0
		.amdhsa_float_denorm_mode_32 3
		.amdhsa_float_denorm_mode_16_64 3
		.amdhsa_dx10_clamp 1
		.amdhsa_ieee_mode 1
		.amdhsa_fp16_overflow 0
		.amdhsa_exception_fp_ieee_invalid_op 0
		.amdhsa_exception_fp_denorm_src 0
		.amdhsa_exception_fp_ieee_div_zero 0
		.amdhsa_exception_fp_ieee_overflow 0
		.amdhsa_exception_fp_ieee_underflow 0
		.amdhsa_exception_fp_ieee_inexact 0
		.amdhsa_exception_int_div_zero 0
	.end_amdhsa_kernel
	.section	.text._ZN2at6native29vectorized_elementwise_kernelILi4ENS0_13AUnaryFunctorIN3c1011Float8_e5m2ES4_bNS0_12_GLOBAL__N_116CompareEqFunctorIS4_EEEESt5arrayIPcLm2EEEEviT0_T1_,"axG",@progbits,_ZN2at6native29vectorized_elementwise_kernelILi4ENS0_13AUnaryFunctorIN3c1011Float8_e5m2ES4_bNS0_12_GLOBAL__N_116CompareEqFunctorIS4_EEEESt5arrayIPcLm2EEEEviT0_T1_,comdat
.Lfunc_end237:
	.size	_ZN2at6native29vectorized_elementwise_kernelILi4ENS0_13AUnaryFunctorIN3c1011Float8_e5m2ES4_bNS0_12_GLOBAL__N_116CompareEqFunctorIS4_EEEESt5arrayIPcLm2EEEEviT0_T1_, .Lfunc_end237-_ZN2at6native29vectorized_elementwise_kernelILi4ENS0_13AUnaryFunctorIN3c1011Float8_e5m2ES4_bNS0_12_GLOBAL__N_116CompareEqFunctorIS4_EEEESt5arrayIPcLm2EEEEviT0_T1_
                                        ; -- End function
	.set _ZN2at6native29vectorized_elementwise_kernelILi4ENS0_13AUnaryFunctorIN3c1011Float8_e5m2ES4_bNS0_12_GLOBAL__N_116CompareEqFunctorIS4_EEEESt5arrayIPcLm2EEEEviT0_T1_.num_vgpr, 26
	.set _ZN2at6native29vectorized_elementwise_kernelILi4ENS0_13AUnaryFunctorIN3c1011Float8_e5m2ES4_bNS0_12_GLOBAL__N_116CompareEqFunctorIS4_EEEESt5arrayIPcLm2EEEEviT0_T1_.num_agpr, 0
	.set _ZN2at6native29vectorized_elementwise_kernelILi4ENS0_13AUnaryFunctorIN3c1011Float8_e5m2ES4_bNS0_12_GLOBAL__N_116CompareEqFunctorIS4_EEEESt5arrayIPcLm2EEEEviT0_T1_.numbered_sgpr, 42
	.set _ZN2at6native29vectorized_elementwise_kernelILi4ENS0_13AUnaryFunctorIN3c1011Float8_e5m2ES4_bNS0_12_GLOBAL__N_116CompareEqFunctorIS4_EEEESt5arrayIPcLm2EEEEviT0_T1_.num_named_barrier, 0
	.set _ZN2at6native29vectorized_elementwise_kernelILi4ENS0_13AUnaryFunctorIN3c1011Float8_e5m2ES4_bNS0_12_GLOBAL__N_116CompareEqFunctorIS4_EEEESt5arrayIPcLm2EEEEviT0_T1_.private_seg_size, 0
	.set _ZN2at6native29vectorized_elementwise_kernelILi4ENS0_13AUnaryFunctorIN3c1011Float8_e5m2ES4_bNS0_12_GLOBAL__N_116CompareEqFunctorIS4_EEEESt5arrayIPcLm2EEEEviT0_T1_.uses_vcc, 1
	.set _ZN2at6native29vectorized_elementwise_kernelILi4ENS0_13AUnaryFunctorIN3c1011Float8_e5m2ES4_bNS0_12_GLOBAL__N_116CompareEqFunctorIS4_EEEESt5arrayIPcLm2EEEEviT0_T1_.uses_flat_scratch, 0
	.set _ZN2at6native29vectorized_elementwise_kernelILi4ENS0_13AUnaryFunctorIN3c1011Float8_e5m2ES4_bNS0_12_GLOBAL__N_116CompareEqFunctorIS4_EEEESt5arrayIPcLm2EEEEviT0_T1_.has_dyn_sized_stack, 0
	.set _ZN2at6native29vectorized_elementwise_kernelILi4ENS0_13AUnaryFunctorIN3c1011Float8_e5m2ES4_bNS0_12_GLOBAL__N_116CompareEqFunctorIS4_EEEESt5arrayIPcLm2EEEEviT0_T1_.has_recursion, 0
	.set _ZN2at6native29vectorized_elementwise_kernelILi4ENS0_13AUnaryFunctorIN3c1011Float8_e5m2ES4_bNS0_12_GLOBAL__N_116CompareEqFunctorIS4_EEEESt5arrayIPcLm2EEEEviT0_T1_.has_indirect_call, 0
	.section	.AMDGPU.csdata,"",@progbits
; Kernel info:
; codeLenInByte = 7376
; TotalNumSgprs: 46
; NumVgprs: 26
; ScratchSize: 0
; MemoryBound: 0
; FloatMode: 240
; IeeeMode: 1
; LDSByteSize: 0 bytes/workgroup (compile time only)
; SGPRBlocks: 5
; VGPRBlocks: 6
; NumSGPRsForWavesPerEU: 46
; NumVGPRsForWavesPerEU: 26
; Occupancy: 9
; WaveLimiterHint : 1
; COMPUTE_PGM_RSRC2:SCRATCH_EN: 0
; COMPUTE_PGM_RSRC2:USER_SGPR: 6
; COMPUTE_PGM_RSRC2:TRAP_HANDLER: 0
; COMPUTE_PGM_RSRC2:TGID_X_EN: 1
; COMPUTE_PGM_RSRC2:TGID_Y_EN: 0
; COMPUTE_PGM_RSRC2:TGID_Z_EN: 0
; COMPUTE_PGM_RSRC2:TIDIG_COMP_CNT: 0
	.section	.text._ZN2at6native29vectorized_elementwise_kernelILi2ENS0_13AUnaryFunctorIN3c1011Float8_e5m2ES4_bNS0_12_GLOBAL__N_116CompareEqFunctorIS4_EEEESt5arrayIPcLm2EEEEviT0_T1_,"axG",@progbits,_ZN2at6native29vectorized_elementwise_kernelILi2ENS0_13AUnaryFunctorIN3c1011Float8_e5m2ES4_bNS0_12_GLOBAL__N_116CompareEqFunctorIS4_EEEESt5arrayIPcLm2EEEEviT0_T1_,comdat
	.globl	_ZN2at6native29vectorized_elementwise_kernelILi2ENS0_13AUnaryFunctorIN3c1011Float8_e5m2ES4_bNS0_12_GLOBAL__N_116CompareEqFunctorIS4_EEEESt5arrayIPcLm2EEEEviT0_T1_ ; -- Begin function _ZN2at6native29vectorized_elementwise_kernelILi2ENS0_13AUnaryFunctorIN3c1011Float8_e5m2ES4_bNS0_12_GLOBAL__N_116CompareEqFunctorIS4_EEEESt5arrayIPcLm2EEEEviT0_T1_
	.p2align	8
	.type	_ZN2at6native29vectorized_elementwise_kernelILi2ENS0_13AUnaryFunctorIN3c1011Float8_e5m2ES4_bNS0_12_GLOBAL__N_116CompareEqFunctorIS4_EEEESt5arrayIPcLm2EEEEviT0_T1_,@function
_ZN2at6native29vectorized_elementwise_kernelILi2ENS0_13AUnaryFunctorIN3c1011Float8_e5m2ES4_bNS0_12_GLOBAL__N_116CompareEqFunctorIS4_EEEESt5arrayIPcLm2EEEEviT0_T1_: ; @_ZN2at6native29vectorized_elementwise_kernelILi2ENS0_13AUnaryFunctorIN3c1011Float8_e5m2ES4_bNS0_12_GLOBAL__N_116CompareEqFunctorIS4_EEEESt5arrayIPcLm2EEEEviT0_T1_
; %bb.0:
	s_load_dwordx8 s[8:15], s[4:5], 0x0
	s_waitcnt lgkmcnt(0)
	s_lshl_b32 s11, s6, 12
	s_mov_b64 s[0:1], -1
	s_sub_i32 s8, s8, s11
	s_cmpk_gt_i32 s8, 0xfff
	s_cbranch_scc0 .LBB238_2
; %bb.1:
	s_ashr_i32 s16, s11, 31
	s_add_u32 s0, s14, s11
	s_addc_u32 s1, s15, s16
	v_lshlrev_b32_e32 v1, 1, v0
	global_load_ushort v2, v1, s[0:1]
	global_load_ushort v3, v1, s[0:1] offset:512
	global_load_ushort v4, v1, s[0:1] offset:1024
	;; [unrolled: 1-line block ×7, first 2 shown]
	s_cmp_eq_u32 s9, 0
	s_cselect_b64 vcc, -1, 0
	s_lshl_b32 s0, s10, 8
	s_lshl_b32 s1, s10, 25
	s_lshr_b32 s2, s1, 4
	s_and_b32 s0, s0, 0x7f00
	s_or_b32 s2, s2, 0x70000000
	s_or_b32 s0, s0, 0.5
	v_mov_b32_e32 v6, 0x7800000
	s_cmp_lt_u32 s1, 0x8000000
	s_mov_b32 s20, 0xff000008
	v_add_f32_e64 v12, s0, -0.5
	v_mul_f32_e32 v6, s2, v6
	s_cselect_b64 s[0:1], -1, 0
	v_cndmask_b32_e64 v6, v6, v12, s[0:1]
	s_brev_b32 s19, 16
	s_movk_i32 s18, 0x7f00
	v_mov_b32_e32 v7, 0.5
	s_brev_b32 s17, 1
	s_waitcnt vmcnt(7)
	v_pk_lshlrev_b16 v12, s20, v2
	s_waitcnt vmcnt(6)
	v_pk_lshlrev_b16 v13, s20, v3 op_sel_hi:[1,0]
	v_and_b32_e32 v14, 0x7f00, v2
	v_and_b32_e32 v15, 0x7f00, v3
	v_lshlrev_b32_e32 v17, 17, v13
	v_lshlrev_b32_e32 v18, 17, v15
	;; [unrolled: 1-line block ×4, first 2 shown]
	v_lshrrev_b32_e32 v23, 4, v20
	v_cmp_gt_u32_e64 s[0:1], s19, v20
	v_lshrrev_b32_e32 v20, 4, v19
	v_cmp_gt_u32_e64 s[2:3], s19, v19
	;; [unrolled: 2-line block ×3, first 2 shown]
	v_lshrrev_b32_e32 v18, 4, v17
	v_and_or_b32 v21, v13, s18, 0.5
	v_or_b32_sdwa v15, v15, v7 dst_sel:DWORD dst_unused:UNUSED_PAD src0_sel:WORD_0 src1_sel:DWORD
	v_and_or_b32 v22, v12, s18, 0.5
	v_or_b32_e32 v20, 0x70000000, v20
	v_or_b32_e32 v19, 0x70000000, v19
	;; [unrolled: 1-line block ×3, first 2 shown]
	v_or_b32_sdwa v14, v14, v7 dst_sel:DWORD dst_unused:UNUSED_PAD src0_sel:WORD_0 src1_sel:DWORD
	v_or_b32_e32 v23, 0x70000000, v23
	v_add_f32_e32 v22, -0.5, v22
	v_mul_f32_e32 v20, 0x7800000, v20
	v_add_f32_e32 v15, -0.5, v15
	v_mul_f32_e32 v19, 0x7800000, v19
	;; [unrolled: 2-line block ×3, first 2 shown]
	v_cmp_gt_u32_e64 s[6:7], s19, v17
	s_waitcnt vmcnt(4)
	v_pk_lshlrev_b16 v17, s20, v5 op_sel_hi:[1,0]
	v_add_f32_e32 v14, -0.5, v14
	v_mul_f32_e32 v23, 0x7800000, v23
	v_cndmask_b32_e64 v18, v18, v21, s[6:7]
	v_cndmask_b32_e64 v15, v19, v15, s[4:5]
	v_and_b32_e32 v19, 0x7f00, v5
	v_lshlrev_b32_e32 v13, 16, v13
	v_cndmask_b32_e64 v20, v20, v22, s[2:3]
	v_lshlrev_b32_e32 v22, 17, v17
	v_bfe_i32 v3, v3, 0, 16
	v_cndmask_b32_e64 v14, v23, v14, s[0:1]
	v_lshlrev_b32_e32 v23, 17, v19
	v_and_or_b32 v13, v13, s17, v18
	v_lshrrev_b32_e32 v18, 4, v22
	v_bfe_i32 v2, v2, 0, 16
	v_pk_lshlrev_b16 v16, s20, v4
	v_and_or_b32 v3, v3, s17, v15
	v_lshrrev_b32_e32 v15, 4, v23
	v_or_b32_e32 v18, 0x70000000, v18
	v_cmp_gt_u32_e64 s[0:1], s19, v23
	v_and_or_b32 v23, v17, s18, 0.5
	v_and_b32_e32 v21, 0x7f00, v4
	v_lshlrev_b32_e32 v12, 16, v12
	v_and_or_b32 v2, v2, s17, v14
	v_lshlrev_b32_e32 v14, 17, v16
	v_or_b32_sdwa v19, v19, v7 dst_sel:DWORD dst_unused:UNUSED_PAD src0_sel:WORD_0 src1_sel:DWORD
	v_or_b32_e32 v15, 0x70000000, v15
	v_add_f32_e32 v23, -0.5, v23
	v_mul_f32_e32 v18, 0x7800000, v18
	v_cmp_gt_u32_e64 s[2:3], s19, v22
	v_and_or_b32 v12, v12, s17, v20
	v_lshlrev_b32_e32 v20, 17, v21
	v_add_f32_e32 v19, -0.5, v19
	v_mul_f32_e32 v15, 0x7800000, v15
	v_cndmask_b32_e64 v18, v18, v23, s[2:3]
	v_lshrrev_b32_e32 v23, 4, v14
	v_lshrrev_b32_e32 v22, 4, v20
	v_or_b32_e32 v23, 0x70000000, v23
	v_cndmask_b32_e64 v15, v15, v19, s[0:1]
	v_and_or_b32 v19, v16, s18, 0.5
	v_or_b32_e32 v22, 0x70000000, v22
	v_or_b32_sdwa v21, v21, v7 dst_sel:DWORD dst_unused:UNUSED_PAD src0_sel:WORD_0 src1_sel:DWORD
	v_add_f32_e32 v19, -0.5, v19
	v_mul_f32_e32 v23, 0x7800000, v23
	v_cmp_gt_u32_e64 s[0:1], s19, v14
	v_add_f32_e32 v21, -0.5, v21
	v_mul_f32_e32 v22, 0x7800000, v22
	v_cndmask_b32_e64 v14, v23, v19, s[0:1]
	v_cmp_gt_u32_e64 s[0:1], s19, v20
	v_lshlrev_b32_e32 v17, 16, v17
	v_bfe_i32 v5, v5, 0, 16
	v_lshlrev_b32_e32 v16, 16, v16
	v_cndmask_b32_e64 v19, v22, v21, s[0:1]
	v_bfe_i32 v4, v4, 0, 16
	v_and_or_b32 v14, v16, s17, v14
	v_and_or_b32 v5, v5, s17, v15
	;; [unrolled: 1-line block ×3, first 2 shown]
	s_waitcnt vmcnt(3)
	v_pk_lshlrev_b16 v16, s20, v8
	s_waitcnt vmcnt(2)
	v_pk_lshlrev_b16 v17, s20, v9 op_sel_hi:[1,0]
	v_and_b32_e32 v18, 0x7f00, v9
	v_and_or_b32 v4, v4, s17, v19
	v_lshlrev_b32_e32 v19, 17, v17
	v_lshlrev_b32_e32 v20, 17, v18
	v_lshlrev_b32_e32 v21, 17, v16
	v_lshrrev_b32_e32 v22, 4, v21
	v_cmp_gt_u32_e64 s[0:1], s19, v21
	v_lshrrev_b32_e32 v21, 4, v20
	v_cmp_gt_u32_e64 s[2:3], s19, v20
	v_lshrrev_b32_e32 v20, 4, v19
	v_or_b32_e32 v20, 0x70000000, v20
	v_and_or_b32 v24, v17, s18, 0.5
	v_or_b32_e32 v21, 0x70000000, v21
	v_or_b32_sdwa v18, v18, v7 dst_sel:DWORD dst_unused:UNUSED_PAD src0_sel:WORD_0 src1_sel:DWORD
	v_add_f32_e32 v24, -0.5, v24
	v_mul_f32_e32 v20, 0x7800000, v20
	v_cmp_gt_u32_e64 s[4:5], s19, v19
	v_or_b32_e32 v22, 0x70000000, v22
	v_and_or_b32 v23, v16, s18, 0.5
	v_add_f32_e32 v18, -0.5, v18
	v_mul_f32_e32 v21, 0x7800000, v21
	v_cndmask_b32_e64 v19, v20, v24, s[4:5]
	v_and_b32_e32 v20, 0x7f00, v8
	v_add_f32_e32 v23, -0.5, v23
	v_mul_f32_e32 v22, 0x7800000, v22
	v_cndmask_b32_e64 v18, v21, v18, s[2:3]
	v_lshlrev_b32_e32 v21, 17, v20
	v_cndmask_b32_e64 v22, v22, v23, s[0:1]
	v_lshrrev_b32_e32 v23, 4, v21
	v_or_b32_e32 v23, 0x70000000, v23
	v_or_b32_sdwa v20, v20, v7 dst_sel:DWORD dst_unused:UNUSED_PAD src0_sel:WORD_0 src1_sel:DWORD
	v_add_f32_e32 v20, -0.5, v20
	v_mul_f32_e32 v23, 0x7800000, v23
	v_cmp_gt_u32_e64 s[0:1], s19, v21
	v_cndmask_b32_e64 v20, v23, v20, s[0:1]
	v_lshlrev_b32_e32 v17, 16, v17
	v_bfe_i32 v9, v9, 0, 16
	v_bfe_i32 v8, v8, 0, 16
	v_lshlrev_b32_e32 v16, 16, v16
	v_and_or_b32 v8, v8, s17, v20
	v_and_or_b32 v9, v9, s17, v18
	;; [unrolled: 1-line block ×3, first 2 shown]
	s_waitcnt vmcnt(0)
	v_pk_lshlrev_b16 v18, s20, v11 op_sel_hi:[1,0]
	v_and_b32_e32 v19, 0x7f00, v10
	v_and_b32_e32 v20, 0x7f00, v11
	v_and_or_b32 v16, v16, s17, v22
	v_lshlrev_b32_e32 v21, 17, v18
	v_lshlrev_b32_e32 v22, 17, v20
	;; [unrolled: 1-line block ×3, first 2 shown]
	v_or_b32_sdwa v20, v20, v7 dst_sel:DWORD dst_unused:UNUSED_PAD src0_sel:WORD_0 src1_sel:DWORD
	v_or_b32_sdwa v7, v19, v7 dst_sel:DWORD dst_unused:UNUSED_PAD src0_sel:WORD_0 src1_sel:DWORD
	v_lshrrev_b32_e32 v19, 4, v23
	v_cmp_gt_u32_e64 s[0:1], s19, v23
	v_lshrrev_b32_e32 v23, 4, v22
	v_cmp_gt_u32_e64 s[2:3], s19, v22
	v_lshrrev_b32_e32 v22, 4, v21
	v_or_b32_e32 v22, 0x70000000, v22
	v_and_or_b32 v24, v18, s18, 0.5
	v_or_b32_e32 v23, 0x70000000, v23
	v_add_f32_e32 v24, -0.5, v24
	v_mul_f32_e32 v22, 0x7800000, v22
	v_cmp_gt_u32_e64 s[4:5], s19, v21
	v_add_f32_e32 v20, -0.5, v20
	v_mul_f32_e32 v23, 0x7800000, v23
	v_cndmask_b32_e64 v21, v22, v24, s[4:5]
	v_pk_lshlrev_b16 v22, s20, v10
	v_cndmask_b32_e64 v20, v23, v20, s[2:3]
	v_lshlrev_b32_e32 v23, 17, v22
	v_lshrrev_b32_e32 v24, 4, v23
	v_or_b32_e32 v24, 0x70000000, v24
	v_and_or_b32 v25, v22, s18, 0.5
	v_add_f32_e32 v25, -0.5, v25
	v_mul_f32_e32 v24, 0x7800000, v24
	v_cmp_gt_u32_e64 s[2:3], s19, v23
	v_cndmask_b32_e64 v23, v24, v25, s[2:3]
	s_lshl_b32 s2, s10, 24
	v_or_b32_e32 v19, 0x70000000, v19
	s_and_b32 s2, s2, 0x80000000
	v_add_f32_e32 v7, -0.5, v7
	v_mul_f32_e32 v19, 0x7800000, v19
	v_or_b32_e32 v6, s2, v6
	v_cndmask_b32_e64 v7, v19, v7, s[0:1]
	v_lshlrev_b32_e32 v19, 16, v22
	v_bfe_i32 v10, v10, 0, 16
	v_cmp_eq_f32_e64 s[0:1], v6, v2
	v_and_or_b32 v7, v10, s17, v7
	v_and_or_b32 v10, v19, s17, v23
	v_cndmask_b32_e64 v19, 0, 1, s[0:1]
	v_cmp_neq_f32_e64 s[0:1], v6, v2
	v_cndmask_b32_e64 v2, 0, 1, s[0:1]
	v_cmp_eq_f32_e64 s[0:1], v6, v12
	v_cndmask_b32_e32 v2, v2, v19, vcc
	v_cndmask_b32_e64 v19, 0, 1, s[0:1]
	v_cmp_neq_f32_e64 s[0:1], v6, v12
	v_cndmask_b32_e64 v12, 0, 1, s[0:1]
	v_cmp_eq_f32_e64 s[0:1], v6, v3
	v_cndmask_b32_e32 v12, v12, v19, vcc
	;; [unrolled: 5-line block ×12, first 2 shown]
	v_cndmask_b32_e64 v19, 0, 1, s[0:1]
	v_cmp_neq_f32_e64 s[0:1], v6, v7
	v_bfe_i32 v11, v11, 0, 16
	v_cndmask_b32_e64 v7, 0, 1, s[0:1]
	v_cmp_eq_f32_e64 s[0:1], v6, v10
	v_and_or_b32 v11, v11, s17, v20
	v_cndmask_b32_e32 v7, v7, v19, vcc
	v_cndmask_b32_e64 v19, 0, 1, s[0:1]
	v_cmp_neq_f32_e64 s[0:1], v6, v10
	v_lshlrev_b32_e32 v18, 16, v18
	v_cndmask_b32_e64 v10, 0, 1, s[0:1]
	v_cmp_eq_f32_e64 s[0:1], v6, v11
	v_and_or_b32 v18, v18, s17, v21
	v_cndmask_b32_e32 v10, v10, v19, vcc
	v_cndmask_b32_e64 v19, 0, 1, s[0:1]
	v_cmp_neq_f32_e64 s[0:1], v6, v11
	v_cndmask_b32_e64 v11, 0, 1, s[0:1]
	v_cmp_eq_f32_e64 s[0:1], v6, v18
	v_cndmask_b32_e32 v11, v11, v19, vcc
	v_cndmask_b32_e64 v19, 0, 1, s[0:1]
	v_cmp_neq_f32_e64 s[0:1], v6, v18
	v_mov_b32_e32 v18, 1
	v_and_b32_e32 v10, 1, v10
	v_and_b32_sdwa v7, v7, v18 dst_sel:BYTE_1 dst_unused:UNUSED_PAD src0_sel:DWORD src1_sel:DWORD
	v_or_b32_e32 v7, v10, v7
	v_and_b32_e32 v10, 1, v17
	v_and_b32_sdwa v9, v9, v18 dst_sel:BYTE_1 dst_unused:UNUSED_PAD src0_sel:DWORD src1_sel:DWORD
	v_or_b32_e32 v9, v10, v9
	;; [unrolled: 3-line block ×4, first 2 shown]
	v_and_b32_e32 v10, 1, v14
	v_and_b32_sdwa v4, v4, v18 dst_sel:BYTE_1 dst_unused:UNUSED_PAD src0_sel:DWORD src1_sel:DWORD
	v_cndmask_b32_e64 v6, 0, 1, s[0:1]
	v_or_b32_e32 v4, v10, v4
	v_and_b32_e32 v10, 1, v13
	v_and_b32_sdwa v3, v3, v18 dst_sel:BYTE_1 dst_unused:UNUSED_PAD src0_sel:DWORD src1_sel:DWORD
	v_cndmask_b32_e32 v6, v6, v19, vcc
	v_or_b32_e32 v3, v10, v3
	v_and_b32_e32 v10, 1, v12
	v_and_b32_sdwa v2, v2, v18 dst_sel:BYTE_1 dst_unused:UNUSED_PAD src0_sel:DWORD src1_sel:DWORD
	s_add_u32 s0, s12, s11
	v_and_b32_e32 v6, 1, v6
	v_and_b32_sdwa v11, v11, v18 dst_sel:BYTE_1 dst_unused:UNUSED_PAD src0_sel:DWORD src1_sel:DWORD
	v_or_b32_e32 v2, v10, v2
	s_addc_u32 s1, s13, s16
	v_or_b32_e32 v6, v6, v11
	global_store_short v1, v2, s[0:1]
	global_store_short v1, v3, s[0:1] offset:512
	global_store_short v1, v4, s[0:1] offset:1024
	global_store_short v1, v5, s[0:1] offset:1536
	global_store_short v1, v8, s[0:1] offset:2048
	global_store_short v1, v9, s[0:1] offset:2560
	global_store_short v1, v7, s[0:1] offset:3072
	global_store_short v1, v6, s[0:1] offset:3584
	s_mov_b64 s[0:1], 0
.LBB238_2:
	s_andn2_b64 vcc, exec, s[0:1]
	s_cbranch_vccnz .LBB238_83
; %bb.3:
	v_cmp_gt_i32_e32 vcc, s8, v0
	v_mov_b32_e32 v3, 0
	v_or_b32_e32 v4, s11, v0
	v_mov_b32_e32 v5, 0
	v_mov_b32_e32 v6, 0
	;; [unrolled: 1-line block ×16, first 2 shown]
	s_and_saveexec_b64 s[2:3], vcc
	s_cbranch_execz .LBB238_35
; %bb.4:
	global_load_ubyte v21, v4, s[14:15]
	v_or_b32_e32 v1, 0x100, v0
	v_cmp_gt_u32_e64 s[0:1], s8, v1
	v_mov_b32_e32 v22, 0
	v_mov_b32_e32 v20, 0
	;; [unrolled: 1-line block ×15, first 2 shown]
	s_and_saveexec_b64 s[4:5], s[0:1]
	s_cbranch_execz .LBB238_34
; %bb.5:
	v_add_u32_e32 v1, s11, v0
	global_load_ubyte v22, v1, s[14:15] offset:256
	v_or_b32_e32 v2, 0x200, v0
	v_mov_b32_e32 v20, 0
	v_cmp_gt_u32_e64 s[0:1], s8, v2
	v_mov_b32_e32 v18, 0
	v_mov_b32_e32 v17, 0
	v_mov_b32_e32 v16, 0
	v_mov_b32_e32 v14, 0
	v_mov_b32_e32 v13, 0
	v_mov_b32_e32 v12, 0
	v_mov_b32_e32 v11, 0
	v_mov_b32_e32 v10, 0
	v_mov_b32_e32 v9, 0
	v_mov_b32_e32 v8, 0
	v_mov_b32_e32 v7, 0
	v_mov_b32_e32 v6, 0
	v_mov_b32_e32 v5, 0
	s_and_saveexec_b64 s[6:7], s[0:1]
	s_cbranch_execz .LBB238_33
; %bb.6:
	v_mov_b32_e32 v2, s15
	v_add_co_u32_e64 v1, s[0:1], s14, v1
	v_addc_co_u32_e64 v2, s[0:1], 0, v2, s[0:1]
	global_load_ubyte v20, v[1:2], off offset:512
	v_or_b32_e32 v5, 0x300, v0
	v_cmp_gt_u32_e64 s[0:1], s8, v5
	v_mov_b32_e32 v18, 0
	v_mov_b32_e32 v17, 0
	;; [unrolled: 1-line block ×13, first 2 shown]
	s_and_saveexec_b64 s[14:15], s[0:1]
	s_cbranch_execz .LBB238_32
; %bb.7:
	global_load_ubyte v18, v[1:2], off offset:768
	v_or_b32_e32 v5, 0x400, v0
	v_cmp_gt_u32_e64 s[0:1], s8, v5
	v_mov_b32_e32 v17, 0
	v_mov_b32_e32 v16, 0
	;; [unrolled: 1-line block ×12, first 2 shown]
	s_and_saveexec_b64 s[16:17], s[0:1]
	s_cbranch_execz .LBB238_31
; %bb.8:
	global_load_ubyte v17, v[1:2], off offset:1024
	v_or_b32_e32 v5, 0x500, v0
	v_cmp_gt_u32_e64 s[0:1], s8, v5
	v_mov_b32_e32 v16, 0
	v_mov_b32_e32 v14, 0
	;; [unrolled: 1-line block ×11, first 2 shown]
	s_and_saveexec_b64 s[18:19], s[0:1]
	s_cbranch_execz .LBB238_30
; %bb.9:
	global_load_ubyte v16, v[1:2], off offset:1280
	v_or_b32_e32 v5, 0x600, v0
	v_cmp_gt_u32_e64 s[0:1], s8, v5
	v_mov_b32_e32 v14, 0
	v_mov_b32_e32 v13, 0
	;; [unrolled: 1-line block ×10, first 2 shown]
	s_and_saveexec_b64 s[20:21], s[0:1]
	s_cbranch_execz .LBB238_29
; %bb.10:
	global_load_ubyte v14, v[1:2], off offset:1536
	v_or_b32_e32 v5, 0x700, v0
	v_cmp_gt_u32_e64 s[0:1], s8, v5
	v_mov_b32_e32 v13, 0
	v_mov_b32_e32 v12, 0
	;; [unrolled: 1-line block ×9, first 2 shown]
	s_and_saveexec_b64 s[22:23], s[0:1]
	s_cbranch_execz .LBB238_28
; %bb.11:
	global_load_ubyte v13, v[1:2], off offset:1792
	v_or_b32_e32 v5, 0x800, v0
	v_cmp_gt_u32_e64 s[0:1], s8, v5
	v_mov_b32_e32 v12, 0
	v_mov_b32_e32 v11, 0
	;; [unrolled: 1-line block ×8, first 2 shown]
	s_and_saveexec_b64 s[24:25], s[0:1]
	s_cbranch_execz .LBB238_27
; %bb.12:
	global_load_ubyte v12, v[1:2], off offset:2048
	v_or_b32_e32 v5, 0x900, v0
	v_cmp_gt_u32_e64 s[0:1], s8, v5
	v_mov_b32_e32 v11, 0
	v_mov_b32_e32 v10, 0
	;; [unrolled: 1-line block ×7, first 2 shown]
	s_and_saveexec_b64 s[26:27], s[0:1]
	s_cbranch_execz .LBB238_26
; %bb.13:
	global_load_ubyte v11, v[1:2], off offset:2304
	v_or_b32_e32 v5, 0xa00, v0
	v_cmp_gt_u32_e64 s[0:1], s8, v5
	v_mov_b32_e32 v10, 0
	v_mov_b32_e32 v9, 0
	;; [unrolled: 1-line block ×6, first 2 shown]
	s_and_saveexec_b64 s[28:29], s[0:1]
	s_cbranch_execz .LBB238_25
; %bb.14:
	global_load_ubyte v10, v[1:2], off offset:2560
	v_or_b32_e32 v5, 0xb00, v0
	v_cmp_gt_u32_e64 s[0:1], s8, v5
	v_mov_b32_e32 v9, 0
	v_mov_b32_e32 v8, 0
	;; [unrolled: 1-line block ×5, first 2 shown]
	s_and_saveexec_b64 s[30:31], s[0:1]
	s_cbranch_execz .LBB238_24
; %bb.15:
	global_load_ubyte v9, v[1:2], off offset:2816
	v_or_b32_e32 v5, 0xc00, v0
	v_cmp_gt_u32_e64 s[0:1], s8, v5
	v_mov_b32_e32 v8, 0
	v_mov_b32_e32 v7, 0
	;; [unrolled: 1-line block ×4, first 2 shown]
	s_and_saveexec_b64 s[34:35], s[0:1]
	s_cbranch_execz .LBB238_23
; %bb.16:
	global_load_ubyte v8, v[1:2], off offset:3072
	v_or_b32_e32 v5, 0xd00, v0
	v_cmp_gt_u32_e64 s[0:1], s8, v5
	v_mov_b32_e32 v7, 0
	v_mov_b32_e32 v6, 0
	;; [unrolled: 1-line block ×3, first 2 shown]
	s_and_saveexec_b64 s[36:37], s[0:1]
	s_cbranch_execz .LBB238_22
; %bb.17:
	global_load_ubyte v7, v[1:2], off offset:3328
	v_or_b32_e32 v5, 0xe00, v0
	v_cmp_gt_u32_e64 s[0:1], s8, v5
	v_mov_b32_e32 v6, 0
	v_mov_b32_e32 v5, 0
	s_and_saveexec_b64 s[38:39], s[0:1]
	s_cbranch_execz .LBB238_21
; %bb.18:
	global_load_ubyte v6, v[1:2], off offset:3584
	v_or_b32_e32 v5, 0xf00, v0
	v_cmp_gt_u32_e64 s[0:1], s8, v5
	v_mov_b32_e32 v5, 0
	s_and_saveexec_b64 s[40:41], s[0:1]
	s_cbranch_execz .LBB238_20
; %bb.19:
	global_load_ubyte v5, v[1:2], off offset:3840
.LBB238_20:
	s_or_b64 exec, exec, s[40:41]
.LBB238_21:
	s_or_b64 exec, exec, s[38:39]
.LBB238_22:
	s_or_b64 exec, exec, s[36:37]
.LBB238_23:
	s_or_b64 exec, exec, s[34:35]
.LBB238_24:
	s_or_b64 exec, exec, s[30:31]
.LBB238_25:
	s_or_b64 exec, exec, s[28:29]
.LBB238_26:
	s_or_b64 exec, exec, s[26:27]
.LBB238_27:
	s_or_b64 exec, exec, s[24:25]
.LBB238_28:
	s_or_b64 exec, exec, s[22:23]
.LBB238_29:
	s_or_b64 exec, exec, s[20:21]
.LBB238_30:
	s_or_b64 exec, exec, s[18:19]
.LBB238_31:
	s_or_b64 exec, exec, s[16:17]
.LBB238_32:
	s_or_b64 exec, exec, s[14:15]
.LBB238_33:
	s_or_b64 exec, exec, s[6:7]
.LBB238_34:
	s_or_b64 exec, exec, s[4:5]
.LBB238_35:
	s_or_b64 exec, exec, s[2:3]
	s_cmp_eq_u32 s9, 0
	s_cselect_b64 s[0:1], -1, 0
	s_lshl_b32 s2, s10, 8
	s_lshl_b32 s3, s10, 25
	s_lshr_b32 s4, s3, 4
	s_and_b32 s2, s2, 0x7f00
	s_or_b32 s4, s4, 0x70000000
	s_or_b32 s2, s2, 0.5
	s_cmp_lt_u32 s3, 0x8000000
	v_mov_b32_e32 v2, 0x7800000
	v_add_f32_e64 v1, s2, -0.5
	v_mul_f32_e32 v2, s4, v2
	s_cselect_b64 s[2:3], -1, 0
	v_cndmask_b32_e64 v1, v2, v1, s[2:3]
	s_lshl_b32 s2, s10, 24
	s_and_b32 s2, s2, 0x80000000
	s_movk_i32 s7, 0x7f00
	s_brev_b32 s6, 16
	s_brev_b32 s9, 1
	v_or_b32_e32 v19, s2, v1
	v_mov_b32_e32 v15, v3
	v_mov_b32_e32 v2, v3
	;; [unrolled: 1-line block ×3, first 2 shown]
	s_and_saveexec_b64 s[4:5], vcc
	s_cbranch_execz .LBB238_37
; %bb.36:
	s_waitcnt vmcnt(0)
	v_lshlrev_b32_e32 v2, 25, v21
	v_lshlrev_b16_e32 v1, 8, v21
	v_lshrrev_b32_e32 v3, 4, v2
	v_or_b32_e32 v3, 0x70000000, v3
	v_and_or_b32 v15, v1, s7, 0.5
	v_add_f32_e32 v15, -0.5, v15
	v_mul_f32_e32 v3, 0x7800000, v3
	v_cmp_gt_u32_e64 s[2:3], s6, v2
	v_cndmask_b32_e64 v2, v3, v15, s[2:3]
	v_bfe_i32 v1, v1, 0, 16
	v_and_or_b32 v1, v1, s9, v2
	v_cmp_eq_f32_e64 s[2:3], v19, v1
	v_cndmask_b32_e64 v2, 0, 1, s[2:3]
	v_cmp_neq_f32_e64 s[2:3], v19, v1
	v_cndmask_b32_e64 v1, 0, 1, s[2:3]
	v_cndmask_b32_e64 v1, v1, v2, s[0:1]
	v_and_b32_e32 v1, 1, v1
	v_mov_b32_e32 v15, 0
	v_and_b32_e32 v3, 0xffff, v1
	v_mov_b32_e32 v2, v15
	v_mov_b32_e32 v1, v15
.LBB238_37:
	s_or_b64 exec, exec, s[4:5]
	s_waitcnt vmcnt(0)
	v_or_b32_e32 v21, 0x100, v0
	v_cmp_gt_i32_e64 s[2:3], s8, v21
	s_and_saveexec_b64 s[4:5], s[2:3]
	s_cbranch_execz .LBB238_39
; %bb.38:
	v_lshlrev_b16_e32 v23, 8, v22
	v_lshlrev_b32_e32 v22, 25, v22
	v_lshrrev_b32_e32 v24, 4, v22
	s_movk_i32 s2, 0x7f00
	v_or_b32_e32 v24, 0x70000000, v24
	v_and_or_b32 v25, v23, s2, 0.5
	s_brev_b32 s2, 16
	v_add_f32_e32 v25, -0.5, v25
	v_mul_f32_e32 v24, 0x7800000, v24
	v_cmp_gt_u32_e64 s[2:3], s2, v22
	v_cndmask_b32_e64 v22, v24, v25, s[2:3]
	v_bfe_i32 v23, v23, 0, 16
	s_brev_b32 s2, 1
	v_and_or_b32 v22, v23, s2, v22
	v_cmp_eq_f32_e64 s[2:3], v19, v22
	v_cndmask_b32_e64 v23, 0, 1, s[2:3]
	v_cmp_neq_f32_e64 s[2:3], v19, v22
	v_cndmask_b32_e64 v22, 0, 1, s[2:3]
	v_cndmask_b32_e64 v22, v22, v23, s[0:1]
	v_mov_b32_e32 v23, 1
	v_and_b32_sdwa v22, v22, v23 dst_sel:BYTE_1 dst_unused:UNUSED_PAD src0_sel:DWORD src1_sel:DWORD
	v_or_b32_sdwa v22, v3, v22 dst_sel:DWORD dst_unused:UNUSED_PAD src0_sel:BYTE_0 src1_sel:DWORD
	v_and_b32_e32 v22, 0xffff, v22
	s_mov_b32 s2, 0xffff0000
	v_and_or_b32 v3, v3, s2, v22
.LBB238_39:
	s_or_b64 exec, exec, s[4:5]
	v_or_b32_e32 v22, 0x200, v0
	v_cmp_gt_i32_e64 s[2:3], s8, v22
	s_and_saveexec_b64 s[4:5], s[2:3]
	s_cbranch_execz .LBB238_41
; %bb.40:
	s_movk_i32 s2, 0xff00
	v_lshlrev_b16_e32 v23, 8, v20
	v_lshlrev_b32_e32 v20, 25, v20
	v_and_b32_sdwa v22, v3, s2 dst_sel:DWORD dst_unused:UNUSED_PAD src0_sel:WORD_1 src1_sel:DWORD
	v_lshrrev_b32_e32 v24, 4, v20
	s_movk_i32 s2, 0x7f00
	v_or_b32_e32 v24, 0x70000000, v24
	v_and_or_b32 v25, v23, s2, 0.5
	s_brev_b32 s2, 16
	v_add_f32_e32 v25, -0.5, v25
	v_mul_f32_e32 v24, 0x7800000, v24
	v_cmp_gt_u32_e64 s[2:3], s2, v20
	v_cndmask_b32_e64 v20, v24, v25, s[2:3]
	v_bfe_i32 v23, v23, 0, 16
	s_brev_b32 s2, 1
	v_and_or_b32 v20, v23, s2, v20
	v_cmp_eq_f32_e64 s[2:3], v19, v20
	v_cndmask_b32_e64 v23, 0, 1, s[2:3]
	v_cmp_neq_f32_e64 s[2:3], v19, v20
	v_cndmask_b32_e64 v20, 0, 1, s[2:3]
	v_cndmask_b32_e64 v20, v20, v23, s[0:1]
	v_and_b32_e32 v20, 1, v20
	v_or_b32_sdwa v20, v20, v22 dst_sel:WORD_1 dst_unused:UNUSED_PAD src0_sel:DWORD src1_sel:DWORD
	s_mov_b32 s2, 0xffff
	v_and_or_b32 v3, v3, s2, v20
.LBB238_41:
	s_or_b64 exec, exec, s[4:5]
	v_or_b32_e32 v20, 0x300, v0
	v_cmp_gt_i32_e64 s[2:3], s8, v20
	s_and_saveexec_b64 s[4:5], s[2:3]
	s_cbranch_execz .LBB238_43
; %bb.42:
	s_movk_i32 s2, 0xff
	v_lshlrev_b16_e32 v22, 8, v18
	v_lshlrev_b32_e32 v18, 25, v18
	v_and_b32_sdwa v20, v3, s2 dst_sel:DWORD dst_unused:UNUSED_PAD src0_sel:WORD_1 src1_sel:DWORD
	v_lshrrev_b32_e32 v23, 4, v18
	s_movk_i32 s2, 0x7f00
	v_or_b32_e32 v23, 0x70000000, v23
	v_and_or_b32 v24, v22, s2, 0.5
	s_brev_b32 s2, 16
	v_add_f32_e32 v24, -0.5, v24
	v_mul_f32_e32 v23, 0x7800000, v23
	v_cmp_gt_u32_e64 s[2:3], s2, v18
	v_cndmask_b32_e64 v18, v23, v24, s[2:3]
	v_bfe_i32 v22, v22, 0, 16
	s_brev_b32 s2, 1
	v_and_or_b32 v18, v22, s2, v18
	v_cmp_eq_f32_e64 s[2:3], v19, v18
	v_cndmask_b32_e64 v22, 0, 1, s[2:3]
	v_cmp_neq_f32_e64 s[2:3], v19, v18
	v_cndmask_b32_e64 v18, 0, 1, s[2:3]
	v_cndmask_b32_e64 v18, v18, v22, s[0:1]
	v_mov_b32_e32 v22, 1
	v_and_b32_sdwa v18, v18, v22 dst_sel:BYTE_1 dst_unused:UNUSED_PAD src0_sel:DWORD src1_sel:DWORD
	v_or_b32_sdwa v18, v20, v18 dst_sel:WORD_1 dst_unused:UNUSED_PAD src0_sel:DWORD src1_sel:DWORD
	s_mov_b32 s2, 0xffff
	v_and_or_b32 v3, v3, s2, v18
.LBB238_43:
	s_or_b64 exec, exec, s[4:5]
	v_or_b32_e32 v18, 0x400, v0
	v_cmp_gt_i32_e64 s[2:3], s8, v18
	s_and_saveexec_b64 s[4:5], s[2:3]
	s_cbranch_execz .LBB238_45
; %bb.44:
	v_lshlrev_b16_e32 v20, 8, v17
	v_lshlrev_b32_e32 v17, 25, v17
	v_lshrrev_b32_e32 v22, 4, v17
	s_movk_i32 s2, 0x7f00
	v_or_b32_e32 v22, 0x70000000, v22
	v_and_or_b32 v23, v20, s2, 0.5
	s_brev_b32 s2, 16
	v_add_f32_e32 v23, -0.5, v23
	v_mul_f32_e32 v22, 0x7800000, v22
	v_cmp_gt_u32_e64 s[2:3], s2, v17
	v_cndmask_b32_e64 v17, v22, v23, s[2:3]
	v_bfe_i32 v20, v20, 0, 16
	s_brev_b32 s2, 1
	v_and_or_b32 v17, v20, s2, v17
	v_cmp_eq_f32_e64 s[2:3], v19, v17
	v_cndmask_b32_e64 v20, 0, 1, s[2:3]
	v_cmp_neq_f32_e64 s[2:3], v19, v17
	v_cndmask_b32_e64 v17, 0, 1, s[2:3]
	v_cndmask_b32_e64 v17, v17, v20, s[0:1]
	v_and_b32_e32 v18, 0xffffff00, v15
	v_and_b32_e32 v17, 1, v17
	v_or_b32_e32 v17, v17, v18
	v_and_b32_e32 v17, 0xffff, v17
	s_mov_b32 s2, 0xffff0000
	v_and_or_b32 v15, v15, s2, v17
.LBB238_45:
	s_or_b64 exec, exec, s[4:5]
	v_or_b32_e32 v17, 0x500, v0
	v_cmp_gt_i32_e64 s[2:3], s8, v17
	s_and_saveexec_b64 s[4:5], s[2:3]
	s_cbranch_execz .LBB238_47
; %bb.46:
	v_lshlrev_b16_e32 v17, 8, v16
	v_lshlrev_b32_e32 v16, 25, v16
	v_lshrrev_b32_e32 v18, 4, v16
	s_movk_i32 s2, 0x7f00
	v_or_b32_e32 v18, 0x70000000, v18
	v_and_or_b32 v20, v17, s2, 0.5
	s_brev_b32 s2, 16
	v_add_f32_e32 v20, -0.5, v20
	v_mul_f32_e32 v18, 0x7800000, v18
	v_cmp_gt_u32_e64 s[2:3], s2, v16
	v_cndmask_b32_e64 v16, v18, v20, s[2:3]
	v_bfe_i32 v17, v17, 0, 16
	s_brev_b32 s2, 1
	v_and_or_b32 v16, v17, s2, v16
	v_cmp_eq_f32_e64 s[2:3], v19, v16
	v_cndmask_b32_e64 v17, 0, 1, s[2:3]
	v_cmp_neq_f32_e64 s[2:3], v19, v16
	v_cndmask_b32_e64 v16, 0, 1, s[2:3]
	v_cndmask_b32_e64 v16, v16, v17, s[0:1]
	v_mov_b32_e32 v17, 1
	v_and_b32_sdwa v16, v16, v17 dst_sel:BYTE_1 dst_unused:UNUSED_PAD src0_sel:DWORD src1_sel:DWORD
	v_or_b32_sdwa v16, v15, v16 dst_sel:DWORD dst_unused:UNUSED_PAD src0_sel:BYTE_0 src1_sel:DWORD
	v_and_b32_e32 v16, 0xffff, v16
	s_mov_b32 s2, 0xffff0000
	v_and_or_b32 v15, v15, s2, v16
.LBB238_47:
	s_or_b64 exec, exec, s[4:5]
	v_or_b32_e32 v16, 0x600, v0
	v_cmp_gt_i32_e64 s[2:3], s8, v16
	s_and_saveexec_b64 s[4:5], s[2:3]
	s_cbranch_execz .LBB238_49
; %bb.48:
	s_movk_i32 s2, 0xff00
	v_lshlrev_b16_e32 v17, 8, v14
	v_lshlrev_b32_e32 v14, 25, v14
	v_and_b32_sdwa v16, v15, s2 dst_sel:DWORD dst_unused:UNUSED_PAD src0_sel:WORD_1 src1_sel:DWORD
	v_lshrrev_b32_e32 v18, 4, v14
	s_movk_i32 s2, 0x7f00
	v_or_b32_e32 v18, 0x70000000, v18
	v_and_or_b32 v20, v17, s2, 0.5
	s_brev_b32 s2, 16
	v_add_f32_e32 v20, -0.5, v20
	v_mul_f32_e32 v18, 0x7800000, v18
	v_cmp_gt_u32_e64 s[2:3], s2, v14
	v_cndmask_b32_e64 v14, v18, v20, s[2:3]
	v_bfe_i32 v17, v17, 0, 16
	s_brev_b32 s2, 1
	v_and_or_b32 v14, v17, s2, v14
	v_cmp_eq_f32_e64 s[2:3], v19, v14
	v_cndmask_b32_e64 v17, 0, 1, s[2:3]
	v_cmp_neq_f32_e64 s[2:3], v19, v14
	v_cndmask_b32_e64 v14, 0, 1, s[2:3]
	v_cndmask_b32_e64 v14, v14, v17, s[0:1]
	v_and_b32_e32 v14, 1, v14
	v_or_b32_sdwa v14, v14, v16 dst_sel:WORD_1 dst_unused:UNUSED_PAD src0_sel:DWORD src1_sel:DWORD
	s_mov_b32 s2, 0xffff
	v_and_or_b32 v15, v15, s2, v14
.LBB238_49:
	s_or_b64 exec, exec, s[4:5]
	v_or_b32_e32 v14, 0x700, v0
	v_cmp_gt_i32_e64 s[2:3], s8, v14
	s_and_saveexec_b64 s[4:5], s[2:3]
	s_cbranch_execz .LBB238_51
; %bb.50:
	s_movk_i32 s2, 0xff
	v_lshlrev_b16_e32 v16, 8, v13
	v_lshlrev_b32_e32 v13, 25, v13
	v_and_b32_sdwa v14, v15, s2 dst_sel:DWORD dst_unused:UNUSED_PAD src0_sel:WORD_1 src1_sel:DWORD
	v_lshrrev_b32_e32 v17, 4, v13
	s_movk_i32 s2, 0x7f00
	v_or_b32_e32 v17, 0x70000000, v17
	v_and_or_b32 v18, v16, s2, 0.5
	s_brev_b32 s2, 16
	v_add_f32_e32 v18, -0.5, v18
	v_mul_f32_e32 v17, 0x7800000, v17
	v_cmp_gt_u32_e64 s[2:3], s2, v13
	v_cndmask_b32_e64 v13, v17, v18, s[2:3]
	v_bfe_i32 v16, v16, 0, 16
	s_brev_b32 s2, 1
	v_and_or_b32 v13, v16, s2, v13
	v_cmp_eq_f32_e64 s[2:3], v19, v13
	v_cndmask_b32_e64 v16, 0, 1, s[2:3]
	v_cmp_neq_f32_e64 s[2:3], v19, v13
	v_cndmask_b32_e64 v13, 0, 1, s[2:3]
	v_cndmask_b32_e64 v13, v13, v16, s[0:1]
	v_mov_b32_e32 v16, 1
	v_and_b32_sdwa v13, v13, v16 dst_sel:BYTE_1 dst_unused:UNUSED_PAD src0_sel:DWORD src1_sel:DWORD
	v_or_b32_sdwa v13, v14, v13 dst_sel:WORD_1 dst_unused:UNUSED_PAD src0_sel:DWORD src1_sel:DWORD
	s_mov_b32 s2, 0xffff
	v_and_or_b32 v15, v15, s2, v13
.LBB238_51:
	s_or_b64 exec, exec, s[4:5]
	v_or_b32_e32 v13, 0x800, v0
	v_cmp_gt_i32_e64 s[2:3], s8, v13
	s_and_saveexec_b64 s[4:5], s[2:3]
	s_cbranch_execz .LBB238_53
; %bb.52:
	v_lshlrev_b16_e32 v14, 8, v12
	v_lshlrev_b32_e32 v12, 25, v12
	v_lshrrev_b32_e32 v16, 4, v12
	s_movk_i32 s2, 0x7f00
	v_or_b32_e32 v16, 0x70000000, v16
	v_and_or_b32 v17, v14, s2, 0.5
	s_brev_b32 s2, 16
	v_add_f32_e32 v17, -0.5, v17
	v_mul_f32_e32 v16, 0x7800000, v16
	v_cmp_gt_u32_e64 s[2:3], s2, v12
	v_cndmask_b32_e64 v12, v16, v17, s[2:3]
	v_bfe_i32 v14, v14, 0, 16
	s_brev_b32 s2, 1
	v_and_or_b32 v12, v14, s2, v12
	v_cmp_eq_f32_e64 s[2:3], v19, v12
	v_cndmask_b32_e64 v14, 0, 1, s[2:3]
	v_cmp_neq_f32_e64 s[2:3], v19, v12
	v_cndmask_b32_e64 v12, 0, 1, s[2:3]
	v_cndmask_b32_e64 v12, v12, v14, s[0:1]
	v_and_b32_e32 v13, 0xffffff00, v2
	v_and_b32_e32 v12, 1, v12
	v_or_b32_e32 v12, v12, v13
	v_and_b32_e32 v12, 0xffff, v12
	s_mov_b32 s2, 0xffff0000
	v_and_or_b32 v2, v2, s2, v12
.LBB238_53:
	s_or_b64 exec, exec, s[4:5]
	v_or_b32_e32 v12, 0x900, v0
	v_cmp_gt_i32_e64 s[2:3], s8, v12
	s_and_saveexec_b64 s[4:5], s[2:3]
	s_cbranch_execz .LBB238_55
; %bb.54:
	v_lshlrev_b16_e32 v12, 8, v11
	v_lshlrev_b32_e32 v11, 25, v11
	v_lshrrev_b32_e32 v13, 4, v11
	s_movk_i32 s2, 0x7f00
	v_or_b32_e32 v13, 0x70000000, v13
	v_and_or_b32 v14, v12, s2, 0.5
	s_brev_b32 s2, 16
	v_add_f32_e32 v14, -0.5, v14
	v_mul_f32_e32 v13, 0x7800000, v13
	v_cmp_gt_u32_e64 s[2:3], s2, v11
	v_cndmask_b32_e64 v11, v13, v14, s[2:3]
	v_bfe_i32 v12, v12, 0, 16
	s_brev_b32 s2, 1
	v_and_or_b32 v11, v12, s2, v11
	v_cmp_eq_f32_e64 s[2:3], v19, v11
	v_cndmask_b32_e64 v12, 0, 1, s[2:3]
	v_cmp_neq_f32_e64 s[2:3], v19, v11
	v_cndmask_b32_e64 v11, 0, 1, s[2:3]
	v_cndmask_b32_e64 v11, v11, v12, s[0:1]
	v_mov_b32_e32 v12, 1
	v_and_b32_sdwa v11, v11, v12 dst_sel:BYTE_1 dst_unused:UNUSED_PAD src0_sel:DWORD src1_sel:DWORD
	v_or_b32_sdwa v11, v2, v11 dst_sel:DWORD dst_unused:UNUSED_PAD src0_sel:BYTE_0 src1_sel:DWORD
	v_and_b32_e32 v11, 0xffff, v11
	s_mov_b32 s2, 0xffff0000
	v_and_or_b32 v2, v2, s2, v11
.LBB238_55:
	s_or_b64 exec, exec, s[4:5]
	v_or_b32_e32 v11, 0xa00, v0
	v_cmp_gt_i32_e64 s[2:3], s8, v11
	s_and_saveexec_b64 s[4:5], s[2:3]
	s_cbranch_execz .LBB238_57
; %bb.56:
	s_movk_i32 s2, 0xff00
	v_lshlrev_b16_e32 v12, 8, v10
	v_lshlrev_b32_e32 v10, 25, v10
	v_and_b32_sdwa v11, v2, s2 dst_sel:DWORD dst_unused:UNUSED_PAD src0_sel:WORD_1 src1_sel:DWORD
	v_lshrrev_b32_e32 v13, 4, v10
	s_movk_i32 s2, 0x7f00
	v_or_b32_e32 v13, 0x70000000, v13
	v_and_or_b32 v14, v12, s2, 0.5
	s_brev_b32 s2, 16
	v_add_f32_e32 v14, -0.5, v14
	v_mul_f32_e32 v13, 0x7800000, v13
	v_cmp_gt_u32_e64 s[2:3], s2, v10
	v_cndmask_b32_e64 v10, v13, v14, s[2:3]
	v_bfe_i32 v12, v12, 0, 16
	s_brev_b32 s2, 1
	v_and_or_b32 v10, v12, s2, v10
	v_cmp_eq_f32_e64 s[2:3], v19, v10
	v_cndmask_b32_e64 v12, 0, 1, s[2:3]
	v_cmp_neq_f32_e64 s[2:3], v19, v10
	v_cndmask_b32_e64 v10, 0, 1, s[2:3]
	v_cndmask_b32_e64 v10, v10, v12, s[0:1]
	v_and_b32_e32 v10, 1, v10
	v_or_b32_sdwa v10, v10, v11 dst_sel:WORD_1 dst_unused:UNUSED_PAD src0_sel:DWORD src1_sel:DWORD
	s_mov_b32 s2, 0xffff
	v_and_or_b32 v2, v2, s2, v10
.LBB238_57:
	s_or_b64 exec, exec, s[4:5]
	v_or_b32_e32 v10, 0xb00, v0
	v_cmp_gt_i32_e64 s[2:3], s8, v10
	s_and_saveexec_b64 s[4:5], s[2:3]
	s_cbranch_execz .LBB238_59
; %bb.58:
	s_movk_i32 s2, 0xff
	v_lshlrev_b16_e32 v11, 8, v9
	v_lshlrev_b32_e32 v9, 25, v9
	v_and_b32_sdwa v10, v2, s2 dst_sel:DWORD dst_unused:UNUSED_PAD src0_sel:WORD_1 src1_sel:DWORD
	v_lshrrev_b32_e32 v12, 4, v9
	s_movk_i32 s2, 0x7f00
	v_or_b32_e32 v12, 0x70000000, v12
	v_and_or_b32 v13, v11, s2, 0.5
	s_brev_b32 s2, 16
	v_add_f32_e32 v13, -0.5, v13
	v_mul_f32_e32 v12, 0x7800000, v12
	v_cmp_gt_u32_e64 s[2:3], s2, v9
	v_cndmask_b32_e64 v9, v12, v13, s[2:3]
	v_bfe_i32 v11, v11, 0, 16
	s_brev_b32 s2, 1
	v_and_or_b32 v9, v11, s2, v9
	v_cmp_eq_f32_e64 s[2:3], v19, v9
	v_cndmask_b32_e64 v11, 0, 1, s[2:3]
	v_cmp_neq_f32_e64 s[2:3], v19, v9
	v_cndmask_b32_e64 v9, 0, 1, s[2:3]
	v_cndmask_b32_e64 v9, v9, v11, s[0:1]
	v_mov_b32_e32 v11, 1
	v_and_b32_sdwa v9, v9, v11 dst_sel:BYTE_1 dst_unused:UNUSED_PAD src0_sel:DWORD src1_sel:DWORD
	v_or_b32_sdwa v9, v10, v9 dst_sel:WORD_1 dst_unused:UNUSED_PAD src0_sel:DWORD src1_sel:DWORD
	s_mov_b32 s2, 0xffff
	v_and_or_b32 v2, v2, s2, v9
.LBB238_59:
	s_or_b64 exec, exec, s[4:5]
	v_or_b32_e32 v9, 0xc00, v0
	v_cmp_gt_i32_e64 s[2:3], s8, v9
	s_and_saveexec_b64 s[4:5], s[2:3]
	s_cbranch_execz .LBB238_61
; %bb.60:
	v_lshlrev_b16_e32 v10, 8, v8
	v_lshlrev_b32_e32 v8, 25, v8
	v_lshrrev_b32_e32 v11, 4, v8
	s_movk_i32 s2, 0x7f00
	v_or_b32_e32 v11, 0x70000000, v11
	v_and_or_b32 v12, v10, s2, 0.5
	s_brev_b32 s2, 16
	v_add_f32_e32 v12, -0.5, v12
	v_mul_f32_e32 v11, 0x7800000, v11
	v_cmp_gt_u32_e64 s[2:3], s2, v8
	v_cndmask_b32_e64 v8, v11, v12, s[2:3]
	v_bfe_i32 v10, v10, 0, 16
	s_brev_b32 s2, 1
	v_and_or_b32 v8, v10, s2, v8
	v_cmp_eq_f32_e64 s[2:3], v19, v8
	v_cndmask_b32_e64 v10, 0, 1, s[2:3]
	v_cmp_neq_f32_e64 s[2:3], v19, v8
	v_cndmask_b32_e64 v8, 0, 1, s[2:3]
	v_cndmask_b32_e64 v8, v8, v10, s[0:1]
	v_and_b32_e32 v9, 0xffffff00, v1
	v_and_b32_e32 v8, 1, v8
	v_or_b32_e32 v8, v8, v9
	v_and_b32_e32 v8, 0xffff, v8
	s_mov_b32 s2, 0xffff0000
	v_and_or_b32 v1, v1, s2, v8
.LBB238_61:
	s_or_b64 exec, exec, s[4:5]
	v_or_b32_e32 v8, 0xd00, v0
	v_cmp_gt_i32_e64 s[2:3], s8, v8
	s_and_saveexec_b64 s[4:5], s[2:3]
	s_cbranch_execz .LBB238_63
; %bb.62:
	v_lshlrev_b16_e32 v8, 8, v7
	v_lshlrev_b32_e32 v7, 25, v7
	v_lshrrev_b32_e32 v9, 4, v7
	s_movk_i32 s2, 0x7f00
	v_or_b32_e32 v9, 0x70000000, v9
	v_and_or_b32 v10, v8, s2, 0.5
	s_brev_b32 s2, 16
	v_add_f32_e32 v10, -0.5, v10
	v_mul_f32_e32 v9, 0x7800000, v9
	v_cmp_gt_u32_e64 s[2:3], s2, v7
	v_cndmask_b32_e64 v7, v9, v10, s[2:3]
	v_bfe_i32 v8, v8, 0, 16
	s_brev_b32 s2, 1
	v_and_or_b32 v7, v8, s2, v7
	v_cmp_eq_f32_e64 s[2:3], v19, v7
	v_cndmask_b32_e64 v8, 0, 1, s[2:3]
	v_cmp_neq_f32_e64 s[2:3], v19, v7
	v_cndmask_b32_e64 v7, 0, 1, s[2:3]
	v_cndmask_b32_e64 v7, v7, v8, s[0:1]
	v_mov_b32_e32 v8, 1
	v_and_b32_sdwa v7, v7, v8 dst_sel:BYTE_1 dst_unused:UNUSED_PAD src0_sel:DWORD src1_sel:DWORD
	v_or_b32_sdwa v7, v1, v7 dst_sel:DWORD dst_unused:UNUSED_PAD src0_sel:BYTE_0 src1_sel:DWORD
	v_and_b32_e32 v7, 0xffff, v7
	s_mov_b32 s2, 0xffff0000
	v_and_or_b32 v1, v1, s2, v7
.LBB238_63:
	s_or_b64 exec, exec, s[4:5]
	v_or_b32_e32 v7, 0xe00, v0
	v_cmp_gt_i32_e64 s[2:3], s8, v7
	s_and_saveexec_b64 s[4:5], s[2:3]
	s_cbranch_execz .LBB238_65
; %bb.64:
	s_movk_i32 s2, 0xff00
	v_lshlrev_b16_e32 v8, 8, v6
	v_lshlrev_b32_e32 v6, 25, v6
	v_and_b32_sdwa v7, v1, s2 dst_sel:DWORD dst_unused:UNUSED_PAD src0_sel:WORD_1 src1_sel:DWORD
	v_lshrrev_b32_e32 v9, 4, v6
	s_movk_i32 s2, 0x7f00
	v_or_b32_e32 v9, 0x70000000, v9
	v_and_or_b32 v10, v8, s2, 0.5
	s_brev_b32 s2, 16
	v_add_f32_e32 v10, -0.5, v10
	v_mul_f32_e32 v9, 0x7800000, v9
	v_cmp_gt_u32_e64 s[2:3], s2, v6
	v_cndmask_b32_e64 v6, v9, v10, s[2:3]
	v_bfe_i32 v8, v8, 0, 16
	s_brev_b32 s2, 1
	v_and_or_b32 v6, v8, s2, v6
	v_cmp_eq_f32_e64 s[2:3], v19, v6
	v_cndmask_b32_e64 v8, 0, 1, s[2:3]
	v_cmp_neq_f32_e64 s[2:3], v19, v6
	v_cndmask_b32_e64 v6, 0, 1, s[2:3]
	v_cndmask_b32_e64 v6, v6, v8, s[0:1]
	v_and_b32_e32 v6, 1, v6
	v_or_b32_sdwa v6, v6, v7 dst_sel:WORD_1 dst_unused:UNUSED_PAD src0_sel:DWORD src1_sel:DWORD
	s_mov_b32 s2, 0xffff
	v_and_or_b32 v1, v1, s2, v6
.LBB238_65:
	s_or_b64 exec, exec, s[4:5]
	v_or_b32_e32 v6, 0xf00, v0
	v_cmp_gt_i32_e64 s[2:3], s8, v6
	s_and_saveexec_b64 s[4:5], s[2:3]
	s_cbranch_execnz .LBB238_84
; %bb.66:
	s_or_b64 exec, exec, s[4:5]
	s_and_saveexec_b64 s[0:1], vcc
	s_xor_b64 s[0:1], exec, s[0:1]
	s_cbranch_execnz .LBB238_85
.LBB238_67:
	s_or_b64 exec, exec, s[0:1]
	v_cmp_gt_i32_e32 vcc, s8, v0
	s_and_saveexec_b64 s[0:1], vcc
	s_cbranch_execnz .LBB238_86
.LBB238_68:
	s_or_b64 exec, exec, s[0:1]
	v_cmp_gt_i32_e32 vcc, s8, v0
	s_and_saveexec_b64 s[0:1], vcc
	s_cbranch_execnz .LBB238_87
.LBB238_69:
	s_or_b64 exec, exec, s[0:1]
	v_cmp_gt_i32_e32 vcc, s8, v0
	s_and_saveexec_b64 s[0:1], vcc
	s_cbranch_execnz .LBB238_88
.LBB238_70:
	s_or_b64 exec, exec, s[0:1]
	v_cmp_gt_i32_e32 vcc, s8, v0
	s_and_saveexec_b64 s[0:1], vcc
	s_cbranch_execnz .LBB238_89
.LBB238_71:
	s_or_b64 exec, exec, s[0:1]
	v_cmp_gt_i32_e32 vcc, s8, v0
	s_and_saveexec_b64 s[0:1], vcc
	s_cbranch_execnz .LBB238_90
.LBB238_72:
	s_or_b64 exec, exec, s[0:1]
	v_cmp_gt_i32_e32 vcc, s8, v0
	s_and_saveexec_b64 s[0:1], vcc
	s_cbranch_execnz .LBB238_91
.LBB238_73:
	s_or_b64 exec, exec, s[0:1]
	v_cmp_gt_i32_e32 vcc, s8, v0
	s_and_saveexec_b64 s[0:1], vcc
	s_cbranch_execnz .LBB238_92
.LBB238_74:
	s_or_b64 exec, exec, s[0:1]
	v_cmp_gt_i32_e32 vcc, s8, v0
	s_and_saveexec_b64 s[0:1], vcc
	s_cbranch_execnz .LBB238_93
.LBB238_75:
	s_or_b64 exec, exec, s[0:1]
	v_cmp_gt_i32_e32 vcc, s8, v0
	s_and_saveexec_b64 s[0:1], vcc
	s_cbranch_execnz .LBB238_94
.LBB238_76:
	s_or_b64 exec, exec, s[0:1]
	v_cmp_gt_i32_e32 vcc, s8, v0
	s_and_saveexec_b64 s[0:1], vcc
	s_cbranch_execnz .LBB238_95
.LBB238_77:
	s_or_b64 exec, exec, s[0:1]
	v_cmp_gt_i32_e32 vcc, s8, v0
	s_and_saveexec_b64 s[0:1], vcc
	s_cbranch_execnz .LBB238_96
.LBB238_78:
	s_or_b64 exec, exec, s[0:1]
	v_cmp_gt_i32_e32 vcc, s8, v0
	s_and_saveexec_b64 s[0:1], vcc
	s_cbranch_execnz .LBB238_97
.LBB238_79:
	s_or_b64 exec, exec, s[0:1]
	v_cmp_gt_i32_e32 vcc, s8, v0
	s_and_saveexec_b64 s[0:1], vcc
	s_cbranch_execnz .LBB238_98
.LBB238_80:
	s_or_b64 exec, exec, s[0:1]
	v_cmp_gt_i32_e32 vcc, s8, v0
	s_and_saveexec_b64 s[0:1], vcc
	s_cbranch_execnz .LBB238_99
.LBB238_81:
	s_or_b64 exec, exec, s[0:1]
	v_cmp_gt_i32_e32 vcc, s8, v0
	s_and_saveexec_b64 s[0:1], vcc
	s_cbranch_execz .LBB238_83
.LBB238_82:
	v_lshrrev_b32_e32 v1, 24, v1
	v_add_u32_e32 v0, s11, v0
	global_store_byte v0, v1, s[12:13]
.LBB238_83:
	s_endpgm
.LBB238_84:
	s_movk_i32 s2, 0xff
	v_lshlrev_b16_e32 v7, 8, v5
	v_lshlrev_b32_e32 v5, 25, v5
	v_and_b32_sdwa v6, v1, s2 dst_sel:DWORD dst_unused:UNUSED_PAD src0_sel:WORD_1 src1_sel:DWORD
	v_lshrrev_b32_e32 v8, 4, v5
	s_movk_i32 s2, 0x7f00
	v_or_b32_e32 v8, 0x70000000, v8
	v_and_or_b32 v9, v7, s2, 0.5
	s_brev_b32 s2, 16
	v_add_f32_e32 v9, -0.5, v9
	v_mul_f32_e32 v8, 0x7800000, v8
	v_cmp_gt_u32_e64 s[2:3], s2, v5
	v_cndmask_b32_e64 v5, v8, v9, s[2:3]
	v_bfe_i32 v7, v7, 0, 16
	s_brev_b32 s2, 1
	v_and_or_b32 v5, v7, s2, v5
	v_cmp_eq_f32_e64 s[2:3], v19, v5
	v_cndmask_b32_e64 v7, 0, 1, s[2:3]
	v_cmp_neq_f32_e64 s[2:3], v19, v5
	v_cndmask_b32_e64 v5, 0, 1, s[2:3]
	v_cndmask_b32_e64 v5, v5, v7, s[0:1]
	v_mov_b32_e32 v7, 1
	v_and_b32_sdwa v5, v5, v7 dst_sel:BYTE_1 dst_unused:UNUSED_PAD src0_sel:DWORD src1_sel:DWORD
	v_or_b32_sdwa v5, v6, v5 dst_sel:WORD_1 dst_unused:UNUSED_PAD src0_sel:DWORD src1_sel:DWORD
	s_mov_b32 s0, 0xffff
	v_and_or_b32 v1, v1, s0, v5
	s_or_b64 exec, exec, s[4:5]
	s_and_saveexec_b64 s[0:1], vcc
	s_xor_b64 s[0:1], exec, s[0:1]
	s_cbranch_execz .LBB238_67
.LBB238_85:
	v_mov_b32_e32 v0, v21
	global_store_byte v4, v3, s[12:13]
	s_or_b64 exec, exec, s[0:1]
	v_cmp_gt_i32_e32 vcc, s8, v0
	s_and_saveexec_b64 s[0:1], vcc
	s_cbranch_execz .LBB238_68
.LBB238_86:
	v_lshrrev_b32_e32 v4, 8, v3
	v_add_u32_e32 v5, s11, v0
	v_add_u32_e32 v0, 0x100, v0
	global_store_byte v5, v4, s[12:13]
	s_or_b64 exec, exec, s[0:1]
	v_cmp_gt_i32_e32 vcc, s8, v0
	s_and_saveexec_b64 s[0:1], vcc
	s_cbranch_execz .LBB238_69
.LBB238_87:
	v_add_u32_e32 v4, s11, v0
	v_add_u32_e32 v0, 0x100, v0
	global_store_byte_d16_hi v4, v3, s[12:13]
	s_or_b64 exec, exec, s[0:1]
	v_cmp_gt_i32_e32 vcc, s8, v0
	s_and_saveexec_b64 s[0:1], vcc
	s_cbranch_execz .LBB238_70
.LBB238_88:
	v_lshrrev_b32_e32 v3, 24, v3
	v_add_u32_e32 v4, s11, v0
	v_add_u32_e32 v0, 0x100, v0
	global_store_byte v4, v3, s[12:13]
	s_or_b64 exec, exec, s[0:1]
	v_cmp_gt_i32_e32 vcc, s8, v0
	s_and_saveexec_b64 s[0:1], vcc
	s_cbranch_execz .LBB238_71
.LBB238_89:
	v_add_u32_e32 v3, s11, v0
	v_add_u32_e32 v0, 0x100, v0
	global_store_byte v3, v15, s[12:13]
	s_or_b64 exec, exec, s[0:1]
	v_cmp_gt_i32_e32 vcc, s8, v0
	s_and_saveexec_b64 s[0:1], vcc
	s_cbranch_execz .LBB238_72
.LBB238_90:
	v_lshrrev_b32_e32 v3, 8, v15
	v_add_u32_e32 v4, s11, v0
	v_add_u32_e32 v0, 0x100, v0
	global_store_byte v4, v3, s[12:13]
	s_or_b64 exec, exec, s[0:1]
	v_cmp_gt_i32_e32 vcc, s8, v0
	s_and_saveexec_b64 s[0:1], vcc
	s_cbranch_execz .LBB238_73
.LBB238_91:
	v_add_u32_e32 v3, s11, v0
	v_add_u32_e32 v0, 0x100, v0
	global_store_byte_d16_hi v3, v15, s[12:13]
	s_or_b64 exec, exec, s[0:1]
	v_cmp_gt_i32_e32 vcc, s8, v0
	s_and_saveexec_b64 s[0:1], vcc
	s_cbranch_execz .LBB238_74
.LBB238_92:
	v_lshrrev_b32_e32 v3, 24, v15
	v_add_u32_e32 v4, s11, v0
	v_add_u32_e32 v0, 0x100, v0
	global_store_byte v4, v3, s[12:13]
	s_or_b64 exec, exec, s[0:1]
	v_cmp_gt_i32_e32 vcc, s8, v0
	s_and_saveexec_b64 s[0:1], vcc
	s_cbranch_execz .LBB238_75
.LBB238_93:
	v_add_u32_e32 v3, s11, v0
	v_add_u32_e32 v0, 0x100, v0
	global_store_byte v3, v2, s[12:13]
	s_or_b64 exec, exec, s[0:1]
	v_cmp_gt_i32_e32 vcc, s8, v0
	s_and_saveexec_b64 s[0:1], vcc
	s_cbranch_execz .LBB238_76
.LBB238_94:
	v_lshrrev_b32_e32 v3, 8, v2
	v_add_u32_e32 v4, s11, v0
	v_add_u32_e32 v0, 0x100, v0
	global_store_byte v4, v3, s[12:13]
	s_or_b64 exec, exec, s[0:1]
	v_cmp_gt_i32_e32 vcc, s8, v0
	s_and_saveexec_b64 s[0:1], vcc
	s_cbranch_execz .LBB238_77
.LBB238_95:
	v_add_u32_e32 v3, s11, v0
	v_add_u32_e32 v0, 0x100, v0
	global_store_byte_d16_hi v3, v2, s[12:13]
	s_or_b64 exec, exec, s[0:1]
	v_cmp_gt_i32_e32 vcc, s8, v0
	s_and_saveexec_b64 s[0:1], vcc
	s_cbranch_execz .LBB238_78
.LBB238_96:
	v_lshrrev_b32_e32 v2, 24, v2
	v_add_u32_e32 v3, s11, v0
	v_add_u32_e32 v0, 0x100, v0
	global_store_byte v3, v2, s[12:13]
	s_or_b64 exec, exec, s[0:1]
	v_cmp_gt_i32_e32 vcc, s8, v0
	s_and_saveexec_b64 s[0:1], vcc
	s_cbranch_execz .LBB238_79
.LBB238_97:
	v_add_u32_e32 v2, s11, v0
	v_add_u32_e32 v0, 0x100, v0
	global_store_byte v2, v1, s[12:13]
	s_or_b64 exec, exec, s[0:1]
	v_cmp_gt_i32_e32 vcc, s8, v0
	s_and_saveexec_b64 s[0:1], vcc
	s_cbranch_execz .LBB238_80
.LBB238_98:
	v_lshrrev_b32_e32 v2, 8, v1
	v_add_u32_e32 v3, s11, v0
	v_add_u32_e32 v0, 0x100, v0
	global_store_byte v3, v2, s[12:13]
	s_or_b64 exec, exec, s[0:1]
	v_cmp_gt_i32_e32 vcc, s8, v0
	s_and_saveexec_b64 s[0:1], vcc
	s_cbranch_execz .LBB238_81
.LBB238_99:
	v_add_u32_e32 v2, s11, v0
	v_add_u32_e32 v0, 0x100, v0
	global_store_byte_d16_hi v2, v1, s[12:13]
	s_or_b64 exec, exec, s[0:1]
	v_cmp_gt_i32_e32 vcc, s8, v0
	s_and_saveexec_b64 s[0:1], vcc
	s_cbranch_execnz .LBB238_82
	s_branch .LBB238_83
	.section	.rodata,"a",@progbits
	.p2align	6, 0x0
	.amdhsa_kernel _ZN2at6native29vectorized_elementwise_kernelILi2ENS0_13AUnaryFunctorIN3c1011Float8_e5m2ES4_bNS0_12_GLOBAL__N_116CompareEqFunctorIS4_EEEESt5arrayIPcLm2EEEEviT0_T1_
		.amdhsa_group_segment_fixed_size 0
		.amdhsa_private_segment_fixed_size 0
		.amdhsa_kernarg_size 32
		.amdhsa_user_sgpr_count 6
		.amdhsa_user_sgpr_private_segment_buffer 1
		.amdhsa_user_sgpr_dispatch_ptr 0
		.amdhsa_user_sgpr_queue_ptr 0
		.amdhsa_user_sgpr_kernarg_segment_ptr 1
		.amdhsa_user_sgpr_dispatch_id 0
		.amdhsa_user_sgpr_flat_scratch_init 0
		.amdhsa_user_sgpr_private_segment_size 0
		.amdhsa_uses_dynamic_stack 0
		.amdhsa_system_sgpr_private_segment_wavefront_offset 0
		.amdhsa_system_sgpr_workgroup_id_x 1
		.amdhsa_system_sgpr_workgroup_id_y 0
		.amdhsa_system_sgpr_workgroup_id_z 0
		.amdhsa_system_sgpr_workgroup_info 0
		.amdhsa_system_vgpr_workitem_id 0
		.amdhsa_next_free_vgpr 26
		.amdhsa_next_free_sgpr 42
		.amdhsa_reserve_vcc 1
		.amdhsa_reserve_flat_scratch 0
		.amdhsa_float_round_mode_32 0
		.amdhsa_float_round_mode_16_64 0
		.amdhsa_float_denorm_mode_32 3
		.amdhsa_float_denorm_mode_16_64 3
		.amdhsa_dx10_clamp 1
		.amdhsa_ieee_mode 1
		.amdhsa_fp16_overflow 0
		.amdhsa_exception_fp_ieee_invalid_op 0
		.amdhsa_exception_fp_denorm_src 0
		.amdhsa_exception_fp_ieee_div_zero 0
		.amdhsa_exception_fp_ieee_overflow 0
		.amdhsa_exception_fp_ieee_underflow 0
		.amdhsa_exception_fp_ieee_inexact 0
		.amdhsa_exception_int_div_zero 0
	.end_amdhsa_kernel
	.section	.text._ZN2at6native29vectorized_elementwise_kernelILi2ENS0_13AUnaryFunctorIN3c1011Float8_e5m2ES4_bNS0_12_GLOBAL__N_116CompareEqFunctorIS4_EEEESt5arrayIPcLm2EEEEviT0_T1_,"axG",@progbits,_ZN2at6native29vectorized_elementwise_kernelILi2ENS0_13AUnaryFunctorIN3c1011Float8_e5m2ES4_bNS0_12_GLOBAL__N_116CompareEqFunctorIS4_EEEESt5arrayIPcLm2EEEEviT0_T1_,comdat
.Lfunc_end238:
	.size	_ZN2at6native29vectorized_elementwise_kernelILi2ENS0_13AUnaryFunctorIN3c1011Float8_e5m2ES4_bNS0_12_GLOBAL__N_116CompareEqFunctorIS4_EEEESt5arrayIPcLm2EEEEviT0_T1_, .Lfunc_end238-_ZN2at6native29vectorized_elementwise_kernelILi2ENS0_13AUnaryFunctorIN3c1011Float8_e5m2ES4_bNS0_12_GLOBAL__N_116CompareEqFunctorIS4_EEEESt5arrayIPcLm2EEEEviT0_T1_
                                        ; -- End function
	.set _ZN2at6native29vectorized_elementwise_kernelILi2ENS0_13AUnaryFunctorIN3c1011Float8_e5m2ES4_bNS0_12_GLOBAL__N_116CompareEqFunctorIS4_EEEESt5arrayIPcLm2EEEEviT0_T1_.num_vgpr, 26
	.set _ZN2at6native29vectorized_elementwise_kernelILi2ENS0_13AUnaryFunctorIN3c1011Float8_e5m2ES4_bNS0_12_GLOBAL__N_116CompareEqFunctorIS4_EEEESt5arrayIPcLm2EEEEviT0_T1_.num_agpr, 0
	.set _ZN2at6native29vectorized_elementwise_kernelILi2ENS0_13AUnaryFunctorIN3c1011Float8_e5m2ES4_bNS0_12_GLOBAL__N_116CompareEqFunctorIS4_EEEESt5arrayIPcLm2EEEEviT0_T1_.numbered_sgpr, 42
	.set _ZN2at6native29vectorized_elementwise_kernelILi2ENS0_13AUnaryFunctorIN3c1011Float8_e5m2ES4_bNS0_12_GLOBAL__N_116CompareEqFunctorIS4_EEEESt5arrayIPcLm2EEEEviT0_T1_.num_named_barrier, 0
	.set _ZN2at6native29vectorized_elementwise_kernelILi2ENS0_13AUnaryFunctorIN3c1011Float8_e5m2ES4_bNS0_12_GLOBAL__N_116CompareEqFunctorIS4_EEEESt5arrayIPcLm2EEEEviT0_T1_.private_seg_size, 0
	.set _ZN2at6native29vectorized_elementwise_kernelILi2ENS0_13AUnaryFunctorIN3c1011Float8_e5m2ES4_bNS0_12_GLOBAL__N_116CompareEqFunctorIS4_EEEESt5arrayIPcLm2EEEEviT0_T1_.uses_vcc, 1
	.set _ZN2at6native29vectorized_elementwise_kernelILi2ENS0_13AUnaryFunctorIN3c1011Float8_e5m2ES4_bNS0_12_GLOBAL__N_116CompareEqFunctorIS4_EEEESt5arrayIPcLm2EEEEviT0_T1_.uses_flat_scratch, 0
	.set _ZN2at6native29vectorized_elementwise_kernelILi2ENS0_13AUnaryFunctorIN3c1011Float8_e5m2ES4_bNS0_12_GLOBAL__N_116CompareEqFunctorIS4_EEEESt5arrayIPcLm2EEEEviT0_T1_.has_dyn_sized_stack, 0
	.set _ZN2at6native29vectorized_elementwise_kernelILi2ENS0_13AUnaryFunctorIN3c1011Float8_e5m2ES4_bNS0_12_GLOBAL__N_116CompareEqFunctorIS4_EEEESt5arrayIPcLm2EEEEviT0_T1_.has_recursion, 0
	.set _ZN2at6native29vectorized_elementwise_kernelILi2ENS0_13AUnaryFunctorIN3c1011Float8_e5m2ES4_bNS0_12_GLOBAL__N_116CompareEqFunctorIS4_EEEESt5arrayIPcLm2EEEEviT0_T1_.has_indirect_call, 0
	.section	.AMDGPU.csdata,"",@progbits
; Kernel info:
; codeLenInByte = 7428
; TotalNumSgprs: 46
; NumVgprs: 26
; ScratchSize: 0
; MemoryBound: 0
; FloatMode: 240
; IeeeMode: 1
; LDSByteSize: 0 bytes/workgroup (compile time only)
; SGPRBlocks: 5
; VGPRBlocks: 6
; NumSGPRsForWavesPerEU: 46
; NumVGPRsForWavesPerEU: 26
; Occupancy: 9
; WaveLimiterHint : 1
; COMPUTE_PGM_RSRC2:SCRATCH_EN: 0
; COMPUTE_PGM_RSRC2:USER_SGPR: 6
; COMPUTE_PGM_RSRC2:TRAP_HANDLER: 0
; COMPUTE_PGM_RSRC2:TGID_X_EN: 1
; COMPUTE_PGM_RSRC2:TGID_Y_EN: 0
; COMPUTE_PGM_RSRC2:TGID_Z_EN: 0
; COMPUTE_PGM_RSRC2:TIDIG_COMP_CNT: 0
	.section	.text._ZN2at6native27unrolled_elementwise_kernelINS0_13AUnaryFunctorIN3c1011Float8_e5m2ES4_bNS0_12_GLOBAL__N_116CompareEqFunctorIS4_EEEESt5arrayIPcLm2EELi4E23TrivialOffsetCalculatorILi1EjESD_NS0_6memory15LoadWithoutCastENSE_16StoreWithoutCastEEEviT_T0_T2_T3_T4_T5_,"axG",@progbits,_ZN2at6native27unrolled_elementwise_kernelINS0_13AUnaryFunctorIN3c1011Float8_e5m2ES4_bNS0_12_GLOBAL__N_116CompareEqFunctorIS4_EEEESt5arrayIPcLm2EELi4E23TrivialOffsetCalculatorILi1EjESD_NS0_6memory15LoadWithoutCastENSE_16StoreWithoutCastEEEviT_T0_T2_T3_T4_T5_,comdat
	.globl	_ZN2at6native27unrolled_elementwise_kernelINS0_13AUnaryFunctorIN3c1011Float8_e5m2ES4_bNS0_12_GLOBAL__N_116CompareEqFunctorIS4_EEEESt5arrayIPcLm2EELi4E23TrivialOffsetCalculatorILi1EjESD_NS0_6memory15LoadWithoutCastENSE_16StoreWithoutCastEEEviT_T0_T2_T3_T4_T5_ ; -- Begin function _ZN2at6native27unrolled_elementwise_kernelINS0_13AUnaryFunctorIN3c1011Float8_e5m2ES4_bNS0_12_GLOBAL__N_116CompareEqFunctorIS4_EEEESt5arrayIPcLm2EELi4E23TrivialOffsetCalculatorILi1EjESD_NS0_6memory15LoadWithoutCastENSE_16StoreWithoutCastEEEviT_T0_T2_T3_T4_T5_
	.p2align	8
	.type	_ZN2at6native27unrolled_elementwise_kernelINS0_13AUnaryFunctorIN3c1011Float8_e5m2ES4_bNS0_12_GLOBAL__N_116CompareEqFunctorIS4_EEEESt5arrayIPcLm2EELi4E23TrivialOffsetCalculatorILi1EjESD_NS0_6memory15LoadWithoutCastENSE_16StoreWithoutCastEEEviT_T0_T2_T3_T4_T5_,@function
_ZN2at6native27unrolled_elementwise_kernelINS0_13AUnaryFunctorIN3c1011Float8_e5m2ES4_bNS0_12_GLOBAL__N_116CompareEqFunctorIS4_EEEESt5arrayIPcLm2EELi4E23TrivialOffsetCalculatorILi1EjESD_NS0_6memory15LoadWithoutCastENSE_16StoreWithoutCastEEEviT_T0_T2_T3_T4_T5_: ; @_ZN2at6native27unrolled_elementwise_kernelINS0_13AUnaryFunctorIN3c1011Float8_e5m2ES4_bNS0_12_GLOBAL__N_116CompareEqFunctorIS4_EEEESt5arrayIPcLm2EELi4E23TrivialOffsetCalculatorILi1EjESD_NS0_6memory15LoadWithoutCastENSE_16StoreWithoutCastEEEviT_T0_T2_T3_T4_T5_
; %bb.0:
	s_load_dwordx8 s[8:15], s[4:5], 0x0
	s_waitcnt lgkmcnt(0)
	s_lshl_b32 s11, s6, 10
	v_mov_b32_e32 v1, 0
	v_or_b32_e32 v2, s11, v0
	v_mov_b32_e32 v3, 0
	s_sub_i32 s8, s8, s11
	v_cmp_gt_i32_e32 vcc, s8, v0
	v_mov_b32_e32 v4, 0
	v_mov_b32_e32 v6, 0
	;; [unrolled: 1-line block ×3, first 2 shown]
	s_and_saveexec_b64 s[2:3], vcc
	s_cbranch_execz .LBB239_8
; %bb.1:
	global_load_ubyte v7, v2, s[14:15]
	v_or_b32_e32 v5, 0x100, v0
	v_cmp_gt_u32_e64 s[0:1], s8, v5
	v_mov_b32_e32 v6, 0
	v_mov_b32_e32 v4, 0
	v_mov_b32_e32 v3, 0
	s_and_saveexec_b64 s[4:5], s[0:1]
	s_cbranch_execz .LBB239_7
; %bb.2:
	v_add_u32_e32 v3, s11, v5
	global_load_ubyte v6, v3, s[14:15]
	v_or_b32_e32 v5, 0x200, v0
	v_cmp_gt_u32_e64 s[0:1], s8, v5
	v_mov_b32_e32 v4, 0
	v_mov_b32_e32 v3, 0
	s_and_saveexec_b64 s[6:7], s[0:1]
	s_cbranch_execz .LBB239_6
; %bb.3:
	v_add_u32_e32 v3, s11, v5
	global_load_ubyte v4, v3, s[14:15]
	v_or_b32_e32 v5, 0x300, v0
	v_cmp_gt_u32_e64 s[0:1], s8, v5
	v_mov_b32_e32 v3, 0
	s_and_saveexec_b64 s[16:17], s[0:1]
	s_cbranch_execz .LBB239_5
; %bb.4:
	v_add_u32_e32 v3, s11, v5
	global_load_ubyte v3, v3, s[14:15]
.LBB239_5:
	s_or_b64 exec, exec, s[16:17]
.LBB239_6:
	s_or_b64 exec, exec, s[6:7]
.LBB239_7:
	s_or_b64 exec, exec, s[4:5]
.LBB239_8:
	s_or_b64 exec, exec, s[2:3]
	s_cmp_eq_u32 s9, 0
	s_cselect_b64 s[0:1], -1, 0
	s_lshl_b32 s2, s10, 8
	s_lshl_b32 s3, s10, 25
	s_lshr_b32 s4, s3, 4
	s_and_b32 s2, s2, 0x7f00
	s_or_b32 s4, s4, 0x70000000
	s_or_b32 s2, s2, 0.5
	s_cmp_lt_u32 s3, 0x8000000
	v_mov_b32_e32 v8, 0x7800000
	v_add_f32_e64 v5, s2, -0.5
	v_mul_f32_e32 v8, s4, v8
	s_cselect_b64 s[2:3], -1, 0
	v_cndmask_b32_e64 v5, v8, v5, s[2:3]
	s_lshl_b32 s2, s10, 24
	s_and_b32 s2, s2, 0x80000000
	s_movk_i32 s7, 0x7f00
	s_brev_b32 s6, 16
	s_brev_b32 s9, 1
	v_or_b32_e32 v5, s2, v5
	s_and_saveexec_b64 s[4:5], vcc
	s_cbranch_execz .LBB239_10
; %bb.9:
	s_waitcnt vmcnt(0)
	v_lshlrev_b16_e32 v1, 8, v7
	v_lshlrev_b32_e32 v7, 25, v7
	v_lshrrev_b32_e32 v8, 4, v7
	v_or_b32_e32 v8, 0x70000000, v8
	v_and_or_b32 v9, v1, s7, 0.5
	v_add_f32_e32 v9, -0.5, v9
	v_mul_f32_e32 v8, 0x7800000, v8
	v_cmp_gt_u32_e64 s[2:3], s6, v7
	v_cndmask_b32_e64 v7, v8, v9, s[2:3]
	v_bfe_i32 v1, v1, 0, 16
	v_and_or_b32 v1, v1, s9, v7
	v_cmp_eq_f32_e64 s[2:3], v5, v1
	v_cndmask_b32_e64 v7, 0, 1, s[2:3]
	v_cmp_neq_f32_e64 s[2:3], v5, v1
	v_cndmask_b32_e64 v1, 0, 1, s[2:3]
	v_cndmask_b32_e64 v1, v1, v7, s[0:1]
	v_and_b32_e32 v1, 1, v1
.LBB239_10:
	s_or_b64 exec, exec, s[4:5]
	s_waitcnt vmcnt(0)
	v_or_b32_e32 v7, 0x100, v0
	v_cmp_gt_i32_e64 s[2:3], s8, v7
	s_and_saveexec_b64 s[4:5], s[2:3]
	s_cbranch_execz .LBB239_12
; %bb.11:
	v_lshlrev_b16_e32 v8, 8, v6
	v_lshlrev_b32_e32 v6, 25, v6
	v_lshrrev_b32_e32 v9, 4, v6
	s_movk_i32 s2, 0x7f00
	v_or_b32_e32 v9, 0x70000000, v9
	v_and_or_b32 v10, v8, s2, 0.5
	s_brev_b32 s2, 16
	v_add_f32_e32 v10, -0.5, v10
	v_mul_f32_e32 v9, 0x7800000, v9
	v_cmp_gt_u32_e64 s[2:3], s2, v6
	v_cndmask_b32_e64 v6, v9, v10, s[2:3]
	v_bfe_i32 v8, v8, 0, 16
	s_brev_b32 s2, 1
	v_and_or_b32 v6, v8, s2, v6
	v_cmp_eq_f32_e64 s[2:3], v5, v6
	v_cndmask_b32_e64 v8, 0, 1, s[2:3]
	v_cmp_neq_f32_e64 s[2:3], v5, v6
	v_cndmask_b32_e64 v6, 0, 1, s[2:3]
	v_cndmask_b32_e64 v6, v6, v8, s[0:1]
	v_mov_b32_e32 v8, 1
	v_and_b32_sdwa v6, v6, v8 dst_sel:BYTE_1 dst_unused:UNUSED_PAD src0_sel:DWORD src1_sel:DWORD
	v_or_b32_e32 v1, v1, v6
	v_and_b32_e32 v1, 0xffff, v1
.LBB239_12:
	s_or_b64 exec, exec, s[4:5]
	v_or_b32_e32 v6, 0x200, v0
	v_cmp_gt_i32_e64 s[2:3], s8, v6
	s_and_saveexec_b64 s[4:5], s[2:3]
	s_cbranch_execz .LBB239_14
; %bb.13:
	v_lshlrev_b16_e32 v6, 8, v4
	v_lshlrev_b32_e32 v4, 25, v4
	v_lshrrev_b32_e32 v8, 4, v4
	s_movk_i32 s2, 0x7f00
	v_or_b32_e32 v8, 0x70000000, v8
	v_and_or_b32 v9, v6, s2, 0.5
	s_brev_b32 s2, 16
	v_add_f32_e32 v9, -0.5, v9
	v_mul_f32_e32 v8, 0x7800000, v8
	v_cmp_gt_u32_e64 s[2:3], s2, v4
	v_cndmask_b32_e64 v4, v8, v9, s[2:3]
	v_bfe_i32 v6, v6, 0, 16
	s_brev_b32 s2, 1
	v_and_or_b32 v4, v6, s2, v4
	v_cmp_eq_f32_e64 s[2:3], v5, v4
	v_cndmask_b32_e64 v6, 0, 1, s[2:3]
	v_cmp_neq_f32_e64 s[2:3], v5, v4
	v_cndmask_b32_e64 v4, 0, 1, s[2:3]
	v_cndmask_b32_e64 v4, v4, v6, s[0:1]
	v_and_b32_e32 v4, 1, v4
	v_lshl_or_b32 v1, v4, 16, v1
.LBB239_14:
	s_or_b64 exec, exec, s[4:5]
	v_or_b32_e32 v4, 0x300, v0
	v_cmp_gt_i32_e64 s[2:3], s8, v4
	s_and_saveexec_b64 s[4:5], s[2:3]
	s_cbranch_execnz .LBB239_20
; %bb.15:
	s_or_b64 exec, exec, s[4:5]
	s_and_saveexec_b64 s[0:1], vcc
	s_xor_b64 s[0:1], exec, s[0:1]
	s_cbranch_execnz .LBB239_21
.LBB239_16:
	s_or_b64 exec, exec, s[0:1]
	v_cmp_gt_i32_e32 vcc, s8, v0
	s_and_saveexec_b64 s[0:1], vcc
	s_cbranch_execnz .LBB239_22
.LBB239_17:
	s_or_b64 exec, exec, s[0:1]
	v_cmp_gt_i32_e32 vcc, s8, v0
	s_and_saveexec_b64 s[0:1], vcc
	s_cbranch_execnz .LBB239_23
.LBB239_18:
	s_or_b64 exec, exec, s[0:1]
	v_cmp_gt_i32_e32 vcc, s8, v0
	s_and_saveexec_b64 s[0:1], vcc
	s_cbranch_execnz .LBB239_24
.LBB239_19:
	s_endpgm
.LBB239_20:
	v_lshlrev_b16_e32 v4, 8, v3
	v_lshlrev_b32_e32 v3, 25, v3
	v_lshrrev_b32_e32 v6, 4, v3
	s_movk_i32 s2, 0x7f00
	v_or_b32_e32 v6, 0x70000000, v6
	v_and_or_b32 v8, v4, s2, 0.5
	s_brev_b32 s2, 16
	v_add_f32_e32 v8, -0.5, v8
	v_mul_f32_e32 v6, 0x7800000, v6
	v_cmp_gt_u32_e64 s[2:3], s2, v3
	v_cndmask_b32_e64 v3, v6, v8, s[2:3]
	v_bfe_i32 v4, v4, 0, 16
	s_brev_b32 s2, 1
	v_and_or_b32 v3, v4, s2, v3
	v_cmp_eq_f32_e64 s[2:3], v5, v3
	v_cndmask_b32_e64 v4, 0, 1, s[2:3]
	v_cmp_neq_f32_e64 s[2:3], v5, v3
	v_cndmask_b32_e64 v3, 0, 1, s[2:3]
	v_cndmask_b32_e64 v3, v3, v4, s[0:1]
	v_mov_b32_e32 v4, 1
	v_and_b32_sdwa v3, v3, v4 dst_sel:BYTE_1 dst_unused:UNUSED_PAD src0_sel:DWORD src1_sel:DWORD
	v_or_b32_sdwa v3, v1, v3 dst_sel:WORD_1 dst_unused:UNUSED_PAD src0_sel:WORD_1 src1_sel:DWORD
	s_mov_b32 s0, 0xffff
	v_and_or_b32 v1, v1, s0, v3
	s_or_b64 exec, exec, s[4:5]
	s_and_saveexec_b64 s[0:1], vcc
	s_xor_b64 s[0:1], exec, s[0:1]
	s_cbranch_execz .LBB239_16
.LBB239_21:
	v_mov_b32_e32 v0, v7
	global_store_byte v2, v1, s[12:13]
	s_or_b64 exec, exec, s[0:1]
	v_cmp_gt_i32_e32 vcc, s8, v0
	s_and_saveexec_b64 s[0:1], vcc
	s_cbranch_execz .LBB239_17
.LBB239_22:
	v_add_u32_e32 v2, 0x100, v0
	v_add_u32_e32 v0, s11, v0
	v_lshrrev_b32_e32 v3, 8, v1
	global_store_byte v0, v3, s[12:13]
	v_mov_b32_e32 v0, v2
	s_or_b64 exec, exec, s[0:1]
	v_cmp_gt_i32_e32 vcc, s8, v0
	s_and_saveexec_b64 s[0:1], vcc
	s_cbranch_execz .LBB239_18
.LBB239_23:
	v_add_u32_e32 v2, 0x100, v0
	v_add_u32_e32 v0, s11, v0
	global_store_byte_d16_hi v0, v1, s[12:13]
	v_mov_b32_e32 v0, v2
	s_or_b64 exec, exec, s[0:1]
	v_cmp_gt_i32_e32 vcc, s8, v0
	s_and_saveexec_b64 s[0:1], vcc
	s_cbranch_execz .LBB239_19
.LBB239_24:
	v_add_u32_e32 v0, s11, v0
	v_lshrrev_b32_e32 v1, 24, v1
	global_store_byte v0, v1, s[12:13]
	s_endpgm
	.section	.rodata,"a",@progbits
	.p2align	6, 0x0
	.amdhsa_kernel _ZN2at6native27unrolled_elementwise_kernelINS0_13AUnaryFunctorIN3c1011Float8_e5m2ES4_bNS0_12_GLOBAL__N_116CompareEqFunctorIS4_EEEESt5arrayIPcLm2EELi4E23TrivialOffsetCalculatorILi1EjESD_NS0_6memory15LoadWithoutCastENSE_16StoreWithoutCastEEEviT_T0_T2_T3_T4_T5_
		.amdhsa_group_segment_fixed_size 0
		.amdhsa_private_segment_fixed_size 0
		.amdhsa_kernarg_size 36
		.amdhsa_user_sgpr_count 6
		.amdhsa_user_sgpr_private_segment_buffer 1
		.amdhsa_user_sgpr_dispatch_ptr 0
		.amdhsa_user_sgpr_queue_ptr 0
		.amdhsa_user_sgpr_kernarg_segment_ptr 1
		.amdhsa_user_sgpr_dispatch_id 0
		.amdhsa_user_sgpr_flat_scratch_init 0
		.amdhsa_user_sgpr_private_segment_size 0
		.amdhsa_uses_dynamic_stack 0
		.amdhsa_system_sgpr_private_segment_wavefront_offset 0
		.amdhsa_system_sgpr_workgroup_id_x 1
		.amdhsa_system_sgpr_workgroup_id_y 0
		.amdhsa_system_sgpr_workgroup_id_z 0
		.amdhsa_system_sgpr_workgroup_info 0
		.amdhsa_system_vgpr_workitem_id 0
		.amdhsa_next_free_vgpr 11
		.amdhsa_next_free_sgpr 18
		.amdhsa_reserve_vcc 1
		.amdhsa_reserve_flat_scratch 0
		.amdhsa_float_round_mode_32 0
		.amdhsa_float_round_mode_16_64 0
		.amdhsa_float_denorm_mode_32 3
		.amdhsa_float_denorm_mode_16_64 3
		.amdhsa_dx10_clamp 1
		.amdhsa_ieee_mode 1
		.amdhsa_fp16_overflow 0
		.amdhsa_exception_fp_ieee_invalid_op 0
		.amdhsa_exception_fp_denorm_src 0
		.amdhsa_exception_fp_ieee_div_zero 0
		.amdhsa_exception_fp_ieee_overflow 0
		.amdhsa_exception_fp_ieee_underflow 0
		.amdhsa_exception_fp_ieee_inexact 0
		.amdhsa_exception_int_div_zero 0
	.end_amdhsa_kernel
	.section	.text._ZN2at6native27unrolled_elementwise_kernelINS0_13AUnaryFunctorIN3c1011Float8_e5m2ES4_bNS0_12_GLOBAL__N_116CompareEqFunctorIS4_EEEESt5arrayIPcLm2EELi4E23TrivialOffsetCalculatorILi1EjESD_NS0_6memory15LoadWithoutCastENSE_16StoreWithoutCastEEEviT_T0_T2_T3_T4_T5_,"axG",@progbits,_ZN2at6native27unrolled_elementwise_kernelINS0_13AUnaryFunctorIN3c1011Float8_e5m2ES4_bNS0_12_GLOBAL__N_116CompareEqFunctorIS4_EEEESt5arrayIPcLm2EELi4E23TrivialOffsetCalculatorILi1EjESD_NS0_6memory15LoadWithoutCastENSE_16StoreWithoutCastEEEviT_T0_T2_T3_T4_T5_,comdat
.Lfunc_end239:
	.size	_ZN2at6native27unrolled_elementwise_kernelINS0_13AUnaryFunctorIN3c1011Float8_e5m2ES4_bNS0_12_GLOBAL__N_116CompareEqFunctorIS4_EEEESt5arrayIPcLm2EELi4E23TrivialOffsetCalculatorILi1EjESD_NS0_6memory15LoadWithoutCastENSE_16StoreWithoutCastEEEviT_T0_T2_T3_T4_T5_, .Lfunc_end239-_ZN2at6native27unrolled_elementwise_kernelINS0_13AUnaryFunctorIN3c1011Float8_e5m2ES4_bNS0_12_GLOBAL__N_116CompareEqFunctorIS4_EEEESt5arrayIPcLm2EELi4E23TrivialOffsetCalculatorILi1EjESD_NS0_6memory15LoadWithoutCastENSE_16StoreWithoutCastEEEviT_T0_T2_T3_T4_T5_
                                        ; -- End function
	.set _ZN2at6native27unrolled_elementwise_kernelINS0_13AUnaryFunctorIN3c1011Float8_e5m2ES4_bNS0_12_GLOBAL__N_116CompareEqFunctorIS4_EEEESt5arrayIPcLm2EELi4E23TrivialOffsetCalculatorILi1EjESD_NS0_6memory15LoadWithoutCastENSE_16StoreWithoutCastEEEviT_T0_T2_T3_T4_T5_.num_vgpr, 11
	.set _ZN2at6native27unrolled_elementwise_kernelINS0_13AUnaryFunctorIN3c1011Float8_e5m2ES4_bNS0_12_GLOBAL__N_116CompareEqFunctorIS4_EEEESt5arrayIPcLm2EELi4E23TrivialOffsetCalculatorILi1EjESD_NS0_6memory15LoadWithoutCastENSE_16StoreWithoutCastEEEviT_T0_T2_T3_T4_T5_.num_agpr, 0
	.set _ZN2at6native27unrolled_elementwise_kernelINS0_13AUnaryFunctorIN3c1011Float8_e5m2ES4_bNS0_12_GLOBAL__N_116CompareEqFunctorIS4_EEEESt5arrayIPcLm2EELi4E23TrivialOffsetCalculatorILi1EjESD_NS0_6memory15LoadWithoutCastENSE_16StoreWithoutCastEEEviT_T0_T2_T3_T4_T5_.numbered_sgpr, 18
	.set _ZN2at6native27unrolled_elementwise_kernelINS0_13AUnaryFunctorIN3c1011Float8_e5m2ES4_bNS0_12_GLOBAL__N_116CompareEqFunctorIS4_EEEESt5arrayIPcLm2EELi4E23TrivialOffsetCalculatorILi1EjESD_NS0_6memory15LoadWithoutCastENSE_16StoreWithoutCastEEEviT_T0_T2_T3_T4_T5_.num_named_barrier, 0
	.set _ZN2at6native27unrolled_elementwise_kernelINS0_13AUnaryFunctorIN3c1011Float8_e5m2ES4_bNS0_12_GLOBAL__N_116CompareEqFunctorIS4_EEEESt5arrayIPcLm2EELi4E23TrivialOffsetCalculatorILi1EjESD_NS0_6memory15LoadWithoutCastENSE_16StoreWithoutCastEEEviT_T0_T2_T3_T4_T5_.private_seg_size, 0
	.set _ZN2at6native27unrolled_elementwise_kernelINS0_13AUnaryFunctorIN3c1011Float8_e5m2ES4_bNS0_12_GLOBAL__N_116CompareEqFunctorIS4_EEEESt5arrayIPcLm2EELi4E23TrivialOffsetCalculatorILi1EjESD_NS0_6memory15LoadWithoutCastENSE_16StoreWithoutCastEEEviT_T0_T2_T3_T4_T5_.uses_vcc, 1
	.set _ZN2at6native27unrolled_elementwise_kernelINS0_13AUnaryFunctorIN3c1011Float8_e5m2ES4_bNS0_12_GLOBAL__N_116CompareEqFunctorIS4_EEEESt5arrayIPcLm2EELi4E23TrivialOffsetCalculatorILi1EjESD_NS0_6memory15LoadWithoutCastENSE_16StoreWithoutCastEEEviT_T0_T2_T3_T4_T5_.uses_flat_scratch, 0
	.set _ZN2at6native27unrolled_elementwise_kernelINS0_13AUnaryFunctorIN3c1011Float8_e5m2ES4_bNS0_12_GLOBAL__N_116CompareEqFunctorIS4_EEEESt5arrayIPcLm2EELi4E23TrivialOffsetCalculatorILi1EjESD_NS0_6memory15LoadWithoutCastENSE_16StoreWithoutCastEEEviT_T0_T2_T3_T4_T5_.has_dyn_sized_stack, 0
	.set _ZN2at6native27unrolled_elementwise_kernelINS0_13AUnaryFunctorIN3c1011Float8_e5m2ES4_bNS0_12_GLOBAL__N_116CompareEqFunctorIS4_EEEESt5arrayIPcLm2EELi4E23TrivialOffsetCalculatorILi1EjESD_NS0_6memory15LoadWithoutCastENSE_16StoreWithoutCastEEEviT_T0_T2_T3_T4_T5_.has_recursion, 0
	.set _ZN2at6native27unrolled_elementwise_kernelINS0_13AUnaryFunctorIN3c1011Float8_e5m2ES4_bNS0_12_GLOBAL__N_116CompareEqFunctorIS4_EEEESt5arrayIPcLm2EELi4E23TrivialOffsetCalculatorILi1EjESD_NS0_6memory15LoadWithoutCastENSE_16StoreWithoutCastEEEviT_T0_T2_T3_T4_T5_.has_indirect_call, 0
	.section	.AMDGPU.csdata,"",@progbits
; Kernel info:
; codeLenInByte = 1196
; TotalNumSgprs: 22
; NumVgprs: 11
; ScratchSize: 0
; MemoryBound: 0
; FloatMode: 240
; IeeeMode: 1
; LDSByteSize: 0 bytes/workgroup (compile time only)
; SGPRBlocks: 2
; VGPRBlocks: 2
; NumSGPRsForWavesPerEU: 22
; NumVGPRsForWavesPerEU: 11
; Occupancy: 10
; WaveLimiterHint : 0
; COMPUTE_PGM_RSRC2:SCRATCH_EN: 0
; COMPUTE_PGM_RSRC2:USER_SGPR: 6
; COMPUTE_PGM_RSRC2:TRAP_HANDLER: 0
; COMPUTE_PGM_RSRC2:TGID_X_EN: 1
; COMPUTE_PGM_RSRC2:TGID_Y_EN: 0
; COMPUTE_PGM_RSRC2:TGID_Z_EN: 0
; COMPUTE_PGM_RSRC2:TIDIG_COMP_CNT: 0
	.section	.text._ZN2at6native32elementwise_kernel_manual_unrollILi128ELi8EZNS0_22gpu_kernel_impl_nocastINS0_13AUnaryFunctorIN3c1011Float8_e5m2ES5_bNS0_12_GLOBAL__N_116CompareEqFunctorIS5_EEEEEEvRNS_18TensorIteratorBaseERKT_EUlibE_EEviT1_,"axG",@progbits,_ZN2at6native32elementwise_kernel_manual_unrollILi128ELi8EZNS0_22gpu_kernel_impl_nocastINS0_13AUnaryFunctorIN3c1011Float8_e5m2ES5_bNS0_12_GLOBAL__N_116CompareEqFunctorIS5_EEEEEEvRNS_18TensorIteratorBaseERKT_EUlibE_EEviT1_,comdat
	.globl	_ZN2at6native32elementwise_kernel_manual_unrollILi128ELi8EZNS0_22gpu_kernel_impl_nocastINS0_13AUnaryFunctorIN3c1011Float8_e5m2ES5_bNS0_12_GLOBAL__N_116CompareEqFunctorIS5_EEEEEEvRNS_18TensorIteratorBaseERKT_EUlibE_EEviT1_ ; -- Begin function _ZN2at6native32elementwise_kernel_manual_unrollILi128ELi8EZNS0_22gpu_kernel_impl_nocastINS0_13AUnaryFunctorIN3c1011Float8_e5m2ES5_bNS0_12_GLOBAL__N_116CompareEqFunctorIS5_EEEEEEvRNS_18TensorIteratorBaseERKT_EUlibE_EEviT1_
	.p2align	8
	.type	_ZN2at6native32elementwise_kernel_manual_unrollILi128ELi8EZNS0_22gpu_kernel_impl_nocastINS0_13AUnaryFunctorIN3c1011Float8_e5m2ES5_bNS0_12_GLOBAL__N_116CompareEqFunctorIS5_EEEEEEvRNS_18TensorIteratorBaseERKT_EUlibE_EEviT1_,@function
_ZN2at6native32elementwise_kernel_manual_unrollILi128ELi8EZNS0_22gpu_kernel_impl_nocastINS0_13AUnaryFunctorIN3c1011Float8_e5m2ES5_bNS0_12_GLOBAL__N_116CompareEqFunctorIS5_EEEEEEvRNS_18TensorIteratorBaseERKT_EUlibE_EEviT1_: ; @_ZN2at6native32elementwise_kernel_manual_unrollILi128ELi8EZNS0_22gpu_kernel_impl_nocastINS0_13AUnaryFunctorIN3c1011Float8_e5m2ES5_bNS0_12_GLOBAL__N_116CompareEqFunctorIS5_EEEEEEvRNS_18TensorIteratorBaseERKT_EUlibE_EEviT1_
; %bb.0:
	s_load_dword s57, s[4:5], 0x0
	s_load_dword s33, s[4:5], 0x8
	s_add_u32 s34, s4, 8
	s_addc_u32 s35, s5, 0
	v_lshl_or_b32 v19, s6, 10, v0
	v_or_b32_e32 v25, 0x380, v19
	s_waitcnt lgkmcnt(0)
	s_add_i32 s56, s33, -1
	s_cmp_gt_u32 s56, 1
	v_cmp_le_i32_e32 vcc, s57, v25
	s_cselect_b64 s[2:3], -1, 0
	s_and_saveexec_b64 s[0:1], vcc
	s_xor_b64 s[40:41], exec, s[0:1]
	s_cbranch_execz .LBB240_7
; %bb.1:
	s_load_dwordx4 s[24:27], s[34:35], 0x4
	s_load_dwordx2 s[42:43], s[34:35], 0x14
	s_load_dwordx2 s[4:5], s[34:35], 0x158
	s_cmp_lg_u32 s33, 0
	s_cselect_b64 s[48:49], -1, 0
	s_add_u32 s46, s34, 0xc4
	s_addc_u32 s47, s35, 0
	s_min_u32 s58, s56, 15
	s_cmp_gt_u32 s33, 1
	s_cselect_b64 s[44:45], -1, 0
	s_waitcnt lgkmcnt(0)
	s_cmp_eq_u32 s4, 0
	s_cselect_b64 s[0:1], -1, 0
	s_lshl_b32 s4, s5, 8
	s_lshl_b32 s6, s5, 25
	s_lshr_b32 s7, s6, 4
	s_and_b32 s4, s4, 0x7f00
	s_load_dwordx4 s[28:31], s[34:35], 0xc4
	s_load_dwordx4 s[20:23], s[34:35], 0x148
	s_or_b32 s7, s7, 0x70000000
	s_or_b32 s4, s4, 0.5
	s_cmp_lt_u32 s6, 0x8000000
	v_mov_b32_e32 v1, 0x7800000
	v_add_f32_e64 v0, s4, -0.5
	v_mul_f32_e32 v1, s7, v1
	s_cselect_b64 vcc, -1, 0
	s_lshl_b32 s4, s5, 24
	v_cndmask_b32_e32 v0, v1, v0, vcc
	s_and_b32 s4, s4, 0x80000000
	v_or_b32_e32 v4, s4, v0
	v_cmp_gt_i32_e32 vcc, s57, v19
	s_and_saveexec_b64 s[50:51], vcc
	s_cbranch_execz .LBB240_14
; %bb.2:
	s_andn2_b64 vcc, exec, s[2:3]
	s_cbranch_vccnz .LBB240_21
; %bb.3:
	s_andn2_b64 vcc, exec, s[48:49]
	s_cbranch_vccnz .LBB240_129
; %bb.4:
	s_add_i32 s60, s58, 1
	s_cmp_eq_u32 s56, 2
	s_cbranch_scc1 .LBB240_131
; %bb.5:
	s_and_b32 s59, s60, 28
	v_mov_b32_e32 v2, 0
	s_mov_b32 s61, 0
	s_mov_b64 s[52:53], s[34:35]
	s_mov_b64 s[54:55], s[46:47]
	v_mov_b32_e32 v0, 0
	v_mov_b32_e32 v1, v19
.LBB240_6:                              ; =>This Inner Loop Header: Depth=1
	s_load_dwordx8 s[12:19], s[52:53], 0x4
	s_load_dwordx4 s[36:39], s[52:53], 0x24
	s_load_dwordx8 s[4:11], s[54:55], 0x0
	s_add_u32 s52, s52, 48
	s_addc_u32 s53, s53, 0
	s_waitcnt lgkmcnt(0)
	v_mul_hi_u32 v3, s13, v1
	s_add_i32 s61, s61, 4
	s_add_u32 s54, s54, 32
	s_addc_u32 s55, s55, 0
	v_add_u32_e32 v3, v1, v3
	v_lshrrev_b32_e32 v3, s14, v3
	v_mul_lo_u32 v5, v3, s12
	v_mul_hi_u32 v6, s16, v3
	s_cmp_lg_u32 s59, s61
	v_sub_u32_e32 v1, v1, v5
	v_add_u32_e32 v5, v3, v6
	v_mul_lo_u32 v6, v1, s4
	v_mul_lo_u32 v7, v1, s5
	v_lshrrev_b32_e32 v1, s17, v5
	v_mul_lo_u32 v5, v1, s15
	v_mul_hi_u32 v8, s19, v1
	v_sub_u32_e32 v3, v3, v5
	v_add_u32_e32 v5, v1, v8
	v_lshrrev_b32_e32 v5, s36, v5
	v_mul_hi_u32 v9, s38, v5
	v_mul_lo_u32 v10, v5, s18
	v_mul_lo_u32 v8, v3, s6
	;; [unrolled: 1-line block ×3, first 2 shown]
	v_sub_u32_e32 v10, v1, v10
	v_add_u32_e32 v1, v5, v9
	v_lshrrev_b32_e32 v1, s39, v1
	v_mul_lo_u32 v9, v1, s37
	v_mul_lo_u32 v11, v10, s8
	;; [unrolled: 1-line block ×3, first 2 shown]
	v_add3_u32 v0, v6, v0, v8
	v_sub_u32_e32 v5, v5, v9
	v_mul_lo_u32 v9, v5, s10
	v_mul_lo_u32 v5, v5, s11
	v_add3_u32 v2, v7, v2, v3
	v_add3_u32 v0, v11, v0, v9
	;; [unrolled: 1-line block ×3, first 2 shown]
	s_cbranch_scc1 .LBB240_6
	s_branch .LBB240_132
.LBB240_7:
	s_andn2_saveexec_b64 s[0:1], s[40:41]
	s_cbranch_execz .LBB240_221
.LBB240_8:
	v_cndmask_b32_e64 v0, 0, 1, s[2:3]
	v_cmp_ne_u32_e64 s[0:1], 1, v0
	s_andn2_b64 vcc, exec, s[2:3]
	s_cbranch_vccnz .LBB240_20
; %bb.9:
	s_cmp_lg_u32 s33, 0
	s_mov_b32 s26, 0
	s_cbranch_scc0 .LBB240_23
; %bb.10:
	s_min_u32 s27, s56, 15
	s_add_i32 s27, s27, 1
	s_cmp_eq_u32 s56, 2
	s_cbranch_scc1 .LBB240_24
; %bb.11:
	s_and_b32 s26, s27, 28
	s_add_u32 s2, s34, 0xc4
	s_addc_u32 s3, s35, 0
	v_mov_b32_e32 v2, 0
	s_waitcnt lgkmcnt(0)
	s_mov_b32 s28, 0
	s_mov_b64 s[24:25], s[34:35]
	v_mov_b32_e32 v0, 0
	v_mov_b32_e32 v1, v19
.LBB240_12:                             ; =>This Inner Loop Header: Depth=1
	s_load_dwordx8 s[12:19], s[24:25], 0x4
	s_load_dwordx4 s[20:23], s[24:25], 0x24
	s_load_dwordx8 s[4:11], s[2:3], 0x0
	s_add_u32 s24, s24, 48
	s_addc_u32 s25, s25, 0
	s_waitcnt lgkmcnt(0)
	v_mul_hi_u32 v3, s13, v1
	s_add_i32 s28, s28, 4
	s_add_u32 s2, s2, 32
	s_addc_u32 s3, s3, 0
	v_add_u32_e32 v3, v1, v3
	v_lshrrev_b32_e32 v3, s14, v3
	v_mul_lo_u32 v4, v3, s12
	v_mul_hi_u32 v5, s16, v3
	s_cmp_lg_u32 s26, s28
	v_sub_u32_e32 v1, v1, v4
	v_add_u32_e32 v4, v3, v5
	v_mul_lo_u32 v5, v1, s4
	v_mul_lo_u32 v6, v1, s5
	v_lshrrev_b32_e32 v1, s17, v4
	v_mul_lo_u32 v4, v1, s15
	v_mul_hi_u32 v7, s19, v1
	v_sub_u32_e32 v3, v3, v4
	v_add_u32_e32 v4, v1, v7
	v_lshrrev_b32_e32 v4, s20, v4
	v_mul_hi_u32 v8, s22, v4
	v_mul_lo_u32 v9, v4, s18
	v_mul_lo_u32 v7, v3, s6
	;; [unrolled: 1-line block ×3, first 2 shown]
	v_sub_u32_e32 v9, v1, v9
	v_add_u32_e32 v1, v4, v8
	v_lshrrev_b32_e32 v1, s23, v1
	v_mul_lo_u32 v8, v1, s21
	v_mul_lo_u32 v10, v9, s8
	;; [unrolled: 1-line block ×3, first 2 shown]
	v_add3_u32 v0, v5, v0, v7
	v_sub_u32_e32 v4, v4, v8
	v_mul_lo_u32 v8, v4, s10
	v_mul_lo_u32 v4, v4, s11
	v_add3_u32 v2, v6, v2, v3
	v_add3_u32 v0, v10, v0, v8
	;; [unrolled: 1-line block ×3, first 2 shown]
	s_cbranch_scc1 .LBB240_12
; %bb.13:
	s_and_b32 s6, s27, 3
	s_cmp_eq_u32 s6, 0
	s_cbranch_scc0 .LBB240_25
	s_branch .LBB240_27
.LBB240_14:
	s_or_b64 exec, exec, s[50:51]
	v_cmp_gt_i32_e32 vcc, s57, v19
	s_and_saveexec_b64 s[50:51], vcc
	s_cbranch_execz .LBB240_139
.LBB240_15:
	s_andn2_b64 vcc, exec, s[2:3]
	s_cbranch_vccnz .LBB240_22
; %bb.16:
	s_andn2_b64 vcc, exec, s[48:49]
	s_cbranch_vccnz .LBB240_130
; %bb.17:
	s_add_i32 s60, s58, 1
	s_cmp_eq_u32 s56, 2
	s_cbranch_scc1 .LBB240_147
; %bb.18:
	s_and_b32 s59, s60, 28
	v_mov_b32_e32 v2, 0
	s_mov_b32 s61, 0
	s_mov_b64 s[52:53], s[34:35]
	s_mov_b64 s[54:55], s[46:47]
	v_mov_b32_e32 v0, 0
	v_mov_b32_e32 v1, v19
.LBB240_19:                             ; =>This Inner Loop Header: Depth=1
	s_load_dwordx8 s[12:19], s[52:53], 0x4
	s_load_dwordx4 s[36:39], s[52:53], 0x24
	s_load_dwordx8 s[4:11], s[54:55], 0x0
	s_add_u32 s52, s52, 48
	s_addc_u32 s53, s53, 0
	s_waitcnt lgkmcnt(0)
	v_mul_hi_u32 v3, s13, v1
	s_add_i32 s61, s61, 4
	s_add_u32 s54, s54, 32
	s_addc_u32 s55, s55, 0
	v_add_u32_e32 v3, v1, v3
	v_lshrrev_b32_e32 v3, s14, v3
	v_mul_lo_u32 v5, v3, s12
	v_mul_hi_u32 v6, s16, v3
	s_cmp_eq_u32 s59, s61
	v_sub_u32_e32 v1, v1, v5
	v_add_u32_e32 v5, v3, v6
	v_mul_lo_u32 v6, v1, s4
	v_mul_lo_u32 v7, v1, s5
	v_lshrrev_b32_e32 v1, s17, v5
	v_mul_lo_u32 v5, v1, s15
	v_mul_hi_u32 v8, s19, v1
	v_sub_u32_e32 v3, v3, v5
	v_add_u32_e32 v5, v1, v8
	v_lshrrev_b32_e32 v5, s36, v5
	v_mul_hi_u32 v9, s38, v5
	v_mul_lo_u32 v10, v5, s18
	v_mul_lo_u32 v8, v3, s6
	;; [unrolled: 1-line block ×3, first 2 shown]
	v_sub_u32_e32 v10, v1, v10
	v_add_u32_e32 v1, v5, v9
	v_lshrrev_b32_e32 v1, s39, v1
	v_mul_lo_u32 v9, v1, s37
	v_mul_lo_u32 v11, v10, s8
	;; [unrolled: 1-line block ×3, first 2 shown]
	v_add3_u32 v0, v6, v0, v8
	v_sub_u32_e32 v5, v5, v9
	v_mul_lo_u32 v9, v5, s10
	v_mul_lo_u32 v5, v5, s11
	v_add3_u32 v2, v7, v2, v3
	v_add3_u32 v0, v11, v0, v9
	v_add3_u32 v2, v10, v2, v5
	s_cbranch_scc0 .LBB240_19
	s_branch .LBB240_148
.LBB240_20:
                                        ; implicit-def: $vgpr0
                                        ; implicit-def: $vgpr2
	s_branch .LBB240_28
.LBB240_21:
                                        ; implicit-def: $vgpr0
                                        ; implicit-def: $vgpr2
	s_branch .LBB240_136
.LBB240_22:
                                        ; implicit-def: $vgpr0
                                        ; implicit-def: $vgpr2
	s_branch .LBB240_152
.LBB240_23:
	v_mov_b32_e32 v0, 0
	v_mov_b32_e32 v2, 0
	s_branch .LBB240_27
.LBB240_24:
	v_mov_b32_e32 v0, 0
	v_mov_b32_e32 v2, 0
	v_mov_b32_e32 v1, v19
	s_and_b32 s6, s27, 3
	s_cmp_eq_u32 s6, 0
	s_cbranch_scc1 .LBB240_27
.LBB240_25:
	s_lshl_b32 s2, s26, 3
	s_add_u32 s2, s34, s2
	s_addc_u32 s3, s35, 0
	s_add_u32 s2, s2, 0xc4
	s_addc_u32 s3, s3, 0
	s_mul_i32 s4, s26, 12
	s_add_u32 s4, s34, s4
	s_addc_u32 s5, s35, 0
.LBB240_26:                             ; =>This Inner Loop Header: Depth=1
	s_load_dwordx2 s[8:9], s[4:5], 0x4
	s_load_dword s7, s[4:5], 0xc
	s_load_dwordx2 s[10:11], s[2:3], 0x0
	s_add_u32 s4, s4, 12
	s_addc_u32 s5, s5, 0
	s_waitcnt lgkmcnt(0)
	v_mul_hi_u32 v4, s9, v1
	s_add_u32 s2, s2, 8
	s_addc_u32 s3, s3, 0
	s_add_i32 s6, s6, -1
	v_add_u32_e32 v4, v1, v4
	v_lshrrev_b32_e32 v4, s7, v4
	v_mul_lo_u32 v5, v4, s8
	s_cmp_lg_u32 s6, 0
	v_sub_u32_e32 v5, v1, v5
	v_mad_u64_u32 v[0:1], s[8:9], v5, s10, v[0:1]
	v_mad_u64_u32 v[2:3], s[8:9], v5, s11, v[2:3]
	v_mov_b32_e32 v1, v4
	s_cbranch_scc1 .LBB240_26
.LBB240_27:
	s_cbranch_execnz .LBB240_30
.LBB240_28:
	s_load_dwordx4 s[4:7], s[34:35], 0x4
	s_load_dwordx2 s[2:3], s[34:35], 0xc4
	s_cmp_lt_u32 s33, 2
	s_waitcnt lgkmcnt(0)
	v_mul_hi_u32 v0, s5, v19
	v_add_u32_e32 v0, v19, v0
	v_lshrrev_b32_e32 v1, s6, v0
	v_mul_lo_u32 v0, v1, s4
	v_sub_u32_e32 v2, v19, v0
	v_mul_lo_u32 v0, v2, s2
	v_mul_lo_u32 v2, v2, s3
	s_cbranch_scc1 .LBB240_30
; %bb.29:
	s_load_dwordx4 s[4:7], s[34:35], 0x10
	s_load_dwordx2 s[2:3], s[34:35], 0xcc
	s_waitcnt lgkmcnt(0)
	v_mul_hi_u32 v3, s5, v1
	v_add_u32_e32 v3, v1, v3
	v_lshrrev_b32_e32 v3, s6, v3
	v_mul_lo_u32 v3, v3, s4
	v_sub_u32_e32 v3, v1, v3
	v_mad_u64_u32 v[0:1], s[4:5], v3, s2, v[0:1]
	v_mad_u64_u32 v[2:3], s[2:3], v3, s3, v[2:3]
.LBB240_30:
	s_and_b64 vcc, exec, s[0:1]
	v_add_u32_e32 v1, 0x80, v19
	s_cbranch_vccnz .LBB240_36
; %bb.31:
	s_cmp_lg_u32 s33, 0
	s_mov_b32 s26, 0
	s_cbranch_scc0 .LBB240_37
; %bb.32:
	s_min_u32 s27, s56, 15
	s_add_i32 s27, s27, 1
	s_cmp_eq_u32 s56, 2
	s_cbranch_scc1 .LBB240_38
; %bb.33:
	s_and_b32 s26, s27, 28
	s_add_u32 s2, s34, 0xc4
	s_addc_u32 s3, s35, 0
	v_mov_b32_e32 v5, 0
	s_waitcnt lgkmcnt(0)
	s_mov_b32 s28, 0
	s_mov_b64 s[24:25], s[34:35]
	v_mov_b32_e32 v3, 0
	v_mov_b32_e32 v4, v1
.LBB240_34:                             ; =>This Inner Loop Header: Depth=1
	s_load_dwordx8 s[12:19], s[24:25], 0x4
	s_load_dwordx4 s[20:23], s[24:25], 0x24
	s_load_dwordx8 s[4:11], s[2:3], 0x0
	s_add_u32 s24, s24, 48
	s_addc_u32 s25, s25, 0
	s_waitcnt lgkmcnt(0)
	v_mul_hi_u32 v6, s13, v4
	s_add_i32 s28, s28, 4
	s_add_u32 s2, s2, 32
	s_addc_u32 s3, s3, 0
	v_add_u32_e32 v6, v4, v6
	v_lshrrev_b32_e32 v6, s14, v6
	v_mul_lo_u32 v7, v6, s12
	v_mul_hi_u32 v8, s16, v6
	s_cmp_lg_u32 s26, s28
	v_sub_u32_e32 v4, v4, v7
	v_add_u32_e32 v7, v6, v8
	v_mul_lo_u32 v8, v4, s4
	v_mul_lo_u32 v9, v4, s5
	v_lshrrev_b32_e32 v4, s17, v7
	v_mul_lo_u32 v7, v4, s15
	v_mul_hi_u32 v10, s19, v4
	v_sub_u32_e32 v6, v6, v7
	v_add_u32_e32 v7, v4, v10
	v_lshrrev_b32_e32 v7, s20, v7
	v_mul_hi_u32 v11, s22, v7
	v_mul_lo_u32 v12, v7, s18
	v_mul_lo_u32 v10, v6, s6
	;; [unrolled: 1-line block ×3, first 2 shown]
	v_sub_u32_e32 v12, v4, v12
	v_add_u32_e32 v4, v7, v11
	v_lshrrev_b32_e32 v4, s23, v4
	v_mul_lo_u32 v11, v4, s21
	v_mul_lo_u32 v13, v12, s8
	;; [unrolled: 1-line block ×3, first 2 shown]
	v_add3_u32 v3, v8, v3, v10
	v_sub_u32_e32 v7, v7, v11
	v_mul_lo_u32 v11, v7, s10
	v_mul_lo_u32 v7, v7, s11
	v_add3_u32 v5, v9, v5, v6
	v_add3_u32 v3, v13, v3, v11
	;; [unrolled: 1-line block ×3, first 2 shown]
	s_cbranch_scc1 .LBB240_34
; %bb.35:
	s_and_b32 s6, s27, 3
	s_cmp_eq_u32 s6, 0
	s_cbranch_scc0 .LBB240_39
	s_branch .LBB240_41
.LBB240_36:
                                        ; implicit-def: $vgpr3
                                        ; implicit-def: $vgpr5
	s_branch .LBB240_42
.LBB240_37:
	v_mov_b32_e32 v3, 0
	v_mov_b32_e32 v5, 0
	s_branch .LBB240_41
.LBB240_38:
	v_mov_b32_e32 v3, 0
	v_mov_b32_e32 v5, 0
	;; [unrolled: 1-line block ×3, first 2 shown]
	s_and_b32 s6, s27, 3
	s_cmp_eq_u32 s6, 0
	s_cbranch_scc1 .LBB240_41
.LBB240_39:
	s_lshl_b32 s2, s26, 3
	s_add_u32 s2, s34, s2
	s_addc_u32 s3, s35, 0
	s_add_u32 s2, s2, 0xc4
	s_addc_u32 s3, s3, 0
	s_mul_i32 s4, s26, 12
	s_add_u32 s4, s34, s4
	s_addc_u32 s5, s35, 0
.LBB240_40:                             ; =>This Inner Loop Header: Depth=1
	s_load_dwordx2 s[8:9], s[4:5], 0x4
	s_load_dword s7, s[4:5], 0xc
	s_load_dwordx2 s[10:11], s[2:3], 0x0
	s_add_u32 s4, s4, 12
	s_addc_u32 s5, s5, 0
	s_waitcnt lgkmcnt(0)
	v_mul_hi_u32 v7, s9, v4
	s_add_u32 s2, s2, 8
	s_addc_u32 s3, s3, 0
	s_add_i32 s6, s6, -1
	v_add_u32_e32 v7, v4, v7
	v_lshrrev_b32_e32 v7, s7, v7
	v_mul_lo_u32 v8, v7, s8
	s_cmp_lg_u32 s6, 0
	v_sub_u32_e32 v8, v4, v8
	v_mad_u64_u32 v[3:4], s[8:9], v8, s10, v[3:4]
	v_mad_u64_u32 v[5:6], s[8:9], v8, s11, v[5:6]
	v_mov_b32_e32 v4, v7
	s_cbranch_scc1 .LBB240_40
.LBB240_41:
	s_cbranch_execnz .LBB240_44
.LBB240_42:
	s_load_dwordx4 s[4:7], s[34:35], 0x4
	s_load_dwordx2 s[2:3], s[34:35], 0xc4
	s_cmp_lt_u32 s33, 2
	s_waitcnt lgkmcnt(0)
	v_mul_hi_u32 v3, s5, v1
	v_add_u32_e32 v3, v1, v3
	v_lshrrev_b32_e32 v4, s6, v3
	v_mul_lo_u32 v3, v4, s4
	v_sub_u32_e32 v1, v1, v3
	v_mul_lo_u32 v3, v1, s2
	v_mul_lo_u32 v5, v1, s3
	s_cbranch_scc1 .LBB240_44
; %bb.43:
	s_load_dwordx4 s[4:7], s[34:35], 0x10
	s_load_dwordx2 s[2:3], s[34:35], 0xcc
	s_waitcnt lgkmcnt(0)
	v_mul_hi_u32 v1, s5, v4
	v_add_u32_e32 v1, v4, v1
	v_lshrrev_b32_e32 v1, s6, v1
	v_mul_lo_u32 v1, v1, s4
	v_sub_u32_e32 v1, v4, v1
	v_mad_u64_u32 v[3:4], s[4:5], v1, s2, v[3:4]
	v_mad_u64_u32 v[5:6], s[2:3], v1, s3, v[5:6]
.LBB240_44:
	s_and_b64 vcc, exec, s[0:1]
	v_add_u32_e32 v1, 0x100, v19
	s_cbranch_vccnz .LBB240_50
; %bb.45:
	s_cmp_lg_u32 s33, 0
	s_mov_b32 s26, 0
	s_cbranch_scc0 .LBB240_51
; %bb.46:
	s_min_u32 s27, s56, 15
	s_add_i32 s27, s27, 1
	s_cmp_eq_u32 s56, 2
	s_cbranch_scc1 .LBB240_52
; %bb.47:
	s_and_b32 s26, s27, 28
	s_add_u32 s2, s34, 0xc4
	s_addc_u32 s3, s35, 0
	v_mov_b32_e32 v8, 0
	s_waitcnt lgkmcnt(0)
	s_mov_b32 s28, 0
	s_mov_b64 s[24:25], s[34:35]
	v_mov_b32_e32 v6, 0
	v_mov_b32_e32 v4, v1
.LBB240_48:                             ; =>This Inner Loop Header: Depth=1
	s_load_dwordx8 s[12:19], s[24:25], 0x4
	s_load_dwordx4 s[20:23], s[24:25], 0x24
	s_load_dwordx8 s[4:11], s[2:3], 0x0
	s_add_u32 s24, s24, 48
	s_addc_u32 s25, s25, 0
	s_waitcnt lgkmcnt(0)
	v_mul_hi_u32 v7, s13, v4
	s_add_i32 s28, s28, 4
	s_add_u32 s2, s2, 32
	s_addc_u32 s3, s3, 0
	v_add_u32_e32 v7, v4, v7
	v_lshrrev_b32_e32 v7, s14, v7
	v_mul_lo_u32 v9, v7, s12
	v_mul_hi_u32 v10, s16, v7
	s_cmp_lg_u32 s26, s28
	v_sub_u32_e32 v4, v4, v9
	v_add_u32_e32 v9, v7, v10
	v_mul_lo_u32 v10, v4, s4
	v_mul_lo_u32 v11, v4, s5
	v_lshrrev_b32_e32 v4, s17, v9
	v_mul_lo_u32 v9, v4, s15
	v_mul_hi_u32 v12, s19, v4
	v_sub_u32_e32 v7, v7, v9
	v_add_u32_e32 v9, v4, v12
	v_lshrrev_b32_e32 v9, s20, v9
	v_mul_hi_u32 v13, s22, v9
	v_mul_lo_u32 v14, v9, s18
	v_mul_lo_u32 v12, v7, s6
	;; [unrolled: 1-line block ×3, first 2 shown]
	v_sub_u32_e32 v14, v4, v14
	v_add_u32_e32 v4, v9, v13
	v_lshrrev_b32_e32 v4, s23, v4
	v_mul_lo_u32 v13, v4, s21
	v_mul_lo_u32 v15, v14, s8
	;; [unrolled: 1-line block ×3, first 2 shown]
	v_add3_u32 v6, v10, v6, v12
	v_sub_u32_e32 v9, v9, v13
	v_mul_lo_u32 v13, v9, s10
	v_mul_lo_u32 v9, v9, s11
	v_add3_u32 v7, v11, v8, v7
	v_add3_u32 v6, v15, v6, v13
	v_add3_u32 v8, v14, v7, v9
	s_cbranch_scc1 .LBB240_48
; %bb.49:
	s_and_b32 s6, s27, 3
	s_cmp_eq_u32 s6, 0
	s_cbranch_scc0 .LBB240_53
	s_branch .LBB240_55
.LBB240_50:
                                        ; implicit-def: $vgpr6
                                        ; implicit-def: $vgpr8
	s_branch .LBB240_56
.LBB240_51:
	v_mov_b32_e32 v6, 0
	v_mov_b32_e32 v8, 0
	s_branch .LBB240_55
.LBB240_52:
	v_mov_b32_e32 v6, 0
	v_mov_b32_e32 v8, 0
	;; [unrolled: 1-line block ×3, first 2 shown]
	s_and_b32 s6, s27, 3
	s_cmp_eq_u32 s6, 0
	s_cbranch_scc1 .LBB240_55
.LBB240_53:
	s_lshl_b32 s2, s26, 3
	s_add_u32 s2, s34, s2
	s_addc_u32 s3, s35, 0
	s_add_u32 s2, s2, 0xc4
	s_addc_u32 s3, s3, 0
	s_mul_i32 s4, s26, 12
	s_add_u32 s4, s34, s4
	s_addc_u32 s5, s35, 0
.LBB240_54:                             ; =>This Inner Loop Header: Depth=1
	s_load_dwordx2 s[8:9], s[4:5], 0x4
	s_load_dword s7, s[4:5], 0xc
	s_load_dwordx2 s[10:11], s[2:3], 0x0
	s_add_u32 s4, s4, 12
	s_addc_u32 s5, s5, 0
	s_waitcnt lgkmcnt(0)
	v_mul_hi_u32 v7, s9, v4
	s_add_u32 s2, s2, 8
	s_addc_u32 s3, s3, 0
	s_add_i32 s6, s6, -1
	v_add_u32_e32 v7, v4, v7
	v_lshrrev_b32_e32 v10, s7, v7
	v_mul_lo_u32 v7, v10, s8
	s_cmp_lg_u32 s6, 0
	v_sub_u32_e32 v4, v4, v7
	v_mad_u64_u32 v[6:7], s[8:9], v4, s10, v[6:7]
	v_mad_u64_u32 v[8:9], s[8:9], v4, s11, v[8:9]
	v_mov_b32_e32 v4, v10
	s_cbranch_scc1 .LBB240_54
.LBB240_55:
	s_cbranch_execnz .LBB240_58
.LBB240_56:
	s_load_dwordx4 s[4:7], s[34:35], 0x4
	s_load_dwordx2 s[2:3], s[34:35], 0xc4
	s_cmp_lt_u32 s33, 2
	s_waitcnt lgkmcnt(0)
	v_mul_hi_u32 v4, s5, v1
	v_add_u32_e32 v4, v1, v4
	v_lshrrev_b32_e32 v4, s6, v4
	v_mul_lo_u32 v6, v4, s4
	v_sub_u32_e32 v1, v1, v6
	v_mul_lo_u32 v6, v1, s2
	v_mul_lo_u32 v8, v1, s3
	s_cbranch_scc1 .LBB240_58
; %bb.57:
	s_load_dwordx4 s[4:7], s[34:35], 0x10
	s_load_dwordx2 s[2:3], s[34:35], 0xcc
	s_waitcnt lgkmcnt(0)
	v_mul_hi_u32 v1, s5, v4
	v_add_u32_e32 v1, v4, v1
	v_lshrrev_b32_e32 v1, s6, v1
	v_mul_lo_u32 v1, v1, s4
	v_sub_u32_e32 v1, v4, v1
	v_mad_u64_u32 v[6:7], s[4:5], v1, s2, v[6:7]
	v_mad_u64_u32 v[8:9], s[2:3], v1, s3, v[8:9]
.LBB240_58:
	s_and_b64 vcc, exec, s[0:1]
	v_add_u32_e32 v1, 0x180, v19
	s_cbranch_vccnz .LBB240_64
; %bb.59:
	s_cmp_lg_u32 s33, 0
	s_mov_b32 s26, 0
	s_cbranch_scc0 .LBB240_65
; %bb.60:
	s_min_u32 s27, s56, 15
	s_add_i32 s27, s27, 1
	s_cmp_eq_u32 s56, 2
	s_cbranch_scc1 .LBB240_66
; %bb.61:
	s_and_b32 s26, s27, 28
	s_add_u32 s2, s34, 0xc4
	s_addc_u32 s3, s35, 0
	v_mov_b32_e32 v11, 0
	s_waitcnt lgkmcnt(0)
	s_mov_b32 s28, 0
	s_mov_b64 s[24:25], s[34:35]
	v_mov_b32_e32 v9, 0
	v_mov_b32_e32 v4, v1
.LBB240_62:                             ; =>This Inner Loop Header: Depth=1
	s_load_dwordx8 s[12:19], s[24:25], 0x4
	s_load_dwordx4 s[20:23], s[24:25], 0x24
	s_load_dwordx8 s[4:11], s[2:3], 0x0
	s_add_u32 s24, s24, 48
	s_addc_u32 s25, s25, 0
	s_waitcnt lgkmcnt(0)
	v_mul_hi_u32 v7, s13, v4
	s_add_i32 s28, s28, 4
	s_add_u32 s2, s2, 32
	s_addc_u32 s3, s3, 0
	v_add_u32_e32 v7, v4, v7
	v_lshrrev_b32_e32 v7, s14, v7
	v_mul_lo_u32 v10, v7, s12
	v_mul_hi_u32 v12, s16, v7
	s_cmp_lg_u32 s26, s28
	v_sub_u32_e32 v4, v4, v10
	v_add_u32_e32 v10, v7, v12
	v_mul_lo_u32 v12, v4, s4
	v_mul_lo_u32 v13, v4, s5
	v_lshrrev_b32_e32 v4, s17, v10
	v_mul_lo_u32 v10, v4, s15
	v_mul_hi_u32 v14, s19, v4
	v_sub_u32_e32 v7, v7, v10
	v_add_u32_e32 v10, v4, v14
	v_lshrrev_b32_e32 v10, s20, v10
	v_mul_hi_u32 v15, s22, v10
	v_mul_lo_u32 v16, v10, s18
	v_mul_lo_u32 v14, v7, s6
	;; [unrolled: 1-line block ×3, first 2 shown]
	v_sub_u32_e32 v16, v4, v16
	v_add_u32_e32 v4, v10, v15
	v_lshrrev_b32_e32 v4, s23, v4
	v_mul_lo_u32 v15, v4, s21
	v_mul_lo_u32 v17, v16, s8
	;; [unrolled: 1-line block ×3, first 2 shown]
	v_add3_u32 v9, v12, v9, v14
	v_sub_u32_e32 v10, v10, v15
	v_mul_lo_u32 v15, v10, s10
	v_mul_lo_u32 v10, v10, s11
	v_add3_u32 v7, v13, v11, v7
	v_add3_u32 v9, v17, v9, v15
	;; [unrolled: 1-line block ×3, first 2 shown]
	s_cbranch_scc1 .LBB240_62
; %bb.63:
	s_and_b32 s6, s27, 3
	s_cmp_eq_u32 s6, 0
	s_cbranch_scc0 .LBB240_67
	s_branch .LBB240_69
.LBB240_64:
                                        ; implicit-def: $vgpr9
                                        ; implicit-def: $vgpr11
	s_branch .LBB240_70
.LBB240_65:
	v_mov_b32_e32 v9, 0
	v_mov_b32_e32 v11, 0
	s_branch .LBB240_69
.LBB240_66:
	v_mov_b32_e32 v9, 0
	v_mov_b32_e32 v11, 0
	;; [unrolled: 1-line block ×3, first 2 shown]
	s_and_b32 s6, s27, 3
	s_cmp_eq_u32 s6, 0
	s_cbranch_scc1 .LBB240_69
.LBB240_67:
	s_lshl_b32 s2, s26, 3
	s_add_u32 s2, s34, s2
	s_addc_u32 s3, s35, 0
	s_add_u32 s2, s2, 0xc4
	s_addc_u32 s3, s3, 0
	s_mul_i32 s4, s26, 12
	s_add_u32 s4, s34, s4
	s_addc_u32 s5, s35, 0
.LBB240_68:                             ; =>This Inner Loop Header: Depth=1
	s_load_dwordx2 s[8:9], s[4:5], 0x4
	s_load_dword s7, s[4:5], 0xc
	s_load_dwordx2 s[10:11], s[2:3], 0x0
	s_add_u32 s4, s4, 12
	s_addc_u32 s5, s5, 0
	s_waitcnt lgkmcnt(0)
	v_mul_hi_u32 v7, s9, v4
	s_add_u32 s2, s2, 8
	s_addc_u32 s3, s3, 0
	s_add_i32 s6, s6, -1
	v_add_u32_e32 v7, v4, v7
	v_lshrrev_b32_e32 v7, s7, v7
	v_mul_lo_u32 v10, v7, s8
	s_cmp_lg_u32 s6, 0
	v_sub_u32_e32 v4, v4, v10
	v_mad_u64_u32 v[9:10], s[8:9], v4, s10, v[9:10]
	v_mad_u64_u32 v[11:12], s[8:9], v4, s11, v[11:12]
	v_mov_b32_e32 v4, v7
	s_cbranch_scc1 .LBB240_68
.LBB240_69:
	s_cbranch_execnz .LBB240_72
.LBB240_70:
	s_load_dwordx4 s[4:7], s[34:35], 0x4
	s_load_dwordx2 s[2:3], s[34:35], 0xc4
	s_cmp_lt_u32 s33, 2
	s_waitcnt lgkmcnt(0)
	v_mul_hi_u32 v4, s5, v1
	v_add_u32_e32 v4, v1, v4
	v_lshrrev_b32_e32 v4, s6, v4
	v_mul_lo_u32 v7, v4, s4
	v_sub_u32_e32 v1, v1, v7
	v_mul_lo_u32 v9, v1, s2
	v_mul_lo_u32 v11, v1, s3
	s_cbranch_scc1 .LBB240_72
; %bb.71:
	s_load_dwordx4 s[4:7], s[34:35], 0x10
	s_load_dwordx2 s[2:3], s[34:35], 0xcc
	s_waitcnt lgkmcnt(0)
	v_mul_hi_u32 v1, s5, v4
	v_add_u32_e32 v1, v4, v1
	v_lshrrev_b32_e32 v1, s6, v1
	v_mul_lo_u32 v1, v1, s4
	v_sub_u32_e32 v1, v4, v1
	v_mad_u64_u32 v[9:10], s[4:5], v1, s2, v[9:10]
	v_mad_u64_u32 v[11:12], s[2:3], v1, s3, v[11:12]
.LBB240_72:
	s_and_b64 vcc, exec, s[0:1]
	v_add_u32_e32 v1, 0x200, v19
	s_cbranch_vccnz .LBB240_78
; %bb.73:
	s_cmp_lg_u32 s33, 0
	s_mov_b32 s26, 0
	s_cbranch_scc0 .LBB240_79
; %bb.74:
	s_min_u32 s27, s56, 15
	s_add_i32 s27, s27, 1
	s_cmp_eq_u32 s56, 2
	s_cbranch_scc1 .LBB240_80
; %bb.75:
	s_and_b32 s26, s27, 28
	s_add_u32 s2, s34, 0xc4
	s_addc_u32 s3, s35, 0
	v_mov_b32_e32 v14, 0
	s_waitcnt lgkmcnt(0)
	s_mov_b32 s28, 0
	s_mov_b64 s[24:25], s[34:35]
	v_mov_b32_e32 v12, 0
	v_mov_b32_e32 v4, v1
.LBB240_76:                             ; =>This Inner Loop Header: Depth=1
	s_load_dwordx8 s[12:19], s[24:25], 0x4
	s_load_dwordx4 s[20:23], s[24:25], 0x24
	s_load_dwordx8 s[4:11], s[2:3], 0x0
	s_add_u32 s24, s24, 48
	s_addc_u32 s25, s25, 0
	s_waitcnt lgkmcnt(0)
	v_mul_hi_u32 v7, s13, v4
	s_add_i32 s28, s28, 4
	s_add_u32 s2, s2, 32
	s_addc_u32 s3, s3, 0
	v_add_u32_e32 v7, v4, v7
	v_lshrrev_b32_e32 v7, s14, v7
	v_mul_lo_u32 v10, v7, s12
	v_mul_hi_u32 v13, s16, v7
	s_cmp_lg_u32 s26, s28
	v_sub_u32_e32 v4, v4, v10
	v_add_u32_e32 v10, v7, v13
	v_mul_lo_u32 v13, v4, s4
	v_mul_lo_u32 v15, v4, s5
	v_lshrrev_b32_e32 v4, s17, v10
	v_mul_lo_u32 v10, v4, s15
	v_mul_hi_u32 v16, s19, v4
	v_sub_u32_e32 v7, v7, v10
	v_add_u32_e32 v10, v4, v16
	v_lshrrev_b32_e32 v10, s20, v10
	v_mul_hi_u32 v17, s22, v10
	v_mul_lo_u32 v18, v10, s18
	v_mul_lo_u32 v16, v7, s6
	;; [unrolled: 1-line block ×3, first 2 shown]
	v_sub_u32_e32 v18, v4, v18
	v_add_u32_e32 v4, v10, v17
	v_lshrrev_b32_e32 v4, s23, v4
	v_mul_lo_u32 v17, v4, s21
	v_mul_lo_u32 v20, v18, s8
	;; [unrolled: 1-line block ×3, first 2 shown]
	v_add3_u32 v12, v13, v12, v16
	v_sub_u32_e32 v10, v10, v17
	v_mul_lo_u32 v17, v10, s10
	v_mul_lo_u32 v10, v10, s11
	v_add3_u32 v7, v15, v14, v7
	v_add3_u32 v12, v20, v12, v17
	;; [unrolled: 1-line block ×3, first 2 shown]
	s_cbranch_scc1 .LBB240_76
; %bb.77:
	s_and_b32 s6, s27, 3
	s_cmp_eq_u32 s6, 0
	s_cbranch_scc0 .LBB240_81
	s_branch .LBB240_83
.LBB240_78:
                                        ; implicit-def: $vgpr12
                                        ; implicit-def: $vgpr14
	s_branch .LBB240_84
.LBB240_79:
	v_mov_b32_e32 v12, 0
	v_mov_b32_e32 v14, 0
	s_branch .LBB240_83
.LBB240_80:
	v_mov_b32_e32 v12, 0
	v_mov_b32_e32 v14, 0
	;; [unrolled: 1-line block ×3, first 2 shown]
	s_and_b32 s6, s27, 3
	s_cmp_eq_u32 s6, 0
	s_cbranch_scc1 .LBB240_83
.LBB240_81:
	s_lshl_b32 s2, s26, 3
	s_add_u32 s2, s34, s2
	s_addc_u32 s3, s35, 0
	s_add_u32 s2, s2, 0xc4
	s_addc_u32 s3, s3, 0
	s_mul_i32 s4, s26, 12
	s_add_u32 s4, s34, s4
	s_addc_u32 s5, s35, 0
.LBB240_82:                             ; =>This Inner Loop Header: Depth=1
	s_load_dwordx2 s[8:9], s[4:5], 0x4
	s_load_dword s7, s[4:5], 0xc
	s_load_dwordx2 s[10:11], s[2:3], 0x0
	s_add_u32 s4, s4, 12
	s_addc_u32 s5, s5, 0
	s_waitcnt lgkmcnt(0)
	v_mul_hi_u32 v7, s9, v4
	s_add_u32 s2, s2, 8
	s_addc_u32 s3, s3, 0
	s_add_i32 s6, s6, -1
	v_add_u32_e32 v7, v4, v7
	v_lshrrev_b32_e32 v7, s7, v7
	v_mul_lo_u32 v10, v7, s8
	s_cmp_lg_u32 s6, 0
	v_sub_u32_e32 v4, v4, v10
	v_mad_u64_u32 v[12:13], s[8:9], v4, s10, v[12:13]
	v_mad_u64_u32 v[14:15], s[8:9], v4, s11, v[14:15]
	v_mov_b32_e32 v4, v7
	s_cbranch_scc1 .LBB240_82
.LBB240_83:
	s_cbranch_execnz .LBB240_86
.LBB240_84:
	s_load_dwordx4 s[4:7], s[34:35], 0x4
	s_load_dwordx2 s[2:3], s[34:35], 0xc4
	s_cmp_lt_u32 s33, 2
	s_waitcnt lgkmcnt(0)
	v_mul_hi_u32 v4, s5, v1
	v_add_u32_e32 v4, v1, v4
	v_lshrrev_b32_e32 v4, s6, v4
	v_mul_lo_u32 v7, v4, s4
	v_sub_u32_e32 v1, v1, v7
	v_mul_lo_u32 v12, v1, s2
	v_mul_lo_u32 v14, v1, s3
	s_cbranch_scc1 .LBB240_86
; %bb.85:
	s_load_dwordx4 s[4:7], s[34:35], 0x10
	s_load_dwordx2 s[2:3], s[34:35], 0xcc
	s_waitcnt lgkmcnt(0)
	v_mul_hi_u32 v1, s5, v4
	v_add_u32_e32 v1, v4, v1
	v_lshrrev_b32_e32 v1, s6, v1
	v_mul_lo_u32 v1, v1, s4
	v_sub_u32_e32 v1, v4, v1
	v_mad_u64_u32 v[12:13], s[4:5], v1, s2, v[12:13]
	v_mad_u64_u32 v[14:15], s[2:3], v1, s3, v[14:15]
.LBB240_86:
	s_and_b64 vcc, exec, s[0:1]
	v_add_u32_e32 v1, 0x280, v19
	s_cbranch_vccnz .LBB240_92
; %bb.87:
	s_cmp_lg_u32 s33, 0
	s_mov_b32 s26, 0
	s_cbranch_scc0 .LBB240_93
; %bb.88:
	s_min_u32 s27, s56, 15
	s_add_i32 s27, s27, 1
	s_cmp_eq_u32 s56, 2
	s_cbranch_scc1 .LBB240_94
; %bb.89:
	s_and_b32 s26, s27, 28
	s_add_u32 s2, s34, 0xc4
	s_addc_u32 s3, s35, 0
	v_mov_b32_e32 v17, 0
	s_waitcnt lgkmcnt(0)
	s_mov_b32 s28, 0
	s_mov_b64 s[24:25], s[34:35]
	v_mov_b32_e32 v15, 0
	v_mov_b32_e32 v4, v1
.LBB240_90:                             ; =>This Inner Loop Header: Depth=1
	s_load_dwordx8 s[12:19], s[24:25], 0x4
	s_load_dwordx4 s[20:23], s[24:25], 0x24
	s_load_dwordx8 s[4:11], s[2:3], 0x0
	s_add_u32 s24, s24, 48
	s_addc_u32 s25, s25, 0
	s_waitcnt lgkmcnt(0)
	v_mul_hi_u32 v7, s13, v4
	s_add_i32 s28, s28, 4
	s_add_u32 s2, s2, 32
	s_addc_u32 s3, s3, 0
	v_add_u32_e32 v7, v4, v7
	v_lshrrev_b32_e32 v7, s14, v7
	v_mul_lo_u32 v10, v7, s12
	v_mul_hi_u32 v13, s16, v7
	s_cmp_lg_u32 s26, s28
	v_sub_u32_e32 v4, v4, v10
	v_add_u32_e32 v10, v7, v13
	v_mul_lo_u32 v13, v4, s4
	v_mul_lo_u32 v16, v4, s5
	v_lshrrev_b32_e32 v4, s17, v10
	v_mul_lo_u32 v10, v4, s15
	v_mul_hi_u32 v18, s19, v4
	v_sub_u32_e32 v7, v7, v10
	v_add_u32_e32 v10, v4, v18
	v_lshrrev_b32_e32 v10, s20, v10
	v_mul_hi_u32 v20, s22, v10
	v_mul_lo_u32 v21, v10, s18
	v_mul_lo_u32 v18, v7, s6
	;; [unrolled: 1-line block ×3, first 2 shown]
	v_sub_u32_e32 v21, v4, v21
	v_add_u32_e32 v4, v10, v20
	v_lshrrev_b32_e32 v4, s23, v4
	v_mul_lo_u32 v20, v4, s21
	v_mul_lo_u32 v22, v21, s8
	;; [unrolled: 1-line block ×3, first 2 shown]
	v_add3_u32 v13, v13, v15, v18
	v_sub_u32_e32 v10, v10, v20
	v_mul_lo_u32 v20, v10, s10
	v_mul_lo_u32 v10, v10, s11
	v_add3_u32 v7, v16, v17, v7
	v_add3_u32 v15, v22, v13, v20
	;; [unrolled: 1-line block ×3, first 2 shown]
	s_cbranch_scc1 .LBB240_90
; %bb.91:
	s_and_b32 s6, s27, 3
	s_cmp_eq_u32 s6, 0
	s_cbranch_scc0 .LBB240_95
	s_branch .LBB240_97
.LBB240_92:
                                        ; implicit-def: $vgpr15
                                        ; implicit-def: $vgpr17
	s_branch .LBB240_98
.LBB240_93:
	v_mov_b32_e32 v15, 0
	v_mov_b32_e32 v17, 0
	s_branch .LBB240_97
.LBB240_94:
	v_mov_b32_e32 v15, 0
	v_mov_b32_e32 v17, 0
	;; [unrolled: 1-line block ×3, first 2 shown]
	s_and_b32 s6, s27, 3
	s_cmp_eq_u32 s6, 0
	s_cbranch_scc1 .LBB240_97
.LBB240_95:
	s_lshl_b32 s2, s26, 3
	s_add_u32 s2, s34, s2
	s_addc_u32 s3, s35, 0
	s_add_u32 s2, s2, 0xc4
	s_addc_u32 s3, s3, 0
	s_mul_i32 s4, s26, 12
	s_add_u32 s4, s34, s4
	s_addc_u32 s5, s35, 0
.LBB240_96:                             ; =>This Inner Loop Header: Depth=1
	s_load_dwordx2 s[8:9], s[4:5], 0x4
	s_load_dword s7, s[4:5], 0xc
	s_load_dwordx2 s[10:11], s[2:3], 0x0
	s_add_u32 s4, s4, 12
	s_addc_u32 s5, s5, 0
	s_waitcnt lgkmcnt(0)
	v_mul_hi_u32 v7, s9, v4
	s_add_u32 s2, s2, 8
	s_addc_u32 s3, s3, 0
	s_add_i32 s6, s6, -1
	v_add_u32_e32 v7, v4, v7
	v_lshrrev_b32_e32 v7, s7, v7
	v_mul_lo_u32 v10, v7, s8
	s_cmp_lg_u32 s6, 0
	v_sub_u32_e32 v4, v4, v10
	v_mad_u64_u32 v[15:16], s[8:9], v4, s10, v[15:16]
	v_mad_u64_u32 v[17:18], s[8:9], v4, s11, v[17:18]
	v_mov_b32_e32 v4, v7
	s_cbranch_scc1 .LBB240_96
.LBB240_97:
	s_cbranch_execnz .LBB240_100
.LBB240_98:
	s_load_dwordx4 s[4:7], s[34:35], 0x4
	s_load_dwordx2 s[2:3], s[34:35], 0xc4
	s_cmp_lt_u32 s33, 2
	s_waitcnt lgkmcnt(0)
	v_mul_hi_u32 v4, s5, v1
	v_add_u32_e32 v4, v1, v4
	v_lshrrev_b32_e32 v4, s6, v4
	v_mul_lo_u32 v7, v4, s4
	v_sub_u32_e32 v1, v1, v7
	v_mul_lo_u32 v15, v1, s2
	v_mul_lo_u32 v17, v1, s3
	s_cbranch_scc1 .LBB240_100
; %bb.99:
	s_load_dwordx4 s[4:7], s[34:35], 0x10
	s_load_dwordx2 s[2:3], s[34:35], 0xcc
	s_waitcnt lgkmcnt(0)
	v_mul_hi_u32 v1, s5, v4
	v_add_u32_e32 v1, v4, v1
	v_lshrrev_b32_e32 v1, s6, v1
	v_mul_lo_u32 v1, v1, s4
	v_sub_u32_e32 v1, v4, v1
	v_mad_u64_u32 v[15:16], s[4:5], v1, s2, v[15:16]
	v_mad_u64_u32 v[17:18], s[2:3], v1, s3, v[17:18]
.LBB240_100:
	s_and_b64 vcc, exec, s[0:1]
	v_add_u32_e32 v1, 0x300, v19
	s_cbranch_vccnz .LBB240_106
; %bb.101:
	s_cmp_lg_u32 s33, 0
	s_mov_b32 s26, 0
	s_cbranch_scc0 .LBB240_107
; %bb.102:
	s_min_u32 s27, s56, 15
	s_add_i32 s27, s27, 1
	s_cmp_eq_u32 s56, 2
	s_cbranch_scc1 .LBB240_108
; %bb.103:
	s_and_b32 s26, s27, 28
	s_add_u32 s2, s34, 0xc4
	s_addc_u32 s3, s35, 0
	v_mov_b32_e32 v20, 0
	s_waitcnt lgkmcnt(0)
	s_mov_b32 s28, 0
	s_mov_b64 s[24:25], s[34:35]
	v_mov_b32_e32 v18, 0
	v_mov_b32_e32 v4, v1
.LBB240_104:                            ; =>This Inner Loop Header: Depth=1
	s_load_dwordx8 s[12:19], s[24:25], 0x4
	s_load_dwordx4 s[20:23], s[24:25], 0x24
	s_load_dwordx8 s[4:11], s[2:3], 0x0
	s_add_u32 s24, s24, 48
	s_addc_u32 s25, s25, 0
	s_waitcnt lgkmcnt(0)
	v_mul_hi_u32 v7, s13, v4
	s_add_i32 s28, s28, 4
	s_add_u32 s2, s2, 32
	s_addc_u32 s3, s3, 0
	v_add_u32_e32 v7, v4, v7
	v_lshrrev_b32_e32 v7, s14, v7
	v_mul_lo_u32 v10, v7, s12
	v_mul_hi_u32 v13, s16, v7
	s_cmp_lg_u32 s26, s28
	v_sub_u32_e32 v4, v4, v10
	v_add_u32_e32 v10, v7, v13
	v_mul_lo_u32 v13, v4, s4
	v_mul_lo_u32 v16, v4, s5
	v_lshrrev_b32_e32 v4, s17, v10
	v_mul_lo_u32 v10, v4, s15
	v_mul_hi_u32 v19, s19, v4
	v_sub_u32_e32 v7, v7, v10
	v_add_u32_e32 v10, v4, v19
	v_lshrrev_b32_e32 v10, s20, v10
	v_mul_hi_u32 v21, s22, v10
	v_mul_lo_u32 v22, v10, s18
	v_mul_lo_u32 v19, v7, s6
	;; [unrolled: 1-line block ×3, first 2 shown]
	v_sub_u32_e32 v22, v4, v22
	v_add_u32_e32 v4, v10, v21
	v_lshrrev_b32_e32 v4, s23, v4
	v_mul_lo_u32 v21, v4, s21
	v_mul_lo_u32 v23, v22, s8
	v_mul_lo_u32 v22, v22, s9
	v_add3_u32 v13, v13, v18, v19
	v_sub_u32_e32 v10, v10, v21
	v_mul_lo_u32 v21, v10, s10
	v_mul_lo_u32 v10, v10, s11
	v_add3_u32 v7, v16, v20, v7
	v_add3_u32 v18, v23, v13, v21
	;; [unrolled: 1-line block ×3, first 2 shown]
	s_cbranch_scc1 .LBB240_104
; %bb.105:
	s_and_b32 s6, s27, 3
	s_cmp_eq_u32 s6, 0
	s_cbranch_scc0 .LBB240_109
	s_branch .LBB240_111
.LBB240_106:
                                        ; implicit-def: $vgpr18
                                        ; implicit-def: $vgpr20
	s_branch .LBB240_112
.LBB240_107:
	v_mov_b32_e32 v18, 0
	v_mov_b32_e32 v20, 0
	s_branch .LBB240_111
.LBB240_108:
	v_mov_b32_e32 v18, 0
	v_mov_b32_e32 v20, 0
	;; [unrolled: 1-line block ×3, first 2 shown]
	s_and_b32 s6, s27, 3
	s_cmp_eq_u32 s6, 0
	s_cbranch_scc1 .LBB240_111
.LBB240_109:
	s_lshl_b32 s2, s26, 3
	s_add_u32 s2, s34, s2
	s_addc_u32 s3, s35, 0
	s_add_u32 s2, s2, 0xc4
	s_addc_u32 s3, s3, 0
	s_mul_i32 s4, s26, 12
	s_add_u32 s4, s34, s4
	s_addc_u32 s5, s35, 0
.LBB240_110:                            ; =>This Inner Loop Header: Depth=1
	s_load_dwordx2 s[8:9], s[4:5], 0x4
	s_load_dword s7, s[4:5], 0xc
	s_load_dwordx2 s[10:11], s[2:3], 0x0
	s_add_u32 s4, s4, 12
	s_addc_u32 s5, s5, 0
	s_waitcnt lgkmcnt(0)
	v_mul_hi_u32 v7, s9, v4
	s_add_u32 s2, s2, 8
	s_addc_u32 s3, s3, 0
	s_add_i32 s6, s6, -1
	v_add_u32_e32 v7, v4, v7
	v_lshrrev_b32_e32 v7, s7, v7
	v_mul_lo_u32 v10, v7, s8
	s_cmp_lg_u32 s6, 0
	v_sub_u32_e32 v4, v4, v10
	v_mad_u64_u32 v[18:19], s[8:9], v4, s10, v[18:19]
	v_mad_u64_u32 v[20:21], s[8:9], v4, s11, v[20:21]
	v_mov_b32_e32 v4, v7
	s_cbranch_scc1 .LBB240_110
.LBB240_111:
	s_cbranch_execnz .LBB240_114
.LBB240_112:
	s_load_dwordx4 s[4:7], s[34:35], 0x4
	s_load_dwordx2 s[2:3], s[34:35], 0xc4
	s_cmp_lt_u32 s33, 2
	s_waitcnt lgkmcnt(0)
	v_mul_hi_u32 v4, s5, v1
	v_add_u32_e32 v4, v1, v4
	v_lshrrev_b32_e32 v4, s6, v4
	v_mul_lo_u32 v7, v4, s4
	v_sub_u32_e32 v1, v1, v7
	v_mul_lo_u32 v18, v1, s2
	v_mul_lo_u32 v20, v1, s3
	s_cbranch_scc1 .LBB240_114
; %bb.113:
	s_load_dwordx4 s[4:7], s[34:35], 0x10
	s_load_dwordx2 s[2:3], s[34:35], 0xcc
	s_waitcnt lgkmcnt(0)
	v_mul_hi_u32 v1, s5, v4
	v_add_u32_e32 v1, v4, v1
	v_lshrrev_b32_e32 v1, s6, v1
	v_mul_lo_u32 v1, v1, s4
	v_sub_u32_e32 v1, v4, v1
	v_mad_u64_u32 v[18:19], s[4:5], v1, s2, v[18:19]
	v_mad_u64_u32 v[20:21], s[2:3], v1, s3, v[20:21]
.LBB240_114:
	s_and_b64 vcc, exec, s[0:1]
	s_cbranch_vccnz .LBB240_120
; %bb.115:
	s_cmp_lg_u32 s33, 0
	s_mov_b32 s24, 0
	s_cbranch_scc0 .LBB240_121
; %bb.116:
	s_min_u32 s25, s56, 15
	s_add_i32 s25, s25, 1
	s_cmp_eq_u32 s56, 2
	s_cbranch_scc1 .LBB240_122
; %bb.117:
	s_and_b32 s24, s25, 28
	s_waitcnt lgkmcnt(0)
	s_add_u32 s20, s34, 0xc4
	s_addc_u32 s21, s35, 0
	v_mov_b32_e32 v23, 0
	s_mov_b32 s26, 0
	s_mov_b64 s[22:23], s[34:35]
	v_mov_b32_e32 v21, 0
	v_mov_b32_e32 v1, v25
.LBB240_118:                            ; =>This Inner Loop Header: Depth=1
	s_load_dwordx8 s[8:15], s[22:23], 0x4
	s_load_dwordx4 s[16:19], s[22:23], 0x24
	s_load_dwordx8 s[0:7], s[20:21], 0x0
	s_add_u32 s22, s22, 48
	s_addc_u32 s23, s23, 0
	s_waitcnt lgkmcnt(0)
	v_mul_hi_u32 v4, s9, v1
	s_add_i32 s26, s26, 4
	s_add_u32 s20, s20, 32
	s_addc_u32 s21, s21, 0
	v_add_u32_e32 v4, v1, v4
	v_lshrrev_b32_e32 v4, s10, v4
	v_mul_lo_u32 v7, v4, s8
	v_mul_hi_u32 v10, s12, v4
	s_cmp_lg_u32 s24, s26
	v_sub_u32_e32 v1, v1, v7
	v_add_u32_e32 v7, v4, v10
	v_mul_lo_u32 v10, v1, s0
	v_mul_lo_u32 v13, v1, s1
	v_lshrrev_b32_e32 v1, s13, v7
	v_mul_lo_u32 v7, v1, s11
	v_mul_hi_u32 v16, s15, v1
	v_sub_u32_e32 v4, v4, v7
	v_add_u32_e32 v7, v1, v16
	v_lshrrev_b32_e32 v7, s16, v7
	v_mul_hi_u32 v19, s18, v7
	v_mul_lo_u32 v22, v7, s14
	v_mul_lo_u32 v16, v4, s2
	;; [unrolled: 1-line block ×3, first 2 shown]
	v_sub_u32_e32 v22, v1, v22
	v_add_u32_e32 v1, v7, v19
	v_lshrrev_b32_e32 v1, s19, v1
	v_mul_lo_u32 v19, v1, s17
	v_mul_lo_u32 v24, v22, s4
	;; [unrolled: 1-line block ×3, first 2 shown]
	v_add3_u32 v10, v10, v21, v16
	v_sub_u32_e32 v7, v7, v19
	v_mul_lo_u32 v19, v7, s6
	v_mul_lo_u32 v7, v7, s7
	v_add3_u32 v4, v13, v23, v4
	v_add3_u32 v21, v24, v10, v19
	;; [unrolled: 1-line block ×3, first 2 shown]
	s_cbranch_scc1 .LBB240_118
; %bb.119:
	s_and_b32 s4, s25, 3
	s_cmp_eq_u32 s4, 0
	s_cbranch_scc0 .LBB240_123
	s_branch .LBB240_125
.LBB240_120:
                                        ; implicit-def: $vgpr21
                                        ; implicit-def: $vgpr23
	s_branch .LBB240_126
.LBB240_121:
	v_mov_b32_e32 v21, 0
	v_mov_b32_e32 v23, 0
	s_branch .LBB240_125
.LBB240_122:
	v_mov_b32_e32 v21, 0
	v_mov_b32_e32 v23, 0
	v_mov_b32_e32 v1, v25
	s_and_b32 s4, s25, 3
	s_cmp_eq_u32 s4, 0
	s_cbranch_scc1 .LBB240_125
.LBB240_123:
	s_lshl_b32 s0, s24, 3
	s_add_u32 s0, s34, s0
	s_addc_u32 s1, s35, 0
	s_add_u32 s0, s0, 0xc4
	s_addc_u32 s1, s1, 0
	s_mul_i32 s2, s24, 12
	s_add_u32 s2, s34, s2
	s_addc_u32 s3, s35, 0
.LBB240_124:                            ; =>This Inner Loop Header: Depth=1
	s_load_dwordx2 s[6:7], s[2:3], 0x4
	s_load_dword s5, s[2:3], 0xc
	s_load_dwordx2 s[8:9], s[0:1], 0x0
	s_add_u32 s2, s2, 12
	s_addc_u32 s3, s3, 0
	s_waitcnt lgkmcnt(0)
	v_mul_hi_u32 v4, s7, v1
	s_add_u32 s0, s0, 8
	s_addc_u32 s1, s1, 0
	s_add_i32 s4, s4, -1
	v_add_u32_e32 v4, v1, v4
	v_lshrrev_b32_e32 v4, s5, v4
	v_mul_lo_u32 v7, v4, s6
	s_cmp_lg_u32 s4, 0
	v_sub_u32_e32 v1, v1, v7
	v_mad_u64_u32 v[21:22], s[6:7], v1, s8, v[21:22]
	v_mad_u64_u32 v[23:24], s[6:7], v1, s9, v[23:24]
	v_mov_b32_e32 v1, v4
	s_cbranch_scc1 .LBB240_124
.LBB240_125:
	s_cbranch_execnz .LBB240_128
.LBB240_126:
	s_load_dwordx4 s[0:3], s[34:35], 0x4
	s_load_dwordx2 s[4:5], s[34:35], 0xc4
	s_cmp_lt_u32 s33, 2
	s_waitcnt lgkmcnt(0)
	v_mul_hi_u32 v1, s1, v25
	v_add_u32_e32 v1, v25, v1
	v_lshrrev_b32_e32 v1, s2, v1
	v_mul_lo_u32 v4, v1, s0
	v_sub_u32_e32 v4, v25, v4
	v_mul_lo_u32 v21, v4, s4
	v_mul_lo_u32 v23, v4, s5
	s_cbranch_scc1 .LBB240_128
; %bb.127:
	s_load_dwordx4 s[0:3], s[34:35], 0x10
	s_load_dwordx2 s[4:5], s[34:35], 0xcc
	s_waitcnt lgkmcnt(0)
	v_mul_hi_u32 v4, s1, v1
	v_add_u32_e32 v4, v1, v4
	v_lshrrev_b32_e32 v4, s2, v4
	v_mul_lo_u32 v4, v4, s0
	v_sub_u32_e32 v1, v1, v4
	v_mad_u64_u32 v[21:22], s[0:1], v1, s4, v[21:22]
	v_mad_u64_u32 v[23:24], s[0:1], v1, s5, v[23:24]
.LBB240_128:
	s_load_dwordx4 s[8:11], s[34:35], 0x148
	s_load_dwordx2 s[0:1], s[34:35], 0x158
	s_movk_i32 s2, 0x7f00
	s_brev_b32 s3, 16
	s_waitcnt lgkmcnt(0)
	global_load_ubyte v1, v2, s[10:11]
	global_load_ubyte v4, v5, s[10:11]
	;; [unrolled: 1-line block ×8, first 2 shown]
	s_cmp_eq_u32 s0, 0
	s_waitcnt vmcnt(7)
	v_lshlrev_b16_e32 v2, 8, v1
	v_lshlrev_b32_e32 v1, 25, v1
	v_lshrrev_b32_e32 v5, 4, v1
	v_or_b32_e32 v5, 0x70000000, v5
	v_and_or_b32 v8, v2, s2, 0.5
	v_add_f32_e32 v8, -0.5, v8
	v_mul_f32_e32 v5, 0x7800000, v5
	v_cmp_gt_u32_e32 vcc, s3, v1
	v_cndmask_b32_e32 v1, v5, v8, vcc
	s_waitcnt vmcnt(6)
	v_lshlrev_b16_e32 v5, 8, v4
	v_lshlrev_b32_e32 v4, 25, v4
	v_lshrrev_b32_e32 v8, 4, v4
	v_or_b32_e32 v8, 0x70000000, v8
	v_and_or_b32 v11, v5, s2, 0.5
	v_add_f32_e32 v11, -0.5, v11
	v_mul_f32_e32 v8, 0x7800000, v8
	v_cmp_gt_u32_e32 vcc, s3, v4
	v_cndmask_b32_e32 v4, v8, v11, vcc
	;; [unrolled: 10-line block ×6, first 2 shown]
	s_waitcnt vmcnt(1)
	v_lshlrev_b16_e32 v20, 8, v19
	v_and_or_b32 v24, v20, s2, 0.5
	s_brev_b32 s2, 1
	v_bfe_i32 v2, v2, 0, 16
	v_and_or_b32 v1, v2, s2, v1
	v_bfe_i32 v2, v5, 0, 16
	v_and_or_b32 v2, v2, s2, v4
	v_bfe_i32 v4, v8, 0, 16
	v_bfe_i32 v5, v11, 0, 16
	v_mov_b32_e32 v11, 0x5040100
	v_lshlrev_b32_e32 v19, 25, v19
	v_and_or_b32 v4, v4, s2, v7
	v_bfe_i32 v7, v14, 0, 16
	s_waitcnt vmcnt(0)
	v_perm_b32 v11, v22, s1, v11
	v_lshrrev_b32_e32 v23, 4, v19
	v_and_or_b32 v7, v7, s2, v13
	v_bfe_i32 v8, v17, 0, 16
	v_pk_lshlrev_b16 v11, 8, v11 op_sel_hi:[0,1]
	v_lshlrev_b32_e32 v13, 25, v22
	v_or_b32_e32 v23, 0x70000000, v23
	v_and_or_b32 v8, v8, s2, v16
	v_lshrrev_b32_e32 v14, 4, v13
	v_and_b32_e32 v16, 0x7f007f00, v11
	v_mov_b32_e32 v17, 0.5
	v_add_f32_e32 v24, -0.5, v24
	v_mul_f32_e32 v23, 0x7800000, v23
	v_cmp_gt_u32_e32 vcc, s3, v19
	v_or_b32_e32 v14, 0x70000000, v14
	v_or_b32_sdwa v17, v16, v17 dst_sel:DWORD dst_unused:UNUSED_PAD src0_sel:WORD_1 src1_sel:DWORD
	v_cndmask_b32_e32 v19, v23, v24, vcc
	v_add_f32_e32 v17, -0.5, v17
	v_mul_f32_e32 v14, 0x7800000, v14
	v_cmp_gt_u32_e32 vcc, s3, v13
	v_cndmask_b32_e32 v13, v14, v17, vcc
	s_cselect_b64 vcc, -1, 0
	s_lshl_b32 s0, s1, 25
	s_lshr_b32 s1, s0, 4
	v_mov_b32_e32 v14, s1
	v_and_b32_e32 v16, 0x7f00, v16
	v_or_b32_e32 v14, 0x70000000, v14
	v_or_b32_e32 v16, 0.5, v16
	s_cmp_lt_u32 s0, 0x8000000
	v_add_f32_e32 v16, -0.5, v16
	v_mul_f32_e32 v14, 0x7800000, v14
	s_cselect_b64 s[0:1], -1, 0
	v_cndmask_b32_e64 v14, v14, v16, s[0:1]
	v_and_b32_sdwa v16, sext(v11), s2 dst_sel:DWORD dst_unused:UNUSED_PAD src0_sel:WORD_1 src1_sel:DWORD
	v_and_b32_sdwa v11, sext(v11), s2 dst_sel:DWORD dst_unused:UNUSED_PAD src0_sel:WORD_0 src1_sel:DWORD
	v_and_or_b32 v5, v5, s2, v10
	v_bfe_i32 v10, v20, 0, 16
	v_or_b32_e32 v11, v11, v14
	v_and_or_b32 v10, v10, s2, v19
	v_cmp_neq_f32_e64 s[0:1], v11, v1
	v_cmp_eq_f32_e64 s[2:3], v11, v1
	v_cndmask_b32_e64 v1, 0, 1, s[2:3]
	v_cndmask_b32_e64 v14, 0, 1, s[0:1]
	v_cmp_neq_f32_e64 s[0:1], v11, v2
	v_cmp_eq_f32_e64 s[2:3], v11, v2
	v_cndmask_b32_e32 v1, v14, v1, vcc
	v_cndmask_b32_e64 v2, 0, 1, s[2:3]
	v_cndmask_b32_e64 v14, 0, 1, s[0:1]
	v_cmp_neq_f32_e64 s[0:1], v11, v4
	v_cmp_eq_f32_e64 s[2:3], v11, v4
	v_cndmask_b32_e32 v2, v14, v2, vcc
	;; [unrolled: 5-line block ×3, first 2 shown]
	v_cndmask_b32_e64 v5, 0, 1, s[2:3]
	v_cndmask_b32_e64 v14, 0, 1, s[0:1]
	v_cmp_neq_f32_e64 s[0:1], v11, v7
	v_cmp_eq_f32_e64 s[2:3], v11, v7
	v_or_b32_e32 v13, v16, v13
	v_cndmask_b32_e32 v5, v14, v5, vcc
	v_cndmask_b32_e64 v7, 0, 1, s[2:3]
	v_cndmask_b32_e64 v14, 0, 1, s[0:1]
	v_cmp_neq_f32_e64 s[0:1], v11, v8
	v_cmp_eq_f32_e64 s[2:3], v11, v8
	v_cmp_neq_f32_e64 s[4:5], v11, v10
	v_cmp_eq_f32_e64 s[6:7], v11, v10
	v_cndmask_b32_e32 v7, v14, v7, vcc
	v_cndmask_b32_e64 v8, 0, 1, s[2:3]
	v_cndmask_b32_e64 v14, 0, 1, s[0:1]
	v_cmp_eq_f32_e64 s[0:1], v11, v13
	v_cmp_neq_f32_e64 s[2:3], v11, v13
	v_cndmask_b32_e64 v10, 0, 1, s[6:7]
	v_cndmask_b32_e64 v11, 0, 1, s[4:5]
	v_cndmask_b32_e32 v10, v11, v10, vcc
	v_cndmask_b32_e64 v11, 0, 1, s[0:1]
	v_cndmask_b32_e64 v13, 0, 1, s[2:3]
	v_cndmask_b32_e32 v8, v14, v8, vcc
	v_cndmask_b32_e32 v11, v13, v11, vcc
	v_and_b32_e32 v1, 1, v1
	v_and_b32_e32 v2, 1, v2
	;; [unrolled: 1-line block ×8, first 2 shown]
	global_store_byte v0, v1, s[8:9]
	global_store_byte v3, v2, s[8:9]
	global_store_byte v6, v4, s[8:9]
	global_store_byte v9, v5, s[8:9]
	global_store_byte v12, v7, s[8:9]
	global_store_byte v15, v8, s[8:9]
	global_store_byte v18, v10, s[8:9]
	global_store_byte v21, v11, s[8:9]
	s_endpgm
.LBB240_129:
	v_mov_b32_e32 v0, 0
	v_mov_b32_e32 v2, 0
	s_branch .LBB240_135
.LBB240_130:
	v_mov_b32_e32 v0, 0
	v_mov_b32_e32 v2, 0
	s_branch .LBB240_151
.LBB240_131:
	s_mov_b32 s59, 0
	v_mov_b32_e32 v0, 0
	v_mov_b32_e32 v2, 0
	;; [unrolled: 1-line block ×3, first 2 shown]
.LBB240_132:
	s_and_b32 s8, s60, 3
	s_cmp_eq_u32 s8, 0
	s_cbranch_scc1 .LBB240_135
; %bb.133:
	s_lshl_b32 s4, s59, 3
	s_add_u32 s4, s34, s4
	s_addc_u32 s5, s35, 0
	s_add_u32 s4, s4, 0xc4
	s_addc_u32 s5, s5, 0
	s_mul_i32 s6, s59, 12
	s_add_u32 s6, s34, s6
	s_addc_u32 s7, s35, 0
.LBB240_134:                            ; =>This Inner Loop Header: Depth=1
	s_load_dwordx2 s[10:11], s[6:7], 0x4
	s_load_dword s9, s[6:7], 0xc
	s_load_dwordx2 s[12:13], s[4:5], 0x0
	s_add_u32 s6, s6, 12
	s_addc_u32 s7, s7, 0
	s_waitcnt lgkmcnt(0)
	v_mul_hi_u32 v3, s11, v1
	s_add_u32 s4, s4, 8
	s_addc_u32 s5, s5, 0
	s_add_i32 s8, s8, -1
	v_add_u32_e32 v3, v1, v3
	v_lshrrev_b32_e32 v5, s9, v3
	v_mul_lo_u32 v3, v5, s10
	s_cmp_lg_u32 s8, 0
	v_sub_u32_e32 v3, v1, v3
	v_mad_u64_u32 v[0:1], s[10:11], v3, s12, v[0:1]
	v_mad_u64_u32 v[2:3], s[10:11], v3, s13, v[2:3]
	v_mov_b32_e32 v1, v5
	s_cbranch_scc1 .LBB240_134
.LBB240_135:
	s_cbranch_execnz .LBB240_138
.LBB240_136:
	v_mul_hi_u32 v0, s25, v19
	s_andn2_b64 vcc, exec, s[44:45]
	v_add_u32_e32 v0, v19, v0
	v_lshrrev_b32_e32 v1, s26, v0
	v_mul_lo_u32 v0, v1, s24
	v_sub_u32_e32 v2, v19, v0
	s_waitcnt lgkmcnt(0)
	v_mul_lo_u32 v0, v2, s28
	v_mul_lo_u32 v2, v2, s29
	s_cbranch_vccnz .LBB240_138
; %bb.137:
	v_mul_hi_u32 v3, s42, v1
	v_add_u32_e32 v3, v1, v3
	v_lshrrev_b32_e32 v3, s43, v3
	v_mul_lo_u32 v3, v3, s27
	v_sub_u32_e32 v3, v1, v3
	v_mad_u64_u32 v[0:1], s[4:5], v3, s30, v[0:1]
	v_mad_u64_u32 v[2:3], s[4:5], v3, s31, v[2:3]
.LBB240_138:
	s_waitcnt lgkmcnt(0)
	global_load_ubyte v1, v2, s[22:23]
	s_movk_i32 s4, 0x7f00
	s_brev_b32 s5, 16
	s_brev_b32 s6, 1
	v_add_u32_e32 v19, 0x80, v19
	s_waitcnt vmcnt(0)
	v_lshlrev_b16_e32 v2, 8, v1
	v_lshlrev_b32_e32 v1, 25, v1
	v_lshrrev_b32_e32 v3, 4, v1
	v_and_or_b32 v5, v2, s4, 0.5
	v_or_b32_e32 v3, 0x70000000, v3
	v_add_f32_e32 v5, -0.5, v5
	v_mul_f32_e32 v3, 0x7800000, v3
	v_cmp_gt_u32_e32 vcc, s5, v1
	v_bfe_i32 v2, v2, 0, 16
	v_cndmask_b32_e32 v1, v3, v5, vcc
	v_and_or_b32 v1, v2, s6, v1
	v_cmp_eq_f32_e32 vcc, v4, v1
	v_cndmask_b32_e64 v2, 0, 1, vcc
	v_cmp_neq_f32_e32 vcc, v4, v1
	v_cndmask_b32_e64 v1, 0, 1, vcc
	v_cndmask_b32_e64 v1, v1, v2, s[0:1]
	v_and_b32_e32 v1, 1, v1
	global_store_byte v0, v1, s[20:21]
	s_or_b64 exec, exec, s[50:51]
	v_cmp_gt_i32_e32 vcc, s57, v19
	s_and_saveexec_b64 s[50:51], vcc
	s_cbranch_execnz .LBB240_15
.LBB240_139:
	s_or_b64 exec, exec, s[50:51]
	v_cmp_gt_i32_e32 vcc, s57, v19
	s_and_saveexec_b64 s[50:51], vcc
	s_cbranch_execz .LBB240_155
.LBB240_140:
	s_andn2_b64 vcc, exec, s[2:3]
	s_cbranch_vccnz .LBB240_145
; %bb.141:
	s_andn2_b64 vcc, exec, s[48:49]
	s_cbranch_vccnz .LBB240_146
; %bb.142:
	s_add_i32 s60, s58, 1
	s_cmp_eq_u32 s56, 2
	s_cbranch_scc1 .LBB240_163
; %bb.143:
	s_and_b32 s59, s60, 28
	v_mov_b32_e32 v2, 0
	s_mov_b32 s61, 0
	s_mov_b64 s[52:53], s[34:35]
	s_mov_b64 s[54:55], s[46:47]
	v_mov_b32_e32 v0, 0
	v_mov_b32_e32 v1, v19
.LBB240_144:                            ; =>This Inner Loop Header: Depth=1
	s_load_dwordx8 s[12:19], s[52:53], 0x4
	s_load_dwordx4 s[36:39], s[52:53], 0x24
	s_load_dwordx8 s[4:11], s[54:55], 0x0
	s_add_u32 s52, s52, 48
	s_addc_u32 s53, s53, 0
	s_waitcnt lgkmcnt(0)
	v_mul_hi_u32 v3, s13, v1
	s_add_i32 s61, s61, 4
	s_add_u32 s54, s54, 32
	s_addc_u32 s55, s55, 0
	v_add_u32_e32 v3, v1, v3
	v_lshrrev_b32_e32 v3, s14, v3
	v_mul_lo_u32 v5, v3, s12
	v_mul_hi_u32 v6, s16, v3
	s_cmp_eq_u32 s59, s61
	v_sub_u32_e32 v1, v1, v5
	v_add_u32_e32 v5, v3, v6
	v_mul_lo_u32 v6, v1, s4
	v_mul_lo_u32 v7, v1, s5
	v_lshrrev_b32_e32 v1, s17, v5
	v_mul_lo_u32 v5, v1, s15
	v_mul_hi_u32 v8, s19, v1
	v_sub_u32_e32 v3, v3, v5
	v_add_u32_e32 v5, v1, v8
	v_lshrrev_b32_e32 v5, s36, v5
	v_mul_hi_u32 v9, s38, v5
	v_mul_lo_u32 v10, v5, s18
	v_mul_lo_u32 v8, v3, s6
	;; [unrolled: 1-line block ×3, first 2 shown]
	v_sub_u32_e32 v10, v1, v10
	v_add_u32_e32 v1, v5, v9
	v_lshrrev_b32_e32 v1, s39, v1
	v_mul_lo_u32 v9, v1, s37
	v_mul_lo_u32 v11, v10, s8
	;; [unrolled: 1-line block ×3, first 2 shown]
	v_add3_u32 v0, v6, v0, v8
	v_sub_u32_e32 v5, v5, v9
	v_mul_lo_u32 v9, v5, s10
	v_mul_lo_u32 v5, v5, s11
	v_add3_u32 v2, v7, v2, v3
	v_add3_u32 v0, v11, v0, v9
	;; [unrolled: 1-line block ×3, first 2 shown]
	s_cbranch_scc0 .LBB240_144
	s_branch .LBB240_164
.LBB240_145:
                                        ; implicit-def: $vgpr0
                                        ; implicit-def: $vgpr2
	s_branch .LBB240_168
.LBB240_146:
	v_mov_b32_e32 v0, 0
	v_mov_b32_e32 v2, 0
	s_branch .LBB240_167
.LBB240_147:
	s_mov_b32 s59, 0
	v_mov_b32_e32 v0, 0
	v_mov_b32_e32 v2, 0
	;; [unrolled: 1-line block ×3, first 2 shown]
.LBB240_148:
	s_and_b32 s8, s60, 3
	s_cmp_eq_u32 s8, 0
	s_cbranch_scc1 .LBB240_151
; %bb.149:
	s_lshl_b32 s4, s59, 3
	s_add_u32 s4, s34, s4
	s_addc_u32 s5, s35, 0
	s_add_u32 s4, s4, 0xc4
	s_addc_u32 s5, s5, 0
	s_mul_i32 s6, s59, 12
	s_add_u32 s6, s34, s6
	s_addc_u32 s7, s35, 0
.LBB240_150:                            ; =>This Inner Loop Header: Depth=1
	s_load_dwordx2 s[10:11], s[6:7], 0x4
	s_load_dword s9, s[6:7], 0xc
	s_load_dwordx2 s[12:13], s[4:5], 0x0
	s_add_u32 s6, s6, 12
	s_addc_u32 s7, s7, 0
	s_waitcnt lgkmcnt(0)
	v_mul_hi_u32 v3, s11, v1
	s_add_u32 s4, s4, 8
	s_addc_u32 s5, s5, 0
	s_add_i32 s8, s8, -1
	v_add_u32_e32 v3, v1, v3
	v_lshrrev_b32_e32 v5, s9, v3
	v_mul_lo_u32 v3, v5, s10
	s_cmp_lg_u32 s8, 0
	v_sub_u32_e32 v3, v1, v3
	v_mad_u64_u32 v[0:1], s[10:11], v3, s12, v[0:1]
	v_mad_u64_u32 v[2:3], s[10:11], v3, s13, v[2:3]
	v_mov_b32_e32 v1, v5
	s_cbranch_scc1 .LBB240_150
.LBB240_151:
	s_cbranch_execnz .LBB240_154
.LBB240_152:
	v_mul_hi_u32 v0, s25, v19
	s_andn2_b64 vcc, exec, s[44:45]
	v_add_u32_e32 v0, v19, v0
	v_lshrrev_b32_e32 v1, s26, v0
	v_mul_lo_u32 v0, v1, s24
	v_sub_u32_e32 v2, v19, v0
	s_waitcnt lgkmcnt(0)
	v_mul_lo_u32 v0, v2, s28
	v_mul_lo_u32 v2, v2, s29
	s_cbranch_vccnz .LBB240_154
; %bb.153:
	v_mul_hi_u32 v3, s42, v1
	v_add_u32_e32 v3, v1, v3
	v_lshrrev_b32_e32 v3, s43, v3
	v_mul_lo_u32 v3, v3, s27
	v_sub_u32_e32 v3, v1, v3
	v_mad_u64_u32 v[0:1], s[4:5], v3, s30, v[0:1]
	v_mad_u64_u32 v[2:3], s[4:5], v3, s31, v[2:3]
.LBB240_154:
	s_waitcnt lgkmcnt(0)
	global_load_ubyte v1, v2, s[22:23]
	s_movk_i32 s4, 0x7f00
	s_brev_b32 s5, 16
	s_brev_b32 s6, 1
	v_add_u32_e32 v19, 0x80, v19
	s_waitcnt vmcnt(0)
	v_lshlrev_b16_e32 v2, 8, v1
	v_lshlrev_b32_e32 v1, 25, v1
	v_lshrrev_b32_e32 v3, 4, v1
	v_and_or_b32 v5, v2, s4, 0.5
	v_or_b32_e32 v3, 0x70000000, v3
	v_add_f32_e32 v5, -0.5, v5
	v_mul_f32_e32 v3, 0x7800000, v3
	v_cmp_gt_u32_e32 vcc, s5, v1
	v_bfe_i32 v2, v2, 0, 16
	v_cndmask_b32_e32 v1, v3, v5, vcc
	v_and_or_b32 v1, v2, s6, v1
	v_cmp_eq_f32_e32 vcc, v4, v1
	v_cndmask_b32_e64 v2, 0, 1, vcc
	v_cmp_neq_f32_e32 vcc, v4, v1
	v_cndmask_b32_e64 v1, 0, 1, vcc
	v_cndmask_b32_e64 v1, v1, v2, s[0:1]
	v_and_b32_e32 v1, 1, v1
	global_store_byte v0, v1, s[20:21]
	s_or_b64 exec, exec, s[50:51]
	v_cmp_gt_i32_e32 vcc, s57, v19
	s_and_saveexec_b64 s[50:51], vcc
	s_cbranch_execnz .LBB240_140
.LBB240_155:
	s_or_b64 exec, exec, s[50:51]
	v_cmp_gt_i32_e32 vcc, s57, v19
	s_and_saveexec_b64 s[50:51], vcc
	s_cbranch_execz .LBB240_171
.LBB240_156:
	s_andn2_b64 vcc, exec, s[2:3]
	s_cbranch_vccnz .LBB240_161
; %bb.157:
	s_andn2_b64 vcc, exec, s[48:49]
	s_cbranch_vccnz .LBB240_162
; %bb.158:
	s_add_i32 s60, s58, 1
	s_cmp_eq_u32 s56, 2
	s_cbranch_scc1 .LBB240_179
; %bb.159:
	s_and_b32 s59, s60, 28
	v_mov_b32_e32 v2, 0
	s_mov_b32 s61, 0
	s_mov_b64 s[52:53], s[34:35]
	s_mov_b64 s[54:55], s[46:47]
	v_mov_b32_e32 v0, 0
	v_mov_b32_e32 v1, v19
.LBB240_160:                            ; =>This Inner Loop Header: Depth=1
	s_load_dwordx8 s[12:19], s[52:53], 0x4
	s_load_dwordx4 s[36:39], s[52:53], 0x24
	s_load_dwordx8 s[4:11], s[54:55], 0x0
	s_add_u32 s52, s52, 48
	s_addc_u32 s53, s53, 0
	s_waitcnt lgkmcnt(0)
	v_mul_hi_u32 v3, s13, v1
	s_add_i32 s61, s61, 4
	s_add_u32 s54, s54, 32
	s_addc_u32 s55, s55, 0
	v_add_u32_e32 v3, v1, v3
	v_lshrrev_b32_e32 v3, s14, v3
	v_mul_lo_u32 v5, v3, s12
	v_mul_hi_u32 v6, s16, v3
	s_cmp_eq_u32 s59, s61
	v_sub_u32_e32 v1, v1, v5
	v_add_u32_e32 v5, v3, v6
	v_mul_lo_u32 v6, v1, s4
	v_mul_lo_u32 v7, v1, s5
	v_lshrrev_b32_e32 v1, s17, v5
	v_mul_lo_u32 v5, v1, s15
	v_mul_hi_u32 v8, s19, v1
	v_sub_u32_e32 v3, v3, v5
	v_add_u32_e32 v5, v1, v8
	v_lshrrev_b32_e32 v5, s36, v5
	v_mul_hi_u32 v9, s38, v5
	v_mul_lo_u32 v10, v5, s18
	v_mul_lo_u32 v8, v3, s6
	;; [unrolled: 1-line block ×3, first 2 shown]
	v_sub_u32_e32 v10, v1, v10
	v_add_u32_e32 v1, v5, v9
	v_lshrrev_b32_e32 v1, s39, v1
	v_mul_lo_u32 v9, v1, s37
	v_mul_lo_u32 v11, v10, s8
	;; [unrolled: 1-line block ×3, first 2 shown]
	v_add3_u32 v0, v6, v0, v8
	v_sub_u32_e32 v5, v5, v9
	v_mul_lo_u32 v9, v5, s10
	v_mul_lo_u32 v5, v5, s11
	v_add3_u32 v2, v7, v2, v3
	v_add3_u32 v0, v11, v0, v9
	;; [unrolled: 1-line block ×3, first 2 shown]
	s_cbranch_scc0 .LBB240_160
	s_branch .LBB240_180
.LBB240_161:
                                        ; implicit-def: $vgpr0
                                        ; implicit-def: $vgpr2
	s_branch .LBB240_184
.LBB240_162:
	v_mov_b32_e32 v0, 0
	v_mov_b32_e32 v2, 0
	s_branch .LBB240_183
.LBB240_163:
	s_mov_b32 s59, 0
	v_mov_b32_e32 v0, 0
	v_mov_b32_e32 v2, 0
	;; [unrolled: 1-line block ×3, first 2 shown]
.LBB240_164:
	s_and_b32 s8, s60, 3
	s_cmp_eq_u32 s8, 0
	s_cbranch_scc1 .LBB240_167
; %bb.165:
	s_lshl_b32 s4, s59, 3
	s_add_u32 s4, s34, s4
	s_addc_u32 s5, s35, 0
	s_add_u32 s4, s4, 0xc4
	s_addc_u32 s5, s5, 0
	s_mul_i32 s6, s59, 12
	s_add_u32 s6, s34, s6
	s_addc_u32 s7, s35, 0
.LBB240_166:                            ; =>This Inner Loop Header: Depth=1
	s_load_dwordx2 s[10:11], s[6:7], 0x4
	s_load_dword s9, s[6:7], 0xc
	s_load_dwordx2 s[12:13], s[4:5], 0x0
	s_add_u32 s6, s6, 12
	s_addc_u32 s7, s7, 0
	s_waitcnt lgkmcnt(0)
	v_mul_hi_u32 v3, s11, v1
	s_add_u32 s4, s4, 8
	s_addc_u32 s5, s5, 0
	s_add_i32 s8, s8, -1
	v_add_u32_e32 v3, v1, v3
	v_lshrrev_b32_e32 v5, s9, v3
	v_mul_lo_u32 v3, v5, s10
	s_cmp_lg_u32 s8, 0
	v_sub_u32_e32 v3, v1, v3
	v_mad_u64_u32 v[0:1], s[10:11], v3, s12, v[0:1]
	v_mad_u64_u32 v[2:3], s[10:11], v3, s13, v[2:3]
	v_mov_b32_e32 v1, v5
	s_cbranch_scc1 .LBB240_166
.LBB240_167:
	s_cbranch_execnz .LBB240_170
.LBB240_168:
	v_mul_hi_u32 v0, s25, v19
	s_andn2_b64 vcc, exec, s[44:45]
	v_add_u32_e32 v0, v19, v0
	v_lshrrev_b32_e32 v1, s26, v0
	v_mul_lo_u32 v0, v1, s24
	v_sub_u32_e32 v2, v19, v0
	s_waitcnt lgkmcnt(0)
	v_mul_lo_u32 v0, v2, s28
	v_mul_lo_u32 v2, v2, s29
	s_cbranch_vccnz .LBB240_170
; %bb.169:
	v_mul_hi_u32 v3, s42, v1
	v_add_u32_e32 v3, v1, v3
	v_lshrrev_b32_e32 v3, s43, v3
	v_mul_lo_u32 v3, v3, s27
	v_sub_u32_e32 v3, v1, v3
	v_mad_u64_u32 v[0:1], s[4:5], v3, s30, v[0:1]
	v_mad_u64_u32 v[2:3], s[4:5], v3, s31, v[2:3]
.LBB240_170:
	s_waitcnt lgkmcnt(0)
	global_load_ubyte v1, v2, s[22:23]
	s_movk_i32 s4, 0x7f00
	s_brev_b32 s5, 16
	s_brev_b32 s6, 1
	v_add_u32_e32 v19, 0x80, v19
	s_waitcnt vmcnt(0)
	v_lshlrev_b16_e32 v2, 8, v1
	v_lshlrev_b32_e32 v1, 25, v1
	v_lshrrev_b32_e32 v3, 4, v1
	v_and_or_b32 v5, v2, s4, 0.5
	v_or_b32_e32 v3, 0x70000000, v3
	v_add_f32_e32 v5, -0.5, v5
	v_mul_f32_e32 v3, 0x7800000, v3
	v_cmp_gt_u32_e32 vcc, s5, v1
	v_bfe_i32 v2, v2, 0, 16
	v_cndmask_b32_e32 v1, v3, v5, vcc
	v_and_or_b32 v1, v2, s6, v1
	v_cmp_eq_f32_e32 vcc, v4, v1
	v_cndmask_b32_e64 v2, 0, 1, vcc
	v_cmp_neq_f32_e32 vcc, v4, v1
	v_cndmask_b32_e64 v1, 0, 1, vcc
	v_cndmask_b32_e64 v1, v1, v2, s[0:1]
	v_and_b32_e32 v1, 1, v1
	global_store_byte v0, v1, s[20:21]
	s_or_b64 exec, exec, s[50:51]
	v_cmp_gt_i32_e32 vcc, s57, v19
	s_and_saveexec_b64 s[50:51], vcc
	s_cbranch_execnz .LBB240_156
.LBB240_171:
	s_or_b64 exec, exec, s[50:51]
	v_cmp_gt_i32_e32 vcc, s57, v19
	s_and_saveexec_b64 s[50:51], vcc
	s_cbranch_execz .LBB240_187
.LBB240_172:
	s_andn2_b64 vcc, exec, s[2:3]
	s_cbranch_vccnz .LBB240_177
; %bb.173:
	s_andn2_b64 vcc, exec, s[48:49]
	s_cbranch_vccnz .LBB240_178
; %bb.174:
	s_add_i32 s60, s58, 1
	s_cmp_eq_u32 s56, 2
	s_cbranch_scc1 .LBB240_195
; %bb.175:
	s_and_b32 s59, s60, 28
	v_mov_b32_e32 v2, 0
	s_mov_b32 s61, 0
	s_mov_b64 s[52:53], s[34:35]
	s_mov_b64 s[54:55], s[46:47]
	v_mov_b32_e32 v0, 0
	v_mov_b32_e32 v1, v19
.LBB240_176:                            ; =>This Inner Loop Header: Depth=1
	s_load_dwordx8 s[12:19], s[52:53], 0x4
	s_load_dwordx4 s[36:39], s[52:53], 0x24
	s_load_dwordx8 s[4:11], s[54:55], 0x0
	s_add_u32 s52, s52, 48
	s_addc_u32 s53, s53, 0
	s_waitcnt lgkmcnt(0)
	v_mul_hi_u32 v3, s13, v1
	s_add_i32 s61, s61, 4
	s_add_u32 s54, s54, 32
	s_addc_u32 s55, s55, 0
	v_add_u32_e32 v3, v1, v3
	v_lshrrev_b32_e32 v3, s14, v3
	v_mul_lo_u32 v5, v3, s12
	v_mul_hi_u32 v6, s16, v3
	s_cmp_eq_u32 s59, s61
	v_sub_u32_e32 v1, v1, v5
	v_add_u32_e32 v5, v3, v6
	v_mul_lo_u32 v6, v1, s4
	v_mul_lo_u32 v7, v1, s5
	v_lshrrev_b32_e32 v1, s17, v5
	v_mul_lo_u32 v5, v1, s15
	v_mul_hi_u32 v8, s19, v1
	v_sub_u32_e32 v3, v3, v5
	v_add_u32_e32 v5, v1, v8
	v_lshrrev_b32_e32 v5, s36, v5
	v_mul_hi_u32 v9, s38, v5
	v_mul_lo_u32 v10, v5, s18
	v_mul_lo_u32 v8, v3, s6
	;; [unrolled: 1-line block ×3, first 2 shown]
	v_sub_u32_e32 v10, v1, v10
	v_add_u32_e32 v1, v5, v9
	v_lshrrev_b32_e32 v1, s39, v1
	v_mul_lo_u32 v9, v1, s37
	v_mul_lo_u32 v11, v10, s8
	;; [unrolled: 1-line block ×3, first 2 shown]
	v_add3_u32 v0, v6, v0, v8
	v_sub_u32_e32 v5, v5, v9
	v_mul_lo_u32 v9, v5, s10
	v_mul_lo_u32 v5, v5, s11
	v_add3_u32 v2, v7, v2, v3
	v_add3_u32 v0, v11, v0, v9
	;; [unrolled: 1-line block ×3, first 2 shown]
	s_cbranch_scc0 .LBB240_176
	s_branch .LBB240_196
.LBB240_177:
                                        ; implicit-def: $vgpr0
                                        ; implicit-def: $vgpr2
	s_branch .LBB240_200
.LBB240_178:
	v_mov_b32_e32 v0, 0
	v_mov_b32_e32 v2, 0
	s_branch .LBB240_199
.LBB240_179:
	s_mov_b32 s59, 0
	v_mov_b32_e32 v0, 0
	v_mov_b32_e32 v2, 0
	;; [unrolled: 1-line block ×3, first 2 shown]
.LBB240_180:
	s_and_b32 s8, s60, 3
	s_cmp_eq_u32 s8, 0
	s_cbranch_scc1 .LBB240_183
; %bb.181:
	s_lshl_b32 s4, s59, 3
	s_add_u32 s4, s34, s4
	s_addc_u32 s5, s35, 0
	s_add_u32 s4, s4, 0xc4
	s_addc_u32 s5, s5, 0
	s_mul_i32 s6, s59, 12
	s_add_u32 s6, s34, s6
	s_addc_u32 s7, s35, 0
.LBB240_182:                            ; =>This Inner Loop Header: Depth=1
	s_load_dwordx2 s[10:11], s[6:7], 0x4
	s_load_dword s9, s[6:7], 0xc
	s_load_dwordx2 s[12:13], s[4:5], 0x0
	s_add_u32 s6, s6, 12
	s_addc_u32 s7, s7, 0
	s_waitcnt lgkmcnt(0)
	v_mul_hi_u32 v3, s11, v1
	s_add_u32 s4, s4, 8
	s_addc_u32 s5, s5, 0
	s_add_i32 s8, s8, -1
	v_add_u32_e32 v3, v1, v3
	v_lshrrev_b32_e32 v5, s9, v3
	v_mul_lo_u32 v3, v5, s10
	s_cmp_lg_u32 s8, 0
	v_sub_u32_e32 v3, v1, v3
	v_mad_u64_u32 v[0:1], s[10:11], v3, s12, v[0:1]
	v_mad_u64_u32 v[2:3], s[10:11], v3, s13, v[2:3]
	v_mov_b32_e32 v1, v5
	s_cbranch_scc1 .LBB240_182
.LBB240_183:
	s_cbranch_execnz .LBB240_186
.LBB240_184:
	v_mul_hi_u32 v0, s25, v19
	s_andn2_b64 vcc, exec, s[44:45]
	v_add_u32_e32 v0, v19, v0
	v_lshrrev_b32_e32 v1, s26, v0
	v_mul_lo_u32 v0, v1, s24
	v_sub_u32_e32 v2, v19, v0
	s_waitcnt lgkmcnt(0)
	v_mul_lo_u32 v0, v2, s28
	v_mul_lo_u32 v2, v2, s29
	s_cbranch_vccnz .LBB240_186
; %bb.185:
	v_mul_hi_u32 v3, s42, v1
	v_add_u32_e32 v3, v1, v3
	v_lshrrev_b32_e32 v3, s43, v3
	v_mul_lo_u32 v3, v3, s27
	v_sub_u32_e32 v3, v1, v3
	v_mad_u64_u32 v[0:1], s[4:5], v3, s30, v[0:1]
	v_mad_u64_u32 v[2:3], s[4:5], v3, s31, v[2:3]
.LBB240_186:
	s_waitcnt lgkmcnt(0)
	global_load_ubyte v1, v2, s[22:23]
	s_movk_i32 s4, 0x7f00
	s_brev_b32 s5, 16
	s_brev_b32 s6, 1
	v_add_u32_e32 v19, 0x80, v19
	s_waitcnt vmcnt(0)
	v_lshlrev_b16_e32 v2, 8, v1
	v_lshlrev_b32_e32 v1, 25, v1
	v_lshrrev_b32_e32 v3, 4, v1
	v_and_or_b32 v5, v2, s4, 0.5
	v_or_b32_e32 v3, 0x70000000, v3
	v_add_f32_e32 v5, -0.5, v5
	v_mul_f32_e32 v3, 0x7800000, v3
	v_cmp_gt_u32_e32 vcc, s5, v1
	v_bfe_i32 v2, v2, 0, 16
	v_cndmask_b32_e32 v1, v3, v5, vcc
	v_and_or_b32 v1, v2, s6, v1
	v_cmp_eq_f32_e32 vcc, v4, v1
	v_cndmask_b32_e64 v2, 0, 1, vcc
	v_cmp_neq_f32_e32 vcc, v4, v1
	v_cndmask_b32_e64 v1, 0, 1, vcc
	v_cndmask_b32_e64 v1, v1, v2, s[0:1]
	v_and_b32_e32 v1, 1, v1
	global_store_byte v0, v1, s[20:21]
	s_or_b64 exec, exec, s[50:51]
	v_cmp_gt_i32_e32 vcc, s57, v19
	s_and_saveexec_b64 s[50:51], vcc
	s_cbranch_execnz .LBB240_172
.LBB240_187:
	s_or_b64 exec, exec, s[50:51]
	v_cmp_gt_i32_e32 vcc, s57, v19
	s_and_saveexec_b64 s[50:51], vcc
	s_cbranch_execz .LBB240_203
.LBB240_188:
	s_andn2_b64 vcc, exec, s[2:3]
	s_cbranch_vccnz .LBB240_193
; %bb.189:
	s_andn2_b64 vcc, exec, s[48:49]
	s_cbranch_vccnz .LBB240_194
; %bb.190:
	s_add_i32 s60, s58, 1
	s_cmp_eq_u32 s56, 2
	s_cbranch_scc1 .LBB240_211
; %bb.191:
	s_and_b32 s59, s60, 28
	v_mov_b32_e32 v2, 0
	s_mov_b32 s61, 0
	s_mov_b64 s[52:53], s[34:35]
	s_mov_b64 s[54:55], s[46:47]
	v_mov_b32_e32 v0, 0
	v_mov_b32_e32 v1, v19
.LBB240_192:                            ; =>This Inner Loop Header: Depth=1
	s_load_dwordx8 s[12:19], s[52:53], 0x4
	s_load_dwordx4 s[36:39], s[52:53], 0x24
	s_load_dwordx8 s[4:11], s[54:55], 0x0
	s_add_u32 s52, s52, 48
	s_addc_u32 s53, s53, 0
	s_waitcnt lgkmcnt(0)
	v_mul_hi_u32 v3, s13, v1
	s_add_i32 s61, s61, 4
	s_add_u32 s54, s54, 32
	s_addc_u32 s55, s55, 0
	v_add_u32_e32 v3, v1, v3
	v_lshrrev_b32_e32 v3, s14, v3
	v_mul_lo_u32 v5, v3, s12
	v_mul_hi_u32 v6, s16, v3
	s_cmp_eq_u32 s59, s61
	v_sub_u32_e32 v1, v1, v5
	v_add_u32_e32 v5, v3, v6
	v_mul_lo_u32 v6, v1, s4
	v_mul_lo_u32 v7, v1, s5
	v_lshrrev_b32_e32 v1, s17, v5
	v_mul_lo_u32 v5, v1, s15
	v_mul_hi_u32 v8, s19, v1
	v_sub_u32_e32 v3, v3, v5
	v_add_u32_e32 v5, v1, v8
	v_lshrrev_b32_e32 v5, s36, v5
	v_mul_hi_u32 v9, s38, v5
	v_mul_lo_u32 v10, v5, s18
	v_mul_lo_u32 v8, v3, s6
	;; [unrolled: 1-line block ×3, first 2 shown]
	v_sub_u32_e32 v10, v1, v10
	v_add_u32_e32 v1, v5, v9
	v_lshrrev_b32_e32 v1, s39, v1
	v_mul_lo_u32 v9, v1, s37
	v_mul_lo_u32 v11, v10, s8
	;; [unrolled: 1-line block ×3, first 2 shown]
	v_add3_u32 v0, v6, v0, v8
	v_sub_u32_e32 v5, v5, v9
	v_mul_lo_u32 v9, v5, s10
	v_mul_lo_u32 v5, v5, s11
	v_add3_u32 v2, v7, v2, v3
	v_add3_u32 v0, v11, v0, v9
	v_add3_u32 v2, v10, v2, v5
	s_cbranch_scc0 .LBB240_192
	s_branch .LBB240_212
.LBB240_193:
                                        ; implicit-def: $vgpr0
                                        ; implicit-def: $vgpr2
	s_branch .LBB240_216
.LBB240_194:
	v_mov_b32_e32 v0, 0
	v_mov_b32_e32 v2, 0
	s_branch .LBB240_215
.LBB240_195:
	s_mov_b32 s59, 0
	v_mov_b32_e32 v0, 0
	v_mov_b32_e32 v2, 0
	;; [unrolled: 1-line block ×3, first 2 shown]
.LBB240_196:
	s_and_b32 s8, s60, 3
	s_cmp_eq_u32 s8, 0
	s_cbranch_scc1 .LBB240_199
; %bb.197:
	s_lshl_b32 s4, s59, 3
	s_add_u32 s4, s34, s4
	s_addc_u32 s5, s35, 0
	s_add_u32 s4, s4, 0xc4
	s_addc_u32 s5, s5, 0
	s_mul_i32 s6, s59, 12
	s_add_u32 s6, s34, s6
	s_addc_u32 s7, s35, 0
.LBB240_198:                            ; =>This Inner Loop Header: Depth=1
	s_load_dwordx2 s[10:11], s[6:7], 0x4
	s_load_dword s9, s[6:7], 0xc
	s_load_dwordx2 s[12:13], s[4:5], 0x0
	s_add_u32 s6, s6, 12
	s_addc_u32 s7, s7, 0
	s_waitcnt lgkmcnt(0)
	v_mul_hi_u32 v3, s11, v1
	s_add_u32 s4, s4, 8
	s_addc_u32 s5, s5, 0
	s_add_i32 s8, s8, -1
	v_add_u32_e32 v3, v1, v3
	v_lshrrev_b32_e32 v5, s9, v3
	v_mul_lo_u32 v3, v5, s10
	s_cmp_lg_u32 s8, 0
	v_sub_u32_e32 v3, v1, v3
	v_mad_u64_u32 v[0:1], s[10:11], v3, s12, v[0:1]
	v_mad_u64_u32 v[2:3], s[10:11], v3, s13, v[2:3]
	v_mov_b32_e32 v1, v5
	s_cbranch_scc1 .LBB240_198
.LBB240_199:
	s_cbranch_execnz .LBB240_202
.LBB240_200:
	v_mul_hi_u32 v0, s25, v19
	s_andn2_b64 vcc, exec, s[44:45]
	v_add_u32_e32 v0, v19, v0
	v_lshrrev_b32_e32 v1, s26, v0
	v_mul_lo_u32 v0, v1, s24
	v_sub_u32_e32 v2, v19, v0
	s_waitcnt lgkmcnt(0)
	v_mul_lo_u32 v0, v2, s28
	v_mul_lo_u32 v2, v2, s29
	s_cbranch_vccnz .LBB240_202
; %bb.201:
	v_mul_hi_u32 v3, s42, v1
	v_add_u32_e32 v3, v1, v3
	v_lshrrev_b32_e32 v3, s43, v3
	v_mul_lo_u32 v3, v3, s27
	v_sub_u32_e32 v3, v1, v3
	v_mad_u64_u32 v[0:1], s[4:5], v3, s30, v[0:1]
	v_mad_u64_u32 v[2:3], s[4:5], v3, s31, v[2:3]
.LBB240_202:
	s_waitcnt lgkmcnt(0)
	global_load_ubyte v1, v2, s[22:23]
	s_movk_i32 s4, 0x7f00
	s_brev_b32 s5, 16
	s_brev_b32 s6, 1
	v_add_u32_e32 v19, 0x80, v19
	s_waitcnt vmcnt(0)
	v_lshlrev_b16_e32 v2, 8, v1
	v_lshlrev_b32_e32 v1, 25, v1
	v_lshrrev_b32_e32 v3, 4, v1
	v_and_or_b32 v5, v2, s4, 0.5
	v_or_b32_e32 v3, 0x70000000, v3
	v_add_f32_e32 v5, -0.5, v5
	v_mul_f32_e32 v3, 0x7800000, v3
	v_cmp_gt_u32_e32 vcc, s5, v1
	v_bfe_i32 v2, v2, 0, 16
	v_cndmask_b32_e32 v1, v3, v5, vcc
	v_and_or_b32 v1, v2, s6, v1
	v_cmp_eq_f32_e32 vcc, v4, v1
	v_cndmask_b32_e64 v2, 0, 1, vcc
	v_cmp_neq_f32_e32 vcc, v4, v1
	v_cndmask_b32_e64 v1, 0, 1, vcc
	v_cndmask_b32_e64 v1, v1, v2, s[0:1]
	v_and_b32_e32 v1, 1, v1
	global_store_byte v0, v1, s[20:21]
	s_or_b64 exec, exec, s[50:51]
	v_cmp_gt_i32_e32 vcc, s57, v19
	s_and_saveexec_b64 s[50:51], vcc
	s_cbranch_execnz .LBB240_188
.LBB240_203:
	s_or_b64 exec, exec, s[50:51]
	v_cmp_gt_i32_e32 vcc, s57, v19
	s_and_saveexec_b64 s[50:51], vcc
	s_cbranch_execz .LBB240_219
.LBB240_204:
	s_andn2_b64 vcc, exec, s[2:3]
	s_cbranch_vccnz .LBB240_209
; %bb.205:
	s_andn2_b64 vcc, exec, s[48:49]
	s_cbranch_vccnz .LBB240_210
; %bb.206:
	s_add_i32 s60, s58, 1
	s_cmp_eq_u32 s56, 2
	s_cbranch_scc1 .LBB240_222
; %bb.207:
	s_and_b32 s59, s60, 28
	v_mov_b32_e32 v2, 0
	s_mov_b32 s61, 0
	s_mov_b64 s[52:53], s[34:35]
	s_mov_b64 s[54:55], s[46:47]
	v_mov_b32_e32 v0, 0
	v_mov_b32_e32 v1, v19
.LBB240_208:                            ; =>This Inner Loop Header: Depth=1
	s_load_dwordx8 s[12:19], s[52:53], 0x4
	s_load_dwordx4 s[36:39], s[52:53], 0x24
	s_load_dwordx8 s[4:11], s[54:55], 0x0
	s_add_u32 s52, s52, 48
	s_addc_u32 s53, s53, 0
	s_waitcnt lgkmcnt(0)
	v_mul_hi_u32 v3, s13, v1
	s_add_i32 s61, s61, 4
	s_add_u32 s54, s54, 32
	s_addc_u32 s55, s55, 0
	v_add_u32_e32 v3, v1, v3
	v_lshrrev_b32_e32 v3, s14, v3
	v_mul_lo_u32 v5, v3, s12
	v_mul_hi_u32 v6, s16, v3
	s_cmp_eq_u32 s59, s61
	v_sub_u32_e32 v1, v1, v5
	v_add_u32_e32 v5, v3, v6
	v_mul_lo_u32 v6, v1, s4
	v_mul_lo_u32 v7, v1, s5
	v_lshrrev_b32_e32 v1, s17, v5
	v_mul_lo_u32 v5, v1, s15
	v_mul_hi_u32 v8, s19, v1
	v_sub_u32_e32 v3, v3, v5
	v_add_u32_e32 v5, v1, v8
	v_lshrrev_b32_e32 v5, s36, v5
	v_mul_hi_u32 v9, s38, v5
	v_mul_lo_u32 v10, v5, s18
	v_mul_lo_u32 v8, v3, s6
	;; [unrolled: 1-line block ×3, first 2 shown]
	v_sub_u32_e32 v10, v1, v10
	v_add_u32_e32 v1, v5, v9
	v_lshrrev_b32_e32 v1, s39, v1
	v_mul_lo_u32 v9, v1, s37
	v_mul_lo_u32 v11, v10, s8
	;; [unrolled: 1-line block ×3, first 2 shown]
	v_add3_u32 v0, v6, v0, v8
	v_sub_u32_e32 v5, v5, v9
	v_mul_lo_u32 v9, v5, s10
	v_mul_lo_u32 v5, v5, s11
	v_add3_u32 v2, v7, v2, v3
	v_add3_u32 v0, v11, v0, v9
	v_add3_u32 v2, v10, v2, v5
	s_cbranch_scc0 .LBB240_208
	s_branch .LBB240_223
.LBB240_209:
                                        ; implicit-def: $vgpr0
                                        ; implicit-def: $vgpr2
	s_branch .LBB240_227
.LBB240_210:
	v_mov_b32_e32 v0, 0
	v_mov_b32_e32 v2, 0
	s_branch .LBB240_226
.LBB240_211:
	s_mov_b32 s59, 0
	v_mov_b32_e32 v0, 0
	v_mov_b32_e32 v2, 0
	;; [unrolled: 1-line block ×3, first 2 shown]
.LBB240_212:
	s_and_b32 s8, s60, 3
	s_cmp_eq_u32 s8, 0
	s_cbranch_scc1 .LBB240_215
; %bb.213:
	s_lshl_b32 s4, s59, 3
	s_add_u32 s4, s34, s4
	s_addc_u32 s5, s35, 0
	s_add_u32 s4, s4, 0xc4
	s_addc_u32 s5, s5, 0
	s_mul_i32 s6, s59, 12
	s_add_u32 s6, s34, s6
	s_addc_u32 s7, s35, 0
.LBB240_214:                            ; =>This Inner Loop Header: Depth=1
	s_load_dwordx2 s[10:11], s[6:7], 0x4
	s_load_dword s9, s[6:7], 0xc
	s_load_dwordx2 s[12:13], s[4:5], 0x0
	s_add_u32 s6, s6, 12
	s_addc_u32 s7, s7, 0
	s_waitcnt lgkmcnt(0)
	v_mul_hi_u32 v3, s11, v1
	s_add_u32 s4, s4, 8
	s_addc_u32 s5, s5, 0
	s_add_i32 s8, s8, -1
	v_add_u32_e32 v3, v1, v3
	v_lshrrev_b32_e32 v5, s9, v3
	v_mul_lo_u32 v3, v5, s10
	s_cmp_lg_u32 s8, 0
	v_sub_u32_e32 v3, v1, v3
	v_mad_u64_u32 v[0:1], s[10:11], v3, s12, v[0:1]
	v_mad_u64_u32 v[2:3], s[10:11], v3, s13, v[2:3]
	v_mov_b32_e32 v1, v5
	s_cbranch_scc1 .LBB240_214
.LBB240_215:
	s_cbranch_execnz .LBB240_218
.LBB240_216:
	v_mul_hi_u32 v0, s25, v19
	s_andn2_b64 vcc, exec, s[44:45]
	v_add_u32_e32 v0, v19, v0
	v_lshrrev_b32_e32 v1, s26, v0
	v_mul_lo_u32 v0, v1, s24
	v_sub_u32_e32 v2, v19, v0
	s_waitcnt lgkmcnt(0)
	v_mul_lo_u32 v0, v2, s28
	v_mul_lo_u32 v2, v2, s29
	s_cbranch_vccnz .LBB240_218
; %bb.217:
	v_mul_hi_u32 v3, s42, v1
	v_add_u32_e32 v3, v1, v3
	v_lshrrev_b32_e32 v3, s43, v3
	v_mul_lo_u32 v3, v3, s27
	v_sub_u32_e32 v3, v1, v3
	v_mad_u64_u32 v[0:1], s[4:5], v3, s30, v[0:1]
	v_mad_u64_u32 v[2:3], s[4:5], v3, s31, v[2:3]
.LBB240_218:
	s_waitcnt lgkmcnt(0)
	global_load_ubyte v1, v2, s[22:23]
	s_movk_i32 s4, 0x7f00
	s_brev_b32 s5, 16
	s_brev_b32 s6, 1
	v_add_u32_e32 v19, 0x80, v19
	s_waitcnt vmcnt(0)
	v_lshlrev_b16_e32 v2, 8, v1
	v_lshlrev_b32_e32 v1, 25, v1
	v_lshrrev_b32_e32 v3, 4, v1
	v_and_or_b32 v5, v2, s4, 0.5
	v_or_b32_e32 v3, 0x70000000, v3
	v_add_f32_e32 v5, -0.5, v5
	v_mul_f32_e32 v3, 0x7800000, v3
	v_cmp_gt_u32_e32 vcc, s5, v1
	v_bfe_i32 v2, v2, 0, 16
	v_cndmask_b32_e32 v1, v3, v5, vcc
	v_and_or_b32 v1, v2, s6, v1
	v_cmp_eq_f32_e32 vcc, v4, v1
	v_cndmask_b32_e64 v2, 0, 1, vcc
	v_cmp_neq_f32_e32 vcc, v4, v1
	v_cndmask_b32_e64 v1, 0, 1, vcc
	v_cndmask_b32_e64 v1, v1, v2, s[0:1]
	v_and_b32_e32 v1, 1, v1
	global_store_byte v0, v1, s[20:21]
	s_or_b64 exec, exec, s[50:51]
	v_cmp_gt_i32_e32 vcc, s57, v19
	s_and_saveexec_b64 s[50:51], vcc
	s_cbranch_execnz .LBB240_204
.LBB240_219:
	s_or_b64 exec, exec, s[50:51]
	v_cmp_gt_i32_e32 vcc, s57, v19
	s_and_saveexec_b64 s[50:51], vcc
	s_cbranch_execnz .LBB240_230
.LBB240_220:
	s_or_b64 exec, exec, s[50:51]
                                        ; implicit-def: $vgpr25
                                        ; implicit-def: $vgpr19
	s_andn2_saveexec_b64 s[0:1], s[40:41]
	s_cbranch_execnz .LBB240_8
.LBB240_221:
	s_endpgm
.LBB240_222:
	s_mov_b32 s59, 0
	v_mov_b32_e32 v0, 0
	v_mov_b32_e32 v2, 0
	;; [unrolled: 1-line block ×3, first 2 shown]
.LBB240_223:
	s_and_b32 s8, s60, 3
	s_cmp_eq_u32 s8, 0
	s_cbranch_scc1 .LBB240_226
; %bb.224:
	s_lshl_b32 s4, s59, 3
	s_add_u32 s4, s34, s4
	s_addc_u32 s5, s35, 0
	s_add_u32 s4, s4, 0xc4
	s_addc_u32 s5, s5, 0
	s_mul_i32 s6, s59, 12
	s_add_u32 s6, s34, s6
	s_addc_u32 s7, s35, 0
.LBB240_225:                            ; =>This Inner Loop Header: Depth=1
	s_load_dwordx2 s[10:11], s[6:7], 0x4
	s_load_dword s9, s[6:7], 0xc
	s_load_dwordx2 s[12:13], s[4:5], 0x0
	s_add_u32 s6, s6, 12
	s_addc_u32 s7, s7, 0
	s_waitcnt lgkmcnt(0)
	v_mul_hi_u32 v3, s11, v1
	s_add_u32 s4, s4, 8
	s_addc_u32 s5, s5, 0
	s_add_i32 s8, s8, -1
	v_add_u32_e32 v3, v1, v3
	v_lshrrev_b32_e32 v5, s9, v3
	v_mul_lo_u32 v3, v5, s10
	s_cmp_lg_u32 s8, 0
	v_sub_u32_e32 v3, v1, v3
	v_mad_u64_u32 v[0:1], s[10:11], v3, s12, v[0:1]
	v_mad_u64_u32 v[2:3], s[10:11], v3, s13, v[2:3]
	v_mov_b32_e32 v1, v5
	s_cbranch_scc1 .LBB240_225
.LBB240_226:
	s_cbranch_execnz .LBB240_229
.LBB240_227:
	v_mul_hi_u32 v0, s25, v19
	s_andn2_b64 vcc, exec, s[44:45]
	v_add_u32_e32 v0, v19, v0
	v_lshrrev_b32_e32 v1, s26, v0
	v_mul_lo_u32 v0, v1, s24
	v_sub_u32_e32 v2, v19, v0
	s_waitcnt lgkmcnt(0)
	v_mul_lo_u32 v0, v2, s28
	v_mul_lo_u32 v2, v2, s29
	s_cbranch_vccnz .LBB240_229
; %bb.228:
	v_mul_hi_u32 v3, s42, v1
	v_add_u32_e32 v3, v1, v3
	v_lshrrev_b32_e32 v3, s43, v3
	v_mul_lo_u32 v3, v3, s27
	v_sub_u32_e32 v3, v1, v3
	v_mad_u64_u32 v[0:1], s[4:5], v3, s30, v[0:1]
	v_mad_u64_u32 v[2:3], s[4:5], v3, s31, v[2:3]
.LBB240_229:
	s_waitcnt lgkmcnt(0)
	global_load_ubyte v1, v2, s[22:23]
	s_movk_i32 s4, 0x7f00
	s_brev_b32 s5, 16
	s_brev_b32 s6, 1
	v_add_u32_e32 v19, 0x80, v19
	s_waitcnt vmcnt(0)
	v_lshlrev_b16_e32 v2, 8, v1
	v_lshlrev_b32_e32 v1, 25, v1
	v_lshrrev_b32_e32 v3, 4, v1
	v_and_or_b32 v5, v2, s4, 0.5
	v_or_b32_e32 v3, 0x70000000, v3
	v_add_f32_e32 v5, -0.5, v5
	v_mul_f32_e32 v3, 0x7800000, v3
	v_cmp_gt_u32_e32 vcc, s5, v1
	v_bfe_i32 v2, v2, 0, 16
	v_cndmask_b32_e32 v1, v3, v5, vcc
	v_and_or_b32 v1, v2, s6, v1
	v_cmp_eq_f32_e32 vcc, v4, v1
	v_cndmask_b32_e64 v2, 0, 1, vcc
	v_cmp_neq_f32_e32 vcc, v4, v1
	v_cndmask_b32_e64 v1, 0, 1, vcc
	v_cndmask_b32_e64 v1, v1, v2, s[0:1]
	v_and_b32_e32 v1, 1, v1
	global_store_byte v0, v1, s[20:21]
	s_or_b64 exec, exec, s[50:51]
	v_cmp_gt_i32_e32 vcc, s57, v19
	s_and_saveexec_b64 s[50:51], vcc
	s_cbranch_execz .LBB240_220
.LBB240_230:
	s_andn2_b64 vcc, exec, s[2:3]
	s_cbranch_vccnz .LBB240_235
; %bb.231:
	s_andn2_b64 vcc, exec, s[48:49]
	s_cbranch_vccnz .LBB240_236
; %bb.232:
	s_add_i32 s58, s58, 1
	s_cmp_eq_u32 s56, 2
	s_cbranch_scc1 .LBB240_237
; %bb.233:
	s_and_b32 s52, s58, 28
	v_mov_b32_e32 v2, 0
	s_mov_b32 s53, 0
	s_mov_b64 s[48:49], s[34:35]
	v_mov_b32_e32 v0, 0
	v_mov_b32_e32 v1, v19
.LBB240_234:                            ; =>This Inner Loop Header: Depth=1
	s_load_dwordx8 s[12:19], s[48:49], 0x4
	s_load_dwordx4 s[36:39], s[48:49], 0x24
	s_load_dwordx8 s[4:11], s[46:47], 0x0
	s_add_u32 s48, s48, 48
	s_addc_u32 s49, s49, 0
	s_waitcnt lgkmcnt(0)
	v_mul_hi_u32 v3, s13, v1
	s_add_i32 s53, s53, 4
	s_add_u32 s46, s46, 32
	s_addc_u32 s47, s47, 0
	v_add_u32_e32 v3, v1, v3
	v_lshrrev_b32_e32 v3, s14, v3
	v_mul_lo_u32 v5, v3, s12
	v_mul_hi_u32 v6, s16, v3
	s_cmp_eq_u32 s52, s53
	v_sub_u32_e32 v1, v1, v5
	v_add_u32_e32 v5, v3, v6
	v_mul_lo_u32 v6, v1, s4
	v_mul_lo_u32 v7, v1, s5
	v_lshrrev_b32_e32 v1, s17, v5
	v_mul_lo_u32 v5, v1, s15
	v_mul_hi_u32 v8, s19, v1
	v_sub_u32_e32 v3, v3, v5
	v_add_u32_e32 v5, v1, v8
	v_lshrrev_b32_e32 v5, s36, v5
	v_mul_hi_u32 v9, s38, v5
	v_mul_lo_u32 v10, v5, s18
	v_mul_lo_u32 v8, v3, s6
	;; [unrolled: 1-line block ×3, first 2 shown]
	v_sub_u32_e32 v10, v1, v10
	v_add_u32_e32 v1, v5, v9
	v_lshrrev_b32_e32 v1, s39, v1
	v_mul_lo_u32 v9, v1, s37
	v_mul_lo_u32 v11, v10, s8
	;; [unrolled: 1-line block ×3, first 2 shown]
	v_add3_u32 v0, v6, v0, v8
	v_sub_u32_e32 v5, v5, v9
	v_mul_lo_u32 v9, v5, s10
	v_mul_lo_u32 v5, v5, s11
	v_add3_u32 v2, v7, v2, v3
	v_add3_u32 v0, v11, v0, v9
	v_add3_u32 v2, v10, v2, v5
	s_cbranch_scc0 .LBB240_234
	s_branch .LBB240_238
.LBB240_235:
                                        ; implicit-def: $vgpr0
                                        ; implicit-def: $vgpr2
	s_branch .LBB240_242
.LBB240_236:
	v_mov_b32_e32 v0, 0
	v_mov_b32_e32 v2, 0
	s_branch .LBB240_241
.LBB240_237:
	s_mov_b32 s52, 0
	v_mov_b32_e32 v0, 0
	v_mov_b32_e32 v2, 0
	;; [unrolled: 1-line block ×3, first 2 shown]
.LBB240_238:
	s_and_b32 s8, s58, 3
	s_cmp_eq_u32 s8, 0
	s_cbranch_scc1 .LBB240_241
; %bb.239:
	s_lshl_b32 s4, s52, 3
	s_add_u32 s4, s34, s4
	s_addc_u32 s5, s35, 0
	s_add_u32 s4, s4, 0xc4
	s_addc_u32 s5, s5, 0
	s_mul_i32 s6, s52, 12
	s_add_u32 s6, s34, s6
	s_addc_u32 s7, s35, 0
.LBB240_240:                            ; =>This Inner Loop Header: Depth=1
	s_load_dwordx2 s[10:11], s[6:7], 0x4
	s_load_dword s9, s[6:7], 0xc
	s_load_dwordx2 s[12:13], s[4:5], 0x0
	s_add_u32 s6, s6, 12
	s_addc_u32 s7, s7, 0
	s_waitcnt lgkmcnt(0)
	v_mul_hi_u32 v3, s11, v1
	s_add_u32 s4, s4, 8
	s_addc_u32 s5, s5, 0
	s_add_i32 s8, s8, -1
	v_add_u32_e32 v3, v1, v3
	v_lshrrev_b32_e32 v5, s9, v3
	v_mul_lo_u32 v3, v5, s10
	s_cmp_lg_u32 s8, 0
	v_sub_u32_e32 v3, v1, v3
	v_mad_u64_u32 v[0:1], s[10:11], v3, s12, v[0:1]
	v_mad_u64_u32 v[2:3], s[10:11], v3, s13, v[2:3]
	v_mov_b32_e32 v1, v5
	s_cbranch_scc1 .LBB240_240
.LBB240_241:
	s_cbranch_execnz .LBB240_244
.LBB240_242:
	v_mul_hi_u32 v0, s25, v19
	s_andn2_b64 vcc, exec, s[44:45]
	v_add_u32_e32 v0, v19, v0
	v_lshrrev_b32_e32 v1, s26, v0
	v_mul_lo_u32 v0, v1, s24
	v_sub_u32_e32 v2, v19, v0
	s_waitcnt lgkmcnt(0)
	v_mul_lo_u32 v0, v2, s28
	v_mul_lo_u32 v2, v2, s29
	s_cbranch_vccnz .LBB240_244
; %bb.243:
	v_mul_hi_u32 v3, s42, v1
	v_add_u32_e32 v3, v1, v3
	v_lshrrev_b32_e32 v3, s43, v3
	v_mul_lo_u32 v3, v3, s27
	v_sub_u32_e32 v3, v1, v3
	v_mad_u64_u32 v[0:1], s[4:5], v3, s30, v[0:1]
	v_mad_u64_u32 v[2:3], s[4:5], v3, s31, v[2:3]
.LBB240_244:
	s_waitcnt lgkmcnt(0)
	global_load_ubyte v1, v2, s[22:23]
	s_movk_i32 s4, 0x7f00
	s_brev_b32 s5, 16
	s_brev_b32 s6, 1
	s_waitcnt vmcnt(0)
	v_lshlrev_b16_e32 v2, 8, v1
	v_lshlrev_b32_e32 v1, 25, v1
	v_lshrrev_b32_e32 v3, 4, v1
	v_and_or_b32 v5, v2, s4, 0.5
	v_or_b32_e32 v3, 0x70000000, v3
	v_add_f32_e32 v5, -0.5, v5
	v_mul_f32_e32 v3, 0x7800000, v3
	v_cmp_gt_u32_e32 vcc, s5, v1
	v_bfe_i32 v2, v2, 0, 16
	v_cndmask_b32_e32 v1, v3, v5, vcc
	v_and_or_b32 v1, v2, s6, v1
	v_cmp_eq_f32_e32 vcc, v4, v1
	v_cndmask_b32_e64 v2, 0, 1, vcc
	v_cmp_neq_f32_e32 vcc, v4, v1
	v_cndmask_b32_e64 v1, 0, 1, vcc
	v_cndmask_b32_e64 v1, v1, v2, s[0:1]
	v_and_b32_e32 v1, 1, v1
	global_store_byte v0, v1, s[20:21]
	s_or_b64 exec, exec, s[50:51]
                                        ; implicit-def: $vgpr25
                                        ; implicit-def: $vgpr19
	s_andn2_saveexec_b64 s[0:1], s[40:41]
	s_cbranch_execz .LBB240_221
	s_branch .LBB240_8
	.section	.rodata,"a",@progbits
	.p2align	6, 0x0
	.amdhsa_kernel _ZN2at6native32elementwise_kernel_manual_unrollILi128ELi8EZNS0_22gpu_kernel_impl_nocastINS0_13AUnaryFunctorIN3c1011Float8_e5m2ES5_bNS0_12_GLOBAL__N_116CompareEqFunctorIS5_EEEEEEvRNS_18TensorIteratorBaseERKT_EUlibE_EEviT1_
		.amdhsa_group_segment_fixed_size 0
		.amdhsa_private_segment_fixed_size 0
		.amdhsa_kernarg_size 360
		.amdhsa_user_sgpr_count 6
		.amdhsa_user_sgpr_private_segment_buffer 1
		.amdhsa_user_sgpr_dispatch_ptr 0
		.amdhsa_user_sgpr_queue_ptr 0
		.amdhsa_user_sgpr_kernarg_segment_ptr 1
		.amdhsa_user_sgpr_dispatch_id 0
		.amdhsa_user_sgpr_flat_scratch_init 0
		.amdhsa_user_sgpr_private_segment_size 0
		.amdhsa_uses_dynamic_stack 0
		.amdhsa_system_sgpr_private_segment_wavefront_offset 0
		.amdhsa_system_sgpr_workgroup_id_x 1
		.amdhsa_system_sgpr_workgroup_id_y 0
		.amdhsa_system_sgpr_workgroup_id_z 0
		.amdhsa_system_sgpr_workgroup_info 0
		.amdhsa_system_vgpr_workitem_id 0
		.amdhsa_next_free_vgpr 26
		.amdhsa_next_free_sgpr 62
		.amdhsa_reserve_vcc 1
		.amdhsa_reserve_flat_scratch 0
		.amdhsa_float_round_mode_32 0
		.amdhsa_float_round_mode_16_64 0
		.amdhsa_float_denorm_mode_32 3
		.amdhsa_float_denorm_mode_16_64 3
		.amdhsa_dx10_clamp 1
		.amdhsa_ieee_mode 1
		.amdhsa_fp16_overflow 0
		.amdhsa_exception_fp_ieee_invalid_op 0
		.amdhsa_exception_fp_denorm_src 0
		.amdhsa_exception_fp_ieee_div_zero 0
		.amdhsa_exception_fp_ieee_overflow 0
		.amdhsa_exception_fp_ieee_underflow 0
		.amdhsa_exception_fp_ieee_inexact 0
		.amdhsa_exception_int_div_zero 0
	.end_amdhsa_kernel
	.section	.text._ZN2at6native32elementwise_kernel_manual_unrollILi128ELi8EZNS0_22gpu_kernel_impl_nocastINS0_13AUnaryFunctorIN3c1011Float8_e5m2ES5_bNS0_12_GLOBAL__N_116CompareEqFunctorIS5_EEEEEEvRNS_18TensorIteratorBaseERKT_EUlibE_EEviT1_,"axG",@progbits,_ZN2at6native32elementwise_kernel_manual_unrollILi128ELi8EZNS0_22gpu_kernel_impl_nocastINS0_13AUnaryFunctorIN3c1011Float8_e5m2ES5_bNS0_12_GLOBAL__N_116CompareEqFunctorIS5_EEEEEEvRNS_18TensorIteratorBaseERKT_EUlibE_EEviT1_,comdat
.Lfunc_end240:
	.size	_ZN2at6native32elementwise_kernel_manual_unrollILi128ELi8EZNS0_22gpu_kernel_impl_nocastINS0_13AUnaryFunctorIN3c1011Float8_e5m2ES5_bNS0_12_GLOBAL__N_116CompareEqFunctorIS5_EEEEEEvRNS_18TensorIteratorBaseERKT_EUlibE_EEviT1_, .Lfunc_end240-_ZN2at6native32elementwise_kernel_manual_unrollILi128ELi8EZNS0_22gpu_kernel_impl_nocastINS0_13AUnaryFunctorIN3c1011Float8_e5m2ES5_bNS0_12_GLOBAL__N_116CompareEqFunctorIS5_EEEEEEvRNS_18TensorIteratorBaseERKT_EUlibE_EEviT1_
                                        ; -- End function
	.set _ZN2at6native32elementwise_kernel_manual_unrollILi128ELi8EZNS0_22gpu_kernel_impl_nocastINS0_13AUnaryFunctorIN3c1011Float8_e5m2ES5_bNS0_12_GLOBAL__N_116CompareEqFunctorIS5_EEEEEEvRNS_18TensorIteratorBaseERKT_EUlibE_EEviT1_.num_vgpr, 26
	.set _ZN2at6native32elementwise_kernel_manual_unrollILi128ELi8EZNS0_22gpu_kernel_impl_nocastINS0_13AUnaryFunctorIN3c1011Float8_e5m2ES5_bNS0_12_GLOBAL__N_116CompareEqFunctorIS5_EEEEEEvRNS_18TensorIteratorBaseERKT_EUlibE_EEviT1_.num_agpr, 0
	.set _ZN2at6native32elementwise_kernel_manual_unrollILi128ELi8EZNS0_22gpu_kernel_impl_nocastINS0_13AUnaryFunctorIN3c1011Float8_e5m2ES5_bNS0_12_GLOBAL__N_116CompareEqFunctorIS5_EEEEEEvRNS_18TensorIteratorBaseERKT_EUlibE_EEviT1_.numbered_sgpr, 62
	.set _ZN2at6native32elementwise_kernel_manual_unrollILi128ELi8EZNS0_22gpu_kernel_impl_nocastINS0_13AUnaryFunctorIN3c1011Float8_e5m2ES5_bNS0_12_GLOBAL__N_116CompareEqFunctorIS5_EEEEEEvRNS_18TensorIteratorBaseERKT_EUlibE_EEviT1_.num_named_barrier, 0
	.set _ZN2at6native32elementwise_kernel_manual_unrollILi128ELi8EZNS0_22gpu_kernel_impl_nocastINS0_13AUnaryFunctorIN3c1011Float8_e5m2ES5_bNS0_12_GLOBAL__N_116CompareEqFunctorIS5_EEEEEEvRNS_18TensorIteratorBaseERKT_EUlibE_EEviT1_.private_seg_size, 0
	.set _ZN2at6native32elementwise_kernel_manual_unrollILi128ELi8EZNS0_22gpu_kernel_impl_nocastINS0_13AUnaryFunctorIN3c1011Float8_e5m2ES5_bNS0_12_GLOBAL__N_116CompareEqFunctorIS5_EEEEEEvRNS_18TensorIteratorBaseERKT_EUlibE_EEviT1_.uses_vcc, 1
	.set _ZN2at6native32elementwise_kernel_manual_unrollILi128ELi8EZNS0_22gpu_kernel_impl_nocastINS0_13AUnaryFunctorIN3c1011Float8_e5m2ES5_bNS0_12_GLOBAL__N_116CompareEqFunctorIS5_EEEEEEvRNS_18TensorIteratorBaseERKT_EUlibE_EEviT1_.uses_flat_scratch, 0
	.set _ZN2at6native32elementwise_kernel_manual_unrollILi128ELi8EZNS0_22gpu_kernel_impl_nocastINS0_13AUnaryFunctorIN3c1011Float8_e5m2ES5_bNS0_12_GLOBAL__N_116CompareEqFunctorIS5_EEEEEEvRNS_18TensorIteratorBaseERKT_EUlibE_EEviT1_.has_dyn_sized_stack, 0
	.set _ZN2at6native32elementwise_kernel_manual_unrollILi128ELi8EZNS0_22gpu_kernel_impl_nocastINS0_13AUnaryFunctorIN3c1011Float8_e5m2ES5_bNS0_12_GLOBAL__N_116CompareEqFunctorIS5_EEEEEEvRNS_18TensorIteratorBaseERKT_EUlibE_EEviT1_.has_recursion, 0
	.set _ZN2at6native32elementwise_kernel_manual_unrollILi128ELi8EZNS0_22gpu_kernel_impl_nocastINS0_13AUnaryFunctorIN3c1011Float8_e5m2ES5_bNS0_12_GLOBAL__N_116CompareEqFunctorIS5_EEEEEEvRNS_18TensorIteratorBaseERKT_EUlibE_EEviT1_.has_indirect_call, 0
	.section	.AMDGPU.csdata,"",@progbits
; Kernel info:
; codeLenInByte = 13164
; TotalNumSgprs: 66
; NumVgprs: 26
; ScratchSize: 0
; MemoryBound: 0
; FloatMode: 240
; IeeeMode: 1
; LDSByteSize: 0 bytes/workgroup (compile time only)
; SGPRBlocks: 8
; VGPRBlocks: 6
; NumSGPRsForWavesPerEU: 66
; NumVGPRsForWavesPerEU: 26
; Occupancy: 9
; WaveLimiterHint : 1
; COMPUTE_PGM_RSRC2:SCRATCH_EN: 0
; COMPUTE_PGM_RSRC2:USER_SGPR: 6
; COMPUTE_PGM_RSRC2:TRAP_HANDLER: 0
; COMPUTE_PGM_RSRC2:TGID_X_EN: 1
; COMPUTE_PGM_RSRC2:TGID_Y_EN: 0
; COMPUTE_PGM_RSRC2:TGID_Z_EN: 0
; COMPUTE_PGM_RSRC2:TIDIG_COMP_CNT: 0
	.section	.text._ZN2at6native32elementwise_kernel_manual_unrollILi128ELi4EZNS0_15gpu_kernel_implINS0_13AUnaryFunctorIN3c1011Float8_e5m2ES5_bNS0_12_GLOBAL__N_116CompareEqFunctorIS5_EEEEEEvRNS_18TensorIteratorBaseERKT_EUlibE_EEviT1_,"axG",@progbits,_ZN2at6native32elementwise_kernel_manual_unrollILi128ELi4EZNS0_15gpu_kernel_implINS0_13AUnaryFunctorIN3c1011Float8_e5m2ES5_bNS0_12_GLOBAL__N_116CompareEqFunctorIS5_EEEEEEvRNS_18TensorIteratorBaseERKT_EUlibE_EEviT1_,comdat
	.globl	_ZN2at6native32elementwise_kernel_manual_unrollILi128ELi4EZNS0_15gpu_kernel_implINS0_13AUnaryFunctorIN3c1011Float8_e5m2ES5_bNS0_12_GLOBAL__N_116CompareEqFunctorIS5_EEEEEEvRNS_18TensorIteratorBaseERKT_EUlibE_EEviT1_ ; -- Begin function _ZN2at6native32elementwise_kernel_manual_unrollILi128ELi4EZNS0_15gpu_kernel_implINS0_13AUnaryFunctorIN3c1011Float8_e5m2ES5_bNS0_12_GLOBAL__N_116CompareEqFunctorIS5_EEEEEEvRNS_18TensorIteratorBaseERKT_EUlibE_EEviT1_
	.p2align	8
	.type	_ZN2at6native32elementwise_kernel_manual_unrollILi128ELi4EZNS0_15gpu_kernel_implINS0_13AUnaryFunctorIN3c1011Float8_e5m2ES5_bNS0_12_GLOBAL__N_116CompareEqFunctorIS5_EEEEEEvRNS_18TensorIteratorBaseERKT_EUlibE_EEviT1_,@function
_ZN2at6native32elementwise_kernel_manual_unrollILi128ELi4EZNS0_15gpu_kernel_implINS0_13AUnaryFunctorIN3c1011Float8_e5m2ES5_bNS0_12_GLOBAL__N_116CompareEqFunctorIS5_EEEEEEvRNS_18TensorIteratorBaseERKT_EUlibE_EEviT1_: ; @_ZN2at6native32elementwise_kernel_manual_unrollILi128ELi4EZNS0_15gpu_kernel_implINS0_13AUnaryFunctorIN3c1011Float8_e5m2ES5_bNS0_12_GLOBAL__N_116CompareEqFunctorIS5_EEEEEEvRNS_18TensorIteratorBaseERKT_EUlibE_EEviT1_
; %bb.0:
	s_load_dwordx2 s[16:17], s[4:5], 0x24
	s_load_dword s33, s[4:5], 0x0
	s_load_dwordx8 s[8:15], s[4:5], 0x8
	v_lshl_or_b32 v2, s6, 9, v0
	v_or_b32_e32 v0, 0x180, v2
	s_waitcnt lgkmcnt(0)
	s_bfe_u32 s15, s17, 0x80008
	v_cmp_le_i32_e32 vcc, s33, v0
	s_mov_b64 s[6:7], 0
	s_mov_b64 s[20:21], 0
	s_and_saveexec_b64 s[0:1], vcc
	s_xor_b64 s[18:19], exec, s[0:1]
	s_cbranch_execz .LBB241_1701
; %bb.1:
	s_cmp_eq_u32 s14, 0
	s_cselect_b64 s[0:1], -1, 0
	s_lshl_b32 s2, s16, 8
	s_lshl_b32 s3, s16, 25
	s_lshr_b32 s4, s3, 4
	s_and_b32 s2, s2, 0x7f00
	s_or_b32 s4, s4, 0x70000000
	s_or_b32 s2, s2, 0.5
	s_cmp_lt_u32 s3, 0x8000000
	v_mov_b32_e32 v1, 0x7800000
	v_add_f32_e64 v0, s2, -0.5
	v_mul_f32_e32 v1, s4, v1
	s_cselect_b64 vcc, -1, 0
	s_lshl_b32 s2, s16, 24
	v_cndmask_b32_e32 v0, v1, v0, vcc
	s_and_b32 s2, s2, 0x80000000
	v_or_b32_e32 v3, s2, v0
	v_cmp_gt_i32_e32 vcc, s33, v2
	s_mov_b64 s[2:3], -1
	s_mov_b64 s[28:29], 0
	s_mov_b64 s[22:23], 0
	s_and_saveexec_b64 s[24:25], vcc
	s_cbranch_execz .LBB241_420
; %bb.2:
	v_mul_lo_u32 v0, v2, s13
	v_mov_b32_e32 v1, s11
	s_and_b32 s26, 0xffff, s15
	s_cmp_lt_i32 s26, 11
	v_ashrrev_i32_e32 v4, 31, v0
	v_add_co_u32_e32 v0, vcc, s10, v0
	v_addc_co_u32_e32 v1, vcc, v1, v4, vcc
	s_cbranch_scc1 .LBB241_17
; %bb.3:
	s_cmp_gt_i32 s26, 25
	s_cbranch_scc0 .LBB241_26
; %bb.4:
	s_cmp_gt_i32 s26, 28
	s_cbranch_scc0 .LBB241_30
	;; [unrolled: 3-line block ×4, first 2 shown]
; %bb.7:
	s_cmp_eq_u32 s26, 46
	s_mov_b64 s[4:5], 0
	s_cbranch_scc0 .LBB241_36
; %bb.8:
	global_load_dword v4, v[0:1], off
	s_mov_b32 s2, 0x47800000
                                        ; implicit-def: $vgpr5
	s_waitcnt vmcnt(0)
	v_lshlrev_b32_e32 v4, 16, v4
	v_and_b32_e32 v6, 0x7fffffff, v4
	v_cmp_gt_u32_e32 vcc, s2, v6
	s_and_saveexec_b64 s[2:3], vcc
	s_xor_b64 s[2:3], exec, s[2:3]
	s_cbranch_execz .LBB241_14
; %bb.9:
	s_mov_b32 s20, 0x387fffff
	v_cmp_lt_u32_e32 vcc, s20, v6
                                        ; implicit-def: $vgpr5
	s_and_saveexec_b64 s[20:21], vcc
	s_xor_b64 s[20:21], exec, s[20:21]
; %bb.10:
	v_bfe_u32 v5, v4, 21, 1
	s_mov_b32 s22, 0x80fffff
	v_add3_u32 v5, v4, v5, s22
	v_lshrrev_b32_e32 v5, 21, v5
; %bb.11:
	s_andn2_saveexec_b64 s[20:21], s[20:21]
; %bb.12:
	s_mov_b32 s22, 0x43000000
	v_add_f32_e64 v5, |v4|, s22
; %bb.13:
	s_or_b64 exec, exec, s[20:21]
                                        ; implicit-def: $vgpr6
.LBB241_14:
	s_andn2_saveexec_b64 s[2:3], s[2:3]
; %bb.15:
	s_mov_b32 s20, 0x7f800000
	v_mov_b32_e32 v5, 0x7c
	v_mov_b32_e32 v7, 0x7f
	v_cmp_lt_u32_e32 vcc, s20, v6
	v_cndmask_b32_e32 v5, v5, v7, vcc
; %bb.16:
	s_or_b64 exec, exec, s[2:3]
	v_lshrrev_b32_e32 v4, 24, v4
	s_movk_i32 s2, 0x80
	v_and_or_b32 v4, v4, s2, v5
	s_mov_b64 s[2:3], -1
	s_mov_b64 s[22:23], 0
	s_branch .LBB241_38
.LBB241_17:
                                        ; implicit-def: $vgpr4
	s_mov_b64 s[2:3], 0
	s_cbranch_execnz .LBB241_283
.LBB241_18:
	s_andn2_b64 vcc, exec, s[2:3]
	s_cbranch_vccnz .LBB241_418
.LBB241_19:
	s_waitcnt vmcnt(0)
	v_lshlrev_b32_e32 v1, 25, v4
	v_lshlrev_b16_e32 v0, 8, v4
	v_lshrrev_b32_e32 v4, 4, v1
	s_movk_i32 s2, 0x7f00
	v_or_b32_e32 v4, 0x70000000, v4
	v_and_or_b32 v5, v0, s2, 0.5
	s_brev_b32 s2, 16
	v_add_f32_e32 v5, -0.5, v5
	v_mul_f32_e32 v4, 0x7800000, v4
	v_cmp_gt_u32_e32 vcc, s2, v1
	v_cndmask_b32_e32 v1, v4, v5, vcc
	v_bfe_i32 v0, v0, 0, 16
	s_brev_b32 s2, 1
	v_and_or_b32 v0, v0, s2, v1
	v_cmp_eq_f32_e32 vcc, v3, v0
	v_cndmask_b32_e64 v1, 0, 1, vcc
	v_cmp_neq_f32_e32 vcc, v3, v0
	v_mul_lo_u32 v4, v2, s12
	v_cndmask_b32_e64 v0, 0, 1, vcc
	v_cndmask_b32_e64 v0, v0, v1, s[0:1]
	v_and_b32_e32 v0, 1, v0
	v_cmp_eq_u32_e64 s[2:3], 1, v0
	v_ashrrev_i32_e32 v1, 31, v4
	v_mov_b32_e32 v5, s9
	s_and_b32 s34, s17, 0xff
	v_add_co_u32_e32 v0, vcc, s8, v4
	s_cmp_lt_i32 s34, 11
	v_addc_co_u32_e32 v1, vcc, v5, v1, vcc
	s_cbranch_scc1 .LBB241_27
; %bb.20:
	s_and_b32 s35, 0xffff, s34
	s_cmp_gt_i32 s35, 25
	s_cbranch_scc0 .LBB241_31
; %bb.21:
	s_cmp_gt_i32 s35, 28
	s_cbranch_scc0 .LBB241_33
; %bb.22:
	;; [unrolled: 3-line block ×4, first 2 shown]
	s_mov_b64 s[26:27], 0
	s_mov_b64 s[4:5], -1
	s_cmp_eq_u32 s35, 46
	s_mov_b64 s[20:21], 0
	s_cbranch_scc0 .LBB241_50
; %bb.25:
	v_cndmask_b32_e64 v4, 0, 1.0, s[2:3]
	v_bfe_u32 v5, v4, 16, 1
	s_movk_i32 s4, 0x7fff
	v_add3_u32 v4, v4, v5, s4
	v_lshrrev_b32_e32 v4, 16, v4
	global_store_dword v[0:1], v4, off
	s_mov_b64 s[20:21], -1
	s_mov_b64 s[4:5], 0
	s_branch .LBB241_50
.LBB241_26:
	s_mov_b64 s[2:3], 0
                                        ; implicit-def: $vgpr4
	s_cbranch_execnz .LBB241_216
	s_branch .LBB241_282
.LBB241_27:
	s_mov_b64 s[4:5], 0
	s_mov_b64 s[20:21], 0
	s_cbranch_execnz .LBB241_119
.LBB241_28:
	s_andn2_b64 vcc, exec, s[20:21]
	s_cbranch_vccnz .LBB241_157
.LBB241_29:
	v_add_u32_e32 v2, 0x80, v2
	s_mov_b64 s[2:3], -1
	s_branch .LBB241_419
.LBB241_30:
	s_mov_b64 s[4:5], -1
                                        ; implicit-def: $vgpr4
	s_mov_b64 s[2:3], 0
	s_branch .LBB241_173
.LBB241_31:
	s_mov_b64 s[26:27], -1
	s_mov_b64 s[4:5], 0
	s_mov_b64 s[20:21], 0
	s_branch .LBB241_77
.LBB241_32:
	s_mov_b64 s[4:5], -1
	s_mov_b64 s[2:3], 0
                                        ; implicit-def: $vgpr4
	s_branch .LBB241_160
.LBB241_33:
	s_mov_b64 s[26:27], -1
	s_mov_b64 s[4:5], 0
	s_mov_b64 s[20:21], 0
	s_branch .LBB241_60
.LBB241_34:
	s_mov_b64 s[4:5], -1
	s_branch .LBB241_37
.LBB241_35:
	s_mov_b64 s[26:27], -1
	s_mov_b64 s[4:5], 0
	s_mov_b64 s[20:21], 0
	s_branch .LBB241_56
.LBB241_36:
	s_mov_b64 s[22:23], -1
.LBB241_37:
	s_mov_b64 s[2:3], 0
                                        ; implicit-def: $vgpr4
.LBB241_38:
	s_and_b64 vcc, exec, s[4:5]
	s_cbranch_vccz .LBB241_159
; %bb.39:
	s_cmp_eq_u32 s26, 44
	s_cbranch_scc0 .LBB241_158
; %bb.40:
	global_load_ubyte v4, v[0:1], off
	s_movk_i32 s2, 0xff
	v_mov_b32_e32 v5, 0x7f800001
	v_mov_b32_e32 v6, 0x400000
	s_waitcnt vmcnt(0)
	v_lshlrev_b32_e32 v7, 23, v4
	v_cmp_ne_u32_e32 vcc, s2, v4
	v_cndmask_b32_e32 v5, v5, v7, vcc
	v_cmp_ne_u32_e32 vcc, 0, v4
	v_cndmask_b32_e32 v5, v6, v5, vcc
	s_mov_b32 s2, 0x47800000
	v_cmp_gt_u32_e32 vcc, s2, v5
                                        ; implicit-def: $vgpr4
	s_and_saveexec_b64 s[2:3], vcc
	s_xor_b64 s[2:3], exec, s[2:3]
	s_cbranch_execz .LBB241_46
; %bb.41:
	s_mov_b32 s4, 0x387fffff
	v_cmp_lt_u32_e32 vcc, s4, v5
                                        ; implicit-def: $vgpr4
	s_and_saveexec_b64 s[4:5], vcc
	s_xor_b64 s[4:5], exec, s[4:5]
; %bb.42:
	v_bfe_u32 v4, v5, 21, 1
	s_mov_b32 s20, 0x80fffff
	v_add3_u32 v4, v5, v4, s20
	v_lshrrev_b32_e32 v4, 21, v4
                                        ; implicit-def: $vgpr5
; %bb.43:
	s_andn2_saveexec_b64 s[4:5], s[4:5]
; %bb.44:
	v_add_f32_e32 v4, 0x43000000, v5
; %bb.45:
	s_or_b64 exec, exec, s[4:5]
                                        ; implicit-def: $vgpr5
.LBB241_46:
	s_andn2_saveexec_b64 s[2:3], s[2:3]
; %bb.47:
	s_mov_b32 s4, 0x7f800000
	v_mov_b32_e32 v4, 0x7c
	v_mov_b32_e32 v6, 0x7f
	v_cmp_lt_u32_e32 vcc, s4, v5
	v_cndmask_b32_e32 v4, v4, v6, vcc
; %bb.48:
	s_or_b64 exec, exec, s[2:3]
	s_mov_b64 s[2:3], -1
	s_mov_b64 s[22:23], 0
	s_branch .LBB241_159
.LBB241_49:
	s_mov_b64 s[26:27], -1
	s_mov_b64 s[4:5], 0
	s_mov_b64 s[20:21], 0
.LBB241_50:
	s_and_b64 vcc, exec, s[26:27]
	s_cbranch_vccz .LBB241_55
; %bb.51:
	s_cmp_eq_u32 s35, 44
	s_mov_b64 s[4:5], -1
	s_cbranch_scc0 .LBB241_55
; %bb.52:
	v_cndmask_b32_e64 v5, 0, 1.0, s[2:3]
	v_lshrrev_b32_e32 v4, 23, v5
	s_movk_i32 s4, 0xff
	v_cmp_ne_u32_e32 vcc, s4, v4
	v_mov_b32_e32 v6, 0xff
	s_and_saveexec_b64 s[20:21], vcc
; %bb.53:
	s_mov_b32 s4, 0x3fffff
	v_and_b32_e32 v6, 0x400000, v5
	v_and_or_b32 v5, v5, s4, v4
	v_cmp_ne_u32_e32 vcc, 0, v6
	v_cmp_ne_u32_e64 s[4:5], 0, v5
	s_and_b64 s[4:5], vcc, s[4:5]
	v_cndmask_b32_e64 v5, 0, 1, s[4:5]
	v_add_u32_e32 v6, v4, v5
; %bb.54:
	s_or_b64 exec, exec, s[20:21]
	s_mov_b64 s[20:21], -1
	s_mov_b64 s[4:5], 0
	global_store_byte v[0:1], v6, off
.LBB241_55:
	s_mov_b64 s[26:27], 0
.LBB241_56:
	s_and_b64 vcc, exec, s[26:27]
	s_cbranch_vccz .LBB241_59
; %bb.57:
	s_cmp_eq_u32 s35, 29
	s_mov_b64 s[4:5], -1
	s_cbranch_scc0 .LBB241_59
; %bb.58:
	s_mov_b32 s4, 0
	v_cndmask_b32_e64 v4, 0, 1, s[2:3]
	v_mov_b32_e32 v5, s4
	global_store_dwordx2 v[0:1], v[4:5], off
	s_mov_b64 s[20:21], -1
	s_mov_b64 s[4:5], 0
.LBB241_59:
	s_mov_b64 s[26:27], 0
.LBB241_60:
	s_and_b64 vcc, exec, s[26:27]
	s_cbranch_vccz .LBB241_76
; %bb.61:
	s_cmp_lt_i32 s35, 27
	s_mov_b64 s[20:21], -1
	s_cbranch_scc1 .LBB241_67
; %bb.62:
	s_cmp_gt_i32 s35, 27
	s_cbranch_scc0 .LBB241_64
; %bb.63:
	v_cndmask_b32_e64 v4, 0, 1, s[2:3]
	s_mov_b64 s[20:21], 0
	global_store_dword v[0:1], v4, off
.LBB241_64:
	s_andn2_b64 vcc, exec, s[20:21]
	s_cbranch_vccnz .LBB241_66
; %bb.65:
	v_cndmask_b32_e64 v4, 0, 1, s[2:3]
	global_store_short v[0:1], v4, off
.LBB241_66:
	s_mov_b64 s[20:21], 0
.LBB241_67:
	s_andn2_b64 vcc, exec, s[20:21]
	s_cbranch_vccnz .LBB241_75
; %bb.68:
	v_cndmask_b32_e64 v5, 0, 1.0, s[2:3]
	s_mov_b32 s20, 0x43800000
	v_cmp_gt_u32_e32 vcc, s20, v5
	v_mov_b32_e32 v6, 0x80
	s_and_saveexec_b64 s[20:21], vcc
	s_cbranch_execz .LBB241_74
; %bb.69:
	s_mov_b32 s26, 0x3bffffff
	v_cmp_lt_u32_e32 vcc, s26, v5
	s_mov_b64 s[26:27], 0
                                        ; implicit-def: $vgpr4
	s_and_saveexec_b64 s[30:31], vcc
	s_xor_b64 s[30:31], exec, s[30:31]
	s_cbranch_execz .LBB241_463
; %bb.70:
	v_bfe_u32 v4, v5, 20, 1
	s_mov_b32 s36, 0x487ffff
	v_add3_u32 v4, v5, v4, s36
	s_mov_b64 s[26:27], exec
	v_lshrrev_b32_e32 v4, 20, v4
                                        ; implicit-def: $vgpr5
	s_andn2_saveexec_b64 s[30:31], s[30:31]
	s_cbranch_execnz .LBB241_464
.LBB241_71:
	s_or_b64 exec, exec, s[30:31]
	v_mov_b32_e32 v6, 0
	s_and_saveexec_b64 s[30:31], s[26:27]
.LBB241_72:
	v_mov_b32_e32 v6, v4
.LBB241_73:
	s_or_b64 exec, exec, s[30:31]
.LBB241_74:
	s_or_b64 exec, exec, s[20:21]
	global_store_byte v[0:1], v6, off
.LBB241_75:
	s_mov_b64 s[20:21], -1
.LBB241_76:
	s_mov_b64 s[26:27], 0
.LBB241_77:
	s_and_b64 vcc, exec, s[26:27]
	s_cbranch_vccz .LBB241_118
; %bb.78:
	s_cmp_gt_i32 s35, 22
	s_mov_b64 s[26:27], -1
	s_cbranch_scc0 .LBB241_110
; %bb.79:
	s_cmp_lt_i32 s35, 24
	s_mov_b64 s[20:21], -1
	s_cbranch_scc1 .LBB241_99
; %bb.80:
	s_cmp_gt_i32 s35, 24
	s_cbranch_scc0 .LBB241_88
; %bb.81:
	v_cndmask_b32_e64 v5, 0, 1.0, s[2:3]
	s_mov_b32 s20, 0x47800000
	v_cmp_gt_u32_e32 vcc, s20, v5
	v_mov_b32_e32 v6, 0x80
	s_and_saveexec_b64 s[20:21], vcc
	s_cbranch_execz .LBB241_87
; %bb.82:
	s_mov_b32 s26, 0x37ffffff
	v_cmp_lt_u32_e32 vcc, s26, v5
	s_mov_b64 s[26:27], 0
                                        ; implicit-def: $vgpr4
	s_and_saveexec_b64 s[30:31], vcc
	s_xor_b64 s[30:31], exec, s[30:31]
	s_cbranch_execz .LBB241_467
; %bb.83:
	v_bfe_u32 v4, v5, 21, 1
	s_mov_b32 s36, 0x88fffff
	v_add3_u32 v4, v5, v4, s36
	s_mov_b64 s[26:27], exec
	v_lshrrev_b32_e32 v4, 21, v4
                                        ; implicit-def: $vgpr5
	s_andn2_saveexec_b64 s[30:31], s[30:31]
	s_cbranch_execnz .LBB241_468
.LBB241_84:
	s_or_b64 exec, exec, s[30:31]
	v_mov_b32_e32 v6, 0
	s_and_saveexec_b64 s[30:31], s[26:27]
.LBB241_85:
	v_mov_b32_e32 v6, v4
.LBB241_86:
	s_or_b64 exec, exec, s[30:31]
.LBB241_87:
	s_or_b64 exec, exec, s[20:21]
	s_mov_b64 s[20:21], 0
	global_store_byte v[0:1], v6, off
.LBB241_88:
	s_and_b64 vcc, exec, s[20:21]
	s_cbranch_vccz .LBB241_98
; %bb.89:
	v_cndmask_b32_e64 v4, 0, 1.0, s[2:3]
	s_mov_b32 s20, 0x43f00000
	v_cmp_gt_u32_e32 vcc, s20, v4
                                        ; implicit-def: $vgpr5
	s_and_saveexec_b64 s[20:21], vcc
	s_xor_b64 s[20:21], exec, s[20:21]
	s_cbranch_execz .LBB241_95
; %bb.90:
	s_mov_b32 s26, 0x3c7fffff
	v_cmp_lt_u32_e32 vcc, s26, v4
                                        ; implicit-def: $vgpr5
	s_and_saveexec_b64 s[26:27], vcc
	s_xor_b64 s[26:27], exec, s[26:27]
; %bb.91:
	v_bfe_u32 v5, v4, 20, 1
	s_mov_b32 s30, 0x407ffff
	v_add3_u32 v4, v4, v5, s30
	v_lshrrev_b32_e32 v5, 20, v4
	v_and_b32_e32 v4, 0xff00000, v4
	s_mov_b32 s30, 0x7f00000
	v_mov_b32_e32 v6, 0x7e
	v_cmp_ne_u32_e32 vcc, s30, v4
	v_cndmask_b32_e32 v5, v6, v5, vcc
                                        ; implicit-def: $vgpr4
; %bb.92:
	s_andn2_saveexec_b64 s[26:27], s[26:27]
; %bb.93:
	v_add_f32_e32 v5, 0x46800000, v4
; %bb.94:
	s_or_b64 exec, exec, s[26:27]
                                        ; implicit-def: $vgpr4
.LBB241_95:
	s_andn2_saveexec_b64 s[20:21], s[20:21]
; %bb.96:
	s_mov_b32 s26, 0x7f800000
	v_mov_b32_e32 v5, 0x7e
	v_mov_b32_e32 v6, 0x7f
	v_cmp_lt_u32_e32 vcc, s26, v4
	v_cndmask_b32_e32 v5, v5, v6, vcc
; %bb.97:
	s_or_b64 exec, exec, s[20:21]
	global_store_byte v[0:1], v5, off
.LBB241_98:
	s_mov_b64 s[20:21], 0
.LBB241_99:
	s_andn2_b64 vcc, exec, s[20:21]
	s_cbranch_vccnz .LBB241_109
; %bb.100:
	v_cndmask_b32_e64 v4, 0, 1.0, s[2:3]
	s_mov_b32 s20, 0x47800000
	v_cmp_gt_u32_e32 vcc, s20, v4
                                        ; implicit-def: $vgpr5
	s_and_saveexec_b64 s[20:21], vcc
	s_xor_b64 s[20:21], exec, s[20:21]
	s_cbranch_execz .LBB241_106
; %bb.101:
	s_mov_b32 s26, 0x387fffff
	v_cmp_lt_u32_e32 vcc, s26, v4
                                        ; implicit-def: $vgpr5
	s_and_saveexec_b64 s[26:27], vcc
	s_xor_b64 s[26:27], exec, s[26:27]
; %bb.102:
	v_bfe_u32 v5, v4, 21, 1
	s_mov_b32 s30, 0x80fffff
	v_add3_u32 v4, v4, v5, s30
	v_lshrrev_b32_e32 v5, 21, v4
                                        ; implicit-def: $vgpr4
; %bb.103:
	s_andn2_saveexec_b64 s[26:27], s[26:27]
; %bb.104:
	v_add_f32_e32 v5, 0x43000000, v4
; %bb.105:
	s_or_b64 exec, exec, s[26:27]
                                        ; implicit-def: $vgpr4
.LBB241_106:
	s_andn2_saveexec_b64 s[20:21], s[20:21]
; %bb.107:
	s_mov_b32 s26, 0x7f800000
	v_mov_b32_e32 v5, 0x7c
	v_mov_b32_e32 v6, 0x7f
	v_cmp_lt_u32_e32 vcc, s26, v4
	v_cndmask_b32_e32 v5, v5, v6, vcc
; %bb.108:
	s_or_b64 exec, exec, s[20:21]
	global_store_byte v[0:1], v5, off
.LBB241_109:
	s_mov_b64 s[26:27], 0
	s_mov_b64 s[20:21], -1
.LBB241_110:
	s_andn2_b64 vcc, exec, s[26:27]
	s_cbranch_vccnz .LBB241_118
; %bb.111:
	s_cmp_gt_i32 s35, 14
	s_mov_b64 s[26:27], -1
	s_cbranch_scc0 .LBB241_115
; %bb.112:
	s_cmp_eq_u32 s35, 15
	s_mov_b64 s[4:5], -1
	s_cbranch_scc0 .LBB241_114
; %bb.113:
	v_cndmask_b32_e64 v4, 0, 1.0, s[2:3]
	v_bfe_u32 v5, v4, 16, 1
	s_movk_i32 s4, 0x7fff
	v_add3_u32 v4, v4, v5, s4
	global_store_short_d16_hi v[0:1], v4, off
	s_mov_b64 s[20:21], -1
	s_mov_b64 s[4:5], 0
.LBB241_114:
	s_mov_b64 s[26:27], 0
.LBB241_115:
	s_and_b64 vcc, exec, s[26:27]
	s_cbranch_vccz .LBB241_118
; %bb.116:
	s_cmp_eq_u32 s35, 11
	s_mov_b64 s[4:5], -1
	s_cbranch_scc0 .LBB241_118
; %bb.117:
	v_cndmask_b32_e64 v4, 0, 1, s[2:3]
	s_mov_b64 s[20:21], -1
	s_mov_b64 s[4:5], 0
	global_store_byte v[0:1], v4, off
.LBB241_118:
	s_branch .LBB241_28
.LBB241_119:
	s_and_b32 s26, 0xffff, s34
	s_cmp_lt_i32 s26, 5
	s_mov_b64 s[20:21], -1
	s_cbranch_scc1 .LBB241_140
; %bb.120:
	s_cmp_lt_i32 s26, 8
	s_cbranch_scc1 .LBB241_130
; %bb.121:
	s_cmp_lt_i32 s26, 9
	s_cbranch_scc1 .LBB241_127
; %bb.122:
	s_cmp_gt_i32 s26, 9
	s_cbranch_scc0 .LBB241_124
; %bb.123:
	v_cndmask_b32_e64 v4, 0, 1, s[2:3]
	v_cvt_f64_u32_e32 v[4:5], v4
	v_mov_b32_e32 v6, 0
	v_mov_b32_e32 v7, v6
	s_mov_b64 s[20:21], 0
	global_store_dwordx4 v[0:1], v[4:7], off
.LBB241_124:
	s_andn2_b64 vcc, exec, s[20:21]
	s_cbranch_vccnz .LBB241_126
; %bb.125:
	v_cndmask_b32_e64 v4, 0, 1.0, s[2:3]
	v_mov_b32_e32 v5, 0
	global_store_dwordx2 v[0:1], v[4:5], off
.LBB241_126:
	s_mov_b64 s[20:21], 0
.LBB241_127:
	s_andn2_b64 vcc, exec, s[20:21]
	s_cbranch_vccnz .LBB241_129
; %bb.128:
	v_cndmask_b32_e64 v4, 0, 1.0, s[2:3]
	v_cvt_f16_f32_e32 v4, v4
	global_store_dword v[0:1], v4, off
.LBB241_129:
	s_mov_b64 s[20:21], 0
.LBB241_130:
	s_andn2_b64 vcc, exec, s[20:21]
	s_cbranch_vccnz .LBB241_139
; %bb.131:
	s_cmp_lt_i32 s26, 6
	s_mov_b64 s[20:21], -1
	s_cbranch_scc1 .LBB241_137
; %bb.132:
	s_cmp_gt_i32 s26, 6
	s_cbranch_scc0 .LBB241_134
; %bb.133:
	v_cndmask_b32_e64 v4, 0, 1, s[2:3]
	v_cvt_f64_u32_e32 v[4:5], v4
	s_mov_b64 s[20:21], 0
	global_store_dwordx2 v[0:1], v[4:5], off
.LBB241_134:
	s_andn2_b64 vcc, exec, s[20:21]
	s_cbranch_vccnz .LBB241_136
; %bb.135:
	v_cndmask_b32_e64 v4, 0, 1.0, s[2:3]
	global_store_dword v[0:1], v4, off
.LBB241_136:
	s_mov_b64 s[20:21], 0
.LBB241_137:
	s_andn2_b64 vcc, exec, s[20:21]
	s_cbranch_vccnz .LBB241_139
; %bb.138:
	v_cndmask_b32_e64 v4, 0, 1.0, s[2:3]
	v_cvt_f16_f32_e32 v4, v4
	global_store_short v[0:1], v4, off
.LBB241_139:
	s_mov_b64 s[20:21], 0
.LBB241_140:
	s_andn2_b64 vcc, exec, s[20:21]
	s_cbranch_vccnz .LBB241_156
; %bb.141:
	s_cmp_lt_i32 s26, 2
	s_mov_b64 s[20:21], -1
	s_cbranch_scc1 .LBB241_151
; %bb.142:
	s_cmp_lt_i32 s26, 3
	s_cbranch_scc1 .LBB241_148
; %bb.143:
	s_cmp_gt_i32 s26, 3
	s_cbranch_scc0 .LBB241_145
; %bb.144:
	s_mov_b32 s20, 0
	v_cndmask_b32_e64 v4, 0, 1, s[2:3]
	v_mov_b32_e32 v5, s20
	global_store_dwordx2 v[0:1], v[4:5], off
	s_mov_b64 s[20:21], 0
.LBB241_145:
	s_andn2_b64 vcc, exec, s[20:21]
	s_cbranch_vccnz .LBB241_147
; %bb.146:
	v_cndmask_b32_e64 v4, 0, 1, s[2:3]
	global_store_dword v[0:1], v4, off
.LBB241_147:
	s_mov_b64 s[20:21], 0
.LBB241_148:
	s_andn2_b64 vcc, exec, s[20:21]
	s_cbranch_vccnz .LBB241_150
; %bb.149:
	v_cndmask_b32_e64 v4, 0, 1, s[2:3]
	global_store_short v[0:1], v4, off
.LBB241_150:
	s_mov_b64 s[20:21], 0
.LBB241_151:
	s_andn2_b64 vcc, exec, s[20:21]
	s_cbranch_vccnz .LBB241_156
; %bb.152:
	s_mov_b64 s[20:21], -1
	s_cmp_gt_i32 s26, 0
	v_cndmask_b32_e64 v4, 0, 1, s[2:3]
	s_cbranch_scc0 .LBB241_154
; %bb.153:
	global_store_byte v[0:1], v4, off
	s_mov_b64 s[20:21], 0
.LBB241_154:
	s_andn2_b64 vcc, exec, s[20:21]
	s_cbranch_vccnz .LBB241_156
; %bb.155:
	global_store_byte v[0:1], v4, off
.LBB241_156:
	s_branch .LBB241_29
.LBB241_157:
	s_mov_b64 s[2:3], 0
                                        ; implicit-def: $vgpr2
	s_branch .LBB241_419
.LBB241_158:
	s_mov_b64 s[22:23], -1
                                        ; implicit-def: $vgpr4
.LBB241_159:
	s_mov_b64 s[4:5], 0
.LBB241_160:
	s_and_b64 vcc, exec, s[4:5]
	s_cbranch_vccz .LBB241_172
; %bb.161:
	s_cmp_eq_u32 s26, 29
	s_cbranch_scc0 .LBB241_171
; %bb.162:
	global_load_dwordx2 v[4:5], v[0:1], off
	s_mov_b32 s2, 0x47800000
	s_waitcnt vmcnt(0)
	v_ffbh_u32_e32 v6, v5
	v_min_u32_e32 v6, 32, v6
	v_lshlrev_b64 v[4:5], v6, v[4:5]
	v_min_u32_e32 v4, 1, v4
	v_or_b32_e32 v4, v5, v4
	v_cvt_f32_u32_e32 v4, v4
	v_sub_u32_e32 v5, 32, v6
	v_ldexp_f32 v5, v4, v5
	v_cmp_gt_u32_e32 vcc, s2, v5
                                        ; implicit-def: $vgpr4
	s_and_saveexec_b64 s[2:3], vcc
	s_xor_b64 s[2:3], exec, s[2:3]
	s_cbranch_execz .LBB241_168
; %bb.163:
	s_mov_b32 s4, 0x387fffff
	v_cmp_lt_u32_e32 vcc, s4, v5
                                        ; implicit-def: $vgpr4
	s_and_saveexec_b64 s[4:5], vcc
	s_xor_b64 s[4:5], exec, s[4:5]
; %bb.164:
	v_bfe_u32 v4, v5, 21, 1
	s_mov_b32 s20, 0x80fffff
	v_add3_u32 v4, v5, v4, s20
	v_lshrrev_b32_e32 v4, 21, v4
                                        ; implicit-def: $vgpr5
; %bb.165:
	s_andn2_saveexec_b64 s[4:5], s[4:5]
; %bb.166:
	v_add_f32_e32 v4, 0x43000000, v5
; %bb.167:
	s_or_b64 exec, exec, s[4:5]
                                        ; implicit-def: $vgpr5
.LBB241_168:
	s_andn2_saveexec_b64 s[2:3], s[2:3]
; %bb.169:
	s_mov_b32 s4, 0x7f800000
	v_mov_b32_e32 v4, 0x7c
	v_mov_b32_e32 v6, 0x7f
	v_cmp_lt_u32_e32 vcc, s4, v5
	v_cndmask_b32_e32 v4, v4, v6, vcc
; %bb.170:
	s_or_b64 exec, exec, s[2:3]
	s_mov_b64 s[2:3], -1
	s_mov_b64 s[22:23], 0
	s_branch .LBB241_172
.LBB241_171:
	s_mov_b64 s[22:23], -1
                                        ; implicit-def: $vgpr4
.LBB241_172:
	s_mov_b64 s[4:5], 0
.LBB241_173:
	s_and_b64 vcc, exec, s[4:5]
	s_cbranch_vccz .LBB241_215
; %bb.174:
	s_cmp_lt_i32 s26, 27
	s_cbranch_scc1 .LBB241_185
; %bb.175:
	s_cmp_gt_i32 s26, 27
	s_cbranch_scc0 .LBB241_186
; %bb.176:
	global_load_dword v4, v[0:1], off
	s_mov_b32 s2, 0x47800000
	s_waitcnt vmcnt(0)
	v_cvt_f32_u32_e32 v5, v4
                                        ; implicit-def: $vgpr4
	v_cmp_gt_u32_e32 vcc, s2, v5
	s_and_saveexec_b64 s[2:3], vcc
	s_xor_b64 s[2:3], exec, s[2:3]
	s_cbranch_execz .LBB241_182
; %bb.177:
	s_mov_b32 s4, 0x387fffff
	v_cmp_lt_u32_e32 vcc, s4, v5
                                        ; implicit-def: $vgpr4
	s_and_saveexec_b64 s[4:5], vcc
	s_xor_b64 s[4:5], exec, s[4:5]
; %bb.178:
	v_bfe_u32 v4, v5, 21, 1
	s_mov_b32 s20, 0x80fffff
	v_add3_u32 v4, v5, v4, s20
	v_lshrrev_b32_e32 v4, 21, v4
                                        ; implicit-def: $vgpr5
; %bb.179:
	s_andn2_saveexec_b64 s[4:5], s[4:5]
; %bb.180:
	v_add_f32_e32 v4, 0x43000000, v5
; %bb.181:
	s_or_b64 exec, exec, s[4:5]
                                        ; implicit-def: $vgpr5
.LBB241_182:
	s_andn2_saveexec_b64 s[2:3], s[2:3]
; %bb.183:
	s_mov_b32 s4, 0x7f800000
	v_mov_b32_e32 v4, 0x7c
	v_mov_b32_e32 v6, 0x7f
	v_cmp_lt_u32_e32 vcc, s4, v5
	v_cndmask_b32_e32 v4, v4, v6, vcc
; %bb.184:
	s_or_b64 exec, exec, s[2:3]
	s_mov_b64 s[2:3], 0
	s_branch .LBB241_187
.LBB241_185:
	s_mov_b64 s[2:3], -1
                                        ; implicit-def: $vgpr4
	s_branch .LBB241_198
.LBB241_186:
	s_mov_b64 s[2:3], -1
                                        ; implicit-def: $vgpr4
.LBB241_187:
	s_and_b64 vcc, exec, s[2:3]
	s_cbranch_vccz .LBB241_197
; %bb.188:
	global_load_ushort v4, v[0:1], off
	s_mov_b32 s2, 0x47800000
	s_waitcnt vmcnt(0)
	v_cvt_f32_u32_e32 v5, v4
                                        ; implicit-def: $vgpr4
	v_cmp_gt_u32_e32 vcc, s2, v5
	s_and_saveexec_b64 s[2:3], vcc
	s_xor_b64 s[2:3], exec, s[2:3]
	s_cbranch_execz .LBB241_194
; %bb.189:
	s_mov_b32 s4, 0x387fffff
	v_cmp_lt_u32_e32 vcc, s4, v5
                                        ; implicit-def: $vgpr4
	s_and_saveexec_b64 s[4:5], vcc
	s_xor_b64 s[4:5], exec, s[4:5]
; %bb.190:
	v_bfe_u32 v4, v5, 21, 1
	s_mov_b32 s20, 0x80fffff
	v_add3_u32 v4, v5, v4, s20
	v_lshrrev_b32_e32 v4, 21, v4
                                        ; implicit-def: $vgpr5
; %bb.191:
	s_andn2_saveexec_b64 s[4:5], s[4:5]
; %bb.192:
	v_add_f32_e32 v4, 0x43000000, v5
; %bb.193:
	s_or_b64 exec, exec, s[4:5]
                                        ; implicit-def: $vgpr5
.LBB241_194:
	s_andn2_saveexec_b64 s[2:3], s[2:3]
; %bb.195:
	s_mov_b32 s4, 0x7f800000
	v_mov_b32_e32 v4, 0x7c
	v_mov_b32_e32 v6, 0x7f
	v_cmp_lt_u32_e32 vcc, s4, v5
	v_cndmask_b32_e32 v4, v4, v6, vcc
; %bb.196:
	s_or_b64 exec, exec, s[2:3]
.LBB241_197:
	s_mov_b64 s[2:3], 0
.LBB241_198:
	s_andn2_b64 vcc, exec, s[2:3]
	s_cbranch_vccnz .LBB241_214
; %bb.199:
	global_load_ubyte v5, v[0:1], off
	s_movk_i32 s2, 0x7f
	s_waitcnt vmcnt(0)
	v_cmp_lt_i16_e32 vcc, s2, v5
	s_mov_b64 s[2:3], 0
	s_and_saveexec_b64 s[4:5], vcc
	s_xor_b64 s[4:5], exec, s[4:5]
	s_cbranch_execz .LBB241_235
; %bb.200:
	s_movk_i32 s2, 0x80
	v_cmp_eq_u16_e32 vcc, s2, v5
	s_mov_b64 s[2:3], -1
	s_and_saveexec_b64 s[20:21], vcc
; %bb.201:
	s_xor_b64 s[2:3], exec, -1
; %bb.202:
	s_or_b64 exec, exec, s[20:21]
	s_and_b64 s[2:3], s[2:3], exec
	s_or_saveexec_b64 s[4:5], s[4:5]
	v_mov_b32_e32 v4, 0x7f800001
	s_xor_b64 exec, exec, s[4:5]
	s_cbranch_execnz .LBB241_236
.LBB241_203:
	s_or_b64 exec, exec, s[4:5]
	s_and_saveexec_b64 s[4:5], s[2:3]
	s_cbranch_execz .LBB241_205
.LBB241_204:
	v_lshlrev_b32_e32 v4, 24, v5
	v_and_b32_e32 v5, 0xffff, v5
	v_and_b32_e32 v6, 7, v5
	v_ffbh_u32_e32 v8, v6
	v_min_u32_e32 v8, 32, v8
	v_subrev_u32_e32 v9, 28, v8
	v_bfe_u32 v7, v5, 3, 4
	v_lshlrev_b32_e32 v5, v9, v5
	v_sub_u32_e32 v8, 29, v8
	v_and_b32_e32 v5, 7, v5
	v_cmp_eq_u32_e32 vcc, 0, v7
	v_cndmask_b32_e32 v7, v7, v8, vcc
	v_cndmask_b32_e32 v5, v6, v5, vcc
	v_mov_b32_e32 v6, 0x3b800000
	v_lshlrev_b32_e32 v5, 20, v5
	v_and_b32_e32 v4, 0x80000000, v4
	v_lshl_add_u32 v6, v7, 23, v6
	v_or3_b32 v4, v4, v6, v5
.LBB241_205:
	s_or_b64 exec, exec, s[4:5]
	v_and_b32_e32 v6, 0x7fffffff, v4
	s_mov_b32 s2, 0x47800000
	v_cmp_gt_u32_e32 vcc, s2, v6
                                        ; implicit-def: $vgpr5
	s_and_saveexec_b64 s[2:3], vcc
	s_xor_b64 s[2:3], exec, s[2:3]
	s_cbranch_execz .LBB241_211
; %bb.206:
	s_mov_b32 s4, 0x387fffff
	v_cmp_lt_u32_e32 vcc, s4, v6
                                        ; implicit-def: $vgpr5
	s_and_saveexec_b64 s[4:5], vcc
	s_xor_b64 s[4:5], exec, s[4:5]
; %bb.207:
	v_bfe_u32 v5, v4, 21, 1
	s_mov_b32 s20, 0x80fffff
	v_add3_u32 v5, v4, v5, s20
	v_lshrrev_b32_e32 v5, 21, v5
; %bb.208:
	s_andn2_saveexec_b64 s[4:5], s[4:5]
; %bb.209:
	s_mov_b32 s20, 0x43000000
	v_add_f32_e64 v5, |v4|, s20
; %bb.210:
	s_or_b64 exec, exec, s[4:5]
                                        ; implicit-def: $vgpr6
.LBB241_211:
	s_andn2_saveexec_b64 s[2:3], s[2:3]
; %bb.212:
	s_mov_b32 s4, 0x7f800000
	v_mov_b32_e32 v5, 0x7c
	v_mov_b32_e32 v7, 0x7f
	v_cmp_lt_u32_e32 vcc, s4, v6
	v_cndmask_b32_e32 v5, v5, v7, vcc
; %bb.213:
	s_or_b64 exec, exec, s[2:3]
	v_lshrrev_b32_e32 v4, 24, v4
	s_movk_i32 s2, 0x80
	v_and_or_b32 v4, v4, s2, v5
.LBB241_214:
	s_mov_b64 s[2:3], -1
.LBB241_215:
	s_branch .LBB241_282
.LBB241_216:
	s_cmp_gt_i32 s26, 22
	s_cbranch_scc0 .LBB241_234
; %bb.217:
	s_cmp_lt_i32 s26, 24
	s_cbranch_scc1 .LBB241_237
; %bb.218:
	s_cmp_gt_i32 s26, 24
	s_cbranch_scc0 .LBB241_238
; %bb.219:
	global_load_ubyte v5, v[0:1], off
	s_movk_i32 s2, 0x7f
	s_waitcnt vmcnt(0)
	v_cmp_lt_i16_e32 vcc, s2, v5
	s_mov_b64 s[2:3], 0
	s_and_saveexec_b64 s[4:5], vcc
	s_xor_b64 s[4:5], exec, s[4:5]
	s_cbranch_execz .LBB241_266
; %bb.220:
	s_movk_i32 s2, 0x80
	v_cmp_eq_u16_e32 vcc, s2, v5
	s_mov_b64 s[2:3], -1
	s_and_saveexec_b64 s[20:21], vcc
; %bb.221:
	s_xor_b64 s[2:3], exec, -1
; %bb.222:
	s_or_b64 exec, exec, s[20:21]
	s_and_b64 s[2:3], s[2:3], exec
	s_or_saveexec_b64 s[4:5], s[4:5]
	v_mov_b32_e32 v4, 0x7f800001
	s_xor_b64 exec, exec, s[4:5]
	s_cbranch_execnz .LBB241_267
.LBB241_223:
	s_or_b64 exec, exec, s[4:5]
	s_and_saveexec_b64 s[4:5], s[2:3]
	s_cbranch_execz .LBB241_225
.LBB241_224:
	v_lshlrev_b32_e32 v4, 24, v5
	v_and_b32_e32 v5, 0xffff, v5
	v_and_b32_e32 v6, 3, v5
	v_ffbh_u32_e32 v8, v6
	v_min_u32_e32 v8, 32, v8
	v_subrev_u32_e32 v9, 29, v8
	v_bfe_u32 v7, v5, 2, 5
	v_lshlrev_b32_e32 v5, v9, v5
	v_sub_u32_e32 v8, 30, v8
	v_and_b32_e32 v5, 3, v5
	v_cmp_eq_u32_e32 vcc, 0, v7
	v_cndmask_b32_e32 v7, v7, v8, vcc
	v_cndmask_b32_e32 v5, v6, v5, vcc
	v_mov_b32_e32 v6, 0x37800000
	v_lshlrev_b32_e32 v5, 21, v5
	v_and_b32_e32 v4, 0x80000000, v4
	v_lshl_add_u32 v6, v7, 23, v6
	v_or3_b32 v4, v4, v6, v5
.LBB241_225:
	s_or_b64 exec, exec, s[4:5]
	v_and_b32_e32 v6, 0x7fffffff, v4
	s_mov_b32 s2, 0x47800000
	v_cmp_gt_u32_e32 vcc, s2, v6
                                        ; implicit-def: $vgpr5
	s_and_saveexec_b64 s[2:3], vcc
	s_xor_b64 s[2:3], exec, s[2:3]
	s_cbranch_execz .LBB241_231
; %bb.226:
	s_mov_b32 s4, 0x387fffff
	v_cmp_lt_u32_e32 vcc, s4, v6
                                        ; implicit-def: $vgpr5
	s_and_saveexec_b64 s[4:5], vcc
	s_xor_b64 s[4:5], exec, s[4:5]
; %bb.227:
	v_bfe_u32 v5, v4, 21, 1
	s_mov_b32 s20, 0x80fffff
	v_add3_u32 v5, v4, v5, s20
	v_lshrrev_b32_e32 v5, 21, v5
; %bb.228:
	s_andn2_saveexec_b64 s[4:5], s[4:5]
; %bb.229:
	s_mov_b32 s20, 0x43000000
	v_add_f32_e64 v5, |v4|, s20
; %bb.230:
	s_or_b64 exec, exec, s[4:5]
                                        ; implicit-def: $vgpr6
.LBB241_231:
	s_andn2_saveexec_b64 s[2:3], s[2:3]
; %bb.232:
	s_mov_b32 s4, 0x7f800000
	v_mov_b32_e32 v5, 0x7c
	v_mov_b32_e32 v7, 0x7f
	v_cmp_lt_u32_e32 vcc, s4, v6
	v_cndmask_b32_e32 v5, v5, v7, vcc
; %bb.233:
	s_or_b64 exec, exec, s[2:3]
	v_lshrrev_b32_e32 v4, 24, v4
	s_movk_i32 s2, 0x80
	v_and_or_b32 v4, v4, s2, v5
	s_mov_b64 s[2:3], 0
	s_branch .LBB241_239
.LBB241_234:
	s_mov_b64 s[4:5], -1
                                        ; implicit-def: $vgpr4
	s_branch .LBB241_253
.LBB241_235:
	s_or_saveexec_b64 s[4:5], s[4:5]
	v_mov_b32_e32 v4, 0x7f800001
	s_xor_b64 exec, exec, s[4:5]
	s_cbranch_execz .LBB241_203
.LBB241_236:
	v_cmp_ne_u16_e32 vcc, 0, v5
	s_andn2_b64 s[2:3], s[2:3], exec
	s_and_b64 s[20:21], vcc, exec
	v_mov_b32_e32 v4, 0
	s_or_b64 s[2:3], s[2:3], s[20:21]
	s_or_b64 exec, exec, s[4:5]
	s_and_saveexec_b64 s[4:5], s[2:3]
	s_cbranch_execnz .LBB241_204
	s_branch .LBB241_205
.LBB241_237:
	s_mov_b64 s[2:3], -1
                                        ; implicit-def: $vgpr4
	s_branch .LBB241_250
.LBB241_238:
	s_mov_b64 s[2:3], -1
                                        ; implicit-def: $vgpr4
.LBB241_239:
	s_and_b64 vcc, exec, s[2:3]
	s_cbranch_vccz .LBB241_249
; %bb.240:
	global_load_ubyte v4, v[0:1], off
	s_mov_b32 s2, 0x7f800000
	s_brev_b32 s3, 1
	s_waitcnt vmcnt(0)
	v_lshlrev_b32_e32 v4, 24, v4
	v_and_b32_e32 v5, 0x7f000000, v4
	v_ffbh_u32_e32 v6, v5
	v_min_u32_e32 v6, 32, v6
	v_sub_u32_e64 v6, v6, 4 clamp
	v_lshlrev_b32_e32 v8, v6, v5
	v_lshlrev_b32_e32 v6, 23, v6
	v_lshrrev_b32_e32 v8, 4, v8
	v_add_u32_e32 v7, 0x1000000, v5
	v_sub_u32_e32 v6, v8, v6
	v_ashrrev_i32_e32 v7, 8, v7
	v_add_u32_e32 v6, 0x3c000000, v6
	v_and_or_b32 v6, v7, s2, v6
	v_cmp_ne_u32_e32 vcc, 0, v5
	v_cndmask_b32_e32 v7, 0, v6, vcc
	v_and_or_b32 v4, v4, s3, v7
	v_and_b32_e32 v6, 0x7fffffff, v4
	s_mov_b32 s2, 0x47800000
	v_cmp_gt_u32_e32 vcc, s2, v6
                                        ; implicit-def: $vgpr5
	s_and_saveexec_b64 s[2:3], vcc
	s_xor_b64 s[2:3], exec, s[2:3]
	s_cbranch_execz .LBB241_246
; %bb.241:
	s_mov_b32 s4, 0x387fffff
	v_cmp_lt_u32_e32 vcc, s4, v6
                                        ; implicit-def: $vgpr5
	s_and_saveexec_b64 s[4:5], vcc
	s_xor_b64 s[4:5], exec, s[4:5]
; %bb.242:
	v_bfe_u32 v5, v7, 21, 1
	s_mov_b32 s20, 0x80fffff
	v_add3_u32 v5, v4, v5, s20
	v_lshrrev_b32_e32 v5, 21, v5
; %bb.243:
	s_andn2_saveexec_b64 s[4:5], s[4:5]
; %bb.244:
	s_mov_b32 s20, 0x43000000
	v_add_f32_e64 v5, |v4|, s20
; %bb.245:
	s_or_b64 exec, exec, s[4:5]
                                        ; implicit-def: $vgpr6
.LBB241_246:
	s_andn2_saveexec_b64 s[2:3], s[2:3]
; %bb.247:
	s_mov_b32 s4, 0x7f800000
	v_mov_b32_e32 v5, 0x7c
	v_mov_b32_e32 v7, 0x7f
	v_cmp_lt_u32_e32 vcc, s4, v6
	v_cndmask_b32_e32 v5, v5, v7, vcc
; %bb.248:
	s_or_b64 exec, exec, s[2:3]
	v_lshrrev_b32_e32 v4, 24, v4
	s_movk_i32 s2, 0x80
	v_and_or_b32 v4, v4, s2, v5
.LBB241_249:
	s_mov_b64 s[2:3], 0
.LBB241_250:
	s_andn2_b64 vcc, exec, s[2:3]
	s_cbranch_vccnz .LBB241_252
; %bb.251:
	global_load_ubyte v4, v[0:1], off
.LBB241_252:
	s_mov_b64 s[4:5], 0
	s_mov_b64 s[2:3], -1
.LBB241_253:
	s_andn2_b64 vcc, exec, s[4:5]
	s_cbranch_vccnz .LBB241_282
; %bb.254:
	s_cmp_gt_i32 s26, 14
	s_cbranch_scc0 .LBB241_265
; %bb.255:
	s_cmp_eq_u32 s26, 15
	s_cbranch_scc0 .LBB241_268
; %bb.256:
	global_load_ushort v4, v[0:1], off
	s_mov_b32 s2, 0x47800000
                                        ; implicit-def: $vgpr5
	s_waitcnt vmcnt(0)
	v_lshlrev_b32_e32 v6, 16, v4
	v_and_b32_e32 v7, 0x7fffffff, v6
	v_cmp_gt_u32_e32 vcc, s2, v7
	s_and_saveexec_b64 s[2:3], vcc
	s_xor_b64 s[2:3], exec, s[2:3]
	s_cbranch_execz .LBB241_262
; %bb.257:
	s_mov_b32 s4, 0x387fffff
	v_cmp_lt_u32_e32 vcc, s4, v7
                                        ; implicit-def: $vgpr5
	s_and_saveexec_b64 s[4:5], vcc
	s_xor_b64 s[4:5], exec, s[4:5]
; %bb.258:
	v_bfe_u32 v5, v4, 5, 1
	s_mov_b32 s20, 0x80fffff
	v_add3_u32 v5, v6, v5, s20
	v_lshrrev_b32_e32 v5, 21, v5
                                        ; implicit-def: $vgpr6
; %bb.259:
	s_andn2_saveexec_b64 s[4:5], s[4:5]
; %bb.260:
	s_mov_b32 s20, 0x43000000
	v_add_f32_e64 v5, |v6|, s20
; %bb.261:
	s_or_b64 exec, exec, s[4:5]
                                        ; implicit-def: $vgpr7
.LBB241_262:
	s_andn2_saveexec_b64 s[2:3], s[2:3]
; %bb.263:
	s_mov_b32 s4, 0x7f800000
	v_mov_b32_e32 v5, 0x7c
	v_mov_b32_e32 v6, 0x7f
	v_cmp_lt_u32_e32 vcc, s4, v7
	v_cndmask_b32_e32 v5, v5, v6, vcc
; %bb.264:
	s_or_b64 exec, exec, s[2:3]
	v_lshrrev_b32_e32 v4, 8, v4
	s_movk_i32 s2, 0x80
	v_and_or_b32 v4, v4, s2, v5
	s_mov_b64 s[2:3], -1
	s_mov_b64 s[22:23], 0
	s_branch .LBB241_269
.LBB241_265:
	s_mov_b64 s[4:5], -1
                                        ; implicit-def: $vgpr4
	s_branch .LBB241_270
.LBB241_266:
	s_or_saveexec_b64 s[4:5], s[4:5]
	v_mov_b32_e32 v4, 0x7f800001
	s_xor_b64 exec, exec, s[4:5]
	s_cbranch_execz .LBB241_223
.LBB241_267:
	v_cmp_ne_u16_e32 vcc, 0, v5
	s_andn2_b64 s[2:3], s[2:3], exec
	s_and_b64 s[20:21], vcc, exec
	v_mov_b32_e32 v4, 0
	s_or_b64 s[2:3], s[2:3], s[20:21]
	s_or_b64 exec, exec, s[4:5]
	s_and_saveexec_b64 s[4:5], s[2:3]
	s_cbranch_execnz .LBB241_224
	s_branch .LBB241_225
.LBB241_268:
	s_mov_b64 s[22:23], -1
                                        ; implicit-def: $vgpr4
.LBB241_269:
	s_mov_b64 s[4:5], 0
.LBB241_270:
	s_and_b64 vcc, exec, s[4:5]
	s_cbranch_vccz .LBB241_282
; %bb.271:
	s_cmp_eq_u32 s26, 11
	s_cbranch_scc0 .LBB241_281
; %bb.272:
	global_load_ubyte v4, v[0:1], off
	s_mov_b32 s2, 0x47800000
	s_waitcnt vmcnt(0)
	v_cmp_ne_u16_e32 vcc, 0, v4
	v_cndmask_b32_e64 v5, 0, 1.0, vcc
	v_cmp_gt_u32_e32 vcc, s2, v5
                                        ; implicit-def: $vgpr4
	s_and_saveexec_b64 s[2:3], vcc
	s_xor_b64 s[2:3], exec, s[2:3]
	s_cbranch_execz .LBB241_278
; %bb.273:
	s_mov_b32 s4, 0x387fffff
	v_cmp_lt_u32_e32 vcc, s4, v5
                                        ; implicit-def: $vgpr4
	s_and_saveexec_b64 s[4:5], vcc
	s_xor_b64 s[4:5], exec, s[4:5]
; %bb.274:
	v_bfe_u32 v4, v5, 21, 1
	s_mov_b32 s20, 0x80fffff
	v_add3_u32 v4, v5, v4, s20
	v_lshrrev_b32_e32 v4, 21, v4
                                        ; implicit-def: $vgpr5
; %bb.275:
	s_andn2_saveexec_b64 s[4:5], s[4:5]
; %bb.276:
	v_add_f32_e32 v4, 0x43000000, v5
; %bb.277:
	s_or_b64 exec, exec, s[4:5]
                                        ; implicit-def: $vgpr5
.LBB241_278:
	s_andn2_saveexec_b64 s[2:3], s[2:3]
; %bb.279:
	s_mov_b32 s4, 0x7f800000
	v_mov_b32_e32 v4, 0x7c
	v_mov_b32_e32 v6, 0x7f
	v_cmp_lt_u32_e32 vcc, s4, v5
	v_cndmask_b32_e32 v4, v4, v6, vcc
; %bb.280:
	s_or_b64 exec, exec, s[2:3]
	s_mov_b64 s[2:3], -1
	s_mov_b64 s[22:23], 0
	s_branch .LBB241_282
.LBB241_281:
	s_mov_b64 s[22:23], -1
                                        ; implicit-def: $vgpr4
.LBB241_282:
	s_branch .LBB241_18
.LBB241_283:
	s_cmp_lt_i32 s26, 5
	s_cbranch_scc1 .LBB241_296
; %bb.284:
	s_cmp_lt_i32 s26, 8
	s_cbranch_scc1 .LBB241_297
; %bb.285:
	;; [unrolled: 3-line block ×3, first 2 shown]
	s_cmp_gt_i32 s26, 9
	s_cbranch_scc0 .LBB241_299
; %bb.287:
	global_load_dwordx2 v[4:5], v[0:1], off
	s_mov_b32 s2, 0x47800000
	s_waitcnt vmcnt(0)
	v_cvt_f32_f64_e32 v4, v[4:5]
                                        ; implicit-def: $vgpr5
	v_and_b32_e32 v6, 0x7fffffff, v4
	v_cmp_gt_u32_e32 vcc, s2, v6
	s_and_saveexec_b64 s[2:3], vcc
	s_xor_b64 s[2:3], exec, s[2:3]
	s_cbranch_execz .LBB241_293
; %bb.288:
	s_mov_b32 s4, 0x387fffff
	v_cmp_lt_u32_e32 vcc, s4, v6
                                        ; implicit-def: $vgpr5
	s_and_saveexec_b64 s[4:5], vcc
	s_xor_b64 s[4:5], exec, s[4:5]
; %bb.289:
	v_bfe_u32 v5, v4, 21, 1
	s_mov_b32 s20, 0x80fffff
	v_add3_u32 v5, v4, v5, s20
	v_lshrrev_b32_e32 v5, 21, v5
; %bb.290:
	s_andn2_saveexec_b64 s[4:5], s[4:5]
; %bb.291:
	s_mov_b32 s20, 0x43000000
	v_add_f32_e64 v5, |v4|, s20
; %bb.292:
	s_or_b64 exec, exec, s[4:5]
                                        ; implicit-def: $vgpr6
.LBB241_293:
	s_andn2_saveexec_b64 s[2:3], s[2:3]
; %bb.294:
	s_mov_b32 s4, 0x7f800000
	v_mov_b32_e32 v5, 0x7c
	v_mov_b32_e32 v7, 0x7f
	v_cmp_lt_u32_e32 vcc, s4, v6
	v_cndmask_b32_e32 v5, v5, v7, vcc
; %bb.295:
	s_or_b64 exec, exec, s[2:3]
	v_lshrrev_b32_e32 v4, 24, v4
	s_movk_i32 s2, 0x80
	v_and_or_b32 v4, v4, s2, v5
	s_mov_b64 s[2:3], 0
	s_branch .LBB241_300
.LBB241_296:
                                        ; implicit-def: $vgpr4
	s_branch .LBB241_358
.LBB241_297:
	s_mov_b64 s[2:3], -1
                                        ; implicit-def: $vgpr4
	s_branch .LBB241_322
.LBB241_298:
	s_mov_b64 s[2:3], -1
                                        ; implicit-def: $vgpr4
	s_branch .LBB241_311
.LBB241_299:
	s_mov_b64 s[2:3], -1
                                        ; implicit-def: $vgpr4
.LBB241_300:
	s_and_b64 vcc, exec, s[2:3]
	s_cbranch_vccz .LBB241_310
; %bb.301:
	global_load_dword v4, v[0:1], off
	s_mov_b32 s2, 0x47800000
                                        ; implicit-def: $vgpr5
	s_waitcnt vmcnt(0)
	v_and_b32_e32 v6, 0x7fffffff, v4
	v_cmp_gt_u32_e32 vcc, s2, v6
	s_and_saveexec_b64 s[2:3], vcc
	s_xor_b64 s[2:3], exec, s[2:3]
	s_cbranch_execz .LBB241_307
; %bb.302:
	s_mov_b32 s4, 0x387fffff
	v_cmp_lt_u32_e32 vcc, s4, v6
                                        ; implicit-def: $vgpr5
	s_and_saveexec_b64 s[4:5], vcc
	s_xor_b64 s[4:5], exec, s[4:5]
; %bb.303:
	v_bfe_u32 v5, v4, 21, 1
	s_mov_b32 s20, 0x80fffff
	v_add3_u32 v5, v4, v5, s20
	v_lshrrev_b32_e32 v5, 21, v5
; %bb.304:
	s_andn2_saveexec_b64 s[4:5], s[4:5]
; %bb.305:
	s_mov_b32 s20, 0x43000000
	v_add_f32_e64 v5, |v4|, s20
; %bb.306:
	s_or_b64 exec, exec, s[4:5]
                                        ; implicit-def: $vgpr6
.LBB241_307:
	s_andn2_saveexec_b64 s[2:3], s[2:3]
; %bb.308:
	s_mov_b32 s4, 0x7f800000
	v_mov_b32_e32 v5, 0x7c
	v_mov_b32_e32 v7, 0x7f
	v_cmp_lt_u32_e32 vcc, s4, v6
	v_cndmask_b32_e32 v5, v5, v7, vcc
; %bb.309:
	s_or_b64 exec, exec, s[2:3]
	v_lshrrev_b32_e32 v4, 24, v4
	s_movk_i32 s2, 0x80
	v_and_or_b32 v4, v4, s2, v5
.LBB241_310:
	s_mov_b64 s[2:3], 0
.LBB241_311:
	s_andn2_b64 vcc, exec, s[2:3]
	s_cbranch_vccnz .LBB241_321
; %bb.312:
	global_load_dword v4, v[0:1], off
	s_mov_b32 s2, 0x47800000
                                        ; implicit-def: $vgpr5
	s_waitcnt vmcnt(0)
	v_cvt_f32_f16_e32 v4, v4
	v_and_b32_e32 v6, 0x7fffffff, v4
	v_cmp_gt_u32_e32 vcc, s2, v6
	s_and_saveexec_b64 s[2:3], vcc
	s_xor_b64 s[2:3], exec, s[2:3]
	s_cbranch_execz .LBB241_318
; %bb.313:
	s_mov_b32 s4, 0x387fffff
	v_cmp_lt_u32_e32 vcc, s4, v6
                                        ; implicit-def: $vgpr5
	s_and_saveexec_b64 s[4:5], vcc
	s_xor_b64 s[4:5], exec, s[4:5]
; %bb.314:
	v_bfe_u32 v5, v4, 21, 1
	s_mov_b32 s20, 0x80fffff
	v_add3_u32 v5, v4, v5, s20
	v_lshrrev_b32_e32 v5, 21, v5
; %bb.315:
	s_andn2_saveexec_b64 s[4:5], s[4:5]
; %bb.316:
	s_mov_b32 s20, 0x43000000
	v_add_f32_e64 v5, |v4|, s20
; %bb.317:
	s_or_b64 exec, exec, s[4:5]
                                        ; implicit-def: $vgpr6
.LBB241_318:
	s_andn2_saveexec_b64 s[2:3], s[2:3]
; %bb.319:
	s_mov_b32 s4, 0x7f800000
	v_mov_b32_e32 v5, 0x7c
	v_mov_b32_e32 v7, 0x7f
	v_cmp_lt_u32_e32 vcc, s4, v6
	v_cndmask_b32_e32 v5, v5, v7, vcc
; %bb.320:
	s_or_b64 exec, exec, s[2:3]
	v_lshrrev_b32_e32 v4, 24, v4
	s_movk_i32 s2, 0x80
	v_and_or_b32 v4, v4, s2, v5
.LBB241_321:
	s_mov_b64 s[2:3], 0
.LBB241_322:
	s_andn2_b64 vcc, exec, s[2:3]
	s_cbranch_vccnz .LBB241_357
; %bb.323:
	s_cmp_lt_i32 s26, 6
	s_cbranch_scc1 .LBB241_334
; %bb.324:
	s_cmp_gt_i32 s26, 6
	s_cbranch_scc0 .LBB241_335
; %bb.325:
	global_load_dwordx2 v[4:5], v[0:1], off
	s_mov_b32 s2, 0x47800000
	s_waitcnt vmcnt(0)
	v_cvt_f32_f64_e32 v4, v[4:5]
                                        ; implicit-def: $vgpr5
	v_and_b32_e32 v6, 0x7fffffff, v4
	v_cmp_gt_u32_e32 vcc, s2, v6
	s_and_saveexec_b64 s[2:3], vcc
	s_xor_b64 s[2:3], exec, s[2:3]
	s_cbranch_execz .LBB241_331
; %bb.326:
	s_mov_b32 s4, 0x387fffff
	v_cmp_lt_u32_e32 vcc, s4, v6
                                        ; implicit-def: $vgpr5
	s_and_saveexec_b64 s[4:5], vcc
	s_xor_b64 s[4:5], exec, s[4:5]
; %bb.327:
	v_bfe_u32 v5, v4, 21, 1
	s_mov_b32 s20, 0x80fffff
	v_add3_u32 v5, v4, v5, s20
	v_lshrrev_b32_e32 v5, 21, v5
; %bb.328:
	s_andn2_saveexec_b64 s[4:5], s[4:5]
; %bb.329:
	s_mov_b32 s20, 0x43000000
	v_add_f32_e64 v5, |v4|, s20
; %bb.330:
	s_or_b64 exec, exec, s[4:5]
                                        ; implicit-def: $vgpr6
.LBB241_331:
	s_andn2_saveexec_b64 s[2:3], s[2:3]
; %bb.332:
	s_mov_b32 s4, 0x7f800000
	v_mov_b32_e32 v5, 0x7c
	v_mov_b32_e32 v7, 0x7f
	v_cmp_lt_u32_e32 vcc, s4, v6
	v_cndmask_b32_e32 v5, v5, v7, vcc
; %bb.333:
	s_or_b64 exec, exec, s[2:3]
	v_lshrrev_b32_e32 v4, 24, v4
	s_movk_i32 s2, 0x80
	v_and_or_b32 v4, v4, s2, v5
	s_mov_b64 s[2:3], 0
	s_branch .LBB241_336
.LBB241_334:
	s_mov_b64 s[2:3], -1
                                        ; implicit-def: $vgpr4
	s_branch .LBB241_347
.LBB241_335:
	s_mov_b64 s[2:3], -1
                                        ; implicit-def: $vgpr4
.LBB241_336:
	s_and_b64 vcc, exec, s[2:3]
	s_cbranch_vccz .LBB241_346
; %bb.337:
	global_load_dword v4, v[0:1], off
	s_mov_b32 s2, 0x47800000
                                        ; implicit-def: $vgpr5
	s_waitcnt vmcnt(0)
	v_and_b32_e32 v6, 0x7fffffff, v4
	v_cmp_gt_u32_e32 vcc, s2, v6
	s_and_saveexec_b64 s[2:3], vcc
	s_xor_b64 s[2:3], exec, s[2:3]
	s_cbranch_execz .LBB241_343
; %bb.338:
	s_mov_b32 s4, 0x387fffff
	v_cmp_lt_u32_e32 vcc, s4, v6
                                        ; implicit-def: $vgpr5
	s_and_saveexec_b64 s[4:5], vcc
	s_xor_b64 s[4:5], exec, s[4:5]
; %bb.339:
	v_bfe_u32 v5, v4, 21, 1
	s_mov_b32 s20, 0x80fffff
	v_add3_u32 v5, v4, v5, s20
	v_lshrrev_b32_e32 v5, 21, v5
; %bb.340:
	s_andn2_saveexec_b64 s[4:5], s[4:5]
; %bb.341:
	s_mov_b32 s20, 0x43000000
	v_add_f32_e64 v5, |v4|, s20
; %bb.342:
	s_or_b64 exec, exec, s[4:5]
                                        ; implicit-def: $vgpr6
.LBB241_343:
	s_andn2_saveexec_b64 s[2:3], s[2:3]
; %bb.344:
	s_mov_b32 s4, 0x7f800000
	v_mov_b32_e32 v5, 0x7c
	v_mov_b32_e32 v7, 0x7f
	v_cmp_lt_u32_e32 vcc, s4, v6
	v_cndmask_b32_e32 v5, v5, v7, vcc
; %bb.345:
	s_or_b64 exec, exec, s[2:3]
	v_lshrrev_b32_e32 v4, 24, v4
	s_movk_i32 s2, 0x80
	v_and_or_b32 v4, v4, s2, v5
.LBB241_346:
	s_mov_b64 s[2:3], 0
.LBB241_347:
	s_andn2_b64 vcc, exec, s[2:3]
	s_cbranch_vccnz .LBB241_357
; %bb.348:
	global_load_ushort v4, v[0:1], off
	s_mov_b32 s2, 0x47800000
                                        ; implicit-def: $vgpr5
	s_waitcnt vmcnt(0)
	v_cvt_f32_f16_e32 v4, v4
	v_and_b32_e32 v6, 0x7fffffff, v4
	v_cmp_gt_u32_e32 vcc, s2, v6
	s_and_saveexec_b64 s[2:3], vcc
	s_xor_b64 s[2:3], exec, s[2:3]
	s_cbranch_execz .LBB241_354
; %bb.349:
	s_mov_b32 s4, 0x387fffff
	v_cmp_lt_u32_e32 vcc, s4, v6
                                        ; implicit-def: $vgpr5
	s_and_saveexec_b64 s[4:5], vcc
	s_xor_b64 s[4:5], exec, s[4:5]
; %bb.350:
	v_bfe_u32 v5, v4, 21, 1
	s_mov_b32 s20, 0x80fffff
	v_add3_u32 v5, v4, v5, s20
	v_lshrrev_b32_e32 v5, 21, v5
; %bb.351:
	s_andn2_saveexec_b64 s[4:5], s[4:5]
; %bb.352:
	s_mov_b32 s20, 0x43000000
	v_add_f32_e64 v5, |v4|, s20
; %bb.353:
	s_or_b64 exec, exec, s[4:5]
                                        ; implicit-def: $vgpr6
.LBB241_354:
	s_andn2_saveexec_b64 s[2:3], s[2:3]
; %bb.355:
	s_mov_b32 s4, 0x7f800000
	v_mov_b32_e32 v5, 0x7c
	v_mov_b32_e32 v7, 0x7f
	v_cmp_lt_u32_e32 vcc, s4, v6
	v_cndmask_b32_e32 v5, v5, v7, vcc
; %bb.356:
	s_or_b64 exec, exec, s[2:3]
	v_lshrrev_b32_e32 v4, 24, v4
	s_movk_i32 s2, 0x80
	v_and_or_b32 v4, v4, s2, v5
.LBB241_357:
	s_cbranch_execnz .LBB241_417
.LBB241_358:
	s_cmp_lt_i32 s26, 2
	s_cbranch_scc1 .LBB241_370
; %bb.359:
	s_cmp_lt_i32 s26, 3
	s_cbranch_scc1 .LBB241_371
; %bb.360:
	s_cmp_gt_i32 s26, 3
	s_cbranch_scc0 .LBB241_372
; %bb.361:
	global_load_dwordx2 v[4:5], v[0:1], off
	s_mov_b32 s2, 0x47800000
	s_waitcnt vmcnt(0)
	v_xor_b32_e32 v7, v4, v5
	v_ffbh_i32_e32 v6, v5
	v_ashrrev_i32_e32 v7, 31, v7
	v_add_u32_e32 v6, -1, v6
	v_add_u32_e32 v7, 32, v7
	v_min_u32_e32 v6, v6, v7
	v_lshlrev_b64 v[4:5], v6, v[4:5]
	v_min_u32_e32 v4, 1, v4
	v_or_b32_e32 v4, v5, v4
	v_cvt_f32_i32_e32 v4, v4
	v_sub_u32_e32 v5, 32, v6
	v_ldexp_f32 v4, v4, v5
	v_and_b32_e32 v6, 0x7fffffff, v4
	v_cmp_gt_u32_e32 vcc, s2, v6
                                        ; implicit-def: $vgpr5
	s_and_saveexec_b64 s[2:3], vcc
	s_xor_b64 s[2:3], exec, s[2:3]
	s_cbranch_execz .LBB241_367
; %bb.362:
	s_mov_b32 s4, 0x387fffff
	v_cmp_lt_u32_e32 vcc, s4, v6
                                        ; implicit-def: $vgpr5
	s_and_saveexec_b64 s[4:5], vcc
	s_xor_b64 s[4:5], exec, s[4:5]
; %bb.363:
	v_bfe_u32 v5, v4, 21, 1
	s_mov_b32 s20, 0x80fffff
	v_add3_u32 v5, v4, v5, s20
	v_lshrrev_b32_e32 v5, 21, v5
; %bb.364:
	s_andn2_saveexec_b64 s[4:5], s[4:5]
; %bb.365:
	s_mov_b32 s20, 0x43000000
	v_add_f32_e64 v5, |v4|, s20
; %bb.366:
	s_or_b64 exec, exec, s[4:5]
                                        ; implicit-def: $vgpr6
.LBB241_367:
	s_andn2_saveexec_b64 s[2:3], s[2:3]
; %bb.368:
	s_mov_b32 s4, 0x7f800000
	v_mov_b32_e32 v5, 0x7c
	v_mov_b32_e32 v7, 0x7f
	v_cmp_lt_u32_e32 vcc, s4, v6
	v_cndmask_b32_e32 v5, v5, v7, vcc
; %bb.369:
	s_or_b64 exec, exec, s[2:3]
	v_lshrrev_b32_e32 v4, 24, v4
	s_movk_i32 s2, 0x80
	v_and_or_b32 v4, v4, s2, v5
	s_mov_b64 s[2:3], 0
	s_branch .LBB241_373
.LBB241_370:
	s_mov_b64 s[2:3], -1
                                        ; implicit-def: $vgpr4
	s_branch .LBB241_395
.LBB241_371:
	s_mov_b64 s[2:3], -1
                                        ; implicit-def: $vgpr4
	s_branch .LBB241_384
.LBB241_372:
	s_mov_b64 s[2:3], -1
                                        ; implicit-def: $vgpr4
.LBB241_373:
	s_and_b64 vcc, exec, s[2:3]
	s_cbranch_vccz .LBB241_383
; %bb.374:
	global_load_dword v4, v[0:1], off
	s_mov_b32 s2, 0x47800000
                                        ; implicit-def: $vgpr5
	s_waitcnt vmcnt(0)
	v_cvt_f32_i32_e32 v4, v4
	v_and_b32_e32 v6, 0x7fffffff, v4
	v_cmp_gt_u32_e32 vcc, s2, v6
	s_and_saveexec_b64 s[2:3], vcc
	s_xor_b64 s[2:3], exec, s[2:3]
	s_cbranch_execz .LBB241_380
; %bb.375:
	s_mov_b32 s4, 0x387fffff
	v_cmp_lt_u32_e32 vcc, s4, v6
                                        ; implicit-def: $vgpr5
	s_and_saveexec_b64 s[4:5], vcc
	s_xor_b64 s[4:5], exec, s[4:5]
; %bb.376:
	v_bfe_u32 v5, v4, 21, 1
	s_mov_b32 s20, 0x80fffff
	v_add3_u32 v5, v4, v5, s20
	v_lshrrev_b32_e32 v5, 21, v5
; %bb.377:
	s_andn2_saveexec_b64 s[4:5], s[4:5]
; %bb.378:
	s_mov_b32 s20, 0x43000000
	v_add_f32_e64 v5, |v4|, s20
; %bb.379:
	s_or_b64 exec, exec, s[4:5]
                                        ; implicit-def: $vgpr6
.LBB241_380:
	s_andn2_saveexec_b64 s[2:3], s[2:3]
; %bb.381:
	s_mov_b32 s4, 0x7f800000
	v_mov_b32_e32 v5, 0x7c
	v_mov_b32_e32 v7, 0x7f
	v_cmp_lt_u32_e32 vcc, s4, v6
	v_cndmask_b32_e32 v5, v5, v7, vcc
; %bb.382:
	s_or_b64 exec, exec, s[2:3]
	v_lshrrev_b32_e32 v4, 24, v4
	s_movk_i32 s2, 0x80
	v_and_or_b32 v4, v4, s2, v5
.LBB241_383:
	s_mov_b64 s[2:3], 0
.LBB241_384:
	s_andn2_b64 vcc, exec, s[2:3]
	s_cbranch_vccnz .LBB241_394
; %bb.385:
	global_load_sshort v4, v[0:1], off
	s_mov_b32 s2, 0x47800000
                                        ; implicit-def: $vgpr5
	s_waitcnt vmcnt(0)
	v_cvt_f32_i32_e32 v4, v4
	v_and_b32_e32 v6, 0x7fffffff, v4
	v_cmp_gt_u32_e32 vcc, s2, v6
	s_and_saveexec_b64 s[2:3], vcc
	s_xor_b64 s[2:3], exec, s[2:3]
	s_cbranch_execz .LBB241_391
; %bb.386:
	s_mov_b32 s4, 0x387fffff
	v_cmp_lt_u32_e32 vcc, s4, v6
                                        ; implicit-def: $vgpr5
	s_and_saveexec_b64 s[4:5], vcc
	s_xor_b64 s[4:5], exec, s[4:5]
; %bb.387:
	v_bfe_u32 v5, v4, 21, 1
	s_mov_b32 s20, 0x80fffff
	v_add3_u32 v5, v4, v5, s20
	v_lshrrev_b32_e32 v5, 21, v5
; %bb.388:
	s_andn2_saveexec_b64 s[4:5], s[4:5]
; %bb.389:
	s_mov_b32 s20, 0x43000000
	v_add_f32_e64 v5, |v4|, s20
; %bb.390:
	s_or_b64 exec, exec, s[4:5]
                                        ; implicit-def: $vgpr6
.LBB241_391:
	s_andn2_saveexec_b64 s[2:3], s[2:3]
; %bb.392:
	s_mov_b32 s4, 0x7f800000
	v_mov_b32_e32 v5, 0x7c
	v_mov_b32_e32 v7, 0x7f
	v_cmp_lt_u32_e32 vcc, s4, v6
	v_cndmask_b32_e32 v5, v5, v7, vcc
; %bb.393:
	s_or_b64 exec, exec, s[2:3]
	v_lshrrev_b32_e32 v4, 24, v4
	s_movk_i32 s2, 0x80
	v_and_or_b32 v4, v4, s2, v5
.LBB241_394:
	s_mov_b64 s[2:3], 0
.LBB241_395:
	s_andn2_b64 vcc, exec, s[2:3]
	s_cbranch_vccnz .LBB241_417
; %bb.396:
	s_cmp_gt_i32 s26, 0
	s_cbranch_scc0 .LBB241_406
; %bb.397:
	global_load_sbyte v4, v[0:1], off
	s_mov_b32 s2, 0x47800000
                                        ; implicit-def: $vgpr5
	s_waitcnt vmcnt(0)
	v_cvt_f32_i32_e32 v4, v4
	v_and_b32_e32 v6, 0x7fffffff, v4
	v_cmp_gt_u32_e32 vcc, s2, v6
	s_and_saveexec_b64 s[2:3], vcc
	s_xor_b64 s[2:3], exec, s[2:3]
	s_cbranch_execz .LBB241_403
; %bb.398:
	s_mov_b32 s4, 0x387fffff
	v_cmp_lt_u32_e32 vcc, s4, v6
                                        ; implicit-def: $vgpr5
	s_and_saveexec_b64 s[4:5], vcc
	s_xor_b64 s[4:5], exec, s[4:5]
; %bb.399:
	v_bfe_u32 v5, v4, 21, 1
	s_mov_b32 s20, 0x80fffff
	v_add3_u32 v5, v4, v5, s20
	v_lshrrev_b32_e32 v5, 21, v5
; %bb.400:
	s_andn2_saveexec_b64 s[4:5], s[4:5]
; %bb.401:
	s_mov_b32 s20, 0x43000000
	v_add_f32_e64 v5, |v4|, s20
; %bb.402:
	s_or_b64 exec, exec, s[4:5]
                                        ; implicit-def: $vgpr6
.LBB241_403:
	s_andn2_saveexec_b64 s[2:3], s[2:3]
; %bb.404:
	s_mov_b32 s4, 0x7f800000
	v_mov_b32_e32 v5, 0x7c
	v_mov_b32_e32 v7, 0x7f
	v_cmp_lt_u32_e32 vcc, s4, v6
	v_cndmask_b32_e32 v5, v5, v7, vcc
; %bb.405:
	s_or_b64 exec, exec, s[2:3]
	v_lshrrev_b32_e32 v4, 24, v4
	s_movk_i32 s2, 0x80
	v_and_or_b32 v4, v4, s2, v5
	s_mov_b64 s[2:3], 0
	s_branch .LBB241_407
.LBB241_406:
	s_mov_b64 s[2:3], -1
                                        ; implicit-def: $vgpr4
.LBB241_407:
	s_and_b64 vcc, exec, s[2:3]
	s_cbranch_vccz .LBB241_417
; %bb.408:
	global_load_ubyte v0, v[0:1], off
	s_mov_b32 s2, 0x47800000
                                        ; implicit-def: $vgpr4
	s_waitcnt vmcnt(0)
	v_cvt_f32_ubyte0_e32 v0, v0
	v_cmp_gt_u32_e32 vcc, s2, v0
	s_and_saveexec_b64 s[2:3], vcc
	s_xor_b64 s[2:3], exec, s[2:3]
	s_cbranch_execz .LBB241_414
; %bb.409:
	s_mov_b32 s4, 0x387fffff
	v_cmp_lt_u32_e32 vcc, s4, v0
                                        ; implicit-def: $vgpr4
	s_and_saveexec_b64 s[4:5], vcc
	s_xor_b64 s[4:5], exec, s[4:5]
; %bb.410:
	v_bfe_u32 v1, v0, 21, 1
	s_mov_b32 s20, 0x80fffff
	v_add3_u32 v0, v0, v1, s20
	v_lshrrev_b32_e32 v4, 21, v0
                                        ; implicit-def: $vgpr0
; %bb.411:
	s_andn2_saveexec_b64 s[4:5], s[4:5]
; %bb.412:
	v_add_f32_e32 v4, 0x43000000, v0
; %bb.413:
	s_or_b64 exec, exec, s[4:5]
                                        ; implicit-def: $vgpr0
.LBB241_414:
	s_andn2_saveexec_b64 s[2:3], s[2:3]
; %bb.415:
	s_mov_b32 s4, 0x7f800000
	v_mov_b32_e32 v1, 0x7c
	v_mov_b32_e32 v4, 0x7f
	v_cmp_lt_u32_e32 vcc, s4, v0
	v_cndmask_b32_e32 v4, v1, v4, vcc
; %bb.416:
	s_or_b64 exec, exec, s[2:3]
.LBB241_417:
	s_branch .LBB241_19
.LBB241_418:
	s_mov_b64 s[4:5], 0
                                        ; implicit-def: $vgpr2
	s_mov_b64 s[2:3], 0
.LBB241_419:
	s_and_b64 s[20:21], s[4:5], exec
	s_and_b64 s[22:23], s[22:23], exec
	s_orn2_b64 s[2:3], s[2:3], exec
.LBB241_420:
	s_or_b64 exec, exec, s[24:25]
	s_mov_b64 s[30:31], 0
	s_mov_b64 s[4:5], 0
                                        ; implicit-def: $vgpr0_vgpr1
                                        ; implicit-def: $vgpr4
	s_and_saveexec_b64 s[24:25], s[2:3]
	s_cbranch_execz .LBB241_437
; %bb.421:
	v_cmp_gt_i32_e32 vcc, s33, v2
	s_mov_b64 s[2:3], -1
	s_mov_b64 s[26:27], s[22:23]
	s_mov_b64 s[28:29], s[20:21]
	s_and_saveexec_b64 s[30:31], vcc
	s_cbranch_execz .LBB241_858
; %bb.422:
	v_mul_lo_u32 v0, v2, s13
	v_mov_b32_e32 v1, s11
	s_and_b32 s34, 0xffff, s15
	s_cmp_lt_i32 s34, 11
	s_waitcnt vmcnt(0)
	v_ashrrev_i32_e32 v4, 31, v0
	v_add_co_u32_e32 v0, vcc, s10, v0
	v_addc_co_u32_e32 v1, vcc, v1, v4, vcc
	s_cbranch_scc1 .LBB241_448
; %bb.423:
	s_cmp_gt_i32 s34, 25
	s_cbranch_scc0 .LBB241_457
; %bb.424:
	s_cmp_gt_i32 s34, 28
	s_cbranch_scc0 .LBB241_459
; %bb.425:
	s_cmp_gt_i32 s34, 43
	s_cbranch_scc0 .LBB241_461
; %bb.426:
	s_cmp_gt_i32 s34, 45
	s_cbranch_scc0 .LBB241_465
; %bb.427:
	s_cmp_eq_u32 s34, 46
	s_cbranch_scc0 .LBB241_469
; %bb.428:
	global_load_dword v4, v[0:1], off
	s_mov_b32 s2, 0x47800000
                                        ; implicit-def: $vgpr5
	s_waitcnt vmcnt(0)
	v_lshlrev_b32_e32 v4, 16, v4
	v_and_b32_e32 v6, 0x7fffffff, v4
	v_cmp_gt_u32_e32 vcc, s2, v6
	s_and_saveexec_b64 s[2:3], vcc
	s_xor_b64 s[2:3], exec, s[2:3]
	s_cbranch_execz .LBB241_434
; %bb.429:
	s_mov_b32 s26, 0x387fffff
	v_cmp_lt_u32_e32 vcc, s26, v6
                                        ; implicit-def: $vgpr5
	s_and_saveexec_b64 s[26:27], vcc
	s_xor_b64 s[26:27], exec, s[26:27]
; %bb.430:
	v_bfe_u32 v5, v4, 21, 1
	s_mov_b32 s28, 0x80fffff
	v_add3_u32 v5, v4, v5, s28
	v_lshrrev_b32_e32 v5, 21, v5
; %bb.431:
	s_andn2_saveexec_b64 s[26:27], s[26:27]
; %bb.432:
	s_mov_b32 s28, 0x43000000
	v_add_f32_e64 v5, |v4|, s28
; %bb.433:
	s_or_b64 exec, exec, s[26:27]
                                        ; implicit-def: $vgpr6
.LBB241_434:
	s_andn2_saveexec_b64 s[2:3], s[2:3]
; %bb.435:
	s_mov_b32 s26, 0x7f800000
	v_mov_b32_e32 v5, 0x7c
	v_mov_b32_e32 v7, 0x7f
	v_cmp_lt_u32_e32 vcc, s26, v6
	v_cndmask_b32_e32 v5, v5, v7, vcc
; %bb.436:
	s_or_b64 exec, exec, s[2:3]
	v_lshrrev_b32_e32 v4, 24, v4
	s_movk_i32 s2, 0x80
	v_and_or_b32 v4, v4, s2, v5
	s_mov_b64 s[2:3], -1
	s_mov_b64 s[26:27], 0
	s_branch .LBB241_470
.LBB241_437:
	s_or_b64 exec, exec, s[24:25]
	s_mov_b64 s[2:3], 0
	s_and_saveexec_b64 s[24:25], s[22:23]
	s_cbranch_execnz .LBB241_1445
.LBB241_438:
	s_or_b64 exec, exec, s[24:25]
	s_and_saveexec_b64 s[22:23], s[28:29]
	s_cbranch_execz .LBB241_1446
.LBB241_439:
	global_load_ubyte v4, v[0:1], off
	s_mov_b32 s24, 0x47800000
	s_waitcnt vmcnt(0)
	v_cmp_ne_u16_e32 vcc, 0, v4
	v_cndmask_b32_e64 v5, 0, 1.0, vcc
	v_cmp_gt_u32_e32 vcc, s24, v5
                                        ; implicit-def: $vgpr4
	s_and_saveexec_b64 s[24:25], vcc
	s_xor_b64 s[24:25], exec, s[24:25]
	s_cbranch_execz .LBB241_445
; %bb.440:
	s_mov_b32 s26, 0x387fffff
	v_cmp_lt_u32_e32 vcc, s26, v5
                                        ; implicit-def: $vgpr4
	s_and_saveexec_b64 s[26:27], vcc
	s_xor_b64 s[26:27], exec, s[26:27]
; %bb.441:
	v_bfe_u32 v4, v5, 21, 1
	s_mov_b32 s28, 0x80fffff
	v_add3_u32 v4, v5, v4, s28
	v_lshrrev_b32_e32 v4, 21, v4
                                        ; implicit-def: $vgpr5
; %bb.442:
	s_andn2_saveexec_b64 s[26:27], s[26:27]
; %bb.443:
	v_add_f32_e32 v4, 0x43000000, v5
; %bb.444:
	s_or_b64 exec, exec, s[26:27]
                                        ; implicit-def: $vgpr5
.LBB241_445:
	s_andn2_saveexec_b64 s[24:25], s[24:25]
; %bb.446:
	s_mov_b32 s26, 0x7f800000
	v_mov_b32_e32 v4, 0x7c
	v_mov_b32_e32 v6, 0x7f
	v_cmp_lt_u32_e32 vcc, s26, v5
	v_cndmask_b32_e32 v4, v4, v6, vcc
; %bb.447:
	s_or_b64 exec, exec, s[24:25]
	s_or_b64 s[4:5], s[4:5], exec
	s_or_b64 exec, exec, s[22:23]
	s_and_saveexec_b64 s[22:23], s[30:31]
	s_cbranch_execz .LBB241_1580
	s_branch .LBB241_1447
.LBB241_448:
	s_mov_b64 s[2:3], 0
                                        ; implicit-def: $vgpr4
	s_mov_b64 s[26:27], s[22:23]
	s_cbranch_execnz .LBB241_719
.LBB241_449:
	s_andn2_b64 vcc, exec, s[2:3]
	s_cbranch_vccnz .LBB241_855
.LBB241_450:
	s_waitcnt vmcnt(0)
	v_lshlrev_b32_e32 v1, 25, v4
	v_lshlrev_b16_e32 v0, 8, v4
	v_lshrrev_b32_e32 v4, 4, v1
	s_movk_i32 s2, 0x7f00
	v_or_b32_e32 v4, 0x70000000, v4
	v_and_or_b32 v5, v0, s2, 0.5
	s_brev_b32 s2, 16
	v_add_f32_e32 v5, -0.5, v5
	v_mul_f32_e32 v4, 0x7800000, v4
	v_cmp_gt_u32_e32 vcc, s2, v1
	v_cndmask_b32_e32 v1, v4, v5, vcc
	v_bfe_i32 v0, v0, 0, 16
	s_brev_b32 s2, 1
	v_and_or_b32 v0, v0, s2, v1
	v_cmp_eq_f32_e32 vcc, v3, v0
	v_cndmask_b32_e64 v1, 0, 1, vcc
	v_cmp_neq_f32_e32 vcc, v3, v0
	v_mul_lo_u32 v4, v2, s12
	v_cndmask_b32_e64 v0, 0, 1, vcc
	v_cndmask_b32_e64 v0, v0, v1, s[0:1]
	v_and_b32_e32 v0, 1, v0
	v_cmp_eq_u32_e64 s[2:3], 1, v0
	v_ashrrev_i32_e32 v1, 31, v4
	v_mov_b32_e32 v5, s9
	s_and_b32 s38, s17, 0xff
	v_add_co_u32_e32 v0, vcc, s8, v4
	s_cmp_lt_i32 s38, 11
	v_addc_co_u32_e32 v1, vcc, v5, v1, vcc
	s_cbranch_scc1 .LBB241_458
; %bb.451:
	s_and_b32 s39, 0xffff, s38
	s_cmp_gt_i32 s39, 25
	s_cbranch_scc0 .LBB241_460
; %bb.452:
	s_cmp_gt_i32 s39, 28
	s_cbranch_scc0 .LBB241_462
; %bb.453:
	;; [unrolled: 3-line block ×4, first 2 shown]
	s_mov_b64 s[34:35], 0
	s_mov_b64 s[4:5], -1
	s_cmp_eq_u32 s39, 46
	s_mov_b64 s[28:29], 0
	s_cbranch_scc0 .LBB241_482
; %bb.456:
	v_cndmask_b32_e64 v4, 0, 1.0, s[2:3]
	v_bfe_u32 v5, v4, 16, 1
	s_movk_i32 s4, 0x7fff
	v_add3_u32 v4, v4, v5, s4
	v_lshrrev_b32_e32 v4, 16, v4
	global_store_dword v[0:1], v4, off
	s_mov_b64 s[28:29], -1
	s_mov_b64 s[4:5], 0
	s_branch .LBB241_482
.LBB241_457:
	s_mov_b64 s[4:5], -1
	s_mov_b64 s[2:3], 0
	s_mov_b64 s[26:27], s[22:23]
                                        ; implicit-def: $vgpr4
	s_branch .LBB241_651
.LBB241_458:
	s_mov_b64 s[34:35], -1
	s_mov_b64 s[28:29], 0
	s_mov_b64 s[4:5], s[20:21]
	s_branch .LBB241_551
.LBB241_459:
	s_mov_b64 s[4:5], -1
	s_mov_b64 s[2:3], 0
                                        ; implicit-def: $vgpr4
	s_mov_b64 s[26:27], s[22:23]
	s_branch .LBB241_608
.LBB241_460:
	s_mov_b64 s[34:35], -1
	s_mov_b64 s[28:29], 0
	s_mov_b64 s[4:5], s[20:21]
	s_branch .LBB241_509
.LBB241_461:
	s_mov_b64 s[4:5], -1
	s_mov_b64 s[2:3], 0
	s_mov_b64 s[26:27], s[22:23]
                                        ; implicit-def: $vgpr4
	s_branch .LBB241_595
.LBB241_462:
	s_mov_b64 s[34:35], -1
	s_mov_b64 s[28:29], 0
	s_mov_b64 s[4:5], s[20:21]
	s_branch .LBB241_492
.LBB241_463:
	s_andn2_saveexec_b64 s[30:31], s[30:31]
	s_cbranch_execz .LBB241_71
.LBB241_464:
	v_add_f32_e32 v4, 0x46000000, v5
	v_and_b32_e32 v4, 0xff, v4
	v_cmp_ne_u32_e32 vcc, 0, v4
	s_andn2_b64 s[26:27], s[26:27], exec
	s_and_b64 s[36:37], vcc, exec
	s_or_b64 s[26:27], s[26:27], s[36:37]
	s_or_b64 exec, exec, s[30:31]
	v_mov_b32_e32 v6, 0
	s_and_saveexec_b64 s[30:31], s[26:27]
	s_cbranch_execnz .LBB241_72
	s_branch .LBB241_73
.LBB241_465:
	s_mov_b64 s[4:5], -1
	s_mov_b64 s[2:3], 0
	s_mov_b64 s[26:27], s[22:23]
                                        ; implicit-def: $vgpr4
	s_branch .LBB241_470
.LBB241_466:
	s_mov_b64 s[34:35], -1
	s_mov_b64 s[28:29], 0
	s_mov_b64 s[4:5], s[20:21]
	s_branch .LBB241_488
.LBB241_467:
	s_andn2_saveexec_b64 s[30:31], s[30:31]
	s_cbranch_execz .LBB241_84
.LBB241_468:
	v_add_f32_e32 v4, 0x42800000, v5
	v_and_b32_e32 v4, 0xff, v4
	v_cmp_ne_u32_e32 vcc, 0, v4
	s_andn2_b64 s[26:27], s[26:27], exec
	s_and_b64 s[36:37], vcc, exec
	s_or_b64 s[26:27], s[26:27], s[36:37]
	s_or_b64 exec, exec, s[30:31]
	v_mov_b32_e32 v6, 0
	s_and_saveexec_b64 s[30:31], s[26:27]
	s_cbranch_execnz .LBB241_85
	s_branch .LBB241_86
.LBB241_469:
	s_mov_b64 s[26:27], -1
                                        ; implicit-def: $vgpr4
	s_mov_b64 s[2:3], 0
.LBB241_470:
	s_and_b64 vcc, exec, s[4:5]
	s_cbranch_vccz .LBB241_594
; %bb.471:
	s_cmp_eq_u32 s34, 44
	s_cbranch_scc0 .LBB241_593
; %bb.472:
	global_load_ubyte v4, v[0:1], off
	s_movk_i32 s2, 0xff
	v_mov_b32_e32 v5, 0x7f800001
	v_mov_b32_e32 v6, 0x400000
	s_waitcnt vmcnt(0)
	v_lshlrev_b32_e32 v7, 23, v4
	v_cmp_ne_u32_e32 vcc, s2, v4
	v_cndmask_b32_e32 v5, v5, v7, vcc
	v_cmp_ne_u32_e32 vcc, 0, v4
	v_cndmask_b32_e32 v5, v6, v5, vcc
	s_mov_b32 s2, 0x47800000
	v_cmp_gt_u32_e32 vcc, s2, v5
                                        ; implicit-def: $vgpr4
	s_and_saveexec_b64 s[2:3], vcc
	s_xor_b64 s[2:3], exec, s[2:3]
	s_cbranch_execz .LBB241_478
; %bb.473:
	s_mov_b32 s4, 0x387fffff
	v_cmp_lt_u32_e32 vcc, s4, v5
                                        ; implicit-def: $vgpr4
	s_and_saveexec_b64 s[4:5], vcc
	s_xor_b64 s[4:5], exec, s[4:5]
; %bb.474:
	v_bfe_u32 v4, v5, 21, 1
	s_mov_b32 s26, 0x80fffff
	v_add3_u32 v4, v5, v4, s26
	v_lshrrev_b32_e32 v4, 21, v4
                                        ; implicit-def: $vgpr5
; %bb.475:
	s_andn2_saveexec_b64 s[4:5], s[4:5]
; %bb.476:
	v_add_f32_e32 v4, 0x43000000, v5
; %bb.477:
	s_or_b64 exec, exec, s[4:5]
                                        ; implicit-def: $vgpr5
.LBB241_478:
	s_andn2_saveexec_b64 s[2:3], s[2:3]
; %bb.479:
	s_mov_b32 s4, 0x7f800000
	v_mov_b32_e32 v4, 0x7c
	v_mov_b32_e32 v6, 0x7f
	v_cmp_lt_u32_e32 vcc, s4, v5
	v_cndmask_b32_e32 v4, v4, v6, vcc
; %bb.480:
	s_or_b64 exec, exec, s[2:3]
	s_mov_b64 s[2:3], -1
	s_mov_b64 s[26:27], 0
	s_branch .LBB241_594
.LBB241_481:
	s_mov_b64 s[34:35], -1
	s_mov_b64 s[28:29], 0
	s_mov_b64 s[4:5], s[20:21]
.LBB241_482:
	s_and_b64 vcc, exec, s[34:35]
	s_cbranch_vccz .LBB241_487
; %bb.483:
	s_cmp_eq_u32 s39, 44
	s_mov_b64 s[4:5], -1
	s_cbranch_scc0 .LBB241_487
; %bb.484:
	v_cndmask_b32_e64 v5, 0, 1.0, s[2:3]
	v_lshrrev_b32_e32 v4, 23, v5
	s_movk_i32 s4, 0xff
	v_cmp_ne_u32_e32 vcc, s4, v4
	v_mov_b32_e32 v6, 0xff
	s_and_saveexec_b64 s[28:29], vcc
; %bb.485:
	s_mov_b32 s4, 0x3fffff
	v_and_b32_e32 v6, 0x400000, v5
	v_and_or_b32 v5, v5, s4, v4
	v_cmp_ne_u32_e32 vcc, 0, v6
	v_cmp_ne_u32_e64 s[4:5], 0, v5
	s_and_b64 s[4:5], vcc, s[4:5]
	v_cndmask_b32_e64 v5, 0, 1, s[4:5]
	v_add_u32_e32 v6, v4, v5
; %bb.486:
	s_or_b64 exec, exec, s[28:29]
	s_mov_b64 s[28:29], -1
	s_mov_b64 s[4:5], 0
	global_store_byte v[0:1], v6, off
.LBB241_487:
	s_mov_b64 s[34:35], 0
.LBB241_488:
	s_and_b64 vcc, exec, s[34:35]
	s_cbranch_vccz .LBB241_491
; %bb.489:
	s_cmp_eq_u32 s39, 29
	s_mov_b64 s[4:5], -1
	s_cbranch_scc0 .LBB241_491
; %bb.490:
	s_mov_b32 s4, 0
	v_cndmask_b32_e64 v4, 0, 1, s[2:3]
	v_mov_b32_e32 v5, s4
	global_store_dwordx2 v[0:1], v[4:5], off
	s_mov_b64 s[28:29], -1
	s_mov_b64 s[4:5], 0
.LBB241_491:
	s_mov_b64 s[34:35], 0
.LBB241_492:
	s_and_b64 vcc, exec, s[34:35]
	s_cbranch_vccz .LBB241_508
; %bb.493:
	s_cmp_lt_i32 s39, 27
	s_mov_b64 s[28:29], -1
	s_cbranch_scc1 .LBB241_499
; %bb.494:
	s_cmp_gt_i32 s39, 27
	s_cbranch_scc0 .LBB241_496
; %bb.495:
	v_cndmask_b32_e64 v4, 0, 1, s[2:3]
	s_mov_b64 s[28:29], 0
	global_store_dword v[0:1], v4, off
.LBB241_496:
	s_andn2_b64 vcc, exec, s[28:29]
	s_cbranch_vccnz .LBB241_498
; %bb.497:
	v_cndmask_b32_e64 v4, 0, 1, s[2:3]
	global_store_short v[0:1], v4, off
.LBB241_498:
	s_mov_b64 s[28:29], 0
.LBB241_499:
	s_andn2_b64 vcc, exec, s[28:29]
	s_cbranch_vccnz .LBB241_507
; %bb.500:
	v_cndmask_b32_e64 v5, 0, 1.0, s[2:3]
	s_mov_b32 s28, 0x43800000
	v_cmp_gt_u32_e32 vcc, s28, v5
	v_mov_b32_e32 v6, 0x80
	s_and_saveexec_b64 s[28:29], vcc
	s_cbranch_execz .LBB241_506
; %bb.501:
	s_mov_b32 s34, 0x3bffffff
	v_cmp_lt_u32_e32 vcc, s34, v5
	s_mov_b64 s[34:35], 0
                                        ; implicit-def: $vgpr4
	s_and_saveexec_b64 s[36:37], vcc
	s_xor_b64 s[36:37], exec, s[36:37]
	s_cbranch_execz .LBB241_879
; %bb.502:
	v_bfe_u32 v4, v5, 20, 1
	s_mov_b32 s40, 0x487ffff
	v_add3_u32 v4, v5, v4, s40
	s_mov_b64 s[34:35], exec
	v_lshrrev_b32_e32 v4, 20, v4
                                        ; implicit-def: $vgpr5
	s_andn2_saveexec_b64 s[36:37], s[36:37]
	s_cbranch_execnz .LBB241_880
.LBB241_503:
	s_or_b64 exec, exec, s[36:37]
	v_mov_b32_e32 v6, 0
	s_and_saveexec_b64 s[36:37], s[34:35]
.LBB241_504:
	v_mov_b32_e32 v6, v4
.LBB241_505:
	s_or_b64 exec, exec, s[36:37]
.LBB241_506:
	s_or_b64 exec, exec, s[28:29]
	global_store_byte v[0:1], v6, off
.LBB241_507:
	s_mov_b64 s[28:29], -1
.LBB241_508:
	s_mov_b64 s[34:35], 0
.LBB241_509:
	s_and_b64 vcc, exec, s[34:35]
	s_cbranch_vccz .LBB241_550
; %bb.510:
	s_cmp_gt_i32 s39, 22
	s_mov_b64 s[34:35], -1
	s_cbranch_scc0 .LBB241_542
; %bb.511:
	s_cmp_lt_i32 s39, 24
	s_mov_b64 s[28:29], -1
	s_cbranch_scc1 .LBB241_531
; %bb.512:
	s_cmp_gt_i32 s39, 24
	s_cbranch_scc0 .LBB241_520
; %bb.513:
	v_cndmask_b32_e64 v5, 0, 1.0, s[2:3]
	s_mov_b32 s28, 0x47800000
	v_cmp_gt_u32_e32 vcc, s28, v5
	v_mov_b32_e32 v6, 0x80
	s_and_saveexec_b64 s[28:29], vcc
	s_cbranch_execz .LBB241_519
; %bb.514:
	s_mov_b32 s34, 0x37ffffff
	v_cmp_lt_u32_e32 vcc, s34, v5
	s_mov_b64 s[34:35], 0
                                        ; implicit-def: $vgpr4
	s_and_saveexec_b64 s[36:37], vcc
	s_xor_b64 s[36:37], exec, s[36:37]
	s_cbranch_execz .LBB241_882
; %bb.515:
	v_bfe_u32 v4, v5, 21, 1
	s_mov_b32 s40, 0x88fffff
	v_add3_u32 v4, v5, v4, s40
	s_mov_b64 s[34:35], exec
	v_lshrrev_b32_e32 v4, 21, v4
                                        ; implicit-def: $vgpr5
	s_andn2_saveexec_b64 s[36:37], s[36:37]
	s_cbranch_execnz .LBB241_883
.LBB241_516:
	s_or_b64 exec, exec, s[36:37]
	v_mov_b32_e32 v6, 0
	s_and_saveexec_b64 s[36:37], s[34:35]
.LBB241_517:
	v_mov_b32_e32 v6, v4
.LBB241_518:
	s_or_b64 exec, exec, s[36:37]
.LBB241_519:
	s_or_b64 exec, exec, s[28:29]
	s_mov_b64 s[28:29], 0
	global_store_byte v[0:1], v6, off
.LBB241_520:
	s_and_b64 vcc, exec, s[28:29]
	s_cbranch_vccz .LBB241_530
; %bb.521:
	v_cndmask_b32_e64 v4, 0, 1.0, s[2:3]
	s_mov_b32 s28, 0x43f00000
	v_cmp_gt_u32_e32 vcc, s28, v4
                                        ; implicit-def: $vgpr5
	s_and_saveexec_b64 s[28:29], vcc
	s_xor_b64 s[28:29], exec, s[28:29]
	s_cbranch_execz .LBB241_527
; %bb.522:
	s_mov_b32 s34, 0x3c7fffff
	v_cmp_lt_u32_e32 vcc, s34, v4
                                        ; implicit-def: $vgpr5
	s_and_saveexec_b64 s[34:35], vcc
	s_xor_b64 s[34:35], exec, s[34:35]
; %bb.523:
	v_bfe_u32 v5, v4, 20, 1
	s_mov_b32 s36, 0x407ffff
	v_add3_u32 v4, v4, v5, s36
	v_lshrrev_b32_e32 v5, 20, v4
	v_and_b32_e32 v4, 0xff00000, v4
	s_mov_b32 s36, 0x7f00000
	v_mov_b32_e32 v6, 0x7e
	v_cmp_ne_u32_e32 vcc, s36, v4
	v_cndmask_b32_e32 v5, v6, v5, vcc
                                        ; implicit-def: $vgpr4
; %bb.524:
	s_andn2_saveexec_b64 s[34:35], s[34:35]
; %bb.525:
	v_add_f32_e32 v5, 0x46800000, v4
; %bb.526:
	s_or_b64 exec, exec, s[34:35]
                                        ; implicit-def: $vgpr4
.LBB241_527:
	s_andn2_saveexec_b64 s[28:29], s[28:29]
; %bb.528:
	s_mov_b32 s34, 0x7f800000
	v_mov_b32_e32 v5, 0x7e
	v_mov_b32_e32 v6, 0x7f
	v_cmp_lt_u32_e32 vcc, s34, v4
	v_cndmask_b32_e32 v5, v5, v6, vcc
; %bb.529:
	s_or_b64 exec, exec, s[28:29]
	global_store_byte v[0:1], v5, off
.LBB241_530:
	s_mov_b64 s[28:29], 0
.LBB241_531:
	s_andn2_b64 vcc, exec, s[28:29]
	s_cbranch_vccnz .LBB241_541
; %bb.532:
	v_cndmask_b32_e64 v4, 0, 1.0, s[2:3]
	s_mov_b32 s28, 0x47800000
	v_cmp_gt_u32_e32 vcc, s28, v4
                                        ; implicit-def: $vgpr5
	s_and_saveexec_b64 s[28:29], vcc
	s_xor_b64 s[28:29], exec, s[28:29]
	s_cbranch_execz .LBB241_538
; %bb.533:
	s_mov_b32 s34, 0x387fffff
	v_cmp_lt_u32_e32 vcc, s34, v4
                                        ; implicit-def: $vgpr5
	s_and_saveexec_b64 s[34:35], vcc
	s_xor_b64 s[34:35], exec, s[34:35]
; %bb.534:
	v_bfe_u32 v5, v4, 21, 1
	s_mov_b32 s36, 0x80fffff
	v_add3_u32 v4, v4, v5, s36
	v_lshrrev_b32_e32 v5, 21, v4
                                        ; implicit-def: $vgpr4
; %bb.535:
	s_andn2_saveexec_b64 s[34:35], s[34:35]
; %bb.536:
	v_add_f32_e32 v5, 0x43000000, v4
; %bb.537:
	s_or_b64 exec, exec, s[34:35]
                                        ; implicit-def: $vgpr4
.LBB241_538:
	s_andn2_saveexec_b64 s[28:29], s[28:29]
; %bb.539:
	s_mov_b32 s34, 0x7f800000
	v_mov_b32_e32 v5, 0x7c
	v_mov_b32_e32 v6, 0x7f
	v_cmp_lt_u32_e32 vcc, s34, v4
	v_cndmask_b32_e32 v5, v5, v6, vcc
; %bb.540:
	s_or_b64 exec, exec, s[28:29]
	global_store_byte v[0:1], v5, off
.LBB241_541:
	s_mov_b64 s[34:35], 0
	s_mov_b64 s[28:29], -1
.LBB241_542:
	s_andn2_b64 vcc, exec, s[34:35]
	s_cbranch_vccnz .LBB241_550
; %bb.543:
	s_cmp_gt_i32 s39, 14
	s_mov_b64 s[34:35], -1
	s_cbranch_scc0 .LBB241_547
; %bb.544:
	s_cmp_eq_u32 s39, 15
	s_mov_b64 s[4:5], -1
	s_cbranch_scc0 .LBB241_546
; %bb.545:
	v_cndmask_b32_e64 v4, 0, 1.0, s[2:3]
	v_bfe_u32 v5, v4, 16, 1
	s_movk_i32 s4, 0x7fff
	v_add3_u32 v4, v4, v5, s4
	global_store_short_d16_hi v[0:1], v4, off
	s_mov_b64 s[28:29], -1
	s_mov_b64 s[4:5], 0
.LBB241_546:
	s_mov_b64 s[34:35], 0
.LBB241_547:
	s_and_b64 vcc, exec, s[34:35]
	s_cbranch_vccz .LBB241_550
; %bb.548:
	s_cmp_eq_u32 s39, 11
	s_mov_b64 s[4:5], -1
	s_cbranch_scc0 .LBB241_550
; %bb.549:
	v_cndmask_b32_e64 v4, 0, 1, s[2:3]
	s_mov_b64 s[28:29], -1
	s_mov_b64 s[4:5], 0
	global_store_byte v[0:1], v4, off
.LBB241_550:
	s_mov_b64 s[34:35], 0
.LBB241_551:
	s_and_b64 vcc, exec, s[34:35]
	s_cbranch_vccz .LBB241_590
; %bb.552:
	s_and_b32 s34, 0xffff, s38
	s_cmp_lt_i32 s34, 5
	s_mov_b64 s[28:29], -1
	s_cbranch_scc1 .LBB241_573
; %bb.553:
	s_cmp_lt_i32 s34, 8
	s_cbranch_scc1 .LBB241_563
; %bb.554:
	s_cmp_lt_i32 s34, 9
	s_cbranch_scc1 .LBB241_560
; %bb.555:
	s_cmp_gt_i32 s34, 9
	s_cbranch_scc0 .LBB241_557
; %bb.556:
	v_cndmask_b32_e64 v4, 0, 1, s[2:3]
	v_cvt_f64_u32_e32 v[4:5], v4
	v_mov_b32_e32 v6, 0
	v_mov_b32_e32 v7, v6
	s_mov_b64 s[28:29], 0
	global_store_dwordx4 v[0:1], v[4:7], off
.LBB241_557:
	s_andn2_b64 vcc, exec, s[28:29]
	s_cbranch_vccnz .LBB241_559
; %bb.558:
	v_cndmask_b32_e64 v4, 0, 1.0, s[2:3]
	v_mov_b32_e32 v5, 0
	global_store_dwordx2 v[0:1], v[4:5], off
.LBB241_559:
	s_mov_b64 s[28:29], 0
.LBB241_560:
	s_andn2_b64 vcc, exec, s[28:29]
	s_cbranch_vccnz .LBB241_562
; %bb.561:
	v_cndmask_b32_e64 v4, 0, 1.0, s[2:3]
	v_cvt_f16_f32_e32 v4, v4
	global_store_dword v[0:1], v4, off
.LBB241_562:
	s_mov_b64 s[28:29], 0
.LBB241_563:
	s_andn2_b64 vcc, exec, s[28:29]
	s_cbranch_vccnz .LBB241_572
; %bb.564:
	s_cmp_lt_i32 s34, 6
	s_mov_b64 s[28:29], -1
	s_cbranch_scc1 .LBB241_570
; %bb.565:
	s_cmp_gt_i32 s34, 6
	s_cbranch_scc0 .LBB241_567
; %bb.566:
	v_cndmask_b32_e64 v4, 0, 1, s[2:3]
	v_cvt_f64_u32_e32 v[4:5], v4
	s_mov_b64 s[28:29], 0
	global_store_dwordx2 v[0:1], v[4:5], off
.LBB241_567:
	s_andn2_b64 vcc, exec, s[28:29]
	s_cbranch_vccnz .LBB241_569
; %bb.568:
	v_cndmask_b32_e64 v4, 0, 1.0, s[2:3]
	global_store_dword v[0:1], v4, off
.LBB241_569:
	s_mov_b64 s[28:29], 0
.LBB241_570:
	s_andn2_b64 vcc, exec, s[28:29]
	s_cbranch_vccnz .LBB241_572
; %bb.571:
	v_cndmask_b32_e64 v4, 0, 1.0, s[2:3]
	v_cvt_f16_f32_e32 v4, v4
	global_store_short v[0:1], v4, off
.LBB241_572:
	s_mov_b64 s[28:29], 0
.LBB241_573:
	s_andn2_b64 vcc, exec, s[28:29]
	s_cbranch_vccnz .LBB241_589
; %bb.574:
	s_cmp_lt_i32 s34, 2
	s_mov_b64 s[28:29], -1
	s_cbranch_scc1 .LBB241_584
; %bb.575:
	s_cmp_lt_i32 s34, 3
	s_cbranch_scc1 .LBB241_581
; %bb.576:
	s_cmp_gt_i32 s34, 3
	s_cbranch_scc0 .LBB241_578
; %bb.577:
	s_mov_b32 s28, 0
	v_cndmask_b32_e64 v4, 0, 1, s[2:3]
	v_mov_b32_e32 v5, s28
	s_mov_b64 s[28:29], 0
	global_store_dwordx2 v[0:1], v[4:5], off
.LBB241_578:
	s_andn2_b64 vcc, exec, s[28:29]
	s_cbranch_vccnz .LBB241_580
; %bb.579:
	v_cndmask_b32_e64 v4, 0, 1, s[2:3]
	global_store_dword v[0:1], v4, off
.LBB241_580:
	s_mov_b64 s[28:29], 0
.LBB241_581:
	s_andn2_b64 vcc, exec, s[28:29]
	s_cbranch_vccnz .LBB241_583
; %bb.582:
	v_cndmask_b32_e64 v4, 0, 1, s[2:3]
	global_store_short v[0:1], v4, off
.LBB241_583:
	s_mov_b64 s[28:29], 0
.LBB241_584:
	s_andn2_b64 vcc, exec, s[28:29]
	s_cbranch_vccnz .LBB241_589
; %bb.585:
	s_mov_b64 s[28:29], -1
	s_cmp_gt_i32 s34, 0
	v_cndmask_b32_e64 v4, 0, 1, s[2:3]
	s_cbranch_scc0 .LBB241_587
; %bb.586:
	s_mov_b64 s[28:29], 0
	global_store_byte v[0:1], v4, off
.LBB241_587:
	s_andn2_b64 vcc, exec, s[28:29]
	s_cbranch_vccnz .LBB241_589
; %bb.588:
	global_store_byte v[0:1], v4, off
.LBB241_589:
	s_mov_b64 s[28:29], -1
.LBB241_590:
	s_andn2_b64 vcc, exec, s[28:29]
	s_cbranch_vccnz .LBB241_592
; %bb.591:
	v_add_u32_e32 v2, 0x80, v2
	s_mov_b64 s[2:3], -1
	s_branch .LBB241_857
.LBB241_592:
	s_mov_b64 s[2:3], 0
	s_branch .LBB241_856
.LBB241_593:
	s_mov_b64 s[26:27], -1
                                        ; implicit-def: $vgpr4
.LBB241_594:
	s_mov_b64 s[4:5], 0
.LBB241_595:
	s_and_b64 vcc, exec, s[4:5]
	s_cbranch_vccz .LBB241_607
; %bb.596:
	s_cmp_eq_u32 s34, 29
	s_cbranch_scc0 .LBB241_606
; %bb.597:
	global_load_dwordx2 v[4:5], v[0:1], off
	s_mov_b32 s2, 0x47800000
	s_waitcnt vmcnt(0)
	v_ffbh_u32_e32 v6, v5
	v_min_u32_e32 v6, 32, v6
	v_lshlrev_b64 v[4:5], v6, v[4:5]
	v_min_u32_e32 v4, 1, v4
	v_or_b32_e32 v4, v5, v4
	v_cvt_f32_u32_e32 v4, v4
	v_sub_u32_e32 v5, 32, v6
	v_ldexp_f32 v5, v4, v5
	v_cmp_gt_u32_e32 vcc, s2, v5
                                        ; implicit-def: $vgpr4
	s_and_saveexec_b64 s[2:3], vcc
	s_xor_b64 s[2:3], exec, s[2:3]
	s_cbranch_execz .LBB241_603
; %bb.598:
	s_mov_b32 s4, 0x387fffff
	v_cmp_lt_u32_e32 vcc, s4, v5
                                        ; implicit-def: $vgpr4
	s_and_saveexec_b64 s[4:5], vcc
	s_xor_b64 s[4:5], exec, s[4:5]
; %bb.599:
	v_bfe_u32 v4, v5, 21, 1
	s_mov_b32 s26, 0x80fffff
	v_add3_u32 v4, v5, v4, s26
	v_lshrrev_b32_e32 v4, 21, v4
                                        ; implicit-def: $vgpr5
; %bb.600:
	s_andn2_saveexec_b64 s[4:5], s[4:5]
; %bb.601:
	v_add_f32_e32 v4, 0x43000000, v5
; %bb.602:
	s_or_b64 exec, exec, s[4:5]
                                        ; implicit-def: $vgpr5
.LBB241_603:
	s_andn2_saveexec_b64 s[2:3], s[2:3]
; %bb.604:
	s_mov_b32 s4, 0x7f800000
	v_mov_b32_e32 v4, 0x7c
	v_mov_b32_e32 v6, 0x7f
	v_cmp_lt_u32_e32 vcc, s4, v5
	v_cndmask_b32_e32 v4, v4, v6, vcc
; %bb.605:
	s_or_b64 exec, exec, s[2:3]
	s_mov_b64 s[2:3], -1
	s_mov_b64 s[26:27], 0
	s_branch .LBB241_607
.LBB241_606:
	s_mov_b64 s[26:27], -1
                                        ; implicit-def: $vgpr4
.LBB241_607:
	s_mov_b64 s[4:5], 0
.LBB241_608:
	s_and_b64 vcc, exec, s[4:5]
	s_cbranch_vccz .LBB241_650
; %bb.609:
	s_cmp_lt_i32 s34, 27
	s_cbranch_scc1 .LBB241_620
; %bb.610:
	s_cmp_gt_i32 s34, 27
	s_cbranch_scc0 .LBB241_621
; %bb.611:
	global_load_dword v4, v[0:1], off
	s_mov_b32 s2, 0x47800000
	s_waitcnt vmcnt(0)
	v_cvt_f32_u32_e32 v5, v4
                                        ; implicit-def: $vgpr4
	v_cmp_gt_u32_e32 vcc, s2, v5
	s_and_saveexec_b64 s[2:3], vcc
	s_xor_b64 s[2:3], exec, s[2:3]
	s_cbranch_execz .LBB241_617
; %bb.612:
	s_mov_b32 s4, 0x387fffff
	v_cmp_lt_u32_e32 vcc, s4, v5
                                        ; implicit-def: $vgpr4
	s_and_saveexec_b64 s[4:5], vcc
	s_xor_b64 s[4:5], exec, s[4:5]
; %bb.613:
	v_bfe_u32 v4, v5, 21, 1
	s_mov_b32 s28, 0x80fffff
	v_add3_u32 v4, v5, v4, s28
	v_lshrrev_b32_e32 v4, 21, v4
                                        ; implicit-def: $vgpr5
; %bb.614:
	s_andn2_saveexec_b64 s[4:5], s[4:5]
; %bb.615:
	v_add_f32_e32 v4, 0x43000000, v5
; %bb.616:
	s_or_b64 exec, exec, s[4:5]
                                        ; implicit-def: $vgpr5
.LBB241_617:
	s_andn2_saveexec_b64 s[2:3], s[2:3]
; %bb.618:
	s_mov_b32 s4, 0x7f800000
	v_mov_b32_e32 v4, 0x7c
	v_mov_b32_e32 v6, 0x7f
	v_cmp_lt_u32_e32 vcc, s4, v5
	v_cndmask_b32_e32 v4, v4, v6, vcc
; %bb.619:
	s_or_b64 exec, exec, s[2:3]
	s_mov_b64 s[2:3], 0
	s_branch .LBB241_622
.LBB241_620:
	s_mov_b64 s[2:3], -1
                                        ; implicit-def: $vgpr4
	s_branch .LBB241_633
.LBB241_621:
	s_mov_b64 s[2:3], -1
                                        ; implicit-def: $vgpr4
.LBB241_622:
	s_and_b64 vcc, exec, s[2:3]
	s_cbranch_vccz .LBB241_632
; %bb.623:
	global_load_ushort v4, v[0:1], off
	s_mov_b32 s2, 0x47800000
	s_waitcnt vmcnt(0)
	v_cvt_f32_u32_e32 v5, v4
                                        ; implicit-def: $vgpr4
	v_cmp_gt_u32_e32 vcc, s2, v5
	s_and_saveexec_b64 s[2:3], vcc
	s_xor_b64 s[2:3], exec, s[2:3]
	s_cbranch_execz .LBB241_629
; %bb.624:
	s_mov_b32 s4, 0x387fffff
	v_cmp_lt_u32_e32 vcc, s4, v5
                                        ; implicit-def: $vgpr4
	s_and_saveexec_b64 s[4:5], vcc
	s_xor_b64 s[4:5], exec, s[4:5]
; %bb.625:
	v_bfe_u32 v4, v5, 21, 1
	s_mov_b32 s28, 0x80fffff
	v_add3_u32 v4, v5, v4, s28
	v_lshrrev_b32_e32 v4, 21, v4
                                        ; implicit-def: $vgpr5
; %bb.626:
	s_andn2_saveexec_b64 s[4:5], s[4:5]
; %bb.627:
	v_add_f32_e32 v4, 0x43000000, v5
; %bb.628:
	s_or_b64 exec, exec, s[4:5]
                                        ; implicit-def: $vgpr5
.LBB241_629:
	s_andn2_saveexec_b64 s[2:3], s[2:3]
; %bb.630:
	s_mov_b32 s4, 0x7f800000
	v_mov_b32_e32 v4, 0x7c
	v_mov_b32_e32 v6, 0x7f
	v_cmp_lt_u32_e32 vcc, s4, v5
	v_cndmask_b32_e32 v4, v4, v6, vcc
; %bb.631:
	s_or_b64 exec, exec, s[2:3]
.LBB241_632:
	s_mov_b64 s[2:3], 0
.LBB241_633:
	s_andn2_b64 vcc, exec, s[2:3]
	s_cbranch_vccnz .LBB241_649
; %bb.634:
	global_load_ubyte v5, v[0:1], off
	s_movk_i32 s2, 0x7f
	s_waitcnt vmcnt(0)
	v_cmp_lt_i16_e32 vcc, s2, v5
	s_mov_b64 s[2:3], 0
	s_and_saveexec_b64 s[4:5], vcc
	s_xor_b64 s[4:5], exec, s[4:5]
	s_cbranch_execz .LBB241_671
; %bb.635:
	s_movk_i32 s2, 0x80
	v_cmp_eq_u16_e32 vcc, s2, v5
	s_mov_b64 s[2:3], -1
	s_and_saveexec_b64 s[28:29], vcc
; %bb.636:
	s_xor_b64 s[2:3], exec, -1
; %bb.637:
	s_or_b64 exec, exec, s[28:29]
	s_and_b64 s[2:3], s[2:3], exec
	s_or_saveexec_b64 s[4:5], s[4:5]
	v_mov_b32_e32 v4, 0x7f800001
	s_xor_b64 exec, exec, s[4:5]
	s_cbranch_execnz .LBB241_672
.LBB241_638:
	s_or_b64 exec, exec, s[4:5]
	s_and_saveexec_b64 s[4:5], s[2:3]
	s_cbranch_execz .LBB241_640
.LBB241_639:
	v_lshlrev_b32_e32 v4, 24, v5
	v_and_b32_e32 v5, 0xffff, v5
	v_and_b32_e32 v6, 7, v5
	v_ffbh_u32_e32 v8, v6
	v_min_u32_e32 v8, 32, v8
	v_subrev_u32_e32 v9, 28, v8
	v_bfe_u32 v7, v5, 3, 4
	v_lshlrev_b32_e32 v5, v9, v5
	v_sub_u32_e32 v8, 29, v8
	v_and_b32_e32 v5, 7, v5
	v_cmp_eq_u32_e32 vcc, 0, v7
	v_cndmask_b32_e32 v7, v7, v8, vcc
	v_cndmask_b32_e32 v5, v6, v5, vcc
	v_mov_b32_e32 v6, 0x3b800000
	v_lshlrev_b32_e32 v5, 20, v5
	v_and_b32_e32 v4, 0x80000000, v4
	v_lshl_add_u32 v6, v7, 23, v6
	v_or3_b32 v4, v4, v6, v5
.LBB241_640:
	s_or_b64 exec, exec, s[4:5]
	v_and_b32_e32 v6, 0x7fffffff, v4
	s_mov_b32 s2, 0x47800000
	v_cmp_gt_u32_e32 vcc, s2, v6
                                        ; implicit-def: $vgpr5
	s_and_saveexec_b64 s[2:3], vcc
	s_xor_b64 s[2:3], exec, s[2:3]
	s_cbranch_execz .LBB241_646
; %bb.641:
	s_mov_b32 s4, 0x387fffff
	v_cmp_lt_u32_e32 vcc, s4, v6
                                        ; implicit-def: $vgpr5
	s_and_saveexec_b64 s[4:5], vcc
	s_xor_b64 s[4:5], exec, s[4:5]
; %bb.642:
	v_bfe_u32 v5, v4, 21, 1
	s_mov_b32 s28, 0x80fffff
	v_add3_u32 v5, v4, v5, s28
	v_lshrrev_b32_e32 v5, 21, v5
; %bb.643:
	s_andn2_saveexec_b64 s[4:5], s[4:5]
; %bb.644:
	s_mov_b32 s28, 0x43000000
	v_add_f32_e64 v5, |v4|, s28
; %bb.645:
	s_or_b64 exec, exec, s[4:5]
                                        ; implicit-def: $vgpr6
.LBB241_646:
	s_andn2_saveexec_b64 s[2:3], s[2:3]
; %bb.647:
	s_mov_b32 s4, 0x7f800000
	v_mov_b32_e32 v5, 0x7c
	v_mov_b32_e32 v7, 0x7f
	v_cmp_lt_u32_e32 vcc, s4, v6
	v_cndmask_b32_e32 v5, v5, v7, vcc
; %bb.648:
	s_or_b64 exec, exec, s[2:3]
	v_lshrrev_b32_e32 v4, 24, v4
	s_movk_i32 s2, 0x80
	v_and_or_b32 v4, v4, s2, v5
.LBB241_649:
	s_mov_b64 s[2:3], -1
.LBB241_650:
	s_mov_b64 s[4:5], 0
.LBB241_651:
	s_and_b64 vcc, exec, s[4:5]
	s_cbranch_vccz .LBB241_718
; %bb.652:
	s_cmp_gt_i32 s34, 22
	s_cbranch_scc0 .LBB241_670
; %bb.653:
	s_cmp_lt_i32 s34, 24
	s_cbranch_scc1 .LBB241_673
; %bb.654:
	s_cmp_gt_i32 s34, 24
	s_cbranch_scc0 .LBB241_674
; %bb.655:
	global_load_ubyte v5, v[0:1], off
	s_movk_i32 s2, 0x7f
	s_waitcnt vmcnt(0)
	v_cmp_lt_i16_e32 vcc, s2, v5
	s_mov_b64 s[2:3], 0
	s_and_saveexec_b64 s[4:5], vcc
	s_xor_b64 s[4:5], exec, s[4:5]
	s_cbranch_execz .LBB241_702
; %bb.656:
	s_movk_i32 s2, 0x80
	v_cmp_eq_u16_e32 vcc, s2, v5
	s_mov_b64 s[2:3], -1
	s_and_saveexec_b64 s[28:29], vcc
; %bb.657:
	s_xor_b64 s[2:3], exec, -1
; %bb.658:
	s_or_b64 exec, exec, s[28:29]
	s_and_b64 s[2:3], s[2:3], exec
	s_or_saveexec_b64 s[4:5], s[4:5]
	v_mov_b32_e32 v4, 0x7f800001
	s_xor_b64 exec, exec, s[4:5]
	s_cbranch_execnz .LBB241_703
.LBB241_659:
	s_or_b64 exec, exec, s[4:5]
	s_and_saveexec_b64 s[4:5], s[2:3]
	s_cbranch_execz .LBB241_661
.LBB241_660:
	v_lshlrev_b32_e32 v4, 24, v5
	v_and_b32_e32 v5, 0xffff, v5
	v_and_b32_e32 v6, 3, v5
	v_ffbh_u32_e32 v8, v6
	v_min_u32_e32 v8, 32, v8
	v_subrev_u32_e32 v9, 29, v8
	v_bfe_u32 v7, v5, 2, 5
	v_lshlrev_b32_e32 v5, v9, v5
	v_sub_u32_e32 v8, 30, v8
	v_and_b32_e32 v5, 3, v5
	v_cmp_eq_u32_e32 vcc, 0, v7
	v_cndmask_b32_e32 v7, v7, v8, vcc
	v_cndmask_b32_e32 v5, v6, v5, vcc
	v_mov_b32_e32 v6, 0x37800000
	v_lshlrev_b32_e32 v5, 21, v5
	v_and_b32_e32 v4, 0x80000000, v4
	v_lshl_add_u32 v6, v7, 23, v6
	v_or3_b32 v4, v4, v6, v5
.LBB241_661:
	s_or_b64 exec, exec, s[4:5]
	v_and_b32_e32 v6, 0x7fffffff, v4
	s_mov_b32 s2, 0x47800000
	v_cmp_gt_u32_e32 vcc, s2, v6
                                        ; implicit-def: $vgpr5
	s_and_saveexec_b64 s[2:3], vcc
	s_xor_b64 s[2:3], exec, s[2:3]
	s_cbranch_execz .LBB241_667
; %bb.662:
	s_mov_b32 s4, 0x387fffff
	v_cmp_lt_u32_e32 vcc, s4, v6
                                        ; implicit-def: $vgpr5
	s_and_saveexec_b64 s[4:5], vcc
	s_xor_b64 s[4:5], exec, s[4:5]
; %bb.663:
	v_bfe_u32 v5, v4, 21, 1
	s_mov_b32 s28, 0x80fffff
	v_add3_u32 v5, v4, v5, s28
	v_lshrrev_b32_e32 v5, 21, v5
; %bb.664:
	s_andn2_saveexec_b64 s[4:5], s[4:5]
; %bb.665:
	s_mov_b32 s28, 0x43000000
	v_add_f32_e64 v5, |v4|, s28
; %bb.666:
	s_or_b64 exec, exec, s[4:5]
                                        ; implicit-def: $vgpr6
.LBB241_667:
	s_andn2_saveexec_b64 s[2:3], s[2:3]
; %bb.668:
	s_mov_b32 s4, 0x7f800000
	v_mov_b32_e32 v5, 0x7c
	v_mov_b32_e32 v7, 0x7f
	v_cmp_lt_u32_e32 vcc, s4, v6
	v_cndmask_b32_e32 v5, v5, v7, vcc
; %bb.669:
	s_or_b64 exec, exec, s[2:3]
	v_lshrrev_b32_e32 v4, 24, v4
	s_movk_i32 s2, 0x80
	v_and_or_b32 v4, v4, s2, v5
	s_mov_b64 s[2:3], 0
	s_branch .LBB241_675
.LBB241_670:
	s_mov_b64 s[4:5], -1
                                        ; implicit-def: $vgpr4
	s_branch .LBB241_689
.LBB241_671:
	s_or_saveexec_b64 s[4:5], s[4:5]
	v_mov_b32_e32 v4, 0x7f800001
	s_xor_b64 exec, exec, s[4:5]
	s_cbranch_execz .LBB241_638
.LBB241_672:
	v_cmp_ne_u16_e32 vcc, 0, v5
	s_andn2_b64 s[2:3], s[2:3], exec
	s_and_b64 s[28:29], vcc, exec
	v_mov_b32_e32 v4, 0
	s_or_b64 s[2:3], s[2:3], s[28:29]
	s_or_b64 exec, exec, s[4:5]
	s_and_saveexec_b64 s[4:5], s[2:3]
	s_cbranch_execnz .LBB241_639
	s_branch .LBB241_640
.LBB241_673:
	s_mov_b64 s[2:3], -1
                                        ; implicit-def: $vgpr4
	s_branch .LBB241_686
.LBB241_674:
	s_mov_b64 s[2:3], -1
                                        ; implicit-def: $vgpr4
.LBB241_675:
	s_and_b64 vcc, exec, s[2:3]
	s_cbranch_vccz .LBB241_685
; %bb.676:
	global_load_ubyte v4, v[0:1], off
	s_mov_b32 s2, 0x7f800000
	s_brev_b32 s3, 1
	s_waitcnt vmcnt(0)
	v_lshlrev_b32_e32 v4, 24, v4
	v_and_b32_e32 v5, 0x7f000000, v4
	v_ffbh_u32_e32 v6, v5
	v_min_u32_e32 v6, 32, v6
	v_sub_u32_e64 v6, v6, 4 clamp
	v_lshlrev_b32_e32 v8, v6, v5
	v_lshlrev_b32_e32 v6, 23, v6
	v_lshrrev_b32_e32 v8, 4, v8
	v_add_u32_e32 v7, 0x1000000, v5
	v_sub_u32_e32 v6, v8, v6
	v_ashrrev_i32_e32 v7, 8, v7
	v_add_u32_e32 v6, 0x3c000000, v6
	v_and_or_b32 v6, v7, s2, v6
	v_cmp_ne_u32_e32 vcc, 0, v5
	v_cndmask_b32_e32 v7, 0, v6, vcc
	v_and_or_b32 v4, v4, s3, v7
	v_and_b32_e32 v6, 0x7fffffff, v4
	s_mov_b32 s2, 0x47800000
	v_cmp_gt_u32_e32 vcc, s2, v6
                                        ; implicit-def: $vgpr5
	s_and_saveexec_b64 s[2:3], vcc
	s_xor_b64 s[2:3], exec, s[2:3]
	s_cbranch_execz .LBB241_682
; %bb.677:
	s_mov_b32 s4, 0x387fffff
	v_cmp_lt_u32_e32 vcc, s4, v6
                                        ; implicit-def: $vgpr5
	s_and_saveexec_b64 s[4:5], vcc
	s_xor_b64 s[4:5], exec, s[4:5]
; %bb.678:
	v_bfe_u32 v5, v7, 21, 1
	s_mov_b32 s28, 0x80fffff
	v_add3_u32 v5, v4, v5, s28
	v_lshrrev_b32_e32 v5, 21, v5
; %bb.679:
	s_andn2_saveexec_b64 s[4:5], s[4:5]
; %bb.680:
	s_mov_b32 s28, 0x43000000
	v_add_f32_e64 v5, |v4|, s28
; %bb.681:
	s_or_b64 exec, exec, s[4:5]
                                        ; implicit-def: $vgpr6
.LBB241_682:
	s_andn2_saveexec_b64 s[2:3], s[2:3]
; %bb.683:
	s_mov_b32 s4, 0x7f800000
	v_mov_b32_e32 v5, 0x7c
	v_mov_b32_e32 v7, 0x7f
	v_cmp_lt_u32_e32 vcc, s4, v6
	v_cndmask_b32_e32 v5, v5, v7, vcc
; %bb.684:
	s_or_b64 exec, exec, s[2:3]
	v_lshrrev_b32_e32 v4, 24, v4
	s_movk_i32 s2, 0x80
	v_and_or_b32 v4, v4, s2, v5
.LBB241_685:
	s_mov_b64 s[2:3], 0
.LBB241_686:
	s_andn2_b64 vcc, exec, s[2:3]
	s_cbranch_vccnz .LBB241_688
; %bb.687:
	global_load_ubyte v4, v[0:1], off
.LBB241_688:
	s_mov_b64 s[4:5], 0
	s_mov_b64 s[2:3], -1
.LBB241_689:
	s_andn2_b64 vcc, exec, s[4:5]
	s_cbranch_vccnz .LBB241_718
; %bb.690:
	s_cmp_gt_i32 s34, 14
	s_cbranch_scc0 .LBB241_701
; %bb.691:
	s_cmp_eq_u32 s34, 15
	s_cbranch_scc0 .LBB241_704
; %bb.692:
	global_load_ushort v4, v[0:1], off
	s_mov_b32 s2, 0x47800000
                                        ; implicit-def: $vgpr5
	s_waitcnt vmcnt(0)
	v_lshlrev_b32_e32 v6, 16, v4
	v_and_b32_e32 v7, 0x7fffffff, v6
	v_cmp_gt_u32_e32 vcc, s2, v7
	s_and_saveexec_b64 s[2:3], vcc
	s_xor_b64 s[2:3], exec, s[2:3]
	s_cbranch_execz .LBB241_698
; %bb.693:
	s_mov_b32 s4, 0x387fffff
	v_cmp_lt_u32_e32 vcc, s4, v7
                                        ; implicit-def: $vgpr5
	s_and_saveexec_b64 s[4:5], vcc
	s_xor_b64 s[4:5], exec, s[4:5]
; %bb.694:
	v_bfe_u32 v5, v4, 5, 1
	s_mov_b32 s26, 0x80fffff
	v_add3_u32 v5, v6, v5, s26
	v_lshrrev_b32_e32 v5, 21, v5
                                        ; implicit-def: $vgpr6
; %bb.695:
	s_andn2_saveexec_b64 s[4:5], s[4:5]
; %bb.696:
	s_mov_b32 s26, 0x43000000
	v_add_f32_e64 v5, |v6|, s26
; %bb.697:
	s_or_b64 exec, exec, s[4:5]
                                        ; implicit-def: $vgpr7
.LBB241_698:
	s_andn2_saveexec_b64 s[2:3], s[2:3]
; %bb.699:
	s_mov_b32 s4, 0x7f800000
	v_mov_b32_e32 v5, 0x7c
	v_mov_b32_e32 v6, 0x7f
	v_cmp_lt_u32_e32 vcc, s4, v7
	v_cndmask_b32_e32 v5, v5, v6, vcc
; %bb.700:
	s_or_b64 exec, exec, s[2:3]
	v_lshrrev_b32_e32 v4, 8, v4
	s_movk_i32 s2, 0x80
	v_and_or_b32 v4, v4, s2, v5
	s_mov_b64 s[2:3], -1
	s_mov_b64 s[26:27], 0
	s_branch .LBB241_705
.LBB241_701:
	s_mov_b64 s[4:5], -1
                                        ; implicit-def: $vgpr4
	s_branch .LBB241_706
.LBB241_702:
	s_or_saveexec_b64 s[4:5], s[4:5]
	v_mov_b32_e32 v4, 0x7f800001
	s_xor_b64 exec, exec, s[4:5]
	s_cbranch_execz .LBB241_659
.LBB241_703:
	v_cmp_ne_u16_e32 vcc, 0, v5
	s_andn2_b64 s[2:3], s[2:3], exec
	s_and_b64 s[28:29], vcc, exec
	v_mov_b32_e32 v4, 0
	s_or_b64 s[2:3], s[2:3], s[28:29]
	s_or_b64 exec, exec, s[4:5]
	s_and_saveexec_b64 s[4:5], s[2:3]
	s_cbranch_execnz .LBB241_660
	s_branch .LBB241_661
.LBB241_704:
	s_mov_b64 s[26:27], -1
                                        ; implicit-def: $vgpr4
.LBB241_705:
	s_mov_b64 s[4:5], 0
.LBB241_706:
	s_and_b64 vcc, exec, s[4:5]
	s_cbranch_vccz .LBB241_718
; %bb.707:
	s_cmp_eq_u32 s34, 11
	s_cbranch_scc0 .LBB241_717
; %bb.708:
	global_load_ubyte v4, v[0:1], off
	s_mov_b32 s2, 0x47800000
	s_waitcnt vmcnt(0)
	v_cmp_ne_u16_e32 vcc, 0, v4
	v_cndmask_b32_e64 v5, 0, 1.0, vcc
	v_cmp_gt_u32_e32 vcc, s2, v5
                                        ; implicit-def: $vgpr4
	s_and_saveexec_b64 s[2:3], vcc
	s_xor_b64 s[2:3], exec, s[2:3]
	s_cbranch_execz .LBB241_714
; %bb.709:
	s_mov_b32 s4, 0x387fffff
	v_cmp_lt_u32_e32 vcc, s4, v5
                                        ; implicit-def: $vgpr4
	s_and_saveexec_b64 s[4:5], vcc
	s_xor_b64 s[4:5], exec, s[4:5]
; %bb.710:
	v_bfe_u32 v4, v5, 21, 1
	s_mov_b32 s26, 0x80fffff
	v_add3_u32 v4, v5, v4, s26
	v_lshrrev_b32_e32 v4, 21, v4
                                        ; implicit-def: $vgpr5
; %bb.711:
	s_andn2_saveexec_b64 s[4:5], s[4:5]
; %bb.712:
	v_add_f32_e32 v4, 0x43000000, v5
; %bb.713:
	s_or_b64 exec, exec, s[4:5]
                                        ; implicit-def: $vgpr5
.LBB241_714:
	s_andn2_saveexec_b64 s[2:3], s[2:3]
; %bb.715:
	s_mov_b32 s4, 0x7f800000
	v_mov_b32_e32 v4, 0x7c
	v_mov_b32_e32 v6, 0x7f
	v_cmp_lt_u32_e32 vcc, s4, v5
	v_cndmask_b32_e32 v4, v4, v6, vcc
; %bb.716:
	s_or_b64 exec, exec, s[2:3]
	s_mov_b64 s[2:3], -1
	s_mov_b64 s[26:27], 0
	s_branch .LBB241_718
.LBB241_717:
	s_mov_b64 s[26:27], -1
                                        ; implicit-def: $vgpr4
.LBB241_718:
	s_branch .LBB241_449
.LBB241_719:
	s_cmp_lt_i32 s34, 5
	s_cbranch_scc1 .LBB241_732
; %bb.720:
	s_cmp_lt_i32 s34, 8
	s_cbranch_scc1 .LBB241_733
; %bb.721:
	;; [unrolled: 3-line block ×3, first 2 shown]
	s_cmp_gt_i32 s34, 9
	s_cbranch_scc0 .LBB241_735
; %bb.723:
	global_load_dwordx2 v[4:5], v[0:1], off
	s_mov_b32 s2, 0x47800000
	s_waitcnt vmcnt(0)
	v_cvt_f32_f64_e32 v4, v[4:5]
                                        ; implicit-def: $vgpr5
	v_and_b32_e32 v6, 0x7fffffff, v4
	v_cmp_gt_u32_e32 vcc, s2, v6
	s_and_saveexec_b64 s[2:3], vcc
	s_xor_b64 s[2:3], exec, s[2:3]
	s_cbranch_execz .LBB241_729
; %bb.724:
	s_mov_b32 s4, 0x387fffff
	v_cmp_lt_u32_e32 vcc, s4, v6
                                        ; implicit-def: $vgpr5
	s_and_saveexec_b64 s[4:5], vcc
	s_xor_b64 s[4:5], exec, s[4:5]
; %bb.725:
	v_bfe_u32 v5, v4, 21, 1
	s_mov_b32 s28, 0x80fffff
	v_add3_u32 v5, v4, v5, s28
	v_lshrrev_b32_e32 v5, 21, v5
; %bb.726:
	s_andn2_saveexec_b64 s[4:5], s[4:5]
; %bb.727:
	s_mov_b32 s28, 0x43000000
	v_add_f32_e64 v5, |v4|, s28
; %bb.728:
	s_or_b64 exec, exec, s[4:5]
                                        ; implicit-def: $vgpr6
.LBB241_729:
	s_andn2_saveexec_b64 s[2:3], s[2:3]
; %bb.730:
	s_mov_b32 s4, 0x7f800000
	v_mov_b32_e32 v5, 0x7c
	v_mov_b32_e32 v7, 0x7f
	v_cmp_lt_u32_e32 vcc, s4, v6
	v_cndmask_b32_e32 v5, v5, v7, vcc
; %bb.731:
	s_or_b64 exec, exec, s[2:3]
	v_lshrrev_b32_e32 v4, 24, v4
	s_movk_i32 s2, 0x80
	v_and_or_b32 v4, v4, s2, v5
	s_mov_b64 s[2:3], 0
	s_branch .LBB241_736
.LBB241_732:
	s_mov_b64 s[2:3], -1
                                        ; implicit-def: $vgpr4
	s_branch .LBB241_794
.LBB241_733:
	s_mov_b64 s[2:3], -1
                                        ; implicit-def: $vgpr4
	s_branch .LBB241_758
.LBB241_734:
	s_mov_b64 s[2:3], -1
                                        ; implicit-def: $vgpr4
	s_branch .LBB241_747
.LBB241_735:
	s_mov_b64 s[2:3], -1
                                        ; implicit-def: $vgpr4
.LBB241_736:
	s_and_b64 vcc, exec, s[2:3]
	s_cbranch_vccz .LBB241_746
; %bb.737:
	global_load_dword v4, v[0:1], off
	s_mov_b32 s2, 0x47800000
                                        ; implicit-def: $vgpr5
	s_waitcnt vmcnt(0)
	v_and_b32_e32 v6, 0x7fffffff, v4
	v_cmp_gt_u32_e32 vcc, s2, v6
	s_and_saveexec_b64 s[2:3], vcc
	s_xor_b64 s[2:3], exec, s[2:3]
	s_cbranch_execz .LBB241_743
; %bb.738:
	s_mov_b32 s4, 0x387fffff
	v_cmp_lt_u32_e32 vcc, s4, v6
                                        ; implicit-def: $vgpr5
	s_and_saveexec_b64 s[4:5], vcc
	s_xor_b64 s[4:5], exec, s[4:5]
; %bb.739:
	v_bfe_u32 v5, v4, 21, 1
	s_mov_b32 s28, 0x80fffff
	v_add3_u32 v5, v4, v5, s28
	v_lshrrev_b32_e32 v5, 21, v5
; %bb.740:
	s_andn2_saveexec_b64 s[4:5], s[4:5]
; %bb.741:
	s_mov_b32 s28, 0x43000000
	v_add_f32_e64 v5, |v4|, s28
; %bb.742:
	s_or_b64 exec, exec, s[4:5]
                                        ; implicit-def: $vgpr6
.LBB241_743:
	s_andn2_saveexec_b64 s[2:3], s[2:3]
; %bb.744:
	s_mov_b32 s4, 0x7f800000
	v_mov_b32_e32 v5, 0x7c
	v_mov_b32_e32 v7, 0x7f
	v_cmp_lt_u32_e32 vcc, s4, v6
	v_cndmask_b32_e32 v5, v5, v7, vcc
; %bb.745:
	s_or_b64 exec, exec, s[2:3]
	v_lshrrev_b32_e32 v4, 24, v4
	s_movk_i32 s2, 0x80
	v_and_or_b32 v4, v4, s2, v5
.LBB241_746:
	s_mov_b64 s[2:3], 0
.LBB241_747:
	s_andn2_b64 vcc, exec, s[2:3]
	s_cbranch_vccnz .LBB241_757
; %bb.748:
	global_load_dword v4, v[0:1], off
	s_mov_b32 s2, 0x47800000
                                        ; implicit-def: $vgpr5
	s_waitcnt vmcnt(0)
	v_cvt_f32_f16_e32 v4, v4
	v_and_b32_e32 v6, 0x7fffffff, v4
	v_cmp_gt_u32_e32 vcc, s2, v6
	s_and_saveexec_b64 s[2:3], vcc
	s_xor_b64 s[2:3], exec, s[2:3]
	s_cbranch_execz .LBB241_754
; %bb.749:
	s_mov_b32 s4, 0x387fffff
	v_cmp_lt_u32_e32 vcc, s4, v6
                                        ; implicit-def: $vgpr5
	s_and_saveexec_b64 s[4:5], vcc
	s_xor_b64 s[4:5], exec, s[4:5]
; %bb.750:
	v_bfe_u32 v5, v4, 21, 1
	s_mov_b32 s28, 0x80fffff
	v_add3_u32 v5, v4, v5, s28
	v_lshrrev_b32_e32 v5, 21, v5
; %bb.751:
	s_andn2_saveexec_b64 s[4:5], s[4:5]
; %bb.752:
	s_mov_b32 s28, 0x43000000
	v_add_f32_e64 v5, |v4|, s28
; %bb.753:
	s_or_b64 exec, exec, s[4:5]
                                        ; implicit-def: $vgpr6
.LBB241_754:
	s_andn2_saveexec_b64 s[2:3], s[2:3]
; %bb.755:
	s_mov_b32 s4, 0x7f800000
	v_mov_b32_e32 v5, 0x7c
	v_mov_b32_e32 v7, 0x7f
	v_cmp_lt_u32_e32 vcc, s4, v6
	v_cndmask_b32_e32 v5, v5, v7, vcc
; %bb.756:
	s_or_b64 exec, exec, s[2:3]
	v_lshrrev_b32_e32 v4, 24, v4
	s_movk_i32 s2, 0x80
	v_and_or_b32 v4, v4, s2, v5
.LBB241_757:
	s_mov_b64 s[2:3], 0
.LBB241_758:
	s_andn2_b64 vcc, exec, s[2:3]
	s_cbranch_vccnz .LBB241_793
; %bb.759:
	s_cmp_lt_i32 s34, 6
	s_cbranch_scc1 .LBB241_770
; %bb.760:
	s_cmp_gt_i32 s34, 6
	s_cbranch_scc0 .LBB241_771
; %bb.761:
	global_load_dwordx2 v[4:5], v[0:1], off
	s_mov_b32 s2, 0x47800000
	s_waitcnt vmcnt(0)
	v_cvt_f32_f64_e32 v4, v[4:5]
                                        ; implicit-def: $vgpr5
	v_and_b32_e32 v6, 0x7fffffff, v4
	v_cmp_gt_u32_e32 vcc, s2, v6
	s_and_saveexec_b64 s[2:3], vcc
	s_xor_b64 s[2:3], exec, s[2:3]
	s_cbranch_execz .LBB241_767
; %bb.762:
	s_mov_b32 s4, 0x387fffff
	v_cmp_lt_u32_e32 vcc, s4, v6
                                        ; implicit-def: $vgpr5
	s_and_saveexec_b64 s[4:5], vcc
	s_xor_b64 s[4:5], exec, s[4:5]
; %bb.763:
	v_bfe_u32 v5, v4, 21, 1
	s_mov_b32 s28, 0x80fffff
	v_add3_u32 v5, v4, v5, s28
	v_lshrrev_b32_e32 v5, 21, v5
; %bb.764:
	s_andn2_saveexec_b64 s[4:5], s[4:5]
; %bb.765:
	s_mov_b32 s28, 0x43000000
	v_add_f32_e64 v5, |v4|, s28
; %bb.766:
	s_or_b64 exec, exec, s[4:5]
                                        ; implicit-def: $vgpr6
.LBB241_767:
	s_andn2_saveexec_b64 s[2:3], s[2:3]
; %bb.768:
	s_mov_b32 s4, 0x7f800000
	v_mov_b32_e32 v5, 0x7c
	v_mov_b32_e32 v7, 0x7f
	v_cmp_lt_u32_e32 vcc, s4, v6
	v_cndmask_b32_e32 v5, v5, v7, vcc
; %bb.769:
	s_or_b64 exec, exec, s[2:3]
	v_lshrrev_b32_e32 v4, 24, v4
	s_movk_i32 s2, 0x80
	v_and_or_b32 v4, v4, s2, v5
	s_mov_b64 s[2:3], 0
	s_branch .LBB241_772
.LBB241_770:
	s_mov_b64 s[2:3], -1
                                        ; implicit-def: $vgpr4
	s_branch .LBB241_783
.LBB241_771:
	s_mov_b64 s[2:3], -1
                                        ; implicit-def: $vgpr4
.LBB241_772:
	s_and_b64 vcc, exec, s[2:3]
	s_cbranch_vccz .LBB241_782
; %bb.773:
	global_load_dword v4, v[0:1], off
	s_mov_b32 s2, 0x47800000
                                        ; implicit-def: $vgpr5
	s_waitcnt vmcnt(0)
	v_and_b32_e32 v6, 0x7fffffff, v4
	v_cmp_gt_u32_e32 vcc, s2, v6
	s_and_saveexec_b64 s[2:3], vcc
	s_xor_b64 s[2:3], exec, s[2:3]
	s_cbranch_execz .LBB241_779
; %bb.774:
	s_mov_b32 s4, 0x387fffff
	v_cmp_lt_u32_e32 vcc, s4, v6
                                        ; implicit-def: $vgpr5
	s_and_saveexec_b64 s[4:5], vcc
	s_xor_b64 s[4:5], exec, s[4:5]
; %bb.775:
	v_bfe_u32 v5, v4, 21, 1
	s_mov_b32 s28, 0x80fffff
	v_add3_u32 v5, v4, v5, s28
	v_lshrrev_b32_e32 v5, 21, v5
; %bb.776:
	s_andn2_saveexec_b64 s[4:5], s[4:5]
; %bb.777:
	s_mov_b32 s28, 0x43000000
	v_add_f32_e64 v5, |v4|, s28
; %bb.778:
	s_or_b64 exec, exec, s[4:5]
                                        ; implicit-def: $vgpr6
.LBB241_779:
	s_andn2_saveexec_b64 s[2:3], s[2:3]
; %bb.780:
	s_mov_b32 s4, 0x7f800000
	v_mov_b32_e32 v5, 0x7c
	v_mov_b32_e32 v7, 0x7f
	v_cmp_lt_u32_e32 vcc, s4, v6
	v_cndmask_b32_e32 v5, v5, v7, vcc
; %bb.781:
	s_or_b64 exec, exec, s[2:3]
	v_lshrrev_b32_e32 v4, 24, v4
	s_movk_i32 s2, 0x80
	v_and_or_b32 v4, v4, s2, v5
.LBB241_782:
	s_mov_b64 s[2:3], 0
.LBB241_783:
	s_andn2_b64 vcc, exec, s[2:3]
	s_cbranch_vccnz .LBB241_793
; %bb.784:
	global_load_ushort v4, v[0:1], off
	s_mov_b32 s2, 0x47800000
                                        ; implicit-def: $vgpr5
	s_waitcnt vmcnt(0)
	v_cvt_f32_f16_e32 v4, v4
	v_and_b32_e32 v6, 0x7fffffff, v4
	v_cmp_gt_u32_e32 vcc, s2, v6
	s_and_saveexec_b64 s[2:3], vcc
	s_xor_b64 s[2:3], exec, s[2:3]
	s_cbranch_execz .LBB241_790
; %bb.785:
	s_mov_b32 s4, 0x387fffff
	v_cmp_lt_u32_e32 vcc, s4, v6
                                        ; implicit-def: $vgpr5
	s_and_saveexec_b64 s[4:5], vcc
	s_xor_b64 s[4:5], exec, s[4:5]
; %bb.786:
	v_bfe_u32 v5, v4, 21, 1
	s_mov_b32 s28, 0x80fffff
	v_add3_u32 v5, v4, v5, s28
	v_lshrrev_b32_e32 v5, 21, v5
; %bb.787:
	s_andn2_saveexec_b64 s[4:5], s[4:5]
; %bb.788:
	s_mov_b32 s28, 0x43000000
	v_add_f32_e64 v5, |v4|, s28
; %bb.789:
	s_or_b64 exec, exec, s[4:5]
                                        ; implicit-def: $vgpr6
.LBB241_790:
	s_andn2_saveexec_b64 s[2:3], s[2:3]
; %bb.791:
	s_mov_b32 s4, 0x7f800000
	v_mov_b32_e32 v5, 0x7c
	v_mov_b32_e32 v7, 0x7f
	v_cmp_lt_u32_e32 vcc, s4, v6
	v_cndmask_b32_e32 v5, v5, v7, vcc
; %bb.792:
	s_or_b64 exec, exec, s[2:3]
	v_lshrrev_b32_e32 v4, 24, v4
	s_movk_i32 s2, 0x80
	v_and_or_b32 v4, v4, s2, v5
.LBB241_793:
	s_mov_b64 s[2:3], 0
.LBB241_794:
	s_andn2_b64 vcc, exec, s[2:3]
	s_cbranch_vccnz .LBB241_854
; %bb.795:
	s_cmp_lt_i32 s34, 2
	s_cbranch_scc1 .LBB241_807
; %bb.796:
	s_cmp_lt_i32 s34, 3
	s_cbranch_scc1 .LBB241_808
; %bb.797:
	s_cmp_gt_i32 s34, 3
	s_cbranch_scc0 .LBB241_809
; %bb.798:
	global_load_dwordx2 v[4:5], v[0:1], off
	s_mov_b32 s2, 0x47800000
	s_waitcnt vmcnt(0)
	v_xor_b32_e32 v7, v4, v5
	v_ffbh_i32_e32 v6, v5
	v_ashrrev_i32_e32 v7, 31, v7
	v_add_u32_e32 v6, -1, v6
	v_add_u32_e32 v7, 32, v7
	v_min_u32_e32 v6, v6, v7
	v_lshlrev_b64 v[4:5], v6, v[4:5]
	v_min_u32_e32 v4, 1, v4
	v_or_b32_e32 v4, v5, v4
	v_cvt_f32_i32_e32 v4, v4
	v_sub_u32_e32 v5, 32, v6
	v_ldexp_f32 v4, v4, v5
	v_and_b32_e32 v6, 0x7fffffff, v4
	v_cmp_gt_u32_e32 vcc, s2, v6
                                        ; implicit-def: $vgpr5
	s_and_saveexec_b64 s[2:3], vcc
	s_xor_b64 s[2:3], exec, s[2:3]
	s_cbranch_execz .LBB241_804
; %bb.799:
	s_mov_b32 s4, 0x387fffff
	v_cmp_lt_u32_e32 vcc, s4, v6
                                        ; implicit-def: $vgpr5
	s_and_saveexec_b64 s[4:5], vcc
	s_xor_b64 s[4:5], exec, s[4:5]
; %bb.800:
	v_bfe_u32 v5, v4, 21, 1
	s_mov_b32 s28, 0x80fffff
	v_add3_u32 v5, v4, v5, s28
	v_lshrrev_b32_e32 v5, 21, v5
; %bb.801:
	s_andn2_saveexec_b64 s[4:5], s[4:5]
; %bb.802:
	s_mov_b32 s28, 0x43000000
	v_add_f32_e64 v5, |v4|, s28
; %bb.803:
	s_or_b64 exec, exec, s[4:5]
                                        ; implicit-def: $vgpr6
.LBB241_804:
	s_andn2_saveexec_b64 s[2:3], s[2:3]
; %bb.805:
	s_mov_b32 s4, 0x7f800000
	v_mov_b32_e32 v5, 0x7c
	v_mov_b32_e32 v7, 0x7f
	v_cmp_lt_u32_e32 vcc, s4, v6
	v_cndmask_b32_e32 v5, v5, v7, vcc
; %bb.806:
	s_or_b64 exec, exec, s[2:3]
	v_lshrrev_b32_e32 v4, 24, v4
	s_movk_i32 s2, 0x80
	v_and_or_b32 v4, v4, s2, v5
	s_mov_b64 s[2:3], 0
	s_branch .LBB241_810
.LBB241_807:
	s_mov_b64 s[2:3], -1
                                        ; implicit-def: $vgpr4
	s_branch .LBB241_832
.LBB241_808:
	s_mov_b64 s[2:3], -1
                                        ; implicit-def: $vgpr4
	s_branch .LBB241_821
.LBB241_809:
	s_mov_b64 s[2:3], -1
                                        ; implicit-def: $vgpr4
.LBB241_810:
	s_and_b64 vcc, exec, s[2:3]
	s_cbranch_vccz .LBB241_820
; %bb.811:
	global_load_dword v4, v[0:1], off
	s_mov_b32 s2, 0x47800000
                                        ; implicit-def: $vgpr5
	s_waitcnt vmcnt(0)
	v_cvt_f32_i32_e32 v4, v4
	v_and_b32_e32 v6, 0x7fffffff, v4
	v_cmp_gt_u32_e32 vcc, s2, v6
	s_and_saveexec_b64 s[2:3], vcc
	s_xor_b64 s[2:3], exec, s[2:3]
	s_cbranch_execz .LBB241_817
; %bb.812:
	s_mov_b32 s4, 0x387fffff
	v_cmp_lt_u32_e32 vcc, s4, v6
                                        ; implicit-def: $vgpr5
	s_and_saveexec_b64 s[4:5], vcc
	s_xor_b64 s[4:5], exec, s[4:5]
; %bb.813:
	v_bfe_u32 v5, v4, 21, 1
	s_mov_b32 s28, 0x80fffff
	v_add3_u32 v5, v4, v5, s28
	v_lshrrev_b32_e32 v5, 21, v5
; %bb.814:
	s_andn2_saveexec_b64 s[4:5], s[4:5]
; %bb.815:
	s_mov_b32 s28, 0x43000000
	v_add_f32_e64 v5, |v4|, s28
; %bb.816:
	s_or_b64 exec, exec, s[4:5]
                                        ; implicit-def: $vgpr6
.LBB241_817:
	s_andn2_saveexec_b64 s[2:3], s[2:3]
; %bb.818:
	s_mov_b32 s4, 0x7f800000
	v_mov_b32_e32 v5, 0x7c
	v_mov_b32_e32 v7, 0x7f
	v_cmp_lt_u32_e32 vcc, s4, v6
	v_cndmask_b32_e32 v5, v5, v7, vcc
; %bb.819:
	s_or_b64 exec, exec, s[2:3]
	v_lshrrev_b32_e32 v4, 24, v4
	s_movk_i32 s2, 0x80
	v_and_or_b32 v4, v4, s2, v5
.LBB241_820:
	s_mov_b64 s[2:3], 0
.LBB241_821:
	s_andn2_b64 vcc, exec, s[2:3]
	s_cbranch_vccnz .LBB241_831
; %bb.822:
	global_load_sshort v4, v[0:1], off
	s_mov_b32 s2, 0x47800000
                                        ; implicit-def: $vgpr5
	s_waitcnt vmcnt(0)
	v_cvt_f32_i32_e32 v4, v4
	v_and_b32_e32 v6, 0x7fffffff, v4
	v_cmp_gt_u32_e32 vcc, s2, v6
	s_and_saveexec_b64 s[2:3], vcc
	s_xor_b64 s[2:3], exec, s[2:3]
	s_cbranch_execz .LBB241_828
; %bb.823:
	s_mov_b32 s4, 0x387fffff
	v_cmp_lt_u32_e32 vcc, s4, v6
                                        ; implicit-def: $vgpr5
	s_and_saveexec_b64 s[4:5], vcc
	s_xor_b64 s[4:5], exec, s[4:5]
; %bb.824:
	v_bfe_u32 v5, v4, 21, 1
	s_mov_b32 s28, 0x80fffff
	v_add3_u32 v5, v4, v5, s28
	v_lshrrev_b32_e32 v5, 21, v5
; %bb.825:
	s_andn2_saveexec_b64 s[4:5], s[4:5]
; %bb.826:
	s_mov_b32 s28, 0x43000000
	v_add_f32_e64 v5, |v4|, s28
; %bb.827:
	s_or_b64 exec, exec, s[4:5]
                                        ; implicit-def: $vgpr6
.LBB241_828:
	s_andn2_saveexec_b64 s[2:3], s[2:3]
; %bb.829:
	s_mov_b32 s4, 0x7f800000
	v_mov_b32_e32 v5, 0x7c
	v_mov_b32_e32 v7, 0x7f
	v_cmp_lt_u32_e32 vcc, s4, v6
	v_cndmask_b32_e32 v5, v5, v7, vcc
; %bb.830:
	s_or_b64 exec, exec, s[2:3]
	v_lshrrev_b32_e32 v4, 24, v4
	s_movk_i32 s2, 0x80
	v_and_or_b32 v4, v4, s2, v5
.LBB241_831:
	s_mov_b64 s[2:3], 0
.LBB241_832:
	s_andn2_b64 vcc, exec, s[2:3]
	s_cbranch_vccnz .LBB241_854
; %bb.833:
	s_cmp_gt_i32 s34, 0
	s_cbranch_scc0 .LBB241_843
; %bb.834:
	global_load_sbyte v4, v[0:1], off
	s_mov_b32 s2, 0x47800000
                                        ; implicit-def: $vgpr5
	s_waitcnt vmcnt(0)
	v_cvt_f32_i32_e32 v4, v4
	v_and_b32_e32 v6, 0x7fffffff, v4
	v_cmp_gt_u32_e32 vcc, s2, v6
	s_and_saveexec_b64 s[2:3], vcc
	s_xor_b64 s[2:3], exec, s[2:3]
	s_cbranch_execz .LBB241_840
; %bb.835:
	s_mov_b32 s4, 0x387fffff
	v_cmp_lt_u32_e32 vcc, s4, v6
                                        ; implicit-def: $vgpr5
	s_and_saveexec_b64 s[4:5], vcc
	s_xor_b64 s[4:5], exec, s[4:5]
; %bb.836:
	v_bfe_u32 v5, v4, 21, 1
	s_mov_b32 s28, 0x80fffff
	v_add3_u32 v5, v4, v5, s28
	v_lshrrev_b32_e32 v5, 21, v5
; %bb.837:
	s_andn2_saveexec_b64 s[4:5], s[4:5]
; %bb.838:
	s_mov_b32 s28, 0x43000000
	v_add_f32_e64 v5, |v4|, s28
; %bb.839:
	s_or_b64 exec, exec, s[4:5]
                                        ; implicit-def: $vgpr6
.LBB241_840:
	s_andn2_saveexec_b64 s[2:3], s[2:3]
; %bb.841:
	s_mov_b32 s4, 0x7f800000
	v_mov_b32_e32 v5, 0x7c
	v_mov_b32_e32 v7, 0x7f
	v_cmp_lt_u32_e32 vcc, s4, v6
	v_cndmask_b32_e32 v5, v5, v7, vcc
; %bb.842:
	s_or_b64 exec, exec, s[2:3]
	v_lshrrev_b32_e32 v4, 24, v4
	s_movk_i32 s2, 0x80
	v_and_or_b32 v4, v4, s2, v5
	s_mov_b64 s[2:3], 0
	s_branch .LBB241_844
.LBB241_843:
	s_mov_b64 s[2:3], -1
                                        ; implicit-def: $vgpr4
.LBB241_844:
	s_and_b64 vcc, exec, s[2:3]
	s_cbranch_vccz .LBB241_854
; %bb.845:
	global_load_ubyte v0, v[0:1], off
	s_mov_b32 s2, 0x47800000
                                        ; implicit-def: $vgpr4
	s_waitcnt vmcnt(0)
	v_cvt_f32_ubyte0_e32 v0, v0
	v_cmp_gt_u32_e32 vcc, s2, v0
	s_and_saveexec_b64 s[2:3], vcc
	s_xor_b64 s[2:3], exec, s[2:3]
	s_cbranch_execz .LBB241_851
; %bb.846:
	s_mov_b32 s4, 0x387fffff
	v_cmp_lt_u32_e32 vcc, s4, v0
                                        ; implicit-def: $vgpr4
	s_and_saveexec_b64 s[4:5], vcc
	s_xor_b64 s[4:5], exec, s[4:5]
; %bb.847:
	v_bfe_u32 v1, v0, 21, 1
	s_mov_b32 s28, 0x80fffff
	v_add3_u32 v0, v0, v1, s28
	v_lshrrev_b32_e32 v4, 21, v0
                                        ; implicit-def: $vgpr0
; %bb.848:
	s_andn2_saveexec_b64 s[4:5], s[4:5]
; %bb.849:
	v_add_f32_e32 v4, 0x43000000, v0
; %bb.850:
	s_or_b64 exec, exec, s[4:5]
                                        ; implicit-def: $vgpr0
.LBB241_851:
	s_andn2_saveexec_b64 s[2:3], s[2:3]
; %bb.852:
	s_mov_b32 s4, 0x7f800000
	v_mov_b32_e32 v1, 0x7c
	v_mov_b32_e32 v4, 0x7f
	v_cmp_lt_u32_e32 vcc, s4, v0
	v_cndmask_b32_e32 v4, v1, v4, vcc
; %bb.853:
	s_or_b64 exec, exec, s[2:3]
.LBB241_854:
	s_branch .LBB241_450
.LBB241_855:
	s_mov_b64 s[2:3], 0
	s_mov_b64 s[4:5], s[20:21]
.LBB241_856:
                                        ; implicit-def: $vgpr2
.LBB241_857:
	s_andn2_b64 s[28:29], s[20:21], exec
	s_and_b64 s[4:5], s[4:5], exec
	s_or_b64 s[28:29], s[28:29], s[4:5]
	s_andn2_b64 s[4:5], s[22:23], exec
	s_and_b64 s[26:27], s[26:27], exec
	s_or_b64 s[26:27], s[4:5], s[26:27]
	s_orn2_b64 s[2:3], s[2:3], exec
.LBB241_858:
	s_or_b64 exec, exec, s[30:31]
	s_mov_b64 s[34:35], 0
	s_mov_b64 s[36:37], 0
	;; [unrolled: 1-line block ×3, first 2 shown]
                                        ; implicit-def: $vgpr0_vgpr1
                                        ; implicit-def: $vgpr4
	s_and_saveexec_b64 s[30:31], s[2:3]
	s_cbranch_execz .LBB241_1444
; %bb.859:
	v_cmp_gt_i32_e32 vcc, s33, v2
	s_mov_b64 s[40:41], -1
	s_mov_b64 s[2:3], s[26:27]
	s_mov_b64 s[4:5], s[28:29]
	s_and_saveexec_b64 s[34:35], vcc
	s_cbranch_execz .LBB241_1286
; %bb.860:
	v_mul_lo_u32 v0, v2, s13
	v_mov_b32_e32 v1, s11
	s_and_b32 s40, 0xffff, s15
	s_cmp_lt_i32 s40, 11
	s_waitcnt vmcnt(0)
	v_ashrrev_i32_e32 v4, 31, v0
	v_add_co_u32_e32 v0, vcc, s10, v0
	v_addc_co_u32_e32 v1, vcc, v1, v4, vcc
	s_cbranch_scc1 .LBB241_875
; %bb.861:
	s_cmp_gt_i32 s40, 25
	s_cbranch_scc0 .LBB241_876
; %bb.862:
	s_cmp_gt_i32 s40, 28
	s_cbranch_scc0 .LBB241_877
	;; [unrolled: 3-line block ×4, first 2 shown]
; %bb.865:
	s_cmp_eq_u32 s40, 46
	s_mov_b64 s[4:5], 0
	s_cbranch_scc0 .LBB241_884
; %bb.866:
	global_load_dword v4, v[0:1], off
	s_mov_b32 s2, 0x47800000
                                        ; implicit-def: $vgpr5
	s_waitcnt vmcnt(0)
	v_lshlrev_b32_e32 v4, 16, v4
	v_and_b32_e32 v6, 0x7fffffff, v4
	v_cmp_gt_u32_e32 vcc, s2, v6
	s_and_saveexec_b64 s[2:3], vcc
	s_xor_b64 s[2:3], exec, s[2:3]
	s_cbranch_execz .LBB241_872
; %bb.867:
	s_mov_b32 s36, 0x387fffff
	v_cmp_lt_u32_e32 vcc, s36, v6
                                        ; implicit-def: $vgpr5
	s_and_saveexec_b64 s[36:37], vcc
	s_xor_b64 s[36:37], exec, s[36:37]
; %bb.868:
	v_bfe_u32 v5, v4, 21, 1
	s_mov_b32 s38, 0x80fffff
	v_add3_u32 v5, v4, v5, s38
	v_lshrrev_b32_e32 v5, 21, v5
; %bb.869:
	s_andn2_saveexec_b64 s[36:37], s[36:37]
; %bb.870:
	s_mov_b32 s38, 0x43000000
	v_add_f32_e64 v5, |v4|, s38
; %bb.871:
	s_or_b64 exec, exec, s[36:37]
                                        ; implicit-def: $vgpr6
.LBB241_872:
	s_andn2_saveexec_b64 s[2:3], s[2:3]
; %bb.873:
	s_mov_b32 s36, 0x7f800000
	v_mov_b32_e32 v5, 0x7c
	v_mov_b32_e32 v7, 0x7f
	v_cmp_lt_u32_e32 vcc, s36, v6
	v_cndmask_b32_e32 v5, v5, v7, vcc
; %bb.874:
	s_or_b64 exec, exec, s[2:3]
	v_lshrrev_b32_e32 v4, 24, v4
	s_movk_i32 s2, 0x80
	v_and_or_b32 v4, v4, s2, v5
	s_mov_b64 s[2:3], -1
	s_mov_b64 s[36:37], 0
	s_branch .LBB241_885
.LBB241_875:
	s_mov_b64 s[4:5], -1
	s_mov_b64 s[2:3], 0
                                        ; implicit-def: $vgpr4
	s_mov_b64 s[36:37], s[26:27]
	s_branch .LBB241_1022
.LBB241_876:
	s_mov_b64 s[4:5], -1
	s_mov_b64 s[2:3], 0
	s_mov_b64 s[36:37], s[26:27]
                                        ; implicit-def: $vgpr4
	s_branch .LBB241_954
.LBB241_877:
	s_mov_b64 s[4:5], -1
	s_mov_b64 s[2:3], 0
                                        ; implicit-def: $vgpr4
	s_mov_b64 s[36:37], s[26:27]
	s_branch .LBB241_911
.LBB241_878:
	s_mov_b64 s[4:5], -1
	s_mov_b64 s[2:3], 0
	s_mov_b64 s[36:37], s[26:27]
                                        ; implicit-def: $vgpr4
	s_branch .LBB241_898
.LBB241_879:
	s_andn2_saveexec_b64 s[36:37], s[36:37]
	s_cbranch_execz .LBB241_503
.LBB241_880:
	v_add_f32_e32 v4, 0x46000000, v5
	v_and_b32_e32 v4, 0xff, v4
	v_cmp_ne_u32_e32 vcc, 0, v4
	s_andn2_b64 s[34:35], s[34:35], exec
	s_and_b64 s[40:41], vcc, exec
	s_or_b64 s[34:35], s[34:35], s[40:41]
	s_or_b64 exec, exec, s[36:37]
	v_mov_b32_e32 v6, 0
	s_and_saveexec_b64 s[36:37], s[34:35]
	s_cbranch_execnz .LBB241_504
	s_branch .LBB241_505
.LBB241_881:
	s_mov_b64 s[4:5], -1
	s_mov_b64 s[2:3], 0
	s_mov_b64 s[36:37], s[26:27]
                                        ; implicit-def: $vgpr4
	s_branch .LBB241_885
.LBB241_882:
	s_andn2_saveexec_b64 s[36:37], s[36:37]
	s_cbranch_execz .LBB241_516
.LBB241_883:
	v_add_f32_e32 v4, 0x42800000, v5
	v_and_b32_e32 v4, 0xff, v4
	v_cmp_ne_u32_e32 vcc, 0, v4
	s_andn2_b64 s[34:35], s[34:35], exec
	s_and_b64 s[40:41], vcc, exec
	s_or_b64 s[34:35], s[34:35], s[40:41]
	s_or_b64 exec, exec, s[36:37]
	v_mov_b32_e32 v6, 0
	s_and_saveexec_b64 s[36:37], s[34:35]
	s_cbranch_execnz .LBB241_517
	s_branch .LBB241_518
.LBB241_884:
	s_mov_b64 s[36:37], -1
                                        ; implicit-def: $vgpr4
	s_mov_b64 s[2:3], 0
.LBB241_885:
	s_and_b64 vcc, exec, s[4:5]
	s_cbranch_vccz .LBB241_897
; %bb.886:
	s_cmp_eq_u32 s40, 44
	s_cbranch_scc0 .LBB241_896
; %bb.887:
	global_load_ubyte v4, v[0:1], off
	s_movk_i32 s2, 0xff
	v_mov_b32_e32 v5, 0x7f800001
	v_mov_b32_e32 v6, 0x400000
	s_waitcnt vmcnt(0)
	v_lshlrev_b32_e32 v7, 23, v4
	v_cmp_ne_u32_e32 vcc, s2, v4
	v_cndmask_b32_e32 v5, v5, v7, vcc
	v_cmp_ne_u32_e32 vcc, 0, v4
	v_cndmask_b32_e32 v5, v6, v5, vcc
	s_mov_b32 s2, 0x47800000
	v_cmp_gt_u32_e32 vcc, s2, v5
                                        ; implicit-def: $vgpr4
	s_and_saveexec_b64 s[2:3], vcc
	s_xor_b64 s[2:3], exec, s[2:3]
	s_cbranch_execz .LBB241_893
; %bb.888:
	s_mov_b32 s4, 0x387fffff
	v_cmp_lt_u32_e32 vcc, s4, v5
                                        ; implicit-def: $vgpr4
	s_and_saveexec_b64 s[4:5], vcc
	s_xor_b64 s[4:5], exec, s[4:5]
; %bb.889:
	v_bfe_u32 v4, v5, 21, 1
	s_mov_b32 s36, 0x80fffff
	v_add3_u32 v4, v5, v4, s36
	v_lshrrev_b32_e32 v4, 21, v4
                                        ; implicit-def: $vgpr5
; %bb.890:
	s_andn2_saveexec_b64 s[4:5], s[4:5]
; %bb.891:
	v_add_f32_e32 v4, 0x43000000, v5
; %bb.892:
	s_or_b64 exec, exec, s[4:5]
                                        ; implicit-def: $vgpr5
.LBB241_893:
	s_andn2_saveexec_b64 s[2:3], s[2:3]
; %bb.894:
	s_mov_b32 s4, 0x7f800000
	v_mov_b32_e32 v4, 0x7c
	v_mov_b32_e32 v6, 0x7f
	v_cmp_lt_u32_e32 vcc, s4, v5
	v_cndmask_b32_e32 v4, v4, v6, vcc
; %bb.895:
	s_or_b64 exec, exec, s[2:3]
	s_mov_b64 s[2:3], -1
	s_mov_b64 s[36:37], 0
	s_branch .LBB241_897
.LBB241_896:
	s_mov_b64 s[36:37], -1
                                        ; implicit-def: $vgpr4
.LBB241_897:
	s_mov_b64 s[4:5], 0
.LBB241_898:
	s_and_b64 vcc, exec, s[4:5]
	s_cbranch_vccz .LBB241_910
; %bb.899:
	s_cmp_eq_u32 s40, 29
	s_cbranch_scc0 .LBB241_909
; %bb.900:
	global_load_dwordx2 v[4:5], v[0:1], off
	s_mov_b32 s2, 0x47800000
	s_waitcnt vmcnt(0)
	v_ffbh_u32_e32 v6, v5
	v_min_u32_e32 v6, 32, v6
	v_lshlrev_b64 v[4:5], v6, v[4:5]
	v_min_u32_e32 v4, 1, v4
	v_or_b32_e32 v4, v5, v4
	v_cvt_f32_u32_e32 v4, v4
	v_sub_u32_e32 v5, 32, v6
	v_ldexp_f32 v5, v4, v5
	v_cmp_gt_u32_e32 vcc, s2, v5
                                        ; implicit-def: $vgpr4
	s_and_saveexec_b64 s[2:3], vcc
	s_xor_b64 s[2:3], exec, s[2:3]
	s_cbranch_execz .LBB241_906
; %bb.901:
	s_mov_b32 s4, 0x387fffff
	v_cmp_lt_u32_e32 vcc, s4, v5
                                        ; implicit-def: $vgpr4
	s_and_saveexec_b64 s[4:5], vcc
	s_xor_b64 s[4:5], exec, s[4:5]
; %bb.902:
	v_bfe_u32 v4, v5, 21, 1
	s_mov_b32 s36, 0x80fffff
	v_add3_u32 v4, v5, v4, s36
	v_lshrrev_b32_e32 v4, 21, v4
                                        ; implicit-def: $vgpr5
; %bb.903:
	s_andn2_saveexec_b64 s[4:5], s[4:5]
; %bb.904:
	v_add_f32_e32 v4, 0x43000000, v5
; %bb.905:
	s_or_b64 exec, exec, s[4:5]
                                        ; implicit-def: $vgpr5
.LBB241_906:
	s_andn2_saveexec_b64 s[2:3], s[2:3]
; %bb.907:
	s_mov_b32 s4, 0x7f800000
	v_mov_b32_e32 v4, 0x7c
	v_mov_b32_e32 v6, 0x7f
	v_cmp_lt_u32_e32 vcc, s4, v5
	v_cndmask_b32_e32 v4, v4, v6, vcc
; %bb.908:
	s_or_b64 exec, exec, s[2:3]
	s_mov_b64 s[2:3], -1
	s_mov_b64 s[36:37], 0
	s_branch .LBB241_910
.LBB241_909:
	s_mov_b64 s[36:37], -1
                                        ; implicit-def: $vgpr4
.LBB241_910:
	s_mov_b64 s[4:5], 0
.LBB241_911:
	s_and_b64 vcc, exec, s[4:5]
	s_cbranch_vccz .LBB241_953
; %bb.912:
	s_cmp_lt_i32 s40, 27
	s_cbranch_scc1 .LBB241_923
; %bb.913:
	s_cmp_gt_i32 s40, 27
	s_cbranch_scc0 .LBB241_924
; %bb.914:
	global_load_dword v4, v[0:1], off
	s_mov_b32 s2, 0x47800000
	s_waitcnt vmcnt(0)
	v_cvt_f32_u32_e32 v5, v4
                                        ; implicit-def: $vgpr4
	v_cmp_gt_u32_e32 vcc, s2, v5
	s_and_saveexec_b64 s[2:3], vcc
	s_xor_b64 s[2:3], exec, s[2:3]
	s_cbranch_execz .LBB241_920
; %bb.915:
	s_mov_b32 s4, 0x387fffff
	v_cmp_lt_u32_e32 vcc, s4, v5
                                        ; implicit-def: $vgpr4
	s_and_saveexec_b64 s[4:5], vcc
	s_xor_b64 s[4:5], exec, s[4:5]
; %bb.916:
	v_bfe_u32 v4, v5, 21, 1
	s_mov_b32 s38, 0x80fffff
	v_add3_u32 v4, v5, v4, s38
	v_lshrrev_b32_e32 v4, 21, v4
                                        ; implicit-def: $vgpr5
; %bb.917:
	s_andn2_saveexec_b64 s[4:5], s[4:5]
; %bb.918:
	v_add_f32_e32 v4, 0x43000000, v5
; %bb.919:
	s_or_b64 exec, exec, s[4:5]
                                        ; implicit-def: $vgpr5
.LBB241_920:
	s_andn2_saveexec_b64 s[2:3], s[2:3]
; %bb.921:
	s_mov_b32 s4, 0x7f800000
	v_mov_b32_e32 v4, 0x7c
	v_mov_b32_e32 v6, 0x7f
	v_cmp_lt_u32_e32 vcc, s4, v5
	v_cndmask_b32_e32 v4, v4, v6, vcc
; %bb.922:
	s_or_b64 exec, exec, s[2:3]
	s_mov_b64 s[2:3], 0
	s_branch .LBB241_925
.LBB241_923:
	s_mov_b64 s[2:3], -1
                                        ; implicit-def: $vgpr4
	s_branch .LBB241_936
.LBB241_924:
	s_mov_b64 s[2:3], -1
                                        ; implicit-def: $vgpr4
.LBB241_925:
	s_and_b64 vcc, exec, s[2:3]
	s_cbranch_vccz .LBB241_935
; %bb.926:
	global_load_ushort v4, v[0:1], off
	s_mov_b32 s2, 0x47800000
	s_waitcnt vmcnt(0)
	v_cvt_f32_u32_e32 v5, v4
                                        ; implicit-def: $vgpr4
	v_cmp_gt_u32_e32 vcc, s2, v5
	s_and_saveexec_b64 s[2:3], vcc
	s_xor_b64 s[2:3], exec, s[2:3]
	s_cbranch_execz .LBB241_932
; %bb.927:
	s_mov_b32 s4, 0x387fffff
	v_cmp_lt_u32_e32 vcc, s4, v5
                                        ; implicit-def: $vgpr4
	s_and_saveexec_b64 s[4:5], vcc
	s_xor_b64 s[4:5], exec, s[4:5]
; %bb.928:
	v_bfe_u32 v4, v5, 21, 1
	s_mov_b32 s38, 0x80fffff
	v_add3_u32 v4, v5, v4, s38
	v_lshrrev_b32_e32 v4, 21, v4
                                        ; implicit-def: $vgpr5
; %bb.929:
	s_andn2_saveexec_b64 s[4:5], s[4:5]
; %bb.930:
	v_add_f32_e32 v4, 0x43000000, v5
; %bb.931:
	s_or_b64 exec, exec, s[4:5]
                                        ; implicit-def: $vgpr5
.LBB241_932:
	s_andn2_saveexec_b64 s[2:3], s[2:3]
; %bb.933:
	s_mov_b32 s4, 0x7f800000
	v_mov_b32_e32 v4, 0x7c
	v_mov_b32_e32 v6, 0x7f
	v_cmp_lt_u32_e32 vcc, s4, v5
	v_cndmask_b32_e32 v4, v4, v6, vcc
; %bb.934:
	s_or_b64 exec, exec, s[2:3]
.LBB241_935:
	s_mov_b64 s[2:3], 0
.LBB241_936:
	s_andn2_b64 vcc, exec, s[2:3]
	s_cbranch_vccnz .LBB241_952
; %bb.937:
	global_load_ubyte v5, v[0:1], off
	s_movk_i32 s2, 0x7f
	s_waitcnt vmcnt(0)
	v_cmp_lt_i16_e32 vcc, s2, v5
	s_mov_b64 s[2:3], 0
	s_and_saveexec_b64 s[4:5], vcc
	s_xor_b64 s[4:5], exec, s[4:5]
	s_cbranch_execz .LBB241_974
; %bb.938:
	s_movk_i32 s2, 0x80
	v_cmp_eq_u16_e32 vcc, s2, v5
	s_mov_b64 s[2:3], -1
	s_and_saveexec_b64 s[38:39], vcc
; %bb.939:
	s_xor_b64 s[2:3], exec, -1
; %bb.940:
	s_or_b64 exec, exec, s[38:39]
	s_and_b64 s[2:3], s[2:3], exec
	s_or_saveexec_b64 s[4:5], s[4:5]
	v_mov_b32_e32 v4, 0x7f800001
	s_xor_b64 exec, exec, s[4:5]
	s_cbranch_execnz .LBB241_975
.LBB241_941:
	s_or_b64 exec, exec, s[4:5]
	s_and_saveexec_b64 s[4:5], s[2:3]
	s_cbranch_execz .LBB241_943
.LBB241_942:
	v_lshlrev_b32_e32 v4, 24, v5
	v_and_b32_e32 v5, 0xffff, v5
	v_and_b32_e32 v6, 7, v5
	v_ffbh_u32_e32 v8, v6
	v_min_u32_e32 v8, 32, v8
	v_subrev_u32_e32 v9, 28, v8
	v_bfe_u32 v7, v5, 3, 4
	v_lshlrev_b32_e32 v5, v9, v5
	v_sub_u32_e32 v8, 29, v8
	v_and_b32_e32 v5, 7, v5
	v_cmp_eq_u32_e32 vcc, 0, v7
	v_cndmask_b32_e32 v7, v7, v8, vcc
	v_cndmask_b32_e32 v5, v6, v5, vcc
	v_mov_b32_e32 v6, 0x3b800000
	v_lshlrev_b32_e32 v5, 20, v5
	v_and_b32_e32 v4, 0x80000000, v4
	v_lshl_add_u32 v6, v7, 23, v6
	v_or3_b32 v4, v4, v6, v5
.LBB241_943:
	s_or_b64 exec, exec, s[4:5]
	v_and_b32_e32 v6, 0x7fffffff, v4
	s_mov_b32 s2, 0x47800000
	v_cmp_gt_u32_e32 vcc, s2, v6
                                        ; implicit-def: $vgpr5
	s_and_saveexec_b64 s[2:3], vcc
	s_xor_b64 s[2:3], exec, s[2:3]
	s_cbranch_execz .LBB241_949
; %bb.944:
	s_mov_b32 s4, 0x387fffff
	v_cmp_lt_u32_e32 vcc, s4, v6
                                        ; implicit-def: $vgpr5
	s_and_saveexec_b64 s[4:5], vcc
	s_xor_b64 s[4:5], exec, s[4:5]
; %bb.945:
	v_bfe_u32 v5, v4, 21, 1
	s_mov_b32 s38, 0x80fffff
	v_add3_u32 v5, v4, v5, s38
	v_lshrrev_b32_e32 v5, 21, v5
; %bb.946:
	s_andn2_saveexec_b64 s[4:5], s[4:5]
; %bb.947:
	s_mov_b32 s38, 0x43000000
	v_add_f32_e64 v5, |v4|, s38
; %bb.948:
	s_or_b64 exec, exec, s[4:5]
                                        ; implicit-def: $vgpr6
.LBB241_949:
	s_andn2_saveexec_b64 s[2:3], s[2:3]
; %bb.950:
	s_mov_b32 s4, 0x7f800000
	v_mov_b32_e32 v5, 0x7c
	v_mov_b32_e32 v7, 0x7f
	v_cmp_lt_u32_e32 vcc, s4, v6
	v_cndmask_b32_e32 v5, v5, v7, vcc
; %bb.951:
	s_or_b64 exec, exec, s[2:3]
	v_lshrrev_b32_e32 v4, 24, v4
	s_movk_i32 s2, 0x80
	v_and_or_b32 v4, v4, s2, v5
.LBB241_952:
	s_mov_b64 s[2:3], -1
.LBB241_953:
	s_mov_b64 s[4:5], 0
.LBB241_954:
	s_and_b64 vcc, exec, s[4:5]
	s_cbranch_vccz .LBB241_1021
; %bb.955:
	s_cmp_gt_i32 s40, 22
	s_cbranch_scc0 .LBB241_973
; %bb.956:
	s_cmp_lt_i32 s40, 24
	s_cbranch_scc1 .LBB241_976
; %bb.957:
	s_cmp_gt_i32 s40, 24
	s_cbranch_scc0 .LBB241_977
; %bb.958:
	global_load_ubyte v5, v[0:1], off
	s_movk_i32 s2, 0x7f
	s_waitcnt vmcnt(0)
	v_cmp_lt_i16_e32 vcc, s2, v5
	s_mov_b64 s[2:3], 0
	s_and_saveexec_b64 s[4:5], vcc
	s_xor_b64 s[4:5], exec, s[4:5]
	s_cbranch_execz .LBB241_1005
; %bb.959:
	s_movk_i32 s2, 0x80
	v_cmp_eq_u16_e32 vcc, s2, v5
	s_mov_b64 s[2:3], -1
	s_and_saveexec_b64 s[38:39], vcc
; %bb.960:
	s_xor_b64 s[2:3], exec, -1
; %bb.961:
	s_or_b64 exec, exec, s[38:39]
	s_and_b64 s[2:3], s[2:3], exec
	s_or_saveexec_b64 s[4:5], s[4:5]
	v_mov_b32_e32 v4, 0x7f800001
	s_xor_b64 exec, exec, s[4:5]
	s_cbranch_execnz .LBB241_1006
.LBB241_962:
	s_or_b64 exec, exec, s[4:5]
	s_and_saveexec_b64 s[4:5], s[2:3]
	s_cbranch_execz .LBB241_964
.LBB241_963:
	v_lshlrev_b32_e32 v4, 24, v5
	v_and_b32_e32 v5, 0xffff, v5
	v_and_b32_e32 v6, 3, v5
	v_ffbh_u32_e32 v8, v6
	v_min_u32_e32 v8, 32, v8
	v_subrev_u32_e32 v9, 29, v8
	v_bfe_u32 v7, v5, 2, 5
	v_lshlrev_b32_e32 v5, v9, v5
	v_sub_u32_e32 v8, 30, v8
	v_and_b32_e32 v5, 3, v5
	v_cmp_eq_u32_e32 vcc, 0, v7
	v_cndmask_b32_e32 v7, v7, v8, vcc
	v_cndmask_b32_e32 v5, v6, v5, vcc
	v_mov_b32_e32 v6, 0x37800000
	v_lshlrev_b32_e32 v5, 21, v5
	v_and_b32_e32 v4, 0x80000000, v4
	v_lshl_add_u32 v6, v7, 23, v6
	v_or3_b32 v4, v4, v6, v5
.LBB241_964:
	s_or_b64 exec, exec, s[4:5]
	v_and_b32_e32 v6, 0x7fffffff, v4
	s_mov_b32 s2, 0x47800000
	v_cmp_gt_u32_e32 vcc, s2, v6
                                        ; implicit-def: $vgpr5
	s_and_saveexec_b64 s[2:3], vcc
	s_xor_b64 s[2:3], exec, s[2:3]
	s_cbranch_execz .LBB241_970
; %bb.965:
	s_mov_b32 s4, 0x387fffff
	v_cmp_lt_u32_e32 vcc, s4, v6
                                        ; implicit-def: $vgpr5
	s_and_saveexec_b64 s[4:5], vcc
	s_xor_b64 s[4:5], exec, s[4:5]
; %bb.966:
	v_bfe_u32 v5, v4, 21, 1
	s_mov_b32 s38, 0x80fffff
	v_add3_u32 v5, v4, v5, s38
	v_lshrrev_b32_e32 v5, 21, v5
; %bb.967:
	s_andn2_saveexec_b64 s[4:5], s[4:5]
; %bb.968:
	s_mov_b32 s38, 0x43000000
	v_add_f32_e64 v5, |v4|, s38
; %bb.969:
	s_or_b64 exec, exec, s[4:5]
                                        ; implicit-def: $vgpr6
.LBB241_970:
	s_andn2_saveexec_b64 s[2:3], s[2:3]
; %bb.971:
	s_mov_b32 s4, 0x7f800000
	v_mov_b32_e32 v5, 0x7c
	v_mov_b32_e32 v7, 0x7f
	v_cmp_lt_u32_e32 vcc, s4, v6
	v_cndmask_b32_e32 v5, v5, v7, vcc
; %bb.972:
	s_or_b64 exec, exec, s[2:3]
	v_lshrrev_b32_e32 v4, 24, v4
	s_movk_i32 s2, 0x80
	v_and_or_b32 v4, v4, s2, v5
	s_mov_b64 s[2:3], 0
	s_branch .LBB241_978
.LBB241_973:
	s_mov_b64 s[4:5], -1
                                        ; implicit-def: $vgpr4
	s_branch .LBB241_992
.LBB241_974:
	s_or_saveexec_b64 s[4:5], s[4:5]
	v_mov_b32_e32 v4, 0x7f800001
	s_xor_b64 exec, exec, s[4:5]
	s_cbranch_execz .LBB241_941
.LBB241_975:
	v_cmp_ne_u16_e32 vcc, 0, v5
	s_andn2_b64 s[2:3], s[2:3], exec
	s_and_b64 s[38:39], vcc, exec
	v_mov_b32_e32 v4, 0
	s_or_b64 s[2:3], s[2:3], s[38:39]
	s_or_b64 exec, exec, s[4:5]
	s_and_saveexec_b64 s[4:5], s[2:3]
	s_cbranch_execnz .LBB241_942
	s_branch .LBB241_943
.LBB241_976:
	s_mov_b64 s[2:3], -1
                                        ; implicit-def: $vgpr4
	s_branch .LBB241_989
.LBB241_977:
	s_mov_b64 s[2:3], -1
                                        ; implicit-def: $vgpr4
.LBB241_978:
	s_and_b64 vcc, exec, s[2:3]
	s_cbranch_vccz .LBB241_988
; %bb.979:
	global_load_ubyte v4, v[0:1], off
	s_mov_b32 s2, 0x7f800000
	s_brev_b32 s3, 1
	s_waitcnt vmcnt(0)
	v_lshlrev_b32_e32 v4, 24, v4
	v_and_b32_e32 v5, 0x7f000000, v4
	v_ffbh_u32_e32 v6, v5
	v_min_u32_e32 v6, 32, v6
	v_sub_u32_e64 v6, v6, 4 clamp
	v_lshlrev_b32_e32 v8, v6, v5
	v_lshlrev_b32_e32 v6, 23, v6
	v_lshrrev_b32_e32 v8, 4, v8
	v_add_u32_e32 v7, 0x1000000, v5
	v_sub_u32_e32 v6, v8, v6
	v_ashrrev_i32_e32 v7, 8, v7
	v_add_u32_e32 v6, 0x3c000000, v6
	v_and_or_b32 v6, v7, s2, v6
	v_cmp_ne_u32_e32 vcc, 0, v5
	v_cndmask_b32_e32 v7, 0, v6, vcc
	v_and_or_b32 v4, v4, s3, v7
	v_and_b32_e32 v6, 0x7fffffff, v4
	s_mov_b32 s2, 0x47800000
	v_cmp_gt_u32_e32 vcc, s2, v6
                                        ; implicit-def: $vgpr5
	s_and_saveexec_b64 s[2:3], vcc
	s_xor_b64 s[2:3], exec, s[2:3]
	s_cbranch_execz .LBB241_985
; %bb.980:
	s_mov_b32 s4, 0x387fffff
	v_cmp_lt_u32_e32 vcc, s4, v6
                                        ; implicit-def: $vgpr5
	s_and_saveexec_b64 s[4:5], vcc
	s_xor_b64 s[4:5], exec, s[4:5]
; %bb.981:
	v_bfe_u32 v5, v7, 21, 1
	s_mov_b32 s38, 0x80fffff
	v_add3_u32 v5, v4, v5, s38
	v_lshrrev_b32_e32 v5, 21, v5
; %bb.982:
	s_andn2_saveexec_b64 s[4:5], s[4:5]
; %bb.983:
	s_mov_b32 s38, 0x43000000
	v_add_f32_e64 v5, |v4|, s38
; %bb.984:
	s_or_b64 exec, exec, s[4:5]
                                        ; implicit-def: $vgpr6
.LBB241_985:
	s_andn2_saveexec_b64 s[2:3], s[2:3]
; %bb.986:
	s_mov_b32 s4, 0x7f800000
	v_mov_b32_e32 v5, 0x7c
	v_mov_b32_e32 v7, 0x7f
	v_cmp_lt_u32_e32 vcc, s4, v6
	v_cndmask_b32_e32 v5, v5, v7, vcc
; %bb.987:
	s_or_b64 exec, exec, s[2:3]
	v_lshrrev_b32_e32 v4, 24, v4
	s_movk_i32 s2, 0x80
	v_and_or_b32 v4, v4, s2, v5
.LBB241_988:
	s_mov_b64 s[2:3], 0
.LBB241_989:
	s_andn2_b64 vcc, exec, s[2:3]
	s_cbranch_vccnz .LBB241_991
; %bb.990:
	global_load_ubyte v4, v[0:1], off
.LBB241_991:
	s_mov_b64 s[4:5], 0
	s_mov_b64 s[2:3], -1
.LBB241_992:
	s_andn2_b64 vcc, exec, s[4:5]
	s_cbranch_vccnz .LBB241_1021
; %bb.993:
	s_cmp_gt_i32 s40, 14
	s_cbranch_scc0 .LBB241_1004
; %bb.994:
	s_cmp_eq_u32 s40, 15
	s_cbranch_scc0 .LBB241_1007
; %bb.995:
	global_load_ushort v4, v[0:1], off
	s_mov_b32 s2, 0x47800000
                                        ; implicit-def: $vgpr5
	s_waitcnt vmcnt(0)
	v_lshlrev_b32_e32 v6, 16, v4
	v_and_b32_e32 v7, 0x7fffffff, v6
	v_cmp_gt_u32_e32 vcc, s2, v7
	s_and_saveexec_b64 s[2:3], vcc
	s_xor_b64 s[2:3], exec, s[2:3]
	s_cbranch_execz .LBB241_1001
; %bb.996:
	s_mov_b32 s4, 0x387fffff
	v_cmp_lt_u32_e32 vcc, s4, v7
                                        ; implicit-def: $vgpr5
	s_and_saveexec_b64 s[4:5], vcc
	s_xor_b64 s[4:5], exec, s[4:5]
; %bb.997:
	v_bfe_u32 v5, v4, 5, 1
	s_mov_b32 s36, 0x80fffff
	v_add3_u32 v5, v6, v5, s36
	v_lshrrev_b32_e32 v5, 21, v5
                                        ; implicit-def: $vgpr6
; %bb.998:
	s_andn2_saveexec_b64 s[4:5], s[4:5]
; %bb.999:
	s_mov_b32 s36, 0x43000000
	v_add_f32_e64 v5, |v6|, s36
; %bb.1000:
	s_or_b64 exec, exec, s[4:5]
                                        ; implicit-def: $vgpr7
.LBB241_1001:
	s_andn2_saveexec_b64 s[2:3], s[2:3]
; %bb.1002:
	s_mov_b32 s4, 0x7f800000
	v_mov_b32_e32 v5, 0x7c
	v_mov_b32_e32 v6, 0x7f
	v_cmp_lt_u32_e32 vcc, s4, v7
	v_cndmask_b32_e32 v5, v5, v6, vcc
; %bb.1003:
	s_or_b64 exec, exec, s[2:3]
	v_lshrrev_b32_e32 v4, 8, v4
	s_movk_i32 s2, 0x80
	v_and_or_b32 v4, v4, s2, v5
	s_mov_b64 s[2:3], -1
	s_mov_b64 s[36:37], 0
	s_branch .LBB241_1008
.LBB241_1004:
	s_mov_b64 s[4:5], -1
                                        ; implicit-def: $vgpr4
	s_branch .LBB241_1009
.LBB241_1005:
	s_or_saveexec_b64 s[4:5], s[4:5]
	v_mov_b32_e32 v4, 0x7f800001
	s_xor_b64 exec, exec, s[4:5]
	s_cbranch_execz .LBB241_962
.LBB241_1006:
	v_cmp_ne_u16_e32 vcc, 0, v5
	s_andn2_b64 s[2:3], s[2:3], exec
	s_and_b64 s[38:39], vcc, exec
	v_mov_b32_e32 v4, 0
	s_or_b64 s[2:3], s[2:3], s[38:39]
	s_or_b64 exec, exec, s[4:5]
	s_and_saveexec_b64 s[4:5], s[2:3]
	s_cbranch_execnz .LBB241_963
	s_branch .LBB241_964
.LBB241_1007:
	s_mov_b64 s[36:37], -1
                                        ; implicit-def: $vgpr4
.LBB241_1008:
	s_mov_b64 s[4:5], 0
.LBB241_1009:
	s_and_b64 vcc, exec, s[4:5]
	s_cbranch_vccz .LBB241_1021
; %bb.1010:
	s_cmp_eq_u32 s40, 11
	s_cbranch_scc0 .LBB241_1020
; %bb.1011:
	global_load_ubyte v4, v[0:1], off
	s_mov_b32 s2, 0x47800000
	s_waitcnt vmcnt(0)
	v_cmp_ne_u16_e32 vcc, 0, v4
	v_cndmask_b32_e64 v5, 0, 1.0, vcc
	v_cmp_gt_u32_e32 vcc, s2, v5
                                        ; implicit-def: $vgpr4
	s_and_saveexec_b64 s[2:3], vcc
	s_xor_b64 s[2:3], exec, s[2:3]
	s_cbranch_execz .LBB241_1017
; %bb.1012:
	s_mov_b32 s4, 0x387fffff
	v_cmp_lt_u32_e32 vcc, s4, v5
                                        ; implicit-def: $vgpr4
	s_and_saveexec_b64 s[4:5], vcc
	s_xor_b64 s[4:5], exec, s[4:5]
; %bb.1013:
	v_bfe_u32 v4, v5, 21, 1
	s_mov_b32 s36, 0x80fffff
	v_add3_u32 v4, v5, v4, s36
	v_lshrrev_b32_e32 v4, 21, v4
                                        ; implicit-def: $vgpr5
; %bb.1014:
	s_andn2_saveexec_b64 s[4:5], s[4:5]
; %bb.1015:
	v_add_f32_e32 v4, 0x43000000, v5
; %bb.1016:
	s_or_b64 exec, exec, s[4:5]
                                        ; implicit-def: $vgpr5
.LBB241_1017:
	s_andn2_saveexec_b64 s[2:3], s[2:3]
; %bb.1018:
	s_mov_b32 s4, 0x7f800000
	v_mov_b32_e32 v4, 0x7c
	v_mov_b32_e32 v6, 0x7f
	v_cmp_lt_u32_e32 vcc, s4, v5
	v_cndmask_b32_e32 v4, v4, v6, vcc
; %bb.1019:
	s_or_b64 exec, exec, s[2:3]
	s_mov_b64 s[2:3], -1
	s_mov_b64 s[36:37], 0
	s_branch .LBB241_1021
.LBB241_1020:
	s_mov_b64 s[36:37], -1
                                        ; implicit-def: $vgpr4
.LBB241_1021:
	s_mov_b64 s[4:5], 0
.LBB241_1022:
	s_and_b64 vcc, exec, s[4:5]
	s_cbranch_vccz .LBB241_1159
; %bb.1023:
	s_cmp_lt_i32 s40, 5
	s_cbranch_scc1 .LBB241_1036
; %bb.1024:
	s_cmp_lt_i32 s40, 8
	s_cbranch_scc1 .LBB241_1037
; %bb.1025:
	s_cmp_lt_i32 s40, 9
	s_cbranch_scc1 .LBB241_1038
; %bb.1026:
	s_cmp_gt_i32 s40, 9
	s_cbranch_scc0 .LBB241_1039
; %bb.1027:
	global_load_dwordx2 v[4:5], v[0:1], off
	s_mov_b32 s2, 0x47800000
	s_waitcnt vmcnt(0)
	v_cvt_f32_f64_e32 v4, v[4:5]
                                        ; implicit-def: $vgpr5
	v_and_b32_e32 v6, 0x7fffffff, v4
	v_cmp_gt_u32_e32 vcc, s2, v6
	s_and_saveexec_b64 s[2:3], vcc
	s_xor_b64 s[2:3], exec, s[2:3]
	s_cbranch_execz .LBB241_1033
; %bb.1028:
	s_mov_b32 s4, 0x387fffff
	v_cmp_lt_u32_e32 vcc, s4, v6
                                        ; implicit-def: $vgpr5
	s_and_saveexec_b64 s[4:5], vcc
	s_xor_b64 s[4:5], exec, s[4:5]
; %bb.1029:
	v_bfe_u32 v5, v4, 21, 1
	s_mov_b32 s38, 0x80fffff
	v_add3_u32 v5, v4, v5, s38
	v_lshrrev_b32_e32 v5, 21, v5
; %bb.1030:
	s_andn2_saveexec_b64 s[4:5], s[4:5]
; %bb.1031:
	s_mov_b32 s38, 0x43000000
	v_add_f32_e64 v5, |v4|, s38
; %bb.1032:
	s_or_b64 exec, exec, s[4:5]
                                        ; implicit-def: $vgpr6
.LBB241_1033:
	s_andn2_saveexec_b64 s[2:3], s[2:3]
; %bb.1034:
	s_mov_b32 s4, 0x7f800000
	v_mov_b32_e32 v5, 0x7c
	v_mov_b32_e32 v7, 0x7f
	v_cmp_lt_u32_e32 vcc, s4, v6
	v_cndmask_b32_e32 v5, v5, v7, vcc
; %bb.1035:
	s_or_b64 exec, exec, s[2:3]
	v_lshrrev_b32_e32 v4, 24, v4
	s_movk_i32 s2, 0x80
	v_and_or_b32 v4, v4, s2, v5
	s_mov_b64 s[2:3], 0
	s_branch .LBB241_1040
.LBB241_1036:
	s_mov_b64 s[2:3], -1
                                        ; implicit-def: $vgpr4
	s_branch .LBB241_1098
.LBB241_1037:
	s_mov_b64 s[2:3], -1
                                        ; implicit-def: $vgpr4
	s_branch .LBB241_1062
.LBB241_1038:
	s_mov_b64 s[2:3], -1
                                        ; implicit-def: $vgpr4
	s_branch .LBB241_1051
.LBB241_1039:
	s_mov_b64 s[2:3], -1
                                        ; implicit-def: $vgpr4
.LBB241_1040:
	s_and_b64 vcc, exec, s[2:3]
	s_cbranch_vccz .LBB241_1050
; %bb.1041:
	global_load_dword v4, v[0:1], off
	s_mov_b32 s2, 0x47800000
                                        ; implicit-def: $vgpr5
	s_waitcnt vmcnt(0)
	v_and_b32_e32 v6, 0x7fffffff, v4
	v_cmp_gt_u32_e32 vcc, s2, v6
	s_and_saveexec_b64 s[2:3], vcc
	s_xor_b64 s[2:3], exec, s[2:3]
	s_cbranch_execz .LBB241_1047
; %bb.1042:
	s_mov_b32 s4, 0x387fffff
	v_cmp_lt_u32_e32 vcc, s4, v6
                                        ; implicit-def: $vgpr5
	s_and_saveexec_b64 s[4:5], vcc
	s_xor_b64 s[4:5], exec, s[4:5]
; %bb.1043:
	v_bfe_u32 v5, v4, 21, 1
	s_mov_b32 s38, 0x80fffff
	v_add3_u32 v5, v4, v5, s38
	v_lshrrev_b32_e32 v5, 21, v5
; %bb.1044:
	s_andn2_saveexec_b64 s[4:5], s[4:5]
; %bb.1045:
	s_mov_b32 s38, 0x43000000
	v_add_f32_e64 v5, |v4|, s38
; %bb.1046:
	s_or_b64 exec, exec, s[4:5]
                                        ; implicit-def: $vgpr6
.LBB241_1047:
	s_andn2_saveexec_b64 s[2:3], s[2:3]
; %bb.1048:
	s_mov_b32 s4, 0x7f800000
	v_mov_b32_e32 v5, 0x7c
	v_mov_b32_e32 v7, 0x7f
	v_cmp_lt_u32_e32 vcc, s4, v6
	v_cndmask_b32_e32 v5, v5, v7, vcc
; %bb.1049:
	s_or_b64 exec, exec, s[2:3]
	v_lshrrev_b32_e32 v4, 24, v4
	s_movk_i32 s2, 0x80
	v_and_or_b32 v4, v4, s2, v5
.LBB241_1050:
	s_mov_b64 s[2:3], 0
.LBB241_1051:
	s_andn2_b64 vcc, exec, s[2:3]
	s_cbranch_vccnz .LBB241_1061
; %bb.1052:
	global_load_dword v4, v[0:1], off
	s_mov_b32 s2, 0x47800000
                                        ; implicit-def: $vgpr5
	s_waitcnt vmcnt(0)
	v_cvt_f32_f16_e32 v4, v4
	v_and_b32_e32 v6, 0x7fffffff, v4
	v_cmp_gt_u32_e32 vcc, s2, v6
	s_and_saveexec_b64 s[2:3], vcc
	s_xor_b64 s[2:3], exec, s[2:3]
	s_cbranch_execz .LBB241_1058
; %bb.1053:
	s_mov_b32 s4, 0x387fffff
	v_cmp_lt_u32_e32 vcc, s4, v6
                                        ; implicit-def: $vgpr5
	s_and_saveexec_b64 s[4:5], vcc
	s_xor_b64 s[4:5], exec, s[4:5]
; %bb.1054:
	v_bfe_u32 v5, v4, 21, 1
	s_mov_b32 s38, 0x80fffff
	v_add3_u32 v5, v4, v5, s38
	v_lshrrev_b32_e32 v5, 21, v5
; %bb.1055:
	s_andn2_saveexec_b64 s[4:5], s[4:5]
; %bb.1056:
	s_mov_b32 s38, 0x43000000
	v_add_f32_e64 v5, |v4|, s38
; %bb.1057:
	s_or_b64 exec, exec, s[4:5]
                                        ; implicit-def: $vgpr6
.LBB241_1058:
	s_andn2_saveexec_b64 s[2:3], s[2:3]
; %bb.1059:
	s_mov_b32 s4, 0x7f800000
	v_mov_b32_e32 v5, 0x7c
	v_mov_b32_e32 v7, 0x7f
	v_cmp_lt_u32_e32 vcc, s4, v6
	v_cndmask_b32_e32 v5, v5, v7, vcc
; %bb.1060:
	s_or_b64 exec, exec, s[2:3]
	v_lshrrev_b32_e32 v4, 24, v4
	s_movk_i32 s2, 0x80
	v_and_or_b32 v4, v4, s2, v5
.LBB241_1061:
	s_mov_b64 s[2:3], 0
.LBB241_1062:
	s_andn2_b64 vcc, exec, s[2:3]
	s_cbranch_vccnz .LBB241_1097
; %bb.1063:
	s_cmp_lt_i32 s40, 6
	s_cbranch_scc1 .LBB241_1074
; %bb.1064:
	s_cmp_gt_i32 s40, 6
	s_cbranch_scc0 .LBB241_1075
; %bb.1065:
	global_load_dwordx2 v[4:5], v[0:1], off
	s_mov_b32 s2, 0x47800000
	s_waitcnt vmcnt(0)
	v_cvt_f32_f64_e32 v4, v[4:5]
                                        ; implicit-def: $vgpr5
	v_and_b32_e32 v6, 0x7fffffff, v4
	v_cmp_gt_u32_e32 vcc, s2, v6
	s_and_saveexec_b64 s[2:3], vcc
	s_xor_b64 s[2:3], exec, s[2:3]
	s_cbranch_execz .LBB241_1071
; %bb.1066:
	s_mov_b32 s4, 0x387fffff
	v_cmp_lt_u32_e32 vcc, s4, v6
                                        ; implicit-def: $vgpr5
	s_and_saveexec_b64 s[4:5], vcc
	s_xor_b64 s[4:5], exec, s[4:5]
; %bb.1067:
	v_bfe_u32 v5, v4, 21, 1
	s_mov_b32 s38, 0x80fffff
	v_add3_u32 v5, v4, v5, s38
	v_lshrrev_b32_e32 v5, 21, v5
; %bb.1068:
	s_andn2_saveexec_b64 s[4:5], s[4:5]
; %bb.1069:
	s_mov_b32 s38, 0x43000000
	v_add_f32_e64 v5, |v4|, s38
; %bb.1070:
	s_or_b64 exec, exec, s[4:5]
                                        ; implicit-def: $vgpr6
.LBB241_1071:
	s_andn2_saveexec_b64 s[2:3], s[2:3]
; %bb.1072:
	s_mov_b32 s4, 0x7f800000
	v_mov_b32_e32 v5, 0x7c
	v_mov_b32_e32 v7, 0x7f
	v_cmp_lt_u32_e32 vcc, s4, v6
	v_cndmask_b32_e32 v5, v5, v7, vcc
; %bb.1073:
	s_or_b64 exec, exec, s[2:3]
	v_lshrrev_b32_e32 v4, 24, v4
	s_movk_i32 s2, 0x80
	v_and_or_b32 v4, v4, s2, v5
	s_mov_b64 s[2:3], 0
	s_branch .LBB241_1076
.LBB241_1074:
	s_mov_b64 s[2:3], -1
                                        ; implicit-def: $vgpr4
	s_branch .LBB241_1087
.LBB241_1075:
	s_mov_b64 s[2:3], -1
                                        ; implicit-def: $vgpr4
.LBB241_1076:
	s_and_b64 vcc, exec, s[2:3]
	s_cbranch_vccz .LBB241_1086
; %bb.1077:
	global_load_dword v4, v[0:1], off
	s_mov_b32 s2, 0x47800000
                                        ; implicit-def: $vgpr5
	s_waitcnt vmcnt(0)
	v_and_b32_e32 v6, 0x7fffffff, v4
	v_cmp_gt_u32_e32 vcc, s2, v6
	s_and_saveexec_b64 s[2:3], vcc
	s_xor_b64 s[2:3], exec, s[2:3]
	s_cbranch_execz .LBB241_1083
; %bb.1078:
	s_mov_b32 s4, 0x387fffff
	v_cmp_lt_u32_e32 vcc, s4, v6
                                        ; implicit-def: $vgpr5
	s_and_saveexec_b64 s[4:5], vcc
	s_xor_b64 s[4:5], exec, s[4:5]
; %bb.1079:
	v_bfe_u32 v5, v4, 21, 1
	s_mov_b32 s38, 0x80fffff
	v_add3_u32 v5, v4, v5, s38
	v_lshrrev_b32_e32 v5, 21, v5
; %bb.1080:
	s_andn2_saveexec_b64 s[4:5], s[4:5]
; %bb.1081:
	s_mov_b32 s38, 0x43000000
	v_add_f32_e64 v5, |v4|, s38
; %bb.1082:
	s_or_b64 exec, exec, s[4:5]
                                        ; implicit-def: $vgpr6
.LBB241_1083:
	s_andn2_saveexec_b64 s[2:3], s[2:3]
; %bb.1084:
	s_mov_b32 s4, 0x7f800000
	v_mov_b32_e32 v5, 0x7c
	v_mov_b32_e32 v7, 0x7f
	v_cmp_lt_u32_e32 vcc, s4, v6
	v_cndmask_b32_e32 v5, v5, v7, vcc
; %bb.1085:
	s_or_b64 exec, exec, s[2:3]
	v_lshrrev_b32_e32 v4, 24, v4
	s_movk_i32 s2, 0x80
	v_and_or_b32 v4, v4, s2, v5
.LBB241_1086:
	s_mov_b64 s[2:3], 0
.LBB241_1087:
	s_andn2_b64 vcc, exec, s[2:3]
	s_cbranch_vccnz .LBB241_1097
; %bb.1088:
	global_load_ushort v4, v[0:1], off
	s_mov_b32 s2, 0x47800000
                                        ; implicit-def: $vgpr5
	s_waitcnt vmcnt(0)
	v_cvt_f32_f16_e32 v4, v4
	v_and_b32_e32 v6, 0x7fffffff, v4
	v_cmp_gt_u32_e32 vcc, s2, v6
	s_and_saveexec_b64 s[2:3], vcc
	s_xor_b64 s[2:3], exec, s[2:3]
	s_cbranch_execz .LBB241_1094
; %bb.1089:
	s_mov_b32 s4, 0x387fffff
	v_cmp_lt_u32_e32 vcc, s4, v6
                                        ; implicit-def: $vgpr5
	s_and_saveexec_b64 s[4:5], vcc
	s_xor_b64 s[4:5], exec, s[4:5]
; %bb.1090:
	v_bfe_u32 v5, v4, 21, 1
	s_mov_b32 s38, 0x80fffff
	v_add3_u32 v5, v4, v5, s38
	v_lshrrev_b32_e32 v5, 21, v5
; %bb.1091:
	s_andn2_saveexec_b64 s[4:5], s[4:5]
; %bb.1092:
	s_mov_b32 s38, 0x43000000
	v_add_f32_e64 v5, |v4|, s38
; %bb.1093:
	s_or_b64 exec, exec, s[4:5]
                                        ; implicit-def: $vgpr6
.LBB241_1094:
	s_andn2_saveexec_b64 s[2:3], s[2:3]
; %bb.1095:
	s_mov_b32 s4, 0x7f800000
	v_mov_b32_e32 v5, 0x7c
	v_mov_b32_e32 v7, 0x7f
	v_cmp_lt_u32_e32 vcc, s4, v6
	v_cndmask_b32_e32 v5, v5, v7, vcc
; %bb.1096:
	s_or_b64 exec, exec, s[2:3]
	v_lshrrev_b32_e32 v4, 24, v4
	s_movk_i32 s2, 0x80
	v_and_or_b32 v4, v4, s2, v5
.LBB241_1097:
	s_mov_b64 s[2:3], 0
.LBB241_1098:
	s_andn2_b64 vcc, exec, s[2:3]
	s_cbranch_vccnz .LBB241_1158
; %bb.1099:
	s_cmp_lt_i32 s40, 2
	s_cbranch_scc1 .LBB241_1111
; %bb.1100:
	s_cmp_lt_i32 s40, 3
	s_cbranch_scc1 .LBB241_1112
; %bb.1101:
	s_cmp_gt_i32 s40, 3
	s_cbranch_scc0 .LBB241_1113
; %bb.1102:
	global_load_dwordx2 v[4:5], v[0:1], off
	s_mov_b32 s2, 0x47800000
	s_waitcnt vmcnt(0)
	v_xor_b32_e32 v7, v4, v5
	v_ffbh_i32_e32 v6, v5
	v_ashrrev_i32_e32 v7, 31, v7
	v_add_u32_e32 v6, -1, v6
	v_add_u32_e32 v7, 32, v7
	v_min_u32_e32 v6, v6, v7
	v_lshlrev_b64 v[4:5], v6, v[4:5]
	v_min_u32_e32 v4, 1, v4
	v_or_b32_e32 v4, v5, v4
	v_cvt_f32_i32_e32 v4, v4
	v_sub_u32_e32 v5, 32, v6
	v_ldexp_f32 v4, v4, v5
	v_and_b32_e32 v6, 0x7fffffff, v4
	v_cmp_gt_u32_e32 vcc, s2, v6
                                        ; implicit-def: $vgpr5
	s_and_saveexec_b64 s[2:3], vcc
	s_xor_b64 s[2:3], exec, s[2:3]
	s_cbranch_execz .LBB241_1108
; %bb.1103:
	s_mov_b32 s4, 0x387fffff
	v_cmp_lt_u32_e32 vcc, s4, v6
                                        ; implicit-def: $vgpr5
	s_and_saveexec_b64 s[4:5], vcc
	s_xor_b64 s[4:5], exec, s[4:5]
; %bb.1104:
	v_bfe_u32 v5, v4, 21, 1
	s_mov_b32 s38, 0x80fffff
	v_add3_u32 v5, v4, v5, s38
	v_lshrrev_b32_e32 v5, 21, v5
; %bb.1105:
	s_andn2_saveexec_b64 s[4:5], s[4:5]
; %bb.1106:
	s_mov_b32 s38, 0x43000000
	v_add_f32_e64 v5, |v4|, s38
; %bb.1107:
	s_or_b64 exec, exec, s[4:5]
                                        ; implicit-def: $vgpr6
.LBB241_1108:
	s_andn2_saveexec_b64 s[2:3], s[2:3]
; %bb.1109:
	s_mov_b32 s4, 0x7f800000
	v_mov_b32_e32 v5, 0x7c
	v_mov_b32_e32 v7, 0x7f
	v_cmp_lt_u32_e32 vcc, s4, v6
	v_cndmask_b32_e32 v5, v5, v7, vcc
; %bb.1110:
	s_or_b64 exec, exec, s[2:3]
	v_lshrrev_b32_e32 v4, 24, v4
	s_movk_i32 s2, 0x80
	v_and_or_b32 v4, v4, s2, v5
	s_mov_b64 s[2:3], 0
	s_branch .LBB241_1114
.LBB241_1111:
	s_mov_b64 s[2:3], -1
                                        ; implicit-def: $vgpr4
	s_branch .LBB241_1136
.LBB241_1112:
	s_mov_b64 s[2:3], -1
                                        ; implicit-def: $vgpr4
	s_branch .LBB241_1125
.LBB241_1113:
	s_mov_b64 s[2:3], -1
                                        ; implicit-def: $vgpr4
.LBB241_1114:
	s_and_b64 vcc, exec, s[2:3]
	s_cbranch_vccz .LBB241_1124
; %bb.1115:
	global_load_dword v4, v[0:1], off
	s_mov_b32 s2, 0x47800000
                                        ; implicit-def: $vgpr5
	s_waitcnt vmcnt(0)
	v_cvt_f32_i32_e32 v4, v4
	v_and_b32_e32 v6, 0x7fffffff, v4
	v_cmp_gt_u32_e32 vcc, s2, v6
	s_and_saveexec_b64 s[2:3], vcc
	s_xor_b64 s[2:3], exec, s[2:3]
	s_cbranch_execz .LBB241_1121
; %bb.1116:
	s_mov_b32 s4, 0x387fffff
	v_cmp_lt_u32_e32 vcc, s4, v6
                                        ; implicit-def: $vgpr5
	s_and_saveexec_b64 s[4:5], vcc
	s_xor_b64 s[4:5], exec, s[4:5]
; %bb.1117:
	v_bfe_u32 v5, v4, 21, 1
	s_mov_b32 s38, 0x80fffff
	v_add3_u32 v5, v4, v5, s38
	v_lshrrev_b32_e32 v5, 21, v5
; %bb.1118:
	s_andn2_saveexec_b64 s[4:5], s[4:5]
; %bb.1119:
	s_mov_b32 s38, 0x43000000
	v_add_f32_e64 v5, |v4|, s38
; %bb.1120:
	s_or_b64 exec, exec, s[4:5]
                                        ; implicit-def: $vgpr6
.LBB241_1121:
	s_andn2_saveexec_b64 s[2:3], s[2:3]
; %bb.1122:
	s_mov_b32 s4, 0x7f800000
	v_mov_b32_e32 v5, 0x7c
	v_mov_b32_e32 v7, 0x7f
	v_cmp_lt_u32_e32 vcc, s4, v6
	v_cndmask_b32_e32 v5, v5, v7, vcc
; %bb.1123:
	s_or_b64 exec, exec, s[2:3]
	v_lshrrev_b32_e32 v4, 24, v4
	s_movk_i32 s2, 0x80
	v_and_or_b32 v4, v4, s2, v5
.LBB241_1124:
	s_mov_b64 s[2:3], 0
.LBB241_1125:
	s_andn2_b64 vcc, exec, s[2:3]
	s_cbranch_vccnz .LBB241_1135
; %bb.1126:
	global_load_sshort v4, v[0:1], off
	s_mov_b32 s2, 0x47800000
                                        ; implicit-def: $vgpr5
	s_waitcnt vmcnt(0)
	v_cvt_f32_i32_e32 v4, v4
	v_and_b32_e32 v6, 0x7fffffff, v4
	v_cmp_gt_u32_e32 vcc, s2, v6
	s_and_saveexec_b64 s[2:3], vcc
	s_xor_b64 s[2:3], exec, s[2:3]
	s_cbranch_execz .LBB241_1132
; %bb.1127:
	s_mov_b32 s4, 0x387fffff
	v_cmp_lt_u32_e32 vcc, s4, v6
                                        ; implicit-def: $vgpr5
	s_and_saveexec_b64 s[4:5], vcc
	s_xor_b64 s[4:5], exec, s[4:5]
; %bb.1128:
	v_bfe_u32 v5, v4, 21, 1
	s_mov_b32 s38, 0x80fffff
	v_add3_u32 v5, v4, v5, s38
	v_lshrrev_b32_e32 v5, 21, v5
; %bb.1129:
	s_andn2_saveexec_b64 s[4:5], s[4:5]
; %bb.1130:
	s_mov_b32 s38, 0x43000000
	v_add_f32_e64 v5, |v4|, s38
; %bb.1131:
	s_or_b64 exec, exec, s[4:5]
                                        ; implicit-def: $vgpr6
.LBB241_1132:
	s_andn2_saveexec_b64 s[2:3], s[2:3]
; %bb.1133:
	s_mov_b32 s4, 0x7f800000
	v_mov_b32_e32 v5, 0x7c
	v_mov_b32_e32 v7, 0x7f
	v_cmp_lt_u32_e32 vcc, s4, v6
	v_cndmask_b32_e32 v5, v5, v7, vcc
; %bb.1134:
	s_or_b64 exec, exec, s[2:3]
	v_lshrrev_b32_e32 v4, 24, v4
	s_movk_i32 s2, 0x80
	v_and_or_b32 v4, v4, s2, v5
.LBB241_1135:
	s_mov_b64 s[2:3], 0
.LBB241_1136:
	s_andn2_b64 vcc, exec, s[2:3]
	s_cbranch_vccnz .LBB241_1158
; %bb.1137:
	s_cmp_gt_i32 s40, 0
	s_cbranch_scc0 .LBB241_1147
; %bb.1138:
	global_load_sbyte v4, v[0:1], off
	s_mov_b32 s2, 0x47800000
                                        ; implicit-def: $vgpr5
	s_waitcnt vmcnt(0)
	v_cvt_f32_i32_e32 v4, v4
	v_and_b32_e32 v6, 0x7fffffff, v4
	v_cmp_gt_u32_e32 vcc, s2, v6
	s_and_saveexec_b64 s[2:3], vcc
	s_xor_b64 s[2:3], exec, s[2:3]
	s_cbranch_execz .LBB241_1144
; %bb.1139:
	s_mov_b32 s4, 0x387fffff
	v_cmp_lt_u32_e32 vcc, s4, v6
                                        ; implicit-def: $vgpr5
	s_and_saveexec_b64 s[4:5], vcc
	s_xor_b64 s[4:5], exec, s[4:5]
; %bb.1140:
	v_bfe_u32 v5, v4, 21, 1
	s_mov_b32 s38, 0x80fffff
	v_add3_u32 v5, v4, v5, s38
	v_lshrrev_b32_e32 v5, 21, v5
; %bb.1141:
	s_andn2_saveexec_b64 s[4:5], s[4:5]
; %bb.1142:
	s_mov_b32 s38, 0x43000000
	v_add_f32_e64 v5, |v4|, s38
; %bb.1143:
	s_or_b64 exec, exec, s[4:5]
                                        ; implicit-def: $vgpr6
.LBB241_1144:
	s_andn2_saveexec_b64 s[2:3], s[2:3]
; %bb.1145:
	s_mov_b32 s4, 0x7f800000
	v_mov_b32_e32 v5, 0x7c
	v_mov_b32_e32 v7, 0x7f
	v_cmp_lt_u32_e32 vcc, s4, v6
	v_cndmask_b32_e32 v5, v5, v7, vcc
; %bb.1146:
	s_or_b64 exec, exec, s[2:3]
	v_lshrrev_b32_e32 v4, 24, v4
	s_movk_i32 s2, 0x80
	v_and_or_b32 v4, v4, s2, v5
	s_mov_b64 s[2:3], 0
	s_branch .LBB241_1148
.LBB241_1147:
	s_mov_b64 s[2:3], -1
                                        ; implicit-def: $vgpr4
.LBB241_1148:
	s_and_b64 vcc, exec, s[2:3]
	s_cbranch_vccz .LBB241_1158
; %bb.1149:
	global_load_ubyte v0, v[0:1], off
	s_mov_b32 s2, 0x47800000
                                        ; implicit-def: $vgpr4
	s_waitcnt vmcnt(0)
	v_cvt_f32_ubyte0_e32 v0, v0
	v_cmp_gt_u32_e32 vcc, s2, v0
	s_and_saveexec_b64 s[2:3], vcc
	s_xor_b64 s[2:3], exec, s[2:3]
	s_cbranch_execz .LBB241_1155
; %bb.1150:
	s_mov_b32 s4, 0x387fffff
	v_cmp_lt_u32_e32 vcc, s4, v0
                                        ; implicit-def: $vgpr4
	s_and_saveexec_b64 s[4:5], vcc
	s_xor_b64 s[4:5], exec, s[4:5]
; %bb.1151:
	v_bfe_u32 v1, v0, 21, 1
	s_mov_b32 s38, 0x80fffff
	v_add3_u32 v0, v0, v1, s38
	v_lshrrev_b32_e32 v4, 21, v0
                                        ; implicit-def: $vgpr0
; %bb.1152:
	s_andn2_saveexec_b64 s[4:5], s[4:5]
; %bb.1153:
	v_add_f32_e32 v4, 0x43000000, v0
; %bb.1154:
	s_or_b64 exec, exec, s[4:5]
                                        ; implicit-def: $vgpr0
.LBB241_1155:
	s_andn2_saveexec_b64 s[2:3], s[2:3]
; %bb.1156:
	s_mov_b32 s4, 0x7f800000
	v_mov_b32_e32 v1, 0x7c
	v_mov_b32_e32 v4, 0x7f
	v_cmp_lt_u32_e32 vcc, s4, v0
	v_cndmask_b32_e32 v4, v1, v4, vcc
; %bb.1157:
	s_or_b64 exec, exec, s[2:3]
.LBB241_1158:
	s_mov_b64 s[2:3], -1
.LBB241_1159:
	s_andn2_b64 vcc, exec, s[2:3]
	s_cbranch_vccnz .LBB241_1167
; %bb.1160:
	s_waitcnt vmcnt(0)
	v_lshlrev_b32_e32 v1, 25, v4
	v_lshlrev_b16_e32 v0, 8, v4
	v_lshrrev_b32_e32 v4, 4, v1
	s_movk_i32 s2, 0x7f00
	v_or_b32_e32 v4, 0x70000000, v4
	v_and_or_b32 v5, v0, s2, 0.5
	s_brev_b32 s2, 16
	v_add_f32_e32 v5, -0.5, v5
	v_mul_f32_e32 v4, 0x7800000, v4
	v_cmp_gt_u32_e32 vcc, s2, v1
	v_cndmask_b32_e32 v1, v4, v5, vcc
	v_bfe_i32 v0, v0, 0, 16
	s_brev_b32 s2, 1
	v_and_or_b32 v0, v0, s2, v1
	v_cmp_eq_f32_e32 vcc, v3, v0
	v_cndmask_b32_e64 v1, 0, 1, vcc
	v_cmp_neq_f32_e32 vcc, v3, v0
	v_mul_lo_u32 v4, v2, s12
	v_cndmask_b32_e64 v0, 0, 1, vcc
	v_cndmask_b32_e64 v0, v0, v1, s[0:1]
	v_and_b32_e32 v0, 1, v0
	v_cmp_eq_u32_e64 s[2:3], 1, v0
	v_ashrrev_i32_e32 v1, 31, v4
	v_mov_b32_e32 v5, s9
	s_and_b32 s44, s17, 0xff
	v_add_co_u32_e32 v0, vcc, s8, v4
	s_cmp_lt_i32 s44, 11
	v_addc_co_u32_e32 v1, vcc, v5, v1, vcc
	s_cbranch_scc1 .LBB241_1168
; %bb.1161:
	s_and_b32 s45, 0xffff, s44
	s_cmp_gt_i32 s45, 25
	s_cbranch_scc0 .LBB241_1169
; %bb.1162:
	s_cmp_gt_i32 s45, 28
	s_cbranch_scc0 .LBB241_1170
; %bb.1163:
	;; [unrolled: 3-line block ×4, first 2 shown]
	s_mov_b64 s[40:41], 0
	s_mov_b64 s[4:5], -1
	s_cmp_eq_u32 s45, 46
	s_mov_b64 s[38:39], 0
	s_cbranch_scc0 .LBB241_1173
; %bb.1166:
	v_cndmask_b32_e64 v4, 0, 1.0, s[2:3]
	v_bfe_u32 v5, v4, 16, 1
	s_movk_i32 s4, 0x7fff
	v_add3_u32 v4, v4, v5, s4
	v_lshrrev_b32_e32 v4, 16, v4
	global_store_dword v[0:1], v4, off
	s_mov_b64 s[38:39], -1
	s_mov_b64 s[4:5], 0
	s_branch .LBB241_1173
.LBB241_1167:
	s_mov_b64 s[38:39], 0
	s_mov_b64 s[4:5], s[28:29]
	s_branch .LBB241_1284
.LBB241_1168:
	s_mov_b64 s[40:41], -1
	s_mov_b64 s[38:39], 0
	s_mov_b64 s[4:5], s[28:29]
	s_branch .LBB241_1242
.LBB241_1169:
	s_mov_b64 s[40:41], -1
	s_mov_b64 s[38:39], 0
	s_mov_b64 s[4:5], s[28:29]
	s_branch .LBB241_1200
.LBB241_1170:
	s_mov_b64 s[40:41], -1
	s_mov_b64 s[38:39], 0
	s_mov_b64 s[4:5], s[28:29]
	s_branch .LBB241_1183
.LBB241_1171:
	s_mov_b64 s[40:41], -1
	s_mov_b64 s[38:39], 0
	s_mov_b64 s[4:5], s[28:29]
	s_branch .LBB241_1179
.LBB241_1172:
	s_mov_b64 s[40:41], -1
	s_mov_b64 s[38:39], 0
	s_mov_b64 s[4:5], s[28:29]
.LBB241_1173:
	s_and_b64 vcc, exec, s[40:41]
	s_cbranch_vccz .LBB241_1178
; %bb.1174:
	s_cmp_eq_u32 s45, 44
	s_mov_b64 s[4:5], -1
	s_cbranch_scc0 .LBB241_1178
; %bb.1175:
	v_cndmask_b32_e64 v5, 0, 1.0, s[2:3]
	v_lshrrev_b32_e32 v4, 23, v5
	s_movk_i32 s4, 0xff
	v_cmp_ne_u32_e32 vcc, s4, v4
	v_mov_b32_e32 v6, 0xff
	s_and_saveexec_b64 s[38:39], vcc
; %bb.1176:
	s_mov_b32 s4, 0x3fffff
	v_and_b32_e32 v6, 0x400000, v5
	v_and_or_b32 v5, v5, s4, v4
	v_cmp_ne_u32_e32 vcc, 0, v6
	v_cmp_ne_u32_e64 s[4:5], 0, v5
	s_and_b64 s[4:5], vcc, s[4:5]
	v_cndmask_b32_e64 v5, 0, 1, s[4:5]
	v_add_u32_e32 v6, v4, v5
; %bb.1177:
	s_or_b64 exec, exec, s[38:39]
	s_mov_b64 s[38:39], -1
	s_mov_b64 s[4:5], 0
	global_store_byte v[0:1], v6, off
.LBB241_1178:
	s_mov_b64 s[40:41], 0
.LBB241_1179:
	s_and_b64 vcc, exec, s[40:41]
	s_cbranch_vccz .LBB241_1182
; %bb.1180:
	s_cmp_eq_u32 s45, 29
	s_mov_b64 s[4:5], -1
	s_cbranch_scc0 .LBB241_1182
; %bb.1181:
	s_mov_b32 s4, 0
	v_cndmask_b32_e64 v4, 0, 1, s[2:3]
	v_mov_b32_e32 v5, s4
	global_store_dwordx2 v[0:1], v[4:5], off
	s_mov_b64 s[38:39], -1
	s_mov_b64 s[4:5], 0
.LBB241_1182:
	s_mov_b64 s[40:41], 0
.LBB241_1183:
	s_and_b64 vcc, exec, s[40:41]
	s_cbranch_vccz .LBB241_1199
; %bb.1184:
	s_cmp_lt_i32 s45, 27
	s_mov_b64 s[38:39], -1
	s_cbranch_scc1 .LBB241_1190
; %bb.1185:
	s_cmp_gt_i32 s45, 27
	s_cbranch_scc0 .LBB241_1187
; %bb.1186:
	v_cndmask_b32_e64 v4, 0, 1, s[2:3]
	s_mov_b64 s[38:39], 0
	global_store_dword v[0:1], v4, off
.LBB241_1187:
	s_andn2_b64 vcc, exec, s[38:39]
	s_cbranch_vccnz .LBB241_1189
; %bb.1188:
	v_cndmask_b32_e64 v4, 0, 1, s[2:3]
	global_store_short v[0:1], v4, off
.LBB241_1189:
	s_mov_b64 s[38:39], 0
.LBB241_1190:
	s_andn2_b64 vcc, exec, s[38:39]
	s_cbranch_vccnz .LBB241_1198
; %bb.1191:
	v_cndmask_b32_e64 v5, 0, 1.0, s[2:3]
	s_mov_b32 s38, 0x43800000
	v_cmp_gt_u32_e32 vcc, s38, v5
	v_mov_b32_e32 v6, 0x80
	s_and_saveexec_b64 s[38:39], vcc
	s_cbranch_execz .LBB241_1197
; %bb.1192:
	s_mov_b32 s40, 0x3bffffff
	v_cmp_lt_u32_e32 vcc, s40, v5
	s_mov_b64 s[40:41], 0
                                        ; implicit-def: $vgpr4
	s_and_saveexec_b64 s[42:43], vcc
	s_xor_b64 s[42:43], exec, s[42:43]
	s_cbranch_execz .LBB241_1307
; %bb.1193:
	v_bfe_u32 v4, v5, 20, 1
	s_mov_b32 s46, 0x487ffff
	v_add3_u32 v4, v5, v4, s46
	s_mov_b64 s[40:41], exec
	v_lshrrev_b32_e32 v4, 20, v4
                                        ; implicit-def: $vgpr5
	s_andn2_saveexec_b64 s[42:43], s[42:43]
	s_cbranch_execnz .LBB241_1308
.LBB241_1194:
	s_or_b64 exec, exec, s[42:43]
	v_mov_b32_e32 v6, 0
	s_and_saveexec_b64 s[42:43], s[40:41]
.LBB241_1195:
	v_mov_b32_e32 v6, v4
.LBB241_1196:
	s_or_b64 exec, exec, s[42:43]
.LBB241_1197:
	s_or_b64 exec, exec, s[38:39]
	global_store_byte v[0:1], v6, off
.LBB241_1198:
	s_mov_b64 s[38:39], -1
.LBB241_1199:
	s_mov_b64 s[40:41], 0
.LBB241_1200:
	s_and_b64 vcc, exec, s[40:41]
	s_cbranch_vccz .LBB241_1241
; %bb.1201:
	s_cmp_gt_i32 s45, 22
	s_mov_b64 s[40:41], -1
	s_cbranch_scc0 .LBB241_1233
; %bb.1202:
	s_cmp_lt_i32 s45, 24
	s_mov_b64 s[38:39], -1
	s_cbranch_scc1 .LBB241_1222
; %bb.1203:
	s_cmp_gt_i32 s45, 24
	s_cbranch_scc0 .LBB241_1211
; %bb.1204:
	v_cndmask_b32_e64 v5, 0, 1.0, s[2:3]
	s_mov_b32 s38, 0x47800000
	v_cmp_gt_u32_e32 vcc, s38, v5
	v_mov_b32_e32 v6, 0x80
	s_and_saveexec_b64 s[38:39], vcc
	s_cbranch_execz .LBB241_1210
; %bb.1205:
	s_mov_b32 s40, 0x37ffffff
	v_cmp_lt_u32_e32 vcc, s40, v5
	s_mov_b64 s[40:41], 0
                                        ; implicit-def: $vgpr4
	s_and_saveexec_b64 s[42:43], vcc
	s_xor_b64 s[42:43], exec, s[42:43]
	s_cbranch_execz .LBB241_1310
; %bb.1206:
	v_bfe_u32 v4, v5, 21, 1
	s_mov_b32 s46, 0x88fffff
	v_add3_u32 v4, v5, v4, s46
	s_mov_b64 s[40:41], exec
	v_lshrrev_b32_e32 v4, 21, v4
                                        ; implicit-def: $vgpr5
	s_andn2_saveexec_b64 s[42:43], s[42:43]
	s_cbranch_execnz .LBB241_1311
.LBB241_1207:
	s_or_b64 exec, exec, s[42:43]
	v_mov_b32_e32 v6, 0
	s_and_saveexec_b64 s[42:43], s[40:41]
.LBB241_1208:
	v_mov_b32_e32 v6, v4
.LBB241_1209:
	s_or_b64 exec, exec, s[42:43]
.LBB241_1210:
	s_or_b64 exec, exec, s[38:39]
	s_mov_b64 s[38:39], 0
	global_store_byte v[0:1], v6, off
.LBB241_1211:
	s_and_b64 vcc, exec, s[38:39]
	s_cbranch_vccz .LBB241_1221
; %bb.1212:
	v_cndmask_b32_e64 v4, 0, 1.0, s[2:3]
	s_mov_b32 s38, 0x43f00000
	v_cmp_gt_u32_e32 vcc, s38, v4
                                        ; implicit-def: $vgpr5
	s_and_saveexec_b64 s[38:39], vcc
	s_xor_b64 s[38:39], exec, s[38:39]
	s_cbranch_execz .LBB241_1218
; %bb.1213:
	s_mov_b32 s40, 0x3c7fffff
	v_cmp_lt_u32_e32 vcc, s40, v4
                                        ; implicit-def: $vgpr5
	s_and_saveexec_b64 s[40:41], vcc
	s_xor_b64 s[40:41], exec, s[40:41]
; %bb.1214:
	v_bfe_u32 v5, v4, 20, 1
	s_mov_b32 s42, 0x407ffff
	v_add3_u32 v4, v4, v5, s42
	v_lshrrev_b32_e32 v5, 20, v4
	v_and_b32_e32 v4, 0xff00000, v4
	s_mov_b32 s42, 0x7f00000
	v_mov_b32_e32 v6, 0x7e
	v_cmp_ne_u32_e32 vcc, s42, v4
	v_cndmask_b32_e32 v5, v6, v5, vcc
                                        ; implicit-def: $vgpr4
; %bb.1215:
	s_andn2_saveexec_b64 s[40:41], s[40:41]
; %bb.1216:
	v_add_f32_e32 v5, 0x46800000, v4
; %bb.1217:
	s_or_b64 exec, exec, s[40:41]
                                        ; implicit-def: $vgpr4
.LBB241_1218:
	s_andn2_saveexec_b64 s[38:39], s[38:39]
; %bb.1219:
	s_mov_b32 s40, 0x7f800000
	v_mov_b32_e32 v5, 0x7e
	v_mov_b32_e32 v6, 0x7f
	v_cmp_lt_u32_e32 vcc, s40, v4
	v_cndmask_b32_e32 v5, v5, v6, vcc
; %bb.1220:
	s_or_b64 exec, exec, s[38:39]
	global_store_byte v[0:1], v5, off
.LBB241_1221:
	s_mov_b64 s[38:39], 0
.LBB241_1222:
	s_andn2_b64 vcc, exec, s[38:39]
	s_cbranch_vccnz .LBB241_1232
; %bb.1223:
	v_cndmask_b32_e64 v4, 0, 1.0, s[2:3]
	s_mov_b32 s38, 0x47800000
	v_cmp_gt_u32_e32 vcc, s38, v4
                                        ; implicit-def: $vgpr5
	s_and_saveexec_b64 s[38:39], vcc
	s_xor_b64 s[38:39], exec, s[38:39]
	s_cbranch_execz .LBB241_1229
; %bb.1224:
	s_mov_b32 s40, 0x387fffff
	v_cmp_lt_u32_e32 vcc, s40, v4
                                        ; implicit-def: $vgpr5
	s_and_saveexec_b64 s[40:41], vcc
	s_xor_b64 s[40:41], exec, s[40:41]
; %bb.1225:
	v_bfe_u32 v5, v4, 21, 1
	s_mov_b32 s42, 0x80fffff
	v_add3_u32 v4, v4, v5, s42
	v_lshrrev_b32_e32 v5, 21, v4
                                        ; implicit-def: $vgpr4
; %bb.1226:
	s_andn2_saveexec_b64 s[40:41], s[40:41]
; %bb.1227:
	v_add_f32_e32 v5, 0x43000000, v4
; %bb.1228:
	s_or_b64 exec, exec, s[40:41]
                                        ; implicit-def: $vgpr4
.LBB241_1229:
	s_andn2_saveexec_b64 s[38:39], s[38:39]
; %bb.1230:
	s_mov_b32 s40, 0x7f800000
	v_mov_b32_e32 v5, 0x7c
	v_mov_b32_e32 v6, 0x7f
	v_cmp_lt_u32_e32 vcc, s40, v4
	v_cndmask_b32_e32 v5, v5, v6, vcc
; %bb.1231:
	s_or_b64 exec, exec, s[38:39]
	global_store_byte v[0:1], v5, off
.LBB241_1232:
	s_mov_b64 s[40:41], 0
	s_mov_b64 s[38:39], -1
.LBB241_1233:
	s_andn2_b64 vcc, exec, s[40:41]
	s_cbranch_vccnz .LBB241_1241
; %bb.1234:
	s_cmp_gt_i32 s45, 14
	s_mov_b64 s[40:41], -1
	s_cbranch_scc0 .LBB241_1238
; %bb.1235:
	s_cmp_eq_u32 s45, 15
	s_mov_b64 s[4:5], -1
	s_cbranch_scc0 .LBB241_1237
; %bb.1236:
	v_cndmask_b32_e64 v4, 0, 1.0, s[2:3]
	v_bfe_u32 v5, v4, 16, 1
	s_movk_i32 s4, 0x7fff
	v_add3_u32 v4, v4, v5, s4
	global_store_short_d16_hi v[0:1], v4, off
	s_mov_b64 s[38:39], -1
	s_mov_b64 s[4:5], 0
.LBB241_1237:
	s_mov_b64 s[40:41], 0
.LBB241_1238:
	s_and_b64 vcc, exec, s[40:41]
	s_cbranch_vccz .LBB241_1241
; %bb.1239:
	s_cmp_eq_u32 s45, 11
	s_mov_b64 s[4:5], -1
	s_cbranch_scc0 .LBB241_1241
; %bb.1240:
	v_cndmask_b32_e64 v4, 0, 1, s[2:3]
	s_mov_b64 s[38:39], -1
	s_mov_b64 s[4:5], 0
	global_store_byte v[0:1], v4, off
.LBB241_1241:
	s_mov_b64 s[40:41], 0
.LBB241_1242:
	s_and_b64 vcc, exec, s[40:41]
	s_cbranch_vccz .LBB241_1281
; %bb.1243:
	s_and_b32 s40, 0xffff, s44
	s_cmp_lt_i32 s40, 5
	s_mov_b64 s[38:39], -1
	s_cbranch_scc1 .LBB241_1264
; %bb.1244:
	s_cmp_lt_i32 s40, 8
	s_cbranch_scc1 .LBB241_1254
; %bb.1245:
	s_cmp_lt_i32 s40, 9
	s_cbranch_scc1 .LBB241_1251
; %bb.1246:
	s_cmp_gt_i32 s40, 9
	s_cbranch_scc0 .LBB241_1248
; %bb.1247:
	v_cndmask_b32_e64 v4, 0, 1, s[2:3]
	v_cvt_f64_u32_e32 v[4:5], v4
	v_mov_b32_e32 v6, 0
	v_mov_b32_e32 v7, v6
	s_mov_b64 s[38:39], 0
	global_store_dwordx4 v[0:1], v[4:7], off
.LBB241_1248:
	s_andn2_b64 vcc, exec, s[38:39]
	s_cbranch_vccnz .LBB241_1250
; %bb.1249:
	v_cndmask_b32_e64 v4, 0, 1.0, s[2:3]
	v_mov_b32_e32 v5, 0
	global_store_dwordx2 v[0:1], v[4:5], off
.LBB241_1250:
	s_mov_b64 s[38:39], 0
.LBB241_1251:
	s_andn2_b64 vcc, exec, s[38:39]
	s_cbranch_vccnz .LBB241_1253
; %bb.1252:
	v_cndmask_b32_e64 v4, 0, 1.0, s[2:3]
	v_cvt_f16_f32_e32 v4, v4
	global_store_dword v[0:1], v4, off
.LBB241_1253:
	s_mov_b64 s[38:39], 0
.LBB241_1254:
	s_andn2_b64 vcc, exec, s[38:39]
	s_cbranch_vccnz .LBB241_1263
; %bb.1255:
	s_cmp_lt_i32 s40, 6
	s_mov_b64 s[38:39], -1
	s_cbranch_scc1 .LBB241_1261
; %bb.1256:
	s_cmp_gt_i32 s40, 6
	s_cbranch_scc0 .LBB241_1258
; %bb.1257:
	v_cndmask_b32_e64 v4, 0, 1, s[2:3]
	v_cvt_f64_u32_e32 v[4:5], v4
	s_mov_b64 s[38:39], 0
	global_store_dwordx2 v[0:1], v[4:5], off
.LBB241_1258:
	s_andn2_b64 vcc, exec, s[38:39]
	s_cbranch_vccnz .LBB241_1260
; %bb.1259:
	v_cndmask_b32_e64 v4, 0, 1.0, s[2:3]
	global_store_dword v[0:1], v4, off
.LBB241_1260:
	s_mov_b64 s[38:39], 0
.LBB241_1261:
	s_andn2_b64 vcc, exec, s[38:39]
	s_cbranch_vccnz .LBB241_1263
; %bb.1262:
	v_cndmask_b32_e64 v4, 0, 1.0, s[2:3]
	v_cvt_f16_f32_e32 v4, v4
	global_store_short v[0:1], v4, off
.LBB241_1263:
	s_mov_b64 s[38:39], 0
.LBB241_1264:
	s_andn2_b64 vcc, exec, s[38:39]
	s_cbranch_vccnz .LBB241_1280
; %bb.1265:
	s_cmp_lt_i32 s40, 2
	s_mov_b64 s[38:39], -1
	s_cbranch_scc1 .LBB241_1275
; %bb.1266:
	s_cmp_lt_i32 s40, 3
	s_cbranch_scc1 .LBB241_1272
; %bb.1267:
	s_cmp_gt_i32 s40, 3
	s_cbranch_scc0 .LBB241_1269
; %bb.1268:
	s_mov_b32 s38, 0
	v_cndmask_b32_e64 v4, 0, 1, s[2:3]
	v_mov_b32_e32 v5, s38
	s_mov_b64 s[38:39], 0
	global_store_dwordx2 v[0:1], v[4:5], off
.LBB241_1269:
	s_andn2_b64 vcc, exec, s[38:39]
	s_cbranch_vccnz .LBB241_1271
; %bb.1270:
	v_cndmask_b32_e64 v4, 0, 1, s[2:3]
	global_store_dword v[0:1], v4, off
.LBB241_1271:
	s_mov_b64 s[38:39], 0
.LBB241_1272:
	s_andn2_b64 vcc, exec, s[38:39]
	s_cbranch_vccnz .LBB241_1274
; %bb.1273:
	v_cndmask_b32_e64 v4, 0, 1, s[2:3]
	global_store_short v[0:1], v4, off
.LBB241_1274:
	s_mov_b64 s[38:39], 0
.LBB241_1275:
	s_andn2_b64 vcc, exec, s[38:39]
	s_cbranch_vccnz .LBB241_1280
; %bb.1276:
	s_mov_b64 s[38:39], -1
	s_cmp_gt_i32 s40, 0
	v_cndmask_b32_e64 v4, 0, 1, s[2:3]
	s_cbranch_scc0 .LBB241_1278
; %bb.1277:
	s_mov_b64 s[38:39], 0
	global_store_byte v[0:1], v4, off
.LBB241_1278:
	s_andn2_b64 vcc, exec, s[38:39]
	s_cbranch_vccnz .LBB241_1280
; %bb.1279:
	global_store_byte v[0:1], v4, off
.LBB241_1280:
	s_mov_b64 s[38:39], -1
.LBB241_1281:
	s_andn2_b64 vcc, exec, s[38:39]
	s_cbranch_vccnz .LBB241_1283
; %bb.1282:
	v_add_u32_e32 v2, 0x80, v2
	s_mov_b64 s[38:39], -1
	s_branch .LBB241_1285
.LBB241_1283:
	s_mov_b64 s[38:39], 0
.LBB241_1284:
                                        ; implicit-def: $vgpr2
.LBB241_1285:
	s_andn2_b64 s[2:3], s[28:29], exec
	s_and_b64 s[4:5], s[4:5], exec
	s_or_b64 s[4:5], s[2:3], s[4:5]
	s_andn2_b64 s[2:3], s[26:27], exec
	s_and_b64 s[36:37], s[36:37], exec
	s_or_b64 s[2:3], s[2:3], s[36:37]
	s_orn2_b64 s[40:41], s[38:39], exec
.LBB241_1286:
	s_or_b64 exec, exec, s[34:35]
	s_mov_b64 s[38:39], 0
	s_mov_b64 s[36:37], 0
	;; [unrolled: 1-line block ×3, first 2 shown]
                                        ; implicit-def: $vgpr0_vgpr1
                                        ; implicit-def: $vgpr4
	s_and_saveexec_b64 s[34:35], s[40:41]
	s_cbranch_execz .LBB241_1443
; %bb.1287:
	v_cmp_gt_i32_e32 vcc, s33, v2
	s_mov_b64 s[40:41], 0
	s_mov_b64 s[44:45], s[2:3]
	;; [unrolled: 1-line block ×3, first 2 shown]
                                        ; implicit-def: $vgpr0_vgpr1
                                        ; implicit-def: $vgpr4
	s_and_saveexec_b64 s[36:37], vcc
	s_cbranch_execz .LBB241_1442
; %bb.1288:
	v_mul_lo_u32 v0, v2, s13
	v_mov_b32_e32 v1, s11
	s_and_b32 s33, 0xffff, s15
	s_cmp_lt_i32 s33, 11
	s_waitcnt vmcnt(0)
	v_ashrrev_i32_e32 v4, 31, v0
	v_add_co_u32_e32 v0, vcc, s10, v0
	v_addc_co_u32_e32 v1, vcc, v1, v4, vcc
	s_cbranch_scc1 .LBB241_1303
; %bb.1289:
	s_cmp_gt_i32 s33, 25
	s_cbranch_scc0 .LBB241_1304
; %bb.1290:
	s_cmp_gt_i32 s33, 28
	s_cbranch_scc0 .LBB241_1305
	;; [unrolled: 3-line block ×4, first 2 shown]
; %bb.1293:
	s_cmp_eq_u32 s33, 46
	s_mov_b64 s[44:45], 0
	s_cbranch_scc0 .LBB241_1312
; %bb.1294:
	global_load_dword v4, v[0:1], off
	s_mov_b32 s38, 0x47800000
                                        ; implicit-def: $vgpr5
	s_waitcnt vmcnt(0)
	v_lshlrev_b32_e32 v4, 16, v4
	v_and_b32_e32 v6, 0x7fffffff, v4
	v_cmp_gt_u32_e32 vcc, s38, v6
	s_and_saveexec_b64 s[38:39], vcc
	s_xor_b64 s[38:39], exec, s[38:39]
	s_cbranch_execz .LBB241_1300
; %bb.1295:
	s_mov_b32 s42, 0x387fffff
	v_cmp_lt_u32_e32 vcc, s42, v6
                                        ; implicit-def: $vgpr5
	s_and_saveexec_b64 s[42:43], vcc
	s_xor_b64 s[42:43], exec, s[42:43]
; %bb.1296:
	v_bfe_u32 v5, v4, 21, 1
	s_mov_b32 s46, 0x80fffff
	v_add3_u32 v5, v4, v5, s46
	v_lshrrev_b32_e32 v5, 21, v5
; %bb.1297:
	s_andn2_saveexec_b64 s[42:43], s[42:43]
; %bb.1298:
	s_mov_b32 s46, 0x43000000
	v_add_f32_e64 v5, |v4|, s46
; %bb.1299:
	s_or_b64 exec, exec, s[42:43]
                                        ; implicit-def: $vgpr6
.LBB241_1300:
	s_andn2_saveexec_b64 s[38:39], s[38:39]
; %bb.1301:
	s_mov_b32 s42, 0x7f800000
	v_mov_b32_e32 v5, 0x7c
	v_mov_b32_e32 v7, 0x7f
	v_cmp_lt_u32_e32 vcc, s42, v6
	v_cndmask_b32_e32 v5, v5, v7, vcc
; %bb.1302:
	s_or_b64 exec, exec, s[38:39]
	v_lshrrev_b32_e32 v4, 24, v4
	s_movk_i32 s38, 0x80
	v_and_or_b32 v4, v4, s38, v5
	s_mov_b64 s[38:39], 0
	s_mov_b64 s[42:43], -1
	s_branch .LBB241_1314
.LBB241_1303:
	s_mov_b64 s[44:45], -1
                                        ; implicit-def: $vgpr4
	s_mov_b64 s[38:39], s[2:3]
	s_branch .LBB241_1441
.LBB241_1304:
	s_mov_b64 s[44:45], -1
	s_mov_b64 s[38:39], s[2:3]
                                        ; implicit-def: $vgpr4
	s_branch .LBB241_1383
.LBB241_1305:
	s_mov_b64 s[44:45], -1
                                        ; implicit-def: $vgpr4
	s_mov_b64 s[38:39], s[2:3]
	s_branch .LBB241_1340
.LBB241_1306:
	s_mov_b64 s[44:45], -1
	s_mov_b64 s[38:39], s[2:3]
                                        ; implicit-def: $vgpr4
	s_branch .LBB241_1327
.LBB241_1307:
	s_andn2_saveexec_b64 s[42:43], s[42:43]
	s_cbranch_execz .LBB241_1194
.LBB241_1308:
	v_add_f32_e32 v4, 0x46000000, v5
	v_and_b32_e32 v4, 0xff, v4
	v_cmp_ne_u32_e32 vcc, 0, v4
	s_andn2_b64 s[40:41], s[40:41], exec
	s_and_b64 s[46:47], vcc, exec
	s_or_b64 s[40:41], s[40:41], s[46:47]
	s_or_b64 exec, exec, s[42:43]
	v_mov_b32_e32 v6, 0
	s_and_saveexec_b64 s[42:43], s[40:41]
	s_cbranch_execnz .LBB241_1195
	s_branch .LBB241_1196
.LBB241_1309:
	s_mov_b64 s[44:45], -1
	s_mov_b64 s[38:39], s[2:3]
	s_branch .LBB241_1313
.LBB241_1310:
	s_andn2_saveexec_b64 s[42:43], s[42:43]
	s_cbranch_execz .LBB241_1207
.LBB241_1311:
	v_add_f32_e32 v4, 0x42800000, v5
	v_and_b32_e32 v4, 0xff, v4
	v_cmp_ne_u32_e32 vcc, 0, v4
	s_andn2_b64 s[40:41], s[40:41], exec
	s_and_b64 s[46:47], vcc, exec
	s_or_b64 s[40:41], s[40:41], s[46:47]
	s_or_b64 exec, exec, s[42:43]
	v_mov_b32_e32 v6, 0
	s_and_saveexec_b64 s[42:43], s[40:41]
	s_cbranch_execnz .LBB241_1208
	s_branch .LBB241_1209
.LBB241_1312:
	s_mov_b64 s[38:39], -1
.LBB241_1313:
                                        ; implicit-def: $vgpr4
.LBB241_1314:
	s_and_b64 vcc, exec, s[44:45]
	s_cbranch_vccz .LBB241_1326
; %bb.1315:
	s_cmp_eq_u32 s33, 44
	s_cbranch_scc0 .LBB241_1325
; %bb.1316:
	global_load_ubyte v4, v[0:1], off
	s_movk_i32 s38, 0xff
	v_mov_b32_e32 v5, 0x7f800001
	v_mov_b32_e32 v6, 0x400000
	s_waitcnt vmcnt(0)
	v_lshlrev_b32_e32 v7, 23, v4
	v_cmp_ne_u32_e32 vcc, s38, v4
	v_cndmask_b32_e32 v5, v5, v7, vcc
	v_cmp_ne_u32_e32 vcc, 0, v4
	v_cndmask_b32_e32 v5, v6, v5, vcc
	s_mov_b32 s38, 0x47800000
	v_cmp_gt_u32_e32 vcc, s38, v5
                                        ; implicit-def: $vgpr4
	s_and_saveexec_b64 s[38:39], vcc
	s_xor_b64 s[38:39], exec, s[38:39]
	s_cbranch_execz .LBB241_1322
; %bb.1317:
	s_mov_b32 s42, 0x387fffff
	v_cmp_lt_u32_e32 vcc, s42, v5
                                        ; implicit-def: $vgpr4
	s_and_saveexec_b64 s[42:43], vcc
	s_xor_b64 s[42:43], exec, s[42:43]
; %bb.1318:
	v_bfe_u32 v4, v5, 21, 1
	s_mov_b32 s44, 0x80fffff
	v_add3_u32 v4, v5, v4, s44
	v_lshrrev_b32_e32 v4, 21, v4
                                        ; implicit-def: $vgpr5
; %bb.1319:
	s_andn2_saveexec_b64 s[42:43], s[42:43]
; %bb.1320:
	v_add_f32_e32 v4, 0x43000000, v5
; %bb.1321:
	s_or_b64 exec, exec, s[42:43]
                                        ; implicit-def: $vgpr5
.LBB241_1322:
	s_andn2_saveexec_b64 s[38:39], s[38:39]
; %bb.1323:
	s_mov_b32 s42, 0x7f800000
	v_mov_b32_e32 v4, 0x7c
	v_mov_b32_e32 v6, 0x7f
	v_cmp_lt_u32_e32 vcc, s42, v5
	v_cndmask_b32_e32 v4, v4, v6, vcc
; %bb.1324:
	s_or_b64 exec, exec, s[38:39]
	s_mov_b64 s[38:39], 0
	s_mov_b64 s[42:43], -1
	s_branch .LBB241_1326
.LBB241_1325:
	s_mov_b64 s[38:39], -1
                                        ; implicit-def: $vgpr4
.LBB241_1326:
	s_mov_b64 s[44:45], 0
.LBB241_1327:
	s_and_b64 vcc, exec, s[44:45]
	s_cbranch_vccz .LBB241_1339
; %bb.1328:
	s_cmp_eq_u32 s33, 29
	s_cbranch_scc0 .LBB241_1338
; %bb.1329:
	global_load_dwordx2 v[4:5], v[0:1], off
	s_mov_b32 s38, 0x47800000
	s_waitcnt vmcnt(0)
	v_ffbh_u32_e32 v6, v5
	v_min_u32_e32 v6, 32, v6
	v_lshlrev_b64 v[4:5], v6, v[4:5]
	v_min_u32_e32 v4, 1, v4
	v_or_b32_e32 v4, v5, v4
	v_cvt_f32_u32_e32 v4, v4
	v_sub_u32_e32 v5, 32, v6
	v_ldexp_f32 v5, v4, v5
	v_cmp_gt_u32_e32 vcc, s38, v5
                                        ; implicit-def: $vgpr4
	s_and_saveexec_b64 s[38:39], vcc
	s_xor_b64 s[38:39], exec, s[38:39]
	s_cbranch_execz .LBB241_1335
; %bb.1330:
	s_mov_b32 s42, 0x387fffff
	v_cmp_lt_u32_e32 vcc, s42, v5
                                        ; implicit-def: $vgpr4
	s_and_saveexec_b64 s[42:43], vcc
	s_xor_b64 s[42:43], exec, s[42:43]
; %bb.1331:
	v_bfe_u32 v4, v5, 21, 1
	s_mov_b32 s44, 0x80fffff
	v_add3_u32 v4, v5, v4, s44
	v_lshrrev_b32_e32 v4, 21, v4
                                        ; implicit-def: $vgpr5
; %bb.1332:
	s_andn2_saveexec_b64 s[42:43], s[42:43]
; %bb.1333:
	v_add_f32_e32 v4, 0x43000000, v5
; %bb.1334:
	s_or_b64 exec, exec, s[42:43]
                                        ; implicit-def: $vgpr5
.LBB241_1335:
	s_andn2_saveexec_b64 s[38:39], s[38:39]
; %bb.1336:
	s_mov_b32 s42, 0x7f800000
	v_mov_b32_e32 v4, 0x7c
	v_mov_b32_e32 v6, 0x7f
	v_cmp_lt_u32_e32 vcc, s42, v5
	v_cndmask_b32_e32 v4, v4, v6, vcc
; %bb.1337:
	s_or_b64 exec, exec, s[38:39]
	s_mov_b64 s[38:39], 0
	s_mov_b64 s[42:43], -1
	s_branch .LBB241_1339
.LBB241_1338:
	s_mov_b64 s[38:39], -1
                                        ; implicit-def: $vgpr4
.LBB241_1339:
	s_mov_b64 s[44:45], 0
.LBB241_1340:
	s_and_b64 vcc, exec, s[44:45]
	s_cbranch_vccz .LBB241_1382
; %bb.1341:
	s_cmp_lt_i32 s33, 27
	s_cbranch_scc1 .LBB241_1352
; %bb.1342:
	s_cmp_gt_i32 s33, 27
	s_cbranch_scc0 .LBB241_1353
; %bb.1343:
	global_load_dword v4, v[0:1], off
	s_mov_b32 s42, 0x47800000
	s_waitcnt vmcnt(0)
	v_cvt_f32_u32_e32 v5, v4
                                        ; implicit-def: $vgpr4
	v_cmp_gt_u32_e32 vcc, s42, v5
	s_and_saveexec_b64 s[42:43], vcc
	s_xor_b64 s[42:43], exec, s[42:43]
	s_cbranch_execz .LBB241_1349
; %bb.1344:
	s_mov_b32 s44, 0x387fffff
	v_cmp_lt_u32_e32 vcc, s44, v5
                                        ; implicit-def: $vgpr4
	s_and_saveexec_b64 s[44:45], vcc
	s_xor_b64 s[44:45], exec, s[44:45]
; %bb.1345:
	v_bfe_u32 v4, v5, 21, 1
	s_mov_b32 s46, 0x80fffff
	v_add3_u32 v4, v5, v4, s46
	v_lshrrev_b32_e32 v4, 21, v4
                                        ; implicit-def: $vgpr5
; %bb.1346:
	s_andn2_saveexec_b64 s[44:45], s[44:45]
; %bb.1347:
	v_add_f32_e32 v4, 0x43000000, v5
; %bb.1348:
	s_or_b64 exec, exec, s[44:45]
                                        ; implicit-def: $vgpr5
.LBB241_1349:
	s_andn2_saveexec_b64 s[42:43], s[42:43]
; %bb.1350:
	s_mov_b32 s44, 0x7f800000
	v_mov_b32_e32 v4, 0x7c
	v_mov_b32_e32 v6, 0x7f
	v_cmp_lt_u32_e32 vcc, s44, v5
	v_cndmask_b32_e32 v4, v4, v6, vcc
; %bb.1351:
	s_or_b64 exec, exec, s[42:43]
	s_mov_b64 s[42:43], 0
	s_branch .LBB241_1354
.LBB241_1352:
	s_mov_b64 s[42:43], -1
                                        ; implicit-def: $vgpr4
	s_branch .LBB241_1365
.LBB241_1353:
	s_mov_b64 s[42:43], -1
                                        ; implicit-def: $vgpr4
.LBB241_1354:
	s_and_b64 vcc, exec, s[42:43]
	s_cbranch_vccz .LBB241_1364
; %bb.1355:
	global_load_ushort v4, v[0:1], off
	s_mov_b32 s42, 0x47800000
	s_waitcnt vmcnt(0)
	v_cvt_f32_u32_e32 v5, v4
                                        ; implicit-def: $vgpr4
	v_cmp_gt_u32_e32 vcc, s42, v5
	s_and_saveexec_b64 s[42:43], vcc
	s_xor_b64 s[42:43], exec, s[42:43]
	s_cbranch_execz .LBB241_1361
; %bb.1356:
	s_mov_b32 s44, 0x387fffff
	v_cmp_lt_u32_e32 vcc, s44, v5
                                        ; implicit-def: $vgpr4
	s_and_saveexec_b64 s[44:45], vcc
	s_xor_b64 s[44:45], exec, s[44:45]
; %bb.1357:
	v_bfe_u32 v4, v5, 21, 1
	s_mov_b32 s46, 0x80fffff
	v_add3_u32 v4, v5, v4, s46
	v_lshrrev_b32_e32 v4, 21, v4
                                        ; implicit-def: $vgpr5
; %bb.1358:
	s_andn2_saveexec_b64 s[44:45], s[44:45]
; %bb.1359:
	v_add_f32_e32 v4, 0x43000000, v5
; %bb.1360:
	s_or_b64 exec, exec, s[44:45]
                                        ; implicit-def: $vgpr5
.LBB241_1361:
	s_andn2_saveexec_b64 s[42:43], s[42:43]
; %bb.1362:
	s_mov_b32 s44, 0x7f800000
	v_mov_b32_e32 v4, 0x7c
	v_mov_b32_e32 v6, 0x7f
	v_cmp_lt_u32_e32 vcc, s44, v5
	v_cndmask_b32_e32 v4, v4, v6, vcc
; %bb.1363:
	s_or_b64 exec, exec, s[42:43]
.LBB241_1364:
	s_mov_b64 s[42:43], 0
.LBB241_1365:
	s_andn2_b64 vcc, exec, s[42:43]
	s_cbranch_vccnz .LBB241_1381
; %bb.1366:
	global_load_ubyte v5, v[0:1], off
	s_movk_i32 s42, 0x7f
	s_waitcnt vmcnt(0)
	v_cmp_lt_i16_e32 vcc, s42, v5
	s_mov_b64 s[42:43], 0
	s_and_saveexec_b64 s[44:45], vcc
	s_xor_b64 s[44:45], exec, s[44:45]
	s_cbranch_execz .LBB241_1403
; %bb.1367:
	s_movk_i32 s42, 0x80
	v_cmp_eq_u16_e32 vcc, s42, v5
	s_mov_b64 s[42:43], -1
	s_and_saveexec_b64 s[46:47], vcc
; %bb.1368:
	s_xor_b64 s[42:43], exec, -1
; %bb.1369:
	s_or_b64 exec, exec, s[46:47]
	s_and_b64 s[42:43], s[42:43], exec
	s_or_saveexec_b64 s[44:45], s[44:45]
	v_mov_b32_e32 v4, 0x7f800001
	s_xor_b64 exec, exec, s[44:45]
	s_cbranch_execnz .LBB241_1404
.LBB241_1370:
	s_or_b64 exec, exec, s[44:45]
	s_and_saveexec_b64 s[44:45], s[42:43]
	s_cbranch_execz .LBB241_1372
.LBB241_1371:
	v_lshlrev_b32_e32 v4, 24, v5
	v_and_b32_e32 v5, 0xffff, v5
	v_and_b32_e32 v6, 7, v5
	v_ffbh_u32_e32 v8, v6
	v_min_u32_e32 v8, 32, v8
	v_subrev_u32_e32 v9, 28, v8
	v_bfe_u32 v7, v5, 3, 4
	v_lshlrev_b32_e32 v5, v9, v5
	v_sub_u32_e32 v8, 29, v8
	v_and_b32_e32 v5, 7, v5
	v_cmp_eq_u32_e32 vcc, 0, v7
	v_cndmask_b32_e32 v7, v7, v8, vcc
	v_cndmask_b32_e32 v5, v6, v5, vcc
	v_mov_b32_e32 v6, 0x3b800000
	v_lshlrev_b32_e32 v5, 20, v5
	v_and_b32_e32 v4, 0x80000000, v4
	v_lshl_add_u32 v6, v7, 23, v6
	v_or3_b32 v4, v4, v6, v5
.LBB241_1372:
	s_or_b64 exec, exec, s[44:45]
	v_and_b32_e32 v6, 0x7fffffff, v4
	s_mov_b32 s42, 0x47800000
	v_cmp_gt_u32_e32 vcc, s42, v6
                                        ; implicit-def: $vgpr5
	s_and_saveexec_b64 s[42:43], vcc
	s_xor_b64 s[42:43], exec, s[42:43]
	s_cbranch_execz .LBB241_1378
; %bb.1373:
	s_mov_b32 s44, 0x387fffff
	v_cmp_lt_u32_e32 vcc, s44, v6
                                        ; implicit-def: $vgpr5
	s_and_saveexec_b64 s[44:45], vcc
	s_xor_b64 s[44:45], exec, s[44:45]
; %bb.1374:
	v_bfe_u32 v5, v4, 21, 1
	s_mov_b32 s46, 0x80fffff
	v_add3_u32 v5, v4, v5, s46
	v_lshrrev_b32_e32 v5, 21, v5
; %bb.1375:
	s_andn2_saveexec_b64 s[44:45], s[44:45]
; %bb.1376:
	s_mov_b32 s46, 0x43000000
	v_add_f32_e64 v5, |v4|, s46
; %bb.1377:
	s_or_b64 exec, exec, s[44:45]
                                        ; implicit-def: $vgpr6
.LBB241_1378:
	s_andn2_saveexec_b64 s[42:43], s[42:43]
; %bb.1379:
	s_mov_b32 s44, 0x7f800000
	v_mov_b32_e32 v5, 0x7c
	v_mov_b32_e32 v7, 0x7f
	v_cmp_lt_u32_e32 vcc, s44, v6
	v_cndmask_b32_e32 v5, v5, v7, vcc
; %bb.1380:
	s_or_b64 exec, exec, s[42:43]
	v_lshrrev_b32_e32 v4, 24, v4
	s_movk_i32 s42, 0x80
	v_and_or_b32 v4, v4, s42, v5
.LBB241_1381:
	s_mov_b64 s[42:43], -1
.LBB241_1382:
	s_mov_b64 s[44:45], 0
.LBB241_1383:
	s_and_b64 vcc, exec, s[44:45]
	s_cbranch_vccz .LBB241_1440
; %bb.1384:
	s_cmp_gt_i32 s33, 22
	s_cbranch_scc0 .LBB241_1402
; %bb.1385:
	s_cmp_lt_i32 s33, 24
	s_cbranch_scc1 .LBB241_1405
; %bb.1386:
	s_cmp_gt_i32 s33, 24
	s_cbranch_scc0 .LBB241_1406
; %bb.1387:
	global_load_ubyte v5, v[0:1], off
	s_movk_i32 s40, 0x7f
	s_waitcnt vmcnt(0)
	v_cmp_lt_i16_e32 vcc, s40, v5
	s_mov_b64 s[40:41], 0
	s_and_saveexec_b64 s[42:43], vcc
	s_xor_b64 s[42:43], exec, s[42:43]
	s_cbranch_execz .LBB241_1434
; %bb.1388:
	s_movk_i32 s40, 0x80
	v_cmp_eq_u16_e32 vcc, s40, v5
	s_mov_b64 s[40:41], -1
	s_and_saveexec_b64 s[44:45], vcc
; %bb.1389:
	s_xor_b64 s[40:41], exec, -1
; %bb.1390:
	s_or_b64 exec, exec, s[44:45]
	s_and_b64 s[40:41], s[40:41], exec
	s_or_saveexec_b64 s[42:43], s[42:43]
	v_mov_b32_e32 v4, 0x7f800001
	s_xor_b64 exec, exec, s[42:43]
	s_cbranch_execnz .LBB241_1435
.LBB241_1391:
	s_or_b64 exec, exec, s[42:43]
	s_and_saveexec_b64 s[42:43], s[40:41]
	s_cbranch_execz .LBB241_1393
.LBB241_1392:
	v_lshlrev_b32_e32 v4, 24, v5
	v_and_b32_e32 v5, 0xffff, v5
	v_and_b32_e32 v6, 3, v5
	v_ffbh_u32_e32 v8, v6
	v_min_u32_e32 v8, 32, v8
	v_subrev_u32_e32 v9, 29, v8
	v_bfe_u32 v7, v5, 2, 5
	v_lshlrev_b32_e32 v5, v9, v5
	v_sub_u32_e32 v8, 30, v8
	v_and_b32_e32 v5, 3, v5
	v_cmp_eq_u32_e32 vcc, 0, v7
	v_cndmask_b32_e32 v7, v7, v8, vcc
	v_cndmask_b32_e32 v5, v6, v5, vcc
	v_mov_b32_e32 v6, 0x37800000
	v_lshlrev_b32_e32 v5, 21, v5
	v_and_b32_e32 v4, 0x80000000, v4
	v_lshl_add_u32 v6, v7, 23, v6
	v_or3_b32 v4, v4, v6, v5
.LBB241_1393:
	s_or_b64 exec, exec, s[42:43]
	v_and_b32_e32 v6, 0x7fffffff, v4
	s_mov_b32 s40, 0x47800000
	v_cmp_gt_u32_e32 vcc, s40, v6
                                        ; implicit-def: $vgpr5
	s_and_saveexec_b64 s[40:41], vcc
	s_xor_b64 s[40:41], exec, s[40:41]
	s_cbranch_execz .LBB241_1399
; %bb.1394:
	s_mov_b32 s42, 0x387fffff
	v_cmp_lt_u32_e32 vcc, s42, v6
                                        ; implicit-def: $vgpr5
	s_and_saveexec_b64 s[42:43], vcc
	s_xor_b64 s[42:43], exec, s[42:43]
; %bb.1395:
	v_bfe_u32 v5, v4, 21, 1
	s_mov_b32 s44, 0x80fffff
	v_add3_u32 v5, v4, v5, s44
	v_lshrrev_b32_e32 v5, 21, v5
; %bb.1396:
	s_andn2_saveexec_b64 s[42:43], s[42:43]
; %bb.1397:
	s_mov_b32 s44, 0x43000000
	v_add_f32_e64 v5, |v4|, s44
; %bb.1398:
	s_or_b64 exec, exec, s[42:43]
                                        ; implicit-def: $vgpr6
.LBB241_1399:
	s_andn2_saveexec_b64 s[40:41], s[40:41]
; %bb.1400:
	s_mov_b32 s42, 0x7f800000
	v_mov_b32_e32 v5, 0x7c
	v_mov_b32_e32 v7, 0x7f
	v_cmp_lt_u32_e32 vcc, s42, v6
	v_cndmask_b32_e32 v5, v5, v7, vcc
; %bb.1401:
	s_or_b64 exec, exec, s[40:41]
	v_lshrrev_b32_e32 v4, 24, v4
	s_movk_i32 s40, 0x80
	v_and_or_b32 v4, v4, s40, v5
	s_mov_b64 s[40:41], 0
	s_branch .LBB241_1407
.LBB241_1402:
	s_mov_b64 s[40:41], -1
                                        ; implicit-def: $vgpr4
	s_branch .LBB241_1421
.LBB241_1403:
	s_or_saveexec_b64 s[44:45], s[44:45]
	v_mov_b32_e32 v4, 0x7f800001
	s_xor_b64 exec, exec, s[44:45]
	s_cbranch_execz .LBB241_1370
.LBB241_1404:
	v_cmp_ne_u16_e32 vcc, 0, v5
	s_andn2_b64 s[42:43], s[42:43], exec
	s_and_b64 s[46:47], vcc, exec
	v_mov_b32_e32 v4, 0
	s_or_b64 s[42:43], s[42:43], s[46:47]
	s_or_b64 exec, exec, s[44:45]
	s_and_saveexec_b64 s[44:45], s[42:43]
	s_cbranch_execnz .LBB241_1371
	s_branch .LBB241_1372
.LBB241_1405:
	s_mov_b64 s[40:41], -1
                                        ; implicit-def: $vgpr4
	s_branch .LBB241_1418
.LBB241_1406:
	s_mov_b64 s[40:41], -1
                                        ; implicit-def: $vgpr4
.LBB241_1407:
	s_and_b64 vcc, exec, s[40:41]
	s_cbranch_vccz .LBB241_1417
; %bb.1408:
	global_load_ubyte v4, v[0:1], off
	s_mov_b32 s40, 0x7f800000
	s_brev_b32 s41, 1
	s_waitcnt vmcnt(0)
	v_lshlrev_b32_e32 v4, 24, v4
	v_and_b32_e32 v5, 0x7f000000, v4
	v_ffbh_u32_e32 v6, v5
	v_min_u32_e32 v6, 32, v6
	v_sub_u32_e64 v6, v6, 4 clamp
	v_lshlrev_b32_e32 v8, v6, v5
	v_lshlrev_b32_e32 v6, 23, v6
	v_lshrrev_b32_e32 v8, 4, v8
	v_add_u32_e32 v7, 0x1000000, v5
	v_sub_u32_e32 v6, v8, v6
	v_ashrrev_i32_e32 v7, 8, v7
	v_add_u32_e32 v6, 0x3c000000, v6
	v_and_or_b32 v6, v7, s40, v6
	v_cmp_ne_u32_e32 vcc, 0, v5
	v_cndmask_b32_e32 v7, 0, v6, vcc
	v_and_or_b32 v4, v4, s41, v7
	v_and_b32_e32 v6, 0x7fffffff, v4
	s_mov_b32 s40, 0x47800000
	v_cmp_gt_u32_e32 vcc, s40, v6
                                        ; implicit-def: $vgpr5
	s_and_saveexec_b64 s[40:41], vcc
	s_xor_b64 s[40:41], exec, s[40:41]
	s_cbranch_execz .LBB241_1414
; %bb.1409:
	s_mov_b32 s42, 0x387fffff
	v_cmp_lt_u32_e32 vcc, s42, v6
                                        ; implicit-def: $vgpr5
	s_and_saveexec_b64 s[42:43], vcc
	s_xor_b64 s[42:43], exec, s[42:43]
; %bb.1410:
	v_bfe_u32 v5, v7, 21, 1
	s_mov_b32 s44, 0x80fffff
	v_add3_u32 v5, v4, v5, s44
	v_lshrrev_b32_e32 v5, 21, v5
; %bb.1411:
	s_andn2_saveexec_b64 s[42:43], s[42:43]
; %bb.1412:
	s_mov_b32 s44, 0x43000000
	v_add_f32_e64 v5, |v4|, s44
; %bb.1413:
	s_or_b64 exec, exec, s[42:43]
                                        ; implicit-def: $vgpr6
.LBB241_1414:
	s_andn2_saveexec_b64 s[40:41], s[40:41]
; %bb.1415:
	s_mov_b32 s42, 0x7f800000
	v_mov_b32_e32 v5, 0x7c
	v_mov_b32_e32 v7, 0x7f
	v_cmp_lt_u32_e32 vcc, s42, v6
	v_cndmask_b32_e32 v5, v5, v7, vcc
; %bb.1416:
	s_or_b64 exec, exec, s[40:41]
	v_lshrrev_b32_e32 v4, 24, v4
	s_movk_i32 s40, 0x80
	v_and_or_b32 v4, v4, s40, v5
.LBB241_1417:
	s_mov_b64 s[40:41], 0
.LBB241_1418:
	s_andn2_b64 vcc, exec, s[40:41]
	s_cbranch_vccnz .LBB241_1420
; %bb.1419:
	global_load_ubyte v4, v[0:1], off
.LBB241_1420:
	s_mov_b64 s[40:41], 0
	s_mov_b64 s[42:43], -1
.LBB241_1421:
	s_andn2_b64 vcc, exec, s[40:41]
	s_mov_b64 s[40:41], 0
	s_cbranch_vccnz .LBB241_1440
; %bb.1422:
	s_cmp_gt_i32 s33, 14
	s_cbranch_scc0 .LBB241_1433
; %bb.1423:
	s_cmp_eq_u32 s33, 15
	s_cbranch_scc0 .LBB241_1436
; %bb.1424:
	global_load_ushort v4, v[0:1], off
	s_mov_b32 s38, 0x47800000
                                        ; implicit-def: $vgpr5
	s_waitcnt vmcnt(0)
	v_lshlrev_b32_e32 v6, 16, v4
	v_and_b32_e32 v7, 0x7fffffff, v6
	v_cmp_gt_u32_e32 vcc, s38, v7
	s_and_saveexec_b64 s[38:39], vcc
	s_xor_b64 s[38:39], exec, s[38:39]
	s_cbranch_execz .LBB241_1430
; %bb.1425:
	s_mov_b32 s40, 0x387fffff
	v_cmp_lt_u32_e32 vcc, s40, v7
                                        ; implicit-def: $vgpr5
	s_and_saveexec_b64 s[40:41], vcc
	s_xor_b64 s[40:41], exec, s[40:41]
; %bb.1426:
	v_bfe_u32 v5, v4, 5, 1
	s_mov_b32 s42, 0x80fffff
	v_add3_u32 v5, v6, v5, s42
	v_lshrrev_b32_e32 v5, 21, v5
                                        ; implicit-def: $vgpr6
; %bb.1427:
	s_andn2_saveexec_b64 s[40:41], s[40:41]
; %bb.1428:
	s_mov_b32 s42, 0x43000000
	v_add_f32_e64 v5, |v6|, s42
; %bb.1429:
	s_or_b64 exec, exec, s[40:41]
                                        ; implicit-def: $vgpr7
.LBB241_1430:
	s_andn2_saveexec_b64 s[38:39], s[38:39]
; %bb.1431:
	s_mov_b32 s40, 0x7f800000
	v_mov_b32_e32 v5, 0x7c
	v_mov_b32_e32 v6, 0x7f
	v_cmp_lt_u32_e32 vcc, s40, v7
	v_cndmask_b32_e32 v5, v5, v6, vcc
; %bb.1432:
	s_or_b64 exec, exec, s[38:39]
	v_lshrrev_b32_e32 v4, 8, v4
	s_movk_i32 s38, 0x80
	v_and_or_b32 v4, v4, s38, v5
	s_mov_b64 s[38:39], 0
	s_mov_b64 s[42:43], -1
	s_branch .LBB241_1437
.LBB241_1433:
	s_mov_b64 s[44:45], -1
                                        ; implicit-def: $vgpr4
	s_branch .LBB241_1438
.LBB241_1434:
	s_or_saveexec_b64 s[42:43], s[42:43]
	v_mov_b32_e32 v4, 0x7f800001
	s_xor_b64 exec, exec, s[42:43]
	s_cbranch_execz .LBB241_1391
.LBB241_1435:
	v_cmp_ne_u16_e32 vcc, 0, v5
	s_andn2_b64 s[40:41], s[40:41], exec
	s_and_b64 s[44:45], vcc, exec
	v_mov_b32_e32 v4, 0
	s_or_b64 s[40:41], s[40:41], s[44:45]
	s_or_b64 exec, exec, s[42:43]
	s_and_saveexec_b64 s[42:43], s[40:41]
	s_cbranch_execnz .LBB241_1392
	s_branch .LBB241_1393
.LBB241_1436:
	s_mov_b64 s[38:39], -1
                                        ; implicit-def: $vgpr4
.LBB241_1437:
	s_mov_b64 s[44:45], 0
.LBB241_1438:
	s_mov_b64 s[40:41], 0
	s_and_b64 vcc, exec, s[44:45]
	s_cbranch_vccz .LBB241_1440
; %bb.1439:
	s_cmp_lg_u32 s33, 11
	s_cselect_b64 s[44:45], -1, 0
	s_andn2_b64 s[38:39], s[38:39], exec
	s_and_b64 s[44:45], s[44:45], exec
	s_mov_b64 s[40:41], -1
	s_or_b64 s[38:39], s[38:39], s[44:45]
.LBB241_1440:
	s_mov_b64 s[44:45], 0
.LBB241_1441:
	s_and_b64 s[46:47], s[44:45], exec
	s_andn2_b64 s[44:45], s[2:3], exec
	s_and_b64 s[38:39], s[38:39], exec
	s_and_b64 s[42:43], s[42:43], exec
	;; [unrolled: 1-line block ×3, first 2 shown]
	s_or_b64 s[44:45], s[44:45], s[38:39]
.LBB241_1442:
	s_or_b64 exec, exec, s[36:37]
	s_and_b64 s[38:39], s[40:41], exec
	s_andn2_b64 s[2:3], s[2:3], exec
	s_and_b64 s[40:41], s[44:45], exec
	s_and_b64 s[42:43], s[42:43], exec
	;; [unrolled: 1-line block ×3, first 2 shown]
	s_or_b64 s[2:3], s[2:3], s[40:41]
.LBB241_1443:
	s_or_b64 exec, exec, s[34:35]
	s_andn2_b64 s[28:29], s[28:29], exec
	s_and_b64 s[4:5], s[4:5], exec
	s_andn2_b64 s[26:27], s[26:27], exec
	s_and_b64 s[2:3], s[2:3], exec
	s_or_b64 s[28:29], s[28:29], s[4:5]
	s_and_b64 s[4:5], s[42:43], exec
	s_and_b64 s[36:37], s[36:37], exec
	;; [unrolled: 1-line block ×3, first 2 shown]
	s_or_b64 s[26:27], s[26:27], s[2:3]
.LBB241_1444:
	s_or_b64 exec, exec, s[30:31]
	s_andn2_b64 s[2:3], s[20:21], exec
	s_and_b64 s[20:21], s[28:29], exec
	s_or_b64 s[20:21], s[2:3], s[20:21]
	s_andn2_b64 s[2:3], s[22:23], exec
	s_and_b64 s[22:23], s[26:27], exec
	s_and_b64 s[4:5], s[4:5], exec
	;; [unrolled: 1-line block ×4, first 2 shown]
	s_or_b64 s[22:23], s[2:3], s[22:23]
	s_or_b64 exec, exec, s[24:25]
	s_mov_b64 s[2:3], 0
	s_and_saveexec_b64 s[24:25], s[22:23]
	s_cbranch_execz .LBB241_438
.LBB241_1445:
	s_mov_b64 s[2:3], exec
	s_andn2_b64 s[28:29], s[28:29], exec
	s_trap 2
	s_or_b64 exec, exec, s[24:25]
	s_and_saveexec_b64 s[22:23], s[28:29]
	s_cbranch_execnz .LBB241_439
.LBB241_1446:
	s_or_b64 exec, exec, s[22:23]
	s_and_saveexec_b64 s[22:23], s[30:31]
	s_cbranch_execz .LBB241_1580
.LBB241_1447:
	s_sext_i32_i16 s24, s15
	s_cmp_lt_i32 s24, 5
	s_cbranch_scc1 .LBB241_1460
; %bb.1448:
	s_cmp_lt_i32 s24, 8
	s_cbranch_scc1 .LBB241_1461
; %bb.1449:
	;; [unrolled: 3-line block ×3, first 2 shown]
	s_cmp_gt_i32 s24, 9
	s_cbranch_scc0 .LBB241_1463
; %bb.1451:
	global_load_dwordx2 v[4:5], v[0:1], off
	s_mov_b32 s24, 0x47800000
	s_waitcnt vmcnt(0)
	v_cvt_f32_f64_e32 v4, v[4:5]
                                        ; implicit-def: $vgpr5
	v_and_b32_e32 v6, 0x7fffffff, v4
	v_cmp_gt_u32_e32 vcc, s24, v6
	s_and_saveexec_b64 s[24:25], vcc
	s_xor_b64 s[24:25], exec, s[24:25]
	s_cbranch_execz .LBB241_1457
; %bb.1452:
	s_mov_b32 s26, 0x387fffff
	v_cmp_lt_u32_e32 vcc, s26, v6
                                        ; implicit-def: $vgpr5
	s_and_saveexec_b64 s[26:27], vcc
	s_xor_b64 s[26:27], exec, s[26:27]
; %bb.1453:
	v_bfe_u32 v5, v4, 21, 1
	s_mov_b32 s28, 0x80fffff
	v_add3_u32 v5, v4, v5, s28
	v_lshrrev_b32_e32 v5, 21, v5
; %bb.1454:
	s_andn2_saveexec_b64 s[26:27], s[26:27]
; %bb.1455:
	s_mov_b32 s28, 0x43000000
	v_add_f32_e64 v5, |v4|, s28
; %bb.1456:
	s_or_b64 exec, exec, s[26:27]
                                        ; implicit-def: $vgpr6
.LBB241_1457:
	s_andn2_saveexec_b64 s[24:25], s[24:25]
; %bb.1458:
	s_mov_b32 s26, 0x7f800000
	v_mov_b32_e32 v5, 0x7c
	v_mov_b32_e32 v7, 0x7f
	v_cmp_lt_u32_e32 vcc, s26, v6
	v_cndmask_b32_e32 v5, v5, v7, vcc
; %bb.1459:
	s_or_b64 exec, exec, s[24:25]
	v_lshrrev_b32_e32 v4, 24, v4
	s_movk_i32 s24, 0x80
	v_and_or_b32 v4, v4, s24, v5
	s_mov_b64 s[24:25], 0
	s_branch .LBB241_1464
.LBB241_1460:
                                        ; implicit-def: $vgpr4
	s_branch .LBB241_1521
.LBB241_1461:
                                        ; implicit-def: $vgpr4
	s_branch .LBB241_1486
.LBB241_1462:
	s_mov_b64 s[24:25], -1
                                        ; implicit-def: $vgpr4
	s_branch .LBB241_1475
.LBB241_1463:
	s_mov_b64 s[24:25], -1
                                        ; implicit-def: $vgpr4
.LBB241_1464:
	s_and_b64 vcc, exec, s[24:25]
	s_cbranch_vccz .LBB241_1474
; %bb.1465:
	global_load_dword v4, v[0:1], off
	s_mov_b32 s24, 0x47800000
                                        ; implicit-def: $vgpr5
	s_waitcnt vmcnt(0)
	v_and_b32_e32 v6, 0x7fffffff, v4
	v_cmp_gt_u32_e32 vcc, s24, v6
	s_and_saveexec_b64 s[24:25], vcc
	s_xor_b64 s[24:25], exec, s[24:25]
	s_cbranch_execz .LBB241_1471
; %bb.1466:
	s_mov_b32 s26, 0x387fffff
	v_cmp_lt_u32_e32 vcc, s26, v6
                                        ; implicit-def: $vgpr5
	s_and_saveexec_b64 s[26:27], vcc
	s_xor_b64 s[26:27], exec, s[26:27]
; %bb.1467:
	v_bfe_u32 v5, v4, 21, 1
	s_mov_b32 s28, 0x80fffff
	v_add3_u32 v5, v4, v5, s28
	v_lshrrev_b32_e32 v5, 21, v5
; %bb.1468:
	s_andn2_saveexec_b64 s[26:27], s[26:27]
; %bb.1469:
	s_mov_b32 s28, 0x43000000
	v_add_f32_e64 v5, |v4|, s28
; %bb.1470:
	s_or_b64 exec, exec, s[26:27]
                                        ; implicit-def: $vgpr6
.LBB241_1471:
	s_andn2_saveexec_b64 s[24:25], s[24:25]
; %bb.1472:
	s_mov_b32 s26, 0x7f800000
	v_mov_b32_e32 v5, 0x7c
	v_mov_b32_e32 v7, 0x7f
	v_cmp_lt_u32_e32 vcc, s26, v6
	v_cndmask_b32_e32 v5, v5, v7, vcc
; %bb.1473:
	s_or_b64 exec, exec, s[24:25]
	v_lshrrev_b32_e32 v4, 24, v4
	s_movk_i32 s24, 0x80
	v_and_or_b32 v4, v4, s24, v5
.LBB241_1474:
	s_mov_b64 s[24:25], 0
.LBB241_1475:
	s_andn2_b64 vcc, exec, s[24:25]
	s_cbranch_vccnz .LBB241_1485
; %bb.1476:
	global_load_dword v4, v[0:1], off
	s_mov_b32 s24, 0x47800000
                                        ; implicit-def: $vgpr5
	s_waitcnt vmcnt(0)
	v_cvt_f32_f16_e32 v4, v4
	v_and_b32_e32 v6, 0x7fffffff, v4
	v_cmp_gt_u32_e32 vcc, s24, v6
	s_and_saveexec_b64 s[24:25], vcc
	s_xor_b64 s[24:25], exec, s[24:25]
	s_cbranch_execz .LBB241_1482
; %bb.1477:
	s_mov_b32 s26, 0x387fffff
	v_cmp_lt_u32_e32 vcc, s26, v6
                                        ; implicit-def: $vgpr5
	s_and_saveexec_b64 s[26:27], vcc
	s_xor_b64 s[26:27], exec, s[26:27]
; %bb.1478:
	v_bfe_u32 v5, v4, 21, 1
	s_mov_b32 s28, 0x80fffff
	v_add3_u32 v5, v4, v5, s28
	v_lshrrev_b32_e32 v5, 21, v5
; %bb.1479:
	s_andn2_saveexec_b64 s[26:27], s[26:27]
; %bb.1480:
	s_mov_b32 s28, 0x43000000
	v_add_f32_e64 v5, |v4|, s28
; %bb.1481:
	s_or_b64 exec, exec, s[26:27]
                                        ; implicit-def: $vgpr6
.LBB241_1482:
	s_andn2_saveexec_b64 s[24:25], s[24:25]
; %bb.1483:
	s_mov_b32 s26, 0x7f800000
	v_mov_b32_e32 v5, 0x7c
	v_mov_b32_e32 v7, 0x7f
	v_cmp_lt_u32_e32 vcc, s26, v6
	v_cndmask_b32_e32 v5, v5, v7, vcc
; %bb.1484:
	s_or_b64 exec, exec, s[24:25]
	v_lshrrev_b32_e32 v4, 24, v4
	s_movk_i32 s24, 0x80
	v_and_or_b32 v4, v4, s24, v5
.LBB241_1485:
	s_cbranch_execnz .LBB241_1520
.LBB241_1486:
	s_sext_i32_i16 s24, s15
	s_cmp_lt_i32 s24, 6
	s_cbranch_scc1 .LBB241_1497
; %bb.1487:
	s_cmp_gt_i32 s24, 6
	s_cbranch_scc0 .LBB241_1498
; %bb.1488:
	global_load_dwordx2 v[4:5], v[0:1], off
	s_mov_b32 s24, 0x47800000
	s_waitcnt vmcnt(0)
	v_cvt_f32_f64_e32 v4, v[4:5]
                                        ; implicit-def: $vgpr5
	v_and_b32_e32 v6, 0x7fffffff, v4
	v_cmp_gt_u32_e32 vcc, s24, v6
	s_and_saveexec_b64 s[24:25], vcc
	s_xor_b64 s[24:25], exec, s[24:25]
	s_cbranch_execz .LBB241_1494
; %bb.1489:
	s_mov_b32 s26, 0x387fffff
	v_cmp_lt_u32_e32 vcc, s26, v6
                                        ; implicit-def: $vgpr5
	s_and_saveexec_b64 s[26:27], vcc
	s_xor_b64 s[26:27], exec, s[26:27]
; %bb.1490:
	v_bfe_u32 v5, v4, 21, 1
	s_mov_b32 s28, 0x80fffff
	v_add3_u32 v5, v4, v5, s28
	v_lshrrev_b32_e32 v5, 21, v5
; %bb.1491:
	s_andn2_saveexec_b64 s[26:27], s[26:27]
; %bb.1492:
	s_mov_b32 s28, 0x43000000
	v_add_f32_e64 v5, |v4|, s28
; %bb.1493:
	s_or_b64 exec, exec, s[26:27]
                                        ; implicit-def: $vgpr6
.LBB241_1494:
	s_andn2_saveexec_b64 s[24:25], s[24:25]
; %bb.1495:
	s_mov_b32 s26, 0x7f800000
	v_mov_b32_e32 v5, 0x7c
	v_mov_b32_e32 v7, 0x7f
	v_cmp_lt_u32_e32 vcc, s26, v6
	v_cndmask_b32_e32 v5, v5, v7, vcc
; %bb.1496:
	s_or_b64 exec, exec, s[24:25]
	v_lshrrev_b32_e32 v4, 24, v4
	s_movk_i32 s24, 0x80
	v_and_or_b32 v4, v4, s24, v5
	s_mov_b64 s[24:25], 0
	s_branch .LBB241_1499
.LBB241_1497:
	s_mov_b64 s[24:25], -1
                                        ; implicit-def: $vgpr4
	s_branch .LBB241_1510
.LBB241_1498:
	s_mov_b64 s[24:25], -1
                                        ; implicit-def: $vgpr4
.LBB241_1499:
	s_and_b64 vcc, exec, s[24:25]
	s_cbranch_vccz .LBB241_1509
; %bb.1500:
	global_load_dword v4, v[0:1], off
	s_mov_b32 s24, 0x47800000
                                        ; implicit-def: $vgpr5
	s_waitcnt vmcnt(0)
	v_and_b32_e32 v6, 0x7fffffff, v4
	v_cmp_gt_u32_e32 vcc, s24, v6
	s_and_saveexec_b64 s[24:25], vcc
	s_xor_b64 s[24:25], exec, s[24:25]
	s_cbranch_execz .LBB241_1506
; %bb.1501:
	s_mov_b32 s26, 0x387fffff
	v_cmp_lt_u32_e32 vcc, s26, v6
                                        ; implicit-def: $vgpr5
	s_and_saveexec_b64 s[26:27], vcc
	s_xor_b64 s[26:27], exec, s[26:27]
; %bb.1502:
	v_bfe_u32 v5, v4, 21, 1
	s_mov_b32 s28, 0x80fffff
	v_add3_u32 v5, v4, v5, s28
	v_lshrrev_b32_e32 v5, 21, v5
; %bb.1503:
	s_andn2_saveexec_b64 s[26:27], s[26:27]
; %bb.1504:
	s_mov_b32 s28, 0x43000000
	v_add_f32_e64 v5, |v4|, s28
; %bb.1505:
	s_or_b64 exec, exec, s[26:27]
                                        ; implicit-def: $vgpr6
.LBB241_1506:
	s_andn2_saveexec_b64 s[24:25], s[24:25]
; %bb.1507:
	s_mov_b32 s26, 0x7f800000
	v_mov_b32_e32 v5, 0x7c
	v_mov_b32_e32 v7, 0x7f
	v_cmp_lt_u32_e32 vcc, s26, v6
	v_cndmask_b32_e32 v5, v5, v7, vcc
; %bb.1508:
	s_or_b64 exec, exec, s[24:25]
	v_lshrrev_b32_e32 v4, 24, v4
	s_movk_i32 s24, 0x80
	v_and_or_b32 v4, v4, s24, v5
.LBB241_1509:
	s_mov_b64 s[24:25], 0
.LBB241_1510:
	s_andn2_b64 vcc, exec, s[24:25]
	s_cbranch_vccnz .LBB241_1520
; %bb.1511:
	global_load_ushort v4, v[0:1], off
	s_mov_b32 s24, 0x47800000
                                        ; implicit-def: $vgpr5
	s_waitcnt vmcnt(0)
	v_cvt_f32_f16_e32 v4, v4
	v_and_b32_e32 v6, 0x7fffffff, v4
	v_cmp_gt_u32_e32 vcc, s24, v6
	s_and_saveexec_b64 s[24:25], vcc
	s_xor_b64 s[24:25], exec, s[24:25]
	s_cbranch_execz .LBB241_1517
; %bb.1512:
	s_mov_b32 s26, 0x387fffff
	v_cmp_lt_u32_e32 vcc, s26, v6
                                        ; implicit-def: $vgpr5
	s_and_saveexec_b64 s[26:27], vcc
	s_xor_b64 s[26:27], exec, s[26:27]
; %bb.1513:
	v_bfe_u32 v5, v4, 21, 1
	s_mov_b32 s28, 0x80fffff
	v_add3_u32 v5, v4, v5, s28
	v_lshrrev_b32_e32 v5, 21, v5
; %bb.1514:
	s_andn2_saveexec_b64 s[26:27], s[26:27]
; %bb.1515:
	s_mov_b32 s28, 0x43000000
	v_add_f32_e64 v5, |v4|, s28
; %bb.1516:
	s_or_b64 exec, exec, s[26:27]
                                        ; implicit-def: $vgpr6
.LBB241_1517:
	s_andn2_saveexec_b64 s[24:25], s[24:25]
; %bb.1518:
	s_mov_b32 s26, 0x7f800000
	v_mov_b32_e32 v5, 0x7c
	v_mov_b32_e32 v7, 0x7f
	v_cmp_lt_u32_e32 vcc, s26, v6
	v_cndmask_b32_e32 v5, v5, v7, vcc
; %bb.1519:
	s_or_b64 exec, exec, s[24:25]
	v_lshrrev_b32_e32 v4, 24, v4
	s_movk_i32 s24, 0x80
	v_and_or_b32 v4, v4, s24, v5
.LBB241_1520:
	s_cbranch_execnz .LBB241_1579
.LBB241_1521:
	s_sext_i32_i16 s24, s15
	s_cmp_lt_i32 s24, 2
	s_cbranch_scc1 .LBB241_1533
; %bb.1522:
	s_cmp_lt_i32 s24, 3
	s_cbranch_scc1 .LBB241_1534
; %bb.1523:
	s_cmp_gt_i32 s24, 3
	s_cbranch_scc0 .LBB241_1535
; %bb.1524:
	global_load_dwordx2 v[4:5], v[0:1], off
	s_mov_b32 s24, 0x47800000
	s_waitcnt vmcnt(0)
	v_xor_b32_e32 v7, v4, v5
	v_ffbh_i32_e32 v6, v5
	v_ashrrev_i32_e32 v7, 31, v7
	v_add_u32_e32 v6, -1, v6
	v_add_u32_e32 v7, 32, v7
	v_min_u32_e32 v6, v6, v7
	v_lshlrev_b64 v[4:5], v6, v[4:5]
	v_min_u32_e32 v4, 1, v4
	v_or_b32_e32 v4, v5, v4
	v_cvt_f32_i32_e32 v4, v4
	v_sub_u32_e32 v5, 32, v6
	v_ldexp_f32 v4, v4, v5
	v_and_b32_e32 v6, 0x7fffffff, v4
	v_cmp_gt_u32_e32 vcc, s24, v6
                                        ; implicit-def: $vgpr5
	s_and_saveexec_b64 s[24:25], vcc
	s_xor_b64 s[24:25], exec, s[24:25]
	s_cbranch_execz .LBB241_1530
; %bb.1525:
	s_mov_b32 s26, 0x387fffff
	v_cmp_lt_u32_e32 vcc, s26, v6
                                        ; implicit-def: $vgpr5
	s_and_saveexec_b64 s[26:27], vcc
	s_xor_b64 s[26:27], exec, s[26:27]
; %bb.1526:
	v_bfe_u32 v5, v4, 21, 1
	s_mov_b32 s28, 0x80fffff
	v_add3_u32 v5, v4, v5, s28
	v_lshrrev_b32_e32 v5, 21, v5
; %bb.1527:
	s_andn2_saveexec_b64 s[26:27], s[26:27]
; %bb.1528:
	s_mov_b32 s28, 0x43000000
	v_add_f32_e64 v5, |v4|, s28
; %bb.1529:
	s_or_b64 exec, exec, s[26:27]
                                        ; implicit-def: $vgpr6
.LBB241_1530:
	s_andn2_saveexec_b64 s[24:25], s[24:25]
; %bb.1531:
	s_mov_b32 s26, 0x7f800000
	v_mov_b32_e32 v5, 0x7c
	v_mov_b32_e32 v7, 0x7f
	v_cmp_lt_u32_e32 vcc, s26, v6
	v_cndmask_b32_e32 v5, v5, v7, vcc
; %bb.1532:
	s_or_b64 exec, exec, s[24:25]
	v_lshrrev_b32_e32 v4, 24, v4
	s_movk_i32 s24, 0x80
	v_and_or_b32 v4, v4, s24, v5
	s_mov_b64 s[24:25], 0
	s_branch .LBB241_1536
.LBB241_1533:
                                        ; implicit-def: $vgpr4
	s_branch .LBB241_1558
.LBB241_1534:
	s_mov_b64 s[24:25], -1
                                        ; implicit-def: $vgpr4
	s_branch .LBB241_1547
.LBB241_1535:
	s_mov_b64 s[24:25], -1
                                        ; implicit-def: $vgpr4
.LBB241_1536:
	s_and_b64 vcc, exec, s[24:25]
	s_cbranch_vccz .LBB241_1546
; %bb.1537:
	global_load_dword v4, v[0:1], off
	s_mov_b32 s24, 0x47800000
                                        ; implicit-def: $vgpr5
	s_waitcnt vmcnt(0)
	v_cvt_f32_i32_e32 v4, v4
	v_and_b32_e32 v6, 0x7fffffff, v4
	v_cmp_gt_u32_e32 vcc, s24, v6
	s_and_saveexec_b64 s[24:25], vcc
	s_xor_b64 s[24:25], exec, s[24:25]
	s_cbranch_execz .LBB241_1543
; %bb.1538:
	s_mov_b32 s26, 0x387fffff
	v_cmp_lt_u32_e32 vcc, s26, v6
                                        ; implicit-def: $vgpr5
	s_and_saveexec_b64 s[26:27], vcc
	s_xor_b64 s[26:27], exec, s[26:27]
; %bb.1539:
	v_bfe_u32 v5, v4, 21, 1
	s_mov_b32 s28, 0x80fffff
	v_add3_u32 v5, v4, v5, s28
	v_lshrrev_b32_e32 v5, 21, v5
; %bb.1540:
	s_andn2_saveexec_b64 s[26:27], s[26:27]
; %bb.1541:
	s_mov_b32 s28, 0x43000000
	v_add_f32_e64 v5, |v4|, s28
; %bb.1542:
	s_or_b64 exec, exec, s[26:27]
                                        ; implicit-def: $vgpr6
.LBB241_1543:
	s_andn2_saveexec_b64 s[24:25], s[24:25]
; %bb.1544:
	s_mov_b32 s26, 0x7f800000
	v_mov_b32_e32 v5, 0x7c
	v_mov_b32_e32 v7, 0x7f
	v_cmp_lt_u32_e32 vcc, s26, v6
	v_cndmask_b32_e32 v5, v5, v7, vcc
; %bb.1545:
	s_or_b64 exec, exec, s[24:25]
	v_lshrrev_b32_e32 v4, 24, v4
	s_movk_i32 s24, 0x80
	v_and_or_b32 v4, v4, s24, v5
.LBB241_1546:
	s_mov_b64 s[24:25], 0
.LBB241_1547:
	s_andn2_b64 vcc, exec, s[24:25]
	s_cbranch_vccnz .LBB241_1557
; %bb.1548:
	global_load_sshort v4, v[0:1], off
	s_mov_b32 s24, 0x47800000
                                        ; implicit-def: $vgpr5
	s_waitcnt vmcnt(0)
	v_cvt_f32_i32_e32 v4, v4
	v_and_b32_e32 v6, 0x7fffffff, v4
	v_cmp_gt_u32_e32 vcc, s24, v6
	s_and_saveexec_b64 s[24:25], vcc
	s_xor_b64 s[24:25], exec, s[24:25]
	s_cbranch_execz .LBB241_1554
; %bb.1549:
	s_mov_b32 s26, 0x387fffff
	v_cmp_lt_u32_e32 vcc, s26, v6
                                        ; implicit-def: $vgpr5
	s_and_saveexec_b64 s[26:27], vcc
	s_xor_b64 s[26:27], exec, s[26:27]
; %bb.1550:
	v_bfe_u32 v5, v4, 21, 1
	s_mov_b32 s28, 0x80fffff
	v_add3_u32 v5, v4, v5, s28
	v_lshrrev_b32_e32 v5, 21, v5
; %bb.1551:
	s_andn2_saveexec_b64 s[26:27], s[26:27]
; %bb.1552:
	s_mov_b32 s28, 0x43000000
	v_add_f32_e64 v5, |v4|, s28
; %bb.1553:
	s_or_b64 exec, exec, s[26:27]
                                        ; implicit-def: $vgpr6
.LBB241_1554:
	s_andn2_saveexec_b64 s[24:25], s[24:25]
; %bb.1555:
	s_mov_b32 s26, 0x7f800000
	v_mov_b32_e32 v5, 0x7c
	v_mov_b32_e32 v7, 0x7f
	v_cmp_lt_u32_e32 vcc, s26, v6
	v_cndmask_b32_e32 v5, v5, v7, vcc
; %bb.1556:
	s_or_b64 exec, exec, s[24:25]
	v_lshrrev_b32_e32 v4, 24, v4
	s_movk_i32 s24, 0x80
	v_and_or_b32 v4, v4, s24, v5
.LBB241_1557:
	s_cbranch_execnz .LBB241_1579
.LBB241_1558:
	s_sext_i32_i16 s24, s15
	s_cmp_gt_i32 s24, 0
	s_cbranch_scc0 .LBB241_1568
; %bb.1559:
	global_load_sbyte v4, v[0:1], off
	s_mov_b32 s24, 0x47800000
                                        ; implicit-def: $vgpr5
	s_waitcnt vmcnt(0)
	v_cvt_f32_i32_e32 v4, v4
	v_and_b32_e32 v6, 0x7fffffff, v4
	v_cmp_gt_u32_e32 vcc, s24, v6
	s_and_saveexec_b64 s[24:25], vcc
	s_xor_b64 s[24:25], exec, s[24:25]
	s_cbranch_execz .LBB241_1565
; %bb.1560:
	s_mov_b32 s26, 0x387fffff
	v_cmp_lt_u32_e32 vcc, s26, v6
                                        ; implicit-def: $vgpr5
	s_and_saveexec_b64 s[26:27], vcc
	s_xor_b64 s[26:27], exec, s[26:27]
; %bb.1561:
	v_bfe_u32 v5, v4, 21, 1
	s_mov_b32 s28, 0x80fffff
	v_add3_u32 v5, v4, v5, s28
	v_lshrrev_b32_e32 v5, 21, v5
; %bb.1562:
	s_andn2_saveexec_b64 s[26:27], s[26:27]
; %bb.1563:
	s_mov_b32 s28, 0x43000000
	v_add_f32_e64 v5, |v4|, s28
; %bb.1564:
	s_or_b64 exec, exec, s[26:27]
                                        ; implicit-def: $vgpr6
.LBB241_1565:
	s_andn2_saveexec_b64 s[24:25], s[24:25]
; %bb.1566:
	s_mov_b32 s26, 0x7f800000
	v_mov_b32_e32 v5, 0x7c
	v_mov_b32_e32 v7, 0x7f
	v_cmp_lt_u32_e32 vcc, s26, v6
	v_cndmask_b32_e32 v5, v5, v7, vcc
; %bb.1567:
	s_or_b64 exec, exec, s[24:25]
	v_lshrrev_b32_e32 v4, 24, v4
	s_movk_i32 s24, 0x80
	v_and_or_b32 v4, v4, s24, v5
	s_mov_b64 s[24:25], 0
	s_branch .LBB241_1569
.LBB241_1568:
	s_mov_b64 s[24:25], -1
                                        ; implicit-def: $vgpr4
.LBB241_1569:
	s_and_b64 vcc, exec, s[24:25]
	s_cbranch_vccz .LBB241_1579
; %bb.1570:
	global_load_ubyte v0, v[0:1], off
	s_mov_b32 s24, 0x47800000
                                        ; implicit-def: $vgpr4
	s_waitcnt vmcnt(0)
	v_cvt_f32_ubyte0_e32 v0, v0
	v_cmp_gt_u32_e32 vcc, s24, v0
	s_and_saveexec_b64 s[24:25], vcc
	s_xor_b64 s[24:25], exec, s[24:25]
	s_cbranch_execz .LBB241_1576
; %bb.1571:
	s_mov_b32 s26, 0x387fffff
	v_cmp_lt_u32_e32 vcc, s26, v0
                                        ; implicit-def: $vgpr4
	s_and_saveexec_b64 s[26:27], vcc
	s_xor_b64 s[26:27], exec, s[26:27]
; %bb.1572:
	v_bfe_u32 v1, v0, 21, 1
	s_mov_b32 s28, 0x80fffff
	v_add3_u32 v0, v0, v1, s28
	v_lshrrev_b32_e32 v4, 21, v0
                                        ; implicit-def: $vgpr0
; %bb.1573:
	s_andn2_saveexec_b64 s[26:27], s[26:27]
; %bb.1574:
	v_add_f32_e32 v4, 0x43000000, v0
; %bb.1575:
	s_or_b64 exec, exec, s[26:27]
                                        ; implicit-def: $vgpr0
.LBB241_1576:
	s_andn2_saveexec_b64 s[24:25], s[24:25]
; %bb.1577:
	s_mov_b32 s26, 0x7f800000
	v_mov_b32_e32 v1, 0x7c
	v_mov_b32_e32 v4, 0x7f
	v_cmp_lt_u32_e32 vcc, s26, v0
	v_cndmask_b32_e32 v4, v1, v4, vcc
; %bb.1578:
	s_or_b64 exec, exec, s[24:25]
.LBB241_1579:
	s_or_b64 s[4:5], s[4:5], exec
.LBB241_1580:
	s_or_b64 exec, exec, s[22:23]
	s_mov_b64 s[28:29], 0
	s_mov_b64 s[26:27], 0
                                        ; implicit-def: $sgpr22_sgpr23
                                        ; implicit-def: $sgpr33
                                        ; implicit-def: $vgpr0_vgpr1
	s_and_saveexec_b64 s[24:25], s[4:5]
	s_cbranch_execz .LBB241_1655
; %bb.1581:
	s_waitcnt vmcnt(0)
	v_lshlrev_b32_e32 v1, 25, v4
	v_lshlrev_b16_e32 v0, 8, v4
	v_lshrrev_b32_e32 v4, 4, v1
	s_movk_i32 s4, 0x7f00
	v_or_b32_e32 v4, 0x70000000, v4
	v_and_or_b32 v5, v0, s4, 0.5
	s_brev_b32 s4, 16
	v_add_f32_e32 v5, -0.5, v5
	v_mul_f32_e32 v4, 0x7800000, v4
	v_cmp_gt_u32_e32 vcc, s4, v1
	v_cndmask_b32_e32 v1, v4, v5, vcc
	v_bfe_i32 v0, v0, 0, 16
	s_brev_b32 s4, 1
	v_and_or_b32 v0, v0, s4, v1
	v_cmp_eq_f32_e32 vcc, v3, v0
	v_cndmask_b32_e64 v1, 0, 1, vcc
	v_cmp_neq_f32_e32 vcc, v3, v0
	v_mul_lo_u32 v2, v2, s12
	v_cndmask_b32_e64 v0, 0, 1, vcc
	v_cndmask_b32_e64 v0, v0, v1, s[0:1]
	v_and_b32_e32 v0, 1, v0
	v_cmp_eq_u32_e64 s[22:23], 1, v0
	v_ashrrev_i32_e32 v1, 31, v2
	v_mov_b32_e32 v3, s9
	s_and_b32 s33, s17, 0xff
	v_add_co_u32_e32 v0, vcc, s8, v2
	s_cmp_lt_i32 s33, 11
	v_addc_co_u32_e32 v1, vcc, v3, v1, vcc
	s_cbranch_scc1 .LBB241_1658
; %bb.1582:
	s_and_b32 s34, 0xffff, s33
	s_mov_b64 s[26:27], -1
	s_cmp_gt_i32 s34, 25
	s_mov_b64 s[0:1], s[20:21]
	s_cbranch_scc0 .LBB241_1615
; %bb.1583:
	s_mov_b64 s[4:5], -1
	s_cmp_gt_i32 s34, 28
	s_mov_b64 s[0:1], s[20:21]
	s_cbranch_scc0 .LBB241_1599
; %bb.1584:
	s_cmp_gt_i32 s34, 43
	s_mov_b64 s[0:1], s[20:21]
	s_cbranch_scc0 .LBB241_1595
; %bb.1585:
	;; [unrolled: 4-line block ×3, first 2 shown]
	s_cmp_eq_u32 s34, 46
	s_mov_b64 s[0:1], -1
	s_cbranch_scc0 .LBB241_1588
; %bb.1587:
	v_cndmask_b32_e64 v2, 0, 1.0, s[22:23]
	v_bfe_u32 v3, v2, 16, 1
	s_movk_i32 s0, 0x7fff
	v_add3_u32 v2, v2, v3, s0
	v_lshrrev_b32_e32 v2, 16, v2
	global_store_dword v[0:1], v2, off
	s_mov_b64 s[0:1], 0
.LBB241_1588:
	s_mov_b64 s[4:5], 0
.LBB241_1589:
	s_and_b64 vcc, exec, s[4:5]
	s_cbranch_vccz .LBB241_1594
; %bb.1590:
	s_cmp_eq_u32 s34, 44
	s_mov_b64 s[0:1], -1
	s_cbranch_scc0 .LBB241_1594
; %bb.1591:
	v_cndmask_b32_e64 v3, 0, 1.0, s[22:23]
	v_lshrrev_b32_e32 v2, 23, v3
	s_movk_i32 s0, 0xff
	v_cmp_ne_u32_e32 vcc, s0, v2
	v_mov_b32_e32 v4, 0xff
	s_and_saveexec_b64 s[4:5], vcc
; %bb.1592:
	s_mov_b32 s0, 0x3fffff
	v_and_b32_e32 v4, 0x400000, v3
	v_and_or_b32 v3, v3, s0, v2
	v_cmp_ne_u32_e32 vcc, 0, v4
	v_cmp_ne_u32_e64 s[0:1], 0, v3
	s_and_b64 s[0:1], vcc, s[0:1]
	v_cndmask_b32_e64 v3, 0, 1, s[0:1]
	v_add_u32_e32 v4, v2, v3
; %bb.1593:
	s_or_b64 exec, exec, s[4:5]
	s_mov_b64 s[0:1], 0
	global_store_byte v[0:1], v4, off
.LBB241_1594:
	s_mov_b64 s[4:5], 0
.LBB241_1595:
	s_and_b64 vcc, exec, s[4:5]
	s_cbranch_vccz .LBB241_1598
; %bb.1596:
	s_cmp_eq_u32 s34, 29
	s_mov_b64 s[0:1], -1
	s_cbranch_scc0 .LBB241_1598
; %bb.1597:
	s_mov_b32 s0, 0
	v_cndmask_b32_e64 v2, 0, 1, s[22:23]
	v_mov_b32_e32 v3, s0
	global_store_dwordx2 v[0:1], v[2:3], off
	s_mov_b64 s[0:1], 0
.LBB241_1598:
	s_mov_b64 s[4:5], 0
.LBB241_1599:
	s_and_b64 vcc, exec, s[4:5]
	s_cbranch_vccz .LBB241_1614
; %bb.1600:
	s_cmp_lt_i32 s34, 27
	s_mov_b64 s[4:5], -1
	s_cbranch_scc1 .LBB241_1606
; %bb.1601:
	s_cmp_gt_i32 s34, 27
	v_cndmask_b32_e64 v2, 0, 1, s[22:23]
	s_cbranch_scc0 .LBB241_1603
; %bb.1602:
	s_mov_b64 s[4:5], 0
	global_store_dword v[0:1], v2, off
.LBB241_1603:
	s_andn2_b64 vcc, exec, s[4:5]
	s_cbranch_vccnz .LBB241_1605
; %bb.1604:
	global_store_short v[0:1], v2, off
.LBB241_1605:
	s_mov_b64 s[4:5], 0
.LBB241_1606:
	s_andn2_b64 vcc, exec, s[4:5]
	s_cbranch_vccnz .LBB241_1614
; %bb.1607:
	v_cndmask_b32_e64 v3, 0, 1.0, s[22:23]
	s_mov_b32 s4, 0x43800000
	v_cmp_gt_u32_e32 vcc, s4, v3
	v_mov_b32_e32 v4, 0x80
	s_and_saveexec_b64 s[4:5], vcc
	s_cbranch_execz .LBB241_1613
; %bb.1608:
	s_mov_b32 s26, 0x3bffffff
	v_cmp_lt_u32_e32 vcc, s26, v3
	s_mov_b64 s[26:27], 0
                                        ; implicit-def: $vgpr2
	s_and_saveexec_b64 s[28:29], vcc
	s_xor_b64 s[28:29], exec, s[28:29]
	s_cbranch_execz .LBB241_1723
; %bb.1609:
	v_bfe_u32 v2, v3, 20, 1
	s_mov_b32 s30, 0x487ffff
	v_add3_u32 v2, v3, v2, s30
	s_mov_b64 s[26:27], exec
	v_lshrrev_b32_e32 v2, 20, v2
                                        ; implicit-def: $vgpr3
	s_andn2_saveexec_b64 s[28:29], s[28:29]
	s_cbranch_execnz .LBB241_1724
.LBB241_1610:
	s_or_b64 exec, exec, s[28:29]
	v_mov_b32_e32 v4, 0
	s_and_saveexec_b64 s[28:29], s[26:27]
.LBB241_1611:
	v_mov_b32_e32 v4, v2
.LBB241_1612:
	s_or_b64 exec, exec, s[28:29]
.LBB241_1613:
	s_or_b64 exec, exec, s[4:5]
	global_store_byte v[0:1], v4, off
.LBB241_1614:
	s_mov_b64 s[26:27], 0
.LBB241_1615:
	s_mov_b64 s[4:5], 0
	s_and_b64 vcc, exec, s[26:27]
	s_cbranch_vccz .LBB241_1659
; %bb.1616:
	s_cmp_gt_i32 s34, 22
	s_mov_b64 s[26:27], -1
	s_cbranch_scc0 .LBB241_1648
; %bb.1617:
	s_cmp_lt_i32 s34, 24
	s_cbranch_scc1 .LBB241_1637
; %bb.1618:
	s_cmp_gt_i32 s34, 24
	s_cbranch_scc0 .LBB241_1626
; %bb.1619:
	v_cndmask_b32_e64 v3, 0, 1.0, s[22:23]
	s_mov_b32 s26, 0x47800000
	v_cmp_gt_u32_e32 vcc, s26, v3
	v_mov_b32_e32 v4, 0x80
	s_and_saveexec_b64 s[26:27], vcc
	s_cbranch_execz .LBB241_1625
; %bb.1620:
	s_mov_b32 s28, 0x37ffffff
	v_cmp_lt_u32_e32 vcc, s28, v3
	s_mov_b64 s[28:29], 0
                                        ; implicit-def: $vgpr2
	s_and_saveexec_b64 s[30:31], vcc
	s_xor_b64 s[30:31], exec, s[30:31]
	s_cbranch_execz .LBB241_2014
; %bb.1621:
	v_bfe_u32 v2, v3, 21, 1
	s_mov_b32 s35, 0x88fffff
	v_add3_u32 v2, v3, v2, s35
	s_mov_b64 s[28:29], exec
	v_lshrrev_b32_e32 v2, 21, v2
                                        ; implicit-def: $vgpr3
	s_andn2_saveexec_b64 s[30:31], s[30:31]
	s_cbranch_execnz .LBB241_2015
.LBB241_1622:
	s_or_b64 exec, exec, s[30:31]
	v_mov_b32_e32 v4, 0
	s_and_saveexec_b64 s[30:31], s[28:29]
.LBB241_1623:
	v_mov_b32_e32 v4, v2
.LBB241_1624:
	s_or_b64 exec, exec, s[30:31]
.LBB241_1625:
	s_or_b64 exec, exec, s[26:27]
	s_mov_b64 s[26:27], 0
	global_store_byte v[0:1], v4, off
.LBB241_1626:
	s_and_b64 vcc, exec, s[26:27]
	s_cbranch_vccz .LBB241_1636
; %bb.1627:
	v_cndmask_b32_e64 v2, 0, 1.0, s[22:23]
	s_mov_b32 s26, 0x43f00000
	v_cmp_gt_u32_e32 vcc, s26, v2
                                        ; implicit-def: $vgpr3
	s_and_saveexec_b64 s[26:27], vcc
	s_xor_b64 s[26:27], exec, s[26:27]
	s_cbranch_execz .LBB241_1633
; %bb.1628:
	s_mov_b32 s28, 0x3c7fffff
	v_cmp_lt_u32_e32 vcc, s28, v2
                                        ; implicit-def: $vgpr3
	s_and_saveexec_b64 s[28:29], vcc
	s_xor_b64 s[28:29], exec, s[28:29]
; %bb.1629:
	v_bfe_u32 v3, v2, 20, 1
	s_mov_b32 s30, 0x407ffff
	v_add3_u32 v2, v2, v3, s30
	v_lshrrev_b32_e32 v3, 20, v2
	v_and_b32_e32 v2, 0xff00000, v2
	s_mov_b32 s30, 0x7f00000
	v_mov_b32_e32 v4, 0x7e
	v_cmp_ne_u32_e32 vcc, s30, v2
	v_cndmask_b32_e32 v3, v4, v3, vcc
                                        ; implicit-def: $vgpr2
; %bb.1630:
	s_andn2_saveexec_b64 s[28:29], s[28:29]
; %bb.1631:
	v_add_f32_e32 v3, 0x46800000, v2
; %bb.1632:
	s_or_b64 exec, exec, s[28:29]
                                        ; implicit-def: $vgpr2
.LBB241_1633:
	s_andn2_saveexec_b64 s[26:27], s[26:27]
; %bb.1634:
	s_mov_b32 s28, 0x7f800000
	v_mov_b32_e32 v3, 0x7e
	v_mov_b32_e32 v4, 0x7f
	v_cmp_lt_u32_e32 vcc, s28, v2
	v_cndmask_b32_e32 v3, v3, v4, vcc
; %bb.1635:
	s_or_b64 exec, exec, s[26:27]
	global_store_byte v[0:1], v3, off
.LBB241_1636:
	s_mov_b64 s[26:27], 0
.LBB241_1637:
	s_andn2_b64 vcc, exec, s[26:27]
	s_cbranch_vccnz .LBB241_1647
; %bb.1638:
	v_cndmask_b32_e64 v2, 0, 1.0, s[22:23]
	s_mov_b32 s26, 0x47800000
	v_cmp_gt_u32_e32 vcc, s26, v2
                                        ; implicit-def: $vgpr3
	s_and_saveexec_b64 s[26:27], vcc
	s_xor_b64 s[26:27], exec, s[26:27]
	s_cbranch_execz .LBB241_1644
; %bb.1639:
	s_mov_b32 s28, 0x387fffff
	v_cmp_lt_u32_e32 vcc, s28, v2
                                        ; implicit-def: $vgpr3
	s_and_saveexec_b64 s[28:29], vcc
	s_xor_b64 s[28:29], exec, s[28:29]
; %bb.1640:
	v_bfe_u32 v3, v2, 21, 1
	s_mov_b32 s30, 0x80fffff
	v_add3_u32 v2, v2, v3, s30
	v_lshrrev_b32_e32 v3, 21, v2
                                        ; implicit-def: $vgpr2
; %bb.1641:
	s_andn2_saveexec_b64 s[28:29], s[28:29]
; %bb.1642:
	v_add_f32_e32 v3, 0x43000000, v2
; %bb.1643:
	s_or_b64 exec, exec, s[28:29]
                                        ; implicit-def: $vgpr2
.LBB241_1644:
	s_andn2_saveexec_b64 s[26:27], s[26:27]
; %bb.1645:
	s_mov_b32 s28, 0x7f800000
	v_mov_b32_e32 v3, 0x7c
	v_mov_b32_e32 v4, 0x7f
	v_cmp_lt_u32_e32 vcc, s28, v2
	v_cndmask_b32_e32 v3, v3, v4, vcc
; %bb.1646:
	s_or_b64 exec, exec, s[26:27]
	global_store_byte v[0:1], v3, off
.LBB241_1647:
	s_mov_b64 s[26:27], 0
.LBB241_1648:
	s_andn2_b64 vcc, exec, s[26:27]
	s_mov_b64 s[28:29], 0
	s_cbranch_vccnz .LBB241_1660
; %bb.1649:
	s_cmp_gt_i32 s34, 14
	s_mov_b64 s[26:27], -1
	s_cbranch_scc0 .LBB241_1653
; %bb.1650:
	s_cmp_eq_u32 s34, 15
	s_mov_b64 s[0:1], -1
	s_cbranch_scc0 .LBB241_1652
; %bb.1651:
	v_cndmask_b32_e64 v2, 0, 1.0, s[22:23]
	v_bfe_u32 v3, v2, 16, 1
	s_movk_i32 s0, 0x7fff
	v_add3_u32 v2, v2, v3, s0
	global_store_short_d16_hi v[0:1], v2, off
	s_mov_b64 s[0:1], 0
.LBB241_1652:
	s_mov_b64 s[26:27], 0
.LBB241_1653:
	s_and_b64 vcc, exec, s[26:27]
	s_cbranch_vccz .LBB241_1660
; %bb.1654:
	s_cmp_lg_u32 s34, 11
	s_cselect_b64 s[26:27], -1, 0
	s_andn2_b64 s[0:1], s[0:1], exec
	s_and_b64 s[26:27], s[26:27], exec
	s_mov_b64 s[28:29], -1
	s_or_b64 s[0:1], s[0:1], s[26:27]
	s_branch .LBB241_1660
.LBB241_1655:
	s_or_b64 exec, exec, s[24:25]
	s_and_saveexec_b64 s[0:1], s[20:21]
	s_cbranch_execnz .LBB241_1661
.LBB241_1656:
	s_or_b64 exec, exec, s[0:1]
	s_and_saveexec_b64 s[0:1], s[28:29]
	s_xor_b64 s[0:1], exec, s[0:1]
	s_cbranch_execz .LBB241_1662
.LBB241_1657:
	v_cndmask_b32_e64 v2, 0, 1, s[22:23]
	global_store_byte v[0:1], v2, off
	s_or_b64 exec, exec, s[0:1]
	s_and_saveexec_b64 s[0:1], s[26:27]
	s_xor_b64 s[0:1], exec, s[0:1]
	s_cbranch_execz .LBB241_1700
	s_branch .LBB241_1663
.LBB241_1658:
	s_mov_b64 s[4:5], -1
	s_mov_b64 s[0:1], s[20:21]
	s_branch .LBB241_1660
.LBB241_1659:
	s_mov_b64 s[28:29], 0
.LBB241_1660:
	s_and_b64 s[26:27], s[4:5], exec
	s_andn2_b64 s[4:5], s[20:21], exec
	s_and_b64 s[0:1], s[0:1], exec
	s_and_b64 s[28:29], s[28:29], exec
	s_or_b64 s[20:21], s[4:5], s[0:1]
	s_or_b64 exec, exec, s[24:25]
	s_and_saveexec_b64 s[0:1], s[20:21]
	s_cbranch_execz .LBB241_1656
.LBB241_1661:
	s_or_b64 s[2:3], s[2:3], exec
	s_andn2_b64 s[28:29], s[28:29], exec
	s_trap 2
	s_or_b64 exec, exec, s[0:1]
	s_and_saveexec_b64 s[0:1], s[28:29]
	s_xor_b64 s[0:1], exec, s[0:1]
	s_cbranch_execnz .LBB241_1657
.LBB241_1662:
	s_or_b64 exec, exec, s[0:1]
	s_and_saveexec_b64 s[0:1], s[26:27]
	s_xor_b64 s[0:1], exec, s[0:1]
	s_cbranch_execz .LBB241_1700
.LBB241_1663:
	s_sext_i32_i16 s20, s33
	s_cmp_lt_i32 s20, 5
	s_mov_b64 s[4:5], -1
	s_cbranch_scc1 .LBB241_1684
; %bb.1664:
	s_cmp_lt_i32 s20, 8
	s_cbranch_scc1 .LBB241_1674
; %bb.1665:
	s_cmp_lt_i32 s20, 9
	s_cbranch_scc1 .LBB241_1671
; %bb.1666:
	s_cmp_gt_i32 s20, 9
	s_cbranch_scc0 .LBB241_1668
; %bb.1667:
	v_cndmask_b32_e64 v2, 0, 1, s[22:23]
	v_cvt_f64_u32_e32 v[2:3], v2
	s_waitcnt vmcnt(0)
	v_mov_b32_e32 v4, 0
	v_mov_b32_e32 v5, v4
	s_mov_b64 s[4:5], 0
	global_store_dwordx4 v[0:1], v[2:5], off
.LBB241_1668:
	s_andn2_b64 vcc, exec, s[4:5]
	s_cbranch_vccnz .LBB241_1670
; %bb.1669:
	v_cndmask_b32_e64 v2, 0, 1.0, s[22:23]
	v_mov_b32_e32 v3, 0
	global_store_dwordx2 v[0:1], v[2:3], off
.LBB241_1670:
	s_mov_b64 s[4:5], 0
.LBB241_1671:
	s_andn2_b64 vcc, exec, s[4:5]
	s_cbranch_vccnz .LBB241_1673
; %bb.1672:
	v_cndmask_b32_e64 v2, 0, 1.0, s[22:23]
	v_cvt_f16_f32_e32 v2, v2
	global_store_dword v[0:1], v2, off
.LBB241_1673:
	s_mov_b64 s[4:5], 0
.LBB241_1674:
	s_andn2_b64 vcc, exec, s[4:5]
	s_cbranch_vccnz .LBB241_1683
; %bb.1675:
	s_sext_i32_i16 s20, s33
	s_cmp_lt_i32 s20, 6
	s_mov_b64 s[4:5], -1
	s_cbranch_scc1 .LBB241_1681
; %bb.1676:
	s_cmp_gt_i32 s20, 6
	s_cbranch_scc0 .LBB241_1678
; %bb.1677:
	v_cndmask_b32_e64 v2, 0, 1, s[22:23]
	v_cvt_f64_u32_e32 v[2:3], v2
	s_mov_b64 s[4:5], 0
	global_store_dwordx2 v[0:1], v[2:3], off
.LBB241_1678:
	s_andn2_b64 vcc, exec, s[4:5]
	s_cbranch_vccnz .LBB241_1680
; %bb.1679:
	v_cndmask_b32_e64 v2, 0, 1.0, s[22:23]
	global_store_dword v[0:1], v2, off
.LBB241_1680:
	s_mov_b64 s[4:5], 0
.LBB241_1681:
	s_andn2_b64 vcc, exec, s[4:5]
	s_cbranch_vccnz .LBB241_1683
; %bb.1682:
	v_cndmask_b32_e64 v2, 0, 1.0, s[22:23]
	v_cvt_f16_f32_e32 v2, v2
	global_store_short v[0:1], v2, off
.LBB241_1683:
	s_mov_b64 s[4:5], 0
.LBB241_1684:
	s_andn2_b64 vcc, exec, s[4:5]
	s_cbranch_vccnz .LBB241_1700
; %bb.1685:
	s_sext_i32_i16 s20, s33
	s_cmp_lt_i32 s20, 2
	s_mov_b64 s[4:5], -1
	s_cbranch_scc1 .LBB241_1695
; %bb.1686:
	s_cmp_lt_i32 s20, 3
	s_cbranch_scc1 .LBB241_1692
; %bb.1687:
	s_cmp_gt_i32 s20, 3
	s_cbranch_scc0 .LBB241_1689
; %bb.1688:
	s_mov_b32 s4, 0
	v_cndmask_b32_e64 v2, 0, 1, s[22:23]
	v_mov_b32_e32 v3, s4
	s_mov_b64 s[4:5], 0
	global_store_dwordx2 v[0:1], v[2:3], off
.LBB241_1689:
	s_andn2_b64 vcc, exec, s[4:5]
	s_cbranch_vccnz .LBB241_1691
; %bb.1690:
	v_cndmask_b32_e64 v2, 0, 1, s[22:23]
	global_store_dword v[0:1], v2, off
.LBB241_1691:
	s_mov_b64 s[4:5], 0
.LBB241_1692:
	s_andn2_b64 vcc, exec, s[4:5]
	s_cbranch_vccnz .LBB241_1694
; %bb.1693:
	v_cndmask_b32_e64 v2, 0, 1, s[22:23]
	global_store_short v[0:1], v2, off
.LBB241_1694:
	s_mov_b64 s[4:5], 0
.LBB241_1695:
	s_andn2_b64 vcc, exec, s[4:5]
	s_cbranch_vccnz .LBB241_1700
; %bb.1696:
	s_sext_i32_i16 s20, s33
	s_mov_b64 s[4:5], -1
	s_cmp_gt_i32 s20, 0
	v_cndmask_b32_e64 v2, 0, 1, s[22:23]
	s_cbranch_scc0 .LBB241_1698
; %bb.1697:
	s_mov_b64 s[4:5], 0
	global_store_byte v[0:1], v2, off
.LBB241_1698:
	s_andn2_b64 vcc, exec, s[4:5]
	s_cbranch_vccnz .LBB241_1700
; %bb.1699:
	global_store_byte v[0:1], v2, off
.LBB241_1700:
	s_or_b64 exec, exec, s[0:1]
	s_and_b64 s[20:21], s[2:3], exec
                                        ; implicit-def: $vgpr2
.LBB241_1701:
	s_or_saveexec_b64 s[18:19], s[18:19]
	s_mov_b64 s[0:1], 0
                                        ; implicit-def: $sgpr2_sgpr3
                                        ; implicit-def: $sgpr24
                                        ; implicit-def: $vgpr0_vgpr1
	s_xor_b64 exec, exec, s[18:19]
	s_cbranch_execz .LBB241_3319
; %bb.1702:
	s_waitcnt vmcnt(0)
	v_mul_lo_u32 v4, s13, v2
	v_mov_b32_e32 v1, s11
	s_and_b32 s15, 0xffff, s15
	s_cmp_lt_i32 s15, 11
	v_ashrrev_i32_e32 v3, 31, v4
	v_add_co_u32_e32 v0, vcc, s10, v4
	v_addc_co_u32_e32 v1, vcc, v1, v3, vcc
	s_cbranch_scc1 .LBB241_1717
; %bb.1703:
	s_cmp_gt_i32 s15, 25
	s_mov_b64 s[2:3], 0
	s_cbranch_scc0 .LBB241_1719
; %bb.1704:
	s_cmp_gt_i32 s15, 28
	s_cbranch_scc0 .LBB241_1720
; %bb.1705:
	s_cmp_gt_i32 s15, 43
	;; [unrolled: 3-line block ×3, first 2 shown]
	s_cbranch_scc0 .LBB241_1722
; %bb.1707:
	s_cmp_eq_u32 s15, 46
	s_cbranch_scc0 .LBB241_1725
; %bb.1708:
	global_load_dword v3, v[0:1], off
	s_mov_b32 s0, 0x47800000
                                        ; implicit-def: $vgpr5
	s_waitcnt vmcnt(0)
	v_lshlrev_b32_e32 v3, 16, v3
	v_and_b32_e32 v6, 0x7fffffff, v3
	v_cmp_gt_u32_e32 vcc, s0, v6
	s_and_saveexec_b64 s[0:1], vcc
	s_xor_b64 s[0:1], exec, s[0:1]
	s_cbranch_execz .LBB241_1714
; %bb.1709:
	s_mov_b32 s4, 0x387fffff
	v_cmp_lt_u32_e32 vcc, s4, v6
                                        ; implicit-def: $vgpr5
	s_and_saveexec_b64 s[4:5], vcc
	s_xor_b64 s[4:5], exec, s[4:5]
; %bb.1710:
	v_bfe_u32 v5, v3, 21, 1
	s_mov_b32 s22, 0x80fffff
	v_add3_u32 v5, v3, v5, s22
	v_lshrrev_b32_e32 v5, 21, v5
; %bb.1711:
	s_andn2_saveexec_b64 s[4:5], s[4:5]
; %bb.1712:
	s_mov_b32 s22, 0x43000000
	v_add_f32_e64 v5, |v3|, s22
; %bb.1713:
	s_or_b64 exec, exec, s[4:5]
                                        ; implicit-def: $vgpr6
.LBB241_1714:
	s_andn2_saveexec_b64 s[0:1], s[0:1]
; %bb.1715:
	s_mov_b32 s4, 0x7f800000
	v_mov_b32_e32 v5, 0x7c
	v_mov_b32_e32 v7, 0x7f
	v_cmp_lt_u32_e32 vcc, s4, v6
	v_cndmask_b32_e32 v5, v5, v7, vcc
; %bb.1716:
	s_or_b64 exec, exec, s[0:1]
	v_lshrrev_b32_e32 v3, 24, v3
	s_movk_i32 s0, 0x80
	v_and_or_b32 v3, v3, s0, v5
	s_mov_b64 s[0:1], 0
	s_mov_b64 s[4:5], -1
	s_branch .LBB241_1726
.LBB241_1717:
	s_mov_b64 s[4:5], 0
                                        ; implicit-def: $vgpr3
	s_mov_b64 s[22:23], s[20:21]
	s_cbranch_execnz .LBB241_1856
.LBB241_1718:
	s_andn2_b64 vcc, exec, s[4:5]
	s_cbranch_vccz .LBB241_1992
	s_branch .LBB241_3317
.LBB241_1719:
	s_mov_b64 s[4:5], 0
                                        ; implicit-def: $vgpr3
	s_cbranch_execnz .LBB241_1794
	s_branch .LBB241_1844
.LBB241_1720:
	s_mov_b64 s[4:5], 0
                                        ; implicit-def: $vgpr3
	s_cbranch_execnz .LBB241_1752
	s_branch .LBB241_1793
.LBB241_1721:
	s_mov_b64 s[6:7], -1
	s_mov_b64 s[4:5], 0
                                        ; implicit-def: $vgpr3
	s_branch .LBB241_1739
.LBB241_1722:
	s_mov_b64 s[6:7], -1
	s_mov_b64 s[4:5], 0
                                        ; implicit-def: $vgpr3
	s_branch .LBB241_1726
.LBB241_1723:
	s_andn2_saveexec_b64 s[28:29], s[28:29]
	s_cbranch_execz .LBB241_1610
.LBB241_1724:
	v_add_f32_e32 v2, 0x46000000, v3
	v_and_b32_e32 v2, 0xff, v2
	v_cmp_ne_u32_e32 vcc, 0, v2
	s_andn2_b64 s[26:27], s[26:27], exec
	s_and_b64 s[30:31], vcc, exec
	s_or_b64 s[26:27], s[26:27], s[30:31]
	s_or_b64 exec, exec, s[28:29]
	v_mov_b32_e32 v4, 0
	s_and_saveexec_b64 s[28:29], s[26:27]
	s_cbranch_execnz .LBB241_1611
	s_branch .LBB241_1612
.LBB241_1725:
	s_mov_b64 s[0:1], -1
                                        ; implicit-def: $vgpr3
	s_mov_b64 s[4:5], 0
.LBB241_1726:
	s_and_b64 vcc, exec, s[6:7]
	s_cbranch_vccz .LBB241_1738
; %bb.1727:
	s_cmp_eq_u32 s15, 44
	s_cbranch_scc0 .LBB241_1737
; %bb.1728:
	global_load_ubyte v3, v[0:1], off
	s_movk_i32 s0, 0xff
	v_mov_b32_e32 v5, 0x7f800001
	v_mov_b32_e32 v6, 0x400000
	s_waitcnt vmcnt(0)
	v_lshlrev_b32_e32 v7, 23, v3
	v_cmp_ne_u32_e32 vcc, s0, v3
	v_cndmask_b32_e32 v5, v5, v7, vcc
	v_cmp_ne_u32_e32 vcc, 0, v3
	v_cndmask_b32_e32 v5, v6, v5, vcc
	s_mov_b32 s0, 0x47800000
	v_cmp_gt_u32_e32 vcc, s0, v5
                                        ; implicit-def: $vgpr3
	s_and_saveexec_b64 s[0:1], vcc
	s_xor_b64 s[0:1], exec, s[0:1]
	s_cbranch_execz .LBB241_1734
; %bb.1729:
	s_mov_b32 s4, 0x387fffff
	v_cmp_lt_u32_e32 vcc, s4, v5
                                        ; implicit-def: $vgpr3
	s_and_saveexec_b64 s[4:5], vcc
	s_xor_b64 s[4:5], exec, s[4:5]
; %bb.1730:
	v_bfe_u32 v3, v5, 21, 1
	s_mov_b32 s6, 0x80fffff
	v_add3_u32 v3, v5, v3, s6
	v_lshrrev_b32_e32 v3, 21, v3
                                        ; implicit-def: $vgpr5
; %bb.1731:
	s_andn2_saveexec_b64 s[4:5], s[4:5]
; %bb.1732:
	v_add_f32_e32 v3, 0x43000000, v5
; %bb.1733:
	s_or_b64 exec, exec, s[4:5]
                                        ; implicit-def: $vgpr5
.LBB241_1734:
	s_andn2_saveexec_b64 s[0:1], s[0:1]
; %bb.1735:
	s_mov_b32 s4, 0x7f800000
	v_mov_b32_e32 v3, 0x7c
	v_mov_b32_e32 v6, 0x7f
	v_cmp_lt_u32_e32 vcc, s4, v5
	v_cndmask_b32_e32 v3, v3, v6, vcc
; %bb.1736:
	s_or_b64 exec, exec, s[0:1]
	s_mov_b64 s[0:1], 0
	s_mov_b64 s[4:5], -1
	s_branch .LBB241_1738
.LBB241_1737:
	s_mov_b64 s[0:1], -1
                                        ; implicit-def: $vgpr3
.LBB241_1738:
	s_mov_b64 s[6:7], 0
.LBB241_1739:
	s_and_b64 vcc, exec, s[6:7]
	s_cbranch_vccz .LBB241_1751
; %bb.1740:
	s_cmp_eq_u32 s15, 29
	s_cbranch_scc0 .LBB241_1750
; %bb.1741:
	global_load_dwordx2 v[5:6], v[0:1], off
	s_mov_b32 s0, 0x47800000
	s_waitcnt vmcnt(0)
	v_ffbh_u32_e32 v3, v6
	v_min_u32_e32 v3, 32, v3
	v_lshlrev_b64 v[5:6], v3, v[5:6]
	v_sub_u32_e32 v3, 32, v3
	v_min_u32_e32 v5, 1, v5
	v_or_b32_e32 v5, v6, v5
	v_cvt_f32_u32_e32 v5, v5
	v_ldexp_f32 v5, v5, v3
	v_cmp_gt_u32_e32 vcc, s0, v5
                                        ; implicit-def: $vgpr3
	s_and_saveexec_b64 s[0:1], vcc
	s_xor_b64 s[0:1], exec, s[0:1]
	s_cbranch_execz .LBB241_1747
; %bb.1742:
	s_mov_b32 s4, 0x387fffff
	v_cmp_lt_u32_e32 vcc, s4, v5
                                        ; implicit-def: $vgpr3
	s_and_saveexec_b64 s[4:5], vcc
	s_xor_b64 s[4:5], exec, s[4:5]
; %bb.1743:
	v_bfe_u32 v3, v5, 21, 1
	s_mov_b32 s6, 0x80fffff
	v_add3_u32 v3, v5, v3, s6
	v_lshrrev_b32_e32 v3, 21, v3
                                        ; implicit-def: $vgpr5
; %bb.1744:
	s_andn2_saveexec_b64 s[4:5], s[4:5]
; %bb.1745:
	v_add_f32_e32 v3, 0x43000000, v5
; %bb.1746:
	s_or_b64 exec, exec, s[4:5]
                                        ; implicit-def: $vgpr5
.LBB241_1747:
	s_andn2_saveexec_b64 s[0:1], s[0:1]
; %bb.1748:
	s_mov_b32 s4, 0x7f800000
	v_mov_b32_e32 v3, 0x7c
	v_mov_b32_e32 v6, 0x7f
	v_cmp_lt_u32_e32 vcc, s4, v5
	v_cndmask_b32_e32 v3, v3, v6, vcc
; %bb.1749:
	s_or_b64 exec, exec, s[0:1]
	s_mov_b64 s[0:1], 0
	s_mov_b64 s[4:5], -1
	s_branch .LBB241_1751
.LBB241_1750:
	s_mov_b64 s[0:1], -1
                                        ; implicit-def: $vgpr3
.LBB241_1751:
	s_branch .LBB241_1793
.LBB241_1752:
	s_cmp_lt_i32 s15, 27
	s_cbranch_scc1 .LBB241_1763
; %bb.1753:
	s_cmp_gt_i32 s15, 27
	s_cbranch_scc0 .LBB241_1764
; %bb.1754:
	global_load_dword v3, v[0:1], off
	s_mov_b32 s4, 0x47800000
	s_waitcnt vmcnt(0)
	v_cvt_f32_u32_e32 v5, v3
                                        ; implicit-def: $vgpr3
	v_cmp_gt_u32_e32 vcc, s4, v5
	s_and_saveexec_b64 s[4:5], vcc
	s_xor_b64 s[4:5], exec, s[4:5]
	s_cbranch_execz .LBB241_1760
; %bb.1755:
	s_mov_b32 s6, 0x387fffff
	v_cmp_lt_u32_e32 vcc, s6, v5
                                        ; implicit-def: $vgpr3
	s_and_saveexec_b64 s[6:7], vcc
	s_xor_b64 s[6:7], exec, s[6:7]
; %bb.1756:
	v_bfe_u32 v3, v5, 21, 1
	s_mov_b32 s22, 0x80fffff
	v_add3_u32 v3, v5, v3, s22
	v_lshrrev_b32_e32 v3, 21, v3
                                        ; implicit-def: $vgpr5
; %bb.1757:
	s_andn2_saveexec_b64 s[6:7], s[6:7]
; %bb.1758:
	v_add_f32_e32 v3, 0x43000000, v5
; %bb.1759:
	s_or_b64 exec, exec, s[6:7]
                                        ; implicit-def: $vgpr5
.LBB241_1760:
	s_andn2_saveexec_b64 s[4:5], s[4:5]
; %bb.1761:
	s_mov_b32 s6, 0x7f800000
	v_mov_b32_e32 v3, 0x7c
	v_mov_b32_e32 v6, 0x7f
	v_cmp_lt_u32_e32 vcc, s6, v5
	v_cndmask_b32_e32 v3, v3, v6, vcc
; %bb.1762:
	s_or_b64 exec, exec, s[4:5]
	s_mov_b64 s[4:5], 0
	s_branch .LBB241_1765
.LBB241_1763:
	s_mov_b64 s[4:5], -1
                                        ; implicit-def: $vgpr3
	s_branch .LBB241_1776
.LBB241_1764:
	s_mov_b64 s[4:5], -1
                                        ; implicit-def: $vgpr3
.LBB241_1765:
	s_and_b64 vcc, exec, s[4:5]
	s_cbranch_vccz .LBB241_1775
; %bb.1766:
	global_load_ushort v3, v[0:1], off
	s_mov_b32 s4, 0x47800000
	s_waitcnt vmcnt(0)
	v_cvt_f32_u32_e32 v5, v3
                                        ; implicit-def: $vgpr3
	v_cmp_gt_u32_e32 vcc, s4, v5
	s_and_saveexec_b64 s[4:5], vcc
	s_xor_b64 s[4:5], exec, s[4:5]
	s_cbranch_execz .LBB241_1772
; %bb.1767:
	s_mov_b32 s6, 0x387fffff
	v_cmp_lt_u32_e32 vcc, s6, v5
                                        ; implicit-def: $vgpr3
	s_and_saveexec_b64 s[6:7], vcc
	s_xor_b64 s[6:7], exec, s[6:7]
; %bb.1768:
	v_bfe_u32 v3, v5, 21, 1
	s_mov_b32 s22, 0x80fffff
	v_add3_u32 v3, v5, v3, s22
	v_lshrrev_b32_e32 v3, 21, v3
                                        ; implicit-def: $vgpr5
; %bb.1769:
	s_andn2_saveexec_b64 s[6:7], s[6:7]
; %bb.1770:
	v_add_f32_e32 v3, 0x43000000, v5
; %bb.1771:
	s_or_b64 exec, exec, s[6:7]
                                        ; implicit-def: $vgpr5
.LBB241_1772:
	s_andn2_saveexec_b64 s[4:5], s[4:5]
; %bb.1773:
	s_mov_b32 s6, 0x7f800000
	v_mov_b32_e32 v3, 0x7c
	v_mov_b32_e32 v6, 0x7f
	v_cmp_lt_u32_e32 vcc, s6, v5
	v_cndmask_b32_e32 v3, v3, v6, vcc
; %bb.1774:
	s_or_b64 exec, exec, s[4:5]
.LBB241_1775:
	s_mov_b64 s[4:5], 0
.LBB241_1776:
	s_andn2_b64 vcc, exec, s[4:5]
	s_cbranch_vccnz .LBB241_1792
; %bb.1777:
	global_load_ubyte v5, v[0:1], off
	s_movk_i32 s4, 0x7f
	s_waitcnt vmcnt(0)
	v_cmp_lt_i16_e32 vcc, s4, v5
	s_mov_b64 s[4:5], 0
	s_and_saveexec_b64 s[6:7], vcc
	s_xor_b64 s[6:7], exec, s[6:7]
	s_cbranch_execz .LBB241_1813
; %bb.1778:
	s_movk_i32 s4, 0x80
	v_cmp_eq_u16_e32 vcc, s4, v5
	s_mov_b64 s[4:5], -1
	s_and_saveexec_b64 s[22:23], vcc
; %bb.1779:
	s_xor_b64 s[4:5], exec, -1
; %bb.1780:
	s_or_b64 exec, exec, s[22:23]
	s_and_b64 s[4:5], s[4:5], exec
	s_or_saveexec_b64 s[6:7], s[6:7]
	v_mov_b32_e32 v3, 0x7f800001
	s_xor_b64 exec, exec, s[6:7]
	s_cbranch_execnz .LBB241_1814
.LBB241_1781:
	s_or_b64 exec, exec, s[6:7]
	s_and_saveexec_b64 s[6:7], s[4:5]
	s_cbranch_execz .LBB241_1783
.LBB241_1782:
	v_lshlrev_b32_e32 v3, 24, v5
	v_and_b32_e32 v5, 0xffff, v5
	v_and_b32_e32 v6, 7, v5
	v_ffbh_u32_e32 v8, v6
	v_min_u32_e32 v8, 32, v8
	v_subrev_u32_e32 v9, 28, v8
	v_bfe_u32 v7, v5, 3, 4
	v_lshlrev_b32_e32 v5, v9, v5
	v_sub_u32_e32 v8, 29, v8
	v_and_b32_e32 v5, 7, v5
	v_cmp_eq_u32_e32 vcc, 0, v7
	v_cndmask_b32_e32 v7, v7, v8, vcc
	v_cndmask_b32_e32 v5, v6, v5, vcc
	v_mov_b32_e32 v6, 0x3b800000
	v_lshlrev_b32_e32 v5, 20, v5
	v_and_b32_e32 v3, 0x80000000, v3
	v_lshl_add_u32 v6, v7, 23, v6
	v_or3_b32 v3, v3, v6, v5
.LBB241_1783:
	s_or_b64 exec, exec, s[6:7]
	v_and_b32_e32 v6, 0x7fffffff, v3
	s_mov_b32 s4, 0x47800000
	v_cmp_gt_u32_e32 vcc, s4, v6
                                        ; implicit-def: $vgpr5
	s_and_saveexec_b64 s[4:5], vcc
	s_xor_b64 s[4:5], exec, s[4:5]
	s_cbranch_execz .LBB241_1789
; %bb.1784:
	s_mov_b32 s6, 0x387fffff
	v_cmp_lt_u32_e32 vcc, s6, v6
                                        ; implicit-def: $vgpr5
	s_and_saveexec_b64 s[6:7], vcc
	s_xor_b64 s[6:7], exec, s[6:7]
; %bb.1785:
	v_bfe_u32 v5, v3, 21, 1
	s_mov_b32 s22, 0x80fffff
	v_add3_u32 v5, v3, v5, s22
	v_lshrrev_b32_e32 v5, 21, v5
; %bb.1786:
	s_andn2_saveexec_b64 s[6:7], s[6:7]
; %bb.1787:
	s_mov_b32 s22, 0x43000000
	v_add_f32_e64 v5, |v3|, s22
; %bb.1788:
	s_or_b64 exec, exec, s[6:7]
                                        ; implicit-def: $vgpr6
.LBB241_1789:
	s_andn2_saveexec_b64 s[4:5], s[4:5]
; %bb.1790:
	s_mov_b32 s6, 0x7f800000
	v_mov_b32_e32 v5, 0x7c
	v_mov_b32_e32 v7, 0x7f
	v_cmp_lt_u32_e32 vcc, s6, v6
	v_cndmask_b32_e32 v5, v5, v7, vcc
; %bb.1791:
	s_or_b64 exec, exec, s[4:5]
	v_lshrrev_b32_e32 v3, 24, v3
	s_movk_i32 s4, 0x80
	v_and_or_b32 v3, v3, s4, v5
.LBB241_1792:
	s_mov_b64 s[4:5], -1
.LBB241_1793:
	s_branch .LBB241_1844
.LBB241_1794:
	s_cmp_gt_i32 s15, 22
	s_cbranch_scc0 .LBB241_1812
; %bb.1795:
	s_cmp_lt_i32 s15, 24
	s_cbranch_scc1 .LBB241_1815
; %bb.1796:
	s_cmp_gt_i32 s15, 24
	s_cbranch_scc0 .LBB241_1816
; %bb.1797:
	global_load_ubyte v5, v[0:1], off
	s_movk_i32 s2, 0x7f
	s_waitcnt vmcnt(0)
	v_cmp_lt_i16_e32 vcc, s2, v5
	s_mov_b64 s[2:3], 0
	s_and_saveexec_b64 s[4:5], vcc
	s_xor_b64 s[4:5], exec, s[4:5]
	s_cbranch_execz .LBB241_1872
; %bb.1798:
	s_movk_i32 s2, 0x80
	v_cmp_eq_u16_e32 vcc, s2, v5
	s_mov_b64 s[2:3], -1
	s_and_saveexec_b64 s[6:7], vcc
; %bb.1799:
	s_xor_b64 s[2:3], exec, -1
; %bb.1800:
	s_or_b64 exec, exec, s[6:7]
	s_and_b64 s[2:3], s[2:3], exec
	s_or_saveexec_b64 s[4:5], s[4:5]
	v_mov_b32_e32 v3, 0x7f800001
	s_xor_b64 exec, exec, s[4:5]
	s_cbranch_execnz .LBB241_1873
.LBB241_1801:
	s_or_b64 exec, exec, s[4:5]
	s_and_saveexec_b64 s[4:5], s[2:3]
	s_cbranch_execz .LBB241_1803
.LBB241_1802:
	v_lshlrev_b32_e32 v3, 24, v5
	v_and_b32_e32 v5, 0xffff, v5
	v_and_b32_e32 v6, 3, v5
	v_ffbh_u32_e32 v8, v6
	v_min_u32_e32 v8, 32, v8
	v_subrev_u32_e32 v9, 29, v8
	v_bfe_u32 v7, v5, 2, 5
	v_lshlrev_b32_e32 v5, v9, v5
	v_sub_u32_e32 v8, 30, v8
	v_and_b32_e32 v5, 3, v5
	v_cmp_eq_u32_e32 vcc, 0, v7
	v_cndmask_b32_e32 v7, v7, v8, vcc
	v_cndmask_b32_e32 v5, v6, v5, vcc
	v_mov_b32_e32 v6, 0x37800000
	v_lshlrev_b32_e32 v5, 21, v5
	v_and_b32_e32 v3, 0x80000000, v3
	v_lshl_add_u32 v6, v7, 23, v6
	v_or3_b32 v3, v3, v6, v5
.LBB241_1803:
	s_or_b64 exec, exec, s[4:5]
	v_and_b32_e32 v6, 0x7fffffff, v3
	s_mov_b32 s2, 0x47800000
	v_cmp_gt_u32_e32 vcc, s2, v6
                                        ; implicit-def: $vgpr5
	s_and_saveexec_b64 s[2:3], vcc
	s_xor_b64 s[2:3], exec, s[2:3]
	s_cbranch_execz .LBB241_1809
; %bb.1804:
	s_mov_b32 s4, 0x387fffff
	v_cmp_lt_u32_e32 vcc, s4, v6
                                        ; implicit-def: $vgpr5
	s_and_saveexec_b64 s[4:5], vcc
	s_xor_b64 s[4:5], exec, s[4:5]
; %bb.1805:
	v_bfe_u32 v5, v3, 21, 1
	s_mov_b32 s6, 0x80fffff
	v_add3_u32 v5, v3, v5, s6
	v_lshrrev_b32_e32 v5, 21, v5
; %bb.1806:
	s_andn2_saveexec_b64 s[4:5], s[4:5]
; %bb.1807:
	s_mov_b32 s6, 0x43000000
	v_add_f32_e64 v5, |v3|, s6
; %bb.1808:
	s_or_b64 exec, exec, s[4:5]
                                        ; implicit-def: $vgpr6
.LBB241_1809:
	s_andn2_saveexec_b64 s[2:3], s[2:3]
; %bb.1810:
	s_mov_b32 s4, 0x7f800000
	v_mov_b32_e32 v5, 0x7c
	v_mov_b32_e32 v7, 0x7f
	v_cmp_lt_u32_e32 vcc, s4, v6
	v_cndmask_b32_e32 v5, v5, v7, vcc
; %bb.1811:
	s_or_b64 exec, exec, s[2:3]
	v_lshrrev_b32_e32 v3, 24, v3
	s_movk_i32 s2, 0x80
	v_and_or_b32 v3, v3, s2, v5
	s_mov_b64 s[2:3], 0
	s_branch .LBB241_1817
.LBB241_1812:
                                        ; implicit-def: $vgpr3
	s_mov_b64 s[2:3], 0
	s_branch .LBB241_1831
.LBB241_1813:
	s_or_saveexec_b64 s[6:7], s[6:7]
	v_mov_b32_e32 v3, 0x7f800001
	s_xor_b64 exec, exec, s[6:7]
	s_cbranch_execz .LBB241_1781
.LBB241_1814:
	v_cmp_ne_u16_e32 vcc, 0, v5
	s_andn2_b64 s[4:5], s[4:5], exec
	s_and_b64 s[22:23], vcc, exec
	v_mov_b32_e32 v3, 0
	s_or_b64 s[4:5], s[4:5], s[22:23]
	s_or_b64 exec, exec, s[6:7]
	s_and_saveexec_b64 s[6:7], s[4:5]
	s_cbranch_execnz .LBB241_1782
	s_branch .LBB241_1783
.LBB241_1815:
	s_mov_b64 s[2:3], -1
                                        ; implicit-def: $vgpr3
	s_branch .LBB241_1828
.LBB241_1816:
	s_mov_b64 s[2:3], -1
                                        ; implicit-def: $vgpr3
.LBB241_1817:
	s_and_b64 vcc, exec, s[2:3]
	s_cbranch_vccz .LBB241_1827
; %bb.1818:
	global_load_ubyte v3, v[0:1], off
	s_mov_b32 s2, 0x7f800000
	s_brev_b32 s3, 1
	s_waitcnt vmcnt(0)
	v_lshlrev_b32_e32 v3, 24, v3
	v_and_b32_e32 v5, 0x7f000000, v3
	v_ffbh_u32_e32 v6, v5
	v_min_u32_e32 v6, 32, v6
	v_sub_u32_e64 v6, v6, 4 clamp
	v_lshlrev_b32_e32 v8, v6, v5
	v_lshlrev_b32_e32 v6, 23, v6
	v_lshrrev_b32_e32 v8, 4, v8
	v_add_u32_e32 v7, 0x1000000, v5
	v_sub_u32_e32 v6, v8, v6
	v_ashrrev_i32_e32 v7, 8, v7
	v_add_u32_e32 v6, 0x3c000000, v6
	v_and_or_b32 v6, v7, s2, v6
	v_cmp_ne_u32_e32 vcc, 0, v5
	v_cndmask_b32_e32 v7, 0, v6, vcc
	v_and_or_b32 v3, v3, s3, v7
	v_and_b32_e32 v6, 0x7fffffff, v3
	s_mov_b32 s2, 0x47800000
	v_cmp_gt_u32_e32 vcc, s2, v6
                                        ; implicit-def: $vgpr5
	s_and_saveexec_b64 s[2:3], vcc
	s_xor_b64 s[2:3], exec, s[2:3]
	s_cbranch_execz .LBB241_1824
; %bb.1819:
	s_mov_b32 s4, 0x387fffff
	v_cmp_lt_u32_e32 vcc, s4, v6
                                        ; implicit-def: $vgpr5
	s_and_saveexec_b64 s[4:5], vcc
	s_xor_b64 s[4:5], exec, s[4:5]
; %bb.1820:
	v_bfe_u32 v5, v7, 21, 1
	s_mov_b32 s6, 0x80fffff
	v_add3_u32 v5, v3, v5, s6
	v_lshrrev_b32_e32 v5, 21, v5
; %bb.1821:
	s_andn2_saveexec_b64 s[4:5], s[4:5]
; %bb.1822:
	s_mov_b32 s6, 0x43000000
	v_add_f32_e64 v5, |v3|, s6
; %bb.1823:
	s_or_b64 exec, exec, s[4:5]
                                        ; implicit-def: $vgpr6
.LBB241_1824:
	s_andn2_saveexec_b64 s[2:3], s[2:3]
; %bb.1825:
	s_mov_b32 s4, 0x7f800000
	v_mov_b32_e32 v5, 0x7c
	v_mov_b32_e32 v7, 0x7f
	v_cmp_lt_u32_e32 vcc, s4, v6
	v_cndmask_b32_e32 v5, v5, v7, vcc
; %bb.1826:
	s_or_b64 exec, exec, s[2:3]
	v_lshrrev_b32_e32 v3, 24, v3
	s_movk_i32 s2, 0x80
	v_and_or_b32 v3, v3, s2, v5
.LBB241_1827:
	s_mov_b64 s[2:3], 0
.LBB241_1828:
	s_andn2_b64 vcc, exec, s[2:3]
	s_cbranch_vccnz .LBB241_1830
; %bb.1829:
	global_load_ubyte v3, v[0:1], off
.LBB241_1830:
	s_mov_b64 s[4:5], -1
	s_mov_b64 s[2:3], 0
	s_cbranch_execnz .LBB241_1844
.LBB241_1831:
	s_cmp_gt_i32 s15, 14
	s_cbranch_scc0 .LBB241_1842
; %bb.1832:
	s_cmp_eq_u32 s15, 15
	s_cbranch_scc0 .LBB241_1874
; %bb.1833:
	global_load_ushort v3, v[0:1], off
	s_mov_b32 s0, 0x47800000
                                        ; implicit-def: $vgpr5
	s_waitcnt vmcnt(0)
	v_lshlrev_b32_e32 v6, 16, v3
	v_and_b32_e32 v7, 0x7fffffff, v6
	v_cmp_gt_u32_e32 vcc, s0, v7
	s_and_saveexec_b64 s[0:1], vcc
	s_xor_b64 s[0:1], exec, s[0:1]
	s_cbranch_execz .LBB241_1839
; %bb.1834:
	s_mov_b32 s2, 0x387fffff
	v_cmp_lt_u32_e32 vcc, s2, v7
                                        ; implicit-def: $vgpr5
	s_and_saveexec_b64 s[2:3], vcc
	s_xor_b64 s[2:3], exec, s[2:3]
; %bb.1835:
	v_bfe_u32 v5, v3, 5, 1
	s_mov_b32 s4, 0x80fffff
	v_add3_u32 v5, v6, v5, s4
	v_lshrrev_b32_e32 v5, 21, v5
                                        ; implicit-def: $vgpr6
; %bb.1836:
	s_andn2_saveexec_b64 s[2:3], s[2:3]
; %bb.1837:
	s_mov_b32 s4, 0x43000000
	v_add_f32_e64 v5, |v6|, s4
; %bb.1838:
	s_or_b64 exec, exec, s[2:3]
                                        ; implicit-def: $vgpr7
.LBB241_1839:
	s_andn2_saveexec_b64 s[0:1], s[0:1]
; %bb.1840:
	s_mov_b32 s2, 0x7f800000
	v_mov_b32_e32 v5, 0x7c
	v_mov_b32_e32 v6, 0x7f
	v_cmp_lt_u32_e32 vcc, s2, v7
	v_cndmask_b32_e32 v5, v5, v6, vcc
; %bb.1841:
	s_or_b64 exec, exec, s[0:1]
	v_lshrrev_b32_e32 v3, 8, v3
	s_movk_i32 s0, 0x80
	v_and_or_b32 v3, v3, s0, v5
	s_mov_b64 s[0:1], 0
	s_mov_b64 s[4:5], -1
	s_mov_b64 s[2:3], 0
	s_branch .LBB241_1844
.LBB241_1842:
                                        ; implicit-def: $vgpr3
	s_mov_b64 s[2:3], 0
	s_cbranch_execz .LBB241_1844
; %bb.1843:
	s_cmp_lg_u32 s15, 11
	s_mov_b64 s[2:3], -1
	s_cselect_b64 s[0:1], -1, 0
.LBB241_1844:
	s_and_b64 vcc, exec, s[0:1]
	s_mov_b64 s[22:23], s[20:21]
	s_cbranch_vccnz .LBB241_2012
; %bb.1845:
	s_andn2_b64 vcc, exec, s[2:3]
	s_cbranch_vccnz .LBB241_1855
.LBB241_1846:
	global_load_ubyte v3, v[0:1], off
	s_mov_b32 s0, 0x47800000
	s_waitcnt vmcnt(0)
	v_cmp_ne_u16_e32 vcc, 0, v3
	v_cndmask_b32_e64 v5, 0, 1.0, vcc
	v_cmp_gt_u32_e32 vcc, s0, v5
                                        ; implicit-def: $vgpr3
	s_and_saveexec_b64 s[0:1], vcc
	s_xor_b64 s[0:1], exec, s[0:1]
	s_cbranch_execz .LBB241_1852
; %bb.1847:
	s_mov_b32 s2, 0x387fffff
	v_cmp_lt_u32_e32 vcc, s2, v5
                                        ; implicit-def: $vgpr3
	s_and_saveexec_b64 s[2:3], vcc
	s_xor_b64 s[2:3], exec, s[2:3]
; %bb.1848:
	v_bfe_u32 v3, v5, 21, 1
	s_mov_b32 s4, 0x80fffff
	v_add3_u32 v3, v5, v3, s4
	v_lshrrev_b32_e32 v3, 21, v3
                                        ; implicit-def: $vgpr5
; %bb.1849:
	s_andn2_saveexec_b64 s[2:3], s[2:3]
; %bb.1850:
	v_add_f32_e32 v3, 0x43000000, v5
; %bb.1851:
	s_or_b64 exec, exec, s[2:3]
                                        ; implicit-def: $vgpr5
.LBB241_1852:
	s_andn2_saveexec_b64 s[0:1], s[0:1]
; %bb.1853:
	s_mov_b32 s2, 0x7f800000
	v_mov_b32_e32 v3, 0x7c
	v_mov_b32_e32 v6, 0x7f
	v_cmp_lt_u32_e32 vcc, s2, v5
	v_cndmask_b32_e32 v3, v3, v6, vcc
; %bb.1854:
	s_or_b64 exec, exec, s[0:1]
	s_mov_b64 s[4:5], -1
.LBB241_1855:
	s_branch .LBB241_1718
.LBB241_1856:
	s_cmp_lt_i32 s15, 5
	s_cbranch_scc1 .LBB241_1869
; %bb.1857:
	s_cmp_lt_i32 s15, 8
	s_cbranch_scc1 .LBB241_1870
; %bb.1858:
	;; [unrolled: 3-line block ×3, first 2 shown]
	s_cmp_gt_i32 s15, 9
	s_cbranch_scc0 .LBB241_1875
; %bb.1860:
	global_load_dwordx2 v[5:6], v[0:1], off
	s_mov_b32 s0, 0x47800000
	s_waitcnt vmcnt(0)
	v_cvt_f32_f64_e32 v3, v[5:6]
                                        ; implicit-def: $vgpr5
	v_and_b32_e32 v6, 0x7fffffff, v3
	v_cmp_gt_u32_e32 vcc, s0, v6
	s_and_saveexec_b64 s[0:1], vcc
	s_xor_b64 s[0:1], exec, s[0:1]
	s_cbranch_execz .LBB241_1866
; %bb.1861:
	s_mov_b32 s2, 0x387fffff
	v_cmp_lt_u32_e32 vcc, s2, v6
                                        ; implicit-def: $vgpr5
	s_and_saveexec_b64 s[2:3], vcc
	s_xor_b64 s[2:3], exec, s[2:3]
; %bb.1862:
	v_bfe_u32 v5, v3, 21, 1
	s_mov_b32 s4, 0x80fffff
	v_add3_u32 v5, v3, v5, s4
	v_lshrrev_b32_e32 v5, 21, v5
; %bb.1863:
	s_andn2_saveexec_b64 s[2:3], s[2:3]
; %bb.1864:
	s_mov_b32 s4, 0x43000000
	v_add_f32_e64 v5, |v3|, s4
; %bb.1865:
	s_or_b64 exec, exec, s[2:3]
                                        ; implicit-def: $vgpr6
.LBB241_1866:
	s_andn2_saveexec_b64 s[0:1], s[0:1]
; %bb.1867:
	s_mov_b32 s2, 0x7f800000
	v_mov_b32_e32 v5, 0x7c
	v_mov_b32_e32 v7, 0x7f
	v_cmp_lt_u32_e32 vcc, s2, v6
	v_cndmask_b32_e32 v5, v5, v7, vcc
; %bb.1868:
	s_or_b64 exec, exec, s[0:1]
	v_lshrrev_b32_e32 v3, 24, v3
	s_movk_i32 s0, 0x80
	v_and_or_b32 v3, v3, s0, v5
	s_mov_b64 s[0:1], 0
	s_branch .LBB241_1876
.LBB241_1869:
                                        ; implicit-def: $vgpr3
	s_branch .LBB241_1933
.LBB241_1870:
                                        ; implicit-def: $vgpr3
	s_branch .LBB241_1898
.LBB241_1871:
	s_mov_b64 s[0:1], -1
                                        ; implicit-def: $vgpr3
	s_branch .LBB241_1887
.LBB241_1872:
	s_or_saveexec_b64 s[4:5], s[4:5]
	v_mov_b32_e32 v3, 0x7f800001
	s_xor_b64 exec, exec, s[4:5]
	s_cbranch_execz .LBB241_1801
.LBB241_1873:
	v_cmp_ne_u16_e32 vcc, 0, v5
	s_andn2_b64 s[2:3], s[2:3], exec
	s_and_b64 s[6:7], vcc, exec
	v_mov_b32_e32 v3, 0
	s_or_b64 s[2:3], s[2:3], s[6:7]
	s_or_b64 exec, exec, s[4:5]
	s_and_saveexec_b64 s[4:5], s[2:3]
	s_cbranch_execnz .LBB241_1802
	s_branch .LBB241_1803
.LBB241_1874:
	s_mov_b64 s[0:1], -1
                                        ; implicit-def: $vgpr3
	s_mov_b64 s[2:3], 0
	s_branch .LBB241_1844
.LBB241_1875:
	s_mov_b64 s[0:1], -1
                                        ; implicit-def: $vgpr3
.LBB241_1876:
	s_and_b64 vcc, exec, s[0:1]
	s_cbranch_vccz .LBB241_1886
; %bb.1877:
	global_load_dword v3, v[0:1], off
	s_mov_b32 s0, 0x47800000
                                        ; implicit-def: $vgpr5
	s_waitcnt vmcnt(0)
	v_and_b32_e32 v6, 0x7fffffff, v3
	v_cmp_gt_u32_e32 vcc, s0, v6
	s_and_saveexec_b64 s[0:1], vcc
	s_xor_b64 s[0:1], exec, s[0:1]
	s_cbranch_execz .LBB241_1883
; %bb.1878:
	s_mov_b32 s2, 0x387fffff
	v_cmp_lt_u32_e32 vcc, s2, v6
                                        ; implicit-def: $vgpr5
	s_and_saveexec_b64 s[2:3], vcc
	s_xor_b64 s[2:3], exec, s[2:3]
; %bb.1879:
	v_bfe_u32 v5, v3, 21, 1
	s_mov_b32 s4, 0x80fffff
	v_add3_u32 v5, v3, v5, s4
	v_lshrrev_b32_e32 v5, 21, v5
; %bb.1880:
	s_andn2_saveexec_b64 s[2:3], s[2:3]
; %bb.1881:
	s_mov_b32 s4, 0x43000000
	v_add_f32_e64 v5, |v3|, s4
; %bb.1882:
	s_or_b64 exec, exec, s[2:3]
                                        ; implicit-def: $vgpr6
.LBB241_1883:
	s_andn2_saveexec_b64 s[0:1], s[0:1]
; %bb.1884:
	s_mov_b32 s2, 0x7f800000
	v_mov_b32_e32 v5, 0x7c
	v_mov_b32_e32 v7, 0x7f
	v_cmp_lt_u32_e32 vcc, s2, v6
	v_cndmask_b32_e32 v5, v5, v7, vcc
; %bb.1885:
	s_or_b64 exec, exec, s[0:1]
	v_lshrrev_b32_e32 v3, 24, v3
	s_movk_i32 s0, 0x80
	v_and_or_b32 v3, v3, s0, v5
.LBB241_1886:
	s_mov_b64 s[0:1], 0
.LBB241_1887:
	s_andn2_b64 vcc, exec, s[0:1]
	s_cbranch_vccnz .LBB241_1897
; %bb.1888:
	global_load_dword v3, v[0:1], off
	s_mov_b32 s0, 0x47800000
                                        ; implicit-def: $vgpr5
	s_waitcnt vmcnt(0)
	v_cvt_f32_f16_e32 v3, v3
	v_and_b32_e32 v6, 0x7fffffff, v3
	v_cmp_gt_u32_e32 vcc, s0, v6
	s_and_saveexec_b64 s[0:1], vcc
	s_xor_b64 s[0:1], exec, s[0:1]
	s_cbranch_execz .LBB241_1894
; %bb.1889:
	s_mov_b32 s2, 0x387fffff
	v_cmp_lt_u32_e32 vcc, s2, v6
                                        ; implicit-def: $vgpr5
	s_and_saveexec_b64 s[2:3], vcc
	s_xor_b64 s[2:3], exec, s[2:3]
; %bb.1890:
	v_bfe_u32 v5, v3, 21, 1
	s_mov_b32 s4, 0x80fffff
	v_add3_u32 v5, v3, v5, s4
	v_lshrrev_b32_e32 v5, 21, v5
; %bb.1891:
	s_andn2_saveexec_b64 s[2:3], s[2:3]
; %bb.1892:
	s_mov_b32 s4, 0x43000000
	v_add_f32_e64 v5, |v3|, s4
; %bb.1893:
	s_or_b64 exec, exec, s[2:3]
                                        ; implicit-def: $vgpr6
.LBB241_1894:
	s_andn2_saveexec_b64 s[0:1], s[0:1]
; %bb.1895:
	s_mov_b32 s2, 0x7f800000
	v_mov_b32_e32 v5, 0x7c
	v_mov_b32_e32 v7, 0x7f
	v_cmp_lt_u32_e32 vcc, s2, v6
	v_cndmask_b32_e32 v5, v5, v7, vcc
; %bb.1896:
	s_or_b64 exec, exec, s[0:1]
	v_lshrrev_b32_e32 v3, 24, v3
	s_movk_i32 s0, 0x80
	v_and_or_b32 v3, v3, s0, v5
.LBB241_1897:
	s_cbranch_execnz .LBB241_1932
.LBB241_1898:
	s_cmp_lt_i32 s15, 6
	s_cbranch_scc1 .LBB241_1909
; %bb.1899:
	s_cmp_gt_i32 s15, 6
	s_cbranch_scc0 .LBB241_1910
; %bb.1900:
	global_load_dwordx2 v[5:6], v[0:1], off
	s_mov_b32 s0, 0x47800000
	s_waitcnt vmcnt(0)
	v_cvt_f32_f64_e32 v3, v[5:6]
                                        ; implicit-def: $vgpr5
	v_and_b32_e32 v6, 0x7fffffff, v3
	v_cmp_gt_u32_e32 vcc, s0, v6
	s_and_saveexec_b64 s[0:1], vcc
	s_xor_b64 s[0:1], exec, s[0:1]
	s_cbranch_execz .LBB241_1906
; %bb.1901:
	s_mov_b32 s2, 0x387fffff
	v_cmp_lt_u32_e32 vcc, s2, v6
                                        ; implicit-def: $vgpr5
	s_and_saveexec_b64 s[2:3], vcc
	s_xor_b64 s[2:3], exec, s[2:3]
; %bb.1902:
	v_bfe_u32 v5, v3, 21, 1
	s_mov_b32 s4, 0x80fffff
	v_add3_u32 v5, v3, v5, s4
	v_lshrrev_b32_e32 v5, 21, v5
; %bb.1903:
	s_andn2_saveexec_b64 s[2:3], s[2:3]
; %bb.1904:
	s_mov_b32 s4, 0x43000000
	v_add_f32_e64 v5, |v3|, s4
; %bb.1905:
	s_or_b64 exec, exec, s[2:3]
                                        ; implicit-def: $vgpr6
.LBB241_1906:
	s_andn2_saveexec_b64 s[0:1], s[0:1]
; %bb.1907:
	s_mov_b32 s2, 0x7f800000
	v_mov_b32_e32 v5, 0x7c
	v_mov_b32_e32 v7, 0x7f
	v_cmp_lt_u32_e32 vcc, s2, v6
	v_cndmask_b32_e32 v5, v5, v7, vcc
; %bb.1908:
	s_or_b64 exec, exec, s[0:1]
	v_lshrrev_b32_e32 v3, 24, v3
	s_movk_i32 s0, 0x80
	v_and_or_b32 v3, v3, s0, v5
	s_mov_b64 s[0:1], 0
	s_branch .LBB241_1911
.LBB241_1909:
	s_mov_b64 s[0:1], -1
                                        ; implicit-def: $vgpr3
	s_branch .LBB241_1922
.LBB241_1910:
	s_mov_b64 s[0:1], -1
                                        ; implicit-def: $vgpr3
.LBB241_1911:
	s_and_b64 vcc, exec, s[0:1]
	s_cbranch_vccz .LBB241_1921
; %bb.1912:
	global_load_dword v3, v[0:1], off
	s_mov_b32 s0, 0x47800000
                                        ; implicit-def: $vgpr5
	s_waitcnt vmcnt(0)
	v_and_b32_e32 v6, 0x7fffffff, v3
	v_cmp_gt_u32_e32 vcc, s0, v6
	s_and_saveexec_b64 s[0:1], vcc
	s_xor_b64 s[0:1], exec, s[0:1]
	s_cbranch_execz .LBB241_1918
; %bb.1913:
	s_mov_b32 s2, 0x387fffff
	v_cmp_lt_u32_e32 vcc, s2, v6
                                        ; implicit-def: $vgpr5
	s_and_saveexec_b64 s[2:3], vcc
	s_xor_b64 s[2:3], exec, s[2:3]
; %bb.1914:
	v_bfe_u32 v5, v3, 21, 1
	s_mov_b32 s4, 0x80fffff
	v_add3_u32 v5, v3, v5, s4
	v_lshrrev_b32_e32 v5, 21, v5
; %bb.1915:
	s_andn2_saveexec_b64 s[2:3], s[2:3]
; %bb.1916:
	s_mov_b32 s4, 0x43000000
	v_add_f32_e64 v5, |v3|, s4
; %bb.1917:
	s_or_b64 exec, exec, s[2:3]
                                        ; implicit-def: $vgpr6
.LBB241_1918:
	s_andn2_saveexec_b64 s[0:1], s[0:1]
; %bb.1919:
	s_mov_b32 s2, 0x7f800000
	v_mov_b32_e32 v5, 0x7c
	v_mov_b32_e32 v7, 0x7f
	v_cmp_lt_u32_e32 vcc, s2, v6
	v_cndmask_b32_e32 v5, v5, v7, vcc
; %bb.1920:
	s_or_b64 exec, exec, s[0:1]
	v_lshrrev_b32_e32 v3, 24, v3
	s_movk_i32 s0, 0x80
	v_and_or_b32 v3, v3, s0, v5
.LBB241_1921:
	s_mov_b64 s[0:1], 0
.LBB241_1922:
	s_andn2_b64 vcc, exec, s[0:1]
	s_cbranch_vccnz .LBB241_1932
; %bb.1923:
	global_load_ushort v3, v[0:1], off
	s_mov_b32 s0, 0x47800000
                                        ; implicit-def: $vgpr5
	s_waitcnt vmcnt(0)
	v_cvt_f32_f16_e32 v3, v3
	v_and_b32_e32 v6, 0x7fffffff, v3
	v_cmp_gt_u32_e32 vcc, s0, v6
	s_and_saveexec_b64 s[0:1], vcc
	s_xor_b64 s[0:1], exec, s[0:1]
	s_cbranch_execz .LBB241_1929
; %bb.1924:
	s_mov_b32 s2, 0x387fffff
	v_cmp_lt_u32_e32 vcc, s2, v6
                                        ; implicit-def: $vgpr5
	s_and_saveexec_b64 s[2:3], vcc
	s_xor_b64 s[2:3], exec, s[2:3]
; %bb.1925:
	v_bfe_u32 v5, v3, 21, 1
	s_mov_b32 s4, 0x80fffff
	v_add3_u32 v5, v3, v5, s4
	v_lshrrev_b32_e32 v5, 21, v5
; %bb.1926:
	s_andn2_saveexec_b64 s[2:3], s[2:3]
; %bb.1927:
	s_mov_b32 s4, 0x43000000
	v_add_f32_e64 v5, |v3|, s4
; %bb.1928:
	s_or_b64 exec, exec, s[2:3]
                                        ; implicit-def: $vgpr6
.LBB241_1929:
	s_andn2_saveexec_b64 s[0:1], s[0:1]
; %bb.1930:
	s_mov_b32 s2, 0x7f800000
	v_mov_b32_e32 v5, 0x7c
	v_mov_b32_e32 v7, 0x7f
	v_cmp_lt_u32_e32 vcc, s2, v6
	v_cndmask_b32_e32 v5, v5, v7, vcc
; %bb.1931:
	s_or_b64 exec, exec, s[0:1]
	v_lshrrev_b32_e32 v3, 24, v3
	s_movk_i32 s0, 0x80
	v_and_or_b32 v3, v3, s0, v5
.LBB241_1932:
	s_cbranch_execnz .LBB241_1991
.LBB241_1933:
	s_cmp_lt_i32 s15, 2
	s_cbranch_scc1 .LBB241_1945
; %bb.1934:
	s_cmp_lt_i32 s15, 3
	s_cbranch_scc1 .LBB241_1946
; %bb.1935:
	s_cmp_gt_i32 s15, 3
	s_cbranch_scc0 .LBB241_1947
; %bb.1936:
	global_load_dwordx2 v[5:6], v[0:1], off
	s_mov_b32 s0, 0x47800000
	s_waitcnt vmcnt(0)
	v_xor_b32_e32 v7, v5, v6
	v_ffbh_i32_e32 v3, v6
	v_ashrrev_i32_e32 v7, 31, v7
	v_add_u32_e32 v3, -1, v3
	v_add_u32_e32 v7, 32, v7
	v_min_u32_e32 v3, v3, v7
	v_lshlrev_b64 v[5:6], v3, v[5:6]
	v_sub_u32_e32 v3, 32, v3
	v_min_u32_e32 v5, 1, v5
	v_or_b32_e32 v5, v6, v5
	v_cvt_f32_i32_e32 v5, v5
	v_ldexp_f32 v3, v5, v3
	v_and_b32_e32 v6, 0x7fffffff, v3
	v_cmp_gt_u32_e32 vcc, s0, v6
                                        ; implicit-def: $vgpr5
	s_and_saveexec_b64 s[0:1], vcc
	s_xor_b64 s[0:1], exec, s[0:1]
	s_cbranch_execz .LBB241_1942
; %bb.1937:
	s_mov_b32 s2, 0x387fffff
	v_cmp_lt_u32_e32 vcc, s2, v6
                                        ; implicit-def: $vgpr5
	s_and_saveexec_b64 s[2:3], vcc
	s_xor_b64 s[2:3], exec, s[2:3]
; %bb.1938:
	v_bfe_u32 v5, v3, 21, 1
	s_mov_b32 s4, 0x80fffff
	v_add3_u32 v5, v3, v5, s4
	v_lshrrev_b32_e32 v5, 21, v5
; %bb.1939:
	s_andn2_saveexec_b64 s[2:3], s[2:3]
; %bb.1940:
	s_mov_b32 s4, 0x43000000
	v_add_f32_e64 v5, |v3|, s4
; %bb.1941:
	s_or_b64 exec, exec, s[2:3]
                                        ; implicit-def: $vgpr6
.LBB241_1942:
	s_andn2_saveexec_b64 s[0:1], s[0:1]
; %bb.1943:
	s_mov_b32 s2, 0x7f800000
	v_mov_b32_e32 v5, 0x7c
	v_mov_b32_e32 v7, 0x7f
	v_cmp_lt_u32_e32 vcc, s2, v6
	v_cndmask_b32_e32 v5, v5, v7, vcc
; %bb.1944:
	s_or_b64 exec, exec, s[0:1]
	v_lshrrev_b32_e32 v3, 24, v3
	s_movk_i32 s0, 0x80
	v_and_or_b32 v3, v3, s0, v5
	s_mov_b64 s[0:1], 0
	s_branch .LBB241_1948
.LBB241_1945:
                                        ; implicit-def: $vgpr3
	s_branch .LBB241_1970
.LBB241_1946:
	s_mov_b64 s[0:1], -1
                                        ; implicit-def: $vgpr3
	s_branch .LBB241_1959
.LBB241_1947:
	s_mov_b64 s[0:1], -1
                                        ; implicit-def: $vgpr3
.LBB241_1948:
	s_and_b64 vcc, exec, s[0:1]
	s_cbranch_vccz .LBB241_1958
; %bb.1949:
	global_load_dword v3, v[0:1], off
	s_mov_b32 s0, 0x47800000
                                        ; implicit-def: $vgpr5
	s_waitcnt vmcnt(0)
	v_cvt_f32_i32_e32 v3, v3
	v_and_b32_e32 v6, 0x7fffffff, v3
	v_cmp_gt_u32_e32 vcc, s0, v6
	s_and_saveexec_b64 s[0:1], vcc
	s_xor_b64 s[0:1], exec, s[0:1]
	s_cbranch_execz .LBB241_1955
; %bb.1950:
	s_mov_b32 s2, 0x387fffff
	v_cmp_lt_u32_e32 vcc, s2, v6
                                        ; implicit-def: $vgpr5
	s_and_saveexec_b64 s[2:3], vcc
	s_xor_b64 s[2:3], exec, s[2:3]
; %bb.1951:
	v_bfe_u32 v5, v3, 21, 1
	s_mov_b32 s4, 0x80fffff
	v_add3_u32 v5, v3, v5, s4
	v_lshrrev_b32_e32 v5, 21, v5
; %bb.1952:
	s_andn2_saveexec_b64 s[2:3], s[2:3]
; %bb.1953:
	s_mov_b32 s4, 0x43000000
	v_add_f32_e64 v5, |v3|, s4
; %bb.1954:
	s_or_b64 exec, exec, s[2:3]
                                        ; implicit-def: $vgpr6
.LBB241_1955:
	s_andn2_saveexec_b64 s[0:1], s[0:1]
; %bb.1956:
	s_mov_b32 s2, 0x7f800000
	v_mov_b32_e32 v5, 0x7c
	v_mov_b32_e32 v7, 0x7f
	v_cmp_lt_u32_e32 vcc, s2, v6
	v_cndmask_b32_e32 v5, v5, v7, vcc
; %bb.1957:
	s_or_b64 exec, exec, s[0:1]
	v_lshrrev_b32_e32 v3, 24, v3
	s_movk_i32 s0, 0x80
	v_and_or_b32 v3, v3, s0, v5
.LBB241_1958:
	s_mov_b64 s[0:1], 0
.LBB241_1959:
	s_andn2_b64 vcc, exec, s[0:1]
	s_cbranch_vccnz .LBB241_1969
; %bb.1960:
	global_load_sshort v3, v[0:1], off
	s_mov_b32 s0, 0x47800000
                                        ; implicit-def: $vgpr5
	s_waitcnt vmcnt(0)
	v_cvt_f32_i32_e32 v3, v3
	v_and_b32_e32 v6, 0x7fffffff, v3
	v_cmp_gt_u32_e32 vcc, s0, v6
	s_and_saveexec_b64 s[0:1], vcc
	s_xor_b64 s[0:1], exec, s[0:1]
	s_cbranch_execz .LBB241_1966
; %bb.1961:
	s_mov_b32 s2, 0x387fffff
	v_cmp_lt_u32_e32 vcc, s2, v6
                                        ; implicit-def: $vgpr5
	s_and_saveexec_b64 s[2:3], vcc
	s_xor_b64 s[2:3], exec, s[2:3]
; %bb.1962:
	v_bfe_u32 v5, v3, 21, 1
	s_mov_b32 s4, 0x80fffff
	v_add3_u32 v5, v3, v5, s4
	v_lshrrev_b32_e32 v5, 21, v5
; %bb.1963:
	s_andn2_saveexec_b64 s[2:3], s[2:3]
; %bb.1964:
	s_mov_b32 s4, 0x43000000
	v_add_f32_e64 v5, |v3|, s4
; %bb.1965:
	s_or_b64 exec, exec, s[2:3]
                                        ; implicit-def: $vgpr6
.LBB241_1966:
	s_andn2_saveexec_b64 s[0:1], s[0:1]
; %bb.1967:
	s_mov_b32 s2, 0x7f800000
	v_mov_b32_e32 v5, 0x7c
	v_mov_b32_e32 v7, 0x7f
	v_cmp_lt_u32_e32 vcc, s2, v6
	v_cndmask_b32_e32 v5, v5, v7, vcc
; %bb.1968:
	s_or_b64 exec, exec, s[0:1]
	v_lshrrev_b32_e32 v3, 24, v3
	s_movk_i32 s0, 0x80
	v_and_or_b32 v3, v3, s0, v5
.LBB241_1969:
	s_cbranch_execnz .LBB241_1991
.LBB241_1970:
	s_cmp_gt_i32 s15, 0
	s_cbranch_scc0 .LBB241_1980
; %bb.1971:
	global_load_sbyte v3, v[0:1], off
	s_mov_b32 s0, 0x47800000
                                        ; implicit-def: $vgpr5
	s_waitcnt vmcnt(0)
	v_cvt_f32_i32_e32 v3, v3
	v_and_b32_e32 v6, 0x7fffffff, v3
	v_cmp_gt_u32_e32 vcc, s0, v6
	s_and_saveexec_b64 s[0:1], vcc
	s_xor_b64 s[0:1], exec, s[0:1]
	s_cbranch_execz .LBB241_1977
; %bb.1972:
	s_mov_b32 s2, 0x387fffff
	v_cmp_lt_u32_e32 vcc, s2, v6
                                        ; implicit-def: $vgpr5
	s_and_saveexec_b64 s[2:3], vcc
	s_xor_b64 s[2:3], exec, s[2:3]
; %bb.1973:
	v_bfe_u32 v5, v3, 21, 1
	s_mov_b32 s4, 0x80fffff
	v_add3_u32 v5, v3, v5, s4
	v_lshrrev_b32_e32 v5, 21, v5
; %bb.1974:
	s_andn2_saveexec_b64 s[2:3], s[2:3]
; %bb.1975:
	s_mov_b32 s4, 0x43000000
	v_add_f32_e64 v5, |v3|, s4
; %bb.1976:
	s_or_b64 exec, exec, s[2:3]
                                        ; implicit-def: $vgpr6
.LBB241_1977:
	s_andn2_saveexec_b64 s[0:1], s[0:1]
; %bb.1978:
	s_mov_b32 s2, 0x7f800000
	v_mov_b32_e32 v5, 0x7c
	v_mov_b32_e32 v7, 0x7f
	v_cmp_lt_u32_e32 vcc, s2, v6
	v_cndmask_b32_e32 v5, v5, v7, vcc
; %bb.1979:
	s_or_b64 exec, exec, s[0:1]
	v_lshrrev_b32_e32 v3, 24, v3
	s_movk_i32 s0, 0x80
	v_and_or_b32 v3, v3, s0, v5
	s_mov_b64 s[0:1], 0
	s_branch .LBB241_1981
.LBB241_1980:
	s_mov_b64 s[0:1], -1
                                        ; implicit-def: $vgpr3
.LBB241_1981:
	s_and_b64 vcc, exec, s[0:1]
	s_cbranch_vccz .LBB241_1991
; %bb.1982:
	global_load_ubyte v0, v[0:1], off
	s_mov_b32 s0, 0x47800000
                                        ; implicit-def: $vgpr3
	s_waitcnt vmcnt(0)
	v_cvt_f32_ubyte0_e32 v0, v0
	v_cmp_gt_u32_e32 vcc, s0, v0
	s_and_saveexec_b64 s[0:1], vcc
	s_xor_b64 s[0:1], exec, s[0:1]
	s_cbranch_execz .LBB241_1988
; %bb.1983:
	s_mov_b32 s2, 0x387fffff
	v_cmp_lt_u32_e32 vcc, s2, v0
                                        ; implicit-def: $vgpr3
	s_and_saveexec_b64 s[2:3], vcc
	s_xor_b64 s[2:3], exec, s[2:3]
; %bb.1984:
	v_bfe_u32 v1, v0, 21, 1
	s_mov_b32 s4, 0x80fffff
	v_add3_u32 v0, v0, v1, s4
	v_lshrrev_b32_e32 v3, 21, v0
                                        ; implicit-def: $vgpr0
; %bb.1985:
	s_andn2_saveexec_b64 s[2:3], s[2:3]
; %bb.1986:
	v_add_f32_e32 v3, 0x43000000, v0
; %bb.1987:
	s_or_b64 exec, exec, s[2:3]
                                        ; implicit-def: $vgpr0
.LBB241_1988:
	s_andn2_saveexec_b64 s[0:1], s[0:1]
; %bb.1989:
	s_mov_b32 s2, 0x7f800000
	v_mov_b32_e32 v1, 0x7c
	v_mov_b32_e32 v3, 0x7f
	v_cmp_lt_u32_e32 vcc, s2, v0
	v_cndmask_b32_e32 v3, v1, v3, vcc
; %bb.1990:
	s_or_b64 exec, exec, s[0:1]
.LBB241_1991:
.LBB241_1992:
	s_lshl_b32 s13, s13, 7
	v_add_u32_e32 v5, s13, v4
	v_ashrrev_i32_e32 v1, 31, v5
	v_mov_b32_e32 v4, s11
	v_add_co_u32_e32 v0, vcc, s10, v5
	s_cmp_lt_i32 s15, 11
	v_addc_co_u32_e32 v1, vcc, v4, v1, vcc
	s_cbranch_scc1 .LBB241_2007
; %bb.1993:
	s_cmp_gt_i32 s15, 25
	s_mov_b64 s[2:3], 0
	s_cbranch_scc0 .LBB241_2009
; %bb.1994:
	s_cmp_gt_i32 s15, 28
	s_cbranch_scc0 .LBB241_2010
; %bb.1995:
	s_cmp_gt_i32 s15, 43
	;; [unrolled: 3-line block ×3, first 2 shown]
	s_cbranch_scc0 .LBB241_2013
; %bb.1997:
	s_cmp_eq_u32 s15, 46
	s_mov_b64 s[6:7], 0
	s_cbranch_scc0 .LBB241_2016
; %bb.1998:
	global_load_dword v4, v[0:1], off
	s_mov_b32 s0, 0x47800000
                                        ; implicit-def: $vgpr6
	s_waitcnt vmcnt(0)
	v_lshlrev_b32_e32 v4, 16, v4
	v_and_b32_e32 v7, 0x7fffffff, v4
	v_cmp_gt_u32_e32 vcc, s0, v7
	s_and_saveexec_b64 s[0:1], vcc
	s_xor_b64 s[0:1], exec, s[0:1]
	s_cbranch_execz .LBB241_2004
; %bb.1999:
	s_mov_b32 s4, 0x387fffff
	v_cmp_lt_u32_e32 vcc, s4, v7
                                        ; implicit-def: $vgpr6
	s_and_saveexec_b64 s[4:5], vcc
	s_xor_b64 s[4:5], exec, s[4:5]
; %bb.2000:
	v_bfe_u32 v6, v4, 21, 1
	s_mov_b32 s24, 0x80fffff
	v_add3_u32 v6, v4, v6, s24
	v_lshrrev_b32_e32 v6, 21, v6
; %bb.2001:
	s_andn2_saveexec_b64 s[4:5], s[4:5]
; %bb.2002:
	s_mov_b32 s24, 0x43000000
	v_add_f32_e64 v6, |v4|, s24
; %bb.2003:
	s_or_b64 exec, exec, s[4:5]
                                        ; implicit-def: $vgpr7
.LBB241_2004:
	s_andn2_saveexec_b64 s[0:1], s[0:1]
; %bb.2005:
	s_mov_b32 s4, 0x7f800000
	v_mov_b32_e32 v6, 0x7c
	v_mov_b32_e32 v8, 0x7f
	v_cmp_lt_u32_e32 vcc, s4, v7
	v_cndmask_b32_e32 v6, v6, v8, vcc
; %bb.2006:
	s_or_b64 exec, exec, s[0:1]
	v_lshrrev_b32_e32 v4, 24, v4
	s_movk_i32 s0, 0x80
	v_and_or_b32 v4, v4, s0, v6
	s_mov_b64 s[0:1], 0
	s_mov_b64 s[4:5], -1
	s_branch .LBB241_2017
.LBB241_2007:
	s_mov_b64 s[4:5], 0
                                        ; implicit-def: $vgpr4
	s_cbranch_execnz .LBB241_2154
.LBB241_2008:
	s_andn2_b64 vcc, exec, s[4:5]
	s_cbranch_vccnz .LBB241_3317
	s_branch .LBB241_2289
.LBB241_2009:
	s_mov_b64 s[4:5], 0
	s_mov_b64 s[0:1], 0
                                        ; implicit-def: $vgpr4
	s_cbranch_execnz .LBB241_2086
	s_branch .LBB241_2142
.LBB241_2010:
	s_mov_b64 s[6:7], -1
	s_mov_b64 s[4:5], 0
                                        ; implicit-def: $vgpr4
	s_mov_b64 s[0:1], 0
	s_branch .LBB241_2043
.LBB241_2011:
	s_mov_b64 s[6:7], -1
	s_mov_b64 s[4:5], 0
	s_mov_b64 s[0:1], 0
                                        ; implicit-def: $vgpr4
	s_branch .LBB241_2030
.LBB241_2012:
	s_or_b64 s[22:23], s[20:21], exec
	s_trap 2
	s_cbranch_execz .LBB241_1846
	s_branch .LBB241_1855
.LBB241_2013:
	s_mov_b64 s[6:7], -1
	s_mov_b64 s[4:5], 0
	s_mov_b64 s[0:1], 0
                                        ; implicit-def: $vgpr4
	s_branch .LBB241_2017
.LBB241_2014:
	s_andn2_saveexec_b64 s[30:31], s[30:31]
	s_cbranch_execz .LBB241_1622
.LBB241_2015:
	v_add_f32_e32 v2, 0x42800000, v3
	v_and_b32_e32 v2, 0xff, v2
	v_cmp_ne_u32_e32 vcc, 0, v2
	s_andn2_b64 s[28:29], s[28:29], exec
	s_and_b64 s[36:37], vcc, exec
	s_or_b64 s[28:29], s[28:29], s[36:37]
	s_or_b64 exec, exec, s[30:31]
	v_mov_b32_e32 v4, 0
	s_and_saveexec_b64 s[30:31], s[28:29]
	s_cbranch_execnz .LBB241_1623
	s_branch .LBB241_1624
.LBB241_2016:
	s_mov_b64 s[0:1], -1
                                        ; implicit-def: $vgpr4
	s_mov_b64 s[4:5], 0
.LBB241_2017:
	s_and_b64 vcc, exec, s[6:7]
	s_cbranch_vccz .LBB241_2029
; %bb.2018:
	s_cmp_eq_u32 s15, 44
	s_cbranch_scc0 .LBB241_2028
; %bb.2019:
	global_load_ubyte v4, v[0:1], off
	s_movk_i32 s0, 0xff
	v_mov_b32_e32 v6, 0x7f800001
	v_mov_b32_e32 v7, 0x400000
	s_waitcnt vmcnt(0)
	v_lshlrev_b32_e32 v8, 23, v4
	v_cmp_ne_u32_e32 vcc, s0, v4
	v_cndmask_b32_e32 v6, v6, v8, vcc
	v_cmp_ne_u32_e32 vcc, 0, v4
	v_cndmask_b32_e32 v6, v7, v6, vcc
	s_mov_b32 s0, 0x47800000
	v_cmp_gt_u32_e32 vcc, s0, v6
                                        ; implicit-def: $vgpr4
	s_and_saveexec_b64 s[0:1], vcc
	s_xor_b64 s[0:1], exec, s[0:1]
	s_cbranch_execz .LBB241_2025
; %bb.2020:
	s_mov_b32 s4, 0x387fffff
	v_cmp_lt_u32_e32 vcc, s4, v6
                                        ; implicit-def: $vgpr4
	s_and_saveexec_b64 s[4:5], vcc
	s_xor_b64 s[4:5], exec, s[4:5]
; %bb.2021:
	v_bfe_u32 v4, v6, 21, 1
	s_mov_b32 s6, 0x80fffff
	v_add3_u32 v4, v6, v4, s6
	v_lshrrev_b32_e32 v4, 21, v4
                                        ; implicit-def: $vgpr6
; %bb.2022:
	s_andn2_saveexec_b64 s[4:5], s[4:5]
; %bb.2023:
	v_add_f32_e32 v4, 0x43000000, v6
; %bb.2024:
	s_or_b64 exec, exec, s[4:5]
                                        ; implicit-def: $vgpr6
.LBB241_2025:
	s_andn2_saveexec_b64 s[0:1], s[0:1]
; %bb.2026:
	s_mov_b32 s4, 0x7f800000
	v_mov_b32_e32 v4, 0x7c
	v_mov_b32_e32 v7, 0x7f
	v_cmp_lt_u32_e32 vcc, s4, v6
	v_cndmask_b32_e32 v4, v4, v7, vcc
; %bb.2027:
	s_or_b64 exec, exec, s[0:1]
	s_mov_b64 s[0:1], 0
	s_mov_b64 s[4:5], -1
	s_branch .LBB241_2029
.LBB241_2028:
	s_mov_b64 s[0:1], -1
                                        ; implicit-def: $vgpr4
.LBB241_2029:
	s_mov_b64 s[6:7], 0
.LBB241_2030:
	s_and_b64 vcc, exec, s[6:7]
	s_cbranch_vccz .LBB241_2042
; %bb.2031:
	s_cmp_eq_u32 s15, 29
	s_cbranch_scc0 .LBB241_2041
; %bb.2032:
	global_load_dwordx2 v[6:7], v[0:1], off
	s_mov_b32 s0, 0x47800000
	s_waitcnt vmcnt(0)
	v_ffbh_u32_e32 v4, v7
	v_min_u32_e32 v4, 32, v4
	v_lshlrev_b64 v[6:7], v4, v[6:7]
	v_sub_u32_e32 v4, 32, v4
	v_min_u32_e32 v6, 1, v6
	v_or_b32_e32 v6, v7, v6
	v_cvt_f32_u32_e32 v6, v6
	v_ldexp_f32 v6, v6, v4
	v_cmp_gt_u32_e32 vcc, s0, v6
                                        ; implicit-def: $vgpr4
	s_and_saveexec_b64 s[0:1], vcc
	s_xor_b64 s[0:1], exec, s[0:1]
	s_cbranch_execz .LBB241_2038
; %bb.2033:
	s_mov_b32 s4, 0x387fffff
	v_cmp_lt_u32_e32 vcc, s4, v6
                                        ; implicit-def: $vgpr4
	s_and_saveexec_b64 s[4:5], vcc
	s_xor_b64 s[4:5], exec, s[4:5]
; %bb.2034:
	v_bfe_u32 v4, v6, 21, 1
	s_mov_b32 s6, 0x80fffff
	v_add3_u32 v4, v6, v4, s6
	v_lshrrev_b32_e32 v4, 21, v4
                                        ; implicit-def: $vgpr6
; %bb.2035:
	s_andn2_saveexec_b64 s[4:5], s[4:5]
; %bb.2036:
	v_add_f32_e32 v4, 0x43000000, v6
; %bb.2037:
	s_or_b64 exec, exec, s[4:5]
                                        ; implicit-def: $vgpr6
.LBB241_2038:
	s_andn2_saveexec_b64 s[0:1], s[0:1]
; %bb.2039:
	s_mov_b32 s4, 0x7f800000
	v_mov_b32_e32 v4, 0x7c
	v_mov_b32_e32 v7, 0x7f
	v_cmp_lt_u32_e32 vcc, s4, v6
	v_cndmask_b32_e32 v4, v4, v7, vcc
; %bb.2040:
	s_or_b64 exec, exec, s[0:1]
	s_mov_b64 s[0:1], 0
	s_mov_b64 s[4:5], -1
	s_branch .LBB241_2042
.LBB241_2041:
	s_mov_b64 s[0:1], -1
                                        ; implicit-def: $vgpr4
.LBB241_2042:
	s_mov_b64 s[6:7], 0
.LBB241_2043:
	s_and_b64 vcc, exec, s[6:7]
	s_cbranch_vccz .LBB241_2085
; %bb.2044:
	s_cmp_lt_i32 s15, 27
	s_cbranch_scc1 .LBB241_2055
; %bb.2045:
	s_cmp_gt_i32 s15, 27
	s_cbranch_scc0 .LBB241_2056
; %bb.2046:
	global_load_dword v4, v[0:1], off
	s_mov_b32 s4, 0x47800000
	s_waitcnt vmcnt(0)
	v_cvt_f32_u32_e32 v6, v4
                                        ; implicit-def: $vgpr4
	v_cmp_gt_u32_e32 vcc, s4, v6
	s_and_saveexec_b64 s[4:5], vcc
	s_xor_b64 s[4:5], exec, s[4:5]
	s_cbranch_execz .LBB241_2052
; %bb.2047:
	s_mov_b32 s6, 0x387fffff
	v_cmp_lt_u32_e32 vcc, s6, v6
                                        ; implicit-def: $vgpr4
	s_and_saveexec_b64 s[6:7], vcc
	s_xor_b64 s[6:7], exec, s[6:7]
; %bb.2048:
	v_bfe_u32 v4, v6, 21, 1
	s_mov_b32 s24, 0x80fffff
	v_add3_u32 v4, v6, v4, s24
	v_lshrrev_b32_e32 v4, 21, v4
                                        ; implicit-def: $vgpr6
; %bb.2049:
	s_andn2_saveexec_b64 s[6:7], s[6:7]
; %bb.2050:
	v_add_f32_e32 v4, 0x43000000, v6
; %bb.2051:
	s_or_b64 exec, exec, s[6:7]
                                        ; implicit-def: $vgpr6
.LBB241_2052:
	s_andn2_saveexec_b64 s[4:5], s[4:5]
; %bb.2053:
	s_mov_b32 s6, 0x7f800000
	v_mov_b32_e32 v4, 0x7c
	v_mov_b32_e32 v7, 0x7f
	v_cmp_lt_u32_e32 vcc, s6, v6
	v_cndmask_b32_e32 v4, v4, v7, vcc
; %bb.2054:
	s_or_b64 exec, exec, s[4:5]
	s_mov_b64 s[4:5], 0
	s_branch .LBB241_2057
.LBB241_2055:
	s_mov_b64 s[4:5], -1
                                        ; implicit-def: $vgpr4
	s_branch .LBB241_2068
.LBB241_2056:
	s_mov_b64 s[4:5], -1
                                        ; implicit-def: $vgpr4
.LBB241_2057:
	s_and_b64 vcc, exec, s[4:5]
	s_cbranch_vccz .LBB241_2067
; %bb.2058:
	global_load_ushort v4, v[0:1], off
	s_mov_b32 s4, 0x47800000
	s_waitcnt vmcnt(0)
	v_cvt_f32_u32_e32 v6, v4
                                        ; implicit-def: $vgpr4
	v_cmp_gt_u32_e32 vcc, s4, v6
	s_and_saveexec_b64 s[4:5], vcc
	s_xor_b64 s[4:5], exec, s[4:5]
	s_cbranch_execz .LBB241_2064
; %bb.2059:
	s_mov_b32 s6, 0x387fffff
	v_cmp_lt_u32_e32 vcc, s6, v6
                                        ; implicit-def: $vgpr4
	s_and_saveexec_b64 s[6:7], vcc
	s_xor_b64 s[6:7], exec, s[6:7]
; %bb.2060:
	v_bfe_u32 v4, v6, 21, 1
	s_mov_b32 s24, 0x80fffff
	v_add3_u32 v4, v6, v4, s24
	v_lshrrev_b32_e32 v4, 21, v4
                                        ; implicit-def: $vgpr6
; %bb.2061:
	s_andn2_saveexec_b64 s[6:7], s[6:7]
; %bb.2062:
	v_add_f32_e32 v4, 0x43000000, v6
; %bb.2063:
	s_or_b64 exec, exec, s[6:7]
                                        ; implicit-def: $vgpr6
.LBB241_2064:
	s_andn2_saveexec_b64 s[4:5], s[4:5]
; %bb.2065:
	s_mov_b32 s6, 0x7f800000
	v_mov_b32_e32 v4, 0x7c
	v_mov_b32_e32 v7, 0x7f
	v_cmp_lt_u32_e32 vcc, s6, v6
	v_cndmask_b32_e32 v4, v4, v7, vcc
; %bb.2066:
	s_or_b64 exec, exec, s[4:5]
.LBB241_2067:
	s_mov_b64 s[4:5], 0
.LBB241_2068:
	s_andn2_b64 vcc, exec, s[4:5]
	s_cbranch_vccnz .LBB241_2084
; %bb.2069:
	global_load_ubyte v6, v[0:1], off
	s_movk_i32 s4, 0x7f
	s_waitcnt vmcnt(0)
	v_cmp_lt_i16_e32 vcc, s4, v6
	s_mov_b64 s[4:5], 0
	s_and_saveexec_b64 s[6:7], vcc
	s_xor_b64 s[6:7], exec, s[6:7]
	s_cbranch_execz .LBB241_2105
; %bb.2070:
	s_movk_i32 s4, 0x80
	v_cmp_eq_u16_e32 vcc, s4, v6
	s_mov_b64 s[4:5], -1
	s_and_saveexec_b64 s[24:25], vcc
; %bb.2071:
	s_xor_b64 s[4:5], exec, -1
; %bb.2072:
	s_or_b64 exec, exec, s[24:25]
	s_and_b64 s[4:5], s[4:5], exec
	s_or_saveexec_b64 s[6:7], s[6:7]
	v_mov_b32_e32 v4, 0x7f800001
	s_xor_b64 exec, exec, s[6:7]
	s_cbranch_execnz .LBB241_2106
.LBB241_2073:
	s_or_b64 exec, exec, s[6:7]
	s_and_saveexec_b64 s[6:7], s[4:5]
	s_cbranch_execz .LBB241_2075
.LBB241_2074:
	v_lshlrev_b32_e32 v4, 24, v6
	v_and_b32_e32 v6, 0xffff, v6
	v_and_b32_e32 v7, 7, v6
	v_ffbh_u32_e32 v9, v7
	v_min_u32_e32 v9, 32, v9
	v_subrev_u32_e32 v10, 28, v9
	v_bfe_u32 v8, v6, 3, 4
	v_lshlrev_b32_e32 v6, v10, v6
	v_sub_u32_e32 v9, 29, v9
	v_and_b32_e32 v6, 7, v6
	v_cmp_eq_u32_e32 vcc, 0, v8
	v_cndmask_b32_e32 v8, v8, v9, vcc
	v_cndmask_b32_e32 v6, v7, v6, vcc
	v_mov_b32_e32 v7, 0x3b800000
	v_lshlrev_b32_e32 v6, 20, v6
	v_and_b32_e32 v4, 0x80000000, v4
	v_lshl_add_u32 v7, v8, 23, v7
	v_or3_b32 v4, v4, v7, v6
.LBB241_2075:
	s_or_b64 exec, exec, s[6:7]
	v_and_b32_e32 v7, 0x7fffffff, v4
	s_mov_b32 s4, 0x47800000
	v_cmp_gt_u32_e32 vcc, s4, v7
                                        ; implicit-def: $vgpr6
	s_and_saveexec_b64 s[4:5], vcc
	s_xor_b64 s[4:5], exec, s[4:5]
	s_cbranch_execz .LBB241_2081
; %bb.2076:
	s_mov_b32 s6, 0x387fffff
	v_cmp_lt_u32_e32 vcc, s6, v7
                                        ; implicit-def: $vgpr6
	s_and_saveexec_b64 s[6:7], vcc
	s_xor_b64 s[6:7], exec, s[6:7]
; %bb.2077:
	v_bfe_u32 v6, v4, 21, 1
	s_mov_b32 s24, 0x80fffff
	v_add3_u32 v6, v4, v6, s24
	v_lshrrev_b32_e32 v6, 21, v6
; %bb.2078:
	s_andn2_saveexec_b64 s[6:7], s[6:7]
; %bb.2079:
	s_mov_b32 s24, 0x43000000
	v_add_f32_e64 v6, |v4|, s24
; %bb.2080:
	s_or_b64 exec, exec, s[6:7]
                                        ; implicit-def: $vgpr7
.LBB241_2081:
	s_andn2_saveexec_b64 s[4:5], s[4:5]
; %bb.2082:
	s_mov_b32 s6, 0x7f800000
	v_mov_b32_e32 v6, 0x7c
	v_mov_b32_e32 v8, 0x7f
	v_cmp_lt_u32_e32 vcc, s6, v7
	v_cndmask_b32_e32 v6, v6, v8, vcc
; %bb.2083:
	s_or_b64 exec, exec, s[4:5]
	v_lshrrev_b32_e32 v4, 24, v4
	s_movk_i32 s4, 0x80
	v_and_or_b32 v4, v4, s4, v6
.LBB241_2084:
	s_mov_b64 s[4:5], -1
.LBB241_2085:
	s_branch .LBB241_2142
.LBB241_2086:
	s_cmp_gt_i32 s15, 22
	s_cbranch_scc0 .LBB241_2104
; %bb.2087:
	s_cmp_lt_i32 s15, 24
	s_cbranch_scc1 .LBB241_2107
; %bb.2088:
	s_cmp_gt_i32 s15, 24
	s_cbranch_scc0 .LBB241_2108
; %bb.2089:
	global_load_ubyte v6, v[0:1], off
	s_movk_i32 s2, 0x7f
	s_waitcnt vmcnt(0)
	v_cmp_lt_i16_e32 vcc, s2, v6
	s_mov_b64 s[2:3], 0
	s_and_saveexec_b64 s[4:5], vcc
	s_xor_b64 s[4:5], exec, s[4:5]
	s_cbranch_execz .LBB241_2136
; %bb.2090:
	s_movk_i32 s2, 0x80
	v_cmp_eq_u16_e32 vcc, s2, v6
	s_mov_b64 s[2:3], -1
	s_and_saveexec_b64 s[6:7], vcc
; %bb.2091:
	s_xor_b64 s[2:3], exec, -1
; %bb.2092:
	s_or_b64 exec, exec, s[6:7]
	s_and_b64 s[2:3], s[2:3], exec
	s_or_saveexec_b64 s[4:5], s[4:5]
	v_mov_b32_e32 v4, 0x7f800001
	s_xor_b64 exec, exec, s[4:5]
	s_cbranch_execnz .LBB241_2137
.LBB241_2093:
	s_or_b64 exec, exec, s[4:5]
	s_and_saveexec_b64 s[4:5], s[2:3]
	s_cbranch_execz .LBB241_2095
.LBB241_2094:
	v_lshlrev_b32_e32 v4, 24, v6
	v_and_b32_e32 v6, 0xffff, v6
	v_and_b32_e32 v7, 3, v6
	v_ffbh_u32_e32 v9, v7
	v_min_u32_e32 v9, 32, v9
	v_subrev_u32_e32 v10, 29, v9
	v_bfe_u32 v8, v6, 2, 5
	v_lshlrev_b32_e32 v6, v10, v6
	v_sub_u32_e32 v9, 30, v9
	v_and_b32_e32 v6, 3, v6
	v_cmp_eq_u32_e32 vcc, 0, v8
	v_cndmask_b32_e32 v8, v8, v9, vcc
	v_cndmask_b32_e32 v6, v7, v6, vcc
	v_mov_b32_e32 v7, 0x37800000
	v_lshlrev_b32_e32 v6, 21, v6
	v_and_b32_e32 v4, 0x80000000, v4
	v_lshl_add_u32 v7, v8, 23, v7
	v_or3_b32 v4, v4, v7, v6
.LBB241_2095:
	s_or_b64 exec, exec, s[4:5]
	v_and_b32_e32 v7, 0x7fffffff, v4
	s_mov_b32 s2, 0x47800000
	v_cmp_gt_u32_e32 vcc, s2, v7
                                        ; implicit-def: $vgpr6
	s_and_saveexec_b64 s[2:3], vcc
	s_xor_b64 s[2:3], exec, s[2:3]
	s_cbranch_execz .LBB241_2101
; %bb.2096:
	s_mov_b32 s4, 0x387fffff
	v_cmp_lt_u32_e32 vcc, s4, v7
                                        ; implicit-def: $vgpr6
	s_and_saveexec_b64 s[4:5], vcc
	s_xor_b64 s[4:5], exec, s[4:5]
; %bb.2097:
	v_bfe_u32 v6, v4, 21, 1
	s_mov_b32 s6, 0x80fffff
	v_add3_u32 v6, v4, v6, s6
	v_lshrrev_b32_e32 v6, 21, v6
; %bb.2098:
	s_andn2_saveexec_b64 s[4:5], s[4:5]
; %bb.2099:
	s_mov_b32 s6, 0x43000000
	v_add_f32_e64 v6, |v4|, s6
; %bb.2100:
	s_or_b64 exec, exec, s[4:5]
                                        ; implicit-def: $vgpr7
.LBB241_2101:
	s_andn2_saveexec_b64 s[2:3], s[2:3]
; %bb.2102:
	s_mov_b32 s4, 0x7f800000
	v_mov_b32_e32 v6, 0x7c
	v_mov_b32_e32 v8, 0x7f
	v_cmp_lt_u32_e32 vcc, s4, v7
	v_cndmask_b32_e32 v6, v6, v8, vcc
; %bb.2103:
	s_or_b64 exec, exec, s[2:3]
	v_lshrrev_b32_e32 v4, 24, v4
	s_movk_i32 s2, 0x80
	v_and_or_b32 v4, v4, s2, v6
	s_mov_b64 s[2:3], 0
	s_branch .LBB241_2109
.LBB241_2104:
	s_mov_b64 s[2:3], -1
                                        ; implicit-def: $vgpr4
	s_branch .LBB241_2123
.LBB241_2105:
	s_or_saveexec_b64 s[6:7], s[6:7]
	v_mov_b32_e32 v4, 0x7f800001
	s_xor_b64 exec, exec, s[6:7]
	s_cbranch_execz .LBB241_2073
.LBB241_2106:
	v_cmp_ne_u16_e32 vcc, 0, v6
	s_andn2_b64 s[4:5], s[4:5], exec
	s_and_b64 s[24:25], vcc, exec
	v_mov_b32_e32 v4, 0
	s_or_b64 s[4:5], s[4:5], s[24:25]
	s_or_b64 exec, exec, s[6:7]
	s_and_saveexec_b64 s[6:7], s[4:5]
	s_cbranch_execnz .LBB241_2074
	s_branch .LBB241_2075
.LBB241_2107:
	s_mov_b64 s[2:3], -1
                                        ; implicit-def: $vgpr4
	s_branch .LBB241_2120
.LBB241_2108:
	s_mov_b64 s[2:3], -1
                                        ; implicit-def: $vgpr4
.LBB241_2109:
	s_and_b64 vcc, exec, s[2:3]
	s_cbranch_vccz .LBB241_2119
; %bb.2110:
	global_load_ubyte v4, v[0:1], off
	s_mov_b32 s2, 0x7f800000
	s_brev_b32 s3, 1
	s_waitcnt vmcnt(0)
	v_lshlrev_b32_e32 v4, 24, v4
	v_and_b32_e32 v6, 0x7f000000, v4
	v_ffbh_u32_e32 v7, v6
	v_min_u32_e32 v7, 32, v7
	v_sub_u32_e64 v7, v7, 4 clamp
	v_lshlrev_b32_e32 v9, v7, v6
	v_lshlrev_b32_e32 v7, 23, v7
	v_lshrrev_b32_e32 v9, 4, v9
	v_add_u32_e32 v8, 0x1000000, v6
	v_sub_u32_e32 v7, v9, v7
	v_ashrrev_i32_e32 v8, 8, v8
	v_add_u32_e32 v7, 0x3c000000, v7
	v_and_or_b32 v7, v8, s2, v7
	v_cmp_ne_u32_e32 vcc, 0, v6
	v_cndmask_b32_e32 v8, 0, v7, vcc
	v_and_or_b32 v4, v4, s3, v8
	v_and_b32_e32 v7, 0x7fffffff, v4
	s_mov_b32 s2, 0x47800000
	v_cmp_gt_u32_e32 vcc, s2, v7
                                        ; implicit-def: $vgpr6
	s_and_saveexec_b64 s[2:3], vcc
	s_xor_b64 s[2:3], exec, s[2:3]
	s_cbranch_execz .LBB241_2116
; %bb.2111:
	s_mov_b32 s4, 0x387fffff
	v_cmp_lt_u32_e32 vcc, s4, v7
                                        ; implicit-def: $vgpr6
	s_and_saveexec_b64 s[4:5], vcc
	s_xor_b64 s[4:5], exec, s[4:5]
; %bb.2112:
	v_bfe_u32 v6, v8, 21, 1
	s_mov_b32 s6, 0x80fffff
	v_add3_u32 v6, v4, v6, s6
	v_lshrrev_b32_e32 v6, 21, v6
; %bb.2113:
	s_andn2_saveexec_b64 s[4:5], s[4:5]
; %bb.2114:
	s_mov_b32 s6, 0x43000000
	v_add_f32_e64 v6, |v4|, s6
; %bb.2115:
	s_or_b64 exec, exec, s[4:5]
                                        ; implicit-def: $vgpr7
.LBB241_2116:
	s_andn2_saveexec_b64 s[2:3], s[2:3]
; %bb.2117:
	s_mov_b32 s4, 0x7f800000
	v_mov_b32_e32 v6, 0x7c
	v_mov_b32_e32 v8, 0x7f
	v_cmp_lt_u32_e32 vcc, s4, v7
	v_cndmask_b32_e32 v6, v6, v8, vcc
; %bb.2118:
	s_or_b64 exec, exec, s[2:3]
	v_lshrrev_b32_e32 v4, 24, v4
	s_movk_i32 s2, 0x80
	v_and_or_b32 v4, v4, s2, v6
.LBB241_2119:
	s_mov_b64 s[2:3], 0
.LBB241_2120:
	s_andn2_b64 vcc, exec, s[2:3]
	s_cbranch_vccnz .LBB241_2122
; %bb.2121:
	global_load_ubyte v4, v[0:1], off
.LBB241_2122:
	s_mov_b64 s[2:3], 0
	s_mov_b64 s[4:5], -1
.LBB241_2123:
	s_andn2_b64 vcc, exec, s[2:3]
	s_mov_b64 s[2:3], 0
	s_cbranch_vccnz .LBB241_2142
; %bb.2124:
	s_cmp_gt_i32 s15, 14
	s_cbranch_scc0 .LBB241_2135
; %bb.2125:
	s_cmp_eq_u32 s15, 15
	s_cbranch_scc0 .LBB241_2138
; %bb.2126:
	global_load_ushort v4, v[0:1], off
	s_mov_b32 s0, 0x47800000
                                        ; implicit-def: $vgpr6
	s_waitcnt vmcnt(0)
	v_lshlrev_b32_e32 v7, 16, v4
	v_and_b32_e32 v8, 0x7fffffff, v7
	v_cmp_gt_u32_e32 vcc, s0, v8
	s_and_saveexec_b64 s[0:1], vcc
	s_xor_b64 s[0:1], exec, s[0:1]
	s_cbranch_execz .LBB241_2132
; %bb.2127:
	s_mov_b32 s2, 0x387fffff
	v_cmp_lt_u32_e32 vcc, s2, v8
                                        ; implicit-def: $vgpr6
	s_and_saveexec_b64 s[2:3], vcc
	s_xor_b64 s[2:3], exec, s[2:3]
; %bb.2128:
	v_bfe_u32 v6, v4, 5, 1
	s_mov_b32 s4, 0x80fffff
	v_add3_u32 v6, v7, v6, s4
	v_lshrrev_b32_e32 v6, 21, v6
                                        ; implicit-def: $vgpr7
; %bb.2129:
	s_andn2_saveexec_b64 s[2:3], s[2:3]
; %bb.2130:
	s_mov_b32 s4, 0x43000000
	v_add_f32_e64 v6, |v7|, s4
; %bb.2131:
	s_or_b64 exec, exec, s[2:3]
                                        ; implicit-def: $vgpr8
.LBB241_2132:
	s_andn2_saveexec_b64 s[0:1], s[0:1]
; %bb.2133:
	s_mov_b32 s2, 0x7f800000
	v_mov_b32_e32 v6, 0x7c
	v_mov_b32_e32 v7, 0x7f
	v_cmp_lt_u32_e32 vcc, s2, v8
	v_cndmask_b32_e32 v6, v6, v7, vcc
; %bb.2134:
	s_or_b64 exec, exec, s[0:1]
	v_lshrrev_b32_e32 v4, 8, v4
	s_movk_i32 s0, 0x80
	v_and_or_b32 v4, v4, s0, v6
	s_mov_b64 s[0:1], 0
	s_mov_b64 s[4:5], -1
	s_branch .LBB241_2139
.LBB241_2135:
	s_mov_b64 s[6:7], -1
                                        ; implicit-def: $vgpr4
	s_branch .LBB241_2140
.LBB241_2136:
	s_or_saveexec_b64 s[4:5], s[4:5]
	v_mov_b32_e32 v4, 0x7f800001
	s_xor_b64 exec, exec, s[4:5]
	s_cbranch_execz .LBB241_2093
.LBB241_2137:
	v_cmp_ne_u16_e32 vcc, 0, v6
	s_andn2_b64 s[2:3], s[2:3], exec
	s_and_b64 s[6:7], vcc, exec
	v_mov_b32_e32 v4, 0
	s_or_b64 s[2:3], s[2:3], s[6:7]
	s_or_b64 exec, exec, s[4:5]
	s_and_saveexec_b64 s[4:5], s[2:3]
	s_cbranch_execnz .LBB241_2094
	s_branch .LBB241_2095
.LBB241_2138:
	s_mov_b64 s[0:1], -1
                                        ; implicit-def: $vgpr4
.LBB241_2139:
	s_mov_b64 s[6:7], 0
.LBB241_2140:
	s_mov_b64 s[2:3], 0
	s_and_b64 vcc, exec, s[6:7]
	s_cbranch_vccz .LBB241_2142
; %bb.2141:
	s_cmp_lg_u32 s15, 11
	s_mov_b64 s[2:3], -1
	s_cselect_b64 s[0:1], -1, 0
.LBB241_2142:
	s_and_b64 vcc, exec, s[0:1]
	s_cbranch_vccnz .LBB241_2309
; %bb.2143:
	s_andn2_b64 vcc, exec, s[2:3]
	s_cbranch_vccnz .LBB241_2153
.LBB241_2144:
	global_load_ubyte v4, v[0:1], off
	s_mov_b32 s0, 0x47800000
	s_waitcnt vmcnt(0)
	v_cmp_ne_u16_e32 vcc, 0, v4
	v_cndmask_b32_e64 v6, 0, 1.0, vcc
	v_cmp_gt_u32_e32 vcc, s0, v6
                                        ; implicit-def: $vgpr4
	s_and_saveexec_b64 s[0:1], vcc
	s_xor_b64 s[0:1], exec, s[0:1]
	s_cbranch_execz .LBB241_2150
; %bb.2145:
	s_mov_b32 s2, 0x387fffff
	v_cmp_lt_u32_e32 vcc, s2, v6
                                        ; implicit-def: $vgpr4
	s_and_saveexec_b64 s[2:3], vcc
	s_xor_b64 s[2:3], exec, s[2:3]
; %bb.2146:
	v_bfe_u32 v4, v6, 21, 1
	s_mov_b32 s4, 0x80fffff
	v_add3_u32 v4, v6, v4, s4
	v_lshrrev_b32_e32 v4, 21, v4
                                        ; implicit-def: $vgpr6
; %bb.2147:
	s_andn2_saveexec_b64 s[2:3], s[2:3]
; %bb.2148:
	v_add_f32_e32 v4, 0x43000000, v6
; %bb.2149:
	s_or_b64 exec, exec, s[2:3]
                                        ; implicit-def: $vgpr6
.LBB241_2150:
	s_andn2_saveexec_b64 s[0:1], s[0:1]
; %bb.2151:
	s_mov_b32 s2, 0x7f800000
	v_mov_b32_e32 v4, 0x7c
	v_mov_b32_e32 v7, 0x7f
	v_cmp_lt_u32_e32 vcc, s2, v6
	v_cndmask_b32_e32 v4, v4, v7, vcc
; %bb.2152:
	s_or_b64 exec, exec, s[0:1]
	s_mov_b64 s[4:5], -1
.LBB241_2153:
	s_branch .LBB241_2008
.LBB241_2154:
	s_cmp_lt_i32 s15, 5
	s_cbranch_scc1 .LBB241_2167
; %bb.2155:
	s_cmp_lt_i32 s15, 8
	s_cbranch_scc1 .LBB241_2168
; %bb.2156:
	;; [unrolled: 3-line block ×3, first 2 shown]
	s_cmp_gt_i32 s15, 9
	s_cbranch_scc0 .LBB241_2170
; %bb.2158:
	global_load_dwordx2 v[6:7], v[0:1], off
	s_mov_b32 s0, 0x47800000
	s_waitcnt vmcnt(0)
	v_cvt_f32_f64_e32 v4, v[6:7]
                                        ; implicit-def: $vgpr6
	v_and_b32_e32 v7, 0x7fffffff, v4
	v_cmp_gt_u32_e32 vcc, s0, v7
	s_and_saveexec_b64 s[0:1], vcc
	s_xor_b64 s[0:1], exec, s[0:1]
	s_cbranch_execz .LBB241_2164
; %bb.2159:
	s_mov_b32 s2, 0x387fffff
	v_cmp_lt_u32_e32 vcc, s2, v7
                                        ; implicit-def: $vgpr6
	s_and_saveexec_b64 s[2:3], vcc
	s_xor_b64 s[2:3], exec, s[2:3]
; %bb.2160:
	v_bfe_u32 v6, v4, 21, 1
	s_mov_b32 s4, 0x80fffff
	v_add3_u32 v6, v4, v6, s4
	v_lshrrev_b32_e32 v6, 21, v6
; %bb.2161:
	s_andn2_saveexec_b64 s[2:3], s[2:3]
; %bb.2162:
	s_mov_b32 s4, 0x43000000
	v_add_f32_e64 v6, |v4|, s4
; %bb.2163:
	s_or_b64 exec, exec, s[2:3]
                                        ; implicit-def: $vgpr7
.LBB241_2164:
	s_andn2_saveexec_b64 s[0:1], s[0:1]
; %bb.2165:
	s_mov_b32 s2, 0x7f800000
	v_mov_b32_e32 v6, 0x7c
	v_mov_b32_e32 v8, 0x7f
	v_cmp_lt_u32_e32 vcc, s2, v7
	v_cndmask_b32_e32 v6, v6, v8, vcc
; %bb.2166:
	s_or_b64 exec, exec, s[0:1]
	v_lshrrev_b32_e32 v4, 24, v4
	s_movk_i32 s0, 0x80
	v_and_or_b32 v4, v4, s0, v6
	s_mov_b64 s[0:1], 0
	s_branch .LBB241_2171
.LBB241_2167:
                                        ; implicit-def: $vgpr4
	s_branch .LBB241_2229
.LBB241_2168:
	s_mov_b64 s[0:1], -1
                                        ; implicit-def: $vgpr4
	s_branch .LBB241_2193
.LBB241_2169:
	s_mov_b64 s[0:1], -1
                                        ; implicit-def: $vgpr4
	s_branch .LBB241_2182
.LBB241_2170:
	s_mov_b64 s[0:1], -1
                                        ; implicit-def: $vgpr4
.LBB241_2171:
	s_and_b64 vcc, exec, s[0:1]
	s_cbranch_vccz .LBB241_2181
; %bb.2172:
	global_load_dword v4, v[0:1], off
	s_mov_b32 s0, 0x47800000
                                        ; implicit-def: $vgpr6
	s_waitcnt vmcnt(0)
	v_and_b32_e32 v7, 0x7fffffff, v4
	v_cmp_gt_u32_e32 vcc, s0, v7
	s_and_saveexec_b64 s[0:1], vcc
	s_xor_b64 s[0:1], exec, s[0:1]
	s_cbranch_execz .LBB241_2178
; %bb.2173:
	s_mov_b32 s2, 0x387fffff
	v_cmp_lt_u32_e32 vcc, s2, v7
                                        ; implicit-def: $vgpr6
	s_and_saveexec_b64 s[2:3], vcc
	s_xor_b64 s[2:3], exec, s[2:3]
; %bb.2174:
	v_bfe_u32 v6, v4, 21, 1
	s_mov_b32 s4, 0x80fffff
	v_add3_u32 v6, v4, v6, s4
	v_lshrrev_b32_e32 v6, 21, v6
; %bb.2175:
	s_andn2_saveexec_b64 s[2:3], s[2:3]
; %bb.2176:
	s_mov_b32 s4, 0x43000000
	v_add_f32_e64 v6, |v4|, s4
; %bb.2177:
	s_or_b64 exec, exec, s[2:3]
                                        ; implicit-def: $vgpr7
.LBB241_2178:
	s_andn2_saveexec_b64 s[0:1], s[0:1]
; %bb.2179:
	s_mov_b32 s2, 0x7f800000
	v_mov_b32_e32 v6, 0x7c
	v_mov_b32_e32 v8, 0x7f
	v_cmp_lt_u32_e32 vcc, s2, v7
	v_cndmask_b32_e32 v6, v6, v8, vcc
; %bb.2180:
	s_or_b64 exec, exec, s[0:1]
	v_lshrrev_b32_e32 v4, 24, v4
	s_movk_i32 s0, 0x80
	v_and_or_b32 v4, v4, s0, v6
.LBB241_2181:
	s_mov_b64 s[0:1], 0
.LBB241_2182:
	s_andn2_b64 vcc, exec, s[0:1]
	s_cbranch_vccnz .LBB241_2192
; %bb.2183:
	global_load_dword v4, v[0:1], off
	s_mov_b32 s0, 0x47800000
                                        ; implicit-def: $vgpr6
	s_waitcnt vmcnt(0)
	v_cvt_f32_f16_e32 v4, v4
	v_and_b32_e32 v7, 0x7fffffff, v4
	v_cmp_gt_u32_e32 vcc, s0, v7
	s_and_saveexec_b64 s[0:1], vcc
	s_xor_b64 s[0:1], exec, s[0:1]
	s_cbranch_execz .LBB241_2189
; %bb.2184:
	s_mov_b32 s2, 0x387fffff
	v_cmp_lt_u32_e32 vcc, s2, v7
                                        ; implicit-def: $vgpr6
	s_and_saveexec_b64 s[2:3], vcc
	s_xor_b64 s[2:3], exec, s[2:3]
; %bb.2185:
	v_bfe_u32 v6, v4, 21, 1
	s_mov_b32 s4, 0x80fffff
	v_add3_u32 v6, v4, v6, s4
	v_lshrrev_b32_e32 v6, 21, v6
; %bb.2186:
	s_andn2_saveexec_b64 s[2:3], s[2:3]
; %bb.2187:
	s_mov_b32 s4, 0x43000000
	v_add_f32_e64 v6, |v4|, s4
; %bb.2188:
	s_or_b64 exec, exec, s[2:3]
                                        ; implicit-def: $vgpr7
.LBB241_2189:
	s_andn2_saveexec_b64 s[0:1], s[0:1]
; %bb.2190:
	s_mov_b32 s2, 0x7f800000
	v_mov_b32_e32 v6, 0x7c
	v_mov_b32_e32 v8, 0x7f
	v_cmp_lt_u32_e32 vcc, s2, v7
	v_cndmask_b32_e32 v6, v6, v8, vcc
; %bb.2191:
	s_or_b64 exec, exec, s[0:1]
	v_lshrrev_b32_e32 v4, 24, v4
	s_movk_i32 s0, 0x80
	v_and_or_b32 v4, v4, s0, v6
.LBB241_2192:
	s_mov_b64 s[0:1], 0
.LBB241_2193:
	s_andn2_b64 vcc, exec, s[0:1]
	s_cbranch_vccnz .LBB241_2228
; %bb.2194:
	s_cmp_lt_i32 s15, 6
	s_cbranch_scc1 .LBB241_2205
; %bb.2195:
	s_cmp_gt_i32 s15, 6
	s_cbranch_scc0 .LBB241_2206
; %bb.2196:
	global_load_dwordx2 v[6:7], v[0:1], off
	s_mov_b32 s0, 0x47800000
	s_waitcnt vmcnt(0)
	v_cvt_f32_f64_e32 v4, v[6:7]
                                        ; implicit-def: $vgpr6
	v_and_b32_e32 v7, 0x7fffffff, v4
	v_cmp_gt_u32_e32 vcc, s0, v7
	s_and_saveexec_b64 s[0:1], vcc
	s_xor_b64 s[0:1], exec, s[0:1]
	s_cbranch_execz .LBB241_2202
; %bb.2197:
	s_mov_b32 s2, 0x387fffff
	v_cmp_lt_u32_e32 vcc, s2, v7
                                        ; implicit-def: $vgpr6
	s_and_saveexec_b64 s[2:3], vcc
	s_xor_b64 s[2:3], exec, s[2:3]
; %bb.2198:
	v_bfe_u32 v6, v4, 21, 1
	s_mov_b32 s4, 0x80fffff
	v_add3_u32 v6, v4, v6, s4
	v_lshrrev_b32_e32 v6, 21, v6
; %bb.2199:
	s_andn2_saveexec_b64 s[2:3], s[2:3]
; %bb.2200:
	s_mov_b32 s4, 0x43000000
	v_add_f32_e64 v6, |v4|, s4
; %bb.2201:
	s_or_b64 exec, exec, s[2:3]
                                        ; implicit-def: $vgpr7
.LBB241_2202:
	s_andn2_saveexec_b64 s[0:1], s[0:1]
; %bb.2203:
	s_mov_b32 s2, 0x7f800000
	v_mov_b32_e32 v6, 0x7c
	v_mov_b32_e32 v8, 0x7f
	v_cmp_lt_u32_e32 vcc, s2, v7
	v_cndmask_b32_e32 v6, v6, v8, vcc
; %bb.2204:
	s_or_b64 exec, exec, s[0:1]
	v_lshrrev_b32_e32 v4, 24, v4
	s_movk_i32 s0, 0x80
	v_and_or_b32 v4, v4, s0, v6
	s_mov_b64 s[0:1], 0
	s_branch .LBB241_2207
.LBB241_2205:
	s_mov_b64 s[0:1], -1
                                        ; implicit-def: $vgpr4
	s_branch .LBB241_2218
.LBB241_2206:
	s_mov_b64 s[0:1], -1
                                        ; implicit-def: $vgpr4
.LBB241_2207:
	s_and_b64 vcc, exec, s[0:1]
	s_cbranch_vccz .LBB241_2217
; %bb.2208:
	global_load_dword v4, v[0:1], off
	s_mov_b32 s0, 0x47800000
                                        ; implicit-def: $vgpr6
	s_waitcnt vmcnt(0)
	v_and_b32_e32 v7, 0x7fffffff, v4
	v_cmp_gt_u32_e32 vcc, s0, v7
	s_and_saveexec_b64 s[0:1], vcc
	s_xor_b64 s[0:1], exec, s[0:1]
	s_cbranch_execz .LBB241_2214
; %bb.2209:
	s_mov_b32 s2, 0x387fffff
	v_cmp_lt_u32_e32 vcc, s2, v7
                                        ; implicit-def: $vgpr6
	s_and_saveexec_b64 s[2:3], vcc
	s_xor_b64 s[2:3], exec, s[2:3]
; %bb.2210:
	v_bfe_u32 v6, v4, 21, 1
	s_mov_b32 s4, 0x80fffff
	v_add3_u32 v6, v4, v6, s4
	v_lshrrev_b32_e32 v6, 21, v6
; %bb.2211:
	s_andn2_saveexec_b64 s[2:3], s[2:3]
; %bb.2212:
	s_mov_b32 s4, 0x43000000
	v_add_f32_e64 v6, |v4|, s4
; %bb.2213:
	s_or_b64 exec, exec, s[2:3]
                                        ; implicit-def: $vgpr7
.LBB241_2214:
	s_andn2_saveexec_b64 s[0:1], s[0:1]
; %bb.2215:
	s_mov_b32 s2, 0x7f800000
	v_mov_b32_e32 v6, 0x7c
	v_mov_b32_e32 v8, 0x7f
	v_cmp_lt_u32_e32 vcc, s2, v7
	v_cndmask_b32_e32 v6, v6, v8, vcc
; %bb.2216:
	s_or_b64 exec, exec, s[0:1]
	v_lshrrev_b32_e32 v4, 24, v4
	s_movk_i32 s0, 0x80
	v_and_or_b32 v4, v4, s0, v6
.LBB241_2217:
	s_mov_b64 s[0:1], 0
.LBB241_2218:
	s_andn2_b64 vcc, exec, s[0:1]
	s_cbranch_vccnz .LBB241_2228
; %bb.2219:
	global_load_ushort v4, v[0:1], off
	s_mov_b32 s0, 0x47800000
                                        ; implicit-def: $vgpr6
	s_waitcnt vmcnt(0)
	v_cvt_f32_f16_e32 v4, v4
	v_and_b32_e32 v7, 0x7fffffff, v4
	v_cmp_gt_u32_e32 vcc, s0, v7
	s_and_saveexec_b64 s[0:1], vcc
	s_xor_b64 s[0:1], exec, s[0:1]
	s_cbranch_execz .LBB241_2225
; %bb.2220:
	s_mov_b32 s2, 0x387fffff
	v_cmp_lt_u32_e32 vcc, s2, v7
                                        ; implicit-def: $vgpr6
	s_and_saveexec_b64 s[2:3], vcc
	s_xor_b64 s[2:3], exec, s[2:3]
; %bb.2221:
	v_bfe_u32 v6, v4, 21, 1
	s_mov_b32 s4, 0x80fffff
	v_add3_u32 v6, v4, v6, s4
	v_lshrrev_b32_e32 v6, 21, v6
; %bb.2222:
	s_andn2_saveexec_b64 s[2:3], s[2:3]
; %bb.2223:
	s_mov_b32 s4, 0x43000000
	v_add_f32_e64 v6, |v4|, s4
; %bb.2224:
	s_or_b64 exec, exec, s[2:3]
                                        ; implicit-def: $vgpr7
.LBB241_2225:
	s_andn2_saveexec_b64 s[0:1], s[0:1]
; %bb.2226:
	s_mov_b32 s2, 0x7f800000
	v_mov_b32_e32 v6, 0x7c
	v_mov_b32_e32 v8, 0x7f
	v_cmp_lt_u32_e32 vcc, s2, v7
	v_cndmask_b32_e32 v6, v6, v8, vcc
; %bb.2227:
	s_or_b64 exec, exec, s[0:1]
	v_lshrrev_b32_e32 v4, 24, v4
	s_movk_i32 s0, 0x80
	v_and_or_b32 v4, v4, s0, v6
.LBB241_2228:
	s_cbranch_execnz .LBB241_2288
.LBB241_2229:
	s_cmp_lt_i32 s15, 2
	s_cbranch_scc1 .LBB241_2241
; %bb.2230:
	s_cmp_lt_i32 s15, 3
	s_cbranch_scc1 .LBB241_2242
; %bb.2231:
	s_cmp_gt_i32 s15, 3
	s_cbranch_scc0 .LBB241_2243
; %bb.2232:
	global_load_dwordx2 v[6:7], v[0:1], off
	s_mov_b32 s0, 0x47800000
	s_waitcnt vmcnt(0)
	v_xor_b32_e32 v8, v6, v7
	v_ffbh_i32_e32 v4, v7
	v_ashrrev_i32_e32 v8, 31, v8
	v_add_u32_e32 v4, -1, v4
	v_add_u32_e32 v8, 32, v8
	v_min_u32_e32 v4, v4, v8
	v_lshlrev_b64 v[6:7], v4, v[6:7]
	v_sub_u32_e32 v4, 32, v4
	v_min_u32_e32 v6, 1, v6
	v_or_b32_e32 v6, v7, v6
	v_cvt_f32_i32_e32 v6, v6
	v_ldexp_f32 v4, v6, v4
	v_and_b32_e32 v7, 0x7fffffff, v4
	v_cmp_gt_u32_e32 vcc, s0, v7
                                        ; implicit-def: $vgpr6
	s_and_saveexec_b64 s[0:1], vcc
	s_xor_b64 s[0:1], exec, s[0:1]
	s_cbranch_execz .LBB241_2238
; %bb.2233:
	s_mov_b32 s2, 0x387fffff
	v_cmp_lt_u32_e32 vcc, s2, v7
                                        ; implicit-def: $vgpr6
	s_and_saveexec_b64 s[2:3], vcc
	s_xor_b64 s[2:3], exec, s[2:3]
; %bb.2234:
	v_bfe_u32 v6, v4, 21, 1
	s_mov_b32 s4, 0x80fffff
	v_add3_u32 v6, v4, v6, s4
	v_lshrrev_b32_e32 v6, 21, v6
; %bb.2235:
	s_andn2_saveexec_b64 s[2:3], s[2:3]
; %bb.2236:
	s_mov_b32 s4, 0x43000000
	v_add_f32_e64 v6, |v4|, s4
; %bb.2237:
	s_or_b64 exec, exec, s[2:3]
                                        ; implicit-def: $vgpr7
.LBB241_2238:
	s_andn2_saveexec_b64 s[0:1], s[0:1]
; %bb.2239:
	s_mov_b32 s2, 0x7f800000
	v_mov_b32_e32 v6, 0x7c
	v_mov_b32_e32 v8, 0x7f
	v_cmp_lt_u32_e32 vcc, s2, v7
	v_cndmask_b32_e32 v6, v6, v8, vcc
; %bb.2240:
	s_or_b64 exec, exec, s[0:1]
	v_lshrrev_b32_e32 v4, 24, v4
	s_movk_i32 s0, 0x80
	v_and_or_b32 v4, v4, s0, v6
	s_mov_b64 s[0:1], 0
	s_branch .LBB241_2244
.LBB241_2241:
	s_mov_b64 s[0:1], -1
                                        ; implicit-def: $vgpr4
	s_branch .LBB241_2266
.LBB241_2242:
	s_mov_b64 s[0:1], -1
                                        ; implicit-def: $vgpr4
	s_branch .LBB241_2255
.LBB241_2243:
	s_mov_b64 s[0:1], -1
                                        ; implicit-def: $vgpr4
.LBB241_2244:
	s_and_b64 vcc, exec, s[0:1]
	s_cbranch_vccz .LBB241_2254
; %bb.2245:
	global_load_dword v4, v[0:1], off
	s_mov_b32 s0, 0x47800000
                                        ; implicit-def: $vgpr6
	s_waitcnt vmcnt(0)
	v_cvt_f32_i32_e32 v4, v4
	v_and_b32_e32 v7, 0x7fffffff, v4
	v_cmp_gt_u32_e32 vcc, s0, v7
	s_and_saveexec_b64 s[0:1], vcc
	s_xor_b64 s[0:1], exec, s[0:1]
	s_cbranch_execz .LBB241_2251
; %bb.2246:
	s_mov_b32 s2, 0x387fffff
	v_cmp_lt_u32_e32 vcc, s2, v7
                                        ; implicit-def: $vgpr6
	s_and_saveexec_b64 s[2:3], vcc
	s_xor_b64 s[2:3], exec, s[2:3]
; %bb.2247:
	v_bfe_u32 v6, v4, 21, 1
	s_mov_b32 s4, 0x80fffff
	v_add3_u32 v6, v4, v6, s4
	v_lshrrev_b32_e32 v6, 21, v6
; %bb.2248:
	s_andn2_saveexec_b64 s[2:3], s[2:3]
; %bb.2249:
	s_mov_b32 s4, 0x43000000
	v_add_f32_e64 v6, |v4|, s4
; %bb.2250:
	s_or_b64 exec, exec, s[2:3]
                                        ; implicit-def: $vgpr7
.LBB241_2251:
	s_andn2_saveexec_b64 s[0:1], s[0:1]
; %bb.2252:
	s_mov_b32 s2, 0x7f800000
	v_mov_b32_e32 v6, 0x7c
	v_mov_b32_e32 v8, 0x7f
	v_cmp_lt_u32_e32 vcc, s2, v7
	v_cndmask_b32_e32 v6, v6, v8, vcc
; %bb.2253:
	s_or_b64 exec, exec, s[0:1]
	v_lshrrev_b32_e32 v4, 24, v4
	s_movk_i32 s0, 0x80
	v_and_or_b32 v4, v4, s0, v6
.LBB241_2254:
	s_mov_b64 s[0:1], 0
.LBB241_2255:
	s_andn2_b64 vcc, exec, s[0:1]
	s_cbranch_vccnz .LBB241_2265
; %bb.2256:
	global_load_sshort v4, v[0:1], off
	s_mov_b32 s0, 0x47800000
                                        ; implicit-def: $vgpr6
	s_waitcnt vmcnt(0)
	v_cvt_f32_i32_e32 v4, v4
	v_and_b32_e32 v7, 0x7fffffff, v4
	v_cmp_gt_u32_e32 vcc, s0, v7
	s_and_saveexec_b64 s[0:1], vcc
	s_xor_b64 s[0:1], exec, s[0:1]
	s_cbranch_execz .LBB241_2262
; %bb.2257:
	s_mov_b32 s2, 0x387fffff
	v_cmp_lt_u32_e32 vcc, s2, v7
                                        ; implicit-def: $vgpr6
	s_and_saveexec_b64 s[2:3], vcc
	s_xor_b64 s[2:3], exec, s[2:3]
; %bb.2258:
	v_bfe_u32 v6, v4, 21, 1
	s_mov_b32 s4, 0x80fffff
	v_add3_u32 v6, v4, v6, s4
	v_lshrrev_b32_e32 v6, 21, v6
; %bb.2259:
	s_andn2_saveexec_b64 s[2:3], s[2:3]
; %bb.2260:
	s_mov_b32 s4, 0x43000000
	v_add_f32_e64 v6, |v4|, s4
; %bb.2261:
	s_or_b64 exec, exec, s[2:3]
                                        ; implicit-def: $vgpr7
.LBB241_2262:
	s_andn2_saveexec_b64 s[0:1], s[0:1]
; %bb.2263:
	s_mov_b32 s2, 0x7f800000
	v_mov_b32_e32 v6, 0x7c
	v_mov_b32_e32 v8, 0x7f
	v_cmp_lt_u32_e32 vcc, s2, v7
	v_cndmask_b32_e32 v6, v6, v8, vcc
; %bb.2264:
	s_or_b64 exec, exec, s[0:1]
	v_lshrrev_b32_e32 v4, 24, v4
	s_movk_i32 s0, 0x80
	v_and_or_b32 v4, v4, s0, v6
.LBB241_2265:
	s_mov_b64 s[0:1], 0
.LBB241_2266:
	s_andn2_b64 vcc, exec, s[0:1]
	s_cbranch_vccnz .LBB241_2288
; %bb.2267:
	s_cmp_gt_i32 s15, 0
	s_cbranch_scc0 .LBB241_2277
; %bb.2268:
	global_load_sbyte v4, v[0:1], off
	s_mov_b32 s0, 0x47800000
                                        ; implicit-def: $vgpr6
	s_waitcnt vmcnt(0)
	v_cvt_f32_i32_e32 v4, v4
	v_and_b32_e32 v7, 0x7fffffff, v4
	v_cmp_gt_u32_e32 vcc, s0, v7
	s_and_saveexec_b64 s[0:1], vcc
	s_xor_b64 s[0:1], exec, s[0:1]
	s_cbranch_execz .LBB241_2274
; %bb.2269:
	s_mov_b32 s2, 0x387fffff
	v_cmp_lt_u32_e32 vcc, s2, v7
                                        ; implicit-def: $vgpr6
	s_and_saveexec_b64 s[2:3], vcc
	s_xor_b64 s[2:3], exec, s[2:3]
; %bb.2270:
	v_bfe_u32 v6, v4, 21, 1
	s_mov_b32 s4, 0x80fffff
	v_add3_u32 v6, v4, v6, s4
	v_lshrrev_b32_e32 v6, 21, v6
; %bb.2271:
	s_andn2_saveexec_b64 s[2:3], s[2:3]
; %bb.2272:
	s_mov_b32 s4, 0x43000000
	v_add_f32_e64 v6, |v4|, s4
; %bb.2273:
	s_or_b64 exec, exec, s[2:3]
                                        ; implicit-def: $vgpr7
.LBB241_2274:
	s_andn2_saveexec_b64 s[0:1], s[0:1]
; %bb.2275:
	s_mov_b32 s2, 0x7f800000
	v_mov_b32_e32 v6, 0x7c
	v_mov_b32_e32 v8, 0x7f
	v_cmp_lt_u32_e32 vcc, s2, v7
	v_cndmask_b32_e32 v6, v6, v8, vcc
; %bb.2276:
	s_or_b64 exec, exec, s[0:1]
	v_lshrrev_b32_e32 v4, 24, v4
	s_movk_i32 s0, 0x80
	v_and_or_b32 v4, v4, s0, v6
	s_mov_b64 s[0:1], 0
	s_branch .LBB241_2278
.LBB241_2277:
	s_mov_b64 s[0:1], -1
                                        ; implicit-def: $vgpr4
.LBB241_2278:
	s_and_b64 vcc, exec, s[0:1]
	s_cbranch_vccz .LBB241_2288
; %bb.2279:
	global_load_ubyte v0, v[0:1], off
	s_mov_b32 s0, 0x47800000
                                        ; implicit-def: $vgpr4
	s_waitcnt vmcnt(0)
	v_cvt_f32_ubyte0_e32 v0, v0
	v_cmp_gt_u32_e32 vcc, s0, v0
	s_and_saveexec_b64 s[0:1], vcc
	s_xor_b64 s[0:1], exec, s[0:1]
	s_cbranch_execz .LBB241_2285
; %bb.2280:
	s_mov_b32 s2, 0x387fffff
	v_cmp_lt_u32_e32 vcc, s2, v0
                                        ; implicit-def: $vgpr4
	s_and_saveexec_b64 s[2:3], vcc
	s_xor_b64 s[2:3], exec, s[2:3]
; %bb.2281:
	v_bfe_u32 v1, v0, 21, 1
	s_mov_b32 s4, 0x80fffff
	v_add3_u32 v0, v0, v1, s4
	v_lshrrev_b32_e32 v4, 21, v0
                                        ; implicit-def: $vgpr0
; %bb.2282:
	s_andn2_saveexec_b64 s[2:3], s[2:3]
; %bb.2283:
	v_add_f32_e32 v4, 0x43000000, v0
; %bb.2284:
	s_or_b64 exec, exec, s[2:3]
                                        ; implicit-def: $vgpr0
.LBB241_2285:
	s_andn2_saveexec_b64 s[0:1], s[0:1]
; %bb.2286:
	s_mov_b32 s2, 0x7f800000
	v_mov_b32_e32 v1, 0x7c
	v_mov_b32_e32 v4, 0x7f
	v_cmp_lt_u32_e32 vcc, s2, v0
	v_cndmask_b32_e32 v4, v1, v4, vcc
; %bb.2287:
	s_or_b64 exec, exec, s[0:1]
.LBB241_2288:
.LBB241_2289:
	v_add_u32_e32 v6, s13, v5
	v_ashrrev_i32_e32 v1, 31, v6
	v_mov_b32_e32 v5, s11
	v_add_co_u32_e32 v0, vcc, s10, v6
	s_cmp_lt_i32 s15, 11
	v_addc_co_u32_e32 v1, vcc, v5, v1, vcc
	s_cbranch_scc1 .LBB241_2304
; %bb.2290:
	s_cmp_gt_i32 s15, 25
	s_mov_b64 s[2:3], 0
	s_cbranch_scc0 .LBB241_2306
; %bb.2291:
	s_cmp_gt_i32 s15, 28
	s_cbranch_scc0 .LBB241_2307
; %bb.2292:
	s_cmp_gt_i32 s15, 43
	;; [unrolled: 3-line block ×3, first 2 shown]
	s_cbranch_scc0 .LBB241_2310
; %bb.2294:
	s_cmp_eq_u32 s15, 46
	s_mov_b64 s[6:7], 0
	s_cbranch_scc0 .LBB241_2311
; %bb.2295:
	global_load_dword v5, v[0:1], off
	s_mov_b32 s0, 0x47800000
                                        ; implicit-def: $vgpr7
	s_waitcnt vmcnt(0)
	v_lshlrev_b32_e32 v5, 16, v5
	v_and_b32_e32 v8, 0x7fffffff, v5
	v_cmp_gt_u32_e32 vcc, s0, v8
	s_and_saveexec_b64 s[0:1], vcc
	s_xor_b64 s[0:1], exec, s[0:1]
	s_cbranch_execz .LBB241_2301
; %bb.2296:
	s_mov_b32 s4, 0x387fffff
	v_cmp_lt_u32_e32 vcc, s4, v8
                                        ; implicit-def: $vgpr7
	s_and_saveexec_b64 s[4:5], vcc
	s_xor_b64 s[4:5], exec, s[4:5]
; %bb.2297:
	v_bfe_u32 v7, v5, 21, 1
	s_mov_b32 s24, 0x80fffff
	v_add3_u32 v7, v5, v7, s24
	v_lshrrev_b32_e32 v7, 21, v7
; %bb.2298:
	s_andn2_saveexec_b64 s[4:5], s[4:5]
; %bb.2299:
	s_mov_b32 s24, 0x43000000
	v_add_f32_e64 v7, |v5|, s24
; %bb.2300:
	s_or_b64 exec, exec, s[4:5]
                                        ; implicit-def: $vgpr8
.LBB241_2301:
	s_andn2_saveexec_b64 s[0:1], s[0:1]
; %bb.2302:
	s_mov_b32 s4, 0x7f800000
	v_mov_b32_e32 v7, 0x7c
	v_mov_b32_e32 v9, 0x7f
	v_cmp_lt_u32_e32 vcc, s4, v8
	v_cndmask_b32_e32 v7, v7, v9, vcc
; %bb.2303:
	s_or_b64 exec, exec, s[0:1]
	v_lshrrev_b32_e32 v5, 24, v5
	s_movk_i32 s0, 0x80
	v_and_or_b32 v5, v5, s0, v7
	s_mov_b64 s[0:1], 0
	s_mov_b64 s[4:5], -1
	s_branch .LBB241_2312
.LBB241_2304:
	s_mov_b64 s[4:5], 0
                                        ; implicit-def: $vgpr5
	s_cbranch_execnz .LBB241_2450
.LBB241_2305:
	s_andn2_b64 vcc, exec, s[4:5]
	s_cbranch_vccnz .LBB241_3317
	s_branch .LBB241_2586
.LBB241_2306:
	s_mov_b64 s[6:7], -1
	s_mov_b64 s[4:5], 0
	s_mov_b64 s[0:1], 0
                                        ; implicit-def: $vgpr5
	s_branch .LBB241_2381
.LBB241_2307:
	s_mov_b64 s[6:7], -1
	s_mov_b64 s[4:5], 0
                                        ; implicit-def: $vgpr5
	s_mov_b64 s[0:1], 0
	s_branch .LBB241_2338
.LBB241_2308:
	s_mov_b64 s[6:7], -1
	s_mov_b64 s[4:5], 0
	s_mov_b64 s[0:1], 0
                                        ; implicit-def: $vgpr5
	s_branch .LBB241_2325
.LBB241_2309:
	s_trap 2
	s_or_b64 s[22:23], s[22:23], exec
	s_cbranch_execz .LBB241_2144
	s_branch .LBB241_2153
.LBB241_2310:
	s_mov_b64 s[6:7], -1
	s_mov_b64 s[4:5], 0
	s_mov_b64 s[0:1], 0
                                        ; implicit-def: $vgpr5
	s_branch .LBB241_2312
.LBB241_2311:
	s_mov_b64 s[0:1], -1
                                        ; implicit-def: $vgpr5
	s_mov_b64 s[4:5], 0
.LBB241_2312:
	s_and_b64 vcc, exec, s[6:7]
	s_cbranch_vccz .LBB241_2324
; %bb.2313:
	s_cmp_eq_u32 s15, 44
	s_cbranch_scc0 .LBB241_2323
; %bb.2314:
	global_load_ubyte v5, v[0:1], off
	s_movk_i32 s0, 0xff
	v_mov_b32_e32 v7, 0x7f800001
	v_mov_b32_e32 v8, 0x400000
	s_waitcnt vmcnt(0)
	v_lshlrev_b32_e32 v9, 23, v5
	v_cmp_ne_u32_e32 vcc, s0, v5
	v_cndmask_b32_e32 v7, v7, v9, vcc
	v_cmp_ne_u32_e32 vcc, 0, v5
	v_cndmask_b32_e32 v7, v8, v7, vcc
	s_mov_b32 s0, 0x47800000
	v_cmp_gt_u32_e32 vcc, s0, v7
                                        ; implicit-def: $vgpr5
	s_and_saveexec_b64 s[0:1], vcc
	s_xor_b64 s[0:1], exec, s[0:1]
	s_cbranch_execz .LBB241_2320
; %bb.2315:
	s_mov_b32 s4, 0x387fffff
	v_cmp_lt_u32_e32 vcc, s4, v7
                                        ; implicit-def: $vgpr5
	s_and_saveexec_b64 s[4:5], vcc
	s_xor_b64 s[4:5], exec, s[4:5]
; %bb.2316:
	v_bfe_u32 v5, v7, 21, 1
	s_mov_b32 s6, 0x80fffff
	v_add3_u32 v5, v7, v5, s6
	v_lshrrev_b32_e32 v5, 21, v5
                                        ; implicit-def: $vgpr7
; %bb.2317:
	s_andn2_saveexec_b64 s[4:5], s[4:5]
; %bb.2318:
	v_add_f32_e32 v5, 0x43000000, v7
; %bb.2319:
	s_or_b64 exec, exec, s[4:5]
                                        ; implicit-def: $vgpr7
.LBB241_2320:
	s_andn2_saveexec_b64 s[0:1], s[0:1]
; %bb.2321:
	s_mov_b32 s4, 0x7f800000
	v_mov_b32_e32 v5, 0x7c
	v_mov_b32_e32 v8, 0x7f
	v_cmp_lt_u32_e32 vcc, s4, v7
	v_cndmask_b32_e32 v5, v5, v8, vcc
; %bb.2322:
	s_or_b64 exec, exec, s[0:1]
	s_mov_b64 s[0:1], 0
	s_mov_b64 s[4:5], -1
	s_branch .LBB241_2324
.LBB241_2323:
	s_mov_b64 s[0:1], -1
                                        ; implicit-def: $vgpr5
.LBB241_2324:
	s_mov_b64 s[6:7], 0
.LBB241_2325:
	s_and_b64 vcc, exec, s[6:7]
	s_cbranch_vccz .LBB241_2337
; %bb.2326:
	s_cmp_eq_u32 s15, 29
	s_cbranch_scc0 .LBB241_2336
; %bb.2327:
	global_load_dwordx2 v[7:8], v[0:1], off
	s_mov_b32 s0, 0x47800000
	s_waitcnt vmcnt(0)
	v_ffbh_u32_e32 v5, v8
	v_min_u32_e32 v5, 32, v5
	v_lshlrev_b64 v[7:8], v5, v[7:8]
	v_sub_u32_e32 v5, 32, v5
	v_min_u32_e32 v7, 1, v7
	v_or_b32_e32 v7, v8, v7
	v_cvt_f32_u32_e32 v7, v7
	v_ldexp_f32 v7, v7, v5
	v_cmp_gt_u32_e32 vcc, s0, v7
                                        ; implicit-def: $vgpr5
	s_and_saveexec_b64 s[0:1], vcc
	s_xor_b64 s[0:1], exec, s[0:1]
	s_cbranch_execz .LBB241_2333
; %bb.2328:
	s_mov_b32 s4, 0x387fffff
	v_cmp_lt_u32_e32 vcc, s4, v7
                                        ; implicit-def: $vgpr5
	s_and_saveexec_b64 s[4:5], vcc
	s_xor_b64 s[4:5], exec, s[4:5]
; %bb.2329:
	v_bfe_u32 v5, v7, 21, 1
	s_mov_b32 s6, 0x80fffff
	v_add3_u32 v5, v7, v5, s6
	v_lshrrev_b32_e32 v5, 21, v5
                                        ; implicit-def: $vgpr7
; %bb.2330:
	s_andn2_saveexec_b64 s[4:5], s[4:5]
; %bb.2331:
	v_add_f32_e32 v5, 0x43000000, v7
; %bb.2332:
	s_or_b64 exec, exec, s[4:5]
                                        ; implicit-def: $vgpr7
.LBB241_2333:
	s_andn2_saveexec_b64 s[0:1], s[0:1]
; %bb.2334:
	s_mov_b32 s4, 0x7f800000
	v_mov_b32_e32 v5, 0x7c
	v_mov_b32_e32 v8, 0x7f
	v_cmp_lt_u32_e32 vcc, s4, v7
	v_cndmask_b32_e32 v5, v5, v8, vcc
; %bb.2335:
	s_or_b64 exec, exec, s[0:1]
	s_mov_b64 s[0:1], 0
	s_mov_b64 s[4:5], -1
	s_branch .LBB241_2337
.LBB241_2336:
	s_mov_b64 s[0:1], -1
                                        ; implicit-def: $vgpr5
.LBB241_2337:
	s_mov_b64 s[6:7], 0
.LBB241_2338:
	s_and_b64 vcc, exec, s[6:7]
	s_cbranch_vccz .LBB241_2380
; %bb.2339:
	s_cmp_lt_i32 s15, 27
	s_cbranch_scc1 .LBB241_2350
; %bb.2340:
	s_cmp_gt_i32 s15, 27
	s_cbranch_scc0 .LBB241_2351
; %bb.2341:
	global_load_dword v5, v[0:1], off
	s_mov_b32 s4, 0x47800000
	s_waitcnt vmcnt(0)
	v_cvt_f32_u32_e32 v7, v5
                                        ; implicit-def: $vgpr5
	v_cmp_gt_u32_e32 vcc, s4, v7
	s_and_saveexec_b64 s[4:5], vcc
	s_xor_b64 s[4:5], exec, s[4:5]
	s_cbranch_execz .LBB241_2347
; %bb.2342:
	s_mov_b32 s6, 0x387fffff
	v_cmp_lt_u32_e32 vcc, s6, v7
                                        ; implicit-def: $vgpr5
	s_and_saveexec_b64 s[6:7], vcc
	s_xor_b64 s[6:7], exec, s[6:7]
; %bb.2343:
	v_bfe_u32 v5, v7, 21, 1
	s_mov_b32 s24, 0x80fffff
	v_add3_u32 v5, v7, v5, s24
	v_lshrrev_b32_e32 v5, 21, v5
                                        ; implicit-def: $vgpr7
; %bb.2344:
	s_andn2_saveexec_b64 s[6:7], s[6:7]
; %bb.2345:
	v_add_f32_e32 v5, 0x43000000, v7
; %bb.2346:
	s_or_b64 exec, exec, s[6:7]
                                        ; implicit-def: $vgpr7
.LBB241_2347:
	s_andn2_saveexec_b64 s[4:5], s[4:5]
; %bb.2348:
	s_mov_b32 s6, 0x7f800000
	v_mov_b32_e32 v5, 0x7c
	v_mov_b32_e32 v8, 0x7f
	v_cmp_lt_u32_e32 vcc, s6, v7
	v_cndmask_b32_e32 v5, v5, v8, vcc
; %bb.2349:
	s_or_b64 exec, exec, s[4:5]
	s_mov_b64 s[4:5], 0
	s_branch .LBB241_2352
.LBB241_2350:
	s_mov_b64 s[4:5], -1
                                        ; implicit-def: $vgpr5
	s_branch .LBB241_2363
.LBB241_2351:
	s_mov_b64 s[4:5], -1
                                        ; implicit-def: $vgpr5
.LBB241_2352:
	s_and_b64 vcc, exec, s[4:5]
	s_cbranch_vccz .LBB241_2362
; %bb.2353:
	global_load_ushort v5, v[0:1], off
	s_mov_b32 s4, 0x47800000
	s_waitcnt vmcnt(0)
	v_cvt_f32_u32_e32 v7, v5
                                        ; implicit-def: $vgpr5
	v_cmp_gt_u32_e32 vcc, s4, v7
	s_and_saveexec_b64 s[4:5], vcc
	s_xor_b64 s[4:5], exec, s[4:5]
	s_cbranch_execz .LBB241_2359
; %bb.2354:
	s_mov_b32 s6, 0x387fffff
	v_cmp_lt_u32_e32 vcc, s6, v7
                                        ; implicit-def: $vgpr5
	s_and_saveexec_b64 s[6:7], vcc
	s_xor_b64 s[6:7], exec, s[6:7]
; %bb.2355:
	v_bfe_u32 v5, v7, 21, 1
	s_mov_b32 s24, 0x80fffff
	v_add3_u32 v5, v7, v5, s24
	v_lshrrev_b32_e32 v5, 21, v5
                                        ; implicit-def: $vgpr7
; %bb.2356:
	s_andn2_saveexec_b64 s[6:7], s[6:7]
; %bb.2357:
	v_add_f32_e32 v5, 0x43000000, v7
; %bb.2358:
	s_or_b64 exec, exec, s[6:7]
                                        ; implicit-def: $vgpr7
.LBB241_2359:
	s_andn2_saveexec_b64 s[4:5], s[4:5]
; %bb.2360:
	s_mov_b32 s6, 0x7f800000
	v_mov_b32_e32 v5, 0x7c
	v_mov_b32_e32 v8, 0x7f
	v_cmp_lt_u32_e32 vcc, s6, v7
	v_cndmask_b32_e32 v5, v5, v8, vcc
; %bb.2361:
	s_or_b64 exec, exec, s[4:5]
.LBB241_2362:
	s_mov_b64 s[4:5], 0
.LBB241_2363:
	s_andn2_b64 vcc, exec, s[4:5]
	s_cbranch_vccnz .LBB241_2379
; %bb.2364:
	global_load_ubyte v7, v[0:1], off
	s_movk_i32 s4, 0x7f
	s_waitcnt vmcnt(0)
	v_cmp_lt_i16_e32 vcc, s4, v7
	s_mov_b64 s[4:5], 0
	s_and_saveexec_b64 s[6:7], vcc
	s_xor_b64 s[6:7], exec, s[6:7]
	s_cbranch_execz .LBB241_2401
; %bb.2365:
	s_movk_i32 s4, 0x80
	v_cmp_eq_u16_e32 vcc, s4, v7
	s_mov_b64 s[4:5], -1
	s_and_saveexec_b64 s[24:25], vcc
; %bb.2366:
	s_xor_b64 s[4:5], exec, -1
; %bb.2367:
	s_or_b64 exec, exec, s[24:25]
	s_and_b64 s[4:5], s[4:5], exec
	s_or_saveexec_b64 s[6:7], s[6:7]
	v_mov_b32_e32 v5, 0x7f800001
	s_xor_b64 exec, exec, s[6:7]
	s_cbranch_execnz .LBB241_2402
.LBB241_2368:
	s_or_b64 exec, exec, s[6:7]
	s_and_saveexec_b64 s[6:7], s[4:5]
	s_cbranch_execz .LBB241_2370
.LBB241_2369:
	v_lshlrev_b32_e32 v5, 24, v7
	v_and_b32_e32 v7, 0xffff, v7
	v_and_b32_e32 v8, 7, v7
	v_ffbh_u32_e32 v10, v8
	v_min_u32_e32 v10, 32, v10
	v_subrev_u32_e32 v11, 28, v10
	v_bfe_u32 v9, v7, 3, 4
	v_lshlrev_b32_e32 v7, v11, v7
	v_sub_u32_e32 v10, 29, v10
	v_and_b32_e32 v7, 7, v7
	v_cmp_eq_u32_e32 vcc, 0, v9
	v_cndmask_b32_e32 v9, v9, v10, vcc
	v_cndmask_b32_e32 v7, v8, v7, vcc
	v_mov_b32_e32 v8, 0x3b800000
	v_lshlrev_b32_e32 v7, 20, v7
	v_and_b32_e32 v5, 0x80000000, v5
	v_lshl_add_u32 v8, v9, 23, v8
	v_or3_b32 v5, v5, v8, v7
.LBB241_2370:
	s_or_b64 exec, exec, s[6:7]
	v_and_b32_e32 v8, 0x7fffffff, v5
	s_mov_b32 s4, 0x47800000
	v_cmp_gt_u32_e32 vcc, s4, v8
                                        ; implicit-def: $vgpr7
	s_and_saveexec_b64 s[4:5], vcc
	s_xor_b64 s[4:5], exec, s[4:5]
	s_cbranch_execz .LBB241_2376
; %bb.2371:
	s_mov_b32 s6, 0x387fffff
	v_cmp_lt_u32_e32 vcc, s6, v8
                                        ; implicit-def: $vgpr7
	s_and_saveexec_b64 s[6:7], vcc
	s_xor_b64 s[6:7], exec, s[6:7]
; %bb.2372:
	v_bfe_u32 v7, v5, 21, 1
	s_mov_b32 s24, 0x80fffff
	v_add3_u32 v7, v5, v7, s24
	v_lshrrev_b32_e32 v7, 21, v7
; %bb.2373:
	s_andn2_saveexec_b64 s[6:7], s[6:7]
; %bb.2374:
	s_mov_b32 s24, 0x43000000
	v_add_f32_e64 v7, |v5|, s24
; %bb.2375:
	s_or_b64 exec, exec, s[6:7]
                                        ; implicit-def: $vgpr8
.LBB241_2376:
	s_andn2_saveexec_b64 s[4:5], s[4:5]
; %bb.2377:
	s_mov_b32 s6, 0x7f800000
	v_mov_b32_e32 v7, 0x7c
	v_mov_b32_e32 v9, 0x7f
	v_cmp_lt_u32_e32 vcc, s6, v8
	v_cndmask_b32_e32 v7, v7, v9, vcc
; %bb.2378:
	s_or_b64 exec, exec, s[4:5]
	v_lshrrev_b32_e32 v5, 24, v5
	s_movk_i32 s4, 0x80
	v_and_or_b32 v5, v5, s4, v7
.LBB241_2379:
	s_mov_b64 s[4:5], -1
.LBB241_2380:
	s_mov_b64 s[6:7], 0
.LBB241_2381:
	s_and_b64 vcc, exec, s[6:7]
	s_cbranch_vccz .LBB241_2438
; %bb.2382:
	s_cmp_gt_i32 s15, 22
	s_cbranch_scc0 .LBB241_2400
; %bb.2383:
	s_cmp_lt_i32 s15, 24
	s_cbranch_scc1 .LBB241_2403
; %bb.2384:
	s_cmp_gt_i32 s15, 24
	s_cbranch_scc0 .LBB241_2404
; %bb.2385:
	global_load_ubyte v7, v[0:1], off
	s_movk_i32 s2, 0x7f
	s_waitcnt vmcnt(0)
	v_cmp_lt_i16_e32 vcc, s2, v7
	s_mov_b64 s[2:3], 0
	s_and_saveexec_b64 s[4:5], vcc
	s_xor_b64 s[4:5], exec, s[4:5]
	s_cbranch_execz .LBB241_2432
; %bb.2386:
	s_movk_i32 s2, 0x80
	v_cmp_eq_u16_e32 vcc, s2, v7
	s_mov_b64 s[2:3], -1
	s_and_saveexec_b64 s[6:7], vcc
; %bb.2387:
	s_xor_b64 s[2:3], exec, -1
; %bb.2388:
	s_or_b64 exec, exec, s[6:7]
	s_and_b64 s[2:3], s[2:3], exec
	s_or_saveexec_b64 s[4:5], s[4:5]
	v_mov_b32_e32 v5, 0x7f800001
	s_xor_b64 exec, exec, s[4:5]
	s_cbranch_execnz .LBB241_2433
.LBB241_2389:
	s_or_b64 exec, exec, s[4:5]
	s_and_saveexec_b64 s[4:5], s[2:3]
	s_cbranch_execz .LBB241_2391
.LBB241_2390:
	v_lshlrev_b32_e32 v5, 24, v7
	v_and_b32_e32 v7, 0xffff, v7
	v_and_b32_e32 v8, 3, v7
	v_ffbh_u32_e32 v10, v8
	v_min_u32_e32 v10, 32, v10
	v_subrev_u32_e32 v11, 29, v10
	v_bfe_u32 v9, v7, 2, 5
	v_lshlrev_b32_e32 v7, v11, v7
	v_sub_u32_e32 v10, 30, v10
	v_and_b32_e32 v7, 3, v7
	v_cmp_eq_u32_e32 vcc, 0, v9
	v_cndmask_b32_e32 v9, v9, v10, vcc
	v_cndmask_b32_e32 v7, v8, v7, vcc
	v_mov_b32_e32 v8, 0x37800000
	v_lshlrev_b32_e32 v7, 21, v7
	v_and_b32_e32 v5, 0x80000000, v5
	v_lshl_add_u32 v8, v9, 23, v8
	v_or3_b32 v5, v5, v8, v7
.LBB241_2391:
	s_or_b64 exec, exec, s[4:5]
	v_and_b32_e32 v8, 0x7fffffff, v5
	s_mov_b32 s2, 0x47800000
	v_cmp_gt_u32_e32 vcc, s2, v8
                                        ; implicit-def: $vgpr7
	s_and_saveexec_b64 s[2:3], vcc
	s_xor_b64 s[2:3], exec, s[2:3]
	s_cbranch_execz .LBB241_2397
; %bb.2392:
	s_mov_b32 s4, 0x387fffff
	v_cmp_lt_u32_e32 vcc, s4, v8
                                        ; implicit-def: $vgpr7
	s_and_saveexec_b64 s[4:5], vcc
	s_xor_b64 s[4:5], exec, s[4:5]
; %bb.2393:
	v_bfe_u32 v7, v5, 21, 1
	s_mov_b32 s6, 0x80fffff
	v_add3_u32 v7, v5, v7, s6
	v_lshrrev_b32_e32 v7, 21, v7
; %bb.2394:
	s_andn2_saveexec_b64 s[4:5], s[4:5]
; %bb.2395:
	s_mov_b32 s6, 0x43000000
	v_add_f32_e64 v7, |v5|, s6
; %bb.2396:
	s_or_b64 exec, exec, s[4:5]
                                        ; implicit-def: $vgpr8
.LBB241_2397:
	s_andn2_saveexec_b64 s[2:3], s[2:3]
; %bb.2398:
	s_mov_b32 s4, 0x7f800000
	v_mov_b32_e32 v7, 0x7c
	v_mov_b32_e32 v9, 0x7f
	v_cmp_lt_u32_e32 vcc, s4, v8
	v_cndmask_b32_e32 v7, v7, v9, vcc
; %bb.2399:
	s_or_b64 exec, exec, s[2:3]
	v_lshrrev_b32_e32 v5, 24, v5
	s_movk_i32 s2, 0x80
	v_and_or_b32 v5, v5, s2, v7
	s_mov_b64 s[2:3], 0
	s_branch .LBB241_2405
.LBB241_2400:
	s_mov_b64 s[2:3], -1
                                        ; implicit-def: $vgpr5
	s_branch .LBB241_2419
.LBB241_2401:
	s_or_saveexec_b64 s[6:7], s[6:7]
	v_mov_b32_e32 v5, 0x7f800001
	s_xor_b64 exec, exec, s[6:7]
	s_cbranch_execz .LBB241_2368
.LBB241_2402:
	v_cmp_ne_u16_e32 vcc, 0, v7
	s_andn2_b64 s[4:5], s[4:5], exec
	s_and_b64 s[24:25], vcc, exec
	v_mov_b32_e32 v5, 0
	s_or_b64 s[4:5], s[4:5], s[24:25]
	s_or_b64 exec, exec, s[6:7]
	s_and_saveexec_b64 s[6:7], s[4:5]
	s_cbranch_execnz .LBB241_2369
	s_branch .LBB241_2370
.LBB241_2403:
	s_mov_b64 s[2:3], -1
                                        ; implicit-def: $vgpr5
	s_branch .LBB241_2416
.LBB241_2404:
	s_mov_b64 s[2:3], -1
                                        ; implicit-def: $vgpr5
.LBB241_2405:
	s_and_b64 vcc, exec, s[2:3]
	s_cbranch_vccz .LBB241_2415
; %bb.2406:
	global_load_ubyte v5, v[0:1], off
	s_mov_b32 s2, 0x7f800000
	s_brev_b32 s3, 1
	s_waitcnt vmcnt(0)
	v_lshlrev_b32_e32 v5, 24, v5
	v_and_b32_e32 v7, 0x7f000000, v5
	v_ffbh_u32_e32 v8, v7
	v_min_u32_e32 v8, 32, v8
	v_sub_u32_e64 v8, v8, 4 clamp
	v_lshlrev_b32_e32 v10, v8, v7
	v_lshlrev_b32_e32 v8, 23, v8
	v_lshrrev_b32_e32 v10, 4, v10
	v_add_u32_e32 v9, 0x1000000, v7
	v_sub_u32_e32 v8, v10, v8
	v_ashrrev_i32_e32 v9, 8, v9
	v_add_u32_e32 v8, 0x3c000000, v8
	v_and_or_b32 v8, v9, s2, v8
	v_cmp_ne_u32_e32 vcc, 0, v7
	v_cndmask_b32_e32 v9, 0, v8, vcc
	v_and_or_b32 v5, v5, s3, v9
	v_and_b32_e32 v8, 0x7fffffff, v5
	s_mov_b32 s2, 0x47800000
	v_cmp_gt_u32_e32 vcc, s2, v8
                                        ; implicit-def: $vgpr7
	s_and_saveexec_b64 s[2:3], vcc
	s_xor_b64 s[2:3], exec, s[2:3]
	s_cbranch_execz .LBB241_2412
; %bb.2407:
	s_mov_b32 s4, 0x387fffff
	v_cmp_lt_u32_e32 vcc, s4, v8
                                        ; implicit-def: $vgpr7
	s_and_saveexec_b64 s[4:5], vcc
	s_xor_b64 s[4:5], exec, s[4:5]
; %bb.2408:
	v_bfe_u32 v7, v9, 21, 1
	s_mov_b32 s6, 0x80fffff
	v_add3_u32 v7, v5, v7, s6
	v_lshrrev_b32_e32 v7, 21, v7
; %bb.2409:
	s_andn2_saveexec_b64 s[4:5], s[4:5]
; %bb.2410:
	s_mov_b32 s6, 0x43000000
	v_add_f32_e64 v7, |v5|, s6
; %bb.2411:
	s_or_b64 exec, exec, s[4:5]
                                        ; implicit-def: $vgpr8
.LBB241_2412:
	s_andn2_saveexec_b64 s[2:3], s[2:3]
; %bb.2413:
	s_mov_b32 s4, 0x7f800000
	v_mov_b32_e32 v7, 0x7c
	v_mov_b32_e32 v9, 0x7f
	v_cmp_lt_u32_e32 vcc, s4, v8
	v_cndmask_b32_e32 v7, v7, v9, vcc
; %bb.2414:
	s_or_b64 exec, exec, s[2:3]
	v_lshrrev_b32_e32 v5, 24, v5
	s_movk_i32 s2, 0x80
	v_and_or_b32 v5, v5, s2, v7
.LBB241_2415:
	s_mov_b64 s[2:3], 0
.LBB241_2416:
	s_andn2_b64 vcc, exec, s[2:3]
	s_cbranch_vccnz .LBB241_2418
; %bb.2417:
	global_load_ubyte v5, v[0:1], off
.LBB241_2418:
	s_mov_b64 s[2:3], 0
	s_mov_b64 s[4:5], -1
.LBB241_2419:
	s_andn2_b64 vcc, exec, s[2:3]
	s_mov_b64 s[2:3], 0
	s_cbranch_vccnz .LBB241_2438
; %bb.2420:
	s_cmp_gt_i32 s15, 14
	s_cbranch_scc0 .LBB241_2431
; %bb.2421:
	s_cmp_eq_u32 s15, 15
	s_cbranch_scc0 .LBB241_2434
; %bb.2422:
	global_load_ushort v5, v[0:1], off
	s_mov_b32 s0, 0x47800000
                                        ; implicit-def: $vgpr7
	s_waitcnt vmcnt(0)
	v_lshlrev_b32_e32 v8, 16, v5
	v_and_b32_e32 v9, 0x7fffffff, v8
	v_cmp_gt_u32_e32 vcc, s0, v9
	s_and_saveexec_b64 s[0:1], vcc
	s_xor_b64 s[0:1], exec, s[0:1]
	s_cbranch_execz .LBB241_2428
; %bb.2423:
	s_mov_b32 s2, 0x387fffff
	v_cmp_lt_u32_e32 vcc, s2, v9
                                        ; implicit-def: $vgpr7
	s_and_saveexec_b64 s[2:3], vcc
	s_xor_b64 s[2:3], exec, s[2:3]
; %bb.2424:
	v_bfe_u32 v7, v5, 5, 1
	s_mov_b32 s4, 0x80fffff
	v_add3_u32 v7, v8, v7, s4
	v_lshrrev_b32_e32 v7, 21, v7
                                        ; implicit-def: $vgpr8
; %bb.2425:
	s_andn2_saveexec_b64 s[2:3], s[2:3]
; %bb.2426:
	s_mov_b32 s4, 0x43000000
	v_add_f32_e64 v7, |v8|, s4
; %bb.2427:
	s_or_b64 exec, exec, s[2:3]
                                        ; implicit-def: $vgpr9
.LBB241_2428:
	s_andn2_saveexec_b64 s[0:1], s[0:1]
; %bb.2429:
	s_mov_b32 s2, 0x7f800000
	v_mov_b32_e32 v7, 0x7c
	v_mov_b32_e32 v8, 0x7f
	v_cmp_lt_u32_e32 vcc, s2, v9
	v_cndmask_b32_e32 v7, v7, v8, vcc
; %bb.2430:
	s_or_b64 exec, exec, s[0:1]
	v_lshrrev_b32_e32 v5, 8, v5
	s_movk_i32 s0, 0x80
	v_and_or_b32 v5, v5, s0, v7
	s_mov_b64 s[0:1], 0
	s_mov_b64 s[4:5], -1
	s_branch .LBB241_2435
.LBB241_2431:
	s_mov_b64 s[6:7], -1
                                        ; implicit-def: $vgpr5
	s_branch .LBB241_2436
.LBB241_2432:
	s_or_saveexec_b64 s[4:5], s[4:5]
	v_mov_b32_e32 v5, 0x7f800001
	s_xor_b64 exec, exec, s[4:5]
	s_cbranch_execz .LBB241_2389
.LBB241_2433:
	v_cmp_ne_u16_e32 vcc, 0, v7
	s_andn2_b64 s[2:3], s[2:3], exec
	s_and_b64 s[6:7], vcc, exec
	v_mov_b32_e32 v5, 0
	s_or_b64 s[2:3], s[2:3], s[6:7]
	s_or_b64 exec, exec, s[4:5]
	s_and_saveexec_b64 s[4:5], s[2:3]
	s_cbranch_execnz .LBB241_2390
	s_branch .LBB241_2391
.LBB241_2434:
	s_mov_b64 s[0:1], -1
                                        ; implicit-def: $vgpr5
.LBB241_2435:
	s_mov_b64 s[6:7], 0
.LBB241_2436:
	s_mov_b64 s[2:3], 0
	s_and_b64 vcc, exec, s[6:7]
	s_cbranch_vccz .LBB241_2438
; %bb.2437:
	s_cmp_lg_u32 s15, 11
	s_mov_b64 s[2:3], -1
	s_cselect_b64 s[0:1], -1, 0
.LBB241_2438:
	s_and_b64 vcc, exec, s[0:1]
	s_cbranch_vccnz .LBB241_2605
; %bb.2439:
	s_andn2_b64 vcc, exec, s[2:3]
	s_cbranch_vccnz .LBB241_2449
.LBB241_2440:
	global_load_ubyte v5, v[0:1], off
	s_mov_b32 s0, 0x47800000
	s_waitcnt vmcnt(0)
	v_cmp_ne_u16_e32 vcc, 0, v5
	v_cndmask_b32_e64 v7, 0, 1.0, vcc
	v_cmp_gt_u32_e32 vcc, s0, v7
                                        ; implicit-def: $vgpr5
	s_and_saveexec_b64 s[0:1], vcc
	s_xor_b64 s[0:1], exec, s[0:1]
	s_cbranch_execz .LBB241_2446
; %bb.2441:
	s_mov_b32 s2, 0x387fffff
	v_cmp_lt_u32_e32 vcc, s2, v7
                                        ; implicit-def: $vgpr5
	s_and_saveexec_b64 s[2:3], vcc
	s_xor_b64 s[2:3], exec, s[2:3]
; %bb.2442:
	v_bfe_u32 v5, v7, 21, 1
	s_mov_b32 s4, 0x80fffff
	v_add3_u32 v5, v7, v5, s4
	v_lshrrev_b32_e32 v5, 21, v5
                                        ; implicit-def: $vgpr7
; %bb.2443:
	s_andn2_saveexec_b64 s[2:3], s[2:3]
; %bb.2444:
	v_add_f32_e32 v5, 0x43000000, v7
; %bb.2445:
	s_or_b64 exec, exec, s[2:3]
                                        ; implicit-def: $vgpr7
.LBB241_2446:
	s_andn2_saveexec_b64 s[0:1], s[0:1]
; %bb.2447:
	s_mov_b32 s2, 0x7f800000
	v_mov_b32_e32 v5, 0x7c
	v_mov_b32_e32 v8, 0x7f
	v_cmp_lt_u32_e32 vcc, s2, v7
	v_cndmask_b32_e32 v5, v5, v8, vcc
; %bb.2448:
	s_or_b64 exec, exec, s[0:1]
	s_mov_b64 s[4:5], -1
.LBB241_2449:
	s_branch .LBB241_2305
.LBB241_2450:
	s_cmp_lt_i32 s15, 5
	s_cbranch_scc1 .LBB241_2463
; %bb.2451:
	s_cmp_lt_i32 s15, 8
	s_cbranch_scc1 .LBB241_2464
; %bb.2452:
	;; [unrolled: 3-line block ×3, first 2 shown]
	s_cmp_gt_i32 s15, 9
	s_cbranch_scc0 .LBB241_2466
; %bb.2454:
	global_load_dwordx2 v[7:8], v[0:1], off
	s_mov_b32 s0, 0x47800000
	s_waitcnt vmcnt(0)
	v_cvt_f32_f64_e32 v5, v[7:8]
                                        ; implicit-def: $vgpr7
	v_and_b32_e32 v8, 0x7fffffff, v5
	v_cmp_gt_u32_e32 vcc, s0, v8
	s_and_saveexec_b64 s[0:1], vcc
	s_xor_b64 s[0:1], exec, s[0:1]
	s_cbranch_execz .LBB241_2460
; %bb.2455:
	s_mov_b32 s2, 0x387fffff
	v_cmp_lt_u32_e32 vcc, s2, v8
                                        ; implicit-def: $vgpr7
	s_and_saveexec_b64 s[2:3], vcc
	s_xor_b64 s[2:3], exec, s[2:3]
; %bb.2456:
	v_bfe_u32 v7, v5, 21, 1
	s_mov_b32 s4, 0x80fffff
	v_add3_u32 v7, v5, v7, s4
	v_lshrrev_b32_e32 v7, 21, v7
; %bb.2457:
	s_andn2_saveexec_b64 s[2:3], s[2:3]
; %bb.2458:
	s_mov_b32 s4, 0x43000000
	v_add_f32_e64 v7, |v5|, s4
; %bb.2459:
	s_or_b64 exec, exec, s[2:3]
                                        ; implicit-def: $vgpr8
.LBB241_2460:
	s_andn2_saveexec_b64 s[0:1], s[0:1]
; %bb.2461:
	s_mov_b32 s2, 0x7f800000
	v_mov_b32_e32 v7, 0x7c
	v_mov_b32_e32 v9, 0x7f
	v_cmp_lt_u32_e32 vcc, s2, v8
	v_cndmask_b32_e32 v7, v7, v9, vcc
; %bb.2462:
	s_or_b64 exec, exec, s[0:1]
	v_lshrrev_b32_e32 v5, 24, v5
	s_movk_i32 s0, 0x80
	v_and_or_b32 v5, v5, s0, v7
	s_mov_b64 s[0:1], 0
	s_branch .LBB241_2467
.LBB241_2463:
	s_mov_b64 s[0:1], -1
                                        ; implicit-def: $vgpr5
	s_branch .LBB241_2525
.LBB241_2464:
	s_mov_b64 s[0:1], -1
                                        ; implicit-def: $vgpr5
	s_branch .LBB241_2489
.LBB241_2465:
	s_mov_b64 s[0:1], -1
                                        ; implicit-def: $vgpr5
	s_branch .LBB241_2478
.LBB241_2466:
	s_mov_b64 s[0:1], -1
                                        ; implicit-def: $vgpr5
.LBB241_2467:
	s_and_b64 vcc, exec, s[0:1]
	s_cbranch_vccz .LBB241_2477
; %bb.2468:
	global_load_dword v5, v[0:1], off
	s_mov_b32 s0, 0x47800000
                                        ; implicit-def: $vgpr7
	s_waitcnt vmcnt(0)
	v_and_b32_e32 v8, 0x7fffffff, v5
	v_cmp_gt_u32_e32 vcc, s0, v8
	s_and_saveexec_b64 s[0:1], vcc
	s_xor_b64 s[0:1], exec, s[0:1]
	s_cbranch_execz .LBB241_2474
; %bb.2469:
	s_mov_b32 s2, 0x387fffff
	v_cmp_lt_u32_e32 vcc, s2, v8
                                        ; implicit-def: $vgpr7
	s_and_saveexec_b64 s[2:3], vcc
	s_xor_b64 s[2:3], exec, s[2:3]
; %bb.2470:
	v_bfe_u32 v7, v5, 21, 1
	s_mov_b32 s4, 0x80fffff
	v_add3_u32 v7, v5, v7, s4
	v_lshrrev_b32_e32 v7, 21, v7
; %bb.2471:
	s_andn2_saveexec_b64 s[2:3], s[2:3]
; %bb.2472:
	s_mov_b32 s4, 0x43000000
	v_add_f32_e64 v7, |v5|, s4
; %bb.2473:
	s_or_b64 exec, exec, s[2:3]
                                        ; implicit-def: $vgpr8
.LBB241_2474:
	s_andn2_saveexec_b64 s[0:1], s[0:1]
; %bb.2475:
	s_mov_b32 s2, 0x7f800000
	v_mov_b32_e32 v7, 0x7c
	v_mov_b32_e32 v9, 0x7f
	v_cmp_lt_u32_e32 vcc, s2, v8
	v_cndmask_b32_e32 v7, v7, v9, vcc
; %bb.2476:
	s_or_b64 exec, exec, s[0:1]
	v_lshrrev_b32_e32 v5, 24, v5
	s_movk_i32 s0, 0x80
	v_and_or_b32 v5, v5, s0, v7
.LBB241_2477:
	s_mov_b64 s[0:1], 0
.LBB241_2478:
	s_andn2_b64 vcc, exec, s[0:1]
	s_cbranch_vccnz .LBB241_2488
; %bb.2479:
	global_load_dword v5, v[0:1], off
	s_mov_b32 s0, 0x47800000
                                        ; implicit-def: $vgpr7
	s_waitcnt vmcnt(0)
	v_cvt_f32_f16_e32 v5, v5
	v_and_b32_e32 v8, 0x7fffffff, v5
	v_cmp_gt_u32_e32 vcc, s0, v8
	s_and_saveexec_b64 s[0:1], vcc
	s_xor_b64 s[0:1], exec, s[0:1]
	s_cbranch_execz .LBB241_2485
; %bb.2480:
	s_mov_b32 s2, 0x387fffff
	v_cmp_lt_u32_e32 vcc, s2, v8
                                        ; implicit-def: $vgpr7
	s_and_saveexec_b64 s[2:3], vcc
	s_xor_b64 s[2:3], exec, s[2:3]
; %bb.2481:
	v_bfe_u32 v7, v5, 21, 1
	s_mov_b32 s4, 0x80fffff
	v_add3_u32 v7, v5, v7, s4
	v_lshrrev_b32_e32 v7, 21, v7
; %bb.2482:
	s_andn2_saveexec_b64 s[2:3], s[2:3]
; %bb.2483:
	s_mov_b32 s4, 0x43000000
	v_add_f32_e64 v7, |v5|, s4
; %bb.2484:
	s_or_b64 exec, exec, s[2:3]
                                        ; implicit-def: $vgpr8
.LBB241_2485:
	s_andn2_saveexec_b64 s[0:1], s[0:1]
; %bb.2486:
	s_mov_b32 s2, 0x7f800000
	v_mov_b32_e32 v7, 0x7c
	v_mov_b32_e32 v9, 0x7f
	v_cmp_lt_u32_e32 vcc, s2, v8
	v_cndmask_b32_e32 v7, v7, v9, vcc
; %bb.2487:
	s_or_b64 exec, exec, s[0:1]
	v_lshrrev_b32_e32 v5, 24, v5
	s_movk_i32 s0, 0x80
	v_and_or_b32 v5, v5, s0, v7
.LBB241_2488:
	s_mov_b64 s[0:1], 0
.LBB241_2489:
	s_andn2_b64 vcc, exec, s[0:1]
	s_cbranch_vccnz .LBB241_2524
; %bb.2490:
	s_cmp_lt_i32 s15, 6
	s_cbranch_scc1 .LBB241_2501
; %bb.2491:
	s_cmp_gt_i32 s15, 6
	s_cbranch_scc0 .LBB241_2502
; %bb.2492:
	global_load_dwordx2 v[7:8], v[0:1], off
	s_mov_b32 s0, 0x47800000
	s_waitcnt vmcnt(0)
	v_cvt_f32_f64_e32 v5, v[7:8]
                                        ; implicit-def: $vgpr7
	v_and_b32_e32 v8, 0x7fffffff, v5
	v_cmp_gt_u32_e32 vcc, s0, v8
	s_and_saveexec_b64 s[0:1], vcc
	s_xor_b64 s[0:1], exec, s[0:1]
	s_cbranch_execz .LBB241_2498
; %bb.2493:
	s_mov_b32 s2, 0x387fffff
	v_cmp_lt_u32_e32 vcc, s2, v8
                                        ; implicit-def: $vgpr7
	s_and_saveexec_b64 s[2:3], vcc
	s_xor_b64 s[2:3], exec, s[2:3]
; %bb.2494:
	v_bfe_u32 v7, v5, 21, 1
	s_mov_b32 s4, 0x80fffff
	v_add3_u32 v7, v5, v7, s4
	v_lshrrev_b32_e32 v7, 21, v7
; %bb.2495:
	s_andn2_saveexec_b64 s[2:3], s[2:3]
; %bb.2496:
	s_mov_b32 s4, 0x43000000
	v_add_f32_e64 v7, |v5|, s4
; %bb.2497:
	s_or_b64 exec, exec, s[2:3]
                                        ; implicit-def: $vgpr8
.LBB241_2498:
	s_andn2_saveexec_b64 s[0:1], s[0:1]
; %bb.2499:
	s_mov_b32 s2, 0x7f800000
	v_mov_b32_e32 v7, 0x7c
	v_mov_b32_e32 v9, 0x7f
	v_cmp_lt_u32_e32 vcc, s2, v8
	v_cndmask_b32_e32 v7, v7, v9, vcc
; %bb.2500:
	s_or_b64 exec, exec, s[0:1]
	v_lshrrev_b32_e32 v5, 24, v5
	s_movk_i32 s0, 0x80
	v_and_or_b32 v5, v5, s0, v7
	s_mov_b64 s[0:1], 0
	s_branch .LBB241_2503
.LBB241_2501:
	s_mov_b64 s[0:1], -1
                                        ; implicit-def: $vgpr5
	s_branch .LBB241_2514
.LBB241_2502:
	s_mov_b64 s[0:1], -1
                                        ; implicit-def: $vgpr5
.LBB241_2503:
	s_and_b64 vcc, exec, s[0:1]
	s_cbranch_vccz .LBB241_2513
; %bb.2504:
	global_load_dword v5, v[0:1], off
	s_mov_b32 s0, 0x47800000
                                        ; implicit-def: $vgpr7
	s_waitcnt vmcnt(0)
	v_and_b32_e32 v8, 0x7fffffff, v5
	v_cmp_gt_u32_e32 vcc, s0, v8
	s_and_saveexec_b64 s[0:1], vcc
	s_xor_b64 s[0:1], exec, s[0:1]
	s_cbranch_execz .LBB241_2510
; %bb.2505:
	s_mov_b32 s2, 0x387fffff
	v_cmp_lt_u32_e32 vcc, s2, v8
                                        ; implicit-def: $vgpr7
	s_and_saveexec_b64 s[2:3], vcc
	s_xor_b64 s[2:3], exec, s[2:3]
; %bb.2506:
	v_bfe_u32 v7, v5, 21, 1
	s_mov_b32 s4, 0x80fffff
	v_add3_u32 v7, v5, v7, s4
	v_lshrrev_b32_e32 v7, 21, v7
; %bb.2507:
	s_andn2_saveexec_b64 s[2:3], s[2:3]
; %bb.2508:
	s_mov_b32 s4, 0x43000000
	v_add_f32_e64 v7, |v5|, s4
; %bb.2509:
	s_or_b64 exec, exec, s[2:3]
                                        ; implicit-def: $vgpr8
.LBB241_2510:
	s_andn2_saveexec_b64 s[0:1], s[0:1]
; %bb.2511:
	s_mov_b32 s2, 0x7f800000
	v_mov_b32_e32 v7, 0x7c
	v_mov_b32_e32 v9, 0x7f
	v_cmp_lt_u32_e32 vcc, s2, v8
	v_cndmask_b32_e32 v7, v7, v9, vcc
; %bb.2512:
	s_or_b64 exec, exec, s[0:1]
	v_lshrrev_b32_e32 v5, 24, v5
	s_movk_i32 s0, 0x80
	v_and_or_b32 v5, v5, s0, v7
.LBB241_2513:
	s_mov_b64 s[0:1], 0
.LBB241_2514:
	s_andn2_b64 vcc, exec, s[0:1]
	s_cbranch_vccnz .LBB241_2524
; %bb.2515:
	global_load_ushort v5, v[0:1], off
	s_mov_b32 s0, 0x47800000
                                        ; implicit-def: $vgpr7
	s_waitcnt vmcnt(0)
	v_cvt_f32_f16_e32 v5, v5
	v_and_b32_e32 v8, 0x7fffffff, v5
	v_cmp_gt_u32_e32 vcc, s0, v8
	s_and_saveexec_b64 s[0:1], vcc
	s_xor_b64 s[0:1], exec, s[0:1]
	s_cbranch_execz .LBB241_2521
; %bb.2516:
	s_mov_b32 s2, 0x387fffff
	v_cmp_lt_u32_e32 vcc, s2, v8
                                        ; implicit-def: $vgpr7
	s_and_saveexec_b64 s[2:3], vcc
	s_xor_b64 s[2:3], exec, s[2:3]
; %bb.2517:
	v_bfe_u32 v7, v5, 21, 1
	s_mov_b32 s4, 0x80fffff
	v_add3_u32 v7, v5, v7, s4
	v_lshrrev_b32_e32 v7, 21, v7
; %bb.2518:
	s_andn2_saveexec_b64 s[2:3], s[2:3]
; %bb.2519:
	s_mov_b32 s4, 0x43000000
	v_add_f32_e64 v7, |v5|, s4
; %bb.2520:
	s_or_b64 exec, exec, s[2:3]
                                        ; implicit-def: $vgpr8
.LBB241_2521:
	s_andn2_saveexec_b64 s[0:1], s[0:1]
; %bb.2522:
	s_mov_b32 s2, 0x7f800000
	v_mov_b32_e32 v7, 0x7c
	v_mov_b32_e32 v9, 0x7f
	v_cmp_lt_u32_e32 vcc, s2, v8
	v_cndmask_b32_e32 v7, v7, v9, vcc
; %bb.2523:
	s_or_b64 exec, exec, s[0:1]
	v_lshrrev_b32_e32 v5, 24, v5
	s_movk_i32 s0, 0x80
	v_and_or_b32 v5, v5, s0, v7
.LBB241_2524:
	s_mov_b64 s[0:1], 0
.LBB241_2525:
	s_andn2_b64 vcc, exec, s[0:1]
	s_cbranch_vccnz .LBB241_2585
; %bb.2526:
	s_cmp_lt_i32 s15, 2
	s_cbranch_scc1 .LBB241_2538
; %bb.2527:
	s_cmp_lt_i32 s15, 3
	s_cbranch_scc1 .LBB241_2539
; %bb.2528:
	s_cmp_gt_i32 s15, 3
	s_cbranch_scc0 .LBB241_2540
; %bb.2529:
	global_load_dwordx2 v[7:8], v[0:1], off
	s_mov_b32 s0, 0x47800000
	s_waitcnt vmcnt(0)
	v_xor_b32_e32 v9, v7, v8
	v_ffbh_i32_e32 v5, v8
	v_ashrrev_i32_e32 v9, 31, v9
	v_add_u32_e32 v5, -1, v5
	v_add_u32_e32 v9, 32, v9
	v_min_u32_e32 v5, v5, v9
	v_lshlrev_b64 v[7:8], v5, v[7:8]
	v_sub_u32_e32 v5, 32, v5
	v_min_u32_e32 v7, 1, v7
	v_or_b32_e32 v7, v8, v7
	v_cvt_f32_i32_e32 v7, v7
	v_ldexp_f32 v5, v7, v5
	v_and_b32_e32 v8, 0x7fffffff, v5
	v_cmp_gt_u32_e32 vcc, s0, v8
                                        ; implicit-def: $vgpr7
	s_and_saveexec_b64 s[0:1], vcc
	s_xor_b64 s[0:1], exec, s[0:1]
	s_cbranch_execz .LBB241_2535
; %bb.2530:
	s_mov_b32 s2, 0x387fffff
	v_cmp_lt_u32_e32 vcc, s2, v8
                                        ; implicit-def: $vgpr7
	s_and_saveexec_b64 s[2:3], vcc
	s_xor_b64 s[2:3], exec, s[2:3]
; %bb.2531:
	v_bfe_u32 v7, v5, 21, 1
	s_mov_b32 s4, 0x80fffff
	v_add3_u32 v7, v5, v7, s4
	v_lshrrev_b32_e32 v7, 21, v7
; %bb.2532:
	s_andn2_saveexec_b64 s[2:3], s[2:3]
; %bb.2533:
	s_mov_b32 s4, 0x43000000
	v_add_f32_e64 v7, |v5|, s4
; %bb.2534:
	s_or_b64 exec, exec, s[2:3]
                                        ; implicit-def: $vgpr8
.LBB241_2535:
	s_andn2_saveexec_b64 s[0:1], s[0:1]
; %bb.2536:
	s_mov_b32 s2, 0x7f800000
	v_mov_b32_e32 v7, 0x7c
	v_mov_b32_e32 v9, 0x7f
	v_cmp_lt_u32_e32 vcc, s2, v8
	v_cndmask_b32_e32 v7, v7, v9, vcc
; %bb.2537:
	s_or_b64 exec, exec, s[0:1]
	v_lshrrev_b32_e32 v5, 24, v5
	s_movk_i32 s0, 0x80
	v_and_or_b32 v5, v5, s0, v7
	s_mov_b64 s[0:1], 0
	s_branch .LBB241_2541
.LBB241_2538:
	s_mov_b64 s[0:1], -1
                                        ; implicit-def: $vgpr5
	s_branch .LBB241_2563
.LBB241_2539:
	s_mov_b64 s[0:1], -1
                                        ; implicit-def: $vgpr5
	s_branch .LBB241_2552
.LBB241_2540:
	s_mov_b64 s[0:1], -1
                                        ; implicit-def: $vgpr5
.LBB241_2541:
	s_and_b64 vcc, exec, s[0:1]
	s_cbranch_vccz .LBB241_2551
; %bb.2542:
	global_load_dword v5, v[0:1], off
	s_mov_b32 s0, 0x47800000
                                        ; implicit-def: $vgpr7
	s_waitcnt vmcnt(0)
	v_cvt_f32_i32_e32 v5, v5
	v_and_b32_e32 v8, 0x7fffffff, v5
	v_cmp_gt_u32_e32 vcc, s0, v8
	s_and_saveexec_b64 s[0:1], vcc
	s_xor_b64 s[0:1], exec, s[0:1]
	s_cbranch_execz .LBB241_2548
; %bb.2543:
	s_mov_b32 s2, 0x387fffff
	v_cmp_lt_u32_e32 vcc, s2, v8
                                        ; implicit-def: $vgpr7
	s_and_saveexec_b64 s[2:3], vcc
	s_xor_b64 s[2:3], exec, s[2:3]
; %bb.2544:
	v_bfe_u32 v7, v5, 21, 1
	s_mov_b32 s4, 0x80fffff
	v_add3_u32 v7, v5, v7, s4
	v_lshrrev_b32_e32 v7, 21, v7
; %bb.2545:
	s_andn2_saveexec_b64 s[2:3], s[2:3]
; %bb.2546:
	s_mov_b32 s4, 0x43000000
	v_add_f32_e64 v7, |v5|, s4
; %bb.2547:
	s_or_b64 exec, exec, s[2:3]
                                        ; implicit-def: $vgpr8
.LBB241_2548:
	s_andn2_saveexec_b64 s[0:1], s[0:1]
; %bb.2549:
	s_mov_b32 s2, 0x7f800000
	v_mov_b32_e32 v7, 0x7c
	v_mov_b32_e32 v9, 0x7f
	v_cmp_lt_u32_e32 vcc, s2, v8
	v_cndmask_b32_e32 v7, v7, v9, vcc
; %bb.2550:
	s_or_b64 exec, exec, s[0:1]
	v_lshrrev_b32_e32 v5, 24, v5
	s_movk_i32 s0, 0x80
	v_and_or_b32 v5, v5, s0, v7
.LBB241_2551:
	s_mov_b64 s[0:1], 0
.LBB241_2552:
	s_andn2_b64 vcc, exec, s[0:1]
	s_cbranch_vccnz .LBB241_2562
; %bb.2553:
	global_load_sshort v5, v[0:1], off
	s_mov_b32 s0, 0x47800000
                                        ; implicit-def: $vgpr7
	s_waitcnt vmcnt(0)
	v_cvt_f32_i32_e32 v5, v5
	v_and_b32_e32 v8, 0x7fffffff, v5
	v_cmp_gt_u32_e32 vcc, s0, v8
	s_and_saveexec_b64 s[0:1], vcc
	s_xor_b64 s[0:1], exec, s[0:1]
	s_cbranch_execz .LBB241_2559
; %bb.2554:
	s_mov_b32 s2, 0x387fffff
	v_cmp_lt_u32_e32 vcc, s2, v8
                                        ; implicit-def: $vgpr7
	s_and_saveexec_b64 s[2:3], vcc
	s_xor_b64 s[2:3], exec, s[2:3]
; %bb.2555:
	v_bfe_u32 v7, v5, 21, 1
	s_mov_b32 s4, 0x80fffff
	v_add3_u32 v7, v5, v7, s4
	v_lshrrev_b32_e32 v7, 21, v7
; %bb.2556:
	s_andn2_saveexec_b64 s[2:3], s[2:3]
; %bb.2557:
	s_mov_b32 s4, 0x43000000
	v_add_f32_e64 v7, |v5|, s4
; %bb.2558:
	s_or_b64 exec, exec, s[2:3]
                                        ; implicit-def: $vgpr8
.LBB241_2559:
	s_andn2_saveexec_b64 s[0:1], s[0:1]
; %bb.2560:
	s_mov_b32 s2, 0x7f800000
	v_mov_b32_e32 v7, 0x7c
	v_mov_b32_e32 v9, 0x7f
	v_cmp_lt_u32_e32 vcc, s2, v8
	v_cndmask_b32_e32 v7, v7, v9, vcc
; %bb.2561:
	s_or_b64 exec, exec, s[0:1]
	v_lshrrev_b32_e32 v5, 24, v5
	s_movk_i32 s0, 0x80
	v_and_or_b32 v5, v5, s0, v7
.LBB241_2562:
	s_mov_b64 s[0:1], 0
.LBB241_2563:
	s_andn2_b64 vcc, exec, s[0:1]
	s_cbranch_vccnz .LBB241_2585
; %bb.2564:
	s_cmp_gt_i32 s15, 0
	s_cbranch_scc0 .LBB241_2574
; %bb.2565:
	global_load_sbyte v5, v[0:1], off
	s_mov_b32 s0, 0x47800000
                                        ; implicit-def: $vgpr7
	s_waitcnt vmcnt(0)
	v_cvt_f32_i32_e32 v5, v5
	v_and_b32_e32 v8, 0x7fffffff, v5
	v_cmp_gt_u32_e32 vcc, s0, v8
	s_and_saveexec_b64 s[0:1], vcc
	s_xor_b64 s[0:1], exec, s[0:1]
	s_cbranch_execz .LBB241_2571
; %bb.2566:
	s_mov_b32 s2, 0x387fffff
	v_cmp_lt_u32_e32 vcc, s2, v8
                                        ; implicit-def: $vgpr7
	s_and_saveexec_b64 s[2:3], vcc
	s_xor_b64 s[2:3], exec, s[2:3]
; %bb.2567:
	v_bfe_u32 v7, v5, 21, 1
	s_mov_b32 s4, 0x80fffff
	v_add3_u32 v7, v5, v7, s4
	v_lshrrev_b32_e32 v7, 21, v7
; %bb.2568:
	s_andn2_saveexec_b64 s[2:3], s[2:3]
; %bb.2569:
	s_mov_b32 s4, 0x43000000
	v_add_f32_e64 v7, |v5|, s4
; %bb.2570:
	s_or_b64 exec, exec, s[2:3]
                                        ; implicit-def: $vgpr8
.LBB241_2571:
	s_andn2_saveexec_b64 s[0:1], s[0:1]
; %bb.2572:
	s_mov_b32 s2, 0x7f800000
	v_mov_b32_e32 v7, 0x7c
	v_mov_b32_e32 v9, 0x7f
	v_cmp_lt_u32_e32 vcc, s2, v8
	v_cndmask_b32_e32 v7, v7, v9, vcc
; %bb.2573:
	s_or_b64 exec, exec, s[0:1]
	v_lshrrev_b32_e32 v5, 24, v5
	s_movk_i32 s0, 0x80
	v_and_or_b32 v5, v5, s0, v7
	s_mov_b64 s[0:1], 0
	s_branch .LBB241_2575
.LBB241_2574:
	s_mov_b64 s[0:1], -1
                                        ; implicit-def: $vgpr5
.LBB241_2575:
	s_and_b64 vcc, exec, s[0:1]
	s_cbranch_vccz .LBB241_2585
; %bb.2576:
	global_load_ubyte v0, v[0:1], off
	s_mov_b32 s0, 0x47800000
                                        ; implicit-def: $vgpr5
	s_waitcnt vmcnt(0)
	v_cvt_f32_ubyte0_e32 v0, v0
	v_cmp_gt_u32_e32 vcc, s0, v0
	s_and_saveexec_b64 s[0:1], vcc
	s_xor_b64 s[0:1], exec, s[0:1]
	s_cbranch_execz .LBB241_2582
; %bb.2577:
	s_mov_b32 s2, 0x387fffff
	v_cmp_lt_u32_e32 vcc, s2, v0
                                        ; implicit-def: $vgpr5
	s_and_saveexec_b64 s[2:3], vcc
	s_xor_b64 s[2:3], exec, s[2:3]
; %bb.2578:
	v_bfe_u32 v1, v0, 21, 1
	s_mov_b32 s4, 0x80fffff
	v_add3_u32 v0, v0, v1, s4
	v_lshrrev_b32_e32 v5, 21, v0
                                        ; implicit-def: $vgpr0
; %bb.2579:
	s_andn2_saveexec_b64 s[2:3], s[2:3]
; %bb.2580:
	v_add_f32_e32 v5, 0x43000000, v0
; %bb.2581:
	s_or_b64 exec, exec, s[2:3]
                                        ; implicit-def: $vgpr0
.LBB241_2582:
	s_andn2_saveexec_b64 s[0:1], s[0:1]
; %bb.2583:
	s_mov_b32 s2, 0x7f800000
	v_mov_b32_e32 v1, 0x7c
	v_mov_b32_e32 v5, 0x7f
	v_cmp_lt_u32_e32 vcc, s2, v0
	v_cndmask_b32_e32 v5, v1, v5, vcc
; %bb.2584:
	s_or_b64 exec, exec, s[0:1]
.LBB241_2585:
.LBB241_2586:
	v_add_u32_e32 v0, s13, v6
	v_ashrrev_i32_e32 v1, 31, v0
	v_mov_b32_e32 v6, s11
	v_add_co_u32_e32 v0, vcc, s10, v0
	s_cmp_lt_i32 s15, 11
	v_addc_co_u32_e32 v1, vcc, v6, v1, vcc
	s_cbranch_scc1 .LBB241_2601
; %bb.2587:
	s_cmp_gt_i32 s15, 25
	s_mov_b64 s[2:3], 0
	s_cbranch_scc0 .LBB241_2602
; %bb.2588:
	s_cmp_gt_i32 s15, 28
	s_cbranch_scc0 .LBB241_2603
; %bb.2589:
	s_cmp_gt_i32 s15, 43
	;; [unrolled: 3-line block ×3, first 2 shown]
	s_cbranch_scc0 .LBB241_2606
; %bb.2591:
	s_cmp_eq_u32 s15, 46
	s_mov_b64 s[6:7], 0
	s_cbranch_scc0 .LBB241_2607
; %bb.2592:
	global_load_dword v6, v[0:1], off
	s_mov_b32 s0, 0x47800000
                                        ; implicit-def: $vgpr7
	s_waitcnt vmcnt(0)
	v_lshlrev_b32_e32 v6, 16, v6
	v_and_b32_e32 v8, 0x7fffffff, v6
	v_cmp_gt_u32_e32 vcc, s0, v8
	s_and_saveexec_b64 s[0:1], vcc
	s_xor_b64 s[0:1], exec, s[0:1]
	s_cbranch_execz .LBB241_2598
; %bb.2593:
	s_mov_b32 s4, 0x387fffff
	v_cmp_lt_u32_e32 vcc, s4, v8
                                        ; implicit-def: $vgpr7
	s_and_saveexec_b64 s[4:5], vcc
	s_xor_b64 s[4:5], exec, s[4:5]
; %bb.2594:
	v_bfe_u32 v7, v6, 21, 1
	s_mov_b32 s10, 0x80fffff
	v_add3_u32 v7, v6, v7, s10
	v_lshrrev_b32_e32 v7, 21, v7
; %bb.2595:
	s_andn2_saveexec_b64 s[4:5], s[4:5]
; %bb.2596:
	s_mov_b32 s10, 0x43000000
	v_add_f32_e64 v7, |v6|, s10
; %bb.2597:
	s_or_b64 exec, exec, s[4:5]
                                        ; implicit-def: $vgpr8
.LBB241_2598:
	s_andn2_saveexec_b64 s[0:1], s[0:1]
; %bb.2599:
	s_mov_b32 s4, 0x7f800000
	v_mov_b32_e32 v7, 0x7c
	v_mov_b32_e32 v9, 0x7f
	v_cmp_lt_u32_e32 vcc, s4, v8
	v_cndmask_b32_e32 v7, v7, v9, vcc
; %bb.2600:
	s_or_b64 exec, exec, s[0:1]
	v_lshrrev_b32_e32 v6, 24, v6
	s_movk_i32 s0, 0x80
	v_and_or_b32 v6, v6, s0, v7
	s_mov_b64 s[0:1], 0
	s_mov_b64 s[4:5], -1
	s_branch .LBB241_2608
.LBB241_2601:
	s_mov_b64 s[0:1], -1
	s_mov_b64 s[4:5], 0
                                        ; implicit-def: $vgpr6
	s_branch .LBB241_2746
.LBB241_2602:
	s_mov_b64 s[6:7], -1
	s_mov_b64 s[4:5], 0
	s_mov_b64 s[0:1], 0
                                        ; implicit-def: $vgpr6
	s_branch .LBB241_2677
.LBB241_2603:
	s_mov_b64 s[6:7], -1
	s_mov_b64 s[4:5], 0
                                        ; implicit-def: $vgpr6
	s_mov_b64 s[0:1], 0
	s_branch .LBB241_2634
.LBB241_2604:
	s_mov_b64 s[6:7], -1
	s_mov_b64 s[4:5], 0
	s_mov_b64 s[0:1], 0
                                        ; implicit-def: $vgpr6
	s_branch .LBB241_2621
.LBB241_2605:
	s_trap 2
	s_or_b64 s[22:23], s[22:23], exec
	s_cbranch_execz .LBB241_2440
	s_branch .LBB241_2449
.LBB241_2606:
	s_mov_b64 s[6:7], -1
	s_mov_b64 s[4:5], 0
	s_mov_b64 s[0:1], 0
                                        ; implicit-def: $vgpr6
	s_branch .LBB241_2608
.LBB241_2607:
	s_mov_b64 s[0:1], -1
                                        ; implicit-def: $vgpr6
	s_mov_b64 s[4:5], 0
.LBB241_2608:
	s_and_b64 vcc, exec, s[6:7]
	s_cbranch_vccz .LBB241_2620
; %bb.2609:
	s_cmp_eq_u32 s15, 44
	s_cbranch_scc0 .LBB241_2619
; %bb.2610:
	global_load_ubyte v6, v[0:1], off
	s_movk_i32 s0, 0xff
	v_mov_b32_e32 v7, 0x7f800001
	v_mov_b32_e32 v8, 0x400000
	s_waitcnt vmcnt(0)
	v_lshlrev_b32_e32 v9, 23, v6
	v_cmp_ne_u32_e32 vcc, s0, v6
	v_cndmask_b32_e32 v7, v7, v9, vcc
	v_cmp_ne_u32_e32 vcc, 0, v6
	v_cndmask_b32_e32 v7, v8, v7, vcc
	s_mov_b32 s0, 0x47800000
	v_cmp_gt_u32_e32 vcc, s0, v7
                                        ; implicit-def: $vgpr6
	s_and_saveexec_b64 s[0:1], vcc
	s_xor_b64 s[0:1], exec, s[0:1]
	s_cbranch_execz .LBB241_2616
; %bb.2611:
	s_mov_b32 s4, 0x387fffff
	v_cmp_lt_u32_e32 vcc, s4, v7
                                        ; implicit-def: $vgpr6
	s_and_saveexec_b64 s[4:5], vcc
	s_xor_b64 s[4:5], exec, s[4:5]
; %bb.2612:
	v_bfe_u32 v6, v7, 21, 1
	s_mov_b32 s6, 0x80fffff
	v_add3_u32 v6, v7, v6, s6
	v_lshrrev_b32_e32 v6, 21, v6
                                        ; implicit-def: $vgpr7
; %bb.2613:
	s_andn2_saveexec_b64 s[4:5], s[4:5]
; %bb.2614:
	v_add_f32_e32 v6, 0x43000000, v7
; %bb.2615:
	s_or_b64 exec, exec, s[4:5]
                                        ; implicit-def: $vgpr7
.LBB241_2616:
	s_andn2_saveexec_b64 s[0:1], s[0:1]
; %bb.2617:
	s_mov_b32 s4, 0x7f800000
	v_mov_b32_e32 v6, 0x7c
	v_mov_b32_e32 v8, 0x7f
	v_cmp_lt_u32_e32 vcc, s4, v7
	v_cndmask_b32_e32 v6, v6, v8, vcc
; %bb.2618:
	s_or_b64 exec, exec, s[0:1]
	s_mov_b64 s[0:1], 0
	s_mov_b64 s[4:5], -1
	s_branch .LBB241_2620
.LBB241_2619:
	s_mov_b64 s[0:1], -1
                                        ; implicit-def: $vgpr6
.LBB241_2620:
	s_mov_b64 s[6:7], 0
.LBB241_2621:
	s_and_b64 vcc, exec, s[6:7]
	s_cbranch_vccz .LBB241_2633
; %bb.2622:
	s_cmp_eq_u32 s15, 29
	s_cbranch_scc0 .LBB241_2632
; %bb.2623:
	global_load_dwordx2 v[6:7], v[0:1], off
	s_mov_b32 s0, 0x47800000
	s_waitcnt vmcnt(0)
	v_ffbh_u32_e32 v8, v7
	v_min_u32_e32 v8, 32, v8
	v_lshlrev_b64 v[6:7], v8, v[6:7]
	v_min_u32_e32 v6, 1, v6
	v_or_b32_e32 v6, v7, v6
	v_cvt_f32_u32_e32 v6, v6
	v_sub_u32_e32 v7, 32, v8
	v_ldexp_f32 v7, v6, v7
	v_cmp_gt_u32_e32 vcc, s0, v7
                                        ; implicit-def: $vgpr6
	s_and_saveexec_b64 s[0:1], vcc
	s_xor_b64 s[0:1], exec, s[0:1]
	s_cbranch_execz .LBB241_2629
; %bb.2624:
	s_mov_b32 s4, 0x387fffff
	v_cmp_lt_u32_e32 vcc, s4, v7
                                        ; implicit-def: $vgpr6
	s_and_saveexec_b64 s[4:5], vcc
	s_xor_b64 s[4:5], exec, s[4:5]
; %bb.2625:
	v_bfe_u32 v6, v7, 21, 1
	s_mov_b32 s6, 0x80fffff
	v_add3_u32 v6, v7, v6, s6
	v_lshrrev_b32_e32 v6, 21, v6
                                        ; implicit-def: $vgpr7
; %bb.2626:
	s_andn2_saveexec_b64 s[4:5], s[4:5]
; %bb.2627:
	v_add_f32_e32 v6, 0x43000000, v7
; %bb.2628:
	s_or_b64 exec, exec, s[4:5]
                                        ; implicit-def: $vgpr7
.LBB241_2629:
	s_andn2_saveexec_b64 s[0:1], s[0:1]
; %bb.2630:
	s_mov_b32 s4, 0x7f800000
	v_mov_b32_e32 v6, 0x7c
	v_mov_b32_e32 v8, 0x7f
	v_cmp_lt_u32_e32 vcc, s4, v7
	v_cndmask_b32_e32 v6, v6, v8, vcc
; %bb.2631:
	s_or_b64 exec, exec, s[0:1]
	s_mov_b64 s[0:1], 0
	s_mov_b64 s[4:5], -1
	s_branch .LBB241_2633
.LBB241_2632:
	s_mov_b64 s[0:1], -1
                                        ; implicit-def: $vgpr6
.LBB241_2633:
	s_mov_b64 s[6:7], 0
.LBB241_2634:
	s_and_b64 vcc, exec, s[6:7]
	s_cbranch_vccz .LBB241_2676
; %bb.2635:
	s_cmp_lt_i32 s15, 27
	s_cbranch_scc1 .LBB241_2646
; %bb.2636:
	s_cmp_gt_i32 s15, 27
	s_cbranch_scc0 .LBB241_2647
; %bb.2637:
	global_load_dword v6, v[0:1], off
	s_mov_b32 s4, 0x47800000
	s_waitcnt vmcnt(0)
	v_cvt_f32_u32_e32 v7, v6
                                        ; implicit-def: $vgpr6
	v_cmp_gt_u32_e32 vcc, s4, v7
	s_and_saveexec_b64 s[4:5], vcc
	s_xor_b64 s[4:5], exec, s[4:5]
	s_cbranch_execz .LBB241_2643
; %bb.2638:
	s_mov_b32 s6, 0x387fffff
	v_cmp_lt_u32_e32 vcc, s6, v7
                                        ; implicit-def: $vgpr6
	s_and_saveexec_b64 s[6:7], vcc
	s_xor_b64 s[6:7], exec, s[6:7]
; %bb.2639:
	v_bfe_u32 v6, v7, 21, 1
	s_mov_b32 s10, 0x80fffff
	v_add3_u32 v6, v7, v6, s10
	v_lshrrev_b32_e32 v6, 21, v6
                                        ; implicit-def: $vgpr7
; %bb.2640:
	s_andn2_saveexec_b64 s[6:7], s[6:7]
; %bb.2641:
	v_add_f32_e32 v6, 0x43000000, v7
; %bb.2642:
	s_or_b64 exec, exec, s[6:7]
                                        ; implicit-def: $vgpr7
.LBB241_2643:
	s_andn2_saveexec_b64 s[4:5], s[4:5]
; %bb.2644:
	s_mov_b32 s6, 0x7f800000
	v_mov_b32_e32 v6, 0x7c
	v_mov_b32_e32 v8, 0x7f
	v_cmp_lt_u32_e32 vcc, s6, v7
	v_cndmask_b32_e32 v6, v6, v8, vcc
; %bb.2645:
	s_or_b64 exec, exec, s[4:5]
	s_mov_b64 s[4:5], 0
	s_branch .LBB241_2648
.LBB241_2646:
	s_mov_b64 s[4:5], -1
                                        ; implicit-def: $vgpr6
	s_branch .LBB241_2659
.LBB241_2647:
	s_mov_b64 s[4:5], -1
                                        ; implicit-def: $vgpr6
.LBB241_2648:
	s_and_b64 vcc, exec, s[4:5]
	s_cbranch_vccz .LBB241_2658
; %bb.2649:
	global_load_ushort v6, v[0:1], off
	s_mov_b32 s4, 0x47800000
	s_waitcnt vmcnt(0)
	v_cvt_f32_u32_e32 v7, v6
                                        ; implicit-def: $vgpr6
	v_cmp_gt_u32_e32 vcc, s4, v7
	s_and_saveexec_b64 s[4:5], vcc
	s_xor_b64 s[4:5], exec, s[4:5]
	s_cbranch_execz .LBB241_2655
; %bb.2650:
	s_mov_b32 s6, 0x387fffff
	v_cmp_lt_u32_e32 vcc, s6, v7
                                        ; implicit-def: $vgpr6
	s_and_saveexec_b64 s[6:7], vcc
	s_xor_b64 s[6:7], exec, s[6:7]
; %bb.2651:
	v_bfe_u32 v6, v7, 21, 1
	s_mov_b32 s10, 0x80fffff
	v_add3_u32 v6, v7, v6, s10
	v_lshrrev_b32_e32 v6, 21, v6
                                        ; implicit-def: $vgpr7
; %bb.2652:
	s_andn2_saveexec_b64 s[6:7], s[6:7]
; %bb.2653:
	v_add_f32_e32 v6, 0x43000000, v7
; %bb.2654:
	s_or_b64 exec, exec, s[6:7]
                                        ; implicit-def: $vgpr7
.LBB241_2655:
	s_andn2_saveexec_b64 s[4:5], s[4:5]
; %bb.2656:
	s_mov_b32 s6, 0x7f800000
	v_mov_b32_e32 v6, 0x7c
	v_mov_b32_e32 v8, 0x7f
	v_cmp_lt_u32_e32 vcc, s6, v7
	v_cndmask_b32_e32 v6, v6, v8, vcc
; %bb.2657:
	s_or_b64 exec, exec, s[4:5]
.LBB241_2658:
	s_mov_b64 s[4:5], 0
.LBB241_2659:
	s_andn2_b64 vcc, exec, s[4:5]
	s_cbranch_vccnz .LBB241_2675
; %bb.2660:
	global_load_ubyte v7, v[0:1], off
	s_movk_i32 s4, 0x7f
	s_waitcnt vmcnt(0)
	v_cmp_lt_i16_e32 vcc, s4, v7
	s_mov_b64 s[4:5], 0
	s_and_saveexec_b64 s[6:7], vcc
	s_xor_b64 s[6:7], exec, s[6:7]
	s_cbranch_execz .LBB241_2697
; %bb.2661:
	s_movk_i32 s4, 0x80
	v_cmp_eq_u16_e32 vcc, s4, v7
	s_mov_b64 s[4:5], -1
	s_and_saveexec_b64 s[10:11], vcc
; %bb.2662:
	s_xor_b64 s[4:5], exec, -1
; %bb.2663:
	s_or_b64 exec, exec, s[10:11]
	s_and_b64 s[4:5], s[4:5], exec
	s_or_saveexec_b64 s[6:7], s[6:7]
	v_mov_b32_e32 v6, 0x7f800001
	s_xor_b64 exec, exec, s[6:7]
	s_cbranch_execnz .LBB241_2698
.LBB241_2664:
	s_or_b64 exec, exec, s[6:7]
	s_and_saveexec_b64 s[6:7], s[4:5]
	s_cbranch_execz .LBB241_2666
.LBB241_2665:
	v_lshlrev_b32_e32 v6, 24, v7
	v_and_b32_e32 v7, 0xffff, v7
	v_and_b32_e32 v8, 7, v7
	v_ffbh_u32_e32 v10, v8
	v_min_u32_e32 v10, 32, v10
	v_subrev_u32_e32 v11, 28, v10
	v_bfe_u32 v9, v7, 3, 4
	v_lshlrev_b32_e32 v7, v11, v7
	v_sub_u32_e32 v10, 29, v10
	v_and_b32_e32 v7, 7, v7
	v_cmp_eq_u32_e32 vcc, 0, v9
	v_cndmask_b32_e32 v9, v9, v10, vcc
	v_cndmask_b32_e32 v7, v8, v7, vcc
	v_mov_b32_e32 v8, 0x3b800000
	v_lshlrev_b32_e32 v7, 20, v7
	v_and_b32_e32 v6, 0x80000000, v6
	v_lshl_add_u32 v8, v9, 23, v8
	v_or3_b32 v6, v6, v8, v7
.LBB241_2666:
	s_or_b64 exec, exec, s[6:7]
	v_and_b32_e32 v8, 0x7fffffff, v6
	s_mov_b32 s4, 0x47800000
	v_cmp_gt_u32_e32 vcc, s4, v8
                                        ; implicit-def: $vgpr7
	s_and_saveexec_b64 s[4:5], vcc
	s_xor_b64 s[4:5], exec, s[4:5]
	s_cbranch_execz .LBB241_2672
; %bb.2667:
	s_mov_b32 s6, 0x387fffff
	v_cmp_lt_u32_e32 vcc, s6, v8
                                        ; implicit-def: $vgpr7
	s_and_saveexec_b64 s[6:7], vcc
	s_xor_b64 s[6:7], exec, s[6:7]
; %bb.2668:
	v_bfe_u32 v7, v6, 21, 1
	s_mov_b32 s10, 0x80fffff
	v_add3_u32 v7, v6, v7, s10
	v_lshrrev_b32_e32 v7, 21, v7
; %bb.2669:
	s_andn2_saveexec_b64 s[6:7], s[6:7]
; %bb.2670:
	s_mov_b32 s10, 0x43000000
	v_add_f32_e64 v7, |v6|, s10
; %bb.2671:
	s_or_b64 exec, exec, s[6:7]
                                        ; implicit-def: $vgpr8
.LBB241_2672:
	s_andn2_saveexec_b64 s[4:5], s[4:5]
; %bb.2673:
	s_mov_b32 s6, 0x7f800000
	v_mov_b32_e32 v7, 0x7c
	v_mov_b32_e32 v9, 0x7f
	v_cmp_lt_u32_e32 vcc, s6, v8
	v_cndmask_b32_e32 v7, v7, v9, vcc
; %bb.2674:
	s_or_b64 exec, exec, s[4:5]
	v_lshrrev_b32_e32 v6, 24, v6
	s_movk_i32 s4, 0x80
	v_and_or_b32 v6, v6, s4, v7
.LBB241_2675:
	s_mov_b64 s[4:5], -1
.LBB241_2676:
	s_mov_b64 s[6:7], 0
.LBB241_2677:
	s_and_b64 vcc, exec, s[6:7]
	s_cbranch_vccz .LBB241_2734
; %bb.2678:
	s_cmp_gt_i32 s15, 22
	s_cbranch_scc0 .LBB241_2696
; %bb.2679:
	s_cmp_lt_i32 s15, 24
	s_cbranch_scc1 .LBB241_2699
; %bb.2680:
	s_cmp_gt_i32 s15, 24
	s_cbranch_scc0 .LBB241_2700
; %bb.2681:
	global_load_ubyte v7, v[0:1], off
	s_movk_i32 s2, 0x7f
	s_waitcnt vmcnt(0)
	v_cmp_lt_i16_e32 vcc, s2, v7
	s_mov_b64 s[2:3], 0
	s_and_saveexec_b64 s[4:5], vcc
	s_xor_b64 s[4:5], exec, s[4:5]
	s_cbranch_execz .LBB241_2728
; %bb.2682:
	s_movk_i32 s2, 0x80
	v_cmp_eq_u16_e32 vcc, s2, v7
	s_mov_b64 s[2:3], -1
	s_and_saveexec_b64 s[6:7], vcc
; %bb.2683:
	s_xor_b64 s[2:3], exec, -1
; %bb.2684:
	s_or_b64 exec, exec, s[6:7]
	s_and_b64 s[2:3], s[2:3], exec
	s_or_saveexec_b64 s[4:5], s[4:5]
	v_mov_b32_e32 v6, 0x7f800001
	s_xor_b64 exec, exec, s[4:5]
	s_cbranch_execnz .LBB241_2729
.LBB241_2685:
	s_or_b64 exec, exec, s[4:5]
	s_and_saveexec_b64 s[4:5], s[2:3]
	s_cbranch_execz .LBB241_2687
.LBB241_2686:
	v_lshlrev_b32_e32 v6, 24, v7
	v_and_b32_e32 v7, 0xffff, v7
	v_and_b32_e32 v8, 3, v7
	v_ffbh_u32_e32 v10, v8
	v_min_u32_e32 v10, 32, v10
	v_subrev_u32_e32 v11, 29, v10
	v_bfe_u32 v9, v7, 2, 5
	v_lshlrev_b32_e32 v7, v11, v7
	v_sub_u32_e32 v10, 30, v10
	v_and_b32_e32 v7, 3, v7
	v_cmp_eq_u32_e32 vcc, 0, v9
	v_cndmask_b32_e32 v9, v9, v10, vcc
	v_cndmask_b32_e32 v7, v8, v7, vcc
	v_mov_b32_e32 v8, 0x37800000
	v_lshlrev_b32_e32 v7, 21, v7
	v_and_b32_e32 v6, 0x80000000, v6
	v_lshl_add_u32 v8, v9, 23, v8
	v_or3_b32 v6, v6, v8, v7
.LBB241_2687:
	s_or_b64 exec, exec, s[4:5]
	v_and_b32_e32 v8, 0x7fffffff, v6
	s_mov_b32 s2, 0x47800000
	v_cmp_gt_u32_e32 vcc, s2, v8
                                        ; implicit-def: $vgpr7
	s_and_saveexec_b64 s[2:3], vcc
	s_xor_b64 s[2:3], exec, s[2:3]
	s_cbranch_execz .LBB241_2693
; %bb.2688:
	s_mov_b32 s4, 0x387fffff
	v_cmp_lt_u32_e32 vcc, s4, v8
                                        ; implicit-def: $vgpr7
	s_and_saveexec_b64 s[4:5], vcc
	s_xor_b64 s[4:5], exec, s[4:5]
; %bb.2689:
	v_bfe_u32 v7, v6, 21, 1
	s_mov_b32 s6, 0x80fffff
	v_add3_u32 v7, v6, v7, s6
	v_lshrrev_b32_e32 v7, 21, v7
; %bb.2690:
	s_andn2_saveexec_b64 s[4:5], s[4:5]
; %bb.2691:
	s_mov_b32 s6, 0x43000000
	v_add_f32_e64 v7, |v6|, s6
; %bb.2692:
	s_or_b64 exec, exec, s[4:5]
                                        ; implicit-def: $vgpr8
.LBB241_2693:
	s_andn2_saveexec_b64 s[2:3], s[2:3]
; %bb.2694:
	s_mov_b32 s4, 0x7f800000
	v_mov_b32_e32 v7, 0x7c
	v_mov_b32_e32 v9, 0x7f
	v_cmp_lt_u32_e32 vcc, s4, v8
	v_cndmask_b32_e32 v7, v7, v9, vcc
; %bb.2695:
	s_or_b64 exec, exec, s[2:3]
	v_lshrrev_b32_e32 v6, 24, v6
	s_movk_i32 s2, 0x80
	v_and_or_b32 v6, v6, s2, v7
	s_mov_b64 s[2:3], 0
	s_branch .LBB241_2701
.LBB241_2696:
	s_mov_b64 s[2:3], -1
                                        ; implicit-def: $vgpr6
	s_branch .LBB241_2715
.LBB241_2697:
	s_or_saveexec_b64 s[6:7], s[6:7]
	v_mov_b32_e32 v6, 0x7f800001
	s_xor_b64 exec, exec, s[6:7]
	s_cbranch_execz .LBB241_2664
.LBB241_2698:
	v_cmp_ne_u16_e32 vcc, 0, v7
	s_andn2_b64 s[4:5], s[4:5], exec
	s_and_b64 s[10:11], vcc, exec
	v_mov_b32_e32 v6, 0
	s_or_b64 s[4:5], s[4:5], s[10:11]
	s_or_b64 exec, exec, s[6:7]
	s_and_saveexec_b64 s[6:7], s[4:5]
	s_cbranch_execnz .LBB241_2665
	s_branch .LBB241_2666
.LBB241_2699:
	s_mov_b64 s[2:3], -1
                                        ; implicit-def: $vgpr6
	s_branch .LBB241_2712
.LBB241_2700:
	s_mov_b64 s[2:3], -1
                                        ; implicit-def: $vgpr6
.LBB241_2701:
	s_and_b64 vcc, exec, s[2:3]
	s_cbranch_vccz .LBB241_2711
; %bb.2702:
	global_load_ubyte v6, v[0:1], off
	s_mov_b32 s2, 0x7f800000
	s_brev_b32 s3, 1
	s_waitcnt vmcnt(0)
	v_lshlrev_b32_e32 v6, 24, v6
	v_and_b32_e32 v7, 0x7f000000, v6
	v_ffbh_u32_e32 v8, v7
	v_min_u32_e32 v8, 32, v8
	v_sub_u32_e64 v8, v8, 4 clamp
	v_lshlrev_b32_e32 v10, v8, v7
	v_lshlrev_b32_e32 v8, 23, v8
	v_lshrrev_b32_e32 v10, 4, v10
	v_add_u32_e32 v9, 0x1000000, v7
	v_sub_u32_e32 v8, v10, v8
	v_ashrrev_i32_e32 v9, 8, v9
	v_add_u32_e32 v8, 0x3c000000, v8
	v_and_or_b32 v8, v9, s2, v8
	v_cmp_ne_u32_e32 vcc, 0, v7
	v_cndmask_b32_e32 v9, 0, v8, vcc
	v_and_or_b32 v6, v6, s3, v9
	v_and_b32_e32 v8, 0x7fffffff, v6
	s_mov_b32 s2, 0x47800000
	v_cmp_gt_u32_e32 vcc, s2, v8
                                        ; implicit-def: $vgpr7
	s_and_saveexec_b64 s[2:3], vcc
	s_xor_b64 s[2:3], exec, s[2:3]
	s_cbranch_execz .LBB241_2708
; %bb.2703:
	s_mov_b32 s4, 0x387fffff
	v_cmp_lt_u32_e32 vcc, s4, v8
                                        ; implicit-def: $vgpr7
	s_and_saveexec_b64 s[4:5], vcc
	s_xor_b64 s[4:5], exec, s[4:5]
; %bb.2704:
	v_bfe_u32 v7, v9, 21, 1
	s_mov_b32 s6, 0x80fffff
	v_add3_u32 v7, v6, v7, s6
	v_lshrrev_b32_e32 v7, 21, v7
; %bb.2705:
	s_andn2_saveexec_b64 s[4:5], s[4:5]
; %bb.2706:
	s_mov_b32 s6, 0x43000000
	v_add_f32_e64 v7, |v6|, s6
; %bb.2707:
	s_or_b64 exec, exec, s[4:5]
                                        ; implicit-def: $vgpr8
.LBB241_2708:
	s_andn2_saveexec_b64 s[2:3], s[2:3]
; %bb.2709:
	s_mov_b32 s4, 0x7f800000
	v_mov_b32_e32 v7, 0x7c
	v_mov_b32_e32 v9, 0x7f
	v_cmp_lt_u32_e32 vcc, s4, v8
	v_cndmask_b32_e32 v7, v7, v9, vcc
; %bb.2710:
	s_or_b64 exec, exec, s[2:3]
	v_lshrrev_b32_e32 v6, 24, v6
	s_movk_i32 s2, 0x80
	v_and_or_b32 v6, v6, s2, v7
.LBB241_2711:
	s_mov_b64 s[2:3], 0
.LBB241_2712:
	s_andn2_b64 vcc, exec, s[2:3]
	s_cbranch_vccnz .LBB241_2714
; %bb.2713:
	global_load_ubyte v6, v[0:1], off
.LBB241_2714:
	s_mov_b64 s[2:3], 0
	s_mov_b64 s[4:5], -1
.LBB241_2715:
	s_andn2_b64 vcc, exec, s[2:3]
	s_mov_b64 s[2:3], 0
	s_cbranch_vccnz .LBB241_2734
; %bb.2716:
	s_cmp_gt_i32 s15, 14
	s_cbranch_scc0 .LBB241_2727
; %bb.2717:
	s_cmp_eq_u32 s15, 15
	s_cbranch_scc0 .LBB241_2730
; %bb.2718:
	global_load_ushort v6, v[0:1], off
	s_mov_b32 s0, 0x47800000
                                        ; implicit-def: $vgpr7
	s_waitcnt vmcnt(0)
	v_lshlrev_b32_e32 v8, 16, v6
	v_and_b32_e32 v9, 0x7fffffff, v8
	v_cmp_gt_u32_e32 vcc, s0, v9
	s_and_saveexec_b64 s[0:1], vcc
	s_xor_b64 s[0:1], exec, s[0:1]
	s_cbranch_execz .LBB241_2724
; %bb.2719:
	s_mov_b32 s2, 0x387fffff
	v_cmp_lt_u32_e32 vcc, s2, v9
                                        ; implicit-def: $vgpr7
	s_and_saveexec_b64 s[2:3], vcc
	s_xor_b64 s[2:3], exec, s[2:3]
; %bb.2720:
	v_bfe_u32 v7, v6, 5, 1
	s_mov_b32 s4, 0x80fffff
	v_add3_u32 v7, v8, v7, s4
	v_lshrrev_b32_e32 v7, 21, v7
                                        ; implicit-def: $vgpr8
; %bb.2721:
	s_andn2_saveexec_b64 s[2:3], s[2:3]
; %bb.2722:
	s_mov_b32 s4, 0x43000000
	v_add_f32_e64 v7, |v8|, s4
; %bb.2723:
	s_or_b64 exec, exec, s[2:3]
                                        ; implicit-def: $vgpr9
.LBB241_2724:
	s_andn2_saveexec_b64 s[0:1], s[0:1]
; %bb.2725:
	s_mov_b32 s2, 0x7f800000
	v_mov_b32_e32 v7, 0x7c
	v_mov_b32_e32 v8, 0x7f
	v_cmp_lt_u32_e32 vcc, s2, v9
	v_cndmask_b32_e32 v7, v7, v8, vcc
; %bb.2726:
	s_or_b64 exec, exec, s[0:1]
	v_lshrrev_b32_e32 v6, 8, v6
	s_movk_i32 s0, 0x80
	v_and_or_b32 v6, v6, s0, v7
	s_mov_b64 s[0:1], 0
	s_mov_b64 s[4:5], -1
	s_branch .LBB241_2731
.LBB241_2727:
	s_mov_b64 s[6:7], -1
                                        ; implicit-def: $vgpr6
	s_branch .LBB241_2732
.LBB241_2728:
	s_or_saveexec_b64 s[4:5], s[4:5]
	v_mov_b32_e32 v6, 0x7f800001
	s_xor_b64 exec, exec, s[4:5]
	s_cbranch_execz .LBB241_2685
.LBB241_2729:
	v_cmp_ne_u16_e32 vcc, 0, v7
	s_andn2_b64 s[2:3], s[2:3], exec
	s_and_b64 s[6:7], vcc, exec
	v_mov_b32_e32 v6, 0
	s_or_b64 s[2:3], s[2:3], s[6:7]
	s_or_b64 exec, exec, s[4:5]
	s_and_saveexec_b64 s[4:5], s[2:3]
	s_cbranch_execnz .LBB241_2686
	s_branch .LBB241_2687
.LBB241_2730:
	s_mov_b64 s[0:1], -1
                                        ; implicit-def: $vgpr6
.LBB241_2731:
	s_mov_b64 s[6:7], 0
.LBB241_2732:
	s_mov_b64 s[2:3], 0
	s_and_b64 vcc, exec, s[6:7]
	s_cbranch_vccz .LBB241_2734
; %bb.2733:
	s_cmp_lg_u32 s15, 11
	s_mov_b64 s[2:3], -1
	s_cselect_b64 s[0:1], -1, 0
.LBB241_2734:
	s_and_b64 vcc, exec, s[0:1]
	s_cbranch_vccnz .LBB241_3363
; %bb.2735:
	s_andn2_b64 vcc, exec, s[2:3]
	s_cbranch_vccnz .LBB241_2745
.LBB241_2736:
	global_load_ubyte v6, v[0:1], off
	s_mov_b32 s0, 0x47800000
	s_waitcnt vmcnt(0)
	v_cmp_ne_u16_e32 vcc, 0, v6
	v_cndmask_b32_e64 v7, 0, 1.0, vcc
	v_cmp_gt_u32_e32 vcc, s0, v7
                                        ; implicit-def: $vgpr6
	s_and_saveexec_b64 s[0:1], vcc
	s_xor_b64 s[0:1], exec, s[0:1]
	s_cbranch_execz .LBB241_2742
; %bb.2737:
	s_mov_b32 s2, 0x387fffff
	v_cmp_lt_u32_e32 vcc, s2, v7
                                        ; implicit-def: $vgpr6
	s_and_saveexec_b64 s[2:3], vcc
	s_xor_b64 s[2:3], exec, s[2:3]
; %bb.2738:
	v_bfe_u32 v6, v7, 21, 1
	s_mov_b32 s4, 0x80fffff
	v_add3_u32 v6, v7, v6, s4
	v_lshrrev_b32_e32 v6, 21, v6
                                        ; implicit-def: $vgpr7
; %bb.2739:
	s_andn2_saveexec_b64 s[2:3], s[2:3]
; %bb.2740:
	v_add_f32_e32 v6, 0x43000000, v7
; %bb.2741:
	s_or_b64 exec, exec, s[2:3]
                                        ; implicit-def: $vgpr7
.LBB241_2742:
	s_andn2_saveexec_b64 s[0:1], s[0:1]
; %bb.2743:
	s_mov_b32 s2, 0x7f800000
	v_mov_b32_e32 v6, 0x7c
	v_mov_b32_e32 v8, 0x7f
	v_cmp_lt_u32_e32 vcc, s2, v7
	v_cndmask_b32_e32 v6, v6, v8, vcc
; %bb.2744:
	s_or_b64 exec, exec, s[0:1]
	s_mov_b64 s[4:5], -1
.LBB241_2745:
	s_mov_b64 s[0:1], 0
.LBB241_2746:
	s_and_b64 vcc, exec, s[0:1]
	s_cbranch_vccz .LBB241_2883
; %bb.2747:
	s_cmp_lt_i32 s15, 5
	s_cbranch_scc1 .LBB241_2760
; %bb.2748:
	s_cmp_lt_i32 s15, 8
	s_cbranch_scc1 .LBB241_2761
	;; [unrolled: 3-line block ×3, first 2 shown]
; %bb.2750:
	s_cmp_gt_i32 s15, 9
	s_cbranch_scc0 .LBB241_2763
; %bb.2751:
	global_load_dwordx2 v[6:7], v[0:1], off
	s_mov_b32 s0, 0x47800000
	s_waitcnt vmcnt(0)
	v_cvt_f32_f64_e32 v6, v[6:7]
                                        ; implicit-def: $vgpr7
	v_and_b32_e32 v8, 0x7fffffff, v6
	v_cmp_gt_u32_e32 vcc, s0, v8
	s_and_saveexec_b64 s[0:1], vcc
	s_xor_b64 s[0:1], exec, s[0:1]
	s_cbranch_execz .LBB241_2757
; %bb.2752:
	s_mov_b32 s2, 0x387fffff
	v_cmp_lt_u32_e32 vcc, s2, v8
                                        ; implicit-def: $vgpr7
	s_and_saveexec_b64 s[2:3], vcc
	s_xor_b64 s[2:3], exec, s[2:3]
; %bb.2753:
	v_bfe_u32 v7, v6, 21, 1
	s_mov_b32 s4, 0x80fffff
	v_add3_u32 v7, v6, v7, s4
	v_lshrrev_b32_e32 v7, 21, v7
; %bb.2754:
	s_andn2_saveexec_b64 s[2:3], s[2:3]
; %bb.2755:
	s_mov_b32 s4, 0x43000000
	v_add_f32_e64 v7, |v6|, s4
; %bb.2756:
	s_or_b64 exec, exec, s[2:3]
                                        ; implicit-def: $vgpr8
.LBB241_2757:
	s_andn2_saveexec_b64 s[0:1], s[0:1]
; %bb.2758:
	s_mov_b32 s2, 0x7f800000
	v_mov_b32_e32 v7, 0x7c
	v_mov_b32_e32 v9, 0x7f
	v_cmp_lt_u32_e32 vcc, s2, v8
	v_cndmask_b32_e32 v7, v7, v9, vcc
; %bb.2759:
	s_or_b64 exec, exec, s[0:1]
	v_lshrrev_b32_e32 v6, 24, v6
	s_movk_i32 s0, 0x80
	v_and_or_b32 v6, v6, s0, v7
	s_mov_b64 s[0:1], 0
	s_branch .LBB241_2764
.LBB241_2760:
	s_mov_b64 s[0:1], -1
                                        ; implicit-def: $vgpr6
	s_branch .LBB241_2822
.LBB241_2761:
	s_mov_b64 s[0:1], -1
                                        ; implicit-def: $vgpr6
	s_branch .LBB241_2786
.LBB241_2762:
	s_mov_b64 s[0:1], -1
                                        ; implicit-def: $vgpr6
	s_branch .LBB241_2775
.LBB241_2763:
	s_mov_b64 s[0:1], -1
                                        ; implicit-def: $vgpr6
.LBB241_2764:
	s_and_b64 vcc, exec, s[0:1]
	s_cbranch_vccz .LBB241_2774
; %bb.2765:
	global_load_dword v6, v[0:1], off
	s_mov_b32 s0, 0x47800000
                                        ; implicit-def: $vgpr7
	s_waitcnt vmcnt(0)
	v_and_b32_e32 v8, 0x7fffffff, v6
	v_cmp_gt_u32_e32 vcc, s0, v8
	s_and_saveexec_b64 s[0:1], vcc
	s_xor_b64 s[0:1], exec, s[0:1]
	s_cbranch_execz .LBB241_2771
; %bb.2766:
	s_mov_b32 s2, 0x387fffff
	v_cmp_lt_u32_e32 vcc, s2, v8
                                        ; implicit-def: $vgpr7
	s_and_saveexec_b64 s[2:3], vcc
	s_xor_b64 s[2:3], exec, s[2:3]
; %bb.2767:
	v_bfe_u32 v7, v6, 21, 1
	s_mov_b32 s4, 0x80fffff
	v_add3_u32 v7, v6, v7, s4
	v_lshrrev_b32_e32 v7, 21, v7
; %bb.2768:
	s_andn2_saveexec_b64 s[2:3], s[2:3]
; %bb.2769:
	s_mov_b32 s4, 0x43000000
	v_add_f32_e64 v7, |v6|, s4
; %bb.2770:
	s_or_b64 exec, exec, s[2:3]
                                        ; implicit-def: $vgpr8
.LBB241_2771:
	s_andn2_saveexec_b64 s[0:1], s[0:1]
; %bb.2772:
	s_mov_b32 s2, 0x7f800000
	v_mov_b32_e32 v7, 0x7c
	v_mov_b32_e32 v9, 0x7f
	v_cmp_lt_u32_e32 vcc, s2, v8
	v_cndmask_b32_e32 v7, v7, v9, vcc
; %bb.2773:
	s_or_b64 exec, exec, s[0:1]
	v_lshrrev_b32_e32 v6, 24, v6
	s_movk_i32 s0, 0x80
	v_and_or_b32 v6, v6, s0, v7
.LBB241_2774:
	s_mov_b64 s[0:1], 0
.LBB241_2775:
	s_andn2_b64 vcc, exec, s[0:1]
	s_cbranch_vccnz .LBB241_2785
; %bb.2776:
	global_load_dword v6, v[0:1], off
	s_mov_b32 s0, 0x47800000
                                        ; implicit-def: $vgpr7
	s_waitcnt vmcnt(0)
	v_cvt_f32_f16_e32 v6, v6
	v_and_b32_e32 v8, 0x7fffffff, v6
	v_cmp_gt_u32_e32 vcc, s0, v8
	s_and_saveexec_b64 s[0:1], vcc
	s_xor_b64 s[0:1], exec, s[0:1]
	s_cbranch_execz .LBB241_2782
; %bb.2777:
	s_mov_b32 s2, 0x387fffff
	v_cmp_lt_u32_e32 vcc, s2, v8
                                        ; implicit-def: $vgpr7
	s_and_saveexec_b64 s[2:3], vcc
	s_xor_b64 s[2:3], exec, s[2:3]
; %bb.2778:
	v_bfe_u32 v7, v6, 21, 1
	s_mov_b32 s4, 0x80fffff
	v_add3_u32 v7, v6, v7, s4
	v_lshrrev_b32_e32 v7, 21, v7
; %bb.2779:
	s_andn2_saveexec_b64 s[2:3], s[2:3]
; %bb.2780:
	s_mov_b32 s4, 0x43000000
	v_add_f32_e64 v7, |v6|, s4
; %bb.2781:
	s_or_b64 exec, exec, s[2:3]
                                        ; implicit-def: $vgpr8
.LBB241_2782:
	s_andn2_saveexec_b64 s[0:1], s[0:1]
; %bb.2783:
	s_mov_b32 s2, 0x7f800000
	v_mov_b32_e32 v7, 0x7c
	v_mov_b32_e32 v9, 0x7f
	v_cmp_lt_u32_e32 vcc, s2, v8
	v_cndmask_b32_e32 v7, v7, v9, vcc
; %bb.2784:
	s_or_b64 exec, exec, s[0:1]
	v_lshrrev_b32_e32 v6, 24, v6
	s_movk_i32 s0, 0x80
	v_and_or_b32 v6, v6, s0, v7
.LBB241_2785:
	s_mov_b64 s[0:1], 0
.LBB241_2786:
	s_andn2_b64 vcc, exec, s[0:1]
	s_cbranch_vccnz .LBB241_2821
; %bb.2787:
	s_cmp_lt_i32 s15, 6
	s_cbranch_scc1 .LBB241_2798
; %bb.2788:
	s_cmp_gt_i32 s15, 6
	s_cbranch_scc0 .LBB241_2799
; %bb.2789:
	global_load_dwordx2 v[6:7], v[0:1], off
	s_mov_b32 s0, 0x47800000
	s_waitcnt vmcnt(0)
	v_cvt_f32_f64_e32 v6, v[6:7]
                                        ; implicit-def: $vgpr7
	v_and_b32_e32 v8, 0x7fffffff, v6
	v_cmp_gt_u32_e32 vcc, s0, v8
	s_and_saveexec_b64 s[0:1], vcc
	s_xor_b64 s[0:1], exec, s[0:1]
	s_cbranch_execz .LBB241_2795
; %bb.2790:
	s_mov_b32 s2, 0x387fffff
	v_cmp_lt_u32_e32 vcc, s2, v8
                                        ; implicit-def: $vgpr7
	s_and_saveexec_b64 s[2:3], vcc
	s_xor_b64 s[2:3], exec, s[2:3]
; %bb.2791:
	v_bfe_u32 v7, v6, 21, 1
	s_mov_b32 s4, 0x80fffff
	v_add3_u32 v7, v6, v7, s4
	v_lshrrev_b32_e32 v7, 21, v7
; %bb.2792:
	s_andn2_saveexec_b64 s[2:3], s[2:3]
; %bb.2793:
	s_mov_b32 s4, 0x43000000
	v_add_f32_e64 v7, |v6|, s4
; %bb.2794:
	s_or_b64 exec, exec, s[2:3]
                                        ; implicit-def: $vgpr8
.LBB241_2795:
	s_andn2_saveexec_b64 s[0:1], s[0:1]
; %bb.2796:
	s_mov_b32 s2, 0x7f800000
	v_mov_b32_e32 v7, 0x7c
	v_mov_b32_e32 v9, 0x7f
	v_cmp_lt_u32_e32 vcc, s2, v8
	v_cndmask_b32_e32 v7, v7, v9, vcc
; %bb.2797:
	s_or_b64 exec, exec, s[0:1]
	v_lshrrev_b32_e32 v6, 24, v6
	s_movk_i32 s0, 0x80
	v_and_or_b32 v6, v6, s0, v7
	s_mov_b64 s[0:1], 0
	s_branch .LBB241_2800
.LBB241_2798:
	s_mov_b64 s[0:1], -1
                                        ; implicit-def: $vgpr6
	s_branch .LBB241_2811
.LBB241_2799:
	s_mov_b64 s[0:1], -1
                                        ; implicit-def: $vgpr6
.LBB241_2800:
	s_and_b64 vcc, exec, s[0:1]
	s_cbranch_vccz .LBB241_2810
; %bb.2801:
	global_load_dword v6, v[0:1], off
	s_mov_b32 s0, 0x47800000
                                        ; implicit-def: $vgpr7
	s_waitcnt vmcnt(0)
	v_and_b32_e32 v8, 0x7fffffff, v6
	v_cmp_gt_u32_e32 vcc, s0, v8
	s_and_saveexec_b64 s[0:1], vcc
	s_xor_b64 s[0:1], exec, s[0:1]
	s_cbranch_execz .LBB241_2807
; %bb.2802:
	s_mov_b32 s2, 0x387fffff
	v_cmp_lt_u32_e32 vcc, s2, v8
                                        ; implicit-def: $vgpr7
	s_and_saveexec_b64 s[2:3], vcc
	s_xor_b64 s[2:3], exec, s[2:3]
; %bb.2803:
	v_bfe_u32 v7, v6, 21, 1
	s_mov_b32 s4, 0x80fffff
	v_add3_u32 v7, v6, v7, s4
	v_lshrrev_b32_e32 v7, 21, v7
; %bb.2804:
	s_andn2_saveexec_b64 s[2:3], s[2:3]
; %bb.2805:
	s_mov_b32 s4, 0x43000000
	v_add_f32_e64 v7, |v6|, s4
; %bb.2806:
	s_or_b64 exec, exec, s[2:3]
                                        ; implicit-def: $vgpr8
.LBB241_2807:
	s_andn2_saveexec_b64 s[0:1], s[0:1]
; %bb.2808:
	s_mov_b32 s2, 0x7f800000
	v_mov_b32_e32 v7, 0x7c
	v_mov_b32_e32 v9, 0x7f
	v_cmp_lt_u32_e32 vcc, s2, v8
	v_cndmask_b32_e32 v7, v7, v9, vcc
; %bb.2809:
	s_or_b64 exec, exec, s[0:1]
	v_lshrrev_b32_e32 v6, 24, v6
	s_movk_i32 s0, 0x80
	v_and_or_b32 v6, v6, s0, v7
.LBB241_2810:
	s_mov_b64 s[0:1], 0
.LBB241_2811:
	s_andn2_b64 vcc, exec, s[0:1]
	s_cbranch_vccnz .LBB241_2821
; %bb.2812:
	global_load_ushort v6, v[0:1], off
	s_mov_b32 s0, 0x47800000
                                        ; implicit-def: $vgpr7
	s_waitcnt vmcnt(0)
	v_cvt_f32_f16_e32 v6, v6
	v_and_b32_e32 v8, 0x7fffffff, v6
	v_cmp_gt_u32_e32 vcc, s0, v8
	s_and_saveexec_b64 s[0:1], vcc
	s_xor_b64 s[0:1], exec, s[0:1]
	s_cbranch_execz .LBB241_2818
; %bb.2813:
	s_mov_b32 s2, 0x387fffff
	v_cmp_lt_u32_e32 vcc, s2, v8
                                        ; implicit-def: $vgpr7
	s_and_saveexec_b64 s[2:3], vcc
	s_xor_b64 s[2:3], exec, s[2:3]
; %bb.2814:
	v_bfe_u32 v7, v6, 21, 1
	s_mov_b32 s4, 0x80fffff
	v_add3_u32 v7, v6, v7, s4
	v_lshrrev_b32_e32 v7, 21, v7
; %bb.2815:
	s_andn2_saveexec_b64 s[2:3], s[2:3]
; %bb.2816:
	s_mov_b32 s4, 0x43000000
	v_add_f32_e64 v7, |v6|, s4
; %bb.2817:
	s_or_b64 exec, exec, s[2:3]
                                        ; implicit-def: $vgpr8
.LBB241_2818:
	s_andn2_saveexec_b64 s[0:1], s[0:1]
; %bb.2819:
	s_mov_b32 s2, 0x7f800000
	v_mov_b32_e32 v7, 0x7c
	v_mov_b32_e32 v9, 0x7f
	v_cmp_lt_u32_e32 vcc, s2, v8
	v_cndmask_b32_e32 v7, v7, v9, vcc
; %bb.2820:
	s_or_b64 exec, exec, s[0:1]
	v_lshrrev_b32_e32 v6, 24, v6
	s_movk_i32 s0, 0x80
	v_and_or_b32 v6, v6, s0, v7
.LBB241_2821:
	s_mov_b64 s[0:1], 0
.LBB241_2822:
	s_andn2_b64 vcc, exec, s[0:1]
	s_cbranch_vccnz .LBB241_2882
; %bb.2823:
	s_cmp_lt_i32 s15, 2
	s_cbranch_scc1 .LBB241_2835
; %bb.2824:
	s_cmp_lt_i32 s15, 3
	s_cbranch_scc1 .LBB241_2836
; %bb.2825:
	s_cmp_gt_i32 s15, 3
	s_cbranch_scc0 .LBB241_2837
; %bb.2826:
	global_load_dwordx2 v[6:7], v[0:1], off
	s_mov_b32 s0, 0x47800000
	s_waitcnt vmcnt(0)
	v_xor_b32_e32 v9, v6, v7
	v_ffbh_i32_e32 v8, v7
	v_ashrrev_i32_e32 v9, 31, v9
	v_add_u32_e32 v8, -1, v8
	v_add_u32_e32 v9, 32, v9
	v_min_u32_e32 v8, v8, v9
	v_lshlrev_b64 v[6:7], v8, v[6:7]
	v_min_u32_e32 v6, 1, v6
	v_or_b32_e32 v6, v7, v6
	v_cvt_f32_i32_e32 v6, v6
	v_sub_u32_e32 v7, 32, v8
	v_ldexp_f32 v6, v6, v7
	v_and_b32_e32 v8, 0x7fffffff, v6
	v_cmp_gt_u32_e32 vcc, s0, v8
                                        ; implicit-def: $vgpr7
	s_and_saveexec_b64 s[0:1], vcc
	s_xor_b64 s[0:1], exec, s[0:1]
	s_cbranch_execz .LBB241_2832
; %bb.2827:
	s_mov_b32 s2, 0x387fffff
	v_cmp_lt_u32_e32 vcc, s2, v8
                                        ; implicit-def: $vgpr7
	s_and_saveexec_b64 s[2:3], vcc
	s_xor_b64 s[2:3], exec, s[2:3]
; %bb.2828:
	v_bfe_u32 v7, v6, 21, 1
	s_mov_b32 s4, 0x80fffff
	v_add3_u32 v7, v6, v7, s4
	v_lshrrev_b32_e32 v7, 21, v7
; %bb.2829:
	s_andn2_saveexec_b64 s[2:3], s[2:3]
; %bb.2830:
	s_mov_b32 s4, 0x43000000
	v_add_f32_e64 v7, |v6|, s4
; %bb.2831:
	s_or_b64 exec, exec, s[2:3]
                                        ; implicit-def: $vgpr8
.LBB241_2832:
	s_andn2_saveexec_b64 s[0:1], s[0:1]
; %bb.2833:
	s_mov_b32 s2, 0x7f800000
	v_mov_b32_e32 v7, 0x7c
	v_mov_b32_e32 v9, 0x7f
	v_cmp_lt_u32_e32 vcc, s2, v8
	v_cndmask_b32_e32 v7, v7, v9, vcc
; %bb.2834:
	s_or_b64 exec, exec, s[0:1]
	v_lshrrev_b32_e32 v6, 24, v6
	s_movk_i32 s0, 0x80
	v_and_or_b32 v6, v6, s0, v7
	s_mov_b64 s[0:1], 0
	s_branch .LBB241_2838
.LBB241_2835:
	s_mov_b64 s[0:1], -1
                                        ; implicit-def: $vgpr6
	s_branch .LBB241_2860
.LBB241_2836:
	s_mov_b64 s[0:1], -1
                                        ; implicit-def: $vgpr6
	s_branch .LBB241_2849
.LBB241_2837:
	s_mov_b64 s[0:1], -1
                                        ; implicit-def: $vgpr6
.LBB241_2838:
	s_and_b64 vcc, exec, s[0:1]
	s_cbranch_vccz .LBB241_2848
; %bb.2839:
	global_load_dword v6, v[0:1], off
	s_mov_b32 s0, 0x47800000
                                        ; implicit-def: $vgpr7
	s_waitcnt vmcnt(0)
	v_cvt_f32_i32_e32 v6, v6
	v_and_b32_e32 v8, 0x7fffffff, v6
	v_cmp_gt_u32_e32 vcc, s0, v8
	s_and_saveexec_b64 s[0:1], vcc
	s_xor_b64 s[0:1], exec, s[0:1]
	s_cbranch_execz .LBB241_2845
; %bb.2840:
	s_mov_b32 s2, 0x387fffff
	v_cmp_lt_u32_e32 vcc, s2, v8
                                        ; implicit-def: $vgpr7
	s_and_saveexec_b64 s[2:3], vcc
	s_xor_b64 s[2:3], exec, s[2:3]
; %bb.2841:
	v_bfe_u32 v7, v6, 21, 1
	s_mov_b32 s4, 0x80fffff
	v_add3_u32 v7, v6, v7, s4
	v_lshrrev_b32_e32 v7, 21, v7
; %bb.2842:
	s_andn2_saveexec_b64 s[2:3], s[2:3]
; %bb.2843:
	s_mov_b32 s4, 0x43000000
	v_add_f32_e64 v7, |v6|, s4
; %bb.2844:
	s_or_b64 exec, exec, s[2:3]
                                        ; implicit-def: $vgpr8
.LBB241_2845:
	s_andn2_saveexec_b64 s[0:1], s[0:1]
; %bb.2846:
	s_mov_b32 s2, 0x7f800000
	v_mov_b32_e32 v7, 0x7c
	v_mov_b32_e32 v9, 0x7f
	v_cmp_lt_u32_e32 vcc, s2, v8
	v_cndmask_b32_e32 v7, v7, v9, vcc
; %bb.2847:
	s_or_b64 exec, exec, s[0:1]
	v_lshrrev_b32_e32 v6, 24, v6
	s_movk_i32 s0, 0x80
	v_and_or_b32 v6, v6, s0, v7
.LBB241_2848:
	s_mov_b64 s[0:1], 0
.LBB241_2849:
	s_andn2_b64 vcc, exec, s[0:1]
	s_cbranch_vccnz .LBB241_2859
; %bb.2850:
	global_load_sshort v6, v[0:1], off
	s_mov_b32 s0, 0x47800000
                                        ; implicit-def: $vgpr7
	s_waitcnt vmcnt(0)
	v_cvt_f32_i32_e32 v6, v6
	v_and_b32_e32 v8, 0x7fffffff, v6
	v_cmp_gt_u32_e32 vcc, s0, v8
	s_and_saveexec_b64 s[0:1], vcc
	s_xor_b64 s[0:1], exec, s[0:1]
	s_cbranch_execz .LBB241_2856
; %bb.2851:
	s_mov_b32 s2, 0x387fffff
	v_cmp_lt_u32_e32 vcc, s2, v8
                                        ; implicit-def: $vgpr7
	s_and_saveexec_b64 s[2:3], vcc
	s_xor_b64 s[2:3], exec, s[2:3]
; %bb.2852:
	v_bfe_u32 v7, v6, 21, 1
	s_mov_b32 s4, 0x80fffff
	v_add3_u32 v7, v6, v7, s4
	v_lshrrev_b32_e32 v7, 21, v7
; %bb.2853:
	s_andn2_saveexec_b64 s[2:3], s[2:3]
; %bb.2854:
	s_mov_b32 s4, 0x43000000
	v_add_f32_e64 v7, |v6|, s4
; %bb.2855:
	s_or_b64 exec, exec, s[2:3]
                                        ; implicit-def: $vgpr8
.LBB241_2856:
	s_andn2_saveexec_b64 s[0:1], s[0:1]
; %bb.2857:
	s_mov_b32 s2, 0x7f800000
	v_mov_b32_e32 v7, 0x7c
	v_mov_b32_e32 v9, 0x7f
	v_cmp_lt_u32_e32 vcc, s2, v8
	v_cndmask_b32_e32 v7, v7, v9, vcc
; %bb.2858:
	s_or_b64 exec, exec, s[0:1]
	v_lshrrev_b32_e32 v6, 24, v6
	s_movk_i32 s0, 0x80
	v_and_or_b32 v6, v6, s0, v7
.LBB241_2859:
	s_mov_b64 s[0:1], 0
.LBB241_2860:
	s_andn2_b64 vcc, exec, s[0:1]
	s_cbranch_vccnz .LBB241_2882
; %bb.2861:
	s_cmp_gt_i32 s15, 0
	s_cbranch_scc0 .LBB241_2871
; %bb.2862:
	global_load_sbyte v6, v[0:1], off
	s_mov_b32 s0, 0x47800000
                                        ; implicit-def: $vgpr7
	s_waitcnt vmcnt(0)
	v_cvt_f32_i32_e32 v6, v6
	v_and_b32_e32 v8, 0x7fffffff, v6
	v_cmp_gt_u32_e32 vcc, s0, v8
	s_and_saveexec_b64 s[0:1], vcc
	s_xor_b64 s[0:1], exec, s[0:1]
	s_cbranch_execz .LBB241_2868
; %bb.2863:
	s_mov_b32 s2, 0x387fffff
	v_cmp_lt_u32_e32 vcc, s2, v8
                                        ; implicit-def: $vgpr7
	s_and_saveexec_b64 s[2:3], vcc
	s_xor_b64 s[2:3], exec, s[2:3]
; %bb.2864:
	v_bfe_u32 v7, v6, 21, 1
	s_mov_b32 s4, 0x80fffff
	v_add3_u32 v7, v6, v7, s4
	v_lshrrev_b32_e32 v7, 21, v7
; %bb.2865:
	s_andn2_saveexec_b64 s[2:3], s[2:3]
; %bb.2866:
	s_mov_b32 s4, 0x43000000
	v_add_f32_e64 v7, |v6|, s4
; %bb.2867:
	s_or_b64 exec, exec, s[2:3]
                                        ; implicit-def: $vgpr8
.LBB241_2868:
	s_andn2_saveexec_b64 s[0:1], s[0:1]
; %bb.2869:
	s_mov_b32 s2, 0x7f800000
	v_mov_b32_e32 v7, 0x7c
	v_mov_b32_e32 v9, 0x7f
	v_cmp_lt_u32_e32 vcc, s2, v8
	v_cndmask_b32_e32 v7, v7, v9, vcc
; %bb.2870:
	s_or_b64 exec, exec, s[0:1]
	v_lshrrev_b32_e32 v6, 24, v6
	s_movk_i32 s0, 0x80
	v_and_or_b32 v6, v6, s0, v7
	s_mov_b64 s[0:1], 0
	s_branch .LBB241_2872
.LBB241_2871:
	s_mov_b64 s[0:1], -1
                                        ; implicit-def: $vgpr6
.LBB241_2872:
	s_and_b64 vcc, exec, s[0:1]
	s_cbranch_vccz .LBB241_2882
; %bb.2873:
	global_load_ubyte v0, v[0:1], off
	s_mov_b32 s0, 0x47800000
                                        ; implicit-def: $vgpr6
	s_waitcnt vmcnt(0)
	v_cvt_f32_ubyte0_e32 v0, v0
	v_cmp_gt_u32_e32 vcc, s0, v0
	s_and_saveexec_b64 s[0:1], vcc
	s_xor_b64 s[0:1], exec, s[0:1]
	s_cbranch_execz .LBB241_2879
; %bb.2874:
	s_mov_b32 s2, 0x387fffff
	v_cmp_lt_u32_e32 vcc, s2, v0
                                        ; implicit-def: $vgpr6
	s_and_saveexec_b64 s[2:3], vcc
	s_xor_b64 s[2:3], exec, s[2:3]
; %bb.2875:
	v_bfe_u32 v1, v0, 21, 1
	s_mov_b32 s4, 0x80fffff
	v_add3_u32 v0, v0, v1, s4
	v_lshrrev_b32_e32 v6, 21, v0
                                        ; implicit-def: $vgpr0
; %bb.2876:
	s_andn2_saveexec_b64 s[2:3], s[2:3]
; %bb.2877:
	v_add_f32_e32 v6, 0x43000000, v0
; %bb.2878:
	s_or_b64 exec, exec, s[2:3]
                                        ; implicit-def: $vgpr0
.LBB241_2879:
	s_andn2_saveexec_b64 s[0:1], s[0:1]
; %bb.2880:
	s_mov_b32 s2, 0x7f800000
	v_mov_b32_e32 v1, 0x7c
	v_mov_b32_e32 v6, 0x7f
	v_cmp_lt_u32_e32 vcc, s2, v0
	v_cndmask_b32_e32 v6, v1, v6, vcc
; %bb.2881:
	s_or_b64 exec, exec, s[0:1]
.LBB241_2882:
	s_mov_b64 s[4:5], -1
.LBB241_2883:
	s_andn2_b64 vcc, exec, s[4:5]
	s_cbranch_vccnz .LBB241_3317
; %bb.2884:
	s_cmp_eq_u32 s14, 0
	s_cselect_b64 s[0:1], -1, 0
	s_lshl_b32 s2, s16, 8
	s_lshl_b32 s3, s16, 25
	s_lshr_b32 s4, s3, 4
	s_and_b32 s2, s2, 0x7f00
	s_or_b32 s4, s4, 0x70000000
	s_or_b32 s2, s2, 0.5
	s_cmp_lt_u32 s3, 0x8000000
	v_mov_b32_e32 v1, 0x7800000
	v_add_f32_e64 v0, s2, -0.5
	v_mul_f32_e32 v1, s4, v1
	s_cselect_b64 vcc, -1, 0
	s_lshl_b32 s2, s16, 24
	v_cndmask_b32_e32 v0, v1, v0, vcc
	s_and_b32 s2, s2, 0x80000000
	s_waitcnt vmcnt(0)
	v_lshlrev_b32_e32 v1, 25, v3
	s_movk_i32 s5, 0x7f00
	v_or_b32_e32 v7, s2, v0
	v_lshlrev_b16_e32 v0, 8, v3
	v_lshrrev_b32_e32 v3, 4, v1
	s_brev_b32 s6, 16
	v_or_b32_e32 v3, 0x70000000, v3
	v_and_or_b32 v8, v0, s5, 0.5
	v_add_f32_e32 v8, -0.5, v8
	v_mul_f32_e32 v3, 0x7800000, v3
	v_cmp_gt_u32_e32 vcc, s6, v1
	s_brev_b32 s3, 1
	v_cndmask_b32_e32 v1, v3, v8, vcc
	v_bfe_i32 v0, v0, 0, 16
	v_and_or_b32 v0, v0, s3, v1
	v_cmp_eq_f32_e32 vcc, v7, v0
	v_cndmask_b32_e64 v1, 0, 1, vcc
	v_cmp_neq_f32_e32 vcc, v7, v0
	v_mul_lo_u32 v2, s12, v2
	v_cndmask_b32_e64 v0, 0, 1, vcc
	v_cndmask_b32_e64 v0, v0, v1, s[0:1]
	v_and_b32_e32 v0, 1, v0
	v_cmp_eq_u32_e64 s[2:3], 1, v0
	v_ashrrev_i32_e32 v1, 31, v2
	v_mov_b32_e32 v3, s9
	s_and_b32 s24, s17, 0xff
	v_add_co_u32_e32 v0, vcc, s8, v2
	s_cmp_lt_i32 s24, 11
	v_addc_co_u32_e32 v1, vcc, v3, v1, vcc
	s_cbranch_scc1 .LBB241_2962
; %bb.2885:
	s_and_b32 s13, 0xffff, s24
	s_mov_b64 s[14:15], -1
	s_mov_b64 s[6:7], 0
	s_cmp_gt_i32 s13, 25
	s_mov_b64 s[10:11], 0
	s_mov_b64 s[4:5], 0
	s_cbranch_scc0 .LBB241_2918
; %bb.2886:
	s_cmp_gt_i32 s13, 28
	s_cbranch_scc0 .LBB241_2901
; %bb.2887:
	s_cmp_gt_i32 s13, 43
	;; [unrolled: 3-line block ×3, first 2 shown]
	s_cbranch_scc0 .LBB241_2891
; %bb.2889:
	s_mov_b64 s[4:5], -1
	s_mov_b64 s[14:15], 0
	s_cmp_eq_u32 s13, 46
	s_cbranch_scc0 .LBB241_2891
; %bb.2890:
	v_cndmask_b32_e64 v3, 0, 1.0, s[2:3]
	v_bfe_u32 v8, v3, 16, 1
	s_movk_i32 s4, 0x7fff
	v_add3_u32 v3, v3, v8, s4
	v_lshrrev_b32_e32 v3, 16, v3
	global_store_dword v[0:1], v3, off
	s_mov_b64 s[4:5], 0
	s_mov_b64 s[10:11], -1
.LBB241_2891:
	s_and_b64 vcc, exec, s[14:15]
	s_cbranch_vccz .LBB241_2896
; %bb.2892:
	s_cmp_eq_u32 s13, 44
	s_mov_b64 s[4:5], -1
	s_cbranch_scc0 .LBB241_2896
; %bb.2893:
	v_cndmask_b32_e64 v8, 0, 1.0, s[2:3]
	v_lshrrev_b32_e32 v3, 23, v8
	s_movk_i32 s4, 0xff
	v_cmp_ne_u32_e32 vcc, s4, v3
	v_mov_b32_e32 v9, 0xff
	s_and_saveexec_b64 s[10:11], vcc
; %bb.2894:
	s_mov_b32 s4, 0x3fffff
	v_and_b32_e32 v9, 0x400000, v8
	v_and_or_b32 v8, v8, s4, v3
	v_cmp_ne_u32_e32 vcc, 0, v9
	v_cmp_ne_u32_e64 s[4:5], 0, v8
	s_and_b64 s[4:5], vcc, s[4:5]
	v_cndmask_b32_e64 v8, 0, 1, s[4:5]
	v_add_u32_e32 v9, v3, v8
; %bb.2895:
	s_or_b64 exec, exec, s[10:11]
	s_mov_b64 s[4:5], 0
	s_mov_b64 s[10:11], -1
	global_store_byte v[0:1], v9, off
.LBB241_2896:
	s_mov_b64 s[14:15], 0
.LBB241_2897:
	s_and_b64 vcc, exec, s[14:15]
	s_cbranch_vccz .LBB241_2900
; %bb.2898:
	s_cmp_eq_u32 s13, 29
	s_mov_b64 s[4:5], -1
	s_cbranch_scc0 .LBB241_2900
; %bb.2899:
	s_mov_b32 s4, 0
	v_cndmask_b32_e64 v8, 0, 1, s[2:3]
	v_mov_b32_e32 v9, s4
	global_store_dwordx2 v[0:1], v[8:9], off
	s_mov_b64 s[4:5], 0
	s_mov_b64 s[10:11], -1
.LBB241_2900:
	s_mov_b64 s[14:15], 0
.LBB241_2901:
	s_and_b64 vcc, exec, s[14:15]
	s_cbranch_vccz .LBB241_2917
; %bb.2902:
	s_cmp_lt_i32 s13, 27
	s_mov_b64 s[10:11], -1
	s_cbranch_scc1 .LBB241_2908
; %bb.2903:
	s_cmp_gt_i32 s13, 27
	s_cbranch_scc0 .LBB241_2905
; %bb.2904:
	v_cndmask_b32_e64 v3, 0, 1, s[2:3]
	s_mov_b64 s[10:11], 0
	global_store_dword v[0:1], v3, off
.LBB241_2905:
	s_andn2_b64 vcc, exec, s[10:11]
	s_cbranch_vccnz .LBB241_2907
; %bb.2906:
	v_cndmask_b32_e64 v3, 0, 1, s[2:3]
	global_store_short v[0:1], v3, off
.LBB241_2907:
	s_mov_b64 s[10:11], 0
.LBB241_2908:
	s_andn2_b64 vcc, exec, s[10:11]
	s_cbranch_vccnz .LBB241_2916
; %bb.2909:
	v_cndmask_b32_e64 v8, 0, 1.0, s[2:3]
	s_mov_b32 s10, 0x43800000
	v_cmp_gt_u32_e32 vcc, s10, v8
	v_mov_b32_e32 v9, 0x80
	s_and_saveexec_b64 s[10:11], vcc
	s_cbranch_execz .LBB241_2915
; %bb.2910:
	s_mov_b32 s14, 0x3bffffff
	v_cmp_lt_u32_e32 vcc, s14, v8
	s_mov_b64 s[14:15], 0
                                        ; implicit-def: $vgpr3
	s_and_saveexec_b64 s[16:17], vcc
	s_xor_b64 s[16:17], exec, s[16:17]
	s_cbranch_execz .LBB241_3364
; %bb.2911:
	v_bfe_u32 v3, v8, 20, 1
	s_mov_b32 s25, 0x487ffff
	v_add3_u32 v3, v8, v3, s25
	s_mov_b64 s[14:15], exec
	v_lshrrev_b32_e32 v3, 20, v3
                                        ; implicit-def: $vgpr8
	s_andn2_saveexec_b64 s[16:17], s[16:17]
	s_cbranch_execnz .LBB241_3365
.LBB241_2912:
	s_or_b64 exec, exec, s[16:17]
	v_mov_b32_e32 v9, 0
	s_and_saveexec_b64 s[16:17], s[14:15]
.LBB241_2913:
	v_mov_b32_e32 v9, v3
.LBB241_2914:
	s_or_b64 exec, exec, s[16:17]
.LBB241_2915:
	s_or_b64 exec, exec, s[10:11]
	global_store_byte v[0:1], v9, off
.LBB241_2916:
	s_mov_b64 s[10:11], -1
.LBB241_2917:
	s_mov_b64 s[14:15], 0
.LBB241_2918:
	s_and_b64 vcc, exec, s[14:15]
	s_cbranch_vccz .LBB241_2958
; %bb.2919:
	s_cmp_gt_i32 s13, 22
	s_mov_b64 s[6:7], -1
	s_cbranch_scc0 .LBB241_2951
; %bb.2920:
	s_cmp_lt_i32 s13, 24
	s_cbranch_scc1 .LBB241_2940
; %bb.2921:
	s_cmp_gt_i32 s13, 24
	s_cbranch_scc0 .LBB241_2929
; %bb.2922:
	v_cndmask_b32_e64 v8, 0, 1.0, s[2:3]
	s_mov_b32 s6, 0x47800000
	v_cmp_gt_u32_e32 vcc, s6, v8
	v_mov_b32_e32 v9, 0x80
	s_and_saveexec_b64 s[6:7], vcc
	s_cbranch_execz .LBB241_2928
; %bb.2923:
	s_mov_b32 s10, 0x37ffffff
	v_cmp_lt_u32_e32 vcc, s10, v8
	s_mov_b64 s[10:11], 0
                                        ; implicit-def: $vgpr3
	s_and_saveexec_b64 s[14:15], vcc
	s_xor_b64 s[14:15], exec, s[14:15]
	s_cbranch_execz .LBB241_3367
; %bb.2924:
	v_bfe_u32 v3, v8, 21, 1
	s_mov_b32 s16, 0x88fffff
	v_add3_u32 v3, v8, v3, s16
	s_mov_b64 s[10:11], exec
	v_lshrrev_b32_e32 v3, 21, v3
                                        ; implicit-def: $vgpr8
	s_andn2_saveexec_b64 s[14:15], s[14:15]
	s_cbranch_execnz .LBB241_3368
.LBB241_2925:
	s_or_b64 exec, exec, s[14:15]
	v_mov_b32_e32 v9, 0
	s_and_saveexec_b64 s[14:15], s[10:11]
.LBB241_2926:
	v_mov_b32_e32 v9, v3
.LBB241_2927:
	s_or_b64 exec, exec, s[14:15]
.LBB241_2928:
	s_or_b64 exec, exec, s[6:7]
	s_mov_b64 s[6:7], 0
	global_store_byte v[0:1], v9, off
.LBB241_2929:
	s_and_b64 vcc, exec, s[6:7]
	s_cbranch_vccz .LBB241_2939
; %bb.2930:
	v_cndmask_b32_e64 v3, 0, 1.0, s[2:3]
	s_mov_b32 s6, 0x43f00000
	v_cmp_gt_u32_e32 vcc, s6, v3
                                        ; implicit-def: $vgpr8
	s_and_saveexec_b64 s[6:7], vcc
	s_xor_b64 s[6:7], exec, s[6:7]
	s_cbranch_execz .LBB241_2936
; %bb.2931:
	s_mov_b32 s10, 0x3c7fffff
	v_cmp_lt_u32_e32 vcc, s10, v3
                                        ; implicit-def: $vgpr8
	s_and_saveexec_b64 s[10:11], vcc
	s_xor_b64 s[10:11], exec, s[10:11]
; %bb.2932:
	v_bfe_u32 v8, v3, 20, 1
	s_mov_b32 s14, 0x407ffff
	v_add3_u32 v3, v3, v8, s14
	v_lshrrev_b32_e32 v8, 20, v3
	v_and_b32_e32 v3, 0xff00000, v3
	s_mov_b32 s14, 0x7f00000
	v_mov_b32_e32 v9, 0x7e
	v_cmp_ne_u32_e32 vcc, s14, v3
	v_cndmask_b32_e32 v8, v9, v8, vcc
                                        ; implicit-def: $vgpr3
; %bb.2933:
	s_andn2_saveexec_b64 s[10:11], s[10:11]
; %bb.2934:
	v_add_f32_e32 v8, 0x46800000, v3
; %bb.2935:
	s_or_b64 exec, exec, s[10:11]
                                        ; implicit-def: $vgpr3
.LBB241_2936:
	s_andn2_saveexec_b64 s[6:7], s[6:7]
; %bb.2937:
	s_mov_b32 s10, 0x7f800000
	v_mov_b32_e32 v8, 0x7e
	v_mov_b32_e32 v9, 0x7f
	v_cmp_lt_u32_e32 vcc, s10, v3
	v_cndmask_b32_e32 v8, v8, v9, vcc
; %bb.2938:
	s_or_b64 exec, exec, s[6:7]
	global_store_byte v[0:1], v8, off
.LBB241_2939:
	s_mov_b64 s[6:7], 0
.LBB241_2940:
	s_andn2_b64 vcc, exec, s[6:7]
	s_cbranch_vccnz .LBB241_2950
; %bb.2941:
	v_cndmask_b32_e64 v3, 0, 1.0, s[2:3]
	s_mov_b32 s6, 0x47800000
	v_cmp_gt_u32_e32 vcc, s6, v3
                                        ; implicit-def: $vgpr8
	s_and_saveexec_b64 s[6:7], vcc
	s_xor_b64 s[6:7], exec, s[6:7]
	s_cbranch_execz .LBB241_2947
; %bb.2942:
	s_mov_b32 s10, 0x387fffff
	v_cmp_lt_u32_e32 vcc, s10, v3
                                        ; implicit-def: $vgpr8
	s_and_saveexec_b64 s[10:11], vcc
	s_xor_b64 s[10:11], exec, s[10:11]
; %bb.2943:
	v_bfe_u32 v8, v3, 21, 1
	s_mov_b32 s14, 0x80fffff
	v_add3_u32 v3, v3, v8, s14
	v_lshrrev_b32_e32 v8, 21, v3
                                        ; implicit-def: $vgpr3
; %bb.2944:
	s_andn2_saveexec_b64 s[10:11], s[10:11]
; %bb.2945:
	v_add_f32_e32 v8, 0x43000000, v3
; %bb.2946:
	s_or_b64 exec, exec, s[10:11]
                                        ; implicit-def: $vgpr3
.LBB241_2947:
	s_andn2_saveexec_b64 s[6:7], s[6:7]
; %bb.2948:
	s_mov_b32 s10, 0x7f800000
	v_mov_b32_e32 v8, 0x7c
	v_mov_b32_e32 v9, 0x7f
	v_cmp_lt_u32_e32 vcc, s10, v3
	v_cndmask_b32_e32 v8, v8, v9, vcc
; %bb.2949:
	s_or_b64 exec, exec, s[6:7]
	global_store_byte v[0:1], v8, off
.LBB241_2950:
	s_mov_b64 s[6:7], 0
	s_mov_b64 s[10:11], -1
.LBB241_2951:
	s_andn2_b64 vcc, exec, s[6:7]
	s_mov_b64 s[6:7], 0
	s_cbranch_vccnz .LBB241_2958
; %bb.2952:
	s_cmp_gt_i32 s13, 14
	s_mov_b64 s[14:15], -1
	s_cbranch_scc0 .LBB241_2956
; %bb.2953:
	s_cmp_eq_u32 s13, 15
	s_mov_b64 s[4:5], -1
	s_cbranch_scc0 .LBB241_2955
; %bb.2954:
	v_cndmask_b32_e64 v3, 0, 1.0, s[2:3]
	v_bfe_u32 v8, v3, 16, 1
	s_movk_i32 s4, 0x7fff
	v_add3_u32 v3, v3, v8, s4
	global_store_short_d16_hi v[0:1], v3, off
	s_mov_b64 s[4:5], 0
	s_mov_b64 s[10:11], -1
.LBB241_2955:
	s_mov_b64 s[14:15], 0
.LBB241_2956:
	s_and_b64 vcc, exec, s[14:15]
	s_cbranch_vccz .LBB241_2958
; %bb.2957:
	s_cmp_lg_u32 s13, 11
	s_mov_b64 s[6:7], -1
	s_cselect_b64 s[4:5], -1, 0
.LBB241_2958:
	s_and_b64 vcc, exec, s[4:5]
	s_cbranch_vccnz .LBB241_3366
; %bb.2959:
	s_andn2_b64 vcc, exec, s[6:7]
	s_cbranch_vccnz .LBB241_2961
.LBB241_2960:
	v_cndmask_b32_e64 v3, 0, 1, s[2:3]
	s_mov_b64 s[10:11], -1
	global_store_byte v[0:1], v3, off
.LBB241_2961:
	s_mov_b64 s[4:5], 0
	s_branch .LBB241_2963
.LBB241_2962:
	s_mov_b64 s[4:5], -1
	s_mov_b64 s[10:11], 0
.LBB241_2963:
	s_and_b64 vcc, exec, s[4:5]
	s_cbranch_vccz .LBB241_3002
; %bb.2964:
	s_and_b32 s6, 0xffff, s24
	s_cmp_lt_i32 s6, 5
	s_mov_b64 s[4:5], -1
	s_cbranch_scc1 .LBB241_2985
; %bb.2965:
	s_cmp_lt_i32 s6, 8
	s_cbranch_scc1 .LBB241_2975
; %bb.2966:
	s_cmp_lt_i32 s6, 9
	s_cbranch_scc1 .LBB241_2972
; %bb.2967:
	s_cmp_gt_i32 s6, 9
	s_cbranch_scc0 .LBB241_2969
; %bb.2968:
	v_cndmask_b32_e64 v3, 0, 1, s[2:3]
	v_cvt_f64_u32_e32 v[8:9], v3
	v_mov_b32_e32 v10, 0
	v_mov_b32_e32 v11, v10
	s_mov_b64 s[4:5], 0
	global_store_dwordx4 v[0:1], v[8:11], off
.LBB241_2969:
	s_andn2_b64 vcc, exec, s[4:5]
	s_cbranch_vccnz .LBB241_2971
; %bb.2970:
	v_cndmask_b32_e64 v8, 0, 1.0, s[2:3]
	v_mov_b32_e32 v9, 0
	global_store_dwordx2 v[0:1], v[8:9], off
.LBB241_2971:
	s_mov_b64 s[4:5], 0
.LBB241_2972:
	s_andn2_b64 vcc, exec, s[4:5]
	s_cbranch_vccnz .LBB241_2974
; %bb.2973:
	v_cndmask_b32_e64 v3, 0, 1.0, s[2:3]
	v_cvt_f16_f32_e32 v3, v3
	global_store_dword v[0:1], v3, off
.LBB241_2974:
	s_mov_b64 s[4:5], 0
.LBB241_2975:
	s_andn2_b64 vcc, exec, s[4:5]
	s_cbranch_vccnz .LBB241_2984
; %bb.2976:
	s_cmp_lt_i32 s6, 6
	s_mov_b64 s[4:5], -1
	s_cbranch_scc1 .LBB241_2982
; %bb.2977:
	s_cmp_gt_i32 s6, 6
	s_cbranch_scc0 .LBB241_2979
; %bb.2978:
	v_cndmask_b32_e64 v3, 0, 1, s[2:3]
	v_cvt_f64_u32_e32 v[8:9], v3
	s_mov_b64 s[4:5], 0
	global_store_dwordx2 v[0:1], v[8:9], off
.LBB241_2979:
	s_andn2_b64 vcc, exec, s[4:5]
	s_cbranch_vccnz .LBB241_2981
; %bb.2980:
	v_cndmask_b32_e64 v3, 0, 1.0, s[2:3]
	global_store_dword v[0:1], v3, off
.LBB241_2981:
	s_mov_b64 s[4:5], 0
.LBB241_2982:
	s_andn2_b64 vcc, exec, s[4:5]
	s_cbranch_vccnz .LBB241_2984
; %bb.2983:
	v_cndmask_b32_e64 v3, 0, 1.0, s[2:3]
	v_cvt_f16_f32_e32 v3, v3
	global_store_short v[0:1], v3, off
.LBB241_2984:
	s_mov_b64 s[4:5], 0
.LBB241_2985:
	s_andn2_b64 vcc, exec, s[4:5]
	s_cbranch_vccnz .LBB241_3001
; %bb.2986:
	s_cmp_lt_i32 s6, 2
	s_mov_b64 s[4:5], -1
	s_cbranch_scc1 .LBB241_2996
; %bb.2987:
	s_cmp_lt_i32 s6, 3
	s_cbranch_scc1 .LBB241_2993
; %bb.2988:
	s_cmp_gt_i32 s6, 3
	s_cbranch_scc0 .LBB241_2990
; %bb.2989:
	s_mov_b32 s4, 0
	v_cndmask_b32_e64 v8, 0, 1, s[2:3]
	v_mov_b32_e32 v9, s4
	global_store_dwordx2 v[0:1], v[8:9], off
	s_mov_b64 s[4:5], 0
.LBB241_2990:
	s_andn2_b64 vcc, exec, s[4:5]
	s_cbranch_vccnz .LBB241_2992
; %bb.2991:
	v_cndmask_b32_e64 v3, 0, 1, s[2:3]
	global_store_dword v[0:1], v3, off
.LBB241_2992:
	s_mov_b64 s[4:5], 0
.LBB241_2993:
	s_andn2_b64 vcc, exec, s[4:5]
	s_cbranch_vccnz .LBB241_2995
; %bb.2994:
	v_cndmask_b32_e64 v3, 0, 1, s[2:3]
	global_store_short v[0:1], v3, off
.LBB241_2995:
	s_mov_b64 s[4:5], 0
.LBB241_2996:
	s_andn2_b64 vcc, exec, s[4:5]
	s_cbranch_vccnz .LBB241_3001
; %bb.2997:
	s_mov_b64 s[4:5], -1
	s_cmp_gt_i32 s6, 0
	v_cndmask_b32_e64 v3, 0, 1, s[2:3]
	s_cbranch_scc0 .LBB241_2999
; %bb.2998:
	global_store_byte v[0:1], v3, off
	s_mov_b64 s[4:5], 0
.LBB241_2999:
	s_andn2_b64 vcc, exec, s[4:5]
	s_cbranch_vccnz .LBB241_3001
; %bb.3000:
	global_store_byte v[0:1], v3, off
.LBB241_3001:
	s_mov_b64 s[10:11], -1
.LBB241_3002:
	s_andn2_b64 vcc, exec, s[10:11]
	s_cbranch_vccnz .LBB241_3317
; %bb.3003:
	v_lshlrev_b32_e32 v1, 25, v4
	v_lshlrev_b16_e32 v0, 8, v4
	v_lshrrev_b32_e32 v3, 4, v1
	s_movk_i32 s2, 0x7f00
	v_or_b32_e32 v3, 0x70000000, v3
	v_and_or_b32 v4, v0, s2, 0.5
	s_brev_b32 s2, 16
	v_add_f32_e32 v4, -0.5, v4
	v_mul_f32_e32 v3, 0x7800000, v3
	v_cmp_gt_u32_e32 vcc, s2, v1
	v_cndmask_b32_e32 v1, v3, v4, vcc
	v_bfe_i32 v0, v0, 0, 16
	s_brev_b32 s2, 1
	v_and_or_b32 v0, v0, s2, v1
	v_cmp_eq_f32_e32 vcc, v7, v0
	v_cndmask_b32_e64 v1, 0, 1, vcc
	v_cmp_neq_f32_e32 vcc, v7, v0
	v_cndmask_b32_e64 v0, 0, 1, vcc
	v_cndmask_b32_e64 v0, v0, v1, s[0:1]
	s_lshl_b32 s16, s12, 7
	v_and_b32_e32 v0, 1, v0
	v_add_u32_e32 v2, s16, v2
	v_cmp_eq_u32_e64 s[2:3], 1, v0
	v_ashrrev_i32_e32 v1, 31, v2
	v_mov_b32_e32 v3, s9
	v_add_co_u32_e32 v0, vcc, s8, v2
	s_cmp_lt_i32 s24, 11
	v_addc_co_u32_e32 v1, vcc, v3, v1, vcc
	s_cbranch_scc1 .LBB241_3081
; %bb.3004:
	s_and_b32 s17, 0xffff, s24
	s_mov_b64 s[12:13], -1
	s_mov_b64 s[6:7], 0
	s_cmp_gt_i32 s17, 25
	s_mov_b64 s[10:11], 0
	s_mov_b64 s[4:5], 0
	s_cbranch_scc0 .LBB241_3037
; %bb.3005:
	s_cmp_gt_i32 s17, 28
	s_cbranch_scc0 .LBB241_3020
; %bb.3006:
	s_cmp_gt_i32 s17, 43
	;; [unrolled: 3-line block ×3, first 2 shown]
	s_cbranch_scc0 .LBB241_3010
; %bb.3008:
	s_mov_b64 s[4:5], -1
	s_mov_b64 s[12:13], 0
	s_cmp_eq_u32 s17, 46
	s_cbranch_scc0 .LBB241_3010
; %bb.3009:
	v_cndmask_b32_e64 v3, 0, 1.0, s[2:3]
	v_bfe_u32 v4, v3, 16, 1
	s_movk_i32 s4, 0x7fff
	v_add3_u32 v3, v3, v4, s4
	v_lshrrev_b32_e32 v3, 16, v3
	global_store_dword v[0:1], v3, off
	s_mov_b64 s[4:5], 0
	s_mov_b64 s[10:11], -1
.LBB241_3010:
	s_and_b64 vcc, exec, s[12:13]
	s_cbranch_vccz .LBB241_3015
; %bb.3011:
	s_cmp_eq_u32 s17, 44
	s_mov_b64 s[4:5], -1
	s_cbranch_scc0 .LBB241_3015
; %bb.3012:
	v_cndmask_b32_e64 v4, 0, 1.0, s[2:3]
	v_lshrrev_b32_e32 v3, 23, v4
	s_movk_i32 s4, 0xff
	v_cmp_ne_u32_e32 vcc, s4, v3
	v_mov_b32_e32 v8, 0xff
	s_and_saveexec_b64 s[10:11], vcc
; %bb.3013:
	s_mov_b32 s4, 0x3fffff
	v_and_b32_e32 v8, 0x400000, v4
	v_and_or_b32 v4, v4, s4, v3
	v_cmp_ne_u32_e32 vcc, 0, v8
	v_cmp_ne_u32_e64 s[4:5], 0, v4
	s_and_b64 s[4:5], vcc, s[4:5]
	v_cndmask_b32_e64 v4, 0, 1, s[4:5]
	v_add_u32_e32 v8, v3, v4
; %bb.3014:
	s_or_b64 exec, exec, s[10:11]
	s_mov_b64 s[4:5], 0
	s_mov_b64 s[10:11], -1
	global_store_byte v[0:1], v8, off
.LBB241_3015:
	s_mov_b64 s[12:13], 0
.LBB241_3016:
	s_and_b64 vcc, exec, s[12:13]
	s_cbranch_vccz .LBB241_3019
; %bb.3017:
	s_cmp_eq_u32 s17, 29
	s_mov_b64 s[4:5], -1
	s_cbranch_scc0 .LBB241_3019
; %bb.3018:
	s_mov_b32 s4, 0
	v_cndmask_b32_e64 v3, 0, 1, s[2:3]
	v_mov_b32_e32 v4, s4
	global_store_dwordx2 v[0:1], v[3:4], off
	s_mov_b64 s[4:5], 0
	s_mov_b64 s[10:11], -1
.LBB241_3019:
	s_mov_b64 s[12:13], 0
.LBB241_3020:
	s_and_b64 vcc, exec, s[12:13]
	s_cbranch_vccz .LBB241_3036
; %bb.3021:
	s_cmp_lt_i32 s17, 27
	s_mov_b64 s[10:11], -1
	s_cbranch_scc1 .LBB241_3027
; %bb.3022:
	s_cmp_gt_i32 s17, 27
	s_cbranch_scc0 .LBB241_3024
; %bb.3023:
	v_cndmask_b32_e64 v3, 0, 1, s[2:3]
	s_mov_b64 s[10:11], 0
	global_store_dword v[0:1], v3, off
.LBB241_3024:
	s_andn2_b64 vcc, exec, s[10:11]
	s_cbranch_vccnz .LBB241_3026
; %bb.3025:
	v_cndmask_b32_e64 v3, 0, 1, s[2:3]
	global_store_short v[0:1], v3, off
.LBB241_3026:
	s_mov_b64 s[10:11], 0
.LBB241_3027:
	s_andn2_b64 vcc, exec, s[10:11]
	s_cbranch_vccnz .LBB241_3035
; %bb.3028:
	v_cndmask_b32_e64 v4, 0, 1.0, s[2:3]
	s_mov_b32 s10, 0x43800000
	v_cmp_gt_u32_e32 vcc, s10, v4
	v_mov_b32_e32 v8, 0x80
	s_and_saveexec_b64 s[10:11], vcc
	s_cbranch_execz .LBB241_3034
; %bb.3029:
	s_mov_b32 s12, 0x3bffffff
	v_cmp_lt_u32_e32 vcc, s12, v4
	s_mov_b64 s[12:13], 0
                                        ; implicit-def: $vgpr3
	s_and_saveexec_b64 s[14:15], vcc
	s_xor_b64 s[14:15], exec, s[14:15]
	s_cbranch_execz .LBB241_3369
; %bb.3030:
	v_bfe_u32 v3, v4, 20, 1
	s_mov_b32 s25, 0x487ffff
	v_add3_u32 v3, v4, v3, s25
	s_mov_b64 s[12:13], exec
	v_lshrrev_b32_e32 v3, 20, v3
                                        ; implicit-def: $vgpr4
	s_andn2_saveexec_b64 s[14:15], s[14:15]
	s_cbranch_execnz .LBB241_3370
.LBB241_3031:
	s_or_b64 exec, exec, s[14:15]
	v_mov_b32_e32 v8, 0
	s_and_saveexec_b64 s[14:15], s[12:13]
.LBB241_3032:
	v_mov_b32_e32 v8, v3
.LBB241_3033:
	s_or_b64 exec, exec, s[14:15]
.LBB241_3034:
	s_or_b64 exec, exec, s[10:11]
	global_store_byte v[0:1], v8, off
.LBB241_3035:
	s_mov_b64 s[10:11], -1
.LBB241_3036:
	s_mov_b64 s[12:13], 0
.LBB241_3037:
	s_and_b64 vcc, exec, s[12:13]
	s_cbranch_vccz .LBB241_3077
; %bb.3038:
	s_cmp_gt_i32 s17, 22
	s_mov_b64 s[6:7], -1
	s_cbranch_scc0 .LBB241_3070
; %bb.3039:
	s_cmp_lt_i32 s17, 24
	s_cbranch_scc1 .LBB241_3059
; %bb.3040:
	s_cmp_gt_i32 s17, 24
	s_cbranch_scc0 .LBB241_3048
; %bb.3041:
	v_cndmask_b32_e64 v4, 0, 1.0, s[2:3]
	s_mov_b32 s6, 0x47800000
	v_cmp_gt_u32_e32 vcc, s6, v4
	v_mov_b32_e32 v8, 0x80
	s_and_saveexec_b64 s[6:7], vcc
	s_cbranch_execz .LBB241_3047
; %bb.3042:
	s_mov_b32 s10, 0x37ffffff
	v_cmp_lt_u32_e32 vcc, s10, v4
	s_mov_b64 s[10:11], 0
                                        ; implicit-def: $vgpr3
	s_and_saveexec_b64 s[12:13], vcc
	s_xor_b64 s[12:13], exec, s[12:13]
	s_cbranch_execz .LBB241_3372
; %bb.3043:
	v_bfe_u32 v3, v4, 21, 1
	s_mov_b32 s14, 0x88fffff
	v_add3_u32 v3, v4, v3, s14
	s_mov_b64 s[10:11], exec
	v_lshrrev_b32_e32 v3, 21, v3
                                        ; implicit-def: $vgpr4
	s_andn2_saveexec_b64 s[12:13], s[12:13]
	s_cbranch_execnz .LBB241_3373
.LBB241_3044:
	s_or_b64 exec, exec, s[12:13]
	v_mov_b32_e32 v8, 0
	s_and_saveexec_b64 s[12:13], s[10:11]
.LBB241_3045:
	v_mov_b32_e32 v8, v3
.LBB241_3046:
	s_or_b64 exec, exec, s[12:13]
.LBB241_3047:
	s_or_b64 exec, exec, s[6:7]
	s_mov_b64 s[6:7], 0
	global_store_byte v[0:1], v8, off
.LBB241_3048:
	s_and_b64 vcc, exec, s[6:7]
	s_cbranch_vccz .LBB241_3058
; %bb.3049:
	v_cndmask_b32_e64 v3, 0, 1.0, s[2:3]
	s_mov_b32 s6, 0x43f00000
	v_cmp_gt_u32_e32 vcc, s6, v3
                                        ; implicit-def: $vgpr4
	s_and_saveexec_b64 s[6:7], vcc
	s_xor_b64 s[6:7], exec, s[6:7]
	s_cbranch_execz .LBB241_3055
; %bb.3050:
	s_mov_b32 s10, 0x3c7fffff
	v_cmp_lt_u32_e32 vcc, s10, v3
                                        ; implicit-def: $vgpr4
	s_and_saveexec_b64 s[10:11], vcc
	s_xor_b64 s[10:11], exec, s[10:11]
; %bb.3051:
	v_bfe_u32 v4, v3, 20, 1
	s_mov_b32 s12, 0x407ffff
	v_add3_u32 v3, v3, v4, s12
	v_lshrrev_b32_e32 v4, 20, v3
	v_and_b32_e32 v3, 0xff00000, v3
	s_mov_b32 s12, 0x7f00000
	v_mov_b32_e32 v8, 0x7e
	v_cmp_ne_u32_e32 vcc, s12, v3
	v_cndmask_b32_e32 v4, v8, v4, vcc
                                        ; implicit-def: $vgpr3
; %bb.3052:
	s_andn2_saveexec_b64 s[10:11], s[10:11]
; %bb.3053:
	v_add_f32_e32 v4, 0x46800000, v3
; %bb.3054:
	s_or_b64 exec, exec, s[10:11]
                                        ; implicit-def: $vgpr3
.LBB241_3055:
	s_andn2_saveexec_b64 s[6:7], s[6:7]
; %bb.3056:
	s_mov_b32 s10, 0x7f800000
	v_mov_b32_e32 v4, 0x7e
	v_mov_b32_e32 v8, 0x7f
	v_cmp_lt_u32_e32 vcc, s10, v3
	v_cndmask_b32_e32 v4, v4, v8, vcc
; %bb.3057:
	s_or_b64 exec, exec, s[6:7]
	global_store_byte v[0:1], v4, off
.LBB241_3058:
	s_mov_b64 s[6:7], 0
.LBB241_3059:
	s_andn2_b64 vcc, exec, s[6:7]
	s_cbranch_vccnz .LBB241_3069
; %bb.3060:
	v_cndmask_b32_e64 v3, 0, 1.0, s[2:3]
	s_mov_b32 s6, 0x47800000
	v_cmp_gt_u32_e32 vcc, s6, v3
                                        ; implicit-def: $vgpr4
	s_and_saveexec_b64 s[6:7], vcc
	s_xor_b64 s[6:7], exec, s[6:7]
	s_cbranch_execz .LBB241_3066
; %bb.3061:
	s_mov_b32 s10, 0x387fffff
	v_cmp_lt_u32_e32 vcc, s10, v3
                                        ; implicit-def: $vgpr4
	s_and_saveexec_b64 s[10:11], vcc
	s_xor_b64 s[10:11], exec, s[10:11]
; %bb.3062:
	v_bfe_u32 v4, v3, 21, 1
	s_mov_b32 s12, 0x80fffff
	v_add3_u32 v3, v3, v4, s12
	v_lshrrev_b32_e32 v4, 21, v3
                                        ; implicit-def: $vgpr3
; %bb.3063:
	s_andn2_saveexec_b64 s[10:11], s[10:11]
; %bb.3064:
	v_add_f32_e32 v4, 0x43000000, v3
; %bb.3065:
	s_or_b64 exec, exec, s[10:11]
                                        ; implicit-def: $vgpr3
.LBB241_3066:
	s_andn2_saveexec_b64 s[6:7], s[6:7]
; %bb.3067:
	s_mov_b32 s10, 0x7f800000
	v_mov_b32_e32 v4, 0x7c
	v_mov_b32_e32 v8, 0x7f
	v_cmp_lt_u32_e32 vcc, s10, v3
	v_cndmask_b32_e32 v4, v4, v8, vcc
; %bb.3068:
	s_or_b64 exec, exec, s[6:7]
	global_store_byte v[0:1], v4, off
.LBB241_3069:
	s_mov_b64 s[6:7], 0
	s_mov_b64 s[10:11], -1
.LBB241_3070:
	s_andn2_b64 vcc, exec, s[6:7]
	s_mov_b64 s[6:7], 0
	s_cbranch_vccnz .LBB241_3077
; %bb.3071:
	s_cmp_gt_i32 s17, 14
	s_mov_b64 s[12:13], -1
	s_cbranch_scc0 .LBB241_3075
; %bb.3072:
	s_cmp_eq_u32 s17, 15
	s_mov_b64 s[4:5], -1
	s_cbranch_scc0 .LBB241_3074
; %bb.3073:
	v_cndmask_b32_e64 v3, 0, 1.0, s[2:3]
	v_bfe_u32 v4, v3, 16, 1
	s_movk_i32 s4, 0x7fff
	v_add3_u32 v3, v3, v4, s4
	global_store_short_d16_hi v[0:1], v3, off
	s_mov_b64 s[4:5], 0
	s_mov_b64 s[10:11], -1
.LBB241_3074:
	s_mov_b64 s[12:13], 0
.LBB241_3075:
	s_and_b64 vcc, exec, s[12:13]
	s_cbranch_vccz .LBB241_3077
; %bb.3076:
	s_cmp_lg_u32 s17, 11
	s_mov_b64 s[6:7], -1
	s_cselect_b64 s[4:5], -1, 0
.LBB241_3077:
	s_and_b64 vcc, exec, s[4:5]
	s_cbranch_vccnz .LBB241_3371
; %bb.3078:
	s_andn2_b64 vcc, exec, s[6:7]
	s_cbranch_vccnz .LBB241_3080
.LBB241_3079:
	v_cndmask_b32_e64 v3, 0, 1, s[2:3]
	s_mov_b64 s[10:11], -1
	global_store_byte v[0:1], v3, off
.LBB241_3080:
	s_mov_b64 s[4:5], 0
	s_branch .LBB241_3082
.LBB241_3081:
	s_mov_b64 s[4:5], -1
	s_mov_b64 s[10:11], 0
.LBB241_3082:
	s_and_b64 vcc, exec, s[4:5]
	s_cbranch_vccz .LBB241_3121
; %bb.3083:
	s_and_b32 s6, 0xffff, s24
	s_cmp_lt_i32 s6, 5
	s_mov_b64 s[4:5], -1
	s_cbranch_scc1 .LBB241_3104
; %bb.3084:
	s_cmp_lt_i32 s6, 8
	s_cbranch_scc1 .LBB241_3094
; %bb.3085:
	s_cmp_lt_i32 s6, 9
	s_cbranch_scc1 .LBB241_3091
; %bb.3086:
	s_cmp_gt_i32 s6, 9
	s_cbranch_scc0 .LBB241_3088
; %bb.3087:
	v_cndmask_b32_e64 v3, 0, 1, s[2:3]
	v_cvt_f64_u32_e32 v[8:9], v3
	v_mov_b32_e32 v10, 0
	v_mov_b32_e32 v11, v10
	s_mov_b64 s[4:5], 0
	global_store_dwordx4 v[0:1], v[8:11], off
.LBB241_3088:
	s_andn2_b64 vcc, exec, s[4:5]
	s_cbranch_vccnz .LBB241_3090
; %bb.3089:
	v_cndmask_b32_e64 v3, 0, 1.0, s[2:3]
	v_mov_b32_e32 v4, 0
	global_store_dwordx2 v[0:1], v[3:4], off
.LBB241_3090:
	s_mov_b64 s[4:5], 0
.LBB241_3091:
	s_andn2_b64 vcc, exec, s[4:5]
	s_cbranch_vccnz .LBB241_3093
; %bb.3092:
	v_cndmask_b32_e64 v3, 0, 1.0, s[2:3]
	v_cvt_f16_f32_e32 v3, v3
	global_store_dword v[0:1], v3, off
.LBB241_3093:
	s_mov_b64 s[4:5], 0
.LBB241_3094:
	s_andn2_b64 vcc, exec, s[4:5]
	s_cbranch_vccnz .LBB241_3103
; %bb.3095:
	s_cmp_lt_i32 s6, 6
	s_mov_b64 s[4:5], -1
	s_cbranch_scc1 .LBB241_3101
; %bb.3096:
	s_cmp_gt_i32 s6, 6
	s_cbranch_scc0 .LBB241_3098
; %bb.3097:
	v_cndmask_b32_e64 v3, 0, 1, s[2:3]
	v_cvt_f64_u32_e32 v[3:4], v3
	s_mov_b64 s[4:5], 0
	global_store_dwordx2 v[0:1], v[3:4], off
.LBB241_3098:
	s_andn2_b64 vcc, exec, s[4:5]
	s_cbranch_vccnz .LBB241_3100
; %bb.3099:
	v_cndmask_b32_e64 v3, 0, 1.0, s[2:3]
	global_store_dword v[0:1], v3, off
.LBB241_3100:
	s_mov_b64 s[4:5], 0
.LBB241_3101:
	s_andn2_b64 vcc, exec, s[4:5]
	s_cbranch_vccnz .LBB241_3103
; %bb.3102:
	v_cndmask_b32_e64 v3, 0, 1.0, s[2:3]
	v_cvt_f16_f32_e32 v3, v3
	global_store_short v[0:1], v3, off
.LBB241_3103:
	s_mov_b64 s[4:5], 0
.LBB241_3104:
	s_andn2_b64 vcc, exec, s[4:5]
	s_cbranch_vccnz .LBB241_3120
; %bb.3105:
	s_cmp_lt_i32 s6, 2
	s_mov_b64 s[4:5], -1
	s_cbranch_scc1 .LBB241_3115
; %bb.3106:
	s_cmp_lt_i32 s6, 3
	s_cbranch_scc1 .LBB241_3112
; %bb.3107:
	s_cmp_gt_i32 s6, 3
	s_cbranch_scc0 .LBB241_3109
; %bb.3108:
	s_mov_b32 s4, 0
	v_cndmask_b32_e64 v3, 0, 1, s[2:3]
	v_mov_b32_e32 v4, s4
	global_store_dwordx2 v[0:1], v[3:4], off
	s_mov_b64 s[4:5], 0
.LBB241_3109:
	s_andn2_b64 vcc, exec, s[4:5]
	s_cbranch_vccnz .LBB241_3111
; %bb.3110:
	v_cndmask_b32_e64 v3, 0, 1, s[2:3]
	global_store_dword v[0:1], v3, off
.LBB241_3111:
	s_mov_b64 s[4:5], 0
.LBB241_3112:
	s_andn2_b64 vcc, exec, s[4:5]
	s_cbranch_vccnz .LBB241_3114
; %bb.3113:
	v_cndmask_b32_e64 v3, 0, 1, s[2:3]
	global_store_short v[0:1], v3, off
.LBB241_3114:
	s_mov_b64 s[4:5], 0
.LBB241_3115:
	s_andn2_b64 vcc, exec, s[4:5]
	s_cbranch_vccnz .LBB241_3120
; %bb.3116:
	s_mov_b64 s[4:5], -1
	s_cmp_gt_i32 s6, 0
	v_cndmask_b32_e64 v3, 0, 1, s[2:3]
	s_cbranch_scc0 .LBB241_3118
; %bb.3117:
	global_store_byte v[0:1], v3, off
	s_mov_b64 s[4:5], 0
.LBB241_3118:
	s_andn2_b64 vcc, exec, s[4:5]
	s_cbranch_vccnz .LBB241_3120
; %bb.3119:
	global_store_byte v[0:1], v3, off
.LBB241_3120:
	s_mov_b64 s[10:11], -1
.LBB241_3121:
	s_andn2_b64 vcc, exec, s[10:11]
	s_cbranch_vccnz .LBB241_3317
; %bb.3122:
	v_lshlrev_b32_e32 v1, 25, v5
	v_lshlrev_b16_e32 v0, 8, v5
	v_lshrrev_b32_e32 v3, 4, v1
	s_movk_i32 s2, 0x7f00
	v_or_b32_e32 v3, 0x70000000, v3
	v_and_or_b32 v4, v0, s2, 0.5
	s_brev_b32 s2, 16
	v_add_f32_e32 v4, -0.5, v4
	v_mul_f32_e32 v3, 0x7800000, v3
	v_cmp_gt_u32_e32 vcc, s2, v1
	v_cndmask_b32_e32 v1, v3, v4, vcc
	v_bfe_i32 v0, v0, 0, 16
	s_brev_b32 s2, 1
	v_and_or_b32 v0, v0, s2, v1
	v_cmp_eq_f32_e32 vcc, v7, v0
	v_cndmask_b32_e64 v1, 0, 1, vcc
	v_cmp_neq_f32_e32 vcc, v7, v0
	v_cndmask_b32_e64 v0, 0, 1, vcc
	v_cndmask_b32_e64 v0, v0, v1, s[0:1]
	v_and_b32_e32 v0, 1, v0
	v_add_u32_e32 v2, s16, v2
	v_cmp_eq_u32_e64 s[2:3], 1, v0
	v_ashrrev_i32_e32 v1, 31, v2
	v_mov_b32_e32 v3, s9
	v_add_co_u32_e32 v0, vcc, s8, v2
	s_cmp_lt_i32 s24, 11
	v_addc_co_u32_e32 v1, vcc, v3, v1, vcc
	s_cbranch_scc1 .LBB241_3200
; %bb.3123:
	s_and_b32 s17, 0xffff, s24
	s_mov_b64 s[12:13], -1
	s_mov_b64 s[6:7], 0
	s_cmp_gt_i32 s17, 25
	s_mov_b64 s[10:11], 0
	s_mov_b64 s[4:5], 0
	s_cbranch_scc0 .LBB241_3156
; %bb.3124:
	s_cmp_gt_i32 s17, 28
	s_cbranch_scc0 .LBB241_3139
; %bb.3125:
	s_cmp_gt_i32 s17, 43
	;; [unrolled: 3-line block ×3, first 2 shown]
	s_cbranch_scc0 .LBB241_3129
; %bb.3127:
	s_mov_b64 s[4:5], -1
	s_mov_b64 s[12:13], 0
	s_cmp_eq_u32 s17, 46
	s_cbranch_scc0 .LBB241_3129
; %bb.3128:
	v_cndmask_b32_e64 v3, 0, 1.0, s[2:3]
	v_bfe_u32 v4, v3, 16, 1
	s_movk_i32 s4, 0x7fff
	v_add3_u32 v3, v3, v4, s4
	v_lshrrev_b32_e32 v3, 16, v3
	global_store_dword v[0:1], v3, off
	s_mov_b64 s[4:5], 0
	s_mov_b64 s[10:11], -1
.LBB241_3129:
	s_and_b64 vcc, exec, s[12:13]
	s_cbranch_vccz .LBB241_3134
; %bb.3130:
	s_cmp_eq_u32 s17, 44
	s_mov_b64 s[4:5], -1
	s_cbranch_scc0 .LBB241_3134
; %bb.3131:
	v_cndmask_b32_e64 v4, 0, 1.0, s[2:3]
	v_lshrrev_b32_e32 v3, 23, v4
	s_movk_i32 s4, 0xff
	v_cmp_ne_u32_e32 vcc, s4, v3
	v_mov_b32_e32 v5, 0xff
	s_and_saveexec_b64 s[10:11], vcc
; %bb.3132:
	s_mov_b32 s4, 0x3fffff
	v_and_b32_e32 v5, 0x400000, v4
	v_and_or_b32 v4, v4, s4, v3
	v_cmp_ne_u32_e32 vcc, 0, v5
	v_cmp_ne_u32_e64 s[4:5], 0, v4
	s_and_b64 s[4:5], vcc, s[4:5]
	v_cndmask_b32_e64 v4, 0, 1, s[4:5]
	v_add_u32_e32 v5, v3, v4
; %bb.3133:
	s_or_b64 exec, exec, s[10:11]
	s_mov_b64 s[4:5], 0
	s_mov_b64 s[10:11], -1
	global_store_byte v[0:1], v5, off
.LBB241_3134:
	s_mov_b64 s[12:13], 0
.LBB241_3135:
	s_and_b64 vcc, exec, s[12:13]
	s_cbranch_vccz .LBB241_3138
; %bb.3136:
	s_cmp_eq_u32 s17, 29
	s_mov_b64 s[4:5], -1
	s_cbranch_scc0 .LBB241_3138
; %bb.3137:
	s_mov_b32 s4, 0
	v_cndmask_b32_e64 v3, 0, 1, s[2:3]
	v_mov_b32_e32 v4, s4
	global_store_dwordx2 v[0:1], v[3:4], off
	s_mov_b64 s[4:5], 0
	s_mov_b64 s[10:11], -1
.LBB241_3138:
	s_mov_b64 s[12:13], 0
.LBB241_3139:
	s_and_b64 vcc, exec, s[12:13]
	s_cbranch_vccz .LBB241_3155
; %bb.3140:
	s_cmp_lt_i32 s17, 27
	s_mov_b64 s[10:11], -1
	s_cbranch_scc1 .LBB241_3146
; %bb.3141:
	s_cmp_gt_i32 s17, 27
	s_cbranch_scc0 .LBB241_3143
; %bb.3142:
	v_cndmask_b32_e64 v3, 0, 1, s[2:3]
	s_mov_b64 s[10:11], 0
	global_store_dword v[0:1], v3, off
.LBB241_3143:
	s_andn2_b64 vcc, exec, s[10:11]
	s_cbranch_vccnz .LBB241_3145
; %bb.3144:
	v_cndmask_b32_e64 v3, 0, 1, s[2:3]
	global_store_short v[0:1], v3, off
.LBB241_3145:
	s_mov_b64 s[10:11], 0
.LBB241_3146:
	s_andn2_b64 vcc, exec, s[10:11]
	s_cbranch_vccnz .LBB241_3154
; %bb.3147:
	v_cndmask_b32_e64 v4, 0, 1.0, s[2:3]
	s_mov_b32 s10, 0x43800000
	v_cmp_gt_u32_e32 vcc, s10, v4
	v_mov_b32_e32 v5, 0x80
	s_and_saveexec_b64 s[10:11], vcc
	s_cbranch_execz .LBB241_3153
; %bb.3148:
	s_mov_b32 s12, 0x3bffffff
	v_cmp_lt_u32_e32 vcc, s12, v4
	s_mov_b64 s[12:13], 0
                                        ; implicit-def: $vgpr3
	s_and_saveexec_b64 s[14:15], vcc
	s_xor_b64 s[14:15], exec, s[14:15]
	s_cbranch_execz .LBB241_3374
; %bb.3149:
	v_bfe_u32 v3, v4, 20, 1
	s_mov_b32 s25, 0x487ffff
	v_add3_u32 v3, v4, v3, s25
	s_mov_b64 s[12:13], exec
	v_lshrrev_b32_e32 v3, 20, v3
                                        ; implicit-def: $vgpr4
	s_andn2_saveexec_b64 s[14:15], s[14:15]
	s_cbranch_execnz .LBB241_3375
.LBB241_3150:
	s_or_b64 exec, exec, s[14:15]
	v_mov_b32_e32 v5, 0
	s_and_saveexec_b64 s[14:15], s[12:13]
.LBB241_3151:
	v_mov_b32_e32 v5, v3
.LBB241_3152:
	s_or_b64 exec, exec, s[14:15]
.LBB241_3153:
	s_or_b64 exec, exec, s[10:11]
	global_store_byte v[0:1], v5, off
.LBB241_3154:
	s_mov_b64 s[10:11], -1
.LBB241_3155:
	s_mov_b64 s[12:13], 0
.LBB241_3156:
	s_and_b64 vcc, exec, s[12:13]
	s_cbranch_vccz .LBB241_3196
; %bb.3157:
	s_cmp_gt_i32 s17, 22
	s_mov_b64 s[6:7], -1
	s_cbranch_scc0 .LBB241_3189
; %bb.3158:
	s_cmp_lt_i32 s17, 24
	s_cbranch_scc1 .LBB241_3178
; %bb.3159:
	s_cmp_gt_i32 s17, 24
	s_cbranch_scc0 .LBB241_3167
; %bb.3160:
	v_cndmask_b32_e64 v4, 0, 1.0, s[2:3]
	s_mov_b32 s6, 0x47800000
	v_cmp_gt_u32_e32 vcc, s6, v4
	v_mov_b32_e32 v5, 0x80
	s_and_saveexec_b64 s[6:7], vcc
	s_cbranch_execz .LBB241_3166
; %bb.3161:
	s_mov_b32 s10, 0x37ffffff
	v_cmp_lt_u32_e32 vcc, s10, v4
	s_mov_b64 s[10:11], 0
                                        ; implicit-def: $vgpr3
	s_and_saveexec_b64 s[12:13], vcc
	s_xor_b64 s[12:13], exec, s[12:13]
	s_cbranch_execz .LBB241_3377
; %bb.3162:
	v_bfe_u32 v3, v4, 21, 1
	s_mov_b32 s14, 0x88fffff
	v_add3_u32 v3, v4, v3, s14
	s_mov_b64 s[10:11], exec
	v_lshrrev_b32_e32 v3, 21, v3
                                        ; implicit-def: $vgpr4
	s_andn2_saveexec_b64 s[12:13], s[12:13]
	s_cbranch_execnz .LBB241_3378
.LBB241_3163:
	s_or_b64 exec, exec, s[12:13]
	v_mov_b32_e32 v5, 0
	s_and_saveexec_b64 s[12:13], s[10:11]
.LBB241_3164:
	v_mov_b32_e32 v5, v3
.LBB241_3165:
	s_or_b64 exec, exec, s[12:13]
.LBB241_3166:
	s_or_b64 exec, exec, s[6:7]
	s_mov_b64 s[6:7], 0
	global_store_byte v[0:1], v5, off
.LBB241_3167:
	s_and_b64 vcc, exec, s[6:7]
	s_cbranch_vccz .LBB241_3177
; %bb.3168:
	v_cndmask_b32_e64 v3, 0, 1.0, s[2:3]
	s_mov_b32 s6, 0x43f00000
	v_cmp_gt_u32_e32 vcc, s6, v3
                                        ; implicit-def: $vgpr4
	s_and_saveexec_b64 s[6:7], vcc
	s_xor_b64 s[6:7], exec, s[6:7]
	s_cbranch_execz .LBB241_3174
; %bb.3169:
	s_mov_b32 s10, 0x3c7fffff
	v_cmp_lt_u32_e32 vcc, s10, v3
                                        ; implicit-def: $vgpr4
	s_and_saveexec_b64 s[10:11], vcc
	s_xor_b64 s[10:11], exec, s[10:11]
; %bb.3170:
	v_bfe_u32 v4, v3, 20, 1
	s_mov_b32 s12, 0x407ffff
	v_add3_u32 v3, v3, v4, s12
	v_lshrrev_b32_e32 v4, 20, v3
	v_and_b32_e32 v3, 0xff00000, v3
	s_mov_b32 s12, 0x7f00000
	v_mov_b32_e32 v5, 0x7e
	v_cmp_ne_u32_e32 vcc, s12, v3
	v_cndmask_b32_e32 v4, v5, v4, vcc
                                        ; implicit-def: $vgpr3
; %bb.3171:
	s_andn2_saveexec_b64 s[10:11], s[10:11]
; %bb.3172:
	v_add_f32_e32 v4, 0x46800000, v3
; %bb.3173:
	s_or_b64 exec, exec, s[10:11]
                                        ; implicit-def: $vgpr3
.LBB241_3174:
	s_andn2_saveexec_b64 s[6:7], s[6:7]
; %bb.3175:
	s_mov_b32 s10, 0x7f800000
	v_mov_b32_e32 v4, 0x7e
	v_mov_b32_e32 v5, 0x7f
	v_cmp_lt_u32_e32 vcc, s10, v3
	v_cndmask_b32_e32 v4, v4, v5, vcc
; %bb.3176:
	s_or_b64 exec, exec, s[6:7]
	global_store_byte v[0:1], v4, off
.LBB241_3177:
	s_mov_b64 s[6:7], 0
.LBB241_3178:
	s_andn2_b64 vcc, exec, s[6:7]
	s_cbranch_vccnz .LBB241_3188
; %bb.3179:
	v_cndmask_b32_e64 v3, 0, 1.0, s[2:3]
	s_mov_b32 s6, 0x47800000
	v_cmp_gt_u32_e32 vcc, s6, v3
                                        ; implicit-def: $vgpr4
	s_and_saveexec_b64 s[6:7], vcc
	s_xor_b64 s[6:7], exec, s[6:7]
	s_cbranch_execz .LBB241_3185
; %bb.3180:
	s_mov_b32 s10, 0x387fffff
	v_cmp_lt_u32_e32 vcc, s10, v3
                                        ; implicit-def: $vgpr4
	s_and_saveexec_b64 s[10:11], vcc
	s_xor_b64 s[10:11], exec, s[10:11]
; %bb.3181:
	v_bfe_u32 v4, v3, 21, 1
	s_mov_b32 s12, 0x80fffff
	v_add3_u32 v3, v3, v4, s12
	v_lshrrev_b32_e32 v4, 21, v3
                                        ; implicit-def: $vgpr3
; %bb.3182:
	s_andn2_saveexec_b64 s[10:11], s[10:11]
; %bb.3183:
	v_add_f32_e32 v4, 0x43000000, v3
; %bb.3184:
	s_or_b64 exec, exec, s[10:11]
                                        ; implicit-def: $vgpr3
.LBB241_3185:
	s_andn2_saveexec_b64 s[6:7], s[6:7]
; %bb.3186:
	s_mov_b32 s10, 0x7f800000
	v_mov_b32_e32 v4, 0x7c
	v_mov_b32_e32 v5, 0x7f
	v_cmp_lt_u32_e32 vcc, s10, v3
	v_cndmask_b32_e32 v4, v4, v5, vcc
; %bb.3187:
	s_or_b64 exec, exec, s[6:7]
	global_store_byte v[0:1], v4, off
.LBB241_3188:
	s_mov_b64 s[6:7], 0
	s_mov_b64 s[10:11], -1
.LBB241_3189:
	s_andn2_b64 vcc, exec, s[6:7]
	s_mov_b64 s[6:7], 0
	s_cbranch_vccnz .LBB241_3196
; %bb.3190:
	s_cmp_gt_i32 s17, 14
	s_mov_b64 s[12:13], -1
	s_cbranch_scc0 .LBB241_3194
; %bb.3191:
	s_cmp_eq_u32 s17, 15
	s_mov_b64 s[4:5], -1
	s_cbranch_scc0 .LBB241_3193
; %bb.3192:
	v_cndmask_b32_e64 v3, 0, 1.0, s[2:3]
	v_bfe_u32 v4, v3, 16, 1
	s_movk_i32 s4, 0x7fff
	v_add3_u32 v3, v3, v4, s4
	global_store_short_d16_hi v[0:1], v3, off
	s_mov_b64 s[4:5], 0
	s_mov_b64 s[10:11], -1
.LBB241_3193:
	s_mov_b64 s[12:13], 0
.LBB241_3194:
	s_and_b64 vcc, exec, s[12:13]
	s_cbranch_vccz .LBB241_3196
; %bb.3195:
	s_cmp_lg_u32 s17, 11
	s_mov_b64 s[6:7], -1
	s_cselect_b64 s[4:5], -1, 0
.LBB241_3196:
	s_and_b64 vcc, exec, s[4:5]
	s_cbranch_vccnz .LBB241_3376
; %bb.3197:
	s_andn2_b64 vcc, exec, s[6:7]
	s_cbranch_vccnz .LBB241_3199
.LBB241_3198:
	v_cndmask_b32_e64 v3, 0, 1, s[2:3]
	s_mov_b64 s[10:11], -1
	global_store_byte v[0:1], v3, off
.LBB241_3199:
	s_mov_b64 s[4:5], 0
	s_branch .LBB241_3201
.LBB241_3200:
	s_mov_b64 s[4:5], -1
	s_mov_b64 s[10:11], 0
.LBB241_3201:
	s_and_b64 vcc, exec, s[4:5]
	s_cbranch_vccz .LBB241_3240
; %bb.3202:
	s_and_b32 s6, 0xffff, s24
	s_cmp_lt_i32 s6, 5
	s_mov_b64 s[4:5], -1
	s_cbranch_scc1 .LBB241_3223
; %bb.3203:
	s_cmp_lt_i32 s6, 8
	s_cbranch_scc1 .LBB241_3213
; %bb.3204:
	s_cmp_lt_i32 s6, 9
	s_cbranch_scc1 .LBB241_3210
; %bb.3205:
	s_cmp_gt_i32 s6, 9
	s_cbranch_scc0 .LBB241_3207
; %bb.3206:
	v_cndmask_b32_e64 v3, 0, 1, s[2:3]
	v_cvt_f64_u32_e32 v[8:9], v3
	v_mov_b32_e32 v10, 0
	v_mov_b32_e32 v11, v10
	s_mov_b64 s[4:5], 0
	global_store_dwordx4 v[0:1], v[8:11], off
.LBB241_3207:
	s_andn2_b64 vcc, exec, s[4:5]
	s_cbranch_vccnz .LBB241_3209
; %bb.3208:
	v_cndmask_b32_e64 v3, 0, 1.0, s[2:3]
	v_mov_b32_e32 v4, 0
	global_store_dwordx2 v[0:1], v[3:4], off
.LBB241_3209:
	s_mov_b64 s[4:5], 0
.LBB241_3210:
	s_andn2_b64 vcc, exec, s[4:5]
	s_cbranch_vccnz .LBB241_3212
; %bb.3211:
	v_cndmask_b32_e64 v3, 0, 1.0, s[2:3]
	v_cvt_f16_f32_e32 v3, v3
	global_store_dword v[0:1], v3, off
.LBB241_3212:
	s_mov_b64 s[4:5], 0
.LBB241_3213:
	s_andn2_b64 vcc, exec, s[4:5]
	s_cbranch_vccnz .LBB241_3222
; %bb.3214:
	s_cmp_lt_i32 s6, 6
	s_mov_b64 s[4:5], -1
	s_cbranch_scc1 .LBB241_3220
; %bb.3215:
	s_cmp_gt_i32 s6, 6
	s_cbranch_scc0 .LBB241_3217
; %bb.3216:
	v_cndmask_b32_e64 v3, 0, 1, s[2:3]
	v_cvt_f64_u32_e32 v[3:4], v3
	s_mov_b64 s[4:5], 0
	global_store_dwordx2 v[0:1], v[3:4], off
.LBB241_3217:
	s_andn2_b64 vcc, exec, s[4:5]
	s_cbranch_vccnz .LBB241_3219
; %bb.3218:
	v_cndmask_b32_e64 v3, 0, 1.0, s[2:3]
	global_store_dword v[0:1], v3, off
.LBB241_3219:
	s_mov_b64 s[4:5], 0
.LBB241_3220:
	s_andn2_b64 vcc, exec, s[4:5]
	s_cbranch_vccnz .LBB241_3222
; %bb.3221:
	v_cndmask_b32_e64 v3, 0, 1.0, s[2:3]
	v_cvt_f16_f32_e32 v3, v3
	global_store_short v[0:1], v3, off
.LBB241_3222:
	s_mov_b64 s[4:5], 0
.LBB241_3223:
	s_andn2_b64 vcc, exec, s[4:5]
	s_cbranch_vccnz .LBB241_3239
; %bb.3224:
	s_cmp_lt_i32 s6, 2
	s_mov_b64 s[4:5], -1
	s_cbranch_scc1 .LBB241_3234
; %bb.3225:
	s_cmp_lt_i32 s6, 3
	s_cbranch_scc1 .LBB241_3231
; %bb.3226:
	s_cmp_gt_i32 s6, 3
	s_cbranch_scc0 .LBB241_3228
; %bb.3227:
	s_mov_b32 s4, 0
	v_cndmask_b32_e64 v3, 0, 1, s[2:3]
	v_mov_b32_e32 v4, s4
	global_store_dwordx2 v[0:1], v[3:4], off
	s_mov_b64 s[4:5], 0
.LBB241_3228:
	s_andn2_b64 vcc, exec, s[4:5]
	s_cbranch_vccnz .LBB241_3230
; %bb.3229:
	v_cndmask_b32_e64 v3, 0, 1, s[2:3]
	global_store_dword v[0:1], v3, off
.LBB241_3230:
	s_mov_b64 s[4:5], 0
.LBB241_3231:
	s_andn2_b64 vcc, exec, s[4:5]
	s_cbranch_vccnz .LBB241_3233
; %bb.3232:
	v_cndmask_b32_e64 v3, 0, 1, s[2:3]
	global_store_short v[0:1], v3, off
.LBB241_3233:
	s_mov_b64 s[4:5], 0
.LBB241_3234:
	s_andn2_b64 vcc, exec, s[4:5]
	s_cbranch_vccnz .LBB241_3239
; %bb.3235:
	s_mov_b64 s[4:5], -1
	s_cmp_gt_i32 s6, 0
	v_cndmask_b32_e64 v3, 0, 1, s[2:3]
	s_cbranch_scc0 .LBB241_3237
; %bb.3236:
	global_store_byte v[0:1], v3, off
	s_mov_b64 s[4:5], 0
.LBB241_3237:
	s_andn2_b64 vcc, exec, s[4:5]
	s_cbranch_vccnz .LBB241_3239
; %bb.3238:
	global_store_byte v[0:1], v3, off
.LBB241_3239:
	s_mov_b64 s[10:11], -1
.LBB241_3240:
	s_andn2_b64 vcc, exec, s[10:11]
	s_cbranch_vccnz .LBB241_3317
; %bb.3241:
	v_lshlrev_b32_e32 v1, 25, v6
	v_lshlrev_b16_e32 v0, 8, v6
	v_lshrrev_b32_e32 v3, 4, v1
	s_movk_i32 s2, 0x7f00
	v_or_b32_e32 v3, 0x70000000, v3
	v_and_or_b32 v4, v0, s2, 0.5
	s_brev_b32 s2, 16
	v_add_f32_e32 v4, -0.5, v4
	v_mul_f32_e32 v3, 0x7800000, v3
	v_cmp_gt_u32_e32 vcc, s2, v1
	v_cndmask_b32_e32 v1, v3, v4, vcc
	v_bfe_i32 v0, v0, 0, 16
	s_brev_b32 s2, 1
	v_and_or_b32 v0, v0, s2, v1
	v_cmp_eq_f32_e32 vcc, v7, v0
	v_cndmask_b32_e64 v1, 0, 1, vcc
	v_cmp_neq_f32_e32 vcc, v7, v0
	v_cndmask_b32_e64 v0, 0, 1, vcc
	v_cndmask_b32_e64 v0, v0, v1, s[0:1]
	v_and_b32_e32 v0, 1, v0
	v_cmp_eq_u32_e64 s[2:3], 1, v0
	v_add_u32_e32 v0, s16, v2
	v_ashrrev_i32_e32 v1, 31, v0
	v_mov_b32_e32 v2, s9
	v_add_co_u32_e32 v0, vcc, s8, v0
	s_cmp_lt_i32 s24, 11
	v_addc_co_u32_e32 v1, vcc, v2, v1, vcc
	s_cbranch_scc1 .LBB241_3362
; %bb.3242:
	s_and_b32 s12, 0xffff, s24
	s_mov_b64 s[6:7], -1
	s_mov_b64 s[4:5], 0
	s_cmp_gt_i32 s12, 25
	s_mov_b64 s[0:1], 0
	s_cbranch_scc0 .LBB241_3275
; %bb.3243:
	s_cmp_gt_i32 s12, 28
	s_cbranch_scc0 .LBB241_3259
; %bb.3244:
	s_cmp_gt_i32 s12, 43
	;; [unrolled: 3-line block ×3, first 2 shown]
	s_cbranch_scc0 .LBB241_3249
; %bb.3246:
	s_cmp_eq_u32 s12, 46
	s_mov_b64 s[0:1], -1
	s_cbranch_scc0 .LBB241_3248
; %bb.3247:
	v_cndmask_b32_e64 v2, 0, 1.0, s[2:3]
	v_bfe_u32 v3, v2, 16, 1
	s_movk_i32 s0, 0x7fff
	v_add3_u32 v2, v2, v3, s0
	v_lshrrev_b32_e32 v2, 16, v2
	global_store_dword v[0:1], v2, off
	s_mov_b64 s[0:1], 0
.LBB241_3248:
	s_mov_b64 s[6:7], 0
.LBB241_3249:
	s_and_b64 vcc, exec, s[6:7]
	s_cbranch_vccz .LBB241_3254
; %bb.3250:
	s_cmp_eq_u32 s12, 44
	s_mov_b64 s[0:1], -1
	s_cbranch_scc0 .LBB241_3254
; %bb.3251:
	v_cndmask_b32_e64 v3, 0, 1.0, s[2:3]
	v_lshrrev_b32_e32 v2, 23, v3
	s_movk_i32 s0, 0xff
	v_cmp_ne_u32_e32 vcc, s0, v2
	v_mov_b32_e32 v4, 0xff
	s_and_saveexec_b64 s[6:7], vcc
; %bb.3252:
	s_mov_b32 s0, 0x3fffff
	v_and_b32_e32 v4, 0x400000, v3
	v_and_or_b32 v3, v3, s0, v2
	v_cmp_ne_u32_e32 vcc, 0, v4
	v_cmp_ne_u32_e64 s[0:1], 0, v3
	s_and_b64 s[0:1], vcc, s[0:1]
	v_cndmask_b32_e64 v3, 0, 1, s[0:1]
	v_add_u32_e32 v4, v2, v3
; %bb.3253:
	s_or_b64 exec, exec, s[6:7]
	s_mov_b64 s[0:1], 0
	global_store_byte v[0:1], v4, off
.LBB241_3254:
	s_mov_b64 s[6:7], 0
.LBB241_3255:
	s_and_b64 vcc, exec, s[6:7]
	s_cbranch_vccz .LBB241_3258
; %bb.3256:
	s_cmp_eq_u32 s12, 29
	s_mov_b64 s[0:1], -1
	s_cbranch_scc0 .LBB241_3258
; %bb.3257:
	s_mov_b32 s0, 0
	v_cndmask_b32_e64 v2, 0, 1, s[2:3]
	v_mov_b32_e32 v3, s0
	global_store_dwordx2 v[0:1], v[2:3], off
	s_mov_b64 s[0:1], 0
.LBB241_3258:
	s_mov_b64 s[6:7], 0
.LBB241_3259:
	s_and_b64 vcc, exec, s[6:7]
	s_cbranch_vccz .LBB241_3274
; %bb.3260:
	s_cmp_lt_i32 s12, 27
	s_mov_b64 s[6:7], -1
	s_cbranch_scc1 .LBB241_3266
; %bb.3261:
	s_cmp_gt_i32 s12, 27
	v_cndmask_b32_e64 v2, 0, 1, s[2:3]
	s_cbranch_scc0 .LBB241_3263
; %bb.3262:
	global_store_dword v[0:1], v2, off
	s_mov_b64 s[6:7], 0
.LBB241_3263:
	s_andn2_b64 vcc, exec, s[6:7]
	s_cbranch_vccnz .LBB241_3265
; %bb.3264:
	global_store_short v[0:1], v2, off
.LBB241_3265:
	s_mov_b64 s[6:7], 0
.LBB241_3266:
	s_andn2_b64 vcc, exec, s[6:7]
	s_cbranch_vccnz .LBB241_3274
; %bb.3267:
	v_cndmask_b32_e64 v3, 0, 1.0, s[2:3]
	s_mov_b32 s6, 0x43800000
	v_cmp_gt_u32_e32 vcc, s6, v3
	v_mov_b32_e32 v4, 0x80
	s_and_saveexec_b64 s[6:7], vcc
	s_cbranch_execz .LBB241_3273
; %bb.3268:
	s_mov_b32 s8, 0x3bffffff
	v_cmp_lt_u32_e32 vcc, s8, v3
	s_mov_b64 s[8:9], 0
                                        ; implicit-def: $vgpr2
	s_and_saveexec_b64 s[10:11], vcc
	s_xor_b64 s[10:11], exec, s[10:11]
	s_cbranch_execz .LBB241_3379
; %bb.3269:
	v_bfe_u32 v2, v3, 20, 1
	s_mov_b32 s13, 0x487ffff
	v_add3_u32 v2, v3, v2, s13
	s_mov_b64 s[8:9], exec
	v_lshrrev_b32_e32 v2, 20, v2
                                        ; implicit-def: $vgpr3
	s_andn2_saveexec_b64 s[10:11], s[10:11]
	s_cbranch_execnz .LBB241_3380
.LBB241_3270:
	s_or_b64 exec, exec, s[10:11]
	v_mov_b32_e32 v4, 0
	s_and_saveexec_b64 s[10:11], s[8:9]
.LBB241_3271:
	v_mov_b32_e32 v4, v2
.LBB241_3272:
	s_or_b64 exec, exec, s[10:11]
.LBB241_3273:
	s_or_b64 exec, exec, s[6:7]
	global_store_byte v[0:1], v4, off
.LBB241_3274:
	s_mov_b64 s[6:7], 0
.LBB241_3275:
	s_and_b64 vcc, exec, s[6:7]
	s_cbranch_vccz .LBB241_3315
; %bb.3276:
	s_cmp_gt_i32 s12, 22
	s_mov_b64 s[4:5], -1
	s_cbranch_scc0 .LBB241_3308
; %bb.3277:
	s_cmp_lt_i32 s12, 24
	s_cbranch_scc1 .LBB241_3297
; %bb.3278:
	s_cmp_gt_i32 s12, 24
	s_cbranch_scc0 .LBB241_3286
; %bb.3279:
	v_cndmask_b32_e64 v3, 0, 1.0, s[2:3]
	s_mov_b32 s4, 0x47800000
	v_cmp_gt_u32_e32 vcc, s4, v3
	v_mov_b32_e32 v4, 0x80
	s_and_saveexec_b64 s[4:5], vcc
	s_cbranch_execz .LBB241_3285
; %bb.3280:
	s_mov_b32 s6, 0x37ffffff
	v_cmp_lt_u32_e32 vcc, s6, v3
	s_mov_b64 s[6:7], 0
                                        ; implicit-def: $vgpr2
	s_and_saveexec_b64 s[8:9], vcc
	s_xor_b64 s[8:9], exec, s[8:9]
	s_cbranch_execz .LBB241_3382
; %bb.3281:
	v_bfe_u32 v2, v3, 21, 1
	s_mov_b32 s10, 0x88fffff
	v_add3_u32 v2, v3, v2, s10
	s_mov_b64 s[6:7], exec
	v_lshrrev_b32_e32 v2, 21, v2
                                        ; implicit-def: $vgpr3
	s_andn2_saveexec_b64 s[8:9], s[8:9]
	s_cbranch_execnz .LBB241_3383
.LBB241_3282:
	s_or_b64 exec, exec, s[8:9]
	v_mov_b32_e32 v4, 0
	s_and_saveexec_b64 s[8:9], s[6:7]
.LBB241_3283:
	v_mov_b32_e32 v4, v2
.LBB241_3284:
	s_or_b64 exec, exec, s[8:9]
.LBB241_3285:
	s_or_b64 exec, exec, s[4:5]
	s_mov_b64 s[4:5], 0
	global_store_byte v[0:1], v4, off
.LBB241_3286:
	s_and_b64 vcc, exec, s[4:5]
	s_cbranch_vccz .LBB241_3296
; %bb.3287:
	v_cndmask_b32_e64 v2, 0, 1.0, s[2:3]
	s_mov_b32 s4, 0x43f00000
	v_cmp_gt_u32_e32 vcc, s4, v2
                                        ; implicit-def: $vgpr3
	s_and_saveexec_b64 s[4:5], vcc
	s_xor_b64 s[4:5], exec, s[4:5]
	s_cbranch_execz .LBB241_3293
; %bb.3288:
	s_mov_b32 s6, 0x3c7fffff
	v_cmp_lt_u32_e32 vcc, s6, v2
                                        ; implicit-def: $vgpr3
	s_and_saveexec_b64 s[6:7], vcc
	s_xor_b64 s[6:7], exec, s[6:7]
; %bb.3289:
	v_bfe_u32 v3, v2, 20, 1
	s_mov_b32 s8, 0x407ffff
	v_add3_u32 v2, v2, v3, s8
	v_lshrrev_b32_e32 v3, 20, v2
	v_and_b32_e32 v2, 0xff00000, v2
	s_mov_b32 s8, 0x7f00000
	v_mov_b32_e32 v4, 0x7e
	v_cmp_ne_u32_e32 vcc, s8, v2
	v_cndmask_b32_e32 v3, v4, v3, vcc
                                        ; implicit-def: $vgpr2
; %bb.3290:
	s_andn2_saveexec_b64 s[6:7], s[6:7]
; %bb.3291:
	v_add_f32_e32 v3, 0x46800000, v2
; %bb.3292:
	s_or_b64 exec, exec, s[6:7]
                                        ; implicit-def: $vgpr2
.LBB241_3293:
	s_andn2_saveexec_b64 s[4:5], s[4:5]
; %bb.3294:
	s_mov_b32 s6, 0x7f800000
	v_mov_b32_e32 v3, 0x7e
	v_mov_b32_e32 v4, 0x7f
	v_cmp_lt_u32_e32 vcc, s6, v2
	v_cndmask_b32_e32 v3, v3, v4, vcc
; %bb.3295:
	s_or_b64 exec, exec, s[4:5]
	global_store_byte v[0:1], v3, off
.LBB241_3296:
	s_mov_b64 s[4:5], 0
.LBB241_3297:
	s_andn2_b64 vcc, exec, s[4:5]
	s_cbranch_vccnz .LBB241_3307
; %bb.3298:
	v_cndmask_b32_e64 v2, 0, 1.0, s[2:3]
	s_mov_b32 s4, 0x47800000
	v_cmp_gt_u32_e32 vcc, s4, v2
                                        ; implicit-def: $vgpr3
	s_and_saveexec_b64 s[4:5], vcc
	s_xor_b64 s[4:5], exec, s[4:5]
	s_cbranch_execz .LBB241_3304
; %bb.3299:
	s_mov_b32 s6, 0x387fffff
	v_cmp_lt_u32_e32 vcc, s6, v2
                                        ; implicit-def: $vgpr3
	s_and_saveexec_b64 s[6:7], vcc
	s_xor_b64 s[6:7], exec, s[6:7]
; %bb.3300:
	v_bfe_u32 v3, v2, 21, 1
	s_mov_b32 s8, 0x80fffff
	v_add3_u32 v2, v2, v3, s8
	v_lshrrev_b32_e32 v3, 21, v2
                                        ; implicit-def: $vgpr2
; %bb.3301:
	s_andn2_saveexec_b64 s[6:7], s[6:7]
; %bb.3302:
	v_add_f32_e32 v3, 0x43000000, v2
; %bb.3303:
	s_or_b64 exec, exec, s[6:7]
                                        ; implicit-def: $vgpr2
.LBB241_3304:
	s_andn2_saveexec_b64 s[4:5], s[4:5]
; %bb.3305:
	s_mov_b32 s6, 0x7f800000
	v_mov_b32_e32 v3, 0x7c
	v_mov_b32_e32 v4, 0x7f
	v_cmp_lt_u32_e32 vcc, s6, v2
	v_cndmask_b32_e32 v3, v3, v4, vcc
; %bb.3306:
	s_or_b64 exec, exec, s[4:5]
	global_store_byte v[0:1], v3, off
.LBB241_3307:
	s_mov_b64 s[4:5], 0
.LBB241_3308:
	s_andn2_b64 vcc, exec, s[4:5]
	s_mov_b64 s[4:5], 0
	s_cbranch_vccnz .LBB241_3315
; %bb.3309:
	s_cmp_gt_i32 s12, 14
	s_mov_b64 s[6:7], -1
	s_cbranch_scc0 .LBB241_3313
; %bb.3310:
	s_cmp_eq_u32 s12, 15
	s_mov_b64 s[0:1], -1
	s_cbranch_scc0 .LBB241_3312
; %bb.3311:
	v_cndmask_b32_e64 v2, 0, 1.0, s[2:3]
	v_bfe_u32 v3, v2, 16, 1
	s_movk_i32 s0, 0x7fff
	v_add3_u32 v2, v2, v3, s0
	global_store_short_d16_hi v[0:1], v2, off
	s_mov_b64 s[0:1], 0
.LBB241_3312:
	s_mov_b64 s[6:7], 0
.LBB241_3313:
	s_and_b64 vcc, exec, s[6:7]
	s_cbranch_vccz .LBB241_3315
; %bb.3314:
	s_cmp_lg_u32 s12, 11
	s_mov_b64 s[4:5], -1
	s_cselect_b64 s[0:1], -1, 0
.LBB241_3315:
	s_and_b64 vcc, exec, s[0:1]
	s_cbranch_vccnz .LBB241_3381
.LBB241_3316:
	s_mov_b64 s[0:1], 0
	s_branch .LBB241_3318
.LBB241_3317:
	s_mov_b64 s[0:1], 0
	s_mov_b64 s[4:5], 0
                                        ; implicit-def: $sgpr2_sgpr3
                                        ; implicit-def: $sgpr24
                                        ; implicit-def: $vgpr0_vgpr1
.LBB241_3318:
	s_and_b64 s[6:7], s[4:5], exec
	s_andn2_b64 s[4:5], s[20:21], exec
	s_and_b64 s[8:9], s[22:23], exec
	s_and_b64 s[0:1], s[0:1], exec
	s_or_b64 s[20:21], s[4:5], s[8:9]
.LBB241_3319:
	s_or_b64 exec, exec, s[18:19]
	s_and_saveexec_b64 s[4:5], s[20:21]
	s_cbranch_execz .LBB241_3322
; %bb.3320:
	; divergent unreachable
	s_or_b64 exec, exec, s[4:5]
	s_and_saveexec_b64 s[4:5], s[6:7]
	s_xor_b64 s[4:5], exec, s[4:5]
	s_cbranch_execnz .LBB241_3323
.LBB241_3321:
	s_or_b64 exec, exec, s[4:5]
	s_and_saveexec_b64 s[4:5], s[0:1]
	s_cbranch_execnz .LBB241_3324
	s_branch .LBB241_3361
.LBB241_3322:
	s_or_b64 exec, exec, s[4:5]
	s_and_saveexec_b64 s[4:5], s[6:7]
	s_xor_b64 s[4:5], exec, s[4:5]
	s_cbranch_execz .LBB241_3321
.LBB241_3323:
	v_cndmask_b32_e64 v2, 0, 1, s[2:3]
	global_store_byte v[0:1], v2, off
	s_or_b64 exec, exec, s[4:5]
	s_and_saveexec_b64 s[4:5], s[0:1]
	s_cbranch_execz .LBB241_3361
.LBB241_3324:
	s_sext_i32_i16 s4, s24
	s_cmp_lt_i32 s4, 5
	s_mov_b64 s[0:1], -1
	s_cbranch_scc1 .LBB241_3345
; %bb.3325:
	s_cmp_lt_i32 s4, 8
	s_cbranch_scc1 .LBB241_3335
; %bb.3326:
	s_cmp_lt_i32 s4, 9
	s_cbranch_scc1 .LBB241_3332
; %bb.3327:
	s_cmp_gt_i32 s4, 9
	s_cbranch_scc0 .LBB241_3329
; %bb.3328:
	v_cndmask_b32_e64 v2, 0, 1, s[2:3]
	s_waitcnt vmcnt(0)
	v_cvt_f64_u32_e32 v[2:3], v2
	v_mov_b32_e32 v4, 0
	v_mov_b32_e32 v5, v4
	s_mov_b64 s[0:1], 0
	global_store_dwordx4 v[0:1], v[2:5], off
.LBB241_3329:
	s_andn2_b64 vcc, exec, s[0:1]
	s_cbranch_vccnz .LBB241_3331
; %bb.3330:
	v_cndmask_b32_e64 v2, 0, 1.0, s[2:3]
	s_waitcnt vmcnt(0)
	v_mov_b32_e32 v3, 0
	global_store_dwordx2 v[0:1], v[2:3], off
.LBB241_3331:
	s_mov_b64 s[0:1], 0
.LBB241_3332:
	s_andn2_b64 vcc, exec, s[0:1]
	s_cbranch_vccnz .LBB241_3334
; %bb.3333:
	v_cndmask_b32_e64 v2, 0, 1.0, s[2:3]
	v_cvt_f16_f32_e32 v2, v2
	global_store_dword v[0:1], v2, off
.LBB241_3334:
	s_mov_b64 s[0:1], 0
.LBB241_3335:
	s_andn2_b64 vcc, exec, s[0:1]
	s_cbranch_vccnz .LBB241_3344
; %bb.3336:
	s_sext_i32_i16 s4, s24
	s_cmp_lt_i32 s4, 6
	s_mov_b64 s[0:1], -1
	s_cbranch_scc1 .LBB241_3342
; %bb.3337:
	s_cmp_gt_i32 s4, 6
	s_cbranch_scc0 .LBB241_3339
; %bb.3338:
	v_cndmask_b32_e64 v2, 0, 1, s[2:3]
	s_waitcnt vmcnt(0)
	v_cvt_f64_u32_e32 v[2:3], v2
	s_mov_b64 s[0:1], 0
	global_store_dwordx2 v[0:1], v[2:3], off
.LBB241_3339:
	s_andn2_b64 vcc, exec, s[0:1]
	s_cbranch_vccnz .LBB241_3341
; %bb.3340:
	v_cndmask_b32_e64 v2, 0, 1.0, s[2:3]
	global_store_dword v[0:1], v2, off
.LBB241_3341:
	s_mov_b64 s[0:1], 0
.LBB241_3342:
	s_andn2_b64 vcc, exec, s[0:1]
	s_cbranch_vccnz .LBB241_3344
; %bb.3343:
	v_cndmask_b32_e64 v2, 0, 1.0, s[2:3]
	v_cvt_f16_f32_e32 v2, v2
	global_store_short v[0:1], v2, off
.LBB241_3344:
	s_mov_b64 s[0:1], 0
.LBB241_3345:
	s_andn2_b64 vcc, exec, s[0:1]
	s_cbranch_vccnz .LBB241_3361
; %bb.3346:
	s_sext_i32_i16 s4, s24
	s_cmp_lt_i32 s4, 2
	s_mov_b64 s[0:1], -1
	s_cbranch_scc1 .LBB241_3356
; %bb.3347:
	s_cmp_lt_i32 s4, 3
	s_cbranch_scc1 .LBB241_3353
; %bb.3348:
	s_cmp_gt_i32 s4, 3
	s_cbranch_scc0 .LBB241_3350
; %bb.3349:
	s_mov_b32 s0, 0
	v_cndmask_b32_e64 v2, 0, 1, s[2:3]
	s_waitcnt vmcnt(0)
	v_mov_b32_e32 v3, s0
	global_store_dwordx2 v[0:1], v[2:3], off
	s_mov_b64 s[0:1], 0
.LBB241_3350:
	s_andn2_b64 vcc, exec, s[0:1]
	s_cbranch_vccnz .LBB241_3352
; %bb.3351:
	v_cndmask_b32_e64 v2, 0, 1, s[2:3]
	global_store_dword v[0:1], v2, off
.LBB241_3352:
	s_mov_b64 s[0:1], 0
.LBB241_3353:
	s_andn2_b64 vcc, exec, s[0:1]
	s_cbranch_vccnz .LBB241_3355
; %bb.3354:
	v_cndmask_b32_e64 v2, 0, 1, s[2:3]
	global_store_short v[0:1], v2, off
.LBB241_3355:
	s_mov_b64 s[0:1], 0
.LBB241_3356:
	s_andn2_b64 vcc, exec, s[0:1]
	s_cbranch_vccnz .LBB241_3361
; %bb.3357:
	s_sext_i32_i16 s4, s24
	s_mov_b64 s[0:1], -1
	s_cmp_gt_i32 s4, 0
	v_cndmask_b32_e64 v2, 0, 1, s[2:3]
	s_cbranch_scc0 .LBB241_3359
; %bb.3358:
	global_store_byte v[0:1], v2, off
	s_mov_b64 s[0:1], 0
.LBB241_3359:
	s_andn2_b64 vcc, exec, s[0:1]
	s_cbranch_vccnz .LBB241_3361
; %bb.3360:
	global_store_byte v[0:1], v2, off
	s_endpgm
.LBB241_3361:
	s_endpgm
.LBB241_3362:
	s_mov_b64 s[4:5], 0
	s_mov_b64 s[0:1], -1
	s_branch .LBB241_3318
.LBB241_3363:
	s_trap 2
	s_or_b64 s[22:23], s[22:23], exec
	s_cbranch_execz .LBB241_2736
	s_branch .LBB241_2745
.LBB241_3364:
	s_andn2_saveexec_b64 s[16:17], s[16:17]
	s_cbranch_execz .LBB241_2912
.LBB241_3365:
	v_add_f32_e32 v3, 0x46000000, v8
	v_and_b32_e32 v3, 0xff, v3
	v_cmp_ne_u32_e32 vcc, 0, v3
	s_andn2_b64 s[14:15], s[14:15], exec
	s_and_b64 s[26:27], vcc, exec
	s_or_b64 s[14:15], s[14:15], s[26:27]
	s_or_b64 exec, exec, s[16:17]
	v_mov_b32_e32 v9, 0
	s_and_saveexec_b64 s[16:17], s[14:15]
	s_cbranch_execnz .LBB241_2913
	s_branch .LBB241_2914
.LBB241_3366:
	s_trap 2
	s_or_b64 s[22:23], s[22:23], exec
	s_cbranch_execz .LBB241_2960
	s_branch .LBB241_2961
.LBB241_3367:
	s_andn2_saveexec_b64 s[14:15], s[14:15]
	s_cbranch_execz .LBB241_2925
.LBB241_3368:
	v_add_f32_e32 v3, 0x42800000, v8
	v_and_b32_e32 v3, 0xff, v3
	v_cmp_ne_u32_e32 vcc, 0, v3
	s_andn2_b64 s[10:11], s[10:11], exec
	s_and_b64 s[16:17], vcc, exec
	s_or_b64 s[10:11], s[10:11], s[16:17]
	s_or_b64 exec, exec, s[14:15]
	v_mov_b32_e32 v9, 0
	s_and_saveexec_b64 s[14:15], s[10:11]
	s_cbranch_execnz .LBB241_2926
	s_branch .LBB241_2927
.LBB241_3369:
	s_andn2_saveexec_b64 s[14:15], s[14:15]
	s_cbranch_execz .LBB241_3031
.LBB241_3370:
	v_add_f32_e32 v3, 0x46000000, v4
	v_and_b32_e32 v3, 0xff, v3
	v_cmp_ne_u32_e32 vcc, 0, v3
	s_andn2_b64 s[12:13], s[12:13], exec
	s_and_b64 s[26:27], vcc, exec
	s_or_b64 s[12:13], s[12:13], s[26:27]
	s_or_b64 exec, exec, s[14:15]
	v_mov_b32_e32 v8, 0
	s_and_saveexec_b64 s[14:15], s[12:13]
	s_cbranch_execnz .LBB241_3032
	s_branch .LBB241_3033
.LBB241_3371:
	s_trap 2
	s_or_b64 s[22:23], s[22:23], exec
	s_cbranch_execz .LBB241_3079
	s_branch .LBB241_3080
.LBB241_3372:
	s_andn2_saveexec_b64 s[12:13], s[12:13]
	s_cbranch_execz .LBB241_3044
.LBB241_3373:
	v_add_f32_e32 v3, 0x42800000, v4
	v_and_b32_e32 v3, 0xff, v3
	v_cmp_ne_u32_e32 vcc, 0, v3
	s_andn2_b64 s[10:11], s[10:11], exec
	s_and_b64 s[14:15], vcc, exec
	s_or_b64 s[10:11], s[10:11], s[14:15]
	s_or_b64 exec, exec, s[12:13]
	v_mov_b32_e32 v8, 0
	s_and_saveexec_b64 s[12:13], s[10:11]
	s_cbranch_execnz .LBB241_3045
	s_branch .LBB241_3046
.LBB241_3374:
	s_andn2_saveexec_b64 s[14:15], s[14:15]
	s_cbranch_execz .LBB241_3150
.LBB241_3375:
	v_add_f32_e32 v3, 0x46000000, v4
	v_and_b32_e32 v3, 0xff, v3
	v_cmp_ne_u32_e32 vcc, 0, v3
	s_andn2_b64 s[12:13], s[12:13], exec
	s_and_b64 s[26:27], vcc, exec
	s_or_b64 s[12:13], s[12:13], s[26:27]
	s_or_b64 exec, exec, s[14:15]
	v_mov_b32_e32 v5, 0
	s_and_saveexec_b64 s[14:15], s[12:13]
	s_cbranch_execnz .LBB241_3151
	s_branch .LBB241_3152
.LBB241_3376:
	s_trap 2
	s_or_b64 s[22:23], s[22:23], exec
	s_cbranch_execz .LBB241_3198
	s_branch .LBB241_3199
.LBB241_3377:
	s_andn2_saveexec_b64 s[12:13], s[12:13]
	s_cbranch_execz .LBB241_3163
.LBB241_3378:
	v_add_f32_e32 v3, 0x42800000, v4
	v_and_b32_e32 v3, 0xff, v3
	v_cmp_ne_u32_e32 vcc, 0, v3
	s_andn2_b64 s[10:11], s[10:11], exec
	s_and_b64 s[14:15], vcc, exec
	s_or_b64 s[10:11], s[10:11], s[14:15]
	s_or_b64 exec, exec, s[12:13]
	v_mov_b32_e32 v5, 0
	s_and_saveexec_b64 s[12:13], s[10:11]
	s_cbranch_execnz .LBB241_3164
	s_branch .LBB241_3165
.LBB241_3379:
	s_andn2_saveexec_b64 s[10:11], s[10:11]
	s_cbranch_execz .LBB241_3270
.LBB241_3380:
	v_add_f32_e32 v2, 0x46000000, v3
	v_and_b32_e32 v2, 0xff, v2
	v_cmp_ne_u32_e32 vcc, 0, v2
	s_andn2_b64 s[8:9], s[8:9], exec
	s_and_b64 s[14:15], vcc, exec
	s_or_b64 s[8:9], s[8:9], s[14:15]
	s_or_b64 exec, exec, s[10:11]
	v_mov_b32_e32 v4, 0
	s_and_saveexec_b64 s[10:11], s[8:9]
	s_cbranch_execnz .LBB241_3271
	s_branch .LBB241_3272
.LBB241_3381:
	s_mov_b64 s[4:5], 0
	s_or_b64 s[22:23], s[22:23], exec
	s_trap 2
	s_branch .LBB241_3316
.LBB241_3382:
	s_andn2_saveexec_b64 s[8:9], s[8:9]
	s_cbranch_execz .LBB241_3282
.LBB241_3383:
	v_add_f32_e32 v2, 0x42800000, v3
	v_and_b32_e32 v2, 0xff, v2
	v_cmp_ne_u32_e32 vcc, 0, v2
	s_andn2_b64 s[6:7], s[6:7], exec
	s_and_b64 s[10:11], vcc, exec
	s_or_b64 s[6:7], s[6:7], s[10:11]
	s_or_b64 exec, exec, s[8:9]
	v_mov_b32_e32 v4, 0
	s_and_saveexec_b64 s[8:9], s[6:7]
	s_cbranch_execnz .LBB241_3283
	s_branch .LBB241_3284
	.section	.rodata,"a",@progbits
	.p2align	6, 0x0
	.amdhsa_kernel _ZN2at6native32elementwise_kernel_manual_unrollILi128ELi4EZNS0_15gpu_kernel_implINS0_13AUnaryFunctorIN3c1011Float8_e5m2ES5_bNS0_12_GLOBAL__N_116CompareEqFunctorIS5_EEEEEEvRNS_18TensorIteratorBaseERKT_EUlibE_EEviT1_
		.amdhsa_group_segment_fixed_size 0
		.amdhsa_private_segment_fixed_size 0
		.amdhsa_kernarg_size 48
		.amdhsa_user_sgpr_count 6
		.amdhsa_user_sgpr_private_segment_buffer 1
		.amdhsa_user_sgpr_dispatch_ptr 0
		.amdhsa_user_sgpr_queue_ptr 0
		.amdhsa_user_sgpr_kernarg_segment_ptr 1
		.amdhsa_user_sgpr_dispatch_id 0
		.amdhsa_user_sgpr_flat_scratch_init 0
		.amdhsa_user_sgpr_private_segment_size 0
		.amdhsa_uses_dynamic_stack 0
		.amdhsa_system_sgpr_private_segment_wavefront_offset 0
		.amdhsa_system_sgpr_workgroup_id_x 1
		.amdhsa_system_sgpr_workgroup_id_y 0
		.amdhsa_system_sgpr_workgroup_id_z 0
		.amdhsa_system_sgpr_workgroup_info 0
		.amdhsa_system_vgpr_workitem_id 0
		.amdhsa_next_free_vgpr 12
		.amdhsa_next_free_sgpr 48
		.amdhsa_reserve_vcc 1
		.amdhsa_reserve_flat_scratch 0
		.amdhsa_float_round_mode_32 0
		.amdhsa_float_round_mode_16_64 0
		.amdhsa_float_denorm_mode_32 3
		.amdhsa_float_denorm_mode_16_64 3
		.amdhsa_dx10_clamp 1
		.amdhsa_ieee_mode 1
		.amdhsa_fp16_overflow 0
		.amdhsa_exception_fp_ieee_invalid_op 0
		.amdhsa_exception_fp_denorm_src 0
		.amdhsa_exception_fp_ieee_div_zero 0
		.amdhsa_exception_fp_ieee_overflow 0
		.amdhsa_exception_fp_ieee_underflow 0
		.amdhsa_exception_fp_ieee_inexact 0
		.amdhsa_exception_int_div_zero 0
	.end_amdhsa_kernel
	.section	.text._ZN2at6native32elementwise_kernel_manual_unrollILi128ELi4EZNS0_15gpu_kernel_implINS0_13AUnaryFunctorIN3c1011Float8_e5m2ES5_bNS0_12_GLOBAL__N_116CompareEqFunctorIS5_EEEEEEvRNS_18TensorIteratorBaseERKT_EUlibE_EEviT1_,"axG",@progbits,_ZN2at6native32elementwise_kernel_manual_unrollILi128ELi4EZNS0_15gpu_kernel_implINS0_13AUnaryFunctorIN3c1011Float8_e5m2ES5_bNS0_12_GLOBAL__N_116CompareEqFunctorIS5_EEEEEEvRNS_18TensorIteratorBaseERKT_EUlibE_EEviT1_,comdat
.Lfunc_end241:
	.size	_ZN2at6native32elementwise_kernel_manual_unrollILi128ELi4EZNS0_15gpu_kernel_implINS0_13AUnaryFunctorIN3c1011Float8_e5m2ES5_bNS0_12_GLOBAL__N_116CompareEqFunctorIS5_EEEEEEvRNS_18TensorIteratorBaseERKT_EUlibE_EEviT1_, .Lfunc_end241-_ZN2at6native32elementwise_kernel_manual_unrollILi128ELi4EZNS0_15gpu_kernel_implINS0_13AUnaryFunctorIN3c1011Float8_e5m2ES5_bNS0_12_GLOBAL__N_116CompareEqFunctorIS5_EEEEEEvRNS_18TensorIteratorBaseERKT_EUlibE_EEviT1_
                                        ; -- End function
	.set _ZN2at6native32elementwise_kernel_manual_unrollILi128ELi4EZNS0_15gpu_kernel_implINS0_13AUnaryFunctorIN3c1011Float8_e5m2ES5_bNS0_12_GLOBAL__N_116CompareEqFunctorIS5_EEEEEEvRNS_18TensorIteratorBaseERKT_EUlibE_EEviT1_.num_vgpr, 12
	.set _ZN2at6native32elementwise_kernel_manual_unrollILi128ELi4EZNS0_15gpu_kernel_implINS0_13AUnaryFunctorIN3c1011Float8_e5m2ES5_bNS0_12_GLOBAL__N_116CompareEqFunctorIS5_EEEEEEvRNS_18TensorIteratorBaseERKT_EUlibE_EEviT1_.num_agpr, 0
	.set _ZN2at6native32elementwise_kernel_manual_unrollILi128ELi4EZNS0_15gpu_kernel_implINS0_13AUnaryFunctorIN3c1011Float8_e5m2ES5_bNS0_12_GLOBAL__N_116CompareEqFunctorIS5_EEEEEEvRNS_18TensorIteratorBaseERKT_EUlibE_EEviT1_.numbered_sgpr, 48
	.set _ZN2at6native32elementwise_kernel_manual_unrollILi128ELi4EZNS0_15gpu_kernel_implINS0_13AUnaryFunctorIN3c1011Float8_e5m2ES5_bNS0_12_GLOBAL__N_116CompareEqFunctorIS5_EEEEEEvRNS_18TensorIteratorBaseERKT_EUlibE_EEviT1_.num_named_barrier, 0
	.set _ZN2at6native32elementwise_kernel_manual_unrollILi128ELi4EZNS0_15gpu_kernel_implINS0_13AUnaryFunctorIN3c1011Float8_e5m2ES5_bNS0_12_GLOBAL__N_116CompareEqFunctorIS5_EEEEEEvRNS_18TensorIteratorBaseERKT_EUlibE_EEviT1_.private_seg_size, 0
	.set _ZN2at6native32elementwise_kernel_manual_unrollILi128ELi4EZNS0_15gpu_kernel_implINS0_13AUnaryFunctorIN3c1011Float8_e5m2ES5_bNS0_12_GLOBAL__N_116CompareEqFunctorIS5_EEEEEEvRNS_18TensorIteratorBaseERKT_EUlibE_EEviT1_.uses_vcc, 1
	.set _ZN2at6native32elementwise_kernel_manual_unrollILi128ELi4EZNS0_15gpu_kernel_implINS0_13AUnaryFunctorIN3c1011Float8_e5m2ES5_bNS0_12_GLOBAL__N_116CompareEqFunctorIS5_EEEEEEvRNS_18TensorIteratorBaseERKT_EUlibE_EEviT1_.uses_flat_scratch, 0
	.set _ZN2at6native32elementwise_kernel_manual_unrollILi128ELi4EZNS0_15gpu_kernel_implINS0_13AUnaryFunctorIN3c1011Float8_e5m2ES5_bNS0_12_GLOBAL__N_116CompareEqFunctorIS5_EEEEEEvRNS_18TensorIteratorBaseERKT_EUlibE_EEviT1_.has_dyn_sized_stack, 0
	.set _ZN2at6native32elementwise_kernel_manual_unrollILi128ELi4EZNS0_15gpu_kernel_implINS0_13AUnaryFunctorIN3c1011Float8_e5m2ES5_bNS0_12_GLOBAL__N_116CompareEqFunctorIS5_EEEEEEvRNS_18TensorIteratorBaseERKT_EUlibE_EEviT1_.has_recursion, 0
	.set _ZN2at6native32elementwise_kernel_manual_unrollILi128ELi4EZNS0_15gpu_kernel_implINS0_13AUnaryFunctorIN3c1011Float8_e5m2ES5_bNS0_12_GLOBAL__N_116CompareEqFunctorIS5_EEEEEEvRNS_18TensorIteratorBaseERKT_EUlibE_EEviT1_.has_indirect_call, 0
	.section	.AMDGPU.csdata,"",@progbits
; Kernel info:
; codeLenInByte = 56636
; TotalNumSgprs: 52
; NumVgprs: 12
; ScratchSize: 0
; MemoryBound: 0
; FloatMode: 240
; IeeeMode: 1
; LDSByteSize: 0 bytes/workgroup (compile time only)
; SGPRBlocks: 6
; VGPRBlocks: 2
; NumSGPRsForWavesPerEU: 52
; NumVGPRsForWavesPerEU: 12
; Occupancy: 10
; WaveLimiterHint : 0
; COMPUTE_PGM_RSRC2:SCRATCH_EN: 0
; COMPUTE_PGM_RSRC2:USER_SGPR: 6
; COMPUTE_PGM_RSRC2:TRAP_HANDLER: 0
; COMPUTE_PGM_RSRC2:TGID_X_EN: 1
; COMPUTE_PGM_RSRC2:TGID_Y_EN: 0
; COMPUTE_PGM_RSRC2:TGID_Z_EN: 0
; COMPUTE_PGM_RSRC2:TIDIG_COMP_CNT: 0
	.section	.text._ZN2at6native32elementwise_kernel_manual_unrollILi128ELi4EZNS0_15gpu_kernel_implINS0_13AUnaryFunctorIN3c1011Float8_e5m2ES5_bNS0_12_GLOBAL__N_116CompareEqFunctorIS5_EEEEEEvRNS_18TensorIteratorBaseERKT_EUlibE0_EEviT1_,"axG",@progbits,_ZN2at6native32elementwise_kernel_manual_unrollILi128ELi4EZNS0_15gpu_kernel_implINS0_13AUnaryFunctorIN3c1011Float8_e5m2ES5_bNS0_12_GLOBAL__N_116CompareEqFunctorIS5_EEEEEEvRNS_18TensorIteratorBaseERKT_EUlibE0_EEviT1_,comdat
	.globl	_ZN2at6native32elementwise_kernel_manual_unrollILi128ELi4EZNS0_15gpu_kernel_implINS0_13AUnaryFunctorIN3c1011Float8_e5m2ES5_bNS0_12_GLOBAL__N_116CompareEqFunctorIS5_EEEEEEvRNS_18TensorIteratorBaseERKT_EUlibE0_EEviT1_ ; -- Begin function _ZN2at6native32elementwise_kernel_manual_unrollILi128ELi4EZNS0_15gpu_kernel_implINS0_13AUnaryFunctorIN3c1011Float8_e5m2ES5_bNS0_12_GLOBAL__N_116CompareEqFunctorIS5_EEEEEEvRNS_18TensorIteratorBaseERKT_EUlibE0_EEviT1_
	.p2align	8
	.type	_ZN2at6native32elementwise_kernel_manual_unrollILi128ELi4EZNS0_15gpu_kernel_implINS0_13AUnaryFunctorIN3c1011Float8_e5m2ES5_bNS0_12_GLOBAL__N_116CompareEqFunctorIS5_EEEEEEvRNS_18TensorIteratorBaseERKT_EUlibE0_EEviT1_,@function
_ZN2at6native32elementwise_kernel_manual_unrollILi128ELi4EZNS0_15gpu_kernel_implINS0_13AUnaryFunctorIN3c1011Float8_e5m2ES5_bNS0_12_GLOBAL__N_116CompareEqFunctorIS5_EEEEEEvRNS_18TensorIteratorBaseERKT_EUlibE0_EEviT1_: ; @_ZN2at6native32elementwise_kernel_manual_unrollILi128ELi4EZNS0_15gpu_kernel_implINS0_13AUnaryFunctorIN3c1011Float8_e5m2ES5_bNS0_12_GLOBAL__N_116CompareEqFunctorIS5_EEEEEEvRNS_18TensorIteratorBaseERKT_EUlibE0_EEviT1_
; %bb.0:
	s_load_dword s72, s[4:5], 0x0
	s_load_dword s33, s[4:5], 0x8
	s_add_u32 s34, s4, 8
	s_addc_u32 s35, s5, 0
	v_lshl_or_b32 v8, s6, 9, v0
	v_or_b32_e32 v15, 0x180, v8
	s_waitcnt lgkmcnt(0)
	s_add_i32 s74, s33, -1
	s_cmp_gt_u32 s74, 1
	v_cmp_le_i32_e32 vcc, s72, v15
	s_cselect_b64 s[46:47], -1, 0
	s_mov_b64 s[44:45], 0
	s_mov_b64 s[6:7], 0
	s_and_saveexec_b64 s[0:1], vcc
	s_xor_b64 s[48:49], exec, s[0:1]
	s_cbranch_execz .LBB242_1758
; %bb.1:
	s_load_dwordx4 s[28:31], s[34:35], 0x4
	s_load_dwordx2 s[50:51], s[34:35], 0x14
	s_load_dwordx2 s[2:3], s[34:35], 0x158
	s_load_dword s75, s[34:35], 0x160
	s_cmp_lg_u32 s33, 0
	s_cselect_b64 s[56:57], -1, 0
	s_add_u32 s54, s34, 0xc4
	s_addc_u32 s55, s35, 0
	s_min_u32 s77, s74, 15
	s_cmp_gt_u32 s33, 1
	s_cselect_b64 s[52:53], -1, 0
	s_waitcnt lgkmcnt(0)
	s_bfe_u32 s76, s75, 0x80008
	s_cmp_eq_u32 s2, 0
	s_cselect_b64 s[0:1], -1, 0
	s_lshl_b32 s2, s3, 8
	s_lshl_b32 s6, s3, 25
	s_lshr_b32 s7, s6, 4
	s_and_b32 s2, s2, 0x7f00
	s_load_dwordx4 s[36:39], s[34:35], 0xc4
	s_load_dwordx4 s[24:27], s[34:35], 0x148
	s_or_b32 s7, s7, 0x70000000
	s_or_b32 s2, s2, 0.5
	s_cmp_lt_u32 s6, 0x8000000
	v_mov_b32_e32 v1, 0x7800000
	v_add_f32_e64 v0, s2, -0.5
	v_mul_f32_e32 v1, s7, v1
	s_cselect_b64 vcc, -1, 0
	s_lshl_b32 s2, s3, 24
	v_cndmask_b32_e32 v0, v1, v0, vcc
	s_and_b32 s2, s2, 0x80000000
	v_or_b32_e32 v4, s2, v0
	v_cmp_gt_i32_e32 vcc, s72, v8
	s_mov_b64 s[2:3], -1
	s_mov_b64 s[66:67], 0
	s_mov_b64 s[60:61], 0
	;; [unrolled: 1-line block ×3, first 2 shown]
	s_and_saveexec_b64 s[62:63], vcc
	s_cbranch_execz .LBB242_434
; %bb.2:
	s_andn2_b64 vcc, exec, s[46:47]
	s_cbranch_vccnz .LBB242_7
; %bb.3:
	s_andn2_b64 vcc, exec, s[56:57]
	s_cbranch_vccnz .LBB242_8
; %bb.4:
	s_add_i32 s59, s77, 1
	s_cmp_eq_u32 s74, 2
	s_cbranch_scc1 .LBB242_9
; %bb.5:
	s_and_b32 s58, s59, 28
	v_mov_b32_e32 v2, 0
	s_mov_b32 s60, 0
	s_mov_b64 s[2:3], s[34:35]
	s_mov_b64 s[6:7], s[54:55]
	v_mov_b32_e32 v0, 0
	v_mov_b32_e32 v1, v8
.LBB242_6:                              ; =>This Inner Loop Header: Depth=1
	s_load_dwordx8 s[16:23], s[2:3], 0x4
	s_load_dwordx4 s[40:43], s[2:3], 0x24
	s_load_dwordx8 s[8:15], s[6:7], 0x0
	s_add_u32 s2, s2, 48
	s_addc_u32 s3, s3, 0
	s_waitcnt lgkmcnt(0)
	v_mul_hi_u32 v3, s17, v1
	s_add_i32 s60, s60, 4
	s_add_u32 s6, s6, 32
	s_addc_u32 s7, s7, 0
	v_add_u32_e32 v3, v1, v3
	v_lshrrev_b32_e32 v3, s18, v3
	v_mul_lo_u32 v5, v3, s16
	v_mul_hi_u32 v6, s20, v3
	s_cmp_lg_u32 s58, s60
	v_sub_u32_e32 v1, v1, v5
	v_add_u32_e32 v5, v3, v6
	v_mul_lo_u32 v6, v1, s8
	v_mul_lo_u32 v7, v1, s9
	v_lshrrev_b32_e32 v1, s21, v5
	v_mul_lo_u32 v5, v1, s19
	v_mul_hi_u32 v9, s23, v1
	v_sub_u32_e32 v3, v3, v5
	v_add_u32_e32 v5, v1, v9
	v_lshrrev_b32_e32 v5, s40, v5
	v_mul_hi_u32 v10, s42, v5
	v_mul_lo_u32 v11, v5, s22
	v_mul_lo_u32 v9, v3, s10
	;; [unrolled: 1-line block ×3, first 2 shown]
	v_sub_u32_e32 v11, v1, v11
	v_add_u32_e32 v1, v5, v10
	v_lshrrev_b32_e32 v1, s43, v1
	v_mul_lo_u32 v10, v1, s41
	v_mul_lo_u32 v12, v11, s12
	;; [unrolled: 1-line block ×3, first 2 shown]
	v_add3_u32 v0, v6, v0, v9
	v_sub_u32_e32 v5, v5, v10
	v_mul_lo_u32 v10, v5, s14
	v_mul_lo_u32 v5, v5, s15
	v_add3_u32 v2, v7, v2, v3
	v_add3_u32 v0, v12, v0, v10
	;; [unrolled: 1-line block ×3, first 2 shown]
	s_cbranch_scc1 .LBB242_6
	s_branch .LBB242_10
.LBB242_7:
                                        ; implicit-def: $vgpr0
                                        ; implicit-def: $vgpr2
	s_andn2_b64 vcc, exec, s[2:3]
	s_cbranch_vccz .LBB242_14
	s_branch .LBB242_16
.LBB242_8:
	v_mov_b32_e32 v0, 0
	v_mov_b32_e32 v2, 0
	s_branch .LBB242_13
.LBB242_9:
	s_mov_b32 s58, 0
	v_mov_b32_e32 v0, 0
	v_mov_b32_e32 v2, 0
	;; [unrolled: 1-line block ×3, first 2 shown]
.LBB242_10:
	s_and_b32 s8, s59, 3
	s_cmp_eq_u32 s8, 0
	s_cbranch_scc1 .LBB242_13
; %bb.11:
	s_lshl_b32 s2, s58, 3
	s_add_u32 s2, s34, s2
	s_addc_u32 s3, s35, 0
	s_add_u32 s2, s2, 0xc4
	s_addc_u32 s3, s3, 0
	s_mul_i32 s6, s58, 12
	s_add_u32 s6, s34, s6
	s_addc_u32 s7, s35, 0
.LBB242_12:                             ; =>This Inner Loop Header: Depth=1
	s_load_dwordx2 s[10:11], s[6:7], 0x4
	s_load_dword s9, s[6:7], 0xc
	s_load_dwordx2 s[12:13], s[2:3], 0x0
	s_add_u32 s6, s6, 12
	s_addc_u32 s7, s7, 0
	s_waitcnt lgkmcnt(0)
	v_mul_hi_u32 v3, s11, v1
	s_add_u32 s2, s2, 8
	s_addc_u32 s3, s3, 0
	s_add_i32 s8, s8, -1
	v_add_u32_e32 v3, v1, v3
	v_lshrrev_b32_e32 v5, s9, v3
	v_mul_lo_u32 v3, v5, s10
	s_cmp_lg_u32 s8, 0
	v_sub_u32_e32 v3, v1, v3
	v_mad_u64_u32 v[0:1], s[10:11], v3, s12, v[0:1]
	v_mad_u64_u32 v[2:3], s[10:11], v3, s13, v[2:3]
	v_mov_b32_e32 v1, v5
	s_cbranch_scc1 .LBB242_12
.LBB242_13:
	s_cbranch_execnz .LBB242_16
.LBB242_14:
	v_mul_hi_u32 v0, s29, v8
	s_andn2_b64 vcc, exec, s[52:53]
	v_add_u32_e32 v0, v8, v0
	v_lshrrev_b32_e32 v1, s30, v0
	v_mul_lo_u32 v0, v1, s28
	v_sub_u32_e32 v2, v8, v0
	s_waitcnt lgkmcnt(0)
	v_mul_lo_u32 v0, v2, s36
	v_mul_lo_u32 v2, v2, s37
	s_cbranch_vccnz .LBB242_16
; %bb.15:
	v_mul_hi_u32 v3, s50, v1
	v_add_u32_e32 v3, v1, v3
	v_lshrrev_b32_e32 v3, s51, v3
	v_mul_lo_u32 v3, v3, s31
	v_sub_u32_e32 v3, v1, v3
	v_mad_u64_u32 v[0:1], s[2:3], v3, s38, v[0:1]
	v_mad_u64_u32 v[2:3], s[2:3], v3, s39, v[2:3]
.LBB242_16:
	s_waitcnt lgkmcnt(0)
	v_mov_b32_e32 v3, s27
	s_and_b32 s12, 0xffff, s76
	v_add_co_u32_e32 v1, vcc, s26, v2
	s_cmp_lt_i32 s12, 11
	v_addc_co_u32_e32 v2, vcc, 0, v3, vcc
	s_cbranch_scc1 .LBB242_31
; %bb.17:
	s_cmp_gt_i32 s12, 25
	s_cbranch_scc0 .LBB242_40
; %bb.18:
	s_cmp_gt_i32 s12, 28
	s_cbranch_scc0 .LBB242_43
	;; [unrolled: 3-line block ×4, first 2 shown]
; %bb.21:
	s_cmp_eq_u32 s12, 46
	s_mov_b64 s[6:7], 0
	s_cbranch_scc0 .LBB242_49
; %bb.22:
	global_load_dword v3, v[1:2], off
	s_mov_b32 s2, 0x47800000
                                        ; implicit-def: $vgpr5
	s_waitcnt vmcnt(0)
	v_lshlrev_b32_e32 v3, 16, v3
	v_and_b32_e32 v6, 0x7fffffff, v3
	v_cmp_gt_u32_e32 vcc, s2, v6
	s_and_saveexec_b64 s[2:3], vcc
	s_xor_b64 s[2:3], exec, s[2:3]
	s_cbranch_execz .LBB242_28
; %bb.23:
	s_mov_b32 s8, 0x387fffff
	v_cmp_lt_u32_e32 vcc, s8, v6
                                        ; implicit-def: $vgpr5
	s_and_saveexec_b64 s[8:9], vcc
	s_xor_b64 s[8:9], exec, s[8:9]
; %bb.24:
	v_bfe_u32 v5, v3, 21, 1
	s_mov_b32 s10, 0x80fffff
	v_add3_u32 v5, v3, v5, s10
	v_lshrrev_b32_e32 v5, 21, v5
; %bb.25:
	s_andn2_saveexec_b64 s[8:9], s[8:9]
; %bb.26:
	s_mov_b32 s10, 0x43000000
	v_add_f32_e64 v5, |v3|, s10
; %bb.27:
	s_or_b64 exec, exec, s[8:9]
                                        ; implicit-def: $vgpr6
.LBB242_28:
	s_andn2_saveexec_b64 s[2:3], s[2:3]
; %bb.29:
	s_mov_b32 s8, 0x7f800000
	v_mov_b32_e32 v5, 0x7c
	v_mov_b32_e32 v7, 0x7f
	v_cmp_lt_u32_e32 vcc, s8, v6
	v_cndmask_b32_e32 v5, v5, v7, vcc
; %bb.30:
	s_or_b64 exec, exec, s[2:3]
	v_lshrrev_b32_e32 v3, 24, v3
	s_movk_i32 s2, 0x80
	v_and_or_b32 v3, v3, s2, v5
	s_mov_b64 s[2:3], -1
	s_mov_b64 s[8:9], 0
	s_branch .LBB242_51
.LBB242_31:
	s_mov_b64 s[8:9], 0
                                        ; implicit-def: $vgpr3
	s_mov_b64 s[2:3], 0
	s_cbranch_execnz .LBB242_296
.LBB242_32:
	s_andn2_b64 vcc, exec, s[2:3]
	s_cbranch_vccnz .LBB242_431
.LBB242_33:
	s_waitcnt vmcnt(0)
	v_lshlrev_b32_e32 v2, 25, v3
	v_lshlrev_b16_e32 v1, 8, v3
	v_lshrrev_b32_e32 v3, 4, v2
	s_movk_i32 s2, 0x7f00
	v_or_b32_e32 v3, 0x70000000, v3
	v_and_or_b32 v5, v1, s2, 0.5
	s_brev_b32 s2, 16
	v_add_f32_e32 v5, -0.5, v5
	v_mul_f32_e32 v3, 0x7800000, v3
	v_cmp_gt_u32_e32 vcc, s2, v2
	v_cndmask_b32_e32 v2, v3, v5, vcc
	v_bfe_i32 v1, v1, 0, 16
	s_brev_b32 s2, 1
	v_and_or_b32 v1, v1, s2, v2
	v_cmp_eq_f32_e32 vcc, v4, v1
	v_cndmask_b32_e64 v2, 0, 1, vcc
	v_cmp_neq_f32_e32 vcc, v4, v1
	v_cndmask_b32_e64 v1, 0, 1, vcc
	v_cndmask_b32_e64 v1, v1, v2, s[0:1]
	v_and_b32_e32 v1, 1, v1
	v_cmp_eq_u32_e64 s[2:3], 1, v1
	v_mov_b32_e32 v1, s25
	s_and_b32 s16, s75, 0xff
	v_add_co_u32_e32 v0, vcc, s24, v0
	s_cmp_lt_i32 s16, 11
	v_addc_co_u32_e32 v1, vcc, 0, v1, vcc
	s_cbranch_scc1 .LBB242_41
; %bb.34:
	s_and_b32 s17, 0xffff, s16
	s_cmp_gt_i32 s17, 25
	s_cbranch_scc0 .LBB242_44
; %bb.35:
	s_cmp_gt_i32 s17, 28
	s_cbranch_scc0 .LBB242_46
; %bb.36:
	;; [unrolled: 3-line block ×4, first 2 shown]
	s_mov_b64 s[12:13], 0
	s_mov_b64 s[6:7], -1
	s_cmp_eq_u32 s17, 46
	s_mov_b64 s[10:11], 0
	s_cbranch_scc0 .LBB242_63
; %bb.39:
	v_cndmask_b32_e64 v2, 0, 1.0, s[2:3]
	v_bfe_u32 v3, v2, 16, 1
	s_movk_i32 s6, 0x7fff
	v_add3_u32 v2, v2, v3, s6
	v_lshrrev_b32_e32 v2, 16, v2
	global_store_dword v[0:1], v2, off
	s_mov_b64 s[10:11], -1
	s_mov_b64 s[6:7], 0
	s_branch .LBB242_63
.LBB242_40:
	s_mov_b64 s[8:9], 0
	s_mov_b64 s[2:3], 0
                                        ; implicit-def: $vgpr3
	s_cbranch_execnz .LBB242_229
	s_branch .LBB242_295
.LBB242_41:
	s_mov_b64 s[6:7], 0
	s_mov_b64 s[10:11], 0
	s_cbranch_execnz .LBB242_132
.LBB242_42:
	s_andn2_b64 vcc, exec, s[10:11]
	s_cbranch_vccnz .LBB242_432
	s_branch .LBB242_170
.LBB242_43:
	s_mov_b64 s[6:7], -1
	s_mov_b64 s[8:9], 0
                                        ; implicit-def: $vgpr3
	s_mov_b64 s[2:3], 0
	s_branch .LBB242_186
.LBB242_44:
	s_mov_b64 s[12:13], -1
	s_mov_b64 s[6:7], 0
	s_mov_b64 s[10:11], 0
	s_branch .LBB242_90
.LBB242_45:
	s_mov_b64 s[6:7], -1
	s_mov_b64 s[8:9], 0
	s_mov_b64 s[2:3], 0
                                        ; implicit-def: $vgpr3
	s_branch .LBB242_173
.LBB242_46:
	s_mov_b64 s[12:13], -1
	s_mov_b64 s[6:7], 0
	s_mov_b64 s[10:11], 0
	s_branch .LBB242_73
.LBB242_47:
	s_mov_b64 s[6:7], -1
	s_mov_b64 s[8:9], 0
	s_branch .LBB242_50
.LBB242_48:
	s_mov_b64 s[12:13], -1
	s_mov_b64 s[6:7], 0
	s_mov_b64 s[10:11], 0
	s_branch .LBB242_69
.LBB242_49:
	s_mov_b64 s[8:9], -1
.LBB242_50:
	s_mov_b64 s[2:3], 0
                                        ; implicit-def: $vgpr3
.LBB242_51:
	s_and_b64 vcc, exec, s[6:7]
	s_cbranch_vccz .LBB242_172
; %bb.52:
	s_cmp_eq_u32 s12, 44
	s_cbranch_scc0 .LBB242_171
; %bb.53:
	global_load_ubyte v3, v[1:2], off
	s_movk_i32 s2, 0xff
	v_mov_b32_e32 v5, 0x7f800001
	v_mov_b32_e32 v6, 0x400000
	s_waitcnt vmcnt(0)
	v_lshlrev_b32_e32 v7, 23, v3
	v_cmp_ne_u32_e32 vcc, s2, v3
	v_cndmask_b32_e32 v5, v5, v7, vcc
	v_cmp_ne_u32_e32 vcc, 0, v3
	v_cndmask_b32_e32 v5, v6, v5, vcc
	s_mov_b32 s2, 0x47800000
	v_cmp_gt_u32_e32 vcc, s2, v5
                                        ; implicit-def: $vgpr3
	s_and_saveexec_b64 s[2:3], vcc
	s_xor_b64 s[2:3], exec, s[2:3]
	s_cbranch_execz .LBB242_59
; %bb.54:
	s_mov_b32 s6, 0x387fffff
	v_cmp_lt_u32_e32 vcc, s6, v5
                                        ; implicit-def: $vgpr3
	s_and_saveexec_b64 s[6:7], vcc
	s_xor_b64 s[6:7], exec, s[6:7]
; %bb.55:
	v_bfe_u32 v3, v5, 21, 1
	s_mov_b32 s8, 0x80fffff
	v_add3_u32 v3, v5, v3, s8
	v_lshrrev_b32_e32 v3, 21, v3
                                        ; implicit-def: $vgpr5
; %bb.56:
	s_andn2_saveexec_b64 s[6:7], s[6:7]
; %bb.57:
	v_add_f32_e32 v3, 0x43000000, v5
; %bb.58:
	s_or_b64 exec, exec, s[6:7]
                                        ; implicit-def: $vgpr5
.LBB242_59:
	s_andn2_saveexec_b64 s[2:3], s[2:3]
; %bb.60:
	s_mov_b32 s6, 0x7f800000
	v_mov_b32_e32 v3, 0x7c
	v_mov_b32_e32 v6, 0x7f
	v_cmp_lt_u32_e32 vcc, s6, v5
	v_cndmask_b32_e32 v3, v3, v6, vcc
; %bb.61:
	s_or_b64 exec, exec, s[2:3]
	s_mov_b64 s[2:3], -1
	s_mov_b64 s[8:9], 0
	s_branch .LBB242_172
.LBB242_62:
	s_mov_b64 s[12:13], -1
	s_mov_b64 s[6:7], 0
	s_mov_b64 s[10:11], 0
.LBB242_63:
	s_and_b64 vcc, exec, s[12:13]
	s_cbranch_vccz .LBB242_68
; %bb.64:
	s_cmp_eq_u32 s17, 44
	s_mov_b64 s[6:7], -1
	s_cbranch_scc0 .LBB242_68
; %bb.65:
	v_cndmask_b32_e64 v3, 0, 1.0, s[2:3]
	v_lshrrev_b32_e32 v2, 23, v3
	s_movk_i32 s6, 0xff
	v_cmp_ne_u32_e32 vcc, s6, v2
	v_mov_b32_e32 v5, 0xff
	s_and_saveexec_b64 s[10:11], vcc
; %bb.66:
	s_mov_b32 s6, 0x3fffff
	v_and_b32_e32 v5, 0x400000, v3
	v_and_or_b32 v3, v3, s6, v2
	v_cmp_ne_u32_e32 vcc, 0, v5
	v_cmp_ne_u32_e64 s[6:7], 0, v3
	s_and_b64 s[6:7], vcc, s[6:7]
	v_cndmask_b32_e64 v3, 0, 1, s[6:7]
	v_add_u32_e32 v5, v2, v3
; %bb.67:
	s_or_b64 exec, exec, s[10:11]
	s_mov_b64 s[10:11], -1
	s_mov_b64 s[6:7], 0
	global_store_byte v[0:1], v5, off
.LBB242_68:
	s_mov_b64 s[12:13], 0
.LBB242_69:
	s_and_b64 vcc, exec, s[12:13]
	s_cbranch_vccz .LBB242_72
; %bb.70:
	s_cmp_eq_u32 s17, 29
	s_mov_b64 s[6:7], -1
	s_cbranch_scc0 .LBB242_72
; %bb.71:
	s_mov_b32 s6, 0
	v_cndmask_b32_e64 v2, 0, 1, s[2:3]
	v_mov_b32_e32 v3, s6
	global_store_dwordx2 v[0:1], v[2:3], off
	s_mov_b64 s[10:11], -1
	s_mov_b64 s[6:7], 0
.LBB242_72:
	s_mov_b64 s[12:13], 0
.LBB242_73:
	s_and_b64 vcc, exec, s[12:13]
	s_cbranch_vccz .LBB242_89
; %bb.74:
	s_cmp_lt_i32 s17, 27
	s_mov_b64 s[10:11], -1
	s_cbranch_scc1 .LBB242_80
; %bb.75:
	s_cmp_gt_i32 s17, 27
	s_cbranch_scc0 .LBB242_77
; %bb.76:
	v_cndmask_b32_e64 v2, 0, 1, s[2:3]
	s_mov_b64 s[10:11], 0
	global_store_dword v[0:1], v2, off
.LBB242_77:
	s_andn2_b64 vcc, exec, s[10:11]
	s_cbranch_vccnz .LBB242_79
; %bb.78:
	v_cndmask_b32_e64 v2, 0, 1, s[2:3]
	global_store_short v[0:1], v2, off
.LBB242_79:
	s_mov_b64 s[10:11], 0
.LBB242_80:
	s_andn2_b64 vcc, exec, s[10:11]
	s_cbranch_vccnz .LBB242_88
; %bb.81:
	v_cndmask_b32_e64 v3, 0, 1.0, s[2:3]
	s_mov_b32 s10, 0x43800000
	v_cmp_gt_u32_e32 vcc, s10, v3
	v_mov_b32_e32 v5, 0x80
	s_and_saveexec_b64 s[10:11], vcc
	s_cbranch_execz .LBB242_87
; %bb.82:
	s_mov_b32 s12, 0x3bffffff
	v_cmp_lt_u32_e32 vcc, s12, v3
	s_mov_b64 s[12:13], 0
                                        ; implicit-def: $vgpr2
	s_and_saveexec_b64 s[14:15], vcc
	s_xor_b64 s[14:15], exec, s[14:15]
	s_cbranch_execz .LBB242_491
; %bb.83:
	v_bfe_u32 v2, v3, 20, 1
	s_mov_b32 s18, 0x487ffff
	v_add3_u32 v2, v3, v2, s18
	s_mov_b64 s[12:13], exec
	v_lshrrev_b32_e32 v2, 20, v2
                                        ; implicit-def: $vgpr3
	s_andn2_saveexec_b64 s[14:15], s[14:15]
	s_cbranch_execnz .LBB242_492
.LBB242_84:
	s_or_b64 exec, exec, s[14:15]
	v_mov_b32_e32 v5, 0
	s_and_saveexec_b64 s[14:15], s[12:13]
.LBB242_85:
	v_mov_b32_e32 v5, v2
.LBB242_86:
	s_or_b64 exec, exec, s[14:15]
.LBB242_87:
	s_or_b64 exec, exec, s[10:11]
	global_store_byte v[0:1], v5, off
.LBB242_88:
	s_mov_b64 s[10:11], -1
.LBB242_89:
	s_mov_b64 s[12:13], 0
.LBB242_90:
	s_and_b64 vcc, exec, s[12:13]
	s_cbranch_vccz .LBB242_131
; %bb.91:
	s_cmp_gt_i32 s17, 22
	s_mov_b64 s[12:13], -1
	s_cbranch_scc0 .LBB242_123
; %bb.92:
	s_cmp_lt_i32 s17, 24
	s_mov_b64 s[10:11], -1
	s_cbranch_scc1 .LBB242_112
; %bb.93:
	s_cmp_gt_i32 s17, 24
	s_cbranch_scc0 .LBB242_101
; %bb.94:
	v_cndmask_b32_e64 v3, 0, 1.0, s[2:3]
	s_mov_b32 s10, 0x47800000
	v_cmp_gt_u32_e32 vcc, s10, v3
	v_mov_b32_e32 v5, 0x80
	s_and_saveexec_b64 s[10:11], vcc
	s_cbranch_execz .LBB242_100
; %bb.95:
	s_mov_b32 s12, 0x37ffffff
	v_cmp_lt_u32_e32 vcc, s12, v3
	s_mov_b64 s[12:13], 0
                                        ; implicit-def: $vgpr2
	s_and_saveexec_b64 s[14:15], vcc
	s_xor_b64 s[14:15], exec, s[14:15]
	s_cbranch_execz .LBB242_495
; %bb.96:
	v_bfe_u32 v2, v3, 21, 1
	s_mov_b32 s18, 0x88fffff
	v_add3_u32 v2, v3, v2, s18
	s_mov_b64 s[12:13], exec
	v_lshrrev_b32_e32 v2, 21, v2
                                        ; implicit-def: $vgpr3
	s_andn2_saveexec_b64 s[14:15], s[14:15]
	s_cbranch_execnz .LBB242_496
.LBB242_97:
	s_or_b64 exec, exec, s[14:15]
	v_mov_b32_e32 v5, 0
	s_and_saveexec_b64 s[14:15], s[12:13]
.LBB242_98:
	v_mov_b32_e32 v5, v2
.LBB242_99:
	s_or_b64 exec, exec, s[14:15]
.LBB242_100:
	s_or_b64 exec, exec, s[10:11]
	s_mov_b64 s[10:11], 0
	global_store_byte v[0:1], v5, off
.LBB242_101:
	s_and_b64 vcc, exec, s[10:11]
	s_cbranch_vccz .LBB242_111
; %bb.102:
	v_cndmask_b32_e64 v2, 0, 1.0, s[2:3]
	s_mov_b32 s10, 0x43f00000
	v_cmp_gt_u32_e32 vcc, s10, v2
                                        ; implicit-def: $vgpr3
	s_and_saveexec_b64 s[10:11], vcc
	s_xor_b64 s[10:11], exec, s[10:11]
	s_cbranch_execz .LBB242_108
; %bb.103:
	s_mov_b32 s12, 0x3c7fffff
	v_cmp_lt_u32_e32 vcc, s12, v2
                                        ; implicit-def: $vgpr3
	s_and_saveexec_b64 s[12:13], vcc
	s_xor_b64 s[12:13], exec, s[12:13]
; %bb.104:
	v_bfe_u32 v3, v2, 20, 1
	s_mov_b32 s14, 0x407ffff
	v_add3_u32 v2, v2, v3, s14
	v_lshrrev_b32_e32 v3, 20, v2
	v_and_b32_e32 v2, 0xff00000, v2
	s_mov_b32 s14, 0x7f00000
	v_mov_b32_e32 v5, 0x7e
	v_cmp_ne_u32_e32 vcc, s14, v2
	v_cndmask_b32_e32 v3, v5, v3, vcc
                                        ; implicit-def: $vgpr2
; %bb.105:
	s_andn2_saveexec_b64 s[12:13], s[12:13]
; %bb.106:
	v_add_f32_e32 v3, 0x46800000, v2
; %bb.107:
	s_or_b64 exec, exec, s[12:13]
                                        ; implicit-def: $vgpr2
.LBB242_108:
	s_andn2_saveexec_b64 s[10:11], s[10:11]
; %bb.109:
	s_mov_b32 s12, 0x7f800000
	v_mov_b32_e32 v3, 0x7e
	v_mov_b32_e32 v5, 0x7f
	v_cmp_lt_u32_e32 vcc, s12, v2
	v_cndmask_b32_e32 v3, v3, v5, vcc
; %bb.110:
	s_or_b64 exec, exec, s[10:11]
	global_store_byte v[0:1], v3, off
.LBB242_111:
	s_mov_b64 s[10:11], 0
.LBB242_112:
	s_andn2_b64 vcc, exec, s[10:11]
	s_cbranch_vccnz .LBB242_122
; %bb.113:
	v_cndmask_b32_e64 v2, 0, 1.0, s[2:3]
	s_mov_b32 s10, 0x47800000
	v_cmp_gt_u32_e32 vcc, s10, v2
                                        ; implicit-def: $vgpr3
	s_and_saveexec_b64 s[10:11], vcc
	s_xor_b64 s[10:11], exec, s[10:11]
	s_cbranch_execz .LBB242_119
; %bb.114:
	s_mov_b32 s12, 0x387fffff
	v_cmp_lt_u32_e32 vcc, s12, v2
                                        ; implicit-def: $vgpr3
	s_and_saveexec_b64 s[12:13], vcc
	s_xor_b64 s[12:13], exec, s[12:13]
; %bb.115:
	v_bfe_u32 v3, v2, 21, 1
	s_mov_b32 s14, 0x80fffff
	v_add3_u32 v2, v2, v3, s14
	v_lshrrev_b32_e32 v3, 21, v2
                                        ; implicit-def: $vgpr2
; %bb.116:
	s_andn2_saveexec_b64 s[12:13], s[12:13]
; %bb.117:
	v_add_f32_e32 v3, 0x43000000, v2
; %bb.118:
	s_or_b64 exec, exec, s[12:13]
                                        ; implicit-def: $vgpr2
.LBB242_119:
	s_andn2_saveexec_b64 s[10:11], s[10:11]
; %bb.120:
	s_mov_b32 s12, 0x7f800000
	v_mov_b32_e32 v3, 0x7c
	v_mov_b32_e32 v5, 0x7f
	v_cmp_lt_u32_e32 vcc, s12, v2
	v_cndmask_b32_e32 v3, v3, v5, vcc
; %bb.121:
	s_or_b64 exec, exec, s[10:11]
	global_store_byte v[0:1], v3, off
.LBB242_122:
	s_mov_b64 s[12:13], 0
	s_mov_b64 s[10:11], -1
.LBB242_123:
	s_andn2_b64 vcc, exec, s[12:13]
	s_cbranch_vccnz .LBB242_131
; %bb.124:
	s_cmp_gt_i32 s17, 14
	s_mov_b64 s[12:13], -1
	s_cbranch_scc0 .LBB242_128
; %bb.125:
	s_cmp_eq_u32 s17, 15
	s_mov_b64 s[6:7], -1
	s_cbranch_scc0 .LBB242_127
; %bb.126:
	v_cndmask_b32_e64 v2, 0, 1.0, s[2:3]
	v_bfe_u32 v3, v2, 16, 1
	s_movk_i32 s6, 0x7fff
	v_add3_u32 v2, v2, v3, s6
	global_store_short_d16_hi v[0:1], v2, off
	s_mov_b64 s[10:11], -1
	s_mov_b64 s[6:7], 0
.LBB242_127:
	s_mov_b64 s[12:13], 0
.LBB242_128:
	s_and_b64 vcc, exec, s[12:13]
	s_cbranch_vccz .LBB242_131
; %bb.129:
	s_cmp_eq_u32 s17, 11
	s_mov_b64 s[6:7], -1
	s_cbranch_scc0 .LBB242_131
; %bb.130:
	v_cndmask_b32_e64 v2, 0, 1, s[2:3]
	s_mov_b64 s[10:11], -1
	s_mov_b64 s[6:7], 0
	global_store_byte v[0:1], v2, off
.LBB242_131:
	s_branch .LBB242_42
.LBB242_132:
	s_and_b32 s12, 0xffff, s16
	s_cmp_lt_i32 s12, 5
	s_mov_b64 s[10:11], -1
	s_cbranch_scc1 .LBB242_153
; %bb.133:
	s_cmp_lt_i32 s12, 8
	s_cbranch_scc1 .LBB242_143
; %bb.134:
	s_cmp_lt_i32 s12, 9
	s_cbranch_scc1 .LBB242_140
; %bb.135:
	s_cmp_gt_i32 s12, 9
	s_cbranch_scc0 .LBB242_137
; %bb.136:
	v_cndmask_b32_e64 v2, 0, 1, s[2:3]
	v_cvt_f64_u32_e32 v[9:10], v2
	v_mov_b32_e32 v11, 0
	v_mov_b32_e32 v12, v11
	s_mov_b64 s[10:11], 0
	global_store_dwordx4 v[0:1], v[9:12], off
.LBB242_137:
	s_andn2_b64 vcc, exec, s[10:11]
	s_cbranch_vccnz .LBB242_139
; %bb.138:
	v_cndmask_b32_e64 v2, 0, 1.0, s[2:3]
	v_mov_b32_e32 v3, 0
	global_store_dwordx2 v[0:1], v[2:3], off
.LBB242_139:
	s_mov_b64 s[10:11], 0
.LBB242_140:
	s_andn2_b64 vcc, exec, s[10:11]
	s_cbranch_vccnz .LBB242_142
; %bb.141:
	v_cndmask_b32_e64 v2, 0, 1.0, s[2:3]
	v_cvt_f16_f32_e32 v2, v2
	global_store_dword v[0:1], v2, off
.LBB242_142:
	s_mov_b64 s[10:11], 0
.LBB242_143:
	s_andn2_b64 vcc, exec, s[10:11]
	s_cbranch_vccnz .LBB242_152
; %bb.144:
	s_cmp_lt_i32 s12, 6
	s_mov_b64 s[10:11], -1
	s_cbranch_scc1 .LBB242_150
; %bb.145:
	s_cmp_gt_i32 s12, 6
	s_cbranch_scc0 .LBB242_147
; %bb.146:
	v_cndmask_b32_e64 v2, 0, 1, s[2:3]
	v_cvt_f64_u32_e32 v[2:3], v2
	s_mov_b64 s[10:11], 0
	global_store_dwordx2 v[0:1], v[2:3], off
.LBB242_147:
	s_andn2_b64 vcc, exec, s[10:11]
	s_cbranch_vccnz .LBB242_149
; %bb.148:
	v_cndmask_b32_e64 v2, 0, 1.0, s[2:3]
	global_store_dword v[0:1], v2, off
.LBB242_149:
	s_mov_b64 s[10:11], 0
.LBB242_150:
	s_andn2_b64 vcc, exec, s[10:11]
	s_cbranch_vccnz .LBB242_152
; %bb.151:
	v_cndmask_b32_e64 v2, 0, 1.0, s[2:3]
	v_cvt_f16_f32_e32 v2, v2
	global_store_short v[0:1], v2, off
.LBB242_152:
	s_mov_b64 s[10:11], 0
.LBB242_153:
	s_andn2_b64 vcc, exec, s[10:11]
	s_cbranch_vccnz .LBB242_169
; %bb.154:
	s_cmp_lt_i32 s12, 2
	s_mov_b64 s[10:11], -1
	s_cbranch_scc1 .LBB242_164
; %bb.155:
	s_cmp_lt_i32 s12, 3
	s_cbranch_scc1 .LBB242_161
; %bb.156:
	s_cmp_gt_i32 s12, 3
	s_cbranch_scc0 .LBB242_158
; %bb.157:
	s_mov_b32 s10, 0
	v_cndmask_b32_e64 v2, 0, 1, s[2:3]
	v_mov_b32_e32 v3, s10
	global_store_dwordx2 v[0:1], v[2:3], off
	s_mov_b64 s[10:11], 0
.LBB242_158:
	s_andn2_b64 vcc, exec, s[10:11]
	s_cbranch_vccnz .LBB242_160
; %bb.159:
	v_cndmask_b32_e64 v2, 0, 1, s[2:3]
	global_store_dword v[0:1], v2, off
.LBB242_160:
	s_mov_b64 s[10:11], 0
.LBB242_161:
	s_andn2_b64 vcc, exec, s[10:11]
	s_cbranch_vccnz .LBB242_163
; %bb.162:
	v_cndmask_b32_e64 v2, 0, 1, s[2:3]
	global_store_short v[0:1], v2, off
.LBB242_163:
	s_mov_b64 s[10:11], 0
.LBB242_164:
	s_andn2_b64 vcc, exec, s[10:11]
	s_cbranch_vccnz .LBB242_169
; %bb.165:
	s_cmp_gt_i32 s12, 0
	s_mov_b64 s[10:11], -1
	s_cbranch_scc0 .LBB242_167
; %bb.166:
	v_cndmask_b32_e64 v2, 0, 1, s[2:3]
	global_store_byte v[0:1], v2, off
	s_mov_b64 s[10:11], 0
.LBB242_167:
	s_andn2_b64 vcc, exec, s[10:11]
	s_cbranch_vccnz .LBB242_169
; %bb.168:
	v_cndmask_b32_e64 v2, 0, 1, s[2:3]
	global_store_byte v[0:1], v2, off
.LBB242_169:
.LBB242_170:
	v_add_u32_e32 v8, 0x80, v8
	s_mov_b64 s[2:3], -1
	s_branch .LBB242_433
.LBB242_171:
	s_mov_b64 s[8:9], -1
                                        ; implicit-def: $vgpr3
.LBB242_172:
	s_mov_b64 s[6:7], 0
.LBB242_173:
	s_and_b64 vcc, exec, s[6:7]
	s_cbranch_vccz .LBB242_185
; %bb.174:
	s_cmp_eq_u32 s12, 29
	s_cbranch_scc0 .LBB242_184
; %bb.175:
	global_load_dwordx2 v[5:6], v[1:2], off
	s_mov_b32 s2, 0x47800000
	s_waitcnt vmcnt(0)
	v_ffbh_u32_e32 v3, v6
	v_min_u32_e32 v3, 32, v3
	v_lshlrev_b64 v[5:6], v3, v[5:6]
	v_sub_u32_e32 v3, 32, v3
	v_min_u32_e32 v5, 1, v5
	v_or_b32_e32 v5, v6, v5
	v_cvt_f32_u32_e32 v5, v5
	v_ldexp_f32 v5, v5, v3
	v_cmp_gt_u32_e32 vcc, s2, v5
                                        ; implicit-def: $vgpr3
	s_and_saveexec_b64 s[2:3], vcc
	s_xor_b64 s[2:3], exec, s[2:3]
	s_cbranch_execz .LBB242_181
; %bb.176:
	s_mov_b32 s6, 0x387fffff
	v_cmp_lt_u32_e32 vcc, s6, v5
                                        ; implicit-def: $vgpr3
	s_and_saveexec_b64 s[6:7], vcc
	s_xor_b64 s[6:7], exec, s[6:7]
; %bb.177:
	v_bfe_u32 v3, v5, 21, 1
	s_mov_b32 s8, 0x80fffff
	v_add3_u32 v3, v5, v3, s8
	v_lshrrev_b32_e32 v3, 21, v3
                                        ; implicit-def: $vgpr5
; %bb.178:
	s_andn2_saveexec_b64 s[6:7], s[6:7]
; %bb.179:
	v_add_f32_e32 v3, 0x43000000, v5
; %bb.180:
	s_or_b64 exec, exec, s[6:7]
                                        ; implicit-def: $vgpr5
.LBB242_181:
	s_andn2_saveexec_b64 s[2:3], s[2:3]
; %bb.182:
	s_mov_b32 s6, 0x7f800000
	v_mov_b32_e32 v3, 0x7c
	v_mov_b32_e32 v6, 0x7f
	v_cmp_lt_u32_e32 vcc, s6, v5
	v_cndmask_b32_e32 v3, v3, v6, vcc
; %bb.183:
	s_or_b64 exec, exec, s[2:3]
	s_mov_b64 s[2:3], -1
	s_mov_b64 s[8:9], 0
	s_branch .LBB242_185
.LBB242_184:
	s_mov_b64 s[8:9], -1
                                        ; implicit-def: $vgpr3
.LBB242_185:
	s_mov_b64 s[6:7], 0
.LBB242_186:
	s_and_b64 vcc, exec, s[6:7]
	s_cbranch_vccz .LBB242_228
; %bb.187:
	s_cmp_lt_i32 s12, 27
	s_cbranch_scc1 .LBB242_198
; %bb.188:
	s_cmp_gt_i32 s12, 27
	s_cbranch_scc0 .LBB242_199
; %bb.189:
	global_load_dword v3, v[1:2], off
	s_mov_b32 s2, 0x47800000
	s_waitcnt vmcnt(0)
	v_cvt_f32_u32_e32 v5, v3
                                        ; implicit-def: $vgpr3
	v_cmp_gt_u32_e32 vcc, s2, v5
	s_and_saveexec_b64 s[2:3], vcc
	s_xor_b64 s[2:3], exec, s[2:3]
	s_cbranch_execz .LBB242_195
; %bb.190:
	s_mov_b32 s6, 0x387fffff
	v_cmp_lt_u32_e32 vcc, s6, v5
                                        ; implicit-def: $vgpr3
	s_and_saveexec_b64 s[6:7], vcc
	s_xor_b64 s[6:7], exec, s[6:7]
; %bb.191:
	v_bfe_u32 v3, v5, 21, 1
	s_mov_b32 s10, 0x80fffff
	v_add3_u32 v3, v5, v3, s10
	v_lshrrev_b32_e32 v3, 21, v3
                                        ; implicit-def: $vgpr5
; %bb.192:
	s_andn2_saveexec_b64 s[6:7], s[6:7]
; %bb.193:
	v_add_f32_e32 v3, 0x43000000, v5
; %bb.194:
	s_or_b64 exec, exec, s[6:7]
                                        ; implicit-def: $vgpr5
.LBB242_195:
	s_andn2_saveexec_b64 s[2:3], s[2:3]
; %bb.196:
	s_mov_b32 s6, 0x7f800000
	v_mov_b32_e32 v3, 0x7c
	v_mov_b32_e32 v6, 0x7f
	v_cmp_lt_u32_e32 vcc, s6, v5
	v_cndmask_b32_e32 v3, v3, v6, vcc
; %bb.197:
	s_or_b64 exec, exec, s[2:3]
	s_mov_b64 s[2:3], 0
	s_branch .LBB242_200
.LBB242_198:
	s_mov_b64 s[2:3], -1
                                        ; implicit-def: $vgpr3
	s_branch .LBB242_211
.LBB242_199:
	s_mov_b64 s[2:3], -1
                                        ; implicit-def: $vgpr3
.LBB242_200:
	s_and_b64 vcc, exec, s[2:3]
	s_cbranch_vccz .LBB242_210
; %bb.201:
	global_load_ushort v3, v[1:2], off
	s_mov_b32 s2, 0x47800000
	s_waitcnt vmcnt(0)
	v_cvt_f32_u32_e32 v5, v3
                                        ; implicit-def: $vgpr3
	v_cmp_gt_u32_e32 vcc, s2, v5
	s_and_saveexec_b64 s[2:3], vcc
	s_xor_b64 s[2:3], exec, s[2:3]
	s_cbranch_execz .LBB242_207
; %bb.202:
	s_mov_b32 s6, 0x387fffff
	v_cmp_lt_u32_e32 vcc, s6, v5
                                        ; implicit-def: $vgpr3
	s_and_saveexec_b64 s[6:7], vcc
	s_xor_b64 s[6:7], exec, s[6:7]
; %bb.203:
	v_bfe_u32 v3, v5, 21, 1
	s_mov_b32 s10, 0x80fffff
	v_add3_u32 v3, v5, v3, s10
	v_lshrrev_b32_e32 v3, 21, v3
                                        ; implicit-def: $vgpr5
; %bb.204:
	s_andn2_saveexec_b64 s[6:7], s[6:7]
; %bb.205:
	v_add_f32_e32 v3, 0x43000000, v5
; %bb.206:
	s_or_b64 exec, exec, s[6:7]
                                        ; implicit-def: $vgpr5
.LBB242_207:
	s_andn2_saveexec_b64 s[2:3], s[2:3]
; %bb.208:
	s_mov_b32 s6, 0x7f800000
	v_mov_b32_e32 v3, 0x7c
	v_mov_b32_e32 v6, 0x7f
	v_cmp_lt_u32_e32 vcc, s6, v5
	v_cndmask_b32_e32 v3, v3, v6, vcc
; %bb.209:
	s_or_b64 exec, exec, s[2:3]
.LBB242_210:
	s_mov_b64 s[2:3], 0
.LBB242_211:
	s_andn2_b64 vcc, exec, s[2:3]
	s_cbranch_vccnz .LBB242_227
; %bb.212:
	global_load_ubyte v5, v[1:2], off
	s_movk_i32 s2, 0x7f
	s_waitcnt vmcnt(0)
	v_cmp_lt_i16_e32 vcc, s2, v5
	s_mov_b64 s[2:3], 0
	s_and_saveexec_b64 s[6:7], vcc
	s_xor_b64 s[6:7], exec, s[6:7]
	s_cbranch_execz .LBB242_248
; %bb.213:
	s_movk_i32 s2, 0x80
	v_cmp_eq_u16_e32 vcc, s2, v5
	s_mov_b64 s[2:3], -1
	s_and_saveexec_b64 s[10:11], vcc
; %bb.214:
	s_xor_b64 s[2:3], exec, -1
; %bb.215:
	s_or_b64 exec, exec, s[10:11]
	s_and_b64 s[2:3], s[2:3], exec
	s_or_saveexec_b64 s[6:7], s[6:7]
	v_mov_b32_e32 v3, 0x7f800001
	s_xor_b64 exec, exec, s[6:7]
	s_cbranch_execnz .LBB242_249
.LBB242_216:
	s_or_b64 exec, exec, s[6:7]
	s_and_saveexec_b64 s[6:7], s[2:3]
	s_cbranch_execz .LBB242_218
.LBB242_217:
	v_lshlrev_b32_e32 v3, 24, v5
	v_and_b32_e32 v5, 0xffff, v5
	v_and_b32_e32 v6, 7, v5
	v_ffbh_u32_e32 v9, v6
	v_min_u32_e32 v9, 32, v9
	v_subrev_u32_e32 v10, 28, v9
	v_bfe_u32 v7, v5, 3, 4
	v_lshlrev_b32_e32 v5, v10, v5
	v_sub_u32_e32 v9, 29, v9
	v_and_b32_e32 v5, 7, v5
	v_cmp_eq_u32_e32 vcc, 0, v7
	v_cndmask_b32_e32 v7, v7, v9, vcc
	v_cndmask_b32_e32 v5, v6, v5, vcc
	v_mov_b32_e32 v6, 0x3b800000
	v_lshlrev_b32_e32 v5, 20, v5
	v_and_b32_e32 v3, 0x80000000, v3
	v_lshl_add_u32 v6, v7, 23, v6
	v_or3_b32 v3, v3, v6, v5
.LBB242_218:
	s_or_b64 exec, exec, s[6:7]
	v_and_b32_e32 v6, 0x7fffffff, v3
	s_mov_b32 s2, 0x47800000
	v_cmp_gt_u32_e32 vcc, s2, v6
                                        ; implicit-def: $vgpr5
	s_and_saveexec_b64 s[2:3], vcc
	s_xor_b64 s[2:3], exec, s[2:3]
	s_cbranch_execz .LBB242_224
; %bb.219:
	s_mov_b32 s6, 0x387fffff
	v_cmp_lt_u32_e32 vcc, s6, v6
                                        ; implicit-def: $vgpr5
	s_and_saveexec_b64 s[6:7], vcc
	s_xor_b64 s[6:7], exec, s[6:7]
; %bb.220:
	v_bfe_u32 v5, v3, 21, 1
	s_mov_b32 s10, 0x80fffff
	v_add3_u32 v5, v3, v5, s10
	v_lshrrev_b32_e32 v5, 21, v5
; %bb.221:
	s_andn2_saveexec_b64 s[6:7], s[6:7]
; %bb.222:
	s_mov_b32 s10, 0x43000000
	v_add_f32_e64 v5, |v3|, s10
; %bb.223:
	s_or_b64 exec, exec, s[6:7]
                                        ; implicit-def: $vgpr6
.LBB242_224:
	s_andn2_saveexec_b64 s[2:3], s[2:3]
; %bb.225:
	s_mov_b32 s6, 0x7f800000
	v_mov_b32_e32 v5, 0x7c
	v_mov_b32_e32 v7, 0x7f
	v_cmp_lt_u32_e32 vcc, s6, v6
	v_cndmask_b32_e32 v5, v5, v7, vcc
; %bb.226:
	s_or_b64 exec, exec, s[2:3]
	v_lshrrev_b32_e32 v3, 24, v3
	s_movk_i32 s2, 0x80
	v_and_or_b32 v3, v3, s2, v5
.LBB242_227:
	s_mov_b64 s[2:3], -1
.LBB242_228:
	s_branch .LBB242_295
.LBB242_229:
	s_cmp_gt_i32 s12, 22
	s_cbranch_scc0 .LBB242_247
; %bb.230:
	s_cmp_lt_i32 s12, 24
	s_cbranch_scc1 .LBB242_250
; %bb.231:
	s_cmp_gt_i32 s12, 24
	s_cbranch_scc0 .LBB242_251
; %bb.232:
	global_load_ubyte v5, v[1:2], off
	s_movk_i32 s2, 0x7f
	s_waitcnt vmcnt(0)
	v_cmp_lt_i16_e32 vcc, s2, v5
	s_mov_b64 s[2:3], 0
	s_and_saveexec_b64 s[6:7], vcc
	s_xor_b64 s[6:7], exec, s[6:7]
	s_cbranch_execz .LBB242_279
; %bb.233:
	s_movk_i32 s2, 0x80
	v_cmp_eq_u16_e32 vcc, s2, v5
	s_mov_b64 s[2:3], -1
	s_and_saveexec_b64 s[10:11], vcc
; %bb.234:
	s_xor_b64 s[2:3], exec, -1
; %bb.235:
	s_or_b64 exec, exec, s[10:11]
	s_and_b64 s[2:3], s[2:3], exec
	s_or_saveexec_b64 s[6:7], s[6:7]
	v_mov_b32_e32 v3, 0x7f800001
	s_xor_b64 exec, exec, s[6:7]
	s_cbranch_execnz .LBB242_280
.LBB242_236:
	s_or_b64 exec, exec, s[6:7]
	s_and_saveexec_b64 s[6:7], s[2:3]
	s_cbranch_execz .LBB242_238
.LBB242_237:
	v_lshlrev_b32_e32 v3, 24, v5
	v_and_b32_e32 v5, 0xffff, v5
	v_and_b32_e32 v6, 3, v5
	v_ffbh_u32_e32 v9, v6
	v_min_u32_e32 v9, 32, v9
	v_subrev_u32_e32 v10, 29, v9
	v_bfe_u32 v7, v5, 2, 5
	v_lshlrev_b32_e32 v5, v10, v5
	v_sub_u32_e32 v9, 30, v9
	v_and_b32_e32 v5, 3, v5
	v_cmp_eq_u32_e32 vcc, 0, v7
	v_cndmask_b32_e32 v7, v7, v9, vcc
	v_cndmask_b32_e32 v5, v6, v5, vcc
	v_mov_b32_e32 v6, 0x37800000
	v_lshlrev_b32_e32 v5, 21, v5
	v_and_b32_e32 v3, 0x80000000, v3
	v_lshl_add_u32 v6, v7, 23, v6
	v_or3_b32 v3, v3, v6, v5
.LBB242_238:
	s_or_b64 exec, exec, s[6:7]
	v_and_b32_e32 v6, 0x7fffffff, v3
	s_mov_b32 s2, 0x47800000
	v_cmp_gt_u32_e32 vcc, s2, v6
                                        ; implicit-def: $vgpr5
	s_and_saveexec_b64 s[2:3], vcc
	s_xor_b64 s[2:3], exec, s[2:3]
	s_cbranch_execz .LBB242_244
; %bb.239:
	s_mov_b32 s6, 0x387fffff
	v_cmp_lt_u32_e32 vcc, s6, v6
                                        ; implicit-def: $vgpr5
	s_and_saveexec_b64 s[6:7], vcc
	s_xor_b64 s[6:7], exec, s[6:7]
; %bb.240:
	v_bfe_u32 v5, v3, 21, 1
	s_mov_b32 s10, 0x80fffff
	v_add3_u32 v5, v3, v5, s10
	v_lshrrev_b32_e32 v5, 21, v5
; %bb.241:
	s_andn2_saveexec_b64 s[6:7], s[6:7]
; %bb.242:
	s_mov_b32 s10, 0x43000000
	v_add_f32_e64 v5, |v3|, s10
; %bb.243:
	s_or_b64 exec, exec, s[6:7]
                                        ; implicit-def: $vgpr6
.LBB242_244:
	s_andn2_saveexec_b64 s[2:3], s[2:3]
; %bb.245:
	s_mov_b32 s6, 0x7f800000
	v_mov_b32_e32 v5, 0x7c
	v_mov_b32_e32 v7, 0x7f
	v_cmp_lt_u32_e32 vcc, s6, v6
	v_cndmask_b32_e32 v5, v5, v7, vcc
; %bb.246:
	s_or_b64 exec, exec, s[2:3]
	v_lshrrev_b32_e32 v3, 24, v3
	s_movk_i32 s2, 0x80
	v_and_or_b32 v3, v3, s2, v5
	s_mov_b64 s[2:3], 0
	s_branch .LBB242_252
.LBB242_247:
	s_mov_b64 s[6:7], -1
                                        ; implicit-def: $vgpr3
	s_branch .LBB242_266
.LBB242_248:
	s_or_saveexec_b64 s[6:7], s[6:7]
	v_mov_b32_e32 v3, 0x7f800001
	s_xor_b64 exec, exec, s[6:7]
	s_cbranch_execz .LBB242_216
.LBB242_249:
	v_cmp_ne_u16_e32 vcc, 0, v5
	s_andn2_b64 s[2:3], s[2:3], exec
	s_and_b64 s[10:11], vcc, exec
	v_mov_b32_e32 v3, 0
	s_or_b64 s[2:3], s[2:3], s[10:11]
	s_or_b64 exec, exec, s[6:7]
	s_and_saveexec_b64 s[6:7], s[2:3]
	s_cbranch_execnz .LBB242_217
	s_branch .LBB242_218
.LBB242_250:
	s_mov_b64 s[2:3], -1
                                        ; implicit-def: $vgpr3
	s_branch .LBB242_263
.LBB242_251:
	s_mov_b64 s[2:3], -1
                                        ; implicit-def: $vgpr3
.LBB242_252:
	s_and_b64 vcc, exec, s[2:3]
	s_cbranch_vccz .LBB242_262
; %bb.253:
	global_load_ubyte v3, v[1:2], off
	s_mov_b32 s2, 0x7f800000
	s_brev_b32 s3, 1
	s_waitcnt vmcnt(0)
	v_lshlrev_b32_e32 v3, 24, v3
	v_and_b32_e32 v5, 0x7f000000, v3
	v_ffbh_u32_e32 v6, v5
	v_min_u32_e32 v6, 32, v6
	v_sub_u32_e64 v6, v6, 4 clamp
	v_lshlrev_b32_e32 v9, v6, v5
	v_lshlrev_b32_e32 v6, 23, v6
	v_lshrrev_b32_e32 v9, 4, v9
	v_add_u32_e32 v7, 0x1000000, v5
	v_sub_u32_e32 v6, v9, v6
	v_ashrrev_i32_e32 v7, 8, v7
	v_add_u32_e32 v6, 0x3c000000, v6
	v_and_or_b32 v6, v7, s2, v6
	v_cmp_ne_u32_e32 vcc, 0, v5
	v_cndmask_b32_e32 v7, 0, v6, vcc
	v_and_or_b32 v3, v3, s3, v7
	v_and_b32_e32 v6, 0x7fffffff, v3
	s_mov_b32 s2, 0x47800000
	v_cmp_gt_u32_e32 vcc, s2, v6
                                        ; implicit-def: $vgpr5
	s_and_saveexec_b64 s[2:3], vcc
	s_xor_b64 s[2:3], exec, s[2:3]
	s_cbranch_execz .LBB242_259
; %bb.254:
	s_mov_b32 s6, 0x387fffff
	v_cmp_lt_u32_e32 vcc, s6, v6
                                        ; implicit-def: $vgpr5
	s_and_saveexec_b64 s[6:7], vcc
	s_xor_b64 s[6:7], exec, s[6:7]
; %bb.255:
	v_bfe_u32 v5, v7, 21, 1
	s_mov_b32 s10, 0x80fffff
	v_add3_u32 v5, v3, v5, s10
	v_lshrrev_b32_e32 v5, 21, v5
; %bb.256:
	s_andn2_saveexec_b64 s[6:7], s[6:7]
; %bb.257:
	s_mov_b32 s10, 0x43000000
	v_add_f32_e64 v5, |v3|, s10
; %bb.258:
	s_or_b64 exec, exec, s[6:7]
                                        ; implicit-def: $vgpr6
.LBB242_259:
	s_andn2_saveexec_b64 s[2:3], s[2:3]
; %bb.260:
	s_mov_b32 s6, 0x7f800000
	v_mov_b32_e32 v5, 0x7c
	v_mov_b32_e32 v7, 0x7f
	v_cmp_lt_u32_e32 vcc, s6, v6
	v_cndmask_b32_e32 v5, v5, v7, vcc
; %bb.261:
	s_or_b64 exec, exec, s[2:3]
	v_lshrrev_b32_e32 v3, 24, v3
	s_movk_i32 s2, 0x80
	v_and_or_b32 v3, v3, s2, v5
.LBB242_262:
	s_mov_b64 s[2:3], 0
.LBB242_263:
	s_andn2_b64 vcc, exec, s[2:3]
	s_cbranch_vccnz .LBB242_265
; %bb.264:
	global_load_ubyte v3, v[1:2], off
.LBB242_265:
	s_mov_b64 s[6:7], 0
	s_mov_b64 s[2:3], -1
.LBB242_266:
	s_andn2_b64 vcc, exec, s[6:7]
	s_cbranch_vccnz .LBB242_295
; %bb.267:
	s_cmp_gt_i32 s12, 14
	s_cbranch_scc0 .LBB242_278
; %bb.268:
	s_cmp_eq_u32 s12, 15
	s_cbranch_scc0 .LBB242_281
; %bb.269:
	global_load_ushort v3, v[1:2], off
	s_mov_b32 s2, 0x47800000
                                        ; implicit-def: $vgpr5
	s_waitcnt vmcnt(0)
	v_lshlrev_b32_e32 v6, 16, v3
	v_and_b32_e32 v7, 0x7fffffff, v6
	v_cmp_gt_u32_e32 vcc, s2, v7
	s_and_saveexec_b64 s[2:3], vcc
	s_xor_b64 s[2:3], exec, s[2:3]
	s_cbranch_execz .LBB242_275
; %bb.270:
	s_mov_b32 s6, 0x387fffff
	v_cmp_lt_u32_e32 vcc, s6, v7
                                        ; implicit-def: $vgpr5
	s_and_saveexec_b64 s[6:7], vcc
	s_xor_b64 s[6:7], exec, s[6:7]
; %bb.271:
	v_bfe_u32 v5, v3, 5, 1
	s_mov_b32 s8, 0x80fffff
	v_add3_u32 v5, v6, v5, s8
	v_lshrrev_b32_e32 v5, 21, v5
                                        ; implicit-def: $vgpr6
; %bb.272:
	s_andn2_saveexec_b64 s[6:7], s[6:7]
; %bb.273:
	s_mov_b32 s8, 0x43000000
	v_add_f32_e64 v5, |v6|, s8
; %bb.274:
	s_or_b64 exec, exec, s[6:7]
                                        ; implicit-def: $vgpr7
.LBB242_275:
	s_andn2_saveexec_b64 s[2:3], s[2:3]
; %bb.276:
	s_mov_b32 s6, 0x7f800000
	v_mov_b32_e32 v5, 0x7c
	v_mov_b32_e32 v6, 0x7f
	v_cmp_lt_u32_e32 vcc, s6, v7
	v_cndmask_b32_e32 v5, v5, v6, vcc
; %bb.277:
	s_or_b64 exec, exec, s[2:3]
	v_lshrrev_b32_e32 v3, 8, v3
	s_movk_i32 s2, 0x80
	v_and_or_b32 v3, v3, s2, v5
	s_mov_b64 s[2:3], -1
	s_mov_b64 s[8:9], 0
	s_branch .LBB242_282
.LBB242_278:
	s_mov_b64 s[6:7], -1
                                        ; implicit-def: $vgpr3
	s_branch .LBB242_283
.LBB242_279:
	s_or_saveexec_b64 s[6:7], s[6:7]
	v_mov_b32_e32 v3, 0x7f800001
	s_xor_b64 exec, exec, s[6:7]
	s_cbranch_execz .LBB242_236
.LBB242_280:
	v_cmp_ne_u16_e32 vcc, 0, v5
	s_andn2_b64 s[2:3], s[2:3], exec
	s_and_b64 s[10:11], vcc, exec
	v_mov_b32_e32 v3, 0
	s_or_b64 s[2:3], s[2:3], s[10:11]
	s_or_b64 exec, exec, s[6:7]
	s_and_saveexec_b64 s[6:7], s[2:3]
	s_cbranch_execnz .LBB242_237
	s_branch .LBB242_238
.LBB242_281:
	s_mov_b64 s[8:9], -1
                                        ; implicit-def: $vgpr3
.LBB242_282:
	s_mov_b64 s[6:7], 0
.LBB242_283:
	s_and_b64 vcc, exec, s[6:7]
	s_cbranch_vccz .LBB242_295
; %bb.284:
	s_cmp_eq_u32 s12, 11
	s_cbranch_scc0 .LBB242_294
; %bb.285:
	global_load_ubyte v3, v[1:2], off
	s_mov_b32 s2, 0x47800000
	s_waitcnt vmcnt(0)
	v_cmp_ne_u16_e32 vcc, 0, v3
	v_cndmask_b32_e64 v5, 0, 1.0, vcc
	v_cmp_gt_u32_e32 vcc, s2, v5
                                        ; implicit-def: $vgpr3
	s_and_saveexec_b64 s[2:3], vcc
	s_xor_b64 s[2:3], exec, s[2:3]
	s_cbranch_execz .LBB242_291
; %bb.286:
	s_mov_b32 s6, 0x387fffff
	v_cmp_lt_u32_e32 vcc, s6, v5
                                        ; implicit-def: $vgpr3
	s_and_saveexec_b64 s[6:7], vcc
	s_xor_b64 s[6:7], exec, s[6:7]
; %bb.287:
	v_bfe_u32 v3, v5, 21, 1
	s_mov_b32 s8, 0x80fffff
	v_add3_u32 v3, v5, v3, s8
	v_lshrrev_b32_e32 v3, 21, v3
                                        ; implicit-def: $vgpr5
; %bb.288:
	s_andn2_saveexec_b64 s[6:7], s[6:7]
; %bb.289:
	v_add_f32_e32 v3, 0x43000000, v5
; %bb.290:
	s_or_b64 exec, exec, s[6:7]
                                        ; implicit-def: $vgpr5
.LBB242_291:
	s_andn2_saveexec_b64 s[2:3], s[2:3]
; %bb.292:
	s_mov_b32 s6, 0x7f800000
	v_mov_b32_e32 v3, 0x7c
	v_mov_b32_e32 v6, 0x7f
	v_cmp_lt_u32_e32 vcc, s6, v5
	v_cndmask_b32_e32 v3, v3, v6, vcc
; %bb.293:
	s_or_b64 exec, exec, s[2:3]
	s_mov_b64 s[2:3], -1
	s_mov_b64 s[8:9], 0
	s_branch .LBB242_295
.LBB242_294:
	s_mov_b64 s[8:9], -1
                                        ; implicit-def: $vgpr3
.LBB242_295:
	s_branch .LBB242_32
.LBB242_296:
	s_cmp_lt_i32 s12, 5
	s_cbranch_scc1 .LBB242_309
; %bb.297:
	s_cmp_lt_i32 s12, 8
	s_cbranch_scc1 .LBB242_310
; %bb.298:
	;; [unrolled: 3-line block ×3, first 2 shown]
	s_cmp_gt_i32 s12, 9
	s_cbranch_scc0 .LBB242_312
; %bb.300:
	global_load_dwordx2 v[5:6], v[1:2], off
	s_mov_b32 s2, 0x47800000
	s_waitcnt vmcnt(0)
	v_cvt_f32_f64_e32 v3, v[5:6]
                                        ; implicit-def: $vgpr5
	v_and_b32_e32 v6, 0x7fffffff, v3
	v_cmp_gt_u32_e32 vcc, s2, v6
	s_and_saveexec_b64 s[2:3], vcc
	s_xor_b64 s[2:3], exec, s[2:3]
	s_cbranch_execz .LBB242_306
; %bb.301:
	s_mov_b32 s6, 0x387fffff
	v_cmp_lt_u32_e32 vcc, s6, v6
                                        ; implicit-def: $vgpr5
	s_and_saveexec_b64 s[6:7], vcc
	s_xor_b64 s[6:7], exec, s[6:7]
; %bb.302:
	v_bfe_u32 v5, v3, 21, 1
	s_mov_b32 s10, 0x80fffff
	v_add3_u32 v5, v3, v5, s10
	v_lshrrev_b32_e32 v5, 21, v5
; %bb.303:
	s_andn2_saveexec_b64 s[6:7], s[6:7]
; %bb.304:
	s_mov_b32 s10, 0x43000000
	v_add_f32_e64 v5, |v3|, s10
; %bb.305:
	s_or_b64 exec, exec, s[6:7]
                                        ; implicit-def: $vgpr6
.LBB242_306:
	s_andn2_saveexec_b64 s[2:3], s[2:3]
; %bb.307:
	s_mov_b32 s6, 0x7f800000
	v_mov_b32_e32 v5, 0x7c
	v_mov_b32_e32 v7, 0x7f
	v_cmp_lt_u32_e32 vcc, s6, v6
	v_cndmask_b32_e32 v5, v5, v7, vcc
; %bb.308:
	s_or_b64 exec, exec, s[2:3]
	v_lshrrev_b32_e32 v3, 24, v3
	s_movk_i32 s2, 0x80
	v_and_or_b32 v3, v3, s2, v5
	s_mov_b64 s[2:3], 0
	s_branch .LBB242_313
.LBB242_309:
                                        ; implicit-def: $vgpr3
	s_branch .LBB242_371
.LBB242_310:
	s_mov_b64 s[2:3], -1
                                        ; implicit-def: $vgpr3
	s_branch .LBB242_335
.LBB242_311:
	s_mov_b64 s[2:3], -1
                                        ; implicit-def: $vgpr3
	s_branch .LBB242_324
.LBB242_312:
	s_mov_b64 s[2:3], -1
                                        ; implicit-def: $vgpr3
.LBB242_313:
	s_and_b64 vcc, exec, s[2:3]
	s_cbranch_vccz .LBB242_323
; %bb.314:
	global_load_dword v3, v[1:2], off
	s_mov_b32 s2, 0x47800000
                                        ; implicit-def: $vgpr5
	s_waitcnt vmcnt(0)
	v_and_b32_e32 v6, 0x7fffffff, v3
	v_cmp_gt_u32_e32 vcc, s2, v6
	s_and_saveexec_b64 s[2:3], vcc
	s_xor_b64 s[2:3], exec, s[2:3]
	s_cbranch_execz .LBB242_320
; %bb.315:
	s_mov_b32 s6, 0x387fffff
	v_cmp_lt_u32_e32 vcc, s6, v6
                                        ; implicit-def: $vgpr5
	s_and_saveexec_b64 s[6:7], vcc
	s_xor_b64 s[6:7], exec, s[6:7]
; %bb.316:
	v_bfe_u32 v5, v3, 21, 1
	s_mov_b32 s10, 0x80fffff
	v_add3_u32 v5, v3, v5, s10
	v_lshrrev_b32_e32 v5, 21, v5
; %bb.317:
	s_andn2_saveexec_b64 s[6:7], s[6:7]
; %bb.318:
	s_mov_b32 s10, 0x43000000
	v_add_f32_e64 v5, |v3|, s10
; %bb.319:
	s_or_b64 exec, exec, s[6:7]
                                        ; implicit-def: $vgpr6
.LBB242_320:
	s_andn2_saveexec_b64 s[2:3], s[2:3]
; %bb.321:
	s_mov_b32 s6, 0x7f800000
	v_mov_b32_e32 v5, 0x7c
	v_mov_b32_e32 v7, 0x7f
	v_cmp_lt_u32_e32 vcc, s6, v6
	v_cndmask_b32_e32 v5, v5, v7, vcc
; %bb.322:
	s_or_b64 exec, exec, s[2:3]
	v_lshrrev_b32_e32 v3, 24, v3
	s_movk_i32 s2, 0x80
	v_and_or_b32 v3, v3, s2, v5
.LBB242_323:
	s_mov_b64 s[2:3], 0
.LBB242_324:
	s_andn2_b64 vcc, exec, s[2:3]
	s_cbranch_vccnz .LBB242_334
; %bb.325:
	global_load_dword v3, v[1:2], off
	s_mov_b32 s2, 0x47800000
                                        ; implicit-def: $vgpr5
	s_waitcnt vmcnt(0)
	v_cvt_f32_f16_e32 v3, v3
	v_and_b32_e32 v6, 0x7fffffff, v3
	v_cmp_gt_u32_e32 vcc, s2, v6
	s_and_saveexec_b64 s[2:3], vcc
	s_xor_b64 s[2:3], exec, s[2:3]
	s_cbranch_execz .LBB242_331
; %bb.326:
	s_mov_b32 s6, 0x387fffff
	v_cmp_lt_u32_e32 vcc, s6, v6
                                        ; implicit-def: $vgpr5
	s_and_saveexec_b64 s[6:7], vcc
	s_xor_b64 s[6:7], exec, s[6:7]
; %bb.327:
	v_bfe_u32 v5, v3, 21, 1
	s_mov_b32 s10, 0x80fffff
	v_add3_u32 v5, v3, v5, s10
	v_lshrrev_b32_e32 v5, 21, v5
; %bb.328:
	s_andn2_saveexec_b64 s[6:7], s[6:7]
; %bb.329:
	s_mov_b32 s10, 0x43000000
	v_add_f32_e64 v5, |v3|, s10
; %bb.330:
	s_or_b64 exec, exec, s[6:7]
                                        ; implicit-def: $vgpr6
.LBB242_331:
	s_andn2_saveexec_b64 s[2:3], s[2:3]
; %bb.332:
	s_mov_b32 s6, 0x7f800000
	v_mov_b32_e32 v5, 0x7c
	v_mov_b32_e32 v7, 0x7f
	v_cmp_lt_u32_e32 vcc, s6, v6
	v_cndmask_b32_e32 v5, v5, v7, vcc
; %bb.333:
	s_or_b64 exec, exec, s[2:3]
	v_lshrrev_b32_e32 v3, 24, v3
	s_movk_i32 s2, 0x80
	v_and_or_b32 v3, v3, s2, v5
.LBB242_334:
	s_mov_b64 s[2:3], 0
.LBB242_335:
	s_andn2_b64 vcc, exec, s[2:3]
	s_cbranch_vccnz .LBB242_370
; %bb.336:
	s_cmp_lt_i32 s12, 6
	s_cbranch_scc1 .LBB242_347
; %bb.337:
	s_cmp_gt_i32 s12, 6
	s_cbranch_scc0 .LBB242_348
; %bb.338:
	global_load_dwordx2 v[5:6], v[1:2], off
	s_mov_b32 s2, 0x47800000
	s_waitcnt vmcnt(0)
	v_cvt_f32_f64_e32 v3, v[5:6]
                                        ; implicit-def: $vgpr5
	v_and_b32_e32 v6, 0x7fffffff, v3
	v_cmp_gt_u32_e32 vcc, s2, v6
	s_and_saveexec_b64 s[2:3], vcc
	s_xor_b64 s[2:3], exec, s[2:3]
	s_cbranch_execz .LBB242_344
; %bb.339:
	s_mov_b32 s6, 0x387fffff
	v_cmp_lt_u32_e32 vcc, s6, v6
                                        ; implicit-def: $vgpr5
	s_and_saveexec_b64 s[6:7], vcc
	s_xor_b64 s[6:7], exec, s[6:7]
; %bb.340:
	v_bfe_u32 v5, v3, 21, 1
	s_mov_b32 s10, 0x80fffff
	v_add3_u32 v5, v3, v5, s10
	v_lshrrev_b32_e32 v5, 21, v5
; %bb.341:
	s_andn2_saveexec_b64 s[6:7], s[6:7]
; %bb.342:
	s_mov_b32 s10, 0x43000000
	v_add_f32_e64 v5, |v3|, s10
; %bb.343:
	s_or_b64 exec, exec, s[6:7]
                                        ; implicit-def: $vgpr6
.LBB242_344:
	s_andn2_saveexec_b64 s[2:3], s[2:3]
; %bb.345:
	s_mov_b32 s6, 0x7f800000
	v_mov_b32_e32 v5, 0x7c
	v_mov_b32_e32 v7, 0x7f
	v_cmp_lt_u32_e32 vcc, s6, v6
	v_cndmask_b32_e32 v5, v5, v7, vcc
; %bb.346:
	s_or_b64 exec, exec, s[2:3]
	v_lshrrev_b32_e32 v3, 24, v3
	s_movk_i32 s2, 0x80
	v_and_or_b32 v3, v3, s2, v5
	s_mov_b64 s[2:3], 0
	s_branch .LBB242_349
.LBB242_347:
	s_mov_b64 s[2:3], -1
                                        ; implicit-def: $vgpr3
	s_branch .LBB242_360
.LBB242_348:
	s_mov_b64 s[2:3], -1
                                        ; implicit-def: $vgpr3
.LBB242_349:
	s_and_b64 vcc, exec, s[2:3]
	s_cbranch_vccz .LBB242_359
; %bb.350:
	global_load_dword v3, v[1:2], off
	s_mov_b32 s2, 0x47800000
                                        ; implicit-def: $vgpr5
	s_waitcnt vmcnt(0)
	v_and_b32_e32 v6, 0x7fffffff, v3
	v_cmp_gt_u32_e32 vcc, s2, v6
	s_and_saveexec_b64 s[2:3], vcc
	s_xor_b64 s[2:3], exec, s[2:3]
	s_cbranch_execz .LBB242_356
; %bb.351:
	s_mov_b32 s6, 0x387fffff
	v_cmp_lt_u32_e32 vcc, s6, v6
                                        ; implicit-def: $vgpr5
	s_and_saveexec_b64 s[6:7], vcc
	s_xor_b64 s[6:7], exec, s[6:7]
; %bb.352:
	v_bfe_u32 v5, v3, 21, 1
	s_mov_b32 s10, 0x80fffff
	v_add3_u32 v5, v3, v5, s10
	v_lshrrev_b32_e32 v5, 21, v5
; %bb.353:
	s_andn2_saveexec_b64 s[6:7], s[6:7]
; %bb.354:
	s_mov_b32 s10, 0x43000000
	v_add_f32_e64 v5, |v3|, s10
; %bb.355:
	s_or_b64 exec, exec, s[6:7]
                                        ; implicit-def: $vgpr6
.LBB242_356:
	s_andn2_saveexec_b64 s[2:3], s[2:3]
; %bb.357:
	s_mov_b32 s6, 0x7f800000
	v_mov_b32_e32 v5, 0x7c
	v_mov_b32_e32 v7, 0x7f
	v_cmp_lt_u32_e32 vcc, s6, v6
	v_cndmask_b32_e32 v5, v5, v7, vcc
; %bb.358:
	s_or_b64 exec, exec, s[2:3]
	v_lshrrev_b32_e32 v3, 24, v3
	s_movk_i32 s2, 0x80
	v_and_or_b32 v3, v3, s2, v5
.LBB242_359:
	s_mov_b64 s[2:3], 0
.LBB242_360:
	s_andn2_b64 vcc, exec, s[2:3]
	s_cbranch_vccnz .LBB242_370
; %bb.361:
	global_load_ushort v3, v[1:2], off
	s_mov_b32 s2, 0x47800000
                                        ; implicit-def: $vgpr5
	s_waitcnt vmcnt(0)
	v_cvt_f32_f16_e32 v3, v3
	v_and_b32_e32 v6, 0x7fffffff, v3
	v_cmp_gt_u32_e32 vcc, s2, v6
	s_and_saveexec_b64 s[2:3], vcc
	s_xor_b64 s[2:3], exec, s[2:3]
	s_cbranch_execz .LBB242_367
; %bb.362:
	s_mov_b32 s6, 0x387fffff
	v_cmp_lt_u32_e32 vcc, s6, v6
                                        ; implicit-def: $vgpr5
	s_and_saveexec_b64 s[6:7], vcc
	s_xor_b64 s[6:7], exec, s[6:7]
; %bb.363:
	v_bfe_u32 v5, v3, 21, 1
	s_mov_b32 s10, 0x80fffff
	v_add3_u32 v5, v3, v5, s10
	v_lshrrev_b32_e32 v5, 21, v5
; %bb.364:
	s_andn2_saveexec_b64 s[6:7], s[6:7]
; %bb.365:
	s_mov_b32 s10, 0x43000000
	v_add_f32_e64 v5, |v3|, s10
; %bb.366:
	s_or_b64 exec, exec, s[6:7]
                                        ; implicit-def: $vgpr6
.LBB242_367:
	s_andn2_saveexec_b64 s[2:3], s[2:3]
; %bb.368:
	s_mov_b32 s6, 0x7f800000
	v_mov_b32_e32 v5, 0x7c
	v_mov_b32_e32 v7, 0x7f
	v_cmp_lt_u32_e32 vcc, s6, v6
	v_cndmask_b32_e32 v5, v5, v7, vcc
; %bb.369:
	s_or_b64 exec, exec, s[2:3]
	v_lshrrev_b32_e32 v3, 24, v3
	s_movk_i32 s2, 0x80
	v_and_or_b32 v3, v3, s2, v5
.LBB242_370:
	s_cbranch_execnz .LBB242_430
.LBB242_371:
	s_cmp_lt_i32 s12, 2
	s_cbranch_scc1 .LBB242_383
; %bb.372:
	s_cmp_lt_i32 s12, 3
	s_cbranch_scc1 .LBB242_384
; %bb.373:
	s_cmp_gt_i32 s12, 3
	s_cbranch_scc0 .LBB242_385
; %bb.374:
	global_load_dwordx2 v[5:6], v[1:2], off
	s_mov_b32 s2, 0x47800000
	s_waitcnt vmcnt(0)
	v_xor_b32_e32 v7, v5, v6
	v_ffbh_i32_e32 v3, v6
	v_ashrrev_i32_e32 v7, 31, v7
	v_add_u32_e32 v3, -1, v3
	v_add_u32_e32 v7, 32, v7
	v_min_u32_e32 v3, v3, v7
	v_lshlrev_b64 v[5:6], v3, v[5:6]
	v_sub_u32_e32 v3, 32, v3
	v_min_u32_e32 v5, 1, v5
	v_or_b32_e32 v5, v6, v5
	v_cvt_f32_i32_e32 v5, v5
	v_ldexp_f32 v3, v5, v3
	v_and_b32_e32 v6, 0x7fffffff, v3
	v_cmp_gt_u32_e32 vcc, s2, v6
                                        ; implicit-def: $vgpr5
	s_and_saveexec_b64 s[2:3], vcc
	s_xor_b64 s[2:3], exec, s[2:3]
	s_cbranch_execz .LBB242_380
; %bb.375:
	s_mov_b32 s6, 0x387fffff
	v_cmp_lt_u32_e32 vcc, s6, v6
                                        ; implicit-def: $vgpr5
	s_and_saveexec_b64 s[6:7], vcc
	s_xor_b64 s[6:7], exec, s[6:7]
; %bb.376:
	v_bfe_u32 v5, v3, 21, 1
	s_mov_b32 s10, 0x80fffff
	v_add3_u32 v5, v3, v5, s10
	v_lshrrev_b32_e32 v5, 21, v5
; %bb.377:
	s_andn2_saveexec_b64 s[6:7], s[6:7]
; %bb.378:
	s_mov_b32 s10, 0x43000000
	v_add_f32_e64 v5, |v3|, s10
; %bb.379:
	s_or_b64 exec, exec, s[6:7]
                                        ; implicit-def: $vgpr6
.LBB242_380:
	s_andn2_saveexec_b64 s[2:3], s[2:3]
; %bb.381:
	s_mov_b32 s6, 0x7f800000
	v_mov_b32_e32 v5, 0x7c
	v_mov_b32_e32 v7, 0x7f
	v_cmp_lt_u32_e32 vcc, s6, v6
	v_cndmask_b32_e32 v5, v5, v7, vcc
; %bb.382:
	s_or_b64 exec, exec, s[2:3]
	v_lshrrev_b32_e32 v3, 24, v3
	s_movk_i32 s2, 0x80
	v_and_or_b32 v3, v3, s2, v5
	s_mov_b64 s[2:3], 0
	s_branch .LBB242_386
.LBB242_383:
	s_mov_b64 s[2:3], -1
                                        ; implicit-def: $vgpr3
	s_branch .LBB242_408
.LBB242_384:
	s_mov_b64 s[2:3], -1
                                        ; implicit-def: $vgpr3
	s_branch .LBB242_397
.LBB242_385:
	s_mov_b64 s[2:3], -1
                                        ; implicit-def: $vgpr3
.LBB242_386:
	s_and_b64 vcc, exec, s[2:3]
	s_cbranch_vccz .LBB242_396
; %bb.387:
	global_load_dword v3, v[1:2], off
	s_mov_b32 s2, 0x47800000
                                        ; implicit-def: $vgpr5
	s_waitcnt vmcnt(0)
	v_cvt_f32_i32_e32 v3, v3
	v_and_b32_e32 v6, 0x7fffffff, v3
	v_cmp_gt_u32_e32 vcc, s2, v6
	s_and_saveexec_b64 s[2:3], vcc
	s_xor_b64 s[2:3], exec, s[2:3]
	s_cbranch_execz .LBB242_393
; %bb.388:
	s_mov_b32 s6, 0x387fffff
	v_cmp_lt_u32_e32 vcc, s6, v6
                                        ; implicit-def: $vgpr5
	s_and_saveexec_b64 s[6:7], vcc
	s_xor_b64 s[6:7], exec, s[6:7]
; %bb.389:
	v_bfe_u32 v5, v3, 21, 1
	s_mov_b32 s10, 0x80fffff
	v_add3_u32 v5, v3, v5, s10
	v_lshrrev_b32_e32 v5, 21, v5
; %bb.390:
	s_andn2_saveexec_b64 s[6:7], s[6:7]
; %bb.391:
	s_mov_b32 s10, 0x43000000
	v_add_f32_e64 v5, |v3|, s10
; %bb.392:
	s_or_b64 exec, exec, s[6:7]
                                        ; implicit-def: $vgpr6
.LBB242_393:
	s_andn2_saveexec_b64 s[2:3], s[2:3]
; %bb.394:
	s_mov_b32 s6, 0x7f800000
	v_mov_b32_e32 v5, 0x7c
	v_mov_b32_e32 v7, 0x7f
	v_cmp_lt_u32_e32 vcc, s6, v6
	v_cndmask_b32_e32 v5, v5, v7, vcc
; %bb.395:
	s_or_b64 exec, exec, s[2:3]
	v_lshrrev_b32_e32 v3, 24, v3
	s_movk_i32 s2, 0x80
	v_and_or_b32 v3, v3, s2, v5
.LBB242_396:
	s_mov_b64 s[2:3], 0
.LBB242_397:
	s_andn2_b64 vcc, exec, s[2:3]
	s_cbranch_vccnz .LBB242_407
; %bb.398:
	global_load_sshort v3, v[1:2], off
	s_mov_b32 s2, 0x47800000
                                        ; implicit-def: $vgpr5
	s_waitcnt vmcnt(0)
	v_cvt_f32_i32_e32 v3, v3
	v_and_b32_e32 v6, 0x7fffffff, v3
	v_cmp_gt_u32_e32 vcc, s2, v6
	s_and_saveexec_b64 s[2:3], vcc
	s_xor_b64 s[2:3], exec, s[2:3]
	s_cbranch_execz .LBB242_404
; %bb.399:
	s_mov_b32 s6, 0x387fffff
	v_cmp_lt_u32_e32 vcc, s6, v6
                                        ; implicit-def: $vgpr5
	s_and_saveexec_b64 s[6:7], vcc
	s_xor_b64 s[6:7], exec, s[6:7]
; %bb.400:
	v_bfe_u32 v5, v3, 21, 1
	s_mov_b32 s10, 0x80fffff
	v_add3_u32 v5, v3, v5, s10
	v_lshrrev_b32_e32 v5, 21, v5
; %bb.401:
	s_andn2_saveexec_b64 s[6:7], s[6:7]
; %bb.402:
	s_mov_b32 s10, 0x43000000
	v_add_f32_e64 v5, |v3|, s10
; %bb.403:
	s_or_b64 exec, exec, s[6:7]
                                        ; implicit-def: $vgpr6
.LBB242_404:
	s_andn2_saveexec_b64 s[2:3], s[2:3]
; %bb.405:
	s_mov_b32 s6, 0x7f800000
	v_mov_b32_e32 v5, 0x7c
	v_mov_b32_e32 v7, 0x7f
	v_cmp_lt_u32_e32 vcc, s6, v6
	v_cndmask_b32_e32 v5, v5, v7, vcc
; %bb.406:
	s_or_b64 exec, exec, s[2:3]
	v_lshrrev_b32_e32 v3, 24, v3
	s_movk_i32 s2, 0x80
	v_and_or_b32 v3, v3, s2, v5
.LBB242_407:
	s_mov_b64 s[2:3], 0
.LBB242_408:
	s_andn2_b64 vcc, exec, s[2:3]
	s_cbranch_vccnz .LBB242_430
; %bb.409:
	s_cmp_gt_i32 s12, 0
	s_cbranch_scc0 .LBB242_419
; %bb.410:
	global_load_sbyte v3, v[1:2], off
	s_mov_b32 s2, 0x47800000
                                        ; implicit-def: $vgpr5
	s_waitcnt vmcnt(0)
	v_cvt_f32_i32_e32 v3, v3
	v_and_b32_e32 v6, 0x7fffffff, v3
	v_cmp_gt_u32_e32 vcc, s2, v6
	s_and_saveexec_b64 s[2:3], vcc
	s_xor_b64 s[2:3], exec, s[2:3]
	s_cbranch_execz .LBB242_416
; %bb.411:
	s_mov_b32 s6, 0x387fffff
	v_cmp_lt_u32_e32 vcc, s6, v6
                                        ; implicit-def: $vgpr5
	s_and_saveexec_b64 s[6:7], vcc
	s_xor_b64 s[6:7], exec, s[6:7]
; %bb.412:
	v_bfe_u32 v5, v3, 21, 1
	s_mov_b32 s10, 0x80fffff
	v_add3_u32 v5, v3, v5, s10
	v_lshrrev_b32_e32 v5, 21, v5
; %bb.413:
	s_andn2_saveexec_b64 s[6:7], s[6:7]
; %bb.414:
	s_mov_b32 s10, 0x43000000
	v_add_f32_e64 v5, |v3|, s10
; %bb.415:
	s_or_b64 exec, exec, s[6:7]
                                        ; implicit-def: $vgpr6
.LBB242_416:
	s_andn2_saveexec_b64 s[2:3], s[2:3]
; %bb.417:
	s_mov_b32 s6, 0x7f800000
	v_mov_b32_e32 v5, 0x7c
	v_mov_b32_e32 v7, 0x7f
	v_cmp_lt_u32_e32 vcc, s6, v6
	v_cndmask_b32_e32 v5, v5, v7, vcc
; %bb.418:
	s_or_b64 exec, exec, s[2:3]
	v_lshrrev_b32_e32 v3, 24, v3
	s_movk_i32 s2, 0x80
	v_and_or_b32 v3, v3, s2, v5
	s_mov_b64 s[2:3], 0
	s_branch .LBB242_420
.LBB242_419:
	s_mov_b64 s[2:3], -1
                                        ; implicit-def: $vgpr3
.LBB242_420:
	s_and_b64 vcc, exec, s[2:3]
	s_cbranch_vccz .LBB242_430
; %bb.421:
	global_load_ubyte v1, v[1:2], off
	s_mov_b32 s2, 0x47800000
                                        ; implicit-def: $vgpr3
	s_waitcnt vmcnt(0)
	v_cvt_f32_ubyte0_e32 v1, v1
	v_cmp_gt_u32_e32 vcc, s2, v1
	s_and_saveexec_b64 s[2:3], vcc
	s_xor_b64 s[2:3], exec, s[2:3]
	s_cbranch_execz .LBB242_427
; %bb.422:
	s_mov_b32 s6, 0x387fffff
	v_cmp_lt_u32_e32 vcc, s6, v1
                                        ; implicit-def: $vgpr3
	s_and_saveexec_b64 s[6:7], vcc
	s_xor_b64 s[6:7], exec, s[6:7]
; %bb.423:
	v_bfe_u32 v2, v1, 21, 1
	s_mov_b32 s10, 0x80fffff
	v_add3_u32 v1, v1, v2, s10
	v_lshrrev_b32_e32 v3, 21, v1
                                        ; implicit-def: $vgpr1
; %bb.424:
	s_andn2_saveexec_b64 s[6:7], s[6:7]
; %bb.425:
	v_add_f32_e32 v3, 0x43000000, v1
; %bb.426:
	s_or_b64 exec, exec, s[6:7]
                                        ; implicit-def: $vgpr1
.LBB242_427:
	s_andn2_saveexec_b64 s[2:3], s[2:3]
; %bb.428:
	s_mov_b32 s6, 0x7f800000
	v_mov_b32_e32 v2, 0x7c
	v_mov_b32_e32 v3, 0x7f
	v_cmp_lt_u32_e32 vcc, s6, v1
	v_cndmask_b32_e32 v3, v2, v3, vcc
; %bb.429:
	s_or_b64 exec, exec, s[2:3]
.LBB242_430:
	s_branch .LBB242_33
.LBB242_431:
	s_mov_b64 s[6:7], 0
.LBB242_432:
	s_mov_b64 s[2:3], 0
                                        ; implicit-def: $vgpr8
.LBB242_433:
	s_and_b64 s[58:59], s[6:7], exec
	s_and_b64 s[60:61], s[8:9], exec
	s_orn2_b64 s[2:3], s[2:3], exec
.LBB242_434:
	s_or_b64 exec, exec, s[62:63]
	s_mov_b64 s[10:11], 0
	s_mov_b64 s[6:7], 0
                                        ; implicit-def: $vgpr1_vgpr2
                                        ; implicit-def: $vgpr0
                                        ; implicit-def: $vgpr3
	s_and_saveexec_b64 s[62:63], s[2:3]
	s_cbranch_execz .LBB242_441
; %bb.435:
	v_cmp_gt_i32_e32 vcc, s72, v8
	s_mov_b64 s[2:3], -1
	s_mov_b64 s[64:65], s[60:61]
	s_mov_b64 s[66:67], s[58:59]
	s_and_saveexec_b64 s[68:69], vcc
	s_cbranch_execz .LBB242_886
; %bb.436:
	s_andn2_b64 vcc, exec, s[46:47]
	s_cbranch_vccnz .LBB242_452
; %bb.437:
	s_andn2_b64 vcc, exec, s[56:57]
	s_cbranch_vccnz .LBB242_453
; %bb.438:
	s_add_i32 s65, s77, 1
	s_cmp_eq_u32 s74, 2
	s_cbranch_scc1 .LBB242_454
; %bb.439:
	s_and_b32 s64, s65, 28
	v_mov_b32_e32 v2, 0
	s_mov_b32 s66, 0
	s_mov_b64 s[2:3], s[34:35]
	s_mov_b64 s[6:7], s[54:55]
	v_mov_b32_e32 v0, 0
	v_mov_b32_e32 v1, v8
.LBB242_440:                            ; =>This Inner Loop Header: Depth=1
	s_load_dwordx8 s[16:23], s[2:3], 0x4
	s_load_dwordx4 s[40:43], s[2:3], 0x24
	s_load_dwordx8 s[8:15], s[6:7], 0x0
	s_add_u32 s2, s2, 48
	s_addc_u32 s3, s3, 0
	s_waitcnt vmcnt(0) lgkmcnt(0)
	v_mul_hi_u32 v3, s17, v1
	s_add_i32 s66, s66, 4
	s_add_u32 s6, s6, 32
	s_addc_u32 s7, s7, 0
	v_add_u32_e32 v3, v1, v3
	v_lshrrev_b32_e32 v3, s18, v3
	v_mul_lo_u32 v5, v3, s16
	v_mul_hi_u32 v6, s20, v3
	s_cmp_eq_u32 s64, s66
	v_sub_u32_e32 v1, v1, v5
	v_add_u32_e32 v5, v3, v6
	v_mul_lo_u32 v6, v1, s8
	v_mul_lo_u32 v7, v1, s9
	v_lshrrev_b32_e32 v1, s21, v5
	v_mul_lo_u32 v5, v1, s19
	v_mul_hi_u32 v9, s23, v1
	v_sub_u32_e32 v3, v3, v5
	v_add_u32_e32 v5, v1, v9
	v_lshrrev_b32_e32 v5, s40, v5
	v_mul_hi_u32 v10, s42, v5
	v_mul_lo_u32 v11, v5, s22
	v_mul_lo_u32 v9, v3, s10
	;; [unrolled: 1-line block ×3, first 2 shown]
	v_sub_u32_e32 v11, v1, v11
	v_add_u32_e32 v1, v5, v10
	v_lshrrev_b32_e32 v1, s43, v1
	v_mul_lo_u32 v10, v1, s41
	v_mul_lo_u32 v12, v11, s12
	;; [unrolled: 1-line block ×3, first 2 shown]
	v_add3_u32 v0, v6, v0, v9
	v_sub_u32_e32 v5, v5, v10
	v_mul_lo_u32 v10, v5, s14
	v_mul_lo_u32 v5, v5, s15
	v_add3_u32 v2, v7, v2, v3
	v_add3_u32 v0, v12, v0, v10
	;; [unrolled: 1-line block ×3, first 2 shown]
	s_cbranch_scc0 .LBB242_440
	s_branch .LBB242_455
.LBB242_441:
	s_or_b64 exec, exec, s[62:63]
	s_mov_b64 s[2:3], 0
	s_and_saveexec_b64 s[8:9], s[60:61]
	s_cbranch_execnz .LBB242_1502
.LBB242_442:
	s_or_b64 exec, exec, s[8:9]
	s_and_saveexec_b64 s[8:9], s[66:67]
	s_cbranch_execz .LBB242_1503
.LBB242_443:
	global_load_ubyte v3, v[1:2], off
	s_mov_b32 s12, 0x47800000
	s_waitcnt vmcnt(0)
	v_cmp_ne_u16_e32 vcc, 0, v3
	v_cndmask_b32_e64 v5, 0, 1.0, vcc
	v_cmp_gt_u32_e32 vcc, s12, v5
                                        ; implicit-def: $vgpr3
	s_and_saveexec_b64 s[12:13], vcc
	s_xor_b64 s[12:13], exec, s[12:13]
	s_cbranch_execz .LBB242_449
; %bb.444:
	s_mov_b32 s14, 0x387fffff
	v_cmp_lt_u32_e32 vcc, s14, v5
                                        ; implicit-def: $vgpr3
	s_and_saveexec_b64 s[14:15], vcc
	s_xor_b64 s[14:15], exec, s[14:15]
; %bb.445:
	v_bfe_u32 v3, v5, 21, 1
	s_mov_b32 s16, 0x80fffff
	v_add3_u32 v3, v5, v3, s16
	v_lshrrev_b32_e32 v3, 21, v3
                                        ; implicit-def: $vgpr5
; %bb.446:
	s_andn2_saveexec_b64 s[14:15], s[14:15]
; %bb.447:
	v_add_f32_e32 v3, 0x43000000, v5
; %bb.448:
	s_or_b64 exec, exec, s[14:15]
                                        ; implicit-def: $vgpr5
.LBB242_449:
	s_andn2_saveexec_b64 s[12:13], s[12:13]
; %bb.450:
	s_mov_b32 s14, 0x7f800000
	v_mov_b32_e32 v3, 0x7c
	v_mov_b32_e32 v6, 0x7f
	v_cmp_lt_u32_e32 vcc, s14, v5
	v_cndmask_b32_e32 v3, v3, v6, vcc
; %bb.451:
	s_or_b64 exec, exec, s[12:13]
	s_or_b64 s[6:7], s[6:7], exec
	s_or_b64 exec, exec, s[8:9]
	s_and_saveexec_b64 s[8:9], s[10:11]
	s_cbranch_execz .LBB242_1637
	s_branch .LBB242_1504
.LBB242_452:
                                        ; implicit-def: $vgpr0
                                        ; implicit-def: $vgpr2
	s_andn2_b64 vcc, exec, s[2:3]
	s_cbranch_vccz .LBB242_459
	s_branch .LBB242_461
.LBB242_453:
	v_mov_b32_e32 v0, 0
	v_mov_b32_e32 v2, 0
	s_branch .LBB242_458
.LBB242_454:
	s_mov_b32 s64, 0
	v_mov_b32_e32 v0, 0
	v_mov_b32_e32 v2, 0
	;; [unrolled: 1-line block ×3, first 2 shown]
.LBB242_455:
	s_and_b32 s8, s65, 3
	s_cmp_eq_u32 s8, 0
	s_cbranch_scc1 .LBB242_458
; %bb.456:
	s_lshl_b32 s2, s64, 3
	s_add_u32 s2, s34, s2
	s_addc_u32 s3, s35, 0
	s_add_u32 s2, s2, 0xc4
	s_addc_u32 s3, s3, 0
	s_mul_i32 s6, s64, 12
	s_add_u32 s6, s34, s6
	s_addc_u32 s7, s35, 0
.LBB242_457:                            ; =>This Inner Loop Header: Depth=1
	s_load_dwordx2 s[10:11], s[6:7], 0x4
	s_load_dword s9, s[6:7], 0xc
	s_load_dwordx2 s[12:13], s[2:3], 0x0
	s_add_u32 s6, s6, 12
	s_addc_u32 s7, s7, 0
	s_waitcnt vmcnt(0) lgkmcnt(0)
	v_mul_hi_u32 v3, s11, v1
	s_add_u32 s2, s2, 8
	s_addc_u32 s3, s3, 0
	s_add_i32 s8, s8, -1
	v_add_u32_e32 v3, v1, v3
	v_lshrrev_b32_e32 v5, s9, v3
	v_mul_lo_u32 v3, v5, s10
	s_cmp_lg_u32 s8, 0
	v_sub_u32_e32 v3, v1, v3
	v_mad_u64_u32 v[0:1], s[10:11], v3, s12, v[0:1]
	v_mad_u64_u32 v[2:3], s[10:11], v3, s13, v[2:3]
	v_mov_b32_e32 v1, v5
	s_cbranch_scc1 .LBB242_457
.LBB242_458:
	s_cbranch_execnz .LBB242_461
.LBB242_459:
	v_mul_hi_u32 v0, s29, v8
	s_andn2_b64 vcc, exec, s[52:53]
	v_add_u32_e32 v0, v8, v0
	v_lshrrev_b32_e32 v1, s30, v0
	v_mul_lo_u32 v0, v1, s28
	v_sub_u32_e32 v2, v8, v0
	s_waitcnt lgkmcnt(0)
	v_mul_lo_u32 v0, v2, s36
	v_mul_lo_u32 v2, v2, s37
	s_cbranch_vccnz .LBB242_461
; %bb.460:
	s_waitcnt vmcnt(0)
	v_mul_hi_u32 v3, s50, v1
	v_add_u32_e32 v3, v1, v3
	v_lshrrev_b32_e32 v3, s51, v3
	v_mul_lo_u32 v3, v3, s31
	v_sub_u32_e32 v3, v1, v3
	v_mad_u64_u32 v[0:1], s[2:3], v3, s38, v[0:1]
	v_mad_u64_u32 v[2:3], s[2:3], v3, s39, v[2:3]
.LBB242_461:
	s_waitcnt vmcnt(0) lgkmcnt(0)
	v_mov_b32_e32 v3, s27
	s_and_b32 s12, 0xffff, s76
	v_add_co_u32_e32 v1, vcc, s26, v2
	s_cmp_lt_i32 s12, 11
	v_addc_co_u32_e32 v2, vcc, 0, v3, vcc
	s_cbranch_scc1 .LBB242_476
; %bb.462:
	s_cmp_gt_i32 s12, 25
	s_cbranch_scc0 .LBB242_485
; %bb.463:
	s_cmp_gt_i32 s12, 28
	s_cbranch_scc0 .LBB242_487
	;; [unrolled: 3-line block ×4, first 2 shown]
; %bb.466:
	s_cmp_eq_u32 s12, 46
	s_mov_b64 s[6:7], 0
	s_cbranch_scc0 .LBB242_497
; %bb.467:
	global_load_dword v3, v[1:2], off
	s_mov_b32 s2, 0x47800000
                                        ; implicit-def: $vgpr5
	s_waitcnt vmcnt(0)
	v_lshlrev_b32_e32 v3, 16, v3
	v_and_b32_e32 v6, 0x7fffffff, v3
	v_cmp_gt_u32_e32 vcc, s2, v6
	s_and_saveexec_b64 s[2:3], vcc
	s_xor_b64 s[2:3], exec, s[2:3]
	s_cbranch_execz .LBB242_473
; %bb.468:
	s_mov_b32 s8, 0x387fffff
	v_cmp_lt_u32_e32 vcc, s8, v6
                                        ; implicit-def: $vgpr5
	s_and_saveexec_b64 s[8:9], vcc
	s_xor_b64 s[8:9], exec, s[8:9]
; %bb.469:
	v_bfe_u32 v5, v3, 21, 1
	s_mov_b32 s10, 0x80fffff
	v_add3_u32 v5, v3, v5, s10
	v_lshrrev_b32_e32 v5, 21, v5
; %bb.470:
	s_andn2_saveexec_b64 s[8:9], s[8:9]
; %bb.471:
	s_mov_b32 s10, 0x43000000
	v_add_f32_e64 v5, |v3|, s10
; %bb.472:
	s_or_b64 exec, exec, s[8:9]
                                        ; implicit-def: $vgpr6
.LBB242_473:
	s_andn2_saveexec_b64 s[2:3], s[2:3]
; %bb.474:
	s_mov_b32 s8, 0x7f800000
	v_mov_b32_e32 v5, 0x7c
	v_mov_b32_e32 v7, 0x7f
	v_cmp_lt_u32_e32 vcc, s8, v6
	v_cndmask_b32_e32 v5, v5, v7, vcc
; %bb.475:
	s_or_b64 exec, exec, s[2:3]
	v_lshrrev_b32_e32 v3, 24, v3
	s_movk_i32 s2, 0x80
	v_and_or_b32 v3, v3, s2, v5
	s_mov_b64 s[2:3], -1
	s_mov_b64 s[8:9], 0
	s_branch .LBB242_498
.LBB242_476:
	s_mov_b64 s[2:3], 0
                                        ; implicit-def: $vgpr3
	s_mov_b64 s[8:9], s[60:61]
	s_cbranch_execnz .LBB242_747
.LBB242_477:
	s_andn2_b64 vcc, exec, s[2:3]
	s_cbranch_vccnz .LBB242_883
.LBB242_478:
	s_waitcnt vmcnt(0)
	v_lshlrev_b32_e32 v2, 25, v3
	v_lshlrev_b16_e32 v1, 8, v3
	v_lshrrev_b32_e32 v3, 4, v2
	s_movk_i32 s2, 0x7f00
	v_or_b32_e32 v3, 0x70000000, v3
	v_and_or_b32 v5, v1, s2, 0.5
	s_brev_b32 s2, 16
	v_add_f32_e32 v5, -0.5, v5
	v_mul_f32_e32 v3, 0x7800000, v3
	v_cmp_gt_u32_e32 vcc, s2, v2
	v_cndmask_b32_e32 v2, v3, v5, vcc
	v_bfe_i32 v1, v1, 0, 16
	s_brev_b32 s2, 1
	v_and_or_b32 v1, v1, s2, v2
	v_cmp_eq_f32_e32 vcc, v4, v1
	v_cndmask_b32_e64 v2, 0, 1, vcc
	v_cmp_neq_f32_e32 vcc, v4, v1
	v_cndmask_b32_e64 v1, 0, 1, vcc
	v_cndmask_b32_e64 v1, v1, v2, s[0:1]
	v_and_b32_e32 v1, 1, v1
	v_cmp_eq_u32_e64 s[2:3], 1, v1
	v_mov_b32_e32 v1, s25
	s_and_b32 s16, s75, 0xff
	v_add_co_u32_e32 v0, vcc, s24, v0
	s_cmp_lt_i32 s16, 11
	v_addc_co_u32_e32 v1, vcc, 0, v1, vcc
	s_cbranch_scc1 .LBB242_486
; %bb.479:
	s_and_b32 s17, 0xffff, s16
	s_cmp_gt_i32 s17, 25
	s_cbranch_scc0 .LBB242_488
; %bb.480:
	s_cmp_gt_i32 s17, 28
	s_cbranch_scc0 .LBB242_490
; %bb.481:
	;; [unrolled: 3-line block ×4, first 2 shown]
	s_mov_b64 s[12:13], 0
	s_mov_b64 s[6:7], -1
	s_cmp_eq_u32 s17, 46
	s_mov_b64 s[10:11], 0
	s_cbranch_scc0 .LBB242_510
; %bb.484:
	v_cndmask_b32_e64 v2, 0, 1.0, s[2:3]
	v_bfe_u32 v3, v2, 16, 1
	s_movk_i32 s6, 0x7fff
	v_add3_u32 v2, v2, v3, s6
	v_lshrrev_b32_e32 v2, 16, v2
	global_store_dword v[0:1], v2, off
	s_mov_b64 s[10:11], -1
	s_mov_b64 s[6:7], 0
	s_branch .LBB242_510
.LBB242_485:
	s_mov_b64 s[6:7], -1
	s_mov_b64 s[2:3], 0
	s_mov_b64 s[8:9], s[60:61]
                                        ; implicit-def: $vgpr3
	s_branch .LBB242_679
.LBB242_486:
	s_mov_b64 s[12:13], -1
	s_mov_b64 s[10:11], 0
	s_mov_b64 s[6:7], s[58:59]
	s_branch .LBB242_579
.LBB242_487:
	s_mov_b64 s[6:7], -1
	s_mov_b64 s[2:3], 0
                                        ; implicit-def: $vgpr3
	s_mov_b64 s[8:9], s[60:61]
	s_branch .LBB242_636
.LBB242_488:
	s_mov_b64 s[12:13], -1
	s_mov_b64 s[10:11], 0
	s_mov_b64 s[6:7], s[58:59]
	s_branch .LBB242_537
.LBB242_489:
	s_mov_b64 s[6:7], -1
	s_mov_b64 s[2:3], 0
	s_mov_b64 s[8:9], s[60:61]
                                        ; implicit-def: $vgpr3
	s_branch .LBB242_623
.LBB242_490:
	s_mov_b64 s[12:13], -1
	s_mov_b64 s[10:11], 0
	s_mov_b64 s[6:7], s[58:59]
	s_branch .LBB242_520
.LBB242_491:
	s_andn2_saveexec_b64 s[14:15], s[14:15]
	s_cbranch_execz .LBB242_84
.LBB242_492:
	v_add_f32_e32 v2, 0x46000000, v3
	v_and_b32_e32 v2, 0xff, v2
	v_cmp_ne_u32_e32 vcc, 0, v2
	s_andn2_b64 s[12:13], s[12:13], exec
	s_and_b64 s[18:19], vcc, exec
	s_or_b64 s[12:13], s[12:13], s[18:19]
	s_or_b64 exec, exec, s[14:15]
	v_mov_b32_e32 v5, 0
	s_and_saveexec_b64 s[14:15], s[12:13]
	s_cbranch_execnz .LBB242_85
	s_branch .LBB242_86
.LBB242_493:
	s_mov_b64 s[6:7], -1
	s_mov_b64 s[2:3], 0
	s_mov_b64 s[8:9], s[60:61]
                                        ; implicit-def: $vgpr3
	s_branch .LBB242_498
.LBB242_494:
	s_mov_b64 s[12:13], -1
	s_mov_b64 s[10:11], 0
	s_mov_b64 s[6:7], s[58:59]
	s_branch .LBB242_516
.LBB242_495:
	s_andn2_saveexec_b64 s[14:15], s[14:15]
	s_cbranch_execz .LBB242_97
.LBB242_496:
	v_add_f32_e32 v2, 0x42800000, v3
	v_and_b32_e32 v2, 0xff, v2
	v_cmp_ne_u32_e32 vcc, 0, v2
	s_andn2_b64 s[12:13], s[12:13], exec
	s_and_b64 s[18:19], vcc, exec
	s_or_b64 s[12:13], s[12:13], s[18:19]
	s_or_b64 exec, exec, s[14:15]
	v_mov_b32_e32 v5, 0
	s_and_saveexec_b64 s[14:15], s[12:13]
	s_cbranch_execnz .LBB242_98
	s_branch .LBB242_99
.LBB242_497:
	s_mov_b64 s[8:9], -1
                                        ; implicit-def: $vgpr3
	s_mov_b64 s[2:3], 0
.LBB242_498:
	s_and_b64 vcc, exec, s[6:7]
	s_cbranch_vccz .LBB242_622
; %bb.499:
	s_cmp_eq_u32 s12, 44
	s_cbranch_scc0 .LBB242_621
; %bb.500:
	global_load_ubyte v3, v[1:2], off
	s_movk_i32 s2, 0xff
	v_mov_b32_e32 v5, 0x7f800001
	v_mov_b32_e32 v6, 0x400000
	s_waitcnt vmcnt(0)
	v_lshlrev_b32_e32 v7, 23, v3
	v_cmp_ne_u32_e32 vcc, s2, v3
	v_cndmask_b32_e32 v5, v5, v7, vcc
	v_cmp_ne_u32_e32 vcc, 0, v3
	v_cndmask_b32_e32 v5, v6, v5, vcc
	s_mov_b32 s2, 0x47800000
	v_cmp_gt_u32_e32 vcc, s2, v5
                                        ; implicit-def: $vgpr3
	s_and_saveexec_b64 s[2:3], vcc
	s_xor_b64 s[2:3], exec, s[2:3]
	s_cbranch_execz .LBB242_506
; %bb.501:
	s_mov_b32 s6, 0x387fffff
	v_cmp_lt_u32_e32 vcc, s6, v5
                                        ; implicit-def: $vgpr3
	s_and_saveexec_b64 s[6:7], vcc
	s_xor_b64 s[6:7], exec, s[6:7]
; %bb.502:
	v_bfe_u32 v3, v5, 21, 1
	s_mov_b32 s8, 0x80fffff
	v_add3_u32 v3, v5, v3, s8
	v_lshrrev_b32_e32 v3, 21, v3
                                        ; implicit-def: $vgpr5
; %bb.503:
	s_andn2_saveexec_b64 s[6:7], s[6:7]
; %bb.504:
	v_add_f32_e32 v3, 0x43000000, v5
; %bb.505:
	s_or_b64 exec, exec, s[6:7]
                                        ; implicit-def: $vgpr5
.LBB242_506:
	s_andn2_saveexec_b64 s[2:3], s[2:3]
; %bb.507:
	s_mov_b32 s6, 0x7f800000
	v_mov_b32_e32 v3, 0x7c
	v_mov_b32_e32 v6, 0x7f
	v_cmp_lt_u32_e32 vcc, s6, v5
	v_cndmask_b32_e32 v3, v3, v6, vcc
; %bb.508:
	s_or_b64 exec, exec, s[2:3]
	s_mov_b64 s[2:3], -1
	s_mov_b64 s[8:9], 0
	s_branch .LBB242_622
.LBB242_509:
	s_mov_b64 s[12:13], -1
	s_mov_b64 s[10:11], 0
	s_mov_b64 s[6:7], s[58:59]
.LBB242_510:
	s_and_b64 vcc, exec, s[12:13]
	s_cbranch_vccz .LBB242_515
; %bb.511:
	s_cmp_eq_u32 s17, 44
	s_mov_b64 s[6:7], -1
	s_cbranch_scc0 .LBB242_515
; %bb.512:
	v_cndmask_b32_e64 v3, 0, 1.0, s[2:3]
	v_lshrrev_b32_e32 v2, 23, v3
	s_movk_i32 s6, 0xff
	v_cmp_ne_u32_e32 vcc, s6, v2
	v_mov_b32_e32 v5, 0xff
	s_and_saveexec_b64 s[10:11], vcc
; %bb.513:
	s_mov_b32 s6, 0x3fffff
	v_and_b32_e32 v5, 0x400000, v3
	v_and_or_b32 v3, v3, s6, v2
	v_cmp_ne_u32_e32 vcc, 0, v5
	v_cmp_ne_u32_e64 s[6:7], 0, v3
	s_and_b64 s[6:7], vcc, s[6:7]
	v_cndmask_b32_e64 v3, 0, 1, s[6:7]
	v_add_u32_e32 v5, v2, v3
; %bb.514:
	s_or_b64 exec, exec, s[10:11]
	s_mov_b64 s[10:11], -1
	s_mov_b64 s[6:7], 0
	global_store_byte v[0:1], v5, off
.LBB242_515:
	s_mov_b64 s[12:13], 0
.LBB242_516:
	s_and_b64 vcc, exec, s[12:13]
	s_cbranch_vccz .LBB242_519
; %bb.517:
	s_cmp_eq_u32 s17, 29
	s_mov_b64 s[6:7], -1
	s_cbranch_scc0 .LBB242_519
; %bb.518:
	s_mov_b32 s6, 0
	v_cndmask_b32_e64 v2, 0, 1, s[2:3]
	v_mov_b32_e32 v3, s6
	global_store_dwordx2 v[0:1], v[2:3], off
	s_mov_b64 s[10:11], -1
	s_mov_b64 s[6:7], 0
.LBB242_519:
	s_mov_b64 s[12:13], 0
.LBB242_520:
	s_and_b64 vcc, exec, s[12:13]
	s_cbranch_vccz .LBB242_536
; %bb.521:
	s_cmp_lt_i32 s17, 27
	s_mov_b64 s[10:11], -1
	s_cbranch_scc1 .LBB242_527
; %bb.522:
	s_cmp_gt_i32 s17, 27
	s_cbranch_scc0 .LBB242_524
; %bb.523:
	v_cndmask_b32_e64 v2, 0, 1, s[2:3]
	s_mov_b64 s[10:11], 0
	global_store_dword v[0:1], v2, off
.LBB242_524:
	s_andn2_b64 vcc, exec, s[10:11]
	s_cbranch_vccnz .LBB242_526
; %bb.525:
	v_cndmask_b32_e64 v2, 0, 1, s[2:3]
	global_store_short v[0:1], v2, off
.LBB242_526:
	s_mov_b64 s[10:11], 0
.LBB242_527:
	s_andn2_b64 vcc, exec, s[10:11]
	s_cbranch_vccnz .LBB242_535
; %bb.528:
	v_cndmask_b32_e64 v3, 0, 1.0, s[2:3]
	s_mov_b32 s10, 0x43800000
	v_cmp_gt_u32_e32 vcc, s10, v3
	v_mov_b32_e32 v5, 0x80
	s_and_saveexec_b64 s[10:11], vcc
	s_cbranch_execz .LBB242_534
; %bb.529:
	s_mov_b32 s12, 0x3bffffff
	v_cmp_lt_u32_e32 vcc, s12, v3
	s_mov_b64 s[12:13], 0
                                        ; implicit-def: $vgpr2
	s_and_saveexec_b64 s[14:15], vcc
	s_xor_b64 s[14:15], exec, s[14:15]
	s_cbranch_execz .LBB242_922
; %bb.530:
	v_bfe_u32 v2, v3, 20, 1
	s_mov_b32 s18, 0x487ffff
	v_add3_u32 v2, v3, v2, s18
	s_mov_b64 s[12:13], exec
	v_lshrrev_b32_e32 v2, 20, v2
                                        ; implicit-def: $vgpr3
	s_andn2_saveexec_b64 s[14:15], s[14:15]
	s_cbranch_execnz .LBB242_923
.LBB242_531:
	s_or_b64 exec, exec, s[14:15]
	v_mov_b32_e32 v5, 0
	s_and_saveexec_b64 s[14:15], s[12:13]
.LBB242_532:
	v_mov_b32_e32 v5, v2
.LBB242_533:
	s_or_b64 exec, exec, s[14:15]
.LBB242_534:
	s_or_b64 exec, exec, s[10:11]
	global_store_byte v[0:1], v5, off
.LBB242_535:
	s_mov_b64 s[10:11], -1
.LBB242_536:
	s_mov_b64 s[12:13], 0
.LBB242_537:
	s_and_b64 vcc, exec, s[12:13]
	s_cbranch_vccz .LBB242_578
; %bb.538:
	s_cmp_gt_i32 s17, 22
	s_mov_b64 s[12:13], -1
	s_cbranch_scc0 .LBB242_570
; %bb.539:
	s_cmp_lt_i32 s17, 24
	s_mov_b64 s[10:11], -1
	s_cbranch_scc1 .LBB242_559
; %bb.540:
	s_cmp_gt_i32 s17, 24
	s_cbranch_scc0 .LBB242_548
; %bb.541:
	v_cndmask_b32_e64 v3, 0, 1.0, s[2:3]
	s_mov_b32 s10, 0x47800000
	v_cmp_gt_u32_e32 vcc, s10, v3
	v_mov_b32_e32 v5, 0x80
	s_and_saveexec_b64 s[10:11], vcc
	s_cbranch_execz .LBB242_547
; %bb.542:
	s_mov_b32 s12, 0x37ffffff
	v_cmp_lt_u32_e32 vcc, s12, v3
	s_mov_b64 s[12:13], 0
                                        ; implicit-def: $vgpr2
	s_and_saveexec_b64 s[14:15], vcc
	s_xor_b64 s[14:15], exec, s[14:15]
	s_cbranch_execz .LBB242_925
; %bb.543:
	v_bfe_u32 v2, v3, 21, 1
	s_mov_b32 s18, 0x88fffff
	v_add3_u32 v2, v3, v2, s18
	s_mov_b64 s[12:13], exec
	v_lshrrev_b32_e32 v2, 21, v2
                                        ; implicit-def: $vgpr3
	s_andn2_saveexec_b64 s[14:15], s[14:15]
	s_cbranch_execnz .LBB242_926
.LBB242_544:
	s_or_b64 exec, exec, s[14:15]
	v_mov_b32_e32 v5, 0
	s_and_saveexec_b64 s[14:15], s[12:13]
.LBB242_545:
	v_mov_b32_e32 v5, v2
.LBB242_546:
	s_or_b64 exec, exec, s[14:15]
.LBB242_547:
	s_or_b64 exec, exec, s[10:11]
	s_mov_b64 s[10:11], 0
	global_store_byte v[0:1], v5, off
.LBB242_548:
	s_and_b64 vcc, exec, s[10:11]
	s_cbranch_vccz .LBB242_558
; %bb.549:
	v_cndmask_b32_e64 v2, 0, 1.0, s[2:3]
	s_mov_b32 s10, 0x43f00000
	v_cmp_gt_u32_e32 vcc, s10, v2
                                        ; implicit-def: $vgpr3
	s_and_saveexec_b64 s[10:11], vcc
	s_xor_b64 s[10:11], exec, s[10:11]
	s_cbranch_execz .LBB242_555
; %bb.550:
	s_mov_b32 s12, 0x3c7fffff
	v_cmp_lt_u32_e32 vcc, s12, v2
                                        ; implicit-def: $vgpr3
	s_and_saveexec_b64 s[12:13], vcc
	s_xor_b64 s[12:13], exec, s[12:13]
; %bb.551:
	v_bfe_u32 v3, v2, 20, 1
	s_mov_b32 s14, 0x407ffff
	v_add3_u32 v2, v2, v3, s14
	v_lshrrev_b32_e32 v3, 20, v2
	v_and_b32_e32 v2, 0xff00000, v2
	s_mov_b32 s14, 0x7f00000
	v_mov_b32_e32 v5, 0x7e
	v_cmp_ne_u32_e32 vcc, s14, v2
	v_cndmask_b32_e32 v3, v5, v3, vcc
                                        ; implicit-def: $vgpr2
; %bb.552:
	s_andn2_saveexec_b64 s[12:13], s[12:13]
; %bb.553:
	v_add_f32_e32 v3, 0x46800000, v2
; %bb.554:
	s_or_b64 exec, exec, s[12:13]
                                        ; implicit-def: $vgpr2
.LBB242_555:
	s_andn2_saveexec_b64 s[10:11], s[10:11]
; %bb.556:
	s_mov_b32 s12, 0x7f800000
	v_mov_b32_e32 v3, 0x7e
	v_mov_b32_e32 v5, 0x7f
	v_cmp_lt_u32_e32 vcc, s12, v2
	v_cndmask_b32_e32 v3, v3, v5, vcc
; %bb.557:
	s_or_b64 exec, exec, s[10:11]
	global_store_byte v[0:1], v3, off
.LBB242_558:
	s_mov_b64 s[10:11], 0
.LBB242_559:
	s_andn2_b64 vcc, exec, s[10:11]
	s_cbranch_vccnz .LBB242_569
; %bb.560:
	v_cndmask_b32_e64 v2, 0, 1.0, s[2:3]
	s_mov_b32 s10, 0x47800000
	v_cmp_gt_u32_e32 vcc, s10, v2
                                        ; implicit-def: $vgpr3
	s_and_saveexec_b64 s[10:11], vcc
	s_xor_b64 s[10:11], exec, s[10:11]
	s_cbranch_execz .LBB242_566
; %bb.561:
	s_mov_b32 s12, 0x387fffff
	v_cmp_lt_u32_e32 vcc, s12, v2
                                        ; implicit-def: $vgpr3
	s_and_saveexec_b64 s[12:13], vcc
	s_xor_b64 s[12:13], exec, s[12:13]
; %bb.562:
	v_bfe_u32 v3, v2, 21, 1
	s_mov_b32 s14, 0x80fffff
	v_add3_u32 v2, v2, v3, s14
	v_lshrrev_b32_e32 v3, 21, v2
                                        ; implicit-def: $vgpr2
; %bb.563:
	s_andn2_saveexec_b64 s[12:13], s[12:13]
; %bb.564:
	v_add_f32_e32 v3, 0x43000000, v2
; %bb.565:
	s_or_b64 exec, exec, s[12:13]
                                        ; implicit-def: $vgpr2
.LBB242_566:
	s_andn2_saveexec_b64 s[10:11], s[10:11]
; %bb.567:
	s_mov_b32 s12, 0x7f800000
	v_mov_b32_e32 v3, 0x7c
	v_mov_b32_e32 v5, 0x7f
	v_cmp_lt_u32_e32 vcc, s12, v2
	v_cndmask_b32_e32 v3, v3, v5, vcc
; %bb.568:
	s_or_b64 exec, exec, s[10:11]
	global_store_byte v[0:1], v3, off
.LBB242_569:
	s_mov_b64 s[12:13], 0
	s_mov_b64 s[10:11], -1
.LBB242_570:
	s_andn2_b64 vcc, exec, s[12:13]
	s_cbranch_vccnz .LBB242_578
; %bb.571:
	s_cmp_gt_i32 s17, 14
	s_mov_b64 s[12:13], -1
	s_cbranch_scc0 .LBB242_575
; %bb.572:
	s_cmp_eq_u32 s17, 15
	s_mov_b64 s[6:7], -1
	s_cbranch_scc0 .LBB242_574
; %bb.573:
	v_cndmask_b32_e64 v2, 0, 1.0, s[2:3]
	v_bfe_u32 v3, v2, 16, 1
	s_movk_i32 s6, 0x7fff
	v_add3_u32 v2, v2, v3, s6
	global_store_short_d16_hi v[0:1], v2, off
	s_mov_b64 s[10:11], -1
	s_mov_b64 s[6:7], 0
.LBB242_574:
	s_mov_b64 s[12:13], 0
.LBB242_575:
	s_and_b64 vcc, exec, s[12:13]
	s_cbranch_vccz .LBB242_578
; %bb.576:
	s_cmp_eq_u32 s17, 11
	s_mov_b64 s[6:7], -1
	s_cbranch_scc0 .LBB242_578
; %bb.577:
	v_cndmask_b32_e64 v2, 0, 1, s[2:3]
	s_mov_b64 s[10:11], -1
	s_mov_b64 s[6:7], 0
	global_store_byte v[0:1], v2, off
.LBB242_578:
	s_mov_b64 s[12:13], 0
.LBB242_579:
	s_and_b64 vcc, exec, s[12:13]
	s_cbranch_vccz .LBB242_618
; %bb.580:
	s_and_b32 s12, 0xffff, s16
	s_cmp_lt_i32 s12, 5
	s_mov_b64 s[10:11], -1
	s_cbranch_scc1 .LBB242_601
; %bb.581:
	s_cmp_lt_i32 s12, 8
	s_cbranch_scc1 .LBB242_591
; %bb.582:
	s_cmp_lt_i32 s12, 9
	s_cbranch_scc1 .LBB242_588
; %bb.583:
	s_cmp_gt_i32 s12, 9
	s_cbranch_scc0 .LBB242_585
; %bb.584:
	v_cndmask_b32_e64 v2, 0, 1, s[2:3]
	v_cvt_f64_u32_e32 v[9:10], v2
	v_mov_b32_e32 v11, 0
	v_mov_b32_e32 v12, v11
	s_mov_b64 s[10:11], 0
	global_store_dwordx4 v[0:1], v[9:12], off
.LBB242_585:
	s_andn2_b64 vcc, exec, s[10:11]
	s_cbranch_vccnz .LBB242_587
; %bb.586:
	v_cndmask_b32_e64 v2, 0, 1.0, s[2:3]
	v_mov_b32_e32 v3, 0
	global_store_dwordx2 v[0:1], v[2:3], off
.LBB242_587:
	s_mov_b64 s[10:11], 0
.LBB242_588:
	s_andn2_b64 vcc, exec, s[10:11]
	s_cbranch_vccnz .LBB242_590
; %bb.589:
	v_cndmask_b32_e64 v2, 0, 1.0, s[2:3]
	v_cvt_f16_f32_e32 v2, v2
	global_store_dword v[0:1], v2, off
.LBB242_590:
	s_mov_b64 s[10:11], 0
.LBB242_591:
	s_andn2_b64 vcc, exec, s[10:11]
	s_cbranch_vccnz .LBB242_600
; %bb.592:
	s_cmp_lt_i32 s12, 6
	s_mov_b64 s[10:11], -1
	s_cbranch_scc1 .LBB242_598
; %bb.593:
	s_cmp_gt_i32 s12, 6
	s_cbranch_scc0 .LBB242_595
; %bb.594:
	v_cndmask_b32_e64 v2, 0, 1, s[2:3]
	v_cvt_f64_u32_e32 v[2:3], v2
	s_mov_b64 s[10:11], 0
	global_store_dwordx2 v[0:1], v[2:3], off
.LBB242_595:
	s_andn2_b64 vcc, exec, s[10:11]
	s_cbranch_vccnz .LBB242_597
; %bb.596:
	v_cndmask_b32_e64 v2, 0, 1.0, s[2:3]
	global_store_dword v[0:1], v2, off
.LBB242_597:
	s_mov_b64 s[10:11], 0
.LBB242_598:
	s_andn2_b64 vcc, exec, s[10:11]
	s_cbranch_vccnz .LBB242_600
; %bb.599:
	v_cndmask_b32_e64 v2, 0, 1.0, s[2:3]
	v_cvt_f16_f32_e32 v2, v2
	global_store_short v[0:1], v2, off
.LBB242_600:
	s_mov_b64 s[10:11], 0
.LBB242_601:
	s_andn2_b64 vcc, exec, s[10:11]
	s_cbranch_vccnz .LBB242_617
; %bb.602:
	s_cmp_lt_i32 s12, 2
	s_mov_b64 s[10:11], -1
	s_cbranch_scc1 .LBB242_612
; %bb.603:
	s_cmp_lt_i32 s12, 3
	s_cbranch_scc1 .LBB242_609
; %bb.604:
	s_cmp_gt_i32 s12, 3
	s_cbranch_scc0 .LBB242_606
; %bb.605:
	s_mov_b32 s10, 0
	v_cndmask_b32_e64 v2, 0, 1, s[2:3]
	v_mov_b32_e32 v3, s10
	s_mov_b64 s[10:11], 0
	global_store_dwordx2 v[0:1], v[2:3], off
.LBB242_606:
	s_andn2_b64 vcc, exec, s[10:11]
	s_cbranch_vccnz .LBB242_608
; %bb.607:
	v_cndmask_b32_e64 v2, 0, 1, s[2:3]
	global_store_dword v[0:1], v2, off
.LBB242_608:
	s_mov_b64 s[10:11], 0
.LBB242_609:
	s_andn2_b64 vcc, exec, s[10:11]
	s_cbranch_vccnz .LBB242_611
; %bb.610:
	v_cndmask_b32_e64 v2, 0, 1, s[2:3]
	global_store_short v[0:1], v2, off
.LBB242_611:
	s_mov_b64 s[10:11], 0
.LBB242_612:
	s_andn2_b64 vcc, exec, s[10:11]
	s_cbranch_vccnz .LBB242_617
; %bb.613:
	s_mov_b64 s[10:11], -1
	s_cmp_gt_i32 s12, 0
	v_cndmask_b32_e64 v2, 0, 1, s[2:3]
	s_cbranch_scc0 .LBB242_615
; %bb.614:
	s_mov_b64 s[10:11], 0
	global_store_byte v[0:1], v2, off
.LBB242_615:
	s_andn2_b64 vcc, exec, s[10:11]
	s_cbranch_vccnz .LBB242_617
; %bb.616:
	global_store_byte v[0:1], v2, off
.LBB242_617:
	s_mov_b64 s[10:11], -1
.LBB242_618:
	s_andn2_b64 vcc, exec, s[10:11]
	s_cbranch_vccnz .LBB242_620
; %bb.619:
	v_add_u32_e32 v8, 0x80, v8
	s_mov_b64 s[2:3], -1
	s_branch .LBB242_885
.LBB242_620:
	s_mov_b64 s[2:3], 0
	s_branch .LBB242_884
.LBB242_621:
	s_mov_b64 s[8:9], -1
                                        ; implicit-def: $vgpr3
.LBB242_622:
	s_mov_b64 s[6:7], 0
.LBB242_623:
	s_and_b64 vcc, exec, s[6:7]
	s_cbranch_vccz .LBB242_635
; %bb.624:
	s_cmp_eq_u32 s12, 29
	s_cbranch_scc0 .LBB242_634
; %bb.625:
	global_load_dwordx2 v[5:6], v[1:2], off
	s_mov_b32 s2, 0x47800000
	s_waitcnt vmcnt(0)
	v_ffbh_u32_e32 v3, v6
	v_min_u32_e32 v3, 32, v3
	v_lshlrev_b64 v[5:6], v3, v[5:6]
	v_sub_u32_e32 v3, 32, v3
	v_min_u32_e32 v5, 1, v5
	v_or_b32_e32 v5, v6, v5
	v_cvt_f32_u32_e32 v5, v5
	v_ldexp_f32 v5, v5, v3
	v_cmp_gt_u32_e32 vcc, s2, v5
                                        ; implicit-def: $vgpr3
	s_and_saveexec_b64 s[2:3], vcc
	s_xor_b64 s[2:3], exec, s[2:3]
	s_cbranch_execz .LBB242_631
; %bb.626:
	s_mov_b32 s6, 0x387fffff
	v_cmp_lt_u32_e32 vcc, s6, v5
                                        ; implicit-def: $vgpr3
	s_and_saveexec_b64 s[6:7], vcc
	s_xor_b64 s[6:7], exec, s[6:7]
; %bb.627:
	v_bfe_u32 v3, v5, 21, 1
	s_mov_b32 s8, 0x80fffff
	v_add3_u32 v3, v5, v3, s8
	v_lshrrev_b32_e32 v3, 21, v3
                                        ; implicit-def: $vgpr5
; %bb.628:
	s_andn2_saveexec_b64 s[6:7], s[6:7]
; %bb.629:
	v_add_f32_e32 v3, 0x43000000, v5
; %bb.630:
	s_or_b64 exec, exec, s[6:7]
                                        ; implicit-def: $vgpr5
.LBB242_631:
	s_andn2_saveexec_b64 s[2:3], s[2:3]
; %bb.632:
	s_mov_b32 s6, 0x7f800000
	v_mov_b32_e32 v3, 0x7c
	v_mov_b32_e32 v6, 0x7f
	v_cmp_lt_u32_e32 vcc, s6, v5
	v_cndmask_b32_e32 v3, v3, v6, vcc
; %bb.633:
	s_or_b64 exec, exec, s[2:3]
	s_mov_b64 s[2:3], -1
	s_mov_b64 s[8:9], 0
	s_branch .LBB242_635
.LBB242_634:
	s_mov_b64 s[8:9], -1
                                        ; implicit-def: $vgpr3
.LBB242_635:
	s_mov_b64 s[6:7], 0
.LBB242_636:
	s_and_b64 vcc, exec, s[6:7]
	s_cbranch_vccz .LBB242_678
; %bb.637:
	s_cmp_lt_i32 s12, 27
	s_cbranch_scc1 .LBB242_648
; %bb.638:
	s_cmp_gt_i32 s12, 27
	s_cbranch_scc0 .LBB242_649
; %bb.639:
	global_load_dword v3, v[1:2], off
	s_mov_b32 s2, 0x47800000
	s_waitcnt vmcnt(0)
	v_cvt_f32_u32_e32 v5, v3
                                        ; implicit-def: $vgpr3
	v_cmp_gt_u32_e32 vcc, s2, v5
	s_and_saveexec_b64 s[2:3], vcc
	s_xor_b64 s[2:3], exec, s[2:3]
	s_cbranch_execz .LBB242_645
; %bb.640:
	s_mov_b32 s6, 0x387fffff
	v_cmp_lt_u32_e32 vcc, s6, v5
                                        ; implicit-def: $vgpr3
	s_and_saveexec_b64 s[6:7], vcc
	s_xor_b64 s[6:7], exec, s[6:7]
; %bb.641:
	v_bfe_u32 v3, v5, 21, 1
	s_mov_b32 s10, 0x80fffff
	v_add3_u32 v3, v5, v3, s10
	v_lshrrev_b32_e32 v3, 21, v3
                                        ; implicit-def: $vgpr5
; %bb.642:
	s_andn2_saveexec_b64 s[6:7], s[6:7]
; %bb.643:
	v_add_f32_e32 v3, 0x43000000, v5
; %bb.644:
	s_or_b64 exec, exec, s[6:7]
                                        ; implicit-def: $vgpr5
.LBB242_645:
	s_andn2_saveexec_b64 s[2:3], s[2:3]
; %bb.646:
	s_mov_b32 s6, 0x7f800000
	v_mov_b32_e32 v3, 0x7c
	v_mov_b32_e32 v6, 0x7f
	v_cmp_lt_u32_e32 vcc, s6, v5
	v_cndmask_b32_e32 v3, v3, v6, vcc
; %bb.647:
	s_or_b64 exec, exec, s[2:3]
	s_mov_b64 s[2:3], 0
	s_branch .LBB242_650
.LBB242_648:
	s_mov_b64 s[2:3], -1
                                        ; implicit-def: $vgpr3
	s_branch .LBB242_661
.LBB242_649:
	s_mov_b64 s[2:3], -1
                                        ; implicit-def: $vgpr3
.LBB242_650:
	s_and_b64 vcc, exec, s[2:3]
	s_cbranch_vccz .LBB242_660
; %bb.651:
	global_load_ushort v3, v[1:2], off
	s_mov_b32 s2, 0x47800000
	s_waitcnt vmcnt(0)
	v_cvt_f32_u32_e32 v5, v3
                                        ; implicit-def: $vgpr3
	v_cmp_gt_u32_e32 vcc, s2, v5
	s_and_saveexec_b64 s[2:3], vcc
	s_xor_b64 s[2:3], exec, s[2:3]
	s_cbranch_execz .LBB242_657
; %bb.652:
	s_mov_b32 s6, 0x387fffff
	v_cmp_lt_u32_e32 vcc, s6, v5
                                        ; implicit-def: $vgpr3
	s_and_saveexec_b64 s[6:7], vcc
	s_xor_b64 s[6:7], exec, s[6:7]
; %bb.653:
	v_bfe_u32 v3, v5, 21, 1
	s_mov_b32 s10, 0x80fffff
	v_add3_u32 v3, v5, v3, s10
	v_lshrrev_b32_e32 v3, 21, v3
                                        ; implicit-def: $vgpr5
; %bb.654:
	s_andn2_saveexec_b64 s[6:7], s[6:7]
; %bb.655:
	v_add_f32_e32 v3, 0x43000000, v5
; %bb.656:
	s_or_b64 exec, exec, s[6:7]
                                        ; implicit-def: $vgpr5
.LBB242_657:
	s_andn2_saveexec_b64 s[2:3], s[2:3]
; %bb.658:
	s_mov_b32 s6, 0x7f800000
	v_mov_b32_e32 v3, 0x7c
	v_mov_b32_e32 v6, 0x7f
	v_cmp_lt_u32_e32 vcc, s6, v5
	v_cndmask_b32_e32 v3, v3, v6, vcc
; %bb.659:
	s_or_b64 exec, exec, s[2:3]
.LBB242_660:
	s_mov_b64 s[2:3], 0
.LBB242_661:
	s_andn2_b64 vcc, exec, s[2:3]
	s_cbranch_vccnz .LBB242_677
; %bb.662:
	global_load_ubyte v5, v[1:2], off
	s_movk_i32 s2, 0x7f
	s_waitcnt vmcnt(0)
	v_cmp_lt_i16_e32 vcc, s2, v5
	s_mov_b64 s[2:3], 0
	s_and_saveexec_b64 s[6:7], vcc
	s_xor_b64 s[6:7], exec, s[6:7]
	s_cbranch_execz .LBB242_699
; %bb.663:
	s_movk_i32 s2, 0x80
	v_cmp_eq_u16_e32 vcc, s2, v5
	s_mov_b64 s[2:3], -1
	s_and_saveexec_b64 s[10:11], vcc
; %bb.664:
	s_xor_b64 s[2:3], exec, -1
; %bb.665:
	s_or_b64 exec, exec, s[10:11]
	s_and_b64 s[2:3], s[2:3], exec
	s_or_saveexec_b64 s[6:7], s[6:7]
	v_mov_b32_e32 v3, 0x7f800001
	s_xor_b64 exec, exec, s[6:7]
	s_cbranch_execnz .LBB242_700
.LBB242_666:
	s_or_b64 exec, exec, s[6:7]
	s_and_saveexec_b64 s[6:7], s[2:3]
	s_cbranch_execz .LBB242_668
.LBB242_667:
	v_lshlrev_b32_e32 v3, 24, v5
	v_and_b32_e32 v5, 0xffff, v5
	v_and_b32_e32 v6, 7, v5
	v_ffbh_u32_e32 v9, v6
	v_min_u32_e32 v9, 32, v9
	v_subrev_u32_e32 v10, 28, v9
	v_bfe_u32 v7, v5, 3, 4
	v_lshlrev_b32_e32 v5, v10, v5
	v_sub_u32_e32 v9, 29, v9
	v_and_b32_e32 v5, 7, v5
	v_cmp_eq_u32_e32 vcc, 0, v7
	v_cndmask_b32_e32 v7, v7, v9, vcc
	v_cndmask_b32_e32 v5, v6, v5, vcc
	v_mov_b32_e32 v6, 0x3b800000
	v_lshlrev_b32_e32 v5, 20, v5
	v_and_b32_e32 v3, 0x80000000, v3
	v_lshl_add_u32 v6, v7, 23, v6
	v_or3_b32 v3, v3, v6, v5
.LBB242_668:
	s_or_b64 exec, exec, s[6:7]
	v_and_b32_e32 v6, 0x7fffffff, v3
	s_mov_b32 s2, 0x47800000
	v_cmp_gt_u32_e32 vcc, s2, v6
                                        ; implicit-def: $vgpr5
	s_and_saveexec_b64 s[2:3], vcc
	s_xor_b64 s[2:3], exec, s[2:3]
	s_cbranch_execz .LBB242_674
; %bb.669:
	s_mov_b32 s6, 0x387fffff
	v_cmp_lt_u32_e32 vcc, s6, v6
                                        ; implicit-def: $vgpr5
	s_and_saveexec_b64 s[6:7], vcc
	s_xor_b64 s[6:7], exec, s[6:7]
; %bb.670:
	v_bfe_u32 v5, v3, 21, 1
	s_mov_b32 s10, 0x80fffff
	v_add3_u32 v5, v3, v5, s10
	v_lshrrev_b32_e32 v5, 21, v5
; %bb.671:
	s_andn2_saveexec_b64 s[6:7], s[6:7]
; %bb.672:
	s_mov_b32 s10, 0x43000000
	v_add_f32_e64 v5, |v3|, s10
; %bb.673:
	s_or_b64 exec, exec, s[6:7]
                                        ; implicit-def: $vgpr6
.LBB242_674:
	s_andn2_saveexec_b64 s[2:3], s[2:3]
; %bb.675:
	s_mov_b32 s6, 0x7f800000
	v_mov_b32_e32 v5, 0x7c
	v_mov_b32_e32 v7, 0x7f
	v_cmp_lt_u32_e32 vcc, s6, v6
	v_cndmask_b32_e32 v5, v5, v7, vcc
; %bb.676:
	s_or_b64 exec, exec, s[2:3]
	v_lshrrev_b32_e32 v3, 24, v3
	s_movk_i32 s2, 0x80
	v_and_or_b32 v3, v3, s2, v5
.LBB242_677:
	s_mov_b64 s[2:3], -1
.LBB242_678:
	s_mov_b64 s[6:7], 0
.LBB242_679:
	s_and_b64 vcc, exec, s[6:7]
	s_cbranch_vccz .LBB242_746
; %bb.680:
	s_cmp_gt_i32 s12, 22
	s_cbranch_scc0 .LBB242_698
; %bb.681:
	s_cmp_lt_i32 s12, 24
	s_cbranch_scc1 .LBB242_701
; %bb.682:
	s_cmp_gt_i32 s12, 24
	s_cbranch_scc0 .LBB242_702
; %bb.683:
	global_load_ubyte v5, v[1:2], off
	s_movk_i32 s2, 0x7f
	s_waitcnt vmcnt(0)
	v_cmp_lt_i16_e32 vcc, s2, v5
	s_mov_b64 s[2:3], 0
	s_and_saveexec_b64 s[6:7], vcc
	s_xor_b64 s[6:7], exec, s[6:7]
	s_cbranch_execz .LBB242_730
; %bb.684:
	s_movk_i32 s2, 0x80
	v_cmp_eq_u16_e32 vcc, s2, v5
	s_mov_b64 s[2:3], -1
	s_and_saveexec_b64 s[10:11], vcc
; %bb.685:
	s_xor_b64 s[2:3], exec, -1
; %bb.686:
	s_or_b64 exec, exec, s[10:11]
	s_and_b64 s[2:3], s[2:3], exec
	s_or_saveexec_b64 s[6:7], s[6:7]
	v_mov_b32_e32 v3, 0x7f800001
	s_xor_b64 exec, exec, s[6:7]
	s_cbranch_execnz .LBB242_731
.LBB242_687:
	s_or_b64 exec, exec, s[6:7]
	s_and_saveexec_b64 s[6:7], s[2:3]
	s_cbranch_execz .LBB242_689
.LBB242_688:
	v_lshlrev_b32_e32 v3, 24, v5
	v_and_b32_e32 v5, 0xffff, v5
	v_and_b32_e32 v6, 3, v5
	v_ffbh_u32_e32 v9, v6
	v_min_u32_e32 v9, 32, v9
	v_subrev_u32_e32 v10, 29, v9
	v_bfe_u32 v7, v5, 2, 5
	v_lshlrev_b32_e32 v5, v10, v5
	v_sub_u32_e32 v9, 30, v9
	v_and_b32_e32 v5, 3, v5
	v_cmp_eq_u32_e32 vcc, 0, v7
	v_cndmask_b32_e32 v7, v7, v9, vcc
	v_cndmask_b32_e32 v5, v6, v5, vcc
	v_mov_b32_e32 v6, 0x37800000
	v_lshlrev_b32_e32 v5, 21, v5
	v_and_b32_e32 v3, 0x80000000, v3
	v_lshl_add_u32 v6, v7, 23, v6
	v_or3_b32 v3, v3, v6, v5
.LBB242_689:
	s_or_b64 exec, exec, s[6:7]
	v_and_b32_e32 v6, 0x7fffffff, v3
	s_mov_b32 s2, 0x47800000
	v_cmp_gt_u32_e32 vcc, s2, v6
                                        ; implicit-def: $vgpr5
	s_and_saveexec_b64 s[2:3], vcc
	s_xor_b64 s[2:3], exec, s[2:3]
	s_cbranch_execz .LBB242_695
; %bb.690:
	s_mov_b32 s6, 0x387fffff
	v_cmp_lt_u32_e32 vcc, s6, v6
                                        ; implicit-def: $vgpr5
	s_and_saveexec_b64 s[6:7], vcc
	s_xor_b64 s[6:7], exec, s[6:7]
; %bb.691:
	v_bfe_u32 v5, v3, 21, 1
	s_mov_b32 s10, 0x80fffff
	v_add3_u32 v5, v3, v5, s10
	v_lshrrev_b32_e32 v5, 21, v5
; %bb.692:
	s_andn2_saveexec_b64 s[6:7], s[6:7]
; %bb.693:
	s_mov_b32 s10, 0x43000000
	v_add_f32_e64 v5, |v3|, s10
; %bb.694:
	s_or_b64 exec, exec, s[6:7]
                                        ; implicit-def: $vgpr6
.LBB242_695:
	s_andn2_saveexec_b64 s[2:3], s[2:3]
; %bb.696:
	s_mov_b32 s6, 0x7f800000
	v_mov_b32_e32 v5, 0x7c
	v_mov_b32_e32 v7, 0x7f
	v_cmp_lt_u32_e32 vcc, s6, v6
	v_cndmask_b32_e32 v5, v5, v7, vcc
; %bb.697:
	s_or_b64 exec, exec, s[2:3]
	v_lshrrev_b32_e32 v3, 24, v3
	s_movk_i32 s2, 0x80
	v_and_or_b32 v3, v3, s2, v5
	s_mov_b64 s[2:3], 0
	s_branch .LBB242_703
.LBB242_698:
	s_mov_b64 s[6:7], -1
                                        ; implicit-def: $vgpr3
	s_branch .LBB242_717
.LBB242_699:
	s_or_saveexec_b64 s[6:7], s[6:7]
	v_mov_b32_e32 v3, 0x7f800001
	s_xor_b64 exec, exec, s[6:7]
	s_cbranch_execz .LBB242_666
.LBB242_700:
	v_cmp_ne_u16_e32 vcc, 0, v5
	s_andn2_b64 s[2:3], s[2:3], exec
	s_and_b64 s[10:11], vcc, exec
	v_mov_b32_e32 v3, 0
	s_or_b64 s[2:3], s[2:3], s[10:11]
	s_or_b64 exec, exec, s[6:7]
	s_and_saveexec_b64 s[6:7], s[2:3]
	s_cbranch_execnz .LBB242_667
	s_branch .LBB242_668
.LBB242_701:
	s_mov_b64 s[2:3], -1
                                        ; implicit-def: $vgpr3
	s_branch .LBB242_714
.LBB242_702:
	s_mov_b64 s[2:3], -1
                                        ; implicit-def: $vgpr3
.LBB242_703:
	s_and_b64 vcc, exec, s[2:3]
	s_cbranch_vccz .LBB242_713
; %bb.704:
	global_load_ubyte v3, v[1:2], off
	s_mov_b32 s2, 0x7f800000
	s_brev_b32 s3, 1
	s_waitcnt vmcnt(0)
	v_lshlrev_b32_e32 v3, 24, v3
	v_and_b32_e32 v5, 0x7f000000, v3
	v_ffbh_u32_e32 v6, v5
	v_min_u32_e32 v6, 32, v6
	v_sub_u32_e64 v6, v6, 4 clamp
	v_lshlrev_b32_e32 v9, v6, v5
	v_lshlrev_b32_e32 v6, 23, v6
	v_lshrrev_b32_e32 v9, 4, v9
	v_add_u32_e32 v7, 0x1000000, v5
	v_sub_u32_e32 v6, v9, v6
	v_ashrrev_i32_e32 v7, 8, v7
	v_add_u32_e32 v6, 0x3c000000, v6
	v_and_or_b32 v6, v7, s2, v6
	v_cmp_ne_u32_e32 vcc, 0, v5
	v_cndmask_b32_e32 v7, 0, v6, vcc
	v_and_or_b32 v3, v3, s3, v7
	v_and_b32_e32 v6, 0x7fffffff, v3
	s_mov_b32 s2, 0x47800000
	v_cmp_gt_u32_e32 vcc, s2, v6
                                        ; implicit-def: $vgpr5
	s_and_saveexec_b64 s[2:3], vcc
	s_xor_b64 s[2:3], exec, s[2:3]
	s_cbranch_execz .LBB242_710
; %bb.705:
	s_mov_b32 s6, 0x387fffff
	v_cmp_lt_u32_e32 vcc, s6, v6
                                        ; implicit-def: $vgpr5
	s_and_saveexec_b64 s[6:7], vcc
	s_xor_b64 s[6:7], exec, s[6:7]
; %bb.706:
	v_bfe_u32 v5, v7, 21, 1
	s_mov_b32 s10, 0x80fffff
	v_add3_u32 v5, v3, v5, s10
	v_lshrrev_b32_e32 v5, 21, v5
; %bb.707:
	s_andn2_saveexec_b64 s[6:7], s[6:7]
; %bb.708:
	s_mov_b32 s10, 0x43000000
	v_add_f32_e64 v5, |v3|, s10
; %bb.709:
	s_or_b64 exec, exec, s[6:7]
                                        ; implicit-def: $vgpr6
.LBB242_710:
	s_andn2_saveexec_b64 s[2:3], s[2:3]
; %bb.711:
	s_mov_b32 s6, 0x7f800000
	v_mov_b32_e32 v5, 0x7c
	v_mov_b32_e32 v7, 0x7f
	v_cmp_lt_u32_e32 vcc, s6, v6
	v_cndmask_b32_e32 v5, v5, v7, vcc
; %bb.712:
	s_or_b64 exec, exec, s[2:3]
	v_lshrrev_b32_e32 v3, 24, v3
	s_movk_i32 s2, 0x80
	v_and_or_b32 v3, v3, s2, v5
.LBB242_713:
	s_mov_b64 s[2:3], 0
.LBB242_714:
	s_andn2_b64 vcc, exec, s[2:3]
	s_cbranch_vccnz .LBB242_716
; %bb.715:
	global_load_ubyte v3, v[1:2], off
.LBB242_716:
	s_mov_b64 s[6:7], 0
	s_mov_b64 s[2:3], -1
.LBB242_717:
	s_andn2_b64 vcc, exec, s[6:7]
	s_cbranch_vccnz .LBB242_746
; %bb.718:
	s_cmp_gt_i32 s12, 14
	s_cbranch_scc0 .LBB242_729
; %bb.719:
	s_cmp_eq_u32 s12, 15
	s_cbranch_scc0 .LBB242_732
; %bb.720:
	global_load_ushort v3, v[1:2], off
	s_mov_b32 s2, 0x47800000
                                        ; implicit-def: $vgpr5
	s_waitcnt vmcnt(0)
	v_lshlrev_b32_e32 v6, 16, v3
	v_and_b32_e32 v7, 0x7fffffff, v6
	v_cmp_gt_u32_e32 vcc, s2, v7
	s_and_saveexec_b64 s[2:3], vcc
	s_xor_b64 s[2:3], exec, s[2:3]
	s_cbranch_execz .LBB242_726
; %bb.721:
	s_mov_b32 s6, 0x387fffff
	v_cmp_lt_u32_e32 vcc, s6, v7
                                        ; implicit-def: $vgpr5
	s_and_saveexec_b64 s[6:7], vcc
	s_xor_b64 s[6:7], exec, s[6:7]
; %bb.722:
	v_bfe_u32 v5, v3, 5, 1
	s_mov_b32 s8, 0x80fffff
	v_add3_u32 v5, v6, v5, s8
	v_lshrrev_b32_e32 v5, 21, v5
                                        ; implicit-def: $vgpr6
; %bb.723:
	s_andn2_saveexec_b64 s[6:7], s[6:7]
; %bb.724:
	s_mov_b32 s8, 0x43000000
	v_add_f32_e64 v5, |v6|, s8
; %bb.725:
	s_or_b64 exec, exec, s[6:7]
                                        ; implicit-def: $vgpr7
.LBB242_726:
	s_andn2_saveexec_b64 s[2:3], s[2:3]
; %bb.727:
	s_mov_b32 s6, 0x7f800000
	v_mov_b32_e32 v5, 0x7c
	v_mov_b32_e32 v6, 0x7f
	v_cmp_lt_u32_e32 vcc, s6, v7
	v_cndmask_b32_e32 v5, v5, v6, vcc
; %bb.728:
	s_or_b64 exec, exec, s[2:3]
	v_lshrrev_b32_e32 v3, 8, v3
	s_movk_i32 s2, 0x80
	v_and_or_b32 v3, v3, s2, v5
	s_mov_b64 s[2:3], -1
	s_mov_b64 s[8:9], 0
	s_branch .LBB242_733
.LBB242_729:
	s_mov_b64 s[6:7], -1
                                        ; implicit-def: $vgpr3
	s_branch .LBB242_734
.LBB242_730:
	s_or_saveexec_b64 s[6:7], s[6:7]
	v_mov_b32_e32 v3, 0x7f800001
	s_xor_b64 exec, exec, s[6:7]
	s_cbranch_execz .LBB242_687
.LBB242_731:
	v_cmp_ne_u16_e32 vcc, 0, v5
	s_andn2_b64 s[2:3], s[2:3], exec
	s_and_b64 s[10:11], vcc, exec
	v_mov_b32_e32 v3, 0
	s_or_b64 s[2:3], s[2:3], s[10:11]
	s_or_b64 exec, exec, s[6:7]
	s_and_saveexec_b64 s[6:7], s[2:3]
	s_cbranch_execnz .LBB242_688
	s_branch .LBB242_689
.LBB242_732:
	s_mov_b64 s[8:9], -1
                                        ; implicit-def: $vgpr3
.LBB242_733:
	s_mov_b64 s[6:7], 0
.LBB242_734:
	s_and_b64 vcc, exec, s[6:7]
	s_cbranch_vccz .LBB242_746
; %bb.735:
	s_cmp_eq_u32 s12, 11
	s_cbranch_scc0 .LBB242_745
; %bb.736:
	global_load_ubyte v3, v[1:2], off
	s_mov_b32 s2, 0x47800000
	s_waitcnt vmcnt(0)
	v_cmp_ne_u16_e32 vcc, 0, v3
	v_cndmask_b32_e64 v5, 0, 1.0, vcc
	v_cmp_gt_u32_e32 vcc, s2, v5
                                        ; implicit-def: $vgpr3
	s_and_saveexec_b64 s[2:3], vcc
	s_xor_b64 s[2:3], exec, s[2:3]
	s_cbranch_execz .LBB242_742
; %bb.737:
	s_mov_b32 s6, 0x387fffff
	v_cmp_lt_u32_e32 vcc, s6, v5
                                        ; implicit-def: $vgpr3
	s_and_saveexec_b64 s[6:7], vcc
	s_xor_b64 s[6:7], exec, s[6:7]
; %bb.738:
	v_bfe_u32 v3, v5, 21, 1
	s_mov_b32 s8, 0x80fffff
	v_add3_u32 v3, v5, v3, s8
	v_lshrrev_b32_e32 v3, 21, v3
                                        ; implicit-def: $vgpr5
; %bb.739:
	s_andn2_saveexec_b64 s[6:7], s[6:7]
; %bb.740:
	v_add_f32_e32 v3, 0x43000000, v5
; %bb.741:
	s_or_b64 exec, exec, s[6:7]
                                        ; implicit-def: $vgpr5
.LBB242_742:
	s_andn2_saveexec_b64 s[2:3], s[2:3]
; %bb.743:
	s_mov_b32 s6, 0x7f800000
	v_mov_b32_e32 v3, 0x7c
	v_mov_b32_e32 v6, 0x7f
	v_cmp_lt_u32_e32 vcc, s6, v5
	v_cndmask_b32_e32 v3, v3, v6, vcc
; %bb.744:
	s_or_b64 exec, exec, s[2:3]
	s_mov_b64 s[2:3], -1
	s_mov_b64 s[8:9], 0
	s_branch .LBB242_746
.LBB242_745:
	s_mov_b64 s[8:9], -1
                                        ; implicit-def: $vgpr3
.LBB242_746:
	s_branch .LBB242_477
.LBB242_747:
	s_cmp_lt_i32 s12, 5
	s_cbranch_scc1 .LBB242_760
; %bb.748:
	s_cmp_lt_i32 s12, 8
	s_cbranch_scc1 .LBB242_761
; %bb.749:
	s_cmp_lt_i32 s12, 9
	s_cbranch_scc1 .LBB242_762
; %bb.750:
	s_cmp_gt_i32 s12, 9
	s_cbranch_scc0 .LBB242_763
; %bb.751:
	global_load_dwordx2 v[5:6], v[1:2], off
	s_mov_b32 s2, 0x47800000
	s_waitcnt vmcnt(0)
	v_cvt_f32_f64_e32 v3, v[5:6]
                                        ; implicit-def: $vgpr5
	v_and_b32_e32 v6, 0x7fffffff, v3
	v_cmp_gt_u32_e32 vcc, s2, v6
	s_and_saveexec_b64 s[2:3], vcc
	s_xor_b64 s[2:3], exec, s[2:3]
	s_cbranch_execz .LBB242_757
; %bb.752:
	s_mov_b32 s6, 0x387fffff
	v_cmp_lt_u32_e32 vcc, s6, v6
                                        ; implicit-def: $vgpr5
	s_and_saveexec_b64 s[6:7], vcc
	s_xor_b64 s[6:7], exec, s[6:7]
; %bb.753:
	v_bfe_u32 v5, v3, 21, 1
	s_mov_b32 s10, 0x80fffff
	v_add3_u32 v5, v3, v5, s10
	v_lshrrev_b32_e32 v5, 21, v5
; %bb.754:
	s_andn2_saveexec_b64 s[6:7], s[6:7]
; %bb.755:
	s_mov_b32 s10, 0x43000000
	v_add_f32_e64 v5, |v3|, s10
; %bb.756:
	s_or_b64 exec, exec, s[6:7]
                                        ; implicit-def: $vgpr6
.LBB242_757:
	s_andn2_saveexec_b64 s[2:3], s[2:3]
; %bb.758:
	s_mov_b32 s6, 0x7f800000
	v_mov_b32_e32 v5, 0x7c
	v_mov_b32_e32 v7, 0x7f
	v_cmp_lt_u32_e32 vcc, s6, v6
	v_cndmask_b32_e32 v5, v5, v7, vcc
; %bb.759:
	s_or_b64 exec, exec, s[2:3]
	v_lshrrev_b32_e32 v3, 24, v3
	s_movk_i32 s2, 0x80
	v_and_or_b32 v3, v3, s2, v5
	s_mov_b64 s[2:3], 0
	s_branch .LBB242_764
.LBB242_760:
	s_mov_b64 s[2:3], -1
                                        ; implicit-def: $vgpr3
	s_branch .LBB242_822
.LBB242_761:
	s_mov_b64 s[2:3], -1
                                        ; implicit-def: $vgpr3
	s_branch .LBB242_786
.LBB242_762:
	s_mov_b64 s[2:3], -1
                                        ; implicit-def: $vgpr3
	s_branch .LBB242_775
.LBB242_763:
	s_mov_b64 s[2:3], -1
                                        ; implicit-def: $vgpr3
.LBB242_764:
	s_and_b64 vcc, exec, s[2:3]
	s_cbranch_vccz .LBB242_774
; %bb.765:
	global_load_dword v3, v[1:2], off
	s_mov_b32 s2, 0x47800000
                                        ; implicit-def: $vgpr5
	s_waitcnt vmcnt(0)
	v_and_b32_e32 v6, 0x7fffffff, v3
	v_cmp_gt_u32_e32 vcc, s2, v6
	s_and_saveexec_b64 s[2:3], vcc
	s_xor_b64 s[2:3], exec, s[2:3]
	s_cbranch_execz .LBB242_771
; %bb.766:
	s_mov_b32 s6, 0x387fffff
	v_cmp_lt_u32_e32 vcc, s6, v6
                                        ; implicit-def: $vgpr5
	s_and_saveexec_b64 s[6:7], vcc
	s_xor_b64 s[6:7], exec, s[6:7]
; %bb.767:
	v_bfe_u32 v5, v3, 21, 1
	s_mov_b32 s10, 0x80fffff
	v_add3_u32 v5, v3, v5, s10
	v_lshrrev_b32_e32 v5, 21, v5
; %bb.768:
	s_andn2_saveexec_b64 s[6:7], s[6:7]
; %bb.769:
	s_mov_b32 s10, 0x43000000
	v_add_f32_e64 v5, |v3|, s10
; %bb.770:
	s_or_b64 exec, exec, s[6:7]
                                        ; implicit-def: $vgpr6
.LBB242_771:
	s_andn2_saveexec_b64 s[2:3], s[2:3]
; %bb.772:
	s_mov_b32 s6, 0x7f800000
	v_mov_b32_e32 v5, 0x7c
	v_mov_b32_e32 v7, 0x7f
	v_cmp_lt_u32_e32 vcc, s6, v6
	v_cndmask_b32_e32 v5, v5, v7, vcc
; %bb.773:
	s_or_b64 exec, exec, s[2:3]
	v_lshrrev_b32_e32 v3, 24, v3
	s_movk_i32 s2, 0x80
	v_and_or_b32 v3, v3, s2, v5
.LBB242_774:
	s_mov_b64 s[2:3], 0
.LBB242_775:
	s_andn2_b64 vcc, exec, s[2:3]
	s_cbranch_vccnz .LBB242_785
; %bb.776:
	global_load_dword v3, v[1:2], off
	s_mov_b32 s2, 0x47800000
                                        ; implicit-def: $vgpr5
	s_waitcnt vmcnt(0)
	v_cvt_f32_f16_e32 v3, v3
	v_and_b32_e32 v6, 0x7fffffff, v3
	v_cmp_gt_u32_e32 vcc, s2, v6
	s_and_saveexec_b64 s[2:3], vcc
	s_xor_b64 s[2:3], exec, s[2:3]
	s_cbranch_execz .LBB242_782
; %bb.777:
	s_mov_b32 s6, 0x387fffff
	v_cmp_lt_u32_e32 vcc, s6, v6
                                        ; implicit-def: $vgpr5
	s_and_saveexec_b64 s[6:7], vcc
	s_xor_b64 s[6:7], exec, s[6:7]
; %bb.778:
	v_bfe_u32 v5, v3, 21, 1
	s_mov_b32 s10, 0x80fffff
	v_add3_u32 v5, v3, v5, s10
	v_lshrrev_b32_e32 v5, 21, v5
; %bb.779:
	s_andn2_saveexec_b64 s[6:7], s[6:7]
; %bb.780:
	s_mov_b32 s10, 0x43000000
	v_add_f32_e64 v5, |v3|, s10
; %bb.781:
	s_or_b64 exec, exec, s[6:7]
                                        ; implicit-def: $vgpr6
.LBB242_782:
	s_andn2_saveexec_b64 s[2:3], s[2:3]
; %bb.783:
	s_mov_b32 s6, 0x7f800000
	v_mov_b32_e32 v5, 0x7c
	v_mov_b32_e32 v7, 0x7f
	v_cmp_lt_u32_e32 vcc, s6, v6
	v_cndmask_b32_e32 v5, v5, v7, vcc
; %bb.784:
	s_or_b64 exec, exec, s[2:3]
	v_lshrrev_b32_e32 v3, 24, v3
	s_movk_i32 s2, 0x80
	v_and_or_b32 v3, v3, s2, v5
.LBB242_785:
	s_mov_b64 s[2:3], 0
.LBB242_786:
	s_andn2_b64 vcc, exec, s[2:3]
	s_cbranch_vccnz .LBB242_821
; %bb.787:
	s_cmp_lt_i32 s12, 6
	s_cbranch_scc1 .LBB242_798
; %bb.788:
	s_cmp_gt_i32 s12, 6
	s_cbranch_scc0 .LBB242_799
; %bb.789:
	global_load_dwordx2 v[5:6], v[1:2], off
	s_mov_b32 s2, 0x47800000
	s_waitcnt vmcnt(0)
	v_cvt_f32_f64_e32 v3, v[5:6]
                                        ; implicit-def: $vgpr5
	v_and_b32_e32 v6, 0x7fffffff, v3
	v_cmp_gt_u32_e32 vcc, s2, v6
	s_and_saveexec_b64 s[2:3], vcc
	s_xor_b64 s[2:3], exec, s[2:3]
	s_cbranch_execz .LBB242_795
; %bb.790:
	s_mov_b32 s6, 0x387fffff
	v_cmp_lt_u32_e32 vcc, s6, v6
                                        ; implicit-def: $vgpr5
	s_and_saveexec_b64 s[6:7], vcc
	s_xor_b64 s[6:7], exec, s[6:7]
; %bb.791:
	v_bfe_u32 v5, v3, 21, 1
	s_mov_b32 s10, 0x80fffff
	v_add3_u32 v5, v3, v5, s10
	v_lshrrev_b32_e32 v5, 21, v5
; %bb.792:
	s_andn2_saveexec_b64 s[6:7], s[6:7]
; %bb.793:
	s_mov_b32 s10, 0x43000000
	v_add_f32_e64 v5, |v3|, s10
; %bb.794:
	s_or_b64 exec, exec, s[6:7]
                                        ; implicit-def: $vgpr6
.LBB242_795:
	s_andn2_saveexec_b64 s[2:3], s[2:3]
; %bb.796:
	s_mov_b32 s6, 0x7f800000
	v_mov_b32_e32 v5, 0x7c
	v_mov_b32_e32 v7, 0x7f
	v_cmp_lt_u32_e32 vcc, s6, v6
	v_cndmask_b32_e32 v5, v5, v7, vcc
; %bb.797:
	s_or_b64 exec, exec, s[2:3]
	v_lshrrev_b32_e32 v3, 24, v3
	s_movk_i32 s2, 0x80
	v_and_or_b32 v3, v3, s2, v5
	s_mov_b64 s[2:3], 0
	s_branch .LBB242_800
.LBB242_798:
	s_mov_b64 s[2:3], -1
                                        ; implicit-def: $vgpr3
	s_branch .LBB242_811
.LBB242_799:
	s_mov_b64 s[2:3], -1
                                        ; implicit-def: $vgpr3
.LBB242_800:
	s_and_b64 vcc, exec, s[2:3]
	s_cbranch_vccz .LBB242_810
; %bb.801:
	global_load_dword v3, v[1:2], off
	s_mov_b32 s2, 0x47800000
                                        ; implicit-def: $vgpr5
	s_waitcnt vmcnt(0)
	v_and_b32_e32 v6, 0x7fffffff, v3
	v_cmp_gt_u32_e32 vcc, s2, v6
	s_and_saveexec_b64 s[2:3], vcc
	s_xor_b64 s[2:3], exec, s[2:3]
	s_cbranch_execz .LBB242_807
; %bb.802:
	s_mov_b32 s6, 0x387fffff
	v_cmp_lt_u32_e32 vcc, s6, v6
                                        ; implicit-def: $vgpr5
	s_and_saveexec_b64 s[6:7], vcc
	s_xor_b64 s[6:7], exec, s[6:7]
; %bb.803:
	v_bfe_u32 v5, v3, 21, 1
	s_mov_b32 s10, 0x80fffff
	v_add3_u32 v5, v3, v5, s10
	v_lshrrev_b32_e32 v5, 21, v5
; %bb.804:
	s_andn2_saveexec_b64 s[6:7], s[6:7]
; %bb.805:
	s_mov_b32 s10, 0x43000000
	v_add_f32_e64 v5, |v3|, s10
; %bb.806:
	s_or_b64 exec, exec, s[6:7]
                                        ; implicit-def: $vgpr6
.LBB242_807:
	s_andn2_saveexec_b64 s[2:3], s[2:3]
; %bb.808:
	s_mov_b32 s6, 0x7f800000
	v_mov_b32_e32 v5, 0x7c
	v_mov_b32_e32 v7, 0x7f
	v_cmp_lt_u32_e32 vcc, s6, v6
	v_cndmask_b32_e32 v5, v5, v7, vcc
; %bb.809:
	s_or_b64 exec, exec, s[2:3]
	v_lshrrev_b32_e32 v3, 24, v3
	s_movk_i32 s2, 0x80
	v_and_or_b32 v3, v3, s2, v5
.LBB242_810:
	s_mov_b64 s[2:3], 0
.LBB242_811:
	s_andn2_b64 vcc, exec, s[2:3]
	s_cbranch_vccnz .LBB242_821
; %bb.812:
	global_load_ushort v3, v[1:2], off
	s_mov_b32 s2, 0x47800000
                                        ; implicit-def: $vgpr5
	s_waitcnt vmcnt(0)
	v_cvt_f32_f16_e32 v3, v3
	v_and_b32_e32 v6, 0x7fffffff, v3
	v_cmp_gt_u32_e32 vcc, s2, v6
	s_and_saveexec_b64 s[2:3], vcc
	s_xor_b64 s[2:3], exec, s[2:3]
	s_cbranch_execz .LBB242_818
; %bb.813:
	s_mov_b32 s6, 0x387fffff
	v_cmp_lt_u32_e32 vcc, s6, v6
                                        ; implicit-def: $vgpr5
	s_and_saveexec_b64 s[6:7], vcc
	s_xor_b64 s[6:7], exec, s[6:7]
; %bb.814:
	v_bfe_u32 v5, v3, 21, 1
	s_mov_b32 s10, 0x80fffff
	v_add3_u32 v5, v3, v5, s10
	v_lshrrev_b32_e32 v5, 21, v5
; %bb.815:
	s_andn2_saveexec_b64 s[6:7], s[6:7]
; %bb.816:
	s_mov_b32 s10, 0x43000000
	v_add_f32_e64 v5, |v3|, s10
; %bb.817:
	s_or_b64 exec, exec, s[6:7]
                                        ; implicit-def: $vgpr6
.LBB242_818:
	s_andn2_saveexec_b64 s[2:3], s[2:3]
; %bb.819:
	s_mov_b32 s6, 0x7f800000
	v_mov_b32_e32 v5, 0x7c
	v_mov_b32_e32 v7, 0x7f
	v_cmp_lt_u32_e32 vcc, s6, v6
	v_cndmask_b32_e32 v5, v5, v7, vcc
; %bb.820:
	s_or_b64 exec, exec, s[2:3]
	v_lshrrev_b32_e32 v3, 24, v3
	s_movk_i32 s2, 0x80
	v_and_or_b32 v3, v3, s2, v5
.LBB242_821:
	s_mov_b64 s[2:3], 0
.LBB242_822:
	s_andn2_b64 vcc, exec, s[2:3]
	s_cbranch_vccnz .LBB242_882
; %bb.823:
	s_cmp_lt_i32 s12, 2
	s_cbranch_scc1 .LBB242_835
; %bb.824:
	s_cmp_lt_i32 s12, 3
	s_cbranch_scc1 .LBB242_836
; %bb.825:
	s_cmp_gt_i32 s12, 3
	s_cbranch_scc0 .LBB242_837
; %bb.826:
	global_load_dwordx2 v[5:6], v[1:2], off
	s_mov_b32 s2, 0x47800000
	s_waitcnt vmcnt(0)
	v_xor_b32_e32 v7, v5, v6
	v_ffbh_i32_e32 v3, v6
	v_ashrrev_i32_e32 v7, 31, v7
	v_add_u32_e32 v3, -1, v3
	v_add_u32_e32 v7, 32, v7
	v_min_u32_e32 v3, v3, v7
	v_lshlrev_b64 v[5:6], v3, v[5:6]
	v_sub_u32_e32 v3, 32, v3
	v_min_u32_e32 v5, 1, v5
	v_or_b32_e32 v5, v6, v5
	v_cvt_f32_i32_e32 v5, v5
	v_ldexp_f32 v3, v5, v3
	v_and_b32_e32 v6, 0x7fffffff, v3
	v_cmp_gt_u32_e32 vcc, s2, v6
                                        ; implicit-def: $vgpr5
	s_and_saveexec_b64 s[2:3], vcc
	s_xor_b64 s[2:3], exec, s[2:3]
	s_cbranch_execz .LBB242_832
; %bb.827:
	s_mov_b32 s6, 0x387fffff
	v_cmp_lt_u32_e32 vcc, s6, v6
                                        ; implicit-def: $vgpr5
	s_and_saveexec_b64 s[6:7], vcc
	s_xor_b64 s[6:7], exec, s[6:7]
; %bb.828:
	v_bfe_u32 v5, v3, 21, 1
	s_mov_b32 s10, 0x80fffff
	v_add3_u32 v5, v3, v5, s10
	v_lshrrev_b32_e32 v5, 21, v5
; %bb.829:
	s_andn2_saveexec_b64 s[6:7], s[6:7]
; %bb.830:
	s_mov_b32 s10, 0x43000000
	v_add_f32_e64 v5, |v3|, s10
; %bb.831:
	s_or_b64 exec, exec, s[6:7]
                                        ; implicit-def: $vgpr6
.LBB242_832:
	s_andn2_saveexec_b64 s[2:3], s[2:3]
; %bb.833:
	s_mov_b32 s6, 0x7f800000
	v_mov_b32_e32 v5, 0x7c
	v_mov_b32_e32 v7, 0x7f
	v_cmp_lt_u32_e32 vcc, s6, v6
	v_cndmask_b32_e32 v5, v5, v7, vcc
; %bb.834:
	s_or_b64 exec, exec, s[2:3]
	v_lshrrev_b32_e32 v3, 24, v3
	s_movk_i32 s2, 0x80
	v_and_or_b32 v3, v3, s2, v5
	s_mov_b64 s[2:3], 0
	s_branch .LBB242_838
.LBB242_835:
	s_mov_b64 s[2:3], -1
                                        ; implicit-def: $vgpr3
	s_branch .LBB242_860
.LBB242_836:
	s_mov_b64 s[2:3], -1
                                        ; implicit-def: $vgpr3
	s_branch .LBB242_849
.LBB242_837:
	s_mov_b64 s[2:3], -1
                                        ; implicit-def: $vgpr3
.LBB242_838:
	s_and_b64 vcc, exec, s[2:3]
	s_cbranch_vccz .LBB242_848
; %bb.839:
	global_load_dword v3, v[1:2], off
	s_mov_b32 s2, 0x47800000
                                        ; implicit-def: $vgpr5
	s_waitcnt vmcnt(0)
	v_cvt_f32_i32_e32 v3, v3
	v_and_b32_e32 v6, 0x7fffffff, v3
	v_cmp_gt_u32_e32 vcc, s2, v6
	s_and_saveexec_b64 s[2:3], vcc
	s_xor_b64 s[2:3], exec, s[2:3]
	s_cbranch_execz .LBB242_845
; %bb.840:
	s_mov_b32 s6, 0x387fffff
	v_cmp_lt_u32_e32 vcc, s6, v6
                                        ; implicit-def: $vgpr5
	s_and_saveexec_b64 s[6:7], vcc
	s_xor_b64 s[6:7], exec, s[6:7]
; %bb.841:
	v_bfe_u32 v5, v3, 21, 1
	s_mov_b32 s10, 0x80fffff
	v_add3_u32 v5, v3, v5, s10
	v_lshrrev_b32_e32 v5, 21, v5
; %bb.842:
	s_andn2_saveexec_b64 s[6:7], s[6:7]
; %bb.843:
	s_mov_b32 s10, 0x43000000
	v_add_f32_e64 v5, |v3|, s10
; %bb.844:
	s_or_b64 exec, exec, s[6:7]
                                        ; implicit-def: $vgpr6
.LBB242_845:
	s_andn2_saveexec_b64 s[2:3], s[2:3]
; %bb.846:
	s_mov_b32 s6, 0x7f800000
	v_mov_b32_e32 v5, 0x7c
	v_mov_b32_e32 v7, 0x7f
	v_cmp_lt_u32_e32 vcc, s6, v6
	v_cndmask_b32_e32 v5, v5, v7, vcc
; %bb.847:
	s_or_b64 exec, exec, s[2:3]
	v_lshrrev_b32_e32 v3, 24, v3
	s_movk_i32 s2, 0x80
	v_and_or_b32 v3, v3, s2, v5
.LBB242_848:
	s_mov_b64 s[2:3], 0
.LBB242_849:
	s_andn2_b64 vcc, exec, s[2:3]
	s_cbranch_vccnz .LBB242_859
; %bb.850:
	global_load_sshort v3, v[1:2], off
	s_mov_b32 s2, 0x47800000
                                        ; implicit-def: $vgpr5
	s_waitcnt vmcnt(0)
	v_cvt_f32_i32_e32 v3, v3
	v_and_b32_e32 v6, 0x7fffffff, v3
	v_cmp_gt_u32_e32 vcc, s2, v6
	s_and_saveexec_b64 s[2:3], vcc
	s_xor_b64 s[2:3], exec, s[2:3]
	s_cbranch_execz .LBB242_856
; %bb.851:
	s_mov_b32 s6, 0x387fffff
	v_cmp_lt_u32_e32 vcc, s6, v6
                                        ; implicit-def: $vgpr5
	s_and_saveexec_b64 s[6:7], vcc
	s_xor_b64 s[6:7], exec, s[6:7]
; %bb.852:
	v_bfe_u32 v5, v3, 21, 1
	s_mov_b32 s10, 0x80fffff
	v_add3_u32 v5, v3, v5, s10
	v_lshrrev_b32_e32 v5, 21, v5
; %bb.853:
	s_andn2_saveexec_b64 s[6:7], s[6:7]
; %bb.854:
	s_mov_b32 s10, 0x43000000
	v_add_f32_e64 v5, |v3|, s10
; %bb.855:
	s_or_b64 exec, exec, s[6:7]
                                        ; implicit-def: $vgpr6
.LBB242_856:
	s_andn2_saveexec_b64 s[2:3], s[2:3]
; %bb.857:
	s_mov_b32 s6, 0x7f800000
	v_mov_b32_e32 v5, 0x7c
	v_mov_b32_e32 v7, 0x7f
	v_cmp_lt_u32_e32 vcc, s6, v6
	v_cndmask_b32_e32 v5, v5, v7, vcc
; %bb.858:
	s_or_b64 exec, exec, s[2:3]
	v_lshrrev_b32_e32 v3, 24, v3
	s_movk_i32 s2, 0x80
	v_and_or_b32 v3, v3, s2, v5
.LBB242_859:
	s_mov_b64 s[2:3], 0
.LBB242_860:
	s_andn2_b64 vcc, exec, s[2:3]
	s_cbranch_vccnz .LBB242_882
; %bb.861:
	s_cmp_gt_i32 s12, 0
	s_cbranch_scc0 .LBB242_871
; %bb.862:
	global_load_sbyte v3, v[1:2], off
	s_mov_b32 s2, 0x47800000
                                        ; implicit-def: $vgpr5
	s_waitcnt vmcnt(0)
	v_cvt_f32_i32_e32 v3, v3
	v_and_b32_e32 v6, 0x7fffffff, v3
	v_cmp_gt_u32_e32 vcc, s2, v6
	s_and_saveexec_b64 s[2:3], vcc
	s_xor_b64 s[2:3], exec, s[2:3]
	s_cbranch_execz .LBB242_868
; %bb.863:
	s_mov_b32 s6, 0x387fffff
	v_cmp_lt_u32_e32 vcc, s6, v6
                                        ; implicit-def: $vgpr5
	s_and_saveexec_b64 s[6:7], vcc
	s_xor_b64 s[6:7], exec, s[6:7]
; %bb.864:
	v_bfe_u32 v5, v3, 21, 1
	s_mov_b32 s10, 0x80fffff
	v_add3_u32 v5, v3, v5, s10
	v_lshrrev_b32_e32 v5, 21, v5
; %bb.865:
	s_andn2_saveexec_b64 s[6:7], s[6:7]
; %bb.866:
	s_mov_b32 s10, 0x43000000
	v_add_f32_e64 v5, |v3|, s10
; %bb.867:
	s_or_b64 exec, exec, s[6:7]
                                        ; implicit-def: $vgpr6
.LBB242_868:
	s_andn2_saveexec_b64 s[2:3], s[2:3]
; %bb.869:
	s_mov_b32 s6, 0x7f800000
	v_mov_b32_e32 v5, 0x7c
	v_mov_b32_e32 v7, 0x7f
	v_cmp_lt_u32_e32 vcc, s6, v6
	v_cndmask_b32_e32 v5, v5, v7, vcc
; %bb.870:
	s_or_b64 exec, exec, s[2:3]
	v_lshrrev_b32_e32 v3, 24, v3
	s_movk_i32 s2, 0x80
	v_and_or_b32 v3, v3, s2, v5
	s_mov_b64 s[2:3], 0
	s_branch .LBB242_872
.LBB242_871:
	s_mov_b64 s[2:3], -1
                                        ; implicit-def: $vgpr3
.LBB242_872:
	s_and_b64 vcc, exec, s[2:3]
	s_cbranch_vccz .LBB242_882
; %bb.873:
	global_load_ubyte v1, v[1:2], off
	s_mov_b32 s2, 0x47800000
                                        ; implicit-def: $vgpr3
	s_waitcnt vmcnt(0)
	v_cvt_f32_ubyte0_e32 v1, v1
	v_cmp_gt_u32_e32 vcc, s2, v1
	s_and_saveexec_b64 s[2:3], vcc
	s_xor_b64 s[2:3], exec, s[2:3]
	s_cbranch_execz .LBB242_879
; %bb.874:
	s_mov_b32 s6, 0x387fffff
	v_cmp_lt_u32_e32 vcc, s6, v1
                                        ; implicit-def: $vgpr3
	s_and_saveexec_b64 s[6:7], vcc
	s_xor_b64 s[6:7], exec, s[6:7]
; %bb.875:
	v_bfe_u32 v2, v1, 21, 1
	s_mov_b32 s10, 0x80fffff
	v_add3_u32 v1, v1, v2, s10
	v_lshrrev_b32_e32 v3, 21, v1
                                        ; implicit-def: $vgpr1
; %bb.876:
	s_andn2_saveexec_b64 s[6:7], s[6:7]
; %bb.877:
	v_add_f32_e32 v3, 0x43000000, v1
; %bb.878:
	s_or_b64 exec, exec, s[6:7]
                                        ; implicit-def: $vgpr1
.LBB242_879:
	s_andn2_saveexec_b64 s[2:3], s[2:3]
; %bb.880:
	s_mov_b32 s6, 0x7f800000
	v_mov_b32_e32 v2, 0x7c
	v_mov_b32_e32 v3, 0x7f
	v_cmp_lt_u32_e32 vcc, s6, v1
	v_cndmask_b32_e32 v3, v2, v3, vcc
; %bb.881:
	s_or_b64 exec, exec, s[2:3]
.LBB242_882:
	s_branch .LBB242_478
.LBB242_883:
	s_mov_b64 s[2:3], 0
	s_mov_b64 s[6:7], s[58:59]
.LBB242_884:
                                        ; implicit-def: $vgpr8
.LBB242_885:
	s_andn2_b64 s[10:11], s[58:59], exec
	s_and_b64 s[6:7], s[6:7], exec
	s_or_b64 s[66:67], s[10:11], s[6:7]
	s_andn2_b64 s[6:7], s[60:61], exec
	s_and_b64 s[8:9], s[8:9], exec
	s_or_b64 s[64:65], s[6:7], s[8:9]
	s_orn2_b64 s[2:3], s[2:3], exec
.LBB242_886:
	s_or_b64 exec, exec, s[68:69]
	s_mov_b64 s[8:9], 0
	s_mov_b64 s[10:11], 0
	;; [unrolled: 1-line block ×3, first 2 shown]
                                        ; implicit-def: $vgpr1_vgpr2
                                        ; implicit-def: $vgpr0
                                        ; implicit-def: $vgpr3
	s_and_saveexec_b64 s[68:69], s[2:3]
	s_cbranch_execz .LBB242_1501
; %bb.887:
	v_cmp_gt_i32_e32 vcc, s72, v8
	s_mov_b64 s[10:11], -1
	s_mov_b64 s[2:3], s[64:65]
	s_mov_b64 s[6:7], s[66:67]
	s_and_saveexec_b64 s[70:71], vcc
	s_cbranch_execz .LBB242_1329
; %bb.888:
	s_andn2_b64 vcc, exec, s[46:47]
	s_cbranch_vccnz .LBB242_893
; %bb.889:
	s_andn2_b64 vcc, exec, s[56:57]
	s_cbranch_vccnz .LBB242_894
; %bb.890:
	s_add_i32 s78, s77, 1
	s_cmp_eq_u32 s74, 2
	s_cbranch_scc1 .LBB242_895
; %bb.891:
	s_and_b32 s73, s78, 28
	v_mov_b32_e32 v2, 0
	s_mov_b32 s79, 0
	s_mov_b64 s[2:3], s[34:35]
	s_mov_b64 s[6:7], s[54:55]
	v_mov_b32_e32 v0, 0
	v_mov_b32_e32 v1, v8
.LBB242_892:                            ; =>This Inner Loop Header: Depth=1
	s_load_dwordx8 s[16:23], s[2:3], 0x4
	s_load_dwordx4 s[40:43], s[2:3], 0x24
	s_load_dwordx8 s[8:15], s[6:7], 0x0
	s_add_u32 s2, s2, 48
	s_addc_u32 s3, s3, 0
	s_waitcnt vmcnt(0) lgkmcnt(0)
	v_mul_hi_u32 v3, s17, v1
	s_add_i32 s79, s79, 4
	s_add_u32 s6, s6, 32
	s_addc_u32 s7, s7, 0
	v_add_u32_e32 v3, v1, v3
	v_lshrrev_b32_e32 v3, s18, v3
	v_mul_lo_u32 v5, v3, s16
	v_mul_hi_u32 v6, s20, v3
	s_cmp_eq_u32 s73, s79
	v_sub_u32_e32 v1, v1, v5
	v_add_u32_e32 v5, v3, v6
	v_mul_lo_u32 v6, v1, s8
	v_mul_lo_u32 v7, v1, s9
	v_lshrrev_b32_e32 v1, s21, v5
	v_mul_lo_u32 v5, v1, s19
	v_mul_hi_u32 v9, s23, v1
	v_sub_u32_e32 v3, v3, v5
	v_add_u32_e32 v5, v1, v9
	v_lshrrev_b32_e32 v5, s40, v5
	v_mul_hi_u32 v10, s42, v5
	v_mul_lo_u32 v11, v5, s22
	v_mul_lo_u32 v9, v3, s10
	;; [unrolled: 1-line block ×3, first 2 shown]
	v_sub_u32_e32 v11, v1, v11
	v_add_u32_e32 v1, v5, v10
	v_lshrrev_b32_e32 v1, s43, v1
	v_mul_lo_u32 v10, v1, s41
	v_mul_lo_u32 v12, v11, s12
	;; [unrolled: 1-line block ×3, first 2 shown]
	v_add3_u32 v0, v6, v0, v9
	v_sub_u32_e32 v5, v5, v10
	v_mul_lo_u32 v10, v5, s14
	v_mul_lo_u32 v5, v5, s15
	v_add3_u32 v2, v7, v2, v3
	v_add3_u32 v0, v12, v0, v10
	;; [unrolled: 1-line block ×3, first 2 shown]
	s_cbranch_scc0 .LBB242_892
	s_branch .LBB242_896
.LBB242_893:
	s_mov_b64 s[2:3], -1
                                        ; implicit-def: $vgpr0
                                        ; implicit-def: $vgpr2
	s_branch .LBB242_900
.LBB242_894:
	v_mov_b32_e32 v0, 0
	v_mov_b32_e32 v2, 0
	s_branch .LBB242_899
.LBB242_895:
	s_mov_b32 s73, 0
	v_mov_b32_e32 v0, 0
	v_mov_b32_e32 v2, 0
	;; [unrolled: 1-line block ×3, first 2 shown]
.LBB242_896:
	s_and_b32 s8, s78, 3
	s_cmp_eq_u32 s8, 0
	s_cbranch_scc1 .LBB242_899
; %bb.897:
	s_lshl_b32 s2, s73, 3
	s_add_u32 s2, s34, s2
	s_addc_u32 s3, s35, 0
	s_add_u32 s2, s2, 0xc4
	s_addc_u32 s3, s3, 0
	s_mul_i32 s6, s73, 12
	s_add_u32 s6, s34, s6
	s_addc_u32 s7, s35, 0
.LBB242_898:                            ; =>This Inner Loop Header: Depth=1
	s_load_dwordx2 s[10:11], s[6:7], 0x4
	s_load_dword s9, s[6:7], 0xc
	s_load_dwordx2 s[12:13], s[2:3], 0x0
	s_add_u32 s6, s6, 12
	s_addc_u32 s7, s7, 0
	s_waitcnt vmcnt(0) lgkmcnt(0)
	v_mul_hi_u32 v3, s11, v1
	s_add_u32 s2, s2, 8
	s_addc_u32 s3, s3, 0
	s_add_i32 s8, s8, -1
	v_add_u32_e32 v3, v1, v3
	v_lshrrev_b32_e32 v5, s9, v3
	v_mul_lo_u32 v3, v5, s10
	s_cmp_lg_u32 s8, 0
	v_sub_u32_e32 v3, v1, v3
	v_mad_u64_u32 v[0:1], s[10:11], v3, s12, v[0:1]
	v_mad_u64_u32 v[2:3], s[10:11], v3, s13, v[2:3]
	v_mov_b32_e32 v1, v5
	s_cbranch_scc1 .LBB242_898
.LBB242_899:
	s_mov_b64 s[2:3], 0
.LBB242_900:
	s_andn2_b64 vcc, exec, s[2:3]
	s_cbranch_vccnz .LBB242_903
; %bb.901:
	v_mul_hi_u32 v0, s29, v8
	s_andn2_b64 vcc, exec, s[52:53]
	v_add_u32_e32 v0, v8, v0
	v_lshrrev_b32_e32 v1, s30, v0
	v_mul_lo_u32 v0, v1, s28
	v_sub_u32_e32 v2, v8, v0
	s_waitcnt lgkmcnt(0)
	v_mul_lo_u32 v0, v2, s36
	v_mul_lo_u32 v2, v2, s37
	s_cbranch_vccnz .LBB242_903
; %bb.902:
	s_waitcnt vmcnt(0)
	v_mul_hi_u32 v3, s50, v1
	v_add_u32_e32 v3, v1, v3
	v_lshrrev_b32_e32 v3, s51, v3
	v_mul_lo_u32 v3, v3, s31
	v_sub_u32_e32 v3, v1, v3
	v_mad_u64_u32 v[0:1], s[2:3], v3, s38, v[0:1]
	v_mad_u64_u32 v[2:3], s[2:3], v3, s39, v[2:3]
.LBB242_903:
	s_waitcnt vmcnt(0) lgkmcnt(0)
	v_mov_b32_e32 v3, s27
	s_and_b32 s12, 0xffff, s76
	v_add_co_u32_e32 v1, vcc, s26, v2
	s_cmp_lt_i32 s12, 11
	v_addc_co_u32_e32 v2, vcc, 0, v3, vcc
	s_cbranch_scc1 .LBB242_918
; %bb.904:
	s_cmp_gt_i32 s12, 25
	s_cbranch_scc0 .LBB242_919
; %bb.905:
	s_cmp_gt_i32 s12, 28
	s_cbranch_scc0 .LBB242_920
	;; [unrolled: 3-line block ×4, first 2 shown]
; %bb.908:
	s_cmp_eq_u32 s12, 46
	s_mov_b64 s[6:7], 0
	s_cbranch_scc0 .LBB242_927
; %bb.909:
	global_load_dword v3, v[1:2], off
	s_mov_b32 s2, 0x47800000
                                        ; implicit-def: $vgpr5
	s_waitcnt vmcnt(0)
	v_lshlrev_b32_e32 v3, 16, v3
	v_and_b32_e32 v6, 0x7fffffff, v3
	v_cmp_gt_u32_e32 vcc, s2, v6
	s_and_saveexec_b64 s[2:3], vcc
	s_xor_b64 s[2:3], exec, s[2:3]
	s_cbranch_execz .LBB242_915
; %bb.910:
	s_mov_b32 s8, 0x387fffff
	v_cmp_lt_u32_e32 vcc, s8, v6
                                        ; implicit-def: $vgpr5
	s_and_saveexec_b64 s[8:9], vcc
	s_xor_b64 s[8:9], exec, s[8:9]
; %bb.911:
	v_bfe_u32 v5, v3, 21, 1
	s_mov_b32 s10, 0x80fffff
	v_add3_u32 v5, v3, v5, s10
	v_lshrrev_b32_e32 v5, 21, v5
; %bb.912:
	s_andn2_saveexec_b64 s[8:9], s[8:9]
; %bb.913:
	s_mov_b32 s10, 0x43000000
	v_add_f32_e64 v5, |v3|, s10
; %bb.914:
	s_or_b64 exec, exec, s[8:9]
                                        ; implicit-def: $vgpr6
.LBB242_915:
	s_andn2_saveexec_b64 s[2:3], s[2:3]
; %bb.916:
	s_mov_b32 s8, 0x7f800000
	v_mov_b32_e32 v5, 0x7c
	v_mov_b32_e32 v7, 0x7f
	v_cmp_lt_u32_e32 vcc, s8, v6
	v_cndmask_b32_e32 v5, v5, v7, vcc
; %bb.917:
	s_or_b64 exec, exec, s[2:3]
	v_lshrrev_b32_e32 v3, 24, v3
	s_movk_i32 s2, 0x80
	v_and_or_b32 v3, v3, s2, v5
	s_mov_b64 s[2:3], -1
	s_mov_b64 s[8:9], 0
	s_branch .LBB242_928
.LBB242_918:
	s_mov_b64 s[6:7], -1
	s_mov_b64 s[2:3], 0
                                        ; implicit-def: $vgpr3
	s_mov_b64 s[8:9], s[64:65]
	s_branch .LBB242_1065
.LBB242_919:
	s_mov_b64 s[6:7], -1
	s_mov_b64 s[2:3], 0
	s_mov_b64 s[8:9], s[64:65]
                                        ; implicit-def: $vgpr3
	s_branch .LBB242_997
.LBB242_920:
	s_mov_b64 s[6:7], -1
	s_mov_b64 s[2:3], 0
                                        ; implicit-def: $vgpr3
	s_mov_b64 s[8:9], s[64:65]
	s_branch .LBB242_954
.LBB242_921:
	s_mov_b64 s[6:7], -1
	s_mov_b64 s[2:3], 0
	s_mov_b64 s[8:9], s[64:65]
                                        ; implicit-def: $vgpr3
	s_branch .LBB242_941
.LBB242_922:
	s_andn2_saveexec_b64 s[14:15], s[14:15]
	s_cbranch_execz .LBB242_531
.LBB242_923:
	v_add_f32_e32 v2, 0x46000000, v3
	v_and_b32_e32 v2, 0xff, v2
	v_cmp_ne_u32_e32 vcc, 0, v2
	s_andn2_b64 s[12:13], s[12:13], exec
	s_and_b64 s[18:19], vcc, exec
	s_or_b64 s[12:13], s[12:13], s[18:19]
	s_or_b64 exec, exec, s[14:15]
	v_mov_b32_e32 v5, 0
	s_and_saveexec_b64 s[14:15], s[12:13]
	s_cbranch_execnz .LBB242_532
	s_branch .LBB242_533
.LBB242_924:
	s_mov_b64 s[6:7], -1
	s_mov_b64 s[2:3], 0
	s_mov_b64 s[8:9], s[64:65]
                                        ; implicit-def: $vgpr3
	s_branch .LBB242_928
.LBB242_925:
	s_andn2_saveexec_b64 s[14:15], s[14:15]
	s_cbranch_execz .LBB242_544
.LBB242_926:
	v_add_f32_e32 v2, 0x42800000, v3
	v_and_b32_e32 v2, 0xff, v2
	v_cmp_ne_u32_e32 vcc, 0, v2
	s_andn2_b64 s[12:13], s[12:13], exec
	s_and_b64 s[18:19], vcc, exec
	s_or_b64 s[12:13], s[12:13], s[18:19]
	s_or_b64 exec, exec, s[14:15]
	v_mov_b32_e32 v5, 0
	s_and_saveexec_b64 s[14:15], s[12:13]
	s_cbranch_execnz .LBB242_545
	s_branch .LBB242_546
.LBB242_927:
	s_mov_b64 s[8:9], -1
                                        ; implicit-def: $vgpr3
	s_mov_b64 s[2:3], 0
.LBB242_928:
	s_and_b64 vcc, exec, s[6:7]
	s_cbranch_vccz .LBB242_940
; %bb.929:
	s_cmp_eq_u32 s12, 44
	s_cbranch_scc0 .LBB242_939
; %bb.930:
	global_load_ubyte v3, v[1:2], off
	s_movk_i32 s2, 0xff
	v_mov_b32_e32 v5, 0x7f800001
	v_mov_b32_e32 v6, 0x400000
	s_waitcnt vmcnt(0)
	v_lshlrev_b32_e32 v7, 23, v3
	v_cmp_ne_u32_e32 vcc, s2, v3
	v_cndmask_b32_e32 v5, v5, v7, vcc
	v_cmp_ne_u32_e32 vcc, 0, v3
	v_cndmask_b32_e32 v5, v6, v5, vcc
	s_mov_b32 s2, 0x47800000
	v_cmp_gt_u32_e32 vcc, s2, v5
                                        ; implicit-def: $vgpr3
	s_and_saveexec_b64 s[2:3], vcc
	s_xor_b64 s[2:3], exec, s[2:3]
	s_cbranch_execz .LBB242_936
; %bb.931:
	s_mov_b32 s6, 0x387fffff
	v_cmp_lt_u32_e32 vcc, s6, v5
                                        ; implicit-def: $vgpr3
	s_and_saveexec_b64 s[6:7], vcc
	s_xor_b64 s[6:7], exec, s[6:7]
; %bb.932:
	v_bfe_u32 v3, v5, 21, 1
	s_mov_b32 s8, 0x80fffff
	v_add3_u32 v3, v5, v3, s8
	v_lshrrev_b32_e32 v3, 21, v3
                                        ; implicit-def: $vgpr5
; %bb.933:
	s_andn2_saveexec_b64 s[6:7], s[6:7]
; %bb.934:
	v_add_f32_e32 v3, 0x43000000, v5
; %bb.935:
	s_or_b64 exec, exec, s[6:7]
                                        ; implicit-def: $vgpr5
.LBB242_936:
	s_andn2_saveexec_b64 s[2:3], s[2:3]
; %bb.937:
	s_mov_b32 s6, 0x7f800000
	v_mov_b32_e32 v3, 0x7c
	v_mov_b32_e32 v6, 0x7f
	v_cmp_lt_u32_e32 vcc, s6, v5
	v_cndmask_b32_e32 v3, v3, v6, vcc
; %bb.938:
	s_or_b64 exec, exec, s[2:3]
	s_mov_b64 s[2:3], -1
	s_mov_b64 s[8:9], 0
	s_branch .LBB242_940
.LBB242_939:
	s_mov_b64 s[8:9], -1
                                        ; implicit-def: $vgpr3
.LBB242_940:
	s_mov_b64 s[6:7], 0
.LBB242_941:
	s_and_b64 vcc, exec, s[6:7]
	s_cbranch_vccz .LBB242_953
; %bb.942:
	s_cmp_eq_u32 s12, 29
	s_cbranch_scc0 .LBB242_952
; %bb.943:
	global_load_dwordx2 v[5:6], v[1:2], off
	s_mov_b32 s2, 0x47800000
	s_waitcnt vmcnt(0)
	v_ffbh_u32_e32 v3, v6
	v_min_u32_e32 v3, 32, v3
	v_lshlrev_b64 v[5:6], v3, v[5:6]
	v_sub_u32_e32 v3, 32, v3
	v_min_u32_e32 v5, 1, v5
	v_or_b32_e32 v5, v6, v5
	v_cvt_f32_u32_e32 v5, v5
	v_ldexp_f32 v5, v5, v3
	v_cmp_gt_u32_e32 vcc, s2, v5
                                        ; implicit-def: $vgpr3
	s_and_saveexec_b64 s[2:3], vcc
	s_xor_b64 s[2:3], exec, s[2:3]
	s_cbranch_execz .LBB242_949
; %bb.944:
	s_mov_b32 s6, 0x387fffff
	v_cmp_lt_u32_e32 vcc, s6, v5
                                        ; implicit-def: $vgpr3
	s_and_saveexec_b64 s[6:7], vcc
	s_xor_b64 s[6:7], exec, s[6:7]
; %bb.945:
	v_bfe_u32 v3, v5, 21, 1
	s_mov_b32 s8, 0x80fffff
	v_add3_u32 v3, v5, v3, s8
	v_lshrrev_b32_e32 v3, 21, v3
                                        ; implicit-def: $vgpr5
; %bb.946:
	s_andn2_saveexec_b64 s[6:7], s[6:7]
; %bb.947:
	v_add_f32_e32 v3, 0x43000000, v5
; %bb.948:
	s_or_b64 exec, exec, s[6:7]
                                        ; implicit-def: $vgpr5
.LBB242_949:
	s_andn2_saveexec_b64 s[2:3], s[2:3]
; %bb.950:
	s_mov_b32 s6, 0x7f800000
	v_mov_b32_e32 v3, 0x7c
	v_mov_b32_e32 v6, 0x7f
	v_cmp_lt_u32_e32 vcc, s6, v5
	v_cndmask_b32_e32 v3, v3, v6, vcc
; %bb.951:
	s_or_b64 exec, exec, s[2:3]
	s_mov_b64 s[2:3], -1
	s_mov_b64 s[8:9], 0
	s_branch .LBB242_953
.LBB242_952:
	s_mov_b64 s[8:9], -1
                                        ; implicit-def: $vgpr3
.LBB242_953:
	s_mov_b64 s[6:7], 0
.LBB242_954:
	s_and_b64 vcc, exec, s[6:7]
	s_cbranch_vccz .LBB242_996
; %bb.955:
	s_cmp_lt_i32 s12, 27
	s_cbranch_scc1 .LBB242_966
; %bb.956:
	s_cmp_gt_i32 s12, 27
	s_cbranch_scc0 .LBB242_967
; %bb.957:
	global_load_dword v3, v[1:2], off
	s_mov_b32 s2, 0x47800000
	s_waitcnt vmcnt(0)
	v_cvt_f32_u32_e32 v5, v3
                                        ; implicit-def: $vgpr3
	v_cmp_gt_u32_e32 vcc, s2, v5
	s_and_saveexec_b64 s[2:3], vcc
	s_xor_b64 s[2:3], exec, s[2:3]
	s_cbranch_execz .LBB242_963
; %bb.958:
	s_mov_b32 s6, 0x387fffff
	v_cmp_lt_u32_e32 vcc, s6, v5
                                        ; implicit-def: $vgpr3
	s_and_saveexec_b64 s[6:7], vcc
	s_xor_b64 s[6:7], exec, s[6:7]
; %bb.959:
	v_bfe_u32 v3, v5, 21, 1
	s_mov_b32 s10, 0x80fffff
	v_add3_u32 v3, v5, v3, s10
	v_lshrrev_b32_e32 v3, 21, v3
                                        ; implicit-def: $vgpr5
; %bb.960:
	s_andn2_saveexec_b64 s[6:7], s[6:7]
; %bb.961:
	v_add_f32_e32 v3, 0x43000000, v5
; %bb.962:
	s_or_b64 exec, exec, s[6:7]
                                        ; implicit-def: $vgpr5
.LBB242_963:
	s_andn2_saveexec_b64 s[2:3], s[2:3]
; %bb.964:
	s_mov_b32 s6, 0x7f800000
	v_mov_b32_e32 v3, 0x7c
	v_mov_b32_e32 v6, 0x7f
	v_cmp_lt_u32_e32 vcc, s6, v5
	v_cndmask_b32_e32 v3, v3, v6, vcc
; %bb.965:
	s_or_b64 exec, exec, s[2:3]
	s_mov_b64 s[2:3], 0
	s_branch .LBB242_968
.LBB242_966:
	s_mov_b64 s[2:3], -1
                                        ; implicit-def: $vgpr3
	s_branch .LBB242_979
.LBB242_967:
	s_mov_b64 s[2:3], -1
                                        ; implicit-def: $vgpr3
.LBB242_968:
	s_and_b64 vcc, exec, s[2:3]
	s_cbranch_vccz .LBB242_978
; %bb.969:
	global_load_ushort v3, v[1:2], off
	s_mov_b32 s2, 0x47800000
	s_waitcnt vmcnt(0)
	v_cvt_f32_u32_e32 v5, v3
                                        ; implicit-def: $vgpr3
	v_cmp_gt_u32_e32 vcc, s2, v5
	s_and_saveexec_b64 s[2:3], vcc
	s_xor_b64 s[2:3], exec, s[2:3]
	s_cbranch_execz .LBB242_975
; %bb.970:
	s_mov_b32 s6, 0x387fffff
	v_cmp_lt_u32_e32 vcc, s6, v5
                                        ; implicit-def: $vgpr3
	s_and_saveexec_b64 s[6:7], vcc
	s_xor_b64 s[6:7], exec, s[6:7]
; %bb.971:
	v_bfe_u32 v3, v5, 21, 1
	s_mov_b32 s10, 0x80fffff
	v_add3_u32 v3, v5, v3, s10
	v_lshrrev_b32_e32 v3, 21, v3
                                        ; implicit-def: $vgpr5
; %bb.972:
	s_andn2_saveexec_b64 s[6:7], s[6:7]
; %bb.973:
	v_add_f32_e32 v3, 0x43000000, v5
; %bb.974:
	s_or_b64 exec, exec, s[6:7]
                                        ; implicit-def: $vgpr5
.LBB242_975:
	s_andn2_saveexec_b64 s[2:3], s[2:3]
; %bb.976:
	s_mov_b32 s6, 0x7f800000
	v_mov_b32_e32 v3, 0x7c
	v_mov_b32_e32 v6, 0x7f
	v_cmp_lt_u32_e32 vcc, s6, v5
	v_cndmask_b32_e32 v3, v3, v6, vcc
; %bb.977:
	s_or_b64 exec, exec, s[2:3]
.LBB242_978:
	s_mov_b64 s[2:3], 0
.LBB242_979:
	s_andn2_b64 vcc, exec, s[2:3]
	s_cbranch_vccnz .LBB242_995
; %bb.980:
	global_load_ubyte v5, v[1:2], off
	s_movk_i32 s2, 0x7f
	s_waitcnt vmcnt(0)
	v_cmp_lt_i16_e32 vcc, s2, v5
	s_mov_b64 s[2:3], 0
	s_and_saveexec_b64 s[6:7], vcc
	s_xor_b64 s[6:7], exec, s[6:7]
	s_cbranch_execz .LBB242_1017
; %bb.981:
	s_movk_i32 s2, 0x80
	v_cmp_eq_u16_e32 vcc, s2, v5
	s_mov_b64 s[2:3], -1
	s_and_saveexec_b64 s[10:11], vcc
; %bb.982:
	s_xor_b64 s[2:3], exec, -1
; %bb.983:
	s_or_b64 exec, exec, s[10:11]
	s_and_b64 s[2:3], s[2:3], exec
	s_or_saveexec_b64 s[6:7], s[6:7]
	v_mov_b32_e32 v3, 0x7f800001
	s_xor_b64 exec, exec, s[6:7]
	s_cbranch_execnz .LBB242_1018
.LBB242_984:
	s_or_b64 exec, exec, s[6:7]
	s_and_saveexec_b64 s[6:7], s[2:3]
	s_cbranch_execz .LBB242_986
.LBB242_985:
	v_lshlrev_b32_e32 v3, 24, v5
	v_and_b32_e32 v5, 0xffff, v5
	v_and_b32_e32 v6, 7, v5
	v_ffbh_u32_e32 v9, v6
	v_min_u32_e32 v9, 32, v9
	v_subrev_u32_e32 v10, 28, v9
	v_bfe_u32 v7, v5, 3, 4
	v_lshlrev_b32_e32 v5, v10, v5
	v_sub_u32_e32 v9, 29, v9
	v_and_b32_e32 v5, 7, v5
	v_cmp_eq_u32_e32 vcc, 0, v7
	v_cndmask_b32_e32 v7, v7, v9, vcc
	v_cndmask_b32_e32 v5, v6, v5, vcc
	v_mov_b32_e32 v6, 0x3b800000
	v_lshlrev_b32_e32 v5, 20, v5
	v_and_b32_e32 v3, 0x80000000, v3
	v_lshl_add_u32 v6, v7, 23, v6
	v_or3_b32 v3, v3, v6, v5
.LBB242_986:
	s_or_b64 exec, exec, s[6:7]
	v_and_b32_e32 v6, 0x7fffffff, v3
	s_mov_b32 s2, 0x47800000
	v_cmp_gt_u32_e32 vcc, s2, v6
                                        ; implicit-def: $vgpr5
	s_and_saveexec_b64 s[2:3], vcc
	s_xor_b64 s[2:3], exec, s[2:3]
	s_cbranch_execz .LBB242_992
; %bb.987:
	s_mov_b32 s6, 0x387fffff
	v_cmp_lt_u32_e32 vcc, s6, v6
                                        ; implicit-def: $vgpr5
	s_and_saveexec_b64 s[6:7], vcc
	s_xor_b64 s[6:7], exec, s[6:7]
; %bb.988:
	v_bfe_u32 v5, v3, 21, 1
	s_mov_b32 s10, 0x80fffff
	v_add3_u32 v5, v3, v5, s10
	v_lshrrev_b32_e32 v5, 21, v5
; %bb.989:
	s_andn2_saveexec_b64 s[6:7], s[6:7]
; %bb.990:
	s_mov_b32 s10, 0x43000000
	v_add_f32_e64 v5, |v3|, s10
; %bb.991:
	s_or_b64 exec, exec, s[6:7]
                                        ; implicit-def: $vgpr6
.LBB242_992:
	s_andn2_saveexec_b64 s[2:3], s[2:3]
; %bb.993:
	s_mov_b32 s6, 0x7f800000
	v_mov_b32_e32 v5, 0x7c
	v_mov_b32_e32 v7, 0x7f
	v_cmp_lt_u32_e32 vcc, s6, v6
	v_cndmask_b32_e32 v5, v5, v7, vcc
; %bb.994:
	s_or_b64 exec, exec, s[2:3]
	v_lshrrev_b32_e32 v3, 24, v3
	s_movk_i32 s2, 0x80
	v_and_or_b32 v3, v3, s2, v5
.LBB242_995:
	s_mov_b64 s[2:3], -1
.LBB242_996:
	s_mov_b64 s[6:7], 0
.LBB242_997:
	s_and_b64 vcc, exec, s[6:7]
	s_cbranch_vccz .LBB242_1064
; %bb.998:
	s_cmp_gt_i32 s12, 22
	s_cbranch_scc0 .LBB242_1016
; %bb.999:
	s_cmp_lt_i32 s12, 24
	s_cbranch_scc1 .LBB242_1019
; %bb.1000:
	s_cmp_gt_i32 s12, 24
	s_cbranch_scc0 .LBB242_1020
; %bb.1001:
	global_load_ubyte v5, v[1:2], off
	s_movk_i32 s2, 0x7f
	s_waitcnt vmcnt(0)
	v_cmp_lt_i16_e32 vcc, s2, v5
	s_mov_b64 s[2:3], 0
	s_and_saveexec_b64 s[6:7], vcc
	s_xor_b64 s[6:7], exec, s[6:7]
	s_cbranch_execz .LBB242_1048
; %bb.1002:
	s_movk_i32 s2, 0x80
	v_cmp_eq_u16_e32 vcc, s2, v5
	s_mov_b64 s[2:3], -1
	s_and_saveexec_b64 s[10:11], vcc
; %bb.1003:
	s_xor_b64 s[2:3], exec, -1
; %bb.1004:
	s_or_b64 exec, exec, s[10:11]
	s_and_b64 s[2:3], s[2:3], exec
	s_or_saveexec_b64 s[6:7], s[6:7]
	v_mov_b32_e32 v3, 0x7f800001
	s_xor_b64 exec, exec, s[6:7]
	s_cbranch_execnz .LBB242_1049
.LBB242_1005:
	s_or_b64 exec, exec, s[6:7]
	s_and_saveexec_b64 s[6:7], s[2:3]
	s_cbranch_execz .LBB242_1007
.LBB242_1006:
	v_lshlrev_b32_e32 v3, 24, v5
	v_and_b32_e32 v5, 0xffff, v5
	v_and_b32_e32 v6, 3, v5
	v_ffbh_u32_e32 v9, v6
	v_min_u32_e32 v9, 32, v9
	v_subrev_u32_e32 v10, 29, v9
	v_bfe_u32 v7, v5, 2, 5
	v_lshlrev_b32_e32 v5, v10, v5
	v_sub_u32_e32 v9, 30, v9
	v_and_b32_e32 v5, 3, v5
	v_cmp_eq_u32_e32 vcc, 0, v7
	v_cndmask_b32_e32 v7, v7, v9, vcc
	v_cndmask_b32_e32 v5, v6, v5, vcc
	v_mov_b32_e32 v6, 0x37800000
	v_lshlrev_b32_e32 v5, 21, v5
	v_and_b32_e32 v3, 0x80000000, v3
	v_lshl_add_u32 v6, v7, 23, v6
	v_or3_b32 v3, v3, v6, v5
.LBB242_1007:
	s_or_b64 exec, exec, s[6:7]
	v_and_b32_e32 v6, 0x7fffffff, v3
	s_mov_b32 s2, 0x47800000
	v_cmp_gt_u32_e32 vcc, s2, v6
                                        ; implicit-def: $vgpr5
	s_and_saveexec_b64 s[2:3], vcc
	s_xor_b64 s[2:3], exec, s[2:3]
	s_cbranch_execz .LBB242_1013
; %bb.1008:
	s_mov_b32 s6, 0x387fffff
	v_cmp_lt_u32_e32 vcc, s6, v6
                                        ; implicit-def: $vgpr5
	s_and_saveexec_b64 s[6:7], vcc
	s_xor_b64 s[6:7], exec, s[6:7]
; %bb.1009:
	v_bfe_u32 v5, v3, 21, 1
	s_mov_b32 s10, 0x80fffff
	v_add3_u32 v5, v3, v5, s10
	v_lshrrev_b32_e32 v5, 21, v5
; %bb.1010:
	s_andn2_saveexec_b64 s[6:7], s[6:7]
; %bb.1011:
	s_mov_b32 s10, 0x43000000
	v_add_f32_e64 v5, |v3|, s10
; %bb.1012:
	s_or_b64 exec, exec, s[6:7]
                                        ; implicit-def: $vgpr6
.LBB242_1013:
	s_andn2_saveexec_b64 s[2:3], s[2:3]
; %bb.1014:
	s_mov_b32 s6, 0x7f800000
	v_mov_b32_e32 v5, 0x7c
	v_mov_b32_e32 v7, 0x7f
	v_cmp_lt_u32_e32 vcc, s6, v6
	v_cndmask_b32_e32 v5, v5, v7, vcc
; %bb.1015:
	s_or_b64 exec, exec, s[2:3]
	v_lshrrev_b32_e32 v3, 24, v3
	s_movk_i32 s2, 0x80
	v_and_or_b32 v3, v3, s2, v5
	s_mov_b64 s[2:3], 0
	s_branch .LBB242_1021
.LBB242_1016:
	s_mov_b64 s[6:7], -1
                                        ; implicit-def: $vgpr3
	s_branch .LBB242_1035
.LBB242_1017:
	s_or_saveexec_b64 s[6:7], s[6:7]
	v_mov_b32_e32 v3, 0x7f800001
	s_xor_b64 exec, exec, s[6:7]
	s_cbranch_execz .LBB242_984
.LBB242_1018:
	v_cmp_ne_u16_e32 vcc, 0, v5
	s_andn2_b64 s[2:3], s[2:3], exec
	s_and_b64 s[10:11], vcc, exec
	v_mov_b32_e32 v3, 0
	s_or_b64 s[2:3], s[2:3], s[10:11]
	s_or_b64 exec, exec, s[6:7]
	s_and_saveexec_b64 s[6:7], s[2:3]
	s_cbranch_execnz .LBB242_985
	s_branch .LBB242_986
.LBB242_1019:
	s_mov_b64 s[2:3], -1
                                        ; implicit-def: $vgpr3
	s_branch .LBB242_1032
.LBB242_1020:
	s_mov_b64 s[2:3], -1
                                        ; implicit-def: $vgpr3
.LBB242_1021:
	s_and_b64 vcc, exec, s[2:3]
	s_cbranch_vccz .LBB242_1031
; %bb.1022:
	global_load_ubyte v3, v[1:2], off
	s_mov_b32 s2, 0x7f800000
	s_brev_b32 s3, 1
	s_waitcnt vmcnt(0)
	v_lshlrev_b32_e32 v3, 24, v3
	v_and_b32_e32 v5, 0x7f000000, v3
	v_ffbh_u32_e32 v6, v5
	v_min_u32_e32 v6, 32, v6
	v_sub_u32_e64 v6, v6, 4 clamp
	v_lshlrev_b32_e32 v9, v6, v5
	v_lshlrev_b32_e32 v6, 23, v6
	v_lshrrev_b32_e32 v9, 4, v9
	v_add_u32_e32 v7, 0x1000000, v5
	v_sub_u32_e32 v6, v9, v6
	v_ashrrev_i32_e32 v7, 8, v7
	v_add_u32_e32 v6, 0x3c000000, v6
	v_and_or_b32 v6, v7, s2, v6
	v_cmp_ne_u32_e32 vcc, 0, v5
	v_cndmask_b32_e32 v7, 0, v6, vcc
	v_and_or_b32 v3, v3, s3, v7
	v_and_b32_e32 v6, 0x7fffffff, v3
	s_mov_b32 s2, 0x47800000
	v_cmp_gt_u32_e32 vcc, s2, v6
                                        ; implicit-def: $vgpr5
	s_and_saveexec_b64 s[2:3], vcc
	s_xor_b64 s[2:3], exec, s[2:3]
	s_cbranch_execz .LBB242_1028
; %bb.1023:
	s_mov_b32 s6, 0x387fffff
	v_cmp_lt_u32_e32 vcc, s6, v6
                                        ; implicit-def: $vgpr5
	s_and_saveexec_b64 s[6:7], vcc
	s_xor_b64 s[6:7], exec, s[6:7]
; %bb.1024:
	v_bfe_u32 v5, v7, 21, 1
	s_mov_b32 s10, 0x80fffff
	v_add3_u32 v5, v3, v5, s10
	v_lshrrev_b32_e32 v5, 21, v5
; %bb.1025:
	s_andn2_saveexec_b64 s[6:7], s[6:7]
; %bb.1026:
	s_mov_b32 s10, 0x43000000
	v_add_f32_e64 v5, |v3|, s10
; %bb.1027:
	s_or_b64 exec, exec, s[6:7]
                                        ; implicit-def: $vgpr6
.LBB242_1028:
	s_andn2_saveexec_b64 s[2:3], s[2:3]
; %bb.1029:
	s_mov_b32 s6, 0x7f800000
	v_mov_b32_e32 v5, 0x7c
	v_mov_b32_e32 v7, 0x7f
	v_cmp_lt_u32_e32 vcc, s6, v6
	v_cndmask_b32_e32 v5, v5, v7, vcc
; %bb.1030:
	s_or_b64 exec, exec, s[2:3]
	v_lshrrev_b32_e32 v3, 24, v3
	s_movk_i32 s2, 0x80
	v_and_or_b32 v3, v3, s2, v5
.LBB242_1031:
	s_mov_b64 s[2:3], 0
.LBB242_1032:
	s_andn2_b64 vcc, exec, s[2:3]
	s_cbranch_vccnz .LBB242_1034
; %bb.1033:
	global_load_ubyte v3, v[1:2], off
.LBB242_1034:
	s_mov_b64 s[6:7], 0
	s_mov_b64 s[2:3], -1
.LBB242_1035:
	s_andn2_b64 vcc, exec, s[6:7]
	s_cbranch_vccnz .LBB242_1064
; %bb.1036:
	s_cmp_gt_i32 s12, 14
	s_cbranch_scc0 .LBB242_1047
; %bb.1037:
	s_cmp_eq_u32 s12, 15
	s_cbranch_scc0 .LBB242_1050
; %bb.1038:
	global_load_ushort v3, v[1:2], off
	s_mov_b32 s2, 0x47800000
                                        ; implicit-def: $vgpr5
	s_waitcnt vmcnt(0)
	v_lshlrev_b32_e32 v6, 16, v3
	v_and_b32_e32 v7, 0x7fffffff, v6
	v_cmp_gt_u32_e32 vcc, s2, v7
	s_and_saveexec_b64 s[2:3], vcc
	s_xor_b64 s[2:3], exec, s[2:3]
	s_cbranch_execz .LBB242_1044
; %bb.1039:
	s_mov_b32 s6, 0x387fffff
	v_cmp_lt_u32_e32 vcc, s6, v7
                                        ; implicit-def: $vgpr5
	s_and_saveexec_b64 s[6:7], vcc
	s_xor_b64 s[6:7], exec, s[6:7]
; %bb.1040:
	v_bfe_u32 v5, v3, 5, 1
	s_mov_b32 s8, 0x80fffff
	v_add3_u32 v5, v6, v5, s8
	v_lshrrev_b32_e32 v5, 21, v5
                                        ; implicit-def: $vgpr6
; %bb.1041:
	s_andn2_saveexec_b64 s[6:7], s[6:7]
; %bb.1042:
	s_mov_b32 s8, 0x43000000
	v_add_f32_e64 v5, |v6|, s8
; %bb.1043:
	s_or_b64 exec, exec, s[6:7]
                                        ; implicit-def: $vgpr7
.LBB242_1044:
	s_andn2_saveexec_b64 s[2:3], s[2:3]
; %bb.1045:
	s_mov_b32 s6, 0x7f800000
	v_mov_b32_e32 v5, 0x7c
	v_mov_b32_e32 v6, 0x7f
	v_cmp_lt_u32_e32 vcc, s6, v7
	v_cndmask_b32_e32 v5, v5, v6, vcc
; %bb.1046:
	s_or_b64 exec, exec, s[2:3]
	v_lshrrev_b32_e32 v3, 8, v3
	s_movk_i32 s2, 0x80
	v_and_or_b32 v3, v3, s2, v5
	s_mov_b64 s[2:3], -1
	s_mov_b64 s[8:9], 0
	s_branch .LBB242_1051
.LBB242_1047:
	s_mov_b64 s[6:7], -1
                                        ; implicit-def: $vgpr3
	s_branch .LBB242_1052
.LBB242_1048:
	s_or_saveexec_b64 s[6:7], s[6:7]
	v_mov_b32_e32 v3, 0x7f800001
	s_xor_b64 exec, exec, s[6:7]
	s_cbranch_execz .LBB242_1005
.LBB242_1049:
	v_cmp_ne_u16_e32 vcc, 0, v5
	s_andn2_b64 s[2:3], s[2:3], exec
	s_and_b64 s[10:11], vcc, exec
	v_mov_b32_e32 v3, 0
	s_or_b64 s[2:3], s[2:3], s[10:11]
	s_or_b64 exec, exec, s[6:7]
	s_and_saveexec_b64 s[6:7], s[2:3]
	s_cbranch_execnz .LBB242_1006
	s_branch .LBB242_1007
.LBB242_1050:
	s_mov_b64 s[8:9], -1
                                        ; implicit-def: $vgpr3
.LBB242_1051:
	s_mov_b64 s[6:7], 0
.LBB242_1052:
	s_and_b64 vcc, exec, s[6:7]
	s_cbranch_vccz .LBB242_1064
; %bb.1053:
	s_cmp_eq_u32 s12, 11
	s_cbranch_scc0 .LBB242_1063
; %bb.1054:
	global_load_ubyte v3, v[1:2], off
	s_mov_b32 s2, 0x47800000
	s_waitcnt vmcnt(0)
	v_cmp_ne_u16_e32 vcc, 0, v3
	v_cndmask_b32_e64 v5, 0, 1.0, vcc
	v_cmp_gt_u32_e32 vcc, s2, v5
                                        ; implicit-def: $vgpr3
	s_and_saveexec_b64 s[2:3], vcc
	s_xor_b64 s[2:3], exec, s[2:3]
	s_cbranch_execz .LBB242_1060
; %bb.1055:
	s_mov_b32 s6, 0x387fffff
	v_cmp_lt_u32_e32 vcc, s6, v5
                                        ; implicit-def: $vgpr3
	s_and_saveexec_b64 s[6:7], vcc
	s_xor_b64 s[6:7], exec, s[6:7]
; %bb.1056:
	v_bfe_u32 v3, v5, 21, 1
	s_mov_b32 s8, 0x80fffff
	v_add3_u32 v3, v5, v3, s8
	v_lshrrev_b32_e32 v3, 21, v3
                                        ; implicit-def: $vgpr5
; %bb.1057:
	s_andn2_saveexec_b64 s[6:7], s[6:7]
; %bb.1058:
	v_add_f32_e32 v3, 0x43000000, v5
; %bb.1059:
	s_or_b64 exec, exec, s[6:7]
                                        ; implicit-def: $vgpr5
.LBB242_1060:
	s_andn2_saveexec_b64 s[2:3], s[2:3]
; %bb.1061:
	s_mov_b32 s6, 0x7f800000
	v_mov_b32_e32 v3, 0x7c
	v_mov_b32_e32 v6, 0x7f
	v_cmp_lt_u32_e32 vcc, s6, v5
	v_cndmask_b32_e32 v3, v3, v6, vcc
; %bb.1062:
	s_or_b64 exec, exec, s[2:3]
	s_mov_b64 s[2:3], -1
	s_mov_b64 s[8:9], 0
	s_branch .LBB242_1064
.LBB242_1063:
	s_mov_b64 s[8:9], -1
                                        ; implicit-def: $vgpr3
.LBB242_1064:
	s_mov_b64 s[6:7], 0
.LBB242_1065:
	s_and_b64 vcc, exec, s[6:7]
	s_cbranch_vccz .LBB242_1202
; %bb.1066:
	s_cmp_lt_i32 s12, 5
	s_cbranch_scc1 .LBB242_1079
; %bb.1067:
	s_cmp_lt_i32 s12, 8
	s_cbranch_scc1 .LBB242_1080
	;; [unrolled: 3-line block ×3, first 2 shown]
; %bb.1069:
	s_cmp_gt_i32 s12, 9
	s_cbranch_scc0 .LBB242_1082
; %bb.1070:
	global_load_dwordx2 v[5:6], v[1:2], off
	s_mov_b32 s2, 0x47800000
	s_waitcnt vmcnt(0)
	v_cvt_f32_f64_e32 v3, v[5:6]
                                        ; implicit-def: $vgpr5
	v_and_b32_e32 v6, 0x7fffffff, v3
	v_cmp_gt_u32_e32 vcc, s2, v6
	s_and_saveexec_b64 s[2:3], vcc
	s_xor_b64 s[2:3], exec, s[2:3]
	s_cbranch_execz .LBB242_1076
; %bb.1071:
	s_mov_b32 s6, 0x387fffff
	v_cmp_lt_u32_e32 vcc, s6, v6
                                        ; implicit-def: $vgpr5
	s_and_saveexec_b64 s[6:7], vcc
	s_xor_b64 s[6:7], exec, s[6:7]
; %bb.1072:
	v_bfe_u32 v5, v3, 21, 1
	s_mov_b32 s10, 0x80fffff
	v_add3_u32 v5, v3, v5, s10
	v_lshrrev_b32_e32 v5, 21, v5
; %bb.1073:
	s_andn2_saveexec_b64 s[6:7], s[6:7]
; %bb.1074:
	s_mov_b32 s10, 0x43000000
	v_add_f32_e64 v5, |v3|, s10
; %bb.1075:
	s_or_b64 exec, exec, s[6:7]
                                        ; implicit-def: $vgpr6
.LBB242_1076:
	s_andn2_saveexec_b64 s[2:3], s[2:3]
; %bb.1077:
	s_mov_b32 s6, 0x7f800000
	v_mov_b32_e32 v5, 0x7c
	v_mov_b32_e32 v7, 0x7f
	v_cmp_lt_u32_e32 vcc, s6, v6
	v_cndmask_b32_e32 v5, v5, v7, vcc
; %bb.1078:
	s_or_b64 exec, exec, s[2:3]
	v_lshrrev_b32_e32 v3, 24, v3
	s_movk_i32 s2, 0x80
	v_and_or_b32 v3, v3, s2, v5
	s_mov_b64 s[2:3], 0
	s_branch .LBB242_1083
.LBB242_1079:
	s_mov_b64 s[2:3], -1
                                        ; implicit-def: $vgpr3
	s_branch .LBB242_1141
.LBB242_1080:
	s_mov_b64 s[2:3], -1
                                        ; implicit-def: $vgpr3
	s_branch .LBB242_1105
.LBB242_1081:
	s_mov_b64 s[2:3], -1
                                        ; implicit-def: $vgpr3
	s_branch .LBB242_1094
.LBB242_1082:
	s_mov_b64 s[2:3], -1
                                        ; implicit-def: $vgpr3
.LBB242_1083:
	s_and_b64 vcc, exec, s[2:3]
	s_cbranch_vccz .LBB242_1093
; %bb.1084:
	global_load_dword v3, v[1:2], off
	s_mov_b32 s2, 0x47800000
                                        ; implicit-def: $vgpr5
	s_waitcnt vmcnt(0)
	v_and_b32_e32 v6, 0x7fffffff, v3
	v_cmp_gt_u32_e32 vcc, s2, v6
	s_and_saveexec_b64 s[2:3], vcc
	s_xor_b64 s[2:3], exec, s[2:3]
	s_cbranch_execz .LBB242_1090
; %bb.1085:
	s_mov_b32 s6, 0x387fffff
	v_cmp_lt_u32_e32 vcc, s6, v6
                                        ; implicit-def: $vgpr5
	s_and_saveexec_b64 s[6:7], vcc
	s_xor_b64 s[6:7], exec, s[6:7]
; %bb.1086:
	v_bfe_u32 v5, v3, 21, 1
	s_mov_b32 s10, 0x80fffff
	v_add3_u32 v5, v3, v5, s10
	v_lshrrev_b32_e32 v5, 21, v5
; %bb.1087:
	s_andn2_saveexec_b64 s[6:7], s[6:7]
; %bb.1088:
	s_mov_b32 s10, 0x43000000
	v_add_f32_e64 v5, |v3|, s10
; %bb.1089:
	s_or_b64 exec, exec, s[6:7]
                                        ; implicit-def: $vgpr6
.LBB242_1090:
	s_andn2_saveexec_b64 s[2:3], s[2:3]
; %bb.1091:
	s_mov_b32 s6, 0x7f800000
	v_mov_b32_e32 v5, 0x7c
	v_mov_b32_e32 v7, 0x7f
	v_cmp_lt_u32_e32 vcc, s6, v6
	v_cndmask_b32_e32 v5, v5, v7, vcc
; %bb.1092:
	s_or_b64 exec, exec, s[2:3]
	v_lshrrev_b32_e32 v3, 24, v3
	s_movk_i32 s2, 0x80
	v_and_or_b32 v3, v3, s2, v5
.LBB242_1093:
	s_mov_b64 s[2:3], 0
.LBB242_1094:
	s_andn2_b64 vcc, exec, s[2:3]
	s_cbranch_vccnz .LBB242_1104
; %bb.1095:
	global_load_dword v3, v[1:2], off
	s_mov_b32 s2, 0x47800000
                                        ; implicit-def: $vgpr5
	s_waitcnt vmcnt(0)
	v_cvt_f32_f16_e32 v3, v3
	v_and_b32_e32 v6, 0x7fffffff, v3
	v_cmp_gt_u32_e32 vcc, s2, v6
	s_and_saveexec_b64 s[2:3], vcc
	s_xor_b64 s[2:3], exec, s[2:3]
	s_cbranch_execz .LBB242_1101
; %bb.1096:
	s_mov_b32 s6, 0x387fffff
	v_cmp_lt_u32_e32 vcc, s6, v6
                                        ; implicit-def: $vgpr5
	s_and_saveexec_b64 s[6:7], vcc
	s_xor_b64 s[6:7], exec, s[6:7]
; %bb.1097:
	v_bfe_u32 v5, v3, 21, 1
	s_mov_b32 s10, 0x80fffff
	v_add3_u32 v5, v3, v5, s10
	v_lshrrev_b32_e32 v5, 21, v5
; %bb.1098:
	s_andn2_saveexec_b64 s[6:7], s[6:7]
; %bb.1099:
	s_mov_b32 s10, 0x43000000
	v_add_f32_e64 v5, |v3|, s10
; %bb.1100:
	s_or_b64 exec, exec, s[6:7]
                                        ; implicit-def: $vgpr6
.LBB242_1101:
	s_andn2_saveexec_b64 s[2:3], s[2:3]
; %bb.1102:
	s_mov_b32 s6, 0x7f800000
	v_mov_b32_e32 v5, 0x7c
	v_mov_b32_e32 v7, 0x7f
	v_cmp_lt_u32_e32 vcc, s6, v6
	v_cndmask_b32_e32 v5, v5, v7, vcc
; %bb.1103:
	s_or_b64 exec, exec, s[2:3]
	v_lshrrev_b32_e32 v3, 24, v3
	s_movk_i32 s2, 0x80
	v_and_or_b32 v3, v3, s2, v5
.LBB242_1104:
	s_mov_b64 s[2:3], 0
.LBB242_1105:
	s_andn2_b64 vcc, exec, s[2:3]
	s_cbranch_vccnz .LBB242_1140
; %bb.1106:
	s_cmp_lt_i32 s12, 6
	s_cbranch_scc1 .LBB242_1117
; %bb.1107:
	s_cmp_gt_i32 s12, 6
	s_cbranch_scc0 .LBB242_1118
; %bb.1108:
	global_load_dwordx2 v[5:6], v[1:2], off
	s_mov_b32 s2, 0x47800000
	s_waitcnt vmcnt(0)
	v_cvt_f32_f64_e32 v3, v[5:6]
                                        ; implicit-def: $vgpr5
	v_and_b32_e32 v6, 0x7fffffff, v3
	v_cmp_gt_u32_e32 vcc, s2, v6
	s_and_saveexec_b64 s[2:3], vcc
	s_xor_b64 s[2:3], exec, s[2:3]
	s_cbranch_execz .LBB242_1114
; %bb.1109:
	s_mov_b32 s6, 0x387fffff
	v_cmp_lt_u32_e32 vcc, s6, v6
                                        ; implicit-def: $vgpr5
	s_and_saveexec_b64 s[6:7], vcc
	s_xor_b64 s[6:7], exec, s[6:7]
; %bb.1110:
	v_bfe_u32 v5, v3, 21, 1
	s_mov_b32 s10, 0x80fffff
	v_add3_u32 v5, v3, v5, s10
	v_lshrrev_b32_e32 v5, 21, v5
; %bb.1111:
	s_andn2_saveexec_b64 s[6:7], s[6:7]
; %bb.1112:
	s_mov_b32 s10, 0x43000000
	v_add_f32_e64 v5, |v3|, s10
; %bb.1113:
	s_or_b64 exec, exec, s[6:7]
                                        ; implicit-def: $vgpr6
.LBB242_1114:
	s_andn2_saveexec_b64 s[2:3], s[2:3]
; %bb.1115:
	s_mov_b32 s6, 0x7f800000
	v_mov_b32_e32 v5, 0x7c
	v_mov_b32_e32 v7, 0x7f
	v_cmp_lt_u32_e32 vcc, s6, v6
	v_cndmask_b32_e32 v5, v5, v7, vcc
; %bb.1116:
	s_or_b64 exec, exec, s[2:3]
	v_lshrrev_b32_e32 v3, 24, v3
	s_movk_i32 s2, 0x80
	v_and_or_b32 v3, v3, s2, v5
	s_mov_b64 s[2:3], 0
	s_branch .LBB242_1119
.LBB242_1117:
	s_mov_b64 s[2:3], -1
                                        ; implicit-def: $vgpr3
	s_branch .LBB242_1130
.LBB242_1118:
	s_mov_b64 s[2:3], -1
                                        ; implicit-def: $vgpr3
.LBB242_1119:
	s_and_b64 vcc, exec, s[2:3]
	s_cbranch_vccz .LBB242_1129
; %bb.1120:
	global_load_dword v3, v[1:2], off
	s_mov_b32 s2, 0x47800000
                                        ; implicit-def: $vgpr5
	s_waitcnt vmcnt(0)
	v_and_b32_e32 v6, 0x7fffffff, v3
	v_cmp_gt_u32_e32 vcc, s2, v6
	s_and_saveexec_b64 s[2:3], vcc
	s_xor_b64 s[2:3], exec, s[2:3]
	s_cbranch_execz .LBB242_1126
; %bb.1121:
	s_mov_b32 s6, 0x387fffff
	v_cmp_lt_u32_e32 vcc, s6, v6
                                        ; implicit-def: $vgpr5
	s_and_saveexec_b64 s[6:7], vcc
	s_xor_b64 s[6:7], exec, s[6:7]
; %bb.1122:
	v_bfe_u32 v5, v3, 21, 1
	s_mov_b32 s10, 0x80fffff
	v_add3_u32 v5, v3, v5, s10
	v_lshrrev_b32_e32 v5, 21, v5
; %bb.1123:
	s_andn2_saveexec_b64 s[6:7], s[6:7]
; %bb.1124:
	s_mov_b32 s10, 0x43000000
	v_add_f32_e64 v5, |v3|, s10
; %bb.1125:
	s_or_b64 exec, exec, s[6:7]
                                        ; implicit-def: $vgpr6
.LBB242_1126:
	s_andn2_saveexec_b64 s[2:3], s[2:3]
; %bb.1127:
	s_mov_b32 s6, 0x7f800000
	v_mov_b32_e32 v5, 0x7c
	v_mov_b32_e32 v7, 0x7f
	v_cmp_lt_u32_e32 vcc, s6, v6
	v_cndmask_b32_e32 v5, v5, v7, vcc
; %bb.1128:
	s_or_b64 exec, exec, s[2:3]
	v_lshrrev_b32_e32 v3, 24, v3
	s_movk_i32 s2, 0x80
	v_and_or_b32 v3, v3, s2, v5
.LBB242_1129:
	s_mov_b64 s[2:3], 0
.LBB242_1130:
	s_andn2_b64 vcc, exec, s[2:3]
	s_cbranch_vccnz .LBB242_1140
; %bb.1131:
	global_load_ushort v3, v[1:2], off
	s_mov_b32 s2, 0x47800000
                                        ; implicit-def: $vgpr5
	s_waitcnt vmcnt(0)
	v_cvt_f32_f16_e32 v3, v3
	v_and_b32_e32 v6, 0x7fffffff, v3
	v_cmp_gt_u32_e32 vcc, s2, v6
	s_and_saveexec_b64 s[2:3], vcc
	s_xor_b64 s[2:3], exec, s[2:3]
	s_cbranch_execz .LBB242_1137
; %bb.1132:
	s_mov_b32 s6, 0x387fffff
	v_cmp_lt_u32_e32 vcc, s6, v6
                                        ; implicit-def: $vgpr5
	s_and_saveexec_b64 s[6:7], vcc
	s_xor_b64 s[6:7], exec, s[6:7]
; %bb.1133:
	v_bfe_u32 v5, v3, 21, 1
	s_mov_b32 s10, 0x80fffff
	v_add3_u32 v5, v3, v5, s10
	v_lshrrev_b32_e32 v5, 21, v5
; %bb.1134:
	s_andn2_saveexec_b64 s[6:7], s[6:7]
; %bb.1135:
	s_mov_b32 s10, 0x43000000
	v_add_f32_e64 v5, |v3|, s10
; %bb.1136:
	s_or_b64 exec, exec, s[6:7]
                                        ; implicit-def: $vgpr6
.LBB242_1137:
	s_andn2_saveexec_b64 s[2:3], s[2:3]
; %bb.1138:
	s_mov_b32 s6, 0x7f800000
	v_mov_b32_e32 v5, 0x7c
	v_mov_b32_e32 v7, 0x7f
	v_cmp_lt_u32_e32 vcc, s6, v6
	v_cndmask_b32_e32 v5, v5, v7, vcc
; %bb.1139:
	s_or_b64 exec, exec, s[2:3]
	v_lshrrev_b32_e32 v3, 24, v3
	s_movk_i32 s2, 0x80
	v_and_or_b32 v3, v3, s2, v5
.LBB242_1140:
	s_mov_b64 s[2:3], 0
.LBB242_1141:
	s_andn2_b64 vcc, exec, s[2:3]
	s_cbranch_vccnz .LBB242_1201
; %bb.1142:
	s_cmp_lt_i32 s12, 2
	s_cbranch_scc1 .LBB242_1154
; %bb.1143:
	s_cmp_lt_i32 s12, 3
	s_cbranch_scc1 .LBB242_1155
; %bb.1144:
	s_cmp_gt_i32 s12, 3
	s_cbranch_scc0 .LBB242_1156
; %bb.1145:
	global_load_dwordx2 v[5:6], v[1:2], off
	s_mov_b32 s2, 0x47800000
	s_waitcnt vmcnt(0)
	v_xor_b32_e32 v7, v5, v6
	v_ffbh_i32_e32 v3, v6
	v_ashrrev_i32_e32 v7, 31, v7
	v_add_u32_e32 v3, -1, v3
	v_add_u32_e32 v7, 32, v7
	v_min_u32_e32 v3, v3, v7
	v_lshlrev_b64 v[5:6], v3, v[5:6]
	v_sub_u32_e32 v3, 32, v3
	v_min_u32_e32 v5, 1, v5
	v_or_b32_e32 v5, v6, v5
	v_cvt_f32_i32_e32 v5, v5
	v_ldexp_f32 v3, v5, v3
	v_and_b32_e32 v6, 0x7fffffff, v3
	v_cmp_gt_u32_e32 vcc, s2, v6
                                        ; implicit-def: $vgpr5
	s_and_saveexec_b64 s[2:3], vcc
	s_xor_b64 s[2:3], exec, s[2:3]
	s_cbranch_execz .LBB242_1151
; %bb.1146:
	s_mov_b32 s6, 0x387fffff
	v_cmp_lt_u32_e32 vcc, s6, v6
                                        ; implicit-def: $vgpr5
	s_and_saveexec_b64 s[6:7], vcc
	s_xor_b64 s[6:7], exec, s[6:7]
; %bb.1147:
	v_bfe_u32 v5, v3, 21, 1
	s_mov_b32 s10, 0x80fffff
	v_add3_u32 v5, v3, v5, s10
	v_lshrrev_b32_e32 v5, 21, v5
; %bb.1148:
	s_andn2_saveexec_b64 s[6:7], s[6:7]
; %bb.1149:
	s_mov_b32 s10, 0x43000000
	v_add_f32_e64 v5, |v3|, s10
; %bb.1150:
	s_or_b64 exec, exec, s[6:7]
                                        ; implicit-def: $vgpr6
.LBB242_1151:
	s_andn2_saveexec_b64 s[2:3], s[2:3]
; %bb.1152:
	s_mov_b32 s6, 0x7f800000
	v_mov_b32_e32 v5, 0x7c
	v_mov_b32_e32 v7, 0x7f
	v_cmp_lt_u32_e32 vcc, s6, v6
	v_cndmask_b32_e32 v5, v5, v7, vcc
; %bb.1153:
	s_or_b64 exec, exec, s[2:3]
	v_lshrrev_b32_e32 v3, 24, v3
	s_movk_i32 s2, 0x80
	v_and_or_b32 v3, v3, s2, v5
	s_mov_b64 s[2:3], 0
	s_branch .LBB242_1157
.LBB242_1154:
	s_mov_b64 s[2:3], -1
                                        ; implicit-def: $vgpr3
	s_branch .LBB242_1179
.LBB242_1155:
	s_mov_b64 s[2:3], -1
                                        ; implicit-def: $vgpr3
	s_branch .LBB242_1168
.LBB242_1156:
	s_mov_b64 s[2:3], -1
                                        ; implicit-def: $vgpr3
.LBB242_1157:
	s_and_b64 vcc, exec, s[2:3]
	s_cbranch_vccz .LBB242_1167
; %bb.1158:
	global_load_dword v3, v[1:2], off
	s_mov_b32 s2, 0x47800000
                                        ; implicit-def: $vgpr5
	s_waitcnt vmcnt(0)
	v_cvt_f32_i32_e32 v3, v3
	v_and_b32_e32 v6, 0x7fffffff, v3
	v_cmp_gt_u32_e32 vcc, s2, v6
	s_and_saveexec_b64 s[2:3], vcc
	s_xor_b64 s[2:3], exec, s[2:3]
	s_cbranch_execz .LBB242_1164
; %bb.1159:
	s_mov_b32 s6, 0x387fffff
	v_cmp_lt_u32_e32 vcc, s6, v6
                                        ; implicit-def: $vgpr5
	s_and_saveexec_b64 s[6:7], vcc
	s_xor_b64 s[6:7], exec, s[6:7]
; %bb.1160:
	v_bfe_u32 v5, v3, 21, 1
	s_mov_b32 s10, 0x80fffff
	v_add3_u32 v5, v3, v5, s10
	v_lshrrev_b32_e32 v5, 21, v5
; %bb.1161:
	s_andn2_saveexec_b64 s[6:7], s[6:7]
; %bb.1162:
	s_mov_b32 s10, 0x43000000
	v_add_f32_e64 v5, |v3|, s10
; %bb.1163:
	s_or_b64 exec, exec, s[6:7]
                                        ; implicit-def: $vgpr6
.LBB242_1164:
	s_andn2_saveexec_b64 s[2:3], s[2:3]
; %bb.1165:
	s_mov_b32 s6, 0x7f800000
	v_mov_b32_e32 v5, 0x7c
	v_mov_b32_e32 v7, 0x7f
	v_cmp_lt_u32_e32 vcc, s6, v6
	v_cndmask_b32_e32 v5, v5, v7, vcc
; %bb.1166:
	s_or_b64 exec, exec, s[2:3]
	v_lshrrev_b32_e32 v3, 24, v3
	s_movk_i32 s2, 0x80
	v_and_or_b32 v3, v3, s2, v5
.LBB242_1167:
	s_mov_b64 s[2:3], 0
.LBB242_1168:
	s_andn2_b64 vcc, exec, s[2:3]
	s_cbranch_vccnz .LBB242_1178
; %bb.1169:
	global_load_sshort v3, v[1:2], off
	s_mov_b32 s2, 0x47800000
                                        ; implicit-def: $vgpr5
	s_waitcnt vmcnt(0)
	v_cvt_f32_i32_e32 v3, v3
	v_and_b32_e32 v6, 0x7fffffff, v3
	v_cmp_gt_u32_e32 vcc, s2, v6
	s_and_saveexec_b64 s[2:3], vcc
	s_xor_b64 s[2:3], exec, s[2:3]
	s_cbranch_execz .LBB242_1175
; %bb.1170:
	s_mov_b32 s6, 0x387fffff
	v_cmp_lt_u32_e32 vcc, s6, v6
                                        ; implicit-def: $vgpr5
	s_and_saveexec_b64 s[6:7], vcc
	s_xor_b64 s[6:7], exec, s[6:7]
; %bb.1171:
	v_bfe_u32 v5, v3, 21, 1
	s_mov_b32 s10, 0x80fffff
	v_add3_u32 v5, v3, v5, s10
	v_lshrrev_b32_e32 v5, 21, v5
; %bb.1172:
	s_andn2_saveexec_b64 s[6:7], s[6:7]
; %bb.1173:
	s_mov_b32 s10, 0x43000000
	v_add_f32_e64 v5, |v3|, s10
; %bb.1174:
	s_or_b64 exec, exec, s[6:7]
                                        ; implicit-def: $vgpr6
.LBB242_1175:
	s_andn2_saveexec_b64 s[2:3], s[2:3]
; %bb.1176:
	s_mov_b32 s6, 0x7f800000
	v_mov_b32_e32 v5, 0x7c
	v_mov_b32_e32 v7, 0x7f
	v_cmp_lt_u32_e32 vcc, s6, v6
	v_cndmask_b32_e32 v5, v5, v7, vcc
; %bb.1177:
	s_or_b64 exec, exec, s[2:3]
	v_lshrrev_b32_e32 v3, 24, v3
	s_movk_i32 s2, 0x80
	v_and_or_b32 v3, v3, s2, v5
.LBB242_1178:
	s_mov_b64 s[2:3], 0
.LBB242_1179:
	s_andn2_b64 vcc, exec, s[2:3]
	s_cbranch_vccnz .LBB242_1201
; %bb.1180:
	s_cmp_gt_i32 s12, 0
	s_cbranch_scc0 .LBB242_1190
; %bb.1181:
	global_load_sbyte v3, v[1:2], off
	s_mov_b32 s2, 0x47800000
                                        ; implicit-def: $vgpr5
	s_waitcnt vmcnt(0)
	v_cvt_f32_i32_e32 v3, v3
	v_and_b32_e32 v6, 0x7fffffff, v3
	v_cmp_gt_u32_e32 vcc, s2, v6
	s_and_saveexec_b64 s[2:3], vcc
	s_xor_b64 s[2:3], exec, s[2:3]
	s_cbranch_execz .LBB242_1187
; %bb.1182:
	s_mov_b32 s6, 0x387fffff
	v_cmp_lt_u32_e32 vcc, s6, v6
                                        ; implicit-def: $vgpr5
	s_and_saveexec_b64 s[6:7], vcc
	s_xor_b64 s[6:7], exec, s[6:7]
; %bb.1183:
	v_bfe_u32 v5, v3, 21, 1
	s_mov_b32 s10, 0x80fffff
	v_add3_u32 v5, v3, v5, s10
	v_lshrrev_b32_e32 v5, 21, v5
; %bb.1184:
	s_andn2_saveexec_b64 s[6:7], s[6:7]
; %bb.1185:
	s_mov_b32 s10, 0x43000000
	v_add_f32_e64 v5, |v3|, s10
; %bb.1186:
	s_or_b64 exec, exec, s[6:7]
                                        ; implicit-def: $vgpr6
.LBB242_1187:
	s_andn2_saveexec_b64 s[2:3], s[2:3]
; %bb.1188:
	s_mov_b32 s6, 0x7f800000
	v_mov_b32_e32 v5, 0x7c
	v_mov_b32_e32 v7, 0x7f
	v_cmp_lt_u32_e32 vcc, s6, v6
	v_cndmask_b32_e32 v5, v5, v7, vcc
; %bb.1189:
	s_or_b64 exec, exec, s[2:3]
	v_lshrrev_b32_e32 v3, 24, v3
	s_movk_i32 s2, 0x80
	v_and_or_b32 v3, v3, s2, v5
	s_mov_b64 s[2:3], 0
	s_branch .LBB242_1191
.LBB242_1190:
	s_mov_b64 s[2:3], -1
                                        ; implicit-def: $vgpr3
.LBB242_1191:
	s_and_b64 vcc, exec, s[2:3]
	s_cbranch_vccz .LBB242_1201
; %bb.1192:
	global_load_ubyte v1, v[1:2], off
	s_mov_b32 s2, 0x47800000
                                        ; implicit-def: $vgpr3
	s_waitcnt vmcnt(0)
	v_cvt_f32_ubyte0_e32 v1, v1
	v_cmp_gt_u32_e32 vcc, s2, v1
	s_and_saveexec_b64 s[2:3], vcc
	s_xor_b64 s[2:3], exec, s[2:3]
	s_cbranch_execz .LBB242_1198
; %bb.1193:
	s_mov_b32 s6, 0x387fffff
	v_cmp_lt_u32_e32 vcc, s6, v1
                                        ; implicit-def: $vgpr3
	s_and_saveexec_b64 s[6:7], vcc
	s_xor_b64 s[6:7], exec, s[6:7]
; %bb.1194:
	v_bfe_u32 v2, v1, 21, 1
	s_mov_b32 s10, 0x80fffff
	v_add3_u32 v1, v1, v2, s10
	v_lshrrev_b32_e32 v3, 21, v1
                                        ; implicit-def: $vgpr1
; %bb.1195:
	s_andn2_saveexec_b64 s[6:7], s[6:7]
; %bb.1196:
	v_add_f32_e32 v3, 0x43000000, v1
; %bb.1197:
	s_or_b64 exec, exec, s[6:7]
                                        ; implicit-def: $vgpr1
.LBB242_1198:
	s_andn2_saveexec_b64 s[2:3], s[2:3]
; %bb.1199:
	s_mov_b32 s6, 0x7f800000
	v_mov_b32_e32 v2, 0x7c
	v_mov_b32_e32 v3, 0x7f
	v_cmp_lt_u32_e32 vcc, s6, v1
	v_cndmask_b32_e32 v3, v2, v3, vcc
; %bb.1200:
	s_or_b64 exec, exec, s[2:3]
.LBB242_1201:
	s_mov_b64 s[2:3], -1
.LBB242_1202:
	s_andn2_b64 vcc, exec, s[2:3]
	s_cbranch_vccnz .LBB242_1210
; %bb.1203:
	s_waitcnt vmcnt(0)
	v_lshlrev_b32_e32 v2, 25, v3
	v_lshlrev_b16_e32 v1, 8, v3
	v_lshrrev_b32_e32 v3, 4, v2
	s_movk_i32 s2, 0x7f00
	v_or_b32_e32 v3, 0x70000000, v3
	v_and_or_b32 v5, v1, s2, 0.5
	s_brev_b32 s2, 16
	v_add_f32_e32 v5, -0.5, v5
	v_mul_f32_e32 v3, 0x7800000, v3
	v_cmp_gt_u32_e32 vcc, s2, v2
	v_cndmask_b32_e32 v2, v3, v5, vcc
	v_bfe_i32 v1, v1, 0, 16
	s_brev_b32 s2, 1
	v_and_or_b32 v1, v1, s2, v2
	v_cmp_eq_f32_e32 vcc, v4, v1
	v_cndmask_b32_e64 v2, 0, 1, vcc
	v_cmp_neq_f32_e32 vcc, v4, v1
	v_cndmask_b32_e64 v1, 0, 1, vcc
	v_cndmask_b32_e64 v1, v1, v2, s[0:1]
	v_and_b32_e32 v1, 1, v1
	v_cmp_eq_u32_e64 s[2:3], 1, v1
	v_mov_b32_e32 v1, s25
	s_and_b32 s16, s75, 0xff
	v_add_co_u32_e32 v0, vcc, s24, v0
	s_cmp_lt_i32 s16, 11
	v_addc_co_u32_e32 v1, vcc, 0, v1, vcc
	s_cbranch_scc1 .LBB242_1211
; %bb.1204:
	s_and_b32 s17, 0xffff, s16
	s_cmp_gt_i32 s17, 25
	s_cbranch_scc0 .LBB242_1212
; %bb.1205:
	s_cmp_gt_i32 s17, 28
	s_cbranch_scc0 .LBB242_1213
; %bb.1206:
	;; [unrolled: 3-line block ×4, first 2 shown]
	s_mov_b64 s[12:13], 0
	s_mov_b64 s[6:7], -1
	s_cmp_eq_u32 s17, 46
	s_mov_b64 s[10:11], 0
	s_cbranch_scc0 .LBB242_1216
; %bb.1209:
	v_cndmask_b32_e64 v2, 0, 1.0, s[2:3]
	v_bfe_u32 v3, v2, 16, 1
	s_movk_i32 s6, 0x7fff
	v_add3_u32 v2, v2, v3, s6
	v_lshrrev_b32_e32 v2, 16, v2
	global_store_dword v[0:1], v2, off
	s_mov_b64 s[10:11], -1
	s_mov_b64 s[6:7], 0
	s_branch .LBB242_1216
.LBB242_1210:
	s_mov_b64 s[10:11], 0
	s_mov_b64 s[6:7], s[66:67]
	s_branch .LBB242_1327
.LBB242_1211:
	s_mov_b64 s[12:13], -1
	s_mov_b64 s[10:11], 0
	s_mov_b64 s[6:7], s[66:67]
	s_branch .LBB242_1285
.LBB242_1212:
	s_mov_b64 s[12:13], -1
	s_mov_b64 s[10:11], 0
	s_mov_b64 s[6:7], s[66:67]
	s_branch .LBB242_1243
.LBB242_1213:
	s_mov_b64 s[12:13], -1
	s_mov_b64 s[10:11], 0
	s_mov_b64 s[6:7], s[66:67]
	s_branch .LBB242_1226
.LBB242_1214:
	s_mov_b64 s[12:13], -1
	s_mov_b64 s[10:11], 0
	s_mov_b64 s[6:7], s[66:67]
	s_branch .LBB242_1222
.LBB242_1215:
	s_mov_b64 s[12:13], -1
	s_mov_b64 s[10:11], 0
	s_mov_b64 s[6:7], s[66:67]
.LBB242_1216:
	s_and_b64 vcc, exec, s[12:13]
	s_cbranch_vccz .LBB242_1221
; %bb.1217:
	s_cmp_eq_u32 s17, 44
	s_mov_b64 s[6:7], -1
	s_cbranch_scc0 .LBB242_1221
; %bb.1218:
	v_cndmask_b32_e64 v3, 0, 1.0, s[2:3]
	v_lshrrev_b32_e32 v2, 23, v3
	s_movk_i32 s6, 0xff
	v_cmp_ne_u32_e32 vcc, s6, v2
	v_mov_b32_e32 v5, 0xff
	s_and_saveexec_b64 s[10:11], vcc
; %bb.1219:
	s_mov_b32 s6, 0x3fffff
	v_and_b32_e32 v5, 0x400000, v3
	v_and_or_b32 v3, v3, s6, v2
	v_cmp_ne_u32_e32 vcc, 0, v5
	v_cmp_ne_u32_e64 s[6:7], 0, v3
	s_and_b64 s[6:7], vcc, s[6:7]
	v_cndmask_b32_e64 v3, 0, 1, s[6:7]
	v_add_u32_e32 v5, v2, v3
; %bb.1220:
	s_or_b64 exec, exec, s[10:11]
	s_mov_b64 s[10:11], -1
	s_mov_b64 s[6:7], 0
	global_store_byte v[0:1], v5, off
.LBB242_1221:
	s_mov_b64 s[12:13], 0
.LBB242_1222:
	s_and_b64 vcc, exec, s[12:13]
	s_cbranch_vccz .LBB242_1225
; %bb.1223:
	s_cmp_eq_u32 s17, 29
	s_mov_b64 s[6:7], -1
	s_cbranch_scc0 .LBB242_1225
; %bb.1224:
	s_mov_b32 s6, 0
	v_cndmask_b32_e64 v2, 0, 1, s[2:3]
	v_mov_b32_e32 v3, s6
	global_store_dwordx2 v[0:1], v[2:3], off
	s_mov_b64 s[10:11], -1
	s_mov_b64 s[6:7], 0
.LBB242_1225:
	s_mov_b64 s[12:13], 0
.LBB242_1226:
	s_and_b64 vcc, exec, s[12:13]
	s_cbranch_vccz .LBB242_1242
; %bb.1227:
	s_cmp_lt_i32 s17, 27
	s_mov_b64 s[10:11], -1
	s_cbranch_scc1 .LBB242_1233
; %bb.1228:
	s_cmp_gt_i32 s17, 27
	s_cbranch_scc0 .LBB242_1230
; %bb.1229:
	v_cndmask_b32_e64 v2, 0, 1, s[2:3]
	s_mov_b64 s[10:11], 0
	global_store_dword v[0:1], v2, off
.LBB242_1230:
	s_andn2_b64 vcc, exec, s[10:11]
	s_cbranch_vccnz .LBB242_1232
; %bb.1231:
	v_cndmask_b32_e64 v2, 0, 1, s[2:3]
	global_store_short v[0:1], v2, off
.LBB242_1232:
	s_mov_b64 s[10:11], 0
.LBB242_1233:
	s_andn2_b64 vcc, exec, s[10:11]
	s_cbranch_vccnz .LBB242_1241
; %bb.1234:
	v_cndmask_b32_e64 v3, 0, 1.0, s[2:3]
	s_mov_b32 s10, 0x43800000
	v_cmp_gt_u32_e32 vcc, s10, v3
	v_mov_b32_e32 v5, 0x80
	s_and_saveexec_b64 s[10:11], vcc
	s_cbranch_execz .LBB242_1240
; %bb.1235:
	s_mov_b32 s12, 0x3bffffff
	v_cmp_lt_u32_e32 vcc, s12, v3
	s_mov_b64 s[12:13], 0
                                        ; implicit-def: $vgpr2
	s_and_saveexec_b64 s[14:15], vcc
	s_xor_b64 s[14:15], exec, s[14:15]
	s_cbranch_execz .LBB242_1365
; %bb.1236:
	v_bfe_u32 v2, v3, 20, 1
	s_mov_b32 s18, 0x487ffff
	v_add3_u32 v2, v3, v2, s18
	s_mov_b64 s[12:13], exec
	v_lshrrev_b32_e32 v2, 20, v2
                                        ; implicit-def: $vgpr3
	s_andn2_saveexec_b64 s[14:15], s[14:15]
	s_cbranch_execnz .LBB242_1366
.LBB242_1237:
	s_or_b64 exec, exec, s[14:15]
	v_mov_b32_e32 v5, 0
	s_and_saveexec_b64 s[14:15], s[12:13]
.LBB242_1238:
	v_mov_b32_e32 v5, v2
.LBB242_1239:
	s_or_b64 exec, exec, s[14:15]
.LBB242_1240:
	s_or_b64 exec, exec, s[10:11]
	global_store_byte v[0:1], v5, off
.LBB242_1241:
	s_mov_b64 s[10:11], -1
.LBB242_1242:
	s_mov_b64 s[12:13], 0
.LBB242_1243:
	s_and_b64 vcc, exec, s[12:13]
	s_cbranch_vccz .LBB242_1284
; %bb.1244:
	s_cmp_gt_i32 s17, 22
	s_mov_b64 s[12:13], -1
	s_cbranch_scc0 .LBB242_1276
; %bb.1245:
	s_cmp_lt_i32 s17, 24
	s_mov_b64 s[10:11], -1
	s_cbranch_scc1 .LBB242_1265
; %bb.1246:
	s_cmp_gt_i32 s17, 24
	s_cbranch_scc0 .LBB242_1254
; %bb.1247:
	v_cndmask_b32_e64 v3, 0, 1.0, s[2:3]
	s_mov_b32 s10, 0x47800000
	v_cmp_gt_u32_e32 vcc, s10, v3
	v_mov_b32_e32 v5, 0x80
	s_and_saveexec_b64 s[10:11], vcc
	s_cbranch_execz .LBB242_1253
; %bb.1248:
	s_mov_b32 s12, 0x37ffffff
	v_cmp_lt_u32_e32 vcc, s12, v3
	s_mov_b64 s[12:13], 0
                                        ; implicit-def: $vgpr2
	s_and_saveexec_b64 s[14:15], vcc
	s_xor_b64 s[14:15], exec, s[14:15]
	s_cbranch_execz .LBB242_1368
; %bb.1249:
	v_bfe_u32 v2, v3, 21, 1
	s_mov_b32 s18, 0x88fffff
	v_add3_u32 v2, v3, v2, s18
	s_mov_b64 s[12:13], exec
	v_lshrrev_b32_e32 v2, 21, v2
                                        ; implicit-def: $vgpr3
	s_andn2_saveexec_b64 s[14:15], s[14:15]
	s_cbranch_execnz .LBB242_1369
.LBB242_1250:
	s_or_b64 exec, exec, s[14:15]
	v_mov_b32_e32 v5, 0
	s_and_saveexec_b64 s[14:15], s[12:13]
.LBB242_1251:
	v_mov_b32_e32 v5, v2
.LBB242_1252:
	s_or_b64 exec, exec, s[14:15]
.LBB242_1253:
	s_or_b64 exec, exec, s[10:11]
	s_mov_b64 s[10:11], 0
	global_store_byte v[0:1], v5, off
.LBB242_1254:
	s_and_b64 vcc, exec, s[10:11]
	s_cbranch_vccz .LBB242_1264
; %bb.1255:
	v_cndmask_b32_e64 v2, 0, 1.0, s[2:3]
	s_mov_b32 s10, 0x43f00000
	v_cmp_gt_u32_e32 vcc, s10, v2
                                        ; implicit-def: $vgpr3
	s_and_saveexec_b64 s[10:11], vcc
	s_xor_b64 s[10:11], exec, s[10:11]
	s_cbranch_execz .LBB242_1261
; %bb.1256:
	s_mov_b32 s12, 0x3c7fffff
	v_cmp_lt_u32_e32 vcc, s12, v2
                                        ; implicit-def: $vgpr3
	s_and_saveexec_b64 s[12:13], vcc
	s_xor_b64 s[12:13], exec, s[12:13]
; %bb.1257:
	v_bfe_u32 v3, v2, 20, 1
	s_mov_b32 s14, 0x407ffff
	v_add3_u32 v2, v2, v3, s14
	v_lshrrev_b32_e32 v3, 20, v2
	v_and_b32_e32 v2, 0xff00000, v2
	s_mov_b32 s14, 0x7f00000
	v_mov_b32_e32 v5, 0x7e
	v_cmp_ne_u32_e32 vcc, s14, v2
	v_cndmask_b32_e32 v3, v5, v3, vcc
                                        ; implicit-def: $vgpr2
; %bb.1258:
	s_andn2_saveexec_b64 s[12:13], s[12:13]
; %bb.1259:
	v_add_f32_e32 v3, 0x46800000, v2
; %bb.1260:
	s_or_b64 exec, exec, s[12:13]
                                        ; implicit-def: $vgpr2
.LBB242_1261:
	s_andn2_saveexec_b64 s[10:11], s[10:11]
; %bb.1262:
	s_mov_b32 s12, 0x7f800000
	v_mov_b32_e32 v3, 0x7e
	v_mov_b32_e32 v5, 0x7f
	v_cmp_lt_u32_e32 vcc, s12, v2
	v_cndmask_b32_e32 v3, v3, v5, vcc
; %bb.1263:
	s_or_b64 exec, exec, s[10:11]
	global_store_byte v[0:1], v3, off
.LBB242_1264:
	s_mov_b64 s[10:11], 0
.LBB242_1265:
	s_andn2_b64 vcc, exec, s[10:11]
	s_cbranch_vccnz .LBB242_1275
; %bb.1266:
	v_cndmask_b32_e64 v2, 0, 1.0, s[2:3]
	s_mov_b32 s10, 0x47800000
	v_cmp_gt_u32_e32 vcc, s10, v2
                                        ; implicit-def: $vgpr3
	s_and_saveexec_b64 s[10:11], vcc
	s_xor_b64 s[10:11], exec, s[10:11]
	s_cbranch_execz .LBB242_1272
; %bb.1267:
	s_mov_b32 s12, 0x387fffff
	v_cmp_lt_u32_e32 vcc, s12, v2
                                        ; implicit-def: $vgpr3
	s_and_saveexec_b64 s[12:13], vcc
	s_xor_b64 s[12:13], exec, s[12:13]
; %bb.1268:
	v_bfe_u32 v3, v2, 21, 1
	s_mov_b32 s14, 0x80fffff
	v_add3_u32 v2, v2, v3, s14
	v_lshrrev_b32_e32 v3, 21, v2
                                        ; implicit-def: $vgpr2
; %bb.1269:
	s_andn2_saveexec_b64 s[12:13], s[12:13]
; %bb.1270:
	v_add_f32_e32 v3, 0x43000000, v2
; %bb.1271:
	s_or_b64 exec, exec, s[12:13]
                                        ; implicit-def: $vgpr2
.LBB242_1272:
	s_andn2_saveexec_b64 s[10:11], s[10:11]
; %bb.1273:
	s_mov_b32 s12, 0x7f800000
	v_mov_b32_e32 v3, 0x7c
	v_mov_b32_e32 v5, 0x7f
	v_cmp_lt_u32_e32 vcc, s12, v2
	v_cndmask_b32_e32 v3, v3, v5, vcc
; %bb.1274:
	s_or_b64 exec, exec, s[10:11]
	global_store_byte v[0:1], v3, off
.LBB242_1275:
	s_mov_b64 s[12:13], 0
	s_mov_b64 s[10:11], -1
.LBB242_1276:
	s_andn2_b64 vcc, exec, s[12:13]
	s_cbranch_vccnz .LBB242_1284
; %bb.1277:
	s_cmp_gt_i32 s17, 14
	s_mov_b64 s[12:13], -1
	s_cbranch_scc0 .LBB242_1281
; %bb.1278:
	s_cmp_eq_u32 s17, 15
	s_mov_b64 s[6:7], -1
	s_cbranch_scc0 .LBB242_1280
; %bb.1279:
	v_cndmask_b32_e64 v2, 0, 1.0, s[2:3]
	v_bfe_u32 v3, v2, 16, 1
	s_movk_i32 s6, 0x7fff
	v_add3_u32 v2, v2, v3, s6
	global_store_short_d16_hi v[0:1], v2, off
	s_mov_b64 s[10:11], -1
	s_mov_b64 s[6:7], 0
.LBB242_1280:
	s_mov_b64 s[12:13], 0
.LBB242_1281:
	s_and_b64 vcc, exec, s[12:13]
	s_cbranch_vccz .LBB242_1284
; %bb.1282:
	s_cmp_eq_u32 s17, 11
	s_mov_b64 s[6:7], -1
	s_cbranch_scc0 .LBB242_1284
; %bb.1283:
	v_cndmask_b32_e64 v2, 0, 1, s[2:3]
	s_mov_b64 s[10:11], -1
	s_mov_b64 s[6:7], 0
	global_store_byte v[0:1], v2, off
.LBB242_1284:
	s_mov_b64 s[12:13], 0
.LBB242_1285:
	s_and_b64 vcc, exec, s[12:13]
	s_cbranch_vccz .LBB242_1324
; %bb.1286:
	s_and_b32 s12, 0xffff, s16
	s_cmp_lt_i32 s12, 5
	s_mov_b64 s[10:11], -1
	s_cbranch_scc1 .LBB242_1307
; %bb.1287:
	s_cmp_lt_i32 s12, 8
	s_cbranch_scc1 .LBB242_1297
; %bb.1288:
	s_cmp_lt_i32 s12, 9
	s_cbranch_scc1 .LBB242_1294
; %bb.1289:
	s_cmp_gt_i32 s12, 9
	s_cbranch_scc0 .LBB242_1291
; %bb.1290:
	v_cndmask_b32_e64 v2, 0, 1, s[2:3]
	v_cvt_f64_u32_e32 v[9:10], v2
	v_mov_b32_e32 v11, 0
	v_mov_b32_e32 v12, v11
	s_mov_b64 s[10:11], 0
	global_store_dwordx4 v[0:1], v[9:12], off
.LBB242_1291:
	s_andn2_b64 vcc, exec, s[10:11]
	s_cbranch_vccnz .LBB242_1293
; %bb.1292:
	v_cndmask_b32_e64 v2, 0, 1.0, s[2:3]
	v_mov_b32_e32 v3, 0
	global_store_dwordx2 v[0:1], v[2:3], off
.LBB242_1293:
	s_mov_b64 s[10:11], 0
.LBB242_1294:
	s_andn2_b64 vcc, exec, s[10:11]
	s_cbranch_vccnz .LBB242_1296
; %bb.1295:
	v_cndmask_b32_e64 v2, 0, 1.0, s[2:3]
	v_cvt_f16_f32_e32 v2, v2
	global_store_dword v[0:1], v2, off
.LBB242_1296:
	s_mov_b64 s[10:11], 0
.LBB242_1297:
	s_andn2_b64 vcc, exec, s[10:11]
	s_cbranch_vccnz .LBB242_1306
; %bb.1298:
	s_cmp_lt_i32 s12, 6
	s_mov_b64 s[10:11], -1
	s_cbranch_scc1 .LBB242_1304
; %bb.1299:
	s_cmp_gt_i32 s12, 6
	s_cbranch_scc0 .LBB242_1301
; %bb.1300:
	v_cndmask_b32_e64 v2, 0, 1, s[2:3]
	v_cvt_f64_u32_e32 v[2:3], v2
	s_mov_b64 s[10:11], 0
	global_store_dwordx2 v[0:1], v[2:3], off
.LBB242_1301:
	s_andn2_b64 vcc, exec, s[10:11]
	s_cbranch_vccnz .LBB242_1303
; %bb.1302:
	v_cndmask_b32_e64 v2, 0, 1.0, s[2:3]
	global_store_dword v[0:1], v2, off
.LBB242_1303:
	s_mov_b64 s[10:11], 0
.LBB242_1304:
	s_andn2_b64 vcc, exec, s[10:11]
	s_cbranch_vccnz .LBB242_1306
; %bb.1305:
	v_cndmask_b32_e64 v2, 0, 1.0, s[2:3]
	v_cvt_f16_f32_e32 v2, v2
	global_store_short v[0:1], v2, off
.LBB242_1306:
	s_mov_b64 s[10:11], 0
.LBB242_1307:
	s_andn2_b64 vcc, exec, s[10:11]
	s_cbranch_vccnz .LBB242_1323
; %bb.1308:
	s_cmp_lt_i32 s12, 2
	s_mov_b64 s[10:11], -1
	s_cbranch_scc1 .LBB242_1318
; %bb.1309:
	s_cmp_lt_i32 s12, 3
	s_cbranch_scc1 .LBB242_1315
; %bb.1310:
	s_cmp_gt_i32 s12, 3
	s_cbranch_scc0 .LBB242_1312
; %bb.1311:
	s_mov_b32 s10, 0
	v_cndmask_b32_e64 v2, 0, 1, s[2:3]
	v_mov_b32_e32 v3, s10
	s_mov_b64 s[10:11], 0
	global_store_dwordx2 v[0:1], v[2:3], off
.LBB242_1312:
	s_andn2_b64 vcc, exec, s[10:11]
	s_cbranch_vccnz .LBB242_1314
; %bb.1313:
	v_cndmask_b32_e64 v2, 0, 1, s[2:3]
	global_store_dword v[0:1], v2, off
.LBB242_1314:
	s_mov_b64 s[10:11], 0
.LBB242_1315:
	s_andn2_b64 vcc, exec, s[10:11]
	s_cbranch_vccnz .LBB242_1317
; %bb.1316:
	v_cndmask_b32_e64 v2, 0, 1, s[2:3]
	global_store_short v[0:1], v2, off
.LBB242_1317:
	s_mov_b64 s[10:11], 0
.LBB242_1318:
	s_andn2_b64 vcc, exec, s[10:11]
	s_cbranch_vccnz .LBB242_1323
; %bb.1319:
	s_mov_b64 s[10:11], -1
	s_cmp_gt_i32 s12, 0
	v_cndmask_b32_e64 v2, 0, 1, s[2:3]
	s_cbranch_scc0 .LBB242_1321
; %bb.1320:
	s_mov_b64 s[10:11], 0
	global_store_byte v[0:1], v2, off
.LBB242_1321:
	s_andn2_b64 vcc, exec, s[10:11]
	s_cbranch_vccnz .LBB242_1323
; %bb.1322:
	global_store_byte v[0:1], v2, off
.LBB242_1323:
	s_mov_b64 s[10:11], -1
.LBB242_1324:
	s_andn2_b64 vcc, exec, s[10:11]
	s_cbranch_vccnz .LBB242_1326
; %bb.1325:
	v_add_u32_e32 v8, 0x80, v8
	s_mov_b64 s[10:11], -1
	s_branch .LBB242_1328
.LBB242_1326:
	s_mov_b64 s[10:11], 0
.LBB242_1327:
                                        ; implicit-def: $vgpr8
.LBB242_1328:
	s_andn2_b64 s[2:3], s[66:67], exec
	s_and_b64 s[6:7], s[6:7], exec
	s_or_b64 s[6:7], s[2:3], s[6:7]
	s_andn2_b64 s[2:3], s[64:65], exec
	s_and_b64 s[8:9], s[8:9], exec
	s_or_b64 s[2:3], s[2:3], s[8:9]
	s_orn2_b64 s[10:11], s[10:11], exec
.LBB242_1329:
	s_or_b64 exec, exec, s[70:71]
	s_mov_b64 s[8:9], 0
	s_mov_b64 s[12:13], 0
	;; [unrolled: 1-line block ×3, first 2 shown]
                                        ; implicit-def: $vgpr1_vgpr2
                                        ; implicit-def: $vgpr0
                                        ; implicit-def: $vgpr3
	s_and_saveexec_b64 s[70:71], s[10:11]
	s_cbranch_execz .LBB242_1500
; %bb.1330:
	v_cmp_gt_i32_e32 vcc, s72, v8
	s_mov_b64 s[10:11], 0
	s_mov_b64 s[16:17], s[2:3]
                                        ; implicit-def: $vgpr1_vgpr2
                                        ; implicit-def: $vgpr0
                                        ; implicit-def: $vgpr3
	s_and_saveexec_b64 s[72:73], vcc
	s_cbranch_execz .LBB242_1499
; %bb.1331:
	s_andn2_b64 vcc, exec, s[46:47]
	s_cbranch_vccnz .LBB242_1336
; %bb.1332:
	s_andn2_b64 vcc, exec, s[56:57]
	s_cbranch_vccnz .LBB242_1337
; %bb.1333:
	s_add_i32 s78, s77, 1
	s_cmp_eq_u32 s74, 2
	s_cbranch_scc1 .LBB242_1338
; %bb.1334:
	s_and_b32 s77, s78, 28
	v_mov_b32_e32 v2, 0
	s_mov_b32 s79, 0
	s_mov_b64 s[56:57], s[34:35]
	v_mov_b32_e32 v0, 0
	v_mov_b32_e32 v1, v8
.LBB242_1335:                           ; =>This Inner Loop Header: Depth=1
	s_load_dwordx8 s[16:23], s[56:57], 0x4
	s_load_dwordx4 s[40:43], s[56:57], 0x24
	s_load_dwordx8 s[8:15], s[54:55], 0x0
	s_add_u32 s56, s56, 48
	s_addc_u32 s57, s57, 0
	s_waitcnt vmcnt(0) lgkmcnt(0)
	v_mul_hi_u32 v3, s17, v1
	s_add_i32 s79, s79, 4
	s_add_u32 s54, s54, 32
	s_addc_u32 s55, s55, 0
	v_add_u32_e32 v3, v1, v3
	v_lshrrev_b32_e32 v3, s18, v3
	v_mul_lo_u32 v5, v3, s16
	v_mul_hi_u32 v6, s20, v3
	s_cmp_eq_u32 s77, s79
	v_sub_u32_e32 v1, v1, v5
	v_add_u32_e32 v5, v3, v6
	v_mul_lo_u32 v6, v1, s8
	v_mul_lo_u32 v7, v1, s9
	v_lshrrev_b32_e32 v1, s21, v5
	v_mul_lo_u32 v5, v1, s19
	v_mul_hi_u32 v9, s23, v1
	v_sub_u32_e32 v3, v3, v5
	v_add_u32_e32 v5, v1, v9
	v_lshrrev_b32_e32 v5, s40, v5
	v_mul_hi_u32 v10, s42, v5
	v_mul_lo_u32 v11, v5, s22
	v_mul_lo_u32 v9, v3, s10
	;; [unrolled: 1-line block ×3, first 2 shown]
	v_sub_u32_e32 v11, v1, v11
	v_add_u32_e32 v1, v5, v10
	v_lshrrev_b32_e32 v1, s43, v1
	v_mul_lo_u32 v10, v1, s41
	v_mul_lo_u32 v12, v11, s12
	;; [unrolled: 1-line block ×3, first 2 shown]
	v_add3_u32 v0, v6, v0, v9
	v_sub_u32_e32 v5, v5, v10
	v_mul_lo_u32 v10, v5, s14
	v_mul_lo_u32 v5, v5, s15
	v_add3_u32 v2, v7, v2, v3
	v_add3_u32 v0, v12, v0, v10
	;; [unrolled: 1-line block ×3, first 2 shown]
	s_cbranch_scc0 .LBB242_1335
	s_branch .LBB242_1339
.LBB242_1336:
	s_mov_b64 s[8:9], -1
                                        ; implicit-def: $vgpr0
                                        ; implicit-def: $vgpr2
	s_branch .LBB242_1343
.LBB242_1337:
	v_mov_b32_e32 v0, 0
	v_mov_b32_e32 v2, 0
	s_branch .LBB242_1342
.LBB242_1338:
	s_mov_b32 s77, 0
	v_mov_b32_e32 v0, 0
	v_mov_b32_e32 v2, 0
	;; [unrolled: 1-line block ×3, first 2 shown]
.LBB242_1339:
	s_and_b32 s12, s78, 3
	s_cmp_eq_u32 s12, 0
	s_cbranch_scc1 .LBB242_1342
; %bb.1340:
	s_lshl_b32 s8, s77, 3
	s_add_u32 s8, s34, s8
	s_addc_u32 s9, s35, 0
	s_add_u32 s8, s8, 0xc4
	s_addc_u32 s9, s9, 0
	s_mul_i32 s10, s77, 12
	s_add_u32 s10, s34, s10
	s_addc_u32 s11, s35, 0
.LBB242_1341:                           ; =>This Inner Loop Header: Depth=1
	s_load_dwordx2 s[14:15], s[10:11], 0x4
	s_load_dword s13, s[10:11], 0xc
	s_load_dwordx2 s[16:17], s[8:9], 0x0
	s_add_u32 s10, s10, 12
	s_addc_u32 s11, s11, 0
	s_waitcnt vmcnt(0) lgkmcnt(0)
	v_mul_hi_u32 v3, s15, v1
	s_add_u32 s8, s8, 8
	s_addc_u32 s9, s9, 0
	s_add_i32 s12, s12, -1
	v_add_u32_e32 v3, v1, v3
	v_lshrrev_b32_e32 v5, s13, v3
	v_mul_lo_u32 v3, v5, s14
	s_cmp_lg_u32 s12, 0
	v_sub_u32_e32 v3, v1, v3
	v_mad_u64_u32 v[0:1], s[14:15], v3, s16, v[0:1]
	v_mad_u64_u32 v[2:3], s[14:15], v3, s17, v[2:3]
	v_mov_b32_e32 v1, v5
	s_cbranch_scc1 .LBB242_1341
.LBB242_1342:
	s_mov_b64 s[8:9], 0
.LBB242_1343:
	s_andn2_b64 vcc, exec, s[8:9]
	s_cbranch_vccnz .LBB242_1346
; %bb.1344:
	v_mul_hi_u32 v0, s29, v8
	s_andn2_b64 vcc, exec, s[52:53]
	v_add_u32_e32 v0, v8, v0
	v_lshrrev_b32_e32 v1, s30, v0
	v_mul_lo_u32 v0, v1, s28
	v_sub_u32_e32 v2, v8, v0
	s_waitcnt lgkmcnt(0)
	v_mul_lo_u32 v0, v2, s36
	v_mul_lo_u32 v2, v2, s37
	s_cbranch_vccnz .LBB242_1346
; %bb.1345:
	s_waitcnt vmcnt(0)
	v_mul_hi_u32 v3, s50, v1
	v_add_u32_e32 v3, v1, v3
	v_lshrrev_b32_e32 v3, s51, v3
	v_mul_lo_u32 v3, v3, s31
	v_sub_u32_e32 v3, v1, v3
	v_mad_u64_u32 v[0:1], s[8:9], v3, s38, v[0:1]
	v_mad_u64_u32 v[2:3], s[8:9], v3, s39, v[2:3]
.LBB242_1346:
	s_waitcnt vmcnt(0) lgkmcnt(0)
	v_mov_b32_e32 v3, s27
	s_and_b32 s18, 0xffff, s76
	v_add_co_u32_e32 v1, vcc, s26, v2
	s_cmp_lt_i32 s18, 11
	v_addc_co_u32_e32 v2, vcc, 0, v3, vcc
	s_cbranch_scc1 .LBB242_1361
; %bb.1347:
	s_cmp_gt_i32 s18, 25
	s_mov_b64 s[10:11], 0
	s_cbranch_scc0 .LBB242_1362
; %bb.1348:
	s_cmp_gt_i32 s18, 28
	s_cbranch_scc0 .LBB242_1363
; %bb.1349:
	s_cmp_gt_i32 s18, 43
	;; [unrolled: 3-line block ×3, first 2 shown]
	s_cbranch_scc0 .LBB242_1367
; %bb.1351:
	s_cmp_eq_u32 s18, 46
	s_mov_b64 s[14:15], 0
	s_cbranch_scc0 .LBB242_1370
; %bb.1352:
	global_load_dword v3, v[1:2], off
	s_mov_b32 s8, 0x47800000
                                        ; implicit-def: $vgpr5
	s_waitcnt vmcnt(0)
	v_lshlrev_b32_e32 v3, 16, v3
	v_and_b32_e32 v6, 0x7fffffff, v3
	v_cmp_gt_u32_e32 vcc, s8, v6
	s_and_saveexec_b64 s[8:9], vcc
	s_xor_b64 s[8:9], exec, s[8:9]
	s_cbranch_execz .LBB242_1358
; %bb.1353:
	s_mov_b32 s12, 0x387fffff
	v_cmp_lt_u32_e32 vcc, s12, v6
                                        ; implicit-def: $vgpr5
	s_and_saveexec_b64 s[12:13], vcc
	s_xor_b64 s[12:13], exec, s[12:13]
; %bb.1354:
	v_bfe_u32 v5, v3, 21, 1
	s_mov_b32 s16, 0x80fffff
	v_add3_u32 v5, v3, v5, s16
	v_lshrrev_b32_e32 v5, 21, v5
; %bb.1355:
	s_andn2_saveexec_b64 s[12:13], s[12:13]
; %bb.1356:
	s_mov_b32 s16, 0x43000000
	v_add_f32_e64 v5, |v3|, s16
; %bb.1357:
	s_or_b64 exec, exec, s[12:13]
                                        ; implicit-def: $vgpr6
.LBB242_1358:
	s_andn2_saveexec_b64 s[8:9], s[8:9]
; %bb.1359:
	s_mov_b32 s12, 0x7f800000
	v_mov_b32_e32 v5, 0x7c
	v_mov_b32_e32 v7, 0x7f
	v_cmp_lt_u32_e32 vcc, s12, v6
	v_cndmask_b32_e32 v5, v5, v7, vcc
; %bb.1360:
	s_or_b64 exec, exec, s[8:9]
	v_lshrrev_b32_e32 v3, 24, v3
	s_movk_i32 s8, 0x80
	v_and_or_b32 v3, v3, s8, v5
	s_mov_b64 s[8:9], 0
	s_mov_b64 s[12:13], -1
	s_branch .LBB242_1371
.LBB242_1361:
	s_mov_b64 s[16:17], -1
	s_mov_b64 s[12:13], 0
	s_mov_b64 s[10:11], 0
	;; [unrolled: 1-line block ×3, first 2 shown]
                                        ; implicit-def: $vgpr3
	s_branch .LBB242_1498
.LBB242_1362:
	s_mov_b64 s[14:15], -1
	s_mov_b64 s[12:13], 0
	s_mov_b64 s[8:9], s[2:3]
                                        ; implicit-def: $vgpr3
	s_branch .LBB242_1440
.LBB242_1363:
	s_mov_b64 s[14:15], -1
	s_mov_b64 s[12:13], 0
                                        ; implicit-def: $vgpr3
	s_mov_b64 s[8:9], s[2:3]
	s_branch .LBB242_1397
.LBB242_1364:
	s_mov_b64 s[14:15], -1
	s_mov_b64 s[12:13], 0
	s_mov_b64 s[8:9], s[2:3]
                                        ; implicit-def: $vgpr3
	s_branch .LBB242_1384
.LBB242_1365:
	s_andn2_saveexec_b64 s[14:15], s[14:15]
	s_cbranch_execz .LBB242_1237
.LBB242_1366:
	v_add_f32_e32 v2, 0x46000000, v3
	v_and_b32_e32 v2, 0xff, v2
	v_cmp_ne_u32_e32 vcc, 0, v2
	s_andn2_b64 s[12:13], s[12:13], exec
	s_and_b64 s[18:19], vcc, exec
	s_or_b64 s[12:13], s[12:13], s[18:19]
	s_or_b64 exec, exec, s[14:15]
	v_mov_b32_e32 v5, 0
	s_and_saveexec_b64 s[14:15], s[12:13]
	s_cbranch_execnz .LBB242_1238
	s_branch .LBB242_1239
.LBB242_1367:
	s_mov_b64 s[14:15], -1
	s_mov_b64 s[12:13], 0
	s_mov_b64 s[8:9], s[2:3]
                                        ; implicit-def: $vgpr3
	s_branch .LBB242_1371
.LBB242_1368:
	s_andn2_saveexec_b64 s[14:15], s[14:15]
	s_cbranch_execz .LBB242_1250
.LBB242_1369:
	v_add_f32_e32 v2, 0x42800000, v3
	v_and_b32_e32 v2, 0xff, v2
	v_cmp_ne_u32_e32 vcc, 0, v2
	s_andn2_b64 s[12:13], s[12:13], exec
	s_and_b64 s[18:19], vcc, exec
	s_or_b64 s[12:13], s[12:13], s[18:19]
	s_or_b64 exec, exec, s[14:15]
	v_mov_b32_e32 v5, 0
	s_and_saveexec_b64 s[14:15], s[12:13]
	s_cbranch_execnz .LBB242_1251
	s_branch .LBB242_1252
.LBB242_1370:
	s_mov_b64 s[8:9], -1
                                        ; implicit-def: $vgpr3
	s_mov_b64 s[12:13], 0
.LBB242_1371:
	s_and_b64 vcc, exec, s[14:15]
	s_cbranch_vccz .LBB242_1383
; %bb.1372:
	s_cmp_eq_u32 s18, 44
	s_cbranch_scc0 .LBB242_1382
; %bb.1373:
	global_load_ubyte v3, v[1:2], off
	s_movk_i32 s8, 0xff
	v_mov_b32_e32 v5, 0x7f800001
	v_mov_b32_e32 v6, 0x400000
	s_waitcnt vmcnt(0)
	v_lshlrev_b32_e32 v7, 23, v3
	v_cmp_ne_u32_e32 vcc, s8, v3
	v_cndmask_b32_e32 v5, v5, v7, vcc
	v_cmp_ne_u32_e32 vcc, 0, v3
	v_cndmask_b32_e32 v5, v6, v5, vcc
	s_mov_b32 s8, 0x47800000
	v_cmp_gt_u32_e32 vcc, s8, v5
                                        ; implicit-def: $vgpr3
	s_and_saveexec_b64 s[8:9], vcc
	s_xor_b64 s[8:9], exec, s[8:9]
	s_cbranch_execz .LBB242_1379
; %bb.1374:
	s_mov_b32 s12, 0x387fffff
	v_cmp_lt_u32_e32 vcc, s12, v5
                                        ; implicit-def: $vgpr3
	s_and_saveexec_b64 s[12:13], vcc
	s_xor_b64 s[12:13], exec, s[12:13]
; %bb.1375:
	v_bfe_u32 v3, v5, 21, 1
	s_mov_b32 s14, 0x80fffff
	v_add3_u32 v3, v5, v3, s14
	v_lshrrev_b32_e32 v3, 21, v3
                                        ; implicit-def: $vgpr5
; %bb.1376:
	s_andn2_saveexec_b64 s[12:13], s[12:13]
; %bb.1377:
	v_add_f32_e32 v3, 0x43000000, v5
; %bb.1378:
	s_or_b64 exec, exec, s[12:13]
                                        ; implicit-def: $vgpr5
.LBB242_1379:
	s_andn2_saveexec_b64 s[8:9], s[8:9]
; %bb.1380:
	s_mov_b32 s12, 0x7f800000
	v_mov_b32_e32 v3, 0x7c
	v_mov_b32_e32 v6, 0x7f
	v_cmp_lt_u32_e32 vcc, s12, v5
	v_cndmask_b32_e32 v3, v3, v6, vcc
; %bb.1381:
	s_or_b64 exec, exec, s[8:9]
	s_mov_b64 s[8:9], 0
	s_mov_b64 s[12:13], -1
	s_branch .LBB242_1383
.LBB242_1382:
	s_mov_b64 s[8:9], -1
                                        ; implicit-def: $vgpr3
.LBB242_1383:
	s_mov_b64 s[14:15], 0
.LBB242_1384:
	s_and_b64 vcc, exec, s[14:15]
	s_cbranch_vccz .LBB242_1396
; %bb.1385:
	s_cmp_eq_u32 s18, 29
	s_cbranch_scc0 .LBB242_1395
; %bb.1386:
	global_load_dwordx2 v[5:6], v[1:2], off
	s_mov_b32 s8, 0x47800000
	s_waitcnt vmcnt(0)
	v_ffbh_u32_e32 v3, v6
	v_min_u32_e32 v3, 32, v3
	v_lshlrev_b64 v[5:6], v3, v[5:6]
	v_sub_u32_e32 v3, 32, v3
	v_min_u32_e32 v5, 1, v5
	v_or_b32_e32 v5, v6, v5
	v_cvt_f32_u32_e32 v5, v5
	v_ldexp_f32 v5, v5, v3
	v_cmp_gt_u32_e32 vcc, s8, v5
                                        ; implicit-def: $vgpr3
	s_and_saveexec_b64 s[8:9], vcc
	s_xor_b64 s[8:9], exec, s[8:9]
	s_cbranch_execz .LBB242_1392
; %bb.1387:
	s_mov_b32 s12, 0x387fffff
	v_cmp_lt_u32_e32 vcc, s12, v5
                                        ; implicit-def: $vgpr3
	s_and_saveexec_b64 s[12:13], vcc
	s_xor_b64 s[12:13], exec, s[12:13]
; %bb.1388:
	v_bfe_u32 v3, v5, 21, 1
	s_mov_b32 s14, 0x80fffff
	v_add3_u32 v3, v5, v3, s14
	v_lshrrev_b32_e32 v3, 21, v3
                                        ; implicit-def: $vgpr5
; %bb.1389:
	s_andn2_saveexec_b64 s[12:13], s[12:13]
; %bb.1390:
	v_add_f32_e32 v3, 0x43000000, v5
; %bb.1391:
	s_or_b64 exec, exec, s[12:13]
                                        ; implicit-def: $vgpr5
.LBB242_1392:
	s_andn2_saveexec_b64 s[8:9], s[8:9]
; %bb.1393:
	s_mov_b32 s12, 0x7f800000
	v_mov_b32_e32 v3, 0x7c
	v_mov_b32_e32 v6, 0x7f
	v_cmp_lt_u32_e32 vcc, s12, v5
	v_cndmask_b32_e32 v3, v3, v6, vcc
; %bb.1394:
	s_or_b64 exec, exec, s[8:9]
	s_mov_b64 s[8:9], 0
	s_mov_b64 s[12:13], -1
	s_branch .LBB242_1396
.LBB242_1395:
	s_mov_b64 s[8:9], -1
                                        ; implicit-def: $vgpr3
.LBB242_1396:
	s_mov_b64 s[14:15], 0
.LBB242_1397:
	s_and_b64 vcc, exec, s[14:15]
	s_cbranch_vccz .LBB242_1439
; %bb.1398:
	s_cmp_lt_i32 s18, 27
	s_cbranch_scc1 .LBB242_1409
; %bb.1399:
	s_cmp_gt_i32 s18, 27
	s_cbranch_scc0 .LBB242_1410
; %bb.1400:
	global_load_dword v3, v[1:2], off
	s_mov_b32 s12, 0x47800000
	s_waitcnt vmcnt(0)
	v_cvt_f32_u32_e32 v5, v3
                                        ; implicit-def: $vgpr3
	v_cmp_gt_u32_e32 vcc, s12, v5
	s_and_saveexec_b64 s[12:13], vcc
	s_xor_b64 s[12:13], exec, s[12:13]
	s_cbranch_execz .LBB242_1406
; %bb.1401:
	s_mov_b32 s14, 0x387fffff
	v_cmp_lt_u32_e32 vcc, s14, v5
                                        ; implicit-def: $vgpr3
	s_and_saveexec_b64 s[14:15], vcc
	s_xor_b64 s[14:15], exec, s[14:15]
; %bb.1402:
	v_bfe_u32 v3, v5, 21, 1
	s_mov_b32 s16, 0x80fffff
	v_add3_u32 v3, v5, v3, s16
	v_lshrrev_b32_e32 v3, 21, v3
                                        ; implicit-def: $vgpr5
; %bb.1403:
	s_andn2_saveexec_b64 s[14:15], s[14:15]
; %bb.1404:
	v_add_f32_e32 v3, 0x43000000, v5
; %bb.1405:
	s_or_b64 exec, exec, s[14:15]
                                        ; implicit-def: $vgpr5
.LBB242_1406:
	s_andn2_saveexec_b64 s[12:13], s[12:13]
; %bb.1407:
	s_mov_b32 s14, 0x7f800000
	v_mov_b32_e32 v3, 0x7c
	v_mov_b32_e32 v6, 0x7f
	v_cmp_lt_u32_e32 vcc, s14, v5
	v_cndmask_b32_e32 v3, v3, v6, vcc
; %bb.1408:
	s_or_b64 exec, exec, s[12:13]
	s_mov_b64 s[12:13], 0
	s_branch .LBB242_1411
.LBB242_1409:
	s_mov_b64 s[12:13], -1
                                        ; implicit-def: $vgpr3
	s_branch .LBB242_1422
.LBB242_1410:
	s_mov_b64 s[12:13], -1
                                        ; implicit-def: $vgpr3
.LBB242_1411:
	s_and_b64 vcc, exec, s[12:13]
	s_cbranch_vccz .LBB242_1421
; %bb.1412:
	global_load_ushort v3, v[1:2], off
	s_mov_b32 s12, 0x47800000
	s_waitcnt vmcnt(0)
	v_cvt_f32_u32_e32 v5, v3
                                        ; implicit-def: $vgpr3
	v_cmp_gt_u32_e32 vcc, s12, v5
	s_and_saveexec_b64 s[12:13], vcc
	s_xor_b64 s[12:13], exec, s[12:13]
	s_cbranch_execz .LBB242_1418
; %bb.1413:
	s_mov_b32 s14, 0x387fffff
	v_cmp_lt_u32_e32 vcc, s14, v5
                                        ; implicit-def: $vgpr3
	s_and_saveexec_b64 s[14:15], vcc
	s_xor_b64 s[14:15], exec, s[14:15]
; %bb.1414:
	v_bfe_u32 v3, v5, 21, 1
	s_mov_b32 s16, 0x80fffff
	v_add3_u32 v3, v5, v3, s16
	v_lshrrev_b32_e32 v3, 21, v3
                                        ; implicit-def: $vgpr5
; %bb.1415:
	s_andn2_saveexec_b64 s[14:15], s[14:15]
; %bb.1416:
	v_add_f32_e32 v3, 0x43000000, v5
; %bb.1417:
	s_or_b64 exec, exec, s[14:15]
                                        ; implicit-def: $vgpr5
.LBB242_1418:
	s_andn2_saveexec_b64 s[12:13], s[12:13]
; %bb.1419:
	s_mov_b32 s14, 0x7f800000
	v_mov_b32_e32 v3, 0x7c
	v_mov_b32_e32 v6, 0x7f
	v_cmp_lt_u32_e32 vcc, s14, v5
	v_cndmask_b32_e32 v3, v3, v6, vcc
; %bb.1420:
	s_or_b64 exec, exec, s[12:13]
.LBB242_1421:
	s_mov_b64 s[12:13], 0
.LBB242_1422:
	s_andn2_b64 vcc, exec, s[12:13]
	s_cbranch_vccnz .LBB242_1438
; %bb.1423:
	global_load_ubyte v5, v[1:2], off
	s_movk_i32 s12, 0x7f
	s_waitcnt vmcnt(0)
	v_cmp_lt_i16_e32 vcc, s12, v5
	s_mov_b64 s[12:13], 0
	s_and_saveexec_b64 s[14:15], vcc
	s_xor_b64 s[14:15], exec, s[14:15]
	s_cbranch_execz .LBB242_1460
; %bb.1424:
	s_movk_i32 s12, 0x80
	v_cmp_eq_u16_e32 vcc, s12, v5
	s_mov_b64 s[12:13], -1
	s_and_saveexec_b64 s[16:17], vcc
; %bb.1425:
	s_xor_b64 s[12:13], exec, -1
; %bb.1426:
	s_or_b64 exec, exec, s[16:17]
	s_and_b64 s[12:13], s[12:13], exec
	s_or_saveexec_b64 s[14:15], s[14:15]
	v_mov_b32_e32 v3, 0x7f800001
	s_xor_b64 exec, exec, s[14:15]
	s_cbranch_execnz .LBB242_1461
.LBB242_1427:
	s_or_b64 exec, exec, s[14:15]
	s_and_saveexec_b64 s[14:15], s[12:13]
	s_cbranch_execz .LBB242_1429
.LBB242_1428:
	v_lshlrev_b32_e32 v3, 24, v5
	v_and_b32_e32 v5, 0xffff, v5
	v_and_b32_e32 v6, 7, v5
	v_ffbh_u32_e32 v8, v6
	v_min_u32_e32 v8, 32, v8
	v_subrev_u32_e32 v9, 28, v8
	v_bfe_u32 v7, v5, 3, 4
	v_lshlrev_b32_e32 v5, v9, v5
	v_sub_u32_e32 v8, 29, v8
	v_and_b32_e32 v5, 7, v5
	v_cmp_eq_u32_e32 vcc, 0, v7
	v_cndmask_b32_e32 v7, v7, v8, vcc
	v_cndmask_b32_e32 v5, v6, v5, vcc
	v_mov_b32_e32 v6, 0x3b800000
	v_lshlrev_b32_e32 v5, 20, v5
	v_and_b32_e32 v3, 0x80000000, v3
	v_lshl_add_u32 v6, v7, 23, v6
	v_or3_b32 v3, v3, v6, v5
.LBB242_1429:
	s_or_b64 exec, exec, s[14:15]
	v_and_b32_e32 v6, 0x7fffffff, v3
	s_mov_b32 s12, 0x47800000
	v_cmp_gt_u32_e32 vcc, s12, v6
                                        ; implicit-def: $vgpr5
	s_and_saveexec_b64 s[12:13], vcc
	s_xor_b64 s[12:13], exec, s[12:13]
	s_cbranch_execz .LBB242_1435
; %bb.1430:
	s_mov_b32 s14, 0x387fffff
	v_cmp_lt_u32_e32 vcc, s14, v6
                                        ; implicit-def: $vgpr5
	s_and_saveexec_b64 s[14:15], vcc
	s_xor_b64 s[14:15], exec, s[14:15]
; %bb.1431:
	v_bfe_u32 v5, v3, 21, 1
	s_mov_b32 s16, 0x80fffff
	v_add3_u32 v5, v3, v5, s16
	v_lshrrev_b32_e32 v5, 21, v5
; %bb.1432:
	s_andn2_saveexec_b64 s[14:15], s[14:15]
; %bb.1433:
	s_mov_b32 s16, 0x43000000
	v_add_f32_e64 v5, |v3|, s16
; %bb.1434:
	s_or_b64 exec, exec, s[14:15]
                                        ; implicit-def: $vgpr6
.LBB242_1435:
	s_andn2_saveexec_b64 s[12:13], s[12:13]
; %bb.1436:
	s_mov_b32 s14, 0x7f800000
	v_mov_b32_e32 v5, 0x7c
	v_mov_b32_e32 v7, 0x7f
	v_cmp_lt_u32_e32 vcc, s14, v6
	v_cndmask_b32_e32 v5, v5, v7, vcc
; %bb.1437:
	s_or_b64 exec, exec, s[12:13]
	v_lshrrev_b32_e32 v3, 24, v3
	s_movk_i32 s12, 0x80
	v_and_or_b32 v3, v3, s12, v5
.LBB242_1438:
	s_mov_b64 s[12:13], -1
.LBB242_1439:
	s_mov_b64 s[14:15], 0
.LBB242_1440:
	s_and_b64 vcc, exec, s[14:15]
	s_cbranch_vccz .LBB242_1497
; %bb.1441:
	s_cmp_gt_i32 s18, 22
	s_cbranch_scc0 .LBB242_1459
; %bb.1442:
	s_cmp_lt_i32 s18, 24
	s_cbranch_scc1 .LBB242_1462
; %bb.1443:
	s_cmp_gt_i32 s18, 24
	s_cbranch_scc0 .LBB242_1463
; %bb.1444:
	global_load_ubyte v5, v[1:2], off
	s_movk_i32 s10, 0x7f
	s_waitcnt vmcnt(0)
	v_cmp_lt_i16_e32 vcc, s10, v5
	s_mov_b64 s[10:11], 0
	s_and_saveexec_b64 s[12:13], vcc
	s_xor_b64 s[12:13], exec, s[12:13]
	s_cbranch_execz .LBB242_1491
; %bb.1445:
	s_movk_i32 s10, 0x80
	v_cmp_eq_u16_e32 vcc, s10, v5
	s_mov_b64 s[10:11], -1
	s_and_saveexec_b64 s[14:15], vcc
; %bb.1446:
	s_xor_b64 s[10:11], exec, -1
; %bb.1447:
	s_or_b64 exec, exec, s[14:15]
	s_and_b64 s[10:11], s[10:11], exec
	s_or_saveexec_b64 s[12:13], s[12:13]
	v_mov_b32_e32 v3, 0x7f800001
	s_xor_b64 exec, exec, s[12:13]
	s_cbranch_execnz .LBB242_1492
.LBB242_1448:
	s_or_b64 exec, exec, s[12:13]
	s_and_saveexec_b64 s[12:13], s[10:11]
	s_cbranch_execz .LBB242_1450
.LBB242_1449:
	v_lshlrev_b32_e32 v3, 24, v5
	v_and_b32_e32 v5, 0xffff, v5
	v_and_b32_e32 v6, 3, v5
	v_ffbh_u32_e32 v8, v6
	v_min_u32_e32 v8, 32, v8
	v_subrev_u32_e32 v9, 29, v8
	v_bfe_u32 v7, v5, 2, 5
	v_lshlrev_b32_e32 v5, v9, v5
	v_sub_u32_e32 v8, 30, v8
	v_and_b32_e32 v5, 3, v5
	v_cmp_eq_u32_e32 vcc, 0, v7
	v_cndmask_b32_e32 v7, v7, v8, vcc
	v_cndmask_b32_e32 v5, v6, v5, vcc
	v_mov_b32_e32 v6, 0x37800000
	v_lshlrev_b32_e32 v5, 21, v5
	v_and_b32_e32 v3, 0x80000000, v3
	v_lshl_add_u32 v6, v7, 23, v6
	v_or3_b32 v3, v3, v6, v5
.LBB242_1450:
	s_or_b64 exec, exec, s[12:13]
	v_and_b32_e32 v6, 0x7fffffff, v3
	s_mov_b32 s10, 0x47800000
	v_cmp_gt_u32_e32 vcc, s10, v6
                                        ; implicit-def: $vgpr5
	s_and_saveexec_b64 s[10:11], vcc
	s_xor_b64 s[10:11], exec, s[10:11]
	s_cbranch_execz .LBB242_1456
; %bb.1451:
	s_mov_b32 s12, 0x387fffff
	v_cmp_lt_u32_e32 vcc, s12, v6
                                        ; implicit-def: $vgpr5
	s_and_saveexec_b64 s[12:13], vcc
	s_xor_b64 s[12:13], exec, s[12:13]
; %bb.1452:
	v_bfe_u32 v5, v3, 21, 1
	s_mov_b32 s14, 0x80fffff
	v_add3_u32 v5, v3, v5, s14
	v_lshrrev_b32_e32 v5, 21, v5
; %bb.1453:
	s_andn2_saveexec_b64 s[12:13], s[12:13]
; %bb.1454:
	s_mov_b32 s14, 0x43000000
	v_add_f32_e64 v5, |v3|, s14
; %bb.1455:
	s_or_b64 exec, exec, s[12:13]
                                        ; implicit-def: $vgpr6
.LBB242_1456:
	s_andn2_saveexec_b64 s[10:11], s[10:11]
; %bb.1457:
	s_mov_b32 s12, 0x7f800000
	v_mov_b32_e32 v5, 0x7c
	v_mov_b32_e32 v7, 0x7f
	v_cmp_lt_u32_e32 vcc, s12, v6
	v_cndmask_b32_e32 v5, v5, v7, vcc
; %bb.1458:
	s_or_b64 exec, exec, s[10:11]
	v_lshrrev_b32_e32 v3, 24, v3
	s_movk_i32 s10, 0x80
	v_and_or_b32 v3, v3, s10, v5
	s_mov_b64 s[10:11], 0
	s_branch .LBB242_1464
.LBB242_1459:
	s_mov_b64 s[10:11], -1
                                        ; implicit-def: $vgpr3
	s_branch .LBB242_1478
.LBB242_1460:
	s_or_saveexec_b64 s[14:15], s[14:15]
	v_mov_b32_e32 v3, 0x7f800001
	s_xor_b64 exec, exec, s[14:15]
	s_cbranch_execz .LBB242_1427
.LBB242_1461:
	v_cmp_ne_u16_e32 vcc, 0, v5
	s_andn2_b64 s[12:13], s[12:13], exec
	s_and_b64 s[16:17], vcc, exec
	v_mov_b32_e32 v3, 0
	s_or_b64 s[12:13], s[12:13], s[16:17]
	s_or_b64 exec, exec, s[14:15]
	s_and_saveexec_b64 s[14:15], s[12:13]
	s_cbranch_execnz .LBB242_1428
	s_branch .LBB242_1429
.LBB242_1462:
	s_mov_b64 s[10:11], -1
                                        ; implicit-def: $vgpr3
	s_branch .LBB242_1475
.LBB242_1463:
	s_mov_b64 s[10:11], -1
                                        ; implicit-def: $vgpr3
.LBB242_1464:
	s_and_b64 vcc, exec, s[10:11]
	s_cbranch_vccz .LBB242_1474
; %bb.1465:
	global_load_ubyte v3, v[1:2], off
	s_mov_b32 s10, 0x7f800000
	s_brev_b32 s11, 1
	s_waitcnt vmcnt(0)
	v_lshlrev_b32_e32 v3, 24, v3
	v_and_b32_e32 v5, 0x7f000000, v3
	v_ffbh_u32_e32 v6, v5
	v_min_u32_e32 v6, 32, v6
	v_sub_u32_e64 v6, v6, 4 clamp
	v_lshlrev_b32_e32 v8, v6, v5
	v_lshlrev_b32_e32 v6, 23, v6
	v_lshrrev_b32_e32 v8, 4, v8
	v_add_u32_e32 v7, 0x1000000, v5
	v_sub_u32_e32 v6, v8, v6
	v_ashrrev_i32_e32 v7, 8, v7
	v_add_u32_e32 v6, 0x3c000000, v6
	v_and_or_b32 v6, v7, s10, v6
	v_cmp_ne_u32_e32 vcc, 0, v5
	v_cndmask_b32_e32 v7, 0, v6, vcc
	v_and_or_b32 v3, v3, s11, v7
	v_and_b32_e32 v6, 0x7fffffff, v3
	s_mov_b32 s10, 0x47800000
	v_cmp_gt_u32_e32 vcc, s10, v6
                                        ; implicit-def: $vgpr5
	s_and_saveexec_b64 s[10:11], vcc
	s_xor_b64 s[10:11], exec, s[10:11]
	s_cbranch_execz .LBB242_1471
; %bb.1466:
	s_mov_b32 s12, 0x387fffff
	v_cmp_lt_u32_e32 vcc, s12, v6
                                        ; implicit-def: $vgpr5
	s_and_saveexec_b64 s[12:13], vcc
	s_xor_b64 s[12:13], exec, s[12:13]
; %bb.1467:
	v_bfe_u32 v5, v7, 21, 1
	s_mov_b32 s14, 0x80fffff
	v_add3_u32 v5, v3, v5, s14
	v_lshrrev_b32_e32 v5, 21, v5
; %bb.1468:
	s_andn2_saveexec_b64 s[12:13], s[12:13]
; %bb.1469:
	s_mov_b32 s14, 0x43000000
	v_add_f32_e64 v5, |v3|, s14
; %bb.1470:
	s_or_b64 exec, exec, s[12:13]
                                        ; implicit-def: $vgpr6
.LBB242_1471:
	s_andn2_saveexec_b64 s[10:11], s[10:11]
; %bb.1472:
	s_mov_b32 s12, 0x7f800000
	v_mov_b32_e32 v5, 0x7c
	v_mov_b32_e32 v7, 0x7f
	v_cmp_lt_u32_e32 vcc, s12, v6
	v_cndmask_b32_e32 v5, v5, v7, vcc
; %bb.1473:
	s_or_b64 exec, exec, s[10:11]
	v_lshrrev_b32_e32 v3, 24, v3
	s_movk_i32 s10, 0x80
	v_and_or_b32 v3, v3, s10, v5
.LBB242_1474:
	s_mov_b64 s[10:11], 0
.LBB242_1475:
	s_andn2_b64 vcc, exec, s[10:11]
	s_cbranch_vccnz .LBB242_1477
; %bb.1476:
	global_load_ubyte v3, v[1:2], off
.LBB242_1477:
	s_mov_b64 s[10:11], 0
	s_mov_b64 s[12:13], -1
.LBB242_1478:
	s_andn2_b64 vcc, exec, s[10:11]
	s_mov_b64 s[10:11], 0
	s_cbranch_vccnz .LBB242_1497
; %bb.1479:
	s_cmp_gt_i32 s18, 14
	s_cbranch_scc0 .LBB242_1490
; %bb.1480:
	s_cmp_eq_u32 s18, 15
	s_cbranch_scc0 .LBB242_1493
; %bb.1481:
	global_load_ushort v3, v[1:2], off
	s_mov_b32 s8, 0x47800000
                                        ; implicit-def: $vgpr5
	s_waitcnt vmcnt(0)
	v_lshlrev_b32_e32 v6, 16, v3
	v_and_b32_e32 v7, 0x7fffffff, v6
	v_cmp_gt_u32_e32 vcc, s8, v7
	s_and_saveexec_b64 s[8:9], vcc
	s_xor_b64 s[8:9], exec, s[8:9]
	s_cbranch_execz .LBB242_1487
; %bb.1482:
	s_mov_b32 s10, 0x387fffff
	v_cmp_lt_u32_e32 vcc, s10, v7
                                        ; implicit-def: $vgpr5
	s_and_saveexec_b64 s[10:11], vcc
	s_xor_b64 s[10:11], exec, s[10:11]
; %bb.1483:
	v_bfe_u32 v5, v3, 5, 1
	s_mov_b32 s12, 0x80fffff
	v_add3_u32 v5, v6, v5, s12
	v_lshrrev_b32_e32 v5, 21, v5
                                        ; implicit-def: $vgpr6
; %bb.1484:
	s_andn2_saveexec_b64 s[10:11], s[10:11]
; %bb.1485:
	s_mov_b32 s12, 0x43000000
	v_add_f32_e64 v5, |v6|, s12
; %bb.1486:
	s_or_b64 exec, exec, s[10:11]
                                        ; implicit-def: $vgpr7
.LBB242_1487:
	s_andn2_saveexec_b64 s[8:9], s[8:9]
; %bb.1488:
	s_mov_b32 s10, 0x7f800000
	v_mov_b32_e32 v5, 0x7c
	v_mov_b32_e32 v6, 0x7f
	v_cmp_lt_u32_e32 vcc, s10, v7
	v_cndmask_b32_e32 v5, v5, v6, vcc
; %bb.1489:
	s_or_b64 exec, exec, s[8:9]
	v_lshrrev_b32_e32 v3, 8, v3
	s_movk_i32 s8, 0x80
	v_and_or_b32 v3, v3, s8, v5
	s_mov_b64 s[8:9], 0
	s_mov_b64 s[12:13], -1
	s_branch .LBB242_1494
.LBB242_1490:
	s_mov_b64 s[14:15], -1
                                        ; implicit-def: $vgpr3
	s_branch .LBB242_1495
.LBB242_1491:
	s_or_saveexec_b64 s[12:13], s[12:13]
	v_mov_b32_e32 v3, 0x7f800001
	s_xor_b64 exec, exec, s[12:13]
	s_cbranch_execz .LBB242_1448
.LBB242_1492:
	v_cmp_ne_u16_e32 vcc, 0, v5
	s_andn2_b64 s[10:11], s[10:11], exec
	s_and_b64 s[14:15], vcc, exec
	v_mov_b32_e32 v3, 0
	s_or_b64 s[10:11], s[10:11], s[14:15]
	s_or_b64 exec, exec, s[12:13]
	s_and_saveexec_b64 s[12:13], s[10:11]
	s_cbranch_execnz .LBB242_1449
	s_branch .LBB242_1450
.LBB242_1493:
	s_mov_b64 s[8:9], -1
                                        ; implicit-def: $vgpr3
.LBB242_1494:
	s_mov_b64 s[14:15], 0
.LBB242_1495:
	s_mov_b64 s[10:11], 0
	s_and_b64 vcc, exec, s[14:15]
	s_cbranch_vccz .LBB242_1497
; %bb.1496:
	s_cmp_lg_u32 s18, 11
	s_cselect_b64 s[14:15], -1, 0
	s_andn2_b64 s[8:9], s[8:9], exec
	s_and_b64 s[14:15], s[14:15], exec
	s_mov_b64 s[10:11], -1
	s_or_b64 s[8:9], s[8:9], s[14:15]
.LBB242_1497:
	s_mov_b64 s[16:17], 0
.LBB242_1498:
	s_and_b64 s[14:15], s[12:13], exec
	s_and_b64 s[12:13], s[16:17], exec
	s_andn2_b64 s[16:17], s[2:3], exec
	s_and_b64 s[8:9], s[8:9], exec
	s_and_b64 s[10:11], s[10:11], exec
	s_or_b64 s[16:17], s[16:17], s[8:9]
.LBB242_1499:
	s_or_b64 exec, exec, s[72:73]
	s_and_b64 s[8:9], s[10:11], exec
	s_andn2_b64 s[2:3], s[2:3], exec
	s_and_b64 s[10:11], s[16:17], exec
	s_and_b64 s[14:15], s[14:15], exec
	;; [unrolled: 1-line block ×3, first 2 shown]
	s_or_b64 s[2:3], s[2:3], s[10:11]
.LBB242_1500:
	s_or_b64 exec, exec, s[70:71]
	s_andn2_b64 s[10:11], s[66:67], exec
	s_and_b64 s[6:7], s[6:7], exec
	s_or_b64 s[66:67], s[10:11], s[6:7]
	s_and_b64 s[10:11], s[12:13], exec
	s_andn2_b64 s[12:13], s[64:65], exec
	s_and_b64 s[2:3], s[2:3], exec
	s_and_b64 s[6:7], s[14:15], exec
	;; [unrolled: 1-line block ×3, first 2 shown]
	s_or_b64 s[64:65], s[12:13], s[2:3]
.LBB242_1501:
	s_or_b64 exec, exec, s[68:69]
	s_andn2_b64 s[2:3], s[58:59], exec
	s_and_b64 s[12:13], s[66:67], exec
	s_or_b64 s[58:59], s[2:3], s[12:13]
	s_and_b64 s[66:67], s[8:9], exec
	s_andn2_b64 s[2:3], s[60:61], exec
	s_and_b64 s[8:9], s[64:65], exec
	s_and_b64 s[6:7], s[6:7], exec
	;; [unrolled: 1-line block ×3, first 2 shown]
	s_or_b64 s[60:61], s[2:3], s[8:9]
	s_or_b64 exec, exec, s[62:63]
	s_mov_b64 s[2:3], 0
	s_and_saveexec_b64 s[8:9], s[60:61]
	s_cbranch_execz .LBB242_442
.LBB242_1502:
	s_mov_b64 s[2:3], exec
	s_andn2_b64 s[66:67], s[66:67], exec
	s_trap 2
	s_or_b64 exec, exec, s[8:9]
	s_and_saveexec_b64 s[8:9], s[66:67]
	s_cbranch_execnz .LBB242_443
.LBB242_1503:
	s_or_b64 exec, exec, s[8:9]
	s_and_saveexec_b64 s[8:9], s[10:11]
	s_cbranch_execz .LBB242_1637
.LBB242_1504:
	s_sext_i32_i16 s10, s76
	s_cmp_lt_i32 s10, 5
	s_cbranch_scc1 .LBB242_1517
; %bb.1505:
	s_cmp_lt_i32 s10, 8
	s_cbranch_scc1 .LBB242_1518
; %bb.1506:
	;; [unrolled: 3-line block ×3, first 2 shown]
	s_cmp_gt_i32 s10, 9
	s_cbranch_scc0 .LBB242_1520
; %bb.1508:
	global_load_dwordx2 v[5:6], v[1:2], off
	s_mov_b32 s10, 0x47800000
	s_waitcnt vmcnt(0)
	v_cvt_f32_f64_e32 v3, v[5:6]
                                        ; implicit-def: $vgpr5
	v_and_b32_e32 v6, 0x7fffffff, v3
	v_cmp_gt_u32_e32 vcc, s10, v6
	s_and_saveexec_b64 s[10:11], vcc
	s_xor_b64 s[10:11], exec, s[10:11]
	s_cbranch_execz .LBB242_1514
; %bb.1509:
	s_mov_b32 s12, 0x387fffff
	v_cmp_lt_u32_e32 vcc, s12, v6
                                        ; implicit-def: $vgpr5
	s_and_saveexec_b64 s[12:13], vcc
	s_xor_b64 s[12:13], exec, s[12:13]
; %bb.1510:
	v_bfe_u32 v5, v3, 21, 1
	s_mov_b32 s14, 0x80fffff
	v_add3_u32 v5, v3, v5, s14
	v_lshrrev_b32_e32 v5, 21, v5
; %bb.1511:
	s_andn2_saveexec_b64 s[12:13], s[12:13]
; %bb.1512:
	s_mov_b32 s14, 0x43000000
	v_add_f32_e64 v5, |v3|, s14
; %bb.1513:
	s_or_b64 exec, exec, s[12:13]
                                        ; implicit-def: $vgpr6
.LBB242_1514:
	s_andn2_saveexec_b64 s[10:11], s[10:11]
; %bb.1515:
	s_mov_b32 s12, 0x7f800000
	v_mov_b32_e32 v5, 0x7c
	v_mov_b32_e32 v7, 0x7f
	v_cmp_lt_u32_e32 vcc, s12, v6
	v_cndmask_b32_e32 v5, v5, v7, vcc
; %bb.1516:
	s_or_b64 exec, exec, s[10:11]
	v_lshrrev_b32_e32 v3, 24, v3
	s_movk_i32 s10, 0x80
	v_and_or_b32 v3, v3, s10, v5
	s_mov_b64 s[10:11], 0
	s_branch .LBB242_1521
.LBB242_1517:
                                        ; implicit-def: $vgpr3
	s_branch .LBB242_1578
.LBB242_1518:
                                        ; implicit-def: $vgpr3
	s_branch .LBB242_1543
.LBB242_1519:
	s_mov_b64 s[10:11], -1
                                        ; implicit-def: $vgpr3
	s_branch .LBB242_1532
.LBB242_1520:
	s_mov_b64 s[10:11], -1
                                        ; implicit-def: $vgpr3
.LBB242_1521:
	s_and_b64 vcc, exec, s[10:11]
	s_cbranch_vccz .LBB242_1531
; %bb.1522:
	global_load_dword v3, v[1:2], off
	s_mov_b32 s10, 0x47800000
                                        ; implicit-def: $vgpr5
	s_waitcnt vmcnt(0)
	v_and_b32_e32 v6, 0x7fffffff, v3
	v_cmp_gt_u32_e32 vcc, s10, v6
	s_and_saveexec_b64 s[10:11], vcc
	s_xor_b64 s[10:11], exec, s[10:11]
	s_cbranch_execz .LBB242_1528
; %bb.1523:
	s_mov_b32 s12, 0x387fffff
	v_cmp_lt_u32_e32 vcc, s12, v6
                                        ; implicit-def: $vgpr5
	s_and_saveexec_b64 s[12:13], vcc
	s_xor_b64 s[12:13], exec, s[12:13]
; %bb.1524:
	v_bfe_u32 v5, v3, 21, 1
	s_mov_b32 s14, 0x80fffff
	v_add3_u32 v5, v3, v5, s14
	v_lshrrev_b32_e32 v5, 21, v5
; %bb.1525:
	s_andn2_saveexec_b64 s[12:13], s[12:13]
; %bb.1526:
	s_mov_b32 s14, 0x43000000
	v_add_f32_e64 v5, |v3|, s14
; %bb.1527:
	s_or_b64 exec, exec, s[12:13]
                                        ; implicit-def: $vgpr6
.LBB242_1528:
	s_andn2_saveexec_b64 s[10:11], s[10:11]
; %bb.1529:
	s_mov_b32 s12, 0x7f800000
	v_mov_b32_e32 v5, 0x7c
	v_mov_b32_e32 v7, 0x7f
	v_cmp_lt_u32_e32 vcc, s12, v6
	v_cndmask_b32_e32 v5, v5, v7, vcc
; %bb.1530:
	s_or_b64 exec, exec, s[10:11]
	v_lshrrev_b32_e32 v3, 24, v3
	s_movk_i32 s10, 0x80
	v_and_or_b32 v3, v3, s10, v5
.LBB242_1531:
	s_mov_b64 s[10:11], 0
.LBB242_1532:
	s_andn2_b64 vcc, exec, s[10:11]
	s_cbranch_vccnz .LBB242_1542
; %bb.1533:
	global_load_dword v3, v[1:2], off
	s_mov_b32 s10, 0x47800000
                                        ; implicit-def: $vgpr5
	s_waitcnt vmcnt(0)
	v_cvt_f32_f16_e32 v3, v3
	v_and_b32_e32 v6, 0x7fffffff, v3
	v_cmp_gt_u32_e32 vcc, s10, v6
	s_and_saveexec_b64 s[10:11], vcc
	s_xor_b64 s[10:11], exec, s[10:11]
	s_cbranch_execz .LBB242_1539
; %bb.1534:
	s_mov_b32 s12, 0x387fffff
	v_cmp_lt_u32_e32 vcc, s12, v6
                                        ; implicit-def: $vgpr5
	s_and_saveexec_b64 s[12:13], vcc
	s_xor_b64 s[12:13], exec, s[12:13]
; %bb.1535:
	v_bfe_u32 v5, v3, 21, 1
	s_mov_b32 s14, 0x80fffff
	v_add3_u32 v5, v3, v5, s14
	v_lshrrev_b32_e32 v5, 21, v5
; %bb.1536:
	s_andn2_saveexec_b64 s[12:13], s[12:13]
; %bb.1537:
	s_mov_b32 s14, 0x43000000
	v_add_f32_e64 v5, |v3|, s14
; %bb.1538:
	s_or_b64 exec, exec, s[12:13]
                                        ; implicit-def: $vgpr6
.LBB242_1539:
	s_andn2_saveexec_b64 s[10:11], s[10:11]
; %bb.1540:
	s_mov_b32 s12, 0x7f800000
	v_mov_b32_e32 v5, 0x7c
	v_mov_b32_e32 v7, 0x7f
	v_cmp_lt_u32_e32 vcc, s12, v6
	v_cndmask_b32_e32 v5, v5, v7, vcc
; %bb.1541:
	s_or_b64 exec, exec, s[10:11]
	v_lshrrev_b32_e32 v3, 24, v3
	s_movk_i32 s10, 0x80
	v_and_or_b32 v3, v3, s10, v5
.LBB242_1542:
	s_cbranch_execnz .LBB242_1577
.LBB242_1543:
	s_sext_i32_i16 s10, s76
	s_cmp_lt_i32 s10, 6
	s_cbranch_scc1 .LBB242_1554
; %bb.1544:
	s_cmp_gt_i32 s10, 6
	s_cbranch_scc0 .LBB242_1555
; %bb.1545:
	global_load_dwordx2 v[5:6], v[1:2], off
	s_mov_b32 s10, 0x47800000
	s_waitcnt vmcnt(0)
	v_cvt_f32_f64_e32 v3, v[5:6]
                                        ; implicit-def: $vgpr5
	v_and_b32_e32 v6, 0x7fffffff, v3
	v_cmp_gt_u32_e32 vcc, s10, v6
	s_and_saveexec_b64 s[10:11], vcc
	s_xor_b64 s[10:11], exec, s[10:11]
	s_cbranch_execz .LBB242_1551
; %bb.1546:
	s_mov_b32 s12, 0x387fffff
	v_cmp_lt_u32_e32 vcc, s12, v6
                                        ; implicit-def: $vgpr5
	s_and_saveexec_b64 s[12:13], vcc
	s_xor_b64 s[12:13], exec, s[12:13]
; %bb.1547:
	v_bfe_u32 v5, v3, 21, 1
	s_mov_b32 s14, 0x80fffff
	v_add3_u32 v5, v3, v5, s14
	v_lshrrev_b32_e32 v5, 21, v5
; %bb.1548:
	s_andn2_saveexec_b64 s[12:13], s[12:13]
; %bb.1549:
	s_mov_b32 s14, 0x43000000
	v_add_f32_e64 v5, |v3|, s14
; %bb.1550:
	s_or_b64 exec, exec, s[12:13]
                                        ; implicit-def: $vgpr6
.LBB242_1551:
	s_andn2_saveexec_b64 s[10:11], s[10:11]
; %bb.1552:
	s_mov_b32 s12, 0x7f800000
	v_mov_b32_e32 v5, 0x7c
	v_mov_b32_e32 v7, 0x7f
	v_cmp_lt_u32_e32 vcc, s12, v6
	v_cndmask_b32_e32 v5, v5, v7, vcc
; %bb.1553:
	s_or_b64 exec, exec, s[10:11]
	v_lshrrev_b32_e32 v3, 24, v3
	s_movk_i32 s10, 0x80
	v_and_or_b32 v3, v3, s10, v5
	s_mov_b64 s[10:11], 0
	s_branch .LBB242_1556
.LBB242_1554:
	s_mov_b64 s[10:11], -1
                                        ; implicit-def: $vgpr3
	s_branch .LBB242_1567
.LBB242_1555:
	s_mov_b64 s[10:11], -1
                                        ; implicit-def: $vgpr3
.LBB242_1556:
	s_and_b64 vcc, exec, s[10:11]
	s_cbranch_vccz .LBB242_1566
; %bb.1557:
	global_load_dword v3, v[1:2], off
	s_mov_b32 s10, 0x47800000
                                        ; implicit-def: $vgpr5
	s_waitcnt vmcnt(0)
	v_and_b32_e32 v6, 0x7fffffff, v3
	v_cmp_gt_u32_e32 vcc, s10, v6
	s_and_saveexec_b64 s[10:11], vcc
	s_xor_b64 s[10:11], exec, s[10:11]
	s_cbranch_execz .LBB242_1563
; %bb.1558:
	s_mov_b32 s12, 0x387fffff
	v_cmp_lt_u32_e32 vcc, s12, v6
                                        ; implicit-def: $vgpr5
	s_and_saveexec_b64 s[12:13], vcc
	s_xor_b64 s[12:13], exec, s[12:13]
; %bb.1559:
	v_bfe_u32 v5, v3, 21, 1
	s_mov_b32 s14, 0x80fffff
	v_add3_u32 v5, v3, v5, s14
	v_lshrrev_b32_e32 v5, 21, v5
; %bb.1560:
	s_andn2_saveexec_b64 s[12:13], s[12:13]
; %bb.1561:
	s_mov_b32 s14, 0x43000000
	v_add_f32_e64 v5, |v3|, s14
; %bb.1562:
	s_or_b64 exec, exec, s[12:13]
                                        ; implicit-def: $vgpr6
.LBB242_1563:
	s_andn2_saveexec_b64 s[10:11], s[10:11]
; %bb.1564:
	s_mov_b32 s12, 0x7f800000
	v_mov_b32_e32 v5, 0x7c
	v_mov_b32_e32 v7, 0x7f
	v_cmp_lt_u32_e32 vcc, s12, v6
	v_cndmask_b32_e32 v5, v5, v7, vcc
; %bb.1565:
	s_or_b64 exec, exec, s[10:11]
	v_lshrrev_b32_e32 v3, 24, v3
	s_movk_i32 s10, 0x80
	v_and_or_b32 v3, v3, s10, v5
.LBB242_1566:
	s_mov_b64 s[10:11], 0
.LBB242_1567:
	s_andn2_b64 vcc, exec, s[10:11]
	s_cbranch_vccnz .LBB242_1577
; %bb.1568:
	global_load_ushort v3, v[1:2], off
	s_mov_b32 s10, 0x47800000
                                        ; implicit-def: $vgpr5
	s_waitcnt vmcnt(0)
	v_cvt_f32_f16_e32 v3, v3
	v_and_b32_e32 v6, 0x7fffffff, v3
	v_cmp_gt_u32_e32 vcc, s10, v6
	s_and_saveexec_b64 s[10:11], vcc
	s_xor_b64 s[10:11], exec, s[10:11]
	s_cbranch_execz .LBB242_1574
; %bb.1569:
	s_mov_b32 s12, 0x387fffff
	v_cmp_lt_u32_e32 vcc, s12, v6
                                        ; implicit-def: $vgpr5
	s_and_saveexec_b64 s[12:13], vcc
	s_xor_b64 s[12:13], exec, s[12:13]
; %bb.1570:
	v_bfe_u32 v5, v3, 21, 1
	s_mov_b32 s14, 0x80fffff
	v_add3_u32 v5, v3, v5, s14
	v_lshrrev_b32_e32 v5, 21, v5
; %bb.1571:
	s_andn2_saveexec_b64 s[12:13], s[12:13]
; %bb.1572:
	s_mov_b32 s14, 0x43000000
	v_add_f32_e64 v5, |v3|, s14
; %bb.1573:
	s_or_b64 exec, exec, s[12:13]
                                        ; implicit-def: $vgpr6
.LBB242_1574:
	s_andn2_saveexec_b64 s[10:11], s[10:11]
; %bb.1575:
	s_mov_b32 s12, 0x7f800000
	v_mov_b32_e32 v5, 0x7c
	v_mov_b32_e32 v7, 0x7f
	v_cmp_lt_u32_e32 vcc, s12, v6
	v_cndmask_b32_e32 v5, v5, v7, vcc
; %bb.1576:
	s_or_b64 exec, exec, s[10:11]
	v_lshrrev_b32_e32 v3, 24, v3
	s_movk_i32 s10, 0x80
	v_and_or_b32 v3, v3, s10, v5
.LBB242_1577:
	s_cbranch_execnz .LBB242_1636
.LBB242_1578:
	s_sext_i32_i16 s10, s76
	s_cmp_lt_i32 s10, 2
	s_cbranch_scc1 .LBB242_1590
; %bb.1579:
	s_cmp_lt_i32 s10, 3
	s_cbranch_scc1 .LBB242_1591
; %bb.1580:
	s_cmp_gt_i32 s10, 3
	s_cbranch_scc0 .LBB242_1592
; %bb.1581:
	global_load_dwordx2 v[5:6], v[1:2], off
	s_mov_b32 s10, 0x47800000
	s_waitcnt vmcnt(0)
	v_xor_b32_e32 v7, v5, v6
	v_ffbh_i32_e32 v3, v6
	v_ashrrev_i32_e32 v7, 31, v7
	v_add_u32_e32 v3, -1, v3
	v_add_u32_e32 v7, 32, v7
	v_min_u32_e32 v3, v3, v7
	v_lshlrev_b64 v[5:6], v3, v[5:6]
	v_sub_u32_e32 v3, 32, v3
	v_min_u32_e32 v5, 1, v5
	v_or_b32_e32 v5, v6, v5
	v_cvt_f32_i32_e32 v5, v5
	v_ldexp_f32 v3, v5, v3
	v_and_b32_e32 v6, 0x7fffffff, v3
	v_cmp_gt_u32_e32 vcc, s10, v6
                                        ; implicit-def: $vgpr5
	s_and_saveexec_b64 s[10:11], vcc
	s_xor_b64 s[10:11], exec, s[10:11]
	s_cbranch_execz .LBB242_1587
; %bb.1582:
	s_mov_b32 s12, 0x387fffff
	v_cmp_lt_u32_e32 vcc, s12, v6
                                        ; implicit-def: $vgpr5
	s_and_saveexec_b64 s[12:13], vcc
	s_xor_b64 s[12:13], exec, s[12:13]
; %bb.1583:
	v_bfe_u32 v5, v3, 21, 1
	s_mov_b32 s14, 0x80fffff
	v_add3_u32 v5, v3, v5, s14
	v_lshrrev_b32_e32 v5, 21, v5
; %bb.1584:
	s_andn2_saveexec_b64 s[12:13], s[12:13]
; %bb.1585:
	s_mov_b32 s14, 0x43000000
	v_add_f32_e64 v5, |v3|, s14
; %bb.1586:
	s_or_b64 exec, exec, s[12:13]
                                        ; implicit-def: $vgpr6
.LBB242_1587:
	s_andn2_saveexec_b64 s[10:11], s[10:11]
; %bb.1588:
	s_mov_b32 s12, 0x7f800000
	v_mov_b32_e32 v5, 0x7c
	v_mov_b32_e32 v7, 0x7f
	v_cmp_lt_u32_e32 vcc, s12, v6
	v_cndmask_b32_e32 v5, v5, v7, vcc
; %bb.1589:
	s_or_b64 exec, exec, s[10:11]
	v_lshrrev_b32_e32 v3, 24, v3
	s_movk_i32 s10, 0x80
	v_and_or_b32 v3, v3, s10, v5
	s_mov_b64 s[10:11], 0
	s_branch .LBB242_1593
.LBB242_1590:
                                        ; implicit-def: $vgpr3
	s_branch .LBB242_1615
.LBB242_1591:
	s_mov_b64 s[10:11], -1
                                        ; implicit-def: $vgpr3
	s_branch .LBB242_1604
.LBB242_1592:
	s_mov_b64 s[10:11], -1
                                        ; implicit-def: $vgpr3
.LBB242_1593:
	s_and_b64 vcc, exec, s[10:11]
	s_cbranch_vccz .LBB242_1603
; %bb.1594:
	global_load_dword v3, v[1:2], off
	s_mov_b32 s10, 0x47800000
                                        ; implicit-def: $vgpr5
	s_waitcnt vmcnt(0)
	v_cvt_f32_i32_e32 v3, v3
	v_and_b32_e32 v6, 0x7fffffff, v3
	v_cmp_gt_u32_e32 vcc, s10, v6
	s_and_saveexec_b64 s[10:11], vcc
	s_xor_b64 s[10:11], exec, s[10:11]
	s_cbranch_execz .LBB242_1600
; %bb.1595:
	s_mov_b32 s12, 0x387fffff
	v_cmp_lt_u32_e32 vcc, s12, v6
                                        ; implicit-def: $vgpr5
	s_and_saveexec_b64 s[12:13], vcc
	s_xor_b64 s[12:13], exec, s[12:13]
; %bb.1596:
	v_bfe_u32 v5, v3, 21, 1
	s_mov_b32 s14, 0x80fffff
	v_add3_u32 v5, v3, v5, s14
	v_lshrrev_b32_e32 v5, 21, v5
; %bb.1597:
	s_andn2_saveexec_b64 s[12:13], s[12:13]
; %bb.1598:
	s_mov_b32 s14, 0x43000000
	v_add_f32_e64 v5, |v3|, s14
; %bb.1599:
	s_or_b64 exec, exec, s[12:13]
                                        ; implicit-def: $vgpr6
.LBB242_1600:
	s_andn2_saveexec_b64 s[10:11], s[10:11]
; %bb.1601:
	s_mov_b32 s12, 0x7f800000
	v_mov_b32_e32 v5, 0x7c
	v_mov_b32_e32 v7, 0x7f
	v_cmp_lt_u32_e32 vcc, s12, v6
	v_cndmask_b32_e32 v5, v5, v7, vcc
; %bb.1602:
	s_or_b64 exec, exec, s[10:11]
	v_lshrrev_b32_e32 v3, 24, v3
	s_movk_i32 s10, 0x80
	v_and_or_b32 v3, v3, s10, v5
.LBB242_1603:
	s_mov_b64 s[10:11], 0
.LBB242_1604:
	s_andn2_b64 vcc, exec, s[10:11]
	s_cbranch_vccnz .LBB242_1614
; %bb.1605:
	global_load_sshort v3, v[1:2], off
	s_mov_b32 s10, 0x47800000
                                        ; implicit-def: $vgpr5
	s_waitcnt vmcnt(0)
	v_cvt_f32_i32_e32 v3, v3
	v_and_b32_e32 v6, 0x7fffffff, v3
	v_cmp_gt_u32_e32 vcc, s10, v6
	s_and_saveexec_b64 s[10:11], vcc
	s_xor_b64 s[10:11], exec, s[10:11]
	s_cbranch_execz .LBB242_1611
; %bb.1606:
	s_mov_b32 s12, 0x387fffff
	v_cmp_lt_u32_e32 vcc, s12, v6
                                        ; implicit-def: $vgpr5
	s_and_saveexec_b64 s[12:13], vcc
	s_xor_b64 s[12:13], exec, s[12:13]
; %bb.1607:
	v_bfe_u32 v5, v3, 21, 1
	s_mov_b32 s14, 0x80fffff
	v_add3_u32 v5, v3, v5, s14
	v_lshrrev_b32_e32 v5, 21, v5
; %bb.1608:
	s_andn2_saveexec_b64 s[12:13], s[12:13]
; %bb.1609:
	s_mov_b32 s14, 0x43000000
	v_add_f32_e64 v5, |v3|, s14
; %bb.1610:
	s_or_b64 exec, exec, s[12:13]
                                        ; implicit-def: $vgpr6
.LBB242_1611:
	s_andn2_saveexec_b64 s[10:11], s[10:11]
; %bb.1612:
	s_mov_b32 s12, 0x7f800000
	v_mov_b32_e32 v5, 0x7c
	v_mov_b32_e32 v7, 0x7f
	v_cmp_lt_u32_e32 vcc, s12, v6
	v_cndmask_b32_e32 v5, v5, v7, vcc
; %bb.1613:
	s_or_b64 exec, exec, s[10:11]
	v_lshrrev_b32_e32 v3, 24, v3
	s_movk_i32 s10, 0x80
	v_and_or_b32 v3, v3, s10, v5
.LBB242_1614:
	s_cbranch_execnz .LBB242_1636
.LBB242_1615:
	s_sext_i32_i16 s10, s76
	s_cmp_gt_i32 s10, 0
	s_cbranch_scc0 .LBB242_1625
; %bb.1616:
	global_load_sbyte v3, v[1:2], off
	s_mov_b32 s10, 0x47800000
                                        ; implicit-def: $vgpr5
	s_waitcnt vmcnt(0)
	v_cvt_f32_i32_e32 v3, v3
	v_and_b32_e32 v6, 0x7fffffff, v3
	v_cmp_gt_u32_e32 vcc, s10, v6
	s_and_saveexec_b64 s[10:11], vcc
	s_xor_b64 s[10:11], exec, s[10:11]
	s_cbranch_execz .LBB242_1622
; %bb.1617:
	s_mov_b32 s12, 0x387fffff
	v_cmp_lt_u32_e32 vcc, s12, v6
                                        ; implicit-def: $vgpr5
	s_and_saveexec_b64 s[12:13], vcc
	s_xor_b64 s[12:13], exec, s[12:13]
; %bb.1618:
	v_bfe_u32 v5, v3, 21, 1
	s_mov_b32 s14, 0x80fffff
	v_add3_u32 v5, v3, v5, s14
	v_lshrrev_b32_e32 v5, 21, v5
; %bb.1619:
	s_andn2_saveexec_b64 s[12:13], s[12:13]
; %bb.1620:
	s_mov_b32 s14, 0x43000000
	v_add_f32_e64 v5, |v3|, s14
; %bb.1621:
	s_or_b64 exec, exec, s[12:13]
                                        ; implicit-def: $vgpr6
.LBB242_1622:
	s_andn2_saveexec_b64 s[10:11], s[10:11]
; %bb.1623:
	s_mov_b32 s12, 0x7f800000
	v_mov_b32_e32 v5, 0x7c
	v_mov_b32_e32 v7, 0x7f
	v_cmp_lt_u32_e32 vcc, s12, v6
	v_cndmask_b32_e32 v5, v5, v7, vcc
; %bb.1624:
	s_or_b64 exec, exec, s[10:11]
	v_lshrrev_b32_e32 v3, 24, v3
	s_movk_i32 s10, 0x80
	v_and_or_b32 v3, v3, s10, v5
	s_mov_b64 s[10:11], 0
	s_branch .LBB242_1626
.LBB242_1625:
	s_mov_b64 s[10:11], -1
                                        ; implicit-def: $vgpr3
.LBB242_1626:
	s_and_b64 vcc, exec, s[10:11]
	s_cbranch_vccz .LBB242_1636
; %bb.1627:
	global_load_ubyte v1, v[1:2], off
	s_mov_b32 s10, 0x47800000
                                        ; implicit-def: $vgpr3
	s_waitcnt vmcnt(0)
	v_cvt_f32_ubyte0_e32 v1, v1
	v_cmp_gt_u32_e32 vcc, s10, v1
	s_and_saveexec_b64 s[10:11], vcc
	s_xor_b64 s[10:11], exec, s[10:11]
	s_cbranch_execz .LBB242_1633
; %bb.1628:
	s_mov_b32 s12, 0x387fffff
	v_cmp_lt_u32_e32 vcc, s12, v1
                                        ; implicit-def: $vgpr3
	s_and_saveexec_b64 s[12:13], vcc
	s_xor_b64 s[12:13], exec, s[12:13]
; %bb.1629:
	v_bfe_u32 v2, v1, 21, 1
	s_mov_b32 s14, 0x80fffff
	v_add3_u32 v1, v1, v2, s14
	v_lshrrev_b32_e32 v3, 21, v1
                                        ; implicit-def: $vgpr1
; %bb.1630:
	s_andn2_saveexec_b64 s[12:13], s[12:13]
; %bb.1631:
	v_add_f32_e32 v3, 0x43000000, v1
; %bb.1632:
	s_or_b64 exec, exec, s[12:13]
                                        ; implicit-def: $vgpr1
.LBB242_1633:
	s_andn2_saveexec_b64 s[10:11], s[10:11]
; %bb.1634:
	s_mov_b32 s12, 0x7f800000
	v_mov_b32_e32 v2, 0x7c
	v_mov_b32_e32 v3, 0x7f
	v_cmp_lt_u32_e32 vcc, s12, v1
	v_cndmask_b32_e32 v3, v2, v3, vcc
; %bb.1635:
	s_or_b64 exec, exec, s[10:11]
.LBB242_1636:
	s_or_b64 s[6:7], s[6:7], exec
.LBB242_1637:
	s_or_b64 exec, exec, s[8:9]
	s_mov_b64 s[14:15], 0
	s_mov_b64 s[12:13], 0
                                        ; implicit-def: $sgpr8_sgpr9
                                        ; implicit-def: $sgpr18
                                        ; implicit-def: $vgpr1_vgpr2
	s_and_saveexec_b64 s[10:11], s[6:7]
	s_cbranch_execz .LBB242_1712
; %bb.1638:
	s_waitcnt vmcnt(0)
	v_lshlrev_b32_e32 v2, 25, v3
	v_lshlrev_b16_e32 v1, 8, v3
	v_lshrrev_b32_e32 v3, 4, v2
	s_movk_i32 s6, 0x7f00
	v_or_b32_e32 v3, 0x70000000, v3
	v_and_or_b32 v5, v1, s6, 0.5
	s_brev_b32 s6, 16
	v_add_f32_e32 v5, -0.5, v5
	v_mul_f32_e32 v3, 0x7800000, v3
	v_cmp_gt_u32_e32 vcc, s6, v2
	v_cndmask_b32_e32 v2, v3, v5, vcc
	v_bfe_i32 v1, v1, 0, 16
	s_brev_b32 s6, 1
	v_and_or_b32 v1, v1, s6, v2
	v_cmp_eq_f32_e32 vcc, v4, v1
	v_cndmask_b32_e64 v2, 0, 1, vcc
	v_cmp_neq_f32_e32 vcc, v4, v1
	v_cndmask_b32_e64 v1, 0, 1, vcc
	v_cndmask_b32_e64 v1, v1, v2, s[0:1]
	v_and_b32_e32 v1, 1, v1
	v_cmp_eq_u32_e64 s[8:9], 1, v1
	s_waitcnt lgkmcnt(0)
	v_mov_b32_e32 v2, s25
	s_and_b32 s18, s75, 0xff
	v_add_co_u32_e32 v1, vcc, s24, v0
	s_cmp_lt_i32 s18, 11
	v_addc_co_u32_e32 v2, vcc, 0, v2, vcc
	s_cbranch_scc1 .LBB242_1715
; %bb.1639:
	s_and_b32 s19, 0xffff, s18
	s_mov_b64 s[12:13], -1
	s_cmp_gt_i32 s19, 25
	s_mov_b64 s[0:1], s[58:59]
	s_cbranch_scc0 .LBB242_1672
; %bb.1640:
	s_mov_b64 s[6:7], -1
	s_cmp_gt_i32 s19, 28
	s_mov_b64 s[0:1], s[58:59]
	s_cbranch_scc0 .LBB242_1656
; %bb.1641:
	s_cmp_gt_i32 s19, 43
	s_mov_b64 s[0:1], s[58:59]
	s_cbranch_scc0 .LBB242_1652
; %bb.1642:
	;; [unrolled: 4-line block ×3, first 2 shown]
	s_cmp_eq_u32 s19, 46
	s_mov_b64 s[0:1], -1
	s_cbranch_scc0 .LBB242_1645
; %bb.1644:
	v_cndmask_b32_e64 v0, 0, 1.0, s[8:9]
	v_bfe_u32 v3, v0, 16, 1
	s_movk_i32 s0, 0x7fff
	v_add3_u32 v0, v0, v3, s0
	v_lshrrev_b32_e32 v0, 16, v0
	global_store_dword v[1:2], v0, off
	s_mov_b64 s[0:1], 0
.LBB242_1645:
	s_mov_b64 s[6:7], 0
.LBB242_1646:
	s_and_b64 vcc, exec, s[6:7]
	s_cbranch_vccz .LBB242_1651
; %bb.1647:
	s_cmp_eq_u32 s19, 44
	s_mov_b64 s[0:1], -1
	s_cbranch_scc0 .LBB242_1651
; %bb.1648:
	v_cndmask_b32_e64 v3, 0, 1.0, s[8:9]
	v_lshrrev_b32_e32 v0, 23, v3
	s_movk_i32 s0, 0xff
	v_cmp_ne_u32_e32 vcc, s0, v0
	v_mov_b32_e32 v4, 0xff
	s_and_saveexec_b64 s[6:7], vcc
; %bb.1649:
	s_mov_b32 s0, 0x3fffff
	v_and_b32_e32 v4, 0x400000, v3
	v_and_or_b32 v3, v3, s0, v0
	v_cmp_ne_u32_e32 vcc, 0, v4
	v_cmp_ne_u32_e64 s[0:1], 0, v3
	s_and_b64 s[0:1], vcc, s[0:1]
	v_cndmask_b32_e64 v3, 0, 1, s[0:1]
	v_add_u32_e32 v4, v0, v3
; %bb.1650:
	s_or_b64 exec, exec, s[6:7]
	s_mov_b64 s[0:1], 0
	global_store_byte v[1:2], v4, off
.LBB242_1651:
	s_mov_b64 s[6:7], 0
.LBB242_1652:
	s_and_b64 vcc, exec, s[6:7]
	s_cbranch_vccz .LBB242_1655
; %bb.1653:
	s_cmp_eq_u32 s19, 29
	s_mov_b64 s[0:1], -1
	s_cbranch_scc0 .LBB242_1655
; %bb.1654:
	s_mov_b32 s0, 0
	v_cndmask_b32_e64 v3, 0, 1, s[8:9]
	v_mov_b32_e32 v4, s0
	global_store_dwordx2 v[1:2], v[3:4], off
	s_mov_b64 s[0:1], 0
.LBB242_1655:
	s_mov_b64 s[6:7], 0
.LBB242_1656:
	s_and_b64 vcc, exec, s[6:7]
	s_cbranch_vccz .LBB242_1671
; %bb.1657:
	s_cmp_lt_i32 s19, 27
	s_mov_b64 s[6:7], -1
	s_cbranch_scc1 .LBB242_1663
; %bb.1658:
	s_cmp_gt_i32 s19, 27
	s_cbranch_scc0 .LBB242_1660
; %bb.1659:
	v_cndmask_b32_e64 v0, 0, 1, s[8:9]
	s_mov_b64 s[6:7], 0
	global_store_dword v[1:2], v0, off
.LBB242_1660:
	s_andn2_b64 vcc, exec, s[6:7]
	s_cbranch_vccnz .LBB242_1662
; %bb.1661:
	v_cndmask_b32_e64 v0, 0, 1, s[8:9]
	global_store_short v[1:2], v0, off
.LBB242_1662:
	s_mov_b64 s[6:7], 0
.LBB242_1663:
	s_andn2_b64 vcc, exec, s[6:7]
	s_cbranch_vccnz .LBB242_1671
; %bb.1664:
	v_cndmask_b32_e64 v3, 0, 1.0, s[8:9]
	s_mov_b32 s6, 0x43800000
	v_cmp_gt_u32_e32 vcc, s6, v3
	v_mov_b32_e32 v4, 0x80
	s_and_saveexec_b64 s[6:7], vcc
	s_cbranch_execz .LBB242_1670
; %bb.1665:
	s_mov_b32 s12, 0x3bffffff
	v_cmp_lt_u32_e32 vcc, s12, v3
	s_mov_b64 s[12:13], 0
                                        ; implicit-def: $vgpr0
	s_and_saveexec_b64 s[14:15], vcc
	s_xor_b64 s[14:15], exec, s[14:15]
	s_cbranch_execz .LBB242_1836
; %bb.1666:
	v_bfe_u32 v0, v3, 20, 1
	s_mov_b32 s16, 0x487ffff
	v_add3_u32 v0, v3, v0, s16
	s_mov_b64 s[12:13], exec
	v_lshrrev_b32_e32 v0, 20, v0
                                        ; implicit-def: $vgpr3
	s_andn2_saveexec_b64 s[14:15], s[14:15]
	s_cbranch_execnz .LBB242_1837
.LBB242_1667:
	s_or_b64 exec, exec, s[14:15]
	v_mov_b32_e32 v4, 0
	s_and_saveexec_b64 s[14:15], s[12:13]
.LBB242_1668:
	v_mov_b32_e32 v4, v0
.LBB242_1669:
	s_or_b64 exec, exec, s[14:15]
.LBB242_1670:
	s_or_b64 exec, exec, s[6:7]
	global_store_byte v[1:2], v4, off
.LBB242_1671:
	s_mov_b64 s[12:13], 0
.LBB242_1672:
	s_mov_b64 s[6:7], 0
	s_and_b64 vcc, exec, s[12:13]
	s_cbranch_vccz .LBB242_1716
; %bb.1673:
	s_cmp_gt_i32 s19, 22
	s_mov_b64 s[12:13], -1
	s_cbranch_scc0 .LBB242_1705
; %bb.1674:
	s_cmp_lt_i32 s19, 24
	s_cbranch_scc1 .LBB242_1694
; %bb.1675:
	s_cmp_gt_i32 s19, 24
	s_cbranch_scc0 .LBB242_1683
; %bb.1676:
	v_cndmask_b32_e64 v3, 0, 1.0, s[8:9]
	s_mov_b32 s12, 0x47800000
	v_cmp_gt_u32_e32 vcc, s12, v3
	v_mov_b32_e32 v4, 0x80
	s_and_saveexec_b64 s[12:13], vcc
	s_cbranch_execz .LBB242_1682
; %bb.1677:
	s_mov_b32 s14, 0x37ffffff
	v_cmp_lt_u32_e32 vcc, s14, v3
	s_mov_b64 s[14:15], 0
                                        ; implicit-def: $vgpr0
	s_and_saveexec_b64 s[16:17], vcc
	s_xor_b64 s[16:17], exec, s[16:17]
	s_cbranch_execz .LBB242_2127
; %bb.1678:
	v_bfe_u32 v0, v3, 21, 1
	s_mov_b32 s20, 0x88fffff
	v_add3_u32 v0, v3, v0, s20
	s_mov_b64 s[14:15], exec
	v_lshrrev_b32_e32 v0, 21, v0
                                        ; implicit-def: $vgpr3
	s_andn2_saveexec_b64 s[16:17], s[16:17]
	s_cbranch_execnz .LBB242_2128
.LBB242_1679:
	s_or_b64 exec, exec, s[16:17]
	v_mov_b32_e32 v4, 0
	s_and_saveexec_b64 s[16:17], s[14:15]
.LBB242_1680:
	v_mov_b32_e32 v4, v0
.LBB242_1681:
	s_or_b64 exec, exec, s[16:17]
.LBB242_1682:
	s_or_b64 exec, exec, s[12:13]
	s_mov_b64 s[12:13], 0
	global_store_byte v[1:2], v4, off
.LBB242_1683:
	s_and_b64 vcc, exec, s[12:13]
	s_cbranch_vccz .LBB242_1693
; %bb.1684:
	v_cndmask_b32_e64 v0, 0, 1.0, s[8:9]
	s_mov_b32 s12, 0x43f00000
	v_cmp_gt_u32_e32 vcc, s12, v0
                                        ; implicit-def: $vgpr3
	s_and_saveexec_b64 s[12:13], vcc
	s_xor_b64 s[12:13], exec, s[12:13]
	s_cbranch_execz .LBB242_1690
; %bb.1685:
	s_mov_b32 s14, 0x3c7fffff
	v_cmp_lt_u32_e32 vcc, s14, v0
                                        ; implicit-def: $vgpr3
	s_and_saveexec_b64 s[14:15], vcc
	s_xor_b64 s[14:15], exec, s[14:15]
; %bb.1686:
	v_bfe_u32 v3, v0, 20, 1
	s_mov_b32 s16, 0x407ffff
	v_add3_u32 v0, v0, v3, s16
	v_lshrrev_b32_e32 v3, 20, v0
	v_and_b32_e32 v0, 0xff00000, v0
	s_mov_b32 s16, 0x7f00000
	v_mov_b32_e32 v4, 0x7e
	v_cmp_ne_u32_e32 vcc, s16, v0
	v_cndmask_b32_e32 v3, v4, v3, vcc
                                        ; implicit-def: $vgpr0
; %bb.1687:
	s_andn2_saveexec_b64 s[14:15], s[14:15]
; %bb.1688:
	v_add_f32_e32 v3, 0x46800000, v0
; %bb.1689:
	s_or_b64 exec, exec, s[14:15]
                                        ; implicit-def: $vgpr0
.LBB242_1690:
	s_andn2_saveexec_b64 s[12:13], s[12:13]
; %bb.1691:
	s_mov_b32 s14, 0x7f800000
	v_mov_b32_e32 v3, 0x7e
	v_mov_b32_e32 v4, 0x7f
	v_cmp_lt_u32_e32 vcc, s14, v0
	v_cndmask_b32_e32 v3, v3, v4, vcc
; %bb.1692:
	s_or_b64 exec, exec, s[12:13]
	global_store_byte v[1:2], v3, off
.LBB242_1693:
	s_mov_b64 s[12:13], 0
.LBB242_1694:
	s_andn2_b64 vcc, exec, s[12:13]
	s_cbranch_vccnz .LBB242_1704
; %bb.1695:
	v_cndmask_b32_e64 v0, 0, 1.0, s[8:9]
	s_mov_b32 s12, 0x47800000
	v_cmp_gt_u32_e32 vcc, s12, v0
                                        ; implicit-def: $vgpr3
	s_and_saveexec_b64 s[12:13], vcc
	s_xor_b64 s[12:13], exec, s[12:13]
	s_cbranch_execz .LBB242_1701
; %bb.1696:
	s_mov_b32 s14, 0x387fffff
	v_cmp_lt_u32_e32 vcc, s14, v0
                                        ; implicit-def: $vgpr3
	s_and_saveexec_b64 s[14:15], vcc
	s_xor_b64 s[14:15], exec, s[14:15]
; %bb.1697:
	v_bfe_u32 v3, v0, 21, 1
	s_mov_b32 s16, 0x80fffff
	v_add3_u32 v0, v0, v3, s16
	v_lshrrev_b32_e32 v3, 21, v0
                                        ; implicit-def: $vgpr0
; %bb.1698:
	s_andn2_saveexec_b64 s[14:15], s[14:15]
; %bb.1699:
	v_add_f32_e32 v3, 0x43000000, v0
; %bb.1700:
	s_or_b64 exec, exec, s[14:15]
                                        ; implicit-def: $vgpr0
.LBB242_1701:
	s_andn2_saveexec_b64 s[12:13], s[12:13]
; %bb.1702:
	s_mov_b32 s14, 0x7f800000
	v_mov_b32_e32 v3, 0x7c
	v_mov_b32_e32 v4, 0x7f
	v_cmp_lt_u32_e32 vcc, s14, v0
	v_cndmask_b32_e32 v3, v3, v4, vcc
; %bb.1703:
	s_or_b64 exec, exec, s[12:13]
	global_store_byte v[1:2], v3, off
.LBB242_1704:
	s_mov_b64 s[12:13], 0
.LBB242_1705:
	s_andn2_b64 vcc, exec, s[12:13]
	s_mov_b64 s[14:15], 0
	s_cbranch_vccnz .LBB242_1717
; %bb.1706:
	s_cmp_gt_i32 s19, 14
	s_mov_b64 s[12:13], -1
	s_cbranch_scc0 .LBB242_1710
; %bb.1707:
	s_cmp_eq_u32 s19, 15
	s_mov_b64 s[0:1], -1
	s_cbranch_scc0 .LBB242_1709
; %bb.1708:
	v_cndmask_b32_e64 v0, 0, 1.0, s[8:9]
	v_bfe_u32 v3, v0, 16, 1
	s_movk_i32 s0, 0x7fff
	v_add3_u32 v0, v0, v3, s0
	global_store_short_d16_hi v[1:2], v0, off
	s_mov_b64 s[0:1], 0
.LBB242_1709:
	s_mov_b64 s[12:13], 0
.LBB242_1710:
	s_and_b64 vcc, exec, s[12:13]
	s_cbranch_vccz .LBB242_1717
; %bb.1711:
	s_cmp_lg_u32 s19, 11
	s_cselect_b64 s[12:13], -1, 0
	s_andn2_b64 s[0:1], s[0:1], exec
	s_and_b64 s[12:13], s[12:13], exec
	s_mov_b64 s[14:15], -1
	s_or_b64 s[0:1], s[0:1], s[12:13]
	s_branch .LBB242_1717
.LBB242_1712:
	s_or_b64 exec, exec, s[10:11]
	s_and_saveexec_b64 s[0:1], s[58:59]
	s_cbranch_execnz .LBB242_1718
.LBB242_1713:
	s_or_b64 exec, exec, s[0:1]
	s_and_saveexec_b64 s[0:1], s[14:15]
	s_xor_b64 s[0:1], exec, s[0:1]
	s_cbranch_execz .LBB242_1719
.LBB242_1714:
	v_cndmask_b32_e64 v0, 0, 1, s[8:9]
	global_store_byte v[1:2], v0, off
	s_or_b64 exec, exec, s[0:1]
	s_and_saveexec_b64 s[0:1], s[12:13]
	s_xor_b64 s[0:1], exec, s[0:1]
	s_cbranch_execz .LBB242_1757
	s_branch .LBB242_1720
.LBB242_1715:
	s_mov_b64 s[6:7], -1
	s_mov_b64 s[0:1], s[58:59]
	s_branch .LBB242_1717
.LBB242_1716:
	s_mov_b64 s[14:15], 0
.LBB242_1717:
	s_and_b64 s[12:13], s[6:7], exec
	s_andn2_b64 s[6:7], s[58:59], exec
	s_and_b64 s[0:1], s[0:1], exec
	s_and_b64 s[14:15], s[14:15], exec
	s_or_b64 s[58:59], s[6:7], s[0:1]
	s_or_b64 exec, exec, s[10:11]
	s_and_saveexec_b64 s[0:1], s[58:59]
	s_cbranch_execz .LBB242_1713
.LBB242_1718:
	s_or_b64 s[2:3], s[2:3], exec
	s_andn2_b64 s[14:15], s[14:15], exec
	s_trap 2
	s_or_b64 exec, exec, s[0:1]
	s_and_saveexec_b64 s[0:1], s[14:15]
	s_xor_b64 s[0:1], exec, s[0:1]
	s_cbranch_execnz .LBB242_1714
.LBB242_1719:
	s_or_b64 exec, exec, s[0:1]
	s_and_saveexec_b64 s[0:1], s[12:13]
	s_xor_b64 s[0:1], exec, s[0:1]
	s_cbranch_execz .LBB242_1757
.LBB242_1720:
	s_sext_i32_i16 s10, s18
	s_cmp_lt_i32 s10, 5
	s_mov_b64 s[6:7], -1
	s_cbranch_scc1 .LBB242_1741
; %bb.1721:
	s_cmp_lt_i32 s10, 8
	s_cbranch_scc1 .LBB242_1731
; %bb.1722:
	s_cmp_lt_i32 s10, 9
	s_cbranch_scc1 .LBB242_1728
; %bb.1723:
	s_cmp_gt_i32 s10, 9
	s_cbranch_scc0 .LBB242_1725
; %bb.1724:
	v_cndmask_b32_e64 v0, 0, 1, s[8:9]
	s_waitcnt vmcnt(0)
	v_cvt_f64_u32_e32 v[3:4], v0
	v_mov_b32_e32 v5, 0
	v_mov_b32_e32 v6, v5
	s_mov_b64 s[6:7], 0
	global_store_dwordx4 v[1:2], v[3:6], off
.LBB242_1725:
	s_andn2_b64 vcc, exec, s[6:7]
	s_cbranch_vccnz .LBB242_1727
; %bb.1726:
	s_waitcnt vmcnt(0)
	v_cndmask_b32_e64 v3, 0, 1.0, s[8:9]
	v_mov_b32_e32 v4, 0
	global_store_dwordx2 v[1:2], v[3:4], off
.LBB242_1727:
	s_mov_b64 s[6:7], 0
.LBB242_1728:
	s_andn2_b64 vcc, exec, s[6:7]
	s_cbranch_vccnz .LBB242_1730
; %bb.1729:
	v_cndmask_b32_e64 v0, 0, 1.0, s[8:9]
	v_cvt_f16_f32_e32 v0, v0
	global_store_dword v[1:2], v0, off
.LBB242_1730:
	s_mov_b64 s[6:7], 0
.LBB242_1731:
	s_andn2_b64 vcc, exec, s[6:7]
	s_cbranch_vccnz .LBB242_1740
; %bb.1732:
	s_sext_i32_i16 s10, s18
	s_cmp_lt_i32 s10, 6
	s_mov_b64 s[6:7], -1
	s_cbranch_scc1 .LBB242_1738
; %bb.1733:
	s_cmp_gt_i32 s10, 6
	s_cbranch_scc0 .LBB242_1735
; %bb.1734:
	v_cndmask_b32_e64 v0, 0, 1, s[8:9]
	s_waitcnt vmcnt(0)
	v_cvt_f64_u32_e32 v[3:4], v0
	s_mov_b64 s[6:7], 0
	global_store_dwordx2 v[1:2], v[3:4], off
.LBB242_1735:
	s_andn2_b64 vcc, exec, s[6:7]
	s_cbranch_vccnz .LBB242_1737
; %bb.1736:
	v_cndmask_b32_e64 v0, 0, 1.0, s[8:9]
	global_store_dword v[1:2], v0, off
.LBB242_1737:
	s_mov_b64 s[6:7], 0
.LBB242_1738:
	s_andn2_b64 vcc, exec, s[6:7]
	s_cbranch_vccnz .LBB242_1740
; %bb.1739:
	v_cndmask_b32_e64 v0, 0, 1.0, s[8:9]
	v_cvt_f16_f32_e32 v0, v0
	global_store_short v[1:2], v0, off
.LBB242_1740:
	s_mov_b64 s[6:7], 0
.LBB242_1741:
	s_andn2_b64 vcc, exec, s[6:7]
	s_cbranch_vccnz .LBB242_1757
; %bb.1742:
	s_sext_i32_i16 s10, s18
	s_cmp_lt_i32 s10, 2
	s_mov_b64 s[6:7], -1
	s_cbranch_scc1 .LBB242_1752
; %bb.1743:
	s_cmp_lt_i32 s10, 3
	s_cbranch_scc1 .LBB242_1749
; %bb.1744:
	s_cmp_gt_i32 s10, 3
	s_cbranch_scc0 .LBB242_1746
; %bb.1745:
	s_mov_b32 s6, 0
	s_waitcnt vmcnt(0)
	v_cndmask_b32_e64 v3, 0, 1, s[8:9]
	v_mov_b32_e32 v4, s6
	s_mov_b64 s[6:7], 0
	global_store_dwordx2 v[1:2], v[3:4], off
.LBB242_1746:
	s_andn2_b64 vcc, exec, s[6:7]
	s_cbranch_vccnz .LBB242_1748
; %bb.1747:
	v_cndmask_b32_e64 v0, 0, 1, s[8:9]
	global_store_dword v[1:2], v0, off
.LBB242_1748:
	s_mov_b64 s[6:7], 0
.LBB242_1749:
	s_andn2_b64 vcc, exec, s[6:7]
	s_cbranch_vccnz .LBB242_1751
; %bb.1750:
	v_cndmask_b32_e64 v0, 0, 1, s[8:9]
	global_store_short v[1:2], v0, off
.LBB242_1751:
	s_mov_b64 s[6:7], 0
.LBB242_1752:
	s_andn2_b64 vcc, exec, s[6:7]
	s_cbranch_vccnz .LBB242_1757
; %bb.1753:
	s_sext_i32_i16 s6, s18
	s_cmp_gt_i32 s6, 0
	s_mov_b64 s[6:7], -1
	s_cbranch_scc0 .LBB242_1755
; %bb.1754:
	v_cndmask_b32_e64 v0, 0, 1, s[8:9]
	s_mov_b64 s[6:7], 0
	global_store_byte v[1:2], v0, off
.LBB242_1755:
	s_andn2_b64 vcc, exec, s[6:7]
	s_cbranch_vccnz .LBB242_1757
; %bb.1756:
	v_cndmask_b32_e64 v0, 0, 1, s[8:9]
	global_store_byte v[1:2], v0, off
.LBB242_1757:
	s_or_b64 exec, exec, s[0:1]
	s_and_b64 s[6:7], s[2:3], exec
                                        ; implicit-def: $vgpr15
                                        ; implicit-def: $vgpr8
.LBB242_1758:
	s_or_saveexec_b64 s[28:29], s[48:49]
	s_mov_b64 s[0:1], 0
                                        ; implicit-def: $sgpr2_sgpr3
                                        ; implicit-def: $vgpr0_vgpr1
                                        ; implicit-def: $sgpr20
	s_xor_b64 exec, exec, s[28:29]
	s_cbranch_execz .LBB242_3432
; %bb.1759:
	v_cndmask_b32_e64 v0, 0, 1, s[46:47]
	v_cmp_ne_u32_e64 s[0:1], 1, v0
	s_andn2_b64 vcc, exec, s[46:47]
	s_cbranch_vccnz .LBB242_1765
; %bb.1760:
	s_cmp_lg_u32 s33, 0
	s_waitcnt lgkmcnt(0)
	s_mov_b32 s36, 0
	s_cbranch_scc0 .LBB242_1766
; %bb.1761:
	s_min_u32 s37, s74, 15
	s_add_i32 s37, s37, 1
	s_cmp_eq_u32 s74, 2
	s_cbranch_scc1 .LBB242_1767
; %bb.1762:
	s_and_b32 s36, s37, 28
	s_add_u32 s2, s34, 0xc4
	s_addc_u32 s3, s35, 0
	v_mov_b32_e32 v13, 0
	s_mov_b32 s38, 0
	s_mov_b64 s[30:31], s[34:35]
	v_mov_b32_e32 v6, 0
	v_mov_b32_e32 v0, v8
.LBB242_1763:                           ; =>This Inner Loop Header: Depth=1
	s_load_dwordx8 s[16:23], s[30:31], 0x4
	s_load_dwordx4 s[24:27], s[30:31], 0x24
	s_load_dwordx8 s[8:15], s[2:3], 0x0
	s_add_u32 s30, s30, 48
	s_addc_u32 s31, s31, 0
	s_waitcnt lgkmcnt(0)
	v_mul_hi_u32 v1, s17, v0
	s_add_i32 s38, s38, 4
	s_add_u32 s2, s2, 32
	s_addc_u32 s3, s3, 0
	v_add_u32_e32 v1, v0, v1
	v_lshrrev_b32_e32 v1, s18, v1
	v_mul_lo_u32 v2, v1, s16
	s_waitcnt vmcnt(0)
	v_mul_hi_u32 v3, s20, v1
	s_cmp_lg_u32 s36, s38
	v_sub_u32_e32 v0, v0, v2
	v_add_u32_e32 v2, v1, v3
	v_mul_lo_u32 v3, v0, s8
	v_mul_lo_u32 v4, v0, s9
	v_lshrrev_b32_e32 v0, s21, v2
	v_mul_lo_u32 v2, v0, s19
	v_mul_hi_u32 v5, s23, v0
	v_sub_u32_e32 v1, v1, v2
	v_add_u32_e32 v2, v0, v5
	v_lshrrev_b32_e32 v2, s24, v2
	v_mul_hi_u32 v7, s26, v2
	v_mul_lo_u32 v9, v2, s22
	v_mul_lo_u32 v5, v1, s10
	;; [unrolled: 1-line block ×3, first 2 shown]
	v_sub_u32_e32 v9, v0, v9
	v_add_u32_e32 v0, v2, v7
	v_lshrrev_b32_e32 v0, s27, v0
	v_mul_lo_u32 v7, v0, s25
	v_mul_lo_u32 v10, v9, s12
	;; [unrolled: 1-line block ×3, first 2 shown]
	v_add3_u32 v3, v3, v6, v5
	v_sub_u32_e32 v2, v2, v7
	v_mul_lo_u32 v7, v2, s14
	v_mul_lo_u32 v2, v2, s15
	v_add3_u32 v1, v4, v13, v1
	v_add3_u32 v6, v10, v3, v7
	;; [unrolled: 1-line block ×3, first 2 shown]
	s_cbranch_scc1 .LBB242_1763
; %bb.1764:
	s_and_b32 s10, s37, 3
	s_cmp_eq_u32 s10, 0
	s_cbranch_scc0 .LBB242_1768
	s_branch .LBB242_1770
.LBB242_1765:
                                        ; implicit-def: $vgpr6
                                        ; implicit-def: $vgpr13
	s_branch .LBB242_1771
.LBB242_1766:
	v_mov_b32_e32 v6, 0
	v_mov_b32_e32 v13, 0
	s_branch .LBB242_1770
.LBB242_1767:
	v_mov_b32_e32 v6, 0
	v_mov_b32_e32 v13, 0
	;; [unrolled: 1-line block ×3, first 2 shown]
	s_and_b32 s10, s37, 3
	s_cmp_eq_u32 s10, 0
	s_cbranch_scc1 .LBB242_1770
.LBB242_1768:
	s_lshl_b32 s2, s36, 3
	s_add_u32 s2, s34, s2
	s_addc_u32 s3, s35, 0
	s_add_u32 s2, s2, 0xc4
	s_addc_u32 s3, s3, 0
	s_mul_i32 s8, s36, 12
	s_add_u32 s8, s34, s8
	s_addc_u32 s9, s35, 0
.LBB242_1769:                           ; =>This Inner Loop Header: Depth=1
	s_load_dwordx2 s[12:13], s[8:9], 0x4
	s_load_dword s11, s[8:9], 0xc
	s_load_dwordx2 s[14:15], s[2:3], 0x0
	s_add_u32 s8, s8, 12
	s_addc_u32 s9, s9, 0
	s_waitcnt lgkmcnt(0)
	v_mul_hi_u32 v1, s13, v0
	s_add_u32 s2, s2, 8
	s_addc_u32 s3, s3, 0
	s_add_i32 s10, s10, -1
	v_add_u32_e32 v1, v0, v1
	v_lshrrev_b32_e32 v1, s11, v1
	v_mul_lo_u32 v2, v1, s12
	s_cmp_lg_u32 s10, 0
	v_sub_u32_e32 v0, v0, v2
	v_mad_u64_u32 v[6:7], s[12:13], v0, s14, v[6:7]
	v_mad_u64_u32 v[13:14], s[12:13], v0, s15, v[13:14]
	v_mov_b32_e32 v0, v1
	s_cbranch_scc1 .LBB242_1769
.LBB242_1770:
	s_cbranch_execnz .LBB242_1773
.LBB242_1771:
	s_load_dwordx4 s[8:11], s[34:35], 0x4
	s_load_dwordx2 s[2:3], s[34:35], 0xc4
	s_cmp_lt_u32 s33, 2
	s_waitcnt lgkmcnt(0)
	v_mul_hi_u32 v0, s9, v8
	v_add_u32_e32 v0, v8, v0
	v_lshrrev_b32_e32 v0, s10, v0
	v_mul_lo_u32 v1, v0, s8
	v_sub_u32_e32 v1, v8, v1
	v_mul_lo_u32 v6, v1, s2
	v_mul_lo_u32 v13, v1, s3
	s_cbranch_scc1 .LBB242_1773
; %bb.1772:
	s_load_dwordx4 s[8:11], s[34:35], 0x10
	s_load_dwordx2 s[2:3], s[34:35], 0xcc
	s_waitcnt lgkmcnt(0)
	v_mul_hi_u32 v1, s9, v0
	v_add_u32_e32 v1, v0, v1
	v_lshrrev_b32_e32 v1, s10, v1
	v_mul_lo_u32 v1, v1, s8
	v_sub_u32_e32 v0, v0, v1
	v_mad_u64_u32 v[6:7], s[8:9], v0, s2, v[6:7]
	v_mad_u64_u32 v[13:14], s[2:3], v0, s3, v[13:14]
.LBB242_1773:
	s_and_b64 vcc, exec, s[0:1]
	v_add_u32_e32 v0, 0x80, v8
	s_cbranch_vccnz .LBB242_1779
; %bb.1774:
	s_cmp_lg_u32 s33, 0
	s_waitcnt lgkmcnt(0)
	s_mov_b32 s36, 0
	s_cbranch_scc0 .LBB242_1780
; %bb.1775:
	s_min_u32 s37, s74, 15
	s_add_i32 s37, s37, 1
	s_cmp_eq_u32 s74, 2
	s_cbranch_scc1 .LBB242_1781
; %bb.1776:
	s_and_b32 s36, s37, 28
	s_add_u32 s2, s34, 0xc4
	s_addc_u32 s3, s35, 0
	v_mov_b32_e32 v11, 0
	s_mov_b32 s38, 0
	s_mov_b64 s[30:31], s[34:35]
	v_mov_b32_e32 v4, 0
	v_mov_b32_e32 v1, v0
.LBB242_1777:                           ; =>This Inner Loop Header: Depth=1
	s_load_dwordx8 s[16:23], s[30:31], 0x4
	s_load_dwordx4 s[24:27], s[30:31], 0x24
	s_load_dwordx8 s[8:15], s[2:3], 0x0
	s_add_u32 s30, s30, 48
	s_addc_u32 s31, s31, 0
	s_waitcnt lgkmcnt(0)
	v_mul_hi_u32 v2, s17, v1
	s_add_i32 s38, s38, 4
	s_add_u32 s2, s2, 32
	s_addc_u32 s3, s3, 0
	v_add_u32_e32 v2, v1, v2
	v_lshrrev_b32_e32 v2, s18, v2
	s_waitcnt vmcnt(0)
	v_mul_lo_u32 v3, v2, s16
	v_mul_hi_u32 v5, s20, v2
	s_cmp_lg_u32 s36, s38
	v_sub_u32_e32 v1, v1, v3
	v_add_u32_e32 v3, v2, v5
	v_mul_lo_u32 v5, v1, s8
	v_mul_lo_u32 v7, v1, s9
	v_lshrrev_b32_e32 v1, s21, v3
	v_mul_lo_u32 v3, v1, s19
	v_mul_hi_u32 v9, s23, v1
	v_sub_u32_e32 v2, v2, v3
	v_add_u32_e32 v3, v1, v9
	v_lshrrev_b32_e32 v3, s24, v3
	v_mul_hi_u32 v10, s26, v3
	v_mul_lo_u32 v12, v3, s22
	v_mul_lo_u32 v9, v2, s10
	;; [unrolled: 1-line block ×3, first 2 shown]
	v_sub_u32_e32 v12, v1, v12
	v_add_u32_e32 v1, v3, v10
	v_lshrrev_b32_e32 v1, s27, v1
	v_mul_lo_u32 v10, v1, s25
	v_mul_lo_u32 v14, v12, s12
	;; [unrolled: 1-line block ×3, first 2 shown]
	v_add3_u32 v4, v5, v4, v9
	v_sub_u32_e32 v3, v3, v10
	v_mul_lo_u32 v10, v3, s14
	v_mul_lo_u32 v3, v3, s15
	v_add3_u32 v2, v7, v11, v2
	v_add3_u32 v4, v14, v4, v10
	;; [unrolled: 1-line block ×3, first 2 shown]
	s_cbranch_scc1 .LBB242_1777
; %bb.1778:
	s_and_b32 s10, s37, 3
	s_cmp_eq_u32 s10, 0
	s_cbranch_scc0 .LBB242_1782
	s_branch .LBB242_1784
.LBB242_1779:
                                        ; implicit-def: $vgpr4
                                        ; implicit-def: $vgpr11
	s_branch .LBB242_1785
.LBB242_1780:
	v_mov_b32_e32 v4, 0
	v_mov_b32_e32 v11, 0
	s_branch .LBB242_1784
.LBB242_1781:
	v_mov_b32_e32 v4, 0
	v_mov_b32_e32 v11, 0
	;; [unrolled: 1-line block ×3, first 2 shown]
	s_and_b32 s10, s37, 3
	s_cmp_eq_u32 s10, 0
	s_cbranch_scc1 .LBB242_1784
.LBB242_1782:
	s_lshl_b32 s2, s36, 3
	s_add_u32 s2, s34, s2
	s_addc_u32 s3, s35, 0
	s_add_u32 s2, s2, 0xc4
	s_addc_u32 s3, s3, 0
	s_mul_i32 s8, s36, 12
	s_add_u32 s8, s34, s8
	s_addc_u32 s9, s35, 0
.LBB242_1783:                           ; =>This Inner Loop Header: Depth=1
	s_load_dwordx2 s[12:13], s[8:9], 0x4
	s_load_dword s11, s[8:9], 0xc
	s_load_dwordx2 s[14:15], s[2:3], 0x0
	s_add_u32 s8, s8, 12
	s_addc_u32 s9, s9, 0
	s_waitcnt lgkmcnt(0)
	v_mul_hi_u32 v2, s13, v1
	s_add_u32 s2, s2, 8
	s_addc_u32 s3, s3, 0
	s_add_i32 s10, s10, -1
	v_add_u32_e32 v2, v1, v2
	v_lshrrev_b32_e32 v2, s11, v2
	s_waitcnt vmcnt(0)
	v_mul_lo_u32 v3, v2, s12
	s_cmp_lg_u32 s10, 0
	v_sub_u32_e32 v1, v1, v3
	v_mad_u64_u32 v[4:5], s[12:13], v1, s14, v[4:5]
	v_mad_u64_u32 v[11:12], s[12:13], v1, s15, v[11:12]
	v_mov_b32_e32 v1, v2
	s_cbranch_scc1 .LBB242_1783
.LBB242_1784:
	s_cbranch_execnz .LBB242_1787
.LBB242_1785:
	s_load_dwordx4 s[8:11], s[34:35], 0x4
	s_load_dwordx2 s[2:3], s[34:35], 0xc4
	s_cmp_lt_u32 s33, 2
	s_waitcnt lgkmcnt(0)
	v_mul_hi_u32 v1, s9, v0
	v_add_u32_e32 v1, v0, v1
	v_lshrrev_b32_e32 v1, s10, v1
	v_mul_lo_u32 v2, v1, s8
	v_sub_u32_e32 v0, v0, v2
	v_mul_lo_u32 v4, v0, s2
	v_mul_lo_u32 v11, v0, s3
	s_cbranch_scc1 .LBB242_1787
; %bb.1786:
	s_load_dwordx4 s[8:11], s[34:35], 0x10
	s_load_dwordx2 s[2:3], s[34:35], 0xcc
	s_waitcnt lgkmcnt(0)
	v_mul_hi_u32 v0, s9, v1
	v_add_u32_e32 v0, v1, v0
	v_lshrrev_b32_e32 v0, s10, v0
	v_mul_lo_u32 v0, v0, s8
	v_sub_u32_e32 v0, v1, v0
	v_mad_u64_u32 v[4:5], s[8:9], v0, s2, v[4:5]
	v_mad_u64_u32 v[11:12], s[2:3], v0, s3, v[11:12]
.LBB242_1787:
	s_and_b64 vcc, exec, s[0:1]
	v_add_u32_e32 v0, 0x100, v8
	s_cbranch_vccnz .LBB242_1793
; %bb.1788:
	s_cmp_lg_u32 s33, 0
	s_waitcnt lgkmcnt(0)
	s_mov_b32 s36, 0
	s_cbranch_scc0 .LBB242_1794
; %bb.1789:
	s_min_u32 s37, s74, 15
	s_add_i32 s37, s37, 1
	s_cmp_eq_u32 s74, 2
	s_cbranch_scc1 .LBB242_1795
; %bb.1790:
	s_and_b32 s36, s37, 28
	s_add_u32 s2, s34, 0xc4
	s_addc_u32 s3, s35, 0
	v_mov_b32_e32 v9, 0
	s_mov_b32 s38, 0
	s_mov_b64 s[30:31], s[34:35]
	v_mov_b32_e32 v2, 0
	v_mov_b32_e32 v1, v0
.LBB242_1791:                           ; =>This Inner Loop Header: Depth=1
	s_load_dwordx8 s[16:23], s[30:31], 0x4
	s_load_dwordx4 s[24:27], s[30:31], 0x24
	s_load_dwordx8 s[8:15], s[2:3], 0x0
	s_add_u32 s30, s30, 48
	s_addc_u32 s31, s31, 0
	s_waitcnt vmcnt(0) lgkmcnt(0)
	v_mul_hi_u32 v3, s17, v1
	s_add_i32 s38, s38, 4
	s_add_u32 s2, s2, 32
	s_addc_u32 s3, s3, 0
	v_add_u32_e32 v3, v1, v3
	v_lshrrev_b32_e32 v3, s18, v3
	v_mul_lo_u32 v5, v3, s16
	v_mul_hi_u32 v7, s20, v3
	s_cmp_lg_u32 s36, s38
	v_sub_u32_e32 v1, v1, v5
	v_add_u32_e32 v5, v3, v7
	v_mul_lo_u32 v7, v1, s8
	v_mul_lo_u32 v8, v1, s9
	v_lshrrev_b32_e32 v1, s21, v5
	v_mul_lo_u32 v5, v1, s19
	v_mul_hi_u32 v10, s23, v1
	v_sub_u32_e32 v3, v3, v5
	v_add_u32_e32 v5, v1, v10
	v_lshrrev_b32_e32 v5, s24, v5
	v_mul_hi_u32 v12, s26, v5
	v_mul_lo_u32 v14, v5, s22
	v_mul_lo_u32 v10, v3, s10
	;; [unrolled: 1-line block ×3, first 2 shown]
	v_sub_u32_e32 v14, v1, v14
	v_add_u32_e32 v1, v5, v12
	v_lshrrev_b32_e32 v1, s27, v1
	v_mul_lo_u32 v12, v1, s25
	v_mul_lo_u32 v16, v14, s12
	;; [unrolled: 1-line block ×3, first 2 shown]
	v_add3_u32 v2, v7, v2, v10
	v_sub_u32_e32 v5, v5, v12
	v_mul_lo_u32 v12, v5, s14
	v_mul_lo_u32 v5, v5, s15
	v_add3_u32 v3, v8, v9, v3
	v_add3_u32 v2, v16, v2, v12
	;; [unrolled: 1-line block ×3, first 2 shown]
	s_cbranch_scc1 .LBB242_1791
; %bb.1792:
	s_and_b32 s10, s37, 3
	s_cmp_eq_u32 s10, 0
	s_cbranch_scc0 .LBB242_1796
	s_branch .LBB242_1798
.LBB242_1793:
                                        ; implicit-def: $vgpr2
                                        ; implicit-def: $vgpr9
	s_branch .LBB242_1799
.LBB242_1794:
	v_mov_b32_e32 v2, 0
	v_mov_b32_e32 v9, 0
	s_branch .LBB242_1798
.LBB242_1795:
	v_mov_b32_e32 v2, 0
	v_mov_b32_e32 v9, 0
	;; [unrolled: 1-line block ×3, first 2 shown]
	s_and_b32 s10, s37, 3
	s_cmp_eq_u32 s10, 0
	s_cbranch_scc1 .LBB242_1798
.LBB242_1796:
	s_lshl_b32 s2, s36, 3
	s_add_u32 s2, s34, s2
	s_addc_u32 s3, s35, 0
	s_add_u32 s2, s2, 0xc4
	s_addc_u32 s3, s3, 0
	s_mul_i32 s8, s36, 12
	s_add_u32 s8, s34, s8
	s_addc_u32 s9, s35, 0
.LBB242_1797:                           ; =>This Inner Loop Header: Depth=1
	s_load_dwordx2 s[12:13], s[8:9], 0x4
	s_load_dword s11, s[8:9], 0xc
	s_load_dwordx2 s[14:15], s[2:3], 0x0
	s_add_u32 s8, s8, 12
	s_addc_u32 s9, s9, 0
	s_waitcnt vmcnt(0) lgkmcnt(0)
	v_mul_hi_u32 v3, s13, v1
	s_add_u32 s2, s2, 8
	s_addc_u32 s3, s3, 0
	s_add_i32 s10, s10, -1
	v_add_u32_e32 v3, v1, v3
	v_lshrrev_b32_e32 v5, s11, v3
	v_mul_lo_u32 v3, v5, s12
	s_cmp_lg_u32 s10, 0
	v_sub_u32_e32 v1, v1, v3
	v_mad_u64_u32 v[2:3], s[12:13], v1, s14, v[2:3]
	v_mad_u64_u32 v[9:10], s[12:13], v1, s15, v[9:10]
	v_mov_b32_e32 v1, v5
	s_cbranch_scc1 .LBB242_1797
.LBB242_1798:
	s_cbranch_execnz .LBB242_1801
.LBB242_1799:
	s_load_dwordx4 s[8:11], s[34:35], 0x4
	s_load_dwordx2 s[2:3], s[34:35], 0xc4
	s_cmp_lt_u32 s33, 2
	s_waitcnt lgkmcnt(0)
	v_mul_hi_u32 v1, s9, v0
	v_add_u32_e32 v1, v0, v1
	v_lshrrev_b32_e32 v1, s10, v1
	v_mul_lo_u32 v2, v1, s8
	v_sub_u32_e32 v0, v0, v2
	v_mul_lo_u32 v2, v0, s2
	v_mul_lo_u32 v9, v0, s3
	s_cbranch_scc1 .LBB242_1801
; %bb.1800:
	s_load_dwordx4 s[8:11], s[34:35], 0x10
	s_load_dwordx2 s[2:3], s[34:35], 0xcc
	s_waitcnt lgkmcnt(0)
	v_mul_hi_u32 v0, s9, v1
	v_add_u32_e32 v0, v1, v0
	v_lshrrev_b32_e32 v0, s10, v0
	v_mul_lo_u32 v0, v0, s8
	v_sub_u32_e32 v0, v1, v0
	s_waitcnt vmcnt(0)
	v_mad_u64_u32 v[2:3], s[8:9], v0, s2, v[2:3]
	v_mad_u64_u32 v[9:10], s[2:3], v0, s3, v[9:10]
.LBB242_1801:
	s_and_b64 vcc, exec, s[0:1]
	s_cbranch_vccnz .LBB242_1807
; %bb.1802:
	s_cmp_lg_u32 s33, 0
	s_mov_b32 s30, 0
	s_cbranch_scc0 .LBB242_1808
; %bb.1803:
	s_min_u32 s31, s74, 15
	s_add_i32 s31, s31, 1
	s_cmp_eq_u32 s74, 2
	s_cbranch_scc1 .LBB242_1809
; %bb.1804:
	s_and_b32 s30, s31, 28
	s_waitcnt lgkmcnt(0)
	s_add_u32 s24, s34, 0xc4
	s_addc_u32 s25, s35, 0
	v_mov_b32_e32 v7, 0
	s_mov_b32 s36, 0
	s_mov_b64 s[26:27], s[34:35]
	v_mov_b32_e32 v0, 0
	v_mov_b32_e32 v1, v15
.LBB242_1805:                           ; =>This Inner Loop Header: Depth=1
	s_load_dwordx8 s[16:23], s[26:27], 0x4
	s_load_dwordx4 s[0:3], s[26:27], 0x24
	s_load_dwordx8 s[8:15], s[24:25], 0x0
	s_add_u32 s26, s26, 48
	s_addc_u32 s27, s27, 0
	s_waitcnt vmcnt(0) lgkmcnt(0)
	v_mul_hi_u32 v3, s17, v1
	s_add_i32 s36, s36, 4
	s_add_u32 s24, s24, 32
	s_addc_u32 s25, s25, 0
	v_add_u32_e32 v3, v1, v3
	v_lshrrev_b32_e32 v3, s18, v3
	v_mul_lo_u32 v5, v3, s16
	v_mul_hi_u32 v8, s20, v3
	s_cmp_lg_u32 s30, s36
	v_sub_u32_e32 v1, v1, v5
	v_add_u32_e32 v5, v3, v8
	v_mul_lo_u32 v8, v1, s8
	v_mul_lo_u32 v10, v1, s9
	v_lshrrev_b32_e32 v1, s21, v5
	v_mul_lo_u32 v5, v1, s19
	v_mul_hi_u32 v12, s23, v1
	v_sub_u32_e32 v3, v3, v5
	v_add_u32_e32 v5, v1, v12
	v_lshrrev_b32_e32 v5, s0, v5
	v_mul_hi_u32 v14, s2, v5
	v_mul_lo_u32 v16, v5, s22
	v_mul_lo_u32 v12, v3, s10
	v_mul_lo_u32 v3, v3, s11
	v_sub_u32_e32 v16, v1, v16
	v_add_u32_e32 v1, v5, v14
	v_lshrrev_b32_e32 v1, s3, v1
	v_mul_lo_u32 v14, v1, s1
	v_mul_lo_u32 v17, v16, s12
	;; [unrolled: 1-line block ×3, first 2 shown]
	v_add3_u32 v0, v8, v0, v12
	v_sub_u32_e32 v5, v5, v14
	v_mul_lo_u32 v14, v5, s14
	v_mul_lo_u32 v5, v5, s15
	v_add3_u32 v3, v10, v7, v3
	v_add3_u32 v0, v17, v0, v14
	;; [unrolled: 1-line block ×3, first 2 shown]
	s_cbranch_scc1 .LBB242_1805
; %bb.1806:
	s_and_b32 s8, s31, 3
	s_cmp_eq_u32 s8, 0
	s_cbranch_scc0 .LBB242_1810
	s_branch .LBB242_1812
.LBB242_1807:
                                        ; implicit-def: $vgpr0
                                        ; implicit-def: $vgpr7
	s_branch .LBB242_1813
.LBB242_1808:
	v_mov_b32_e32 v0, 0
	v_mov_b32_e32 v7, 0
	s_branch .LBB242_1812
.LBB242_1809:
	v_mov_b32_e32 v0, 0
	v_mov_b32_e32 v7, 0
	;; [unrolled: 1-line block ×3, first 2 shown]
	s_and_b32 s8, s31, 3
	s_cmp_eq_u32 s8, 0
	s_cbranch_scc1 .LBB242_1812
.LBB242_1810:
	s_lshl_b32 s0, s30, 3
	s_add_u32 s0, s34, s0
	s_addc_u32 s1, s35, 0
	s_add_u32 s0, s0, 0xc4
	s_addc_u32 s1, s1, 0
	s_mul_i32 s2, s30, 12
	s_add_u32 s2, s34, s2
	s_addc_u32 s3, s35, 0
.LBB242_1811:                           ; =>This Inner Loop Header: Depth=1
	s_load_dwordx2 s[10:11], s[2:3], 0x4
	s_load_dword s9, s[2:3], 0xc
	s_load_dwordx2 s[12:13], s[0:1], 0x0
	s_add_u32 s2, s2, 12
	s_addc_u32 s3, s3, 0
	s_waitcnt vmcnt(0) lgkmcnt(0)
	v_mul_hi_u32 v3, s11, v1
	s_add_u32 s0, s0, 8
	s_addc_u32 s1, s1, 0
	s_add_i32 s8, s8, -1
	v_add_u32_e32 v3, v1, v3
	v_lshrrev_b32_e32 v3, s9, v3
	v_mul_lo_u32 v5, v3, s10
	s_cmp_lg_u32 s8, 0
	v_sub_u32_e32 v5, v1, v5
	v_mad_u64_u32 v[0:1], s[10:11], v5, s12, v[0:1]
	v_mad_u64_u32 v[7:8], s[10:11], v5, s13, v[7:8]
	v_mov_b32_e32 v1, v3
	s_cbranch_scc1 .LBB242_1811
.LBB242_1812:
	s_cbranch_execnz .LBB242_1815
.LBB242_1813:
	s_load_dwordx4 s[0:3], s[34:35], 0x4
	s_load_dwordx2 s[8:9], s[34:35], 0xc4
	s_cmp_lt_u32 s33, 2
	s_waitcnt lgkmcnt(0)
	v_mul_hi_u32 v0, s1, v15
	v_add_u32_e32 v0, v15, v0
	v_lshrrev_b32_e32 v1, s2, v0
	v_mul_lo_u32 v0, v1, s0
	s_waitcnt vmcnt(0)
	v_sub_u32_e32 v3, v15, v0
	v_mul_lo_u32 v0, v3, s8
	v_mul_lo_u32 v7, v3, s9
	s_cbranch_scc1 .LBB242_1815
; %bb.1814:
	s_load_dwordx4 s[0:3], s[34:35], 0x10
	s_load_dwordx2 s[8:9], s[34:35], 0xcc
	s_waitcnt lgkmcnt(0)
	v_mul_hi_u32 v3, s1, v1
	v_add_u32_e32 v3, v1, v3
	v_lshrrev_b32_e32 v3, s2, v3
	v_mul_lo_u32 v3, v3, s0
	v_sub_u32_e32 v3, v1, v3
	v_mad_u64_u32 v[0:1], s[0:1], v3, s8, v[0:1]
	v_mad_u64_u32 v[7:8], s[0:1], v3, s9, v[7:8]
.LBB242_1815:
	s_load_dwordx4 s[8:11], s[34:35], 0x148
	s_load_dword s16, s[4:5], 0x168
	s_waitcnt lgkmcnt(0)
	v_mov_b32_e32 v1, s11
	s_bfe_u32 s17, s16, 0x80008
	v_add_co_u32_e32 v12, vcc, s10, v13
	s_cmp_lt_i32 s17, 11
	v_addc_co_u32_e32 v13, vcc, 0, v1, vcc
	s_cbranch_scc1 .LBB242_1830
; %bb.1816:
	s_and_b32 s18, 0xffff, s17
	s_cmp_gt_i32 s18, 25
	s_mov_b64 s[2:3], 0
	s_cbranch_scc0 .LBB242_1832
; %bb.1817:
	s_cmp_gt_i32 s18, 28
	s_cbranch_scc0 .LBB242_1833
; %bb.1818:
	s_cmp_gt_i32 s18, 43
	s_cbranch_scc0 .LBB242_1834
; %bb.1819:
	s_cmp_gt_i32 s18, 45
	s_cbranch_scc0 .LBB242_1835
; %bb.1820:
	s_cmp_eq_u32 s18, 46
	s_mov_b64 s[12:13], 0
	s_cbranch_scc0 .LBB242_1838
; %bb.1821:
	global_load_dword v1, v[12:13], off
	s_mov_b32 s0, 0x47800000
                                        ; implicit-def: $vgpr3
	s_waitcnt vmcnt(0)
	v_lshlrev_b32_e32 v1, 16, v1
	v_and_b32_e32 v5, 0x7fffffff, v1
	v_cmp_gt_u32_e32 vcc, s0, v5
	s_and_saveexec_b64 s[0:1], vcc
	s_xor_b64 s[0:1], exec, s[0:1]
	s_cbranch_execz .LBB242_1827
; %bb.1822:
	s_mov_b32 s4, 0x387fffff
	v_cmp_lt_u32_e32 vcc, s4, v5
                                        ; implicit-def: $vgpr3
	s_and_saveexec_b64 s[4:5], vcc
	s_xor_b64 s[4:5], exec, s[4:5]
; %bb.1823:
	v_bfe_u32 v3, v1, 21, 1
	s_mov_b32 s14, 0x80fffff
	v_add3_u32 v3, v1, v3, s14
	v_lshrrev_b32_e32 v3, 21, v3
; %bb.1824:
	s_andn2_saveexec_b64 s[4:5], s[4:5]
; %bb.1825:
	s_mov_b32 s14, 0x43000000
	v_add_f32_e64 v3, |v1|, s14
; %bb.1826:
	s_or_b64 exec, exec, s[4:5]
                                        ; implicit-def: $vgpr5
.LBB242_1827:
	s_andn2_saveexec_b64 s[0:1], s[0:1]
; %bb.1828:
	s_mov_b32 s4, 0x7f800000
	v_mov_b32_e32 v3, 0x7c
	v_mov_b32_e32 v8, 0x7f
	v_cmp_lt_u32_e32 vcc, s4, v5
	v_cndmask_b32_e32 v3, v3, v8, vcc
; %bb.1829:
	s_or_b64 exec, exec, s[0:1]
	v_lshrrev_b32_e32 v1, 24, v1
	s_movk_i32 s0, 0x80
	v_and_or_b32 v1, v1, s0, v3
	s_mov_b64 s[0:1], 0
	s_mov_b64 s[4:5], -1
	s_branch .LBB242_1839
.LBB242_1830:
	s_mov_b64 s[4:5], 0
                                        ; implicit-def: $vgpr1
	s_mov_b64 s[12:13], s[6:7]
	s_cbranch_execnz .LBB242_1969
.LBB242_1831:
	s_andn2_b64 vcc, exec, s[4:5]
	s_cbranch_vccz .LBB242_2105
	s_branch .LBB242_3430
.LBB242_1832:
	s_mov_b64 s[4:5], 0
	s_mov_b64 s[0:1], 0
                                        ; implicit-def: $vgpr1
	s_cbranch_execnz .LBB242_1907
	s_branch .LBB242_1957
.LBB242_1833:
	s_mov_b64 s[4:5], 0
                                        ; implicit-def: $vgpr1
	s_mov_b64 s[0:1], 0
	s_cbranch_execnz .LBB242_1865
	s_branch .LBB242_1906
.LBB242_1834:
	s_mov_b64 s[12:13], -1
	s_mov_b64 s[4:5], 0
	s_mov_b64 s[0:1], 0
                                        ; implicit-def: $vgpr1
	s_branch .LBB242_1852
.LBB242_1835:
	s_mov_b64 s[12:13], -1
	s_mov_b64 s[4:5], 0
	s_mov_b64 s[0:1], 0
                                        ; implicit-def: $vgpr1
	s_branch .LBB242_1839
.LBB242_1836:
	s_andn2_saveexec_b64 s[14:15], s[14:15]
	s_cbranch_execz .LBB242_1667
.LBB242_1837:
	v_add_f32_e32 v0, 0x46000000, v3
	v_and_b32_e32 v0, 0xff, v0
	v_cmp_ne_u32_e32 vcc, 0, v0
	s_andn2_b64 s[12:13], s[12:13], exec
	s_and_b64 s[16:17], vcc, exec
	s_or_b64 s[12:13], s[12:13], s[16:17]
	s_or_b64 exec, exec, s[14:15]
	v_mov_b32_e32 v4, 0
	s_and_saveexec_b64 s[14:15], s[12:13]
	s_cbranch_execnz .LBB242_1668
	s_branch .LBB242_1669
.LBB242_1838:
	s_mov_b64 s[0:1], -1
                                        ; implicit-def: $vgpr1
	s_mov_b64 s[4:5], 0
.LBB242_1839:
	s_and_b64 vcc, exec, s[12:13]
	s_cbranch_vccz .LBB242_1851
; %bb.1840:
	s_cmp_eq_u32 s18, 44
	s_cbranch_scc0 .LBB242_1850
; %bb.1841:
	global_load_ubyte v1, v[12:13], off
	s_movk_i32 s0, 0xff
	s_waitcnt vmcnt(1)
	v_mov_b32_e32 v3, 0x7f800001
	v_mov_b32_e32 v5, 0x400000
	s_waitcnt vmcnt(0)
	v_lshlrev_b32_e32 v8, 23, v1
	v_cmp_ne_u32_e32 vcc, s0, v1
	v_cndmask_b32_e32 v3, v3, v8, vcc
	v_cmp_ne_u32_e32 vcc, 0, v1
	v_cndmask_b32_e32 v3, v5, v3, vcc
	s_mov_b32 s0, 0x47800000
	v_cmp_gt_u32_e32 vcc, s0, v3
                                        ; implicit-def: $vgpr1
	s_and_saveexec_b64 s[0:1], vcc
	s_xor_b64 s[0:1], exec, s[0:1]
	s_cbranch_execz .LBB242_1847
; %bb.1842:
	s_mov_b32 s4, 0x387fffff
	v_cmp_lt_u32_e32 vcc, s4, v3
                                        ; implicit-def: $vgpr1
	s_and_saveexec_b64 s[4:5], vcc
	s_xor_b64 s[4:5], exec, s[4:5]
; %bb.1843:
	v_bfe_u32 v1, v3, 21, 1
	s_mov_b32 s12, 0x80fffff
	v_add3_u32 v1, v3, v1, s12
	v_lshrrev_b32_e32 v1, 21, v1
                                        ; implicit-def: $vgpr3
; %bb.1844:
	s_andn2_saveexec_b64 s[4:5], s[4:5]
; %bb.1845:
	v_add_f32_e32 v1, 0x43000000, v3
; %bb.1846:
	s_or_b64 exec, exec, s[4:5]
                                        ; implicit-def: $vgpr3
.LBB242_1847:
	s_andn2_saveexec_b64 s[0:1], s[0:1]
; %bb.1848:
	s_mov_b32 s4, 0x7f800000
	v_mov_b32_e32 v1, 0x7c
	v_mov_b32_e32 v5, 0x7f
	v_cmp_lt_u32_e32 vcc, s4, v3
	v_cndmask_b32_e32 v1, v1, v5, vcc
; %bb.1849:
	s_or_b64 exec, exec, s[0:1]
	s_mov_b64 s[0:1], 0
	s_mov_b64 s[4:5], -1
	s_branch .LBB242_1851
.LBB242_1850:
	s_mov_b64 s[0:1], -1
                                        ; implicit-def: $vgpr1
.LBB242_1851:
	s_mov_b64 s[12:13], 0
.LBB242_1852:
	s_and_b64 vcc, exec, s[12:13]
	s_cbranch_vccz .LBB242_1864
; %bb.1853:
	s_cmp_eq_u32 s18, 29
	s_cbranch_scc0 .LBB242_1863
; %bb.1854:
	global_load_dwordx2 v[14:15], v[12:13], off
	s_mov_b32 s0, 0x47800000
	s_waitcnt vmcnt(0)
	v_ffbh_u32_e32 v1, v15
	v_min_u32_e32 v1, 32, v1
	v_lshlrev_b64 v[14:15], v1, v[14:15]
	v_sub_u32_e32 v1, 32, v1
	v_min_u32_e32 v3, 1, v14
	v_or_b32_e32 v3, v15, v3
	v_cvt_f32_u32_e32 v3, v3
	v_ldexp_f32 v3, v3, v1
	v_cmp_gt_u32_e32 vcc, s0, v3
                                        ; implicit-def: $vgpr1
	s_and_saveexec_b64 s[0:1], vcc
	s_xor_b64 s[0:1], exec, s[0:1]
	s_cbranch_execz .LBB242_1860
; %bb.1855:
	s_mov_b32 s4, 0x387fffff
	v_cmp_lt_u32_e32 vcc, s4, v3
                                        ; implicit-def: $vgpr1
	s_and_saveexec_b64 s[4:5], vcc
	s_xor_b64 s[4:5], exec, s[4:5]
; %bb.1856:
	v_bfe_u32 v1, v3, 21, 1
	s_mov_b32 s12, 0x80fffff
	v_add3_u32 v1, v3, v1, s12
	v_lshrrev_b32_e32 v1, 21, v1
                                        ; implicit-def: $vgpr3
; %bb.1857:
	s_andn2_saveexec_b64 s[4:5], s[4:5]
; %bb.1858:
	v_add_f32_e32 v1, 0x43000000, v3
; %bb.1859:
	s_or_b64 exec, exec, s[4:5]
                                        ; implicit-def: $vgpr3
.LBB242_1860:
	s_andn2_saveexec_b64 s[0:1], s[0:1]
; %bb.1861:
	s_mov_b32 s4, 0x7f800000
	v_mov_b32_e32 v1, 0x7c
	v_mov_b32_e32 v5, 0x7f
	v_cmp_lt_u32_e32 vcc, s4, v3
	v_cndmask_b32_e32 v1, v1, v5, vcc
; %bb.1862:
	s_or_b64 exec, exec, s[0:1]
	s_mov_b64 s[0:1], 0
	s_mov_b64 s[4:5], -1
	s_branch .LBB242_1864
.LBB242_1863:
	s_mov_b64 s[0:1], -1
                                        ; implicit-def: $vgpr1
.LBB242_1864:
	s_branch .LBB242_1906
.LBB242_1865:
	s_cmp_lt_i32 s18, 27
	s_cbranch_scc1 .LBB242_1876
; %bb.1866:
	s_cmp_gt_i32 s18, 27
	s_cbranch_scc0 .LBB242_1877
; %bb.1867:
	global_load_dword v1, v[12:13], off
	s_mov_b32 s4, 0x47800000
	s_waitcnt vmcnt(0)
	v_cvt_f32_u32_e32 v3, v1
                                        ; implicit-def: $vgpr1
	v_cmp_gt_u32_e32 vcc, s4, v3
	s_and_saveexec_b64 s[4:5], vcc
	s_xor_b64 s[4:5], exec, s[4:5]
	s_cbranch_execz .LBB242_1873
; %bb.1868:
	s_mov_b32 s12, 0x387fffff
	v_cmp_lt_u32_e32 vcc, s12, v3
                                        ; implicit-def: $vgpr1
	s_and_saveexec_b64 s[12:13], vcc
	s_xor_b64 s[12:13], exec, s[12:13]
; %bb.1869:
	v_bfe_u32 v1, v3, 21, 1
	s_mov_b32 s14, 0x80fffff
	v_add3_u32 v1, v3, v1, s14
	v_lshrrev_b32_e32 v1, 21, v1
                                        ; implicit-def: $vgpr3
; %bb.1870:
	s_andn2_saveexec_b64 s[12:13], s[12:13]
; %bb.1871:
	v_add_f32_e32 v1, 0x43000000, v3
; %bb.1872:
	s_or_b64 exec, exec, s[12:13]
                                        ; implicit-def: $vgpr3
.LBB242_1873:
	s_andn2_saveexec_b64 s[4:5], s[4:5]
; %bb.1874:
	s_mov_b32 s12, 0x7f800000
	v_mov_b32_e32 v1, 0x7c
	v_mov_b32_e32 v5, 0x7f
	v_cmp_lt_u32_e32 vcc, s12, v3
	v_cndmask_b32_e32 v1, v1, v5, vcc
; %bb.1875:
	s_or_b64 exec, exec, s[4:5]
	s_mov_b64 s[4:5], 0
	s_branch .LBB242_1878
.LBB242_1876:
	s_mov_b64 s[4:5], -1
                                        ; implicit-def: $vgpr1
	s_branch .LBB242_1889
.LBB242_1877:
	s_mov_b64 s[4:5], -1
                                        ; implicit-def: $vgpr1
.LBB242_1878:
	s_and_b64 vcc, exec, s[4:5]
	s_cbranch_vccz .LBB242_1888
; %bb.1879:
	global_load_ushort v1, v[12:13], off
	s_mov_b32 s4, 0x47800000
	s_waitcnt vmcnt(0)
	v_cvt_f32_u32_e32 v3, v1
                                        ; implicit-def: $vgpr1
	v_cmp_gt_u32_e32 vcc, s4, v3
	s_and_saveexec_b64 s[4:5], vcc
	s_xor_b64 s[4:5], exec, s[4:5]
	s_cbranch_execz .LBB242_1885
; %bb.1880:
	s_mov_b32 s12, 0x387fffff
	v_cmp_lt_u32_e32 vcc, s12, v3
                                        ; implicit-def: $vgpr1
	s_and_saveexec_b64 s[12:13], vcc
	s_xor_b64 s[12:13], exec, s[12:13]
; %bb.1881:
	v_bfe_u32 v1, v3, 21, 1
	s_mov_b32 s14, 0x80fffff
	v_add3_u32 v1, v3, v1, s14
	v_lshrrev_b32_e32 v1, 21, v1
                                        ; implicit-def: $vgpr3
; %bb.1882:
	s_andn2_saveexec_b64 s[12:13], s[12:13]
; %bb.1883:
	v_add_f32_e32 v1, 0x43000000, v3
; %bb.1884:
	s_or_b64 exec, exec, s[12:13]
                                        ; implicit-def: $vgpr3
.LBB242_1885:
	s_andn2_saveexec_b64 s[4:5], s[4:5]
; %bb.1886:
	s_mov_b32 s12, 0x7f800000
	v_mov_b32_e32 v1, 0x7c
	v_mov_b32_e32 v5, 0x7f
	v_cmp_lt_u32_e32 vcc, s12, v3
	v_cndmask_b32_e32 v1, v1, v5, vcc
; %bb.1887:
	s_or_b64 exec, exec, s[4:5]
.LBB242_1888:
	s_mov_b64 s[4:5], 0
.LBB242_1889:
	s_andn2_b64 vcc, exec, s[4:5]
	s_cbranch_vccnz .LBB242_1905
; %bb.1890:
	global_load_ubyte v3, v[12:13], off
	s_movk_i32 s4, 0x7f
	s_waitcnt vmcnt(0)
	v_cmp_lt_i16_e32 vcc, s4, v3
	s_mov_b64 s[4:5], 0
	s_and_saveexec_b64 s[12:13], vcc
	s_xor_b64 s[12:13], exec, s[12:13]
	s_cbranch_execz .LBB242_1926
; %bb.1891:
	s_movk_i32 s4, 0x80
	v_cmp_eq_u16_e32 vcc, s4, v3
	s_mov_b64 s[4:5], -1
	s_and_saveexec_b64 s[14:15], vcc
; %bb.1892:
	s_xor_b64 s[4:5], exec, -1
; %bb.1893:
	s_or_b64 exec, exec, s[14:15]
	s_and_b64 s[4:5], s[4:5], exec
	s_or_saveexec_b64 s[12:13], s[12:13]
	v_mov_b32_e32 v1, 0x7f800001
	s_xor_b64 exec, exec, s[12:13]
	s_cbranch_execnz .LBB242_1927
.LBB242_1894:
	s_or_b64 exec, exec, s[12:13]
	s_and_saveexec_b64 s[12:13], s[4:5]
	s_cbranch_execz .LBB242_1896
.LBB242_1895:
	v_lshlrev_b32_e32 v1, 24, v3
	v_and_b32_e32 v3, 0xffff, v3
	v_and_b32_e32 v5, 7, v3
	v_ffbh_u32_e32 v10, v5
	v_min_u32_e32 v10, 32, v10
	v_subrev_u32_e32 v14, 28, v10
	v_bfe_u32 v8, v3, 3, 4
	v_lshlrev_b32_e32 v3, v14, v3
	v_sub_u32_e32 v10, 29, v10
	v_and_b32_e32 v3, 7, v3
	v_cmp_eq_u32_e32 vcc, 0, v8
	v_cndmask_b32_e32 v8, v8, v10, vcc
	v_cndmask_b32_e32 v3, v5, v3, vcc
	v_mov_b32_e32 v5, 0x3b800000
	v_lshlrev_b32_e32 v3, 20, v3
	v_and_b32_e32 v1, 0x80000000, v1
	v_lshl_add_u32 v5, v8, 23, v5
	v_or3_b32 v1, v1, v5, v3
.LBB242_1896:
	s_or_b64 exec, exec, s[12:13]
	v_and_b32_e32 v5, 0x7fffffff, v1
	s_mov_b32 s4, 0x47800000
	v_cmp_gt_u32_e32 vcc, s4, v5
                                        ; implicit-def: $vgpr3
	s_and_saveexec_b64 s[4:5], vcc
	s_xor_b64 s[4:5], exec, s[4:5]
	s_cbranch_execz .LBB242_1902
; %bb.1897:
	s_mov_b32 s12, 0x387fffff
	v_cmp_lt_u32_e32 vcc, s12, v5
                                        ; implicit-def: $vgpr3
	s_and_saveexec_b64 s[12:13], vcc
	s_xor_b64 s[12:13], exec, s[12:13]
; %bb.1898:
	v_bfe_u32 v3, v1, 21, 1
	s_mov_b32 s14, 0x80fffff
	v_add3_u32 v3, v1, v3, s14
	v_lshrrev_b32_e32 v3, 21, v3
; %bb.1899:
	s_andn2_saveexec_b64 s[12:13], s[12:13]
; %bb.1900:
	s_mov_b32 s14, 0x43000000
	v_add_f32_e64 v3, |v1|, s14
; %bb.1901:
	s_or_b64 exec, exec, s[12:13]
                                        ; implicit-def: $vgpr5
.LBB242_1902:
	s_andn2_saveexec_b64 s[4:5], s[4:5]
; %bb.1903:
	s_mov_b32 s12, 0x7f800000
	v_mov_b32_e32 v3, 0x7c
	v_mov_b32_e32 v8, 0x7f
	v_cmp_lt_u32_e32 vcc, s12, v5
	v_cndmask_b32_e32 v3, v3, v8, vcc
; %bb.1904:
	s_or_b64 exec, exec, s[4:5]
	v_lshrrev_b32_e32 v1, 24, v1
	s_movk_i32 s4, 0x80
	v_and_or_b32 v1, v1, s4, v3
.LBB242_1905:
	s_mov_b64 s[4:5], -1
.LBB242_1906:
	s_branch .LBB242_1957
.LBB242_1907:
	s_cmp_gt_i32 s18, 22
	s_cbranch_scc0 .LBB242_1925
; %bb.1908:
	s_cmp_lt_i32 s18, 24
	s_cbranch_scc1 .LBB242_1928
; %bb.1909:
	s_cmp_gt_i32 s18, 24
	s_cbranch_scc0 .LBB242_1929
; %bb.1910:
	global_load_ubyte v3, v[12:13], off
	s_movk_i32 s2, 0x7f
	s_waitcnt vmcnt(0)
	v_cmp_lt_i16_e32 vcc, s2, v3
	s_mov_b64 s[2:3], 0
	s_and_saveexec_b64 s[4:5], vcc
	s_xor_b64 s[4:5], exec, s[4:5]
	s_cbranch_execz .LBB242_1985
; %bb.1911:
	s_movk_i32 s2, 0x80
	v_cmp_eq_u16_e32 vcc, s2, v3
	s_mov_b64 s[2:3], -1
	s_and_saveexec_b64 s[12:13], vcc
; %bb.1912:
	s_xor_b64 s[2:3], exec, -1
; %bb.1913:
	s_or_b64 exec, exec, s[12:13]
	s_and_b64 s[2:3], s[2:3], exec
	s_or_saveexec_b64 s[4:5], s[4:5]
	v_mov_b32_e32 v1, 0x7f800001
	s_xor_b64 exec, exec, s[4:5]
	s_cbranch_execnz .LBB242_1986
.LBB242_1914:
	s_or_b64 exec, exec, s[4:5]
	s_and_saveexec_b64 s[4:5], s[2:3]
	s_cbranch_execz .LBB242_1916
.LBB242_1915:
	v_lshlrev_b32_e32 v1, 24, v3
	v_and_b32_e32 v3, 0xffff, v3
	v_and_b32_e32 v5, 3, v3
	v_ffbh_u32_e32 v10, v5
	v_min_u32_e32 v10, 32, v10
	v_subrev_u32_e32 v14, 29, v10
	v_bfe_u32 v8, v3, 2, 5
	v_lshlrev_b32_e32 v3, v14, v3
	v_sub_u32_e32 v10, 30, v10
	v_and_b32_e32 v3, 3, v3
	v_cmp_eq_u32_e32 vcc, 0, v8
	v_cndmask_b32_e32 v8, v8, v10, vcc
	v_cndmask_b32_e32 v3, v5, v3, vcc
	v_mov_b32_e32 v5, 0x37800000
	v_lshlrev_b32_e32 v3, 21, v3
	v_and_b32_e32 v1, 0x80000000, v1
	v_lshl_add_u32 v5, v8, 23, v5
	v_or3_b32 v1, v1, v5, v3
.LBB242_1916:
	s_or_b64 exec, exec, s[4:5]
	v_and_b32_e32 v5, 0x7fffffff, v1
	s_mov_b32 s2, 0x47800000
	v_cmp_gt_u32_e32 vcc, s2, v5
                                        ; implicit-def: $vgpr3
	s_and_saveexec_b64 s[2:3], vcc
	s_xor_b64 s[2:3], exec, s[2:3]
	s_cbranch_execz .LBB242_1922
; %bb.1917:
	s_mov_b32 s4, 0x387fffff
	v_cmp_lt_u32_e32 vcc, s4, v5
                                        ; implicit-def: $vgpr3
	s_and_saveexec_b64 s[4:5], vcc
	s_xor_b64 s[4:5], exec, s[4:5]
; %bb.1918:
	v_bfe_u32 v3, v1, 21, 1
	s_mov_b32 s12, 0x80fffff
	v_add3_u32 v3, v1, v3, s12
	v_lshrrev_b32_e32 v3, 21, v3
; %bb.1919:
	s_andn2_saveexec_b64 s[4:5], s[4:5]
; %bb.1920:
	s_mov_b32 s12, 0x43000000
	v_add_f32_e64 v3, |v1|, s12
; %bb.1921:
	s_or_b64 exec, exec, s[4:5]
                                        ; implicit-def: $vgpr5
.LBB242_1922:
	s_andn2_saveexec_b64 s[2:3], s[2:3]
; %bb.1923:
	s_mov_b32 s4, 0x7f800000
	v_mov_b32_e32 v3, 0x7c
	v_mov_b32_e32 v8, 0x7f
	v_cmp_lt_u32_e32 vcc, s4, v5
	v_cndmask_b32_e32 v3, v3, v8, vcc
; %bb.1924:
	s_or_b64 exec, exec, s[2:3]
	v_lshrrev_b32_e32 v1, 24, v1
	s_movk_i32 s2, 0x80
	v_and_or_b32 v1, v1, s2, v3
	s_mov_b64 s[2:3], 0
	s_branch .LBB242_1930
.LBB242_1925:
                                        ; implicit-def: $vgpr1
	s_mov_b64 s[2:3], 0
	s_branch .LBB242_1944
.LBB242_1926:
	s_or_saveexec_b64 s[12:13], s[12:13]
	v_mov_b32_e32 v1, 0x7f800001
	s_xor_b64 exec, exec, s[12:13]
	s_cbranch_execz .LBB242_1894
.LBB242_1927:
	v_cmp_ne_u16_e32 vcc, 0, v3
	s_andn2_b64 s[4:5], s[4:5], exec
	s_and_b64 s[14:15], vcc, exec
	v_mov_b32_e32 v1, 0
	s_or_b64 s[4:5], s[4:5], s[14:15]
	s_or_b64 exec, exec, s[12:13]
	s_and_saveexec_b64 s[12:13], s[4:5]
	s_cbranch_execnz .LBB242_1895
	s_branch .LBB242_1896
.LBB242_1928:
	s_mov_b64 s[2:3], -1
                                        ; implicit-def: $vgpr1
	s_branch .LBB242_1941
.LBB242_1929:
	s_mov_b64 s[2:3], -1
                                        ; implicit-def: $vgpr1
.LBB242_1930:
	s_and_b64 vcc, exec, s[2:3]
	s_cbranch_vccz .LBB242_1940
; %bb.1931:
	global_load_ubyte v1, v[12:13], off
	s_mov_b32 s2, 0x7f800000
	s_brev_b32 s3, 1
	s_waitcnt vmcnt(0)
	v_lshlrev_b32_e32 v1, 24, v1
	v_and_b32_e32 v3, 0x7f000000, v1
	v_ffbh_u32_e32 v5, v3
	v_min_u32_e32 v5, 32, v5
	v_sub_u32_e64 v5, v5, 4 clamp
	v_lshlrev_b32_e32 v10, v5, v3
	v_lshlrev_b32_e32 v5, 23, v5
	v_lshrrev_b32_e32 v10, 4, v10
	v_add_u32_e32 v8, 0x1000000, v3
	v_sub_u32_e32 v5, v10, v5
	v_ashrrev_i32_e32 v8, 8, v8
	v_add_u32_e32 v5, 0x3c000000, v5
	v_and_or_b32 v5, v8, s2, v5
	v_cmp_ne_u32_e32 vcc, 0, v3
	v_cndmask_b32_e32 v8, 0, v5, vcc
	v_and_or_b32 v1, v1, s3, v8
	v_and_b32_e32 v5, 0x7fffffff, v1
	s_mov_b32 s2, 0x47800000
	v_cmp_gt_u32_e32 vcc, s2, v5
                                        ; implicit-def: $vgpr3
	s_and_saveexec_b64 s[2:3], vcc
	s_xor_b64 s[2:3], exec, s[2:3]
	s_cbranch_execz .LBB242_1937
; %bb.1932:
	s_mov_b32 s4, 0x387fffff
	v_cmp_lt_u32_e32 vcc, s4, v5
                                        ; implicit-def: $vgpr3
	s_and_saveexec_b64 s[4:5], vcc
	s_xor_b64 s[4:5], exec, s[4:5]
; %bb.1933:
	v_bfe_u32 v3, v8, 21, 1
	s_mov_b32 s12, 0x80fffff
	v_add3_u32 v3, v1, v3, s12
	v_lshrrev_b32_e32 v3, 21, v3
; %bb.1934:
	s_andn2_saveexec_b64 s[4:5], s[4:5]
; %bb.1935:
	s_mov_b32 s12, 0x43000000
	v_add_f32_e64 v3, |v1|, s12
; %bb.1936:
	s_or_b64 exec, exec, s[4:5]
                                        ; implicit-def: $vgpr5
.LBB242_1937:
	s_andn2_saveexec_b64 s[2:3], s[2:3]
; %bb.1938:
	s_mov_b32 s4, 0x7f800000
	v_mov_b32_e32 v3, 0x7c
	v_mov_b32_e32 v8, 0x7f
	v_cmp_lt_u32_e32 vcc, s4, v5
	v_cndmask_b32_e32 v3, v3, v8, vcc
; %bb.1939:
	s_or_b64 exec, exec, s[2:3]
	v_lshrrev_b32_e32 v1, 24, v1
	s_movk_i32 s2, 0x80
	v_and_or_b32 v1, v1, s2, v3
.LBB242_1940:
	s_mov_b64 s[2:3], 0
.LBB242_1941:
	s_andn2_b64 vcc, exec, s[2:3]
	s_cbranch_vccnz .LBB242_1943
; %bb.1942:
	global_load_ubyte v1, v[12:13], off
.LBB242_1943:
	s_mov_b64 s[4:5], -1
	s_mov_b64 s[2:3], 0
	s_cbranch_execnz .LBB242_1957
.LBB242_1944:
	s_cmp_gt_i32 s18, 14
	s_cbranch_scc0 .LBB242_1955
; %bb.1945:
	s_cmp_eq_u32 s18, 15
	s_cbranch_scc0 .LBB242_1987
; %bb.1946:
	global_load_ushort v1, v[12:13], off
	s_mov_b32 s0, 0x47800000
                                        ; implicit-def: $vgpr3
	s_waitcnt vmcnt(0)
	v_lshlrev_b32_e32 v5, 16, v1
	v_and_b32_e32 v8, 0x7fffffff, v5
	v_cmp_gt_u32_e32 vcc, s0, v8
	s_and_saveexec_b64 s[0:1], vcc
	s_xor_b64 s[0:1], exec, s[0:1]
	s_cbranch_execz .LBB242_1952
; %bb.1947:
	s_mov_b32 s2, 0x387fffff
	v_cmp_lt_u32_e32 vcc, s2, v8
                                        ; implicit-def: $vgpr3
	s_and_saveexec_b64 s[2:3], vcc
	s_xor_b64 s[2:3], exec, s[2:3]
; %bb.1948:
	v_bfe_u32 v3, v1, 5, 1
	s_mov_b32 s4, 0x80fffff
	v_add3_u32 v3, v5, v3, s4
	v_lshrrev_b32_e32 v3, 21, v3
                                        ; implicit-def: $vgpr5
; %bb.1949:
	s_andn2_saveexec_b64 s[2:3], s[2:3]
; %bb.1950:
	s_mov_b32 s4, 0x43000000
	v_add_f32_e64 v3, |v5|, s4
; %bb.1951:
	s_or_b64 exec, exec, s[2:3]
                                        ; implicit-def: $vgpr8
.LBB242_1952:
	s_andn2_saveexec_b64 s[0:1], s[0:1]
; %bb.1953:
	s_mov_b32 s2, 0x7f800000
	v_mov_b32_e32 v3, 0x7c
	v_mov_b32_e32 v5, 0x7f
	v_cmp_lt_u32_e32 vcc, s2, v8
	v_cndmask_b32_e32 v3, v3, v5, vcc
; %bb.1954:
	s_or_b64 exec, exec, s[0:1]
	v_lshrrev_b32_e32 v1, 8, v1
	s_movk_i32 s0, 0x80
	v_and_or_b32 v1, v1, s0, v3
	s_mov_b64 s[0:1], 0
	s_mov_b64 s[4:5], -1
	s_mov_b64 s[2:3], 0
	s_branch .LBB242_1957
.LBB242_1955:
                                        ; implicit-def: $vgpr1
	s_mov_b64 s[2:3], 0
	s_cbranch_execz .LBB242_1957
; %bb.1956:
	s_cmp_lg_u32 s18, 11
	s_mov_b64 s[2:3], -1
	s_cselect_b64 s[0:1], -1, 0
.LBB242_1957:
	s_and_b64 vcc, exec, s[0:1]
	s_mov_b64 s[12:13], s[6:7]
	s_cbranch_vccnz .LBB242_2125
; %bb.1958:
	s_andn2_b64 vcc, exec, s[2:3]
	s_cbranch_vccnz .LBB242_1968
.LBB242_1959:
	global_load_ubyte v1, v[12:13], off
	s_mov_b32 s0, 0x47800000
	s_waitcnt vmcnt(0)
	v_cmp_ne_u16_e32 vcc, 0, v1
	v_cndmask_b32_e64 v3, 0, 1.0, vcc
	v_cmp_gt_u32_e32 vcc, s0, v3
                                        ; implicit-def: $vgpr1
	s_and_saveexec_b64 s[0:1], vcc
	s_xor_b64 s[0:1], exec, s[0:1]
	s_cbranch_execz .LBB242_1965
; %bb.1960:
	s_mov_b32 s2, 0x387fffff
	v_cmp_lt_u32_e32 vcc, s2, v3
                                        ; implicit-def: $vgpr1
	s_and_saveexec_b64 s[2:3], vcc
	s_xor_b64 s[2:3], exec, s[2:3]
; %bb.1961:
	v_bfe_u32 v1, v3, 21, 1
	s_mov_b32 s4, 0x80fffff
	v_add3_u32 v1, v3, v1, s4
	v_lshrrev_b32_e32 v1, 21, v1
                                        ; implicit-def: $vgpr3
; %bb.1962:
	s_andn2_saveexec_b64 s[2:3], s[2:3]
; %bb.1963:
	v_add_f32_e32 v1, 0x43000000, v3
; %bb.1964:
	s_or_b64 exec, exec, s[2:3]
                                        ; implicit-def: $vgpr3
.LBB242_1965:
	s_andn2_saveexec_b64 s[0:1], s[0:1]
; %bb.1966:
	s_mov_b32 s2, 0x7f800000
	v_mov_b32_e32 v1, 0x7c
	v_mov_b32_e32 v5, 0x7f
	v_cmp_lt_u32_e32 vcc, s2, v3
	v_cndmask_b32_e32 v1, v1, v5, vcc
; %bb.1967:
	s_or_b64 exec, exec, s[0:1]
	s_mov_b64 s[4:5], -1
.LBB242_1968:
	s_branch .LBB242_1831
.LBB242_1969:
	s_and_b32 s4, 0xffff, s17
	s_cmp_lt_i32 s4, 5
	s_cbranch_scc1 .LBB242_1982
; %bb.1970:
	s_cmp_lt_i32 s4, 8
	s_cbranch_scc1 .LBB242_1983
; %bb.1971:
	;; [unrolled: 3-line block ×3, first 2 shown]
	s_cmp_gt_i32 s4, 9
	s_cbranch_scc0 .LBB242_1988
; %bb.1973:
	global_load_dwordx2 v[14:15], v[12:13], off
	s_mov_b32 s0, 0x47800000
                                        ; implicit-def: $vgpr3
	s_waitcnt vmcnt(0)
	v_cvt_f32_f64_e32 v1, v[14:15]
	v_and_b32_e32 v5, 0x7fffffff, v1
	v_cmp_gt_u32_e32 vcc, s0, v5
	s_and_saveexec_b64 s[0:1], vcc
	s_xor_b64 s[0:1], exec, s[0:1]
	s_cbranch_execz .LBB242_1979
; %bb.1974:
	s_mov_b32 s2, 0x387fffff
	v_cmp_lt_u32_e32 vcc, s2, v5
                                        ; implicit-def: $vgpr3
	s_and_saveexec_b64 s[2:3], vcc
	s_xor_b64 s[2:3], exec, s[2:3]
; %bb.1975:
	v_bfe_u32 v3, v1, 21, 1
	s_mov_b32 s5, 0x80fffff
	v_add3_u32 v3, v1, v3, s5
	v_lshrrev_b32_e32 v3, 21, v3
; %bb.1976:
	s_andn2_saveexec_b64 s[2:3], s[2:3]
; %bb.1977:
	s_mov_b32 s5, 0x43000000
	v_add_f32_e64 v3, |v1|, s5
; %bb.1978:
	s_or_b64 exec, exec, s[2:3]
                                        ; implicit-def: $vgpr5
.LBB242_1979:
	s_andn2_saveexec_b64 s[0:1], s[0:1]
; %bb.1980:
	s_mov_b32 s2, 0x7f800000
	v_mov_b32_e32 v3, 0x7c
	v_mov_b32_e32 v8, 0x7f
	v_cmp_lt_u32_e32 vcc, s2, v5
	v_cndmask_b32_e32 v3, v3, v8, vcc
; %bb.1981:
	s_or_b64 exec, exec, s[0:1]
	v_lshrrev_b32_e32 v1, 24, v1
	s_movk_i32 s0, 0x80
	v_and_or_b32 v1, v1, s0, v3
	s_mov_b64 s[0:1], 0
	s_branch .LBB242_1989
.LBB242_1982:
                                        ; implicit-def: $vgpr1
	s_branch .LBB242_2046
.LBB242_1983:
                                        ; implicit-def: $vgpr1
	s_branch .LBB242_2011
.LBB242_1984:
	s_mov_b64 s[0:1], -1
                                        ; implicit-def: $vgpr1
	s_branch .LBB242_2000
.LBB242_1985:
	s_or_saveexec_b64 s[4:5], s[4:5]
	v_mov_b32_e32 v1, 0x7f800001
	s_xor_b64 exec, exec, s[4:5]
	s_cbranch_execz .LBB242_1914
.LBB242_1986:
	v_cmp_ne_u16_e32 vcc, 0, v3
	s_andn2_b64 s[2:3], s[2:3], exec
	s_and_b64 s[12:13], vcc, exec
	v_mov_b32_e32 v1, 0
	s_or_b64 s[2:3], s[2:3], s[12:13]
	s_or_b64 exec, exec, s[4:5]
	s_and_saveexec_b64 s[4:5], s[2:3]
	s_cbranch_execnz .LBB242_1915
	s_branch .LBB242_1916
.LBB242_1987:
	s_mov_b64 s[0:1], -1
                                        ; implicit-def: $vgpr1
	s_mov_b64 s[2:3], 0
	s_branch .LBB242_1957
.LBB242_1988:
	s_mov_b64 s[0:1], -1
                                        ; implicit-def: $vgpr1
.LBB242_1989:
	s_and_b64 vcc, exec, s[0:1]
	s_cbranch_vccz .LBB242_1999
; %bb.1990:
	global_load_dword v1, v[12:13], off
	s_mov_b32 s0, 0x47800000
                                        ; implicit-def: $vgpr3
	s_waitcnt vmcnt(0)
	v_and_b32_e32 v5, 0x7fffffff, v1
	v_cmp_gt_u32_e32 vcc, s0, v5
	s_and_saveexec_b64 s[0:1], vcc
	s_xor_b64 s[0:1], exec, s[0:1]
	s_cbranch_execz .LBB242_1996
; %bb.1991:
	s_mov_b32 s2, 0x387fffff
	v_cmp_lt_u32_e32 vcc, s2, v5
                                        ; implicit-def: $vgpr3
	s_and_saveexec_b64 s[2:3], vcc
	s_xor_b64 s[2:3], exec, s[2:3]
; %bb.1992:
	v_bfe_u32 v3, v1, 21, 1
	s_mov_b32 s5, 0x80fffff
	v_add3_u32 v3, v1, v3, s5
	v_lshrrev_b32_e32 v3, 21, v3
; %bb.1993:
	s_andn2_saveexec_b64 s[2:3], s[2:3]
; %bb.1994:
	s_mov_b32 s5, 0x43000000
	v_add_f32_e64 v3, |v1|, s5
; %bb.1995:
	s_or_b64 exec, exec, s[2:3]
                                        ; implicit-def: $vgpr5
.LBB242_1996:
	s_andn2_saveexec_b64 s[0:1], s[0:1]
; %bb.1997:
	s_mov_b32 s2, 0x7f800000
	v_mov_b32_e32 v3, 0x7c
	v_mov_b32_e32 v8, 0x7f
	v_cmp_lt_u32_e32 vcc, s2, v5
	v_cndmask_b32_e32 v3, v3, v8, vcc
; %bb.1998:
	s_or_b64 exec, exec, s[0:1]
	v_lshrrev_b32_e32 v1, 24, v1
	s_movk_i32 s0, 0x80
	v_and_or_b32 v1, v1, s0, v3
.LBB242_1999:
	s_mov_b64 s[0:1], 0
.LBB242_2000:
	s_andn2_b64 vcc, exec, s[0:1]
	s_cbranch_vccnz .LBB242_2010
; %bb.2001:
	global_load_dword v1, v[12:13], off
	s_mov_b32 s0, 0x47800000
                                        ; implicit-def: $vgpr3
	s_waitcnt vmcnt(0)
	v_cvt_f32_f16_e32 v1, v1
	v_and_b32_e32 v5, 0x7fffffff, v1
	v_cmp_gt_u32_e32 vcc, s0, v5
	s_and_saveexec_b64 s[0:1], vcc
	s_xor_b64 s[0:1], exec, s[0:1]
	s_cbranch_execz .LBB242_2007
; %bb.2002:
	s_mov_b32 s2, 0x387fffff
	v_cmp_lt_u32_e32 vcc, s2, v5
                                        ; implicit-def: $vgpr3
	s_and_saveexec_b64 s[2:3], vcc
	s_xor_b64 s[2:3], exec, s[2:3]
; %bb.2003:
	v_bfe_u32 v3, v1, 21, 1
	s_mov_b32 s5, 0x80fffff
	v_add3_u32 v3, v1, v3, s5
	v_lshrrev_b32_e32 v3, 21, v3
; %bb.2004:
	s_andn2_saveexec_b64 s[2:3], s[2:3]
; %bb.2005:
	s_mov_b32 s5, 0x43000000
	v_add_f32_e64 v3, |v1|, s5
; %bb.2006:
	s_or_b64 exec, exec, s[2:3]
                                        ; implicit-def: $vgpr5
.LBB242_2007:
	s_andn2_saveexec_b64 s[0:1], s[0:1]
; %bb.2008:
	s_mov_b32 s2, 0x7f800000
	v_mov_b32_e32 v3, 0x7c
	v_mov_b32_e32 v8, 0x7f
	v_cmp_lt_u32_e32 vcc, s2, v5
	v_cndmask_b32_e32 v3, v3, v8, vcc
; %bb.2009:
	s_or_b64 exec, exec, s[0:1]
	v_lshrrev_b32_e32 v1, 24, v1
	s_movk_i32 s0, 0x80
	v_and_or_b32 v1, v1, s0, v3
.LBB242_2010:
	s_cbranch_execnz .LBB242_2045
.LBB242_2011:
	s_cmp_lt_i32 s4, 6
	s_cbranch_scc1 .LBB242_2022
; %bb.2012:
	s_cmp_gt_i32 s4, 6
	s_cbranch_scc0 .LBB242_2023
; %bb.2013:
	global_load_dwordx2 v[14:15], v[12:13], off
	s_mov_b32 s0, 0x47800000
                                        ; implicit-def: $vgpr3
	s_waitcnt vmcnt(0)
	v_cvt_f32_f64_e32 v1, v[14:15]
	v_and_b32_e32 v5, 0x7fffffff, v1
	v_cmp_gt_u32_e32 vcc, s0, v5
	s_and_saveexec_b64 s[0:1], vcc
	s_xor_b64 s[0:1], exec, s[0:1]
	s_cbranch_execz .LBB242_2019
; %bb.2014:
	s_mov_b32 s2, 0x387fffff
	v_cmp_lt_u32_e32 vcc, s2, v5
                                        ; implicit-def: $vgpr3
	s_and_saveexec_b64 s[2:3], vcc
	s_xor_b64 s[2:3], exec, s[2:3]
; %bb.2015:
	v_bfe_u32 v3, v1, 21, 1
	s_mov_b32 s5, 0x80fffff
	v_add3_u32 v3, v1, v3, s5
	v_lshrrev_b32_e32 v3, 21, v3
; %bb.2016:
	s_andn2_saveexec_b64 s[2:3], s[2:3]
; %bb.2017:
	s_mov_b32 s5, 0x43000000
	v_add_f32_e64 v3, |v1|, s5
; %bb.2018:
	s_or_b64 exec, exec, s[2:3]
                                        ; implicit-def: $vgpr5
.LBB242_2019:
	s_andn2_saveexec_b64 s[0:1], s[0:1]
; %bb.2020:
	s_mov_b32 s2, 0x7f800000
	v_mov_b32_e32 v3, 0x7c
	v_mov_b32_e32 v8, 0x7f
	v_cmp_lt_u32_e32 vcc, s2, v5
	v_cndmask_b32_e32 v3, v3, v8, vcc
; %bb.2021:
	s_or_b64 exec, exec, s[0:1]
	v_lshrrev_b32_e32 v1, 24, v1
	s_movk_i32 s0, 0x80
	v_and_or_b32 v1, v1, s0, v3
	s_mov_b64 s[0:1], 0
	s_branch .LBB242_2024
.LBB242_2022:
	s_mov_b64 s[0:1], -1
                                        ; implicit-def: $vgpr1
	s_branch .LBB242_2035
.LBB242_2023:
	s_mov_b64 s[0:1], -1
                                        ; implicit-def: $vgpr1
.LBB242_2024:
	s_and_b64 vcc, exec, s[0:1]
	s_cbranch_vccz .LBB242_2034
; %bb.2025:
	global_load_dword v1, v[12:13], off
	s_mov_b32 s0, 0x47800000
                                        ; implicit-def: $vgpr3
	s_waitcnt vmcnt(0)
	v_and_b32_e32 v5, 0x7fffffff, v1
	v_cmp_gt_u32_e32 vcc, s0, v5
	s_and_saveexec_b64 s[0:1], vcc
	s_xor_b64 s[0:1], exec, s[0:1]
	s_cbranch_execz .LBB242_2031
; %bb.2026:
	s_mov_b32 s2, 0x387fffff
	v_cmp_lt_u32_e32 vcc, s2, v5
                                        ; implicit-def: $vgpr3
	s_and_saveexec_b64 s[2:3], vcc
	s_xor_b64 s[2:3], exec, s[2:3]
; %bb.2027:
	v_bfe_u32 v3, v1, 21, 1
	s_mov_b32 s5, 0x80fffff
	v_add3_u32 v3, v1, v3, s5
	v_lshrrev_b32_e32 v3, 21, v3
; %bb.2028:
	s_andn2_saveexec_b64 s[2:3], s[2:3]
; %bb.2029:
	s_mov_b32 s5, 0x43000000
	v_add_f32_e64 v3, |v1|, s5
; %bb.2030:
	s_or_b64 exec, exec, s[2:3]
                                        ; implicit-def: $vgpr5
.LBB242_2031:
	s_andn2_saveexec_b64 s[0:1], s[0:1]
; %bb.2032:
	s_mov_b32 s2, 0x7f800000
	v_mov_b32_e32 v3, 0x7c
	v_mov_b32_e32 v8, 0x7f
	v_cmp_lt_u32_e32 vcc, s2, v5
	v_cndmask_b32_e32 v3, v3, v8, vcc
; %bb.2033:
	s_or_b64 exec, exec, s[0:1]
	v_lshrrev_b32_e32 v1, 24, v1
	s_movk_i32 s0, 0x80
	v_and_or_b32 v1, v1, s0, v3
.LBB242_2034:
	s_mov_b64 s[0:1], 0
.LBB242_2035:
	s_andn2_b64 vcc, exec, s[0:1]
	s_cbranch_vccnz .LBB242_2045
; %bb.2036:
	global_load_ushort v1, v[12:13], off
	s_mov_b32 s0, 0x47800000
                                        ; implicit-def: $vgpr3
	s_waitcnt vmcnt(0)
	v_cvt_f32_f16_e32 v1, v1
	v_and_b32_e32 v5, 0x7fffffff, v1
	v_cmp_gt_u32_e32 vcc, s0, v5
	s_and_saveexec_b64 s[0:1], vcc
	s_xor_b64 s[0:1], exec, s[0:1]
	s_cbranch_execz .LBB242_2042
; %bb.2037:
	s_mov_b32 s2, 0x387fffff
	v_cmp_lt_u32_e32 vcc, s2, v5
                                        ; implicit-def: $vgpr3
	s_and_saveexec_b64 s[2:3], vcc
	s_xor_b64 s[2:3], exec, s[2:3]
; %bb.2038:
	v_bfe_u32 v3, v1, 21, 1
	s_mov_b32 s5, 0x80fffff
	v_add3_u32 v3, v1, v3, s5
	v_lshrrev_b32_e32 v3, 21, v3
; %bb.2039:
	s_andn2_saveexec_b64 s[2:3], s[2:3]
; %bb.2040:
	s_mov_b32 s5, 0x43000000
	v_add_f32_e64 v3, |v1|, s5
; %bb.2041:
	s_or_b64 exec, exec, s[2:3]
                                        ; implicit-def: $vgpr5
.LBB242_2042:
	s_andn2_saveexec_b64 s[0:1], s[0:1]
; %bb.2043:
	s_mov_b32 s2, 0x7f800000
	v_mov_b32_e32 v3, 0x7c
	v_mov_b32_e32 v8, 0x7f
	v_cmp_lt_u32_e32 vcc, s2, v5
	v_cndmask_b32_e32 v3, v3, v8, vcc
; %bb.2044:
	s_or_b64 exec, exec, s[0:1]
	v_lshrrev_b32_e32 v1, 24, v1
	s_movk_i32 s0, 0x80
	v_and_or_b32 v1, v1, s0, v3
.LBB242_2045:
	s_cbranch_execnz .LBB242_2104
.LBB242_2046:
	s_cmp_lt_i32 s4, 2
	s_cbranch_scc1 .LBB242_2058
; %bb.2047:
	s_cmp_lt_i32 s4, 3
	s_cbranch_scc1 .LBB242_2059
; %bb.2048:
	s_cmp_gt_i32 s4, 3
	s_cbranch_scc0 .LBB242_2060
; %bb.2049:
	global_load_dwordx2 v[14:15], v[12:13], off
	s_mov_b32 s0, 0x47800000
	s_waitcnt vmcnt(0)
	v_xor_b32_e32 v3, v14, v15
	v_ffbh_i32_e32 v1, v15
	v_ashrrev_i32_e32 v3, 31, v3
	v_add_u32_e32 v1, -1, v1
	v_add_u32_e32 v3, 32, v3
	v_min_u32_e32 v1, v1, v3
	v_lshlrev_b64 v[14:15], v1, v[14:15]
	v_sub_u32_e32 v1, 32, v1
	v_min_u32_e32 v3, 1, v14
	v_or_b32_e32 v3, v15, v3
	v_cvt_f32_i32_e32 v3, v3
	v_ldexp_f32 v1, v3, v1
	v_and_b32_e32 v5, 0x7fffffff, v1
	v_cmp_gt_u32_e32 vcc, s0, v5
                                        ; implicit-def: $vgpr3
	s_and_saveexec_b64 s[0:1], vcc
	s_xor_b64 s[0:1], exec, s[0:1]
	s_cbranch_execz .LBB242_2055
; %bb.2050:
	s_mov_b32 s2, 0x387fffff
	v_cmp_lt_u32_e32 vcc, s2, v5
                                        ; implicit-def: $vgpr3
	s_and_saveexec_b64 s[2:3], vcc
	s_xor_b64 s[2:3], exec, s[2:3]
; %bb.2051:
	v_bfe_u32 v3, v1, 21, 1
	s_mov_b32 s5, 0x80fffff
	v_add3_u32 v3, v1, v3, s5
	v_lshrrev_b32_e32 v3, 21, v3
; %bb.2052:
	s_andn2_saveexec_b64 s[2:3], s[2:3]
; %bb.2053:
	s_mov_b32 s5, 0x43000000
	v_add_f32_e64 v3, |v1|, s5
; %bb.2054:
	s_or_b64 exec, exec, s[2:3]
                                        ; implicit-def: $vgpr5
.LBB242_2055:
	s_andn2_saveexec_b64 s[0:1], s[0:1]
; %bb.2056:
	s_mov_b32 s2, 0x7f800000
	v_mov_b32_e32 v3, 0x7c
	v_mov_b32_e32 v8, 0x7f
	v_cmp_lt_u32_e32 vcc, s2, v5
	v_cndmask_b32_e32 v3, v3, v8, vcc
; %bb.2057:
	s_or_b64 exec, exec, s[0:1]
	v_lshrrev_b32_e32 v1, 24, v1
	s_movk_i32 s0, 0x80
	v_and_or_b32 v1, v1, s0, v3
	s_mov_b64 s[0:1], 0
	s_branch .LBB242_2061
.LBB242_2058:
                                        ; implicit-def: $vgpr1
	s_branch .LBB242_2083
.LBB242_2059:
	s_mov_b64 s[0:1], -1
                                        ; implicit-def: $vgpr1
	s_branch .LBB242_2072
.LBB242_2060:
	s_mov_b64 s[0:1], -1
                                        ; implicit-def: $vgpr1
.LBB242_2061:
	s_and_b64 vcc, exec, s[0:1]
	s_cbranch_vccz .LBB242_2071
; %bb.2062:
	global_load_dword v1, v[12:13], off
	s_mov_b32 s0, 0x47800000
                                        ; implicit-def: $vgpr3
	s_waitcnt vmcnt(0)
	v_cvt_f32_i32_e32 v1, v1
	v_and_b32_e32 v5, 0x7fffffff, v1
	v_cmp_gt_u32_e32 vcc, s0, v5
	s_and_saveexec_b64 s[0:1], vcc
	s_xor_b64 s[0:1], exec, s[0:1]
	s_cbranch_execz .LBB242_2068
; %bb.2063:
	s_mov_b32 s2, 0x387fffff
	v_cmp_lt_u32_e32 vcc, s2, v5
                                        ; implicit-def: $vgpr3
	s_and_saveexec_b64 s[2:3], vcc
	s_xor_b64 s[2:3], exec, s[2:3]
; %bb.2064:
	v_bfe_u32 v3, v1, 21, 1
	s_mov_b32 s5, 0x80fffff
	v_add3_u32 v3, v1, v3, s5
	v_lshrrev_b32_e32 v3, 21, v3
; %bb.2065:
	s_andn2_saveexec_b64 s[2:3], s[2:3]
; %bb.2066:
	s_mov_b32 s5, 0x43000000
	v_add_f32_e64 v3, |v1|, s5
; %bb.2067:
	s_or_b64 exec, exec, s[2:3]
                                        ; implicit-def: $vgpr5
.LBB242_2068:
	s_andn2_saveexec_b64 s[0:1], s[0:1]
; %bb.2069:
	s_mov_b32 s2, 0x7f800000
	v_mov_b32_e32 v3, 0x7c
	v_mov_b32_e32 v8, 0x7f
	v_cmp_lt_u32_e32 vcc, s2, v5
	v_cndmask_b32_e32 v3, v3, v8, vcc
; %bb.2070:
	s_or_b64 exec, exec, s[0:1]
	v_lshrrev_b32_e32 v1, 24, v1
	s_movk_i32 s0, 0x80
	v_and_or_b32 v1, v1, s0, v3
.LBB242_2071:
	s_mov_b64 s[0:1], 0
.LBB242_2072:
	s_andn2_b64 vcc, exec, s[0:1]
	s_cbranch_vccnz .LBB242_2082
; %bb.2073:
	global_load_sshort v1, v[12:13], off
	s_mov_b32 s0, 0x47800000
                                        ; implicit-def: $vgpr3
	s_waitcnt vmcnt(0)
	v_cvt_f32_i32_e32 v1, v1
	v_and_b32_e32 v5, 0x7fffffff, v1
	v_cmp_gt_u32_e32 vcc, s0, v5
	s_and_saveexec_b64 s[0:1], vcc
	s_xor_b64 s[0:1], exec, s[0:1]
	s_cbranch_execz .LBB242_2079
; %bb.2074:
	s_mov_b32 s2, 0x387fffff
	v_cmp_lt_u32_e32 vcc, s2, v5
                                        ; implicit-def: $vgpr3
	s_and_saveexec_b64 s[2:3], vcc
	s_xor_b64 s[2:3], exec, s[2:3]
; %bb.2075:
	v_bfe_u32 v3, v1, 21, 1
	s_mov_b32 s5, 0x80fffff
	v_add3_u32 v3, v1, v3, s5
	v_lshrrev_b32_e32 v3, 21, v3
; %bb.2076:
	s_andn2_saveexec_b64 s[2:3], s[2:3]
; %bb.2077:
	s_mov_b32 s5, 0x43000000
	v_add_f32_e64 v3, |v1|, s5
; %bb.2078:
	s_or_b64 exec, exec, s[2:3]
                                        ; implicit-def: $vgpr5
.LBB242_2079:
	s_andn2_saveexec_b64 s[0:1], s[0:1]
; %bb.2080:
	s_mov_b32 s2, 0x7f800000
	v_mov_b32_e32 v3, 0x7c
	v_mov_b32_e32 v8, 0x7f
	v_cmp_lt_u32_e32 vcc, s2, v5
	v_cndmask_b32_e32 v3, v3, v8, vcc
; %bb.2081:
	s_or_b64 exec, exec, s[0:1]
	v_lshrrev_b32_e32 v1, 24, v1
	s_movk_i32 s0, 0x80
	v_and_or_b32 v1, v1, s0, v3
.LBB242_2082:
	s_cbranch_execnz .LBB242_2104
.LBB242_2083:
	s_cmp_gt_i32 s4, 0
	s_cbranch_scc0 .LBB242_2093
; %bb.2084:
	global_load_sbyte v1, v[12:13], off
	s_mov_b32 s0, 0x47800000
                                        ; implicit-def: $vgpr3
	s_waitcnt vmcnt(0)
	v_cvt_f32_i32_e32 v1, v1
	v_and_b32_e32 v5, 0x7fffffff, v1
	v_cmp_gt_u32_e32 vcc, s0, v5
	s_and_saveexec_b64 s[0:1], vcc
	s_xor_b64 s[0:1], exec, s[0:1]
	s_cbranch_execz .LBB242_2090
; %bb.2085:
	s_mov_b32 s2, 0x387fffff
	v_cmp_lt_u32_e32 vcc, s2, v5
                                        ; implicit-def: $vgpr3
	s_and_saveexec_b64 s[2:3], vcc
	s_xor_b64 s[2:3], exec, s[2:3]
; %bb.2086:
	v_bfe_u32 v3, v1, 21, 1
	s_mov_b32 s4, 0x80fffff
	v_add3_u32 v3, v1, v3, s4
	v_lshrrev_b32_e32 v3, 21, v3
; %bb.2087:
	s_andn2_saveexec_b64 s[2:3], s[2:3]
; %bb.2088:
	s_mov_b32 s4, 0x43000000
	v_add_f32_e64 v3, |v1|, s4
; %bb.2089:
	s_or_b64 exec, exec, s[2:3]
                                        ; implicit-def: $vgpr5
.LBB242_2090:
	s_andn2_saveexec_b64 s[0:1], s[0:1]
; %bb.2091:
	s_mov_b32 s2, 0x7f800000
	v_mov_b32_e32 v3, 0x7c
	v_mov_b32_e32 v8, 0x7f
	v_cmp_lt_u32_e32 vcc, s2, v5
	v_cndmask_b32_e32 v3, v3, v8, vcc
; %bb.2092:
	s_or_b64 exec, exec, s[0:1]
	v_lshrrev_b32_e32 v1, 24, v1
	s_movk_i32 s0, 0x80
	v_and_or_b32 v1, v1, s0, v3
	s_mov_b64 s[0:1], 0
	s_branch .LBB242_2094
.LBB242_2093:
	s_mov_b64 s[0:1], -1
                                        ; implicit-def: $vgpr1
.LBB242_2094:
	s_and_b64 vcc, exec, s[0:1]
	s_cbranch_vccz .LBB242_2104
; %bb.2095:
	global_load_ubyte v1, v[12:13], off
	s_mov_b32 s0, 0x47800000
	s_waitcnt vmcnt(0)
	v_cvt_f32_ubyte0_e32 v3, v1
	v_cmp_gt_u32_e32 vcc, s0, v3
                                        ; implicit-def: $vgpr1
	s_and_saveexec_b64 s[0:1], vcc
	s_xor_b64 s[0:1], exec, s[0:1]
	s_cbranch_execz .LBB242_2101
; %bb.2096:
	s_mov_b32 s2, 0x387fffff
	v_cmp_lt_u32_e32 vcc, s2, v3
                                        ; implicit-def: $vgpr1
	s_and_saveexec_b64 s[2:3], vcc
	s_xor_b64 s[2:3], exec, s[2:3]
; %bb.2097:
	v_bfe_u32 v1, v3, 21, 1
	s_mov_b32 s4, 0x80fffff
	v_add3_u32 v1, v3, v1, s4
	v_lshrrev_b32_e32 v1, 21, v1
                                        ; implicit-def: $vgpr3
; %bb.2098:
	s_andn2_saveexec_b64 s[2:3], s[2:3]
; %bb.2099:
	v_add_f32_e32 v1, 0x43000000, v3
; %bb.2100:
	s_or_b64 exec, exec, s[2:3]
                                        ; implicit-def: $vgpr3
.LBB242_2101:
	s_andn2_saveexec_b64 s[0:1], s[0:1]
; %bb.2102:
	s_mov_b32 s2, 0x7f800000
	v_mov_b32_e32 v1, 0x7c
	v_mov_b32_e32 v5, 0x7f
	v_cmp_lt_u32_e32 vcc, s2, v3
	v_cndmask_b32_e32 v1, v1, v5, vcc
; %bb.2103:
	s_or_b64 exec, exec, s[0:1]
.LBB242_2104:
.LBB242_2105:
	s_lshr_b32 s0, s16, 8
	s_waitcnt vmcnt(0)
	v_mov_b32_e32 v3, s11
	s_and_b32 s18, s0, 0xff
	v_add_co_u32_e32 v10, vcc, s10, v11
	s_cmp_lt_i32 s18, 11
	v_addc_co_u32_e32 v11, vcc, 0, v3, vcc
	s_cbranch_scc1 .LBB242_2120
; %bb.2106:
	s_and_b32 s19, 0xffff, s18
	s_cmp_gt_i32 s19, 25
	s_mov_b64 s[2:3], 0
	s_cbranch_scc0 .LBB242_2122
; %bb.2107:
	s_cmp_gt_i32 s19, 28
	s_cbranch_scc0 .LBB242_2123
; %bb.2108:
	s_cmp_gt_i32 s19, 43
	s_cbranch_scc0 .LBB242_2124
; %bb.2109:
	s_cmp_gt_i32 s19, 45
	s_cbranch_scc0 .LBB242_2126
; %bb.2110:
	s_cmp_eq_u32 s19, 46
	s_mov_b64 s[14:15], 0
	s_cbranch_scc0 .LBB242_2129
; %bb.2111:
	global_load_dword v3, v[10:11], off
	s_mov_b32 s0, 0x47800000
                                        ; implicit-def: $vgpr5
	s_waitcnt vmcnt(0)
	v_lshlrev_b32_e32 v3, 16, v3
	v_and_b32_e32 v8, 0x7fffffff, v3
	v_cmp_gt_u32_e32 vcc, s0, v8
	s_and_saveexec_b64 s[0:1], vcc
	s_xor_b64 s[0:1], exec, s[0:1]
	s_cbranch_execz .LBB242_2117
; %bb.2112:
	s_mov_b32 s4, 0x387fffff
	v_cmp_lt_u32_e32 vcc, s4, v8
                                        ; implicit-def: $vgpr5
	s_and_saveexec_b64 s[4:5], vcc
	s_xor_b64 s[4:5], exec, s[4:5]
; %bb.2113:
	v_bfe_u32 v5, v3, 21, 1
	s_mov_b32 s16, 0x80fffff
	v_add3_u32 v5, v3, v5, s16
	v_lshrrev_b32_e32 v5, 21, v5
; %bb.2114:
	s_andn2_saveexec_b64 s[4:5], s[4:5]
; %bb.2115:
	s_mov_b32 s16, 0x43000000
	v_add_f32_e64 v5, |v3|, s16
; %bb.2116:
	s_or_b64 exec, exec, s[4:5]
                                        ; implicit-def: $vgpr8
.LBB242_2117:
	s_andn2_saveexec_b64 s[0:1], s[0:1]
; %bb.2118:
	s_mov_b32 s4, 0x7f800000
	v_mov_b32_e32 v5, 0x7c
	v_mov_b32_e32 v12, 0x7f
	v_cmp_lt_u32_e32 vcc, s4, v8
	v_cndmask_b32_e32 v5, v5, v12, vcc
; %bb.2119:
	s_or_b64 exec, exec, s[0:1]
	v_lshrrev_b32_e32 v3, 24, v3
	s_movk_i32 s0, 0x80
	v_and_or_b32 v3, v3, s0, v5
	s_mov_b64 s[0:1], 0
	s_mov_b64 s[4:5], -1
	s_branch .LBB242_2130
.LBB242_2120:
	s_mov_b64 s[4:5], 0
                                        ; implicit-def: $vgpr3
	s_cbranch_execnz .LBB242_2267
.LBB242_2121:
	s_andn2_b64 vcc, exec, s[4:5]
	s_cbranch_vccnz .LBB242_3430
	s_branch .LBB242_2402
.LBB242_2122:
	s_mov_b64 s[4:5], 0
	s_mov_b64 s[0:1], 0
                                        ; implicit-def: $vgpr3
	s_cbranch_execnz .LBB242_2199
	s_branch .LBB242_2255
.LBB242_2123:
	s_mov_b64 s[14:15], -1
	s_mov_b64 s[4:5], 0
                                        ; implicit-def: $vgpr3
	s_mov_b64 s[0:1], 0
	s_branch .LBB242_2156
.LBB242_2124:
	s_mov_b64 s[14:15], -1
	s_mov_b64 s[4:5], 0
	s_mov_b64 s[0:1], 0
                                        ; implicit-def: $vgpr3
	s_branch .LBB242_2143
.LBB242_2125:
	s_or_b64 s[12:13], s[6:7], exec
	s_trap 2
	s_cbranch_execz .LBB242_1959
	s_branch .LBB242_1968
.LBB242_2126:
	s_mov_b64 s[14:15], -1
	s_mov_b64 s[4:5], 0
	s_mov_b64 s[0:1], 0
                                        ; implicit-def: $vgpr3
	s_branch .LBB242_2130
.LBB242_2127:
	s_andn2_saveexec_b64 s[16:17], s[16:17]
	s_cbranch_execz .LBB242_1679
.LBB242_2128:
	v_add_f32_e32 v0, 0x42800000, v3
	v_and_b32_e32 v0, 0xff, v0
	v_cmp_ne_u32_e32 vcc, 0, v0
	s_andn2_b64 s[14:15], s[14:15], exec
	s_and_b64 s[20:21], vcc, exec
	s_or_b64 s[14:15], s[14:15], s[20:21]
	s_or_b64 exec, exec, s[16:17]
	v_mov_b32_e32 v4, 0
	s_and_saveexec_b64 s[16:17], s[14:15]
	s_cbranch_execnz .LBB242_1680
	s_branch .LBB242_1681
.LBB242_2129:
	s_mov_b64 s[0:1], -1
                                        ; implicit-def: $vgpr3
	s_mov_b64 s[4:5], 0
.LBB242_2130:
	s_and_b64 vcc, exec, s[14:15]
	s_cbranch_vccz .LBB242_2142
; %bb.2131:
	s_cmp_eq_u32 s19, 44
	s_cbranch_scc0 .LBB242_2141
; %bb.2132:
	global_load_ubyte v3, v[10:11], off
	s_movk_i32 s0, 0xff
	v_mov_b32_e32 v5, 0x7f800001
	v_mov_b32_e32 v8, 0x400000
	s_waitcnt vmcnt(0)
	v_lshlrev_b32_e32 v12, 23, v3
	v_cmp_ne_u32_e32 vcc, s0, v3
	v_cndmask_b32_e32 v5, v5, v12, vcc
	v_cmp_ne_u32_e32 vcc, 0, v3
	v_cndmask_b32_e32 v5, v8, v5, vcc
	s_mov_b32 s0, 0x47800000
	v_cmp_gt_u32_e32 vcc, s0, v5
                                        ; implicit-def: $vgpr3
	s_and_saveexec_b64 s[0:1], vcc
	s_xor_b64 s[0:1], exec, s[0:1]
	s_cbranch_execz .LBB242_2138
; %bb.2133:
	s_mov_b32 s4, 0x387fffff
	v_cmp_lt_u32_e32 vcc, s4, v5
                                        ; implicit-def: $vgpr3
	s_and_saveexec_b64 s[4:5], vcc
	s_xor_b64 s[4:5], exec, s[4:5]
; %bb.2134:
	v_bfe_u32 v3, v5, 21, 1
	s_mov_b32 s14, 0x80fffff
	v_add3_u32 v3, v5, v3, s14
	v_lshrrev_b32_e32 v3, 21, v3
                                        ; implicit-def: $vgpr5
; %bb.2135:
	s_andn2_saveexec_b64 s[4:5], s[4:5]
; %bb.2136:
	v_add_f32_e32 v3, 0x43000000, v5
; %bb.2137:
	s_or_b64 exec, exec, s[4:5]
                                        ; implicit-def: $vgpr5
.LBB242_2138:
	s_andn2_saveexec_b64 s[0:1], s[0:1]
; %bb.2139:
	s_mov_b32 s4, 0x7f800000
	v_mov_b32_e32 v3, 0x7c
	v_mov_b32_e32 v8, 0x7f
	v_cmp_lt_u32_e32 vcc, s4, v5
	v_cndmask_b32_e32 v3, v3, v8, vcc
; %bb.2140:
	s_or_b64 exec, exec, s[0:1]
	s_mov_b64 s[0:1], 0
	s_mov_b64 s[4:5], -1
	s_branch .LBB242_2142
.LBB242_2141:
	s_mov_b64 s[0:1], -1
                                        ; implicit-def: $vgpr3
.LBB242_2142:
	s_mov_b64 s[14:15], 0
.LBB242_2143:
	s_and_b64 vcc, exec, s[14:15]
	s_cbranch_vccz .LBB242_2155
; %bb.2144:
	s_cmp_eq_u32 s19, 29
	s_cbranch_scc0 .LBB242_2154
; %bb.2145:
	global_load_dwordx2 v[12:13], v[10:11], off
	s_mov_b32 s0, 0x47800000
	s_waitcnt vmcnt(0)
	v_ffbh_u32_e32 v3, v13
	v_min_u32_e32 v3, 32, v3
	v_lshlrev_b64 v[12:13], v3, v[12:13]
	v_sub_u32_e32 v3, 32, v3
	v_min_u32_e32 v5, 1, v12
	v_or_b32_e32 v5, v13, v5
	v_cvt_f32_u32_e32 v5, v5
	v_ldexp_f32 v5, v5, v3
	v_cmp_gt_u32_e32 vcc, s0, v5
                                        ; implicit-def: $vgpr3
	s_and_saveexec_b64 s[0:1], vcc
	s_xor_b64 s[0:1], exec, s[0:1]
	s_cbranch_execz .LBB242_2151
; %bb.2146:
	s_mov_b32 s4, 0x387fffff
	v_cmp_lt_u32_e32 vcc, s4, v5
                                        ; implicit-def: $vgpr3
	s_and_saveexec_b64 s[4:5], vcc
	s_xor_b64 s[4:5], exec, s[4:5]
; %bb.2147:
	v_bfe_u32 v3, v5, 21, 1
	s_mov_b32 s14, 0x80fffff
	v_add3_u32 v3, v5, v3, s14
	v_lshrrev_b32_e32 v3, 21, v3
                                        ; implicit-def: $vgpr5
; %bb.2148:
	s_andn2_saveexec_b64 s[4:5], s[4:5]
; %bb.2149:
	v_add_f32_e32 v3, 0x43000000, v5
; %bb.2150:
	s_or_b64 exec, exec, s[4:5]
                                        ; implicit-def: $vgpr5
.LBB242_2151:
	s_andn2_saveexec_b64 s[0:1], s[0:1]
; %bb.2152:
	s_mov_b32 s4, 0x7f800000
	v_mov_b32_e32 v3, 0x7c
	v_mov_b32_e32 v8, 0x7f
	v_cmp_lt_u32_e32 vcc, s4, v5
	v_cndmask_b32_e32 v3, v3, v8, vcc
; %bb.2153:
	s_or_b64 exec, exec, s[0:1]
	s_mov_b64 s[0:1], 0
	s_mov_b64 s[4:5], -1
	s_branch .LBB242_2155
.LBB242_2154:
	s_mov_b64 s[0:1], -1
                                        ; implicit-def: $vgpr3
.LBB242_2155:
	s_mov_b64 s[14:15], 0
.LBB242_2156:
	s_and_b64 vcc, exec, s[14:15]
	s_cbranch_vccz .LBB242_2198
; %bb.2157:
	s_cmp_lt_i32 s19, 27
	s_cbranch_scc1 .LBB242_2168
; %bb.2158:
	s_cmp_gt_i32 s19, 27
	s_cbranch_scc0 .LBB242_2169
; %bb.2159:
	global_load_dword v3, v[10:11], off
	s_mov_b32 s4, 0x47800000
	s_waitcnt vmcnt(0)
	v_cvt_f32_u32_e32 v5, v3
                                        ; implicit-def: $vgpr3
	v_cmp_gt_u32_e32 vcc, s4, v5
	s_and_saveexec_b64 s[4:5], vcc
	s_xor_b64 s[4:5], exec, s[4:5]
	s_cbranch_execz .LBB242_2165
; %bb.2160:
	s_mov_b32 s14, 0x387fffff
	v_cmp_lt_u32_e32 vcc, s14, v5
                                        ; implicit-def: $vgpr3
	s_and_saveexec_b64 s[14:15], vcc
	s_xor_b64 s[14:15], exec, s[14:15]
; %bb.2161:
	v_bfe_u32 v3, v5, 21, 1
	s_mov_b32 s16, 0x80fffff
	v_add3_u32 v3, v5, v3, s16
	v_lshrrev_b32_e32 v3, 21, v3
                                        ; implicit-def: $vgpr5
; %bb.2162:
	s_andn2_saveexec_b64 s[14:15], s[14:15]
; %bb.2163:
	v_add_f32_e32 v3, 0x43000000, v5
; %bb.2164:
	s_or_b64 exec, exec, s[14:15]
                                        ; implicit-def: $vgpr5
.LBB242_2165:
	s_andn2_saveexec_b64 s[4:5], s[4:5]
; %bb.2166:
	s_mov_b32 s14, 0x7f800000
	v_mov_b32_e32 v3, 0x7c
	v_mov_b32_e32 v8, 0x7f
	v_cmp_lt_u32_e32 vcc, s14, v5
	v_cndmask_b32_e32 v3, v3, v8, vcc
; %bb.2167:
	s_or_b64 exec, exec, s[4:5]
	s_mov_b64 s[4:5], 0
	s_branch .LBB242_2170
.LBB242_2168:
	s_mov_b64 s[4:5], -1
                                        ; implicit-def: $vgpr3
	s_branch .LBB242_2181
.LBB242_2169:
	s_mov_b64 s[4:5], -1
                                        ; implicit-def: $vgpr3
.LBB242_2170:
	s_and_b64 vcc, exec, s[4:5]
	s_cbranch_vccz .LBB242_2180
; %bb.2171:
	global_load_ushort v3, v[10:11], off
	s_mov_b32 s4, 0x47800000
	s_waitcnt vmcnt(0)
	v_cvt_f32_u32_e32 v5, v3
                                        ; implicit-def: $vgpr3
	v_cmp_gt_u32_e32 vcc, s4, v5
	s_and_saveexec_b64 s[4:5], vcc
	s_xor_b64 s[4:5], exec, s[4:5]
	s_cbranch_execz .LBB242_2177
; %bb.2172:
	s_mov_b32 s14, 0x387fffff
	v_cmp_lt_u32_e32 vcc, s14, v5
                                        ; implicit-def: $vgpr3
	s_and_saveexec_b64 s[14:15], vcc
	s_xor_b64 s[14:15], exec, s[14:15]
; %bb.2173:
	v_bfe_u32 v3, v5, 21, 1
	s_mov_b32 s16, 0x80fffff
	v_add3_u32 v3, v5, v3, s16
	v_lshrrev_b32_e32 v3, 21, v3
                                        ; implicit-def: $vgpr5
; %bb.2174:
	s_andn2_saveexec_b64 s[14:15], s[14:15]
; %bb.2175:
	v_add_f32_e32 v3, 0x43000000, v5
; %bb.2176:
	s_or_b64 exec, exec, s[14:15]
                                        ; implicit-def: $vgpr5
.LBB242_2177:
	s_andn2_saveexec_b64 s[4:5], s[4:5]
; %bb.2178:
	s_mov_b32 s14, 0x7f800000
	v_mov_b32_e32 v3, 0x7c
	v_mov_b32_e32 v8, 0x7f
	v_cmp_lt_u32_e32 vcc, s14, v5
	v_cndmask_b32_e32 v3, v3, v8, vcc
; %bb.2179:
	s_or_b64 exec, exec, s[4:5]
.LBB242_2180:
	s_mov_b64 s[4:5], 0
.LBB242_2181:
	s_andn2_b64 vcc, exec, s[4:5]
	s_cbranch_vccnz .LBB242_2197
; %bb.2182:
	global_load_ubyte v5, v[10:11], off
	s_movk_i32 s4, 0x7f
	s_waitcnt vmcnt(0)
	v_cmp_lt_i16_e32 vcc, s4, v5
	s_mov_b64 s[4:5], 0
	s_and_saveexec_b64 s[14:15], vcc
	s_xor_b64 s[14:15], exec, s[14:15]
	s_cbranch_execz .LBB242_2218
; %bb.2183:
	s_movk_i32 s4, 0x80
	v_cmp_eq_u16_e32 vcc, s4, v5
	s_mov_b64 s[4:5], -1
	s_and_saveexec_b64 s[16:17], vcc
; %bb.2184:
	s_xor_b64 s[4:5], exec, -1
; %bb.2185:
	s_or_b64 exec, exec, s[16:17]
	s_and_b64 s[4:5], s[4:5], exec
	s_or_saveexec_b64 s[14:15], s[14:15]
	v_mov_b32_e32 v3, 0x7f800001
	s_xor_b64 exec, exec, s[14:15]
	s_cbranch_execnz .LBB242_2219
.LBB242_2186:
	s_or_b64 exec, exec, s[14:15]
	s_and_saveexec_b64 s[14:15], s[4:5]
	s_cbranch_execz .LBB242_2188
.LBB242_2187:
	v_lshlrev_b32_e32 v3, 24, v5
	v_and_b32_e32 v5, 0xffff, v5
	v_and_b32_e32 v8, 7, v5
	v_ffbh_u32_e32 v13, v8
	v_min_u32_e32 v13, 32, v13
	v_subrev_u32_e32 v14, 28, v13
	v_bfe_u32 v12, v5, 3, 4
	v_lshlrev_b32_e32 v5, v14, v5
	v_sub_u32_e32 v13, 29, v13
	v_and_b32_e32 v5, 7, v5
	v_cmp_eq_u32_e32 vcc, 0, v12
	v_cndmask_b32_e32 v12, v12, v13, vcc
	v_cndmask_b32_e32 v5, v8, v5, vcc
	v_mov_b32_e32 v8, 0x3b800000
	v_lshlrev_b32_e32 v5, 20, v5
	v_and_b32_e32 v3, 0x80000000, v3
	v_lshl_add_u32 v8, v12, 23, v8
	v_or3_b32 v3, v3, v8, v5
.LBB242_2188:
	s_or_b64 exec, exec, s[14:15]
	v_and_b32_e32 v8, 0x7fffffff, v3
	s_mov_b32 s4, 0x47800000
	v_cmp_gt_u32_e32 vcc, s4, v8
                                        ; implicit-def: $vgpr5
	s_and_saveexec_b64 s[4:5], vcc
	s_xor_b64 s[4:5], exec, s[4:5]
	s_cbranch_execz .LBB242_2194
; %bb.2189:
	s_mov_b32 s14, 0x387fffff
	v_cmp_lt_u32_e32 vcc, s14, v8
                                        ; implicit-def: $vgpr5
	s_and_saveexec_b64 s[14:15], vcc
	s_xor_b64 s[14:15], exec, s[14:15]
; %bb.2190:
	v_bfe_u32 v5, v3, 21, 1
	s_mov_b32 s16, 0x80fffff
	v_add3_u32 v5, v3, v5, s16
	v_lshrrev_b32_e32 v5, 21, v5
; %bb.2191:
	s_andn2_saveexec_b64 s[14:15], s[14:15]
; %bb.2192:
	s_mov_b32 s16, 0x43000000
	v_add_f32_e64 v5, |v3|, s16
; %bb.2193:
	s_or_b64 exec, exec, s[14:15]
                                        ; implicit-def: $vgpr8
.LBB242_2194:
	s_andn2_saveexec_b64 s[4:5], s[4:5]
; %bb.2195:
	s_mov_b32 s14, 0x7f800000
	v_mov_b32_e32 v5, 0x7c
	v_mov_b32_e32 v12, 0x7f
	v_cmp_lt_u32_e32 vcc, s14, v8
	v_cndmask_b32_e32 v5, v5, v12, vcc
; %bb.2196:
	s_or_b64 exec, exec, s[4:5]
	v_lshrrev_b32_e32 v3, 24, v3
	s_movk_i32 s4, 0x80
	v_and_or_b32 v3, v3, s4, v5
.LBB242_2197:
	s_mov_b64 s[4:5], -1
.LBB242_2198:
	s_branch .LBB242_2255
.LBB242_2199:
	s_cmp_gt_i32 s19, 22
	s_cbranch_scc0 .LBB242_2217
; %bb.2200:
	s_cmp_lt_i32 s19, 24
	s_cbranch_scc1 .LBB242_2220
; %bb.2201:
	s_cmp_gt_i32 s19, 24
	s_cbranch_scc0 .LBB242_2221
; %bb.2202:
	global_load_ubyte v5, v[10:11], off
	s_movk_i32 s2, 0x7f
	s_waitcnt vmcnt(0)
	v_cmp_lt_i16_e32 vcc, s2, v5
	s_mov_b64 s[2:3], 0
	s_and_saveexec_b64 s[4:5], vcc
	s_xor_b64 s[4:5], exec, s[4:5]
	s_cbranch_execz .LBB242_2249
; %bb.2203:
	s_movk_i32 s2, 0x80
	v_cmp_eq_u16_e32 vcc, s2, v5
	s_mov_b64 s[2:3], -1
	s_and_saveexec_b64 s[14:15], vcc
; %bb.2204:
	s_xor_b64 s[2:3], exec, -1
; %bb.2205:
	s_or_b64 exec, exec, s[14:15]
	s_and_b64 s[2:3], s[2:3], exec
	s_or_saveexec_b64 s[4:5], s[4:5]
	v_mov_b32_e32 v3, 0x7f800001
	s_xor_b64 exec, exec, s[4:5]
	s_cbranch_execnz .LBB242_2250
.LBB242_2206:
	s_or_b64 exec, exec, s[4:5]
	s_and_saveexec_b64 s[4:5], s[2:3]
	s_cbranch_execz .LBB242_2208
.LBB242_2207:
	v_lshlrev_b32_e32 v3, 24, v5
	v_and_b32_e32 v5, 0xffff, v5
	v_and_b32_e32 v8, 3, v5
	v_ffbh_u32_e32 v13, v8
	v_min_u32_e32 v13, 32, v13
	v_subrev_u32_e32 v14, 29, v13
	v_bfe_u32 v12, v5, 2, 5
	v_lshlrev_b32_e32 v5, v14, v5
	v_sub_u32_e32 v13, 30, v13
	v_and_b32_e32 v5, 3, v5
	v_cmp_eq_u32_e32 vcc, 0, v12
	v_cndmask_b32_e32 v12, v12, v13, vcc
	v_cndmask_b32_e32 v5, v8, v5, vcc
	v_mov_b32_e32 v8, 0x37800000
	v_lshlrev_b32_e32 v5, 21, v5
	v_and_b32_e32 v3, 0x80000000, v3
	v_lshl_add_u32 v8, v12, 23, v8
	v_or3_b32 v3, v3, v8, v5
.LBB242_2208:
	s_or_b64 exec, exec, s[4:5]
	v_and_b32_e32 v8, 0x7fffffff, v3
	s_mov_b32 s2, 0x47800000
	v_cmp_gt_u32_e32 vcc, s2, v8
                                        ; implicit-def: $vgpr5
	s_and_saveexec_b64 s[2:3], vcc
	s_xor_b64 s[2:3], exec, s[2:3]
	s_cbranch_execz .LBB242_2214
; %bb.2209:
	s_mov_b32 s4, 0x387fffff
	v_cmp_lt_u32_e32 vcc, s4, v8
                                        ; implicit-def: $vgpr5
	s_and_saveexec_b64 s[4:5], vcc
	s_xor_b64 s[4:5], exec, s[4:5]
; %bb.2210:
	v_bfe_u32 v5, v3, 21, 1
	s_mov_b32 s14, 0x80fffff
	v_add3_u32 v5, v3, v5, s14
	v_lshrrev_b32_e32 v5, 21, v5
; %bb.2211:
	s_andn2_saveexec_b64 s[4:5], s[4:5]
; %bb.2212:
	s_mov_b32 s14, 0x43000000
	v_add_f32_e64 v5, |v3|, s14
; %bb.2213:
	s_or_b64 exec, exec, s[4:5]
                                        ; implicit-def: $vgpr8
.LBB242_2214:
	s_andn2_saveexec_b64 s[2:3], s[2:3]
; %bb.2215:
	s_mov_b32 s4, 0x7f800000
	v_mov_b32_e32 v5, 0x7c
	v_mov_b32_e32 v12, 0x7f
	v_cmp_lt_u32_e32 vcc, s4, v8
	v_cndmask_b32_e32 v5, v5, v12, vcc
; %bb.2216:
	s_or_b64 exec, exec, s[2:3]
	v_lshrrev_b32_e32 v3, 24, v3
	s_movk_i32 s2, 0x80
	v_and_or_b32 v3, v3, s2, v5
	s_mov_b64 s[2:3], 0
	s_branch .LBB242_2222
.LBB242_2217:
	s_mov_b64 s[2:3], -1
                                        ; implicit-def: $vgpr3
	s_branch .LBB242_2236
.LBB242_2218:
	s_or_saveexec_b64 s[14:15], s[14:15]
	v_mov_b32_e32 v3, 0x7f800001
	s_xor_b64 exec, exec, s[14:15]
	s_cbranch_execz .LBB242_2186
.LBB242_2219:
	v_cmp_ne_u16_e32 vcc, 0, v5
	s_andn2_b64 s[4:5], s[4:5], exec
	s_and_b64 s[16:17], vcc, exec
	v_mov_b32_e32 v3, 0
	s_or_b64 s[4:5], s[4:5], s[16:17]
	s_or_b64 exec, exec, s[14:15]
	s_and_saveexec_b64 s[14:15], s[4:5]
	s_cbranch_execnz .LBB242_2187
	s_branch .LBB242_2188
.LBB242_2220:
	s_mov_b64 s[2:3], -1
                                        ; implicit-def: $vgpr3
	s_branch .LBB242_2233
.LBB242_2221:
	s_mov_b64 s[2:3], -1
                                        ; implicit-def: $vgpr3
.LBB242_2222:
	s_and_b64 vcc, exec, s[2:3]
	s_cbranch_vccz .LBB242_2232
; %bb.2223:
	global_load_ubyte v3, v[10:11], off
	s_mov_b32 s2, 0x7f800000
	s_brev_b32 s3, 1
	s_waitcnt vmcnt(0)
	v_lshlrev_b32_e32 v3, 24, v3
	v_and_b32_e32 v5, 0x7f000000, v3
	v_ffbh_u32_e32 v8, v5
	v_min_u32_e32 v8, 32, v8
	v_sub_u32_e64 v8, v8, 4 clamp
	v_lshlrev_b32_e32 v13, v8, v5
	v_lshlrev_b32_e32 v8, 23, v8
	v_lshrrev_b32_e32 v13, 4, v13
	v_add_u32_e32 v12, 0x1000000, v5
	v_sub_u32_e32 v8, v13, v8
	v_ashrrev_i32_e32 v12, 8, v12
	v_add_u32_e32 v8, 0x3c000000, v8
	v_and_or_b32 v8, v12, s2, v8
	v_cmp_ne_u32_e32 vcc, 0, v5
	v_cndmask_b32_e32 v12, 0, v8, vcc
	v_and_or_b32 v3, v3, s3, v12
	v_and_b32_e32 v8, 0x7fffffff, v3
	s_mov_b32 s2, 0x47800000
	v_cmp_gt_u32_e32 vcc, s2, v8
                                        ; implicit-def: $vgpr5
	s_and_saveexec_b64 s[2:3], vcc
	s_xor_b64 s[2:3], exec, s[2:3]
	s_cbranch_execz .LBB242_2229
; %bb.2224:
	s_mov_b32 s4, 0x387fffff
	v_cmp_lt_u32_e32 vcc, s4, v8
                                        ; implicit-def: $vgpr5
	s_and_saveexec_b64 s[4:5], vcc
	s_xor_b64 s[4:5], exec, s[4:5]
; %bb.2225:
	v_bfe_u32 v5, v12, 21, 1
	s_mov_b32 s14, 0x80fffff
	v_add3_u32 v5, v3, v5, s14
	v_lshrrev_b32_e32 v5, 21, v5
; %bb.2226:
	s_andn2_saveexec_b64 s[4:5], s[4:5]
; %bb.2227:
	s_mov_b32 s14, 0x43000000
	v_add_f32_e64 v5, |v3|, s14
; %bb.2228:
	s_or_b64 exec, exec, s[4:5]
                                        ; implicit-def: $vgpr8
.LBB242_2229:
	s_andn2_saveexec_b64 s[2:3], s[2:3]
; %bb.2230:
	s_mov_b32 s4, 0x7f800000
	v_mov_b32_e32 v5, 0x7c
	v_mov_b32_e32 v12, 0x7f
	v_cmp_lt_u32_e32 vcc, s4, v8
	v_cndmask_b32_e32 v5, v5, v12, vcc
; %bb.2231:
	s_or_b64 exec, exec, s[2:3]
	v_lshrrev_b32_e32 v3, 24, v3
	s_movk_i32 s2, 0x80
	v_and_or_b32 v3, v3, s2, v5
.LBB242_2232:
	s_mov_b64 s[2:3], 0
.LBB242_2233:
	s_andn2_b64 vcc, exec, s[2:3]
	s_cbranch_vccnz .LBB242_2235
; %bb.2234:
	global_load_ubyte v3, v[10:11], off
.LBB242_2235:
	s_mov_b64 s[2:3], 0
	s_mov_b64 s[4:5], -1
.LBB242_2236:
	s_andn2_b64 vcc, exec, s[2:3]
	s_mov_b64 s[2:3], 0
	s_cbranch_vccnz .LBB242_2255
; %bb.2237:
	s_cmp_gt_i32 s19, 14
	s_cbranch_scc0 .LBB242_2248
; %bb.2238:
	s_cmp_eq_u32 s19, 15
	s_cbranch_scc0 .LBB242_2251
; %bb.2239:
	global_load_ushort v3, v[10:11], off
	s_mov_b32 s0, 0x47800000
                                        ; implicit-def: $vgpr5
	s_waitcnt vmcnt(0)
	v_lshlrev_b32_e32 v8, 16, v3
	v_and_b32_e32 v12, 0x7fffffff, v8
	v_cmp_gt_u32_e32 vcc, s0, v12
	s_and_saveexec_b64 s[0:1], vcc
	s_xor_b64 s[0:1], exec, s[0:1]
	s_cbranch_execz .LBB242_2245
; %bb.2240:
	s_mov_b32 s2, 0x387fffff
	v_cmp_lt_u32_e32 vcc, s2, v12
                                        ; implicit-def: $vgpr5
	s_and_saveexec_b64 s[2:3], vcc
	s_xor_b64 s[2:3], exec, s[2:3]
; %bb.2241:
	v_bfe_u32 v5, v3, 5, 1
	s_mov_b32 s4, 0x80fffff
	v_add3_u32 v5, v8, v5, s4
	v_lshrrev_b32_e32 v5, 21, v5
                                        ; implicit-def: $vgpr8
; %bb.2242:
	s_andn2_saveexec_b64 s[2:3], s[2:3]
; %bb.2243:
	s_mov_b32 s4, 0x43000000
	v_add_f32_e64 v5, |v8|, s4
; %bb.2244:
	s_or_b64 exec, exec, s[2:3]
                                        ; implicit-def: $vgpr12
.LBB242_2245:
	s_andn2_saveexec_b64 s[0:1], s[0:1]
; %bb.2246:
	s_mov_b32 s2, 0x7f800000
	v_mov_b32_e32 v5, 0x7c
	v_mov_b32_e32 v8, 0x7f
	v_cmp_lt_u32_e32 vcc, s2, v12
	v_cndmask_b32_e32 v5, v5, v8, vcc
; %bb.2247:
	s_or_b64 exec, exec, s[0:1]
	v_lshrrev_b32_e32 v3, 8, v3
	s_movk_i32 s0, 0x80
	v_and_or_b32 v3, v3, s0, v5
	s_mov_b64 s[0:1], 0
	s_mov_b64 s[4:5], -1
	s_branch .LBB242_2252
.LBB242_2248:
	s_mov_b64 s[14:15], -1
                                        ; implicit-def: $vgpr3
	s_branch .LBB242_2253
.LBB242_2249:
	s_or_saveexec_b64 s[4:5], s[4:5]
	v_mov_b32_e32 v3, 0x7f800001
	s_xor_b64 exec, exec, s[4:5]
	s_cbranch_execz .LBB242_2206
.LBB242_2250:
	v_cmp_ne_u16_e32 vcc, 0, v5
	s_andn2_b64 s[2:3], s[2:3], exec
	s_and_b64 s[14:15], vcc, exec
	v_mov_b32_e32 v3, 0
	s_or_b64 s[2:3], s[2:3], s[14:15]
	s_or_b64 exec, exec, s[4:5]
	s_and_saveexec_b64 s[4:5], s[2:3]
	s_cbranch_execnz .LBB242_2207
	s_branch .LBB242_2208
.LBB242_2251:
	s_mov_b64 s[0:1], -1
                                        ; implicit-def: $vgpr3
.LBB242_2252:
	s_mov_b64 s[14:15], 0
.LBB242_2253:
	s_mov_b64 s[2:3], 0
	s_and_b64 vcc, exec, s[14:15]
	s_cbranch_vccz .LBB242_2255
; %bb.2254:
	s_cmp_lg_u32 s19, 11
	s_mov_b64 s[2:3], -1
	s_cselect_b64 s[0:1], -1, 0
.LBB242_2255:
	s_and_b64 vcc, exec, s[0:1]
	s_cbranch_vccnz .LBB242_2422
; %bb.2256:
	s_andn2_b64 vcc, exec, s[2:3]
	s_cbranch_vccnz .LBB242_2266
.LBB242_2257:
	global_load_ubyte v3, v[10:11], off
	s_mov_b32 s0, 0x47800000
	s_waitcnt vmcnt(0)
	v_cmp_ne_u16_e32 vcc, 0, v3
	v_cndmask_b32_e64 v5, 0, 1.0, vcc
	v_cmp_gt_u32_e32 vcc, s0, v5
                                        ; implicit-def: $vgpr3
	s_and_saveexec_b64 s[0:1], vcc
	s_xor_b64 s[0:1], exec, s[0:1]
	s_cbranch_execz .LBB242_2263
; %bb.2258:
	s_mov_b32 s2, 0x387fffff
	v_cmp_lt_u32_e32 vcc, s2, v5
                                        ; implicit-def: $vgpr3
	s_and_saveexec_b64 s[2:3], vcc
	s_xor_b64 s[2:3], exec, s[2:3]
; %bb.2259:
	v_bfe_u32 v3, v5, 21, 1
	s_mov_b32 s4, 0x80fffff
	v_add3_u32 v3, v5, v3, s4
	v_lshrrev_b32_e32 v3, 21, v3
                                        ; implicit-def: $vgpr5
; %bb.2260:
	s_andn2_saveexec_b64 s[2:3], s[2:3]
; %bb.2261:
	v_add_f32_e32 v3, 0x43000000, v5
; %bb.2262:
	s_or_b64 exec, exec, s[2:3]
                                        ; implicit-def: $vgpr5
.LBB242_2263:
	s_andn2_saveexec_b64 s[0:1], s[0:1]
; %bb.2264:
	s_mov_b32 s2, 0x7f800000
	v_mov_b32_e32 v3, 0x7c
	v_mov_b32_e32 v8, 0x7f
	v_cmp_lt_u32_e32 vcc, s2, v5
	v_cndmask_b32_e32 v3, v3, v8, vcc
; %bb.2265:
	s_or_b64 exec, exec, s[0:1]
	s_mov_b64 s[4:5], -1
.LBB242_2266:
	s_branch .LBB242_2121
.LBB242_2267:
	s_and_b32 s4, 0xffff, s18
	s_cmp_lt_i32 s4, 5
	s_cbranch_scc1 .LBB242_2280
; %bb.2268:
	s_cmp_lt_i32 s4, 8
	s_cbranch_scc1 .LBB242_2281
; %bb.2269:
	;; [unrolled: 3-line block ×3, first 2 shown]
	s_cmp_gt_i32 s4, 9
	s_cbranch_scc0 .LBB242_2283
; %bb.2271:
	global_load_dwordx2 v[12:13], v[10:11], off
	s_mov_b32 s0, 0x47800000
                                        ; implicit-def: $vgpr5
	s_waitcnt vmcnt(0)
	v_cvt_f32_f64_e32 v3, v[12:13]
	v_and_b32_e32 v8, 0x7fffffff, v3
	v_cmp_gt_u32_e32 vcc, s0, v8
	s_and_saveexec_b64 s[0:1], vcc
	s_xor_b64 s[0:1], exec, s[0:1]
	s_cbranch_execz .LBB242_2277
; %bb.2272:
	s_mov_b32 s2, 0x387fffff
	v_cmp_lt_u32_e32 vcc, s2, v8
                                        ; implicit-def: $vgpr5
	s_and_saveexec_b64 s[2:3], vcc
	s_xor_b64 s[2:3], exec, s[2:3]
; %bb.2273:
	v_bfe_u32 v5, v3, 21, 1
	s_mov_b32 s5, 0x80fffff
	v_add3_u32 v5, v3, v5, s5
	v_lshrrev_b32_e32 v5, 21, v5
; %bb.2274:
	s_andn2_saveexec_b64 s[2:3], s[2:3]
; %bb.2275:
	s_mov_b32 s5, 0x43000000
	v_add_f32_e64 v5, |v3|, s5
; %bb.2276:
	s_or_b64 exec, exec, s[2:3]
                                        ; implicit-def: $vgpr8
.LBB242_2277:
	s_andn2_saveexec_b64 s[0:1], s[0:1]
; %bb.2278:
	s_mov_b32 s2, 0x7f800000
	v_mov_b32_e32 v5, 0x7c
	v_mov_b32_e32 v12, 0x7f
	v_cmp_lt_u32_e32 vcc, s2, v8
	v_cndmask_b32_e32 v5, v5, v12, vcc
; %bb.2279:
	s_or_b64 exec, exec, s[0:1]
	v_lshrrev_b32_e32 v3, 24, v3
	s_movk_i32 s0, 0x80
	v_and_or_b32 v3, v3, s0, v5
	s_mov_b64 s[0:1], 0
	s_branch .LBB242_2284
.LBB242_2280:
                                        ; implicit-def: $vgpr3
	s_branch .LBB242_2342
.LBB242_2281:
	s_mov_b64 s[0:1], -1
                                        ; implicit-def: $vgpr3
	s_branch .LBB242_2306
.LBB242_2282:
	s_mov_b64 s[0:1], -1
                                        ; implicit-def: $vgpr3
	s_branch .LBB242_2295
.LBB242_2283:
	s_mov_b64 s[0:1], -1
                                        ; implicit-def: $vgpr3
.LBB242_2284:
	s_and_b64 vcc, exec, s[0:1]
	s_cbranch_vccz .LBB242_2294
; %bb.2285:
	global_load_dword v3, v[10:11], off
	s_mov_b32 s0, 0x47800000
                                        ; implicit-def: $vgpr5
	s_waitcnt vmcnt(0)
	v_and_b32_e32 v8, 0x7fffffff, v3
	v_cmp_gt_u32_e32 vcc, s0, v8
	s_and_saveexec_b64 s[0:1], vcc
	s_xor_b64 s[0:1], exec, s[0:1]
	s_cbranch_execz .LBB242_2291
; %bb.2286:
	s_mov_b32 s2, 0x387fffff
	v_cmp_lt_u32_e32 vcc, s2, v8
                                        ; implicit-def: $vgpr5
	s_and_saveexec_b64 s[2:3], vcc
	s_xor_b64 s[2:3], exec, s[2:3]
; %bb.2287:
	v_bfe_u32 v5, v3, 21, 1
	s_mov_b32 s5, 0x80fffff
	v_add3_u32 v5, v3, v5, s5
	v_lshrrev_b32_e32 v5, 21, v5
; %bb.2288:
	s_andn2_saveexec_b64 s[2:3], s[2:3]
; %bb.2289:
	s_mov_b32 s5, 0x43000000
	v_add_f32_e64 v5, |v3|, s5
; %bb.2290:
	s_or_b64 exec, exec, s[2:3]
                                        ; implicit-def: $vgpr8
.LBB242_2291:
	s_andn2_saveexec_b64 s[0:1], s[0:1]
; %bb.2292:
	s_mov_b32 s2, 0x7f800000
	v_mov_b32_e32 v5, 0x7c
	v_mov_b32_e32 v12, 0x7f
	v_cmp_lt_u32_e32 vcc, s2, v8
	v_cndmask_b32_e32 v5, v5, v12, vcc
; %bb.2293:
	s_or_b64 exec, exec, s[0:1]
	v_lshrrev_b32_e32 v3, 24, v3
	s_movk_i32 s0, 0x80
	v_and_or_b32 v3, v3, s0, v5
.LBB242_2294:
	s_mov_b64 s[0:1], 0
.LBB242_2295:
	s_andn2_b64 vcc, exec, s[0:1]
	s_cbranch_vccnz .LBB242_2305
; %bb.2296:
	global_load_dword v3, v[10:11], off
	s_mov_b32 s0, 0x47800000
                                        ; implicit-def: $vgpr5
	s_waitcnt vmcnt(0)
	v_cvt_f32_f16_e32 v3, v3
	v_and_b32_e32 v8, 0x7fffffff, v3
	v_cmp_gt_u32_e32 vcc, s0, v8
	s_and_saveexec_b64 s[0:1], vcc
	s_xor_b64 s[0:1], exec, s[0:1]
	s_cbranch_execz .LBB242_2302
; %bb.2297:
	s_mov_b32 s2, 0x387fffff
	v_cmp_lt_u32_e32 vcc, s2, v8
                                        ; implicit-def: $vgpr5
	s_and_saveexec_b64 s[2:3], vcc
	s_xor_b64 s[2:3], exec, s[2:3]
; %bb.2298:
	v_bfe_u32 v5, v3, 21, 1
	s_mov_b32 s5, 0x80fffff
	v_add3_u32 v5, v3, v5, s5
	v_lshrrev_b32_e32 v5, 21, v5
; %bb.2299:
	s_andn2_saveexec_b64 s[2:3], s[2:3]
; %bb.2300:
	s_mov_b32 s5, 0x43000000
	v_add_f32_e64 v5, |v3|, s5
; %bb.2301:
	s_or_b64 exec, exec, s[2:3]
                                        ; implicit-def: $vgpr8
.LBB242_2302:
	s_andn2_saveexec_b64 s[0:1], s[0:1]
; %bb.2303:
	s_mov_b32 s2, 0x7f800000
	v_mov_b32_e32 v5, 0x7c
	v_mov_b32_e32 v12, 0x7f
	v_cmp_lt_u32_e32 vcc, s2, v8
	v_cndmask_b32_e32 v5, v5, v12, vcc
; %bb.2304:
	s_or_b64 exec, exec, s[0:1]
	v_lshrrev_b32_e32 v3, 24, v3
	s_movk_i32 s0, 0x80
	v_and_or_b32 v3, v3, s0, v5
.LBB242_2305:
	s_mov_b64 s[0:1], 0
.LBB242_2306:
	s_andn2_b64 vcc, exec, s[0:1]
	s_cbranch_vccnz .LBB242_2341
; %bb.2307:
	s_cmp_lt_i32 s4, 6
	s_cbranch_scc1 .LBB242_2318
; %bb.2308:
	s_cmp_gt_i32 s4, 6
	s_cbranch_scc0 .LBB242_2319
; %bb.2309:
	global_load_dwordx2 v[12:13], v[10:11], off
	s_mov_b32 s0, 0x47800000
                                        ; implicit-def: $vgpr5
	s_waitcnt vmcnt(0)
	v_cvt_f32_f64_e32 v3, v[12:13]
	v_and_b32_e32 v8, 0x7fffffff, v3
	v_cmp_gt_u32_e32 vcc, s0, v8
	s_and_saveexec_b64 s[0:1], vcc
	s_xor_b64 s[0:1], exec, s[0:1]
	s_cbranch_execz .LBB242_2315
; %bb.2310:
	s_mov_b32 s2, 0x387fffff
	v_cmp_lt_u32_e32 vcc, s2, v8
                                        ; implicit-def: $vgpr5
	s_and_saveexec_b64 s[2:3], vcc
	s_xor_b64 s[2:3], exec, s[2:3]
; %bb.2311:
	v_bfe_u32 v5, v3, 21, 1
	s_mov_b32 s5, 0x80fffff
	v_add3_u32 v5, v3, v5, s5
	v_lshrrev_b32_e32 v5, 21, v5
; %bb.2312:
	s_andn2_saveexec_b64 s[2:3], s[2:3]
; %bb.2313:
	s_mov_b32 s5, 0x43000000
	v_add_f32_e64 v5, |v3|, s5
; %bb.2314:
	s_or_b64 exec, exec, s[2:3]
                                        ; implicit-def: $vgpr8
.LBB242_2315:
	s_andn2_saveexec_b64 s[0:1], s[0:1]
; %bb.2316:
	s_mov_b32 s2, 0x7f800000
	v_mov_b32_e32 v5, 0x7c
	v_mov_b32_e32 v12, 0x7f
	v_cmp_lt_u32_e32 vcc, s2, v8
	v_cndmask_b32_e32 v5, v5, v12, vcc
; %bb.2317:
	s_or_b64 exec, exec, s[0:1]
	v_lshrrev_b32_e32 v3, 24, v3
	s_movk_i32 s0, 0x80
	v_and_or_b32 v3, v3, s0, v5
	s_mov_b64 s[0:1], 0
	s_branch .LBB242_2320
.LBB242_2318:
	s_mov_b64 s[0:1], -1
                                        ; implicit-def: $vgpr3
	s_branch .LBB242_2331
.LBB242_2319:
	s_mov_b64 s[0:1], -1
                                        ; implicit-def: $vgpr3
.LBB242_2320:
	s_and_b64 vcc, exec, s[0:1]
	s_cbranch_vccz .LBB242_2330
; %bb.2321:
	global_load_dword v3, v[10:11], off
	s_mov_b32 s0, 0x47800000
                                        ; implicit-def: $vgpr5
	s_waitcnt vmcnt(0)
	v_and_b32_e32 v8, 0x7fffffff, v3
	v_cmp_gt_u32_e32 vcc, s0, v8
	s_and_saveexec_b64 s[0:1], vcc
	s_xor_b64 s[0:1], exec, s[0:1]
	s_cbranch_execz .LBB242_2327
; %bb.2322:
	s_mov_b32 s2, 0x387fffff
	v_cmp_lt_u32_e32 vcc, s2, v8
                                        ; implicit-def: $vgpr5
	s_and_saveexec_b64 s[2:3], vcc
	s_xor_b64 s[2:3], exec, s[2:3]
; %bb.2323:
	v_bfe_u32 v5, v3, 21, 1
	s_mov_b32 s5, 0x80fffff
	v_add3_u32 v5, v3, v5, s5
	v_lshrrev_b32_e32 v5, 21, v5
; %bb.2324:
	s_andn2_saveexec_b64 s[2:3], s[2:3]
; %bb.2325:
	s_mov_b32 s5, 0x43000000
	v_add_f32_e64 v5, |v3|, s5
; %bb.2326:
	s_or_b64 exec, exec, s[2:3]
                                        ; implicit-def: $vgpr8
.LBB242_2327:
	s_andn2_saveexec_b64 s[0:1], s[0:1]
; %bb.2328:
	s_mov_b32 s2, 0x7f800000
	v_mov_b32_e32 v5, 0x7c
	v_mov_b32_e32 v12, 0x7f
	v_cmp_lt_u32_e32 vcc, s2, v8
	v_cndmask_b32_e32 v5, v5, v12, vcc
; %bb.2329:
	s_or_b64 exec, exec, s[0:1]
	v_lshrrev_b32_e32 v3, 24, v3
	s_movk_i32 s0, 0x80
	v_and_or_b32 v3, v3, s0, v5
.LBB242_2330:
	s_mov_b64 s[0:1], 0
.LBB242_2331:
	s_andn2_b64 vcc, exec, s[0:1]
	s_cbranch_vccnz .LBB242_2341
; %bb.2332:
	global_load_ushort v3, v[10:11], off
	s_mov_b32 s0, 0x47800000
                                        ; implicit-def: $vgpr5
	s_waitcnt vmcnt(0)
	v_cvt_f32_f16_e32 v3, v3
	v_and_b32_e32 v8, 0x7fffffff, v3
	v_cmp_gt_u32_e32 vcc, s0, v8
	s_and_saveexec_b64 s[0:1], vcc
	s_xor_b64 s[0:1], exec, s[0:1]
	s_cbranch_execz .LBB242_2338
; %bb.2333:
	s_mov_b32 s2, 0x387fffff
	v_cmp_lt_u32_e32 vcc, s2, v8
                                        ; implicit-def: $vgpr5
	s_and_saveexec_b64 s[2:3], vcc
	s_xor_b64 s[2:3], exec, s[2:3]
; %bb.2334:
	v_bfe_u32 v5, v3, 21, 1
	s_mov_b32 s5, 0x80fffff
	v_add3_u32 v5, v3, v5, s5
	v_lshrrev_b32_e32 v5, 21, v5
; %bb.2335:
	s_andn2_saveexec_b64 s[2:3], s[2:3]
; %bb.2336:
	s_mov_b32 s5, 0x43000000
	v_add_f32_e64 v5, |v3|, s5
; %bb.2337:
	s_or_b64 exec, exec, s[2:3]
                                        ; implicit-def: $vgpr8
.LBB242_2338:
	s_andn2_saveexec_b64 s[0:1], s[0:1]
; %bb.2339:
	s_mov_b32 s2, 0x7f800000
	v_mov_b32_e32 v5, 0x7c
	v_mov_b32_e32 v12, 0x7f
	v_cmp_lt_u32_e32 vcc, s2, v8
	v_cndmask_b32_e32 v5, v5, v12, vcc
; %bb.2340:
	s_or_b64 exec, exec, s[0:1]
	v_lshrrev_b32_e32 v3, 24, v3
	s_movk_i32 s0, 0x80
	v_and_or_b32 v3, v3, s0, v5
.LBB242_2341:
	s_cbranch_execnz .LBB242_2401
.LBB242_2342:
	s_cmp_lt_i32 s4, 2
	s_cbranch_scc1 .LBB242_2354
; %bb.2343:
	s_cmp_lt_i32 s4, 3
	s_cbranch_scc1 .LBB242_2355
; %bb.2344:
	s_cmp_gt_i32 s4, 3
	s_cbranch_scc0 .LBB242_2356
; %bb.2345:
	global_load_dwordx2 v[12:13], v[10:11], off
	s_mov_b32 s0, 0x47800000
	s_waitcnt vmcnt(0)
	v_xor_b32_e32 v5, v12, v13
	v_ffbh_i32_e32 v3, v13
	v_ashrrev_i32_e32 v5, 31, v5
	v_add_u32_e32 v3, -1, v3
	v_add_u32_e32 v5, 32, v5
	v_min_u32_e32 v3, v3, v5
	v_lshlrev_b64 v[12:13], v3, v[12:13]
	v_sub_u32_e32 v3, 32, v3
	v_min_u32_e32 v5, 1, v12
	v_or_b32_e32 v5, v13, v5
	v_cvt_f32_i32_e32 v5, v5
	v_ldexp_f32 v3, v5, v3
	v_and_b32_e32 v8, 0x7fffffff, v3
	v_cmp_gt_u32_e32 vcc, s0, v8
                                        ; implicit-def: $vgpr5
	s_and_saveexec_b64 s[0:1], vcc
	s_xor_b64 s[0:1], exec, s[0:1]
	s_cbranch_execz .LBB242_2351
; %bb.2346:
	s_mov_b32 s2, 0x387fffff
	v_cmp_lt_u32_e32 vcc, s2, v8
                                        ; implicit-def: $vgpr5
	s_and_saveexec_b64 s[2:3], vcc
	s_xor_b64 s[2:3], exec, s[2:3]
; %bb.2347:
	v_bfe_u32 v5, v3, 21, 1
	s_mov_b32 s5, 0x80fffff
	v_add3_u32 v5, v3, v5, s5
	v_lshrrev_b32_e32 v5, 21, v5
; %bb.2348:
	s_andn2_saveexec_b64 s[2:3], s[2:3]
; %bb.2349:
	s_mov_b32 s5, 0x43000000
	v_add_f32_e64 v5, |v3|, s5
; %bb.2350:
	s_or_b64 exec, exec, s[2:3]
                                        ; implicit-def: $vgpr8
.LBB242_2351:
	s_andn2_saveexec_b64 s[0:1], s[0:1]
; %bb.2352:
	s_mov_b32 s2, 0x7f800000
	v_mov_b32_e32 v5, 0x7c
	v_mov_b32_e32 v12, 0x7f
	v_cmp_lt_u32_e32 vcc, s2, v8
	v_cndmask_b32_e32 v5, v5, v12, vcc
; %bb.2353:
	s_or_b64 exec, exec, s[0:1]
	v_lshrrev_b32_e32 v3, 24, v3
	s_movk_i32 s0, 0x80
	v_and_or_b32 v3, v3, s0, v5
	s_mov_b64 s[0:1], 0
	s_branch .LBB242_2357
.LBB242_2354:
	s_mov_b64 s[0:1], -1
                                        ; implicit-def: $vgpr3
	s_branch .LBB242_2379
.LBB242_2355:
	s_mov_b64 s[0:1], -1
                                        ; implicit-def: $vgpr3
	s_branch .LBB242_2368
.LBB242_2356:
	s_mov_b64 s[0:1], -1
                                        ; implicit-def: $vgpr3
.LBB242_2357:
	s_and_b64 vcc, exec, s[0:1]
	s_cbranch_vccz .LBB242_2367
; %bb.2358:
	global_load_dword v3, v[10:11], off
	s_mov_b32 s0, 0x47800000
                                        ; implicit-def: $vgpr5
	s_waitcnt vmcnt(0)
	v_cvt_f32_i32_e32 v3, v3
	v_and_b32_e32 v8, 0x7fffffff, v3
	v_cmp_gt_u32_e32 vcc, s0, v8
	s_and_saveexec_b64 s[0:1], vcc
	s_xor_b64 s[0:1], exec, s[0:1]
	s_cbranch_execz .LBB242_2364
; %bb.2359:
	s_mov_b32 s2, 0x387fffff
	v_cmp_lt_u32_e32 vcc, s2, v8
                                        ; implicit-def: $vgpr5
	s_and_saveexec_b64 s[2:3], vcc
	s_xor_b64 s[2:3], exec, s[2:3]
; %bb.2360:
	v_bfe_u32 v5, v3, 21, 1
	s_mov_b32 s5, 0x80fffff
	v_add3_u32 v5, v3, v5, s5
	v_lshrrev_b32_e32 v5, 21, v5
; %bb.2361:
	s_andn2_saveexec_b64 s[2:3], s[2:3]
; %bb.2362:
	s_mov_b32 s5, 0x43000000
	v_add_f32_e64 v5, |v3|, s5
; %bb.2363:
	s_or_b64 exec, exec, s[2:3]
                                        ; implicit-def: $vgpr8
.LBB242_2364:
	s_andn2_saveexec_b64 s[0:1], s[0:1]
; %bb.2365:
	s_mov_b32 s2, 0x7f800000
	v_mov_b32_e32 v5, 0x7c
	v_mov_b32_e32 v12, 0x7f
	v_cmp_lt_u32_e32 vcc, s2, v8
	v_cndmask_b32_e32 v5, v5, v12, vcc
; %bb.2366:
	s_or_b64 exec, exec, s[0:1]
	v_lshrrev_b32_e32 v3, 24, v3
	s_movk_i32 s0, 0x80
	v_and_or_b32 v3, v3, s0, v5
.LBB242_2367:
	s_mov_b64 s[0:1], 0
.LBB242_2368:
	s_andn2_b64 vcc, exec, s[0:1]
	s_cbranch_vccnz .LBB242_2378
; %bb.2369:
	global_load_sshort v3, v[10:11], off
	s_mov_b32 s0, 0x47800000
                                        ; implicit-def: $vgpr5
	s_waitcnt vmcnt(0)
	v_cvt_f32_i32_e32 v3, v3
	v_and_b32_e32 v8, 0x7fffffff, v3
	v_cmp_gt_u32_e32 vcc, s0, v8
	s_and_saveexec_b64 s[0:1], vcc
	s_xor_b64 s[0:1], exec, s[0:1]
	s_cbranch_execz .LBB242_2375
; %bb.2370:
	s_mov_b32 s2, 0x387fffff
	v_cmp_lt_u32_e32 vcc, s2, v8
                                        ; implicit-def: $vgpr5
	s_and_saveexec_b64 s[2:3], vcc
	s_xor_b64 s[2:3], exec, s[2:3]
; %bb.2371:
	v_bfe_u32 v5, v3, 21, 1
	s_mov_b32 s5, 0x80fffff
	v_add3_u32 v5, v3, v5, s5
	v_lshrrev_b32_e32 v5, 21, v5
; %bb.2372:
	s_andn2_saveexec_b64 s[2:3], s[2:3]
; %bb.2373:
	s_mov_b32 s5, 0x43000000
	v_add_f32_e64 v5, |v3|, s5
; %bb.2374:
	s_or_b64 exec, exec, s[2:3]
                                        ; implicit-def: $vgpr8
.LBB242_2375:
	s_andn2_saveexec_b64 s[0:1], s[0:1]
; %bb.2376:
	s_mov_b32 s2, 0x7f800000
	v_mov_b32_e32 v5, 0x7c
	v_mov_b32_e32 v12, 0x7f
	v_cmp_lt_u32_e32 vcc, s2, v8
	v_cndmask_b32_e32 v5, v5, v12, vcc
; %bb.2377:
	s_or_b64 exec, exec, s[0:1]
	v_lshrrev_b32_e32 v3, 24, v3
	s_movk_i32 s0, 0x80
	v_and_or_b32 v3, v3, s0, v5
.LBB242_2378:
	s_mov_b64 s[0:1], 0
.LBB242_2379:
	s_andn2_b64 vcc, exec, s[0:1]
	s_cbranch_vccnz .LBB242_2401
; %bb.2380:
	s_cmp_gt_i32 s4, 0
	s_cbranch_scc0 .LBB242_2390
; %bb.2381:
	global_load_sbyte v3, v[10:11], off
	s_mov_b32 s0, 0x47800000
                                        ; implicit-def: $vgpr5
	s_waitcnt vmcnt(0)
	v_cvt_f32_i32_e32 v3, v3
	v_and_b32_e32 v8, 0x7fffffff, v3
	v_cmp_gt_u32_e32 vcc, s0, v8
	s_and_saveexec_b64 s[0:1], vcc
	s_xor_b64 s[0:1], exec, s[0:1]
	s_cbranch_execz .LBB242_2387
; %bb.2382:
	s_mov_b32 s2, 0x387fffff
	v_cmp_lt_u32_e32 vcc, s2, v8
                                        ; implicit-def: $vgpr5
	s_and_saveexec_b64 s[2:3], vcc
	s_xor_b64 s[2:3], exec, s[2:3]
; %bb.2383:
	v_bfe_u32 v5, v3, 21, 1
	s_mov_b32 s4, 0x80fffff
	v_add3_u32 v5, v3, v5, s4
	v_lshrrev_b32_e32 v5, 21, v5
; %bb.2384:
	s_andn2_saveexec_b64 s[2:3], s[2:3]
; %bb.2385:
	s_mov_b32 s4, 0x43000000
	v_add_f32_e64 v5, |v3|, s4
; %bb.2386:
	s_or_b64 exec, exec, s[2:3]
                                        ; implicit-def: $vgpr8
.LBB242_2387:
	s_andn2_saveexec_b64 s[0:1], s[0:1]
; %bb.2388:
	s_mov_b32 s2, 0x7f800000
	v_mov_b32_e32 v5, 0x7c
	v_mov_b32_e32 v12, 0x7f
	v_cmp_lt_u32_e32 vcc, s2, v8
	v_cndmask_b32_e32 v5, v5, v12, vcc
; %bb.2389:
	s_or_b64 exec, exec, s[0:1]
	v_lshrrev_b32_e32 v3, 24, v3
	s_movk_i32 s0, 0x80
	v_and_or_b32 v3, v3, s0, v5
	s_mov_b64 s[0:1], 0
	s_branch .LBB242_2391
.LBB242_2390:
	s_mov_b64 s[0:1], -1
                                        ; implicit-def: $vgpr3
.LBB242_2391:
	s_and_b64 vcc, exec, s[0:1]
	s_cbranch_vccz .LBB242_2401
; %bb.2392:
	global_load_ubyte v3, v[10:11], off
	s_mov_b32 s0, 0x47800000
	s_waitcnt vmcnt(0)
	v_cvt_f32_ubyte0_e32 v5, v3
	v_cmp_gt_u32_e32 vcc, s0, v5
                                        ; implicit-def: $vgpr3
	s_and_saveexec_b64 s[0:1], vcc
	s_xor_b64 s[0:1], exec, s[0:1]
	s_cbranch_execz .LBB242_2398
; %bb.2393:
	s_mov_b32 s2, 0x387fffff
	v_cmp_lt_u32_e32 vcc, s2, v5
                                        ; implicit-def: $vgpr3
	s_and_saveexec_b64 s[2:3], vcc
	s_xor_b64 s[2:3], exec, s[2:3]
; %bb.2394:
	v_bfe_u32 v3, v5, 21, 1
	s_mov_b32 s4, 0x80fffff
	v_add3_u32 v3, v5, v3, s4
	v_lshrrev_b32_e32 v3, 21, v3
                                        ; implicit-def: $vgpr5
; %bb.2395:
	s_andn2_saveexec_b64 s[2:3], s[2:3]
; %bb.2396:
	v_add_f32_e32 v3, 0x43000000, v5
; %bb.2397:
	s_or_b64 exec, exec, s[2:3]
                                        ; implicit-def: $vgpr5
.LBB242_2398:
	s_andn2_saveexec_b64 s[0:1], s[0:1]
; %bb.2399:
	s_mov_b32 s2, 0x7f800000
	v_mov_b32_e32 v3, 0x7c
	v_mov_b32_e32 v8, 0x7f
	v_cmp_lt_u32_e32 vcc, s2, v5
	v_cndmask_b32_e32 v3, v3, v8, vcc
; %bb.2400:
	s_or_b64 exec, exec, s[0:1]
.LBB242_2401:
.LBB242_2402:
	v_mov_b32_e32 v5, s11
	v_add_co_u32_e32 v8, vcc, s10, v9
	s_cmp_lt_i32 s18, 11
	v_addc_co_u32_e32 v9, vcc, 0, v5, vcc
	s_cbranch_scc1 .LBB242_2417
; %bb.2403:
	s_and_b32 s19, 0xffff, s18
	s_cmp_gt_i32 s19, 25
	s_mov_b64 s[2:3], 0
	s_cbranch_scc0 .LBB242_2419
; %bb.2404:
	s_cmp_gt_i32 s19, 28
	s_cbranch_scc0 .LBB242_2420
; %bb.2405:
	s_cmp_gt_i32 s19, 43
	;; [unrolled: 3-line block ×3, first 2 shown]
	s_cbranch_scc0 .LBB242_2423
; %bb.2407:
	s_cmp_eq_u32 s19, 46
	s_mov_b64 s[14:15], 0
	s_cbranch_scc0 .LBB242_2424
; %bb.2408:
	global_load_dword v5, v[8:9], off
	s_mov_b32 s0, 0x47800000
                                        ; implicit-def: $vgpr10
	s_waitcnt vmcnt(0)
	v_lshlrev_b32_e32 v5, 16, v5
	v_and_b32_e32 v11, 0x7fffffff, v5
	v_cmp_gt_u32_e32 vcc, s0, v11
	s_and_saveexec_b64 s[0:1], vcc
	s_xor_b64 s[0:1], exec, s[0:1]
	s_cbranch_execz .LBB242_2414
; %bb.2409:
	s_mov_b32 s4, 0x387fffff
	v_cmp_lt_u32_e32 vcc, s4, v11
                                        ; implicit-def: $vgpr10
	s_and_saveexec_b64 s[4:5], vcc
	s_xor_b64 s[4:5], exec, s[4:5]
; %bb.2410:
	v_bfe_u32 v10, v5, 21, 1
	s_mov_b32 s16, 0x80fffff
	v_add3_u32 v10, v5, v10, s16
	v_lshrrev_b32_e32 v10, 21, v10
; %bb.2411:
	s_andn2_saveexec_b64 s[4:5], s[4:5]
; %bb.2412:
	s_mov_b32 s16, 0x43000000
	v_add_f32_e64 v10, |v5|, s16
; %bb.2413:
	s_or_b64 exec, exec, s[4:5]
                                        ; implicit-def: $vgpr11
.LBB242_2414:
	s_andn2_saveexec_b64 s[0:1], s[0:1]
; %bb.2415:
	s_mov_b32 s4, 0x7f800000
	v_mov_b32_e32 v10, 0x7c
	v_mov_b32_e32 v12, 0x7f
	v_cmp_lt_u32_e32 vcc, s4, v11
	v_cndmask_b32_e32 v10, v10, v12, vcc
; %bb.2416:
	s_or_b64 exec, exec, s[0:1]
	v_lshrrev_b32_e32 v5, 24, v5
	s_movk_i32 s0, 0x80
	v_and_or_b32 v10, v5, s0, v10
	s_mov_b64 s[0:1], 0
	s_mov_b64 s[4:5], -1
	s_branch .LBB242_2425
.LBB242_2417:
	s_mov_b64 s[4:5], 0
                                        ; implicit-def: $vgpr10
	s_cbranch_execnz .LBB242_2563
.LBB242_2418:
	s_andn2_b64 vcc, exec, s[4:5]
	s_cbranch_vccnz .LBB242_3430
	s_branch .LBB242_2699
.LBB242_2419:
	s_mov_b64 s[14:15], -1
	s_mov_b64 s[4:5], 0
	s_mov_b64 s[0:1], 0
                                        ; implicit-def: $vgpr10
	s_branch .LBB242_2494
.LBB242_2420:
	s_mov_b64 s[14:15], -1
	s_mov_b64 s[4:5], 0
                                        ; implicit-def: $vgpr10
	s_mov_b64 s[0:1], 0
	s_branch .LBB242_2451
.LBB242_2421:
	s_mov_b64 s[14:15], -1
	s_mov_b64 s[4:5], 0
	s_mov_b64 s[0:1], 0
                                        ; implicit-def: $vgpr10
	s_branch .LBB242_2438
.LBB242_2422:
	s_trap 2
	s_or_b64 s[12:13], s[12:13], exec
	s_cbranch_execz .LBB242_2257
	s_branch .LBB242_2266
.LBB242_2423:
	s_mov_b64 s[14:15], -1
	s_mov_b64 s[4:5], 0
	s_mov_b64 s[0:1], 0
                                        ; implicit-def: $vgpr10
	s_branch .LBB242_2425
.LBB242_2424:
	s_mov_b64 s[0:1], -1
                                        ; implicit-def: $vgpr10
	s_mov_b64 s[4:5], 0
.LBB242_2425:
	s_and_b64 vcc, exec, s[14:15]
	s_cbranch_vccz .LBB242_2437
; %bb.2426:
	s_cmp_eq_u32 s19, 44
	s_cbranch_scc0 .LBB242_2436
; %bb.2427:
	global_load_ubyte v5, v[8:9], off
	s_movk_i32 s0, 0xff
	v_mov_b32_e32 v10, 0x7f800001
	v_mov_b32_e32 v11, 0x400000
	s_waitcnt vmcnt(0)
	v_lshlrev_b32_e32 v12, 23, v5
	v_cmp_ne_u32_e32 vcc, s0, v5
	v_cndmask_b32_e32 v10, v10, v12, vcc
	v_cmp_ne_u32_e32 vcc, 0, v5
	v_cndmask_b32_e32 v5, v11, v10, vcc
	s_mov_b32 s0, 0x47800000
	v_cmp_gt_u32_e32 vcc, s0, v5
                                        ; implicit-def: $vgpr10
	s_and_saveexec_b64 s[0:1], vcc
	s_xor_b64 s[0:1], exec, s[0:1]
	s_cbranch_execz .LBB242_2433
; %bb.2428:
	s_mov_b32 s4, 0x387fffff
	v_cmp_lt_u32_e32 vcc, s4, v5
                                        ; implicit-def: $vgpr10
	s_and_saveexec_b64 s[4:5], vcc
	s_xor_b64 s[4:5], exec, s[4:5]
; %bb.2429:
	v_bfe_u32 v10, v5, 21, 1
	s_mov_b32 s14, 0x80fffff
	v_add3_u32 v5, v5, v10, s14
	v_lshrrev_b32_e32 v10, 21, v5
                                        ; implicit-def: $vgpr5
; %bb.2430:
	s_andn2_saveexec_b64 s[4:5], s[4:5]
; %bb.2431:
	v_add_f32_e32 v10, 0x43000000, v5
; %bb.2432:
	s_or_b64 exec, exec, s[4:5]
                                        ; implicit-def: $vgpr5
.LBB242_2433:
	s_andn2_saveexec_b64 s[0:1], s[0:1]
; %bb.2434:
	s_mov_b32 s4, 0x7f800000
	v_mov_b32_e32 v10, 0x7c
	v_mov_b32_e32 v11, 0x7f
	v_cmp_lt_u32_e32 vcc, s4, v5
	v_cndmask_b32_e32 v10, v10, v11, vcc
; %bb.2435:
	s_or_b64 exec, exec, s[0:1]
	s_mov_b64 s[0:1], 0
	s_mov_b64 s[4:5], -1
	s_branch .LBB242_2437
.LBB242_2436:
	s_mov_b64 s[0:1], -1
                                        ; implicit-def: $vgpr10
.LBB242_2437:
	s_mov_b64 s[14:15], 0
.LBB242_2438:
	s_and_b64 vcc, exec, s[14:15]
	s_cbranch_vccz .LBB242_2450
; %bb.2439:
	s_cmp_eq_u32 s19, 29
	s_cbranch_scc0 .LBB242_2449
; %bb.2440:
	global_load_dwordx2 v[10:11], v[8:9], off
	s_mov_b32 s0, 0x47800000
	s_waitcnt vmcnt(0)
	v_ffbh_u32_e32 v5, v11
	v_min_u32_e32 v5, 32, v5
	v_lshlrev_b64 v[10:11], v5, v[10:11]
	v_sub_u32_e32 v5, 32, v5
	v_min_u32_e32 v10, 1, v10
	v_or_b32_e32 v10, v11, v10
	v_cvt_f32_u32_e32 v10, v10
	v_ldexp_f32 v5, v10, v5
	v_cmp_gt_u32_e32 vcc, s0, v5
                                        ; implicit-def: $vgpr10
	s_and_saveexec_b64 s[0:1], vcc
	s_xor_b64 s[0:1], exec, s[0:1]
	s_cbranch_execz .LBB242_2446
; %bb.2441:
	s_mov_b32 s4, 0x387fffff
	v_cmp_lt_u32_e32 vcc, s4, v5
                                        ; implicit-def: $vgpr10
	s_and_saveexec_b64 s[4:5], vcc
	s_xor_b64 s[4:5], exec, s[4:5]
; %bb.2442:
	v_bfe_u32 v10, v5, 21, 1
	s_mov_b32 s14, 0x80fffff
	v_add3_u32 v5, v5, v10, s14
	v_lshrrev_b32_e32 v10, 21, v5
                                        ; implicit-def: $vgpr5
; %bb.2443:
	s_andn2_saveexec_b64 s[4:5], s[4:5]
; %bb.2444:
	v_add_f32_e32 v10, 0x43000000, v5
; %bb.2445:
	s_or_b64 exec, exec, s[4:5]
                                        ; implicit-def: $vgpr5
.LBB242_2446:
	s_andn2_saveexec_b64 s[0:1], s[0:1]
; %bb.2447:
	s_mov_b32 s4, 0x7f800000
	v_mov_b32_e32 v10, 0x7c
	v_mov_b32_e32 v11, 0x7f
	v_cmp_lt_u32_e32 vcc, s4, v5
	v_cndmask_b32_e32 v10, v10, v11, vcc
; %bb.2448:
	s_or_b64 exec, exec, s[0:1]
	s_mov_b64 s[0:1], 0
	s_mov_b64 s[4:5], -1
	s_branch .LBB242_2450
.LBB242_2449:
	s_mov_b64 s[0:1], -1
                                        ; implicit-def: $vgpr10
.LBB242_2450:
	s_mov_b64 s[14:15], 0
.LBB242_2451:
	s_and_b64 vcc, exec, s[14:15]
	s_cbranch_vccz .LBB242_2493
; %bb.2452:
	s_cmp_lt_i32 s19, 27
	s_cbranch_scc1 .LBB242_2463
; %bb.2453:
	s_cmp_gt_i32 s19, 27
	s_cbranch_scc0 .LBB242_2464
; %bb.2454:
	global_load_dword v5, v[8:9], off
	s_mov_b32 s4, 0x47800000
                                        ; implicit-def: $vgpr10
	s_waitcnt vmcnt(0)
	v_cvt_f32_u32_e32 v5, v5
	v_cmp_gt_u32_e32 vcc, s4, v5
	s_and_saveexec_b64 s[4:5], vcc
	s_xor_b64 s[4:5], exec, s[4:5]
	s_cbranch_execz .LBB242_2460
; %bb.2455:
	s_mov_b32 s14, 0x387fffff
	v_cmp_lt_u32_e32 vcc, s14, v5
                                        ; implicit-def: $vgpr10
	s_and_saveexec_b64 s[14:15], vcc
	s_xor_b64 s[14:15], exec, s[14:15]
; %bb.2456:
	v_bfe_u32 v10, v5, 21, 1
	s_mov_b32 s16, 0x80fffff
	v_add3_u32 v5, v5, v10, s16
	v_lshrrev_b32_e32 v10, 21, v5
                                        ; implicit-def: $vgpr5
; %bb.2457:
	s_andn2_saveexec_b64 s[14:15], s[14:15]
; %bb.2458:
	v_add_f32_e32 v10, 0x43000000, v5
; %bb.2459:
	s_or_b64 exec, exec, s[14:15]
                                        ; implicit-def: $vgpr5
.LBB242_2460:
	s_andn2_saveexec_b64 s[4:5], s[4:5]
; %bb.2461:
	s_mov_b32 s14, 0x7f800000
	v_mov_b32_e32 v10, 0x7c
	v_mov_b32_e32 v11, 0x7f
	v_cmp_lt_u32_e32 vcc, s14, v5
	v_cndmask_b32_e32 v10, v10, v11, vcc
; %bb.2462:
	s_or_b64 exec, exec, s[4:5]
	s_mov_b64 s[4:5], 0
	s_branch .LBB242_2465
.LBB242_2463:
	s_mov_b64 s[4:5], -1
                                        ; implicit-def: $vgpr10
	s_branch .LBB242_2476
.LBB242_2464:
	s_mov_b64 s[4:5], -1
                                        ; implicit-def: $vgpr10
.LBB242_2465:
	s_and_b64 vcc, exec, s[4:5]
	s_cbranch_vccz .LBB242_2475
; %bb.2466:
	global_load_ushort v5, v[8:9], off
	s_mov_b32 s4, 0x47800000
                                        ; implicit-def: $vgpr10
	s_waitcnt vmcnt(0)
	v_cvt_f32_u32_e32 v5, v5
	v_cmp_gt_u32_e32 vcc, s4, v5
	s_and_saveexec_b64 s[4:5], vcc
	s_xor_b64 s[4:5], exec, s[4:5]
	s_cbranch_execz .LBB242_2472
; %bb.2467:
	s_mov_b32 s14, 0x387fffff
	v_cmp_lt_u32_e32 vcc, s14, v5
                                        ; implicit-def: $vgpr10
	s_and_saveexec_b64 s[14:15], vcc
	s_xor_b64 s[14:15], exec, s[14:15]
; %bb.2468:
	v_bfe_u32 v10, v5, 21, 1
	s_mov_b32 s16, 0x80fffff
	v_add3_u32 v5, v5, v10, s16
	v_lshrrev_b32_e32 v10, 21, v5
                                        ; implicit-def: $vgpr5
; %bb.2469:
	s_andn2_saveexec_b64 s[14:15], s[14:15]
; %bb.2470:
	v_add_f32_e32 v10, 0x43000000, v5
; %bb.2471:
	s_or_b64 exec, exec, s[14:15]
                                        ; implicit-def: $vgpr5
.LBB242_2472:
	s_andn2_saveexec_b64 s[4:5], s[4:5]
; %bb.2473:
	s_mov_b32 s14, 0x7f800000
	v_mov_b32_e32 v10, 0x7c
	v_mov_b32_e32 v11, 0x7f
	v_cmp_lt_u32_e32 vcc, s14, v5
	v_cndmask_b32_e32 v10, v10, v11, vcc
; %bb.2474:
	s_or_b64 exec, exec, s[4:5]
.LBB242_2475:
	s_mov_b64 s[4:5], 0
.LBB242_2476:
	s_andn2_b64 vcc, exec, s[4:5]
	s_cbranch_vccnz .LBB242_2492
; %bb.2477:
	global_load_ubyte v10, v[8:9], off
	s_movk_i32 s4, 0x7f
	s_waitcnt vmcnt(0)
	v_cmp_lt_i16_e32 vcc, s4, v10
	s_mov_b64 s[4:5], 0
	s_and_saveexec_b64 s[14:15], vcc
	s_xor_b64 s[14:15], exec, s[14:15]
	s_cbranch_execz .LBB242_2514
; %bb.2478:
	s_movk_i32 s4, 0x80
	v_cmp_eq_u16_e32 vcc, s4, v10
	s_mov_b64 s[4:5], -1
	s_and_saveexec_b64 s[16:17], vcc
; %bb.2479:
	s_xor_b64 s[4:5], exec, -1
; %bb.2480:
	s_or_b64 exec, exec, s[16:17]
	s_and_b64 s[4:5], s[4:5], exec
	s_or_saveexec_b64 s[14:15], s[14:15]
	v_mov_b32_e32 v5, 0x7f800001
	s_xor_b64 exec, exec, s[14:15]
	s_cbranch_execnz .LBB242_2515
.LBB242_2481:
	s_or_b64 exec, exec, s[14:15]
	s_and_saveexec_b64 s[14:15], s[4:5]
	s_cbranch_execz .LBB242_2483
.LBB242_2482:
	v_lshlrev_b32_e32 v5, 24, v10
	v_and_b32_e32 v10, 0xffff, v10
	v_and_b32_e32 v11, 7, v10
	v_ffbh_u32_e32 v13, v11
	v_min_u32_e32 v13, 32, v13
	v_subrev_u32_e32 v14, 28, v13
	v_bfe_u32 v12, v10, 3, 4
	v_lshlrev_b32_e32 v10, v14, v10
	v_sub_u32_e32 v13, 29, v13
	v_and_b32_e32 v10, 7, v10
	v_cmp_eq_u32_e32 vcc, 0, v12
	v_cndmask_b32_e32 v12, v12, v13, vcc
	v_cndmask_b32_e32 v10, v11, v10, vcc
	v_mov_b32_e32 v11, 0x3b800000
	v_lshlrev_b32_e32 v10, 20, v10
	v_and_b32_e32 v5, 0x80000000, v5
	v_lshl_add_u32 v11, v12, 23, v11
	v_or3_b32 v5, v5, v11, v10
.LBB242_2483:
	s_or_b64 exec, exec, s[14:15]
	v_and_b32_e32 v11, 0x7fffffff, v5
	s_mov_b32 s4, 0x47800000
	v_cmp_gt_u32_e32 vcc, s4, v11
                                        ; implicit-def: $vgpr10
	s_and_saveexec_b64 s[4:5], vcc
	s_xor_b64 s[4:5], exec, s[4:5]
	s_cbranch_execz .LBB242_2489
; %bb.2484:
	s_mov_b32 s14, 0x387fffff
	v_cmp_lt_u32_e32 vcc, s14, v11
                                        ; implicit-def: $vgpr10
	s_and_saveexec_b64 s[14:15], vcc
	s_xor_b64 s[14:15], exec, s[14:15]
; %bb.2485:
	v_bfe_u32 v10, v5, 21, 1
	s_mov_b32 s16, 0x80fffff
	v_add3_u32 v10, v5, v10, s16
	v_lshrrev_b32_e32 v10, 21, v10
; %bb.2486:
	s_andn2_saveexec_b64 s[14:15], s[14:15]
; %bb.2487:
	s_mov_b32 s16, 0x43000000
	v_add_f32_e64 v10, |v5|, s16
; %bb.2488:
	s_or_b64 exec, exec, s[14:15]
                                        ; implicit-def: $vgpr11
.LBB242_2489:
	s_andn2_saveexec_b64 s[4:5], s[4:5]
; %bb.2490:
	s_mov_b32 s14, 0x7f800000
	v_mov_b32_e32 v10, 0x7c
	v_mov_b32_e32 v12, 0x7f
	v_cmp_lt_u32_e32 vcc, s14, v11
	v_cndmask_b32_e32 v10, v10, v12, vcc
; %bb.2491:
	s_or_b64 exec, exec, s[4:5]
	v_lshrrev_b32_e32 v5, 24, v5
	s_movk_i32 s4, 0x80
	v_and_or_b32 v10, v5, s4, v10
.LBB242_2492:
	s_mov_b64 s[4:5], -1
.LBB242_2493:
	s_mov_b64 s[14:15], 0
.LBB242_2494:
	s_and_b64 vcc, exec, s[14:15]
	s_cbranch_vccz .LBB242_2551
; %bb.2495:
	s_cmp_gt_i32 s19, 22
	s_cbranch_scc0 .LBB242_2513
; %bb.2496:
	s_cmp_lt_i32 s19, 24
	s_cbranch_scc1 .LBB242_2516
; %bb.2497:
	s_cmp_gt_i32 s19, 24
	s_cbranch_scc0 .LBB242_2517
; %bb.2498:
	global_load_ubyte v10, v[8:9], off
	s_movk_i32 s2, 0x7f
	s_waitcnt vmcnt(0)
	v_cmp_lt_i16_e32 vcc, s2, v10
	s_mov_b64 s[2:3], 0
	s_and_saveexec_b64 s[4:5], vcc
	s_xor_b64 s[4:5], exec, s[4:5]
	s_cbranch_execz .LBB242_2545
; %bb.2499:
	s_movk_i32 s2, 0x80
	v_cmp_eq_u16_e32 vcc, s2, v10
	s_mov_b64 s[2:3], -1
	s_and_saveexec_b64 s[14:15], vcc
; %bb.2500:
	s_xor_b64 s[2:3], exec, -1
; %bb.2501:
	s_or_b64 exec, exec, s[14:15]
	s_and_b64 s[2:3], s[2:3], exec
	s_or_saveexec_b64 s[4:5], s[4:5]
	v_mov_b32_e32 v5, 0x7f800001
	s_xor_b64 exec, exec, s[4:5]
	s_cbranch_execnz .LBB242_2546
.LBB242_2502:
	s_or_b64 exec, exec, s[4:5]
	s_and_saveexec_b64 s[4:5], s[2:3]
	s_cbranch_execz .LBB242_2504
.LBB242_2503:
	v_lshlrev_b32_e32 v5, 24, v10
	v_and_b32_e32 v10, 0xffff, v10
	v_and_b32_e32 v11, 3, v10
	v_ffbh_u32_e32 v13, v11
	v_min_u32_e32 v13, 32, v13
	v_subrev_u32_e32 v14, 29, v13
	v_bfe_u32 v12, v10, 2, 5
	v_lshlrev_b32_e32 v10, v14, v10
	v_sub_u32_e32 v13, 30, v13
	v_and_b32_e32 v10, 3, v10
	v_cmp_eq_u32_e32 vcc, 0, v12
	v_cndmask_b32_e32 v12, v12, v13, vcc
	v_cndmask_b32_e32 v10, v11, v10, vcc
	v_mov_b32_e32 v11, 0x37800000
	v_lshlrev_b32_e32 v10, 21, v10
	v_and_b32_e32 v5, 0x80000000, v5
	v_lshl_add_u32 v11, v12, 23, v11
	v_or3_b32 v5, v5, v11, v10
.LBB242_2504:
	s_or_b64 exec, exec, s[4:5]
	v_and_b32_e32 v11, 0x7fffffff, v5
	s_mov_b32 s2, 0x47800000
	v_cmp_gt_u32_e32 vcc, s2, v11
                                        ; implicit-def: $vgpr10
	s_and_saveexec_b64 s[2:3], vcc
	s_xor_b64 s[2:3], exec, s[2:3]
	s_cbranch_execz .LBB242_2510
; %bb.2505:
	s_mov_b32 s4, 0x387fffff
	v_cmp_lt_u32_e32 vcc, s4, v11
                                        ; implicit-def: $vgpr10
	s_and_saveexec_b64 s[4:5], vcc
	s_xor_b64 s[4:5], exec, s[4:5]
; %bb.2506:
	v_bfe_u32 v10, v5, 21, 1
	s_mov_b32 s14, 0x80fffff
	v_add3_u32 v10, v5, v10, s14
	v_lshrrev_b32_e32 v10, 21, v10
; %bb.2507:
	s_andn2_saveexec_b64 s[4:5], s[4:5]
; %bb.2508:
	s_mov_b32 s14, 0x43000000
	v_add_f32_e64 v10, |v5|, s14
; %bb.2509:
	s_or_b64 exec, exec, s[4:5]
                                        ; implicit-def: $vgpr11
.LBB242_2510:
	s_andn2_saveexec_b64 s[2:3], s[2:3]
; %bb.2511:
	s_mov_b32 s4, 0x7f800000
	v_mov_b32_e32 v10, 0x7c
	v_mov_b32_e32 v12, 0x7f
	v_cmp_lt_u32_e32 vcc, s4, v11
	v_cndmask_b32_e32 v10, v10, v12, vcc
; %bb.2512:
	s_or_b64 exec, exec, s[2:3]
	v_lshrrev_b32_e32 v5, 24, v5
	s_movk_i32 s2, 0x80
	v_and_or_b32 v10, v5, s2, v10
	s_mov_b64 s[2:3], 0
	s_branch .LBB242_2518
.LBB242_2513:
	s_mov_b64 s[2:3], -1
                                        ; implicit-def: $vgpr10
	s_branch .LBB242_2532
.LBB242_2514:
	s_or_saveexec_b64 s[14:15], s[14:15]
	v_mov_b32_e32 v5, 0x7f800001
	s_xor_b64 exec, exec, s[14:15]
	s_cbranch_execz .LBB242_2481
.LBB242_2515:
	v_cmp_ne_u16_e32 vcc, 0, v10
	s_andn2_b64 s[4:5], s[4:5], exec
	s_and_b64 s[16:17], vcc, exec
	v_mov_b32_e32 v5, 0
	s_or_b64 s[4:5], s[4:5], s[16:17]
	s_or_b64 exec, exec, s[14:15]
	s_and_saveexec_b64 s[14:15], s[4:5]
	s_cbranch_execnz .LBB242_2482
	s_branch .LBB242_2483
.LBB242_2516:
	s_mov_b64 s[2:3], -1
                                        ; implicit-def: $vgpr10
	s_branch .LBB242_2529
.LBB242_2517:
	s_mov_b64 s[2:3], -1
                                        ; implicit-def: $vgpr10
.LBB242_2518:
	s_and_b64 vcc, exec, s[2:3]
	s_cbranch_vccz .LBB242_2528
; %bb.2519:
	global_load_ubyte v5, v[8:9], off
	s_mov_b32 s2, 0x7f800000
	s_brev_b32 s3, 1
	s_waitcnt vmcnt(0)
	v_lshlrev_b32_e32 v5, 24, v5
	v_and_b32_e32 v10, 0x7f000000, v5
	v_ffbh_u32_e32 v11, v10
	v_min_u32_e32 v11, 32, v11
	v_sub_u32_e64 v11, v11, 4 clamp
	v_lshlrev_b32_e32 v13, v11, v10
	v_lshlrev_b32_e32 v11, 23, v11
	v_lshrrev_b32_e32 v13, 4, v13
	v_add_u32_e32 v12, 0x1000000, v10
	v_sub_u32_e32 v11, v13, v11
	v_ashrrev_i32_e32 v12, 8, v12
	v_add_u32_e32 v11, 0x3c000000, v11
	v_and_or_b32 v11, v12, s2, v11
	v_cmp_ne_u32_e32 vcc, 0, v10
	v_cndmask_b32_e32 v12, 0, v11, vcc
	v_and_or_b32 v5, v5, s3, v12
	v_and_b32_e32 v11, 0x7fffffff, v5
	s_mov_b32 s2, 0x47800000
	v_cmp_gt_u32_e32 vcc, s2, v11
                                        ; implicit-def: $vgpr10
	s_and_saveexec_b64 s[2:3], vcc
	s_xor_b64 s[2:3], exec, s[2:3]
	s_cbranch_execz .LBB242_2525
; %bb.2520:
	s_mov_b32 s4, 0x387fffff
	v_cmp_lt_u32_e32 vcc, s4, v11
                                        ; implicit-def: $vgpr10
	s_and_saveexec_b64 s[4:5], vcc
	s_xor_b64 s[4:5], exec, s[4:5]
; %bb.2521:
	v_bfe_u32 v10, v12, 21, 1
	s_mov_b32 s14, 0x80fffff
	v_add3_u32 v10, v5, v10, s14
	v_lshrrev_b32_e32 v10, 21, v10
; %bb.2522:
	s_andn2_saveexec_b64 s[4:5], s[4:5]
; %bb.2523:
	s_mov_b32 s14, 0x43000000
	v_add_f32_e64 v10, |v5|, s14
; %bb.2524:
	s_or_b64 exec, exec, s[4:5]
                                        ; implicit-def: $vgpr11
.LBB242_2525:
	s_andn2_saveexec_b64 s[2:3], s[2:3]
; %bb.2526:
	s_mov_b32 s4, 0x7f800000
	v_mov_b32_e32 v10, 0x7c
	v_mov_b32_e32 v12, 0x7f
	v_cmp_lt_u32_e32 vcc, s4, v11
	v_cndmask_b32_e32 v10, v10, v12, vcc
; %bb.2527:
	s_or_b64 exec, exec, s[2:3]
	v_lshrrev_b32_e32 v5, 24, v5
	s_movk_i32 s2, 0x80
	v_and_or_b32 v10, v5, s2, v10
.LBB242_2528:
	s_mov_b64 s[2:3], 0
.LBB242_2529:
	s_andn2_b64 vcc, exec, s[2:3]
	s_cbranch_vccnz .LBB242_2531
; %bb.2530:
	global_load_ubyte v10, v[8:9], off
.LBB242_2531:
	s_mov_b64 s[2:3], 0
	s_mov_b64 s[4:5], -1
.LBB242_2532:
	s_andn2_b64 vcc, exec, s[2:3]
	s_mov_b64 s[2:3], 0
	s_cbranch_vccnz .LBB242_2551
; %bb.2533:
	s_cmp_gt_i32 s19, 14
	s_cbranch_scc0 .LBB242_2544
; %bb.2534:
	s_cmp_eq_u32 s19, 15
	s_cbranch_scc0 .LBB242_2547
; %bb.2535:
	global_load_ushort v5, v[8:9], off
	s_mov_b32 s0, 0x47800000
                                        ; implicit-def: $vgpr10
	s_waitcnt vmcnt(0)
	v_lshlrev_b32_e32 v11, 16, v5
	v_and_b32_e32 v12, 0x7fffffff, v11
	v_cmp_gt_u32_e32 vcc, s0, v12
	s_and_saveexec_b64 s[0:1], vcc
	s_xor_b64 s[0:1], exec, s[0:1]
	s_cbranch_execz .LBB242_2541
; %bb.2536:
	s_mov_b32 s2, 0x387fffff
	v_cmp_lt_u32_e32 vcc, s2, v12
                                        ; implicit-def: $vgpr10
	s_and_saveexec_b64 s[2:3], vcc
	s_xor_b64 s[2:3], exec, s[2:3]
; %bb.2537:
	v_bfe_u32 v10, v5, 5, 1
	s_mov_b32 s4, 0x80fffff
	v_add3_u32 v10, v11, v10, s4
	v_lshrrev_b32_e32 v10, 21, v10
                                        ; implicit-def: $vgpr11
; %bb.2538:
	s_andn2_saveexec_b64 s[2:3], s[2:3]
; %bb.2539:
	s_mov_b32 s4, 0x43000000
	v_add_f32_e64 v10, |v11|, s4
; %bb.2540:
	s_or_b64 exec, exec, s[2:3]
                                        ; implicit-def: $vgpr12
.LBB242_2541:
	s_andn2_saveexec_b64 s[0:1], s[0:1]
; %bb.2542:
	s_mov_b32 s2, 0x7f800000
	v_mov_b32_e32 v10, 0x7c
	v_mov_b32_e32 v11, 0x7f
	v_cmp_lt_u32_e32 vcc, s2, v12
	v_cndmask_b32_e32 v10, v10, v11, vcc
; %bb.2543:
	s_or_b64 exec, exec, s[0:1]
	v_lshrrev_b32_e32 v5, 8, v5
	s_movk_i32 s0, 0x80
	v_and_or_b32 v10, v5, s0, v10
	s_mov_b64 s[0:1], 0
	s_mov_b64 s[4:5], -1
	s_branch .LBB242_2548
.LBB242_2544:
	s_mov_b64 s[14:15], -1
                                        ; implicit-def: $vgpr10
	s_branch .LBB242_2549
.LBB242_2545:
	s_or_saveexec_b64 s[4:5], s[4:5]
	v_mov_b32_e32 v5, 0x7f800001
	s_xor_b64 exec, exec, s[4:5]
	s_cbranch_execz .LBB242_2502
.LBB242_2546:
	v_cmp_ne_u16_e32 vcc, 0, v10
	s_andn2_b64 s[2:3], s[2:3], exec
	s_and_b64 s[14:15], vcc, exec
	v_mov_b32_e32 v5, 0
	s_or_b64 s[2:3], s[2:3], s[14:15]
	s_or_b64 exec, exec, s[4:5]
	s_and_saveexec_b64 s[4:5], s[2:3]
	s_cbranch_execnz .LBB242_2503
	s_branch .LBB242_2504
.LBB242_2547:
	s_mov_b64 s[0:1], -1
                                        ; implicit-def: $vgpr10
.LBB242_2548:
	s_mov_b64 s[14:15], 0
.LBB242_2549:
	s_mov_b64 s[2:3], 0
	s_and_b64 vcc, exec, s[14:15]
	s_cbranch_vccz .LBB242_2551
; %bb.2550:
	s_cmp_lg_u32 s19, 11
	s_mov_b64 s[2:3], -1
	s_cselect_b64 s[0:1], -1, 0
.LBB242_2551:
	s_and_b64 vcc, exec, s[0:1]
	s_cbranch_vccnz .LBB242_2718
; %bb.2552:
	s_andn2_b64 vcc, exec, s[2:3]
	s_cbranch_vccnz .LBB242_2562
.LBB242_2553:
	global_load_ubyte v5, v[8:9], off
	s_mov_b32 s0, 0x47800000
                                        ; implicit-def: $vgpr10
	s_waitcnt vmcnt(0)
	v_cmp_ne_u16_e32 vcc, 0, v5
	v_cndmask_b32_e64 v5, 0, 1.0, vcc
	v_cmp_gt_u32_e32 vcc, s0, v5
	s_and_saveexec_b64 s[0:1], vcc
	s_xor_b64 s[0:1], exec, s[0:1]
	s_cbranch_execz .LBB242_2559
; %bb.2554:
	s_mov_b32 s2, 0x387fffff
	v_cmp_lt_u32_e32 vcc, s2, v5
                                        ; implicit-def: $vgpr10
	s_and_saveexec_b64 s[2:3], vcc
	s_xor_b64 s[2:3], exec, s[2:3]
; %bb.2555:
	v_bfe_u32 v10, v5, 21, 1
	s_mov_b32 s4, 0x80fffff
	v_add3_u32 v5, v5, v10, s4
	v_lshrrev_b32_e32 v10, 21, v5
                                        ; implicit-def: $vgpr5
; %bb.2556:
	s_andn2_saveexec_b64 s[2:3], s[2:3]
; %bb.2557:
	v_add_f32_e32 v10, 0x43000000, v5
; %bb.2558:
	s_or_b64 exec, exec, s[2:3]
                                        ; implicit-def: $vgpr5
.LBB242_2559:
	s_andn2_saveexec_b64 s[0:1], s[0:1]
; %bb.2560:
	s_mov_b32 s2, 0x7f800000
	v_mov_b32_e32 v10, 0x7c
	v_mov_b32_e32 v11, 0x7f
	v_cmp_lt_u32_e32 vcc, s2, v5
	v_cndmask_b32_e32 v10, v10, v11, vcc
; %bb.2561:
	s_or_b64 exec, exec, s[0:1]
	s_mov_b64 s[4:5], -1
.LBB242_2562:
	s_branch .LBB242_2418
.LBB242_2563:
	s_and_b32 s4, 0xffff, s18
	s_cmp_lt_i32 s4, 5
	s_cbranch_scc1 .LBB242_2576
; %bb.2564:
	s_cmp_lt_i32 s4, 8
	s_cbranch_scc1 .LBB242_2577
; %bb.2565:
	;; [unrolled: 3-line block ×3, first 2 shown]
	s_cmp_gt_i32 s4, 9
	s_cbranch_scc0 .LBB242_2579
; %bb.2567:
	global_load_dwordx2 v[10:11], v[8:9], off
	s_mov_b32 s0, 0x47800000
	s_waitcnt vmcnt(0)
	v_cvt_f32_f64_e32 v5, v[10:11]
                                        ; implicit-def: $vgpr10
	v_and_b32_e32 v11, 0x7fffffff, v5
	v_cmp_gt_u32_e32 vcc, s0, v11
	s_and_saveexec_b64 s[0:1], vcc
	s_xor_b64 s[0:1], exec, s[0:1]
	s_cbranch_execz .LBB242_2573
; %bb.2568:
	s_mov_b32 s2, 0x387fffff
	v_cmp_lt_u32_e32 vcc, s2, v11
                                        ; implicit-def: $vgpr10
	s_and_saveexec_b64 s[2:3], vcc
	s_xor_b64 s[2:3], exec, s[2:3]
; %bb.2569:
	v_bfe_u32 v10, v5, 21, 1
	s_mov_b32 s5, 0x80fffff
	v_add3_u32 v10, v5, v10, s5
	v_lshrrev_b32_e32 v10, 21, v10
; %bb.2570:
	s_andn2_saveexec_b64 s[2:3], s[2:3]
; %bb.2571:
	s_mov_b32 s5, 0x43000000
	v_add_f32_e64 v10, |v5|, s5
; %bb.2572:
	s_or_b64 exec, exec, s[2:3]
                                        ; implicit-def: $vgpr11
.LBB242_2573:
	s_andn2_saveexec_b64 s[0:1], s[0:1]
; %bb.2574:
	s_mov_b32 s2, 0x7f800000
	v_mov_b32_e32 v10, 0x7c
	v_mov_b32_e32 v12, 0x7f
	v_cmp_lt_u32_e32 vcc, s2, v11
	v_cndmask_b32_e32 v10, v10, v12, vcc
; %bb.2575:
	s_or_b64 exec, exec, s[0:1]
	v_lshrrev_b32_e32 v5, 24, v5
	s_movk_i32 s0, 0x80
	v_and_or_b32 v10, v5, s0, v10
	s_mov_b64 s[0:1], 0
	s_branch .LBB242_2580
.LBB242_2576:
	s_mov_b64 s[0:1], -1
                                        ; implicit-def: $vgpr10
	s_branch .LBB242_2638
.LBB242_2577:
	s_mov_b64 s[0:1], -1
                                        ; implicit-def: $vgpr10
	s_branch .LBB242_2602
.LBB242_2578:
	s_mov_b64 s[0:1], -1
                                        ; implicit-def: $vgpr10
	s_branch .LBB242_2591
.LBB242_2579:
	s_mov_b64 s[0:1], -1
                                        ; implicit-def: $vgpr10
.LBB242_2580:
	s_and_b64 vcc, exec, s[0:1]
	s_cbranch_vccz .LBB242_2590
; %bb.2581:
	global_load_dword v5, v[8:9], off
	s_mov_b32 s0, 0x47800000
                                        ; implicit-def: $vgpr10
	s_waitcnt vmcnt(0)
	v_and_b32_e32 v11, 0x7fffffff, v5
	v_cmp_gt_u32_e32 vcc, s0, v11
	s_and_saveexec_b64 s[0:1], vcc
	s_xor_b64 s[0:1], exec, s[0:1]
	s_cbranch_execz .LBB242_2587
; %bb.2582:
	s_mov_b32 s2, 0x387fffff
	v_cmp_lt_u32_e32 vcc, s2, v11
                                        ; implicit-def: $vgpr10
	s_and_saveexec_b64 s[2:3], vcc
	s_xor_b64 s[2:3], exec, s[2:3]
; %bb.2583:
	v_bfe_u32 v10, v5, 21, 1
	s_mov_b32 s5, 0x80fffff
	v_add3_u32 v10, v5, v10, s5
	v_lshrrev_b32_e32 v10, 21, v10
; %bb.2584:
	s_andn2_saveexec_b64 s[2:3], s[2:3]
; %bb.2585:
	s_mov_b32 s5, 0x43000000
	v_add_f32_e64 v10, |v5|, s5
; %bb.2586:
	s_or_b64 exec, exec, s[2:3]
                                        ; implicit-def: $vgpr11
.LBB242_2587:
	s_andn2_saveexec_b64 s[0:1], s[0:1]
; %bb.2588:
	s_mov_b32 s2, 0x7f800000
	v_mov_b32_e32 v10, 0x7c
	v_mov_b32_e32 v12, 0x7f
	v_cmp_lt_u32_e32 vcc, s2, v11
	v_cndmask_b32_e32 v10, v10, v12, vcc
; %bb.2589:
	s_or_b64 exec, exec, s[0:1]
	v_lshrrev_b32_e32 v5, 24, v5
	s_movk_i32 s0, 0x80
	v_and_or_b32 v10, v5, s0, v10
.LBB242_2590:
	s_mov_b64 s[0:1], 0
.LBB242_2591:
	s_andn2_b64 vcc, exec, s[0:1]
	s_cbranch_vccnz .LBB242_2601
; %bb.2592:
	global_load_dword v5, v[8:9], off
	s_mov_b32 s0, 0x47800000
                                        ; implicit-def: $vgpr10
	s_waitcnt vmcnt(0)
	v_cvt_f32_f16_e32 v5, v5
	v_and_b32_e32 v11, 0x7fffffff, v5
	v_cmp_gt_u32_e32 vcc, s0, v11
	s_and_saveexec_b64 s[0:1], vcc
	s_xor_b64 s[0:1], exec, s[0:1]
	s_cbranch_execz .LBB242_2598
; %bb.2593:
	s_mov_b32 s2, 0x387fffff
	v_cmp_lt_u32_e32 vcc, s2, v11
                                        ; implicit-def: $vgpr10
	s_and_saveexec_b64 s[2:3], vcc
	s_xor_b64 s[2:3], exec, s[2:3]
; %bb.2594:
	v_bfe_u32 v10, v5, 21, 1
	s_mov_b32 s5, 0x80fffff
	v_add3_u32 v10, v5, v10, s5
	v_lshrrev_b32_e32 v10, 21, v10
; %bb.2595:
	s_andn2_saveexec_b64 s[2:3], s[2:3]
; %bb.2596:
	s_mov_b32 s5, 0x43000000
	v_add_f32_e64 v10, |v5|, s5
; %bb.2597:
	s_or_b64 exec, exec, s[2:3]
                                        ; implicit-def: $vgpr11
.LBB242_2598:
	s_andn2_saveexec_b64 s[0:1], s[0:1]
; %bb.2599:
	s_mov_b32 s2, 0x7f800000
	v_mov_b32_e32 v10, 0x7c
	v_mov_b32_e32 v12, 0x7f
	v_cmp_lt_u32_e32 vcc, s2, v11
	v_cndmask_b32_e32 v10, v10, v12, vcc
; %bb.2600:
	s_or_b64 exec, exec, s[0:1]
	v_lshrrev_b32_e32 v5, 24, v5
	s_movk_i32 s0, 0x80
	v_and_or_b32 v10, v5, s0, v10
.LBB242_2601:
	s_mov_b64 s[0:1], 0
.LBB242_2602:
	s_andn2_b64 vcc, exec, s[0:1]
	s_cbranch_vccnz .LBB242_2637
; %bb.2603:
	s_cmp_lt_i32 s4, 6
	s_cbranch_scc1 .LBB242_2614
; %bb.2604:
	s_cmp_gt_i32 s4, 6
	s_cbranch_scc0 .LBB242_2615
; %bb.2605:
	global_load_dwordx2 v[10:11], v[8:9], off
	s_mov_b32 s0, 0x47800000
	s_waitcnt vmcnt(0)
	v_cvt_f32_f64_e32 v5, v[10:11]
                                        ; implicit-def: $vgpr10
	v_and_b32_e32 v11, 0x7fffffff, v5
	v_cmp_gt_u32_e32 vcc, s0, v11
	s_and_saveexec_b64 s[0:1], vcc
	s_xor_b64 s[0:1], exec, s[0:1]
	s_cbranch_execz .LBB242_2611
; %bb.2606:
	s_mov_b32 s2, 0x387fffff
	v_cmp_lt_u32_e32 vcc, s2, v11
                                        ; implicit-def: $vgpr10
	s_and_saveexec_b64 s[2:3], vcc
	s_xor_b64 s[2:3], exec, s[2:3]
; %bb.2607:
	v_bfe_u32 v10, v5, 21, 1
	s_mov_b32 s5, 0x80fffff
	v_add3_u32 v10, v5, v10, s5
	v_lshrrev_b32_e32 v10, 21, v10
; %bb.2608:
	s_andn2_saveexec_b64 s[2:3], s[2:3]
; %bb.2609:
	s_mov_b32 s5, 0x43000000
	v_add_f32_e64 v10, |v5|, s5
; %bb.2610:
	s_or_b64 exec, exec, s[2:3]
                                        ; implicit-def: $vgpr11
.LBB242_2611:
	s_andn2_saveexec_b64 s[0:1], s[0:1]
; %bb.2612:
	s_mov_b32 s2, 0x7f800000
	v_mov_b32_e32 v10, 0x7c
	v_mov_b32_e32 v12, 0x7f
	v_cmp_lt_u32_e32 vcc, s2, v11
	v_cndmask_b32_e32 v10, v10, v12, vcc
; %bb.2613:
	s_or_b64 exec, exec, s[0:1]
	v_lshrrev_b32_e32 v5, 24, v5
	s_movk_i32 s0, 0x80
	v_and_or_b32 v10, v5, s0, v10
	s_mov_b64 s[0:1], 0
	s_branch .LBB242_2616
.LBB242_2614:
	s_mov_b64 s[0:1], -1
                                        ; implicit-def: $vgpr10
	s_branch .LBB242_2627
.LBB242_2615:
	s_mov_b64 s[0:1], -1
                                        ; implicit-def: $vgpr10
.LBB242_2616:
	s_and_b64 vcc, exec, s[0:1]
	s_cbranch_vccz .LBB242_2626
; %bb.2617:
	global_load_dword v5, v[8:9], off
	s_mov_b32 s0, 0x47800000
                                        ; implicit-def: $vgpr10
	s_waitcnt vmcnt(0)
	v_and_b32_e32 v11, 0x7fffffff, v5
	v_cmp_gt_u32_e32 vcc, s0, v11
	s_and_saveexec_b64 s[0:1], vcc
	s_xor_b64 s[0:1], exec, s[0:1]
	s_cbranch_execz .LBB242_2623
; %bb.2618:
	s_mov_b32 s2, 0x387fffff
	v_cmp_lt_u32_e32 vcc, s2, v11
                                        ; implicit-def: $vgpr10
	s_and_saveexec_b64 s[2:3], vcc
	s_xor_b64 s[2:3], exec, s[2:3]
; %bb.2619:
	v_bfe_u32 v10, v5, 21, 1
	s_mov_b32 s5, 0x80fffff
	v_add3_u32 v10, v5, v10, s5
	v_lshrrev_b32_e32 v10, 21, v10
; %bb.2620:
	s_andn2_saveexec_b64 s[2:3], s[2:3]
; %bb.2621:
	s_mov_b32 s5, 0x43000000
	v_add_f32_e64 v10, |v5|, s5
; %bb.2622:
	s_or_b64 exec, exec, s[2:3]
                                        ; implicit-def: $vgpr11
.LBB242_2623:
	s_andn2_saveexec_b64 s[0:1], s[0:1]
; %bb.2624:
	s_mov_b32 s2, 0x7f800000
	v_mov_b32_e32 v10, 0x7c
	v_mov_b32_e32 v12, 0x7f
	v_cmp_lt_u32_e32 vcc, s2, v11
	v_cndmask_b32_e32 v10, v10, v12, vcc
; %bb.2625:
	s_or_b64 exec, exec, s[0:1]
	v_lshrrev_b32_e32 v5, 24, v5
	s_movk_i32 s0, 0x80
	v_and_or_b32 v10, v5, s0, v10
.LBB242_2626:
	s_mov_b64 s[0:1], 0
.LBB242_2627:
	s_andn2_b64 vcc, exec, s[0:1]
	s_cbranch_vccnz .LBB242_2637
; %bb.2628:
	global_load_ushort v5, v[8:9], off
	s_mov_b32 s0, 0x47800000
                                        ; implicit-def: $vgpr10
	s_waitcnt vmcnt(0)
	v_cvt_f32_f16_e32 v5, v5
	v_and_b32_e32 v11, 0x7fffffff, v5
	v_cmp_gt_u32_e32 vcc, s0, v11
	s_and_saveexec_b64 s[0:1], vcc
	s_xor_b64 s[0:1], exec, s[0:1]
	s_cbranch_execz .LBB242_2634
; %bb.2629:
	s_mov_b32 s2, 0x387fffff
	v_cmp_lt_u32_e32 vcc, s2, v11
                                        ; implicit-def: $vgpr10
	s_and_saveexec_b64 s[2:3], vcc
	s_xor_b64 s[2:3], exec, s[2:3]
; %bb.2630:
	v_bfe_u32 v10, v5, 21, 1
	s_mov_b32 s5, 0x80fffff
	v_add3_u32 v10, v5, v10, s5
	v_lshrrev_b32_e32 v10, 21, v10
; %bb.2631:
	s_andn2_saveexec_b64 s[2:3], s[2:3]
; %bb.2632:
	s_mov_b32 s5, 0x43000000
	v_add_f32_e64 v10, |v5|, s5
; %bb.2633:
	s_or_b64 exec, exec, s[2:3]
                                        ; implicit-def: $vgpr11
.LBB242_2634:
	s_andn2_saveexec_b64 s[0:1], s[0:1]
; %bb.2635:
	s_mov_b32 s2, 0x7f800000
	v_mov_b32_e32 v10, 0x7c
	v_mov_b32_e32 v12, 0x7f
	v_cmp_lt_u32_e32 vcc, s2, v11
	v_cndmask_b32_e32 v10, v10, v12, vcc
; %bb.2636:
	s_or_b64 exec, exec, s[0:1]
	v_lshrrev_b32_e32 v5, 24, v5
	s_movk_i32 s0, 0x80
	v_and_or_b32 v10, v5, s0, v10
.LBB242_2637:
	s_mov_b64 s[0:1], 0
.LBB242_2638:
	s_andn2_b64 vcc, exec, s[0:1]
	s_cbranch_vccnz .LBB242_2698
; %bb.2639:
	s_cmp_lt_i32 s4, 2
	s_cbranch_scc1 .LBB242_2651
; %bb.2640:
	s_cmp_lt_i32 s4, 3
	s_cbranch_scc1 .LBB242_2652
; %bb.2641:
	s_cmp_gt_i32 s4, 3
	s_cbranch_scc0 .LBB242_2653
; %bb.2642:
	global_load_dwordx2 v[10:11], v[8:9], off
	s_mov_b32 s0, 0x47800000
	s_waitcnt vmcnt(0)
	v_xor_b32_e32 v12, v10, v11
	v_ffbh_i32_e32 v5, v11
	v_ashrrev_i32_e32 v12, 31, v12
	v_add_u32_e32 v5, -1, v5
	v_add_u32_e32 v12, 32, v12
	v_min_u32_e32 v5, v5, v12
	v_lshlrev_b64 v[10:11], v5, v[10:11]
	v_sub_u32_e32 v5, 32, v5
	v_min_u32_e32 v10, 1, v10
	v_or_b32_e32 v10, v11, v10
	v_cvt_f32_i32_e32 v10, v10
	v_ldexp_f32 v5, v10, v5
	v_and_b32_e32 v11, 0x7fffffff, v5
	v_cmp_gt_u32_e32 vcc, s0, v11
                                        ; implicit-def: $vgpr10
	s_and_saveexec_b64 s[0:1], vcc
	s_xor_b64 s[0:1], exec, s[0:1]
	s_cbranch_execz .LBB242_2648
; %bb.2643:
	s_mov_b32 s2, 0x387fffff
	v_cmp_lt_u32_e32 vcc, s2, v11
                                        ; implicit-def: $vgpr10
	s_and_saveexec_b64 s[2:3], vcc
	s_xor_b64 s[2:3], exec, s[2:3]
; %bb.2644:
	v_bfe_u32 v10, v5, 21, 1
	s_mov_b32 s5, 0x80fffff
	v_add3_u32 v10, v5, v10, s5
	v_lshrrev_b32_e32 v10, 21, v10
; %bb.2645:
	s_andn2_saveexec_b64 s[2:3], s[2:3]
; %bb.2646:
	s_mov_b32 s5, 0x43000000
	v_add_f32_e64 v10, |v5|, s5
; %bb.2647:
	s_or_b64 exec, exec, s[2:3]
                                        ; implicit-def: $vgpr11
.LBB242_2648:
	s_andn2_saveexec_b64 s[0:1], s[0:1]
; %bb.2649:
	s_mov_b32 s2, 0x7f800000
	v_mov_b32_e32 v10, 0x7c
	v_mov_b32_e32 v12, 0x7f
	v_cmp_lt_u32_e32 vcc, s2, v11
	v_cndmask_b32_e32 v10, v10, v12, vcc
; %bb.2650:
	s_or_b64 exec, exec, s[0:1]
	v_lshrrev_b32_e32 v5, 24, v5
	s_movk_i32 s0, 0x80
	v_and_or_b32 v10, v5, s0, v10
	s_mov_b64 s[0:1], 0
	s_branch .LBB242_2654
.LBB242_2651:
	s_mov_b64 s[0:1], -1
                                        ; implicit-def: $vgpr10
	s_branch .LBB242_2676
.LBB242_2652:
	s_mov_b64 s[0:1], -1
                                        ; implicit-def: $vgpr10
	s_branch .LBB242_2665
.LBB242_2653:
	s_mov_b64 s[0:1], -1
                                        ; implicit-def: $vgpr10
.LBB242_2654:
	s_and_b64 vcc, exec, s[0:1]
	s_cbranch_vccz .LBB242_2664
; %bb.2655:
	global_load_dword v5, v[8:9], off
	s_mov_b32 s0, 0x47800000
                                        ; implicit-def: $vgpr10
	s_waitcnt vmcnt(0)
	v_cvt_f32_i32_e32 v5, v5
	v_and_b32_e32 v11, 0x7fffffff, v5
	v_cmp_gt_u32_e32 vcc, s0, v11
	s_and_saveexec_b64 s[0:1], vcc
	s_xor_b64 s[0:1], exec, s[0:1]
	s_cbranch_execz .LBB242_2661
; %bb.2656:
	s_mov_b32 s2, 0x387fffff
	v_cmp_lt_u32_e32 vcc, s2, v11
                                        ; implicit-def: $vgpr10
	s_and_saveexec_b64 s[2:3], vcc
	s_xor_b64 s[2:3], exec, s[2:3]
; %bb.2657:
	v_bfe_u32 v10, v5, 21, 1
	s_mov_b32 s5, 0x80fffff
	v_add3_u32 v10, v5, v10, s5
	v_lshrrev_b32_e32 v10, 21, v10
; %bb.2658:
	s_andn2_saveexec_b64 s[2:3], s[2:3]
; %bb.2659:
	s_mov_b32 s5, 0x43000000
	v_add_f32_e64 v10, |v5|, s5
; %bb.2660:
	s_or_b64 exec, exec, s[2:3]
                                        ; implicit-def: $vgpr11
.LBB242_2661:
	s_andn2_saveexec_b64 s[0:1], s[0:1]
; %bb.2662:
	s_mov_b32 s2, 0x7f800000
	v_mov_b32_e32 v10, 0x7c
	v_mov_b32_e32 v12, 0x7f
	v_cmp_lt_u32_e32 vcc, s2, v11
	v_cndmask_b32_e32 v10, v10, v12, vcc
; %bb.2663:
	s_or_b64 exec, exec, s[0:1]
	v_lshrrev_b32_e32 v5, 24, v5
	s_movk_i32 s0, 0x80
	v_and_or_b32 v10, v5, s0, v10
.LBB242_2664:
	s_mov_b64 s[0:1], 0
.LBB242_2665:
	s_andn2_b64 vcc, exec, s[0:1]
	s_cbranch_vccnz .LBB242_2675
; %bb.2666:
	global_load_sshort v5, v[8:9], off
	s_mov_b32 s0, 0x47800000
                                        ; implicit-def: $vgpr10
	s_waitcnt vmcnt(0)
	v_cvt_f32_i32_e32 v5, v5
	v_and_b32_e32 v11, 0x7fffffff, v5
	v_cmp_gt_u32_e32 vcc, s0, v11
	s_and_saveexec_b64 s[0:1], vcc
	s_xor_b64 s[0:1], exec, s[0:1]
	s_cbranch_execz .LBB242_2672
; %bb.2667:
	s_mov_b32 s2, 0x387fffff
	v_cmp_lt_u32_e32 vcc, s2, v11
                                        ; implicit-def: $vgpr10
	s_and_saveexec_b64 s[2:3], vcc
	s_xor_b64 s[2:3], exec, s[2:3]
; %bb.2668:
	v_bfe_u32 v10, v5, 21, 1
	s_mov_b32 s5, 0x80fffff
	v_add3_u32 v10, v5, v10, s5
	v_lshrrev_b32_e32 v10, 21, v10
; %bb.2669:
	s_andn2_saveexec_b64 s[2:3], s[2:3]
; %bb.2670:
	s_mov_b32 s5, 0x43000000
	v_add_f32_e64 v10, |v5|, s5
; %bb.2671:
	s_or_b64 exec, exec, s[2:3]
                                        ; implicit-def: $vgpr11
.LBB242_2672:
	s_andn2_saveexec_b64 s[0:1], s[0:1]
; %bb.2673:
	s_mov_b32 s2, 0x7f800000
	v_mov_b32_e32 v10, 0x7c
	v_mov_b32_e32 v12, 0x7f
	v_cmp_lt_u32_e32 vcc, s2, v11
	v_cndmask_b32_e32 v10, v10, v12, vcc
; %bb.2674:
	s_or_b64 exec, exec, s[0:1]
	v_lshrrev_b32_e32 v5, 24, v5
	s_movk_i32 s0, 0x80
	v_and_or_b32 v10, v5, s0, v10
.LBB242_2675:
	s_mov_b64 s[0:1], 0
.LBB242_2676:
	s_andn2_b64 vcc, exec, s[0:1]
	s_cbranch_vccnz .LBB242_2698
; %bb.2677:
	s_cmp_gt_i32 s4, 0
	s_cbranch_scc0 .LBB242_2687
; %bb.2678:
	global_load_sbyte v5, v[8:9], off
	s_mov_b32 s0, 0x47800000
                                        ; implicit-def: $vgpr10
	s_waitcnt vmcnt(0)
	v_cvt_f32_i32_e32 v5, v5
	v_and_b32_e32 v11, 0x7fffffff, v5
	v_cmp_gt_u32_e32 vcc, s0, v11
	s_and_saveexec_b64 s[0:1], vcc
	s_xor_b64 s[0:1], exec, s[0:1]
	s_cbranch_execz .LBB242_2684
; %bb.2679:
	s_mov_b32 s2, 0x387fffff
	v_cmp_lt_u32_e32 vcc, s2, v11
                                        ; implicit-def: $vgpr10
	s_and_saveexec_b64 s[2:3], vcc
	s_xor_b64 s[2:3], exec, s[2:3]
; %bb.2680:
	v_bfe_u32 v10, v5, 21, 1
	s_mov_b32 s4, 0x80fffff
	v_add3_u32 v10, v5, v10, s4
	v_lshrrev_b32_e32 v10, 21, v10
; %bb.2681:
	s_andn2_saveexec_b64 s[2:3], s[2:3]
; %bb.2682:
	s_mov_b32 s4, 0x43000000
	v_add_f32_e64 v10, |v5|, s4
; %bb.2683:
	s_or_b64 exec, exec, s[2:3]
                                        ; implicit-def: $vgpr11
.LBB242_2684:
	s_andn2_saveexec_b64 s[0:1], s[0:1]
; %bb.2685:
	s_mov_b32 s2, 0x7f800000
	v_mov_b32_e32 v10, 0x7c
	v_mov_b32_e32 v12, 0x7f
	v_cmp_lt_u32_e32 vcc, s2, v11
	v_cndmask_b32_e32 v10, v10, v12, vcc
; %bb.2686:
	s_or_b64 exec, exec, s[0:1]
	v_lshrrev_b32_e32 v5, 24, v5
	s_movk_i32 s0, 0x80
	v_and_or_b32 v10, v5, s0, v10
	s_mov_b64 s[0:1], 0
	s_branch .LBB242_2688
.LBB242_2687:
	s_mov_b64 s[0:1], -1
                                        ; implicit-def: $vgpr10
.LBB242_2688:
	s_and_b64 vcc, exec, s[0:1]
	s_cbranch_vccz .LBB242_2698
; %bb.2689:
	global_load_ubyte v5, v[8:9], off
	s_mov_b32 s0, 0x47800000
                                        ; implicit-def: $vgpr10
	s_waitcnt vmcnt(0)
	v_cvt_f32_ubyte0_e32 v5, v5
	v_cmp_gt_u32_e32 vcc, s0, v5
	s_and_saveexec_b64 s[0:1], vcc
	s_xor_b64 s[0:1], exec, s[0:1]
	s_cbranch_execz .LBB242_2695
; %bb.2690:
	s_mov_b32 s2, 0x387fffff
	v_cmp_lt_u32_e32 vcc, s2, v5
                                        ; implicit-def: $vgpr10
	s_and_saveexec_b64 s[2:3], vcc
	s_xor_b64 s[2:3], exec, s[2:3]
; %bb.2691:
	v_bfe_u32 v8, v5, 21, 1
	s_mov_b32 s4, 0x80fffff
	v_add3_u32 v5, v5, v8, s4
	v_lshrrev_b32_e32 v10, 21, v5
                                        ; implicit-def: $vgpr5
; %bb.2692:
	s_andn2_saveexec_b64 s[2:3], s[2:3]
; %bb.2693:
	v_add_f32_e32 v10, 0x43000000, v5
; %bb.2694:
	s_or_b64 exec, exec, s[2:3]
                                        ; implicit-def: $vgpr5
.LBB242_2695:
	s_andn2_saveexec_b64 s[0:1], s[0:1]
; %bb.2696:
	s_mov_b32 s2, 0x7f800000
	v_mov_b32_e32 v8, 0x7c
	v_mov_b32_e32 v9, 0x7f
	v_cmp_lt_u32_e32 vcc, s2, v5
	v_cndmask_b32_e32 v10, v8, v9, vcc
; %bb.2697:
	s_or_b64 exec, exec, s[0:1]
.LBB242_2698:
.LBB242_2699:
	v_mov_b32_e32 v5, s11
	v_add_co_u32_e32 v7, vcc, s10, v7
	s_cmp_lt_i32 s18, 11
	v_addc_co_u32_e32 v8, vcc, 0, v5, vcc
	s_cbranch_scc1 .LBB242_2714
; %bb.2700:
	s_and_b32 s16, 0xffff, s18
	s_cmp_gt_i32 s16, 25
	s_mov_b64 s[2:3], 0
	s_cbranch_scc0 .LBB242_2715
; %bb.2701:
	s_cmp_gt_i32 s16, 28
	s_cbranch_scc0 .LBB242_2716
; %bb.2702:
	s_cmp_gt_i32 s16, 43
	s_cbranch_scc0 .LBB242_2717
; %bb.2703:
	s_cmp_gt_i32 s16, 45
	s_cbranch_scc0 .LBB242_2719
; %bb.2704:
	s_cmp_eq_u32 s16, 46
	s_mov_b64 s[10:11], 0
	s_cbranch_scc0 .LBB242_2720
; %bb.2705:
	global_load_dword v5, v[7:8], off
	s_mov_b32 s0, 0x47800000
                                        ; implicit-def: $vgpr9
	s_waitcnt vmcnt(0)
	v_lshlrev_b32_e32 v5, 16, v5
	v_and_b32_e32 v11, 0x7fffffff, v5
	v_cmp_gt_u32_e32 vcc, s0, v11
	s_and_saveexec_b64 s[0:1], vcc
	s_xor_b64 s[0:1], exec, s[0:1]
	s_cbranch_execz .LBB242_2711
; %bb.2706:
	s_mov_b32 s4, 0x387fffff
	v_cmp_lt_u32_e32 vcc, s4, v11
                                        ; implicit-def: $vgpr9
	s_and_saveexec_b64 s[4:5], vcc
	s_xor_b64 s[4:5], exec, s[4:5]
; %bb.2707:
	v_bfe_u32 v9, v5, 21, 1
	s_mov_b32 s14, 0x80fffff
	v_add3_u32 v9, v5, v9, s14
	v_lshrrev_b32_e32 v9, 21, v9
; %bb.2708:
	s_andn2_saveexec_b64 s[4:5], s[4:5]
; %bb.2709:
	s_mov_b32 s14, 0x43000000
	v_add_f32_e64 v9, |v5|, s14
; %bb.2710:
	s_or_b64 exec, exec, s[4:5]
                                        ; implicit-def: $vgpr11
.LBB242_2711:
	s_andn2_saveexec_b64 s[0:1], s[0:1]
; %bb.2712:
	s_mov_b32 s4, 0x7f800000
	v_mov_b32_e32 v9, 0x7c
	v_mov_b32_e32 v12, 0x7f
	v_cmp_lt_u32_e32 vcc, s4, v11
	v_cndmask_b32_e32 v9, v9, v12, vcc
; %bb.2713:
	s_or_b64 exec, exec, s[0:1]
	v_lshrrev_b32_e32 v5, 24, v5
	s_movk_i32 s0, 0x80
	v_and_or_b32 v9, v5, s0, v9
	s_mov_b64 s[0:1], 0
	s_mov_b64 s[4:5], -1
	s_branch .LBB242_2721
.LBB242_2714:
	s_mov_b64 s[0:1], -1
	s_mov_b64 s[4:5], 0
                                        ; implicit-def: $vgpr9
	s_branch .LBB242_2859
.LBB242_2715:
	s_mov_b64 s[10:11], -1
	s_mov_b64 s[4:5], 0
	s_mov_b64 s[0:1], 0
                                        ; implicit-def: $vgpr9
	s_branch .LBB242_2790
.LBB242_2716:
	s_mov_b64 s[10:11], -1
	s_mov_b64 s[4:5], 0
                                        ; implicit-def: $vgpr9
	s_mov_b64 s[0:1], 0
	s_branch .LBB242_2747
.LBB242_2717:
	s_mov_b64 s[10:11], -1
	s_mov_b64 s[4:5], 0
	s_mov_b64 s[0:1], 0
                                        ; implicit-def: $vgpr9
	s_branch .LBB242_2734
.LBB242_2718:
	s_trap 2
	s_or_b64 s[12:13], s[12:13], exec
	s_cbranch_execz .LBB242_2553
	s_branch .LBB242_2562
.LBB242_2719:
	s_mov_b64 s[10:11], -1
	s_mov_b64 s[4:5], 0
	s_mov_b64 s[0:1], 0
                                        ; implicit-def: $vgpr9
	s_branch .LBB242_2721
.LBB242_2720:
	s_mov_b64 s[0:1], -1
                                        ; implicit-def: $vgpr9
	s_mov_b64 s[4:5], 0
.LBB242_2721:
	s_and_b64 vcc, exec, s[10:11]
	s_cbranch_vccz .LBB242_2733
; %bb.2722:
	s_cmp_eq_u32 s16, 44
	s_cbranch_scc0 .LBB242_2732
; %bb.2723:
	global_load_ubyte v5, v[7:8], off
	s_movk_i32 s0, 0xff
	v_mov_b32_e32 v9, 0x7f800001
	v_mov_b32_e32 v11, 0x400000
	s_waitcnt vmcnt(0)
	v_lshlrev_b32_e32 v12, 23, v5
	v_cmp_ne_u32_e32 vcc, s0, v5
	v_cndmask_b32_e32 v9, v9, v12, vcc
	v_cmp_ne_u32_e32 vcc, 0, v5
	v_cndmask_b32_e32 v5, v11, v9, vcc
	s_mov_b32 s0, 0x47800000
	v_cmp_gt_u32_e32 vcc, s0, v5
                                        ; implicit-def: $vgpr9
	s_and_saveexec_b64 s[0:1], vcc
	s_xor_b64 s[0:1], exec, s[0:1]
	s_cbranch_execz .LBB242_2729
; %bb.2724:
	s_mov_b32 s4, 0x387fffff
	v_cmp_lt_u32_e32 vcc, s4, v5
                                        ; implicit-def: $vgpr9
	s_and_saveexec_b64 s[4:5], vcc
	s_xor_b64 s[4:5], exec, s[4:5]
; %bb.2725:
	v_bfe_u32 v9, v5, 21, 1
	s_mov_b32 s10, 0x80fffff
	v_add3_u32 v5, v5, v9, s10
	v_lshrrev_b32_e32 v9, 21, v5
                                        ; implicit-def: $vgpr5
; %bb.2726:
	s_andn2_saveexec_b64 s[4:5], s[4:5]
; %bb.2727:
	v_add_f32_e32 v9, 0x43000000, v5
; %bb.2728:
	s_or_b64 exec, exec, s[4:5]
                                        ; implicit-def: $vgpr5
.LBB242_2729:
	s_andn2_saveexec_b64 s[0:1], s[0:1]
; %bb.2730:
	s_mov_b32 s4, 0x7f800000
	v_mov_b32_e32 v9, 0x7c
	v_mov_b32_e32 v11, 0x7f
	v_cmp_lt_u32_e32 vcc, s4, v5
	v_cndmask_b32_e32 v9, v9, v11, vcc
; %bb.2731:
	s_or_b64 exec, exec, s[0:1]
	s_mov_b64 s[0:1], 0
	s_mov_b64 s[4:5], -1
	s_branch .LBB242_2733
.LBB242_2732:
	s_mov_b64 s[0:1], -1
                                        ; implicit-def: $vgpr9
.LBB242_2733:
	s_mov_b64 s[10:11], 0
.LBB242_2734:
	s_and_b64 vcc, exec, s[10:11]
	s_cbranch_vccz .LBB242_2746
; %bb.2735:
	s_cmp_eq_u32 s16, 29
	s_cbranch_scc0 .LBB242_2745
; %bb.2736:
	global_load_dwordx2 v[11:12], v[7:8], off
	s_mov_b32 s0, 0x47800000
	s_waitcnt vmcnt(0)
	v_ffbh_u32_e32 v5, v12
	v_min_u32_e32 v5, 32, v5
	v_lshlrev_b64 v[11:12], v5, v[11:12]
	v_sub_u32_e32 v5, 32, v5
	v_min_u32_e32 v9, 1, v11
	v_or_b32_e32 v9, v12, v9
	v_cvt_f32_u32_e32 v9, v9
	v_ldexp_f32 v5, v9, v5
	v_cmp_gt_u32_e32 vcc, s0, v5
                                        ; implicit-def: $vgpr9
	s_and_saveexec_b64 s[0:1], vcc
	s_xor_b64 s[0:1], exec, s[0:1]
	s_cbranch_execz .LBB242_2742
; %bb.2737:
	s_mov_b32 s4, 0x387fffff
	v_cmp_lt_u32_e32 vcc, s4, v5
                                        ; implicit-def: $vgpr9
	s_and_saveexec_b64 s[4:5], vcc
	s_xor_b64 s[4:5], exec, s[4:5]
; %bb.2738:
	v_bfe_u32 v9, v5, 21, 1
	s_mov_b32 s10, 0x80fffff
	v_add3_u32 v5, v5, v9, s10
	v_lshrrev_b32_e32 v9, 21, v5
                                        ; implicit-def: $vgpr5
; %bb.2739:
	s_andn2_saveexec_b64 s[4:5], s[4:5]
; %bb.2740:
	v_add_f32_e32 v9, 0x43000000, v5
; %bb.2741:
	s_or_b64 exec, exec, s[4:5]
                                        ; implicit-def: $vgpr5
.LBB242_2742:
	s_andn2_saveexec_b64 s[0:1], s[0:1]
; %bb.2743:
	s_mov_b32 s4, 0x7f800000
	v_mov_b32_e32 v9, 0x7c
	v_mov_b32_e32 v11, 0x7f
	v_cmp_lt_u32_e32 vcc, s4, v5
	v_cndmask_b32_e32 v9, v9, v11, vcc
; %bb.2744:
	s_or_b64 exec, exec, s[0:1]
	s_mov_b64 s[0:1], 0
	s_mov_b64 s[4:5], -1
	s_branch .LBB242_2746
.LBB242_2745:
	s_mov_b64 s[0:1], -1
                                        ; implicit-def: $vgpr9
.LBB242_2746:
	s_mov_b64 s[10:11], 0
.LBB242_2747:
	s_and_b64 vcc, exec, s[10:11]
	s_cbranch_vccz .LBB242_2789
; %bb.2748:
	s_cmp_lt_i32 s16, 27
	s_cbranch_scc1 .LBB242_2759
; %bb.2749:
	s_cmp_gt_i32 s16, 27
	s_cbranch_scc0 .LBB242_2760
; %bb.2750:
	global_load_dword v5, v[7:8], off
	s_mov_b32 s4, 0x47800000
                                        ; implicit-def: $vgpr9
	s_waitcnt vmcnt(0)
	v_cvt_f32_u32_e32 v5, v5
	v_cmp_gt_u32_e32 vcc, s4, v5
	s_and_saveexec_b64 s[4:5], vcc
	s_xor_b64 s[4:5], exec, s[4:5]
	s_cbranch_execz .LBB242_2756
; %bb.2751:
	s_mov_b32 s10, 0x387fffff
	v_cmp_lt_u32_e32 vcc, s10, v5
                                        ; implicit-def: $vgpr9
	s_and_saveexec_b64 s[10:11], vcc
	s_xor_b64 s[10:11], exec, s[10:11]
; %bb.2752:
	v_bfe_u32 v9, v5, 21, 1
	s_mov_b32 s14, 0x80fffff
	v_add3_u32 v5, v5, v9, s14
	v_lshrrev_b32_e32 v9, 21, v5
                                        ; implicit-def: $vgpr5
; %bb.2753:
	s_andn2_saveexec_b64 s[10:11], s[10:11]
; %bb.2754:
	v_add_f32_e32 v9, 0x43000000, v5
; %bb.2755:
	s_or_b64 exec, exec, s[10:11]
                                        ; implicit-def: $vgpr5
.LBB242_2756:
	s_andn2_saveexec_b64 s[4:5], s[4:5]
; %bb.2757:
	s_mov_b32 s10, 0x7f800000
	v_mov_b32_e32 v9, 0x7c
	v_mov_b32_e32 v11, 0x7f
	v_cmp_lt_u32_e32 vcc, s10, v5
	v_cndmask_b32_e32 v9, v9, v11, vcc
; %bb.2758:
	s_or_b64 exec, exec, s[4:5]
	s_mov_b64 s[4:5], 0
	s_branch .LBB242_2761
.LBB242_2759:
	s_mov_b64 s[4:5], -1
                                        ; implicit-def: $vgpr9
	s_branch .LBB242_2772
.LBB242_2760:
	s_mov_b64 s[4:5], -1
                                        ; implicit-def: $vgpr9
.LBB242_2761:
	s_and_b64 vcc, exec, s[4:5]
	s_cbranch_vccz .LBB242_2771
; %bb.2762:
	global_load_ushort v5, v[7:8], off
	s_mov_b32 s4, 0x47800000
                                        ; implicit-def: $vgpr9
	s_waitcnt vmcnt(0)
	v_cvt_f32_u32_e32 v5, v5
	v_cmp_gt_u32_e32 vcc, s4, v5
	s_and_saveexec_b64 s[4:5], vcc
	s_xor_b64 s[4:5], exec, s[4:5]
	s_cbranch_execz .LBB242_2768
; %bb.2763:
	s_mov_b32 s10, 0x387fffff
	v_cmp_lt_u32_e32 vcc, s10, v5
                                        ; implicit-def: $vgpr9
	s_and_saveexec_b64 s[10:11], vcc
	s_xor_b64 s[10:11], exec, s[10:11]
; %bb.2764:
	v_bfe_u32 v9, v5, 21, 1
	s_mov_b32 s14, 0x80fffff
	v_add3_u32 v5, v5, v9, s14
	v_lshrrev_b32_e32 v9, 21, v5
                                        ; implicit-def: $vgpr5
; %bb.2765:
	s_andn2_saveexec_b64 s[10:11], s[10:11]
; %bb.2766:
	v_add_f32_e32 v9, 0x43000000, v5
; %bb.2767:
	s_or_b64 exec, exec, s[10:11]
                                        ; implicit-def: $vgpr5
.LBB242_2768:
	s_andn2_saveexec_b64 s[4:5], s[4:5]
; %bb.2769:
	s_mov_b32 s10, 0x7f800000
	v_mov_b32_e32 v9, 0x7c
	v_mov_b32_e32 v11, 0x7f
	v_cmp_lt_u32_e32 vcc, s10, v5
	v_cndmask_b32_e32 v9, v9, v11, vcc
; %bb.2770:
	s_or_b64 exec, exec, s[4:5]
.LBB242_2771:
	s_mov_b64 s[4:5], 0
.LBB242_2772:
	s_andn2_b64 vcc, exec, s[4:5]
	s_cbranch_vccnz .LBB242_2788
; %bb.2773:
	global_load_ubyte v9, v[7:8], off
	s_movk_i32 s4, 0x7f
	s_waitcnt vmcnt(0)
	v_cmp_lt_i16_e32 vcc, s4, v9
	s_mov_b64 s[4:5], 0
	s_and_saveexec_b64 s[10:11], vcc
	s_xor_b64 s[10:11], exec, s[10:11]
	s_cbranch_execz .LBB242_2810
; %bb.2774:
	s_movk_i32 s4, 0x80
	v_cmp_eq_u16_e32 vcc, s4, v9
	s_mov_b64 s[4:5], -1
	s_and_saveexec_b64 s[14:15], vcc
; %bb.2775:
	s_xor_b64 s[4:5], exec, -1
; %bb.2776:
	s_or_b64 exec, exec, s[14:15]
	s_and_b64 s[4:5], s[4:5], exec
	s_or_saveexec_b64 s[10:11], s[10:11]
	v_mov_b32_e32 v5, 0x7f800001
	s_xor_b64 exec, exec, s[10:11]
	s_cbranch_execnz .LBB242_2811
.LBB242_2777:
	s_or_b64 exec, exec, s[10:11]
	s_and_saveexec_b64 s[10:11], s[4:5]
	s_cbranch_execz .LBB242_2779
.LBB242_2778:
	v_lshlrev_b32_e32 v5, 24, v9
	v_and_b32_e32 v9, 0xffff, v9
	v_and_b32_e32 v11, 7, v9
	v_ffbh_u32_e32 v13, v11
	v_min_u32_e32 v13, 32, v13
	v_subrev_u32_e32 v14, 28, v13
	v_bfe_u32 v12, v9, 3, 4
	v_lshlrev_b32_e32 v9, v14, v9
	v_sub_u32_e32 v13, 29, v13
	v_and_b32_e32 v9, 7, v9
	v_cmp_eq_u32_e32 vcc, 0, v12
	v_cndmask_b32_e32 v12, v12, v13, vcc
	v_cndmask_b32_e32 v9, v11, v9, vcc
	v_mov_b32_e32 v11, 0x3b800000
	v_lshlrev_b32_e32 v9, 20, v9
	v_and_b32_e32 v5, 0x80000000, v5
	v_lshl_add_u32 v11, v12, 23, v11
	v_or3_b32 v5, v5, v11, v9
.LBB242_2779:
	s_or_b64 exec, exec, s[10:11]
	v_and_b32_e32 v11, 0x7fffffff, v5
	s_mov_b32 s4, 0x47800000
	v_cmp_gt_u32_e32 vcc, s4, v11
                                        ; implicit-def: $vgpr9
	s_and_saveexec_b64 s[4:5], vcc
	s_xor_b64 s[4:5], exec, s[4:5]
	s_cbranch_execz .LBB242_2785
; %bb.2780:
	s_mov_b32 s10, 0x387fffff
	v_cmp_lt_u32_e32 vcc, s10, v11
                                        ; implicit-def: $vgpr9
	s_and_saveexec_b64 s[10:11], vcc
	s_xor_b64 s[10:11], exec, s[10:11]
; %bb.2781:
	v_bfe_u32 v9, v5, 21, 1
	s_mov_b32 s14, 0x80fffff
	v_add3_u32 v9, v5, v9, s14
	v_lshrrev_b32_e32 v9, 21, v9
; %bb.2782:
	s_andn2_saveexec_b64 s[10:11], s[10:11]
; %bb.2783:
	s_mov_b32 s14, 0x43000000
	v_add_f32_e64 v9, |v5|, s14
; %bb.2784:
	s_or_b64 exec, exec, s[10:11]
                                        ; implicit-def: $vgpr11
.LBB242_2785:
	s_andn2_saveexec_b64 s[4:5], s[4:5]
; %bb.2786:
	s_mov_b32 s10, 0x7f800000
	v_mov_b32_e32 v9, 0x7c
	v_mov_b32_e32 v12, 0x7f
	v_cmp_lt_u32_e32 vcc, s10, v11
	v_cndmask_b32_e32 v9, v9, v12, vcc
; %bb.2787:
	s_or_b64 exec, exec, s[4:5]
	v_lshrrev_b32_e32 v5, 24, v5
	s_movk_i32 s4, 0x80
	v_and_or_b32 v9, v5, s4, v9
.LBB242_2788:
	s_mov_b64 s[4:5], -1
.LBB242_2789:
	s_mov_b64 s[10:11], 0
.LBB242_2790:
	s_and_b64 vcc, exec, s[10:11]
	s_cbranch_vccz .LBB242_2847
; %bb.2791:
	s_cmp_gt_i32 s16, 22
	s_cbranch_scc0 .LBB242_2809
; %bb.2792:
	s_cmp_lt_i32 s16, 24
	s_cbranch_scc1 .LBB242_2812
; %bb.2793:
	s_cmp_gt_i32 s16, 24
	s_cbranch_scc0 .LBB242_2813
; %bb.2794:
	global_load_ubyte v9, v[7:8], off
	s_movk_i32 s2, 0x7f
	s_waitcnt vmcnt(0)
	v_cmp_lt_i16_e32 vcc, s2, v9
	s_mov_b64 s[2:3], 0
	s_and_saveexec_b64 s[4:5], vcc
	s_xor_b64 s[4:5], exec, s[4:5]
	s_cbranch_execz .LBB242_2841
; %bb.2795:
	s_movk_i32 s2, 0x80
	v_cmp_eq_u16_e32 vcc, s2, v9
	s_mov_b64 s[2:3], -1
	s_and_saveexec_b64 s[10:11], vcc
; %bb.2796:
	s_xor_b64 s[2:3], exec, -1
; %bb.2797:
	s_or_b64 exec, exec, s[10:11]
	s_and_b64 s[2:3], s[2:3], exec
	s_or_saveexec_b64 s[4:5], s[4:5]
	v_mov_b32_e32 v5, 0x7f800001
	s_xor_b64 exec, exec, s[4:5]
	s_cbranch_execnz .LBB242_2842
.LBB242_2798:
	s_or_b64 exec, exec, s[4:5]
	s_and_saveexec_b64 s[4:5], s[2:3]
	s_cbranch_execz .LBB242_2800
.LBB242_2799:
	v_lshlrev_b32_e32 v5, 24, v9
	v_and_b32_e32 v9, 0xffff, v9
	v_and_b32_e32 v11, 3, v9
	v_ffbh_u32_e32 v13, v11
	v_min_u32_e32 v13, 32, v13
	v_subrev_u32_e32 v14, 29, v13
	v_bfe_u32 v12, v9, 2, 5
	v_lshlrev_b32_e32 v9, v14, v9
	v_sub_u32_e32 v13, 30, v13
	v_and_b32_e32 v9, 3, v9
	v_cmp_eq_u32_e32 vcc, 0, v12
	v_cndmask_b32_e32 v12, v12, v13, vcc
	v_cndmask_b32_e32 v9, v11, v9, vcc
	v_mov_b32_e32 v11, 0x37800000
	v_lshlrev_b32_e32 v9, 21, v9
	v_and_b32_e32 v5, 0x80000000, v5
	v_lshl_add_u32 v11, v12, 23, v11
	v_or3_b32 v5, v5, v11, v9
.LBB242_2800:
	s_or_b64 exec, exec, s[4:5]
	v_and_b32_e32 v11, 0x7fffffff, v5
	s_mov_b32 s2, 0x47800000
	v_cmp_gt_u32_e32 vcc, s2, v11
                                        ; implicit-def: $vgpr9
	s_and_saveexec_b64 s[2:3], vcc
	s_xor_b64 s[2:3], exec, s[2:3]
	s_cbranch_execz .LBB242_2806
; %bb.2801:
	s_mov_b32 s4, 0x387fffff
	v_cmp_lt_u32_e32 vcc, s4, v11
                                        ; implicit-def: $vgpr9
	s_and_saveexec_b64 s[4:5], vcc
	s_xor_b64 s[4:5], exec, s[4:5]
; %bb.2802:
	v_bfe_u32 v9, v5, 21, 1
	s_mov_b32 s10, 0x80fffff
	v_add3_u32 v9, v5, v9, s10
	v_lshrrev_b32_e32 v9, 21, v9
; %bb.2803:
	s_andn2_saveexec_b64 s[4:5], s[4:5]
; %bb.2804:
	s_mov_b32 s10, 0x43000000
	v_add_f32_e64 v9, |v5|, s10
; %bb.2805:
	s_or_b64 exec, exec, s[4:5]
                                        ; implicit-def: $vgpr11
.LBB242_2806:
	s_andn2_saveexec_b64 s[2:3], s[2:3]
; %bb.2807:
	s_mov_b32 s4, 0x7f800000
	v_mov_b32_e32 v9, 0x7c
	v_mov_b32_e32 v12, 0x7f
	v_cmp_lt_u32_e32 vcc, s4, v11
	v_cndmask_b32_e32 v9, v9, v12, vcc
; %bb.2808:
	s_or_b64 exec, exec, s[2:3]
	v_lshrrev_b32_e32 v5, 24, v5
	s_movk_i32 s2, 0x80
	v_and_or_b32 v9, v5, s2, v9
	s_mov_b64 s[2:3], 0
	s_branch .LBB242_2814
.LBB242_2809:
	s_mov_b64 s[2:3], -1
                                        ; implicit-def: $vgpr9
	s_branch .LBB242_2828
.LBB242_2810:
	s_or_saveexec_b64 s[10:11], s[10:11]
	v_mov_b32_e32 v5, 0x7f800001
	s_xor_b64 exec, exec, s[10:11]
	s_cbranch_execz .LBB242_2777
.LBB242_2811:
	v_cmp_ne_u16_e32 vcc, 0, v9
	s_andn2_b64 s[4:5], s[4:5], exec
	s_and_b64 s[14:15], vcc, exec
	v_mov_b32_e32 v5, 0
	s_or_b64 s[4:5], s[4:5], s[14:15]
	s_or_b64 exec, exec, s[10:11]
	s_and_saveexec_b64 s[10:11], s[4:5]
	s_cbranch_execnz .LBB242_2778
	s_branch .LBB242_2779
.LBB242_2812:
	s_mov_b64 s[2:3], -1
                                        ; implicit-def: $vgpr9
	s_branch .LBB242_2825
.LBB242_2813:
	s_mov_b64 s[2:3], -1
                                        ; implicit-def: $vgpr9
.LBB242_2814:
	s_and_b64 vcc, exec, s[2:3]
	s_cbranch_vccz .LBB242_2824
; %bb.2815:
	global_load_ubyte v5, v[7:8], off
	s_mov_b32 s2, 0x7f800000
	s_brev_b32 s3, 1
	s_waitcnt vmcnt(0)
	v_lshlrev_b32_e32 v5, 24, v5
	v_and_b32_e32 v9, 0x7f000000, v5
	v_ffbh_u32_e32 v11, v9
	v_min_u32_e32 v11, 32, v11
	v_sub_u32_e64 v11, v11, 4 clamp
	v_lshlrev_b32_e32 v13, v11, v9
	v_lshlrev_b32_e32 v11, 23, v11
	v_lshrrev_b32_e32 v13, 4, v13
	v_add_u32_e32 v12, 0x1000000, v9
	v_sub_u32_e32 v11, v13, v11
	v_ashrrev_i32_e32 v12, 8, v12
	v_add_u32_e32 v11, 0x3c000000, v11
	v_and_or_b32 v11, v12, s2, v11
	v_cmp_ne_u32_e32 vcc, 0, v9
	v_cndmask_b32_e32 v12, 0, v11, vcc
	v_and_or_b32 v5, v5, s3, v12
	v_and_b32_e32 v11, 0x7fffffff, v5
	s_mov_b32 s2, 0x47800000
	v_cmp_gt_u32_e32 vcc, s2, v11
                                        ; implicit-def: $vgpr9
	s_and_saveexec_b64 s[2:3], vcc
	s_xor_b64 s[2:3], exec, s[2:3]
	s_cbranch_execz .LBB242_2821
; %bb.2816:
	s_mov_b32 s4, 0x387fffff
	v_cmp_lt_u32_e32 vcc, s4, v11
                                        ; implicit-def: $vgpr9
	s_and_saveexec_b64 s[4:5], vcc
	s_xor_b64 s[4:5], exec, s[4:5]
; %bb.2817:
	v_bfe_u32 v9, v12, 21, 1
	s_mov_b32 s10, 0x80fffff
	v_add3_u32 v9, v5, v9, s10
	v_lshrrev_b32_e32 v9, 21, v9
; %bb.2818:
	s_andn2_saveexec_b64 s[4:5], s[4:5]
; %bb.2819:
	s_mov_b32 s10, 0x43000000
	v_add_f32_e64 v9, |v5|, s10
; %bb.2820:
	s_or_b64 exec, exec, s[4:5]
                                        ; implicit-def: $vgpr11
.LBB242_2821:
	s_andn2_saveexec_b64 s[2:3], s[2:3]
; %bb.2822:
	s_mov_b32 s4, 0x7f800000
	v_mov_b32_e32 v9, 0x7c
	v_mov_b32_e32 v12, 0x7f
	v_cmp_lt_u32_e32 vcc, s4, v11
	v_cndmask_b32_e32 v9, v9, v12, vcc
; %bb.2823:
	s_or_b64 exec, exec, s[2:3]
	v_lshrrev_b32_e32 v5, 24, v5
	s_movk_i32 s2, 0x80
	v_and_or_b32 v9, v5, s2, v9
.LBB242_2824:
	s_mov_b64 s[2:3], 0
.LBB242_2825:
	s_andn2_b64 vcc, exec, s[2:3]
	s_cbranch_vccnz .LBB242_2827
; %bb.2826:
	global_load_ubyte v9, v[7:8], off
.LBB242_2827:
	s_mov_b64 s[2:3], 0
	s_mov_b64 s[4:5], -1
.LBB242_2828:
	s_andn2_b64 vcc, exec, s[2:3]
	s_mov_b64 s[2:3], 0
	s_cbranch_vccnz .LBB242_2847
; %bb.2829:
	s_cmp_gt_i32 s16, 14
	s_cbranch_scc0 .LBB242_2840
; %bb.2830:
	s_cmp_eq_u32 s16, 15
	s_cbranch_scc0 .LBB242_2843
; %bb.2831:
	global_load_ushort v5, v[7:8], off
	s_mov_b32 s0, 0x47800000
                                        ; implicit-def: $vgpr9
	s_waitcnt vmcnt(0)
	v_lshlrev_b32_e32 v11, 16, v5
	v_and_b32_e32 v12, 0x7fffffff, v11
	v_cmp_gt_u32_e32 vcc, s0, v12
	s_and_saveexec_b64 s[0:1], vcc
	s_xor_b64 s[0:1], exec, s[0:1]
	s_cbranch_execz .LBB242_2837
; %bb.2832:
	s_mov_b32 s2, 0x387fffff
	v_cmp_lt_u32_e32 vcc, s2, v12
                                        ; implicit-def: $vgpr9
	s_and_saveexec_b64 s[2:3], vcc
	s_xor_b64 s[2:3], exec, s[2:3]
; %bb.2833:
	v_bfe_u32 v9, v5, 5, 1
	s_mov_b32 s4, 0x80fffff
	v_add3_u32 v9, v11, v9, s4
	v_lshrrev_b32_e32 v9, 21, v9
                                        ; implicit-def: $vgpr11
; %bb.2834:
	s_andn2_saveexec_b64 s[2:3], s[2:3]
; %bb.2835:
	s_mov_b32 s4, 0x43000000
	v_add_f32_e64 v9, |v11|, s4
; %bb.2836:
	s_or_b64 exec, exec, s[2:3]
                                        ; implicit-def: $vgpr12
.LBB242_2837:
	s_andn2_saveexec_b64 s[0:1], s[0:1]
; %bb.2838:
	s_mov_b32 s2, 0x7f800000
	v_mov_b32_e32 v9, 0x7c
	v_mov_b32_e32 v11, 0x7f
	v_cmp_lt_u32_e32 vcc, s2, v12
	v_cndmask_b32_e32 v9, v9, v11, vcc
; %bb.2839:
	s_or_b64 exec, exec, s[0:1]
	v_lshrrev_b32_e32 v5, 8, v5
	s_movk_i32 s0, 0x80
	v_and_or_b32 v9, v5, s0, v9
	s_mov_b64 s[0:1], 0
	s_mov_b64 s[4:5], -1
	s_branch .LBB242_2844
.LBB242_2840:
	s_mov_b64 s[10:11], -1
                                        ; implicit-def: $vgpr9
	s_branch .LBB242_2845
.LBB242_2841:
	s_or_saveexec_b64 s[4:5], s[4:5]
	v_mov_b32_e32 v5, 0x7f800001
	s_xor_b64 exec, exec, s[4:5]
	s_cbranch_execz .LBB242_2798
.LBB242_2842:
	v_cmp_ne_u16_e32 vcc, 0, v9
	s_andn2_b64 s[2:3], s[2:3], exec
	s_and_b64 s[10:11], vcc, exec
	v_mov_b32_e32 v5, 0
	s_or_b64 s[2:3], s[2:3], s[10:11]
	s_or_b64 exec, exec, s[4:5]
	s_and_saveexec_b64 s[4:5], s[2:3]
	s_cbranch_execnz .LBB242_2799
	s_branch .LBB242_2800
.LBB242_2843:
	s_mov_b64 s[0:1], -1
                                        ; implicit-def: $vgpr9
.LBB242_2844:
	s_mov_b64 s[10:11], 0
.LBB242_2845:
	s_mov_b64 s[2:3], 0
	s_and_b64 vcc, exec, s[10:11]
	s_cbranch_vccz .LBB242_2847
; %bb.2846:
	s_cmp_lg_u32 s16, 11
	s_mov_b64 s[2:3], -1
	s_cselect_b64 s[0:1], -1, 0
.LBB242_2847:
	s_and_b64 vcc, exec, s[0:1]
	s_cbranch_vccnz .LBB242_3476
; %bb.2848:
	s_andn2_b64 vcc, exec, s[2:3]
	s_cbranch_vccnz .LBB242_2858
.LBB242_2849:
	global_load_ubyte v5, v[7:8], off
	s_mov_b32 s0, 0x47800000
                                        ; implicit-def: $vgpr9
	s_waitcnt vmcnt(0)
	v_cmp_ne_u16_e32 vcc, 0, v5
	v_cndmask_b32_e64 v5, 0, 1.0, vcc
	v_cmp_gt_u32_e32 vcc, s0, v5
	s_and_saveexec_b64 s[0:1], vcc
	s_xor_b64 s[0:1], exec, s[0:1]
	s_cbranch_execz .LBB242_2855
; %bb.2850:
	s_mov_b32 s2, 0x387fffff
	v_cmp_lt_u32_e32 vcc, s2, v5
                                        ; implicit-def: $vgpr9
	s_and_saveexec_b64 s[2:3], vcc
	s_xor_b64 s[2:3], exec, s[2:3]
; %bb.2851:
	v_bfe_u32 v9, v5, 21, 1
	s_mov_b32 s4, 0x80fffff
	v_add3_u32 v5, v5, v9, s4
	v_lshrrev_b32_e32 v9, 21, v5
                                        ; implicit-def: $vgpr5
; %bb.2852:
	s_andn2_saveexec_b64 s[2:3], s[2:3]
; %bb.2853:
	v_add_f32_e32 v9, 0x43000000, v5
; %bb.2854:
	s_or_b64 exec, exec, s[2:3]
                                        ; implicit-def: $vgpr5
.LBB242_2855:
	s_andn2_saveexec_b64 s[0:1], s[0:1]
; %bb.2856:
	s_mov_b32 s2, 0x7f800000
	v_mov_b32_e32 v9, 0x7c
	v_mov_b32_e32 v11, 0x7f
	v_cmp_lt_u32_e32 vcc, s2, v5
	v_cndmask_b32_e32 v9, v9, v11, vcc
; %bb.2857:
	s_or_b64 exec, exec, s[0:1]
	s_mov_b64 s[4:5], -1
.LBB242_2858:
	s_mov_b64 s[0:1], 0
.LBB242_2859:
	s_and_b64 vcc, exec, s[0:1]
	s_cbranch_vccz .LBB242_2996
; %bb.2860:
	s_and_b32 s4, 0xffff, s18
	s_cmp_lt_i32 s4, 5
	s_cbranch_scc1 .LBB242_2873
; %bb.2861:
	s_cmp_lt_i32 s4, 8
	s_cbranch_scc1 .LBB242_2874
; %bb.2862:
	;; [unrolled: 3-line block ×3, first 2 shown]
	s_cmp_gt_i32 s4, 9
	s_cbranch_scc0 .LBB242_2876
; %bb.2864:
	global_load_dwordx2 v[11:12], v[7:8], off
	s_mov_b32 s0, 0x47800000
                                        ; implicit-def: $vgpr9
	s_waitcnt vmcnt(0)
	v_cvt_f32_f64_e32 v5, v[11:12]
	v_and_b32_e32 v11, 0x7fffffff, v5
	v_cmp_gt_u32_e32 vcc, s0, v11
	s_and_saveexec_b64 s[0:1], vcc
	s_xor_b64 s[0:1], exec, s[0:1]
	s_cbranch_execz .LBB242_2870
; %bb.2865:
	s_mov_b32 s2, 0x387fffff
	v_cmp_lt_u32_e32 vcc, s2, v11
                                        ; implicit-def: $vgpr9
	s_and_saveexec_b64 s[2:3], vcc
	s_xor_b64 s[2:3], exec, s[2:3]
; %bb.2866:
	v_bfe_u32 v9, v5, 21, 1
	s_mov_b32 s5, 0x80fffff
	v_add3_u32 v9, v5, v9, s5
	v_lshrrev_b32_e32 v9, 21, v9
; %bb.2867:
	s_andn2_saveexec_b64 s[2:3], s[2:3]
; %bb.2868:
	s_mov_b32 s5, 0x43000000
	v_add_f32_e64 v9, |v5|, s5
; %bb.2869:
	s_or_b64 exec, exec, s[2:3]
                                        ; implicit-def: $vgpr11
.LBB242_2870:
	s_andn2_saveexec_b64 s[0:1], s[0:1]
; %bb.2871:
	s_mov_b32 s2, 0x7f800000
	v_mov_b32_e32 v9, 0x7c
	v_mov_b32_e32 v12, 0x7f
	v_cmp_lt_u32_e32 vcc, s2, v11
	v_cndmask_b32_e32 v9, v9, v12, vcc
; %bb.2872:
	s_or_b64 exec, exec, s[0:1]
	v_lshrrev_b32_e32 v5, 24, v5
	s_movk_i32 s0, 0x80
	v_and_or_b32 v9, v5, s0, v9
	s_mov_b64 s[0:1], 0
	s_branch .LBB242_2877
.LBB242_2873:
	s_mov_b64 s[0:1], -1
                                        ; implicit-def: $vgpr9
	s_branch .LBB242_2935
.LBB242_2874:
	s_mov_b64 s[0:1], -1
                                        ; implicit-def: $vgpr9
	s_branch .LBB242_2899
.LBB242_2875:
	s_mov_b64 s[0:1], -1
                                        ; implicit-def: $vgpr9
	s_branch .LBB242_2888
.LBB242_2876:
	s_mov_b64 s[0:1], -1
                                        ; implicit-def: $vgpr9
.LBB242_2877:
	s_and_b64 vcc, exec, s[0:1]
	s_cbranch_vccz .LBB242_2887
; %bb.2878:
	global_load_dword v5, v[7:8], off
	s_mov_b32 s0, 0x47800000
                                        ; implicit-def: $vgpr9
	s_waitcnt vmcnt(0)
	v_and_b32_e32 v11, 0x7fffffff, v5
	v_cmp_gt_u32_e32 vcc, s0, v11
	s_and_saveexec_b64 s[0:1], vcc
	s_xor_b64 s[0:1], exec, s[0:1]
	s_cbranch_execz .LBB242_2884
; %bb.2879:
	s_mov_b32 s2, 0x387fffff
	v_cmp_lt_u32_e32 vcc, s2, v11
                                        ; implicit-def: $vgpr9
	s_and_saveexec_b64 s[2:3], vcc
	s_xor_b64 s[2:3], exec, s[2:3]
; %bb.2880:
	v_bfe_u32 v9, v5, 21, 1
	s_mov_b32 s5, 0x80fffff
	v_add3_u32 v9, v5, v9, s5
	v_lshrrev_b32_e32 v9, 21, v9
; %bb.2881:
	s_andn2_saveexec_b64 s[2:3], s[2:3]
; %bb.2882:
	s_mov_b32 s5, 0x43000000
	v_add_f32_e64 v9, |v5|, s5
; %bb.2883:
	s_or_b64 exec, exec, s[2:3]
                                        ; implicit-def: $vgpr11
.LBB242_2884:
	s_andn2_saveexec_b64 s[0:1], s[0:1]
; %bb.2885:
	s_mov_b32 s2, 0x7f800000
	v_mov_b32_e32 v9, 0x7c
	v_mov_b32_e32 v12, 0x7f
	v_cmp_lt_u32_e32 vcc, s2, v11
	v_cndmask_b32_e32 v9, v9, v12, vcc
; %bb.2886:
	s_or_b64 exec, exec, s[0:1]
	v_lshrrev_b32_e32 v5, 24, v5
	s_movk_i32 s0, 0x80
	v_and_or_b32 v9, v5, s0, v9
.LBB242_2887:
	s_mov_b64 s[0:1], 0
.LBB242_2888:
	s_andn2_b64 vcc, exec, s[0:1]
	s_cbranch_vccnz .LBB242_2898
; %bb.2889:
	global_load_dword v5, v[7:8], off
	s_mov_b32 s0, 0x47800000
                                        ; implicit-def: $vgpr9
	s_waitcnt vmcnt(0)
	v_cvt_f32_f16_e32 v5, v5
	v_and_b32_e32 v11, 0x7fffffff, v5
	v_cmp_gt_u32_e32 vcc, s0, v11
	s_and_saveexec_b64 s[0:1], vcc
	s_xor_b64 s[0:1], exec, s[0:1]
	s_cbranch_execz .LBB242_2895
; %bb.2890:
	s_mov_b32 s2, 0x387fffff
	v_cmp_lt_u32_e32 vcc, s2, v11
                                        ; implicit-def: $vgpr9
	s_and_saveexec_b64 s[2:3], vcc
	s_xor_b64 s[2:3], exec, s[2:3]
; %bb.2891:
	v_bfe_u32 v9, v5, 21, 1
	s_mov_b32 s5, 0x80fffff
	v_add3_u32 v9, v5, v9, s5
	v_lshrrev_b32_e32 v9, 21, v9
; %bb.2892:
	s_andn2_saveexec_b64 s[2:3], s[2:3]
; %bb.2893:
	s_mov_b32 s5, 0x43000000
	v_add_f32_e64 v9, |v5|, s5
; %bb.2894:
	s_or_b64 exec, exec, s[2:3]
                                        ; implicit-def: $vgpr11
.LBB242_2895:
	s_andn2_saveexec_b64 s[0:1], s[0:1]
; %bb.2896:
	s_mov_b32 s2, 0x7f800000
	v_mov_b32_e32 v9, 0x7c
	v_mov_b32_e32 v12, 0x7f
	v_cmp_lt_u32_e32 vcc, s2, v11
	v_cndmask_b32_e32 v9, v9, v12, vcc
; %bb.2897:
	s_or_b64 exec, exec, s[0:1]
	v_lshrrev_b32_e32 v5, 24, v5
	s_movk_i32 s0, 0x80
	v_and_or_b32 v9, v5, s0, v9
.LBB242_2898:
	s_mov_b64 s[0:1], 0
.LBB242_2899:
	s_andn2_b64 vcc, exec, s[0:1]
	s_cbranch_vccnz .LBB242_2934
; %bb.2900:
	s_cmp_lt_i32 s4, 6
	s_cbranch_scc1 .LBB242_2911
; %bb.2901:
	s_cmp_gt_i32 s4, 6
	s_cbranch_scc0 .LBB242_2912
; %bb.2902:
	global_load_dwordx2 v[11:12], v[7:8], off
	s_mov_b32 s0, 0x47800000
                                        ; implicit-def: $vgpr9
	s_waitcnt vmcnt(0)
	v_cvt_f32_f64_e32 v5, v[11:12]
	v_and_b32_e32 v11, 0x7fffffff, v5
	v_cmp_gt_u32_e32 vcc, s0, v11
	s_and_saveexec_b64 s[0:1], vcc
	s_xor_b64 s[0:1], exec, s[0:1]
	s_cbranch_execz .LBB242_2908
; %bb.2903:
	s_mov_b32 s2, 0x387fffff
	v_cmp_lt_u32_e32 vcc, s2, v11
                                        ; implicit-def: $vgpr9
	s_and_saveexec_b64 s[2:3], vcc
	s_xor_b64 s[2:3], exec, s[2:3]
; %bb.2904:
	v_bfe_u32 v9, v5, 21, 1
	s_mov_b32 s5, 0x80fffff
	v_add3_u32 v9, v5, v9, s5
	v_lshrrev_b32_e32 v9, 21, v9
; %bb.2905:
	s_andn2_saveexec_b64 s[2:3], s[2:3]
; %bb.2906:
	s_mov_b32 s5, 0x43000000
	v_add_f32_e64 v9, |v5|, s5
; %bb.2907:
	s_or_b64 exec, exec, s[2:3]
                                        ; implicit-def: $vgpr11
.LBB242_2908:
	s_andn2_saveexec_b64 s[0:1], s[0:1]
; %bb.2909:
	s_mov_b32 s2, 0x7f800000
	v_mov_b32_e32 v9, 0x7c
	v_mov_b32_e32 v12, 0x7f
	v_cmp_lt_u32_e32 vcc, s2, v11
	v_cndmask_b32_e32 v9, v9, v12, vcc
; %bb.2910:
	s_or_b64 exec, exec, s[0:1]
	v_lshrrev_b32_e32 v5, 24, v5
	s_movk_i32 s0, 0x80
	v_and_or_b32 v9, v5, s0, v9
	s_mov_b64 s[0:1], 0
	s_branch .LBB242_2913
.LBB242_2911:
	s_mov_b64 s[0:1], -1
                                        ; implicit-def: $vgpr9
	s_branch .LBB242_2924
.LBB242_2912:
	s_mov_b64 s[0:1], -1
                                        ; implicit-def: $vgpr9
.LBB242_2913:
	s_and_b64 vcc, exec, s[0:1]
	s_cbranch_vccz .LBB242_2923
; %bb.2914:
	global_load_dword v5, v[7:8], off
	s_mov_b32 s0, 0x47800000
                                        ; implicit-def: $vgpr9
	s_waitcnt vmcnt(0)
	v_and_b32_e32 v11, 0x7fffffff, v5
	v_cmp_gt_u32_e32 vcc, s0, v11
	s_and_saveexec_b64 s[0:1], vcc
	s_xor_b64 s[0:1], exec, s[0:1]
	s_cbranch_execz .LBB242_2920
; %bb.2915:
	s_mov_b32 s2, 0x387fffff
	v_cmp_lt_u32_e32 vcc, s2, v11
                                        ; implicit-def: $vgpr9
	s_and_saveexec_b64 s[2:3], vcc
	s_xor_b64 s[2:3], exec, s[2:3]
; %bb.2916:
	v_bfe_u32 v9, v5, 21, 1
	s_mov_b32 s5, 0x80fffff
	v_add3_u32 v9, v5, v9, s5
	v_lshrrev_b32_e32 v9, 21, v9
; %bb.2917:
	s_andn2_saveexec_b64 s[2:3], s[2:3]
; %bb.2918:
	s_mov_b32 s5, 0x43000000
	v_add_f32_e64 v9, |v5|, s5
; %bb.2919:
	s_or_b64 exec, exec, s[2:3]
                                        ; implicit-def: $vgpr11
.LBB242_2920:
	s_andn2_saveexec_b64 s[0:1], s[0:1]
; %bb.2921:
	s_mov_b32 s2, 0x7f800000
	v_mov_b32_e32 v9, 0x7c
	v_mov_b32_e32 v12, 0x7f
	v_cmp_lt_u32_e32 vcc, s2, v11
	v_cndmask_b32_e32 v9, v9, v12, vcc
; %bb.2922:
	s_or_b64 exec, exec, s[0:1]
	v_lshrrev_b32_e32 v5, 24, v5
	s_movk_i32 s0, 0x80
	v_and_or_b32 v9, v5, s0, v9
.LBB242_2923:
	s_mov_b64 s[0:1], 0
.LBB242_2924:
	s_andn2_b64 vcc, exec, s[0:1]
	s_cbranch_vccnz .LBB242_2934
; %bb.2925:
	global_load_ushort v5, v[7:8], off
	s_mov_b32 s0, 0x47800000
                                        ; implicit-def: $vgpr9
	s_waitcnt vmcnt(0)
	v_cvt_f32_f16_e32 v5, v5
	v_and_b32_e32 v11, 0x7fffffff, v5
	v_cmp_gt_u32_e32 vcc, s0, v11
	s_and_saveexec_b64 s[0:1], vcc
	s_xor_b64 s[0:1], exec, s[0:1]
	s_cbranch_execz .LBB242_2931
; %bb.2926:
	s_mov_b32 s2, 0x387fffff
	v_cmp_lt_u32_e32 vcc, s2, v11
                                        ; implicit-def: $vgpr9
	s_and_saveexec_b64 s[2:3], vcc
	s_xor_b64 s[2:3], exec, s[2:3]
; %bb.2927:
	v_bfe_u32 v9, v5, 21, 1
	s_mov_b32 s5, 0x80fffff
	v_add3_u32 v9, v5, v9, s5
	v_lshrrev_b32_e32 v9, 21, v9
; %bb.2928:
	s_andn2_saveexec_b64 s[2:3], s[2:3]
; %bb.2929:
	s_mov_b32 s5, 0x43000000
	v_add_f32_e64 v9, |v5|, s5
; %bb.2930:
	s_or_b64 exec, exec, s[2:3]
                                        ; implicit-def: $vgpr11
.LBB242_2931:
	s_andn2_saveexec_b64 s[0:1], s[0:1]
; %bb.2932:
	s_mov_b32 s2, 0x7f800000
	v_mov_b32_e32 v9, 0x7c
	v_mov_b32_e32 v12, 0x7f
	v_cmp_lt_u32_e32 vcc, s2, v11
	v_cndmask_b32_e32 v9, v9, v12, vcc
; %bb.2933:
	s_or_b64 exec, exec, s[0:1]
	v_lshrrev_b32_e32 v5, 24, v5
	s_movk_i32 s0, 0x80
	v_and_or_b32 v9, v5, s0, v9
.LBB242_2934:
	s_mov_b64 s[0:1], 0
.LBB242_2935:
	s_andn2_b64 vcc, exec, s[0:1]
	s_cbranch_vccnz .LBB242_2995
; %bb.2936:
	s_cmp_lt_i32 s4, 2
	s_cbranch_scc1 .LBB242_2948
; %bb.2937:
	s_cmp_lt_i32 s4, 3
	s_cbranch_scc1 .LBB242_2949
; %bb.2938:
	s_cmp_gt_i32 s4, 3
	s_cbranch_scc0 .LBB242_2950
; %bb.2939:
	global_load_dwordx2 v[11:12], v[7:8], off
	s_mov_b32 s0, 0x47800000
	s_waitcnt vmcnt(0)
	v_xor_b32_e32 v9, v11, v12
	v_ffbh_i32_e32 v5, v12
	v_ashrrev_i32_e32 v9, 31, v9
	v_add_u32_e32 v5, -1, v5
	v_add_u32_e32 v9, 32, v9
	v_min_u32_e32 v5, v5, v9
	v_lshlrev_b64 v[11:12], v5, v[11:12]
	v_sub_u32_e32 v5, 32, v5
	v_min_u32_e32 v9, 1, v11
	v_or_b32_e32 v9, v12, v9
	v_cvt_f32_i32_e32 v9, v9
	v_ldexp_f32 v5, v9, v5
	v_and_b32_e32 v11, 0x7fffffff, v5
	v_cmp_gt_u32_e32 vcc, s0, v11
                                        ; implicit-def: $vgpr9
	s_and_saveexec_b64 s[0:1], vcc
	s_xor_b64 s[0:1], exec, s[0:1]
	s_cbranch_execz .LBB242_2945
; %bb.2940:
	s_mov_b32 s2, 0x387fffff
	v_cmp_lt_u32_e32 vcc, s2, v11
                                        ; implicit-def: $vgpr9
	s_and_saveexec_b64 s[2:3], vcc
	s_xor_b64 s[2:3], exec, s[2:3]
; %bb.2941:
	v_bfe_u32 v9, v5, 21, 1
	s_mov_b32 s5, 0x80fffff
	v_add3_u32 v9, v5, v9, s5
	v_lshrrev_b32_e32 v9, 21, v9
; %bb.2942:
	s_andn2_saveexec_b64 s[2:3], s[2:3]
; %bb.2943:
	s_mov_b32 s5, 0x43000000
	v_add_f32_e64 v9, |v5|, s5
; %bb.2944:
	s_or_b64 exec, exec, s[2:3]
                                        ; implicit-def: $vgpr11
.LBB242_2945:
	s_andn2_saveexec_b64 s[0:1], s[0:1]
; %bb.2946:
	s_mov_b32 s2, 0x7f800000
	v_mov_b32_e32 v9, 0x7c
	v_mov_b32_e32 v12, 0x7f
	v_cmp_lt_u32_e32 vcc, s2, v11
	v_cndmask_b32_e32 v9, v9, v12, vcc
; %bb.2947:
	s_or_b64 exec, exec, s[0:1]
	v_lshrrev_b32_e32 v5, 24, v5
	s_movk_i32 s0, 0x80
	v_and_or_b32 v9, v5, s0, v9
	s_mov_b64 s[0:1], 0
	s_branch .LBB242_2951
.LBB242_2948:
	s_mov_b64 s[0:1], -1
                                        ; implicit-def: $vgpr9
	s_branch .LBB242_2973
.LBB242_2949:
	s_mov_b64 s[0:1], -1
                                        ; implicit-def: $vgpr9
	s_branch .LBB242_2962
.LBB242_2950:
	s_mov_b64 s[0:1], -1
                                        ; implicit-def: $vgpr9
.LBB242_2951:
	s_and_b64 vcc, exec, s[0:1]
	s_cbranch_vccz .LBB242_2961
; %bb.2952:
	global_load_dword v5, v[7:8], off
	s_mov_b32 s0, 0x47800000
                                        ; implicit-def: $vgpr9
	s_waitcnt vmcnt(0)
	v_cvt_f32_i32_e32 v5, v5
	v_and_b32_e32 v11, 0x7fffffff, v5
	v_cmp_gt_u32_e32 vcc, s0, v11
	s_and_saveexec_b64 s[0:1], vcc
	s_xor_b64 s[0:1], exec, s[0:1]
	s_cbranch_execz .LBB242_2958
; %bb.2953:
	s_mov_b32 s2, 0x387fffff
	v_cmp_lt_u32_e32 vcc, s2, v11
                                        ; implicit-def: $vgpr9
	s_and_saveexec_b64 s[2:3], vcc
	s_xor_b64 s[2:3], exec, s[2:3]
; %bb.2954:
	v_bfe_u32 v9, v5, 21, 1
	s_mov_b32 s5, 0x80fffff
	v_add3_u32 v9, v5, v9, s5
	v_lshrrev_b32_e32 v9, 21, v9
; %bb.2955:
	s_andn2_saveexec_b64 s[2:3], s[2:3]
; %bb.2956:
	s_mov_b32 s5, 0x43000000
	v_add_f32_e64 v9, |v5|, s5
; %bb.2957:
	s_or_b64 exec, exec, s[2:3]
                                        ; implicit-def: $vgpr11
.LBB242_2958:
	s_andn2_saveexec_b64 s[0:1], s[0:1]
; %bb.2959:
	s_mov_b32 s2, 0x7f800000
	v_mov_b32_e32 v9, 0x7c
	v_mov_b32_e32 v12, 0x7f
	v_cmp_lt_u32_e32 vcc, s2, v11
	v_cndmask_b32_e32 v9, v9, v12, vcc
; %bb.2960:
	s_or_b64 exec, exec, s[0:1]
	v_lshrrev_b32_e32 v5, 24, v5
	s_movk_i32 s0, 0x80
	v_and_or_b32 v9, v5, s0, v9
.LBB242_2961:
	s_mov_b64 s[0:1], 0
.LBB242_2962:
	s_andn2_b64 vcc, exec, s[0:1]
	s_cbranch_vccnz .LBB242_2972
; %bb.2963:
	global_load_sshort v5, v[7:8], off
	s_mov_b32 s0, 0x47800000
                                        ; implicit-def: $vgpr9
	s_waitcnt vmcnt(0)
	v_cvt_f32_i32_e32 v5, v5
	v_and_b32_e32 v11, 0x7fffffff, v5
	v_cmp_gt_u32_e32 vcc, s0, v11
	s_and_saveexec_b64 s[0:1], vcc
	s_xor_b64 s[0:1], exec, s[0:1]
	s_cbranch_execz .LBB242_2969
; %bb.2964:
	s_mov_b32 s2, 0x387fffff
	v_cmp_lt_u32_e32 vcc, s2, v11
                                        ; implicit-def: $vgpr9
	s_and_saveexec_b64 s[2:3], vcc
	s_xor_b64 s[2:3], exec, s[2:3]
; %bb.2965:
	v_bfe_u32 v9, v5, 21, 1
	s_mov_b32 s5, 0x80fffff
	v_add3_u32 v9, v5, v9, s5
	v_lshrrev_b32_e32 v9, 21, v9
; %bb.2966:
	s_andn2_saveexec_b64 s[2:3], s[2:3]
; %bb.2967:
	s_mov_b32 s5, 0x43000000
	v_add_f32_e64 v9, |v5|, s5
; %bb.2968:
	s_or_b64 exec, exec, s[2:3]
                                        ; implicit-def: $vgpr11
.LBB242_2969:
	s_andn2_saveexec_b64 s[0:1], s[0:1]
; %bb.2970:
	s_mov_b32 s2, 0x7f800000
	v_mov_b32_e32 v9, 0x7c
	v_mov_b32_e32 v12, 0x7f
	v_cmp_lt_u32_e32 vcc, s2, v11
	v_cndmask_b32_e32 v9, v9, v12, vcc
; %bb.2971:
	s_or_b64 exec, exec, s[0:1]
	v_lshrrev_b32_e32 v5, 24, v5
	s_movk_i32 s0, 0x80
	v_and_or_b32 v9, v5, s0, v9
.LBB242_2972:
	s_mov_b64 s[0:1], 0
.LBB242_2973:
	s_andn2_b64 vcc, exec, s[0:1]
	s_cbranch_vccnz .LBB242_2995
; %bb.2974:
	s_cmp_gt_i32 s4, 0
	s_cbranch_scc0 .LBB242_2984
; %bb.2975:
	global_load_sbyte v5, v[7:8], off
	s_mov_b32 s0, 0x47800000
                                        ; implicit-def: $vgpr9
	s_waitcnt vmcnt(0)
	v_cvt_f32_i32_e32 v5, v5
	v_and_b32_e32 v11, 0x7fffffff, v5
	v_cmp_gt_u32_e32 vcc, s0, v11
	s_and_saveexec_b64 s[0:1], vcc
	s_xor_b64 s[0:1], exec, s[0:1]
	s_cbranch_execz .LBB242_2981
; %bb.2976:
	s_mov_b32 s2, 0x387fffff
	v_cmp_lt_u32_e32 vcc, s2, v11
                                        ; implicit-def: $vgpr9
	s_and_saveexec_b64 s[2:3], vcc
	s_xor_b64 s[2:3], exec, s[2:3]
; %bb.2977:
	v_bfe_u32 v9, v5, 21, 1
	s_mov_b32 s4, 0x80fffff
	v_add3_u32 v9, v5, v9, s4
	v_lshrrev_b32_e32 v9, 21, v9
; %bb.2978:
	s_andn2_saveexec_b64 s[2:3], s[2:3]
; %bb.2979:
	s_mov_b32 s4, 0x43000000
	v_add_f32_e64 v9, |v5|, s4
; %bb.2980:
	s_or_b64 exec, exec, s[2:3]
                                        ; implicit-def: $vgpr11
.LBB242_2981:
	s_andn2_saveexec_b64 s[0:1], s[0:1]
; %bb.2982:
	s_mov_b32 s2, 0x7f800000
	v_mov_b32_e32 v9, 0x7c
	v_mov_b32_e32 v12, 0x7f
	v_cmp_lt_u32_e32 vcc, s2, v11
	v_cndmask_b32_e32 v9, v9, v12, vcc
; %bb.2983:
	s_or_b64 exec, exec, s[0:1]
	v_lshrrev_b32_e32 v5, 24, v5
	s_movk_i32 s0, 0x80
	v_and_or_b32 v9, v5, s0, v9
	s_mov_b64 s[0:1], 0
	s_branch .LBB242_2985
.LBB242_2984:
	s_mov_b64 s[0:1], -1
                                        ; implicit-def: $vgpr9
.LBB242_2985:
	s_and_b64 vcc, exec, s[0:1]
	s_cbranch_vccz .LBB242_2995
; %bb.2986:
	global_load_ubyte v5, v[7:8], off
	s_mov_b32 s0, 0x47800000
                                        ; implicit-def: $vgpr9
	s_waitcnt vmcnt(0)
	v_cvt_f32_ubyte0_e32 v5, v5
	v_cmp_gt_u32_e32 vcc, s0, v5
	s_and_saveexec_b64 s[0:1], vcc
	s_xor_b64 s[0:1], exec, s[0:1]
	s_cbranch_execz .LBB242_2992
; %bb.2987:
	s_mov_b32 s2, 0x387fffff
	v_cmp_lt_u32_e32 vcc, s2, v5
                                        ; implicit-def: $vgpr9
	s_and_saveexec_b64 s[2:3], vcc
	s_xor_b64 s[2:3], exec, s[2:3]
; %bb.2988:
	v_bfe_u32 v7, v5, 21, 1
	s_mov_b32 s4, 0x80fffff
	v_add3_u32 v5, v5, v7, s4
	v_lshrrev_b32_e32 v9, 21, v5
                                        ; implicit-def: $vgpr5
; %bb.2989:
	s_andn2_saveexec_b64 s[2:3], s[2:3]
; %bb.2990:
	v_add_f32_e32 v9, 0x43000000, v5
; %bb.2991:
	s_or_b64 exec, exec, s[2:3]
                                        ; implicit-def: $vgpr5
.LBB242_2992:
	s_andn2_saveexec_b64 s[0:1], s[0:1]
; %bb.2993:
	s_mov_b32 s2, 0x7f800000
	v_mov_b32_e32 v7, 0x7c
	v_mov_b32_e32 v8, 0x7f
	v_cmp_lt_u32_e32 vcc, s2, v5
	v_cndmask_b32_e32 v9, v7, v8, vcc
; %bb.2994:
	s_or_b64 exec, exec, s[0:1]
.LBB242_2995:
	s_mov_b64 s[4:5], -1
.LBB242_2996:
	s_andn2_b64 vcc, exec, s[4:5]
	s_cbranch_vccnz .LBB242_3430
; %bb.2997:
	s_load_dwordx2 s[2:3], s[34:35], 0x158
	s_load_dword s5, s[34:35], 0x160
	v_mov_b32_e32 v7, 0x7800000
	s_movk_i32 s4, 0x7f00
	s_brev_b32 s14, 16
	s_waitcnt lgkmcnt(0)
	s_cmp_eq_u32 s2, 0
	s_cselect_b64 s[0:1], -1, 0
	s_lshl_b32 s2, s3, 8
	s_lshl_b32 s10, s3, 25
	s_lshr_b32 s11, s10, 4
	s_and_b32 s2, s2, 0x7f00
	s_or_b32 s11, s11, 0x70000000
	s_or_b32 s2, s2, 0.5
	s_cmp_lt_u32 s10, 0x8000000
	v_add_f32_e64 v5, s2, -0.5
	v_mul_f32_e32 v7, s11, v7
	s_cselect_b64 vcc, -1, 0
	s_lshl_b32 s2, s3, 24
	v_cndmask_b32_e32 v5, v7, v5, vcc
	s_and_b32 s2, s2, 0x80000000
	v_or_b32_e32 v7, s2, v5
	v_lshlrev_b16_e32 v5, 8, v1
	v_lshlrev_b32_e32 v1, 25, v1
	v_lshrrev_b32_e32 v8, 4, v1
	v_or_b32_e32 v8, 0x70000000, v8
	v_and_or_b32 v11, v5, s4, 0.5
	v_add_f32_e32 v11, -0.5, v11
	v_mul_f32_e32 v8, 0x7800000, v8
	v_cmp_gt_u32_e32 vcc, s14, v1
	s_brev_b32 s3, 1
	v_cndmask_b32_e32 v1, v8, v11, vcc
	v_bfe_i32 v5, v5, 0, 16
	v_and_or_b32 v1, v5, s3, v1
	v_cmp_eq_f32_e32 vcc, v7, v1
	v_cndmask_b32_e64 v5, 0, 1, vcc
	v_cmp_neq_f32_e32 vcc, v7, v1
	v_cndmask_b32_e64 v1, 0, 1, vcc
	v_cndmask_b32_e64 v1, v1, v5, s[0:1]
	v_and_b32_e32 v1, 1, v1
	s_and_b32 s20, s5, 0xff
	v_cmp_eq_u32_e64 s[2:3], 1, v1
	v_mov_b32_e32 v1, s9
	v_add_co_u32_e32 v5, vcc, s8, v6
	s_cmp_lt_i32 s20, 11
	v_addc_co_u32_e32 v6, vcc, 0, v1, vcc
	s_cbranch_scc1 .LBB242_3075
; %bb.2998:
	s_and_b32 s21, 0xffff, s20
	s_mov_b64 s[16:17], -1
	s_mov_b64 s[10:11], 0
	s_cmp_gt_i32 s21, 25
	s_mov_b64 s[14:15], 0
	s_mov_b64 s[4:5], 0
	s_cbranch_scc0 .LBB242_3031
; %bb.2999:
	s_cmp_gt_i32 s21, 28
	s_cbranch_scc0 .LBB242_3014
; %bb.3000:
	s_cmp_gt_i32 s21, 43
	;; [unrolled: 3-line block ×3, first 2 shown]
	s_cbranch_scc0 .LBB242_3004
; %bb.3002:
	s_mov_b64 s[4:5], -1
	s_mov_b64 s[16:17], 0
	s_cmp_eq_u32 s21, 46
	s_cbranch_scc0 .LBB242_3004
; %bb.3003:
	v_cndmask_b32_e64 v1, 0, 1.0, s[2:3]
	v_bfe_u32 v8, v1, 16, 1
	s_movk_i32 s4, 0x7fff
	v_add3_u32 v1, v1, v8, s4
	v_lshrrev_b32_e32 v1, 16, v1
	global_store_dword v[5:6], v1, off
	s_mov_b64 s[4:5], 0
	s_mov_b64 s[14:15], -1
.LBB242_3004:
	s_and_b64 vcc, exec, s[16:17]
	s_cbranch_vccz .LBB242_3009
; %bb.3005:
	s_cmp_eq_u32 s21, 44
	s_mov_b64 s[4:5], -1
	s_cbranch_scc0 .LBB242_3009
; %bb.3006:
	v_cndmask_b32_e64 v8, 0, 1.0, s[2:3]
	v_lshrrev_b32_e32 v1, 23, v8
	s_movk_i32 s4, 0xff
	v_cmp_ne_u32_e32 vcc, s4, v1
	v_mov_b32_e32 v11, 0xff
	s_and_saveexec_b64 s[14:15], vcc
; %bb.3007:
	s_mov_b32 s4, 0x3fffff
	v_and_b32_e32 v11, 0x400000, v8
	v_and_or_b32 v8, v8, s4, v1
	v_cmp_ne_u32_e32 vcc, 0, v11
	v_cmp_ne_u32_e64 s[4:5], 0, v8
	s_and_b64 s[4:5], vcc, s[4:5]
	v_cndmask_b32_e64 v8, 0, 1, s[4:5]
	v_add_u32_e32 v11, v1, v8
; %bb.3008:
	s_or_b64 exec, exec, s[14:15]
	s_mov_b64 s[4:5], 0
	s_mov_b64 s[14:15], -1
	global_store_byte v[5:6], v11, off
.LBB242_3009:
	s_mov_b64 s[16:17], 0
.LBB242_3010:
	s_and_b64 vcc, exec, s[16:17]
	s_cbranch_vccz .LBB242_3013
; %bb.3011:
	s_cmp_eq_u32 s21, 29
	s_mov_b64 s[4:5], -1
	s_cbranch_scc0 .LBB242_3013
; %bb.3012:
	s_mov_b32 s4, 0
	v_cndmask_b32_e64 v11, 0, 1, s[2:3]
	v_mov_b32_e32 v12, s4
	global_store_dwordx2 v[5:6], v[11:12], off
	s_mov_b64 s[4:5], 0
	s_mov_b64 s[14:15], -1
.LBB242_3013:
	s_mov_b64 s[16:17], 0
.LBB242_3014:
	s_and_b64 vcc, exec, s[16:17]
	s_cbranch_vccz .LBB242_3030
; %bb.3015:
	s_cmp_lt_i32 s21, 27
	s_mov_b64 s[14:15], -1
	s_cbranch_scc1 .LBB242_3021
; %bb.3016:
	s_cmp_gt_i32 s21, 27
	s_cbranch_scc0 .LBB242_3018
; %bb.3017:
	v_cndmask_b32_e64 v1, 0, 1, s[2:3]
	s_mov_b64 s[14:15], 0
	global_store_dword v[5:6], v1, off
.LBB242_3018:
	s_andn2_b64 vcc, exec, s[14:15]
	s_cbranch_vccnz .LBB242_3020
; %bb.3019:
	v_cndmask_b32_e64 v1, 0, 1, s[2:3]
	global_store_short v[5:6], v1, off
.LBB242_3020:
	s_mov_b64 s[14:15], 0
.LBB242_3021:
	s_andn2_b64 vcc, exec, s[14:15]
	s_cbranch_vccnz .LBB242_3029
; %bb.3022:
	v_cndmask_b32_e64 v8, 0, 1.0, s[2:3]
	s_mov_b32 s14, 0x43800000
	v_cmp_gt_u32_e32 vcc, s14, v8
	v_mov_b32_e32 v11, 0x80
	s_and_saveexec_b64 s[14:15], vcc
	s_cbranch_execz .LBB242_3028
; %bb.3023:
	s_mov_b32 s16, 0x3bffffff
	v_cmp_lt_u32_e32 vcc, s16, v8
	s_mov_b64 s[16:17], 0
                                        ; implicit-def: $vgpr1
	s_and_saveexec_b64 s[18:19], vcc
	s_xor_b64 s[18:19], exec, s[18:19]
	s_cbranch_execz .LBB242_3477
; %bb.3024:
	v_bfe_u32 v1, v8, 20, 1
	s_mov_b32 s22, 0x487ffff
	v_add3_u32 v1, v8, v1, s22
	s_mov_b64 s[16:17], exec
	v_lshrrev_b32_e32 v1, 20, v1
                                        ; implicit-def: $vgpr8
	s_andn2_saveexec_b64 s[18:19], s[18:19]
	s_cbranch_execnz .LBB242_3478
.LBB242_3025:
	s_or_b64 exec, exec, s[18:19]
	v_mov_b32_e32 v11, 0
	s_and_saveexec_b64 s[18:19], s[16:17]
.LBB242_3026:
	v_mov_b32_e32 v11, v1
.LBB242_3027:
	s_or_b64 exec, exec, s[18:19]
.LBB242_3028:
	s_or_b64 exec, exec, s[14:15]
	global_store_byte v[5:6], v11, off
.LBB242_3029:
	s_mov_b64 s[14:15], -1
.LBB242_3030:
	s_mov_b64 s[16:17], 0
.LBB242_3031:
	s_and_b64 vcc, exec, s[16:17]
	s_cbranch_vccz .LBB242_3071
; %bb.3032:
	s_cmp_gt_i32 s21, 22
	s_mov_b64 s[10:11], -1
	s_cbranch_scc0 .LBB242_3064
; %bb.3033:
	s_cmp_lt_i32 s21, 24
	s_cbranch_scc1 .LBB242_3053
; %bb.3034:
	s_cmp_gt_i32 s21, 24
	s_cbranch_scc0 .LBB242_3042
; %bb.3035:
	v_cndmask_b32_e64 v8, 0, 1.0, s[2:3]
	s_mov_b32 s10, 0x47800000
	v_cmp_gt_u32_e32 vcc, s10, v8
	v_mov_b32_e32 v11, 0x80
	s_and_saveexec_b64 s[10:11], vcc
	s_cbranch_execz .LBB242_3041
; %bb.3036:
	s_mov_b32 s14, 0x37ffffff
	v_cmp_lt_u32_e32 vcc, s14, v8
	s_mov_b64 s[14:15], 0
                                        ; implicit-def: $vgpr1
	s_and_saveexec_b64 s[16:17], vcc
	s_xor_b64 s[16:17], exec, s[16:17]
	s_cbranch_execz .LBB242_3480
; %bb.3037:
	v_bfe_u32 v1, v8, 21, 1
	s_mov_b32 s18, 0x88fffff
	v_add3_u32 v1, v8, v1, s18
	s_mov_b64 s[14:15], exec
	v_lshrrev_b32_e32 v1, 21, v1
                                        ; implicit-def: $vgpr8
	s_andn2_saveexec_b64 s[16:17], s[16:17]
	s_cbranch_execnz .LBB242_3481
.LBB242_3038:
	s_or_b64 exec, exec, s[16:17]
	v_mov_b32_e32 v11, 0
	s_and_saveexec_b64 s[16:17], s[14:15]
.LBB242_3039:
	v_mov_b32_e32 v11, v1
.LBB242_3040:
	s_or_b64 exec, exec, s[16:17]
.LBB242_3041:
	s_or_b64 exec, exec, s[10:11]
	s_mov_b64 s[10:11], 0
	global_store_byte v[5:6], v11, off
.LBB242_3042:
	s_and_b64 vcc, exec, s[10:11]
	s_cbranch_vccz .LBB242_3052
; %bb.3043:
	v_cndmask_b32_e64 v1, 0, 1.0, s[2:3]
	s_mov_b32 s10, 0x43f00000
	v_cmp_gt_u32_e32 vcc, s10, v1
                                        ; implicit-def: $vgpr8
	s_and_saveexec_b64 s[10:11], vcc
	s_xor_b64 s[10:11], exec, s[10:11]
	s_cbranch_execz .LBB242_3049
; %bb.3044:
	s_mov_b32 s14, 0x3c7fffff
	v_cmp_lt_u32_e32 vcc, s14, v1
                                        ; implicit-def: $vgpr8
	s_and_saveexec_b64 s[14:15], vcc
	s_xor_b64 s[14:15], exec, s[14:15]
; %bb.3045:
	v_bfe_u32 v8, v1, 20, 1
	s_mov_b32 s16, 0x407ffff
	v_add3_u32 v1, v1, v8, s16
	v_lshrrev_b32_e32 v8, 20, v1
	v_and_b32_e32 v1, 0xff00000, v1
	s_mov_b32 s16, 0x7f00000
	v_mov_b32_e32 v11, 0x7e
	v_cmp_ne_u32_e32 vcc, s16, v1
	v_cndmask_b32_e32 v8, v11, v8, vcc
                                        ; implicit-def: $vgpr1
; %bb.3046:
	s_andn2_saveexec_b64 s[14:15], s[14:15]
; %bb.3047:
	v_add_f32_e32 v8, 0x46800000, v1
; %bb.3048:
	s_or_b64 exec, exec, s[14:15]
                                        ; implicit-def: $vgpr1
.LBB242_3049:
	s_andn2_saveexec_b64 s[10:11], s[10:11]
; %bb.3050:
	s_mov_b32 s14, 0x7f800000
	v_mov_b32_e32 v8, 0x7e
	v_mov_b32_e32 v11, 0x7f
	v_cmp_lt_u32_e32 vcc, s14, v1
	v_cndmask_b32_e32 v8, v8, v11, vcc
; %bb.3051:
	s_or_b64 exec, exec, s[10:11]
	global_store_byte v[5:6], v8, off
.LBB242_3052:
	s_mov_b64 s[10:11], 0
.LBB242_3053:
	s_andn2_b64 vcc, exec, s[10:11]
	s_cbranch_vccnz .LBB242_3063
; %bb.3054:
	v_cndmask_b32_e64 v1, 0, 1.0, s[2:3]
	s_mov_b32 s10, 0x47800000
	v_cmp_gt_u32_e32 vcc, s10, v1
                                        ; implicit-def: $vgpr8
	s_and_saveexec_b64 s[10:11], vcc
	s_xor_b64 s[10:11], exec, s[10:11]
	s_cbranch_execz .LBB242_3060
; %bb.3055:
	s_mov_b32 s14, 0x387fffff
	v_cmp_lt_u32_e32 vcc, s14, v1
                                        ; implicit-def: $vgpr8
	s_and_saveexec_b64 s[14:15], vcc
	s_xor_b64 s[14:15], exec, s[14:15]
; %bb.3056:
	v_bfe_u32 v8, v1, 21, 1
	s_mov_b32 s16, 0x80fffff
	v_add3_u32 v1, v1, v8, s16
	v_lshrrev_b32_e32 v8, 21, v1
                                        ; implicit-def: $vgpr1
; %bb.3057:
	s_andn2_saveexec_b64 s[14:15], s[14:15]
; %bb.3058:
	v_add_f32_e32 v8, 0x43000000, v1
; %bb.3059:
	s_or_b64 exec, exec, s[14:15]
                                        ; implicit-def: $vgpr1
.LBB242_3060:
	s_andn2_saveexec_b64 s[10:11], s[10:11]
; %bb.3061:
	s_mov_b32 s14, 0x7f800000
	v_mov_b32_e32 v8, 0x7c
	v_mov_b32_e32 v11, 0x7f
	v_cmp_lt_u32_e32 vcc, s14, v1
	v_cndmask_b32_e32 v8, v8, v11, vcc
; %bb.3062:
	s_or_b64 exec, exec, s[10:11]
	global_store_byte v[5:6], v8, off
.LBB242_3063:
	s_mov_b64 s[10:11], 0
	s_mov_b64 s[14:15], -1
.LBB242_3064:
	s_andn2_b64 vcc, exec, s[10:11]
	s_mov_b64 s[10:11], 0
	s_cbranch_vccnz .LBB242_3071
; %bb.3065:
	s_cmp_gt_i32 s21, 14
	s_mov_b64 s[16:17], -1
	s_cbranch_scc0 .LBB242_3069
; %bb.3066:
	s_cmp_eq_u32 s21, 15
	s_mov_b64 s[4:5], -1
	s_cbranch_scc0 .LBB242_3068
; %bb.3067:
	v_cndmask_b32_e64 v1, 0, 1.0, s[2:3]
	v_bfe_u32 v8, v1, 16, 1
	s_movk_i32 s4, 0x7fff
	v_add3_u32 v1, v1, v8, s4
	global_store_short_d16_hi v[5:6], v1, off
	s_mov_b64 s[4:5], 0
	s_mov_b64 s[14:15], -1
.LBB242_3068:
	s_mov_b64 s[16:17], 0
.LBB242_3069:
	s_and_b64 vcc, exec, s[16:17]
	s_cbranch_vccz .LBB242_3071
; %bb.3070:
	s_cmp_lg_u32 s21, 11
	s_mov_b64 s[10:11], -1
	s_cselect_b64 s[4:5], -1, 0
.LBB242_3071:
	s_and_b64 vcc, exec, s[4:5]
	s_cbranch_vccnz .LBB242_3479
; %bb.3072:
	s_andn2_b64 vcc, exec, s[10:11]
	s_cbranch_vccnz .LBB242_3074
.LBB242_3073:
	v_cndmask_b32_e64 v1, 0, 1, s[2:3]
	s_mov_b64 s[14:15], -1
	global_store_byte v[5:6], v1, off
.LBB242_3074:
	s_mov_b64 s[4:5], 0
	s_branch .LBB242_3076
.LBB242_3075:
	s_mov_b64 s[4:5], -1
	s_mov_b64 s[14:15], 0
.LBB242_3076:
	s_and_b64 vcc, exec, s[4:5]
	s_cbranch_vccz .LBB242_3115
; %bb.3077:
	s_and_b32 s10, 0xffff, s20
	s_cmp_lt_i32 s10, 5
	s_mov_b64 s[4:5], -1
	s_cbranch_scc1 .LBB242_3098
; %bb.3078:
	s_cmp_lt_i32 s10, 8
	s_cbranch_scc1 .LBB242_3088
; %bb.3079:
	s_cmp_lt_i32 s10, 9
	s_cbranch_scc1 .LBB242_3085
; %bb.3080:
	s_cmp_gt_i32 s10, 9
	s_cbranch_scc0 .LBB242_3082
; %bb.3081:
	v_cndmask_b32_e64 v1, 0, 1, s[2:3]
	v_cvt_f64_u32_e32 v[11:12], v1
	v_mov_b32_e32 v13, 0
	v_mov_b32_e32 v14, v13
	s_mov_b64 s[4:5], 0
	global_store_dwordx4 v[5:6], v[11:14], off
.LBB242_3082:
	s_andn2_b64 vcc, exec, s[4:5]
	s_cbranch_vccnz .LBB242_3084
; %bb.3083:
	v_cndmask_b32_e64 v11, 0, 1.0, s[2:3]
	v_mov_b32_e32 v12, 0
	global_store_dwordx2 v[5:6], v[11:12], off
.LBB242_3084:
	s_mov_b64 s[4:5], 0
.LBB242_3085:
	s_andn2_b64 vcc, exec, s[4:5]
	s_cbranch_vccnz .LBB242_3087
; %bb.3086:
	v_cndmask_b32_e64 v1, 0, 1.0, s[2:3]
	v_cvt_f16_f32_e32 v1, v1
	global_store_dword v[5:6], v1, off
.LBB242_3087:
	s_mov_b64 s[4:5], 0
.LBB242_3088:
	s_andn2_b64 vcc, exec, s[4:5]
	s_cbranch_vccnz .LBB242_3097
; %bb.3089:
	s_cmp_lt_i32 s10, 6
	s_mov_b64 s[4:5], -1
	s_cbranch_scc1 .LBB242_3095
; %bb.3090:
	s_cmp_gt_i32 s10, 6
	s_cbranch_scc0 .LBB242_3092
; %bb.3091:
	v_cndmask_b32_e64 v1, 0, 1, s[2:3]
	v_cvt_f64_u32_e32 v[11:12], v1
	s_mov_b64 s[4:5], 0
	global_store_dwordx2 v[5:6], v[11:12], off
.LBB242_3092:
	s_andn2_b64 vcc, exec, s[4:5]
	s_cbranch_vccnz .LBB242_3094
; %bb.3093:
	v_cndmask_b32_e64 v1, 0, 1.0, s[2:3]
	global_store_dword v[5:6], v1, off
.LBB242_3094:
	s_mov_b64 s[4:5], 0
.LBB242_3095:
	s_andn2_b64 vcc, exec, s[4:5]
	s_cbranch_vccnz .LBB242_3097
; %bb.3096:
	v_cndmask_b32_e64 v1, 0, 1.0, s[2:3]
	v_cvt_f16_f32_e32 v1, v1
	global_store_short v[5:6], v1, off
.LBB242_3097:
	s_mov_b64 s[4:5], 0
.LBB242_3098:
	s_andn2_b64 vcc, exec, s[4:5]
	s_cbranch_vccnz .LBB242_3114
; %bb.3099:
	s_cmp_lt_i32 s10, 2
	s_mov_b64 s[4:5], -1
	s_cbranch_scc1 .LBB242_3109
; %bb.3100:
	s_cmp_lt_i32 s10, 3
	s_cbranch_scc1 .LBB242_3106
; %bb.3101:
	s_cmp_gt_i32 s10, 3
	s_cbranch_scc0 .LBB242_3103
; %bb.3102:
	s_mov_b32 s4, 0
	v_cndmask_b32_e64 v11, 0, 1, s[2:3]
	v_mov_b32_e32 v12, s4
	global_store_dwordx2 v[5:6], v[11:12], off
	s_mov_b64 s[4:5], 0
.LBB242_3103:
	s_andn2_b64 vcc, exec, s[4:5]
	s_cbranch_vccnz .LBB242_3105
; %bb.3104:
	v_cndmask_b32_e64 v1, 0, 1, s[2:3]
	global_store_dword v[5:6], v1, off
.LBB242_3105:
	s_mov_b64 s[4:5], 0
.LBB242_3106:
	s_andn2_b64 vcc, exec, s[4:5]
	s_cbranch_vccnz .LBB242_3108
; %bb.3107:
	v_cndmask_b32_e64 v1, 0, 1, s[2:3]
	global_store_short v[5:6], v1, off
.LBB242_3108:
	s_mov_b64 s[4:5], 0
.LBB242_3109:
	s_andn2_b64 vcc, exec, s[4:5]
	s_cbranch_vccnz .LBB242_3114
; %bb.3110:
	s_mov_b64 s[4:5], -1
	s_cmp_gt_i32 s10, 0
	v_cndmask_b32_e64 v1, 0, 1, s[2:3]
	s_cbranch_scc0 .LBB242_3112
; %bb.3111:
	global_store_byte v[5:6], v1, off
	s_mov_b64 s[4:5], 0
.LBB242_3112:
	s_andn2_b64 vcc, exec, s[4:5]
	s_cbranch_vccnz .LBB242_3114
; %bb.3113:
	global_store_byte v[5:6], v1, off
.LBB242_3114:
	s_mov_b64 s[14:15], -1
.LBB242_3115:
	s_andn2_b64 vcc, exec, s[14:15]
	s_cbranch_vccnz .LBB242_3430
; %bb.3116:
	s_waitcnt vmcnt(0)
	v_lshlrev_b16_e32 v1, 8, v3
	v_lshlrev_b32_e32 v3, 25, v3
	v_lshrrev_b32_e32 v5, 4, v3
	s_movk_i32 s2, 0x7f00
	v_or_b32_e32 v5, 0x70000000, v5
	v_and_or_b32 v6, v1, s2, 0.5
	s_brev_b32 s2, 16
	v_add_f32_e32 v6, -0.5, v6
	v_mul_f32_e32 v5, 0x7800000, v5
	v_cmp_gt_u32_e32 vcc, s2, v3
	v_cndmask_b32_e32 v3, v5, v6, vcc
	v_bfe_i32 v1, v1, 0, 16
	s_brev_b32 s2, 1
	v_and_or_b32 v1, v1, s2, v3
	v_cmp_eq_f32_e32 vcc, v7, v1
	v_cndmask_b32_e64 v3, 0, 1, vcc
	v_cmp_neq_f32_e32 vcc, v7, v1
	v_cndmask_b32_e64 v1, 0, 1, vcc
	v_cndmask_b32_e64 v1, v1, v3, s[0:1]
	v_and_b32_e32 v1, 1, v1
	v_cmp_eq_u32_e64 s[2:3], 1, v1
	v_mov_b32_e32 v1, s9
	s_and_b32 s21, 0xffff, s20
	v_add_co_u32_e32 v3, vcc, s8, v4
	s_cmp_lt_i32 s21, 11
	v_addc_co_u32_e32 v4, vcc, 0, v1, vcc
	s_cbranch_scc1 .LBB242_3194
; %bb.3117:
	s_mov_b64 s[16:17], -1
	s_mov_b64 s[10:11], 0
	s_cmp_gt_i32 s21, 25
	s_mov_b64 s[14:15], 0
	s_mov_b64 s[4:5], 0
	s_cbranch_scc0 .LBB242_3150
; %bb.3118:
	s_cmp_gt_i32 s21, 28
	s_cbranch_scc0 .LBB242_3133
; %bb.3119:
	s_cmp_gt_i32 s21, 43
	;; [unrolled: 3-line block ×3, first 2 shown]
	s_cbranch_scc0 .LBB242_3123
; %bb.3121:
	s_mov_b64 s[4:5], -1
	s_mov_b64 s[16:17], 0
	s_cmp_eq_u32 s21, 46
	s_cbranch_scc0 .LBB242_3123
; %bb.3122:
	v_cndmask_b32_e64 v1, 0, 1.0, s[2:3]
	v_bfe_u32 v5, v1, 16, 1
	s_movk_i32 s4, 0x7fff
	v_add3_u32 v1, v1, v5, s4
	v_lshrrev_b32_e32 v1, 16, v1
	global_store_dword v[3:4], v1, off
	s_mov_b64 s[4:5], 0
	s_mov_b64 s[14:15], -1
.LBB242_3123:
	s_and_b64 vcc, exec, s[16:17]
	s_cbranch_vccz .LBB242_3128
; %bb.3124:
	s_cmp_eq_u32 s21, 44
	s_mov_b64 s[4:5], -1
	s_cbranch_scc0 .LBB242_3128
; %bb.3125:
	v_cndmask_b32_e64 v5, 0, 1.0, s[2:3]
	v_lshrrev_b32_e32 v1, 23, v5
	s_movk_i32 s4, 0xff
	v_cmp_ne_u32_e32 vcc, s4, v1
	v_mov_b32_e32 v6, 0xff
	s_and_saveexec_b64 s[14:15], vcc
; %bb.3126:
	s_mov_b32 s4, 0x3fffff
	v_and_b32_e32 v6, 0x400000, v5
	v_and_or_b32 v5, v5, s4, v1
	v_cmp_ne_u32_e32 vcc, 0, v6
	v_cmp_ne_u32_e64 s[4:5], 0, v5
	s_and_b64 s[4:5], vcc, s[4:5]
	v_cndmask_b32_e64 v5, 0, 1, s[4:5]
	v_add_u32_e32 v6, v1, v5
; %bb.3127:
	s_or_b64 exec, exec, s[14:15]
	s_mov_b64 s[4:5], 0
	s_mov_b64 s[14:15], -1
	global_store_byte v[3:4], v6, off
.LBB242_3128:
	s_mov_b64 s[16:17], 0
.LBB242_3129:
	s_and_b64 vcc, exec, s[16:17]
	s_cbranch_vccz .LBB242_3132
; %bb.3130:
	s_cmp_eq_u32 s21, 29
	s_mov_b64 s[4:5], -1
	s_cbranch_scc0 .LBB242_3132
; %bb.3131:
	s_mov_b32 s4, 0
	v_cndmask_b32_e64 v5, 0, 1, s[2:3]
	v_mov_b32_e32 v6, s4
	global_store_dwordx2 v[3:4], v[5:6], off
	s_mov_b64 s[4:5], 0
	s_mov_b64 s[14:15], -1
.LBB242_3132:
	s_mov_b64 s[16:17], 0
.LBB242_3133:
	s_and_b64 vcc, exec, s[16:17]
	s_cbranch_vccz .LBB242_3149
; %bb.3134:
	s_cmp_lt_i32 s21, 27
	s_mov_b64 s[14:15], -1
	s_cbranch_scc1 .LBB242_3140
; %bb.3135:
	s_cmp_gt_i32 s21, 27
	s_cbranch_scc0 .LBB242_3137
; %bb.3136:
	v_cndmask_b32_e64 v1, 0, 1, s[2:3]
	s_mov_b64 s[14:15], 0
	global_store_dword v[3:4], v1, off
.LBB242_3137:
	s_andn2_b64 vcc, exec, s[14:15]
	s_cbranch_vccnz .LBB242_3139
; %bb.3138:
	v_cndmask_b32_e64 v1, 0, 1, s[2:3]
	global_store_short v[3:4], v1, off
.LBB242_3139:
	s_mov_b64 s[14:15], 0
.LBB242_3140:
	s_andn2_b64 vcc, exec, s[14:15]
	s_cbranch_vccnz .LBB242_3148
; %bb.3141:
	v_cndmask_b32_e64 v5, 0, 1.0, s[2:3]
	s_mov_b32 s14, 0x43800000
	v_cmp_gt_u32_e32 vcc, s14, v5
	v_mov_b32_e32 v6, 0x80
	s_and_saveexec_b64 s[14:15], vcc
	s_cbranch_execz .LBB242_3147
; %bb.3142:
	s_mov_b32 s16, 0x3bffffff
	v_cmp_lt_u32_e32 vcc, s16, v5
	s_mov_b64 s[16:17], 0
                                        ; implicit-def: $vgpr1
	s_and_saveexec_b64 s[18:19], vcc
	s_xor_b64 s[18:19], exec, s[18:19]
	s_cbranch_execz .LBB242_3482
; %bb.3143:
	v_bfe_u32 v1, v5, 20, 1
	s_mov_b32 s22, 0x487ffff
	v_add3_u32 v1, v5, v1, s22
	s_mov_b64 s[16:17], exec
	v_lshrrev_b32_e32 v1, 20, v1
                                        ; implicit-def: $vgpr5
	s_andn2_saveexec_b64 s[18:19], s[18:19]
	s_cbranch_execnz .LBB242_3483
.LBB242_3144:
	s_or_b64 exec, exec, s[18:19]
	v_mov_b32_e32 v6, 0
	s_and_saveexec_b64 s[18:19], s[16:17]
.LBB242_3145:
	v_mov_b32_e32 v6, v1
.LBB242_3146:
	s_or_b64 exec, exec, s[18:19]
.LBB242_3147:
	s_or_b64 exec, exec, s[14:15]
	global_store_byte v[3:4], v6, off
.LBB242_3148:
	s_mov_b64 s[14:15], -1
.LBB242_3149:
	s_mov_b64 s[16:17], 0
.LBB242_3150:
	s_and_b64 vcc, exec, s[16:17]
	s_cbranch_vccz .LBB242_3190
; %bb.3151:
	s_cmp_gt_i32 s21, 22
	s_mov_b64 s[10:11], -1
	s_cbranch_scc0 .LBB242_3183
; %bb.3152:
	s_cmp_lt_i32 s21, 24
	s_cbranch_scc1 .LBB242_3172
; %bb.3153:
	s_cmp_gt_i32 s21, 24
	s_cbranch_scc0 .LBB242_3161
; %bb.3154:
	v_cndmask_b32_e64 v5, 0, 1.0, s[2:3]
	s_mov_b32 s10, 0x47800000
	v_cmp_gt_u32_e32 vcc, s10, v5
	v_mov_b32_e32 v6, 0x80
	s_and_saveexec_b64 s[10:11], vcc
	s_cbranch_execz .LBB242_3160
; %bb.3155:
	s_mov_b32 s14, 0x37ffffff
	v_cmp_lt_u32_e32 vcc, s14, v5
	s_mov_b64 s[14:15], 0
                                        ; implicit-def: $vgpr1
	s_and_saveexec_b64 s[16:17], vcc
	s_xor_b64 s[16:17], exec, s[16:17]
	s_cbranch_execz .LBB242_3485
; %bb.3156:
	v_bfe_u32 v1, v5, 21, 1
	s_mov_b32 s18, 0x88fffff
	v_add3_u32 v1, v5, v1, s18
	s_mov_b64 s[14:15], exec
	v_lshrrev_b32_e32 v1, 21, v1
                                        ; implicit-def: $vgpr5
	s_andn2_saveexec_b64 s[16:17], s[16:17]
	s_cbranch_execnz .LBB242_3486
.LBB242_3157:
	s_or_b64 exec, exec, s[16:17]
	v_mov_b32_e32 v6, 0
	s_and_saveexec_b64 s[16:17], s[14:15]
.LBB242_3158:
	v_mov_b32_e32 v6, v1
.LBB242_3159:
	s_or_b64 exec, exec, s[16:17]
.LBB242_3160:
	s_or_b64 exec, exec, s[10:11]
	s_mov_b64 s[10:11], 0
	global_store_byte v[3:4], v6, off
.LBB242_3161:
	s_and_b64 vcc, exec, s[10:11]
	s_cbranch_vccz .LBB242_3171
; %bb.3162:
	v_cndmask_b32_e64 v1, 0, 1.0, s[2:3]
	s_mov_b32 s10, 0x43f00000
	v_cmp_gt_u32_e32 vcc, s10, v1
                                        ; implicit-def: $vgpr5
	s_and_saveexec_b64 s[10:11], vcc
	s_xor_b64 s[10:11], exec, s[10:11]
	s_cbranch_execz .LBB242_3168
; %bb.3163:
	s_mov_b32 s14, 0x3c7fffff
	v_cmp_lt_u32_e32 vcc, s14, v1
                                        ; implicit-def: $vgpr5
	s_and_saveexec_b64 s[14:15], vcc
	s_xor_b64 s[14:15], exec, s[14:15]
; %bb.3164:
	v_bfe_u32 v5, v1, 20, 1
	s_mov_b32 s16, 0x407ffff
	v_add3_u32 v1, v1, v5, s16
	v_lshrrev_b32_e32 v5, 20, v1
	v_and_b32_e32 v1, 0xff00000, v1
	s_mov_b32 s16, 0x7f00000
	v_mov_b32_e32 v6, 0x7e
	v_cmp_ne_u32_e32 vcc, s16, v1
	v_cndmask_b32_e32 v5, v6, v5, vcc
                                        ; implicit-def: $vgpr1
; %bb.3165:
	s_andn2_saveexec_b64 s[14:15], s[14:15]
; %bb.3166:
	v_add_f32_e32 v5, 0x46800000, v1
; %bb.3167:
	s_or_b64 exec, exec, s[14:15]
                                        ; implicit-def: $vgpr1
.LBB242_3168:
	s_andn2_saveexec_b64 s[10:11], s[10:11]
; %bb.3169:
	s_mov_b32 s14, 0x7f800000
	v_mov_b32_e32 v5, 0x7e
	v_mov_b32_e32 v6, 0x7f
	v_cmp_lt_u32_e32 vcc, s14, v1
	v_cndmask_b32_e32 v5, v5, v6, vcc
; %bb.3170:
	s_or_b64 exec, exec, s[10:11]
	global_store_byte v[3:4], v5, off
.LBB242_3171:
	s_mov_b64 s[10:11], 0
.LBB242_3172:
	s_andn2_b64 vcc, exec, s[10:11]
	s_cbranch_vccnz .LBB242_3182
; %bb.3173:
	v_cndmask_b32_e64 v1, 0, 1.0, s[2:3]
	s_mov_b32 s10, 0x47800000
	v_cmp_gt_u32_e32 vcc, s10, v1
                                        ; implicit-def: $vgpr5
	s_and_saveexec_b64 s[10:11], vcc
	s_xor_b64 s[10:11], exec, s[10:11]
	s_cbranch_execz .LBB242_3179
; %bb.3174:
	s_mov_b32 s14, 0x387fffff
	v_cmp_lt_u32_e32 vcc, s14, v1
                                        ; implicit-def: $vgpr5
	s_and_saveexec_b64 s[14:15], vcc
	s_xor_b64 s[14:15], exec, s[14:15]
; %bb.3175:
	v_bfe_u32 v5, v1, 21, 1
	s_mov_b32 s16, 0x80fffff
	v_add3_u32 v1, v1, v5, s16
	v_lshrrev_b32_e32 v5, 21, v1
                                        ; implicit-def: $vgpr1
; %bb.3176:
	s_andn2_saveexec_b64 s[14:15], s[14:15]
; %bb.3177:
	v_add_f32_e32 v5, 0x43000000, v1
; %bb.3178:
	s_or_b64 exec, exec, s[14:15]
                                        ; implicit-def: $vgpr1
.LBB242_3179:
	s_andn2_saveexec_b64 s[10:11], s[10:11]
; %bb.3180:
	s_mov_b32 s14, 0x7f800000
	v_mov_b32_e32 v5, 0x7c
	v_mov_b32_e32 v6, 0x7f
	v_cmp_lt_u32_e32 vcc, s14, v1
	v_cndmask_b32_e32 v5, v5, v6, vcc
; %bb.3181:
	s_or_b64 exec, exec, s[10:11]
	global_store_byte v[3:4], v5, off
.LBB242_3182:
	s_mov_b64 s[10:11], 0
	s_mov_b64 s[14:15], -1
.LBB242_3183:
	s_andn2_b64 vcc, exec, s[10:11]
	s_mov_b64 s[10:11], 0
	s_cbranch_vccnz .LBB242_3190
; %bb.3184:
	s_cmp_gt_i32 s21, 14
	s_mov_b64 s[16:17], -1
	s_cbranch_scc0 .LBB242_3188
; %bb.3185:
	s_cmp_eq_u32 s21, 15
	s_mov_b64 s[4:5], -1
	s_cbranch_scc0 .LBB242_3187
; %bb.3186:
	v_cndmask_b32_e64 v1, 0, 1.0, s[2:3]
	v_bfe_u32 v5, v1, 16, 1
	s_movk_i32 s4, 0x7fff
	v_add3_u32 v1, v1, v5, s4
	global_store_short_d16_hi v[3:4], v1, off
	s_mov_b64 s[4:5], 0
	s_mov_b64 s[14:15], -1
.LBB242_3187:
	s_mov_b64 s[16:17], 0
.LBB242_3188:
	s_and_b64 vcc, exec, s[16:17]
	s_cbranch_vccz .LBB242_3190
; %bb.3189:
	s_cmp_lg_u32 s21, 11
	s_mov_b64 s[10:11], -1
	s_cselect_b64 s[4:5], -1, 0
.LBB242_3190:
	s_and_b64 vcc, exec, s[4:5]
	s_cbranch_vccnz .LBB242_3484
; %bb.3191:
	s_andn2_b64 vcc, exec, s[10:11]
	s_cbranch_vccnz .LBB242_3193
.LBB242_3192:
	v_cndmask_b32_e64 v1, 0, 1, s[2:3]
	s_mov_b64 s[14:15], -1
	global_store_byte v[3:4], v1, off
.LBB242_3193:
	s_mov_b64 s[4:5], 0
	s_branch .LBB242_3195
.LBB242_3194:
	s_mov_b64 s[4:5], -1
	s_mov_b64 s[14:15], 0
.LBB242_3195:
	s_and_b64 vcc, exec, s[4:5]
	s_cbranch_vccz .LBB242_3234
; %bb.3196:
	s_cmp_lt_i32 s21, 5
	s_mov_b64 s[4:5], -1
	s_cbranch_scc1 .LBB242_3217
; %bb.3197:
	s_cmp_lt_i32 s21, 8
	s_cbranch_scc1 .LBB242_3207
; %bb.3198:
	s_cmp_lt_i32 s21, 9
	s_cbranch_scc1 .LBB242_3204
; %bb.3199:
	s_cmp_gt_i32 s21, 9
	s_cbranch_scc0 .LBB242_3201
; %bb.3200:
	v_cndmask_b32_e64 v1, 0, 1, s[2:3]
	v_cvt_f64_u32_e32 v[11:12], v1
	v_mov_b32_e32 v13, 0
	v_mov_b32_e32 v14, v13
	s_mov_b64 s[4:5], 0
	global_store_dwordx4 v[3:4], v[11:14], off
.LBB242_3201:
	s_andn2_b64 vcc, exec, s[4:5]
	s_cbranch_vccnz .LBB242_3203
; %bb.3202:
	v_cndmask_b32_e64 v5, 0, 1.0, s[2:3]
	v_mov_b32_e32 v6, 0
	global_store_dwordx2 v[3:4], v[5:6], off
.LBB242_3203:
	s_mov_b64 s[4:5], 0
.LBB242_3204:
	s_andn2_b64 vcc, exec, s[4:5]
	s_cbranch_vccnz .LBB242_3206
; %bb.3205:
	v_cndmask_b32_e64 v1, 0, 1.0, s[2:3]
	v_cvt_f16_f32_e32 v1, v1
	global_store_dword v[3:4], v1, off
.LBB242_3206:
	s_mov_b64 s[4:5], 0
.LBB242_3207:
	s_andn2_b64 vcc, exec, s[4:5]
	s_cbranch_vccnz .LBB242_3216
; %bb.3208:
	s_cmp_lt_i32 s21, 6
	s_mov_b64 s[4:5], -1
	s_cbranch_scc1 .LBB242_3214
; %bb.3209:
	s_cmp_gt_i32 s21, 6
	s_cbranch_scc0 .LBB242_3211
; %bb.3210:
	v_cndmask_b32_e64 v1, 0, 1, s[2:3]
	v_cvt_f64_u32_e32 v[5:6], v1
	s_mov_b64 s[4:5], 0
	global_store_dwordx2 v[3:4], v[5:6], off
.LBB242_3211:
	s_andn2_b64 vcc, exec, s[4:5]
	s_cbranch_vccnz .LBB242_3213
; %bb.3212:
	v_cndmask_b32_e64 v1, 0, 1.0, s[2:3]
	global_store_dword v[3:4], v1, off
.LBB242_3213:
	s_mov_b64 s[4:5], 0
.LBB242_3214:
	s_andn2_b64 vcc, exec, s[4:5]
	s_cbranch_vccnz .LBB242_3216
; %bb.3215:
	v_cndmask_b32_e64 v1, 0, 1.0, s[2:3]
	v_cvt_f16_f32_e32 v1, v1
	global_store_short v[3:4], v1, off
.LBB242_3216:
	s_mov_b64 s[4:5], 0
.LBB242_3217:
	s_andn2_b64 vcc, exec, s[4:5]
	s_cbranch_vccnz .LBB242_3233
; %bb.3218:
	s_cmp_lt_i32 s21, 2
	s_mov_b64 s[4:5], -1
	s_cbranch_scc1 .LBB242_3228
; %bb.3219:
	s_cmp_lt_i32 s21, 3
	s_cbranch_scc1 .LBB242_3225
; %bb.3220:
	s_cmp_gt_i32 s21, 3
	s_cbranch_scc0 .LBB242_3222
; %bb.3221:
	s_mov_b32 s4, 0
	v_cndmask_b32_e64 v5, 0, 1, s[2:3]
	v_mov_b32_e32 v6, s4
	global_store_dwordx2 v[3:4], v[5:6], off
	s_mov_b64 s[4:5], 0
.LBB242_3222:
	s_andn2_b64 vcc, exec, s[4:5]
	s_cbranch_vccnz .LBB242_3224
; %bb.3223:
	v_cndmask_b32_e64 v1, 0, 1, s[2:3]
	global_store_dword v[3:4], v1, off
.LBB242_3224:
	s_mov_b64 s[4:5], 0
.LBB242_3225:
	s_andn2_b64 vcc, exec, s[4:5]
	s_cbranch_vccnz .LBB242_3227
; %bb.3226:
	v_cndmask_b32_e64 v1, 0, 1, s[2:3]
	global_store_short v[3:4], v1, off
.LBB242_3227:
	s_mov_b64 s[4:5], 0
.LBB242_3228:
	s_andn2_b64 vcc, exec, s[4:5]
	s_cbranch_vccnz .LBB242_3233
; %bb.3229:
	s_mov_b64 s[4:5], -1
	s_cmp_gt_i32 s21, 0
	v_cndmask_b32_e64 v1, 0, 1, s[2:3]
	s_cbranch_scc0 .LBB242_3231
; %bb.3230:
	global_store_byte v[3:4], v1, off
	s_mov_b64 s[4:5], 0
.LBB242_3231:
	s_andn2_b64 vcc, exec, s[4:5]
	s_cbranch_vccnz .LBB242_3233
; %bb.3232:
	global_store_byte v[3:4], v1, off
.LBB242_3233:
	s_mov_b64 s[14:15], -1
.LBB242_3234:
	s_andn2_b64 vcc, exec, s[14:15]
	s_cbranch_vccnz .LBB242_3430
; %bb.3235:
	v_lshlrev_b32_e32 v3, 25, v10
	v_lshlrev_b16_e32 v1, 8, v10
	v_lshrrev_b32_e32 v4, 4, v3
	s_movk_i32 s2, 0x7f00
	v_or_b32_e32 v4, 0x70000000, v4
	v_and_or_b32 v5, v1, s2, 0.5
	s_brev_b32 s2, 16
	v_add_f32_e32 v5, -0.5, v5
	v_mul_f32_e32 v4, 0x7800000, v4
	v_cmp_gt_u32_e32 vcc, s2, v3
	v_cndmask_b32_e32 v3, v4, v5, vcc
	v_bfe_i32 v1, v1, 0, 16
	s_brev_b32 s2, 1
	v_and_or_b32 v1, v1, s2, v3
	v_cmp_eq_f32_e32 vcc, v7, v1
	v_cndmask_b32_e64 v3, 0, 1, vcc
	v_cmp_neq_f32_e32 vcc, v7, v1
	v_cndmask_b32_e64 v1, 0, 1, vcc
	v_cndmask_b32_e64 v1, v1, v3, s[0:1]
	v_and_b32_e32 v1, 1, v1
	v_cmp_eq_u32_e64 s[2:3], 1, v1
	v_mov_b32_e32 v3, s9
	v_add_co_u32_e32 v1, vcc, s8, v2
	s_cmp_lt_i32 s21, 11
	v_addc_co_u32_e32 v2, vcc, 0, v3, vcc
	s_cbranch_scc1 .LBB242_3313
; %bb.3236:
	s_mov_b64 s[16:17], -1
	s_mov_b64 s[10:11], 0
	s_cmp_gt_i32 s21, 25
	s_mov_b64 s[14:15], 0
	s_mov_b64 s[4:5], 0
	s_cbranch_scc0 .LBB242_3269
; %bb.3237:
	s_cmp_gt_i32 s21, 28
	s_cbranch_scc0 .LBB242_3252
; %bb.3238:
	s_cmp_gt_i32 s21, 43
	;; [unrolled: 3-line block ×3, first 2 shown]
	s_cbranch_scc0 .LBB242_3242
; %bb.3240:
	s_mov_b64 s[4:5], -1
	s_mov_b64 s[16:17], 0
	s_cmp_eq_u32 s21, 46
	s_cbranch_scc0 .LBB242_3242
; %bb.3241:
	v_cndmask_b32_e64 v3, 0, 1.0, s[2:3]
	v_bfe_u32 v4, v3, 16, 1
	s_movk_i32 s4, 0x7fff
	v_add3_u32 v3, v3, v4, s4
	v_lshrrev_b32_e32 v3, 16, v3
	global_store_dword v[1:2], v3, off
	s_mov_b64 s[4:5], 0
	s_mov_b64 s[14:15], -1
.LBB242_3242:
	s_and_b64 vcc, exec, s[16:17]
	s_cbranch_vccz .LBB242_3247
; %bb.3243:
	s_cmp_eq_u32 s21, 44
	s_mov_b64 s[4:5], -1
	s_cbranch_scc0 .LBB242_3247
; %bb.3244:
	v_cndmask_b32_e64 v4, 0, 1.0, s[2:3]
	v_lshrrev_b32_e32 v3, 23, v4
	s_movk_i32 s4, 0xff
	v_cmp_ne_u32_e32 vcc, s4, v3
	v_mov_b32_e32 v5, 0xff
	s_and_saveexec_b64 s[14:15], vcc
; %bb.3245:
	s_mov_b32 s4, 0x3fffff
	v_and_b32_e32 v5, 0x400000, v4
	v_and_or_b32 v4, v4, s4, v3
	v_cmp_ne_u32_e32 vcc, 0, v5
	v_cmp_ne_u32_e64 s[4:5], 0, v4
	s_and_b64 s[4:5], vcc, s[4:5]
	v_cndmask_b32_e64 v4, 0, 1, s[4:5]
	v_add_u32_e32 v5, v3, v4
; %bb.3246:
	s_or_b64 exec, exec, s[14:15]
	s_mov_b64 s[4:5], 0
	s_mov_b64 s[14:15], -1
	global_store_byte v[1:2], v5, off
.LBB242_3247:
	s_mov_b64 s[16:17], 0
.LBB242_3248:
	s_and_b64 vcc, exec, s[16:17]
	s_cbranch_vccz .LBB242_3251
; %bb.3249:
	s_cmp_eq_u32 s21, 29
	s_mov_b64 s[4:5], -1
	s_cbranch_scc0 .LBB242_3251
; %bb.3250:
	s_mov_b32 s4, 0
	v_cndmask_b32_e64 v3, 0, 1, s[2:3]
	v_mov_b32_e32 v4, s4
	global_store_dwordx2 v[1:2], v[3:4], off
	s_mov_b64 s[4:5], 0
	s_mov_b64 s[14:15], -1
.LBB242_3251:
	s_mov_b64 s[16:17], 0
.LBB242_3252:
	s_and_b64 vcc, exec, s[16:17]
	s_cbranch_vccz .LBB242_3268
; %bb.3253:
	s_cmp_lt_i32 s21, 27
	s_mov_b64 s[14:15], -1
	s_cbranch_scc1 .LBB242_3259
; %bb.3254:
	s_cmp_gt_i32 s21, 27
	s_cbranch_scc0 .LBB242_3256
; %bb.3255:
	v_cndmask_b32_e64 v3, 0, 1, s[2:3]
	s_mov_b64 s[14:15], 0
	global_store_dword v[1:2], v3, off
.LBB242_3256:
	s_andn2_b64 vcc, exec, s[14:15]
	s_cbranch_vccnz .LBB242_3258
; %bb.3257:
	v_cndmask_b32_e64 v3, 0, 1, s[2:3]
	global_store_short v[1:2], v3, off
.LBB242_3258:
	s_mov_b64 s[14:15], 0
.LBB242_3259:
	s_andn2_b64 vcc, exec, s[14:15]
	s_cbranch_vccnz .LBB242_3267
; %bb.3260:
	v_cndmask_b32_e64 v4, 0, 1.0, s[2:3]
	s_mov_b32 s14, 0x43800000
	v_cmp_gt_u32_e32 vcc, s14, v4
	v_mov_b32_e32 v5, 0x80
	s_and_saveexec_b64 s[14:15], vcc
	s_cbranch_execz .LBB242_3266
; %bb.3261:
	s_mov_b32 s16, 0x3bffffff
	v_cmp_lt_u32_e32 vcc, s16, v4
	s_mov_b64 s[16:17], 0
                                        ; implicit-def: $vgpr3
	s_and_saveexec_b64 s[18:19], vcc
	s_xor_b64 s[18:19], exec, s[18:19]
	s_cbranch_execz .LBB242_3487
; %bb.3262:
	v_bfe_u32 v3, v4, 20, 1
	s_mov_b32 s22, 0x487ffff
	v_add3_u32 v3, v4, v3, s22
	s_mov_b64 s[16:17], exec
	v_lshrrev_b32_e32 v3, 20, v3
                                        ; implicit-def: $vgpr4
	s_andn2_saveexec_b64 s[18:19], s[18:19]
	s_cbranch_execnz .LBB242_3488
.LBB242_3263:
	s_or_b64 exec, exec, s[18:19]
	v_mov_b32_e32 v5, 0
	s_and_saveexec_b64 s[18:19], s[16:17]
.LBB242_3264:
	v_mov_b32_e32 v5, v3
.LBB242_3265:
	s_or_b64 exec, exec, s[18:19]
.LBB242_3266:
	s_or_b64 exec, exec, s[14:15]
	global_store_byte v[1:2], v5, off
.LBB242_3267:
	s_mov_b64 s[14:15], -1
.LBB242_3268:
	s_mov_b64 s[16:17], 0
.LBB242_3269:
	s_and_b64 vcc, exec, s[16:17]
	s_cbranch_vccz .LBB242_3309
; %bb.3270:
	s_cmp_gt_i32 s21, 22
	s_mov_b64 s[10:11], -1
	s_cbranch_scc0 .LBB242_3302
; %bb.3271:
	s_cmp_lt_i32 s21, 24
	s_cbranch_scc1 .LBB242_3291
; %bb.3272:
	s_cmp_gt_i32 s21, 24
	s_cbranch_scc0 .LBB242_3280
; %bb.3273:
	v_cndmask_b32_e64 v4, 0, 1.0, s[2:3]
	s_mov_b32 s10, 0x47800000
	v_cmp_gt_u32_e32 vcc, s10, v4
	v_mov_b32_e32 v5, 0x80
	s_and_saveexec_b64 s[10:11], vcc
	s_cbranch_execz .LBB242_3279
; %bb.3274:
	s_mov_b32 s14, 0x37ffffff
	v_cmp_lt_u32_e32 vcc, s14, v4
	s_mov_b64 s[14:15], 0
                                        ; implicit-def: $vgpr3
	s_and_saveexec_b64 s[16:17], vcc
	s_xor_b64 s[16:17], exec, s[16:17]
	s_cbranch_execz .LBB242_3490
; %bb.3275:
	v_bfe_u32 v3, v4, 21, 1
	s_mov_b32 s18, 0x88fffff
	v_add3_u32 v3, v4, v3, s18
	s_mov_b64 s[14:15], exec
	v_lshrrev_b32_e32 v3, 21, v3
                                        ; implicit-def: $vgpr4
	s_andn2_saveexec_b64 s[16:17], s[16:17]
	s_cbranch_execnz .LBB242_3491
.LBB242_3276:
	s_or_b64 exec, exec, s[16:17]
	v_mov_b32_e32 v5, 0
	s_and_saveexec_b64 s[16:17], s[14:15]
.LBB242_3277:
	v_mov_b32_e32 v5, v3
.LBB242_3278:
	s_or_b64 exec, exec, s[16:17]
.LBB242_3279:
	s_or_b64 exec, exec, s[10:11]
	s_mov_b64 s[10:11], 0
	global_store_byte v[1:2], v5, off
.LBB242_3280:
	s_and_b64 vcc, exec, s[10:11]
	s_cbranch_vccz .LBB242_3290
; %bb.3281:
	v_cndmask_b32_e64 v3, 0, 1.0, s[2:3]
	s_mov_b32 s10, 0x43f00000
	v_cmp_gt_u32_e32 vcc, s10, v3
                                        ; implicit-def: $vgpr4
	s_and_saveexec_b64 s[10:11], vcc
	s_xor_b64 s[10:11], exec, s[10:11]
	s_cbranch_execz .LBB242_3287
; %bb.3282:
	s_mov_b32 s14, 0x3c7fffff
	v_cmp_lt_u32_e32 vcc, s14, v3
                                        ; implicit-def: $vgpr4
	s_and_saveexec_b64 s[14:15], vcc
	s_xor_b64 s[14:15], exec, s[14:15]
; %bb.3283:
	v_bfe_u32 v4, v3, 20, 1
	s_mov_b32 s16, 0x407ffff
	v_add3_u32 v3, v3, v4, s16
	v_lshrrev_b32_e32 v4, 20, v3
	v_and_b32_e32 v3, 0xff00000, v3
	s_mov_b32 s16, 0x7f00000
	v_mov_b32_e32 v5, 0x7e
	v_cmp_ne_u32_e32 vcc, s16, v3
	v_cndmask_b32_e32 v4, v5, v4, vcc
                                        ; implicit-def: $vgpr3
; %bb.3284:
	s_andn2_saveexec_b64 s[14:15], s[14:15]
; %bb.3285:
	v_add_f32_e32 v4, 0x46800000, v3
; %bb.3286:
	s_or_b64 exec, exec, s[14:15]
                                        ; implicit-def: $vgpr3
.LBB242_3287:
	s_andn2_saveexec_b64 s[10:11], s[10:11]
; %bb.3288:
	s_mov_b32 s14, 0x7f800000
	v_mov_b32_e32 v4, 0x7e
	v_mov_b32_e32 v5, 0x7f
	v_cmp_lt_u32_e32 vcc, s14, v3
	v_cndmask_b32_e32 v4, v4, v5, vcc
; %bb.3289:
	s_or_b64 exec, exec, s[10:11]
	global_store_byte v[1:2], v4, off
.LBB242_3290:
	s_mov_b64 s[10:11], 0
.LBB242_3291:
	s_andn2_b64 vcc, exec, s[10:11]
	s_cbranch_vccnz .LBB242_3301
; %bb.3292:
	v_cndmask_b32_e64 v3, 0, 1.0, s[2:3]
	s_mov_b32 s10, 0x47800000
	v_cmp_gt_u32_e32 vcc, s10, v3
                                        ; implicit-def: $vgpr4
	s_and_saveexec_b64 s[10:11], vcc
	s_xor_b64 s[10:11], exec, s[10:11]
	s_cbranch_execz .LBB242_3298
; %bb.3293:
	s_mov_b32 s14, 0x387fffff
	v_cmp_lt_u32_e32 vcc, s14, v3
                                        ; implicit-def: $vgpr4
	s_and_saveexec_b64 s[14:15], vcc
	s_xor_b64 s[14:15], exec, s[14:15]
; %bb.3294:
	v_bfe_u32 v4, v3, 21, 1
	s_mov_b32 s16, 0x80fffff
	v_add3_u32 v3, v3, v4, s16
	v_lshrrev_b32_e32 v4, 21, v3
                                        ; implicit-def: $vgpr3
; %bb.3295:
	s_andn2_saveexec_b64 s[14:15], s[14:15]
; %bb.3296:
	v_add_f32_e32 v4, 0x43000000, v3
; %bb.3297:
	s_or_b64 exec, exec, s[14:15]
                                        ; implicit-def: $vgpr3
.LBB242_3298:
	s_andn2_saveexec_b64 s[10:11], s[10:11]
; %bb.3299:
	s_mov_b32 s14, 0x7f800000
	v_mov_b32_e32 v4, 0x7c
	v_mov_b32_e32 v5, 0x7f
	v_cmp_lt_u32_e32 vcc, s14, v3
	v_cndmask_b32_e32 v4, v4, v5, vcc
; %bb.3300:
	s_or_b64 exec, exec, s[10:11]
	global_store_byte v[1:2], v4, off
.LBB242_3301:
	s_mov_b64 s[10:11], 0
	s_mov_b64 s[14:15], -1
.LBB242_3302:
	s_andn2_b64 vcc, exec, s[10:11]
	s_mov_b64 s[10:11], 0
	s_cbranch_vccnz .LBB242_3309
; %bb.3303:
	s_cmp_gt_i32 s21, 14
	s_mov_b64 s[16:17], -1
	s_cbranch_scc0 .LBB242_3307
; %bb.3304:
	s_cmp_eq_u32 s21, 15
	s_mov_b64 s[4:5], -1
	s_cbranch_scc0 .LBB242_3306
; %bb.3305:
	v_cndmask_b32_e64 v3, 0, 1.0, s[2:3]
	v_bfe_u32 v4, v3, 16, 1
	s_movk_i32 s4, 0x7fff
	v_add3_u32 v3, v3, v4, s4
	global_store_short_d16_hi v[1:2], v3, off
	s_mov_b64 s[4:5], 0
	s_mov_b64 s[14:15], -1
.LBB242_3306:
	s_mov_b64 s[16:17], 0
.LBB242_3307:
	s_and_b64 vcc, exec, s[16:17]
	s_cbranch_vccz .LBB242_3309
; %bb.3308:
	s_cmp_lg_u32 s21, 11
	s_mov_b64 s[10:11], -1
	s_cselect_b64 s[4:5], -1, 0
.LBB242_3309:
	s_and_b64 vcc, exec, s[4:5]
	s_cbranch_vccnz .LBB242_3489
; %bb.3310:
	s_andn2_b64 vcc, exec, s[10:11]
	s_cbranch_vccnz .LBB242_3312
.LBB242_3311:
	v_cndmask_b32_e64 v3, 0, 1, s[2:3]
	s_mov_b64 s[14:15], -1
	global_store_byte v[1:2], v3, off
.LBB242_3312:
	s_mov_b64 s[4:5], 0
	s_branch .LBB242_3314
.LBB242_3313:
	s_mov_b64 s[4:5], -1
	s_mov_b64 s[14:15], 0
.LBB242_3314:
	s_and_b64 vcc, exec, s[4:5]
	s_cbranch_vccz .LBB242_3353
; %bb.3315:
	s_cmp_lt_i32 s21, 5
	s_mov_b64 s[4:5], -1
	s_cbranch_scc1 .LBB242_3336
; %bb.3316:
	s_cmp_lt_i32 s21, 8
	s_cbranch_scc1 .LBB242_3326
; %bb.3317:
	s_cmp_lt_i32 s21, 9
	s_cbranch_scc1 .LBB242_3323
; %bb.3318:
	s_cmp_gt_i32 s21, 9
	s_cbranch_scc0 .LBB242_3320
; %bb.3319:
	v_cndmask_b32_e64 v3, 0, 1, s[2:3]
	v_cvt_f64_u32_e32 v[3:4], v3
	v_mov_b32_e32 v5, 0
	v_mov_b32_e32 v6, v5
	s_mov_b64 s[4:5], 0
	global_store_dwordx4 v[1:2], v[3:6], off
.LBB242_3320:
	s_andn2_b64 vcc, exec, s[4:5]
	s_cbranch_vccnz .LBB242_3322
; %bb.3321:
	v_cndmask_b32_e64 v3, 0, 1.0, s[2:3]
	v_mov_b32_e32 v4, 0
	global_store_dwordx2 v[1:2], v[3:4], off
.LBB242_3322:
	s_mov_b64 s[4:5], 0
.LBB242_3323:
	s_andn2_b64 vcc, exec, s[4:5]
	s_cbranch_vccnz .LBB242_3325
; %bb.3324:
	v_cndmask_b32_e64 v3, 0, 1.0, s[2:3]
	v_cvt_f16_f32_e32 v3, v3
	global_store_dword v[1:2], v3, off
.LBB242_3325:
	s_mov_b64 s[4:5], 0
.LBB242_3326:
	s_andn2_b64 vcc, exec, s[4:5]
	s_cbranch_vccnz .LBB242_3335
; %bb.3327:
	s_cmp_lt_i32 s21, 6
	s_mov_b64 s[4:5], -1
	s_cbranch_scc1 .LBB242_3333
; %bb.3328:
	s_cmp_gt_i32 s21, 6
	s_cbranch_scc0 .LBB242_3330
; %bb.3329:
	v_cndmask_b32_e64 v3, 0, 1, s[2:3]
	v_cvt_f64_u32_e32 v[3:4], v3
	s_mov_b64 s[4:5], 0
	global_store_dwordx2 v[1:2], v[3:4], off
.LBB242_3330:
	s_andn2_b64 vcc, exec, s[4:5]
	s_cbranch_vccnz .LBB242_3332
; %bb.3331:
	v_cndmask_b32_e64 v3, 0, 1.0, s[2:3]
	global_store_dword v[1:2], v3, off
.LBB242_3332:
	s_mov_b64 s[4:5], 0
.LBB242_3333:
	s_andn2_b64 vcc, exec, s[4:5]
	s_cbranch_vccnz .LBB242_3335
; %bb.3334:
	v_cndmask_b32_e64 v3, 0, 1.0, s[2:3]
	v_cvt_f16_f32_e32 v3, v3
	global_store_short v[1:2], v3, off
.LBB242_3335:
	s_mov_b64 s[4:5], 0
.LBB242_3336:
	s_andn2_b64 vcc, exec, s[4:5]
	s_cbranch_vccnz .LBB242_3352
; %bb.3337:
	s_cmp_lt_i32 s21, 2
	s_mov_b64 s[4:5], -1
	s_cbranch_scc1 .LBB242_3347
; %bb.3338:
	s_cmp_lt_i32 s21, 3
	s_cbranch_scc1 .LBB242_3344
; %bb.3339:
	s_cmp_gt_i32 s21, 3
	s_cbranch_scc0 .LBB242_3341
; %bb.3340:
	s_mov_b32 s4, 0
	v_cndmask_b32_e64 v3, 0, 1, s[2:3]
	v_mov_b32_e32 v4, s4
	global_store_dwordx2 v[1:2], v[3:4], off
	s_mov_b64 s[4:5], 0
.LBB242_3341:
	s_andn2_b64 vcc, exec, s[4:5]
	s_cbranch_vccnz .LBB242_3343
; %bb.3342:
	v_cndmask_b32_e64 v3, 0, 1, s[2:3]
	global_store_dword v[1:2], v3, off
.LBB242_3343:
	s_mov_b64 s[4:5], 0
.LBB242_3344:
	s_andn2_b64 vcc, exec, s[4:5]
	s_cbranch_vccnz .LBB242_3346
; %bb.3345:
	v_cndmask_b32_e64 v3, 0, 1, s[2:3]
	global_store_short v[1:2], v3, off
.LBB242_3346:
	s_mov_b64 s[4:5], 0
.LBB242_3347:
	s_andn2_b64 vcc, exec, s[4:5]
	s_cbranch_vccnz .LBB242_3352
; %bb.3348:
	s_cmp_gt_i32 s21, 0
	s_mov_b64 s[4:5], -1
	s_cbranch_scc0 .LBB242_3350
; %bb.3349:
	v_cndmask_b32_e64 v3, 0, 1, s[2:3]
	global_store_byte v[1:2], v3, off
	s_mov_b64 s[4:5], 0
.LBB242_3350:
	s_andn2_b64 vcc, exec, s[4:5]
	s_cbranch_vccnz .LBB242_3352
; %bb.3351:
	v_cndmask_b32_e64 v3, 0, 1, s[2:3]
	global_store_byte v[1:2], v3, off
.LBB242_3352:
	s_mov_b64 s[14:15], -1
.LBB242_3353:
	s_andn2_b64 vcc, exec, s[14:15]
	s_cbranch_vccnz .LBB242_3430
; %bb.3354:
	v_lshlrev_b32_e32 v2, 25, v9
	v_lshlrev_b16_e32 v1, 8, v9
	v_lshrrev_b32_e32 v3, 4, v2
	s_movk_i32 s2, 0x7f00
	v_or_b32_e32 v3, 0x70000000, v3
	v_and_or_b32 v4, v1, s2, 0.5
	s_brev_b32 s2, 16
	v_add_f32_e32 v4, -0.5, v4
	v_mul_f32_e32 v3, 0x7800000, v3
	v_cmp_gt_u32_e32 vcc, s2, v2
	v_cndmask_b32_e32 v2, v3, v4, vcc
	v_bfe_i32 v1, v1, 0, 16
	s_brev_b32 s2, 1
	v_and_or_b32 v1, v1, s2, v2
	v_cmp_eq_f32_e32 vcc, v7, v1
	v_cndmask_b32_e64 v2, 0, 1, vcc
	v_cmp_neq_f32_e32 vcc, v7, v1
	v_cndmask_b32_e64 v1, 0, 1, vcc
	v_cndmask_b32_e64 v1, v1, v2, s[0:1]
	v_and_b32_e32 v1, 1, v1
	v_cmp_eq_u32_e64 s[2:3], 1, v1
	v_mov_b32_e32 v1, s9
	v_add_co_u32_e32 v0, vcc, s8, v0
	s_cmp_lt_i32 s21, 11
	v_addc_co_u32_e32 v1, vcc, 0, v1, vcc
	s_cbranch_scc1 .LBB242_3475
; %bb.3355:
	s_mov_b64 s[8:9], -1
	s_mov_b64 s[4:5], 0
	s_cmp_gt_i32 s21, 25
	s_mov_b64 s[0:1], 0
	s_cbranch_scc0 .LBB242_3388
; %bb.3356:
	s_cmp_gt_i32 s21, 28
	s_cbranch_scc0 .LBB242_3372
; %bb.3357:
	s_cmp_gt_i32 s21, 43
	;; [unrolled: 3-line block ×3, first 2 shown]
	s_cbranch_scc0 .LBB242_3362
; %bb.3359:
	s_cmp_eq_u32 s21, 46
	s_mov_b64 s[0:1], -1
	s_cbranch_scc0 .LBB242_3361
; %bb.3360:
	v_cndmask_b32_e64 v2, 0, 1.0, s[2:3]
	v_bfe_u32 v3, v2, 16, 1
	s_movk_i32 s0, 0x7fff
	v_add3_u32 v2, v2, v3, s0
	v_lshrrev_b32_e32 v2, 16, v2
	global_store_dword v[0:1], v2, off
	s_mov_b64 s[0:1], 0
.LBB242_3361:
	s_mov_b64 s[8:9], 0
.LBB242_3362:
	s_and_b64 vcc, exec, s[8:9]
	s_cbranch_vccz .LBB242_3367
; %bb.3363:
	s_cmp_eq_u32 s21, 44
	s_mov_b64 s[0:1], -1
	s_cbranch_scc0 .LBB242_3367
; %bb.3364:
	v_cndmask_b32_e64 v3, 0, 1.0, s[2:3]
	v_lshrrev_b32_e32 v2, 23, v3
	s_movk_i32 s0, 0xff
	v_cmp_ne_u32_e32 vcc, s0, v2
	v_mov_b32_e32 v4, 0xff
	s_and_saveexec_b64 s[8:9], vcc
; %bb.3365:
	s_mov_b32 s0, 0x3fffff
	v_and_b32_e32 v4, 0x400000, v3
	v_and_or_b32 v3, v3, s0, v2
	v_cmp_ne_u32_e32 vcc, 0, v4
	v_cmp_ne_u32_e64 s[0:1], 0, v3
	s_and_b64 s[0:1], vcc, s[0:1]
	v_cndmask_b32_e64 v3, 0, 1, s[0:1]
	v_add_u32_e32 v4, v2, v3
; %bb.3366:
	s_or_b64 exec, exec, s[8:9]
	s_mov_b64 s[0:1], 0
	global_store_byte v[0:1], v4, off
.LBB242_3367:
	s_mov_b64 s[8:9], 0
.LBB242_3368:
	s_and_b64 vcc, exec, s[8:9]
	s_cbranch_vccz .LBB242_3371
; %bb.3369:
	s_cmp_eq_u32 s21, 29
	s_mov_b64 s[0:1], -1
	s_cbranch_scc0 .LBB242_3371
; %bb.3370:
	s_mov_b32 s0, 0
	v_cndmask_b32_e64 v2, 0, 1, s[2:3]
	v_mov_b32_e32 v3, s0
	global_store_dwordx2 v[0:1], v[2:3], off
	s_mov_b64 s[0:1], 0
.LBB242_3371:
	s_mov_b64 s[8:9], 0
.LBB242_3372:
	s_and_b64 vcc, exec, s[8:9]
	s_cbranch_vccz .LBB242_3387
; %bb.3373:
	s_cmp_lt_i32 s21, 27
	s_mov_b64 s[8:9], -1
	s_cbranch_scc1 .LBB242_3379
; %bb.3374:
	s_cmp_gt_i32 s21, 27
	s_cbranch_scc0 .LBB242_3376
; %bb.3375:
	v_cndmask_b32_e64 v2, 0, 1, s[2:3]
	global_store_dword v[0:1], v2, off
	s_mov_b64 s[8:9], 0
.LBB242_3376:
	s_andn2_b64 vcc, exec, s[8:9]
	s_cbranch_vccnz .LBB242_3378
; %bb.3377:
	v_cndmask_b32_e64 v2, 0, 1, s[2:3]
	global_store_short v[0:1], v2, off
.LBB242_3378:
	s_mov_b64 s[8:9], 0
.LBB242_3379:
	s_andn2_b64 vcc, exec, s[8:9]
	s_cbranch_vccnz .LBB242_3387
; %bb.3380:
	v_cndmask_b32_e64 v3, 0, 1.0, s[2:3]
	s_mov_b32 s8, 0x43800000
	v_cmp_gt_u32_e32 vcc, s8, v3
	v_mov_b32_e32 v4, 0x80
	s_and_saveexec_b64 s[8:9], vcc
	s_cbranch_execz .LBB242_3386
; %bb.3381:
	s_mov_b32 s10, 0x3bffffff
	v_cmp_lt_u32_e32 vcc, s10, v3
	s_mov_b64 s[10:11], 0
                                        ; implicit-def: $vgpr2
	s_and_saveexec_b64 s[14:15], vcc
	s_xor_b64 s[14:15], exec, s[14:15]
	s_cbranch_execz .LBB242_3492
; %bb.3382:
	v_bfe_u32 v2, v3, 20, 1
	s_mov_b32 s16, 0x487ffff
	v_add3_u32 v2, v3, v2, s16
	s_mov_b64 s[10:11], exec
	v_lshrrev_b32_e32 v2, 20, v2
                                        ; implicit-def: $vgpr3
	s_andn2_saveexec_b64 s[14:15], s[14:15]
	s_cbranch_execnz .LBB242_3493
.LBB242_3383:
	s_or_b64 exec, exec, s[14:15]
	v_mov_b32_e32 v4, 0
	s_and_saveexec_b64 s[14:15], s[10:11]
.LBB242_3384:
	v_mov_b32_e32 v4, v2
.LBB242_3385:
	s_or_b64 exec, exec, s[14:15]
.LBB242_3386:
	s_or_b64 exec, exec, s[8:9]
	global_store_byte v[0:1], v4, off
.LBB242_3387:
	s_mov_b64 s[8:9], 0
.LBB242_3388:
	s_and_b64 vcc, exec, s[8:9]
	s_cbranch_vccz .LBB242_3428
; %bb.3389:
	s_cmp_gt_i32 s21, 22
	s_mov_b64 s[4:5], -1
	s_cbranch_scc0 .LBB242_3421
; %bb.3390:
	s_cmp_lt_i32 s21, 24
	s_cbranch_scc1 .LBB242_3410
; %bb.3391:
	s_cmp_gt_i32 s21, 24
	s_cbranch_scc0 .LBB242_3399
; %bb.3392:
	v_cndmask_b32_e64 v3, 0, 1.0, s[2:3]
	s_mov_b32 s4, 0x47800000
	v_cmp_gt_u32_e32 vcc, s4, v3
	v_mov_b32_e32 v4, 0x80
	s_and_saveexec_b64 s[4:5], vcc
	s_cbranch_execz .LBB242_3398
; %bb.3393:
	s_mov_b32 s8, 0x37ffffff
	v_cmp_lt_u32_e32 vcc, s8, v3
	s_mov_b64 s[8:9], 0
                                        ; implicit-def: $vgpr2
	s_and_saveexec_b64 s[10:11], vcc
	s_xor_b64 s[10:11], exec, s[10:11]
	s_cbranch_execz .LBB242_3495
; %bb.3394:
	v_bfe_u32 v2, v3, 21, 1
	s_mov_b32 s14, 0x88fffff
	v_add3_u32 v2, v3, v2, s14
	s_mov_b64 s[8:9], exec
	v_lshrrev_b32_e32 v2, 21, v2
                                        ; implicit-def: $vgpr3
	s_andn2_saveexec_b64 s[10:11], s[10:11]
	s_cbranch_execnz .LBB242_3496
.LBB242_3395:
	s_or_b64 exec, exec, s[10:11]
	v_mov_b32_e32 v4, 0
	s_and_saveexec_b64 s[10:11], s[8:9]
.LBB242_3396:
	v_mov_b32_e32 v4, v2
.LBB242_3397:
	s_or_b64 exec, exec, s[10:11]
.LBB242_3398:
	s_or_b64 exec, exec, s[4:5]
	s_mov_b64 s[4:5], 0
	global_store_byte v[0:1], v4, off
.LBB242_3399:
	s_and_b64 vcc, exec, s[4:5]
	s_cbranch_vccz .LBB242_3409
; %bb.3400:
	v_cndmask_b32_e64 v2, 0, 1.0, s[2:3]
	s_mov_b32 s4, 0x43f00000
	v_cmp_gt_u32_e32 vcc, s4, v2
                                        ; implicit-def: $vgpr3
	s_and_saveexec_b64 s[4:5], vcc
	s_xor_b64 s[4:5], exec, s[4:5]
	s_cbranch_execz .LBB242_3406
; %bb.3401:
	s_mov_b32 s8, 0x3c7fffff
	v_cmp_lt_u32_e32 vcc, s8, v2
                                        ; implicit-def: $vgpr3
	s_and_saveexec_b64 s[8:9], vcc
	s_xor_b64 s[8:9], exec, s[8:9]
; %bb.3402:
	v_bfe_u32 v3, v2, 20, 1
	s_mov_b32 s10, 0x407ffff
	v_add3_u32 v2, v2, v3, s10
	v_lshrrev_b32_e32 v3, 20, v2
	v_and_b32_e32 v2, 0xff00000, v2
	s_mov_b32 s10, 0x7f00000
	v_mov_b32_e32 v4, 0x7e
	v_cmp_ne_u32_e32 vcc, s10, v2
	v_cndmask_b32_e32 v3, v4, v3, vcc
                                        ; implicit-def: $vgpr2
; %bb.3403:
	s_andn2_saveexec_b64 s[8:9], s[8:9]
; %bb.3404:
	v_add_f32_e32 v3, 0x46800000, v2
; %bb.3405:
	s_or_b64 exec, exec, s[8:9]
                                        ; implicit-def: $vgpr2
.LBB242_3406:
	s_andn2_saveexec_b64 s[4:5], s[4:5]
; %bb.3407:
	s_mov_b32 s8, 0x7f800000
	v_mov_b32_e32 v3, 0x7e
	v_mov_b32_e32 v4, 0x7f
	v_cmp_lt_u32_e32 vcc, s8, v2
	v_cndmask_b32_e32 v3, v3, v4, vcc
; %bb.3408:
	s_or_b64 exec, exec, s[4:5]
	global_store_byte v[0:1], v3, off
.LBB242_3409:
	s_mov_b64 s[4:5], 0
.LBB242_3410:
	s_andn2_b64 vcc, exec, s[4:5]
	s_cbranch_vccnz .LBB242_3420
; %bb.3411:
	v_cndmask_b32_e64 v2, 0, 1.0, s[2:3]
	s_mov_b32 s4, 0x47800000
	v_cmp_gt_u32_e32 vcc, s4, v2
                                        ; implicit-def: $vgpr3
	s_and_saveexec_b64 s[4:5], vcc
	s_xor_b64 s[4:5], exec, s[4:5]
	s_cbranch_execz .LBB242_3417
; %bb.3412:
	s_mov_b32 s8, 0x387fffff
	v_cmp_lt_u32_e32 vcc, s8, v2
                                        ; implicit-def: $vgpr3
	s_and_saveexec_b64 s[8:9], vcc
	s_xor_b64 s[8:9], exec, s[8:9]
; %bb.3413:
	v_bfe_u32 v3, v2, 21, 1
	s_mov_b32 s10, 0x80fffff
	v_add3_u32 v2, v2, v3, s10
	v_lshrrev_b32_e32 v3, 21, v2
                                        ; implicit-def: $vgpr2
; %bb.3414:
	s_andn2_saveexec_b64 s[8:9], s[8:9]
; %bb.3415:
	v_add_f32_e32 v3, 0x43000000, v2
; %bb.3416:
	s_or_b64 exec, exec, s[8:9]
                                        ; implicit-def: $vgpr2
.LBB242_3417:
	s_andn2_saveexec_b64 s[4:5], s[4:5]
; %bb.3418:
	s_mov_b32 s8, 0x7f800000
	v_mov_b32_e32 v3, 0x7c
	v_mov_b32_e32 v4, 0x7f
	v_cmp_lt_u32_e32 vcc, s8, v2
	v_cndmask_b32_e32 v3, v3, v4, vcc
; %bb.3419:
	s_or_b64 exec, exec, s[4:5]
	global_store_byte v[0:1], v3, off
.LBB242_3420:
	s_mov_b64 s[4:5], 0
.LBB242_3421:
	s_andn2_b64 vcc, exec, s[4:5]
	s_mov_b64 s[4:5], 0
	s_cbranch_vccnz .LBB242_3428
; %bb.3422:
	s_cmp_gt_i32 s21, 14
	s_mov_b64 s[8:9], -1
	s_cbranch_scc0 .LBB242_3426
; %bb.3423:
	s_cmp_eq_u32 s21, 15
	s_mov_b64 s[0:1], -1
	s_cbranch_scc0 .LBB242_3425
; %bb.3424:
	v_cndmask_b32_e64 v2, 0, 1.0, s[2:3]
	v_bfe_u32 v3, v2, 16, 1
	s_movk_i32 s0, 0x7fff
	v_add3_u32 v2, v2, v3, s0
	global_store_short_d16_hi v[0:1], v2, off
	s_mov_b64 s[0:1], 0
.LBB242_3425:
	s_mov_b64 s[8:9], 0
.LBB242_3426:
	s_and_b64 vcc, exec, s[8:9]
	s_cbranch_vccz .LBB242_3428
; %bb.3427:
	s_cmp_lg_u32 s21, 11
	s_mov_b64 s[4:5], -1
	s_cselect_b64 s[0:1], -1, 0
.LBB242_3428:
	s_and_b64 vcc, exec, s[0:1]
	s_cbranch_vccnz .LBB242_3494
.LBB242_3429:
	s_mov_b64 s[0:1], 0
	s_branch .LBB242_3431
.LBB242_3430:
	s_mov_b64 s[0:1], 0
	s_mov_b64 s[4:5], 0
                                        ; implicit-def: $sgpr2_sgpr3
                                        ; implicit-def: $vgpr0_vgpr1
                                        ; implicit-def: $sgpr20
.LBB242_3431:
	s_and_b64 s[44:45], s[4:5], exec
	s_andn2_b64 s[4:5], s[6:7], exec
	s_and_b64 s[6:7], s[12:13], exec
	s_and_b64 s[0:1], s[0:1], exec
	s_or_b64 s[6:7], s[4:5], s[6:7]
.LBB242_3432:
	s_or_b64 exec, exec, s[28:29]
	s_and_saveexec_b64 s[4:5], s[6:7]
	s_cbranch_execz .LBB242_3435
; %bb.3433:
	; divergent unreachable
	s_or_b64 exec, exec, s[4:5]
	s_and_saveexec_b64 s[4:5], s[44:45]
	s_xor_b64 s[4:5], exec, s[4:5]
	s_cbranch_execnz .LBB242_3436
.LBB242_3434:
	s_or_b64 exec, exec, s[4:5]
	s_and_saveexec_b64 s[4:5], s[0:1]
	s_cbranch_execnz .LBB242_3437
	s_branch .LBB242_3474
.LBB242_3435:
	s_or_b64 exec, exec, s[4:5]
	s_and_saveexec_b64 s[4:5], s[44:45]
	s_xor_b64 s[4:5], exec, s[4:5]
	s_cbranch_execz .LBB242_3434
.LBB242_3436:
	v_cndmask_b32_e64 v2, 0, 1, s[2:3]
	s_waitcnt vmcnt(0)
	global_store_byte v[0:1], v2, off
	s_or_b64 exec, exec, s[4:5]
	s_and_saveexec_b64 s[4:5], s[0:1]
	s_cbranch_execz .LBB242_3474
.LBB242_3437:
	s_sext_i32_i16 s4, s20
	s_cmp_lt_i32 s4, 5
	s_mov_b64 s[0:1], -1
	s_cbranch_scc1 .LBB242_3458
; %bb.3438:
	s_cmp_lt_i32 s4, 8
	s_cbranch_scc1 .LBB242_3448
; %bb.3439:
	s_cmp_lt_i32 s4, 9
	s_cbranch_scc1 .LBB242_3445
; %bb.3440:
	s_cmp_gt_i32 s4, 9
	s_cbranch_scc0 .LBB242_3442
; %bb.3441:
	v_cndmask_b32_e64 v2, 0, 1, s[2:3]
	s_waitcnt vmcnt(0)
	v_cvt_f64_u32_e32 v[2:3], v2
	v_mov_b32_e32 v4, 0
	v_mov_b32_e32 v5, v4
	s_mov_b64 s[0:1], 0
	global_store_dwordx4 v[0:1], v[2:5], off
.LBB242_3442:
	s_andn2_b64 vcc, exec, s[0:1]
	s_cbranch_vccnz .LBB242_3444
; %bb.3443:
	v_cndmask_b32_e64 v2, 0, 1.0, s[2:3]
	s_waitcnt vmcnt(0)
	v_mov_b32_e32 v3, 0
	global_store_dwordx2 v[0:1], v[2:3], off
.LBB242_3444:
	s_mov_b64 s[0:1], 0
.LBB242_3445:
	s_andn2_b64 vcc, exec, s[0:1]
	s_cbranch_vccnz .LBB242_3447
; %bb.3446:
	v_cndmask_b32_e64 v2, 0, 1.0, s[2:3]
	v_cvt_f16_f32_e32 v2, v2
	s_waitcnt vmcnt(0)
	global_store_dword v[0:1], v2, off
.LBB242_3447:
	s_mov_b64 s[0:1], 0
.LBB242_3448:
	s_andn2_b64 vcc, exec, s[0:1]
	s_cbranch_vccnz .LBB242_3457
; %bb.3449:
	s_sext_i32_i16 s4, s20
	s_cmp_lt_i32 s4, 6
	s_mov_b64 s[0:1], -1
	s_cbranch_scc1 .LBB242_3455
; %bb.3450:
	s_cmp_gt_i32 s4, 6
	s_cbranch_scc0 .LBB242_3452
; %bb.3451:
	v_cndmask_b32_e64 v2, 0, 1, s[2:3]
	s_waitcnt vmcnt(0)
	v_cvt_f64_u32_e32 v[2:3], v2
	s_mov_b64 s[0:1], 0
	global_store_dwordx2 v[0:1], v[2:3], off
.LBB242_3452:
	s_andn2_b64 vcc, exec, s[0:1]
	s_cbranch_vccnz .LBB242_3454
; %bb.3453:
	v_cndmask_b32_e64 v2, 0, 1.0, s[2:3]
	s_waitcnt vmcnt(0)
	global_store_dword v[0:1], v2, off
.LBB242_3454:
	s_mov_b64 s[0:1], 0
.LBB242_3455:
	s_andn2_b64 vcc, exec, s[0:1]
	s_cbranch_vccnz .LBB242_3457
; %bb.3456:
	v_cndmask_b32_e64 v2, 0, 1.0, s[2:3]
	v_cvt_f16_f32_e32 v2, v2
	s_waitcnt vmcnt(0)
	global_store_short v[0:1], v2, off
.LBB242_3457:
	s_mov_b64 s[0:1], 0
.LBB242_3458:
	s_andn2_b64 vcc, exec, s[0:1]
	s_cbranch_vccnz .LBB242_3474
; %bb.3459:
	s_sext_i32_i16 s4, s20
	s_cmp_lt_i32 s4, 2
	s_mov_b64 s[0:1], -1
	s_cbranch_scc1 .LBB242_3469
; %bb.3460:
	s_cmp_lt_i32 s4, 3
	s_cbranch_scc1 .LBB242_3466
; %bb.3461:
	s_cmp_gt_i32 s4, 3
	s_cbranch_scc0 .LBB242_3463
; %bb.3462:
	s_mov_b32 s0, 0
	v_cndmask_b32_e64 v2, 0, 1, s[2:3]
	s_waitcnt vmcnt(0)
	v_mov_b32_e32 v3, s0
	global_store_dwordx2 v[0:1], v[2:3], off
	s_mov_b64 s[0:1], 0
.LBB242_3463:
	s_andn2_b64 vcc, exec, s[0:1]
	s_cbranch_vccnz .LBB242_3465
; %bb.3464:
	v_cndmask_b32_e64 v2, 0, 1, s[2:3]
	s_waitcnt vmcnt(0)
	global_store_dword v[0:1], v2, off
.LBB242_3465:
	s_mov_b64 s[0:1], 0
.LBB242_3466:
	s_andn2_b64 vcc, exec, s[0:1]
	s_cbranch_vccnz .LBB242_3468
; %bb.3467:
	v_cndmask_b32_e64 v2, 0, 1, s[2:3]
	s_waitcnt vmcnt(0)
	global_store_short v[0:1], v2, off
.LBB242_3468:
	s_mov_b64 s[0:1], 0
.LBB242_3469:
	s_andn2_b64 vcc, exec, s[0:1]
	s_cbranch_vccnz .LBB242_3474
; %bb.3470:
	s_sext_i32_i16 s0, s20
	s_cmp_gt_i32 s0, 0
	s_mov_b64 s[0:1], -1
	s_cbranch_scc0 .LBB242_3472
; %bb.3471:
	v_cndmask_b32_e64 v2, 0, 1, s[2:3]
	s_waitcnt vmcnt(0)
	global_store_byte v[0:1], v2, off
	s_mov_b64 s[0:1], 0
.LBB242_3472:
	s_andn2_b64 vcc, exec, s[0:1]
	s_cbranch_vccnz .LBB242_3474
; %bb.3473:
	v_cndmask_b32_e64 v2, 0, 1, s[2:3]
	s_waitcnt vmcnt(0)
	global_store_byte v[0:1], v2, off
	s_endpgm
.LBB242_3474:
	s_endpgm
.LBB242_3475:
	s_mov_b64 s[4:5], 0
	s_mov_b64 s[0:1], -1
	s_branch .LBB242_3431
.LBB242_3476:
	s_trap 2
	s_or_b64 s[12:13], s[12:13], exec
	s_cbranch_execz .LBB242_2849
	s_branch .LBB242_2858
.LBB242_3477:
	s_andn2_saveexec_b64 s[18:19], s[18:19]
	s_cbranch_execz .LBB242_3025
.LBB242_3478:
	v_add_f32_e32 v1, 0x46000000, v8
	v_and_b32_e32 v1, 0xff, v1
	v_cmp_ne_u32_e32 vcc, 0, v1
	s_andn2_b64 s[16:17], s[16:17], exec
	s_and_b64 s[22:23], vcc, exec
	s_or_b64 s[16:17], s[16:17], s[22:23]
	s_or_b64 exec, exec, s[18:19]
	v_mov_b32_e32 v11, 0
	s_and_saveexec_b64 s[18:19], s[16:17]
	s_cbranch_execnz .LBB242_3026
	s_branch .LBB242_3027
.LBB242_3479:
	s_trap 2
	s_or_b64 s[12:13], s[12:13], exec
	s_cbranch_execz .LBB242_3073
	s_branch .LBB242_3074
.LBB242_3480:
	s_andn2_saveexec_b64 s[16:17], s[16:17]
	s_cbranch_execz .LBB242_3038
.LBB242_3481:
	v_add_f32_e32 v1, 0x42800000, v8
	v_and_b32_e32 v1, 0xff, v1
	v_cmp_ne_u32_e32 vcc, 0, v1
	s_andn2_b64 s[14:15], s[14:15], exec
	s_and_b64 s[18:19], vcc, exec
	s_or_b64 s[14:15], s[14:15], s[18:19]
	s_or_b64 exec, exec, s[16:17]
	v_mov_b32_e32 v11, 0
	s_and_saveexec_b64 s[16:17], s[14:15]
	s_cbranch_execnz .LBB242_3039
	s_branch .LBB242_3040
.LBB242_3482:
	s_andn2_saveexec_b64 s[18:19], s[18:19]
	s_cbranch_execz .LBB242_3144
.LBB242_3483:
	v_add_f32_e32 v1, 0x46000000, v5
	v_and_b32_e32 v1, 0xff, v1
	v_cmp_ne_u32_e32 vcc, 0, v1
	s_andn2_b64 s[16:17], s[16:17], exec
	s_and_b64 s[22:23], vcc, exec
	s_or_b64 s[16:17], s[16:17], s[22:23]
	s_or_b64 exec, exec, s[18:19]
	v_mov_b32_e32 v6, 0
	s_and_saveexec_b64 s[18:19], s[16:17]
	s_cbranch_execnz .LBB242_3145
	s_branch .LBB242_3146
.LBB242_3484:
	s_trap 2
	s_or_b64 s[12:13], s[12:13], exec
	s_cbranch_execz .LBB242_3192
	s_branch .LBB242_3193
.LBB242_3485:
	s_andn2_saveexec_b64 s[16:17], s[16:17]
	s_cbranch_execz .LBB242_3157
.LBB242_3486:
	v_add_f32_e32 v1, 0x42800000, v5
	v_and_b32_e32 v1, 0xff, v1
	v_cmp_ne_u32_e32 vcc, 0, v1
	s_andn2_b64 s[14:15], s[14:15], exec
	s_and_b64 s[18:19], vcc, exec
	s_or_b64 s[14:15], s[14:15], s[18:19]
	s_or_b64 exec, exec, s[16:17]
	v_mov_b32_e32 v6, 0
	s_and_saveexec_b64 s[16:17], s[14:15]
	s_cbranch_execnz .LBB242_3158
	s_branch .LBB242_3159
.LBB242_3487:
	s_andn2_saveexec_b64 s[18:19], s[18:19]
	s_cbranch_execz .LBB242_3263
.LBB242_3488:
	v_add_f32_e32 v3, 0x46000000, v4
	v_and_b32_e32 v3, 0xff, v3
	v_cmp_ne_u32_e32 vcc, 0, v3
	s_andn2_b64 s[16:17], s[16:17], exec
	s_and_b64 s[22:23], vcc, exec
	s_or_b64 s[16:17], s[16:17], s[22:23]
	s_or_b64 exec, exec, s[18:19]
	v_mov_b32_e32 v5, 0
	s_and_saveexec_b64 s[18:19], s[16:17]
	s_cbranch_execnz .LBB242_3264
	s_branch .LBB242_3265
.LBB242_3489:
	s_trap 2
	s_or_b64 s[12:13], s[12:13], exec
	s_cbranch_execz .LBB242_3311
	s_branch .LBB242_3312
.LBB242_3490:
	s_andn2_saveexec_b64 s[16:17], s[16:17]
	s_cbranch_execz .LBB242_3276
.LBB242_3491:
	v_add_f32_e32 v3, 0x42800000, v4
	v_and_b32_e32 v3, 0xff, v3
	v_cmp_ne_u32_e32 vcc, 0, v3
	s_andn2_b64 s[14:15], s[14:15], exec
	s_and_b64 s[18:19], vcc, exec
	s_or_b64 s[14:15], s[14:15], s[18:19]
	s_or_b64 exec, exec, s[16:17]
	v_mov_b32_e32 v5, 0
	s_and_saveexec_b64 s[16:17], s[14:15]
	s_cbranch_execnz .LBB242_3277
	s_branch .LBB242_3278
.LBB242_3492:
	s_andn2_saveexec_b64 s[14:15], s[14:15]
	s_cbranch_execz .LBB242_3383
.LBB242_3493:
	v_add_f32_e32 v2, 0x46000000, v3
	v_and_b32_e32 v2, 0xff, v2
	v_cmp_ne_u32_e32 vcc, 0, v2
	s_andn2_b64 s[10:11], s[10:11], exec
	s_and_b64 s[16:17], vcc, exec
	s_or_b64 s[10:11], s[10:11], s[16:17]
	s_or_b64 exec, exec, s[14:15]
	v_mov_b32_e32 v4, 0
	s_and_saveexec_b64 s[14:15], s[10:11]
	s_cbranch_execnz .LBB242_3384
	s_branch .LBB242_3385
.LBB242_3494:
	s_mov_b64 s[4:5], 0
	s_or_b64 s[12:13], s[12:13], exec
	s_trap 2
	s_branch .LBB242_3429
.LBB242_3495:
	s_andn2_saveexec_b64 s[10:11], s[10:11]
	s_cbranch_execz .LBB242_3395
.LBB242_3496:
	v_add_f32_e32 v2, 0x42800000, v3
	v_and_b32_e32 v2, 0xff, v2
	v_cmp_ne_u32_e32 vcc, 0, v2
	s_andn2_b64 s[8:9], s[8:9], exec
	s_and_b64 s[14:15], vcc, exec
	s_or_b64 s[8:9], s[8:9], s[14:15]
	s_or_b64 exec, exec, s[10:11]
	v_mov_b32_e32 v4, 0
	s_and_saveexec_b64 s[10:11], s[8:9]
	s_cbranch_execnz .LBB242_3396
	s_branch .LBB242_3397
	.section	.rodata,"a",@progbits
	.p2align	6, 0x0
	.amdhsa_kernel _ZN2at6native32elementwise_kernel_manual_unrollILi128ELi4EZNS0_15gpu_kernel_implINS0_13AUnaryFunctorIN3c1011Float8_e5m2ES5_bNS0_12_GLOBAL__N_116CompareEqFunctorIS5_EEEEEEvRNS_18TensorIteratorBaseERKT_EUlibE0_EEviT1_
		.amdhsa_group_segment_fixed_size 0
		.amdhsa_private_segment_fixed_size 0
		.amdhsa_kernarg_size 368
		.amdhsa_user_sgpr_count 6
		.amdhsa_user_sgpr_private_segment_buffer 1
		.amdhsa_user_sgpr_dispatch_ptr 0
		.amdhsa_user_sgpr_queue_ptr 0
		.amdhsa_user_sgpr_kernarg_segment_ptr 1
		.amdhsa_user_sgpr_dispatch_id 0
		.amdhsa_user_sgpr_flat_scratch_init 0
		.amdhsa_user_sgpr_private_segment_size 0
		.amdhsa_uses_dynamic_stack 0
		.amdhsa_system_sgpr_private_segment_wavefront_offset 0
		.amdhsa_system_sgpr_workgroup_id_x 1
		.amdhsa_system_sgpr_workgroup_id_y 0
		.amdhsa_system_sgpr_workgroup_id_z 0
		.amdhsa_system_sgpr_workgroup_info 0
		.amdhsa_system_vgpr_workitem_id 0
		.amdhsa_next_free_vgpr 18
		.amdhsa_next_free_sgpr 80
		.amdhsa_reserve_vcc 1
		.amdhsa_reserve_flat_scratch 0
		.amdhsa_float_round_mode_32 0
		.amdhsa_float_round_mode_16_64 0
		.amdhsa_float_denorm_mode_32 3
		.amdhsa_float_denorm_mode_16_64 3
		.amdhsa_dx10_clamp 1
		.amdhsa_ieee_mode 1
		.amdhsa_fp16_overflow 0
		.amdhsa_exception_fp_ieee_invalid_op 0
		.amdhsa_exception_fp_denorm_src 0
		.amdhsa_exception_fp_ieee_div_zero 0
		.amdhsa_exception_fp_ieee_overflow 0
		.amdhsa_exception_fp_ieee_underflow 0
		.amdhsa_exception_fp_ieee_inexact 0
		.amdhsa_exception_int_div_zero 0
	.end_amdhsa_kernel
	.section	.text._ZN2at6native32elementwise_kernel_manual_unrollILi128ELi4EZNS0_15gpu_kernel_implINS0_13AUnaryFunctorIN3c1011Float8_e5m2ES5_bNS0_12_GLOBAL__N_116CompareEqFunctorIS5_EEEEEEvRNS_18TensorIteratorBaseERKT_EUlibE0_EEviT1_,"axG",@progbits,_ZN2at6native32elementwise_kernel_manual_unrollILi128ELi4EZNS0_15gpu_kernel_implINS0_13AUnaryFunctorIN3c1011Float8_e5m2ES5_bNS0_12_GLOBAL__N_116CompareEqFunctorIS5_EEEEEEvRNS_18TensorIteratorBaseERKT_EUlibE0_EEviT1_,comdat
.Lfunc_end242:
	.size	_ZN2at6native32elementwise_kernel_manual_unrollILi128ELi4EZNS0_15gpu_kernel_implINS0_13AUnaryFunctorIN3c1011Float8_e5m2ES5_bNS0_12_GLOBAL__N_116CompareEqFunctorIS5_EEEEEEvRNS_18TensorIteratorBaseERKT_EUlibE0_EEviT1_, .Lfunc_end242-_ZN2at6native32elementwise_kernel_manual_unrollILi128ELi4EZNS0_15gpu_kernel_implINS0_13AUnaryFunctorIN3c1011Float8_e5m2ES5_bNS0_12_GLOBAL__N_116CompareEqFunctorIS5_EEEEEEvRNS_18TensorIteratorBaseERKT_EUlibE0_EEviT1_
                                        ; -- End function
	.set _ZN2at6native32elementwise_kernel_manual_unrollILi128ELi4EZNS0_15gpu_kernel_implINS0_13AUnaryFunctorIN3c1011Float8_e5m2ES5_bNS0_12_GLOBAL__N_116CompareEqFunctorIS5_EEEEEEvRNS_18TensorIteratorBaseERKT_EUlibE0_EEviT1_.num_vgpr, 18
	.set _ZN2at6native32elementwise_kernel_manual_unrollILi128ELi4EZNS0_15gpu_kernel_implINS0_13AUnaryFunctorIN3c1011Float8_e5m2ES5_bNS0_12_GLOBAL__N_116CompareEqFunctorIS5_EEEEEEvRNS_18TensorIteratorBaseERKT_EUlibE0_EEviT1_.num_agpr, 0
	.set _ZN2at6native32elementwise_kernel_manual_unrollILi128ELi4EZNS0_15gpu_kernel_implINS0_13AUnaryFunctorIN3c1011Float8_e5m2ES5_bNS0_12_GLOBAL__N_116CompareEqFunctorIS5_EEEEEEvRNS_18TensorIteratorBaseERKT_EUlibE0_EEviT1_.numbered_sgpr, 80
	.set _ZN2at6native32elementwise_kernel_manual_unrollILi128ELi4EZNS0_15gpu_kernel_implINS0_13AUnaryFunctorIN3c1011Float8_e5m2ES5_bNS0_12_GLOBAL__N_116CompareEqFunctorIS5_EEEEEEvRNS_18TensorIteratorBaseERKT_EUlibE0_EEviT1_.num_named_barrier, 0
	.set _ZN2at6native32elementwise_kernel_manual_unrollILi128ELi4EZNS0_15gpu_kernel_implINS0_13AUnaryFunctorIN3c1011Float8_e5m2ES5_bNS0_12_GLOBAL__N_116CompareEqFunctorIS5_EEEEEEvRNS_18TensorIteratorBaseERKT_EUlibE0_EEviT1_.private_seg_size, 0
	.set _ZN2at6native32elementwise_kernel_manual_unrollILi128ELi4EZNS0_15gpu_kernel_implINS0_13AUnaryFunctorIN3c1011Float8_e5m2ES5_bNS0_12_GLOBAL__N_116CompareEqFunctorIS5_EEEEEEvRNS_18TensorIteratorBaseERKT_EUlibE0_EEviT1_.uses_vcc, 1
	.set _ZN2at6native32elementwise_kernel_manual_unrollILi128ELi4EZNS0_15gpu_kernel_implINS0_13AUnaryFunctorIN3c1011Float8_e5m2ES5_bNS0_12_GLOBAL__N_116CompareEqFunctorIS5_EEEEEEvRNS_18TensorIteratorBaseERKT_EUlibE0_EEviT1_.uses_flat_scratch, 0
	.set _ZN2at6native32elementwise_kernel_manual_unrollILi128ELi4EZNS0_15gpu_kernel_implINS0_13AUnaryFunctorIN3c1011Float8_e5m2ES5_bNS0_12_GLOBAL__N_116CompareEqFunctorIS5_EEEEEEvRNS_18TensorIteratorBaseERKT_EUlibE0_EEviT1_.has_dyn_sized_stack, 0
	.set _ZN2at6native32elementwise_kernel_manual_unrollILi128ELi4EZNS0_15gpu_kernel_implINS0_13AUnaryFunctorIN3c1011Float8_e5m2ES5_bNS0_12_GLOBAL__N_116CompareEqFunctorIS5_EEEEEEvRNS_18TensorIteratorBaseERKT_EUlibE0_EEviT1_.has_recursion, 0
	.set _ZN2at6native32elementwise_kernel_manual_unrollILi128ELi4EZNS0_15gpu_kernel_implINS0_13AUnaryFunctorIN3c1011Float8_e5m2ES5_bNS0_12_GLOBAL__N_116CompareEqFunctorIS5_EEEEEEvRNS_18TensorIteratorBaseERKT_EUlibE0_EEviT1_.has_indirect_call, 0
	.section	.AMDGPU.csdata,"",@progbits
; Kernel info:
; codeLenInByte = 62064
; TotalNumSgprs: 84
; NumVgprs: 18
; ScratchSize: 0
; MemoryBound: 0
; FloatMode: 240
; IeeeMode: 1
; LDSByteSize: 0 bytes/workgroup (compile time only)
; SGPRBlocks: 10
; VGPRBlocks: 4
; NumSGPRsForWavesPerEU: 84
; NumVGPRsForWavesPerEU: 18
; Occupancy: 9
; WaveLimiterHint : 1
; COMPUTE_PGM_RSRC2:SCRATCH_EN: 0
; COMPUTE_PGM_RSRC2:USER_SGPR: 6
; COMPUTE_PGM_RSRC2:TRAP_HANDLER: 0
; COMPUTE_PGM_RSRC2:TGID_X_EN: 1
; COMPUTE_PGM_RSRC2:TGID_Y_EN: 0
; COMPUTE_PGM_RSRC2:TGID_Z_EN: 0
; COMPUTE_PGM_RSRC2:TIDIG_COMP_CNT: 0
	.text
	.p2align	2                               ; -- Begin function _ZN2at6native25elementwise_kernel_helperILb0ENS0_13BinaryFunctorIN3c1015Float8_e5m2fnuzES4_bNS0_12_GLOBAL__N_116CompareEqFunctorIS4_EEEENS0_6memory8policies11unroll_baseILi256ESt5arrayIPcLm3EE23TrivialOffsetCalculatorILi2EjESF_ILi1EjENS9_15LoadWithoutCastENS9_16StoreWithoutCastELi16ELi1EEEEEvT0_T1_
	.type	_ZN2at6native25elementwise_kernel_helperILb0ENS0_13BinaryFunctorIN3c1015Float8_e5m2fnuzES4_bNS0_12_GLOBAL__N_116CompareEqFunctorIS4_EEEENS0_6memory8policies11unroll_baseILi256ESt5arrayIPcLm3EE23TrivialOffsetCalculatorILi2EjESF_ILi1EjENS9_15LoadWithoutCastENS9_16StoreWithoutCastELi16ELi1EEEEEvT0_T1_,@function
_ZN2at6native25elementwise_kernel_helperILb0ENS0_13BinaryFunctorIN3c1015Float8_e5m2fnuzES4_bNS0_12_GLOBAL__N_116CompareEqFunctorIS4_EEEENS0_6memory8policies11unroll_baseILi256ESt5arrayIPcLm3EE23TrivialOffsetCalculatorILi2EjESF_ILi1EjENS9_15LoadWithoutCastENS9_16StoreWithoutCastELi16ELi1EEEEEvT0_T1_: ; @_ZN2at6native25elementwise_kernel_helperILb0ENS0_13BinaryFunctorIN3c1015Float8_e5m2fnuzES4_bNS0_12_GLOBAL__N_116CompareEqFunctorIS4_EEEENS0_6memory8policies11unroll_baseILi256ESt5arrayIPcLm3EE23TrivialOffsetCalculatorILi2EjESF_ILi1EjENS9_15LoadWithoutCastENS9_16StoreWithoutCastELi16ELi1EEEEEvT0_T1_
; %bb.0:
	s_waitcnt vmcnt(0) expcnt(0) lgkmcnt(0)
	v_and_b32_e32 v12, 0x3ff, v31
	s_lshl_b32 s56, s12, 12
	v_cmp_lt_i32_e32 vcc, v12, v7
	v_mov_b32_e32 v14, 0
	v_or_b32_e32 v13, s56, v12
	v_mov_b32_e32 v16, 0
	v_mov_b32_e32 v15, 0
	;; [unrolled: 1-line block ×32, first 2 shown]
	s_and_saveexec_b64 s[6:7], vcc
	s_cbranch_execz .LBB243_32
; %bb.1:
	v_add_co_u32_e64 v8, s[4:5], v3, v13
	v_addc_co_u32_e64 v9, s[4:5], 0, v4, s[4:5]
	flat_load_ubyte v54, v[8:9]
	v_add_co_u32_e64 v8, s[4:5], v5, v13
	v_addc_co_u32_e64 v9, s[4:5], 0, v6, s[4:5]
	flat_load_ubyte v53, v[8:9]
	v_add_u32_e32 v8, 0x100, v12
	v_mov_b32_e32 v51, 0
	v_cmp_lt_u32_e64 s[4:5], v8, v7
	v_mov_b32_e32 v52, 0
	v_mov_b32_e32 v49, 0
	;; [unrolled: 1-line block ×29, first 2 shown]
	s_and_saveexec_b64 s[8:9], s[4:5]
	s_cbranch_execz .LBB243_31
; %bb.2:
	v_add_u32_e32 v10, s56, v12
	v_add_co_u32_e64 v8, s[4:5], v3, v10
	v_addc_co_u32_e64 v9, s[4:5], 0, v4, s[4:5]
	v_add_co_u32_e64 v10, s[4:5], v5, v10
	v_addc_co_u32_e64 v11, s[4:5], 0, v6, s[4:5]
	flat_load_ubyte v52, v[8:9] offset:256
	flat_load_ubyte v51, v[10:11] offset:256
	v_add_u32_e32 v15, 0x200, v12
	v_mov_b32_e32 v49, 0
	v_cmp_lt_u32_e64 s[4:5], v15, v7
	v_mov_b32_e32 v50, 0
	v_mov_b32_e32 v39, 0
	;; [unrolled: 1-line block ×27, first 2 shown]
	s_and_saveexec_b64 s[10:11], s[4:5]
	s_cbranch_execz .LBB243_30
; %bb.3:
	flat_load_ubyte v50, v[8:9] offset:512
	flat_load_ubyte v49, v[10:11] offset:512
	v_add_u32_e32 v15, 0x300, v12
	v_cmp_lt_u32_e64 s[4:5], v15, v7
	v_mov_b32_e32 v39, 0
	v_mov_b32_e32 v48, 0
	v_mov_b32_e32 v37, 0
	v_mov_b32_e32 v38, 0
	v_mov_b32_e32 v35, 0
	v_mov_b32_e32 v36, 0
	v_mov_b32_e32 v33, 0
	v_mov_b32_e32 v34, 0
	v_mov_b32_e32 v31, 0
	v_mov_b32_e32 v32, 0
	v_mov_b32_e32 v29, 0
	v_mov_b32_e32 v30, 0
	v_mov_b32_e32 v27, 0
	v_mov_b32_e32 v28, 0
	v_mov_b32_e32 v25, 0
	v_mov_b32_e32 v26, 0
	v_mov_b32_e32 v23, 0
	v_mov_b32_e32 v24, 0
	v_mov_b32_e32 v21, 0
	v_mov_b32_e32 v22, 0
	v_mov_b32_e32 v19, 0
	v_mov_b32_e32 v20, 0
	v_mov_b32_e32 v17, 0
	v_mov_b32_e32 v18, 0
	v_mov_b32_e32 v15, 0
	v_mov_b32_e32 v16, 0
	s_and_saveexec_b64 s[12:13], s[4:5]
	s_cbranch_execz .LBB243_29
; %bb.4:
	flat_load_ubyte v48, v[8:9] offset:768
	flat_load_ubyte v39, v[10:11] offset:768
	v_or_b32_e32 v15, 0x400, v12
	v_cmp_lt_u32_e64 s[4:5], v15, v7
	v_mov_b32_e32 v37, 0
	v_mov_b32_e32 v38, 0
	;; [unrolled: 1-line block ×24, first 2 shown]
	s_and_saveexec_b64 s[14:15], s[4:5]
	s_cbranch_execz .LBB243_28
; %bb.5:
	flat_load_ubyte v38, v[8:9] offset:1024
	flat_load_ubyte v37, v[10:11] offset:1024
	v_add_u32_e32 v15, 0x500, v12
	v_cmp_lt_u32_e64 s[4:5], v15, v7
	v_mov_b32_e32 v35, 0
	v_mov_b32_e32 v36, 0
	;; [unrolled: 1-line block ×22, first 2 shown]
	s_and_saveexec_b64 s[16:17], s[4:5]
	s_cbranch_execz .LBB243_27
; %bb.6:
	flat_load_ubyte v36, v[8:9] offset:1280
	flat_load_ubyte v35, v[10:11] offset:1280
	v_add_u32_e32 v15, 0x600, v12
	v_cmp_lt_u32_e64 s[4:5], v15, v7
	v_mov_b32_e32 v33, 0
	v_mov_b32_e32 v34, 0
	;; [unrolled: 1-line block ×20, first 2 shown]
	s_and_saveexec_b64 s[18:19], s[4:5]
	s_cbranch_execz .LBB243_26
; %bb.7:
	flat_load_ubyte v34, v[8:9] offset:1536
	flat_load_ubyte v33, v[10:11] offset:1536
	v_add_u32_e32 v15, 0x700, v12
	v_cmp_lt_u32_e64 s[4:5], v15, v7
	v_mov_b32_e32 v31, 0
	v_mov_b32_e32 v32, 0
	;; [unrolled: 1-line block ×18, first 2 shown]
	s_and_saveexec_b64 s[20:21], s[4:5]
	s_cbranch_execz .LBB243_25
; %bb.8:
	flat_load_ubyte v32, v[8:9] offset:1792
	flat_load_ubyte v31, v[10:11] offset:1792
	v_or_b32_e32 v15, 0x800, v12
	v_cmp_lt_u32_e64 s[4:5], v15, v7
	v_mov_b32_e32 v29, 0
	v_mov_b32_e32 v30, 0
	;; [unrolled: 1-line block ×16, first 2 shown]
	s_and_saveexec_b64 s[22:23], s[4:5]
	s_cbranch_execz .LBB243_24
; %bb.9:
	flat_load_ubyte v30, v[8:9] offset:2048
	flat_load_ubyte v29, v[10:11] offset:2048
	v_add_u32_e32 v15, 0x900, v12
	v_cmp_lt_u32_e64 s[4:5], v15, v7
	v_mov_b32_e32 v27, 0
	v_mov_b32_e32 v28, 0
	;; [unrolled: 1-line block ×14, first 2 shown]
	s_and_saveexec_b64 s[24:25], s[4:5]
	s_cbranch_execz .LBB243_23
; %bb.10:
	flat_load_ubyte v28, v[8:9] offset:2304
	flat_load_ubyte v27, v[10:11] offset:2304
	v_add_u32_e32 v15, 0xa00, v12
	v_cmp_lt_u32_e64 s[4:5], v15, v7
	v_mov_b32_e32 v25, 0
	v_mov_b32_e32 v26, 0
	;; [unrolled: 1-line block ×12, first 2 shown]
	s_and_saveexec_b64 s[26:27], s[4:5]
	s_cbranch_execz .LBB243_22
; %bb.11:
	flat_load_ubyte v26, v[8:9] offset:2560
	flat_load_ubyte v25, v[10:11] offset:2560
	v_add_u32_e32 v15, 0xb00, v12
	v_cmp_lt_u32_e64 s[4:5], v15, v7
	v_mov_b32_e32 v23, 0
	v_mov_b32_e32 v24, 0
	;; [unrolled: 1-line block ×10, first 2 shown]
	s_and_saveexec_b64 s[28:29], s[4:5]
	s_cbranch_execz .LBB243_21
; %bb.12:
	flat_load_ubyte v24, v[8:9] offset:2816
	flat_load_ubyte v23, v[10:11] offset:2816
	v_or_b32_e32 v15, 0xc00, v12
	v_cmp_lt_u32_e64 s[4:5], v15, v7
	v_mov_b32_e32 v21, 0
	v_mov_b32_e32 v22, 0
	;; [unrolled: 1-line block ×8, first 2 shown]
	s_and_saveexec_b64 s[40:41], s[4:5]
	s_cbranch_execz .LBB243_20
; %bb.13:
	flat_load_ubyte v22, v[8:9] offset:3072
	flat_load_ubyte v21, v[10:11] offset:3072
	v_add_u32_e32 v8, 0xd00, v12
	v_cmp_lt_u32_e64 s[4:5], v8, v7
	v_mov_b32_e32 v19, 0
	v_mov_b32_e32 v20, 0
	;; [unrolled: 1-line block ×6, first 2 shown]
	s_and_saveexec_b64 s[42:43], s[4:5]
	s_cbranch_execz .LBB243_19
; %bb.14:
	v_add_u32_e32 v10, s56, v8
	v_add_co_u32_e64 v8, s[4:5], v3, v10
	v_addc_co_u32_e64 v9, s[4:5], 0, v4, s[4:5]
	flat_load_ubyte v20, v[8:9]
	v_add_co_u32_e64 v8, s[4:5], v5, v10
	v_addc_co_u32_e64 v9, s[4:5], 0, v6, s[4:5]
	flat_load_ubyte v19, v[8:9]
	v_add_u32_e32 v8, 0xe00, v12
	v_mov_b32_e32 v17, 0
	v_cmp_lt_u32_e64 s[4:5], v8, v7
	v_mov_b32_e32 v18, 0
	v_mov_b32_e32 v15, 0
	;; [unrolled: 1-line block ×3, first 2 shown]
	s_and_saveexec_b64 s[44:45], s[4:5]
	s_cbranch_execz .LBB243_18
; %bb.15:
	v_add_u32_e32 v10, s56, v8
	v_add_co_u32_e64 v8, s[4:5], v3, v10
	v_addc_co_u32_e64 v9, s[4:5], 0, v4, s[4:5]
	flat_load_ubyte v18, v[8:9]
	v_add_co_u32_e64 v8, s[4:5], v5, v10
	v_addc_co_u32_e64 v9, s[4:5], 0, v6, s[4:5]
	flat_load_ubyte v17, v[8:9]
	v_add_u32_e32 v8, 0xf00, v12
	v_mov_b32_e32 v15, 0
	v_cmp_lt_u32_e64 s[4:5], v8, v7
	v_mov_b32_e32 v16, 0
	s_and_saveexec_b64 s[46:47], s[4:5]
	s_cbranch_execz .LBB243_17
; %bb.16:
	v_add_u32_e32 v8, s56, v8
	v_add_co_u32_e64 v5, s[4:5], v5, v8
	v_addc_co_u32_e64 v6, s[4:5], 0, v6, s[4:5]
	v_add_co_u32_e64 v3, s[4:5], v3, v8
	v_addc_co_u32_e64 v4, s[4:5], 0, v4, s[4:5]
	flat_load_ubyte v16, v[3:4]
	flat_load_ubyte v15, v[5:6]
.LBB243_17:
	s_or_b64 exec, exec, s[46:47]
.LBB243_18:
	s_or_b64 exec, exec, s[44:45]
.LBB243_19:
	s_or_b64 exec, exec, s[42:43]
.LBB243_20:
	s_or_b64 exec, exec, s[40:41]
.LBB243_21:
	s_or_b64 exec, exec, s[28:29]
.LBB243_22:
	s_or_b64 exec, exec, s[26:27]
.LBB243_23:
	s_or_b64 exec, exec, s[24:25]
.LBB243_24:
	s_or_b64 exec, exec, s[22:23]
.LBB243_25:
	s_or_b64 exec, exec, s[20:21]
.LBB243_26:
	s_or_b64 exec, exec, s[18:19]
.LBB243_27:
	s_or_b64 exec, exec, s[16:17]
.LBB243_28:
	s_or_b64 exec, exec, s[14:15]
.LBB243_29:
	s_or_b64 exec, exec, s[12:13]
.LBB243_30:
	s_or_b64 exec, exec, s[10:11]
.LBB243_31:
	s_or_b64 exec, exec, s[8:9]
.LBB243_32:
	s_or_b64 exec, exec, s[6:7]
	v_cmp_ne_u32_e64 s[4:5], 0, v0
	v_mov_b32_e32 v4, v14
	v_mov_b32_e32 v3, v14
	;; [unrolled: 1-line block ×3, first 2 shown]
	s_and_saveexec_b64 s[8:9], vcc
	s_cbranch_execz .LBB243_54
; %bb.33:
                                        ; implicit-def: $sgpr10_sgpr11
	s_and_saveexec_b64 s[6:7], s[4:5]
	s_xor_b64 s[12:13], exec, s[6:7]
	s_cbranch_execz .LBB243_43
; %bb.34:
	s_movk_i32 s6, 0x7f
	s_waitcnt vmcnt(0) lgkmcnt(0)
	v_cmp_gt_i16_sdwa s[10:11], v54, s6 src0_sel:BYTE_0 src1_sel:DWORD
	s_mov_b64 s[6:7], 0
	s_and_saveexec_b64 s[14:15], s[10:11]
	s_xor_b64 s[10:11], exec, s[14:15]
	s_cbranch_execnz .LBB243_417
; %bb.35:
	s_or_saveexec_b64 s[10:11], s[10:11]
	v_mov_b32_e32 v0, 0x7f800001
	s_xor_b64 exec, exec, s[10:11]
	s_cbranch_execnz .LBB243_420
.LBB243_36:
	s_or_b64 exec, exec, s[10:11]
	s_and_saveexec_b64 s[10:11], s[6:7]
	s_cbranch_execz .LBB243_38
.LBB243_37:
	v_and_b32_e32 v3, 3, v54
	v_ffbh_u32_e32 v4, v3
	v_min_u32_e32 v4, 32, v4
	v_lshrrev_b16_e32 v0, 2, v54
	v_subrev_u32_e32 v5, 29, v4
	v_and_b32_e32 v0, 31, v0
	v_lshlrev_b32_e32 v5, v5, v54
	v_sub_u32_e32 v4, 30, v4
	v_and_b32_e32 v5, 3, v5
	v_cmp_eq_u32_e64 s[6:7], 0, v0
	v_cndmask_b32_e64 v0, v0, v4, s[6:7]
	v_cndmask_b32_e64 v3, v3, v5, s[6:7]
	v_lshlrev_b32_e32 v4, 24, v54
	v_mov_b32_e32 v5, 0x37800000
	v_lshlrev_b32_e32 v3, 21, v3
	v_and_b32_e32 v4, 0x80000000, v4
	v_lshl_add_u32 v0, v0, 23, v5
	v_or3_b32 v0, v4, v0, v3
.LBB243_38:
	s_or_b64 exec, exec, s[10:11]
	s_movk_i32 s6, 0x7f
	v_cmp_gt_i16_sdwa s[10:11], v53, s6 src0_sel:BYTE_0 src1_sel:DWORD
	s_mov_b64 s[6:7], 0
	s_and_saveexec_b64 s[14:15], s[10:11]
	s_xor_b64 s[10:11], exec, s[14:15]
	s_cbranch_execnz .LBB243_421
; %bb.39:
	s_or_saveexec_b64 s[10:11], s[10:11]
	v_mov_b32_e32 v3, 0x7f800001
	s_xor_b64 exec, exec, s[10:11]
	s_cbranch_execnz .LBB243_424
.LBB243_40:
	s_or_b64 exec, exec, s[10:11]
	s_and_saveexec_b64 s[10:11], s[6:7]
	s_cbranch_execz .LBB243_42
.LBB243_41:
	v_and_b32_e32 v4, 3, v53
	v_ffbh_u32_e32 v5, v4
	v_min_u32_e32 v5, 32, v5
	v_lshrrev_b16_e32 v3, 2, v53
	v_subrev_u32_e32 v6, 29, v5
	v_and_b32_e32 v3, 31, v3
	v_lshlrev_b32_e32 v6, v6, v53
	v_sub_u32_e32 v5, 30, v5
	v_and_b32_e32 v6, 3, v6
	v_cmp_eq_u32_e64 s[6:7], 0, v3
	v_cndmask_b32_e64 v3, v3, v5, s[6:7]
	v_cndmask_b32_e64 v4, v4, v6, s[6:7]
	v_lshlrev_b32_e32 v5, 24, v53
	v_mov_b32_e32 v6, 0x37800000
	v_lshlrev_b32_e32 v4, 21, v4
	v_and_b32_e32 v5, 0x80000000, v5
	v_lshl_add_u32 v3, v3, 23, v6
	v_or3_b32 v3, v5, v3, v4
.LBB243_42:
	s_or_b64 exec, exec, s[10:11]
	v_cmp_neq_f32_e64 s[10:11], v0, v3
                                        ; implicit-def: $vgpr53
                                        ; implicit-def: $vgpr54
.LBB243_43:
	s_andn2_saveexec_b64 s[12:13], s[12:13]
	s_cbranch_execz .LBB243_53
; %bb.44:
	s_movk_i32 s6, 0x7f
	s_waitcnt vmcnt(0) lgkmcnt(0)
	v_cmp_gt_i16_sdwa s[14:15], v54, s6 src0_sel:BYTE_0 src1_sel:DWORD
	s_mov_b64 s[6:7], 0
	s_and_saveexec_b64 s[16:17], s[14:15]
	s_xor_b64 s[14:15], exec, s[16:17]
	s_cbranch_execnz .LBB243_425
; %bb.45:
	s_or_saveexec_b64 s[14:15], s[14:15]
	v_mov_b32_e32 v0, 0x7f800001
	s_xor_b64 exec, exec, s[14:15]
	s_cbranch_execnz .LBB243_428
.LBB243_46:
	s_or_b64 exec, exec, s[14:15]
	s_and_saveexec_b64 s[14:15], s[6:7]
	s_cbranch_execz .LBB243_48
.LBB243_47:
	v_and_b32_e32 v3, 3, v54
	v_ffbh_u32_e32 v4, v3
	v_min_u32_e32 v4, 32, v4
	v_lshrrev_b16_e32 v0, 2, v54
	v_subrev_u32_e32 v5, 29, v4
	v_and_b32_e32 v0, 31, v0
	v_lshlrev_b32_e32 v5, v5, v54
	v_sub_u32_e32 v4, 30, v4
	v_and_b32_e32 v5, 3, v5
	v_cmp_eq_u32_e64 s[6:7], 0, v0
	v_cndmask_b32_e64 v0, v0, v4, s[6:7]
	v_cndmask_b32_e64 v3, v3, v5, s[6:7]
	v_lshlrev_b32_e32 v4, 24, v54
	v_mov_b32_e32 v5, 0x37800000
	v_lshlrev_b32_e32 v3, 21, v3
	v_and_b32_e32 v4, 0x80000000, v4
	v_lshl_add_u32 v0, v0, 23, v5
	v_or3_b32 v0, v4, v0, v3
.LBB243_48:
	s_or_b64 exec, exec, s[14:15]
	s_movk_i32 s6, 0x7f
	v_cmp_gt_i16_sdwa s[14:15], v53, s6 src0_sel:BYTE_0 src1_sel:DWORD
	s_mov_b64 s[6:7], 0
	s_and_saveexec_b64 s[16:17], s[14:15]
	s_xor_b64 s[14:15], exec, s[16:17]
	s_cbranch_execnz .LBB243_429
; %bb.49:
	s_or_saveexec_b64 s[14:15], s[14:15]
	v_mov_b32_e32 v3, 0x7f800001
	s_xor_b64 exec, exec, s[14:15]
	s_cbranch_execnz .LBB243_432
.LBB243_50:
	s_or_b64 exec, exec, s[14:15]
	s_and_saveexec_b64 s[14:15], s[6:7]
	s_cbranch_execz .LBB243_52
.LBB243_51:
	v_and_b32_e32 v4, 3, v53
	v_ffbh_u32_e32 v5, v4
	v_min_u32_e32 v5, 32, v5
	v_lshrrev_b16_e32 v3, 2, v53
	v_subrev_u32_e32 v6, 29, v5
	v_and_b32_e32 v3, 31, v3
	v_lshlrev_b32_e32 v6, v6, v53
	v_sub_u32_e32 v5, 30, v5
	v_and_b32_e32 v6, 3, v6
	v_cmp_eq_u32_e64 s[6:7], 0, v3
	v_cndmask_b32_e64 v3, v3, v5, s[6:7]
	v_cndmask_b32_e64 v4, v4, v6, s[6:7]
	v_lshlrev_b32_e32 v5, 24, v53
	v_mov_b32_e32 v6, 0x37800000
	v_lshlrev_b32_e32 v4, 21, v4
	v_and_b32_e32 v5, 0x80000000, v5
	v_lshl_add_u32 v3, v3, 23, v6
	v_or3_b32 v3, v5, v3, v4
.LBB243_52:
	s_or_b64 exec, exec, s[14:15]
	v_cmp_eq_f32_e64 s[6:7], v0, v3
	s_andn2_b64 s[10:11], s[10:11], exec
	s_and_b64 s[6:7], s[6:7], exec
	s_or_b64 s[10:11], s[10:11], s[6:7]
.LBB243_53:
	s_or_b64 exec, exec, s[12:13]
	v_cndmask_b32_e64 v0, 0, 1, s[10:11]
	v_mov_b32_e32 v4, 0
	v_and_b32_e32 v14, 0xffff, v0
	v_mov_b32_e32 v3, v4
	v_mov_b32_e32 v0, v4
.LBB243_54:
	s_or_b64 exec, exec, s[8:9]
	v_add_u32_e32 v5, 0x100, v12
	v_cmp_lt_i32_e64 s[6:7], v5, v7
	s_and_saveexec_b64 s[8:9], s[6:7]
	s_cbranch_execz .LBB243_76
; %bb.55:
                                        ; implicit-def: $sgpr10_sgpr11
	s_and_saveexec_b64 s[6:7], s[4:5]
	s_xor_b64 s[12:13], exec, s[6:7]
	s_cbranch_execz .LBB243_65
; %bb.56:
	s_movk_i32 s6, 0x7f
	s_waitcnt vmcnt(0) lgkmcnt(0)
	v_cmp_gt_i16_sdwa s[10:11], v52, s6 src0_sel:BYTE_0 src1_sel:DWORD
	s_mov_b64 s[6:7], 0
	s_and_saveexec_b64 s[14:15], s[10:11]
	s_xor_b64 s[10:11], exec, s[14:15]
	s_cbranch_execnz .LBB243_433
; %bb.57:
	s_or_saveexec_b64 s[10:11], s[10:11]
	v_mov_b32_e32 v6, 0x7f800001
	s_xor_b64 exec, exec, s[10:11]
	s_cbranch_execnz .LBB243_436
.LBB243_58:
	s_or_b64 exec, exec, s[10:11]
	s_and_saveexec_b64 s[10:11], s[6:7]
	s_cbranch_execz .LBB243_60
.LBB243_59:
	v_and_b32_e32 v8, 3, v52
	v_ffbh_u32_e32 v9, v8
	v_min_u32_e32 v9, 32, v9
	v_lshrrev_b16_e32 v6, 2, v52
	v_subrev_u32_e32 v10, 29, v9
	v_and_b32_e32 v6, 31, v6
	v_lshlrev_b32_e32 v10, v10, v52
	v_sub_u32_e32 v9, 30, v9
	v_and_b32_e32 v10, 3, v10
	v_cmp_eq_u32_e64 s[6:7], 0, v6
	v_cndmask_b32_e64 v6, v6, v9, s[6:7]
	v_cndmask_b32_e64 v8, v8, v10, s[6:7]
	v_lshlrev_b32_e32 v9, 24, v52
	v_mov_b32_e32 v10, 0x37800000
	v_lshlrev_b32_e32 v8, 21, v8
	v_and_b32_e32 v9, 0x80000000, v9
	v_lshl_add_u32 v6, v6, 23, v10
	v_or3_b32 v6, v9, v6, v8
.LBB243_60:
	s_or_b64 exec, exec, s[10:11]
	s_movk_i32 s6, 0x7f
	v_cmp_gt_i16_sdwa s[10:11], v51, s6 src0_sel:BYTE_0 src1_sel:DWORD
	s_mov_b64 s[6:7], 0
	s_and_saveexec_b64 s[14:15], s[10:11]
	s_xor_b64 s[10:11], exec, s[14:15]
	s_cbranch_execnz .LBB243_437
; %bb.61:
	s_or_saveexec_b64 s[10:11], s[10:11]
	v_mov_b32_e32 v8, 0x7f800001
	s_xor_b64 exec, exec, s[10:11]
	s_cbranch_execnz .LBB243_440
.LBB243_62:
	s_or_b64 exec, exec, s[10:11]
	s_and_saveexec_b64 s[10:11], s[6:7]
	s_cbranch_execz .LBB243_64
.LBB243_63:
	v_and_b32_e32 v9, 3, v51
	v_ffbh_u32_e32 v10, v9
	v_min_u32_e32 v10, 32, v10
	v_lshrrev_b16_e32 v8, 2, v51
	v_subrev_u32_e32 v11, 29, v10
	v_and_b32_e32 v8, 31, v8
	v_lshlrev_b32_e32 v11, v11, v51
	v_sub_u32_e32 v10, 30, v10
	v_and_b32_e32 v11, 3, v11
	v_cmp_eq_u32_e64 s[6:7], 0, v8
	v_cndmask_b32_e64 v8, v8, v10, s[6:7]
	v_cndmask_b32_e64 v9, v9, v11, s[6:7]
	v_lshlrev_b32_e32 v10, 24, v51
	v_mov_b32_e32 v11, 0x37800000
	v_lshlrev_b32_e32 v9, 21, v9
	v_and_b32_e32 v10, 0x80000000, v10
	v_lshl_add_u32 v8, v8, 23, v11
	v_or3_b32 v8, v10, v8, v9
.LBB243_64:
	s_or_b64 exec, exec, s[10:11]
	v_cmp_neq_f32_e64 s[10:11], v6, v8
                                        ; implicit-def: $vgpr51
                                        ; implicit-def: $vgpr52
.LBB243_65:
	s_andn2_saveexec_b64 s[12:13], s[12:13]
	s_cbranch_execz .LBB243_75
; %bb.66:
	s_movk_i32 s6, 0x7f
	s_waitcnt vmcnt(0) lgkmcnt(0)
	v_cmp_gt_i16_sdwa s[14:15], v52, s6 src0_sel:BYTE_0 src1_sel:DWORD
	s_mov_b64 s[6:7], 0
	s_and_saveexec_b64 s[16:17], s[14:15]
	s_xor_b64 s[14:15], exec, s[16:17]
	s_cbranch_execnz .LBB243_441
; %bb.67:
	s_or_saveexec_b64 s[14:15], s[14:15]
	v_mov_b32_e32 v6, 0x7f800001
	s_xor_b64 exec, exec, s[14:15]
	s_cbranch_execnz .LBB243_444
.LBB243_68:
	s_or_b64 exec, exec, s[14:15]
	s_and_saveexec_b64 s[14:15], s[6:7]
	s_cbranch_execz .LBB243_70
.LBB243_69:
	v_and_b32_e32 v8, 3, v52
	v_ffbh_u32_e32 v9, v8
	v_min_u32_e32 v9, 32, v9
	v_lshrrev_b16_e32 v6, 2, v52
	v_subrev_u32_e32 v10, 29, v9
	v_and_b32_e32 v6, 31, v6
	v_lshlrev_b32_e32 v10, v10, v52
	v_sub_u32_e32 v9, 30, v9
	v_and_b32_e32 v10, 3, v10
	v_cmp_eq_u32_e64 s[6:7], 0, v6
	v_cndmask_b32_e64 v6, v6, v9, s[6:7]
	v_cndmask_b32_e64 v8, v8, v10, s[6:7]
	v_lshlrev_b32_e32 v9, 24, v52
	v_mov_b32_e32 v10, 0x37800000
	v_lshlrev_b32_e32 v8, 21, v8
	v_and_b32_e32 v9, 0x80000000, v9
	v_lshl_add_u32 v6, v6, 23, v10
	v_or3_b32 v6, v9, v6, v8
.LBB243_70:
	s_or_b64 exec, exec, s[14:15]
	s_movk_i32 s6, 0x7f
	v_cmp_gt_i16_sdwa s[14:15], v51, s6 src0_sel:BYTE_0 src1_sel:DWORD
	s_mov_b64 s[6:7], 0
	s_and_saveexec_b64 s[16:17], s[14:15]
	s_xor_b64 s[14:15], exec, s[16:17]
	s_cbranch_execnz .LBB243_445
; %bb.71:
	s_or_saveexec_b64 s[14:15], s[14:15]
	v_mov_b32_e32 v8, 0x7f800001
	s_xor_b64 exec, exec, s[14:15]
	s_cbranch_execnz .LBB243_448
.LBB243_72:
	s_or_b64 exec, exec, s[14:15]
	s_and_saveexec_b64 s[14:15], s[6:7]
	s_cbranch_execz .LBB243_74
.LBB243_73:
	v_and_b32_e32 v9, 3, v51
	v_ffbh_u32_e32 v10, v9
	v_min_u32_e32 v10, 32, v10
	v_lshrrev_b16_e32 v8, 2, v51
	v_subrev_u32_e32 v11, 29, v10
	v_and_b32_e32 v8, 31, v8
	v_lshlrev_b32_e32 v11, v11, v51
	v_sub_u32_e32 v10, 30, v10
	v_and_b32_e32 v11, 3, v11
	v_cmp_eq_u32_e64 s[6:7], 0, v8
	v_cndmask_b32_e64 v8, v8, v10, s[6:7]
	v_cndmask_b32_e64 v9, v9, v11, s[6:7]
	v_lshlrev_b32_e32 v10, 24, v51
	v_mov_b32_e32 v11, 0x37800000
	v_lshlrev_b32_e32 v9, 21, v9
	v_and_b32_e32 v10, 0x80000000, v10
	v_lshl_add_u32 v8, v8, 23, v11
	v_or3_b32 v8, v10, v8, v9
.LBB243_74:
	s_or_b64 exec, exec, s[14:15]
	v_cmp_eq_f32_e64 s[6:7], v6, v8
	s_andn2_b64 s[10:11], s[10:11], exec
	s_and_b64 s[6:7], s[6:7], exec
	s_or_b64 s[10:11], s[10:11], s[6:7]
.LBB243_75:
	s_or_b64 exec, exec, s[12:13]
	v_cndmask_b32_e64 v6, 0, 1, s[10:11]
	v_lshlrev_b16_e32 v6, 8, v6
	v_or_b32_sdwa v6, v14, v6 dst_sel:DWORD dst_unused:UNUSED_PAD src0_sel:BYTE_0 src1_sel:DWORD
	v_and_b32_e32 v6, 0xffff, v6
	s_mov_b32 s6, 0xffff0000
	v_and_or_b32 v14, v14, s6, v6
.LBB243_76:
	s_or_b64 exec, exec, s[8:9]
	v_add_u32_e32 v6, 0x200, v12
	v_cmp_lt_i32_e64 s[6:7], v6, v7
	s_and_saveexec_b64 s[8:9], s[6:7]
	s_cbranch_execz .LBB243_98
; %bb.77:
                                        ; implicit-def: $sgpr10_sgpr11
	s_and_saveexec_b64 s[6:7], s[4:5]
	s_xor_b64 s[12:13], exec, s[6:7]
	s_cbranch_execz .LBB243_87
; %bb.78:
	s_movk_i32 s6, 0x7f
	s_waitcnt vmcnt(0) lgkmcnt(0)
	v_cmp_gt_i16_sdwa s[10:11], v50, s6 src0_sel:BYTE_0 src1_sel:DWORD
	s_mov_b64 s[6:7], 0
	s_and_saveexec_b64 s[14:15], s[10:11]
	s_xor_b64 s[10:11], exec, s[14:15]
	s_cbranch_execnz .LBB243_449
; %bb.79:
	s_or_saveexec_b64 s[10:11], s[10:11]
	v_mov_b32_e32 v6, 0x7f800001
	s_xor_b64 exec, exec, s[10:11]
	s_cbranch_execnz .LBB243_452
.LBB243_80:
	s_or_b64 exec, exec, s[10:11]
	s_and_saveexec_b64 s[10:11], s[6:7]
	s_cbranch_execz .LBB243_82
.LBB243_81:
	v_and_b32_e32 v8, 3, v50
	v_ffbh_u32_e32 v9, v8
	v_min_u32_e32 v9, 32, v9
	v_lshrrev_b16_e32 v6, 2, v50
	v_subrev_u32_e32 v10, 29, v9
	v_and_b32_e32 v6, 31, v6
	v_lshlrev_b32_e32 v10, v10, v50
	v_sub_u32_e32 v9, 30, v9
	v_and_b32_e32 v10, 3, v10
	v_cmp_eq_u32_e64 s[6:7], 0, v6
	v_cndmask_b32_e64 v6, v6, v9, s[6:7]
	v_cndmask_b32_e64 v8, v8, v10, s[6:7]
	v_lshlrev_b32_e32 v9, 24, v50
	v_mov_b32_e32 v10, 0x37800000
	v_lshlrev_b32_e32 v8, 21, v8
	v_and_b32_e32 v9, 0x80000000, v9
	v_lshl_add_u32 v6, v6, 23, v10
	v_or3_b32 v6, v9, v6, v8
.LBB243_82:
	s_or_b64 exec, exec, s[10:11]
	s_movk_i32 s6, 0x7f
	v_cmp_gt_i16_sdwa s[10:11], v49, s6 src0_sel:BYTE_0 src1_sel:DWORD
	s_mov_b64 s[6:7], 0
	s_and_saveexec_b64 s[14:15], s[10:11]
	s_xor_b64 s[10:11], exec, s[14:15]
	s_cbranch_execnz .LBB243_453
; %bb.83:
	s_or_saveexec_b64 s[10:11], s[10:11]
	v_mov_b32_e32 v8, 0x7f800001
	s_xor_b64 exec, exec, s[10:11]
	s_cbranch_execnz .LBB243_456
.LBB243_84:
	s_or_b64 exec, exec, s[10:11]
	s_and_saveexec_b64 s[10:11], s[6:7]
	s_cbranch_execz .LBB243_86
.LBB243_85:
	v_and_b32_e32 v9, 3, v49
	v_ffbh_u32_e32 v10, v9
	v_min_u32_e32 v10, 32, v10
	v_lshrrev_b16_e32 v8, 2, v49
	v_subrev_u32_e32 v11, 29, v10
	v_and_b32_e32 v8, 31, v8
	v_lshlrev_b32_e32 v11, v11, v49
	v_sub_u32_e32 v10, 30, v10
	v_and_b32_e32 v11, 3, v11
	v_cmp_eq_u32_e64 s[6:7], 0, v8
	v_cndmask_b32_e64 v8, v8, v10, s[6:7]
	v_cndmask_b32_e64 v9, v9, v11, s[6:7]
	v_lshlrev_b32_e32 v10, 24, v49
	v_mov_b32_e32 v11, 0x37800000
	v_lshlrev_b32_e32 v9, 21, v9
	v_and_b32_e32 v10, 0x80000000, v10
	v_lshl_add_u32 v8, v8, 23, v11
	v_or3_b32 v8, v10, v8, v9
.LBB243_86:
	s_or_b64 exec, exec, s[10:11]
	v_cmp_neq_f32_e64 s[10:11], v6, v8
                                        ; implicit-def: $vgpr49
                                        ; implicit-def: $vgpr50
.LBB243_87:
	s_andn2_saveexec_b64 s[12:13], s[12:13]
	s_cbranch_execz .LBB243_97
; %bb.88:
	s_movk_i32 s6, 0x7f
	s_waitcnt vmcnt(0) lgkmcnt(0)
	v_cmp_gt_i16_sdwa s[14:15], v50, s6 src0_sel:BYTE_0 src1_sel:DWORD
	s_mov_b64 s[6:7], 0
	s_and_saveexec_b64 s[16:17], s[14:15]
	s_xor_b64 s[14:15], exec, s[16:17]
	s_cbranch_execnz .LBB243_457
; %bb.89:
	s_or_saveexec_b64 s[14:15], s[14:15]
	v_mov_b32_e32 v6, 0x7f800001
	s_xor_b64 exec, exec, s[14:15]
	s_cbranch_execnz .LBB243_460
.LBB243_90:
	s_or_b64 exec, exec, s[14:15]
	s_and_saveexec_b64 s[14:15], s[6:7]
	s_cbranch_execz .LBB243_92
.LBB243_91:
	v_and_b32_e32 v8, 3, v50
	v_ffbh_u32_e32 v9, v8
	v_min_u32_e32 v9, 32, v9
	v_lshrrev_b16_e32 v6, 2, v50
	v_subrev_u32_e32 v10, 29, v9
	v_and_b32_e32 v6, 31, v6
	v_lshlrev_b32_e32 v10, v10, v50
	v_sub_u32_e32 v9, 30, v9
	v_and_b32_e32 v10, 3, v10
	v_cmp_eq_u32_e64 s[6:7], 0, v6
	v_cndmask_b32_e64 v6, v6, v9, s[6:7]
	v_cndmask_b32_e64 v8, v8, v10, s[6:7]
	v_lshlrev_b32_e32 v9, 24, v50
	v_mov_b32_e32 v10, 0x37800000
	v_lshlrev_b32_e32 v8, 21, v8
	v_and_b32_e32 v9, 0x80000000, v9
	v_lshl_add_u32 v6, v6, 23, v10
	v_or3_b32 v6, v9, v6, v8
.LBB243_92:
	s_or_b64 exec, exec, s[14:15]
	s_movk_i32 s6, 0x7f
	v_cmp_gt_i16_sdwa s[14:15], v49, s6 src0_sel:BYTE_0 src1_sel:DWORD
	s_mov_b64 s[6:7], 0
	s_and_saveexec_b64 s[16:17], s[14:15]
	s_xor_b64 s[14:15], exec, s[16:17]
	s_cbranch_execnz .LBB243_461
; %bb.93:
	s_or_saveexec_b64 s[14:15], s[14:15]
	v_mov_b32_e32 v8, 0x7f800001
	s_xor_b64 exec, exec, s[14:15]
	s_cbranch_execnz .LBB243_464
.LBB243_94:
	s_or_b64 exec, exec, s[14:15]
	s_and_saveexec_b64 s[14:15], s[6:7]
	s_cbranch_execz .LBB243_96
.LBB243_95:
	v_and_b32_e32 v9, 3, v49
	v_ffbh_u32_e32 v10, v9
	v_min_u32_e32 v10, 32, v10
	v_lshrrev_b16_e32 v8, 2, v49
	v_subrev_u32_e32 v11, 29, v10
	v_and_b32_e32 v8, 31, v8
	v_lshlrev_b32_e32 v11, v11, v49
	v_sub_u32_e32 v10, 30, v10
	v_and_b32_e32 v11, 3, v11
	v_cmp_eq_u32_e64 s[6:7], 0, v8
	v_cndmask_b32_e64 v8, v8, v10, s[6:7]
	v_cndmask_b32_e64 v9, v9, v11, s[6:7]
	v_lshlrev_b32_e32 v10, 24, v49
	v_mov_b32_e32 v11, 0x37800000
	v_lshlrev_b32_e32 v9, 21, v9
	v_and_b32_e32 v10, 0x80000000, v10
	v_lshl_add_u32 v8, v8, 23, v11
	v_or3_b32 v8, v10, v8, v9
.LBB243_96:
	s_or_b64 exec, exec, s[14:15]
	v_cmp_eq_f32_e64 s[6:7], v6, v8
	s_andn2_b64 s[10:11], s[10:11], exec
	s_and_b64 s[6:7], s[6:7], exec
	s_or_b64 s[10:11], s[10:11], s[6:7]
.LBB243_97:
	s_or_b64 exec, exec, s[12:13]
	s_movk_i32 s6, 0xff00
	v_and_b32_sdwa v6, v14, s6 dst_sel:DWORD dst_unused:UNUSED_PAD src0_sel:WORD_1 src1_sel:DWORD
	v_cndmask_b32_e64 v8, 0, 1, s[10:11]
	v_or_b32_sdwa v6, v8, v6 dst_sel:WORD_1 dst_unused:UNUSED_PAD src0_sel:DWORD src1_sel:DWORD
	s_mov_b32 s6, 0xffff
	v_and_or_b32 v14, v14, s6, v6
.LBB243_98:
	s_or_b64 exec, exec, s[8:9]
	v_add_u32_e32 v6, 0x300, v12
	v_cmp_lt_i32_e64 s[6:7], v6, v7
	s_and_saveexec_b64 s[8:9], s[6:7]
	s_cbranch_execz .LBB243_120
; %bb.99:
                                        ; implicit-def: $sgpr10_sgpr11
	s_and_saveexec_b64 s[6:7], s[4:5]
	s_xor_b64 s[12:13], exec, s[6:7]
	s_cbranch_execz .LBB243_109
; %bb.100:
	s_movk_i32 s6, 0x7f
	s_waitcnt vmcnt(0) lgkmcnt(0)
	v_cmp_gt_i16_sdwa s[10:11], v48, s6 src0_sel:BYTE_0 src1_sel:DWORD
	s_mov_b64 s[6:7], 0
	s_and_saveexec_b64 s[14:15], s[10:11]
	s_xor_b64 s[10:11], exec, s[14:15]
	s_cbranch_execnz .LBB243_465
; %bb.101:
	s_or_saveexec_b64 s[10:11], s[10:11]
	v_mov_b32_e32 v6, 0x7f800001
	s_xor_b64 exec, exec, s[10:11]
	s_cbranch_execnz .LBB243_468
.LBB243_102:
	s_or_b64 exec, exec, s[10:11]
	s_and_saveexec_b64 s[10:11], s[6:7]
	s_cbranch_execz .LBB243_104
.LBB243_103:
	v_and_b32_e32 v8, 3, v48
	v_ffbh_u32_e32 v9, v8
	v_min_u32_e32 v9, 32, v9
	v_lshrrev_b16_e32 v6, 2, v48
	v_subrev_u32_e32 v10, 29, v9
	v_and_b32_e32 v6, 31, v6
	v_lshlrev_b32_e32 v10, v10, v48
	v_sub_u32_e32 v9, 30, v9
	v_and_b32_e32 v10, 3, v10
	v_cmp_eq_u32_e64 s[6:7], 0, v6
	v_cndmask_b32_e64 v6, v6, v9, s[6:7]
	v_cndmask_b32_e64 v8, v8, v10, s[6:7]
	v_lshlrev_b32_e32 v9, 24, v48
	v_mov_b32_e32 v10, 0x37800000
	v_lshlrev_b32_e32 v8, 21, v8
	v_and_b32_e32 v9, 0x80000000, v9
	v_lshl_add_u32 v6, v6, 23, v10
	v_or3_b32 v6, v9, v6, v8
.LBB243_104:
	s_or_b64 exec, exec, s[10:11]
	s_movk_i32 s6, 0x7f
	v_cmp_gt_i16_sdwa s[10:11], v39, s6 src0_sel:BYTE_0 src1_sel:DWORD
	s_mov_b64 s[6:7], 0
	s_and_saveexec_b64 s[14:15], s[10:11]
	s_xor_b64 s[10:11], exec, s[14:15]
	s_cbranch_execnz .LBB243_469
; %bb.105:
	s_or_saveexec_b64 s[10:11], s[10:11]
	v_mov_b32_e32 v8, 0x7f800001
	s_xor_b64 exec, exec, s[10:11]
	s_cbranch_execnz .LBB243_472
.LBB243_106:
	s_or_b64 exec, exec, s[10:11]
	s_and_saveexec_b64 s[10:11], s[6:7]
	s_cbranch_execz .LBB243_108
.LBB243_107:
	v_and_b32_e32 v9, 3, v39
	v_ffbh_u32_e32 v10, v9
	v_min_u32_e32 v10, 32, v10
	v_lshrrev_b16_e32 v8, 2, v39
	v_subrev_u32_e32 v11, 29, v10
	v_and_b32_e32 v8, 31, v8
	v_lshlrev_b32_e32 v11, v11, v39
	v_sub_u32_e32 v10, 30, v10
	v_and_b32_e32 v11, 3, v11
	v_cmp_eq_u32_e64 s[6:7], 0, v8
	v_cndmask_b32_e64 v8, v8, v10, s[6:7]
	v_cndmask_b32_e64 v9, v9, v11, s[6:7]
	v_lshlrev_b32_e32 v10, 24, v39
	v_mov_b32_e32 v11, 0x37800000
	v_lshlrev_b32_e32 v9, 21, v9
	v_and_b32_e32 v10, 0x80000000, v10
	v_lshl_add_u32 v8, v8, 23, v11
	v_or3_b32 v8, v10, v8, v9
.LBB243_108:
	s_or_b64 exec, exec, s[10:11]
	v_cmp_neq_f32_e64 s[10:11], v6, v8
                                        ; implicit-def: $vgpr39
                                        ; implicit-def: $vgpr48
.LBB243_109:
	s_andn2_saveexec_b64 s[12:13], s[12:13]
	s_cbranch_execz .LBB243_119
; %bb.110:
	s_movk_i32 s6, 0x7f
	s_waitcnt vmcnt(0) lgkmcnt(0)
	v_cmp_gt_i16_sdwa s[14:15], v48, s6 src0_sel:BYTE_0 src1_sel:DWORD
	s_mov_b64 s[6:7], 0
	s_and_saveexec_b64 s[16:17], s[14:15]
	s_xor_b64 s[14:15], exec, s[16:17]
	s_cbranch_execnz .LBB243_473
; %bb.111:
	s_or_saveexec_b64 s[14:15], s[14:15]
	v_mov_b32_e32 v6, 0x7f800001
	s_xor_b64 exec, exec, s[14:15]
	s_cbranch_execnz .LBB243_476
.LBB243_112:
	s_or_b64 exec, exec, s[14:15]
	s_and_saveexec_b64 s[14:15], s[6:7]
	s_cbranch_execz .LBB243_114
.LBB243_113:
	v_and_b32_e32 v8, 3, v48
	v_ffbh_u32_e32 v9, v8
	v_min_u32_e32 v9, 32, v9
	v_lshrrev_b16_e32 v6, 2, v48
	v_subrev_u32_e32 v10, 29, v9
	v_and_b32_e32 v6, 31, v6
	v_lshlrev_b32_e32 v10, v10, v48
	v_sub_u32_e32 v9, 30, v9
	v_and_b32_e32 v10, 3, v10
	v_cmp_eq_u32_e64 s[6:7], 0, v6
	v_cndmask_b32_e64 v6, v6, v9, s[6:7]
	v_cndmask_b32_e64 v8, v8, v10, s[6:7]
	v_lshlrev_b32_e32 v9, 24, v48
	v_mov_b32_e32 v10, 0x37800000
	v_lshlrev_b32_e32 v8, 21, v8
	v_and_b32_e32 v9, 0x80000000, v9
	v_lshl_add_u32 v6, v6, 23, v10
	v_or3_b32 v6, v9, v6, v8
.LBB243_114:
	s_or_b64 exec, exec, s[14:15]
	s_movk_i32 s6, 0x7f
	v_cmp_gt_i16_sdwa s[14:15], v39, s6 src0_sel:BYTE_0 src1_sel:DWORD
	s_mov_b64 s[6:7], 0
	s_and_saveexec_b64 s[16:17], s[14:15]
	s_xor_b64 s[14:15], exec, s[16:17]
	s_cbranch_execnz .LBB243_477
; %bb.115:
	s_or_saveexec_b64 s[14:15], s[14:15]
	v_mov_b32_e32 v8, 0x7f800001
	s_xor_b64 exec, exec, s[14:15]
	s_cbranch_execnz .LBB243_480
.LBB243_116:
	s_or_b64 exec, exec, s[14:15]
	s_and_saveexec_b64 s[14:15], s[6:7]
	s_cbranch_execz .LBB243_118
.LBB243_117:
	v_and_b32_e32 v9, 3, v39
	v_ffbh_u32_e32 v10, v9
	v_min_u32_e32 v10, 32, v10
	v_lshrrev_b16_e32 v8, 2, v39
	v_subrev_u32_e32 v11, 29, v10
	v_and_b32_e32 v8, 31, v8
	v_lshlrev_b32_e32 v11, v11, v39
	v_sub_u32_e32 v10, 30, v10
	v_and_b32_e32 v11, 3, v11
	v_cmp_eq_u32_e64 s[6:7], 0, v8
	v_cndmask_b32_e64 v8, v8, v10, s[6:7]
	v_cndmask_b32_e64 v9, v9, v11, s[6:7]
	v_lshlrev_b32_e32 v10, 24, v39
	v_mov_b32_e32 v11, 0x37800000
	v_lshlrev_b32_e32 v9, 21, v9
	v_and_b32_e32 v10, 0x80000000, v10
	v_lshl_add_u32 v8, v8, 23, v11
	v_or3_b32 v8, v10, v8, v9
.LBB243_118:
	s_or_b64 exec, exec, s[14:15]
	v_cmp_eq_f32_e64 s[6:7], v6, v8
	s_andn2_b64 s[10:11], s[10:11], exec
	s_and_b64 s[6:7], s[6:7], exec
	s_or_b64 s[10:11], s[10:11], s[6:7]
.LBB243_119:
	s_or_b64 exec, exec, s[12:13]
	s_movk_i32 s6, 0xff
	v_cndmask_b32_e64 v8, 0, 1, s[10:11]
	v_and_b32_sdwa v6, v14, s6 dst_sel:DWORD dst_unused:UNUSED_PAD src0_sel:WORD_1 src1_sel:DWORD
	v_lshlrev_b16_e32 v8, 8, v8
	v_or_b32_sdwa v6, v6, v8 dst_sel:WORD_1 dst_unused:UNUSED_PAD src0_sel:DWORD src1_sel:DWORD
	s_mov_b32 s6, 0xffff
	v_and_or_b32 v14, v14, s6, v6
.LBB243_120:
	s_or_b64 exec, exec, s[8:9]
	v_or_b32_e32 v6, 0x400, v12
	v_cmp_lt_i32_e64 s[6:7], v6, v7
	s_and_saveexec_b64 s[8:9], s[6:7]
	s_cbranch_execz .LBB243_142
; %bb.121:
                                        ; implicit-def: $sgpr10_sgpr11
	s_and_saveexec_b64 s[6:7], s[4:5]
	s_xor_b64 s[12:13], exec, s[6:7]
	s_cbranch_execz .LBB243_131
; %bb.122:
	s_movk_i32 s6, 0x7f
	s_waitcnt vmcnt(0) lgkmcnt(0)
	v_cmp_gt_i16_sdwa s[10:11], v38, s6 src0_sel:BYTE_0 src1_sel:DWORD
	s_mov_b64 s[6:7], 0
	s_and_saveexec_b64 s[14:15], s[10:11]
	s_xor_b64 s[10:11], exec, s[14:15]
	s_cbranch_execnz .LBB243_481
; %bb.123:
	s_or_saveexec_b64 s[10:11], s[10:11]
	v_mov_b32_e32 v6, 0x7f800001
	s_xor_b64 exec, exec, s[10:11]
	s_cbranch_execnz .LBB243_484
.LBB243_124:
	s_or_b64 exec, exec, s[10:11]
	s_and_saveexec_b64 s[10:11], s[6:7]
	s_cbranch_execz .LBB243_126
.LBB243_125:
	v_and_b32_e32 v8, 3, v38
	v_ffbh_u32_e32 v9, v8
	v_min_u32_e32 v9, 32, v9
	v_lshrrev_b16_e32 v6, 2, v38
	v_subrev_u32_e32 v10, 29, v9
	v_and_b32_e32 v6, 31, v6
	v_lshlrev_b32_e32 v10, v10, v38
	v_sub_u32_e32 v9, 30, v9
	v_and_b32_e32 v10, 3, v10
	v_cmp_eq_u32_e64 s[6:7], 0, v6
	v_cndmask_b32_e64 v6, v6, v9, s[6:7]
	v_cndmask_b32_e64 v8, v8, v10, s[6:7]
	v_lshlrev_b32_e32 v9, 24, v38
	v_mov_b32_e32 v10, 0x37800000
	v_lshlrev_b32_e32 v8, 21, v8
	v_and_b32_e32 v9, 0x80000000, v9
	v_lshl_add_u32 v6, v6, 23, v10
	v_or3_b32 v6, v9, v6, v8
.LBB243_126:
	s_or_b64 exec, exec, s[10:11]
	s_movk_i32 s6, 0x7f
	v_cmp_gt_i16_sdwa s[10:11], v37, s6 src0_sel:BYTE_0 src1_sel:DWORD
	s_mov_b64 s[6:7], 0
	s_and_saveexec_b64 s[14:15], s[10:11]
	s_xor_b64 s[10:11], exec, s[14:15]
	s_cbranch_execnz .LBB243_485
; %bb.127:
	s_or_saveexec_b64 s[10:11], s[10:11]
	v_mov_b32_e32 v8, 0x7f800001
	s_xor_b64 exec, exec, s[10:11]
	s_cbranch_execnz .LBB243_488
.LBB243_128:
	s_or_b64 exec, exec, s[10:11]
	s_and_saveexec_b64 s[10:11], s[6:7]
	s_cbranch_execz .LBB243_130
.LBB243_129:
	v_and_b32_e32 v9, 3, v37
	v_ffbh_u32_e32 v10, v9
	v_min_u32_e32 v10, 32, v10
	v_lshrrev_b16_e32 v8, 2, v37
	v_subrev_u32_e32 v11, 29, v10
	v_and_b32_e32 v8, 31, v8
	v_lshlrev_b32_e32 v11, v11, v37
	v_sub_u32_e32 v10, 30, v10
	v_and_b32_e32 v11, 3, v11
	v_cmp_eq_u32_e64 s[6:7], 0, v8
	v_cndmask_b32_e64 v8, v8, v10, s[6:7]
	v_cndmask_b32_e64 v9, v9, v11, s[6:7]
	v_lshlrev_b32_e32 v10, 24, v37
	v_mov_b32_e32 v11, 0x37800000
	v_lshlrev_b32_e32 v9, 21, v9
	v_and_b32_e32 v10, 0x80000000, v10
	v_lshl_add_u32 v8, v8, 23, v11
	v_or3_b32 v8, v10, v8, v9
.LBB243_130:
	s_or_b64 exec, exec, s[10:11]
	v_cmp_neq_f32_e64 s[10:11], v6, v8
                                        ; implicit-def: $vgpr37
                                        ; implicit-def: $vgpr38
.LBB243_131:
	s_andn2_saveexec_b64 s[12:13], s[12:13]
	s_cbranch_execz .LBB243_141
; %bb.132:
	s_movk_i32 s6, 0x7f
	s_waitcnt vmcnt(0) lgkmcnt(0)
	v_cmp_gt_i16_sdwa s[14:15], v38, s6 src0_sel:BYTE_0 src1_sel:DWORD
	s_mov_b64 s[6:7], 0
	s_and_saveexec_b64 s[16:17], s[14:15]
	s_xor_b64 s[14:15], exec, s[16:17]
	s_cbranch_execnz .LBB243_489
; %bb.133:
	s_or_saveexec_b64 s[14:15], s[14:15]
	v_mov_b32_e32 v6, 0x7f800001
	s_xor_b64 exec, exec, s[14:15]
	s_cbranch_execnz .LBB243_492
.LBB243_134:
	s_or_b64 exec, exec, s[14:15]
	s_and_saveexec_b64 s[14:15], s[6:7]
	s_cbranch_execz .LBB243_136
.LBB243_135:
	v_and_b32_e32 v8, 3, v38
	v_ffbh_u32_e32 v9, v8
	v_min_u32_e32 v9, 32, v9
	v_lshrrev_b16_e32 v6, 2, v38
	v_subrev_u32_e32 v10, 29, v9
	v_and_b32_e32 v6, 31, v6
	v_lshlrev_b32_e32 v10, v10, v38
	v_sub_u32_e32 v9, 30, v9
	v_and_b32_e32 v10, 3, v10
	v_cmp_eq_u32_e64 s[6:7], 0, v6
	v_cndmask_b32_e64 v6, v6, v9, s[6:7]
	v_cndmask_b32_e64 v8, v8, v10, s[6:7]
	v_lshlrev_b32_e32 v9, 24, v38
	v_mov_b32_e32 v10, 0x37800000
	v_lshlrev_b32_e32 v8, 21, v8
	v_and_b32_e32 v9, 0x80000000, v9
	v_lshl_add_u32 v6, v6, 23, v10
	v_or3_b32 v6, v9, v6, v8
.LBB243_136:
	s_or_b64 exec, exec, s[14:15]
	s_movk_i32 s6, 0x7f
	v_cmp_gt_i16_sdwa s[14:15], v37, s6 src0_sel:BYTE_0 src1_sel:DWORD
	s_mov_b64 s[6:7], 0
	s_and_saveexec_b64 s[16:17], s[14:15]
	s_xor_b64 s[14:15], exec, s[16:17]
	s_cbranch_execnz .LBB243_493
; %bb.137:
	s_or_saveexec_b64 s[14:15], s[14:15]
	v_mov_b32_e32 v8, 0x7f800001
	s_xor_b64 exec, exec, s[14:15]
	s_cbranch_execnz .LBB243_496
.LBB243_138:
	s_or_b64 exec, exec, s[14:15]
	s_and_saveexec_b64 s[14:15], s[6:7]
	s_cbranch_execz .LBB243_140
.LBB243_139:
	v_and_b32_e32 v9, 3, v37
	v_ffbh_u32_e32 v10, v9
	v_min_u32_e32 v10, 32, v10
	v_lshrrev_b16_e32 v8, 2, v37
	v_subrev_u32_e32 v11, 29, v10
	v_and_b32_e32 v8, 31, v8
	v_lshlrev_b32_e32 v11, v11, v37
	v_sub_u32_e32 v10, 30, v10
	v_and_b32_e32 v11, 3, v11
	v_cmp_eq_u32_e64 s[6:7], 0, v8
	v_cndmask_b32_e64 v8, v8, v10, s[6:7]
	v_cndmask_b32_e64 v9, v9, v11, s[6:7]
	v_lshlrev_b32_e32 v10, 24, v37
	v_mov_b32_e32 v11, 0x37800000
	v_lshlrev_b32_e32 v9, 21, v9
	v_and_b32_e32 v10, 0x80000000, v10
	v_lshl_add_u32 v8, v8, 23, v11
	v_or3_b32 v8, v10, v8, v9
.LBB243_140:
	s_or_b64 exec, exec, s[14:15]
	v_cmp_eq_f32_e64 s[6:7], v6, v8
	s_andn2_b64 s[10:11], s[10:11], exec
	s_and_b64 s[6:7], s[6:7], exec
	s_or_b64 s[10:11], s[10:11], s[6:7]
.LBB243_141:
	s_or_b64 exec, exec, s[12:13]
	v_and_b32_e32 v6, 0xffffff00, v4
	v_cndmask_b32_e64 v8, 0, 1, s[10:11]
	v_or_b32_e32 v6, v8, v6
	v_and_b32_e32 v6, 0xffff, v6
	s_mov_b32 s6, 0xffff0000
	v_and_or_b32 v4, v4, s6, v6
.LBB243_142:
	s_or_b64 exec, exec, s[8:9]
	v_add_u32_e32 v6, 0x500, v12
	v_cmp_lt_i32_e64 s[6:7], v6, v7
	s_and_saveexec_b64 s[8:9], s[6:7]
	s_cbranch_execz .LBB243_164
; %bb.143:
                                        ; implicit-def: $sgpr10_sgpr11
	s_and_saveexec_b64 s[6:7], s[4:5]
	s_xor_b64 s[12:13], exec, s[6:7]
	s_cbranch_execz .LBB243_153
; %bb.144:
	s_movk_i32 s6, 0x7f
	s_waitcnt vmcnt(0) lgkmcnt(0)
	v_cmp_gt_i16_sdwa s[10:11], v36, s6 src0_sel:BYTE_0 src1_sel:DWORD
	s_mov_b64 s[6:7], 0
	s_and_saveexec_b64 s[14:15], s[10:11]
	s_xor_b64 s[10:11], exec, s[14:15]
	s_cbranch_execnz .LBB243_497
; %bb.145:
	s_or_saveexec_b64 s[10:11], s[10:11]
	v_mov_b32_e32 v6, 0x7f800001
	s_xor_b64 exec, exec, s[10:11]
	s_cbranch_execnz .LBB243_500
.LBB243_146:
	s_or_b64 exec, exec, s[10:11]
	s_and_saveexec_b64 s[10:11], s[6:7]
	s_cbranch_execz .LBB243_148
.LBB243_147:
	v_and_b32_e32 v8, 3, v36
	v_ffbh_u32_e32 v9, v8
	v_min_u32_e32 v9, 32, v9
	v_lshrrev_b16_e32 v6, 2, v36
	v_subrev_u32_e32 v10, 29, v9
	v_and_b32_e32 v6, 31, v6
	v_lshlrev_b32_e32 v10, v10, v36
	v_sub_u32_e32 v9, 30, v9
	v_and_b32_e32 v10, 3, v10
	v_cmp_eq_u32_e64 s[6:7], 0, v6
	v_cndmask_b32_e64 v6, v6, v9, s[6:7]
	v_cndmask_b32_e64 v8, v8, v10, s[6:7]
	v_lshlrev_b32_e32 v9, 24, v36
	v_mov_b32_e32 v10, 0x37800000
	v_lshlrev_b32_e32 v8, 21, v8
	v_and_b32_e32 v9, 0x80000000, v9
	v_lshl_add_u32 v6, v6, 23, v10
	v_or3_b32 v6, v9, v6, v8
.LBB243_148:
	s_or_b64 exec, exec, s[10:11]
	s_movk_i32 s6, 0x7f
	v_cmp_gt_i16_sdwa s[10:11], v35, s6 src0_sel:BYTE_0 src1_sel:DWORD
	s_mov_b64 s[6:7], 0
	s_and_saveexec_b64 s[14:15], s[10:11]
	s_xor_b64 s[10:11], exec, s[14:15]
	s_cbranch_execnz .LBB243_501
; %bb.149:
	s_or_saveexec_b64 s[10:11], s[10:11]
	v_mov_b32_e32 v8, 0x7f800001
	s_xor_b64 exec, exec, s[10:11]
	s_cbranch_execnz .LBB243_504
.LBB243_150:
	s_or_b64 exec, exec, s[10:11]
	s_and_saveexec_b64 s[10:11], s[6:7]
	s_cbranch_execz .LBB243_152
.LBB243_151:
	v_and_b32_e32 v9, 3, v35
	v_ffbh_u32_e32 v10, v9
	v_min_u32_e32 v10, 32, v10
	v_lshrrev_b16_e32 v8, 2, v35
	v_subrev_u32_e32 v11, 29, v10
	v_and_b32_e32 v8, 31, v8
	v_lshlrev_b32_e32 v11, v11, v35
	v_sub_u32_e32 v10, 30, v10
	v_and_b32_e32 v11, 3, v11
	v_cmp_eq_u32_e64 s[6:7], 0, v8
	v_cndmask_b32_e64 v8, v8, v10, s[6:7]
	v_cndmask_b32_e64 v9, v9, v11, s[6:7]
	v_lshlrev_b32_e32 v10, 24, v35
	v_mov_b32_e32 v11, 0x37800000
	v_lshlrev_b32_e32 v9, 21, v9
	v_and_b32_e32 v10, 0x80000000, v10
	v_lshl_add_u32 v8, v8, 23, v11
	v_or3_b32 v8, v10, v8, v9
.LBB243_152:
	s_or_b64 exec, exec, s[10:11]
	v_cmp_neq_f32_e64 s[10:11], v6, v8
                                        ; implicit-def: $vgpr35
                                        ; implicit-def: $vgpr36
.LBB243_153:
	s_andn2_saveexec_b64 s[12:13], s[12:13]
	s_cbranch_execz .LBB243_163
; %bb.154:
	s_movk_i32 s6, 0x7f
	s_waitcnt vmcnt(0) lgkmcnt(0)
	v_cmp_gt_i16_sdwa s[14:15], v36, s6 src0_sel:BYTE_0 src1_sel:DWORD
	s_mov_b64 s[6:7], 0
	s_and_saveexec_b64 s[16:17], s[14:15]
	s_xor_b64 s[14:15], exec, s[16:17]
	s_cbranch_execnz .LBB243_505
; %bb.155:
	s_or_saveexec_b64 s[14:15], s[14:15]
	v_mov_b32_e32 v6, 0x7f800001
	s_xor_b64 exec, exec, s[14:15]
	s_cbranch_execnz .LBB243_508
.LBB243_156:
	s_or_b64 exec, exec, s[14:15]
	s_and_saveexec_b64 s[14:15], s[6:7]
	s_cbranch_execz .LBB243_158
.LBB243_157:
	v_and_b32_e32 v8, 3, v36
	v_ffbh_u32_e32 v9, v8
	v_min_u32_e32 v9, 32, v9
	v_lshrrev_b16_e32 v6, 2, v36
	v_subrev_u32_e32 v10, 29, v9
	v_and_b32_e32 v6, 31, v6
	v_lshlrev_b32_e32 v10, v10, v36
	v_sub_u32_e32 v9, 30, v9
	v_and_b32_e32 v10, 3, v10
	v_cmp_eq_u32_e64 s[6:7], 0, v6
	v_cndmask_b32_e64 v6, v6, v9, s[6:7]
	v_cndmask_b32_e64 v8, v8, v10, s[6:7]
	v_lshlrev_b32_e32 v9, 24, v36
	v_mov_b32_e32 v10, 0x37800000
	v_lshlrev_b32_e32 v8, 21, v8
	v_and_b32_e32 v9, 0x80000000, v9
	v_lshl_add_u32 v6, v6, 23, v10
	v_or3_b32 v6, v9, v6, v8
.LBB243_158:
	s_or_b64 exec, exec, s[14:15]
	s_movk_i32 s6, 0x7f
	v_cmp_gt_i16_sdwa s[14:15], v35, s6 src0_sel:BYTE_0 src1_sel:DWORD
	s_mov_b64 s[6:7], 0
	s_and_saveexec_b64 s[16:17], s[14:15]
	s_xor_b64 s[14:15], exec, s[16:17]
	s_cbranch_execnz .LBB243_509
; %bb.159:
	s_or_saveexec_b64 s[14:15], s[14:15]
	v_mov_b32_e32 v8, 0x7f800001
	s_xor_b64 exec, exec, s[14:15]
	s_cbranch_execnz .LBB243_512
.LBB243_160:
	s_or_b64 exec, exec, s[14:15]
	s_and_saveexec_b64 s[14:15], s[6:7]
	s_cbranch_execz .LBB243_162
.LBB243_161:
	v_and_b32_e32 v9, 3, v35
	v_ffbh_u32_e32 v10, v9
	v_min_u32_e32 v10, 32, v10
	v_lshrrev_b16_e32 v8, 2, v35
	v_subrev_u32_e32 v11, 29, v10
	v_and_b32_e32 v8, 31, v8
	v_lshlrev_b32_e32 v11, v11, v35
	v_sub_u32_e32 v10, 30, v10
	v_and_b32_e32 v11, 3, v11
	v_cmp_eq_u32_e64 s[6:7], 0, v8
	v_cndmask_b32_e64 v8, v8, v10, s[6:7]
	v_cndmask_b32_e64 v9, v9, v11, s[6:7]
	v_lshlrev_b32_e32 v10, 24, v35
	v_mov_b32_e32 v11, 0x37800000
	v_lshlrev_b32_e32 v9, 21, v9
	v_and_b32_e32 v10, 0x80000000, v10
	v_lshl_add_u32 v8, v8, 23, v11
	v_or3_b32 v8, v10, v8, v9
.LBB243_162:
	s_or_b64 exec, exec, s[14:15]
	v_cmp_eq_f32_e64 s[6:7], v6, v8
	s_andn2_b64 s[10:11], s[10:11], exec
	s_and_b64 s[6:7], s[6:7], exec
	s_or_b64 s[10:11], s[10:11], s[6:7]
.LBB243_163:
	s_or_b64 exec, exec, s[12:13]
	v_cndmask_b32_e64 v6, 0, 1, s[10:11]
	v_lshlrev_b16_e32 v6, 8, v6
	v_or_b32_sdwa v6, v4, v6 dst_sel:DWORD dst_unused:UNUSED_PAD src0_sel:BYTE_0 src1_sel:DWORD
	v_and_b32_e32 v6, 0xffff, v6
	s_mov_b32 s6, 0xffff0000
	v_and_or_b32 v4, v4, s6, v6
.LBB243_164:
	s_or_b64 exec, exec, s[8:9]
	v_add_u32_e32 v6, 0x600, v12
	v_cmp_lt_i32_e64 s[6:7], v6, v7
	s_and_saveexec_b64 s[8:9], s[6:7]
	s_cbranch_execz .LBB243_186
; %bb.165:
                                        ; implicit-def: $sgpr10_sgpr11
	s_and_saveexec_b64 s[6:7], s[4:5]
	s_xor_b64 s[12:13], exec, s[6:7]
	s_cbranch_execz .LBB243_175
; %bb.166:
	s_movk_i32 s6, 0x7f
	s_waitcnt vmcnt(0) lgkmcnt(0)
	v_cmp_gt_i16_sdwa s[10:11], v34, s6 src0_sel:BYTE_0 src1_sel:DWORD
	s_mov_b64 s[6:7], 0
	s_and_saveexec_b64 s[14:15], s[10:11]
	s_xor_b64 s[10:11], exec, s[14:15]
	s_cbranch_execnz .LBB243_513
; %bb.167:
	s_or_saveexec_b64 s[10:11], s[10:11]
	v_mov_b32_e32 v6, 0x7f800001
	s_xor_b64 exec, exec, s[10:11]
	s_cbranch_execnz .LBB243_516
.LBB243_168:
	s_or_b64 exec, exec, s[10:11]
	s_and_saveexec_b64 s[10:11], s[6:7]
	s_cbranch_execz .LBB243_170
.LBB243_169:
	v_and_b32_e32 v8, 3, v34
	v_ffbh_u32_e32 v9, v8
	v_min_u32_e32 v9, 32, v9
	v_lshrrev_b16_e32 v6, 2, v34
	v_subrev_u32_e32 v10, 29, v9
	v_and_b32_e32 v6, 31, v6
	v_lshlrev_b32_e32 v10, v10, v34
	v_sub_u32_e32 v9, 30, v9
	v_and_b32_e32 v10, 3, v10
	v_cmp_eq_u32_e64 s[6:7], 0, v6
	v_cndmask_b32_e64 v6, v6, v9, s[6:7]
	v_cndmask_b32_e64 v8, v8, v10, s[6:7]
	v_lshlrev_b32_e32 v9, 24, v34
	v_mov_b32_e32 v10, 0x37800000
	v_lshlrev_b32_e32 v8, 21, v8
	v_and_b32_e32 v9, 0x80000000, v9
	v_lshl_add_u32 v6, v6, 23, v10
	v_or3_b32 v6, v9, v6, v8
.LBB243_170:
	s_or_b64 exec, exec, s[10:11]
	s_movk_i32 s6, 0x7f
	v_cmp_gt_i16_sdwa s[10:11], v33, s6 src0_sel:BYTE_0 src1_sel:DWORD
	s_mov_b64 s[6:7], 0
	s_and_saveexec_b64 s[14:15], s[10:11]
	s_xor_b64 s[10:11], exec, s[14:15]
	s_cbranch_execnz .LBB243_517
; %bb.171:
	s_or_saveexec_b64 s[10:11], s[10:11]
	v_mov_b32_e32 v8, 0x7f800001
	s_xor_b64 exec, exec, s[10:11]
	s_cbranch_execnz .LBB243_520
.LBB243_172:
	s_or_b64 exec, exec, s[10:11]
	s_and_saveexec_b64 s[10:11], s[6:7]
	s_cbranch_execz .LBB243_174
.LBB243_173:
	v_and_b32_e32 v9, 3, v33
	v_ffbh_u32_e32 v10, v9
	v_min_u32_e32 v10, 32, v10
	v_lshrrev_b16_e32 v8, 2, v33
	v_subrev_u32_e32 v11, 29, v10
	v_and_b32_e32 v8, 31, v8
	v_lshlrev_b32_e32 v11, v11, v33
	v_sub_u32_e32 v10, 30, v10
	v_and_b32_e32 v11, 3, v11
	v_cmp_eq_u32_e64 s[6:7], 0, v8
	v_cndmask_b32_e64 v8, v8, v10, s[6:7]
	v_cndmask_b32_e64 v9, v9, v11, s[6:7]
	v_lshlrev_b32_e32 v10, 24, v33
	v_mov_b32_e32 v11, 0x37800000
	v_lshlrev_b32_e32 v9, 21, v9
	v_and_b32_e32 v10, 0x80000000, v10
	v_lshl_add_u32 v8, v8, 23, v11
	v_or3_b32 v8, v10, v8, v9
.LBB243_174:
	s_or_b64 exec, exec, s[10:11]
	v_cmp_neq_f32_e64 s[10:11], v6, v8
                                        ; implicit-def: $vgpr33
                                        ; implicit-def: $vgpr34
.LBB243_175:
	s_andn2_saveexec_b64 s[12:13], s[12:13]
	s_cbranch_execz .LBB243_185
; %bb.176:
	s_movk_i32 s6, 0x7f
	s_waitcnt vmcnt(0) lgkmcnt(0)
	v_cmp_gt_i16_sdwa s[14:15], v34, s6 src0_sel:BYTE_0 src1_sel:DWORD
	s_mov_b64 s[6:7], 0
	s_and_saveexec_b64 s[16:17], s[14:15]
	s_xor_b64 s[14:15], exec, s[16:17]
	s_cbranch_execnz .LBB243_521
; %bb.177:
	s_or_saveexec_b64 s[14:15], s[14:15]
	v_mov_b32_e32 v6, 0x7f800001
	s_xor_b64 exec, exec, s[14:15]
	s_cbranch_execnz .LBB243_524
.LBB243_178:
	s_or_b64 exec, exec, s[14:15]
	s_and_saveexec_b64 s[14:15], s[6:7]
	s_cbranch_execz .LBB243_180
.LBB243_179:
	v_and_b32_e32 v8, 3, v34
	v_ffbh_u32_e32 v9, v8
	v_min_u32_e32 v9, 32, v9
	v_lshrrev_b16_e32 v6, 2, v34
	v_subrev_u32_e32 v10, 29, v9
	v_and_b32_e32 v6, 31, v6
	v_lshlrev_b32_e32 v10, v10, v34
	v_sub_u32_e32 v9, 30, v9
	v_and_b32_e32 v10, 3, v10
	v_cmp_eq_u32_e64 s[6:7], 0, v6
	v_cndmask_b32_e64 v6, v6, v9, s[6:7]
	v_cndmask_b32_e64 v8, v8, v10, s[6:7]
	v_lshlrev_b32_e32 v9, 24, v34
	v_mov_b32_e32 v10, 0x37800000
	v_lshlrev_b32_e32 v8, 21, v8
	v_and_b32_e32 v9, 0x80000000, v9
	v_lshl_add_u32 v6, v6, 23, v10
	v_or3_b32 v6, v9, v6, v8
.LBB243_180:
	s_or_b64 exec, exec, s[14:15]
	s_movk_i32 s6, 0x7f
	v_cmp_gt_i16_sdwa s[14:15], v33, s6 src0_sel:BYTE_0 src1_sel:DWORD
	s_mov_b64 s[6:7], 0
	s_and_saveexec_b64 s[16:17], s[14:15]
	s_xor_b64 s[14:15], exec, s[16:17]
	s_cbranch_execnz .LBB243_525
; %bb.181:
	s_or_saveexec_b64 s[14:15], s[14:15]
	v_mov_b32_e32 v8, 0x7f800001
	s_xor_b64 exec, exec, s[14:15]
	s_cbranch_execnz .LBB243_528
.LBB243_182:
	s_or_b64 exec, exec, s[14:15]
	s_and_saveexec_b64 s[14:15], s[6:7]
	s_cbranch_execz .LBB243_184
.LBB243_183:
	v_and_b32_e32 v9, 3, v33
	v_ffbh_u32_e32 v10, v9
	v_min_u32_e32 v10, 32, v10
	v_lshrrev_b16_e32 v8, 2, v33
	v_subrev_u32_e32 v11, 29, v10
	v_and_b32_e32 v8, 31, v8
	v_lshlrev_b32_e32 v11, v11, v33
	v_sub_u32_e32 v10, 30, v10
	v_and_b32_e32 v11, 3, v11
	v_cmp_eq_u32_e64 s[6:7], 0, v8
	v_cndmask_b32_e64 v8, v8, v10, s[6:7]
	v_cndmask_b32_e64 v9, v9, v11, s[6:7]
	v_lshlrev_b32_e32 v10, 24, v33
	v_mov_b32_e32 v11, 0x37800000
	v_lshlrev_b32_e32 v9, 21, v9
	v_and_b32_e32 v10, 0x80000000, v10
	v_lshl_add_u32 v8, v8, 23, v11
	v_or3_b32 v8, v10, v8, v9
.LBB243_184:
	s_or_b64 exec, exec, s[14:15]
	v_cmp_eq_f32_e64 s[6:7], v6, v8
	s_andn2_b64 s[10:11], s[10:11], exec
	s_and_b64 s[6:7], s[6:7], exec
	s_or_b64 s[10:11], s[10:11], s[6:7]
.LBB243_185:
	s_or_b64 exec, exec, s[12:13]
	s_movk_i32 s6, 0xff00
	v_and_b32_sdwa v6, v4, s6 dst_sel:DWORD dst_unused:UNUSED_PAD src0_sel:WORD_1 src1_sel:DWORD
	v_cndmask_b32_e64 v8, 0, 1, s[10:11]
	v_or_b32_sdwa v6, v8, v6 dst_sel:WORD_1 dst_unused:UNUSED_PAD src0_sel:DWORD src1_sel:DWORD
	s_mov_b32 s6, 0xffff
	v_and_or_b32 v4, v4, s6, v6
.LBB243_186:
	s_or_b64 exec, exec, s[8:9]
	v_add_u32_e32 v6, 0x700, v12
	v_cmp_lt_i32_e64 s[6:7], v6, v7
	s_and_saveexec_b64 s[8:9], s[6:7]
	s_cbranch_execz .LBB243_208
; %bb.187:
                                        ; implicit-def: $sgpr10_sgpr11
	s_and_saveexec_b64 s[6:7], s[4:5]
	s_xor_b64 s[12:13], exec, s[6:7]
	s_cbranch_execz .LBB243_197
; %bb.188:
	s_movk_i32 s6, 0x7f
	s_waitcnt vmcnt(0) lgkmcnt(0)
	v_cmp_gt_i16_sdwa s[10:11], v32, s6 src0_sel:BYTE_0 src1_sel:DWORD
	s_mov_b64 s[6:7], 0
	s_and_saveexec_b64 s[14:15], s[10:11]
	s_xor_b64 s[10:11], exec, s[14:15]
	s_cbranch_execnz .LBB243_529
; %bb.189:
	s_or_saveexec_b64 s[10:11], s[10:11]
	v_mov_b32_e32 v6, 0x7f800001
	s_xor_b64 exec, exec, s[10:11]
	s_cbranch_execnz .LBB243_532
.LBB243_190:
	s_or_b64 exec, exec, s[10:11]
	s_and_saveexec_b64 s[10:11], s[6:7]
	s_cbranch_execz .LBB243_192
.LBB243_191:
	v_and_b32_e32 v8, 3, v32
	v_ffbh_u32_e32 v9, v8
	v_min_u32_e32 v9, 32, v9
	v_lshrrev_b16_e32 v6, 2, v32
	v_subrev_u32_e32 v10, 29, v9
	v_and_b32_e32 v6, 31, v6
	v_lshlrev_b32_e32 v10, v10, v32
	v_sub_u32_e32 v9, 30, v9
	v_and_b32_e32 v10, 3, v10
	v_cmp_eq_u32_e64 s[6:7], 0, v6
	v_cndmask_b32_e64 v6, v6, v9, s[6:7]
	v_cndmask_b32_e64 v8, v8, v10, s[6:7]
	v_lshlrev_b32_e32 v9, 24, v32
	v_mov_b32_e32 v10, 0x37800000
	v_lshlrev_b32_e32 v8, 21, v8
	v_and_b32_e32 v9, 0x80000000, v9
	v_lshl_add_u32 v6, v6, 23, v10
	v_or3_b32 v6, v9, v6, v8
.LBB243_192:
	s_or_b64 exec, exec, s[10:11]
	s_movk_i32 s6, 0x7f
	v_cmp_gt_i16_sdwa s[10:11], v31, s6 src0_sel:BYTE_0 src1_sel:DWORD
	s_mov_b64 s[6:7], 0
	s_and_saveexec_b64 s[14:15], s[10:11]
	s_xor_b64 s[10:11], exec, s[14:15]
	s_cbranch_execnz .LBB243_533
; %bb.193:
	s_or_saveexec_b64 s[10:11], s[10:11]
	v_mov_b32_e32 v8, 0x7f800001
	s_xor_b64 exec, exec, s[10:11]
	s_cbranch_execnz .LBB243_536
.LBB243_194:
	s_or_b64 exec, exec, s[10:11]
	s_and_saveexec_b64 s[10:11], s[6:7]
	s_cbranch_execz .LBB243_196
.LBB243_195:
	v_and_b32_e32 v9, 3, v31
	v_ffbh_u32_e32 v10, v9
	v_min_u32_e32 v10, 32, v10
	v_lshrrev_b16_e32 v8, 2, v31
	v_subrev_u32_e32 v11, 29, v10
	v_and_b32_e32 v8, 31, v8
	v_lshlrev_b32_e32 v11, v11, v31
	v_sub_u32_e32 v10, 30, v10
	v_and_b32_e32 v11, 3, v11
	v_cmp_eq_u32_e64 s[6:7], 0, v8
	v_cndmask_b32_e64 v8, v8, v10, s[6:7]
	v_cndmask_b32_e64 v9, v9, v11, s[6:7]
	v_lshlrev_b32_e32 v10, 24, v31
	v_mov_b32_e32 v11, 0x37800000
	v_lshlrev_b32_e32 v9, 21, v9
	v_and_b32_e32 v10, 0x80000000, v10
	v_lshl_add_u32 v8, v8, 23, v11
	v_or3_b32 v8, v10, v8, v9
.LBB243_196:
	s_or_b64 exec, exec, s[10:11]
	v_cmp_neq_f32_e64 s[10:11], v6, v8
                                        ; implicit-def: $vgpr31
                                        ; implicit-def: $vgpr32
.LBB243_197:
	s_andn2_saveexec_b64 s[12:13], s[12:13]
	s_cbranch_execz .LBB243_207
; %bb.198:
	s_movk_i32 s6, 0x7f
	s_waitcnt vmcnt(0) lgkmcnt(0)
	v_cmp_gt_i16_sdwa s[14:15], v32, s6 src0_sel:BYTE_0 src1_sel:DWORD
	s_mov_b64 s[6:7], 0
	s_and_saveexec_b64 s[16:17], s[14:15]
	s_xor_b64 s[14:15], exec, s[16:17]
	s_cbranch_execnz .LBB243_537
; %bb.199:
	s_or_saveexec_b64 s[14:15], s[14:15]
	v_mov_b32_e32 v6, 0x7f800001
	s_xor_b64 exec, exec, s[14:15]
	s_cbranch_execnz .LBB243_540
.LBB243_200:
	s_or_b64 exec, exec, s[14:15]
	s_and_saveexec_b64 s[14:15], s[6:7]
	s_cbranch_execz .LBB243_202
.LBB243_201:
	v_and_b32_e32 v8, 3, v32
	v_ffbh_u32_e32 v9, v8
	v_min_u32_e32 v9, 32, v9
	v_lshrrev_b16_e32 v6, 2, v32
	v_subrev_u32_e32 v10, 29, v9
	v_and_b32_e32 v6, 31, v6
	v_lshlrev_b32_e32 v10, v10, v32
	v_sub_u32_e32 v9, 30, v9
	v_and_b32_e32 v10, 3, v10
	v_cmp_eq_u32_e64 s[6:7], 0, v6
	v_cndmask_b32_e64 v6, v6, v9, s[6:7]
	v_cndmask_b32_e64 v8, v8, v10, s[6:7]
	v_lshlrev_b32_e32 v9, 24, v32
	v_mov_b32_e32 v10, 0x37800000
	v_lshlrev_b32_e32 v8, 21, v8
	v_and_b32_e32 v9, 0x80000000, v9
	v_lshl_add_u32 v6, v6, 23, v10
	v_or3_b32 v6, v9, v6, v8
.LBB243_202:
	s_or_b64 exec, exec, s[14:15]
	s_movk_i32 s6, 0x7f
	v_cmp_gt_i16_sdwa s[14:15], v31, s6 src0_sel:BYTE_0 src1_sel:DWORD
	s_mov_b64 s[6:7], 0
	s_and_saveexec_b64 s[16:17], s[14:15]
	s_xor_b64 s[14:15], exec, s[16:17]
	s_cbranch_execnz .LBB243_541
; %bb.203:
	s_or_saveexec_b64 s[14:15], s[14:15]
	v_mov_b32_e32 v8, 0x7f800001
	s_xor_b64 exec, exec, s[14:15]
	s_cbranch_execnz .LBB243_544
.LBB243_204:
	s_or_b64 exec, exec, s[14:15]
	s_and_saveexec_b64 s[14:15], s[6:7]
	s_cbranch_execz .LBB243_206
.LBB243_205:
	v_and_b32_e32 v9, 3, v31
	v_ffbh_u32_e32 v10, v9
	v_min_u32_e32 v10, 32, v10
	v_lshrrev_b16_e32 v8, 2, v31
	v_subrev_u32_e32 v11, 29, v10
	v_and_b32_e32 v8, 31, v8
	v_lshlrev_b32_e32 v11, v11, v31
	v_sub_u32_e32 v10, 30, v10
	v_and_b32_e32 v11, 3, v11
	v_cmp_eq_u32_e64 s[6:7], 0, v8
	v_cndmask_b32_e64 v8, v8, v10, s[6:7]
	v_cndmask_b32_e64 v9, v9, v11, s[6:7]
	v_lshlrev_b32_e32 v10, 24, v31
	v_mov_b32_e32 v11, 0x37800000
	v_lshlrev_b32_e32 v9, 21, v9
	v_and_b32_e32 v10, 0x80000000, v10
	v_lshl_add_u32 v8, v8, 23, v11
	v_or3_b32 v8, v10, v8, v9
.LBB243_206:
	s_or_b64 exec, exec, s[14:15]
	v_cmp_eq_f32_e64 s[6:7], v6, v8
	s_andn2_b64 s[10:11], s[10:11], exec
	s_and_b64 s[6:7], s[6:7], exec
	s_or_b64 s[10:11], s[10:11], s[6:7]
.LBB243_207:
	s_or_b64 exec, exec, s[12:13]
	s_movk_i32 s6, 0xff
	v_cndmask_b32_e64 v8, 0, 1, s[10:11]
	v_and_b32_sdwa v6, v4, s6 dst_sel:DWORD dst_unused:UNUSED_PAD src0_sel:WORD_1 src1_sel:DWORD
	v_lshlrev_b16_e32 v8, 8, v8
	v_or_b32_sdwa v6, v6, v8 dst_sel:WORD_1 dst_unused:UNUSED_PAD src0_sel:DWORD src1_sel:DWORD
	s_mov_b32 s6, 0xffff
	v_and_or_b32 v4, v4, s6, v6
.LBB243_208:
	s_or_b64 exec, exec, s[8:9]
	v_or_b32_e32 v6, 0x800, v12
	v_cmp_lt_i32_e64 s[6:7], v6, v7
	s_and_saveexec_b64 s[8:9], s[6:7]
	s_cbranch_execz .LBB243_230
; %bb.209:
                                        ; implicit-def: $sgpr10_sgpr11
	s_and_saveexec_b64 s[6:7], s[4:5]
	s_xor_b64 s[12:13], exec, s[6:7]
	s_cbranch_execz .LBB243_219
; %bb.210:
	s_movk_i32 s6, 0x7f
	s_waitcnt vmcnt(0) lgkmcnt(0)
	v_cmp_gt_i16_sdwa s[10:11], v30, s6 src0_sel:BYTE_0 src1_sel:DWORD
	s_mov_b64 s[6:7], 0
	s_and_saveexec_b64 s[14:15], s[10:11]
	s_xor_b64 s[10:11], exec, s[14:15]
	s_cbranch_execnz .LBB243_545
; %bb.211:
	s_or_saveexec_b64 s[10:11], s[10:11]
	v_mov_b32_e32 v6, 0x7f800001
	s_xor_b64 exec, exec, s[10:11]
	s_cbranch_execnz .LBB243_548
.LBB243_212:
	s_or_b64 exec, exec, s[10:11]
	s_and_saveexec_b64 s[10:11], s[6:7]
	s_cbranch_execz .LBB243_214
.LBB243_213:
	v_and_b32_e32 v8, 3, v30
	v_ffbh_u32_e32 v9, v8
	v_min_u32_e32 v9, 32, v9
	v_lshrrev_b16_e32 v6, 2, v30
	v_subrev_u32_e32 v10, 29, v9
	v_and_b32_e32 v6, 31, v6
	v_lshlrev_b32_e32 v10, v10, v30
	v_sub_u32_e32 v9, 30, v9
	v_and_b32_e32 v10, 3, v10
	v_cmp_eq_u32_e64 s[6:7], 0, v6
	v_cndmask_b32_e64 v6, v6, v9, s[6:7]
	v_cndmask_b32_e64 v8, v8, v10, s[6:7]
	v_lshlrev_b32_e32 v9, 24, v30
	v_mov_b32_e32 v10, 0x37800000
	v_lshlrev_b32_e32 v8, 21, v8
	v_and_b32_e32 v9, 0x80000000, v9
	v_lshl_add_u32 v6, v6, 23, v10
	v_or3_b32 v6, v9, v6, v8
.LBB243_214:
	s_or_b64 exec, exec, s[10:11]
	s_movk_i32 s6, 0x7f
	v_cmp_gt_i16_sdwa s[10:11], v29, s6 src0_sel:BYTE_0 src1_sel:DWORD
	s_mov_b64 s[6:7], 0
	s_and_saveexec_b64 s[14:15], s[10:11]
	s_xor_b64 s[10:11], exec, s[14:15]
	s_cbranch_execnz .LBB243_549
; %bb.215:
	s_or_saveexec_b64 s[10:11], s[10:11]
	v_mov_b32_e32 v8, 0x7f800001
	s_xor_b64 exec, exec, s[10:11]
	s_cbranch_execnz .LBB243_552
.LBB243_216:
	s_or_b64 exec, exec, s[10:11]
	s_and_saveexec_b64 s[10:11], s[6:7]
	s_cbranch_execz .LBB243_218
.LBB243_217:
	v_and_b32_e32 v9, 3, v29
	v_ffbh_u32_e32 v10, v9
	v_min_u32_e32 v10, 32, v10
	v_lshrrev_b16_e32 v8, 2, v29
	v_subrev_u32_e32 v11, 29, v10
	v_and_b32_e32 v8, 31, v8
	v_lshlrev_b32_e32 v11, v11, v29
	v_sub_u32_e32 v10, 30, v10
	v_and_b32_e32 v11, 3, v11
	v_cmp_eq_u32_e64 s[6:7], 0, v8
	v_cndmask_b32_e64 v8, v8, v10, s[6:7]
	v_cndmask_b32_e64 v9, v9, v11, s[6:7]
	v_lshlrev_b32_e32 v10, 24, v29
	v_mov_b32_e32 v11, 0x37800000
	v_lshlrev_b32_e32 v9, 21, v9
	v_and_b32_e32 v10, 0x80000000, v10
	v_lshl_add_u32 v8, v8, 23, v11
	v_or3_b32 v8, v10, v8, v9
.LBB243_218:
	s_or_b64 exec, exec, s[10:11]
	v_cmp_neq_f32_e64 s[10:11], v6, v8
                                        ; implicit-def: $vgpr29
                                        ; implicit-def: $vgpr30
.LBB243_219:
	s_andn2_saveexec_b64 s[12:13], s[12:13]
	s_cbranch_execz .LBB243_229
; %bb.220:
	s_movk_i32 s6, 0x7f
	s_waitcnt vmcnt(0) lgkmcnt(0)
	v_cmp_gt_i16_sdwa s[14:15], v30, s6 src0_sel:BYTE_0 src1_sel:DWORD
	s_mov_b64 s[6:7], 0
	s_and_saveexec_b64 s[16:17], s[14:15]
	s_xor_b64 s[14:15], exec, s[16:17]
	s_cbranch_execnz .LBB243_553
; %bb.221:
	s_or_saveexec_b64 s[14:15], s[14:15]
	v_mov_b32_e32 v6, 0x7f800001
	s_xor_b64 exec, exec, s[14:15]
	s_cbranch_execnz .LBB243_556
.LBB243_222:
	s_or_b64 exec, exec, s[14:15]
	s_and_saveexec_b64 s[14:15], s[6:7]
	s_cbranch_execz .LBB243_224
.LBB243_223:
	v_and_b32_e32 v8, 3, v30
	v_ffbh_u32_e32 v9, v8
	v_min_u32_e32 v9, 32, v9
	v_lshrrev_b16_e32 v6, 2, v30
	v_subrev_u32_e32 v10, 29, v9
	v_and_b32_e32 v6, 31, v6
	v_lshlrev_b32_e32 v10, v10, v30
	v_sub_u32_e32 v9, 30, v9
	v_and_b32_e32 v10, 3, v10
	v_cmp_eq_u32_e64 s[6:7], 0, v6
	v_cndmask_b32_e64 v6, v6, v9, s[6:7]
	v_cndmask_b32_e64 v8, v8, v10, s[6:7]
	v_lshlrev_b32_e32 v9, 24, v30
	v_mov_b32_e32 v10, 0x37800000
	v_lshlrev_b32_e32 v8, 21, v8
	v_and_b32_e32 v9, 0x80000000, v9
	v_lshl_add_u32 v6, v6, 23, v10
	v_or3_b32 v6, v9, v6, v8
.LBB243_224:
	s_or_b64 exec, exec, s[14:15]
	s_movk_i32 s6, 0x7f
	v_cmp_gt_i16_sdwa s[14:15], v29, s6 src0_sel:BYTE_0 src1_sel:DWORD
	s_mov_b64 s[6:7], 0
	s_and_saveexec_b64 s[16:17], s[14:15]
	s_xor_b64 s[14:15], exec, s[16:17]
	s_cbranch_execnz .LBB243_557
; %bb.225:
	s_or_saveexec_b64 s[14:15], s[14:15]
	v_mov_b32_e32 v8, 0x7f800001
	s_xor_b64 exec, exec, s[14:15]
	s_cbranch_execnz .LBB243_560
.LBB243_226:
	s_or_b64 exec, exec, s[14:15]
	s_and_saveexec_b64 s[14:15], s[6:7]
	s_cbranch_execz .LBB243_228
.LBB243_227:
	v_and_b32_e32 v9, 3, v29
	v_ffbh_u32_e32 v10, v9
	v_min_u32_e32 v10, 32, v10
	v_lshrrev_b16_e32 v8, 2, v29
	v_subrev_u32_e32 v11, 29, v10
	v_and_b32_e32 v8, 31, v8
	v_lshlrev_b32_e32 v11, v11, v29
	v_sub_u32_e32 v10, 30, v10
	v_and_b32_e32 v11, 3, v11
	v_cmp_eq_u32_e64 s[6:7], 0, v8
	v_cndmask_b32_e64 v8, v8, v10, s[6:7]
	v_cndmask_b32_e64 v9, v9, v11, s[6:7]
	v_lshlrev_b32_e32 v10, 24, v29
	v_mov_b32_e32 v11, 0x37800000
	v_lshlrev_b32_e32 v9, 21, v9
	v_and_b32_e32 v10, 0x80000000, v10
	v_lshl_add_u32 v8, v8, 23, v11
	v_or3_b32 v8, v10, v8, v9
.LBB243_228:
	s_or_b64 exec, exec, s[14:15]
	v_cmp_eq_f32_e64 s[6:7], v6, v8
	s_andn2_b64 s[10:11], s[10:11], exec
	s_and_b64 s[6:7], s[6:7], exec
	s_or_b64 s[10:11], s[10:11], s[6:7]
.LBB243_229:
	s_or_b64 exec, exec, s[12:13]
	v_and_b32_e32 v6, 0xffffff00, v3
	v_cndmask_b32_e64 v8, 0, 1, s[10:11]
	v_or_b32_e32 v6, v8, v6
	v_and_b32_e32 v6, 0xffff, v6
	s_mov_b32 s6, 0xffff0000
	v_and_or_b32 v3, v3, s6, v6
.LBB243_230:
	s_or_b64 exec, exec, s[8:9]
	v_add_u32_e32 v6, 0x900, v12
	v_cmp_lt_i32_e64 s[6:7], v6, v7
	s_and_saveexec_b64 s[8:9], s[6:7]
	s_cbranch_execz .LBB243_252
; %bb.231:
                                        ; implicit-def: $sgpr10_sgpr11
	s_and_saveexec_b64 s[6:7], s[4:5]
	s_xor_b64 s[12:13], exec, s[6:7]
	s_cbranch_execz .LBB243_241
; %bb.232:
	s_movk_i32 s6, 0x7f
	s_waitcnt vmcnt(0) lgkmcnt(0)
	v_cmp_gt_i16_sdwa s[10:11], v28, s6 src0_sel:BYTE_0 src1_sel:DWORD
	s_mov_b64 s[6:7], 0
	s_and_saveexec_b64 s[14:15], s[10:11]
	s_xor_b64 s[10:11], exec, s[14:15]
	s_cbranch_execnz .LBB243_561
; %bb.233:
	s_or_saveexec_b64 s[10:11], s[10:11]
	v_mov_b32_e32 v6, 0x7f800001
	s_xor_b64 exec, exec, s[10:11]
	s_cbranch_execnz .LBB243_564
.LBB243_234:
	s_or_b64 exec, exec, s[10:11]
	s_and_saveexec_b64 s[10:11], s[6:7]
	s_cbranch_execz .LBB243_236
.LBB243_235:
	v_and_b32_e32 v8, 3, v28
	v_ffbh_u32_e32 v9, v8
	v_min_u32_e32 v9, 32, v9
	v_lshrrev_b16_e32 v6, 2, v28
	v_subrev_u32_e32 v10, 29, v9
	v_and_b32_e32 v6, 31, v6
	v_lshlrev_b32_e32 v10, v10, v28
	v_sub_u32_e32 v9, 30, v9
	v_and_b32_e32 v10, 3, v10
	v_cmp_eq_u32_e64 s[6:7], 0, v6
	v_cndmask_b32_e64 v6, v6, v9, s[6:7]
	v_cndmask_b32_e64 v8, v8, v10, s[6:7]
	v_lshlrev_b32_e32 v9, 24, v28
	v_mov_b32_e32 v10, 0x37800000
	v_lshlrev_b32_e32 v8, 21, v8
	v_and_b32_e32 v9, 0x80000000, v9
	v_lshl_add_u32 v6, v6, 23, v10
	v_or3_b32 v6, v9, v6, v8
.LBB243_236:
	s_or_b64 exec, exec, s[10:11]
	s_movk_i32 s6, 0x7f
	v_cmp_gt_i16_sdwa s[10:11], v27, s6 src0_sel:BYTE_0 src1_sel:DWORD
	s_mov_b64 s[6:7], 0
	s_and_saveexec_b64 s[14:15], s[10:11]
	s_xor_b64 s[10:11], exec, s[14:15]
	s_cbranch_execnz .LBB243_565
; %bb.237:
	s_or_saveexec_b64 s[10:11], s[10:11]
	v_mov_b32_e32 v8, 0x7f800001
	s_xor_b64 exec, exec, s[10:11]
	s_cbranch_execnz .LBB243_568
.LBB243_238:
	s_or_b64 exec, exec, s[10:11]
	s_and_saveexec_b64 s[10:11], s[6:7]
	s_cbranch_execz .LBB243_240
.LBB243_239:
	v_and_b32_e32 v9, 3, v27
	v_ffbh_u32_e32 v10, v9
	v_min_u32_e32 v10, 32, v10
	v_lshrrev_b16_e32 v8, 2, v27
	v_subrev_u32_e32 v11, 29, v10
	v_and_b32_e32 v8, 31, v8
	v_lshlrev_b32_e32 v11, v11, v27
	v_sub_u32_e32 v10, 30, v10
	v_and_b32_e32 v11, 3, v11
	v_cmp_eq_u32_e64 s[6:7], 0, v8
	v_cndmask_b32_e64 v8, v8, v10, s[6:7]
	v_cndmask_b32_e64 v9, v9, v11, s[6:7]
	v_lshlrev_b32_e32 v10, 24, v27
	v_mov_b32_e32 v11, 0x37800000
	v_lshlrev_b32_e32 v9, 21, v9
	v_and_b32_e32 v10, 0x80000000, v10
	v_lshl_add_u32 v8, v8, 23, v11
	v_or3_b32 v8, v10, v8, v9
.LBB243_240:
	s_or_b64 exec, exec, s[10:11]
	v_cmp_neq_f32_e64 s[10:11], v6, v8
                                        ; implicit-def: $vgpr27
                                        ; implicit-def: $vgpr28
.LBB243_241:
	s_andn2_saveexec_b64 s[12:13], s[12:13]
	s_cbranch_execz .LBB243_251
; %bb.242:
	s_movk_i32 s6, 0x7f
	s_waitcnt vmcnt(0) lgkmcnt(0)
	v_cmp_gt_i16_sdwa s[14:15], v28, s6 src0_sel:BYTE_0 src1_sel:DWORD
	s_mov_b64 s[6:7], 0
	s_and_saveexec_b64 s[16:17], s[14:15]
	s_xor_b64 s[14:15], exec, s[16:17]
	s_cbranch_execnz .LBB243_569
; %bb.243:
	s_or_saveexec_b64 s[14:15], s[14:15]
	v_mov_b32_e32 v6, 0x7f800001
	s_xor_b64 exec, exec, s[14:15]
	s_cbranch_execnz .LBB243_572
.LBB243_244:
	s_or_b64 exec, exec, s[14:15]
	s_and_saveexec_b64 s[14:15], s[6:7]
	s_cbranch_execz .LBB243_246
.LBB243_245:
	v_and_b32_e32 v8, 3, v28
	v_ffbh_u32_e32 v9, v8
	v_min_u32_e32 v9, 32, v9
	v_lshrrev_b16_e32 v6, 2, v28
	v_subrev_u32_e32 v10, 29, v9
	v_and_b32_e32 v6, 31, v6
	v_lshlrev_b32_e32 v10, v10, v28
	v_sub_u32_e32 v9, 30, v9
	v_and_b32_e32 v10, 3, v10
	v_cmp_eq_u32_e64 s[6:7], 0, v6
	v_cndmask_b32_e64 v6, v6, v9, s[6:7]
	v_cndmask_b32_e64 v8, v8, v10, s[6:7]
	v_lshlrev_b32_e32 v9, 24, v28
	v_mov_b32_e32 v10, 0x37800000
	v_lshlrev_b32_e32 v8, 21, v8
	v_and_b32_e32 v9, 0x80000000, v9
	v_lshl_add_u32 v6, v6, 23, v10
	v_or3_b32 v6, v9, v6, v8
.LBB243_246:
	s_or_b64 exec, exec, s[14:15]
	s_movk_i32 s6, 0x7f
	v_cmp_gt_i16_sdwa s[14:15], v27, s6 src0_sel:BYTE_0 src1_sel:DWORD
	s_mov_b64 s[6:7], 0
	s_and_saveexec_b64 s[16:17], s[14:15]
	s_xor_b64 s[14:15], exec, s[16:17]
	s_cbranch_execnz .LBB243_573
; %bb.247:
	s_or_saveexec_b64 s[14:15], s[14:15]
	v_mov_b32_e32 v8, 0x7f800001
	s_xor_b64 exec, exec, s[14:15]
	s_cbranch_execnz .LBB243_576
.LBB243_248:
	s_or_b64 exec, exec, s[14:15]
	s_and_saveexec_b64 s[14:15], s[6:7]
	s_cbranch_execz .LBB243_250
.LBB243_249:
	v_and_b32_e32 v9, 3, v27
	v_ffbh_u32_e32 v10, v9
	v_min_u32_e32 v10, 32, v10
	v_lshrrev_b16_e32 v8, 2, v27
	v_subrev_u32_e32 v11, 29, v10
	v_and_b32_e32 v8, 31, v8
	v_lshlrev_b32_e32 v11, v11, v27
	v_sub_u32_e32 v10, 30, v10
	v_and_b32_e32 v11, 3, v11
	v_cmp_eq_u32_e64 s[6:7], 0, v8
	v_cndmask_b32_e64 v8, v8, v10, s[6:7]
	v_cndmask_b32_e64 v9, v9, v11, s[6:7]
	v_lshlrev_b32_e32 v10, 24, v27
	v_mov_b32_e32 v11, 0x37800000
	v_lshlrev_b32_e32 v9, 21, v9
	v_and_b32_e32 v10, 0x80000000, v10
	v_lshl_add_u32 v8, v8, 23, v11
	v_or3_b32 v8, v10, v8, v9
.LBB243_250:
	s_or_b64 exec, exec, s[14:15]
	v_cmp_eq_f32_e64 s[6:7], v6, v8
	s_andn2_b64 s[10:11], s[10:11], exec
	s_and_b64 s[6:7], s[6:7], exec
	s_or_b64 s[10:11], s[10:11], s[6:7]
.LBB243_251:
	s_or_b64 exec, exec, s[12:13]
	v_cndmask_b32_e64 v6, 0, 1, s[10:11]
	v_lshlrev_b16_e32 v6, 8, v6
	v_or_b32_sdwa v6, v3, v6 dst_sel:DWORD dst_unused:UNUSED_PAD src0_sel:BYTE_0 src1_sel:DWORD
	v_and_b32_e32 v6, 0xffff, v6
	s_mov_b32 s6, 0xffff0000
	v_and_or_b32 v3, v3, s6, v6
.LBB243_252:
	s_or_b64 exec, exec, s[8:9]
	v_add_u32_e32 v6, 0xa00, v12
	v_cmp_lt_i32_e64 s[6:7], v6, v7
	s_and_saveexec_b64 s[8:9], s[6:7]
	s_cbranch_execz .LBB243_274
; %bb.253:
                                        ; implicit-def: $sgpr10_sgpr11
	s_and_saveexec_b64 s[6:7], s[4:5]
	s_xor_b64 s[12:13], exec, s[6:7]
	s_cbranch_execz .LBB243_263
; %bb.254:
	s_movk_i32 s6, 0x7f
	s_waitcnt vmcnt(0) lgkmcnt(0)
	v_cmp_gt_i16_sdwa s[10:11], v26, s6 src0_sel:BYTE_0 src1_sel:DWORD
	s_mov_b64 s[6:7], 0
	s_and_saveexec_b64 s[14:15], s[10:11]
	s_xor_b64 s[10:11], exec, s[14:15]
	s_cbranch_execnz .LBB243_577
; %bb.255:
	s_or_saveexec_b64 s[10:11], s[10:11]
	v_mov_b32_e32 v6, 0x7f800001
	s_xor_b64 exec, exec, s[10:11]
	s_cbranch_execnz .LBB243_580
.LBB243_256:
	s_or_b64 exec, exec, s[10:11]
	s_and_saveexec_b64 s[10:11], s[6:7]
	s_cbranch_execz .LBB243_258
.LBB243_257:
	v_and_b32_e32 v8, 3, v26
	v_ffbh_u32_e32 v9, v8
	v_min_u32_e32 v9, 32, v9
	v_lshrrev_b16_e32 v6, 2, v26
	v_subrev_u32_e32 v10, 29, v9
	v_and_b32_e32 v6, 31, v6
	v_lshlrev_b32_e32 v10, v10, v26
	v_sub_u32_e32 v9, 30, v9
	v_and_b32_e32 v10, 3, v10
	v_cmp_eq_u32_e64 s[6:7], 0, v6
	v_cndmask_b32_e64 v6, v6, v9, s[6:7]
	v_cndmask_b32_e64 v8, v8, v10, s[6:7]
	v_lshlrev_b32_e32 v9, 24, v26
	v_mov_b32_e32 v10, 0x37800000
	v_lshlrev_b32_e32 v8, 21, v8
	v_and_b32_e32 v9, 0x80000000, v9
	v_lshl_add_u32 v6, v6, 23, v10
	v_or3_b32 v6, v9, v6, v8
.LBB243_258:
	s_or_b64 exec, exec, s[10:11]
	s_movk_i32 s6, 0x7f
	v_cmp_gt_i16_sdwa s[10:11], v25, s6 src0_sel:BYTE_0 src1_sel:DWORD
	s_mov_b64 s[6:7], 0
	s_and_saveexec_b64 s[14:15], s[10:11]
	s_xor_b64 s[10:11], exec, s[14:15]
	s_cbranch_execnz .LBB243_581
; %bb.259:
	s_or_saveexec_b64 s[10:11], s[10:11]
	v_mov_b32_e32 v8, 0x7f800001
	s_xor_b64 exec, exec, s[10:11]
	s_cbranch_execnz .LBB243_584
.LBB243_260:
	s_or_b64 exec, exec, s[10:11]
	s_and_saveexec_b64 s[10:11], s[6:7]
	s_cbranch_execz .LBB243_262
.LBB243_261:
	v_and_b32_e32 v9, 3, v25
	v_ffbh_u32_e32 v10, v9
	v_min_u32_e32 v10, 32, v10
	v_lshrrev_b16_e32 v8, 2, v25
	v_subrev_u32_e32 v11, 29, v10
	v_and_b32_e32 v8, 31, v8
	v_lshlrev_b32_e32 v11, v11, v25
	v_sub_u32_e32 v10, 30, v10
	v_and_b32_e32 v11, 3, v11
	v_cmp_eq_u32_e64 s[6:7], 0, v8
	v_cndmask_b32_e64 v8, v8, v10, s[6:7]
	v_cndmask_b32_e64 v9, v9, v11, s[6:7]
	v_lshlrev_b32_e32 v10, 24, v25
	v_mov_b32_e32 v11, 0x37800000
	v_lshlrev_b32_e32 v9, 21, v9
	v_and_b32_e32 v10, 0x80000000, v10
	v_lshl_add_u32 v8, v8, 23, v11
	v_or3_b32 v8, v10, v8, v9
.LBB243_262:
	s_or_b64 exec, exec, s[10:11]
	v_cmp_neq_f32_e64 s[10:11], v6, v8
                                        ; implicit-def: $vgpr25
                                        ; implicit-def: $vgpr26
.LBB243_263:
	s_andn2_saveexec_b64 s[12:13], s[12:13]
	s_cbranch_execz .LBB243_273
; %bb.264:
	s_movk_i32 s6, 0x7f
	s_waitcnt vmcnt(0) lgkmcnt(0)
	v_cmp_gt_i16_sdwa s[14:15], v26, s6 src0_sel:BYTE_0 src1_sel:DWORD
	s_mov_b64 s[6:7], 0
	s_and_saveexec_b64 s[16:17], s[14:15]
	s_xor_b64 s[14:15], exec, s[16:17]
	s_cbranch_execnz .LBB243_585
; %bb.265:
	s_or_saveexec_b64 s[14:15], s[14:15]
	v_mov_b32_e32 v6, 0x7f800001
	s_xor_b64 exec, exec, s[14:15]
	s_cbranch_execnz .LBB243_588
.LBB243_266:
	s_or_b64 exec, exec, s[14:15]
	s_and_saveexec_b64 s[14:15], s[6:7]
	s_cbranch_execz .LBB243_268
.LBB243_267:
	v_and_b32_e32 v8, 3, v26
	v_ffbh_u32_e32 v9, v8
	v_min_u32_e32 v9, 32, v9
	v_lshrrev_b16_e32 v6, 2, v26
	v_subrev_u32_e32 v10, 29, v9
	v_and_b32_e32 v6, 31, v6
	v_lshlrev_b32_e32 v10, v10, v26
	v_sub_u32_e32 v9, 30, v9
	v_and_b32_e32 v10, 3, v10
	v_cmp_eq_u32_e64 s[6:7], 0, v6
	v_cndmask_b32_e64 v6, v6, v9, s[6:7]
	v_cndmask_b32_e64 v8, v8, v10, s[6:7]
	v_lshlrev_b32_e32 v9, 24, v26
	v_mov_b32_e32 v10, 0x37800000
	v_lshlrev_b32_e32 v8, 21, v8
	v_and_b32_e32 v9, 0x80000000, v9
	v_lshl_add_u32 v6, v6, 23, v10
	v_or3_b32 v6, v9, v6, v8
.LBB243_268:
	s_or_b64 exec, exec, s[14:15]
	s_movk_i32 s6, 0x7f
	v_cmp_gt_i16_sdwa s[14:15], v25, s6 src0_sel:BYTE_0 src1_sel:DWORD
	s_mov_b64 s[6:7], 0
	s_and_saveexec_b64 s[16:17], s[14:15]
	s_xor_b64 s[14:15], exec, s[16:17]
	s_cbranch_execnz .LBB243_589
; %bb.269:
	s_or_saveexec_b64 s[14:15], s[14:15]
	v_mov_b32_e32 v8, 0x7f800001
	s_xor_b64 exec, exec, s[14:15]
	s_cbranch_execnz .LBB243_592
.LBB243_270:
	s_or_b64 exec, exec, s[14:15]
	s_and_saveexec_b64 s[14:15], s[6:7]
	s_cbranch_execz .LBB243_272
.LBB243_271:
	v_and_b32_e32 v9, 3, v25
	v_ffbh_u32_e32 v10, v9
	v_min_u32_e32 v10, 32, v10
	v_lshrrev_b16_e32 v8, 2, v25
	v_subrev_u32_e32 v11, 29, v10
	v_and_b32_e32 v8, 31, v8
	v_lshlrev_b32_e32 v11, v11, v25
	v_sub_u32_e32 v10, 30, v10
	v_and_b32_e32 v11, 3, v11
	v_cmp_eq_u32_e64 s[6:7], 0, v8
	v_cndmask_b32_e64 v8, v8, v10, s[6:7]
	v_cndmask_b32_e64 v9, v9, v11, s[6:7]
	v_lshlrev_b32_e32 v10, 24, v25
	v_mov_b32_e32 v11, 0x37800000
	v_lshlrev_b32_e32 v9, 21, v9
	v_and_b32_e32 v10, 0x80000000, v10
	v_lshl_add_u32 v8, v8, 23, v11
	v_or3_b32 v8, v10, v8, v9
.LBB243_272:
	s_or_b64 exec, exec, s[14:15]
	v_cmp_eq_f32_e64 s[6:7], v6, v8
	s_andn2_b64 s[10:11], s[10:11], exec
	s_and_b64 s[6:7], s[6:7], exec
	s_or_b64 s[10:11], s[10:11], s[6:7]
.LBB243_273:
	s_or_b64 exec, exec, s[12:13]
	s_movk_i32 s6, 0xff00
	v_and_b32_sdwa v6, v3, s6 dst_sel:DWORD dst_unused:UNUSED_PAD src0_sel:WORD_1 src1_sel:DWORD
	v_cndmask_b32_e64 v8, 0, 1, s[10:11]
	v_or_b32_sdwa v6, v8, v6 dst_sel:WORD_1 dst_unused:UNUSED_PAD src0_sel:DWORD src1_sel:DWORD
	s_mov_b32 s6, 0xffff
	v_and_or_b32 v3, v3, s6, v6
.LBB243_274:
	s_or_b64 exec, exec, s[8:9]
	v_add_u32_e32 v6, 0xb00, v12
	v_cmp_lt_i32_e64 s[6:7], v6, v7
	s_and_saveexec_b64 s[8:9], s[6:7]
	s_cbranch_execz .LBB243_296
; %bb.275:
                                        ; implicit-def: $sgpr10_sgpr11
	s_and_saveexec_b64 s[6:7], s[4:5]
	s_xor_b64 s[12:13], exec, s[6:7]
	s_cbranch_execz .LBB243_285
; %bb.276:
	s_movk_i32 s6, 0x7f
	s_waitcnt vmcnt(0) lgkmcnt(0)
	v_cmp_gt_i16_sdwa s[10:11], v24, s6 src0_sel:BYTE_0 src1_sel:DWORD
	s_mov_b64 s[6:7], 0
	s_and_saveexec_b64 s[14:15], s[10:11]
	s_xor_b64 s[10:11], exec, s[14:15]
	s_cbranch_execnz .LBB243_593
; %bb.277:
	s_or_saveexec_b64 s[10:11], s[10:11]
	v_mov_b32_e32 v6, 0x7f800001
	s_xor_b64 exec, exec, s[10:11]
	s_cbranch_execnz .LBB243_596
.LBB243_278:
	s_or_b64 exec, exec, s[10:11]
	s_and_saveexec_b64 s[10:11], s[6:7]
	s_cbranch_execz .LBB243_280
.LBB243_279:
	v_and_b32_e32 v8, 3, v24
	v_ffbh_u32_e32 v9, v8
	v_min_u32_e32 v9, 32, v9
	v_lshrrev_b16_e32 v6, 2, v24
	v_subrev_u32_e32 v10, 29, v9
	v_and_b32_e32 v6, 31, v6
	v_lshlrev_b32_e32 v10, v10, v24
	v_sub_u32_e32 v9, 30, v9
	v_and_b32_e32 v10, 3, v10
	v_cmp_eq_u32_e64 s[6:7], 0, v6
	v_cndmask_b32_e64 v6, v6, v9, s[6:7]
	v_cndmask_b32_e64 v8, v8, v10, s[6:7]
	v_lshlrev_b32_e32 v9, 24, v24
	v_mov_b32_e32 v10, 0x37800000
	v_lshlrev_b32_e32 v8, 21, v8
	v_and_b32_e32 v9, 0x80000000, v9
	v_lshl_add_u32 v6, v6, 23, v10
	v_or3_b32 v6, v9, v6, v8
.LBB243_280:
	s_or_b64 exec, exec, s[10:11]
	s_movk_i32 s6, 0x7f
	v_cmp_gt_i16_sdwa s[10:11], v23, s6 src0_sel:BYTE_0 src1_sel:DWORD
	s_mov_b64 s[6:7], 0
	s_and_saveexec_b64 s[14:15], s[10:11]
	s_xor_b64 s[10:11], exec, s[14:15]
	s_cbranch_execnz .LBB243_597
; %bb.281:
	s_or_saveexec_b64 s[10:11], s[10:11]
	v_mov_b32_e32 v8, 0x7f800001
	s_xor_b64 exec, exec, s[10:11]
	s_cbranch_execnz .LBB243_600
.LBB243_282:
	s_or_b64 exec, exec, s[10:11]
	s_and_saveexec_b64 s[10:11], s[6:7]
	s_cbranch_execz .LBB243_284
.LBB243_283:
	v_and_b32_e32 v9, 3, v23
	v_ffbh_u32_e32 v10, v9
	v_min_u32_e32 v10, 32, v10
	v_lshrrev_b16_e32 v8, 2, v23
	v_subrev_u32_e32 v11, 29, v10
	v_and_b32_e32 v8, 31, v8
	v_lshlrev_b32_e32 v11, v11, v23
	v_sub_u32_e32 v10, 30, v10
	v_and_b32_e32 v11, 3, v11
	v_cmp_eq_u32_e64 s[6:7], 0, v8
	v_cndmask_b32_e64 v8, v8, v10, s[6:7]
	v_cndmask_b32_e64 v9, v9, v11, s[6:7]
	v_lshlrev_b32_e32 v10, 24, v23
	v_mov_b32_e32 v11, 0x37800000
	v_lshlrev_b32_e32 v9, 21, v9
	v_and_b32_e32 v10, 0x80000000, v10
	v_lshl_add_u32 v8, v8, 23, v11
	v_or3_b32 v8, v10, v8, v9
.LBB243_284:
	s_or_b64 exec, exec, s[10:11]
	v_cmp_neq_f32_e64 s[10:11], v6, v8
                                        ; implicit-def: $vgpr23
                                        ; implicit-def: $vgpr24
.LBB243_285:
	s_andn2_saveexec_b64 s[12:13], s[12:13]
	s_cbranch_execz .LBB243_295
; %bb.286:
	s_movk_i32 s6, 0x7f
	s_waitcnt vmcnt(0) lgkmcnt(0)
	v_cmp_gt_i16_sdwa s[14:15], v24, s6 src0_sel:BYTE_0 src1_sel:DWORD
	s_mov_b64 s[6:7], 0
	s_and_saveexec_b64 s[16:17], s[14:15]
	s_xor_b64 s[14:15], exec, s[16:17]
	s_cbranch_execnz .LBB243_601
; %bb.287:
	s_or_saveexec_b64 s[14:15], s[14:15]
	v_mov_b32_e32 v6, 0x7f800001
	s_xor_b64 exec, exec, s[14:15]
	s_cbranch_execnz .LBB243_604
.LBB243_288:
	s_or_b64 exec, exec, s[14:15]
	s_and_saveexec_b64 s[14:15], s[6:7]
	s_cbranch_execz .LBB243_290
.LBB243_289:
	v_and_b32_e32 v8, 3, v24
	v_ffbh_u32_e32 v9, v8
	v_min_u32_e32 v9, 32, v9
	v_lshrrev_b16_e32 v6, 2, v24
	v_subrev_u32_e32 v10, 29, v9
	v_and_b32_e32 v6, 31, v6
	v_lshlrev_b32_e32 v10, v10, v24
	v_sub_u32_e32 v9, 30, v9
	v_and_b32_e32 v10, 3, v10
	v_cmp_eq_u32_e64 s[6:7], 0, v6
	v_cndmask_b32_e64 v6, v6, v9, s[6:7]
	v_cndmask_b32_e64 v8, v8, v10, s[6:7]
	v_lshlrev_b32_e32 v9, 24, v24
	v_mov_b32_e32 v10, 0x37800000
	v_lshlrev_b32_e32 v8, 21, v8
	v_and_b32_e32 v9, 0x80000000, v9
	v_lshl_add_u32 v6, v6, 23, v10
	v_or3_b32 v6, v9, v6, v8
.LBB243_290:
	s_or_b64 exec, exec, s[14:15]
	s_movk_i32 s6, 0x7f
	v_cmp_gt_i16_sdwa s[14:15], v23, s6 src0_sel:BYTE_0 src1_sel:DWORD
	s_mov_b64 s[6:7], 0
	s_and_saveexec_b64 s[16:17], s[14:15]
	s_xor_b64 s[14:15], exec, s[16:17]
	s_cbranch_execnz .LBB243_605
; %bb.291:
	s_or_saveexec_b64 s[14:15], s[14:15]
	v_mov_b32_e32 v8, 0x7f800001
	s_xor_b64 exec, exec, s[14:15]
	s_cbranch_execnz .LBB243_608
.LBB243_292:
	s_or_b64 exec, exec, s[14:15]
	s_and_saveexec_b64 s[14:15], s[6:7]
	s_cbranch_execz .LBB243_294
.LBB243_293:
	v_and_b32_e32 v9, 3, v23
	v_ffbh_u32_e32 v10, v9
	v_min_u32_e32 v10, 32, v10
	v_lshrrev_b16_e32 v8, 2, v23
	v_subrev_u32_e32 v11, 29, v10
	v_and_b32_e32 v8, 31, v8
	v_lshlrev_b32_e32 v11, v11, v23
	v_sub_u32_e32 v10, 30, v10
	v_and_b32_e32 v11, 3, v11
	v_cmp_eq_u32_e64 s[6:7], 0, v8
	v_cndmask_b32_e64 v8, v8, v10, s[6:7]
	v_cndmask_b32_e64 v9, v9, v11, s[6:7]
	v_lshlrev_b32_e32 v10, 24, v23
	v_mov_b32_e32 v11, 0x37800000
	v_lshlrev_b32_e32 v9, 21, v9
	v_and_b32_e32 v10, 0x80000000, v10
	v_lshl_add_u32 v8, v8, 23, v11
	v_or3_b32 v8, v10, v8, v9
.LBB243_294:
	s_or_b64 exec, exec, s[14:15]
	v_cmp_eq_f32_e64 s[6:7], v6, v8
	s_andn2_b64 s[10:11], s[10:11], exec
	s_and_b64 s[6:7], s[6:7], exec
	s_or_b64 s[10:11], s[10:11], s[6:7]
.LBB243_295:
	s_or_b64 exec, exec, s[12:13]
	s_movk_i32 s6, 0xff
	v_cndmask_b32_e64 v8, 0, 1, s[10:11]
	v_and_b32_sdwa v6, v3, s6 dst_sel:DWORD dst_unused:UNUSED_PAD src0_sel:WORD_1 src1_sel:DWORD
	v_lshlrev_b16_e32 v8, 8, v8
	v_or_b32_sdwa v6, v6, v8 dst_sel:WORD_1 dst_unused:UNUSED_PAD src0_sel:DWORD src1_sel:DWORD
	s_mov_b32 s6, 0xffff
	v_and_or_b32 v3, v3, s6, v6
.LBB243_296:
	s_or_b64 exec, exec, s[8:9]
	v_or_b32_e32 v6, 0xc00, v12
	v_cmp_lt_i32_e64 s[6:7], v6, v7
	s_and_saveexec_b64 s[8:9], s[6:7]
	s_cbranch_execz .LBB243_318
; %bb.297:
                                        ; implicit-def: $sgpr10_sgpr11
	s_and_saveexec_b64 s[6:7], s[4:5]
	s_xor_b64 s[12:13], exec, s[6:7]
	s_cbranch_execz .LBB243_307
; %bb.298:
	s_movk_i32 s6, 0x7f
	s_waitcnt vmcnt(0) lgkmcnt(0)
	v_cmp_gt_i16_sdwa s[10:11], v22, s6 src0_sel:BYTE_0 src1_sel:DWORD
	s_mov_b64 s[6:7], 0
	s_and_saveexec_b64 s[14:15], s[10:11]
	s_xor_b64 s[10:11], exec, s[14:15]
	s_cbranch_execnz .LBB243_609
; %bb.299:
	s_or_saveexec_b64 s[10:11], s[10:11]
	v_mov_b32_e32 v6, 0x7f800001
	s_xor_b64 exec, exec, s[10:11]
	s_cbranch_execnz .LBB243_612
.LBB243_300:
	s_or_b64 exec, exec, s[10:11]
	s_and_saveexec_b64 s[10:11], s[6:7]
	s_cbranch_execz .LBB243_302
.LBB243_301:
	v_and_b32_e32 v8, 3, v22
	v_ffbh_u32_e32 v9, v8
	v_min_u32_e32 v9, 32, v9
	v_lshrrev_b16_e32 v6, 2, v22
	v_subrev_u32_e32 v10, 29, v9
	v_and_b32_e32 v6, 31, v6
	v_lshlrev_b32_e32 v10, v10, v22
	v_sub_u32_e32 v9, 30, v9
	v_and_b32_e32 v10, 3, v10
	v_cmp_eq_u32_e64 s[6:7], 0, v6
	v_cndmask_b32_e64 v6, v6, v9, s[6:7]
	v_cndmask_b32_e64 v8, v8, v10, s[6:7]
	v_lshlrev_b32_e32 v9, 24, v22
	v_mov_b32_e32 v10, 0x37800000
	v_lshlrev_b32_e32 v8, 21, v8
	v_and_b32_e32 v9, 0x80000000, v9
	v_lshl_add_u32 v6, v6, 23, v10
	v_or3_b32 v6, v9, v6, v8
.LBB243_302:
	s_or_b64 exec, exec, s[10:11]
	s_movk_i32 s6, 0x7f
	v_cmp_gt_i16_sdwa s[10:11], v21, s6 src0_sel:BYTE_0 src1_sel:DWORD
	s_mov_b64 s[6:7], 0
	s_and_saveexec_b64 s[14:15], s[10:11]
	s_xor_b64 s[10:11], exec, s[14:15]
	s_cbranch_execnz .LBB243_613
; %bb.303:
	s_or_saveexec_b64 s[10:11], s[10:11]
	v_mov_b32_e32 v8, 0x7f800001
	s_xor_b64 exec, exec, s[10:11]
	s_cbranch_execnz .LBB243_616
.LBB243_304:
	s_or_b64 exec, exec, s[10:11]
	s_and_saveexec_b64 s[10:11], s[6:7]
	s_cbranch_execz .LBB243_306
.LBB243_305:
	v_and_b32_e32 v9, 3, v21
	v_ffbh_u32_e32 v10, v9
	v_min_u32_e32 v10, 32, v10
	v_lshrrev_b16_e32 v8, 2, v21
	v_subrev_u32_e32 v11, 29, v10
	v_and_b32_e32 v8, 31, v8
	v_lshlrev_b32_e32 v11, v11, v21
	v_sub_u32_e32 v10, 30, v10
	v_and_b32_e32 v11, 3, v11
	v_cmp_eq_u32_e64 s[6:7], 0, v8
	v_cndmask_b32_e64 v8, v8, v10, s[6:7]
	v_cndmask_b32_e64 v9, v9, v11, s[6:7]
	v_lshlrev_b32_e32 v10, 24, v21
	v_mov_b32_e32 v11, 0x37800000
	v_lshlrev_b32_e32 v9, 21, v9
	v_and_b32_e32 v10, 0x80000000, v10
	v_lshl_add_u32 v8, v8, 23, v11
	v_or3_b32 v8, v10, v8, v9
.LBB243_306:
	s_or_b64 exec, exec, s[10:11]
	v_cmp_neq_f32_e64 s[10:11], v6, v8
                                        ; implicit-def: $vgpr21
                                        ; implicit-def: $vgpr22
.LBB243_307:
	s_andn2_saveexec_b64 s[12:13], s[12:13]
	s_cbranch_execz .LBB243_317
; %bb.308:
	s_movk_i32 s6, 0x7f
	s_waitcnt vmcnt(0) lgkmcnt(0)
	v_cmp_gt_i16_sdwa s[14:15], v22, s6 src0_sel:BYTE_0 src1_sel:DWORD
	s_mov_b64 s[6:7], 0
	s_and_saveexec_b64 s[16:17], s[14:15]
	s_xor_b64 s[14:15], exec, s[16:17]
	s_cbranch_execnz .LBB243_617
; %bb.309:
	s_or_saveexec_b64 s[14:15], s[14:15]
	v_mov_b32_e32 v6, 0x7f800001
	s_xor_b64 exec, exec, s[14:15]
	s_cbranch_execnz .LBB243_620
.LBB243_310:
	s_or_b64 exec, exec, s[14:15]
	s_and_saveexec_b64 s[14:15], s[6:7]
	s_cbranch_execz .LBB243_312
.LBB243_311:
	v_and_b32_e32 v8, 3, v22
	v_ffbh_u32_e32 v9, v8
	v_min_u32_e32 v9, 32, v9
	v_lshrrev_b16_e32 v6, 2, v22
	v_subrev_u32_e32 v10, 29, v9
	v_and_b32_e32 v6, 31, v6
	v_lshlrev_b32_e32 v10, v10, v22
	v_sub_u32_e32 v9, 30, v9
	v_and_b32_e32 v10, 3, v10
	v_cmp_eq_u32_e64 s[6:7], 0, v6
	v_cndmask_b32_e64 v6, v6, v9, s[6:7]
	v_cndmask_b32_e64 v8, v8, v10, s[6:7]
	v_lshlrev_b32_e32 v9, 24, v22
	v_mov_b32_e32 v10, 0x37800000
	v_lshlrev_b32_e32 v8, 21, v8
	v_and_b32_e32 v9, 0x80000000, v9
	v_lshl_add_u32 v6, v6, 23, v10
	v_or3_b32 v6, v9, v6, v8
.LBB243_312:
	s_or_b64 exec, exec, s[14:15]
	s_movk_i32 s6, 0x7f
	v_cmp_gt_i16_sdwa s[14:15], v21, s6 src0_sel:BYTE_0 src1_sel:DWORD
	s_mov_b64 s[6:7], 0
	s_and_saveexec_b64 s[16:17], s[14:15]
	s_xor_b64 s[14:15], exec, s[16:17]
	s_cbranch_execnz .LBB243_621
; %bb.313:
	s_or_saveexec_b64 s[14:15], s[14:15]
	v_mov_b32_e32 v8, 0x7f800001
	s_xor_b64 exec, exec, s[14:15]
	s_cbranch_execnz .LBB243_624
.LBB243_314:
	s_or_b64 exec, exec, s[14:15]
	s_and_saveexec_b64 s[14:15], s[6:7]
	s_cbranch_execz .LBB243_316
.LBB243_315:
	v_and_b32_e32 v9, 3, v21
	v_ffbh_u32_e32 v10, v9
	v_min_u32_e32 v10, 32, v10
	v_lshrrev_b16_e32 v8, 2, v21
	v_subrev_u32_e32 v11, 29, v10
	v_and_b32_e32 v8, 31, v8
	v_lshlrev_b32_e32 v11, v11, v21
	v_sub_u32_e32 v10, 30, v10
	v_and_b32_e32 v11, 3, v11
	v_cmp_eq_u32_e64 s[6:7], 0, v8
	v_cndmask_b32_e64 v8, v8, v10, s[6:7]
	v_cndmask_b32_e64 v9, v9, v11, s[6:7]
	v_lshlrev_b32_e32 v10, 24, v21
	v_mov_b32_e32 v11, 0x37800000
	v_lshlrev_b32_e32 v9, 21, v9
	v_and_b32_e32 v10, 0x80000000, v10
	v_lshl_add_u32 v8, v8, 23, v11
	v_or3_b32 v8, v10, v8, v9
.LBB243_316:
	s_or_b64 exec, exec, s[14:15]
	v_cmp_eq_f32_e64 s[6:7], v6, v8
	s_andn2_b64 s[10:11], s[10:11], exec
	s_and_b64 s[6:7], s[6:7], exec
	s_or_b64 s[10:11], s[10:11], s[6:7]
.LBB243_317:
	s_or_b64 exec, exec, s[12:13]
	v_and_b32_e32 v6, 0xffffff00, v0
	v_cndmask_b32_e64 v8, 0, 1, s[10:11]
	v_or_b32_e32 v6, v8, v6
	v_and_b32_e32 v6, 0xffff, v6
	s_mov_b32 s6, 0xffff0000
	v_and_or_b32 v0, v0, s6, v6
.LBB243_318:
	s_or_b64 exec, exec, s[8:9]
	v_add_u32_e32 v6, 0xd00, v12
	v_cmp_lt_i32_e64 s[6:7], v6, v7
	s_and_saveexec_b64 s[8:9], s[6:7]
	s_cbranch_execz .LBB243_340
; %bb.319:
                                        ; implicit-def: $sgpr10_sgpr11
	s_and_saveexec_b64 s[6:7], s[4:5]
	s_xor_b64 s[12:13], exec, s[6:7]
	s_cbranch_execz .LBB243_329
; %bb.320:
	s_movk_i32 s6, 0x7f
	s_waitcnt vmcnt(0) lgkmcnt(0)
	v_cmp_gt_i16_sdwa s[10:11], v20, s6 src0_sel:BYTE_0 src1_sel:DWORD
	s_mov_b64 s[6:7], 0
	s_and_saveexec_b64 s[14:15], s[10:11]
	s_xor_b64 s[10:11], exec, s[14:15]
	s_cbranch_execnz .LBB243_625
; %bb.321:
	s_or_saveexec_b64 s[10:11], s[10:11]
	v_mov_b32_e32 v6, 0x7f800001
	s_xor_b64 exec, exec, s[10:11]
	s_cbranch_execnz .LBB243_628
.LBB243_322:
	s_or_b64 exec, exec, s[10:11]
	s_and_saveexec_b64 s[10:11], s[6:7]
	s_cbranch_execz .LBB243_324
.LBB243_323:
	v_and_b32_e32 v8, 3, v20
	v_ffbh_u32_e32 v9, v8
	v_min_u32_e32 v9, 32, v9
	v_lshrrev_b16_e32 v6, 2, v20
	v_subrev_u32_e32 v10, 29, v9
	v_and_b32_e32 v6, 31, v6
	v_lshlrev_b32_e32 v10, v10, v20
	v_sub_u32_e32 v9, 30, v9
	v_and_b32_e32 v10, 3, v10
	v_cmp_eq_u32_e64 s[6:7], 0, v6
	v_cndmask_b32_e64 v6, v6, v9, s[6:7]
	v_cndmask_b32_e64 v8, v8, v10, s[6:7]
	v_lshlrev_b32_e32 v9, 24, v20
	v_mov_b32_e32 v10, 0x37800000
	v_lshlrev_b32_e32 v8, 21, v8
	v_and_b32_e32 v9, 0x80000000, v9
	v_lshl_add_u32 v6, v6, 23, v10
	v_or3_b32 v6, v9, v6, v8
.LBB243_324:
	s_or_b64 exec, exec, s[10:11]
	s_movk_i32 s6, 0x7f
	v_cmp_gt_i16_sdwa s[10:11], v19, s6 src0_sel:BYTE_0 src1_sel:DWORD
	s_mov_b64 s[6:7], 0
	s_and_saveexec_b64 s[14:15], s[10:11]
	s_xor_b64 s[10:11], exec, s[14:15]
	s_cbranch_execnz .LBB243_629
; %bb.325:
	s_or_saveexec_b64 s[10:11], s[10:11]
	v_mov_b32_e32 v8, 0x7f800001
	s_xor_b64 exec, exec, s[10:11]
	s_cbranch_execnz .LBB243_632
.LBB243_326:
	s_or_b64 exec, exec, s[10:11]
	s_and_saveexec_b64 s[10:11], s[6:7]
	s_cbranch_execz .LBB243_328
.LBB243_327:
	v_and_b32_e32 v9, 3, v19
	v_ffbh_u32_e32 v10, v9
	v_min_u32_e32 v10, 32, v10
	v_lshrrev_b16_e32 v8, 2, v19
	v_subrev_u32_e32 v11, 29, v10
	v_and_b32_e32 v8, 31, v8
	v_lshlrev_b32_e32 v11, v11, v19
	v_sub_u32_e32 v10, 30, v10
	v_and_b32_e32 v11, 3, v11
	v_cmp_eq_u32_e64 s[6:7], 0, v8
	v_cndmask_b32_e64 v8, v8, v10, s[6:7]
	v_cndmask_b32_e64 v9, v9, v11, s[6:7]
	v_lshlrev_b32_e32 v10, 24, v19
	v_mov_b32_e32 v11, 0x37800000
	v_lshlrev_b32_e32 v9, 21, v9
	v_and_b32_e32 v10, 0x80000000, v10
	v_lshl_add_u32 v8, v8, 23, v11
	v_or3_b32 v8, v10, v8, v9
.LBB243_328:
	s_or_b64 exec, exec, s[10:11]
	v_cmp_neq_f32_e64 s[10:11], v6, v8
                                        ; implicit-def: $vgpr19
                                        ; implicit-def: $vgpr20
.LBB243_329:
	s_andn2_saveexec_b64 s[12:13], s[12:13]
	s_cbranch_execz .LBB243_339
; %bb.330:
	s_movk_i32 s6, 0x7f
	s_waitcnt vmcnt(0) lgkmcnt(0)
	v_cmp_gt_i16_sdwa s[14:15], v20, s6 src0_sel:BYTE_0 src1_sel:DWORD
	s_mov_b64 s[6:7], 0
	s_and_saveexec_b64 s[16:17], s[14:15]
	s_xor_b64 s[14:15], exec, s[16:17]
	s_cbranch_execnz .LBB243_633
; %bb.331:
	s_or_saveexec_b64 s[14:15], s[14:15]
	v_mov_b32_e32 v6, 0x7f800001
	s_xor_b64 exec, exec, s[14:15]
	s_cbranch_execnz .LBB243_636
.LBB243_332:
	s_or_b64 exec, exec, s[14:15]
	s_and_saveexec_b64 s[14:15], s[6:7]
	s_cbranch_execz .LBB243_334
.LBB243_333:
	v_and_b32_e32 v8, 3, v20
	v_ffbh_u32_e32 v9, v8
	v_min_u32_e32 v9, 32, v9
	v_lshrrev_b16_e32 v6, 2, v20
	v_subrev_u32_e32 v10, 29, v9
	v_and_b32_e32 v6, 31, v6
	v_lshlrev_b32_e32 v10, v10, v20
	v_sub_u32_e32 v9, 30, v9
	v_and_b32_e32 v10, 3, v10
	v_cmp_eq_u32_e64 s[6:7], 0, v6
	v_cndmask_b32_e64 v6, v6, v9, s[6:7]
	v_cndmask_b32_e64 v8, v8, v10, s[6:7]
	v_lshlrev_b32_e32 v9, 24, v20
	v_mov_b32_e32 v10, 0x37800000
	v_lshlrev_b32_e32 v8, 21, v8
	v_and_b32_e32 v9, 0x80000000, v9
	v_lshl_add_u32 v6, v6, 23, v10
	v_or3_b32 v6, v9, v6, v8
.LBB243_334:
	s_or_b64 exec, exec, s[14:15]
	s_movk_i32 s6, 0x7f
	v_cmp_gt_i16_sdwa s[14:15], v19, s6 src0_sel:BYTE_0 src1_sel:DWORD
	s_mov_b64 s[6:7], 0
	s_and_saveexec_b64 s[16:17], s[14:15]
	s_xor_b64 s[14:15], exec, s[16:17]
	s_cbranch_execnz .LBB243_637
; %bb.335:
	s_or_saveexec_b64 s[14:15], s[14:15]
	v_mov_b32_e32 v8, 0x7f800001
	s_xor_b64 exec, exec, s[14:15]
	s_cbranch_execnz .LBB243_640
.LBB243_336:
	s_or_b64 exec, exec, s[14:15]
	s_and_saveexec_b64 s[14:15], s[6:7]
	s_cbranch_execz .LBB243_338
.LBB243_337:
	v_and_b32_e32 v9, 3, v19
	v_ffbh_u32_e32 v10, v9
	v_min_u32_e32 v10, 32, v10
	v_lshrrev_b16_e32 v8, 2, v19
	v_subrev_u32_e32 v11, 29, v10
	v_and_b32_e32 v8, 31, v8
	v_lshlrev_b32_e32 v11, v11, v19
	v_sub_u32_e32 v10, 30, v10
	v_and_b32_e32 v11, 3, v11
	v_cmp_eq_u32_e64 s[6:7], 0, v8
	v_cndmask_b32_e64 v8, v8, v10, s[6:7]
	v_cndmask_b32_e64 v9, v9, v11, s[6:7]
	v_lshlrev_b32_e32 v10, 24, v19
	v_mov_b32_e32 v11, 0x37800000
	v_lshlrev_b32_e32 v9, 21, v9
	v_and_b32_e32 v10, 0x80000000, v10
	v_lshl_add_u32 v8, v8, 23, v11
	v_or3_b32 v8, v10, v8, v9
.LBB243_338:
	s_or_b64 exec, exec, s[14:15]
	v_cmp_eq_f32_e64 s[6:7], v6, v8
	s_andn2_b64 s[10:11], s[10:11], exec
	s_and_b64 s[6:7], s[6:7], exec
	s_or_b64 s[10:11], s[10:11], s[6:7]
.LBB243_339:
	s_or_b64 exec, exec, s[12:13]
	v_cndmask_b32_e64 v6, 0, 1, s[10:11]
	v_lshlrev_b16_e32 v6, 8, v6
	v_or_b32_sdwa v6, v0, v6 dst_sel:DWORD dst_unused:UNUSED_PAD src0_sel:BYTE_0 src1_sel:DWORD
	v_and_b32_e32 v6, 0xffff, v6
	s_mov_b32 s6, 0xffff0000
	v_and_or_b32 v0, v0, s6, v6
.LBB243_340:
	s_or_b64 exec, exec, s[8:9]
	v_add_u32_e32 v6, 0xe00, v12
	v_cmp_lt_i32_e64 s[6:7], v6, v7
	s_and_saveexec_b64 s[8:9], s[6:7]
	s_cbranch_execz .LBB243_362
; %bb.341:
                                        ; implicit-def: $sgpr10_sgpr11
	s_and_saveexec_b64 s[6:7], s[4:5]
	s_xor_b64 s[12:13], exec, s[6:7]
	s_cbranch_execz .LBB243_351
; %bb.342:
	s_movk_i32 s6, 0x7f
	s_waitcnt vmcnt(0) lgkmcnt(0)
	v_cmp_gt_i16_sdwa s[10:11], v18, s6 src0_sel:BYTE_0 src1_sel:DWORD
	s_mov_b64 s[6:7], 0
	s_and_saveexec_b64 s[14:15], s[10:11]
	s_xor_b64 s[10:11], exec, s[14:15]
	s_cbranch_execnz .LBB243_641
; %bb.343:
	s_or_saveexec_b64 s[10:11], s[10:11]
	v_mov_b32_e32 v6, 0x7f800001
	s_xor_b64 exec, exec, s[10:11]
	s_cbranch_execnz .LBB243_644
.LBB243_344:
	s_or_b64 exec, exec, s[10:11]
	s_and_saveexec_b64 s[10:11], s[6:7]
	s_cbranch_execz .LBB243_346
.LBB243_345:
	v_and_b32_e32 v8, 3, v18
	v_ffbh_u32_e32 v9, v8
	v_min_u32_e32 v9, 32, v9
	v_lshrrev_b16_e32 v6, 2, v18
	v_subrev_u32_e32 v10, 29, v9
	v_and_b32_e32 v6, 31, v6
	v_lshlrev_b32_e32 v10, v10, v18
	v_sub_u32_e32 v9, 30, v9
	v_and_b32_e32 v10, 3, v10
	v_cmp_eq_u32_e64 s[6:7], 0, v6
	v_cndmask_b32_e64 v6, v6, v9, s[6:7]
	v_cndmask_b32_e64 v8, v8, v10, s[6:7]
	v_lshlrev_b32_e32 v9, 24, v18
	v_mov_b32_e32 v10, 0x37800000
	v_lshlrev_b32_e32 v8, 21, v8
	v_and_b32_e32 v9, 0x80000000, v9
	v_lshl_add_u32 v6, v6, 23, v10
	v_or3_b32 v6, v9, v6, v8
.LBB243_346:
	s_or_b64 exec, exec, s[10:11]
	s_movk_i32 s6, 0x7f
	v_cmp_gt_i16_sdwa s[10:11], v17, s6 src0_sel:BYTE_0 src1_sel:DWORD
	s_mov_b64 s[6:7], 0
	s_and_saveexec_b64 s[14:15], s[10:11]
	s_xor_b64 s[10:11], exec, s[14:15]
	s_cbranch_execnz .LBB243_645
; %bb.347:
	s_or_saveexec_b64 s[10:11], s[10:11]
	v_mov_b32_e32 v8, 0x7f800001
	s_xor_b64 exec, exec, s[10:11]
	s_cbranch_execnz .LBB243_648
.LBB243_348:
	s_or_b64 exec, exec, s[10:11]
	s_and_saveexec_b64 s[10:11], s[6:7]
	s_cbranch_execz .LBB243_350
.LBB243_349:
	v_and_b32_e32 v9, 3, v17
	v_ffbh_u32_e32 v10, v9
	v_min_u32_e32 v10, 32, v10
	v_lshrrev_b16_e32 v8, 2, v17
	v_subrev_u32_e32 v11, 29, v10
	v_and_b32_e32 v8, 31, v8
	v_lshlrev_b32_e32 v11, v11, v17
	v_sub_u32_e32 v10, 30, v10
	v_and_b32_e32 v11, 3, v11
	v_cmp_eq_u32_e64 s[6:7], 0, v8
	v_cndmask_b32_e64 v8, v8, v10, s[6:7]
	v_cndmask_b32_e64 v9, v9, v11, s[6:7]
	v_lshlrev_b32_e32 v10, 24, v17
	v_mov_b32_e32 v11, 0x37800000
	v_lshlrev_b32_e32 v9, 21, v9
	v_and_b32_e32 v10, 0x80000000, v10
	v_lshl_add_u32 v8, v8, 23, v11
	v_or3_b32 v8, v10, v8, v9
.LBB243_350:
	s_or_b64 exec, exec, s[10:11]
	v_cmp_neq_f32_e64 s[10:11], v6, v8
                                        ; implicit-def: $vgpr17
                                        ; implicit-def: $vgpr18
.LBB243_351:
	s_andn2_saveexec_b64 s[12:13], s[12:13]
	s_cbranch_execz .LBB243_361
; %bb.352:
	s_movk_i32 s6, 0x7f
	s_waitcnt vmcnt(0) lgkmcnt(0)
	v_cmp_gt_i16_sdwa s[14:15], v18, s6 src0_sel:BYTE_0 src1_sel:DWORD
	s_mov_b64 s[6:7], 0
	s_and_saveexec_b64 s[16:17], s[14:15]
	s_xor_b64 s[14:15], exec, s[16:17]
	s_cbranch_execnz .LBB243_649
; %bb.353:
	s_or_saveexec_b64 s[14:15], s[14:15]
	v_mov_b32_e32 v6, 0x7f800001
	s_xor_b64 exec, exec, s[14:15]
	s_cbranch_execnz .LBB243_652
.LBB243_354:
	s_or_b64 exec, exec, s[14:15]
	s_and_saveexec_b64 s[14:15], s[6:7]
	s_cbranch_execz .LBB243_356
.LBB243_355:
	v_and_b32_e32 v8, 3, v18
	v_ffbh_u32_e32 v9, v8
	v_min_u32_e32 v9, 32, v9
	v_lshrrev_b16_e32 v6, 2, v18
	v_subrev_u32_e32 v10, 29, v9
	v_and_b32_e32 v6, 31, v6
	v_lshlrev_b32_e32 v10, v10, v18
	v_sub_u32_e32 v9, 30, v9
	v_and_b32_e32 v10, 3, v10
	v_cmp_eq_u32_e64 s[6:7], 0, v6
	v_cndmask_b32_e64 v6, v6, v9, s[6:7]
	v_cndmask_b32_e64 v8, v8, v10, s[6:7]
	v_lshlrev_b32_e32 v9, 24, v18
	v_mov_b32_e32 v10, 0x37800000
	v_lshlrev_b32_e32 v8, 21, v8
	v_and_b32_e32 v9, 0x80000000, v9
	v_lshl_add_u32 v6, v6, 23, v10
	v_or3_b32 v6, v9, v6, v8
.LBB243_356:
	s_or_b64 exec, exec, s[14:15]
	s_movk_i32 s6, 0x7f
	v_cmp_gt_i16_sdwa s[14:15], v17, s6 src0_sel:BYTE_0 src1_sel:DWORD
	s_mov_b64 s[6:7], 0
	s_and_saveexec_b64 s[16:17], s[14:15]
	s_xor_b64 s[14:15], exec, s[16:17]
	s_cbranch_execnz .LBB243_653
; %bb.357:
	s_or_saveexec_b64 s[14:15], s[14:15]
	v_mov_b32_e32 v8, 0x7f800001
	s_xor_b64 exec, exec, s[14:15]
	s_cbranch_execnz .LBB243_656
.LBB243_358:
	s_or_b64 exec, exec, s[14:15]
	s_and_saveexec_b64 s[14:15], s[6:7]
	s_cbranch_execz .LBB243_360
.LBB243_359:
	v_and_b32_e32 v9, 3, v17
	v_ffbh_u32_e32 v10, v9
	v_min_u32_e32 v10, 32, v10
	v_lshrrev_b16_e32 v8, 2, v17
	v_subrev_u32_e32 v11, 29, v10
	v_and_b32_e32 v8, 31, v8
	v_lshlrev_b32_e32 v11, v11, v17
	v_sub_u32_e32 v10, 30, v10
	v_and_b32_e32 v11, 3, v11
	v_cmp_eq_u32_e64 s[6:7], 0, v8
	v_cndmask_b32_e64 v8, v8, v10, s[6:7]
	v_cndmask_b32_e64 v9, v9, v11, s[6:7]
	v_lshlrev_b32_e32 v10, 24, v17
	v_mov_b32_e32 v11, 0x37800000
	v_lshlrev_b32_e32 v9, 21, v9
	v_and_b32_e32 v10, 0x80000000, v10
	v_lshl_add_u32 v8, v8, 23, v11
	v_or3_b32 v8, v10, v8, v9
.LBB243_360:
	s_or_b64 exec, exec, s[14:15]
	v_cmp_eq_f32_e64 s[6:7], v6, v8
	s_andn2_b64 s[10:11], s[10:11], exec
	s_and_b64 s[6:7], s[6:7], exec
	s_or_b64 s[10:11], s[10:11], s[6:7]
.LBB243_361:
	s_or_b64 exec, exec, s[12:13]
	s_movk_i32 s6, 0xff00
	v_and_b32_sdwa v6, v0, s6 dst_sel:DWORD dst_unused:UNUSED_PAD src0_sel:WORD_1 src1_sel:DWORD
	v_cndmask_b32_e64 v8, 0, 1, s[10:11]
	v_or_b32_sdwa v6, v8, v6 dst_sel:WORD_1 dst_unused:UNUSED_PAD src0_sel:DWORD src1_sel:DWORD
	s_mov_b32 s6, 0xffff
	v_and_or_b32 v0, v0, s6, v6
.LBB243_362:
	s_or_b64 exec, exec, s[8:9]
	v_add_u32_e32 v6, 0xf00, v12
	v_cmp_lt_i32_e64 s[6:7], v6, v7
	s_and_saveexec_b64 s[8:9], s[6:7]
	s_cbranch_execnz .LBB243_380
; %bb.363:
	s_or_b64 exec, exec, s[8:9]
	s_and_saveexec_b64 s[4:5], vcc
	s_xor_b64 s[4:5], exec, s[4:5]
	s_cbranch_execnz .LBB243_401
.LBB243_364:
	s_or_b64 exec, exec, s[4:5]
	v_cmp_lt_i32_e32 vcc, v12, v7
	s_and_saveexec_b64 s[4:5], vcc
	s_cbranch_execnz .LBB243_402
.LBB243_365:
	s_or_b64 exec, exec, s[4:5]
	v_cmp_lt_i32_e32 vcc, v12, v7
	s_and_saveexec_b64 s[4:5], vcc
	s_cbranch_execnz .LBB243_403
.LBB243_366:
	s_or_b64 exec, exec, s[4:5]
	v_cmp_lt_i32_e32 vcc, v12, v7
	s_and_saveexec_b64 s[4:5], vcc
	s_cbranch_execnz .LBB243_404
.LBB243_367:
	s_or_b64 exec, exec, s[4:5]
	v_cmp_lt_i32_e32 vcc, v12, v7
	s_and_saveexec_b64 s[4:5], vcc
	s_cbranch_execnz .LBB243_405
.LBB243_368:
	s_or_b64 exec, exec, s[4:5]
	v_cmp_lt_i32_e32 vcc, v12, v7
	s_and_saveexec_b64 s[4:5], vcc
	s_cbranch_execnz .LBB243_406
.LBB243_369:
	s_or_b64 exec, exec, s[4:5]
	v_cmp_lt_i32_e32 vcc, v12, v7
	s_and_saveexec_b64 s[4:5], vcc
	s_cbranch_execnz .LBB243_407
.LBB243_370:
	s_or_b64 exec, exec, s[4:5]
	v_cmp_lt_i32_e32 vcc, v12, v7
	s_and_saveexec_b64 s[4:5], vcc
	s_cbranch_execnz .LBB243_408
.LBB243_371:
	s_or_b64 exec, exec, s[4:5]
	v_cmp_lt_i32_e32 vcc, v12, v7
	s_and_saveexec_b64 s[4:5], vcc
	s_cbranch_execnz .LBB243_409
.LBB243_372:
	s_or_b64 exec, exec, s[4:5]
	v_cmp_lt_i32_e32 vcc, v12, v7
	s_and_saveexec_b64 s[4:5], vcc
	s_cbranch_execnz .LBB243_410
.LBB243_373:
	s_or_b64 exec, exec, s[4:5]
	v_cmp_lt_i32_e32 vcc, v12, v7
	s_and_saveexec_b64 s[4:5], vcc
	s_cbranch_execnz .LBB243_411
.LBB243_374:
	s_or_b64 exec, exec, s[4:5]
	v_cmp_lt_i32_e32 vcc, v12, v7
	s_and_saveexec_b64 s[4:5], vcc
	s_cbranch_execnz .LBB243_412
.LBB243_375:
	s_or_b64 exec, exec, s[4:5]
	v_cmp_lt_i32_e32 vcc, v12, v7
	s_and_saveexec_b64 s[4:5], vcc
	s_cbranch_execnz .LBB243_413
.LBB243_376:
	s_or_b64 exec, exec, s[4:5]
	v_cmp_lt_i32_e32 vcc, v12, v7
	s_and_saveexec_b64 s[4:5], vcc
	s_cbranch_execnz .LBB243_414
.LBB243_377:
	s_or_b64 exec, exec, s[4:5]
	v_cmp_lt_i32_e32 vcc, v12, v7
	s_and_saveexec_b64 s[4:5], vcc
	s_cbranch_execnz .LBB243_415
.LBB243_378:
	s_or_b64 exec, exec, s[4:5]
	v_cmp_lt_i32_e32 vcc, v12, v7
	s_and_saveexec_b64 s[4:5], vcc
	s_cbranch_execnz .LBB243_416
.LBB243_379:
	s_or_b64 exec, exec, s[4:5]
	s_waitcnt vmcnt(0) lgkmcnt(0)
	s_setpc_b64 s[30:31]
.LBB243_380:
                                        ; implicit-def: $sgpr6_sgpr7
	s_and_saveexec_b64 s[10:11], s[4:5]
	s_xor_b64 s[10:11], exec, s[10:11]
	s_cbranch_execz .LBB243_390
; %bb.381:
	s_movk_i32 s4, 0x7f
	s_waitcnt vmcnt(0) lgkmcnt(0)
	v_cmp_gt_i16_sdwa s[6:7], v16, s4 src0_sel:BYTE_0 src1_sel:DWORD
	s_mov_b64 s[4:5], 0
	s_and_saveexec_b64 s[12:13], s[6:7]
	s_xor_b64 s[6:7], exec, s[12:13]
	s_cbranch_execnz .LBB243_657
; %bb.382:
	s_or_saveexec_b64 s[6:7], s[6:7]
	v_mov_b32_e32 v6, 0x7f800001
	s_xor_b64 exec, exec, s[6:7]
	s_cbranch_execnz .LBB243_660
.LBB243_383:
	s_or_b64 exec, exec, s[6:7]
	s_and_saveexec_b64 s[6:7], s[4:5]
	s_cbranch_execz .LBB243_385
.LBB243_384:
	v_and_b32_e32 v8, 3, v16
	v_ffbh_u32_e32 v9, v8
	v_min_u32_e32 v9, 32, v9
	v_lshrrev_b16_e32 v6, 2, v16
	v_subrev_u32_e32 v10, 29, v9
	v_and_b32_e32 v6, 31, v6
	v_lshlrev_b32_e32 v10, v10, v16
	v_sub_u32_e32 v9, 30, v9
	v_and_b32_e32 v10, 3, v10
	v_cmp_eq_u32_e64 s[4:5], 0, v6
	v_cndmask_b32_e64 v6, v6, v9, s[4:5]
	v_cndmask_b32_e64 v8, v8, v10, s[4:5]
	v_lshlrev_b32_e32 v9, 24, v16
	v_mov_b32_e32 v10, 0x37800000
	v_lshlrev_b32_e32 v8, 21, v8
	v_and_b32_e32 v9, 0x80000000, v9
	v_lshl_add_u32 v6, v6, 23, v10
	v_or3_b32 v6, v9, v6, v8
.LBB243_385:
	s_or_b64 exec, exec, s[6:7]
	s_movk_i32 s4, 0x7f
	v_cmp_gt_i16_sdwa s[6:7], v15, s4 src0_sel:BYTE_0 src1_sel:DWORD
	s_mov_b64 s[4:5], 0
	s_and_saveexec_b64 s[12:13], s[6:7]
	s_xor_b64 s[6:7], exec, s[12:13]
	s_cbranch_execnz .LBB243_661
; %bb.386:
	s_or_saveexec_b64 s[6:7], s[6:7]
	v_mov_b32_e32 v8, 0x7f800001
	s_xor_b64 exec, exec, s[6:7]
	s_cbranch_execnz .LBB243_664
.LBB243_387:
	s_or_b64 exec, exec, s[6:7]
	s_and_saveexec_b64 s[6:7], s[4:5]
	s_cbranch_execz .LBB243_389
.LBB243_388:
	v_and_b32_e32 v9, 3, v15
	v_ffbh_u32_e32 v10, v9
	v_min_u32_e32 v10, 32, v10
	v_lshrrev_b16_e32 v8, 2, v15
	v_subrev_u32_e32 v11, 29, v10
	v_and_b32_e32 v8, 31, v8
	v_lshlrev_b32_e32 v11, v11, v15
	v_sub_u32_e32 v10, 30, v10
	v_and_b32_e32 v11, 3, v11
	v_cmp_eq_u32_e64 s[4:5], 0, v8
	v_cndmask_b32_e64 v8, v8, v10, s[4:5]
	v_cndmask_b32_e64 v9, v9, v11, s[4:5]
	v_lshlrev_b32_e32 v10, 24, v15
	v_mov_b32_e32 v11, 0x37800000
	v_lshlrev_b32_e32 v9, 21, v9
	v_and_b32_e32 v10, 0x80000000, v10
	v_lshl_add_u32 v8, v8, 23, v11
	v_or3_b32 v8, v10, v8, v9
.LBB243_389:
	s_or_b64 exec, exec, s[6:7]
	v_cmp_neq_f32_e64 s[6:7], v6, v8
                                        ; implicit-def: $vgpr15
                                        ; implicit-def: $vgpr16
.LBB243_390:
	s_andn2_saveexec_b64 s[10:11], s[10:11]
	s_cbranch_execz .LBB243_400
; %bb.391:
	s_movk_i32 s4, 0x7f
	s_waitcnt vmcnt(0) lgkmcnt(0)
	v_cmp_gt_i16_sdwa s[12:13], v16, s4 src0_sel:BYTE_0 src1_sel:DWORD
	s_mov_b64 s[4:5], 0
	s_and_saveexec_b64 s[14:15], s[12:13]
	s_xor_b64 s[12:13], exec, s[14:15]
	s_cbranch_execnz .LBB243_665
; %bb.392:
	s_or_saveexec_b64 s[12:13], s[12:13]
	v_mov_b32_e32 v6, 0x7f800001
	s_xor_b64 exec, exec, s[12:13]
	s_cbranch_execnz .LBB243_668
.LBB243_393:
	s_or_b64 exec, exec, s[12:13]
	s_and_saveexec_b64 s[12:13], s[4:5]
	s_cbranch_execz .LBB243_395
.LBB243_394:
	v_and_b32_e32 v8, 3, v16
	v_ffbh_u32_e32 v9, v8
	v_min_u32_e32 v9, 32, v9
	v_lshrrev_b16_e32 v6, 2, v16
	v_subrev_u32_e32 v10, 29, v9
	v_and_b32_e32 v6, 31, v6
	v_lshlrev_b32_e32 v10, v10, v16
	v_sub_u32_e32 v9, 30, v9
	v_and_b32_e32 v10, 3, v10
	v_cmp_eq_u32_e64 s[4:5], 0, v6
	v_cndmask_b32_e64 v6, v6, v9, s[4:5]
	v_cndmask_b32_e64 v8, v8, v10, s[4:5]
	v_lshlrev_b32_e32 v9, 24, v16
	v_mov_b32_e32 v10, 0x37800000
	v_lshlrev_b32_e32 v8, 21, v8
	v_and_b32_e32 v9, 0x80000000, v9
	v_lshl_add_u32 v6, v6, 23, v10
	v_or3_b32 v6, v9, v6, v8
.LBB243_395:
	s_or_b64 exec, exec, s[12:13]
	s_movk_i32 s4, 0x7f
	v_cmp_gt_i16_sdwa s[12:13], v15, s4 src0_sel:BYTE_0 src1_sel:DWORD
	s_mov_b64 s[4:5], 0
	s_and_saveexec_b64 s[14:15], s[12:13]
	s_xor_b64 s[12:13], exec, s[14:15]
	s_cbranch_execnz .LBB243_669
; %bb.396:
	s_or_saveexec_b64 s[12:13], s[12:13]
	v_mov_b32_e32 v8, 0x7f800001
	s_xor_b64 exec, exec, s[12:13]
	s_cbranch_execnz .LBB243_672
.LBB243_397:
	s_or_b64 exec, exec, s[12:13]
	s_and_saveexec_b64 s[12:13], s[4:5]
	s_cbranch_execz .LBB243_399
.LBB243_398:
	v_and_b32_e32 v9, 3, v15
	v_ffbh_u32_e32 v10, v9
	v_min_u32_e32 v10, 32, v10
	v_lshrrev_b16_e32 v8, 2, v15
	v_subrev_u32_e32 v11, 29, v10
	v_and_b32_e32 v8, 31, v8
	v_lshlrev_b32_e32 v11, v11, v15
	v_sub_u32_e32 v10, 30, v10
	v_and_b32_e32 v11, 3, v11
	v_cmp_eq_u32_e64 s[4:5], 0, v8
	v_cndmask_b32_e64 v8, v8, v10, s[4:5]
	v_cndmask_b32_e64 v9, v9, v11, s[4:5]
	v_lshlrev_b32_e32 v10, 24, v15
	v_mov_b32_e32 v11, 0x37800000
	v_lshlrev_b32_e32 v9, 21, v9
	v_and_b32_e32 v10, 0x80000000, v10
	v_lshl_add_u32 v8, v8, 23, v11
	v_or3_b32 v8, v10, v8, v9
.LBB243_399:
	s_or_b64 exec, exec, s[12:13]
	v_cmp_eq_f32_e64 s[4:5], v6, v8
	s_andn2_b64 s[6:7], s[6:7], exec
	s_and_b64 s[4:5], s[4:5], exec
	s_or_b64 s[6:7], s[6:7], s[4:5]
.LBB243_400:
	s_or_b64 exec, exec, s[10:11]
	s_movk_i32 s4, 0xff
	v_cndmask_b32_e64 v8, 0, 1, s[6:7]
	v_and_b32_sdwa v6, v0, s4 dst_sel:DWORD dst_unused:UNUSED_PAD src0_sel:WORD_1 src1_sel:DWORD
	v_lshlrev_b16_e32 v8, 8, v8
	v_or_b32_sdwa v6, v6, v8 dst_sel:WORD_1 dst_unused:UNUSED_PAD src0_sel:DWORD src1_sel:DWORD
	s_mov_b32 s4, 0xffff
	v_and_or_b32 v0, v0, s4, v6
	s_or_b64 exec, exec, s[8:9]
	s_and_saveexec_b64 s[4:5], vcc
	s_xor_b64 s[4:5], exec, s[4:5]
	s_cbranch_execz .LBB243_364
.LBB243_401:
	v_add_co_u32_e32 v8, vcc, v1, v13
	v_addc_co_u32_e32 v9, vcc, 0, v2, vcc
	v_mov_b32_e32 v12, v5
	flat_store_byte v[8:9], v14
	s_or_b64 exec, exec, s[4:5]
	v_cmp_lt_i32_e32 vcc, v12, v7
	s_and_saveexec_b64 s[4:5], vcc
	s_cbranch_execz .LBB243_365
.LBB243_402:
	v_add_u32_e32 v5, s56, v12
	v_add_co_u32_e32 v5, vcc, v1, v5
	v_lshrrev_b32_e32 v8, 8, v14
	v_addc_co_u32_e32 v6, vcc, 0, v2, vcc
	v_add_u32_e32 v12, 0x100, v12
	flat_store_byte v[5:6], v8
	s_or_b64 exec, exec, s[4:5]
	v_cmp_lt_i32_e32 vcc, v12, v7
	s_and_saveexec_b64 s[4:5], vcc
	s_cbranch_execz .LBB243_366
.LBB243_403:
	v_add_u32_e32 v5, s56, v12
	v_add_co_u32_e32 v5, vcc, v1, v5
	v_addc_co_u32_e32 v6, vcc, 0, v2, vcc
	v_add_u32_e32 v12, 0x100, v12
	flat_store_byte_d16_hi v[5:6], v14
	s_or_b64 exec, exec, s[4:5]
	v_cmp_lt_i32_e32 vcc, v12, v7
	s_and_saveexec_b64 s[4:5], vcc
	s_cbranch_execz .LBB243_367
.LBB243_404:
	v_add_u32_e32 v5, s56, v12
	v_add_co_u32_e32 v5, vcc, v1, v5
	v_lshrrev_b32_e32 v8, 24, v14
	v_addc_co_u32_e32 v6, vcc, 0, v2, vcc
	v_add_u32_e32 v12, 0x100, v12
	flat_store_byte v[5:6], v8
	s_or_b64 exec, exec, s[4:5]
	v_cmp_lt_i32_e32 vcc, v12, v7
	s_and_saveexec_b64 s[4:5], vcc
	s_cbranch_execz .LBB243_368
.LBB243_405:
	v_add_u32_e32 v5, s56, v12
	v_add_co_u32_e32 v5, vcc, v1, v5
	v_addc_co_u32_e32 v6, vcc, 0, v2, vcc
	v_add_u32_e32 v12, 0x100, v12
	flat_store_byte v[5:6], v4
	s_or_b64 exec, exec, s[4:5]
	v_cmp_lt_i32_e32 vcc, v12, v7
	s_and_saveexec_b64 s[4:5], vcc
	s_cbranch_execz .LBB243_369
.LBB243_406:
	v_add_u32_e32 v5, s56, v12
	v_add_co_u32_e32 v5, vcc, v1, v5
	v_lshrrev_b32_e32 v8, 8, v4
	v_addc_co_u32_e32 v6, vcc, 0, v2, vcc
	v_add_u32_e32 v12, 0x100, v12
	flat_store_byte v[5:6], v8
	s_or_b64 exec, exec, s[4:5]
	v_cmp_lt_i32_e32 vcc, v12, v7
	s_and_saveexec_b64 s[4:5], vcc
	s_cbranch_execz .LBB243_370
.LBB243_407:
	v_add_u32_e32 v5, s56, v12
	v_add_co_u32_e32 v5, vcc, v1, v5
	v_addc_co_u32_e32 v6, vcc, 0, v2, vcc
	v_add_u32_e32 v12, 0x100, v12
	flat_store_byte_d16_hi v[5:6], v4
	s_or_b64 exec, exec, s[4:5]
	v_cmp_lt_i32_e32 vcc, v12, v7
	s_and_saveexec_b64 s[4:5], vcc
	s_cbranch_execz .LBB243_371
.LBB243_408:
	v_lshrrev_b32_e32 v6, 24, v4
	v_add_u32_e32 v4, s56, v12
	v_add_co_u32_e32 v4, vcc, v1, v4
	v_addc_co_u32_e32 v5, vcc, 0, v2, vcc
	v_add_u32_e32 v12, 0x100, v12
	flat_store_byte v[4:5], v6
	s_or_b64 exec, exec, s[4:5]
	v_cmp_lt_i32_e32 vcc, v12, v7
	s_and_saveexec_b64 s[4:5], vcc
	s_cbranch_execz .LBB243_372
.LBB243_409:
	v_add_u32_e32 v4, s56, v12
	v_add_co_u32_e32 v4, vcc, v1, v4
	v_addc_co_u32_e32 v5, vcc, 0, v2, vcc
	v_add_u32_e32 v12, 0x100, v12
	flat_store_byte v[4:5], v3
	s_or_b64 exec, exec, s[4:5]
	v_cmp_lt_i32_e32 vcc, v12, v7
	s_and_saveexec_b64 s[4:5], vcc
	s_cbranch_execz .LBB243_373
.LBB243_410:
	v_add_u32_e32 v4, s56, v12
	v_add_co_u32_e32 v4, vcc, v1, v4
	v_lshrrev_b32_e32 v6, 8, v3
	v_addc_co_u32_e32 v5, vcc, 0, v2, vcc
	v_add_u32_e32 v12, 0x100, v12
	flat_store_byte v[4:5], v6
	s_or_b64 exec, exec, s[4:5]
	v_cmp_lt_i32_e32 vcc, v12, v7
	s_and_saveexec_b64 s[4:5], vcc
	s_cbranch_execz .LBB243_374
.LBB243_411:
	v_add_u32_e32 v4, s56, v12
	v_add_co_u32_e32 v4, vcc, v1, v4
	v_addc_co_u32_e32 v5, vcc, 0, v2, vcc
	v_add_u32_e32 v12, 0x100, v12
	flat_store_byte_d16_hi v[4:5], v3
	s_or_b64 exec, exec, s[4:5]
	v_cmp_lt_i32_e32 vcc, v12, v7
	s_and_saveexec_b64 s[4:5], vcc
	s_cbranch_execz .LBB243_375
.LBB243_412:
	v_lshrrev_b32_e32 v5, 24, v3
	v_add_u32_e32 v3, s56, v12
	v_add_co_u32_e32 v3, vcc, v1, v3
	v_addc_co_u32_e32 v4, vcc, 0, v2, vcc
	v_add_u32_e32 v12, 0x100, v12
	flat_store_byte v[3:4], v5
	s_or_b64 exec, exec, s[4:5]
	v_cmp_lt_i32_e32 vcc, v12, v7
	s_and_saveexec_b64 s[4:5], vcc
	s_cbranch_execz .LBB243_376
.LBB243_413:
	v_add_u32_e32 v3, s56, v12
	v_add_co_u32_e32 v3, vcc, v1, v3
	v_addc_co_u32_e32 v4, vcc, 0, v2, vcc
	v_add_u32_e32 v12, 0x100, v12
	flat_store_byte v[3:4], v0
	s_or_b64 exec, exec, s[4:5]
	v_cmp_lt_i32_e32 vcc, v12, v7
	s_and_saveexec_b64 s[4:5], vcc
	s_cbranch_execz .LBB243_377
.LBB243_414:
	v_add_u32_e32 v3, s56, v12
	v_add_co_u32_e32 v3, vcc, v1, v3
	v_lshrrev_b32_e32 v5, 8, v0
	v_addc_co_u32_e32 v4, vcc, 0, v2, vcc
	v_add_u32_e32 v12, 0x100, v12
	flat_store_byte v[3:4], v5
	s_or_b64 exec, exec, s[4:5]
	v_cmp_lt_i32_e32 vcc, v12, v7
	s_and_saveexec_b64 s[4:5], vcc
	s_cbranch_execz .LBB243_378
.LBB243_415:
	v_add_u32_e32 v3, s56, v12
	v_add_co_u32_e32 v3, vcc, v1, v3
	v_addc_co_u32_e32 v4, vcc, 0, v2, vcc
	v_add_u32_e32 v12, 0x100, v12
	flat_store_byte_d16_hi v[3:4], v0
	s_or_b64 exec, exec, s[4:5]
	v_cmp_lt_i32_e32 vcc, v12, v7
	s_and_saveexec_b64 s[4:5], vcc
	s_cbranch_execz .LBB243_379
.LBB243_416:
	v_lshrrev_b32_e32 v3, 24, v0
	v_add_u32_e32 v0, s56, v12
	v_add_co_u32_e32 v0, vcc, v1, v0
	v_addc_co_u32_e32 v1, vcc, 0, v2, vcc
	flat_store_byte v[0:1], v3
	s_or_b64 exec, exec, s[4:5]
	s_waitcnt vmcnt(0) lgkmcnt(0)
	s_setpc_b64 s[30:31]
.LBB243_417:
	s_movk_i32 s6, 0x80
	v_cmp_eq_u16_sdwa s[16:17], v54, s6 src0_sel:BYTE_0 src1_sel:DWORD
	s_mov_b64 s[6:7], -1
	s_and_saveexec_b64 s[14:15], s[16:17]
; %bb.418:
	s_xor_b64 s[6:7], exec, -1
; %bb.419:
	s_or_b64 exec, exec, s[14:15]
	s_and_b64 s[6:7], s[6:7], exec
	s_or_saveexec_b64 s[10:11], s[10:11]
	v_mov_b32_e32 v0, 0x7f800001
	s_xor_b64 exec, exec, s[10:11]
	s_cbranch_execz .LBB243_36
.LBB243_420:
	v_mov_b32_e32 v0, 0
	v_cmp_ne_u16_sdwa s[14:15], v54, v0 src0_sel:BYTE_0 src1_sel:DWORD
	s_andn2_b64 s[6:7], s[6:7], exec
	s_and_b64 s[14:15], s[14:15], exec
	s_or_b64 s[6:7], s[6:7], s[14:15]
	s_or_b64 exec, exec, s[10:11]
	s_and_saveexec_b64 s[10:11], s[6:7]
	s_cbranch_execnz .LBB243_37
	s_branch .LBB243_38
.LBB243_421:
	s_movk_i32 s6, 0x80
	v_cmp_eq_u16_sdwa s[16:17], v53, s6 src0_sel:BYTE_0 src1_sel:DWORD
	s_mov_b64 s[6:7], -1
	s_and_saveexec_b64 s[14:15], s[16:17]
; %bb.422:
	s_xor_b64 s[6:7], exec, -1
; %bb.423:
	s_or_b64 exec, exec, s[14:15]
	s_and_b64 s[6:7], s[6:7], exec
	s_or_saveexec_b64 s[10:11], s[10:11]
	v_mov_b32_e32 v3, 0x7f800001
	s_xor_b64 exec, exec, s[10:11]
	s_cbranch_execz .LBB243_40
.LBB243_424:
	v_mov_b32_e32 v3, 0
	v_cmp_ne_u16_sdwa s[14:15], v53, v3 src0_sel:BYTE_0 src1_sel:DWORD
	s_andn2_b64 s[6:7], s[6:7], exec
	s_and_b64 s[14:15], s[14:15], exec
	s_or_b64 s[6:7], s[6:7], s[14:15]
	s_or_b64 exec, exec, s[10:11]
	s_and_saveexec_b64 s[10:11], s[6:7]
	s_cbranch_execnz .LBB243_41
	s_branch .LBB243_42
.LBB243_425:
	s_movk_i32 s6, 0x80
	v_cmp_eq_u16_sdwa s[18:19], v54, s6 src0_sel:BYTE_0 src1_sel:DWORD
	s_mov_b64 s[6:7], -1
	s_and_saveexec_b64 s[16:17], s[18:19]
; %bb.426:
	s_xor_b64 s[6:7], exec, -1
; %bb.427:
	s_or_b64 exec, exec, s[16:17]
	s_and_b64 s[6:7], s[6:7], exec
	s_or_saveexec_b64 s[14:15], s[14:15]
	v_mov_b32_e32 v0, 0x7f800001
	s_xor_b64 exec, exec, s[14:15]
	s_cbranch_execz .LBB243_46
.LBB243_428:
	v_mov_b32_e32 v0, 0
	v_cmp_ne_u16_sdwa s[16:17], v54, v0 src0_sel:BYTE_0 src1_sel:DWORD
	s_andn2_b64 s[6:7], s[6:7], exec
	s_and_b64 s[16:17], s[16:17], exec
	s_or_b64 s[6:7], s[6:7], s[16:17]
	s_or_b64 exec, exec, s[14:15]
	s_and_saveexec_b64 s[14:15], s[6:7]
	s_cbranch_execnz .LBB243_47
	s_branch .LBB243_48
.LBB243_429:
	s_movk_i32 s6, 0x80
	v_cmp_eq_u16_sdwa s[18:19], v53, s6 src0_sel:BYTE_0 src1_sel:DWORD
	s_mov_b64 s[6:7], -1
	s_and_saveexec_b64 s[16:17], s[18:19]
; %bb.430:
	s_xor_b64 s[6:7], exec, -1
; %bb.431:
	s_or_b64 exec, exec, s[16:17]
	s_and_b64 s[6:7], s[6:7], exec
	s_or_saveexec_b64 s[14:15], s[14:15]
	v_mov_b32_e32 v3, 0x7f800001
	s_xor_b64 exec, exec, s[14:15]
	s_cbranch_execz .LBB243_50
.LBB243_432:
	v_mov_b32_e32 v3, 0
	v_cmp_ne_u16_sdwa s[16:17], v53, v3 src0_sel:BYTE_0 src1_sel:DWORD
	s_andn2_b64 s[6:7], s[6:7], exec
	s_and_b64 s[16:17], s[16:17], exec
	s_or_b64 s[6:7], s[6:7], s[16:17]
	s_or_b64 exec, exec, s[14:15]
	s_and_saveexec_b64 s[14:15], s[6:7]
	s_cbranch_execnz .LBB243_51
	s_branch .LBB243_52
.LBB243_433:
	s_movk_i32 s6, 0x80
	v_cmp_eq_u16_sdwa s[16:17], v52, s6 src0_sel:BYTE_0 src1_sel:DWORD
	s_mov_b64 s[6:7], -1
	s_and_saveexec_b64 s[14:15], s[16:17]
; %bb.434:
	s_xor_b64 s[6:7], exec, -1
; %bb.435:
	s_or_b64 exec, exec, s[14:15]
	s_and_b64 s[6:7], s[6:7], exec
	s_or_saveexec_b64 s[10:11], s[10:11]
	v_mov_b32_e32 v6, 0x7f800001
	s_xor_b64 exec, exec, s[10:11]
	s_cbranch_execz .LBB243_58
.LBB243_436:
	v_mov_b32_e32 v6, 0
	v_cmp_ne_u16_sdwa s[14:15], v52, v6 src0_sel:BYTE_0 src1_sel:DWORD
	s_andn2_b64 s[6:7], s[6:7], exec
	s_and_b64 s[14:15], s[14:15], exec
	s_or_b64 s[6:7], s[6:7], s[14:15]
	s_or_b64 exec, exec, s[10:11]
	s_and_saveexec_b64 s[10:11], s[6:7]
	s_cbranch_execnz .LBB243_59
	s_branch .LBB243_60
.LBB243_437:
	s_movk_i32 s6, 0x80
	v_cmp_eq_u16_sdwa s[16:17], v51, s6 src0_sel:BYTE_0 src1_sel:DWORD
	s_mov_b64 s[6:7], -1
	s_and_saveexec_b64 s[14:15], s[16:17]
; %bb.438:
	s_xor_b64 s[6:7], exec, -1
; %bb.439:
	s_or_b64 exec, exec, s[14:15]
	s_and_b64 s[6:7], s[6:7], exec
	s_or_saveexec_b64 s[10:11], s[10:11]
	v_mov_b32_e32 v8, 0x7f800001
	s_xor_b64 exec, exec, s[10:11]
	s_cbranch_execz .LBB243_62
.LBB243_440:
	v_mov_b32_e32 v8, 0
	v_cmp_ne_u16_sdwa s[14:15], v51, v8 src0_sel:BYTE_0 src1_sel:DWORD
	s_andn2_b64 s[6:7], s[6:7], exec
	s_and_b64 s[14:15], s[14:15], exec
	s_or_b64 s[6:7], s[6:7], s[14:15]
	s_or_b64 exec, exec, s[10:11]
	s_and_saveexec_b64 s[10:11], s[6:7]
	s_cbranch_execnz .LBB243_63
	s_branch .LBB243_64
.LBB243_441:
	s_movk_i32 s6, 0x80
	v_cmp_eq_u16_sdwa s[18:19], v52, s6 src0_sel:BYTE_0 src1_sel:DWORD
	s_mov_b64 s[6:7], -1
	s_and_saveexec_b64 s[16:17], s[18:19]
; %bb.442:
	s_xor_b64 s[6:7], exec, -1
; %bb.443:
	s_or_b64 exec, exec, s[16:17]
	s_and_b64 s[6:7], s[6:7], exec
	s_or_saveexec_b64 s[14:15], s[14:15]
	v_mov_b32_e32 v6, 0x7f800001
	s_xor_b64 exec, exec, s[14:15]
	s_cbranch_execz .LBB243_68
.LBB243_444:
	v_mov_b32_e32 v6, 0
	v_cmp_ne_u16_sdwa s[16:17], v52, v6 src0_sel:BYTE_0 src1_sel:DWORD
	s_andn2_b64 s[6:7], s[6:7], exec
	s_and_b64 s[16:17], s[16:17], exec
	s_or_b64 s[6:7], s[6:7], s[16:17]
	s_or_b64 exec, exec, s[14:15]
	s_and_saveexec_b64 s[14:15], s[6:7]
	s_cbranch_execnz .LBB243_69
	s_branch .LBB243_70
.LBB243_445:
	s_movk_i32 s6, 0x80
	v_cmp_eq_u16_sdwa s[18:19], v51, s6 src0_sel:BYTE_0 src1_sel:DWORD
	s_mov_b64 s[6:7], -1
	s_and_saveexec_b64 s[16:17], s[18:19]
; %bb.446:
	s_xor_b64 s[6:7], exec, -1
; %bb.447:
	s_or_b64 exec, exec, s[16:17]
	s_and_b64 s[6:7], s[6:7], exec
	s_or_saveexec_b64 s[14:15], s[14:15]
	v_mov_b32_e32 v8, 0x7f800001
	s_xor_b64 exec, exec, s[14:15]
	s_cbranch_execz .LBB243_72
.LBB243_448:
	v_mov_b32_e32 v8, 0
	v_cmp_ne_u16_sdwa s[16:17], v51, v8 src0_sel:BYTE_0 src1_sel:DWORD
	s_andn2_b64 s[6:7], s[6:7], exec
	s_and_b64 s[16:17], s[16:17], exec
	s_or_b64 s[6:7], s[6:7], s[16:17]
	s_or_b64 exec, exec, s[14:15]
	s_and_saveexec_b64 s[14:15], s[6:7]
	s_cbranch_execnz .LBB243_73
	s_branch .LBB243_74
.LBB243_449:
	s_movk_i32 s6, 0x80
	v_cmp_eq_u16_sdwa s[16:17], v50, s6 src0_sel:BYTE_0 src1_sel:DWORD
	s_mov_b64 s[6:7], -1
	s_and_saveexec_b64 s[14:15], s[16:17]
; %bb.450:
	s_xor_b64 s[6:7], exec, -1
; %bb.451:
	s_or_b64 exec, exec, s[14:15]
	s_and_b64 s[6:7], s[6:7], exec
	s_or_saveexec_b64 s[10:11], s[10:11]
	v_mov_b32_e32 v6, 0x7f800001
	s_xor_b64 exec, exec, s[10:11]
	s_cbranch_execz .LBB243_80
.LBB243_452:
	v_mov_b32_e32 v6, 0
	v_cmp_ne_u16_sdwa s[14:15], v50, v6 src0_sel:BYTE_0 src1_sel:DWORD
	s_andn2_b64 s[6:7], s[6:7], exec
	s_and_b64 s[14:15], s[14:15], exec
	s_or_b64 s[6:7], s[6:7], s[14:15]
	s_or_b64 exec, exec, s[10:11]
	s_and_saveexec_b64 s[10:11], s[6:7]
	s_cbranch_execnz .LBB243_81
	s_branch .LBB243_82
.LBB243_453:
	s_movk_i32 s6, 0x80
	v_cmp_eq_u16_sdwa s[16:17], v49, s6 src0_sel:BYTE_0 src1_sel:DWORD
	s_mov_b64 s[6:7], -1
	s_and_saveexec_b64 s[14:15], s[16:17]
; %bb.454:
	s_xor_b64 s[6:7], exec, -1
; %bb.455:
	s_or_b64 exec, exec, s[14:15]
	s_and_b64 s[6:7], s[6:7], exec
	s_or_saveexec_b64 s[10:11], s[10:11]
	v_mov_b32_e32 v8, 0x7f800001
	s_xor_b64 exec, exec, s[10:11]
	s_cbranch_execz .LBB243_84
.LBB243_456:
	v_mov_b32_e32 v8, 0
	v_cmp_ne_u16_sdwa s[14:15], v49, v8 src0_sel:BYTE_0 src1_sel:DWORD
	s_andn2_b64 s[6:7], s[6:7], exec
	s_and_b64 s[14:15], s[14:15], exec
	s_or_b64 s[6:7], s[6:7], s[14:15]
	s_or_b64 exec, exec, s[10:11]
	s_and_saveexec_b64 s[10:11], s[6:7]
	s_cbranch_execnz .LBB243_85
	s_branch .LBB243_86
.LBB243_457:
	s_movk_i32 s6, 0x80
	v_cmp_eq_u16_sdwa s[18:19], v50, s6 src0_sel:BYTE_0 src1_sel:DWORD
	s_mov_b64 s[6:7], -1
	s_and_saveexec_b64 s[16:17], s[18:19]
; %bb.458:
	s_xor_b64 s[6:7], exec, -1
; %bb.459:
	s_or_b64 exec, exec, s[16:17]
	s_and_b64 s[6:7], s[6:7], exec
	s_or_saveexec_b64 s[14:15], s[14:15]
	v_mov_b32_e32 v6, 0x7f800001
	s_xor_b64 exec, exec, s[14:15]
	s_cbranch_execz .LBB243_90
.LBB243_460:
	v_mov_b32_e32 v6, 0
	v_cmp_ne_u16_sdwa s[16:17], v50, v6 src0_sel:BYTE_0 src1_sel:DWORD
	s_andn2_b64 s[6:7], s[6:7], exec
	s_and_b64 s[16:17], s[16:17], exec
	s_or_b64 s[6:7], s[6:7], s[16:17]
	s_or_b64 exec, exec, s[14:15]
	s_and_saveexec_b64 s[14:15], s[6:7]
	s_cbranch_execnz .LBB243_91
	s_branch .LBB243_92
.LBB243_461:
	s_movk_i32 s6, 0x80
	v_cmp_eq_u16_sdwa s[18:19], v49, s6 src0_sel:BYTE_0 src1_sel:DWORD
	s_mov_b64 s[6:7], -1
	s_and_saveexec_b64 s[16:17], s[18:19]
; %bb.462:
	s_xor_b64 s[6:7], exec, -1
; %bb.463:
	s_or_b64 exec, exec, s[16:17]
	s_and_b64 s[6:7], s[6:7], exec
	s_or_saveexec_b64 s[14:15], s[14:15]
	v_mov_b32_e32 v8, 0x7f800001
	s_xor_b64 exec, exec, s[14:15]
	s_cbranch_execz .LBB243_94
.LBB243_464:
	v_mov_b32_e32 v8, 0
	v_cmp_ne_u16_sdwa s[16:17], v49, v8 src0_sel:BYTE_0 src1_sel:DWORD
	s_andn2_b64 s[6:7], s[6:7], exec
	s_and_b64 s[16:17], s[16:17], exec
	s_or_b64 s[6:7], s[6:7], s[16:17]
	s_or_b64 exec, exec, s[14:15]
	s_and_saveexec_b64 s[14:15], s[6:7]
	s_cbranch_execnz .LBB243_95
	s_branch .LBB243_96
.LBB243_465:
	s_movk_i32 s6, 0x80
	v_cmp_eq_u16_sdwa s[16:17], v48, s6 src0_sel:BYTE_0 src1_sel:DWORD
	s_mov_b64 s[6:7], -1
	s_and_saveexec_b64 s[14:15], s[16:17]
; %bb.466:
	s_xor_b64 s[6:7], exec, -1
; %bb.467:
	s_or_b64 exec, exec, s[14:15]
	s_and_b64 s[6:7], s[6:7], exec
	s_or_saveexec_b64 s[10:11], s[10:11]
	v_mov_b32_e32 v6, 0x7f800001
	s_xor_b64 exec, exec, s[10:11]
	s_cbranch_execz .LBB243_102
.LBB243_468:
	v_mov_b32_e32 v6, 0
	v_cmp_ne_u16_sdwa s[14:15], v48, v6 src0_sel:BYTE_0 src1_sel:DWORD
	s_andn2_b64 s[6:7], s[6:7], exec
	s_and_b64 s[14:15], s[14:15], exec
	s_or_b64 s[6:7], s[6:7], s[14:15]
	s_or_b64 exec, exec, s[10:11]
	s_and_saveexec_b64 s[10:11], s[6:7]
	s_cbranch_execnz .LBB243_103
	s_branch .LBB243_104
.LBB243_469:
	s_movk_i32 s6, 0x80
	v_cmp_eq_u16_sdwa s[16:17], v39, s6 src0_sel:BYTE_0 src1_sel:DWORD
	s_mov_b64 s[6:7], -1
	s_and_saveexec_b64 s[14:15], s[16:17]
; %bb.470:
	s_xor_b64 s[6:7], exec, -1
; %bb.471:
	s_or_b64 exec, exec, s[14:15]
	s_and_b64 s[6:7], s[6:7], exec
	s_or_saveexec_b64 s[10:11], s[10:11]
	v_mov_b32_e32 v8, 0x7f800001
	s_xor_b64 exec, exec, s[10:11]
	s_cbranch_execz .LBB243_106
.LBB243_472:
	v_mov_b32_e32 v8, 0
	v_cmp_ne_u16_sdwa s[14:15], v39, v8 src0_sel:BYTE_0 src1_sel:DWORD
	s_andn2_b64 s[6:7], s[6:7], exec
	s_and_b64 s[14:15], s[14:15], exec
	s_or_b64 s[6:7], s[6:7], s[14:15]
	s_or_b64 exec, exec, s[10:11]
	s_and_saveexec_b64 s[10:11], s[6:7]
	s_cbranch_execnz .LBB243_107
	s_branch .LBB243_108
.LBB243_473:
	s_movk_i32 s6, 0x80
	v_cmp_eq_u16_sdwa s[18:19], v48, s6 src0_sel:BYTE_0 src1_sel:DWORD
	s_mov_b64 s[6:7], -1
	s_and_saveexec_b64 s[16:17], s[18:19]
; %bb.474:
	s_xor_b64 s[6:7], exec, -1
; %bb.475:
	s_or_b64 exec, exec, s[16:17]
	s_and_b64 s[6:7], s[6:7], exec
	s_or_saveexec_b64 s[14:15], s[14:15]
	v_mov_b32_e32 v6, 0x7f800001
	s_xor_b64 exec, exec, s[14:15]
	s_cbranch_execz .LBB243_112
.LBB243_476:
	v_mov_b32_e32 v6, 0
	v_cmp_ne_u16_sdwa s[16:17], v48, v6 src0_sel:BYTE_0 src1_sel:DWORD
	s_andn2_b64 s[6:7], s[6:7], exec
	s_and_b64 s[16:17], s[16:17], exec
	s_or_b64 s[6:7], s[6:7], s[16:17]
	s_or_b64 exec, exec, s[14:15]
	s_and_saveexec_b64 s[14:15], s[6:7]
	s_cbranch_execnz .LBB243_113
	s_branch .LBB243_114
.LBB243_477:
	s_movk_i32 s6, 0x80
	v_cmp_eq_u16_sdwa s[18:19], v39, s6 src0_sel:BYTE_0 src1_sel:DWORD
	s_mov_b64 s[6:7], -1
	s_and_saveexec_b64 s[16:17], s[18:19]
; %bb.478:
	s_xor_b64 s[6:7], exec, -1
; %bb.479:
	s_or_b64 exec, exec, s[16:17]
	s_and_b64 s[6:7], s[6:7], exec
	s_or_saveexec_b64 s[14:15], s[14:15]
	v_mov_b32_e32 v8, 0x7f800001
	s_xor_b64 exec, exec, s[14:15]
	s_cbranch_execz .LBB243_116
.LBB243_480:
	v_mov_b32_e32 v8, 0
	v_cmp_ne_u16_sdwa s[16:17], v39, v8 src0_sel:BYTE_0 src1_sel:DWORD
	s_andn2_b64 s[6:7], s[6:7], exec
	s_and_b64 s[16:17], s[16:17], exec
	s_or_b64 s[6:7], s[6:7], s[16:17]
	s_or_b64 exec, exec, s[14:15]
	s_and_saveexec_b64 s[14:15], s[6:7]
	s_cbranch_execnz .LBB243_117
	s_branch .LBB243_118
.LBB243_481:
	s_movk_i32 s6, 0x80
	v_cmp_eq_u16_sdwa s[16:17], v38, s6 src0_sel:BYTE_0 src1_sel:DWORD
	s_mov_b64 s[6:7], -1
	s_and_saveexec_b64 s[14:15], s[16:17]
; %bb.482:
	s_xor_b64 s[6:7], exec, -1
; %bb.483:
	s_or_b64 exec, exec, s[14:15]
	s_and_b64 s[6:7], s[6:7], exec
	s_or_saveexec_b64 s[10:11], s[10:11]
	v_mov_b32_e32 v6, 0x7f800001
	s_xor_b64 exec, exec, s[10:11]
	s_cbranch_execz .LBB243_124
.LBB243_484:
	v_mov_b32_e32 v6, 0
	v_cmp_ne_u16_sdwa s[14:15], v38, v6 src0_sel:BYTE_0 src1_sel:DWORD
	s_andn2_b64 s[6:7], s[6:7], exec
	s_and_b64 s[14:15], s[14:15], exec
	s_or_b64 s[6:7], s[6:7], s[14:15]
	s_or_b64 exec, exec, s[10:11]
	s_and_saveexec_b64 s[10:11], s[6:7]
	s_cbranch_execnz .LBB243_125
	s_branch .LBB243_126
.LBB243_485:
	s_movk_i32 s6, 0x80
	v_cmp_eq_u16_sdwa s[16:17], v37, s6 src0_sel:BYTE_0 src1_sel:DWORD
	s_mov_b64 s[6:7], -1
	s_and_saveexec_b64 s[14:15], s[16:17]
; %bb.486:
	s_xor_b64 s[6:7], exec, -1
; %bb.487:
	s_or_b64 exec, exec, s[14:15]
	s_and_b64 s[6:7], s[6:7], exec
	s_or_saveexec_b64 s[10:11], s[10:11]
	v_mov_b32_e32 v8, 0x7f800001
	s_xor_b64 exec, exec, s[10:11]
	s_cbranch_execz .LBB243_128
.LBB243_488:
	v_mov_b32_e32 v8, 0
	v_cmp_ne_u16_sdwa s[14:15], v37, v8 src0_sel:BYTE_0 src1_sel:DWORD
	s_andn2_b64 s[6:7], s[6:7], exec
	s_and_b64 s[14:15], s[14:15], exec
	s_or_b64 s[6:7], s[6:7], s[14:15]
	s_or_b64 exec, exec, s[10:11]
	s_and_saveexec_b64 s[10:11], s[6:7]
	s_cbranch_execnz .LBB243_129
	s_branch .LBB243_130
.LBB243_489:
	s_movk_i32 s6, 0x80
	v_cmp_eq_u16_sdwa s[18:19], v38, s6 src0_sel:BYTE_0 src1_sel:DWORD
	s_mov_b64 s[6:7], -1
	s_and_saveexec_b64 s[16:17], s[18:19]
; %bb.490:
	s_xor_b64 s[6:7], exec, -1
; %bb.491:
	s_or_b64 exec, exec, s[16:17]
	s_and_b64 s[6:7], s[6:7], exec
	s_or_saveexec_b64 s[14:15], s[14:15]
	v_mov_b32_e32 v6, 0x7f800001
	s_xor_b64 exec, exec, s[14:15]
	s_cbranch_execz .LBB243_134
.LBB243_492:
	v_mov_b32_e32 v6, 0
	v_cmp_ne_u16_sdwa s[16:17], v38, v6 src0_sel:BYTE_0 src1_sel:DWORD
	s_andn2_b64 s[6:7], s[6:7], exec
	s_and_b64 s[16:17], s[16:17], exec
	s_or_b64 s[6:7], s[6:7], s[16:17]
	s_or_b64 exec, exec, s[14:15]
	s_and_saveexec_b64 s[14:15], s[6:7]
	s_cbranch_execnz .LBB243_135
	s_branch .LBB243_136
.LBB243_493:
	s_movk_i32 s6, 0x80
	v_cmp_eq_u16_sdwa s[18:19], v37, s6 src0_sel:BYTE_0 src1_sel:DWORD
	s_mov_b64 s[6:7], -1
	s_and_saveexec_b64 s[16:17], s[18:19]
; %bb.494:
	s_xor_b64 s[6:7], exec, -1
; %bb.495:
	s_or_b64 exec, exec, s[16:17]
	s_and_b64 s[6:7], s[6:7], exec
	s_or_saveexec_b64 s[14:15], s[14:15]
	v_mov_b32_e32 v8, 0x7f800001
	s_xor_b64 exec, exec, s[14:15]
	s_cbranch_execz .LBB243_138
.LBB243_496:
	v_mov_b32_e32 v8, 0
	v_cmp_ne_u16_sdwa s[16:17], v37, v8 src0_sel:BYTE_0 src1_sel:DWORD
	s_andn2_b64 s[6:7], s[6:7], exec
	s_and_b64 s[16:17], s[16:17], exec
	s_or_b64 s[6:7], s[6:7], s[16:17]
	s_or_b64 exec, exec, s[14:15]
	s_and_saveexec_b64 s[14:15], s[6:7]
	s_cbranch_execnz .LBB243_139
	s_branch .LBB243_140
.LBB243_497:
	s_movk_i32 s6, 0x80
	v_cmp_eq_u16_sdwa s[16:17], v36, s6 src0_sel:BYTE_0 src1_sel:DWORD
	s_mov_b64 s[6:7], -1
	s_and_saveexec_b64 s[14:15], s[16:17]
; %bb.498:
	s_xor_b64 s[6:7], exec, -1
; %bb.499:
	s_or_b64 exec, exec, s[14:15]
	s_and_b64 s[6:7], s[6:7], exec
	s_or_saveexec_b64 s[10:11], s[10:11]
	v_mov_b32_e32 v6, 0x7f800001
	s_xor_b64 exec, exec, s[10:11]
	s_cbranch_execz .LBB243_146
.LBB243_500:
	v_mov_b32_e32 v6, 0
	v_cmp_ne_u16_sdwa s[14:15], v36, v6 src0_sel:BYTE_0 src1_sel:DWORD
	s_andn2_b64 s[6:7], s[6:7], exec
	s_and_b64 s[14:15], s[14:15], exec
	s_or_b64 s[6:7], s[6:7], s[14:15]
	s_or_b64 exec, exec, s[10:11]
	s_and_saveexec_b64 s[10:11], s[6:7]
	s_cbranch_execnz .LBB243_147
	s_branch .LBB243_148
.LBB243_501:
	s_movk_i32 s6, 0x80
	v_cmp_eq_u16_sdwa s[16:17], v35, s6 src0_sel:BYTE_0 src1_sel:DWORD
	s_mov_b64 s[6:7], -1
	s_and_saveexec_b64 s[14:15], s[16:17]
; %bb.502:
	s_xor_b64 s[6:7], exec, -1
; %bb.503:
	s_or_b64 exec, exec, s[14:15]
	s_and_b64 s[6:7], s[6:7], exec
	s_or_saveexec_b64 s[10:11], s[10:11]
	v_mov_b32_e32 v8, 0x7f800001
	s_xor_b64 exec, exec, s[10:11]
	s_cbranch_execz .LBB243_150
.LBB243_504:
	v_mov_b32_e32 v8, 0
	v_cmp_ne_u16_sdwa s[14:15], v35, v8 src0_sel:BYTE_0 src1_sel:DWORD
	s_andn2_b64 s[6:7], s[6:7], exec
	s_and_b64 s[14:15], s[14:15], exec
	s_or_b64 s[6:7], s[6:7], s[14:15]
	s_or_b64 exec, exec, s[10:11]
	s_and_saveexec_b64 s[10:11], s[6:7]
	s_cbranch_execnz .LBB243_151
	s_branch .LBB243_152
.LBB243_505:
	s_movk_i32 s6, 0x80
	v_cmp_eq_u16_sdwa s[18:19], v36, s6 src0_sel:BYTE_0 src1_sel:DWORD
	s_mov_b64 s[6:7], -1
	s_and_saveexec_b64 s[16:17], s[18:19]
; %bb.506:
	s_xor_b64 s[6:7], exec, -1
; %bb.507:
	s_or_b64 exec, exec, s[16:17]
	s_and_b64 s[6:7], s[6:7], exec
	s_or_saveexec_b64 s[14:15], s[14:15]
	v_mov_b32_e32 v6, 0x7f800001
	s_xor_b64 exec, exec, s[14:15]
	s_cbranch_execz .LBB243_156
.LBB243_508:
	v_mov_b32_e32 v6, 0
	v_cmp_ne_u16_sdwa s[16:17], v36, v6 src0_sel:BYTE_0 src1_sel:DWORD
	s_andn2_b64 s[6:7], s[6:7], exec
	s_and_b64 s[16:17], s[16:17], exec
	s_or_b64 s[6:7], s[6:7], s[16:17]
	s_or_b64 exec, exec, s[14:15]
	s_and_saveexec_b64 s[14:15], s[6:7]
	s_cbranch_execnz .LBB243_157
	s_branch .LBB243_158
.LBB243_509:
	s_movk_i32 s6, 0x80
	v_cmp_eq_u16_sdwa s[18:19], v35, s6 src0_sel:BYTE_0 src1_sel:DWORD
	s_mov_b64 s[6:7], -1
	s_and_saveexec_b64 s[16:17], s[18:19]
; %bb.510:
	s_xor_b64 s[6:7], exec, -1
; %bb.511:
	s_or_b64 exec, exec, s[16:17]
	s_and_b64 s[6:7], s[6:7], exec
	s_or_saveexec_b64 s[14:15], s[14:15]
	v_mov_b32_e32 v8, 0x7f800001
	s_xor_b64 exec, exec, s[14:15]
	s_cbranch_execz .LBB243_160
.LBB243_512:
	v_mov_b32_e32 v8, 0
	v_cmp_ne_u16_sdwa s[16:17], v35, v8 src0_sel:BYTE_0 src1_sel:DWORD
	s_andn2_b64 s[6:7], s[6:7], exec
	s_and_b64 s[16:17], s[16:17], exec
	s_or_b64 s[6:7], s[6:7], s[16:17]
	s_or_b64 exec, exec, s[14:15]
	s_and_saveexec_b64 s[14:15], s[6:7]
	s_cbranch_execnz .LBB243_161
	s_branch .LBB243_162
.LBB243_513:
	s_movk_i32 s6, 0x80
	v_cmp_eq_u16_sdwa s[16:17], v34, s6 src0_sel:BYTE_0 src1_sel:DWORD
	s_mov_b64 s[6:7], -1
	s_and_saveexec_b64 s[14:15], s[16:17]
; %bb.514:
	s_xor_b64 s[6:7], exec, -1
; %bb.515:
	s_or_b64 exec, exec, s[14:15]
	s_and_b64 s[6:7], s[6:7], exec
	s_or_saveexec_b64 s[10:11], s[10:11]
	v_mov_b32_e32 v6, 0x7f800001
	s_xor_b64 exec, exec, s[10:11]
	s_cbranch_execz .LBB243_168
.LBB243_516:
	v_mov_b32_e32 v6, 0
	v_cmp_ne_u16_sdwa s[14:15], v34, v6 src0_sel:BYTE_0 src1_sel:DWORD
	s_andn2_b64 s[6:7], s[6:7], exec
	s_and_b64 s[14:15], s[14:15], exec
	s_or_b64 s[6:7], s[6:7], s[14:15]
	s_or_b64 exec, exec, s[10:11]
	s_and_saveexec_b64 s[10:11], s[6:7]
	s_cbranch_execnz .LBB243_169
	s_branch .LBB243_170
.LBB243_517:
	s_movk_i32 s6, 0x80
	v_cmp_eq_u16_sdwa s[16:17], v33, s6 src0_sel:BYTE_0 src1_sel:DWORD
	s_mov_b64 s[6:7], -1
	s_and_saveexec_b64 s[14:15], s[16:17]
; %bb.518:
	s_xor_b64 s[6:7], exec, -1
; %bb.519:
	s_or_b64 exec, exec, s[14:15]
	s_and_b64 s[6:7], s[6:7], exec
	s_or_saveexec_b64 s[10:11], s[10:11]
	v_mov_b32_e32 v8, 0x7f800001
	s_xor_b64 exec, exec, s[10:11]
	s_cbranch_execz .LBB243_172
.LBB243_520:
	v_mov_b32_e32 v8, 0
	v_cmp_ne_u16_sdwa s[14:15], v33, v8 src0_sel:BYTE_0 src1_sel:DWORD
	s_andn2_b64 s[6:7], s[6:7], exec
	s_and_b64 s[14:15], s[14:15], exec
	s_or_b64 s[6:7], s[6:7], s[14:15]
	s_or_b64 exec, exec, s[10:11]
	s_and_saveexec_b64 s[10:11], s[6:7]
	s_cbranch_execnz .LBB243_173
	s_branch .LBB243_174
.LBB243_521:
	s_movk_i32 s6, 0x80
	v_cmp_eq_u16_sdwa s[18:19], v34, s6 src0_sel:BYTE_0 src1_sel:DWORD
	s_mov_b64 s[6:7], -1
	s_and_saveexec_b64 s[16:17], s[18:19]
; %bb.522:
	s_xor_b64 s[6:7], exec, -1
; %bb.523:
	s_or_b64 exec, exec, s[16:17]
	s_and_b64 s[6:7], s[6:7], exec
	s_or_saveexec_b64 s[14:15], s[14:15]
	v_mov_b32_e32 v6, 0x7f800001
	s_xor_b64 exec, exec, s[14:15]
	s_cbranch_execz .LBB243_178
.LBB243_524:
	v_mov_b32_e32 v6, 0
	v_cmp_ne_u16_sdwa s[16:17], v34, v6 src0_sel:BYTE_0 src1_sel:DWORD
	s_andn2_b64 s[6:7], s[6:7], exec
	s_and_b64 s[16:17], s[16:17], exec
	s_or_b64 s[6:7], s[6:7], s[16:17]
	s_or_b64 exec, exec, s[14:15]
	s_and_saveexec_b64 s[14:15], s[6:7]
	s_cbranch_execnz .LBB243_179
	s_branch .LBB243_180
.LBB243_525:
	s_movk_i32 s6, 0x80
	v_cmp_eq_u16_sdwa s[18:19], v33, s6 src0_sel:BYTE_0 src1_sel:DWORD
	s_mov_b64 s[6:7], -1
	s_and_saveexec_b64 s[16:17], s[18:19]
; %bb.526:
	s_xor_b64 s[6:7], exec, -1
; %bb.527:
	s_or_b64 exec, exec, s[16:17]
	s_and_b64 s[6:7], s[6:7], exec
	s_or_saveexec_b64 s[14:15], s[14:15]
	v_mov_b32_e32 v8, 0x7f800001
	s_xor_b64 exec, exec, s[14:15]
	s_cbranch_execz .LBB243_182
.LBB243_528:
	v_mov_b32_e32 v8, 0
	v_cmp_ne_u16_sdwa s[16:17], v33, v8 src0_sel:BYTE_0 src1_sel:DWORD
	s_andn2_b64 s[6:7], s[6:7], exec
	s_and_b64 s[16:17], s[16:17], exec
	s_or_b64 s[6:7], s[6:7], s[16:17]
	s_or_b64 exec, exec, s[14:15]
	s_and_saveexec_b64 s[14:15], s[6:7]
	s_cbranch_execnz .LBB243_183
	s_branch .LBB243_184
.LBB243_529:
	s_movk_i32 s6, 0x80
	v_cmp_eq_u16_sdwa s[16:17], v32, s6 src0_sel:BYTE_0 src1_sel:DWORD
	s_mov_b64 s[6:7], -1
	s_and_saveexec_b64 s[14:15], s[16:17]
; %bb.530:
	s_xor_b64 s[6:7], exec, -1
; %bb.531:
	s_or_b64 exec, exec, s[14:15]
	s_and_b64 s[6:7], s[6:7], exec
	s_or_saveexec_b64 s[10:11], s[10:11]
	v_mov_b32_e32 v6, 0x7f800001
	s_xor_b64 exec, exec, s[10:11]
	s_cbranch_execz .LBB243_190
.LBB243_532:
	v_mov_b32_e32 v6, 0
	v_cmp_ne_u16_sdwa s[14:15], v32, v6 src0_sel:BYTE_0 src1_sel:DWORD
	s_andn2_b64 s[6:7], s[6:7], exec
	s_and_b64 s[14:15], s[14:15], exec
	s_or_b64 s[6:7], s[6:7], s[14:15]
	s_or_b64 exec, exec, s[10:11]
	s_and_saveexec_b64 s[10:11], s[6:7]
	s_cbranch_execnz .LBB243_191
	s_branch .LBB243_192
.LBB243_533:
	s_movk_i32 s6, 0x80
	v_cmp_eq_u16_sdwa s[16:17], v31, s6 src0_sel:BYTE_0 src1_sel:DWORD
	s_mov_b64 s[6:7], -1
	s_and_saveexec_b64 s[14:15], s[16:17]
; %bb.534:
	s_xor_b64 s[6:7], exec, -1
; %bb.535:
	s_or_b64 exec, exec, s[14:15]
	s_and_b64 s[6:7], s[6:7], exec
	s_or_saveexec_b64 s[10:11], s[10:11]
	v_mov_b32_e32 v8, 0x7f800001
	s_xor_b64 exec, exec, s[10:11]
	s_cbranch_execz .LBB243_194
.LBB243_536:
	v_mov_b32_e32 v8, 0
	v_cmp_ne_u16_sdwa s[14:15], v31, v8 src0_sel:BYTE_0 src1_sel:DWORD
	s_andn2_b64 s[6:7], s[6:7], exec
	s_and_b64 s[14:15], s[14:15], exec
	s_or_b64 s[6:7], s[6:7], s[14:15]
	s_or_b64 exec, exec, s[10:11]
	s_and_saveexec_b64 s[10:11], s[6:7]
	s_cbranch_execnz .LBB243_195
	s_branch .LBB243_196
.LBB243_537:
	s_movk_i32 s6, 0x80
	v_cmp_eq_u16_sdwa s[18:19], v32, s6 src0_sel:BYTE_0 src1_sel:DWORD
	s_mov_b64 s[6:7], -1
	s_and_saveexec_b64 s[16:17], s[18:19]
; %bb.538:
	s_xor_b64 s[6:7], exec, -1
; %bb.539:
	s_or_b64 exec, exec, s[16:17]
	s_and_b64 s[6:7], s[6:7], exec
	s_or_saveexec_b64 s[14:15], s[14:15]
	v_mov_b32_e32 v6, 0x7f800001
	s_xor_b64 exec, exec, s[14:15]
	s_cbranch_execz .LBB243_200
.LBB243_540:
	v_mov_b32_e32 v6, 0
	v_cmp_ne_u16_sdwa s[16:17], v32, v6 src0_sel:BYTE_0 src1_sel:DWORD
	s_andn2_b64 s[6:7], s[6:7], exec
	s_and_b64 s[16:17], s[16:17], exec
	s_or_b64 s[6:7], s[6:7], s[16:17]
	s_or_b64 exec, exec, s[14:15]
	s_and_saveexec_b64 s[14:15], s[6:7]
	s_cbranch_execnz .LBB243_201
	s_branch .LBB243_202
.LBB243_541:
	s_movk_i32 s6, 0x80
	v_cmp_eq_u16_sdwa s[18:19], v31, s6 src0_sel:BYTE_0 src1_sel:DWORD
	s_mov_b64 s[6:7], -1
	s_and_saveexec_b64 s[16:17], s[18:19]
; %bb.542:
	s_xor_b64 s[6:7], exec, -1
; %bb.543:
	s_or_b64 exec, exec, s[16:17]
	s_and_b64 s[6:7], s[6:7], exec
	s_or_saveexec_b64 s[14:15], s[14:15]
	v_mov_b32_e32 v8, 0x7f800001
	s_xor_b64 exec, exec, s[14:15]
	s_cbranch_execz .LBB243_204
.LBB243_544:
	v_mov_b32_e32 v8, 0
	v_cmp_ne_u16_sdwa s[16:17], v31, v8 src0_sel:BYTE_0 src1_sel:DWORD
	s_andn2_b64 s[6:7], s[6:7], exec
	s_and_b64 s[16:17], s[16:17], exec
	s_or_b64 s[6:7], s[6:7], s[16:17]
	s_or_b64 exec, exec, s[14:15]
	s_and_saveexec_b64 s[14:15], s[6:7]
	s_cbranch_execnz .LBB243_205
	s_branch .LBB243_206
.LBB243_545:
	s_movk_i32 s6, 0x80
	v_cmp_eq_u16_sdwa s[16:17], v30, s6 src0_sel:BYTE_0 src1_sel:DWORD
	s_mov_b64 s[6:7], -1
	s_and_saveexec_b64 s[14:15], s[16:17]
; %bb.546:
	s_xor_b64 s[6:7], exec, -1
; %bb.547:
	s_or_b64 exec, exec, s[14:15]
	s_and_b64 s[6:7], s[6:7], exec
	s_or_saveexec_b64 s[10:11], s[10:11]
	v_mov_b32_e32 v6, 0x7f800001
	s_xor_b64 exec, exec, s[10:11]
	s_cbranch_execz .LBB243_212
.LBB243_548:
	v_mov_b32_e32 v6, 0
	v_cmp_ne_u16_sdwa s[14:15], v30, v6 src0_sel:BYTE_0 src1_sel:DWORD
	s_andn2_b64 s[6:7], s[6:7], exec
	s_and_b64 s[14:15], s[14:15], exec
	s_or_b64 s[6:7], s[6:7], s[14:15]
	s_or_b64 exec, exec, s[10:11]
	s_and_saveexec_b64 s[10:11], s[6:7]
	s_cbranch_execnz .LBB243_213
	s_branch .LBB243_214
.LBB243_549:
	s_movk_i32 s6, 0x80
	v_cmp_eq_u16_sdwa s[16:17], v29, s6 src0_sel:BYTE_0 src1_sel:DWORD
	s_mov_b64 s[6:7], -1
	s_and_saveexec_b64 s[14:15], s[16:17]
; %bb.550:
	s_xor_b64 s[6:7], exec, -1
; %bb.551:
	s_or_b64 exec, exec, s[14:15]
	s_and_b64 s[6:7], s[6:7], exec
	s_or_saveexec_b64 s[10:11], s[10:11]
	v_mov_b32_e32 v8, 0x7f800001
	s_xor_b64 exec, exec, s[10:11]
	s_cbranch_execz .LBB243_216
.LBB243_552:
	v_mov_b32_e32 v8, 0
	v_cmp_ne_u16_sdwa s[14:15], v29, v8 src0_sel:BYTE_0 src1_sel:DWORD
	s_andn2_b64 s[6:7], s[6:7], exec
	s_and_b64 s[14:15], s[14:15], exec
	s_or_b64 s[6:7], s[6:7], s[14:15]
	s_or_b64 exec, exec, s[10:11]
	s_and_saveexec_b64 s[10:11], s[6:7]
	s_cbranch_execnz .LBB243_217
	s_branch .LBB243_218
.LBB243_553:
	s_movk_i32 s6, 0x80
	v_cmp_eq_u16_sdwa s[18:19], v30, s6 src0_sel:BYTE_0 src1_sel:DWORD
	s_mov_b64 s[6:7], -1
	s_and_saveexec_b64 s[16:17], s[18:19]
; %bb.554:
	s_xor_b64 s[6:7], exec, -1
; %bb.555:
	s_or_b64 exec, exec, s[16:17]
	s_and_b64 s[6:7], s[6:7], exec
	s_or_saveexec_b64 s[14:15], s[14:15]
	v_mov_b32_e32 v6, 0x7f800001
	s_xor_b64 exec, exec, s[14:15]
	s_cbranch_execz .LBB243_222
.LBB243_556:
	v_mov_b32_e32 v6, 0
	v_cmp_ne_u16_sdwa s[16:17], v30, v6 src0_sel:BYTE_0 src1_sel:DWORD
	s_andn2_b64 s[6:7], s[6:7], exec
	s_and_b64 s[16:17], s[16:17], exec
	s_or_b64 s[6:7], s[6:7], s[16:17]
	s_or_b64 exec, exec, s[14:15]
	s_and_saveexec_b64 s[14:15], s[6:7]
	s_cbranch_execnz .LBB243_223
	s_branch .LBB243_224
.LBB243_557:
	s_movk_i32 s6, 0x80
	v_cmp_eq_u16_sdwa s[18:19], v29, s6 src0_sel:BYTE_0 src1_sel:DWORD
	s_mov_b64 s[6:7], -1
	s_and_saveexec_b64 s[16:17], s[18:19]
; %bb.558:
	s_xor_b64 s[6:7], exec, -1
; %bb.559:
	s_or_b64 exec, exec, s[16:17]
	s_and_b64 s[6:7], s[6:7], exec
	s_or_saveexec_b64 s[14:15], s[14:15]
	v_mov_b32_e32 v8, 0x7f800001
	s_xor_b64 exec, exec, s[14:15]
	s_cbranch_execz .LBB243_226
.LBB243_560:
	v_mov_b32_e32 v8, 0
	v_cmp_ne_u16_sdwa s[16:17], v29, v8 src0_sel:BYTE_0 src1_sel:DWORD
	s_andn2_b64 s[6:7], s[6:7], exec
	s_and_b64 s[16:17], s[16:17], exec
	s_or_b64 s[6:7], s[6:7], s[16:17]
	s_or_b64 exec, exec, s[14:15]
	s_and_saveexec_b64 s[14:15], s[6:7]
	s_cbranch_execnz .LBB243_227
	s_branch .LBB243_228
.LBB243_561:
	s_movk_i32 s6, 0x80
	v_cmp_eq_u16_sdwa s[16:17], v28, s6 src0_sel:BYTE_0 src1_sel:DWORD
	s_mov_b64 s[6:7], -1
	s_and_saveexec_b64 s[14:15], s[16:17]
; %bb.562:
	s_xor_b64 s[6:7], exec, -1
; %bb.563:
	s_or_b64 exec, exec, s[14:15]
	s_and_b64 s[6:7], s[6:7], exec
	s_or_saveexec_b64 s[10:11], s[10:11]
	v_mov_b32_e32 v6, 0x7f800001
	s_xor_b64 exec, exec, s[10:11]
	s_cbranch_execz .LBB243_234
.LBB243_564:
	v_mov_b32_e32 v6, 0
	v_cmp_ne_u16_sdwa s[14:15], v28, v6 src0_sel:BYTE_0 src1_sel:DWORD
	s_andn2_b64 s[6:7], s[6:7], exec
	s_and_b64 s[14:15], s[14:15], exec
	s_or_b64 s[6:7], s[6:7], s[14:15]
	s_or_b64 exec, exec, s[10:11]
	s_and_saveexec_b64 s[10:11], s[6:7]
	s_cbranch_execnz .LBB243_235
	s_branch .LBB243_236
.LBB243_565:
	s_movk_i32 s6, 0x80
	v_cmp_eq_u16_sdwa s[16:17], v27, s6 src0_sel:BYTE_0 src1_sel:DWORD
	s_mov_b64 s[6:7], -1
	s_and_saveexec_b64 s[14:15], s[16:17]
; %bb.566:
	s_xor_b64 s[6:7], exec, -1
; %bb.567:
	s_or_b64 exec, exec, s[14:15]
	s_and_b64 s[6:7], s[6:7], exec
	s_or_saveexec_b64 s[10:11], s[10:11]
	v_mov_b32_e32 v8, 0x7f800001
	s_xor_b64 exec, exec, s[10:11]
	s_cbranch_execz .LBB243_238
.LBB243_568:
	v_mov_b32_e32 v8, 0
	v_cmp_ne_u16_sdwa s[14:15], v27, v8 src0_sel:BYTE_0 src1_sel:DWORD
	s_andn2_b64 s[6:7], s[6:7], exec
	s_and_b64 s[14:15], s[14:15], exec
	s_or_b64 s[6:7], s[6:7], s[14:15]
	s_or_b64 exec, exec, s[10:11]
	s_and_saveexec_b64 s[10:11], s[6:7]
	s_cbranch_execnz .LBB243_239
	s_branch .LBB243_240
.LBB243_569:
	s_movk_i32 s6, 0x80
	v_cmp_eq_u16_sdwa s[18:19], v28, s6 src0_sel:BYTE_0 src1_sel:DWORD
	s_mov_b64 s[6:7], -1
	s_and_saveexec_b64 s[16:17], s[18:19]
; %bb.570:
	s_xor_b64 s[6:7], exec, -1
; %bb.571:
	s_or_b64 exec, exec, s[16:17]
	s_and_b64 s[6:7], s[6:7], exec
	s_or_saveexec_b64 s[14:15], s[14:15]
	v_mov_b32_e32 v6, 0x7f800001
	s_xor_b64 exec, exec, s[14:15]
	s_cbranch_execz .LBB243_244
.LBB243_572:
	v_mov_b32_e32 v6, 0
	v_cmp_ne_u16_sdwa s[16:17], v28, v6 src0_sel:BYTE_0 src1_sel:DWORD
	s_andn2_b64 s[6:7], s[6:7], exec
	s_and_b64 s[16:17], s[16:17], exec
	s_or_b64 s[6:7], s[6:7], s[16:17]
	s_or_b64 exec, exec, s[14:15]
	s_and_saveexec_b64 s[14:15], s[6:7]
	s_cbranch_execnz .LBB243_245
	s_branch .LBB243_246
.LBB243_573:
	s_movk_i32 s6, 0x80
	v_cmp_eq_u16_sdwa s[18:19], v27, s6 src0_sel:BYTE_0 src1_sel:DWORD
	s_mov_b64 s[6:7], -1
	s_and_saveexec_b64 s[16:17], s[18:19]
; %bb.574:
	s_xor_b64 s[6:7], exec, -1
; %bb.575:
	s_or_b64 exec, exec, s[16:17]
	s_and_b64 s[6:7], s[6:7], exec
	s_or_saveexec_b64 s[14:15], s[14:15]
	v_mov_b32_e32 v8, 0x7f800001
	s_xor_b64 exec, exec, s[14:15]
	s_cbranch_execz .LBB243_248
.LBB243_576:
	v_mov_b32_e32 v8, 0
	v_cmp_ne_u16_sdwa s[16:17], v27, v8 src0_sel:BYTE_0 src1_sel:DWORD
	s_andn2_b64 s[6:7], s[6:7], exec
	s_and_b64 s[16:17], s[16:17], exec
	s_or_b64 s[6:7], s[6:7], s[16:17]
	s_or_b64 exec, exec, s[14:15]
	s_and_saveexec_b64 s[14:15], s[6:7]
	s_cbranch_execnz .LBB243_249
	s_branch .LBB243_250
.LBB243_577:
	s_movk_i32 s6, 0x80
	v_cmp_eq_u16_sdwa s[16:17], v26, s6 src0_sel:BYTE_0 src1_sel:DWORD
	s_mov_b64 s[6:7], -1
	s_and_saveexec_b64 s[14:15], s[16:17]
; %bb.578:
	s_xor_b64 s[6:7], exec, -1
; %bb.579:
	s_or_b64 exec, exec, s[14:15]
	s_and_b64 s[6:7], s[6:7], exec
	s_or_saveexec_b64 s[10:11], s[10:11]
	v_mov_b32_e32 v6, 0x7f800001
	s_xor_b64 exec, exec, s[10:11]
	s_cbranch_execz .LBB243_256
.LBB243_580:
	v_mov_b32_e32 v6, 0
	v_cmp_ne_u16_sdwa s[14:15], v26, v6 src0_sel:BYTE_0 src1_sel:DWORD
	s_andn2_b64 s[6:7], s[6:7], exec
	s_and_b64 s[14:15], s[14:15], exec
	s_or_b64 s[6:7], s[6:7], s[14:15]
	s_or_b64 exec, exec, s[10:11]
	s_and_saveexec_b64 s[10:11], s[6:7]
	s_cbranch_execnz .LBB243_257
	s_branch .LBB243_258
.LBB243_581:
	s_movk_i32 s6, 0x80
	v_cmp_eq_u16_sdwa s[16:17], v25, s6 src0_sel:BYTE_0 src1_sel:DWORD
	s_mov_b64 s[6:7], -1
	s_and_saveexec_b64 s[14:15], s[16:17]
; %bb.582:
	s_xor_b64 s[6:7], exec, -1
; %bb.583:
	s_or_b64 exec, exec, s[14:15]
	s_and_b64 s[6:7], s[6:7], exec
	s_or_saveexec_b64 s[10:11], s[10:11]
	v_mov_b32_e32 v8, 0x7f800001
	s_xor_b64 exec, exec, s[10:11]
	s_cbranch_execz .LBB243_260
.LBB243_584:
	v_mov_b32_e32 v8, 0
	v_cmp_ne_u16_sdwa s[14:15], v25, v8 src0_sel:BYTE_0 src1_sel:DWORD
	s_andn2_b64 s[6:7], s[6:7], exec
	s_and_b64 s[14:15], s[14:15], exec
	s_or_b64 s[6:7], s[6:7], s[14:15]
	s_or_b64 exec, exec, s[10:11]
	s_and_saveexec_b64 s[10:11], s[6:7]
	s_cbranch_execnz .LBB243_261
	s_branch .LBB243_262
.LBB243_585:
	s_movk_i32 s6, 0x80
	v_cmp_eq_u16_sdwa s[18:19], v26, s6 src0_sel:BYTE_0 src1_sel:DWORD
	s_mov_b64 s[6:7], -1
	s_and_saveexec_b64 s[16:17], s[18:19]
; %bb.586:
	s_xor_b64 s[6:7], exec, -1
; %bb.587:
	s_or_b64 exec, exec, s[16:17]
	s_and_b64 s[6:7], s[6:7], exec
	s_or_saveexec_b64 s[14:15], s[14:15]
	v_mov_b32_e32 v6, 0x7f800001
	s_xor_b64 exec, exec, s[14:15]
	s_cbranch_execz .LBB243_266
.LBB243_588:
	v_mov_b32_e32 v6, 0
	v_cmp_ne_u16_sdwa s[16:17], v26, v6 src0_sel:BYTE_0 src1_sel:DWORD
	s_andn2_b64 s[6:7], s[6:7], exec
	s_and_b64 s[16:17], s[16:17], exec
	s_or_b64 s[6:7], s[6:7], s[16:17]
	s_or_b64 exec, exec, s[14:15]
	s_and_saveexec_b64 s[14:15], s[6:7]
	s_cbranch_execnz .LBB243_267
	s_branch .LBB243_268
.LBB243_589:
	s_movk_i32 s6, 0x80
	v_cmp_eq_u16_sdwa s[18:19], v25, s6 src0_sel:BYTE_0 src1_sel:DWORD
	s_mov_b64 s[6:7], -1
	s_and_saveexec_b64 s[16:17], s[18:19]
; %bb.590:
	s_xor_b64 s[6:7], exec, -1
; %bb.591:
	s_or_b64 exec, exec, s[16:17]
	s_and_b64 s[6:7], s[6:7], exec
	s_or_saveexec_b64 s[14:15], s[14:15]
	v_mov_b32_e32 v8, 0x7f800001
	s_xor_b64 exec, exec, s[14:15]
	s_cbranch_execz .LBB243_270
.LBB243_592:
	v_mov_b32_e32 v8, 0
	v_cmp_ne_u16_sdwa s[16:17], v25, v8 src0_sel:BYTE_0 src1_sel:DWORD
	s_andn2_b64 s[6:7], s[6:7], exec
	s_and_b64 s[16:17], s[16:17], exec
	s_or_b64 s[6:7], s[6:7], s[16:17]
	s_or_b64 exec, exec, s[14:15]
	s_and_saveexec_b64 s[14:15], s[6:7]
	s_cbranch_execnz .LBB243_271
	s_branch .LBB243_272
.LBB243_593:
	s_movk_i32 s6, 0x80
	v_cmp_eq_u16_sdwa s[16:17], v24, s6 src0_sel:BYTE_0 src1_sel:DWORD
	s_mov_b64 s[6:7], -1
	s_and_saveexec_b64 s[14:15], s[16:17]
; %bb.594:
	s_xor_b64 s[6:7], exec, -1
; %bb.595:
	s_or_b64 exec, exec, s[14:15]
	s_and_b64 s[6:7], s[6:7], exec
	s_or_saveexec_b64 s[10:11], s[10:11]
	v_mov_b32_e32 v6, 0x7f800001
	s_xor_b64 exec, exec, s[10:11]
	s_cbranch_execz .LBB243_278
.LBB243_596:
	v_mov_b32_e32 v6, 0
	v_cmp_ne_u16_sdwa s[14:15], v24, v6 src0_sel:BYTE_0 src1_sel:DWORD
	s_andn2_b64 s[6:7], s[6:7], exec
	s_and_b64 s[14:15], s[14:15], exec
	s_or_b64 s[6:7], s[6:7], s[14:15]
	s_or_b64 exec, exec, s[10:11]
	s_and_saveexec_b64 s[10:11], s[6:7]
	s_cbranch_execnz .LBB243_279
	s_branch .LBB243_280
.LBB243_597:
	s_movk_i32 s6, 0x80
	v_cmp_eq_u16_sdwa s[16:17], v23, s6 src0_sel:BYTE_0 src1_sel:DWORD
	s_mov_b64 s[6:7], -1
	s_and_saveexec_b64 s[14:15], s[16:17]
; %bb.598:
	s_xor_b64 s[6:7], exec, -1
; %bb.599:
	s_or_b64 exec, exec, s[14:15]
	s_and_b64 s[6:7], s[6:7], exec
	s_or_saveexec_b64 s[10:11], s[10:11]
	v_mov_b32_e32 v8, 0x7f800001
	s_xor_b64 exec, exec, s[10:11]
	s_cbranch_execz .LBB243_282
.LBB243_600:
	v_mov_b32_e32 v8, 0
	v_cmp_ne_u16_sdwa s[14:15], v23, v8 src0_sel:BYTE_0 src1_sel:DWORD
	s_andn2_b64 s[6:7], s[6:7], exec
	s_and_b64 s[14:15], s[14:15], exec
	s_or_b64 s[6:7], s[6:7], s[14:15]
	s_or_b64 exec, exec, s[10:11]
	s_and_saveexec_b64 s[10:11], s[6:7]
	s_cbranch_execnz .LBB243_283
	s_branch .LBB243_284
.LBB243_601:
	s_movk_i32 s6, 0x80
	v_cmp_eq_u16_sdwa s[18:19], v24, s6 src0_sel:BYTE_0 src1_sel:DWORD
	s_mov_b64 s[6:7], -1
	s_and_saveexec_b64 s[16:17], s[18:19]
; %bb.602:
	s_xor_b64 s[6:7], exec, -1
; %bb.603:
	s_or_b64 exec, exec, s[16:17]
	s_and_b64 s[6:7], s[6:7], exec
	s_or_saveexec_b64 s[14:15], s[14:15]
	v_mov_b32_e32 v6, 0x7f800001
	s_xor_b64 exec, exec, s[14:15]
	s_cbranch_execz .LBB243_288
.LBB243_604:
	v_mov_b32_e32 v6, 0
	v_cmp_ne_u16_sdwa s[16:17], v24, v6 src0_sel:BYTE_0 src1_sel:DWORD
	s_andn2_b64 s[6:7], s[6:7], exec
	s_and_b64 s[16:17], s[16:17], exec
	s_or_b64 s[6:7], s[6:7], s[16:17]
	s_or_b64 exec, exec, s[14:15]
	s_and_saveexec_b64 s[14:15], s[6:7]
	s_cbranch_execnz .LBB243_289
	s_branch .LBB243_290
.LBB243_605:
	s_movk_i32 s6, 0x80
	v_cmp_eq_u16_sdwa s[18:19], v23, s6 src0_sel:BYTE_0 src1_sel:DWORD
	s_mov_b64 s[6:7], -1
	s_and_saveexec_b64 s[16:17], s[18:19]
; %bb.606:
	s_xor_b64 s[6:7], exec, -1
; %bb.607:
	s_or_b64 exec, exec, s[16:17]
	s_and_b64 s[6:7], s[6:7], exec
	s_or_saveexec_b64 s[14:15], s[14:15]
	v_mov_b32_e32 v8, 0x7f800001
	s_xor_b64 exec, exec, s[14:15]
	s_cbranch_execz .LBB243_292
.LBB243_608:
	v_mov_b32_e32 v8, 0
	v_cmp_ne_u16_sdwa s[16:17], v23, v8 src0_sel:BYTE_0 src1_sel:DWORD
	s_andn2_b64 s[6:7], s[6:7], exec
	s_and_b64 s[16:17], s[16:17], exec
	s_or_b64 s[6:7], s[6:7], s[16:17]
	s_or_b64 exec, exec, s[14:15]
	s_and_saveexec_b64 s[14:15], s[6:7]
	s_cbranch_execnz .LBB243_293
	s_branch .LBB243_294
.LBB243_609:
	s_movk_i32 s6, 0x80
	v_cmp_eq_u16_sdwa s[16:17], v22, s6 src0_sel:BYTE_0 src1_sel:DWORD
	s_mov_b64 s[6:7], -1
	s_and_saveexec_b64 s[14:15], s[16:17]
; %bb.610:
	s_xor_b64 s[6:7], exec, -1
; %bb.611:
	s_or_b64 exec, exec, s[14:15]
	s_and_b64 s[6:7], s[6:7], exec
	s_or_saveexec_b64 s[10:11], s[10:11]
	v_mov_b32_e32 v6, 0x7f800001
	s_xor_b64 exec, exec, s[10:11]
	s_cbranch_execz .LBB243_300
.LBB243_612:
	v_mov_b32_e32 v6, 0
	v_cmp_ne_u16_sdwa s[14:15], v22, v6 src0_sel:BYTE_0 src1_sel:DWORD
	s_andn2_b64 s[6:7], s[6:7], exec
	s_and_b64 s[14:15], s[14:15], exec
	s_or_b64 s[6:7], s[6:7], s[14:15]
	s_or_b64 exec, exec, s[10:11]
	s_and_saveexec_b64 s[10:11], s[6:7]
	s_cbranch_execnz .LBB243_301
	s_branch .LBB243_302
.LBB243_613:
	s_movk_i32 s6, 0x80
	v_cmp_eq_u16_sdwa s[16:17], v21, s6 src0_sel:BYTE_0 src1_sel:DWORD
	s_mov_b64 s[6:7], -1
	s_and_saveexec_b64 s[14:15], s[16:17]
; %bb.614:
	s_xor_b64 s[6:7], exec, -1
; %bb.615:
	s_or_b64 exec, exec, s[14:15]
	s_and_b64 s[6:7], s[6:7], exec
	s_or_saveexec_b64 s[10:11], s[10:11]
	v_mov_b32_e32 v8, 0x7f800001
	s_xor_b64 exec, exec, s[10:11]
	s_cbranch_execz .LBB243_304
.LBB243_616:
	v_mov_b32_e32 v8, 0
	v_cmp_ne_u16_sdwa s[14:15], v21, v8 src0_sel:BYTE_0 src1_sel:DWORD
	s_andn2_b64 s[6:7], s[6:7], exec
	s_and_b64 s[14:15], s[14:15], exec
	s_or_b64 s[6:7], s[6:7], s[14:15]
	s_or_b64 exec, exec, s[10:11]
	s_and_saveexec_b64 s[10:11], s[6:7]
	s_cbranch_execnz .LBB243_305
	s_branch .LBB243_306
.LBB243_617:
	s_movk_i32 s6, 0x80
	v_cmp_eq_u16_sdwa s[18:19], v22, s6 src0_sel:BYTE_0 src1_sel:DWORD
	s_mov_b64 s[6:7], -1
	s_and_saveexec_b64 s[16:17], s[18:19]
; %bb.618:
	s_xor_b64 s[6:7], exec, -1
; %bb.619:
	s_or_b64 exec, exec, s[16:17]
	s_and_b64 s[6:7], s[6:7], exec
	s_or_saveexec_b64 s[14:15], s[14:15]
	v_mov_b32_e32 v6, 0x7f800001
	s_xor_b64 exec, exec, s[14:15]
	s_cbranch_execz .LBB243_310
.LBB243_620:
	v_mov_b32_e32 v6, 0
	v_cmp_ne_u16_sdwa s[16:17], v22, v6 src0_sel:BYTE_0 src1_sel:DWORD
	s_andn2_b64 s[6:7], s[6:7], exec
	s_and_b64 s[16:17], s[16:17], exec
	s_or_b64 s[6:7], s[6:7], s[16:17]
	s_or_b64 exec, exec, s[14:15]
	s_and_saveexec_b64 s[14:15], s[6:7]
	s_cbranch_execnz .LBB243_311
	s_branch .LBB243_312
.LBB243_621:
	s_movk_i32 s6, 0x80
	v_cmp_eq_u16_sdwa s[18:19], v21, s6 src0_sel:BYTE_0 src1_sel:DWORD
	s_mov_b64 s[6:7], -1
	s_and_saveexec_b64 s[16:17], s[18:19]
; %bb.622:
	s_xor_b64 s[6:7], exec, -1
; %bb.623:
	s_or_b64 exec, exec, s[16:17]
	s_and_b64 s[6:7], s[6:7], exec
	s_or_saveexec_b64 s[14:15], s[14:15]
	v_mov_b32_e32 v8, 0x7f800001
	s_xor_b64 exec, exec, s[14:15]
	s_cbranch_execz .LBB243_314
.LBB243_624:
	v_mov_b32_e32 v8, 0
	v_cmp_ne_u16_sdwa s[16:17], v21, v8 src0_sel:BYTE_0 src1_sel:DWORD
	s_andn2_b64 s[6:7], s[6:7], exec
	s_and_b64 s[16:17], s[16:17], exec
	s_or_b64 s[6:7], s[6:7], s[16:17]
	s_or_b64 exec, exec, s[14:15]
	s_and_saveexec_b64 s[14:15], s[6:7]
	s_cbranch_execnz .LBB243_315
	s_branch .LBB243_316
.LBB243_625:
	s_movk_i32 s6, 0x80
	v_cmp_eq_u16_sdwa s[16:17], v20, s6 src0_sel:BYTE_0 src1_sel:DWORD
	s_mov_b64 s[6:7], -1
	s_and_saveexec_b64 s[14:15], s[16:17]
; %bb.626:
	s_xor_b64 s[6:7], exec, -1
; %bb.627:
	s_or_b64 exec, exec, s[14:15]
	s_and_b64 s[6:7], s[6:7], exec
	s_or_saveexec_b64 s[10:11], s[10:11]
	v_mov_b32_e32 v6, 0x7f800001
	s_xor_b64 exec, exec, s[10:11]
	s_cbranch_execz .LBB243_322
.LBB243_628:
	v_mov_b32_e32 v6, 0
	v_cmp_ne_u16_sdwa s[14:15], v20, v6 src0_sel:BYTE_0 src1_sel:DWORD
	s_andn2_b64 s[6:7], s[6:7], exec
	s_and_b64 s[14:15], s[14:15], exec
	s_or_b64 s[6:7], s[6:7], s[14:15]
	s_or_b64 exec, exec, s[10:11]
	s_and_saveexec_b64 s[10:11], s[6:7]
	s_cbranch_execnz .LBB243_323
	s_branch .LBB243_324
.LBB243_629:
	s_movk_i32 s6, 0x80
	v_cmp_eq_u16_sdwa s[16:17], v19, s6 src0_sel:BYTE_0 src1_sel:DWORD
	s_mov_b64 s[6:7], -1
	s_and_saveexec_b64 s[14:15], s[16:17]
; %bb.630:
	s_xor_b64 s[6:7], exec, -1
; %bb.631:
	s_or_b64 exec, exec, s[14:15]
	s_and_b64 s[6:7], s[6:7], exec
	s_or_saveexec_b64 s[10:11], s[10:11]
	v_mov_b32_e32 v8, 0x7f800001
	s_xor_b64 exec, exec, s[10:11]
	s_cbranch_execz .LBB243_326
.LBB243_632:
	v_mov_b32_e32 v8, 0
	v_cmp_ne_u16_sdwa s[14:15], v19, v8 src0_sel:BYTE_0 src1_sel:DWORD
	s_andn2_b64 s[6:7], s[6:7], exec
	s_and_b64 s[14:15], s[14:15], exec
	s_or_b64 s[6:7], s[6:7], s[14:15]
	s_or_b64 exec, exec, s[10:11]
	s_and_saveexec_b64 s[10:11], s[6:7]
	s_cbranch_execnz .LBB243_327
	s_branch .LBB243_328
.LBB243_633:
	s_movk_i32 s6, 0x80
	v_cmp_eq_u16_sdwa s[18:19], v20, s6 src0_sel:BYTE_0 src1_sel:DWORD
	s_mov_b64 s[6:7], -1
	s_and_saveexec_b64 s[16:17], s[18:19]
; %bb.634:
	s_xor_b64 s[6:7], exec, -1
; %bb.635:
	s_or_b64 exec, exec, s[16:17]
	s_and_b64 s[6:7], s[6:7], exec
	s_or_saveexec_b64 s[14:15], s[14:15]
	v_mov_b32_e32 v6, 0x7f800001
	s_xor_b64 exec, exec, s[14:15]
	s_cbranch_execz .LBB243_332
.LBB243_636:
	v_mov_b32_e32 v6, 0
	v_cmp_ne_u16_sdwa s[16:17], v20, v6 src0_sel:BYTE_0 src1_sel:DWORD
	s_andn2_b64 s[6:7], s[6:7], exec
	s_and_b64 s[16:17], s[16:17], exec
	s_or_b64 s[6:7], s[6:7], s[16:17]
	s_or_b64 exec, exec, s[14:15]
	s_and_saveexec_b64 s[14:15], s[6:7]
	s_cbranch_execnz .LBB243_333
	s_branch .LBB243_334
.LBB243_637:
	s_movk_i32 s6, 0x80
	v_cmp_eq_u16_sdwa s[18:19], v19, s6 src0_sel:BYTE_0 src1_sel:DWORD
	s_mov_b64 s[6:7], -1
	s_and_saveexec_b64 s[16:17], s[18:19]
; %bb.638:
	s_xor_b64 s[6:7], exec, -1
; %bb.639:
	s_or_b64 exec, exec, s[16:17]
	s_and_b64 s[6:7], s[6:7], exec
	s_or_saveexec_b64 s[14:15], s[14:15]
	v_mov_b32_e32 v8, 0x7f800001
	s_xor_b64 exec, exec, s[14:15]
	s_cbranch_execz .LBB243_336
.LBB243_640:
	v_mov_b32_e32 v8, 0
	v_cmp_ne_u16_sdwa s[16:17], v19, v8 src0_sel:BYTE_0 src1_sel:DWORD
	s_andn2_b64 s[6:7], s[6:7], exec
	s_and_b64 s[16:17], s[16:17], exec
	s_or_b64 s[6:7], s[6:7], s[16:17]
	s_or_b64 exec, exec, s[14:15]
	s_and_saveexec_b64 s[14:15], s[6:7]
	s_cbranch_execnz .LBB243_337
	s_branch .LBB243_338
.LBB243_641:
	s_movk_i32 s6, 0x80
	v_cmp_eq_u16_sdwa s[16:17], v18, s6 src0_sel:BYTE_0 src1_sel:DWORD
	s_mov_b64 s[6:7], -1
	s_and_saveexec_b64 s[14:15], s[16:17]
; %bb.642:
	s_xor_b64 s[6:7], exec, -1
; %bb.643:
	s_or_b64 exec, exec, s[14:15]
	s_and_b64 s[6:7], s[6:7], exec
	s_or_saveexec_b64 s[10:11], s[10:11]
	v_mov_b32_e32 v6, 0x7f800001
	s_xor_b64 exec, exec, s[10:11]
	s_cbranch_execz .LBB243_344
.LBB243_644:
	v_mov_b32_e32 v6, 0
	v_cmp_ne_u16_sdwa s[14:15], v18, v6 src0_sel:BYTE_0 src1_sel:DWORD
	s_andn2_b64 s[6:7], s[6:7], exec
	s_and_b64 s[14:15], s[14:15], exec
	s_or_b64 s[6:7], s[6:7], s[14:15]
	s_or_b64 exec, exec, s[10:11]
	s_and_saveexec_b64 s[10:11], s[6:7]
	s_cbranch_execnz .LBB243_345
	s_branch .LBB243_346
.LBB243_645:
	s_movk_i32 s6, 0x80
	v_cmp_eq_u16_sdwa s[16:17], v17, s6 src0_sel:BYTE_0 src1_sel:DWORD
	s_mov_b64 s[6:7], -1
	s_and_saveexec_b64 s[14:15], s[16:17]
; %bb.646:
	s_xor_b64 s[6:7], exec, -1
; %bb.647:
	s_or_b64 exec, exec, s[14:15]
	s_and_b64 s[6:7], s[6:7], exec
	s_or_saveexec_b64 s[10:11], s[10:11]
	v_mov_b32_e32 v8, 0x7f800001
	s_xor_b64 exec, exec, s[10:11]
	s_cbranch_execz .LBB243_348
.LBB243_648:
	v_mov_b32_e32 v8, 0
	v_cmp_ne_u16_sdwa s[14:15], v17, v8 src0_sel:BYTE_0 src1_sel:DWORD
	s_andn2_b64 s[6:7], s[6:7], exec
	s_and_b64 s[14:15], s[14:15], exec
	s_or_b64 s[6:7], s[6:7], s[14:15]
	s_or_b64 exec, exec, s[10:11]
	s_and_saveexec_b64 s[10:11], s[6:7]
	s_cbranch_execnz .LBB243_349
	s_branch .LBB243_350
.LBB243_649:
	s_movk_i32 s6, 0x80
	v_cmp_eq_u16_sdwa s[18:19], v18, s6 src0_sel:BYTE_0 src1_sel:DWORD
	s_mov_b64 s[6:7], -1
	s_and_saveexec_b64 s[16:17], s[18:19]
; %bb.650:
	s_xor_b64 s[6:7], exec, -1
; %bb.651:
	s_or_b64 exec, exec, s[16:17]
	s_and_b64 s[6:7], s[6:7], exec
	s_or_saveexec_b64 s[14:15], s[14:15]
	v_mov_b32_e32 v6, 0x7f800001
	s_xor_b64 exec, exec, s[14:15]
	s_cbranch_execz .LBB243_354
.LBB243_652:
	v_mov_b32_e32 v6, 0
	v_cmp_ne_u16_sdwa s[16:17], v18, v6 src0_sel:BYTE_0 src1_sel:DWORD
	s_andn2_b64 s[6:7], s[6:7], exec
	s_and_b64 s[16:17], s[16:17], exec
	s_or_b64 s[6:7], s[6:7], s[16:17]
	s_or_b64 exec, exec, s[14:15]
	s_and_saveexec_b64 s[14:15], s[6:7]
	s_cbranch_execnz .LBB243_355
	s_branch .LBB243_356
.LBB243_653:
	s_movk_i32 s6, 0x80
	v_cmp_eq_u16_sdwa s[18:19], v17, s6 src0_sel:BYTE_0 src1_sel:DWORD
	s_mov_b64 s[6:7], -1
	s_and_saveexec_b64 s[16:17], s[18:19]
; %bb.654:
	s_xor_b64 s[6:7], exec, -1
; %bb.655:
	s_or_b64 exec, exec, s[16:17]
	s_and_b64 s[6:7], s[6:7], exec
	s_or_saveexec_b64 s[14:15], s[14:15]
	v_mov_b32_e32 v8, 0x7f800001
	s_xor_b64 exec, exec, s[14:15]
	s_cbranch_execz .LBB243_358
.LBB243_656:
	v_mov_b32_e32 v8, 0
	v_cmp_ne_u16_sdwa s[16:17], v17, v8 src0_sel:BYTE_0 src1_sel:DWORD
	s_andn2_b64 s[6:7], s[6:7], exec
	s_and_b64 s[16:17], s[16:17], exec
	s_or_b64 s[6:7], s[6:7], s[16:17]
	s_or_b64 exec, exec, s[14:15]
	s_and_saveexec_b64 s[14:15], s[6:7]
	s_cbranch_execnz .LBB243_359
	s_branch .LBB243_360
.LBB243_657:
	s_movk_i32 s4, 0x80
	v_cmp_eq_u16_sdwa s[14:15], v16, s4 src0_sel:BYTE_0 src1_sel:DWORD
	s_mov_b64 s[4:5], -1
	s_and_saveexec_b64 s[12:13], s[14:15]
; %bb.658:
	s_xor_b64 s[4:5], exec, -1
; %bb.659:
	s_or_b64 exec, exec, s[12:13]
	s_and_b64 s[4:5], s[4:5], exec
	s_or_saveexec_b64 s[6:7], s[6:7]
	v_mov_b32_e32 v6, 0x7f800001
	s_xor_b64 exec, exec, s[6:7]
	s_cbranch_execz .LBB243_383
.LBB243_660:
	v_mov_b32_e32 v6, 0
	v_cmp_ne_u16_sdwa s[12:13], v16, v6 src0_sel:BYTE_0 src1_sel:DWORD
	s_andn2_b64 s[4:5], s[4:5], exec
	s_and_b64 s[12:13], s[12:13], exec
	s_or_b64 s[4:5], s[4:5], s[12:13]
	s_or_b64 exec, exec, s[6:7]
	s_and_saveexec_b64 s[6:7], s[4:5]
	s_cbranch_execnz .LBB243_384
	s_branch .LBB243_385
.LBB243_661:
	s_movk_i32 s4, 0x80
	v_cmp_eq_u16_sdwa s[14:15], v15, s4 src0_sel:BYTE_0 src1_sel:DWORD
	s_mov_b64 s[4:5], -1
	s_and_saveexec_b64 s[12:13], s[14:15]
; %bb.662:
	s_xor_b64 s[4:5], exec, -1
; %bb.663:
	s_or_b64 exec, exec, s[12:13]
	s_and_b64 s[4:5], s[4:5], exec
	s_or_saveexec_b64 s[6:7], s[6:7]
	v_mov_b32_e32 v8, 0x7f800001
	s_xor_b64 exec, exec, s[6:7]
	s_cbranch_execz .LBB243_387
.LBB243_664:
	v_mov_b32_e32 v8, 0
	v_cmp_ne_u16_sdwa s[12:13], v15, v8 src0_sel:BYTE_0 src1_sel:DWORD
	s_andn2_b64 s[4:5], s[4:5], exec
	s_and_b64 s[12:13], s[12:13], exec
	s_or_b64 s[4:5], s[4:5], s[12:13]
	s_or_b64 exec, exec, s[6:7]
	s_and_saveexec_b64 s[6:7], s[4:5]
	s_cbranch_execnz .LBB243_388
	s_branch .LBB243_389
.LBB243_665:
	s_movk_i32 s4, 0x80
	v_cmp_eq_u16_sdwa s[16:17], v16, s4 src0_sel:BYTE_0 src1_sel:DWORD
	s_mov_b64 s[4:5], -1
	s_and_saveexec_b64 s[14:15], s[16:17]
; %bb.666:
	s_xor_b64 s[4:5], exec, -1
; %bb.667:
	s_or_b64 exec, exec, s[14:15]
	s_and_b64 s[4:5], s[4:5], exec
	s_or_saveexec_b64 s[12:13], s[12:13]
	v_mov_b32_e32 v6, 0x7f800001
	s_xor_b64 exec, exec, s[12:13]
	s_cbranch_execz .LBB243_393
.LBB243_668:
	v_mov_b32_e32 v6, 0
	v_cmp_ne_u16_sdwa s[14:15], v16, v6 src0_sel:BYTE_0 src1_sel:DWORD
	s_andn2_b64 s[4:5], s[4:5], exec
	s_and_b64 s[14:15], s[14:15], exec
	s_or_b64 s[4:5], s[4:5], s[14:15]
	s_or_b64 exec, exec, s[12:13]
	s_and_saveexec_b64 s[12:13], s[4:5]
	s_cbranch_execnz .LBB243_394
	s_branch .LBB243_395
.LBB243_669:
	s_movk_i32 s4, 0x80
	v_cmp_eq_u16_sdwa s[16:17], v15, s4 src0_sel:BYTE_0 src1_sel:DWORD
	s_mov_b64 s[4:5], -1
	s_and_saveexec_b64 s[14:15], s[16:17]
; %bb.670:
	s_xor_b64 s[4:5], exec, -1
; %bb.671:
	s_or_b64 exec, exec, s[14:15]
	s_and_b64 s[4:5], s[4:5], exec
	s_or_saveexec_b64 s[12:13], s[12:13]
	v_mov_b32_e32 v8, 0x7f800001
	s_xor_b64 exec, exec, s[12:13]
	s_cbranch_execz .LBB243_397
.LBB243_672:
	v_mov_b32_e32 v8, 0
	v_cmp_ne_u16_sdwa s[14:15], v15, v8 src0_sel:BYTE_0 src1_sel:DWORD
	s_andn2_b64 s[4:5], s[4:5], exec
	s_and_b64 s[14:15], s[14:15], exec
	s_or_b64 s[4:5], s[4:5], s[14:15]
	s_or_b64 exec, exec, s[12:13]
	s_and_saveexec_b64 s[12:13], s[4:5]
	s_cbranch_execnz .LBB243_398
	s_branch .LBB243_399
.Lfunc_end243:
	.size	_ZN2at6native25elementwise_kernel_helperILb0ENS0_13BinaryFunctorIN3c1015Float8_e5m2fnuzES4_bNS0_12_GLOBAL__N_116CompareEqFunctorIS4_EEEENS0_6memory8policies11unroll_baseILi256ESt5arrayIPcLm3EE23TrivialOffsetCalculatorILi2EjESF_ILi1EjENS9_15LoadWithoutCastENS9_16StoreWithoutCastELi16ELi1EEEEEvT0_T1_, .Lfunc_end243-_ZN2at6native25elementwise_kernel_helperILb0ENS0_13BinaryFunctorIN3c1015Float8_e5m2fnuzES4_bNS0_12_GLOBAL__N_116CompareEqFunctorIS4_EEEENS0_6memory8policies11unroll_baseILi256ESt5arrayIPcLm3EE23TrivialOffsetCalculatorILi2EjESF_ILi1EjENS9_15LoadWithoutCastENS9_16StoreWithoutCastELi16ELi1EEEEEvT0_T1_
                                        ; -- End function
	.set .L_ZN2at6native25elementwise_kernel_helperILb0ENS0_13BinaryFunctorIN3c1015Float8_e5m2fnuzES4_bNS0_12_GLOBAL__N_116CompareEqFunctorIS4_EEEENS0_6memory8policies11unroll_baseILi256ESt5arrayIPcLm3EE23TrivialOffsetCalculatorILi2EjESF_ILi1EjENS9_15LoadWithoutCastENS9_16StoreWithoutCastELi16ELi1EEEEEvT0_T1_.num_vgpr, 55
	.set .L_ZN2at6native25elementwise_kernel_helperILb0ENS0_13BinaryFunctorIN3c1015Float8_e5m2fnuzES4_bNS0_12_GLOBAL__N_116CompareEqFunctorIS4_EEEENS0_6memory8policies11unroll_baseILi256ESt5arrayIPcLm3EE23TrivialOffsetCalculatorILi2EjESF_ILi1EjENS9_15LoadWithoutCastENS9_16StoreWithoutCastELi16ELi1EEEEEvT0_T1_.num_agpr, 0
	.set .L_ZN2at6native25elementwise_kernel_helperILb0ENS0_13BinaryFunctorIN3c1015Float8_e5m2fnuzES4_bNS0_12_GLOBAL__N_116CompareEqFunctorIS4_EEEENS0_6memory8policies11unroll_baseILi256ESt5arrayIPcLm3EE23TrivialOffsetCalculatorILi2EjESF_ILi1EjENS9_15LoadWithoutCastENS9_16StoreWithoutCastELi16ELi1EEEEEvT0_T1_.numbered_sgpr, 57
	.set .L_ZN2at6native25elementwise_kernel_helperILb0ENS0_13BinaryFunctorIN3c1015Float8_e5m2fnuzES4_bNS0_12_GLOBAL__N_116CompareEqFunctorIS4_EEEENS0_6memory8policies11unroll_baseILi256ESt5arrayIPcLm3EE23TrivialOffsetCalculatorILi2EjESF_ILi1EjENS9_15LoadWithoutCastENS9_16StoreWithoutCastELi16ELi1EEEEEvT0_T1_.num_named_barrier, 0
	.set .L_ZN2at6native25elementwise_kernel_helperILb0ENS0_13BinaryFunctorIN3c1015Float8_e5m2fnuzES4_bNS0_12_GLOBAL__N_116CompareEqFunctorIS4_EEEENS0_6memory8policies11unroll_baseILi256ESt5arrayIPcLm3EE23TrivialOffsetCalculatorILi2EjESF_ILi1EjENS9_15LoadWithoutCastENS9_16StoreWithoutCastELi16ELi1EEEEEvT0_T1_.private_seg_size, 0
	.set .L_ZN2at6native25elementwise_kernel_helperILb0ENS0_13BinaryFunctorIN3c1015Float8_e5m2fnuzES4_bNS0_12_GLOBAL__N_116CompareEqFunctorIS4_EEEENS0_6memory8policies11unroll_baseILi256ESt5arrayIPcLm3EE23TrivialOffsetCalculatorILi2EjESF_ILi1EjENS9_15LoadWithoutCastENS9_16StoreWithoutCastELi16ELi1EEEEEvT0_T1_.uses_vcc, 1
	.set .L_ZN2at6native25elementwise_kernel_helperILb0ENS0_13BinaryFunctorIN3c1015Float8_e5m2fnuzES4_bNS0_12_GLOBAL__N_116CompareEqFunctorIS4_EEEENS0_6memory8policies11unroll_baseILi256ESt5arrayIPcLm3EE23TrivialOffsetCalculatorILi2EjESF_ILi1EjENS9_15LoadWithoutCastENS9_16StoreWithoutCastELi16ELi1EEEEEvT0_T1_.uses_flat_scratch, 0
	.set .L_ZN2at6native25elementwise_kernel_helperILb0ENS0_13BinaryFunctorIN3c1015Float8_e5m2fnuzES4_bNS0_12_GLOBAL__N_116CompareEqFunctorIS4_EEEENS0_6memory8policies11unroll_baseILi256ESt5arrayIPcLm3EE23TrivialOffsetCalculatorILi2EjESF_ILi1EjENS9_15LoadWithoutCastENS9_16StoreWithoutCastELi16ELi1EEEEEvT0_T1_.has_dyn_sized_stack, 0
	.set .L_ZN2at6native25elementwise_kernel_helperILb0ENS0_13BinaryFunctorIN3c1015Float8_e5m2fnuzES4_bNS0_12_GLOBAL__N_116CompareEqFunctorIS4_EEEENS0_6memory8policies11unroll_baseILi256ESt5arrayIPcLm3EE23TrivialOffsetCalculatorILi2EjESF_ILi1EjENS9_15LoadWithoutCastENS9_16StoreWithoutCastELi16ELi1EEEEEvT0_T1_.has_recursion, 0
	.set .L_ZN2at6native25elementwise_kernel_helperILb0ENS0_13BinaryFunctorIN3c1015Float8_e5m2fnuzES4_bNS0_12_GLOBAL__N_116CompareEqFunctorIS4_EEEENS0_6memory8policies11unroll_baseILi256ESt5arrayIPcLm3EE23TrivialOffsetCalculatorILi2EjESF_ILi1EjENS9_15LoadWithoutCastENS9_16StoreWithoutCastELi16ELi1EEEEEvT0_T1_.has_indirect_call, 0
	.section	.AMDGPU.csdata,"",@progbits
; Function info:
; codeLenInByte = 21476
; TotalNumSgprs: 61
; NumVgprs: 55
; ScratchSize: 0
; MemoryBound: 0
	.section	.text._ZN2at6native29vectorized_elementwise_kernelILi16ENS0_13BinaryFunctorIN3c1015Float8_e5m2fnuzES4_bNS0_12_GLOBAL__N_116CompareEqFunctorIS4_EEEESt5arrayIPcLm3EEEEviT0_T1_,"axG",@progbits,_ZN2at6native29vectorized_elementwise_kernelILi16ENS0_13BinaryFunctorIN3c1015Float8_e5m2fnuzES4_bNS0_12_GLOBAL__N_116CompareEqFunctorIS4_EEEESt5arrayIPcLm3EEEEviT0_T1_,comdat
	.globl	_ZN2at6native29vectorized_elementwise_kernelILi16ENS0_13BinaryFunctorIN3c1015Float8_e5m2fnuzES4_bNS0_12_GLOBAL__N_116CompareEqFunctorIS4_EEEESt5arrayIPcLm3EEEEviT0_T1_ ; -- Begin function _ZN2at6native29vectorized_elementwise_kernelILi16ENS0_13BinaryFunctorIN3c1015Float8_e5m2fnuzES4_bNS0_12_GLOBAL__N_116CompareEqFunctorIS4_EEEESt5arrayIPcLm3EEEEviT0_T1_
	.p2align	8
	.type	_ZN2at6native29vectorized_elementwise_kernelILi16ENS0_13BinaryFunctorIN3c1015Float8_e5m2fnuzES4_bNS0_12_GLOBAL__N_116CompareEqFunctorIS4_EEEESt5arrayIPcLm3EEEEviT0_T1_,@function
_ZN2at6native29vectorized_elementwise_kernelILi16ENS0_13BinaryFunctorIN3c1015Float8_e5m2fnuzES4_bNS0_12_GLOBAL__N_116CompareEqFunctorIS4_EEEESt5arrayIPcLm3EEEEviT0_T1_: ; @_ZN2at6native29vectorized_elementwise_kernelILi16ENS0_13BinaryFunctorIN3c1015Float8_e5m2fnuzES4_bNS0_12_GLOBAL__N_116CompareEqFunctorIS4_EEEESt5arrayIPcLm3EEEEviT0_T1_
; %bb.0:
	s_load_dwordx2 s[12:13], s[4:5], 0x0
	s_load_dwordx4 s[8:11], s[4:5], 0x8
	s_load_dwordx2 s[14:15], s[4:5], 0x18
	s_add_u32 s0, s0, s7
	s_addc_u32 s1, s1, 0
	s_lshl_b32 s33, s6, 12
	s_waitcnt lgkmcnt(0)
	s_sub_i32 s7, s12, s33
	s_cmpk_gt_i32 s7, 0xfff
	s_mov_b64 s[4:5], -1
	s_mov_b32 s32, 0
	s_cbranch_scc1 .LBB244_3
; %bb.1:
	s_and_b64 vcc, exec, s[4:5]
	s_cbranch_vccnz .LBB244_324
.LBB244_2:
	s_endpgm
.LBB244_3:
	s_ashr_i32 s12, s33, 31
	s_add_u32 s4, s10, s33
	s_addc_u32 s5, s11, s12
	v_lshlrev_b32_e32 v9, 4, v0
	s_add_u32 s16, s14, s33
	s_addc_u32 s17, s15, s12
	global_load_dwordx4 v[5:8], v9, s[4:5]
	global_load_dwordx4 v[1:4], v9, s[16:17]
	s_cmp_lg_u32 s13, 0
	s_cselect_b64 s[18:19], -1, 0
	s_and_b64 vcc, exec, s[18:19]
	s_cbranch_vccz .LBB244_13
; %bb.4:
	s_movk_i32 s4, 0x7f
	s_waitcnt vmcnt(1)
	v_cmp_gt_i16_sdwa s[16:17], v5, s4 src0_sel:BYTE_0 src1_sel:DWORD
	s_mov_b64 s[4:5], 0
	s_and_saveexec_b64 s[20:21], s[16:17]
	s_xor_b64 s[16:17], exec, s[20:21]
	s_cbranch_execnz .LBB244_325
; %bb.5:
	s_or_saveexec_b64 s[16:17], s[16:17]
	v_mov_b32_e32 v10, 0x7f800001
	s_xor_b64 exec, exec, s[16:17]
	s_cbranch_execnz .LBB244_328
.LBB244_6:
	s_or_b64 exec, exec, s[16:17]
	s_and_saveexec_b64 s[16:17], s[4:5]
	s_cbranch_execz .LBB244_8
.LBB244_7:
	v_and_b32_e32 v12, 3, v5
	v_ffbh_u32_e32 v13, v12
	v_min_u32_e32 v13, 32, v13
	v_lshrrev_b16_e32 v11, 2, v5
	v_subrev_u32_e32 v14, 29, v13
	v_and_b32_e32 v11, 31, v11
	v_lshlrev_b32_e32 v14, v14, v5
	v_sub_u32_e32 v13, 30, v13
	v_and_b32_e32 v14, 3, v14
	v_cmp_eq_u32_e32 vcc, 0, v11
	v_lshlrev_b32_e32 v10, 24, v5
	v_cndmask_b32_e32 v11, v11, v13, vcc
	v_cndmask_b32_e32 v12, v12, v14, vcc
	v_mov_b32_e32 v13, 0x37800000
	v_lshlrev_b32_e32 v12, 21, v12
	v_and_b32_e32 v10, 0x80000000, v10
	v_lshl_add_u32 v11, v11, 23, v13
	v_or3_b32 v10, v10, v11, v12
.LBB244_8:
	s_or_b64 exec, exec, s[16:17]
	s_movk_i32 s4, 0x7f
	s_waitcnt vmcnt(0)
	v_cmp_gt_i16_sdwa s[16:17], v1, s4 src0_sel:BYTE_0 src1_sel:DWORD
	s_mov_b64 s[4:5], 0
	s_and_saveexec_b64 s[20:21], s[16:17]
	s_xor_b64 s[16:17], exec, s[20:21]
	s_cbranch_execnz .LBB244_329
; %bb.9:
	s_or_saveexec_b64 s[16:17], s[16:17]
	v_mov_b32_e32 v11, 0x7f800001
	s_xor_b64 exec, exec, s[16:17]
	s_cbranch_execnz .LBB244_332
.LBB244_10:
	s_or_b64 exec, exec, s[16:17]
	s_and_saveexec_b64 s[16:17], s[4:5]
	s_cbranch_execz .LBB244_12
.LBB244_11:
	v_and_b32_e32 v13, 3, v1
	v_ffbh_u32_e32 v14, v13
	v_min_u32_e32 v14, 32, v14
	v_lshrrev_b16_e32 v12, 2, v1
	v_subrev_u32_e32 v15, 29, v14
	v_and_b32_e32 v12, 31, v12
	v_lshlrev_b32_e32 v15, v15, v1
	v_sub_u32_e32 v14, 30, v14
	v_and_b32_e32 v15, 3, v15
	v_cmp_eq_u32_e32 vcc, 0, v12
	v_lshlrev_b32_e32 v11, 24, v1
	v_cndmask_b32_e32 v12, v12, v14, vcc
	v_cndmask_b32_e32 v13, v13, v15, vcc
	v_mov_b32_e32 v14, 0x37800000
	v_lshlrev_b32_e32 v13, 21, v13
	v_and_b32_e32 v11, 0x80000000, v11
	v_lshl_add_u32 v12, v12, 23, v14
	v_or3_b32 v11, v11, v12, v13
.LBB244_12:
	s_or_b64 exec, exec, s[16:17]
	v_cmp_neq_f32_e64 s[16:17], v10, v11
	s_branch .LBB244_23
.LBB244_13:
                                        ; implicit-def: $sgpr16_sgpr17
	s_cbranch_execz .LBB244_23
; %bb.14:
	s_movk_i32 s4, 0x7f
	s_waitcnt vmcnt(1)
	v_cmp_gt_i16_sdwa s[16:17], v5, s4 src0_sel:BYTE_0 src1_sel:DWORD
	s_mov_b64 s[4:5], 0
	s_and_saveexec_b64 s[20:21], s[16:17]
	s_xor_b64 s[16:17], exec, s[20:21]
	s_cbranch_execnz .LBB244_453
; %bb.15:
	s_or_saveexec_b64 s[16:17], s[16:17]
	v_mov_b32_e32 v10, 0x7f800001
	s_xor_b64 exec, exec, s[16:17]
	s_cbranch_execnz .LBB244_456
.LBB244_16:
	s_or_b64 exec, exec, s[16:17]
	s_and_saveexec_b64 s[16:17], s[4:5]
	s_cbranch_execz .LBB244_18
.LBB244_17:
	v_and_b32_e32 v12, 3, v5
	v_ffbh_u32_e32 v13, v12
	v_min_u32_e32 v13, 32, v13
	v_lshrrev_b16_e32 v11, 2, v5
	v_subrev_u32_e32 v14, 29, v13
	v_and_b32_e32 v11, 31, v11
	v_lshlrev_b32_e32 v14, v14, v5
	v_sub_u32_e32 v13, 30, v13
	v_and_b32_e32 v14, 3, v14
	v_cmp_eq_u32_e32 vcc, 0, v11
	v_lshlrev_b32_e32 v10, 24, v5
	v_cndmask_b32_e32 v11, v11, v13, vcc
	v_cndmask_b32_e32 v12, v12, v14, vcc
	v_mov_b32_e32 v13, 0x37800000
	v_lshlrev_b32_e32 v12, 21, v12
	v_and_b32_e32 v10, 0x80000000, v10
	v_lshl_add_u32 v11, v11, 23, v13
	v_or3_b32 v10, v10, v11, v12
.LBB244_18:
	s_or_b64 exec, exec, s[16:17]
	s_movk_i32 s4, 0x7f
	s_waitcnt vmcnt(0)
	v_cmp_gt_i16_sdwa s[16:17], v1, s4 src0_sel:BYTE_0 src1_sel:DWORD
	s_mov_b64 s[4:5], 0
	s_and_saveexec_b64 s[20:21], s[16:17]
	s_xor_b64 s[16:17], exec, s[20:21]
	s_cbranch_execnz .LBB244_457
; %bb.19:
	s_or_saveexec_b64 s[16:17], s[16:17]
	v_mov_b32_e32 v11, 0x7f800001
	s_xor_b64 exec, exec, s[16:17]
	s_cbranch_execnz .LBB244_460
.LBB244_20:
	s_or_b64 exec, exec, s[16:17]
	s_and_saveexec_b64 s[16:17], s[4:5]
	s_cbranch_execz .LBB244_22
.LBB244_21:
	v_and_b32_e32 v13, 3, v1
	v_ffbh_u32_e32 v14, v13
	v_min_u32_e32 v14, 32, v14
	v_lshrrev_b16_e32 v12, 2, v1
	v_subrev_u32_e32 v15, 29, v14
	v_and_b32_e32 v12, 31, v12
	v_lshlrev_b32_e32 v15, v15, v1
	v_sub_u32_e32 v14, 30, v14
	v_and_b32_e32 v15, 3, v15
	v_cmp_eq_u32_e32 vcc, 0, v12
	v_lshlrev_b32_e32 v11, 24, v1
	v_cndmask_b32_e32 v12, v12, v14, vcc
	v_cndmask_b32_e32 v13, v13, v15, vcc
	v_mov_b32_e32 v14, 0x37800000
	v_lshlrev_b32_e32 v13, 21, v13
	v_and_b32_e32 v11, 0x80000000, v11
	v_lshl_add_u32 v12, v12, 23, v14
	v_or3_b32 v11, v11, v12, v13
.LBB244_22:
	s_or_b64 exec, exec, s[16:17]
	v_cmp_eq_f32_e64 s[16:17], v10, v11
.LBB244_23:
	v_cndmask_b32_e64 v18, 0, 1, s[18:19]
	s_waitcnt vmcnt(1)
	v_lshrrev_b32_e32 v11, 8, v8
	v_lshrrev_b32_e32 v13, 8, v7
	;; [unrolled: 1-line block ×4, first 2 shown]
	s_waitcnt vmcnt(0)
	v_lshrrev_b32_e32 v10, 8, v4
	v_lshrrev_b32_e32 v12, 8, v3
	;; [unrolled: 1-line block ×4, first 2 shown]
	v_cmp_ne_u32_e64 s[4:5], 1, v18
	s_andn2_b64 vcc, exec, s[18:19]
	s_cbranch_vccnz .LBB244_173
; %bb.24:
	s_movk_i32 s18, 0x7f
	v_cmp_gt_i16_sdwa s[20:21], v17, s18 src0_sel:BYTE_0 src1_sel:DWORD
	s_mov_b64 s[18:19], 0
	s_and_saveexec_b64 s[22:23], s[20:21]
	s_xor_b64 s[20:21], exec, s[22:23]
	s_cbranch_execnz .LBB244_333
; %bb.25:
	s_or_saveexec_b64 s[20:21], s[20:21]
	v_mov_b32_e32 v18, 0x7f800001
	s_xor_b64 exec, exec, s[20:21]
	s_cbranch_execnz .LBB244_336
.LBB244_26:
	s_or_b64 exec, exec, s[20:21]
	s_and_saveexec_b64 s[20:21], s[18:19]
	s_cbranch_execz .LBB244_28
.LBB244_27:
	v_and_b32_e32 v20, 3, v17
	v_ffbh_u32_e32 v21, v20
	v_min_u32_e32 v21, 32, v21
	v_lshrrev_b16_e32 v19, 2, v17
	v_subrev_u32_e32 v22, 29, v21
	v_and_b32_e32 v19, 31, v19
	v_lshlrev_b32_e32 v22, v22, v17
	v_sub_u32_e32 v21, 30, v21
	v_and_b32_e32 v22, 3, v22
	v_cmp_eq_u32_e32 vcc, 0, v19
	v_lshlrev_b32_e32 v18, 24, v17
	v_cndmask_b32_e32 v19, v19, v21, vcc
	v_cndmask_b32_e32 v20, v20, v22, vcc
	v_mov_b32_e32 v21, 0x37800000
	v_lshlrev_b32_e32 v20, 21, v20
	v_and_b32_e32 v18, 0x80000000, v18
	v_lshl_add_u32 v19, v19, 23, v21
	v_or3_b32 v18, v18, v19, v20
.LBB244_28:
	s_or_b64 exec, exec, s[20:21]
	s_movk_i32 s18, 0x7f
	v_cmp_gt_i16_sdwa s[20:21], v16, s18 src0_sel:BYTE_0 src1_sel:DWORD
	s_mov_b64 s[18:19], 0
	s_and_saveexec_b64 s[22:23], s[20:21]
	s_xor_b64 s[20:21], exec, s[22:23]
	s_cbranch_execnz .LBB244_337
; %bb.29:
	s_or_saveexec_b64 s[20:21], s[20:21]
	v_mov_b32_e32 v19, 0x7f800001
	s_xor_b64 exec, exec, s[20:21]
	s_cbranch_execnz .LBB244_340
.LBB244_30:
	s_or_b64 exec, exec, s[20:21]
	s_and_saveexec_b64 s[20:21], s[18:19]
	s_cbranch_execz .LBB244_32
.LBB244_31:
	v_and_b32_e32 v21, 3, v16
	v_ffbh_u32_e32 v22, v21
	v_min_u32_e32 v22, 32, v22
	v_lshrrev_b16_e32 v20, 2, v16
	v_subrev_u32_e32 v23, 29, v22
	v_and_b32_e32 v20, 31, v20
	v_lshlrev_b32_e32 v23, v23, v16
	v_sub_u32_e32 v22, 30, v22
	v_and_b32_e32 v23, 3, v23
	v_cmp_eq_u32_e32 vcc, 0, v20
	v_lshlrev_b32_e32 v19, 24, v16
	v_cndmask_b32_e32 v20, v20, v22, vcc
	v_cndmask_b32_e32 v21, v21, v23, vcc
	v_mov_b32_e32 v22, 0x37800000
	v_lshlrev_b32_e32 v21, 21, v21
	v_and_b32_e32 v19, 0x80000000, v19
	v_lshl_add_u32 v20, v20, 23, v22
	v_or3_b32 v19, v19, v20, v21
.LBB244_32:
	s_or_b64 exec, exec, s[20:21]
	v_cmp_neq_f32_e64 s[18:19], v18, v19
.LBB244_33:
	s_and_b64 vcc, exec, s[4:5]
	s_cbranch_vccnz .LBB244_183
.LBB244_34:
	s_movk_i32 s20, 0xff
	v_and_b32_sdwa v17, v5, s20 dst_sel:DWORD dst_unused:UNUSED_PAD src0_sel:WORD_1 src1_sel:DWORD
	s_movk_i32 s20, 0x7f
	v_cmp_lt_i16_e32 vcc, s20, v17
	s_mov_b64 s[20:21], 0
	s_and_saveexec_b64 s[22:23], vcc
	s_xor_b64 s[22:23], exec, s[22:23]
	s_cbranch_execnz .LBB244_341
; %bb.35:
	s_or_saveexec_b64 s[22:23], s[22:23]
	v_mov_b32_e32 v16, 0x7f800001
	s_xor_b64 exec, exec, s[22:23]
	s_cbranch_execnz .LBB244_344
.LBB244_36:
	s_or_b64 exec, exec, s[22:23]
	s_and_saveexec_b64 s[22:23], s[20:21]
	s_cbranch_execz .LBB244_38
.LBB244_37:
	v_mov_b32_e32 v18, 3
	v_and_b32_sdwa v18, v5, v18 dst_sel:DWORD dst_unused:UNUSED_PAD src0_sel:WORD_1 src1_sel:DWORD
	v_ffbh_u32_e32 v19, v18
	v_mov_b32_e32 v17, 2
	v_min_u32_e32 v19, 32, v19
	v_lshrrev_b16_sdwa v17, v17, v5 dst_sel:DWORD dst_unused:UNUSED_PAD src0_sel:DWORD src1_sel:WORD_1
	v_subrev_u32_e32 v20, 29, v19
	v_and_b32_e32 v17, 31, v17
	v_lshlrev_b32_sdwa v20, v20, v5 dst_sel:DWORD dst_unused:UNUSED_PAD src0_sel:DWORD src1_sel:WORD_1
	v_mov_b32_e32 v16, 24
	v_sub_u32_e32 v19, 30, v19
	v_and_b32_e32 v20, 3, v20
	v_cmp_eq_u32_e32 vcc, 0, v17
	v_lshlrev_b32_sdwa v16, v16, v5 dst_sel:DWORD dst_unused:UNUSED_PAD src0_sel:DWORD src1_sel:WORD_1
	v_cndmask_b32_e32 v17, v17, v19, vcc
	v_cndmask_b32_e32 v18, v18, v20, vcc
	v_mov_b32_e32 v19, 0x37800000
	v_lshlrev_b32_e32 v18, 21, v18
	v_and_b32_e32 v16, 0x80000000, v16
	v_lshl_add_u32 v17, v17, 23, v19
	v_or3_b32 v16, v16, v17, v18
.LBB244_38:
	s_or_b64 exec, exec, s[22:23]
	s_movk_i32 s20, 0xff
	v_and_b32_sdwa v17, v1, s20 dst_sel:DWORD dst_unused:UNUSED_PAD src0_sel:WORD_1 src1_sel:DWORD
	s_movk_i32 s20, 0x7f
	v_cmp_lt_i16_e32 vcc, s20, v17
	s_mov_b64 s[20:21], 0
	s_and_saveexec_b64 s[22:23], vcc
	s_xor_b64 s[22:23], exec, s[22:23]
	s_cbranch_execnz .LBB244_345
; %bb.39:
	s_or_saveexec_b64 s[22:23], s[22:23]
	v_mov_b32_e32 v18, 0x7f800001
	s_xor_b64 exec, exec, s[22:23]
	s_cbranch_execnz .LBB244_348
.LBB244_40:
	s_or_b64 exec, exec, s[22:23]
	s_and_saveexec_b64 s[22:23], s[20:21]
	s_cbranch_execz .LBB244_42
.LBB244_41:
	v_mov_b32_e32 v19, 3
	v_and_b32_sdwa v19, v1, v19 dst_sel:DWORD dst_unused:UNUSED_PAD src0_sel:WORD_1 src1_sel:DWORD
	v_ffbh_u32_e32 v20, v19
	v_mov_b32_e32 v18, 2
	v_min_u32_e32 v20, 32, v20
	v_lshrrev_b16_sdwa v18, v18, v1 dst_sel:DWORD dst_unused:UNUSED_PAD src0_sel:DWORD src1_sel:WORD_1
	v_subrev_u32_e32 v21, 29, v20
	v_and_b32_e32 v18, 31, v18
	v_lshlrev_b32_sdwa v21, v21, v1 dst_sel:DWORD dst_unused:UNUSED_PAD src0_sel:DWORD src1_sel:WORD_1
	v_mov_b32_e32 v17, 24
	v_sub_u32_e32 v20, 30, v20
	v_and_b32_e32 v21, 3, v21
	v_cmp_eq_u32_e32 vcc, 0, v18
	v_lshlrev_b32_sdwa v17, v17, v1 dst_sel:DWORD dst_unused:UNUSED_PAD src0_sel:DWORD src1_sel:WORD_1
	v_cndmask_b32_e32 v18, v18, v20, vcc
	v_cndmask_b32_e32 v19, v19, v21, vcc
	v_mov_b32_e32 v20, 0x37800000
	v_lshlrev_b32_e32 v19, 21, v19
	v_and_b32_e32 v17, 0x80000000, v17
	v_lshl_add_u32 v18, v18, 23, v20
	v_or3_b32 v18, v17, v18, v19
.LBB244_42:
	s_or_b64 exec, exec, s[22:23]
	v_cmp_neq_f32_e64 s[20:21], v16, v18
.LBB244_43:
	s_and_b64 vcc, exec, s[4:5]
	s_cbranch_vccnz .LBB244_193
.LBB244_44:
	s_movk_i32 s22, 0x7f
	v_cmp_gt_i16_sdwa s[24:25], v5, s22 src0_sel:BYTE_3 src1_sel:DWORD
	s_mov_b64 s[22:23], 0
	s_and_saveexec_b64 s[26:27], s[24:25]
	s_xor_b64 s[24:25], exec, s[26:27]
	s_cbranch_execnz .LBB244_349
; %bb.45:
	s_or_saveexec_b64 s[24:25], s[24:25]
	v_mov_b32_e32 v16, 0x7f800001
	s_xor_b64 exec, exec, s[24:25]
	s_cbranch_execnz .LBB244_352
.LBB244_46:
	s_or_b64 exec, exec, s[24:25]
	s_and_saveexec_b64 s[24:25], s[22:23]
	s_cbranch_execz .LBB244_48
.LBB244_47:
	s_mov_b32 s22, 0xffff
	v_and_b32_sdwa v17, s22, v5 dst_sel:DWORD dst_unused:UNUSED_PAD src0_sel:DWORD src1_sel:BYTE_3
	v_and_b32_e32 v18, 3, v17
	v_ffbh_u32_e32 v20, v18
	v_min_u32_e32 v20, 32, v20
	v_subrev_u32_e32 v21, 29, v20
	v_bfe_u32 v19, v17, 2, 5
	v_lshlrev_b32_e32 v17, v21, v17
	v_mov_b32_e32 v16, 24
	v_sub_u32_e32 v20, 30, v20
	v_and_b32_e32 v17, 3, v17
	v_cmp_eq_u32_e32 vcc, 0, v19
	v_lshlrev_b32_sdwa v16, v16, v5 dst_sel:DWORD dst_unused:UNUSED_PAD src0_sel:DWORD src1_sel:BYTE_3
	v_cndmask_b32_e32 v19, v19, v20, vcc
	v_cndmask_b32_e32 v17, v18, v17, vcc
	v_mov_b32_e32 v18, 0x37800000
	v_lshlrev_b32_e32 v17, 21, v17
	v_and_b32_e32 v16, 0x80000000, v16
	v_lshl_add_u32 v18, v19, 23, v18
	v_or3_b32 v16, v16, v18, v17
.LBB244_48:
	s_or_b64 exec, exec, s[24:25]
	s_movk_i32 s22, 0x7f
	v_cmp_gt_i16_sdwa s[24:25], v1, s22 src0_sel:BYTE_3 src1_sel:DWORD
	s_mov_b64 s[22:23], 0
	s_and_saveexec_b64 s[26:27], s[24:25]
	s_xor_b64 s[24:25], exec, s[26:27]
	s_cbranch_execnz .LBB244_353
; %bb.49:
	s_or_saveexec_b64 s[24:25], s[24:25]
	v_mov_b32_e32 v17, 0x7f800001
	s_xor_b64 exec, exec, s[24:25]
	s_cbranch_execnz .LBB244_356
.LBB244_50:
	s_or_b64 exec, exec, s[24:25]
	s_and_saveexec_b64 s[24:25], s[22:23]
	s_cbranch_execz .LBB244_52
.LBB244_51:
	s_mov_b32 s22, 0xffff
	v_and_b32_sdwa v18, s22, v1 dst_sel:DWORD dst_unused:UNUSED_PAD src0_sel:DWORD src1_sel:BYTE_3
	v_and_b32_e32 v19, 3, v18
	v_ffbh_u32_e32 v21, v19
	v_min_u32_e32 v21, 32, v21
	v_subrev_u32_e32 v22, 29, v21
	v_bfe_u32 v20, v18, 2, 5
	v_lshlrev_b32_e32 v18, v22, v18
	v_mov_b32_e32 v17, 24
	v_sub_u32_e32 v21, 30, v21
	v_and_b32_e32 v18, 3, v18
	v_cmp_eq_u32_e32 vcc, 0, v20
	v_lshlrev_b32_sdwa v17, v17, v1 dst_sel:DWORD dst_unused:UNUSED_PAD src0_sel:DWORD src1_sel:BYTE_3
	v_cndmask_b32_e32 v20, v20, v21, vcc
	v_cndmask_b32_e32 v18, v19, v18, vcc
	v_mov_b32_e32 v19, 0x37800000
	v_lshlrev_b32_e32 v18, 21, v18
	v_and_b32_e32 v17, 0x80000000, v17
	v_lshl_add_u32 v19, v20, 23, v19
	v_or3_b32 v17, v17, v19, v18
.LBB244_52:
	s_or_b64 exec, exec, s[24:25]
	v_cmp_neq_f32_e64 s[22:23], v16, v17
.LBB244_53:
	s_and_b64 vcc, exec, s[4:5]
	s_cbranch_vccnz .LBB244_203
.LBB244_54:
	s_movk_i32 s24, 0x7f
	v_cmp_gt_i16_sdwa s[26:27], v6, s24 src0_sel:BYTE_0 src1_sel:DWORD
	s_mov_b64 s[24:25], 0
	s_and_saveexec_b64 s[28:29], s[26:27]
	s_xor_b64 s[26:27], exec, s[28:29]
	s_cbranch_execnz .LBB244_357
; %bb.55:
	s_or_saveexec_b64 s[26:27], s[26:27]
	v_mov_b32_e32 v1, 0x7f800001
	s_xor_b64 exec, exec, s[26:27]
	s_cbranch_execnz .LBB244_360
.LBB244_56:
	s_or_b64 exec, exec, s[26:27]
	s_and_saveexec_b64 s[26:27], s[24:25]
	s_cbranch_execz .LBB244_58
.LBB244_57:
	v_and_b32_e32 v16, 3, v6
	v_ffbh_u32_e32 v17, v16
	v_min_u32_e32 v17, 32, v17
	v_lshrrev_b16_e32 v5, 2, v6
	v_subrev_u32_e32 v18, 29, v17
	v_and_b32_e32 v5, 31, v5
	v_lshlrev_b32_e32 v18, v18, v6
	v_sub_u32_e32 v17, 30, v17
	v_and_b32_e32 v18, 3, v18
	v_cmp_eq_u32_e32 vcc, 0, v5
	v_lshlrev_b32_e32 v1, 24, v6
	v_cndmask_b32_e32 v5, v5, v17, vcc
	v_cndmask_b32_e32 v16, v16, v18, vcc
	v_mov_b32_e32 v17, 0x37800000
	v_lshlrev_b32_e32 v16, 21, v16
	v_and_b32_e32 v1, 0x80000000, v1
	v_lshl_add_u32 v5, v5, 23, v17
	v_or3_b32 v1, v1, v5, v16
.LBB244_58:
	s_or_b64 exec, exec, s[26:27]
	s_movk_i32 s24, 0x7f
	v_cmp_gt_i16_sdwa s[26:27], v2, s24 src0_sel:BYTE_0 src1_sel:DWORD
	s_mov_b64 s[24:25], 0
	s_and_saveexec_b64 s[28:29], s[26:27]
	s_xor_b64 s[26:27], exec, s[28:29]
	s_cbranch_execnz .LBB244_361
; %bb.59:
	s_or_saveexec_b64 s[26:27], s[26:27]
	v_mov_b32_e32 v5, 0x7f800001
	s_xor_b64 exec, exec, s[26:27]
	s_cbranch_execnz .LBB244_364
.LBB244_60:
	s_or_b64 exec, exec, s[26:27]
	s_and_saveexec_b64 s[26:27], s[24:25]
	s_cbranch_execz .LBB244_62
.LBB244_61:
	v_and_b32_e32 v17, 3, v2
	v_ffbh_u32_e32 v18, v17
	v_min_u32_e32 v18, 32, v18
	v_lshrrev_b16_e32 v16, 2, v2
	v_subrev_u32_e32 v19, 29, v18
	v_and_b32_e32 v16, 31, v16
	v_lshlrev_b32_e32 v19, v19, v2
	v_sub_u32_e32 v18, 30, v18
	v_and_b32_e32 v19, 3, v19
	v_cmp_eq_u32_e32 vcc, 0, v16
	v_lshlrev_b32_e32 v5, 24, v2
	v_cndmask_b32_e32 v16, v16, v18, vcc
	v_cndmask_b32_e32 v17, v17, v19, vcc
	v_mov_b32_e32 v18, 0x37800000
	v_lshlrev_b32_e32 v17, 21, v17
	v_and_b32_e32 v5, 0x80000000, v5
	v_lshl_add_u32 v16, v16, 23, v18
	v_or3_b32 v5, v5, v16, v17
.LBB244_62:
	s_or_b64 exec, exec, s[26:27]
	v_cmp_neq_f32_e64 s[24:25], v1, v5
.LBB244_63:
	s_and_b64 vcc, exec, s[4:5]
	s_cbranch_vccnz .LBB244_213
.LBB244_64:
	s_movk_i32 s26, 0x7f
	v_cmp_gt_i16_sdwa s[28:29], v15, s26 src0_sel:BYTE_0 src1_sel:DWORD
	s_mov_b64 s[26:27], 0
	s_and_saveexec_b64 s[30:31], s[28:29]
	s_xor_b64 s[28:29], exec, s[30:31]
	s_cbranch_execnz .LBB244_365
; %bb.65:
	s_or_saveexec_b64 s[28:29], s[28:29]
	v_mov_b32_e32 v1, 0x7f800001
	s_xor_b64 exec, exec, s[28:29]
	s_cbranch_execnz .LBB244_368
.LBB244_66:
	s_or_b64 exec, exec, s[28:29]
	s_and_saveexec_b64 s[28:29], s[26:27]
	s_cbranch_execz .LBB244_68
.LBB244_67:
	v_and_b32_e32 v16, 3, v15
	v_ffbh_u32_e32 v17, v16
	v_min_u32_e32 v17, 32, v17
	v_lshrrev_b16_e32 v5, 2, v15
	v_subrev_u32_e32 v18, 29, v17
	v_and_b32_e32 v5, 31, v5
	v_lshlrev_b32_e32 v18, v18, v15
	v_sub_u32_e32 v17, 30, v17
	v_and_b32_e32 v18, 3, v18
	v_cmp_eq_u32_e32 vcc, 0, v5
	v_lshlrev_b32_e32 v1, 24, v15
	v_cndmask_b32_e32 v5, v5, v17, vcc
	v_cndmask_b32_e32 v16, v16, v18, vcc
	v_mov_b32_e32 v17, 0x37800000
	v_lshlrev_b32_e32 v16, 21, v16
	v_and_b32_e32 v1, 0x80000000, v1
	v_lshl_add_u32 v5, v5, 23, v17
	v_or3_b32 v1, v1, v5, v16
.LBB244_68:
	s_or_b64 exec, exec, s[28:29]
	s_movk_i32 s26, 0x7f
	v_cmp_gt_i16_sdwa s[28:29], v14, s26 src0_sel:BYTE_0 src1_sel:DWORD
	s_mov_b64 s[26:27], 0
	s_and_saveexec_b64 s[30:31], s[28:29]
	s_xor_b64 s[28:29], exec, s[30:31]
	s_cbranch_execnz .LBB244_369
; %bb.69:
	s_or_saveexec_b64 s[28:29], s[28:29]
	v_mov_b32_e32 v5, 0x7f800001
	s_xor_b64 exec, exec, s[28:29]
	s_cbranch_execnz .LBB244_372
.LBB244_70:
	s_or_b64 exec, exec, s[28:29]
	s_and_saveexec_b64 s[28:29], s[26:27]
	s_cbranch_execz .LBB244_72
.LBB244_71:
	v_and_b32_e32 v17, 3, v14
	v_ffbh_u32_e32 v18, v17
	v_min_u32_e32 v18, 32, v18
	v_lshrrev_b16_e32 v16, 2, v14
	v_subrev_u32_e32 v19, 29, v18
	v_and_b32_e32 v16, 31, v16
	v_lshlrev_b32_e32 v19, v19, v14
	v_sub_u32_e32 v18, 30, v18
	v_and_b32_e32 v19, 3, v19
	v_cmp_eq_u32_e32 vcc, 0, v16
	v_lshlrev_b32_e32 v5, 24, v14
	v_cndmask_b32_e32 v16, v16, v18, vcc
	v_cndmask_b32_e32 v17, v17, v19, vcc
	v_mov_b32_e32 v18, 0x37800000
	v_lshlrev_b32_e32 v17, 21, v17
	v_and_b32_e32 v5, 0x80000000, v5
	v_lshl_add_u32 v16, v16, 23, v18
	v_or3_b32 v5, v5, v16, v17
.LBB244_72:
	s_or_b64 exec, exec, s[28:29]
	v_cmp_neq_f32_e64 s[26:27], v1, v5
.LBB244_73:
	s_and_b64 vcc, exec, s[4:5]
	s_cbranch_vccnz .LBB244_223
.LBB244_74:
	s_movk_i32 s28, 0xff
	v_and_b32_sdwa v5, v6, s28 dst_sel:DWORD dst_unused:UNUSED_PAD src0_sel:WORD_1 src1_sel:DWORD
	s_movk_i32 s28, 0x7f
	v_cmp_lt_i16_e32 vcc, s28, v5
	s_mov_b64 s[28:29], 0
	s_and_saveexec_b64 s[30:31], vcc
	s_xor_b64 s[30:31], exec, s[30:31]
	s_cbranch_execnz .LBB244_373
; %bb.75:
	s_or_saveexec_b64 s[30:31], s[30:31]
	v_mov_b32_e32 v1, 0x7f800001
	s_xor_b64 exec, exec, s[30:31]
	s_cbranch_execnz .LBB244_376
.LBB244_76:
	s_or_b64 exec, exec, s[30:31]
	s_and_saveexec_b64 s[30:31], s[28:29]
	s_cbranch_execz .LBB244_78
.LBB244_77:
	v_mov_b32_e32 v14, 3
	v_and_b32_sdwa v14, v6, v14 dst_sel:DWORD dst_unused:UNUSED_PAD src0_sel:WORD_1 src1_sel:DWORD
	v_ffbh_u32_e32 v15, v14
	v_mov_b32_e32 v5, 2
	v_min_u32_e32 v15, 32, v15
	v_lshrrev_b16_sdwa v5, v5, v6 dst_sel:DWORD dst_unused:UNUSED_PAD src0_sel:DWORD src1_sel:WORD_1
	v_subrev_u32_e32 v16, 29, v15
	v_and_b32_e32 v5, 31, v5
	v_lshlrev_b32_sdwa v16, v16, v6 dst_sel:DWORD dst_unused:UNUSED_PAD src0_sel:DWORD src1_sel:WORD_1
	v_mov_b32_e32 v1, 24
	v_sub_u32_e32 v15, 30, v15
	v_and_b32_e32 v16, 3, v16
	v_cmp_eq_u32_e32 vcc, 0, v5
	v_lshlrev_b32_sdwa v1, v1, v6 dst_sel:DWORD dst_unused:UNUSED_PAD src0_sel:DWORD src1_sel:WORD_1
	v_cndmask_b32_e32 v5, v5, v15, vcc
	v_cndmask_b32_e32 v14, v14, v16, vcc
	v_mov_b32_e32 v15, 0x37800000
	v_lshlrev_b32_e32 v14, 21, v14
	v_and_b32_e32 v1, 0x80000000, v1
	v_lshl_add_u32 v5, v5, 23, v15
	v_or3_b32 v1, v1, v5, v14
.LBB244_78:
	s_or_b64 exec, exec, s[30:31]
	s_movk_i32 s28, 0xff
	v_and_b32_sdwa v5, v2, s28 dst_sel:DWORD dst_unused:UNUSED_PAD src0_sel:WORD_1 src1_sel:DWORD
	s_movk_i32 s28, 0x7f
	v_cmp_lt_i16_e32 vcc, s28, v5
	s_mov_b64 s[28:29], 0
	s_and_saveexec_b64 s[30:31], vcc
	s_xor_b64 s[30:31], exec, s[30:31]
	s_cbranch_execnz .LBB244_377
; %bb.79:
	s_or_saveexec_b64 s[30:31], s[30:31]
	v_mov_b32_e32 v14, 0x7f800001
	s_xor_b64 exec, exec, s[30:31]
	s_cbranch_execnz .LBB244_380
.LBB244_80:
	s_or_b64 exec, exec, s[30:31]
	s_and_saveexec_b64 s[30:31], s[28:29]
	s_cbranch_execz .LBB244_82
.LBB244_81:
	v_mov_b32_e32 v15, 3
	v_and_b32_sdwa v15, v2, v15 dst_sel:DWORD dst_unused:UNUSED_PAD src0_sel:WORD_1 src1_sel:DWORD
	v_ffbh_u32_e32 v16, v15
	v_mov_b32_e32 v14, 2
	v_min_u32_e32 v16, 32, v16
	v_lshrrev_b16_sdwa v14, v14, v2 dst_sel:DWORD dst_unused:UNUSED_PAD src0_sel:DWORD src1_sel:WORD_1
	v_subrev_u32_e32 v17, 29, v16
	v_and_b32_e32 v14, 31, v14
	v_lshlrev_b32_sdwa v17, v17, v2 dst_sel:DWORD dst_unused:UNUSED_PAD src0_sel:DWORD src1_sel:WORD_1
	v_mov_b32_e32 v5, 24
	v_sub_u32_e32 v16, 30, v16
	v_and_b32_e32 v17, 3, v17
	v_cmp_eq_u32_e32 vcc, 0, v14
	v_lshlrev_b32_sdwa v5, v5, v2 dst_sel:DWORD dst_unused:UNUSED_PAD src0_sel:DWORD src1_sel:WORD_1
	v_cndmask_b32_e32 v14, v14, v16, vcc
	v_cndmask_b32_e32 v15, v15, v17, vcc
	v_mov_b32_e32 v16, 0x37800000
	v_lshlrev_b32_e32 v15, 21, v15
	v_and_b32_e32 v5, 0x80000000, v5
	v_lshl_add_u32 v14, v14, 23, v16
	v_or3_b32 v14, v5, v14, v15
.LBB244_82:
	s_or_b64 exec, exec, s[30:31]
	v_cmp_neq_f32_e64 s[28:29], v1, v14
.LBB244_83:
	s_and_b64 vcc, exec, s[4:5]
	s_cbranch_vccnz .LBB244_233
.LBB244_84:
	s_movk_i32 s30, 0x7f
	v_cmp_gt_i16_sdwa s[34:35], v6, s30 src0_sel:BYTE_3 src1_sel:DWORD
	s_mov_b64 s[30:31], 0
	s_and_saveexec_b64 s[36:37], s[34:35]
	s_xor_b64 s[34:35], exec, s[36:37]
	s_cbranch_execnz .LBB244_381
; %bb.85:
	s_or_saveexec_b64 s[34:35], s[34:35]
	v_mov_b32_e32 v1, 0x7f800001
	s_xor_b64 exec, exec, s[34:35]
	s_cbranch_execnz .LBB244_384
.LBB244_86:
	s_or_b64 exec, exec, s[34:35]
	s_and_saveexec_b64 s[34:35], s[30:31]
	s_cbranch_execz .LBB244_88
.LBB244_87:
	s_mov_b32 s30, 0xffff
	v_and_b32_sdwa v5, s30, v6 dst_sel:DWORD dst_unused:UNUSED_PAD src0_sel:DWORD src1_sel:BYTE_3
	v_and_b32_e32 v14, 3, v5
	v_ffbh_u32_e32 v16, v14
	v_min_u32_e32 v16, 32, v16
	v_subrev_u32_e32 v17, 29, v16
	v_bfe_u32 v15, v5, 2, 5
	v_lshlrev_b32_e32 v5, v17, v5
	v_mov_b32_e32 v1, 24
	v_sub_u32_e32 v16, 30, v16
	v_and_b32_e32 v5, 3, v5
	v_cmp_eq_u32_e32 vcc, 0, v15
	v_lshlrev_b32_sdwa v1, v1, v6 dst_sel:DWORD dst_unused:UNUSED_PAD src0_sel:DWORD src1_sel:BYTE_3
	v_cndmask_b32_e32 v15, v15, v16, vcc
	v_cndmask_b32_e32 v5, v14, v5, vcc
	v_mov_b32_e32 v14, 0x37800000
	v_lshlrev_b32_e32 v5, 21, v5
	v_and_b32_e32 v1, 0x80000000, v1
	v_lshl_add_u32 v14, v15, 23, v14
	v_or3_b32 v1, v1, v14, v5
.LBB244_88:
	s_or_b64 exec, exec, s[34:35]
	s_movk_i32 s30, 0x7f
	v_cmp_gt_i16_sdwa s[34:35], v2, s30 src0_sel:BYTE_3 src1_sel:DWORD
	s_mov_b64 s[30:31], 0
	s_and_saveexec_b64 s[36:37], s[34:35]
	s_xor_b64 s[34:35], exec, s[36:37]
	s_cbranch_execnz .LBB244_385
; %bb.89:
	s_or_saveexec_b64 s[34:35], s[34:35]
	v_mov_b32_e32 v5, 0x7f800001
	s_xor_b64 exec, exec, s[34:35]
	s_cbranch_execnz .LBB244_388
.LBB244_90:
	s_or_b64 exec, exec, s[34:35]
	s_and_saveexec_b64 s[34:35], s[30:31]
	s_cbranch_execz .LBB244_92
.LBB244_91:
	s_mov_b32 s30, 0xffff
	v_and_b32_sdwa v14, s30, v2 dst_sel:DWORD dst_unused:UNUSED_PAD src0_sel:DWORD src1_sel:BYTE_3
	v_and_b32_e32 v15, 3, v14
	v_ffbh_u32_e32 v17, v15
	v_min_u32_e32 v17, 32, v17
	v_subrev_u32_e32 v18, 29, v17
	v_bfe_u32 v16, v14, 2, 5
	v_lshlrev_b32_e32 v14, v18, v14
	v_mov_b32_e32 v5, 24
	v_sub_u32_e32 v17, 30, v17
	v_and_b32_e32 v14, 3, v14
	v_cmp_eq_u32_e32 vcc, 0, v16
	v_lshlrev_b32_sdwa v5, v5, v2 dst_sel:DWORD dst_unused:UNUSED_PAD src0_sel:DWORD src1_sel:BYTE_3
	v_cndmask_b32_e32 v16, v16, v17, vcc
	v_cndmask_b32_e32 v14, v15, v14, vcc
	v_mov_b32_e32 v15, 0x37800000
	v_lshlrev_b32_e32 v14, 21, v14
	v_and_b32_e32 v5, 0x80000000, v5
	v_lshl_add_u32 v15, v16, 23, v15
	v_or3_b32 v5, v5, v15, v14
.LBB244_92:
	s_or_b64 exec, exec, s[34:35]
	v_cmp_neq_f32_e64 s[30:31], v1, v5
.LBB244_93:
	s_and_b64 vcc, exec, s[4:5]
	s_cbranch_vccnz .LBB244_243
.LBB244_94:
	s_movk_i32 s34, 0x7f
	v_cmp_gt_i16_sdwa s[36:37], v7, s34 src0_sel:BYTE_0 src1_sel:DWORD
	s_mov_b64 s[34:35], 0
	s_and_saveexec_b64 s[38:39], s[36:37]
	s_xor_b64 s[36:37], exec, s[38:39]
	s_cbranch_execnz .LBB244_389
; %bb.95:
	s_or_saveexec_b64 s[36:37], s[36:37]
	v_mov_b32_e32 v1, 0x7f800001
	s_xor_b64 exec, exec, s[36:37]
	s_cbranch_execnz .LBB244_392
.LBB244_96:
	s_or_b64 exec, exec, s[36:37]
	s_and_saveexec_b64 s[36:37], s[34:35]
	s_cbranch_execz .LBB244_98
.LBB244_97:
	v_and_b32_e32 v5, 3, v7
	v_ffbh_u32_e32 v6, v5
	v_min_u32_e32 v6, 32, v6
	v_lshrrev_b16_e32 v2, 2, v7
	v_subrev_u32_e32 v14, 29, v6
	v_and_b32_e32 v2, 31, v2
	v_lshlrev_b32_e32 v14, v14, v7
	v_sub_u32_e32 v6, 30, v6
	v_and_b32_e32 v14, 3, v14
	v_cmp_eq_u32_e32 vcc, 0, v2
	v_lshlrev_b32_e32 v1, 24, v7
	v_cndmask_b32_e32 v2, v2, v6, vcc
	v_cndmask_b32_e32 v5, v5, v14, vcc
	v_mov_b32_e32 v6, 0x37800000
	v_lshlrev_b32_e32 v5, 21, v5
	v_and_b32_e32 v1, 0x80000000, v1
	v_lshl_add_u32 v2, v2, 23, v6
	v_or3_b32 v1, v1, v2, v5
.LBB244_98:
	s_or_b64 exec, exec, s[36:37]
	s_movk_i32 s34, 0x7f
	v_cmp_gt_i16_sdwa s[36:37], v3, s34 src0_sel:BYTE_0 src1_sel:DWORD
	s_mov_b64 s[34:35], 0
	s_and_saveexec_b64 s[38:39], s[36:37]
	s_xor_b64 s[36:37], exec, s[38:39]
	s_cbranch_execnz .LBB244_393
; %bb.99:
	s_or_saveexec_b64 s[36:37], s[36:37]
	v_mov_b32_e32 v2, 0x7f800001
	s_xor_b64 exec, exec, s[36:37]
	s_cbranch_execnz .LBB244_396
.LBB244_100:
	s_or_b64 exec, exec, s[36:37]
	s_and_saveexec_b64 s[36:37], s[34:35]
	s_cbranch_execz .LBB244_102
.LBB244_101:
	v_and_b32_e32 v6, 3, v3
	v_ffbh_u32_e32 v14, v6
	v_min_u32_e32 v14, 32, v14
	v_lshrrev_b16_e32 v5, 2, v3
	v_subrev_u32_e32 v15, 29, v14
	v_and_b32_e32 v5, 31, v5
	v_lshlrev_b32_e32 v15, v15, v3
	v_sub_u32_e32 v14, 30, v14
	v_and_b32_e32 v15, 3, v15
	v_cmp_eq_u32_e32 vcc, 0, v5
	v_lshlrev_b32_e32 v2, 24, v3
	v_cndmask_b32_e32 v5, v5, v14, vcc
	v_cndmask_b32_e32 v6, v6, v15, vcc
	v_mov_b32_e32 v14, 0x37800000
	v_lshlrev_b32_e32 v6, 21, v6
	v_and_b32_e32 v2, 0x80000000, v2
	v_lshl_add_u32 v5, v5, 23, v14
	v_or3_b32 v2, v2, v5, v6
.LBB244_102:
	s_or_b64 exec, exec, s[36:37]
	v_cmp_neq_f32_e64 s[34:35], v1, v2
.LBB244_103:
	s_and_b64 vcc, exec, s[4:5]
	s_cbranch_vccnz .LBB244_253
.LBB244_104:
	s_movk_i32 s36, 0x7f
	v_cmp_gt_i16_sdwa s[38:39], v13, s36 src0_sel:BYTE_0 src1_sel:DWORD
	s_mov_b64 s[36:37], 0
	s_and_saveexec_b64 s[40:41], s[38:39]
	s_xor_b64 s[38:39], exec, s[40:41]
	s_cbranch_execnz .LBB244_397
; %bb.105:
	s_or_saveexec_b64 s[38:39], s[38:39]
	v_mov_b32_e32 v1, 0x7f800001
	s_xor_b64 exec, exec, s[38:39]
	s_cbranch_execnz .LBB244_400
.LBB244_106:
	s_or_b64 exec, exec, s[38:39]
	s_and_saveexec_b64 s[38:39], s[36:37]
	s_cbranch_execz .LBB244_108
.LBB244_107:
	v_and_b32_e32 v5, 3, v13
	v_ffbh_u32_e32 v6, v5
	v_min_u32_e32 v6, 32, v6
	v_lshrrev_b16_e32 v2, 2, v13
	v_subrev_u32_e32 v14, 29, v6
	v_and_b32_e32 v2, 31, v2
	v_lshlrev_b32_e32 v14, v14, v13
	v_sub_u32_e32 v6, 30, v6
	v_and_b32_e32 v14, 3, v14
	v_cmp_eq_u32_e32 vcc, 0, v2
	v_lshlrev_b32_e32 v1, 24, v13
	v_cndmask_b32_e32 v2, v2, v6, vcc
	v_cndmask_b32_e32 v5, v5, v14, vcc
	v_mov_b32_e32 v6, 0x37800000
	v_lshlrev_b32_e32 v5, 21, v5
	v_and_b32_e32 v1, 0x80000000, v1
	v_lshl_add_u32 v2, v2, 23, v6
	v_or3_b32 v1, v1, v2, v5
.LBB244_108:
	s_or_b64 exec, exec, s[38:39]
	s_movk_i32 s36, 0x7f
	v_cmp_gt_i16_sdwa s[38:39], v12, s36 src0_sel:BYTE_0 src1_sel:DWORD
	s_mov_b64 s[36:37], 0
	s_and_saveexec_b64 s[40:41], s[38:39]
	s_xor_b64 s[38:39], exec, s[40:41]
	s_cbranch_execnz .LBB244_401
; %bb.109:
	s_or_saveexec_b64 s[38:39], s[38:39]
	v_mov_b32_e32 v2, 0x7f800001
	s_xor_b64 exec, exec, s[38:39]
	s_cbranch_execnz .LBB244_404
.LBB244_110:
	s_or_b64 exec, exec, s[38:39]
	s_and_saveexec_b64 s[38:39], s[36:37]
	s_cbranch_execz .LBB244_112
.LBB244_111:
	v_and_b32_e32 v6, 3, v12
	v_ffbh_u32_e32 v14, v6
	v_min_u32_e32 v14, 32, v14
	v_lshrrev_b16_e32 v5, 2, v12
	v_subrev_u32_e32 v15, 29, v14
	v_and_b32_e32 v5, 31, v5
	v_lshlrev_b32_e32 v15, v15, v12
	v_sub_u32_e32 v14, 30, v14
	v_and_b32_e32 v15, 3, v15
	v_cmp_eq_u32_e32 vcc, 0, v5
	v_lshlrev_b32_e32 v2, 24, v12
	v_cndmask_b32_e32 v5, v5, v14, vcc
	v_cndmask_b32_e32 v6, v6, v15, vcc
	v_mov_b32_e32 v14, 0x37800000
	v_lshlrev_b32_e32 v6, 21, v6
	v_and_b32_e32 v2, 0x80000000, v2
	v_lshl_add_u32 v5, v5, 23, v14
	v_or3_b32 v2, v2, v5, v6
.LBB244_112:
	s_or_b64 exec, exec, s[38:39]
	v_cmp_neq_f32_e64 s[36:37], v1, v2
.LBB244_113:
	s_and_b64 vcc, exec, s[4:5]
	s_cbranch_vccnz .LBB244_263
.LBB244_114:
	s_movk_i32 s38, 0xff
	v_and_b32_sdwa v2, v7, s38 dst_sel:DWORD dst_unused:UNUSED_PAD src0_sel:WORD_1 src1_sel:DWORD
	s_movk_i32 s38, 0x7f
	v_cmp_lt_i16_e32 vcc, s38, v2
	s_mov_b64 s[38:39], 0
	s_and_saveexec_b64 s[40:41], vcc
	s_xor_b64 s[40:41], exec, s[40:41]
	s_cbranch_execnz .LBB244_405
; %bb.115:
	s_or_saveexec_b64 s[40:41], s[40:41]
	v_mov_b32_e32 v1, 0x7f800001
	s_xor_b64 exec, exec, s[40:41]
	s_cbranch_execnz .LBB244_408
.LBB244_116:
	s_or_b64 exec, exec, s[40:41]
	s_and_saveexec_b64 s[40:41], s[38:39]
	s_cbranch_execz .LBB244_118
.LBB244_117:
	v_mov_b32_e32 v5, 3
	v_and_b32_sdwa v5, v7, v5 dst_sel:DWORD dst_unused:UNUSED_PAD src0_sel:WORD_1 src1_sel:DWORD
	v_ffbh_u32_e32 v6, v5
	v_mov_b32_e32 v2, 2
	v_min_u32_e32 v6, 32, v6
	v_lshrrev_b16_sdwa v2, v2, v7 dst_sel:DWORD dst_unused:UNUSED_PAD src0_sel:DWORD src1_sel:WORD_1
	v_subrev_u32_e32 v12, 29, v6
	v_and_b32_e32 v2, 31, v2
	v_lshlrev_b32_sdwa v12, v12, v7 dst_sel:DWORD dst_unused:UNUSED_PAD src0_sel:DWORD src1_sel:WORD_1
	v_mov_b32_e32 v1, 24
	v_sub_u32_e32 v6, 30, v6
	v_and_b32_e32 v12, 3, v12
	v_cmp_eq_u32_e32 vcc, 0, v2
	v_lshlrev_b32_sdwa v1, v1, v7 dst_sel:DWORD dst_unused:UNUSED_PAD src0_sel:DWORD src1_sel:WORD_1
	v_cndmask_b32_e32 v2, v2, v6, vcc
	v_cndmask_b32_e32 v5, v5, v12, vcc
	v_mov_b32_e32 v6, 0x37800000
	v_lshlrev_b32_e32 v5, 21, v5
	v_and_b32_e32 v1, 0x80000000, v1
	v_lshl_add_u32 v2, v2, 23, v6
	v_or3_b32 v1, v1, v2, v5
.LBB244_118:
	s_or_b64 exec, exec, s[40:41]
	s_movk_i32 s38, 0xff
	v_and_b32_sdwa v2, v3, s38 dst_sel:DWORD dst_unused:UNUSED_PAD src0_sel:WORD_1 src1_sel:DWORD
	s_movk_i32 s38, 0x7f
	v_cmp_lt_i16_e32 vcc, s38, v2
	s_mov_b64 s[38:39], 0
	s_and_saveexec_b64 s[40:41], vcc
	s_xor_b64 s[40:41], exec, s[40:41]
	s_cbranch_execnz .LBB244_409
; %bb.119:
	s_or_saveexec_b64 s[40:41], s[40:41]
	v_mov_b32_e32 v5, 0x7f800001
	s_xor_b64 exec, exec, s[40:41]
	s_cbranch_execnz .LBB244_412
.LBB244_120:
	s_or_b64 exec, exec, s[40:41]
	s_and_saveexec_b64 s[40:41], s[38:39]
	s_cbranch_execz .LBB244_122
.LBB244_121:
	v_mov_b32_e32 v6, 3
	v_and_b32_sdwa v6, v3, v6 dst_sel:DWORD dst_unused:UNUSED_PAD src0_sel:WORD_1 src1_sel:DWORD
	v_ffbh_u32_e32 v12, v6
	v_mov_b32_e32 v5, 2
	v_min_u32_e32 v12, 32, v12
	v_lshrrev_b16_sdwa v5, v5, v3 dst_sel:DWORD dst_unused:UNUSED_PAD src0_sel:DWORD src1_sel:WORD_1
	v_subrev_u32_e32 v13, 29, v12
	v_and_b32_e32 v5, 31, v5
	v_lshlrev_b32_sdwa v13, v13, v3 dst_sel:DWORD dst_unused:UNUSED_PAD src0_sel:DWORD src1_sel:WORD_1
	v_mov_b32_e32 v2, 24
	v_sub_u32_e32 v12, 30, v12
	v_and_b32_e32 v13, 3, v13
	v_cmp_eq_u32_e32 vcc, 0, v5
	v_lshlrev_b32_sdwa v2, v2, v3 dst_sel:DWORD dst_unused:UNUSED_PAD src0_sel:DWORD src1_sel:WORD_1
	v_cndmask_b32_e32 v5, v5, v12, vcc
	v_cndmask_b32_e32 v6, v6, v13, vcc
	v_mov_b32_e32 v12, 0x37800000
	v_lshlrev_b32_e32 v6, 21, v6
	v_and_b32_e32 v2, 0x80000000, v2
	v_lshl_add_u32 v5, v5, 23, v12
	v_or3_b32 v5, v2, v5, v6
.LBB244_122:
	s_or_b64 exec, exec, s[40:41]
	v_cmp_neq_f32_e64 s[38:39], v1, v5
.LBB244_123:
	s_and_b64 vcc, exec, s[4:5]
	s_cbranch_vccnz .LBB244_273
.LBB244_124:
	s_movk_i32 s40, 0x7f
	v_cmp_gt_i16_sdwa s[42:43], v7, s40 src0_sel:BYTE_3 src1_sel:DWORD
	s_mov_b64 s[40:41], 0
	s_and_saveexec_b64 s[44:45], s[42:43]
	s_xor_b64 s[42:43], exec, s[44:45]
	s_cbranch_execnz .LBB244_413
; %bb.125:
	s_or_saveexec_b64 s[42:43], s[42:43]
	v_mov_b32_e32 v1, 0x7f800001
	s_xor_b64 exec, exec, s[42:43]
	s_cbranch_execnz .LBB244_416
.LBB244_126:
	s_or_b64 exec, exec, s[42:43]
	s_and_saveexec_b64 s[42:43], s[40:41]
	s_cbranch_execz .LBB244_128
.LBB244_127:
	s_mov_b32 s40, 0xffff
	v_and_b32_sdwa v2, s40, v7 dst_sel:DWORD dst_unused:UNUSED_PAD src0_sel:DWORD src1_sel:BYTE_3
	v_and_b32_e32 v5, 3, v2
	v_ffbh_u32_e32 v12, v5
	v_min_u32_e32 v12, 32, v12
	v_subrev_u32_e32 v13, 29, v12
	v_bfe_u32 v6, v2, 2, 5
	v_lshlrev_b32_e32 v2, v13, v2
	v_mov_b32_e32 v1, 24
	v_sub_u32_e32 v12, 30, v12
	v_and_b32_e32 v2, 3, v2
	v_cmp_eq_u32_e32 vcc, 0, v6
	v_lshlrev_b32_sdwa v1, v1, v7 dst_sel:DWORD dst_unused:UNUSED_PAD src0_sel:DWORD src1_sel:BYTE_3
	v_cndmask_b32_e32 v6, v6, v12, vcc
	v_cndmask_b32_e32 v2, v5, v2, vcc
	v_mov_b32_e32 v5, 0x37800000
	v_lshlrev_b32_e32 v2, 21, v2
	v_and_b32_e32 v1, 0x80000000, v1
	v_lshl_add_u32 v5, v6, 23, v5
	v_or3_b32 v1, v1, v5, v2
.LBB244_128:
	s_or_b64 exec, exec, s[42:43]
	s_movk_i32 s40, 0x7f
	v_cmp_gt_i16_sdwa s[42:43], v3, s40 src0_sel:BYTE_3 src1_sel:DWORD
	s_mov_b64 s[40:41], 0
	s_and_saveexec_b64 s[44:45], s[42:43]
	s_xor_b64 s[42:43], exec, s[44:45]
	s_cbranch_execnz .LBB244_417
; %bb.129:
	s_or_saveexec_b64 s[42:43], s[42:43]
	v_mov_b32_e32 v2, 0x7f800001
	s_xor_b64 exec, exec, s[42:43]
	s_cbranch_execnz .LBB244_420
.LBB244_130:
	s_or_b64 exec, exec, s[42:43]
	s_and_saveexec_b64 s[42:43], s[40:41]
	s_cbranch_execz .LBB244_132
.LBB244_131:
	s_mov_b32 s40, 0xffff
	v_and_b32_sdwa v5, s40, v3 dst_sel:DWORD dst_unused:UNUSED_PAD src0_sel:DWORD src1_sel:BYTE_3
	v_and_b32_e32 v6, 3, v5
	v_ffbh_u32_e32 v13, v6
	v_min_u32_e32 v13, 32, v13
	v_subrev_u32_e32 v14, 29, v13
	v_bfe_u32 v12, v5, 2, 5
	v_lshlrev_b32_e32 v5, v14, v5
	v_mov_b32_e32 v2, 24
	v_sub_u32_e32 v13, 30, v13
	v_and_b32_e32 v5, 3, v5
	v_cmp_eq_u32_e32 vcc, 0, v12
	v_lshlrev_b32_sdwa v2, v2, v3 dst_sel:DWORD dst_unused:UNUSED_PAD src0_sel:DWORD src1_sel:BYTE_3
	v_cndmask_b32_e32 v12, v12, v13, vcc
	v_cndmask_b32_e32 v5, v6, v5, vcc
	v_mov_b32_e32 v6, 0x37800000
	v_lshlrev_b32_e32 v5, 21, v5
	v_and_b32_e32 v2, 0x80000000, v2
	v_lshl_add_u32 v6, v12, 23, v6
	v_or3_b32 v2, v2, v6, v5
.LBB244_132:
	s_or_b64 exec, exec, s[42:43]
	v_cmp_neq_f32_e64 s[40:41], v1, v2
.LBB244_133:
	s_and_b64 vcc, exec, s[4:5]
	s_cbranch_vccnz .LBB244_283
.LBB244_134:
	s_movk_i32 s42, 0x7f
	v_cmp_gt_i16_sdwa s[44:45], v8, s42 src0_sel:BYTE_0 src1_sel:DWORD
	s_mov_b64 s[42:43], 0
	s_and_saveexec_b64 s[46:47], s[44:45]
	s_xor_b64 s[44:45], exec, s[46:47]
	s_cbranch_execnz .LBB244_421
; %bb.135:
	s_or_saveexec_b64 s[44:45], s[44:45]
	v_mov_b32_e32 v1, 0x7f800001
	s_xor_b64 exec, exec, s[44:45]
	s_cbranch_execnz .LBB244_424
.LBB244_136:
	s_or_b64 exec, exec, s[44:45]
	s_and_saveexec_b64 s[44:45], s[42:43]
	s_cbranch_execz .LBB244_138
.LBB244_137:
	v_and_b32_e32 v3, 3, v8
	v_ffbh_u32_e32 v5, v3
	v_min_u32_e32 v5, 32, v5
	v_lshrrev_b16_e32 v2, 2, v8
	v_subrev_u32_e32 v6, 29, v5
	v_and_b32_e32 v2, 31, v2
	v_lshlrev_b32_e32 v6, v6, v8
	v_sub_u32_e32 v5, 30, v5
	v_and_b32_e32 v6, 3, v6
	v_cmp_eq_u32_e32 vcc, 0, v2
	v_lshlrev_b32_e32 v1, 24, v8
	v_cndmask_b32_e32 v2, v2, v5, vcc
	v_cndmask_b32_e32 v3, v3, v6, vcc
	v_mov_b32_e32 v5, 0x37800000
	v_lshlrev_b32_e32 v3, 21, v3
	v_and_b32_e32 v1, 0x80000000, v1
	v_lshl_add_u32 v2, v2, 23, v5
	v_or3_b32 v1, v1, v2, v3
.LBB244_138:
	s_or_b64 exec, exec, s[44:45]
	s_movk_i32 s42, 0x7f
	v_cmp_gt_i16_sdwa s[44:45], v4, s42 src0_sel:BYTE_0 src1_sel:DWORD
	s_mov_b64 s[42:43], 0
	s_and_saveexec_b64 s[46:47], s[44:45]
	s_xor_b64 s[44:45], exec, s[46:47]
	s_cbranch_execnz .LBB244_425
; %bb.139:
	s_or_saveexec_b64 s[44:45], s[44:45]
	v_mov_b32_e32 v2, 0x7f800001
	s_xor_b64 exec, exec, s[44:45]
	s_cbranch_execnz .LBB244_428
.LBB244_140:
	s_or_b64 exec, exec, s[44:45]
	s_and_saveexec_b64 s[44:45], s[42:43]
	s_cbranch_execz .LBB244_142
.LBB244_141:
	v_and_b32_e32 v5, 3, v4
	v_ffbh_u32_e32 v6, v5
	v_min_u32_e32 v6, 32, v6
	v_lshrrev_b16_e32 v3, 2, v4
	v_subrev_u32_e32 v7, 29, v6
	v_and_b32_e32 v3, 31, v3
	v_lshlrev_b32_e32 v7, v7, v4
	v_sub_u32_e32 v6, 30, v6
	v_and_b32_e32 v7, 3, v7
	v_cmp_eq_u32_e32 vcc, 0, v3
	v_lshlrev_b32_e32 v2, 24, v4
	v_cndmask_b32_e32 v3, v3, v6, vcc
	v_cndmask_b32_e32 v5, v5, v7, vcc
	v_mov_b32_e32 v6, 0x37800000
	v_lshlrev_b32_e32 v5, 21, v5
	v_and_b32_e32 v2, 0x80000000, v2
	v_lshl_add_u32 v3, v3, 23, v6
	v_or3_b32 v2, v2, v3, v5
.LBB244_142:
	s_or_b64 exec, exec, s[44:45]
	v_cmp_neq_f32_e64 s[42:43], v1, v2
.LBB244_143:
	s_and_b64 vcc, exec, s[4:5]
	s_cbranch_vccnz .LBB244_293
.LBB244_144:
	s_movk_i32 s44, 0x7f
	v_cmp_gt_i16_sdwa s[46:47], v11, s44 src0_sel:BYTE_0 src1_sel:DWORD
	s_mov_b64 s[44:45], 0
	s_and_saveexec_b64 s[48:49], s[46:47]
	s_xor_b64 s[46:47], exec, s[48:49]
	s_cbranch_execnz .LBB244_429
; %bb.145:
	s_or_saveexec_b64 s[46:47], s[46:47]
	v_mov_b32_e32 v1, 0x7f800001
	s_xor_b64 exec, exec, s[46:47]
	s_cbranch_execnz .LBB244_432
.LBB244_146:
	s_or_b64 exec, exec, s[46:47]
	s_and_saveexec_b64 s[46:47], s[44:45]
	s_cbranch_execz .LBB244_148
.LBB244_147:
	v_and_b32_e32 v3, 3, v11
	v_ffbh_u32_e32 v5, v3
	v_min_u32_e32 v5, 32, v5
	v_lshrrev_b16_e32 v2, 2, v11
	v_subrev_u32_e32 v6, 29, v5
	v_and_b32_e32 v2, 31, v2
	v_lshlrev_b32_e32 v6, v6, v11
	v_sub_u32_e32 v5, 30, v5
	v_and_b32_e32 v6, 3, v6
	v_cmp_eq_u32_e32 vcc, 0, v2
	v_lshlrev_b32_e32 v1, 24, v11
	v_cndmask_b32_e32 v2, v2, v5, vcc
	v_cndmask_b32_e32 v3, v3, v6, vcc
	v_mov_b32_e32 v5, 0x37800000
	v_lshlrev_b32_e32 v3, 21, v3
	v_and_b32_e32 v1, 0x80000000, v1
	v_lshl_add_u32 v2, v2, 23, v5
	v_or3_b32 v1, v1, v2, v3
.LBB244_148:
	s_or_b64 exec, exec, s[46:47]
	s_movk_i32 s44, 0x7f
	v_cmp_gt_i16_sdwa s[46:47], v10, s44 src0_sel:BYTE_0 src1_sel:DWORD
	s_mov_b64 s[44:45], 0
	s_and_saveexec_b64 s[48:49], s[46:47]
	s_xor_b64 s[46:47], exec, s[48:49]
	s_cbranch_execnz .LBB244_433
; %bb.149:
	s_or_saveexec_b64 s[46:47], s[46:47]
	v_mov_b32_e32 v2, 0x7f800001
	s_xor_b64 exec, exec, s[46:47]
	s_cbranch_execnz .LBB244_436
.LBB244_150:
	s_or_b64 exec, exec, s[46:47]
	s_and_saveexec_b64 s[46:47], s[44:45]
	s_cbranch_execz .LBB244_152
.LBB244_151:
	v_and_b32_e32 v5, 3, v10
	v_ffbh_u32_e32 v6, v5
	v_min_u32_e32 v6, 32, v6
	v_lshrrev_b16_e32 v3, 2, v10
	v_subrev_u32_e32 v7, 29, v6
	v_and_b32_e32 v3, 31, v3
	v_lshlrev_b32_e32 v7, v7, v10
	v_sub_u32_e32 v6, 30, v6
	v_and_b32_e32 v7, 3, v7
	v_cmp_eq_u32_e32 vcc, 0, v3
	v_lshlrev_b32_e32 v2, 24, v10
	v_cndmask_b32_e32 v3, v3, v6, vcc
	v_cndmask_b32_e32 v5, v5, v7, vcc
	v_mov_b32_e32 v6, 0x37800000
	v_lshlrev_b32_e32 v5, 21, v5
	v_and_b32_e32 v2, 0x80000000, v2
	v_lshl_add_u32 v3, v3, 23, v6
	v_or3_b32 v2, v2, v3, v5
.LBB244_152:
	s_or_b64 exec, exec, s[46:47]
	v_cmp_neq_f32_e64 s[44:45], v1, v2
.LBB244_153:
	s_and_b64 vcc, exec, s[4:5]
	s_cbranch_vccnz .LBB244_303
.LBB244_154:
	s_movk_i32 s46, 0xff
	v_and_b32_sdwa v2, v8, s46 dst_sel:DWORD dst_unused:UNUSED_PAD src0_sel:WORD_1 src1_sel:DWORD
	s_movk_i32 s46, 0x7f
	v_cmp_lt_i16_e32 vcc, s46, v2
	s_mov_b64 s[46:47], 0
	s_and_saveexec_b64 s[48:49], vcc
	s_xor_b64 s[48:49], exec, s[48:49]
	s_cbranch_execnz .LBB244_437
; %bb.155:
	s_or_saveexec_b64 s[48:49], s[48:49]
	v_mov_b32_e32 v1, 0x7f800001
	s_xor_b64 exec, exec, s[48:49]
	s_cbranch_execnz .LBB244_440
.LBB244_156:
	s_or_b64 exec, exec, s[48:49]
	s_and_saveexec_b64 s[48:49], s[46:47]
	s_cbranch_execz .LBB244_158
.LBB244_157:
	v_mov_b32_e32 v3, 3
	v_and_b32_sdwa v3, v8, v3 dst_sel:DWORD dst_unused:UNUSED_PAD src0_sel:WORD_1 src1_sel:DWORD
	v_ffbh_u32_e32 v5, v3
	v_mov_b32_e32 v2, 2
	v_min_u32_e32 v5, 32, v5
	v_lshrrev_b16_sdwa v2, v2, v8 dst_sel:DWORD dst_unused:UNUSED_PAD src0_sel:DWORD src1_sel:WORD_1
	v_subrev_u32_e32 v6, 29, v5
	v_and_b32_e32 v2, 31, v2
	v_lshlrev_b32_sdwa v6, v6, v8 dst_sel:DWORD dst_unused:UNUSED_PAD src0_sel:DWORD src1_sel:WORD_1
	v_mov_b32_e32 v1, 24
	v_sub_u32_e32 v5, 30, v5
	v_and_b32_e32 v6, 3, v6
	v_cmp_eq_u32_e32 vcc, 0, v2
	v_lshlrev_b32_sdwa v1, v1, v8 dst_sel:DWORD dst_unused:UNUSED_PAD src0_sel:DWORD src1_sel:WORD_1
	v_cndmask_b32_e32 v2, v2, v5, vcc
	v_cndmask_b32_e32 v3, v3, v6, vcc
	v_mov_b32_e32 v5, 0x37800000
	v_lshlrev_b32_e32 v3, 21, v3
	v_and_b32_e32 v1, 0x80000000, v1
	v_lshl_add_u32 v2, v2, 23, v5
	v_or3_b32 v1, v1, v2, v3
.LBB244_158:
	s_or_b64 exec, exec, s[48:49]
	s_movk_i32 s46, 0xff
	v_and_b32_sdwa v2, v4, s46 dst_sel:DWORD dst_unused:UNUSED_PAD src0_sel:WORD_1 src1_sel:DWORD
	s_movk_i32 s46, 0x7f
	v_cmp_lt_i16_e32 vcc, s46, v2
	s_mov_b64 s[46:47], 0
	s_and_saveexec_b64 s[48:49], vcc
	s_xor_b64 s[48:49], exec, s[48:49]
	s_cbranch_execnz .LBB244_441
; %bb.159:
	s_or_saveexec_b64 s[48:49], s[48:49]
	v_mov_b32_e32 v3, 0x7f800001
	s_xor_b64 exec, exec, s[48:49]
	s_cbranch_execnz .LBB244_444
.LBB244_160:
	s_or_b64 exec, exec, s[48:49]
	s_and_saveexec_b64 s[48:49], s[46:47]
	s_cbranch_execz .LBB244_162
.LBB244_161:
	v_mov_b32_e32 v5, 3
	v_and_b32_sdwa v5, v4, v5 dst_sel:DWORD dst_unused:UNUSED_PAD src0_sel:WORD_1 src1_sel:DWORD
	v_ffbh_u32_e32 v6, v5
	v_mov_b32_e32 v3, 2
	v_min_u32_e32 v6, 32, v6
	v_lshrrev_b16_sdwa v3, v3, v4 dst_sel:DWORD dst_unused:UNUSED_PAD src0_sel:DWORD src1_sel:WORD_1
	v_subrev_u32_e32 v7, 29, v6
	v_and_b32_e32 v3, 31, v3
	v_lshlrev_b32_sdwa v7, v7, v4 dst_sel:DWORD dst_unused:UNUSED_PAD src0_sel:DWORD src1_sel:WORD_1
	v_mov_b32_e32 v2, 24
	v_sub_u32_e32 v6, 30, v6
	v_and_b32_e32 v7, 3, v7
	v_cmp_eq_u32_e32 vcc, 0, v3
	v_lshlrev_b32_sdwa v2, v2, v4 dst_sel:DWORD dst_unused:UNUSED_PAD src0_sel:DWORD src1_sel:WORD_1
	v_cndmask_b32_e32 v3, v3, v6, vcc
	v_cndmask_b32_e32 v5, v5, v7, vcc
	v_mov_b32_e32 v6, 0x37800000
	v_lshlrev_b32_e32 v5, 21, v5
	v_and_b32_e32 v2, 0x80000000, v2
	v_lshl_add_u32 v3, v3, 23, v6
	v_or3_b32 v3, v2, v3, v5
.LBB244_162:
	s_or_b64 exec, exec, s[48:49]
	v_cmp_neq_f32_e64 s[46:47], v1, v3
.LBB244_163:
	s_and_b64 vcc, exec, s[4:5]
	s_cbranch_vccnz .LBB244_313
.LBB244_164:
	s_movk_i32 s4, 0x7f
	v_cmp_gt_i16_sdwa s[48:49], v8, s4 src0_sel:BYTE_3 src1_sel:DWORD
	s_mov_b64 s[4:5], 0
	s_and_saveexec_b64 s[50:51], s[48:49]
	s_xor_b64 s[48:49], exec, s[50:51]
	s_cbranch_execnz .LBB244_445
; %bb.165:
	s_or_saveexec_b64 s[48:49], s[48:49]
	v_mov_b32_e32 v1, 0x7f800001
	s_xor_b64 exec, exec, s[48:49]
	s_cbranch_execnz .LBB244_448
.LBB244_166:
	s_or_b64 exec, exec, s[48:49]
	s_and_saveexec_b64 s[48:49], s[4:5]
	s_cbranch_execz .LBB244_168
.LBB244_167:
	s_mov_b32 s4, 0xffff
	v_and_b32_sdwa v2, s4, v8 dst_sel:DWORD dst_unused:UNUSED_PAD src0_sel:DWORD src1_sel:BYTE_3
	v_and_b32_e32 v3, 3, v2
	v_ffbh_u32_e32 v6, v3
	v_min_u32_e32 v6, 32, v6
	v_subrev_u32_e32 v7, 29, v6
	v_bfe_u32 v5, v2, 2, 5
	v_lshlrev_b32_e32 v2, v7, v2
	v_mov_b32_e32 v1, 24
	v_sub_u32_e32 v6, 30, v6
	v_and_b32_e32 v2, 3, v2
	v_cmp_eq_u32_e32 vcc, 0, v5
	v_lshlrev_b32_sdwa v1, v1, v8 dst_sel:DWORD dst_unused:UNUSED_PAD src0_sel:DWORD src1_sel:BYTE_3
	v_cndmask_b32_e32 v5, v5, v6, vcc
	v_cndmask_b32_e32 v2, v3, v2, vcc
	v_mov_b32_e32 v3, 0x37800000
	v_lshlrev_b32_e32 v2, 21, v2
	v_and_b32_e32 v1, 0x80000000, v1
	v_lshl_add_u32 v3, v5, 23, v3
	v_or3_b32 v1, v1, v3, v2
.LBB244_168:
	s_or_b64 exec, exec, s[48:49]
	s_movk_i32 s4, 0x7f
	v_cmp_gt_i16_sdwa s[48:49], v4, s4 src0_sel:BYTE_3 src1_sel:DWORD
	s_mov_b64 s[4:5], 0
	s_and_saveexec_b64 s[50:51], s[48:49]
	s_xor_b64 s[48:49], exec, s[50:51]
	s_cbranch_execnz .LBB244_449
; %bb.169:
	s_or_saveexec_b64 s[48:49], s[48:49]
	v_mov_b32_e32 v2, 0x7f800001
	s_xor_b64 exec, exec, s[48:49]
	s_cbranch_execnz .LBB244_452
.LBB244_170:
	s_or_b64 exec, exec, s[48:49]
	s_and_saveexec_b64 s[48:49], s[4:5]
	s_cbranch_execz .LBB244_172
.LBB244_171:
	s_mov_b32 s4, 0xffff
	v_and_b32_sdwa v3, s4, v4 dst_sel:DWORD dst_unused:UNUSED_PAD src0_sel:DWORD src1_sel:BYTE_3
	v_and_b32_e32 v5, 3, v3
	v_ffbh_u32_e32 v7, v5
	v_min_u32_e32 v7, 32, v7
	v_subrev_u32_e32 v10, 29, v7
	v_bfe_u32 v6, v3, 2, 5
	v_lshlrev_b32_e32 v3, v10, v3
	v_mov_b32_e32 v2, 24
	v_sub_u32_e32 v7, 30, v7
	v_and_b32_e32 v3, 3, v3
	v_cmp_eq_u32_e32 vcc, 0, v6
	v_lshlrev_b32_sdwa v2, v2, v4 dst_sel:DWORD dst_unused:UNUSED_PAD src0_sel:DWORD src1_sel:BYTE_3
	v_cndmask_b32_e32 v6, v6, v7, vcc
	v_cndmask_b32_e32 v3, v5, v3, vcc
	v_mov_b32_e32 v5, 0x37800000
	v_lshlrev_b32_e32 v3, 21, v3
	v_and_b32_e32 v2, 0x80000000, v2
	v_lshl_add_u32 v5, v6, 23, v5
	v_or3_b32 v2, v2, v5, v3
.LBB244_172:
	s_or_b64 exec, exec, s[48:49]
	v_cmp_neq_f32_e64 s[4:5], v1, v2
	s_branch .LBB244_323
.LBB244_173:
                                        ; implicit-def: $sgpr18_sgpr19
	s_cbranch_execz .LBB244_33
; %bb.174:
	s_movk_i32 s18, 0x7f
	v_cmp_gt_i16_sdwa s[20:21], v17, s18 src0_sel:BYTE_0 src1_sel:DWORD
	s_mov_b64 s[18:19], 0
	s_and_saveexec_b64 s[22:23], s[20:21]
	s_xor_b64 s[20:21], exec, s[22:23]
	s_cbranch_execnz .LBB244_461
; %bb.175:
	s_or_saveexec_b64 s[20:21], s[20:21]
	v_mov_b32_e32 v18, 0x7f800001
	s_xor_b64 exec, exec, s[20:21]
	s_cbranch_execnz .LBB244_464
.LBB244_176:
	s_or_b64 exec, exec, s[20:21]
	s_and_saveexec_b64 s[20:21], s[18:19]
	s_cbranch_execz .LBB244_178
.LBB244_177:
	v_and_b32_e32 v20, 3, v17
	v_ffbh_u32_e32 v21, v20
	v_min_u32_e32 v21, 32, v21
	v_lshrrev_b16_e32 v19, 2, v17
	v_subrev_u32_e32 v22, 29, v21
	v_lshlrev_b32_e32 v18, 24, v17
	v_and_b32_e32 v19, 31, v19
	v_lshlrev_b32_e32 v17, v22, v17
	v_sub_u32_e32 v21, 30, v21
	v_and_b32_e32 v17, 3, v17
	v_cmp_eq_u32_e32 vcc, 0, v19
	v_cndmask_b32_e32 v19, v19, v21, vcc
	v_cndmask_b32_e32 v17, v20, v17, vcc
	v_mov_b32_e32 v20, 0x37800000
	v_lshlrev_b32_e32 v17, 21, v17
	v_and_b32_e32 v18, 0x80000000, v18
	v_lshl_add_u32 v19, v19, 23, v20
	v_or3_b32 v18, v18, v19, v17
.LBB244_178:
	s_or_b64 exec, exec, s[20:21]
	s_movk_i32 s18, 0x7f
	v_cmp_gt_i16_sdwa s[20:21], v16, s18 src0_sel:BYTE_0 src1_sel:DWORD
	s_mov_b64 s[18:19], 0
	s_and_saveexec_b64 s[22:23], s[20:21]
	s_xor_b64 s[20:21], exec, s[22:23]
	s_cbranch_execnz .LBB244_465
; %bb.179:
	s_or_saveexec_b64 s[20:21], s[20:21]
	v_mov_b32_e32 v17, 0x7f800001
	s_xor_b64 exec, exec, s[20:21]
	s_cbranch_execnz .LBB244_468
.LBB244_180:
	s_or_b64 exec, exec, s[20:21]
	s_and_saveexec_b64 s[20:21], s[18:19]
	s_cbranch_execz .LBB244_182
.LBB244_181:
	v_and_b32_e32 v20, 3, v16
	v_ffbh_u32_e32 v21, v20
	v_min_u32_e32 v21, 32, v21
	v_lshrrev_b16_e32 v19, 2, v16
	v_subrev_u32_e32 v22, 29, v21
	v_lshlrev_b32_e32 v17, 24, v16
	v_and_b32_e32 v19, 31, v19
	v_lshlrev_b32_e32 v16, v22, v16
	v_sub_u32_e32 v21, 30, v21
	v_and_b32_e32 v16, 3, v16
	v_cmp_eq_u32_e32 vcc, 0, v19
	v_cndmask_b32_e32 v19, v19, v21, vcc
	v_cndmask_b32_e32 v16, v20, v16, vcc
	v_mov_b32_e32 v20, 0x37800000
	v_lshlrev_b32_e32 v16, 21, v16
	v_and_b32_e32 v17, 0x80000000, v17
	v_lshl_add_u32 v19, v19, 23, v20
	v_or3_b32 v17, v17, v19, v16
.LBB244_182:
	s_or_b64 exec, exec, s[20:21]
	v_cmp_eq_f32_e64 s[18:19], v18, v17
	s_and_b64 vcc, exec, s[4:5]
	s_cbranch_vccz .LBB244_34
.LBB244_183:
                                        ; implicit-def: $sgpr20_sgpr21
	s_cbranch_execz .LBB244_43
; %bb.184:
	s_movk_i32 s20, 0xff
	v_and_b32_sdwa v17, v5, s20 dst_sel:DWORD dst_unused:UNUSED_PAD src0_sel:WORD_1 src1_sel:DWORD
	s_movk_i32 s20, 0x7f
	v_cmp_lt_i16_e32 vcc, s20, v17
	s_mov_b64 s[20:21], 0
	s_and_saveexec_b64 s[22:23], vcc
	s_xor_b64 s[22:23], exec, s[22:23]
	s_cbranch_execnz .LBB244_469
; %bb.185:
	s_or_saveexec_b64 s[22:23], s[22:23]
	v_mov_b32_e32 v16, 0x7f800001
	s_xor_b64 exec, exec, s[22:23]
	s_cbranch_execnz .LBB244_472
.LBB244_186:
	s_or_b64 exec, exec, s[22:23]
	s_and_saveexec_b64 s[22:23], s[20:21]
	s_cbranch_execz .LBB244_188
.LBB244_187:
	v_mov_b32_e32 v18, 3
	v_and_b32_sdwa v18, v5, v18 dst_sel:DWORD dst_unused:UNUSED_PAD src0_sel:WORD_1 src1_sel:DWORD
	v_ffbh_u32_e32 v19, v18
	v_mov_b32_e32 v17, 2
	v_min_u32_e32 v19, 32, v19
	v_lshrrev_b16_sdwa v17, v17, v5 dst_sel:DWORD dst_unused:UNUSED_PAD src0_sel:DWORD src1_sel:WORD_1
	v_subrev_u32_e32 v20, 29, v19
	v_and_b32_e32 v17, 31, v17
	v_lshlrev_b32_sdwa v20, v20, v5 dst_sel:DWORD dst_unused:UNUSED_PAD src0_sel:DWORD src1_sel:WORD_1
	v_mov_b32_e32 v16, 24
	v_sub_u32_e32 v19, 30, v19
	v_and_b32_e32 v20, 3, v20
	v_cmp_eq_u32_e32 vcc, 0, v17
	v_lshlrev_b32_sdwa v16, v16, v5 dst_sel:DWORD dst_unused:UNUSED_PAD src0_sel:DWORD src1_sel:WORD_1
	v_cndmask_b32_e32 v17, v17, v19, vcc
	v_cndmask_b32_e32 v18, v18, v20, vcc
	v_mov_b32_e32 v19, 0x37800000
	v_lshlrev_b32_e32 v18, 21, v18
	v_and_b32_e32 v16, 0x80000000, v16
	v_lshl_add_u32 v17, v17, 23, v19
	v_or3_b32 v16, v16, v17, v18
.LBB244_188:
	s_or_b64 exec, exec, s[22:23]
	s_movk_i32 s20, 0xff
	v_and_b32_sdwa v17, v1, s20 dst_sel:DWORD dst_unused:UNUSED_PAD src0_sel:WORD_1 src1_sel:DWORD
	s_movk_i32 s20, 0x7f
	v_cmp_lt_i16_e32 vcc, s20, v17
	s_mov_b64 s[20:21], 0
	s_and_saveexec_b64 s[22:23], vcc
	s_xor_b64 s[22:23], exec, s[22:23]
	s_cbranch_execnz .LBB244_473
; %bb.189:
	s_or_saveexec_b64 s[22:23], s[22:23]
	v_mov_b32_e32 v18, 0x7f800001
	s_xor_b64 exec, exec, s[22:23]
	s_cbranch_execnz .LBB244_476
.LBB244_190:
	s_or_b64 exec, exec, s[22:23]
	s_and_saveexec_b64 s[22:23], s[20:21]
	s_cbranch_execz .LBB244_192
.LBB244_191:
	v_mov_b32_e32 v19, 3
	v_and_b32_sdwa v19, v1, v19 dst_sel:DWORD dst_unused:UNUSED_PAD src0_sel:WORD_1 src1_sel:DWORD
	v_ffbh_u32_e32 v20, v19
	v_mov_b32_e32 v18, 2
	v_min_u32_e32 v20, 32, v20
	v_lshrrev_b16_sdwa v18, v18, v1 dst_sel:DWORD dst_unused:UNUSED_PAD src0_sel:DWORD src1_sel:WORD_1
	v_subrev_u32_e32 v21, 29, v20
	v_and_b32_e32 v18, 31, v18
	v_lshlrev_b32_sdwa v21, v21, v1 dst_sel:DWORD dst_unused:UNUSED_PAD src0_sel:DWORD src1_sel:WORD_1
	v_mov_b32_e32 v17, 24
	v_sub_u32_e32 v20, 30, v20
	v_and_b32_e32 v21, 3, v21
	v_cmp_eq_u32_e32 vcc, 0, v18
	v_lshlrev_b32_sdwa v17, v17, v1 dst_sel:DWORD dst_unused:UNUSED_PAD src0_sel:DWORD src1_sel:WORD_1
	v_cndmask_b32_e32 v18, v18, v20, vcc
	v_cndmask_b32_e32 v19, v19, v21, vcc
	v_mov_b32_e32 v20, 0x37800000
	v_lshlrev_b32_e32 v19, 21, v19
	v_and_b32_e32 v17, 0x80000000, v17
	v_lshl_add_u32 v18, v18, 23, v20
	v_or3_b32 v18, v17, v18, v19
.LBB244_192:
	s_or_b64 exec, exec, s[22:23]
	v_cmp_eq_f32_e64 s[20:21], v16, v18
	s_and_b64 vcc, exec, s[4:5]
	s_cbranch_vccz .LBB244_44
.LBB244_193:
                                        ; implicit-def: $sgpr22_sgpr23
	s_cbranch_execz .LBB244_53
; %bb.194:
	s_movk_i32 s22, 0x7f
	v_cmp_gt_i16_sdwa s[24:25], v5, s22 src0_sel:BYTE_3 src1_sel:DWORD
	s_mov_b64 s[22:23], 0
	s_and_saveexec_b64 s[26:27], s[24:25]
	s_xor_b64 s[24:25], exec, s[26:27]
	s_cbranch_execnz .LBB244_477
; %bb.195:
	s_or_saveexec_b64 s[24:25], s[24:25]
	v_mov_b32_e32 v16, 0x7f800001
	s_xor_b64 exec, exec, s[24:25]
	s_cbranch_execnz .LBB244_480
.LBB244_196:
	s_or_b64 exec, exec, s[24:25]
	s_and_saveexec_b64 s[24:25], s[22:23]
	s_cbranch_execz .LBB244_198
.LBB244_197:
	v_mov_b32_e32 v16, 24
	s_mov_b32 s22, 0xffff
	v_lshlrev_b32_sdwa v16, v16, v5 dst_sel:DWORD dst_unused:UNUSED_PAD src0_sel:DWORD src1_sel:BYTE_3
	v_and_b32_sdwa v5, s22, v5 dst_sel:DWORD dst_unused:UNUSED_PAD src0_sel:DWORD src1_sel:BYTE_3
	v_and_b32_e32 v17, 3, v5
	v_ffbh_u32_e32 v19, v17
	v_min_u32_e32 v19, 32, v19
	v_subrev_u32_e32 v20, 29, v19
	v_bfe_u32 v18, v5, 2, 5
	v_lshlrev_b32_e32 v5, v20, v5
	v_sub_u32_e32 v19, 30, v19
	v_and_b32_e32 v5, 3, v5
	v_cmp_eq_u32_e32 vcc, 0, v18
	v_cndmask_b32_e32 v18, v18, v19, vcc
	v_cndmask_b32_e32 v5, v17, v5, vcc
	v_mov_b32_e32 v17, 0x37800000
	v_lshlrev_b32_e32 v5, 21, v5
	v_and_b32_e32 v16, 0x80000000, v16
	v_lshl_add_u32 v17, v18, 23, v17
	v_or3_b32 v16, v16, v17, v5
.LBB244_198:
	s_or_b64 exec, exec, s[24:25]
	s_movk_i32 s22, 0x7f
	v_cmp_gt_i16_sdwa s[24:25], v1, s22 src0_sel:BYTE_3 src1_sel:DWORD
	s_mov_b64 s[22:23], 0
	s_and_saveexec_b64 s[26:27], s[24:25]
	s_xor_b64 s[24:25], exec, s[26:27]
	s_cbranch_execnz .LBB244_481
; %bb.199:
	s_or_saveexec_b64 s[24:25], s[24:25]
	v_mov_b32_e32 v5, 0x7f800001
	s_xor_b64 exec, exec, s[24:25]
	s_cbranch_execnz .LBB244_484
.LBB244_200:
	s_or_b64 exec, exec, s[24:25]
	s_and_saveexec_b64 s[24:25], s[22:23]
	s_cbranch_execz .LBB244_202
.LBB244_201:
	v_mov_b32_e32 v5, 24
	s_mov_b32 s22, 0xffff
	v_lshlrev_b32_sdwa v5, v5, v1 dst_sel:DWORD dst_unused:UNUSED_PAD src0_sel:DWORD src1_sel:BYTE_3
	v_and_b32_sdwa v1, s22, v1 dst_sel:DWORD dst_unused:UNUSED_PAD src0_sel:DWORD src1_sel:BYTE_3
	v_and_b32_e32 v17, 3, v1
	v_ffbh_u32_e32 v19, v17
	v_min_u32_e32 v19, 32, v19
	v_subrev_u32_e32 v20, 29, v19
	v_bfe_u32 v18, v1, 2, 5
	v_lshlrev_b32_e32 v1, v20, v1
	v_sub_u32_e32 v19, 30, v19
	v_and_b32_e32 v1, 3, v1
	v_cmp_eq_u32_e32 vcc, 0, v18
	v_cndmask_b32_e32 v18, v18, v19, vcc
	v_cndmask_b32_e32 v1, v17, v1, vcc
	v_mov_b32_e32 v17, 0x37800000
	v_lshlrev_b32_e32 v1, 21, v1
	v_and_b32_e32 v5, 0x80000000, v5
	v_lshl_add_u32 v17, v18, 23, v17
	v_or3_b32 v5, v5, v17, v1
.LBB244_202:
	s_or_b64 exec, exec, s[24:25]
	v_cmp_eq_f32_e64 s[22:23], v16, v5
	s_and_b64 vcc, exec, s[4:5]
	s_cbranch_vccz .LBB244_54
.LBB244_203:
                                        ; implicit-def: $sgpr24_sgpr25
	s_cbranch_execz .LBB244_63
; %bb.204:
	s_movk_i32 s24, 0x7f
	v_cmp_gt_i16_sdwa s[26:27], v6, s24 src0_sel:BYTE_0 src1_sel:DWORD
	s_mov_b64 s[24:25], 0
	s_and_saveexec_b64 s[28:29], s[26:27]
	s_xor_b64 s[26:27], exec, s[28:29]
	s_cbranch_execnz .LBB244_485
; %bb.205:
	s_or_saveexec_b64 s[26:27], s[26:27]
	v_mov_b32_e32 v1, 0x7f800001
	s_xor_b64 exec, exec, s[26:27]
	s_cbranch_execnz .LBB244_488
.LBB244_206:
	s_or_b64 exec, exec, s[26:27]
	s_and_saveexec_b64 s[26:27], s[24:25]
	s_cbranch_execz .LBB244_208
.LBB244_207:
	v_and_b32_e32 v16, 3, v6
	v_ffbh_u32_e32 v17, v16
	v_min_u32_e32 v17, 32, v17
	v_lshrrev_b16_e32 v5, 2, v6
	v_subrev_u32_e32 v18, 29, v17
	v_and_b32_e32 v5, 31, v5
	v_lshlrev_b32_e32 v18, v18, v6
	v_sub_u32_e32 v17, 30, v17
	v_and_b32_e32 v18, 3, v18
	v_cmp_eq_u32_e32 vcc, 0, v5
	v_lshlrev_b32_e32 v1, 24, v6
	v_cndmask_b32_e32 v5, v5, v17, vcc
	v_cndmask_b32_e32 v16, v16, v18, vcc
	v_mov_b32_e32 v17, 0x37800000
	v_lshlrev_b32_e32 v16, 21, v16
	v_and_b32_e32 v1, 0x80000000, v1
	v_lshl_add_u32 v5, v5, 23, v17
	v_or3_b32 v1, v1, v5, v16
.LBB244_208:
	s_or_b64 exec, exec, s[26:27]
	s_movk_i32 s24, 0x7f
	v_cmp_gt_i16_sdwa s[26:27], v2, s24 src0_sel:BYTE_0 src1_sel:DWORD
	s_mov_b64 s[24:25], 0
	s_and_saveexec_b64 s[28:29], s[26:27]
	s_xor_b64 s[26:27], exec, s[28:29]
	s_cbranch_execnz .LBB244_489
; %bb.209:
	s_or_saveexec_b64 s[26:27], s[26:27]
	v_mov_b32_e32 v5, 0x7f800001
	s_xor_b64 exec, exec, s[26:27]
	s_cbranch_execnz .LBB244_492
.LBB244_210:
	s_or_b64 exec, exec, s[26:27]
	s_and_saveexec_b64 s[26:27], s[24:25]
	s_cbranch_execz .LBB244_212
.LBB244_211:
	v_and_b32_e32 v17, 3, v2
	v_ffbh_u32_e32 v18, v17
	v_min_u32_e32 v18, 32, v18
	v_lshrrev_b16_e32 v16, 2, v2
	v_subrev_u32_e32 v19, 29, v18
	v_and_b32_e32 v16, 31, v16
	v_lshlrev_b32_e32 v19, v19, v2
	v_sub_u32_e32 v18, 30, v18
	v_and_b32_e32 v19, 3, v19
	v_cmp_eq_u32_e32 vcc, 0, v16
	v_lshlrev_b32_e32 v5, 24, v2
	v_cndmask_b32_e32 v16, v16, v18, vcc
	v_cndmask_b32_e32 v17, v17, v19, vcc
	v_mov_b32_e32 v18, 0x37800000
	v_lshlrev_b32_e32 v17, 21, v17
	v_and_b32_e32 v5, 0x80000000, v5
	v_lshl_add_u32 v16, v16, 23, v18
	v_or3_b32 v5, v5, v16, v17
.LBB244_212:
	s_or_b64 exec, exec, s[26:27]
	v_cmp_eq_f32_e64 s[24:25], v1, v5
	s_and_b64 vcc, exec, s[4:5]
	s_cbranch_vccz .LBB244_64
.LBB244_213:
                                        ; implicit-def: $sgpr26_sgpr27
	s_cbranch_execz .LBB244_73
; %bb.214:
	s_movk_i32 s26, 0x7f
	v_cmp_gt_i16_sdwa s[28:29], v15, s26 src0_sel:BYTE_0 src1_sel:DWORD
	s_mov_b64 s[26:27], 0
	s_and_saveexec_b64 s[30:31], s[28:29]
	s_xor_b64 s[28:29], exec, s[30:31]
	s_cbranch_execnz .LBB244_493
; %bb.215:
	s_or_saveexec_b64 s[28:29], s[28:29]
	v_mov_b32_e32 v1, 0x7f800001
	s_xor_b64 exec, exec, s[28:29]
	s_cbranch_execnz .LBB244_496
.LBB244_216:
	s_or_b64 exec, exec, s[28:29]
	s_and_saveexec_b64 s[28:29], s[26:27]
	s_cbranch_execz .LBB244_218
.LBB244_217:
	v_and_b32_e32 v16, 3, v15
	v_ffbh_u32_e32 v17, v16
	v_min_u32_e32 v17, 32, v17
	v_lshrrev_b16_e32 v5, 2, v15
	v_subrev_u32_e32 v18, 29, v17
	v_lshlrev_b32_e32 v1, 24, v15
	v_and_b32_e32 v5, 31, v5
	v_lshlrev_b32_e32 v15, v18, v15
	v_sub_u32_e32 v17, 30, v17
	v_and_b32_e32 v15, 3, v15
	v_cmp_eq_u32_e32 vcc, 0, v5
	v_cndmask_b32_e32 v5, v5, v17, vcc
	v_cndmask_b32_e32 v15, v16, v15, vcc
	v_mov_b32_e32 v16, 0x37800000
	v_lshlrev_b32_e32 v15, 21, v15
	v_and_b32_e32 v1, 0x80000000, v1
	v_lshl_add_u32 v5, v5, 23, v16
	v_or3_b32 v1, v1, v5, v15
.LBB244_218:
	s_or_b64 exec, exec, s[28:29]
	s_movk_i32 s26, 0x7f
	v_cmp_gt_i16_sdwa s[28:29], v14, s26 src0_sel:BYTE_0 src1_sel:DWORD
	s_mov_b64 s[26:27], 0
	s_and_saveexec_b64 s[30:31], s[28:29]
	s_xor_b64 s[28:29], exec, s[30:31]
	s_cbranch_execnz .LBB244_497
; %bb.219:
	s_or_saveexec_b64 s[28:29], s[28:29]
	v_mov_b32_e32 v5, 0x7f800001
	s_xor_b64 exec, exec, s[28:29]
	s_cbranch_execnz .LBB244_500
.LBB244_220:
	s_or_b64 exec, exec, s[28:29]
	s_and_saveexec_b64 s[28:29], s[26:27]
	s_cbranch_execz .LBB244_222
.LBB244_221:
	v_and_b32_e32 v16, 3, v14
	v_ffbh_u32_e32 v17, v16
	v_min_u32_e32 v17, 32, v17
	v_lshrrev_b16_e32 v15, 2, v14
	v_subrev_u32_e32 v18, 29, v17
	v_lshlrev_b32_e32 v5, 24, v14
	v_and_b32_e32 v15, 31, v15
	v_lshlrev_b32_e32 v14, v18, v14
	v_sub_u32_e32 v17, 30, v17
	v_and_b32_e32 v14, 3, v14
	v_cmp_eq_u32_e32 vcc, 0, v15
	v_cndmask_b32_e32 v15, v15, v17, vcc
	v_cndmask_b32_e32 v14, v16, v14, vcc
	v_mov_b32_e32 v16, 0x37800000
	v_lshlrev_b32_e32 v14, 21, v14
	v_and_b32_e32 v5, 0x80000000, v5
	v_lshl_add_u32 v15, v15, 23, v16
	v_or3_b32 v5, v5, v15, v14
.LBB244_222:
	s_or_b64 exec, exec, s[28:29]
	v_cmp_eq_f32_e64 s[26:27], v1, v5
	s_and_b64 vcc, exec, s[4:5]
	s_cbranch_vccz .LBB244_74
.LBB244_223:
                                        ; implicit-def: $sgpr28_sgpr29
	s_cbranch_execz .LBB244_83
; %bb.224:
	s_movk_i32 s28, 0xff
	v_and_b32_sdwa v5, v6, s28 dst_sel:DWORD dst_unused:UNUSED_PAD src0_sel:WORD_1 src1_sel:DWORD
	s_movk_i32 s28, 0x7f
	v_cmp_lt_i16_e32 vcc, s28, v5
	s_mov_b64 s[28:29], 0
	s_and_saveexec_b64 s[30:31], vcc
	s_xor_b64 s[30:31], exec, s[30:31]
	s_cbranch_execnz .LBB244_501
; %bb.225:
	s_or_saveexec_b64 s[30:31], s[30:31]
	v_mov_b32_e32 v1, 0x7f800001
	s_xor_b64 exec, exec, s[30:31]
	s_cbranch_execnz .LBB244_504
.LBB244_226:
	s_or_b64 exec, exec, s[30:31]
	s_and_saveexec_b64 s[30:31], s[28:29]
	s_cbranch_execz .LBB244_228
.LBB244_227:
	v_mov_b32_e32 v14, 3
	v_and_b32_sdwa v14, v6, v14 dst_sel:DWORD dst_unused:UNUSED_PAD src0_sel:WORD_1 src1_sel:DWORD
	v_ffbh_u32_e32 v15, v14
	v_mov_b32_e32 v5, 2
	v_min_u32_e32 v15, 32, v15
	v_lshrrev_b16_sdwa v5, v5, v6 dst_sel:DWORD dst_unused:UNUSED_PAD src0_sel:DWORD src1_sel:WORD_1
	v_subrev_u32_e32 v16, 29, v15
	v_and_b32_e32 v5, 31, v5
	v_lshlrev_b32_sdwa v16, v16, v6 dst_sel:DWORD dst_unused:UNUSED_PAD src0_sel:DWORD src1_sel:WORD_1
	v_mov_b32_e32 v1, 24
	v_sub_u32_e32 v15, 30, v15
	v_and_b32_e32 v16, 3, v16
	v_cmp_eq_u32_e32 vcc, 0, v5
	v_lshlrev_b32_sdwa v1, v1, v6 dst_sel:DWORD dst_unused:UNUSED_PAD src0_sel:DWORD src1_sel:WORD_1
	v_cndmask_b32_e32 v5, v5, v15, vcc
	v_cndmask_b32_e32 v14, v14, v16, vcc
	v_mov_b32_e32 v15, 0x37800000
	v_lshlrev_b32_e32 v14, 21, v14
	v_and_b32_e32 v1, 0x80000000, v1
	v_lshl_add_u32 v5, v5, 23, v15
	v_or3_b32 v1, v1, v5, v14
.LBB244_228:
	s_or_b64 exec, exec, s[30:31]
	s_movk_i32 s28, 0xff
	v_and_b32_sdwa v5, v2, s28 dst_sel:DWORD dst_unused:UNUSED_PAD src0_sel:WORD_1 src1_sel:DWORD
	s_movk_i32 s28, 0x7f
	v_cmp_lt_i16_e32 vcc, s28, v5
	s_mov_b64 s[28:29], 0
	s_and_saveexec_b64 s[30:31], vcc
	s_xor_b64 s[30:31], exec, s[30:31]
	s_cbranch_execnz .LBB244_505
; %bb.229:
	s_or_saveexec_b64 s[30:31], s[30:31]
	v_mov_b32_e32 v14, 0x7f800001
	s_xor_b64 exec, exec, s[30:31]
	s_cbranch_execnz .LBB244_508
.LBB244_230:
	s_or_b64 exec, exec, s[30:31]
	s_and_saveexec_b64 s[30:31], s[28:29]
	s_cbranch_execz .LBB244_232
.LBB244_231:
	v_mov_b32_e32 v15, 3
	v_and_b32_sdwa v15, v2, v15 dst_sel:DWORD dst_unused:UNUSED_PAD src0_sel:WORD_1 src1_sel:DWORD
	v_ffbh_u32_e32 v16, v15
	v_mov_b32_e32 v14, 2
	v_min_u32_e32 v16, 32, v16
	v_lshrrev_b16_sdwa v14, v14, v2 dst_sel:DWORD dst_unused:UNUSED_PAD src0_sel:DWORD src1_sel:WORD_1
	v_subrev_u32_e32 v17, 29, v16
	v_and_b32_e32 v14, 31, v14
	v_lshlrev_b32_sdwa v17, v17, v2 dst_sel:DWORD dst_unused:UNUSED_PAD src0_sel:DWORD src1_sel:WORD_1
	v_mov_b32_e32 v5, 24
	v_sub_u32_e32 v16, 30, v16
	v_and_b32_e32 v17, 3, v17
	v_cmp_eq_u32_e32 vcc, 0, v14
	v_lshlrev_b32_sdwa v5, v5, v2 dst_sel:DWORD dst_unused:UNUSED_PAD src0_sel:DWORD src1_sel:WORD_1
	v_cndmask_b32_e32 v14, v14, v16, vcc
	v_cndmask_b32_e32 v15, v15, v17, vcc
	v_mov_b32_e32 v16, 0x37800000
	v_lshlrev_b32_e32 v15, 21, v15
	v_and_b32_e32 v5, 0x80000000, v5
	v_lshl_add_u32 v14, v14, 23, v16
	v_or3_b32 v14, v5, v14, v15
.LBB244_232:
	s_or_b64 exec, exec, s[30:31]
	v_cmp_eq_f32_e64 s[28:29], v1, v14
	s_and_b64 vcc, exec, s[4:5]
	s_cbranch_vccz .LBB244_84
.LBB244_233:
                                        ; implicit-def: $sgpr30_sgpr31
	s_cbranch_execz .LBB244_93
; %bb.234:
	s_movk_i32 s30, 0x7f
	v_cmp_gt_i16_sdwa s[34:35], v6, s30 src0_sel:BYTE_3 src1_sel:DWORD
	s_mov_b64 s[30:31], 0
	s_and_saveexec_b64 s[36:37], s[34:35]
	s_xor_b64 s[34:35], exec, s[36:37]
	s_cbranch_execnz .LBB244_509
; %bb.235:
	s_or_saveexec_b64 s[34:35], s[34:35]
	v_mov_b32_e32 v1, 0x7f800001
	s_xor_b64 exec, exec, s[34:35]
	s_cbranch_execnz .LBB244_512
.LBB244_236:
	s_or_b64 exec, exec, s[34:35]
	s_and_saveexec_b64 s[34:35], s[30:31]
	s_cbranch_execz .LBB244_238
.LBB244_237:
	s_mov_b32 s30, 0xffff
	v_mov_b32_e32 v1, 24
	v_and_b32_sdwa v5, s30, v6 dst_sel:DWORD dst_unused:UNUSED_PAD src0_sel:DWORD src1_sel:BYTE_3
	v_lshlrev_b32_sdwa v1, v1, v6 dst_sel:DWORD dst_unused:UNUSED_PAD src0_sel:DWORD src1_sel:BYTE_3
	v_and_b32_e32 v6, 3, v5
	v_ffbh_u32_e32 v15, v6
	v_min_u32_e32 v15, 32, v15
	v_subrev_u32_e32 v16, 29, v15
	v_bfe_u32 v14, v5, 2, 5
	v_lshlrev_b32_e32 v5, v16, v5
	v_sub_u32_e32 v15, 30, v15
	v_and_b32_e32 v5, 3, v5
	v_cmp_eq_u32_e32 vcc, 0, v14
	v_cndmask_b32_e32 v14, v14, v15, vcc
	v_cndmask_b32_e32 v5, v6, v5, vcc
	v_mov_b32_e32 v6, 0x37800000
	v_lshlrev_b32_e32 v5, 21, v5
	v_and_b32_e32 v1, 0x80000000, v1
	v_lshl_add_u32 v6, v14, 23, v6
	v_or3_b32 v1, v1, v6, v5
.LBB244_238:
	s_or_b64 exec, exec, s[34:35]
	s_movk_i32 s30, 0x7f
	v_cmp_gt_i16_sdwa s[34:35], v2, s30 src0_sel:BYTE_3 src1_sel:DWORD
	s_mov_b64 s[30:31], 0
	s_and_saveexec_b64 s[36:37], s[34:35]
	s_xor_b64 s[34:35], exec, s[36:37]
	s_cbranch_execnz .LBB244_513
; %bb.239:
	s_or_saveexec_b64 s[34:35], s[34:35]
	v_mov_b32_e32 v5, 0x7f800001
	s_xor_b64 exec, exec, s[34:35]
	s_cbranch_execnz .LBB244_516
.LBB244_240:
	s_or_b64 exec, exec, s[34:35]
	s_and_saveexec_b64 s[34:35], s[30:31]
	s_cbranch_execz .LBB244_242
.LBB244_241:
	v_mov_b32_e32 v5, 24
	s_mov_b32 s30, 0xffff
	v_lshlrev_b32_sdwa v5, v5, v2 dst_sel:DWORD dst_unused:UNUSED_PAD src0_sel:DWORD src1_sel:BYTE_3
	v_and_b32_sdwa v2, s30, v2 dst_sel:DWORD dst_unused:UNUSED_PAD src0_sel:DWORD src1_sel:BYTE_3
	v_and_b32_e32 v6, 3, v2
	v_ffbh_u32_e32 v15, v6
	v_min_u32_e32 v15, 32, v15
	v_subrev_u32_e32 v16, 29, v15
	v_bfe_u32 v14, v2, 2, 5
	v_lshlrev_b32_e32 v2, v16, v2
	v_sub_u32_e32 v15, 30, v15
	v_and_b32_e32 v2, 3, v2
	v_cmp_eq_u32_e32 vcc, 0, v14
	v_cndmask_b32_e32 v14, v14, v15, vcc
	v_cndmask_b32_e32 v2, v6, v2, vcc
	v_mov_b32_e32 v6, 0x37800000
	v_lshlrev_b32_e32 v2, 21, v2
	v_and_b32_e32 v5, 0x80000000, v5
	v_lshl_add_u32 v6, v14, 23, v6
	v_or3_b32 v5, v5, v6, v2
.LBB244_242:
	s_or_b64 exec, exec, s[34:35]
	v_cmp_eq_f32_e64 s[30:31], v1, v5
	s_and_b64 vcc, exec, s[4:5]
	s_cbranch_vccz .LBB244_94
.LBB244_243:
                                        ; implicit-def: $sgpr34_sgpr35
	s_cbranch_execz .LBB244_103
; %bb.244:
	s_movk_i32 s34, 0x7f
	v_cmp_gt_i16_sdwa s[36:37], v7, s34 src0_sel:BYTE_0 src1_sel:DWORD
	s_mov_b64 s[34:35], 0
	s_and_saveexec_b64 s[38:39], s[36:37]
	s_xor_b64 s[36:37], exec, s[38:39]
	s_cbranch_execnz .LBB244_517
; %bb.245:
	s_or_saveexec_b64 s[36:37], s[36:37]
	v_mov_b32_e32 v1, 0x7f800001
	s_xor_b64 exec, exec, s[36:37]
	s_cbranch_execnz .LBB244_520
.LBB244_246:
	s_or_b64 exec, exec, s[36:37]
	s_and_saveexec_b64 s[36:37], s[34:35]
	s_cbranch_execz .LBB244_248
.LBB244_247:
	v_and_b32_e32 v5, 3, v7
	v_ffbh_u32_e32 v6, v5
	v_min_u32_e32 v6, 32, v6
	v_lshrrev_b16_e32 v2, 2, v7
	v_subrev_u32_e32 v14, 29, v6
	v_and_b32_e32 v2, 31, v2
	v_lshlrev_b32_e32 v14, v14, v7
	v_sub_u32_e32 v6, 30, v6
	v_and_b32_e32 v14, 3, v14
	v_cmp_eq_u32_e32 vcc, 0, v2
	v_lshlrev_b32_e32 v1, 24, v7
	v_cndmask_b32_e32 v2, v2, v6, vcc
	v_cndmask_b32_e32 v5, v5, v14, vcc
	v_mov_b32_e32 v6, 0x37800000
	v_lshlrev_b32_e32 v5, 21, v5
	v_and_b32_e32 v1, 0x80000000, v1
	v_lshl_add_u32 v2, v2, 23, v6
	v_or3_b32 v1, v1, v2, v5
.LBB244_248:
	s_or_b64 exec, exec, s[36:37]
	s_movk_i32 s34, 0x7f
	v_cmp_gt_i16_sdwa s[36:37], v3, s34 src0_sel:BYTE_0 src1_sel:DWORD
	s_mov_b64 s[34:35], 0
	s_and_saveexec_b64 s[38:39], s[36:37]
	s_xor_b64 s[36:37], exec, s[38:39]
	s_cbranch_execnz .LBB244_521
; %bb.249:
	s_or_saveexec_b64 s[36:37], s[36:37]
	v_mov_b32_e32 v2, 0x7f800001
	s_xor_b64 exec, exec, s[36:37]
	s_cbranch_execnz .LBB244_524
.LBB244_250:
	s_or_b64 exec, exec, s[36:37]
	s_and_saveexec_b64 s[36:37], s[34:35]
	s_cbranch_execz .LBB244_252
.LBB244_251:
	v_and_b32_e32 v6, 3, v3
	v_ffbh_u32_e32 v14, v6
	v_min_u32_e32 v14, 32, v14
	v_lshrrev_b16_e32 v5, 2, v3
	v_subrev_u32_e32 v15, 29, v14
	v_and_b32_e32 v5, 31, v5
	v_lshlrev_b32_e32 v15, v15, v3
	v_sub_u32_e32 v14, 30, v14
	v_and_b32_e32 v15, 3, v15
	v_cmp_eq_u32_e32 vcc, 0, v5
	v_lshlrev_b32_e32 v2, 24, v3
	v_cndmask_b32_e32 v5, v5, v14, vcc
	v_cndmask_b32_e32 v6, v6, v15, vcc
	v_mov_b32_e32 v14, 0x37800000
	v_lshlrev_b32_e32 v6, 21, v6
	v_and_b32_e32 v2, 0x80000000, v2
	v_lshl_add_u32 v5, v5, 23, v14
	v_or3_b32 v2, v2, v5, v6
.LBB244_252:
	s_or_b64 exec, exec, s[36:37]
	v_cmp_eq_f32_e64 s[34:35], v1, v2
	s_and_b64 vcc, exec, s[4:5]
	s_cbranch_vccz .LBB244_104
.LBB244_253:
                                        ; implicit-def: $sgpr36_sgpr37
	s_cbranch_execz .LBB244_113
; %bb.254:
	s_movk_i32 s36, 0x7f
	v_cmp_gt_i16_sdwa s[38:39], v13, s36 src0_sel:BYTE_0 src1_sel:DWORD
	s_mov_b64 s[36:37], 0
	s_and_saveexec_b64 s[40:41], s[38:39]
	s_xor_b64 s[38:39], exec, s[40:41]
	s_cbranch_execnz .LBB244_525
; %bb.255:
	s_or_saveexec_b64 s[38:39], s[38:39]
	v_mov_b32_e32 v1, 0x7f800001
	s_xor_b64 exec, exec, s[38:39]
	s_cbranch_execnz .LBB244_528
.LBB244_256:
	s_or_b64 exec, exec, s[38:39]
	s_and_saveexec_b64 s[38:39], s[36:37]
	s_cbranch_execz .LBB244_258
.LBB244_257:
	v_and_b32_e32 v5, 3, v13
	v_ffbh_u32_e32 v6, v5
	v_min_u32_e32 v6, 32, v6
	v_lshrrev_b16_e32 v2, 2, v13
	v_subrev_u32_e32 v14, 29, v6
	v_lshlrev_b32_e32 v1, 24, v13
	v_and_b32_e32 v2, 31, v2
	v_lshlrev_b32_e32 v13, v14, v13
	v_sub_u32_e32 v6, 30, v6
	v_and_b32_e32 v13, 3, v13
	v_cmp_eq_u32_e32 vcc, 0, v2
	v_cndmask_b32_e32 v2, v2, v6, vcc
	v_cndmask_b32_e32 v5, v5, v13, vcc
	v_mov_b32_e32 v6, 0x37800000
	v_lshlrev_b32_e32 v5, 21, v5
	v_and_b32_e32 v1, 0x80000000, v1
	v_lshl_add_u32 v2, v2, 23, v6
	v_or3_b32 v1, v1, v2, v5
.LBB244_258:
	s_or_b64 exec, exec, s[38:39]
	s_movk_i32 s36, 0x7f
	v_cmp_gt_i16_sdwa s[38:39], v12, s36 src0_sel:BYTE_0 src1_sel:DWORD
	s_mov_b64 s[36:37], 0
	s_and_saveexec_b64 s[40:41], s[38:39]
	s_xor_b64 s[38:39], exec, s[40:41]
	s_cbranch_execnz .LBB244_529
; %bb.259:
	s_or_saveexec_b64 s[38:39], s[38:39]
	v_mov_b32_e32 v2, 0x7f800001
	s_xor_b64 exec, exec, s[38:39]
	s_cbranch_execnz .LBB244_532
.LBB244_260:
	s_or_b64 exec, exec, s[38:39]
	s_and_saveexec_b64 s[38:39], s[36:37]
	s_cbranch_execz .LBB244_262
.LBB244_261:
	v_and_b32_e32 v6, 3, v12
	v_ffbh_u32_e32 v13, v6
	v_min_u32_e32 v13, 32, v13
	v_lshrrev_b16_e32 v5, 2, v12
	v_subrev_u32_e32 v14, 29, v13
	v_lshlrev_b32_e32 v2, 24, v12
	v_and_b32_e32 v5, 31, v5
	v_lshlrev_b32_e32 v12, v14, v12
	v_sub_u32_e32 v13, 30, v13
	v_and_b32_e32 v12, 3, v12
	v_cmp_eq_u32_e32 vcc, 0, v5
	v_cndmask_b32_e32 v5, v5, v13, vcc
	v_cndmask_b32_e32 v6, v6, v12, vcc
	v_mov_b32_e32 v12, 0x37800000
	v_lshlrev_b32_e32 v6, 21, v6
	v_and_b32_e32 v2, 0x80000000, v2
	v_lshl_add_u32 v5, v5, 23, v12
	v_or3_b32 v2, v2, v5, v6
.LBB244_262:
	s_or_b64 exec, exec, s[38:39]
	v_cmp_eq_f32_e64 s[36:37], v1, v2
	s_and_b64 vcc, exec, s[4:5]
	s_cbranch_vccz .LBB244_114
.LBB244_263:
                                        ; implicit-def: $sgpr38_sgpr39
	s_cbranch_execz .LBB244_123
; %bb.264:
	s_movk_i32 s38, 0xff
	v_and_b32_sdwa v2, v7, s38 dst_sel:DWORD dst_unused:UNUSED_PAD src0_sel:WORD_1 src1_sel:DWORD
	s_movk_i32 s38, 0x7f
	v_cmp_lt_i16_e32 vcc, s38, v2
	s_mov_b64 s[38:39], 0
	s_and_saveexec_b64 s[40:41], vcc
	s_xor_b64 s[40:41], exec, s[40:41]
	s_cbranch_execnz .LBB244_533
; %bb.265:
	s_or_saveexec_b64 s[40:41], s[40:41]
	v_mov_b32_e32 v1, 0x7f800001
	s_xor_b64 exec, exec, s[40:41]
	s_cbranch_execnz .LBB244_536
.LBB244_266:
	s_or_b64 exec, exec, s[40:41]
	s_and_saveexec_b64 s[40:41], s[38:39]
	s_cbranch_execz .LBB244_268
.LBB244_267:
	v_mov_b32_e32 v5, 3
	v_and_b32_sdwa v5, v7, v5 dst_sel:DWORD dst_unused:UNUSED_PAD src0_sel:WORD_1 src1_sel:DWORD
	v_ffbh_u32_e32 v6, v5
	v_mov_b32_e32 v2, 2
	v_min_u32_e32 v6, 32, v6
	v_lshrrev_b16_sdwa v2, v2, v7 dst_sel:DWORD dst_unused:UNUSED_PAD src0_sel:DWORD src1_sel:WORD_1
	v_subrev_u32_e32 v12, 29, v6
	v_and_b32_e32 v2, 31, v2
	v_lshlrev_b32_sdwa v12, v12, v7 dst_sel:DWORD dst_unused:UNUSED_PAD src0_sel:DWORD src1_sel:WORD_1
	v_mov_b32_e32 v1, 24
	v_sub_u32_e32 v6, 30, v6
	v_and_b32_e32 v12, 3, v12
	v_cmp_eq_u32_e32 vcc, 0, v2
	v_lshlrev_b32_sdwa v1, v1, v7 dst_sel:DWORD dst_unused:UNUSED_PAD src0_sel:DWORD src1_sel:WORD_1
	v_cndmask_b32_e32 v2, v2, v6, vcc
	v_cndmask_b32_e32 v5, v5, v12, vcc
	v_mov_b32_e32 v6, 0x37800000
	v_lshlrev_b32_e32 v5, 21, v5
	v_and_b32_e32 v1, 0x80000000, v1
	v_lshl_add_u32 v2, v2, 23, v6
	v_or3_b32 v1, v1, v2, v5
.LBB244_268:
	s_or_b64 exec, exec, s[40:41]
	s_movk_i32 s38, 0xff
	v_and_b32_sdwa v2, v3, s38 dst_sel:DWORD dst_unused:UNUSED_PAD src0_sel:WORD_1 src1_sel:DWORD
	s_movk_i32 s38, 0x7f
	v_cmp_lt_i16_e32 vcc, s38, v2
	s_mov_b64 s[38:39], 0
	s_and_saveexec_b64 s[40:41], vcc
	s_xor_b64 s[40:41], exec, s[40:41]
	s_cbranch_execnz .LBB244_537
; %bb.269:
	s_or_saveexec_b64 s[40:41], s[40:41]
	v_mov_b32_e32 v5, 0x7f800001
	s_xor_b64 exec, exec, s[40:41]
	s_cbranch_execnz .LBB244_540
.LBB244_270:
	s_or_b64 exec, exec, s[40:41]
	s_and_saveexec_b64 s[40:41], s[38:39]
	s_cbranch_execz .LBB244_272
.LBB244_271:
	v_mov_b32_e32 v6, 3
	v_and_b32_sdwa v6, v3, v6 dst_sel:DWORD dst_unused:UNUSED_PAD src0_sel:WORD_1 src1_sel:DWORD
	v_ffbh_u32_e32 v12, v6
	v_mov_b32_e32 v5, 2
	v_min_u32_e32 v12, 32, v12
	v_lshrrev_b16_sdwa v5, v5, v3 dst_sel:DWORD dst_unused:UNUSED_PAD src0_sel:DWORD src1_sel:WORD_1
	v_subrev_u32_e32 v13, 29, v12
	v_and_b32_e32 v5, 31, v5
	v_lshlrev_b32_sdwa v13, v13, v3 dst_sel:DWORD dst_unused:UNUSED_PAD src0_sel:DWORD src1_sel:WORD_1
	v_mov_b32_e32 v2, 24
	v_sub_u32_e32 v12, 30, v12
	v_and_b32_e32 v13, 3, v13
	v_cmp_eq_u32_e32 vcc, 0, v5
	v_lshlrev_b32_sdwa v2, v2, v3 dst_sel:DWORD dst_unused:UNUSED_PAD src0_sel:DWORD src1_sel:WORD_1
	v_cndmask_b32_e32 v5, v5, v12, vcc
	v_cndmask_b32_e32 v6, v6, v13, vcc
	v_mov_b32_e32 v12, 0x37800000
	v_lshlrev_b32_e32 v6, 21, v6
	v_and_b32_e32 v2, 0x80000000, v2
	v_lshl_add_u32 v5, v5, 23, v12
	v_or3_b32 v5, v2, v5, v6
.LBB244_272:
	s_or_b64 exec, exec, s[40:41]
	v_cmp_eq_f32_e64 s[38:39], v1, v5
	s_and_b64 vcc, exec, s[4:5]
	s_cbranch_vccz .LBB244_124
.LBB244_273:
                                        ; implicit-def: $sgpr40_sgpr41
	s_cbranch_execz .LBB244_133
; %bb.274:
	s_movk_i32 s40, 0x7f
	v_cmp_gt_i16_sdwa s[42:43], v7, s40 src0_sel:BYTE_3 src1_sel:DWORD
	s_mov_b64 s[40:41], 0
	s_and_saveexec_b64 s[44:45], s[42:43]
	s_xor_b64 s[42:43], exec, s[44:45]
	s_cbranch_execnz .LBB244_541
; %bb.275:
	s_or_saveexec_b64 s[42:43], s[42:43]
	v_mov_b32_e32 v1, 0x7f800001
	s_xor_b64 exec, exec, s[42:43]
	s_cbranch_execnz .LBB244_544
.LBB244_276:
	s_or_b64 exec, exec, s[42:43]
	s_and_saveexec_b64 s[42:43], s[40:41]
	s_cbranch_execz .LBB244_278
.LBB244_277:
	s_mov_b32 s40, 0xffff
	v_and_b32_sdwa v2, s40, v7 dst_sel:DWORD dst_unused:UNUSED_PAD src0_sel:DWORD src1_sel:BYTE_3
	v_mov_b32_e32 v1, 24
	v_and_b32_e32 v5, 3, v2
	v_lshlrev_b32_sdwa v1, v1, v7 dst_sel:DWORD dst_unused:UNUSED_PAD src0_sel:DWORD src1_sel:BYTE_3
	v_ffbh_u32_e32 v7, v5
	v_min_u32_e32 v7, 32, v7
	v_subrev_u32_e32 v12, 29, v7
	v_bfe_u32 v6, v2, 2, 5
	v_lshlrev_b32_e32 v2, v12, v2
	v_sub_u32_e32 v7, 30, v7
	v_and_b32_e32 v2, 3, v2
	v_cmp_eq_u32_e32 vcc, 0, v6
	v_cndmask_b32_e32 v6, v6, v7, vcc
	v_cndmask_b32_e32 v2, v5, v2, vcc
	v_mov_b32_e32 v5, 0x37800000
	v_lshlrev_b32_e32 v2, 21, v2
	v_and_b32_e32 v1, 0x80000000, v1
	v_lshl_add_u32 v5, v6, 23, v5
	v_or3_b32 v1, v1, v5, v2
.LBB244_278:
	s_or_b64 exec, exec, s[42:43]
	s_movk_i32 s40, 0x7f
	v_cmp_gt_i16_sdwa s[42:43], v3, s40 src0_sel:BYTE_3 src1_sel:DWORD
	s_mov_b64 s[40:41], 0
	s_and_saveexec_b64 s[44:45], s[42:43]
	s_xor_b64 s[42:43], exec, s[44:45]
	s_cbranch_execnz .LBB244_545
; %bb.279:
	s_or_saveexec_b64 s[42:43], s[42:43]
	v_mov_b32_e32 v2, 0x7f800001
	s_xor_b64 exec, exec, s[42:43]
	s_cbranch_execnz .LBB244_548
.LBB244_280:
	s_or_b64 exec, exec, s[42:43]
	s_and_saveexec_b64 s[42:43], s[40:41]
	s_cbranch_execz .LBB244_282
.LBB244_281:
	v_mov_b32_e32 v2, 24
	s_mov_b32 s40, 0xffff
	v_lshlrev_b32_sdwa v2, v2, v3 dst_sel:DWORD dst_unused:UNUSED_PAD src0_sel:DWORD src1_sel:BYTE_3
	v_and_b32_sdwa v3, s40, v3 dst_sel:DWORD dst_unused:UNUSED_PAD src0_sel:DWORD src1_sel:BYTE_3
	v_and_b32_e32 v5, 3, v3
	v_ffbh_u32_e32 v7, v5
	v_min_u32_e32 v7, 32, v7
	v_subrev_u32_e32 v12, 29, v7
	v_bfe_u32 v6, v3, 2, 5
	v_lshlrev_b32_e32 v3, v12, v3
	v_sub_u32_e32 v7, 30, v7
	v_and_b32_e32 v3, 3, v3
	v_cmp_eq_u32_e32 vcc, 0, v6
	v_cndmask_b32_e32 v6, v6, v7, vcc
	v_cndmask_b32_e32 v3, v5, v3, vcc
	v_mov_b32_e32 v5, 0x37800000
	v_lshlrev_b32_e32 v3, 21, v3
	v_and_b32_e32 v2, 0x80000000, v2
	v_lshl_add_u32 v5, v6, 23, v5
	v_or3_b32 v2, v2, v5, v3
.LBB244_282:
	s_or_b64 exec, exec, s[42:43]
	v_cmp_eq_f32_e64 s[40:41], v1, v2
	s_and_b64 vcc, exec, s[4:5]
	s_cbranch_vccz .LBB244_134
.LBB244_283:
                                        ; implicit-def: $sgpr42_sgpr43
	s_cbranch_execz .LBB244_143
; %bb.284:
	s_movk_i32 s42, 0x7f
	v_cmp_gt_i16_sdwa s[44:45], v8, s42 src0_sel:BYTE_0 src1_sel:DWORD
	s_mov_b64 s[42:43], 0
	s_and_saveexec_b64 s[46:47], s[44:45]
	s_xor_b64 s[44:45], exec, s[46:47]
	s_cbranch_execnz .LBB244_549
; %bb.285:
	s_or_saveexec_b64 s[44:45], s[44:45]
	v_mov_b32_e32 v1, 0x7f800001
	s_xor_b64 exec, exec, s[44:45]
	s_cbranch_execnz .LBB244_552
.LBB244_286:
	s_or_b64 exec, exec, s[44:45]
	s_and_saveexec_b64 s[44:45], s[42:43]
	s_cbranch_execz .LBB244_288
.LBB244_287:
	v_and_b32_e32 v3, 3, v8
	v_ffbh_u32_e32 v5, v3
	v_min_u32_e32 v5, 32, v5
	v_lshrrev_b16_e32 v2, 2, v8
	v_subrev_u32_e32 v6, 29, v5
	v_and_b32_e32 v2, 31, v2
	v_lshlrev_b32_e32 v6, v6, v8
	v_sub_u32_e32 v5, 30, v5
	v_and_b32_e32 v6, 3, v6
	v_cmp_eq_u32_e32 vcc, 0, v2
	v_lshlrev_b32_e32 v1, 24, v8
	v_cndmask_b32_e32 v2, v2, v5, vcc
	v_cndmask_b32_e32 v3, v3, v6, vcc
	v_mov_b32_e32 v5, 0x37800000
	v_lshlrev_b32_e32 v3, 21, v3
	v_and_b32_e32 v1, 0x80000000, v1
	v_lshl_add_u32 v2, v2, 23, v5
	v_or3_b32 v1, v1, v2, v3
.LBB244_288:
	s_or_b64 exec, exec, s[44:45]
	s_movk_i32 s42, 0x7f
	v_cmp_gt_i16_sdwa s[44:45], v4, s42 src0_sel:BYTE_0 src1_sel:DWORD
	s_mov_b64 s[42:43], 0
	s_and_saveexec_b64 s[46:47], s[44:45]
	s_xor_b64 s[44:45], exec, s[46:47]
	s_cbranch_execnz .LBB244_553
; %bb.289:
	s_or_saveexec_b64 s[44:45], s[44:45]
	v_mov_b32_e32 v2, 0x7f800001
	s_xor_b64 exec, exec, s[44:45]
	s_cbranch_execnz .LBB244_556
.LBB244_290:
	s_or_b64 exec, exec, s[44:45]
	s_and_saveexec_b64 s[44:45], s[42:43]
	s_cbranch_execz .LBB244_292
.LBB244_291:
	v_and_b32_e32 v5, 3, v4
	v_ffbh_u32_e32 v6, v5
	v_min_u32_e32 v6, 32, v6
	v_lshrrev_b16_e32 v3, 2, v4
	v_subrev_u32_e32 v7, 29, v6
	v_and_b32_e32 v3, 31, v3
	v_lshlrev_b32_e32 v7, v7, v4
	v_sub_u32_e32 v6, 30, v6
	v_and_b32_e32 v7, 3, v7
	v_cmp_eq_u32_e32 vcc, 0, v3
	v_lshlrev_b32_e32 v2, 24, v4
	v_cndmask_b32_e32 v3, v3, v6, vcc
	v_cndmask_b32_e32 v5, v5, v7, vcc
	v_mov_b32_e32 v6, 0x37800000
	v_lshlrev_b32_e32 v5, 21, v5
	v_and_b32_e32 v2, 0x80000000, v2
	v_lshl_add_u32 v3, v3, 23, v6
	v_or3_b32 v2, v2, v3, v5
.LBB244_292:
	s_or_b64 exec, exec, s[44:45]
	v_cmp_eq_f32_e64 s[42:43], v1, v2
	s_and_b64 vcc, exec, s[4:5]
	s_cbranch_vccz .LBB244_144
.LBB244_293:
                                        ; implicit-def: $sgpr44_sgpr45
	s_cbranch_execz .LBB244_153
; %bb.294:
	s_movk_i32 s44, 0x7f
	v_cmp_gt_i16_sdwa s[46:47], v11, s44 src0_sel:BYTE_0 src1_sel:DWORD
	s_mov_b64 s[44:45], 0
	s_and_saveexec_b64 s[48:49], s[46:47]
	s_xor_b64 s[46:47], exec, s[48:49]
	s_cbranch_execnz .LBB244_557
; %bb.295:
	s_or_saveexec_b64 s[46:47], s[46:47]
	v_mov_b32_e32 v1, 0x7f800001
	s_xor_b64 exec, exec, s[46:47]
	s_cbranch_execnz .LBB244_560
.LBB244_296:
	s_or_b64 exec, exec, s[46:47]
	s_and_saveexec_b64 s[46:47], s[44:45]
	s_cbranch_execz .LBB244_298
.LBB244_297:
	v_and_b32_e32 v3, 3, v11
	v_ffbh_u32_e32 v5, v3
	v_min_u32_e32 v5, 32, v5
	v_lshrrev_b16_e32 v2, 2, v11
	v_subrev_u32_e32 v6, 29, v5
	v_and_b32_e32 v2, 31, v2
	v_lshlrev_b32_e32 v6, v6, v11
	v_sub_u32_e32 v5, 30, v5
	v_and_b32_e32 v6, 3, v6
	v_cmp_eq_u32_e32 vcc, 0, v2
	v_lshlrev_b32_e32 v1, 24, v11
	v_cndmask_b32_e32 v2, v2, v5, vcc
	v_cndmask_b32_e32 v3, v3, v6, vcc
	v_mov_b32_e32 v5, 0x37800000
	v_lshlrev_b32_e32 v3, 21, v3
	v_and_b32_e32 v1, 0x80000000, v1
	v_lshl_add_u32 v2, v2, 23, v5
	v_or3_b32 v1, v1, v2, v3
.LBB244_298:
	s_or_b64 exec, exec, s[46:47]
	s_movk_i32 s44, 0x7f
	v_cmp_gt_i16_sdwa s[46:47], v10, s44 src0_sel:BYTE_0 src1_sel:DWORD
	s_mov_b64 s[44:45], 0
	s_and_saveexec_b64 s[48:49], s[46:47]
	s_xor_b64 s[46:47], exec, s[48:49]
	s_cbranch_execnz .LBB244_561
; %bb.299:
	s_or_saveexec_b64 s[46:47], s[46:47]
	v_mov_b32_e32 v2, 0x7f800001
	s_xor_b64 exec, exec, s[46:47]
	s_cbranch_execnz .LBB244_564
.LBB244_300:
	s_or_b64 exec, exec, s[46:47]
	s_and_saveexec_b64 s[46:47], s[44:45]
	s_cbranch_execz .LBB244_302
.LBB244_301:
	v_and_b32_e32 v5, 3, v10
	v_ffbh_u32_e32 v6, v5
	v_min_u32_e32 v6, 32, v6
	v_lshrrev_b16_e32 v3, 2, v10
	v_subrev_u32_e32 v7, 29, v6
	v_and_b32_e32 v3, 31, v3
	v_lshlrev_b32_e32 v7, v7, v10
	v_sub_u32_e32 v6, 30, v6
	v_and_b32_e32 v7, 3, v7
	v_cmp_eq_u32_e32 vcc, 0, v3
	v_lshlrev_b32_e32 v2, 24, v10
	v_cndmask_b32_e32 v3, v3, v6, vcc
	v_cndmask_b32_e32 v5, v5, v7, vcc
	v_mov_b32_e32 v6, 0x37800000
	v_lshlrev_b32_e32 v5, 21, v5
	v_and_b32_e32 v2, 0x80000000, v2
	v_lshl_add_u32 v3, v3, 23, v6
	v_or3_b32 v2, v2, v3, v5
.LBB244_302:
	s_or_b64 exec, exec, s[46:47]
	v_cmp_eq_f32_e64 s[44:45], v1, v2
	s_and_b64 vcc, exec, s[4:5]
	s_cbranch_vccz .LBB244_154
.LBB244_303:
                                        ; implicit-def: $sgpr46_sgpr47
	s_cbranch_execz .LBB244_163
; %bb.304:
	s_movk_i32 s46, 0xff
	v_and_b32_sdwa v2, v8, s46 dst_sel:DWORD dst_unused:UNUSED_PAD src0_sel:WORD_1 src1_sel:DWORD
	s_movk_i32 s46, 0x7f
	v_cmp_lt_i16_e32 vcc, s46, v2
	s_mov_b64 s[46:47], 0
	s_and_saveexec_b64 s[48:49], vcc
	s_xor_b64 s[48:49], exec, s[48:49]
	s_cbranch_execnz .LBB244_565
; %bb.305:
	s_or_saveexec_b64 s[48:49], s[48:49]
	v_mov_b32_e32 v1, 0x7f800001
	s_xor_b64 exec, exec, s[48:49]
	s_cbranch_execnz .LBB244_568
.LBB244_306:
	s_or_b64 exec, exec, s[48:49]
	s_and_saveexec_b64 s[48:49], s[46:47]
	s_cbranch_execz .LBB244_308
.LBB244_307:
	v_mov_b32_e32 v3, 3
	v_and_b32_sdwa v3, v8, v3 dst_sel:DWORD dst_unused:UNUSED_PAD src0_sel:WORD_1 src1_sel:DWORD
	v_ffbh_u32_e32 v5, v3
	v_mov_b32_e32 v2, 2
	v_min_u32_e32 v5, 32, v5
	v_lshrrev_b16_sdwa v2, v2, v8 dst_sel:DWORD dst_unused:UNUSED_PAD src0_sel:DWORD src1_sel:WORD_1
	v_subrev_u32_e32 v6, 29, v5
	v_and_b32_e32 v2, 31, v2
	v_lshlrev_b32_sdwa v6, v6, v8 dst_sel:DWORD dst_unused:UNUSED_PAD src0_sel:DWORD src1_sel:WORD_1
	v_mov_b32_e32 v1, 24
	v_sub_u32_e32 v5, 30, v5
	v_and_b32_e32 v6, 3, v6
	v_cmp_eq_u32_e32 vcc, 0, v2
	v_lshlrev_b32_sdwa v1, v1, v8 dst_sel:DWORD dst_unused:UNUSED_PAD src0_sel:DWORD src1_sel:WORD_1
	v_cndmask_b32_e32 v2, v2, v5, vcc
	v_cndmask_b32_e32 v3, v3, v6, vcc
	v_mov_b32_e32 v5, 0x37800000
	v_lshlrev_b32_e32 v3, 21, v3
	v_and_b32_e32 v1, 0x80000000, v1
	v_lshl_add_u32 v2, v2, 23, v5
	v_or3_b32 v1, v1, v2, v3
.LBB244_308:
	s_or_b64 exec, exec, s[48:49]
	s_movk_i32 s46, 0xff
	v_and_b32_sdwa v2, v4, s46 dst_sel:DWORD dst_unused:UNUSED_PAD src0_sel:WORD_1 src1_sel:DWORD
	s_movk_i32 s46, 0x7f
	v_cmp_lt_i16_e32 vcc, s46, v2
	s_mov_b64 s[46:47], 0
	s_and_saveexec_b64 s[48:49], vcc
	s_xor_b64 s[48:49], exec, s[48:49]
	s_cbranch_execnz .LBB244_569
; %bb.309:
	s_or_saveexec_b64 s[48:49], s[48:49]
	v_mov_b32_e32 v3, 0x7f800001
	s_xor_b64 exec, exec, s[48:49]
	s_cbranch_execnz .LBB244_572
.LBB244_310:
	s_or_b64 exec, exec, s[48:49]
	s_and_saveexec_b64 s[48:49], s[46:47]
	s_cbranch_execz .LBB244_312
.LBB244_311:
	v_mov_b32_e32 v5, 3
	v_and_b32_sdwa v5, v4, v5 dst_sel:DWORD dst_unused:UNUSED_PAD src0_sel:WORD_1 src1_sel:DWORD
	v_ffbh_u32_e32 v6, v5
	v_mov_b32_e32 v3, 2
	v_min_u32_e32 v6, 32, v6
	v_lshrrev_b16_sdwa v3, v3, v4 dst_sel:DWORD dst_unused:UNUSED_PAD src0_sel:DWORD src1_sel:WORD_1
	v_subrev_u32_e32 v7, 29, v6
	v_and_b32_e32 v3, 31, v3
	v_lshlrev_b32_sdwa v7, v7, v4 dst_sel:DWORD dst_unused:UNUSED_PAD src0_sel:DWORD src1_sel:WORD_1
	v_mov_b32_e32 v2, 24
	v_sub_u32_e32 v6, 30, v6
	v_and_b32_e32 v7, 3, v7
	v_cmp_eq_u32_e32 vcc, 0, v3
	v_lshlrev_b32_sdwa v2, v2, v4 dst_sel:DWORD dst_unused:UNUSED_PAD src0_sel:DWORD src1_sel:WORD_1
	v_cndmask_b32_e32 v3, v3, v6, vcc
	v_cndmask_b32_e32 v5, v5, v7, vcc
	v_mov_b32_e32 v6, 0x37800000
	v_lshlrev_b32_e32 v5, 21, v5
	v_and_b32_e32 v2, 0x80000000, v2
	v_lshl_add_u32 v3, v3, 23, v6
	v_or3_b32 v3, v2, v3, v5
.LBB244_312:
	s_or_b64 exec, exec, s[48:49]
	v_cmp_eq_f32_e64 s[46:47], v1, v3
	s_and_b64 vcc, exec, s[4:5]
	s_cbranch_vccz .LBB244_164
.LBB244_313:
                                        ; implicit-def: $sgpr4_sgpr5
	s_cbranch_execz .LBB244_323
; %bb.314:
	s_movk_i32 s4, 0x7f
	v_cmp_gt_i16_sdwa s[48:49], v8, s4 src0_sel:BYTE_3 src1_sel:DWORD
	s_mov_b64 s[4:5], 0
	s_and_saveexec_b64 s[50:51], s[48:49]
	s_xor_b64 s[48:49], exec, s[50:51]
	s_cbranch_execnz .LBB244_573
; %bb.315:
	s_or_saveexec_b64 s[48:49], s[48:49]
	v_mov_b32_e32 v1, 0x7f800001
	s_xor_b64 exec, exec, s[48:49]
	s_cbranch_execnz .LBB244_576
.LBB244_316:
	s_or_b64 exec, exec, s[48:49]
	s_and_saveexec_b64 s[48:49], s[4:5]
	s_cbranch_execz .LBB244_318
.LBB244_317:
	s_mov_b32 s4, 0xffff
	v_and_b32_sdwa v2, s4, v8 dst_sel:DWORD dst_unused:UNUSED_PAD src0_sel:DWORD src1_sel:BYTE_3
	v_and_b32_e32 v3, 3, v2
	v_ffbh_u32_e32 v6, v3
	v_min_u32_e32 v6, 32, v6
	v_subrev_u32_e32 v7, 29, v6
	v_bfe_u32 v5, v2, 2, 5
	v_lshlrev_b32_e32 v2, v7, v2
	v_mov_b32_e32 v1, 24
	v_sub_u32_e32 v6, 30, v6
	v_and_b32_e32 v2, 3, v2
	v_cmp_eq_u32_e32 vcc, 0, v5
	v_lshlrev_b32_sdwa v1, v1, v8 dst_sel:DWORD dst_unused:UNUSED_PAD src0_sel:DWORD src1_sel:BYTE_3
	v_cndmask_b32_e32 v5, v5, v6, vcc
	v_cndmask_b32_e32 v2, v3, v2, vcc
	v_mov_b32_e32 v3, 0x37800000
	v_lshlrev_b32_e32 v2, 21, v2
	v_and_b32_e32 v1, 0x80000000, v1
	v_lshl_add_u32 v3, v5, 23, v3
	v_or3_b32 v1, v1, v3, v2
.LBB244_318:
	s_or_b64 exec, exec, s[48:49]
	s_movk_i32 s4, 0x7f
	v_cmp_gt_i16_sdwa s[48:49], v4, s4 src0_sel:BYTE_3 src1_sel:DWORD
	s_mov_b64 s[4:5], 0
	s_and_saveexec_b64 s[50:51], s[48:49]
	s_xor_b64 s[48:49], exec, s[50:51]
	s_cbranch_execnz .LBB244_577
; %bb.319:
	s_or_saveexec_b64 s[48:49], s[48:49]
	v_mov_b32_e32 v2, 0x7f800001
	s_xor_b64 exec, exec, s[48:49]
	s_cbranch_execnz .LBB244_580
.LBB244_320:
	s_or_b64 exec, exec, s[48:49]
	s_and_saveexec_b64 s[48:49], s[4:5]
	s_cbranch_execz .LBB244_322
.LBB244_321:
	s_mov_b32 s4, 0xffff
	v_mov_b32_e32 v2, 24
	v_and_b32_sdwa v3, s4, v4 dst_sel:DWORD dst_unused:UNUSED_PAD src0_sel:DWORD src1_sel:BYTE_3
	v_lshlrev_b32_sdwa v2, v2, v4 dst_sel:DWORD dst_unused:UNUSED_PAD src0_sel:DWORD src1_sel:BYTE_3
	v_and_b32_e32 v4, 3, v3
	v_ffbh_u32_e32 v6, v4
	v_min_u32_e32 v6, 32, v6
	v_subrev_u32_e32 v7, 29, v6
	v_bfe_u32 v5, v3, 2, 5
	v_lshlrev_b32_e32 v3, v7, v3
	v_sub_u32_e32 v6, 30, v6
	v_and_b32_e32 v3, 3, v3
	v_cmp_eq_u32_e32 vcc, 0, v5
	v_cndmask_b32_e32 v5, v5, v6, vcc
	v_cndmask_b32_e32 v3, v4, v3, vcc
	v_mov_b32_e32 v4, 0x37800000
	v_lshlrev_b32_e32 v3, 21, v3
	v_and_b32_e32 v2, 0x80000000, v2
	v_lshl_add_u32 v4, v5, 23, v4
	v_or3_b32 v2, v2, v4, v3
.LBB244_322:
	s_or_b64 exec, exec, s[48:49]
	v_cmp_eq_f32_e64 s[4:5], v1, v2
.LBB244_323:
	v_cndmask_b32_e64 v1, 0, 1, s[18:19]
	v_lshlrev_b16_e32 v1, 8, v1
	v_cndmask_b32_e64 v2, 0, 1, s[16:17]
	v_or_b32_e32 v1, v2, v1
	v_cndmask_b32_e64 v2, 0, 1, s[22:23]
	v_lshlrev_b16_e32 v2, 8, v2
	v_cndmask_b32_e64 v3, 0, 1, s[20:21]
	v_or_b32_sdwa v2, v3, v2 dst_sel:WORD_1 dst_unused:UNUSED_PAD src0_sel:DWORD src1_sel:DWORD
	v_or_b32_sdwa v1, v1, v2 dst_sel:DWORD dst_unused:UNUSED_PAD src0_sel:WORD_0 src1_sel:DWORD
	v_cndmask_b32_e64 v2, 0, 1, s[26:27]
	v_lshlrev_b16_e32 v2, 8, v2
	v_cndmask_b32_e64 v3, 0, 1, s[24:25]
	v_or_b32_e32 v2, v3, v2
	v_cndmask_b32_e64 v3, 0, 1, s[30:31]
	v_lshlrev_b16_e32 v3, 8, v3
	v_cndmask_b32_e64 v4, 0, 1, s[28:29]
	v_or_b32_sdwa v3, v4, v3 dst_sel:WORD_1 dst_unused:UNUSED_PAD src0_sel:DWORD src1_sel:DWORD
	v_or_b32_sdwa v2, v2, v3 dst_sel:DWORD dst_unused:UNUSED_PAD src0_sel:WORD_0 src1_sel:DWORD
	;; [unrolled: 9-line block ×3, first 2 shown]
	v_cndmask_b32_e64 v4, 0, 1, s[44:45]
	v_lshlrev_b16_e32 v4, 8, v4
	v_cndmask_b32_e64 v5, 0, 1, s[42:43]
	v_or_b32_e32 v4, v5, v4
	v_cndmask_b32_e64 v5, 0, 1, s[4:5]
	v_lshlrev_b16_e32 v5, 8, v5
	v_cndmask_b32_e64 v6, 0, 1, s[46:47]
	s_add_u32 s48, s8, s33
	v_or_b32_sdwa v5, v6, v5 dst_sel:WORD_1 dst_unused:UNUSED_PAD src0_sel:DWORD src1_sel:DWORD
	s_addc_u32 s49, s9, s12
	v_or_b32_sdwa v4, v4, v5 dst_sel:DWORD dst_unused:UNUSED_PAD src0_sel:WORD_0 src1_sel:DWORD
	global_store_dwordx4 v9, v[1:4], s[48:49]
	s_branch .LBB244_2
.LBB244_324:
	s_getpc_b64 s[4:5]
	s_add_u32 s4, s4, _ZN2at6native25elementwise_kernel_helperILb0ENS0_13BinaryFunctorIN3c1015Float8_e5m2fnuzES4_bNS0_12_GLOBAL__N_116CompareEqFunctorIS4_EEEENS0_6memory8policies11unroll_baseILi256ESt5arrayIPcLm3EE23TrivialOffsetCalculatorILi2EjESF_ILi1EjENS9_15LoadWithoutCastENS9_16StoreWithoutCastELi16ELi1EEEEEvT0_T1_@rel32@lo+4
	s_addc_u32 s5, s5, _ZN2at6native25elementwise_kernel_helperILb0ENS0_13BinaryFunctorIN3c1015Float8_e5m2fnuzES4_bNS0_12_GLOBAL__N_116CompareEqFunctorIS4_EEEENS0_6memory8policies11unroll_baseILi256ESt5arrayIPcLm3EE23TrivialOffsetCalculatorILi2EjESF_ILi1EjENS9_15LoadWithoutCastENS9_16StoreWithoutCastELi16ELi1EEEEEvT0_T1_@rel32@hi+12
	s_mov_b32 s12, s6
	v_mov_b32_e32 v31, v0
	v_mov_b32_e32 v0, s13
	;; [unrolled: 1-line block ×9, first 2 shown]
	s_swappc_b64 s[30:31], s[4:5]
	s_endpgm
.LBB244_325:
	s_movk_i32 s4, 0x80
	v_cmp_eq_u16_sdwa s[22:23], v5, s4 src0_sel:BYTE_0 src1_sel:DWORD
	s_mov_b64 s[4:5], -1
	s_and_saveexec_b64 s[20:21], s[22:23]
; %bb.326:
	s_xor_b64 s[4:5], exec, -1
; %bb.327:
	s_or_b64 exec, exec, s[20:21]
	s_and_b64 s[4:5], s[4:5], exec
	s_or_saveexec_b64 s[16:17], s[16:17]
	v_mov_b32_e32 v10, 0x7f800001
	s_xor_b64 exec, exec, s[16:17]
	s_cbranch_execz .LBB244_6
.LBB244_328:
	v_mov_b32_e32 v10, 0
	v_cmp_ne_u16_sdwa s[20:21], v5, v10 src0_sel:BYTE_0 src1_sel:DWORD
	s_andn2_b64 s[4:5], s[4:5], exec
	s_and_b64 s[20:21], s[20:21], exec
	s_or_b64 s[4:5], s[4:5], s[20:21]
	s_or_b64 exec, exec, s[16:17]
	s_and_saveexec_b64 s[16:17], s[4:5]
	s_cbranch_execnz .LBB244_7
	s_branch .LBB244_8
.LBB244_329:
	s_movk_i32 s4, 0x80
	v_cmp_eq_u16_sdwa s[22:23], v1, s4 src0_sel:BYTE_0 src1_sel:DWORD
	s_mov_b64 s[4:5], -1
	s_and_saveexec_b64 s[20:21], s[22:23]
; %bb.330:
	s_xor_b64 s[4:5], exec, -1
; %bb.331:
	s_or_b64 exec, exec, s[20:21]
	s_and_b64 s[4:5], s[4:5], exec
	s_or_saveexec_b64 s[16:17], s[16:17]
	v_mov_b32_e32 v11, 0x7f800001
	s_xor_b64 exec, exec, s[16:17]
	s_cbranch_execz .LBB244_10
.LBB244_332:
	v_mov_b32_e32 v11, 0
	v_cmp_ne_u16_sdwa s[20:21], v1, v11 src0_sel:BYTE_0 src1_sel:DWORD
	s_andn2_b64 s[4:5], s[4:5], exec
	s_and_b64 s[20:21], s[20:21], exec
	s_or_b64 s[4:5], s[4:5], s[20:21]
	s_or_b64 exec, exec, s[16:17]
	s_and_saveexec_b64 s[16:17], s[4:5]
	s_cbranch_execnz .LBB244_11
	s_branch .LBB244_12
.LBB244_333:
	s_movk_i32 s18, 0x80
	v_cmp_eq_u16_sdwa s[24:25], v17, s18 src0_sel:BYTE_0 src1_sel:DWORD
	s_mov_b64 s[18:19], -1
	s_and_saveexec_b64 s[22:23], s[24:25]
; %bb.334:
	s_xor_b64 s[18:19], exec, -1
; %bb.335:
	s_or_b64 exec, exec, s[22:23]
	s_and_b64 s[18:19], s[18:19], exec
	s_or_saveexec_b64 s[20:21], s[20:21]
	v_mov_b32_e32 v18, 0x7f800001
	s_xor_b64 exec, exec, s[20:21]
	s_cbranch_execz .LBB244_26
.LBB244_336:
	v_mov_b32_e32 v18, 0
	v_cmp_ne_u16_sdwa s[22:23], v17, v18 src0_sel:BYTE_0 src1_sel:DWORD
	s_andn2_b64 s[18:19], s[18:19], exec
	s_and_b64 s[22:23], s[22:23], exec
	s_or_b64 s[18:19], s[18:19], s[22:23]
	s_or_b64 exec, exec, s[20:21]
	s_and_saveexec_b64 s[20:21], s[18:19]
	s_cbranch_execnz .LBB244_27
	s_branch .LBB244_28
.LBB244_337:
	s_movk_i32 s18, 0x80
	v_cmp_eq_u16_sdwa s[24:25], v16, s18 src0_sel:BYTE_0 src1_sel:DWORD
	s_mov_b64 s[18:19], -1
	s_and_saveexec_b64 s[22:23], s[24:25]
; %bb.338:
	s_xor_b64 s[18:19], exec, -1
; %bb.339:
	s_or_b64 exec, exec, s[22:23]
	s_and_b64 s[18:19], s[18:19], exec
	s_or_saveexec_b64 s[20:21], s[20:21]
	v_mov_b32_e32 v19, 0x7f800001
	s_xor_b64 exec, exec, s[20:21]
	s_cbranch_execz .LBB244_30
.LBB244_340:
	v_mov_b32_e32 v19, 0
	v_cmp_ne_u16_sdwa s[22:23], v16, v19 src0_sel:BYTE_0 src1_sel:DWORD
	s_andn2_b64 s[18:19], s[18:19], exec
	s_and_b64 s[22:23], s[22:23], exec
	s_or_b64 s[18:19], s[18:19], s[22:23]
	s_or_b64 exec, exec, s[20:21]
	s_and_saveexec_b64 s[20:21], s[18:19]
	s_cbranch_execnz .LBB244_31
	s_branch .LBB244_32
.LBB244_341:
	s_movk_i32 s20, 0x80
	v_cmp_eq_u16_e32 vcc, s20, v17
	s_mov_b64 s[20:21], -1
	s_and_saveexec_b64 s[24:25], vcc
; %bb.342:
	s_xor_b64 s[20:21], exec, -1
; %bb.343:
	s_or_b64 exec, exec, s[24:25]
	s_and_b64 s[20:21], s[20:21], exec
                                        ; implicit-def: $vgpr17
	s_or_saveexec_b64 s[22:23], s[22:23]
	v_mov_b32_e32 v16, 0x7f800001
	s_xor_b64 exec, exec, s[22:23]
	s_cbranch_execz .LBB244_36
.LBB244_344:
	v_cmp_ne_u16_e32 vcc, 0, v17
	s_andn2_b64 s[20:21], s[20:21], exec
	s_and_b64 s[24:25], vcc, exec
	v_mov_b32_e32 v16, 0
	s_or_b64 s[20:21], s[20:21], s[24:25]
	s_or_b64 exec, exec, s[22:23]
	s_and_saveexec_b64 s[22:23], s[20:21]
	s_cbranch_execnz .LBB244_37
	s_branch .LBB244_38
.LBB244_345:
	s_movk_i32 s20, 0x80
	v_cmp_eq_u16_e32 vcc, s20, v17
	s_mov_b64 s[20:21], -1
	s_and_saveexec_b64 s[24:25], vcc
; %bb.346:
	s_xor_b64 s[20:21], exec, -1
; %bb.347:
	s_or_b64 exec, exec, s[24:25]
	s_and_b64 s[20:21], s[20:21], exec
                                        ; implicit-def: $vgpr17
	s_or_saveexec_b64 s[22:23], s[22:23]
	v_mov_b32_e32 v18, 0x7f800001
	s_xor_b64 exec, exec, s[22:23]
	s_cbranch_execz .LBB244_40
.LBB244_348:
	v_cmp_ne_u16_e32 vcc, 0, v17
	s_andn2_b64 s[20:21], s[20:21], exec
	s_and_b64 s[24:25], vcc, exec
	v_mov_b32_e32 v18, 0
	s_or_b64 s[20:21], s[20:21], s[24:25]
	s_or_b64 exec, exec, s[22:23]
	s_and_saveexec_b64 s[22:23], s[20:21]
	s_cbranch_execnz .LBB244_41
	s_branch .LBB244_42
.LBB244_349:
	s_movk_i32 s22, 0x80
	v_cmp_eq_u16_sdwa s[28:29], v5, s22 src0_sel:BYTE_3 src1_sel:DWORD
	s_mov_b64 s[22:23], -1
	s_and_saveexec_b64 s[26:27], s[28:29]
; %bb.350:
	s_xor_b64 s[22:23], exec, -1
; %bb.351:
	s_or_b64 exec, exec, s[26:27]
	s_and_b64 s[22:23], s[22:23], exec
	s_or_saveexec_b64 s[24:25], s[24:25]
	v_mov_b32_e32 v16, 0x7f800001
	s_xor_b64 exec, exec, s[24:25]
	s_cbranch_execz .LBB244_46
.LBB244_352:
	v_mov_b32_e32 v16, 0
	v_cmp_ne_u16_sdwa s[26:27], v5, v16 src0_sel:BYTE_3 src1_sel:DWORD
	s_andn2_b64 s[22:23], s[22:23], exec
	s_and_b64 s[26:27], s[26:27], exec
	s_or_b64 s[22:23], s[22:23], s[26:27]
	s_or_b64 exec, exec, s[24:25]
	s_and_saveexec_b64 s[24:25], s[22:23]
	s_cbranch_execnz .LBB244_47
	s_branch .LBB244_48
.LBB244_353:
	s_movk_i32 s22, 0x80
	v_cmp_eq_u16_sdwa s[28:29], v1, s22 src0_sel:BYTE_3 src1_sel:DWORD
	s_mov_b64 s[22:23], -1
	s_and_saveexec_b64 s[26:27], s[28:29]
; %bb.354:
	s_xor_b64 s[22:23], exec, -1
; %bb.355:
	s_or_b64 exec, exec, s[26:27]
	s_and_b64 s[22:23], s[22:23], exec
	s_or_saveexec_b64 s[24:25], s[24:25]
	v_mov_b32_e32 v17, 0x7f800001
	s_xor_b64 exec, exec, s[24:25]
	s_cbranch_execz .LBB244_50
.LBB244_356:
	v_mov_b32_e32 v17, 0
	v_cmp_ne_u16_sdwa s[26:27], v1, v17 src0_sel:BYTE_3 src1_sel:DWORD
	s_andn2_b64 s[22:23], s[22:23], exec
	s_and_b64 s[26:27], s[26:27], exec
	s_or_b64 s[22:23], s[22:23], s[26:27]
	s_or_b64 exec, exec, s[24:25]
	s_and_saveexec_b64 s[24:25], s[22:23]
	s_cbranch_execnz .LBB244_51
	s_branch .LBB244_52
.LBB244_357:
	s_movk_i32 s24, 0x80
	v_cmp_eq_u16_sdwa s[30:31], v6, s24 src0_sel:BYTE_0 src1_sel:DWORD
	s_mov_b64 s[24:25], -1
	s_and_saveexec_b64 s[28:29], s[30:31]
; %bb.358:
	s_xor_b64 s[24:25], exec, -1
; %bb.359:
	s_or_b64 exec, exec, s[28:29]
	s_and_b64 s[24:25], s[24:25], exec
	s_or_saveexec_b64 s[26:27], s[26:27]
	v_mov_b32_e32 v1, 0x7f800001
	s_xor_b64 exec, exec, s[26:27]
	s_cbranch_execz .LBB244_56
.LBB244_360:
	v_mov_b32_e32 v1, 0
	v_cmp_ne_u16_sdwa s[28:29], v6, v1 src0_sel:BYTE_0 src1_sel:DWORD
	s_andn2_b64 s[24:25], s[24:25], exec
	s_and_b64 s[28:29], s[28:29], exec
	s_or_b64 s[24:25], s[24:25], s[28:29]
	s_or_b64 exec, exec, s[26:27]
	s_and_saveexec_b64 s[26:27], s[24:25]
	s_cbranch_execnz .LBB244_57
	s_branch .LBB244_58
.LBB244_361:
	s_movk_i32 s24, 0x80
	v_cmp_eq_u16_sdwa s[30:31], v2, s24 src0_sel:BYTE_0 src1_sel:DWORD
	s_mov_b64 s[24:25], -1
	s_and_saveexec_b64 s[28:29], s[30:31]
; %bb.362:
	s_xor_b64 s[24:25], exec, -1
; %bb.363:
	s_or_b64 exec, exec, s[28:29]
	s_and_b64 s[24:25], s[24:25], exec
	s_or_saveexec_b64 s[26:27], s[26:27]
	v_mov_b32_e32 v5, 0x7f800001
	s_xor_b64 exec, exec, s[26:27]
	s_cbranch_execz .LBB244_60
.LBB244_364:
	v_mov_b32_e32 v5, 0
	v_cmp_ne_u16_sdwa s[28:29], v2, v5 src0_sel:BYTE_0 src1_sel:DWORD
	s_andn2_b64 s[24:25], s[24:25], exec
	s_and_b64 s[28:29], s[28:29], exec
	s_or_b64 s[24:25], s[24:25], s[28:29]
	s_or_b64 exec, exec, s[26:27]
	s_and_saveexec_b64 s[26:27], s[24:25]
	s_cbranch_execnz .LBB244_61
	s_branch .LBB244_62
.LBB244_365:
	s_movk_i32 s26, 0x80
	v_cmp_eq_u16_sdwa s[34:35], v15, s26 src0_sel:BYTE_0 src1_sel:DWORD
	s_mov_b64 s[26:27], -1
	s_and_saveexec_b64 s[30:31], s[34:35]
; %bb.366:
	s_xor_b64 s[26:27], exec, -1
; %bb.367:
	s_or_b64 exec, exec, s[30:31]
	s_and_b64 s[26:27], s[26:27], exec
	s_or_saveexec_b64 s[28:29], s[28:29]
	v_mov_b32_e32 v1, 0x7f800001
	s_xor_b64 exec, exec, s[28:29]
	s_cbranch_execz .LBB244_66
.LBB244_368:
	v_mov_b32_e32 v1, 0
	v_cmp_ne_u16_sdwa s[30:31], v15, v1 src0_sel:BYTE_0 src1_sel:DWORD
	s_andn2_b64 s[26:27], s[26:27], exec
	s_and_b64 s[30:31], s[30:31], exec
	s_or_b64 s[26:27], s[26:27], s[30:31]
	s_or_b64 exec, exec, s[28:29]
	s_and_saveexec_b64 s[28:29], s[26:27]
	s_cbranch_execnz .LBB244_67
	s_branch .LBB244_68
.LBB244_369:
	s_movk_i32 s26, 0x80
	v_cmp_eq_u16_sdwa s[34:35], v14, s26 src0_sel:BYTE_0 src1_sel:DWORD
	s_mov_b64 s[26:27], -1
	s_and_saveexec_b64 s[30:31], s[34:35]
; %bb.370:
	s_xor_b64 s[26:27], exec, -1
; %bb.371:
	s_or_b64 exec, exec, s[30:31]
	s_and_b64 s[26:27], s[26:27], exec
	s_or_saveexec_b64 s[28:29], s[28:29]
	v_mov_b32_e32 v5, 0x7f800001
	s_xor_b64 exec, exec, s[28:29]
	s_cbranch_execz .LBB244_70
.LBB244_372:
	v_mov_b32_e32 v5, 0
	v_cmp_ne_u16_sdwa s[30:31], v14, v5 src0_sel:BYTE_0 src1_sel:DWORD
	s_andn2_b64 s[26:27], s[26:27], exec
	s_and_b64 s[30:31], s[30:31], exec
	s_or_b64 s[26:27], s[26:27], s[30:31]
	s_or_b64 exec, exec, s[28:29]
	s_and_saveexec_b64 s[28:29], s[26:27]
	s_cbranch_execnz .LBB244_71
	s_branch .LBB244_72
.LBB244_373:
	s_movk_i32 s28, 0x80
	v_cmp_eq_u16_e32 vcc, s28, v5
	s_mov_b64 s[28:29], -1
	s_and_saveexec_b64 s[34:35], vcc
; %bb.374:
	s_xor_b64 s[28:29], exec, -1
; %bb.375:
	s_or_b64 exec, exec, s[34:35]
	s_and_b64 s[28:29], s[28:29], exec
                                        ; implicit-def: $vgpr5
	s_or_saveexec_b64 s[30:31], s[30:31]
	v_mov_b32_e32 v1, 0x7f800001
	s_xor_b64 exec, exec, s[30:31]
	s_cbranch_execz .LBB244_76
.LBB244_376:
	v_cmp_ne_u16_e32 vcc, 0, v5
	s_andn2_b64 s[28:29], s[28:29], exec
	s_and_b64 s[34:35], vcc, exec
	v_mov_b32_e32 v1, 0
	s_or_b64 s[28:29], s[28:29], s[34:35]
	s_or_b64 exec, exec, s[30:31]
	s_and_saveexec_b64 s[30:31], s[28:29]
	s_cbranch_execnz .LBB244_77
	s_branch .LBB244_78
.LBB244_377:
	s_movk_i32 s28, 0x80
	v_cmp_eq_u16_e32 vcc, s28, v5
	s_mov_b64 s[28:29], -1
	s_and_saveexec_b64 s[34:35], vcc
; %bb.378:
	s_xor_b64 s[28:29], exec, -1
; %bb.379:
	s_or_b64 exec, exec, s[34:35]
	s_and_b64 s[28:29], s[28:29], exec
                                        ; implicit-def: $vgpr5
	s_or_saveexec_b64 s[30:31], s[30:31]
	v_mov_b32_e32 v14, 0x7f800001
	s_xor_b64 exec, exec, s[30:31]
	s_cbranch_execz .LBB244_80
.LBB244_380:
	v_cmp_ne_u16_e32 vcc, 0, v5
	s_andn2_b64 s[28:29], s[28:29], exec
	s_and_b64 s[34:35], vcc, exec
	v_mov_b32_e32 v14, 0
	s_or_b64 s[28:29], s[28:29], s[34:35]
	s_or_b64 exec, exec, s[30:31]
	s_and_saveexec_b64 s[30:31], s[28:29]
	s_cbranch_execnz .LBB244_81
	s_branch .LBB244_82
.LBB244_381:
	s_movk_i32 s30, 0x80
	v_cmp_eq_u16_sdwa s[38:39], v6, s30 src0_sel:BYTE_3 src1_sel:DWORD
	s_mov_b64 s[30:31], -1
	s_and_saveexec_b64 s[36:37], s[38:39]
; %bb.382:
	s_xor_b64 s[30:31], exec, -1
; %bb.383:
	s_or_b64 exec, exec, s[36:37]
	s_and_b64 s[30:31], s[30:31], exec
	s_or_saveexec_b64 s[34:35], s[34:35]
	v_mov_b32_e32 v1, 0x7f800001
	s_xor_b64 exec, exec, s[34:35]
	s_cbranch_execz .LBB244_86
.LBB244_384:
	v_mov_b32_e32 v1, 0
	v_cmp_ne_u16_sdwa s[36:37], v6, v1 src0_sel:BYTE_3 src1_sel:DWORD
	s_andn2_b64 s[30:31], s[30:31], exec
	s_and_b64 s[36:37], s[36:37], exec
	s_or_b64 s[30:31], s[30:31], s[36:37]
	s_or_b64 exec, exec, s[34:35]
	s_and_saveexec_b64 s[34:35], s[30:31]
	s_cbranch_execnz .LBB244_87
	s_branch .LBB244_88
.LBB244_385:
	s_movk_i32 s30, 0x80
	v_cmp_eq_u16_sdwa s[38:39], v2, s30 src0_sel:BYTE_3 src1_sel:DWORD
	s_mov_b64 s[30:31], -1
	s_and_saveexec_b64 s[36:37], s[38:39]
; %bb.386:
	s_xor_b64 s[30:31], exec, -1
; %bb.387:
	s_or_b64 exec, exec, s[36:37]
	s_and_b64 s[30:31], s[30:31], exec
	s_or_saveexec_b64 s[34:35], s[34:35]
	v_mov_b32_e32 v5, 0x7f800001
	s_xor_b64 exec, exec, s[34:35]
	s_cbranch_execz .LBB244_90
.LBB244_388:
	v_mov_b32_e32 v5, 0
	v_cmp_ne_u16_sdwa s[36:37], v2, v5 src0_sel:BYTE_3 src1_sel:DWORD
	s_andn2_b64 s[30:31], s[30:31], exec
	s_and_b64 s[36:37], s[36:37], exec
	s_or_b64 s[30:31], s[30:31], s[36:37]
	s_or_b64 exec, exec, s[34:35]
	s_and_saveexec_b64 s[34:35], s[30:31]
	s_cbranch_execnz .LBB244_91
	s_branch .LBB244_92
.LBB244_389:
	s_movk_i32 s34, 0x80
	v_cmp_eq_u16_sdwa s[40:41], v7, s34 src0_sel:BYTE_0 src1_sel:DWORD
	s_mov_b64 s[34:35], -1
	s_and_saveexec_b64 s[38:39], s[40:41]
; %bb.390:
	s_xor_b64 s[34:35], exec, -1
; %bb.391:
	s_or_b64 exec, exec, s[38:39]
	s_and_b64 s[34:35], s[34:35], exec
	s_or_saveexec_b64 s[36:37], s[36:37]
	v_mov_b32_e32 v1, 0x7f800001
	s_xor_b64 exec, exec, s[36:37]
	s_cbranch_execz .LBB244_96
.LBB244_392:
	v_mov_b32_e32 v1, 0
	v_cmp_ne_u16_sdwa s[38:39], v7, v1 src0_sel:BYTE_0 src1_sel:DWORD
	s_andn2_b64 s[34:35], s[34:35], exec
	s_and_b64 s[38:39], s[38:39], exec
	s_or_b64 s[34:35], s[34:35], s[38:39]
	s_or_b64 exec, exec, s[36:37]
	s_and_saveexec_b64 s[36:37], s[34:35]
	s_cbranch_execnz .LBB244_97
	s_branch .LBB244_98
.LBB244_393:
	s_movk_i32 s34, 0x80
	v_cmp_eq_u16_sdwa s[40:41], v3, s34 src0_sel:BYTE_0 src1_sel:DWORD
	s_mov_b64 s[34:35], -1
	s_and_saveexec_b64 s[38:39], s[40:41]
; %bb.394:
	s_xor_b64 s[34:35], exec, -1
; %bb.395:
	s_or_b64 exec, exec, s[38:39]
	s_and_b64 s[34:35], s[34:35], exec
	s_or_saveexec_b64 s[36:37], s[36:37]
	v_mov_b32_e32 v2, 0x7f800001
	s_xor_b64 exec, exec, s[36:37]
	s_cbranch_execz .LBB244_100
.LBB244_396:
	v_mov_b32_e32 v2, 0
	v_cmp_ne_u16_sdwa s[38:39], v3, v2 src0_sel:BYTE_0 src1_sel:DWORD
	s_andn2_b64 s[34:35], s[34:35], exec
	s_and_b64 s[38:39], s[38:39], exec
	s_or_b64 s[34:35], s[34:35], s[38:39]
	s_or_b64 exec, exec, s[36:37]
	s_and_saveexec_b64 s[36:37], s[34:35]
	s_cbranch_execnz .LBB244_101
	s_branch .LBB244_102
.LBB244_397:
	s_movk_i32 s36, 0x80
	v_cmp_eq_u16_sdwa s[42:43], v13, s36 src0_sel:BYTE_0 src1_sel:DWORD
	s_mov_b64 s[36:37], -1
	s_and_saveexec_b64 s[40:41], s[42:43]
; %bb.398:
	s_xor_b64 s[36:37], exec, -1
; %bb.399:
	s_or_b64 exec, exec, s[40:41]
	s_and_b64 s[36:37], s[36:37], exec
	s_or_saveexec_b64 s[38:39], s[38:39]
	v_mov_b32_e32 v1, 0x7f800001
	s_xor_b64 exec, exec, s[38:39]
	s_cbranch_execz .LBB244_106
.LBB244_400:
	v_mov_b32_e32 v1, 0
	v_cmp_ne_u16_sdwa s[40:41], v13, v1 src0_sel:BYTE_0 src1_sel:DWORD
	s_andn2_b64 s[36:37], s[36:37], exec
	s_and_b64 s[40:41], s[40:41], exec
	s_or_b64 s[36:37], s[36:37], s[40:41]
	s_or_b64 exec, exec, s[38:39]
	s_and_saveexec_b64 s[38:39], s[36:37]
	s_cbranch_execnz .LBB244_107
	s_branch .LBB244_108
.LBB244_401:
	s_movk_i32 s36, 0x80
	v_cmp_eq_u16_sdwa s[42:43], v12, s36 src0_sel:BYTE_0 src1_sel:DWORD
	s_mov_b64 s[36:37], -1
	s_and_saveexec_b64 s[40:41], s[42:43]
; %bb.402:
	s_xor_b64 s[36:37], exec, -1
; %bb.403:
	s_or_b64 exec, exec, s[40:41]
	s_and_b64 s[36:37], s[36:37], exec
	s_or_saveexec_b64 s[38:39], s[38:39]
	v_mov_b32_e32 v2, 0x7f800001
	s_xor_b64 exec, exec, s[38:39]
	s_cbranch_execz .LBB244_110
.LBB244_404:
	v_mov_b32_e32 v2, 0
	v_cmp_ne_u16_sdwa s[40:41], v12, v2 src0_sel:BYTE_0 src1_sel:DWORD
	s_andn2_b64 s[36:37], s[36:37], exec
	s_and_b64 s[40:41], s[40:41], exec
	s_or_b64 s[36:37], s[36:37], s[40:41]
	s_or_b64 exec, exec, s[38:39]
	s_and_saveexec_b64 s[38:39], s[36:37]
	s_cbranch_execnz .LBB244_111
	s_branch .LBB244_112
.LBB244_405:
	s_movk_i32 s38, 0x80
	v_cmp_eq_u16_e32 vcc, s38, v2
	s_mov_b64 s[38:39], -1
	s_and_saveexec_b64 s[42:43], vcc
; %bb.406:
	s_xor_b64 s[38:39], exec, -1
; %bb.407:
	s_or_b64 exec, exec, s[42:43]
	s_and_b64 s[38:39], s[38:39], exec
                                        ; implicit-def: $vgpr2
	s_or_saveexec_b64 s[40:41], s[40:41]
	v_mov_b32_e32 v1, 0x7f800001
	s_xor_b64 exec, exec, s[40:41]
	s_cbranch_execz .LBB244_116
.LBB244_408:
	v_cmp_ne_u16_e32 vcc, 0, v2
	s_andn2_b64 s[38:39], s[38:39], exec
	s_and_b64 s[42:43], vcc, exec
	v_mov_b32_e32 v1, 0
	s_or_b64 s[38:39], s[38:39], s[42:43]
	s_or_b64 exec, exec, s[40:41]
	s_and_saveexec_b64 s[40:41], s[38:39]
	s_cbranch_execnz .LBB244_117
	s_branch .LBB244_118
.LBB244_409:
	s_movk_i32 s38, 0x80
	v_cmp_eq_u16_e32 vcc, s38, v2
	s_mov_b64 s[38:39], -1
	s_and_saveexec_b64 s[42:43], vcc
; %bb.410:
	s_xor_b64 s[38:39], exec, -1
; %bb.411:
	s_or_b64 exec, exec, s[42:43]
	s_and_b64 s[38:39], s[38:39], exec
                                        ; implicit-def: $vgpr2
	s_or_saveexec_b64 s[40:41], s[40:41]
	v_mov_b32_e32 v5, 0x7f800001
	s_xor_b64 exec, exec, s[40:41]
	s_cbranch_execz .LBB244_120
.LBB244_412:
	v_cmp_ne_u16_e32 vcc, 0, v2
	s_andn2_b64 s[38:39], s[38:39], exec
	s_and_b64 s[42:43], vcc, exec
	v_mov_b32_e32 v5, 0
	s_or_b64 s[38:39], s[38:39], s[42:43]
	s_or_b64 exec, exec, s[40:41]
	s_and_saveexec_b64 s[40:41], s[38:39]
	s_cbranch_execnz .LBB244_121
	s_branch .LBB244_122
.LBB244_413:
	s_movk_i32 s40, 0x80
	v_cmp_eq_u16_sdwa s[46:47], v7, s40 src0_sel:BYTE_3 src1_sel:DWORD
	s_mov_b64 s[40:41], -1
	s_and_saveexec_b64 s[44:45], s[46:47]
; %bb.414:
	s_xor_b64 s[40:41], exec, -1
; %bb.415:
	s_or_b64 exec, exec, s[44:45]
	s_and_b64 s[40:41], s[40:41], exec
	s_or_saveexec_b64 s[42:43], s[42:43]
	v_mov_b32_e32 v1, 0x7f800001
	s_xor_b64 exec, exec, s[42:43]
	s_cbranch_execz .LBB244_126
.LBB244_416:
	v_mov_b32_e32 v1, 0
	v_cmp_ne_u16_sdwa s[44:45], v7, v1 src0_sel:BYTE_3 src1_sel:DWORD
	s_andn2_b64 s[40:41], s[40:41], exec
	s_and_b64 s[44:45], s[44:45], exec
	s_or_b64 s[40:41], s[40:41], s[44:45]
	s_or_b64 exec, exec, s[42:43]
	s_and_saveexec_b64 s[42:43], s[40:41]
	s_cbranch_execnz .LBB244_127
	s_branch .LBB244_128
.LBB244_417:
	s_movk_i32 s40, 0x80
	v_cmp_eq_u16_sdwa s[46:47], v3, s40 src0_sel:BYTE_3 src1_sel:DWORD
	s_mov_b64 s[40:41], -1
	s_and_saveexec_b64 s[44:45], s[46:47]
; %bb.418:
	s_xor_b64 s[40:41], exec, -1
; %bb.419:
	s_or_b64 exec, exec, s[44:45]
	s_and_b64 s[40:41], s[40:41], exec
	s_or_saveexec_b64 s[42:43], s[42:43]
	v_mov_b32_e32 v2, 0x7f800001
	s_xor_b64 exec, exec, s[42:43]
	s_cbranch_execz .LBB244_130
.LBB244_420:
	v_mov_b32_e32 v2, 0
	v_cmp_ne_u16_sdwa s[44:45], v3, v2 src0_sel:BYTE_3 src1_sel:DWORD
	s_andn2_b64 s[40:41], s[40:41], exec
	s_and_b64 s[44:45], s[44:45], exec
	s_or_b64 s[40:41], s[40:41], s[44:45]
	s_or_b64 exec, exec, s[42:43]
	s_and_saveexec_b64 s[42:43], s[40:41]
	s_cbranch_execnz .LBB244_131
	s_branch .LBB244_132
.LBB244_421:
	s_movk_i32 s42, 0x80
	v_cmp_eq_u16_sdwa s[48:49], v8, s42 src0_sel:BYTE_0 src1_sel:DWORD
	s_mov_b64 s[42:43], -1
	s_and_saveexec_b64 s[46:47], s[48:49]
; %bb.422:
	s_xor_b64 s[42:43], exec, -1
; %bb.423:
	s_or_b64 exec, exec, s[46:47]
	s_and_b64 s[42:43], s[42:43], exec
	s_or_saveexec_b64 s[44:45], s[44:45]
	v_mov_b32_e32 v1, 0x7f800001
	s_xor_b64 exec, exec, s[44:45]
	s_cbranch_execz .LBB244_136
.LBB244_424:
	v_mov_b32_e32 v1, 0
	v_cmp_ne_u16_sdwa s[46:47], v8, v1 src0_sel:BYTE_0 src1_sel:DWORD
	s_andn2_b64 s[42:43], s[42:43], exec
	s_and_b64 s[46:47], s[46:47], exec
	s_or_b64 s[42:43], s[42:43], s[46:47]
	s_or_b64 exec, exec, s[44:45]
	s_and_saveexec_b64 s[44:45], s[42:43]
	s_cbranch_execnz .LBB244_137
	s_branch .LBB244_138
.LBB244_425:
	s_movk_i32 s42, 0x80
	v_cmp_eq_u16_sdwa s[48:49], v4, s42 src0_sel:BYTE_0 src1_sel:DWORD
	s_mov_b64 s[42:43], -1
	s_and_saveexec_b64 s[46:47], s[48:49]
; %bb.426:
	s_xor_b64 s[42:43], exec, -1
; %bb.427:
	s_or_b64 exec, exec, s[46:47]
	s_and_b64 s[42:43], s[42:43], exec
	s_or_saveexec_b64 s[44:45], s[44:45]
	v_mov_b32_e32 v2, 0x7f800001
	s_xor_b64 exec, exec, s[44:45]
	s_cbranch_execz .LBB244_140
.LBB244_428:
	v_mov_b32_e32 v2, 0
	v_cmp_ne_u16_sdwa s[46:47], v4, v2 src0_sel:BYTE_0 src1_sel:DWORD
	s_andn2_b64 s[42:43], s[42:43], exec
	s_and_b64 s[46:47], s[46:47], exec
	s_or_b64 s[42:43], s[42:43], s[46:47]
	s_or_b64 exec, exec, s[44:45]
	s_and_saveexec_b64 s[44:45], s[42:43]
	s_cbranch_execnz .LBB244_141
	s_branch .LBB244_142
.LBB244_429:
	s_movk_i32 s44, 0x80
	v_cmp_eq_u16_sdwa s[50:51], v11, s44 src0_sel:BYTE_0 src1_sel:DWORD
	s_mov_b64 s[44:45], -1
	s_and_saveexec_b64 s[48:49], s[50:51]
; %bb.430:
	s_xor_b64 s[44:45], exec, -1
; %bb.431:
	s_or_b64 exec, exec, s[48:49]
	s_and_b64 s[44:45], s[44:45], exec
	s_or_saveexec_b64 s[46:47], s[46:47]
	v_mov_b32_e32 v1, 0x7f800001
	s_xor_b64 exec, exec, s[46:47]
	s_cbranch_execz .LBB244_146
.LBB244_432:
	v_mov_b32_e32 v1, 0
	v_cmp_ne_u16_sdwa s[48:49], v11, v1 src0_sel:BYTE_0 src1_sel:DWORD
	s_andn2_b64 s[44:45], s[44:45], exec
	s_and_b64 s[48:49], s[48:49], exec
	s_or_b64 s[44:45], s[44:45], s[48:49]
	s_or_b64 exec, exec, s[46:47]
	s_and_saveexec_b64 s[46:47], s[44:45]
	s_cbranch_execnz .LBB244_147
	s_branch .LBB244_148
.LBB244_433:
	s_movk_i32 s44, 0x80
	v_cmp_eq_u16_sdwa s[50:51], v10, s44 src0_sel:BYTE_0 src1_sel:DWORD
	s_mov_b64 s[44:45], -1
	s_and_saveexec_b64 s[48:49], s[50:51]
; %bb.434:
	s_xor_b64 s[44:45], exec, -1
; %bb.435:
	s_or_b64 exec, exec, s[48:49]
	s_and_b64 s[44:45], s[44:45], exec
	s_or_saveexec_b64 s[46:47], s[46:47]
	v_mov_b32_e32 v2, 0x7f800001
	s_xor_b64 exec, exec, s[46:47]
	s_cbranch_execz .LBB244_150
.LBB244_436:
	v_mov_b32_e32 v2, 0
	v_cmp_ne_u16_sdwa s[48:49], v10, v2 src0_sel:BYTE_0 src1_sel:DWORD
	s_andn2_b64 s[44:45], s[44:45], exec
	s_and_b64 s[48:49], s[48:49], exec
	s_or_b64 s[44:45], s[44:45], s[48:49]
	s_or_b64 exec, exec, s[46:47]
	s_and_saveexec_b64 s[46:47], s[44:45]
	s_cbranch_execnz .LBB244_151
	s_branch .LBB244_152
.LBB244_437:
	s_movk_i32 s46, 0x80
	v_cmp_eq_u16_e32 vcc, s46, v2
	s_mov_b64 s[46:47], -1
	s_and_saveexec_b64 s[50:51], vcc
; %bb.438:
	s_xor_b64 s[46:47], exec, -1
; %bb.439:
	s_or_b64 exec, exec, s[50:51]
	s_and_b64 s[46:47], s[46:47], exec
                                        ; implicit-def: $vgpr2
	s_or_saveexec_b64 s[48:49], s[48:49]
	v_mov_b32_e32 v1, 0x7f800001
	s_xor_b64 exec, exec, s[48:49]
	s_cbranch_execz .LBB244_156
.LBB244_440:
	v_cmp_ne_u16_e32 vcc, 0, v2
	s_andn2_b64 s[46:47], s[46:47], exec
	s_and_b64 s[50:51], vcc, exec
	v_mov_b32_e32 v1, 0
	s_or_b64 s[46:47], s[46:47], s[50:51]
	s_or_b64 exec, exec, s[48:49]
	s_and_saveexec_b64 s[48:49], s[46:47]
	s_cbranch_execnz .LBB244_157
	s_branch .LBB244_158
.LBB244_441:
	s_movk_i32 s46, 0x80
	v_cmp_eq_u16_e32 vcc, s46, v2
	s_mov_b64 s[46:47], -1
	s_and_saveexec_b64 s[50:51], vcc
; %bb.442:
	s_xor_b64 s[46:47], exec, -1
; %bb.443:
	s_or_b64 exec, exec, s[50:51]
	s_and_b64 s[46:47], s[46:47], exec
                                        ; implicit-def: $vgpr2
	s_or_saveexec_b64 s[48:49], s[48:49]
	v_mov_b32_e32 v3, 0x7f800001
	s_xor_b64 exec, exec, s[48:49]
	s_cbranch_execz .LBB244_160
.LBB244_444:
	v_cmp_ne_u16_e32 vcc, 0, v2
	s_andn2_b64 s[46:47], s[46:47], exec
	s_and_b64 s[50:51], vcc, exec
	v_mov_b32_e32 v3, 0
	s_or_b64 s[46:47], s[46:47], s[50:51]
	s_or_b64 exec, exec, s[48:49]
	s_and_saveexec_b64 s[48:49], s[46:47]
	s_cbranch_execnz .LBB244_161
	s_branch .LBB244_162
.LBB244_445:
	s_movk_i32 s4, 0x80
	v_cmp_eq_u16_sdwa s[52:53], v8, s4 src0_sel:BYTE_3 src1_sel:DWORD
	s_mov_b64 s[4:5], -1
	s_and_saveexec_b64 s[50:51], s[52:53]
; %bb.446:
	s_xor_b64 s[4:5], exec, -1
; %bb.447:
	s_or_b64 exec, exec, s[50:51]
	s_and_b64 s[4:5], s[4:5], exec
	s_or_saveexec_b64 s[48:49], s[48:49]
	v_mov_b32_e32 v1, 0x7f800001
	s_xor_b64 exec, exec, s[48:49]
	s_cbranch_execz .LBB244_166
.LBB244_448:
	v_mov_b32_e32 v1, 0
	v_cmp_ne_u16_sdwa s[50:51], v8, v1 src0_sel:BYTE_3 src1_sel:DWORD
	s_andn2_b64 s[4:5], s[4:5], exec
	s_and_b64 s[50:51], s[50:51], exec
	s_or_b64 s[4:5], s[4:5], s[50:51]
	s_or_b64 exec, exec, s[48:49]
	s_and_saveexec_b64 s[48:49], s[4:5]
	s_cbranch_execnz .LBB244_167
	s_branch .LBB244_168
.LBB244_449:
	s_movk_i32 s4, 0x80
	v_cmp_eq_u16_sdwa s[52:53], v4, s4 src0_sel:BYTE_3 src1_sel:DWORD
	s_mov_b64 s[4:5], -1
	s_and_saveexec_b64 s[50:51], s[52:53]
; %bb.450:
	s_xor_b64 s[4:5], exec, -1
; %bb.451:
	s_or_b64 exec, exec, s[50:51]
	s_and_b64 s[4:5], s[4:5], exec
	s_or_saveexec_b64 s[48:49], s[48:49]
	v_mov_b32_e32 v2, 0x7f800001
	s_xor_b64 exec, exec, s[48:49]
	s_cbranch_execz .LBB244_170
.LBB244_452:
	v_mov_b32_e32 v2, 0
	v_cmp_ne_u16_sdwa s[50:51], v4, v2 src0_sel:BYTE_3 src1_sel:DWORD
	s_andn2_b64 s[4:5], s[4:5], exec
	s_and_b64 s[50:51], s[50:51], exec
	s_or_b64 s[4:5], s[4:5], s[50:51]
	s_or_b64 exec, exec, s[48:49]
	s_and_saveexec_b64 s[48:49], s[4:5]
	s_cbranch_execnz .LBB244_171
	s_branch .LBB244_172
.LBB244_453:
	s_movk_i32 s4, 0x80
	v_cmp_eq_u16_sdwa s[22:23], v5, s4 src0_sel:BYTE_0 src1_sel:DWORD
	s_mov_b64 s[4:5], -1
	s_and_saveexec_b64 s[20:21], s[22:23]
; %bb.454:
	s_xor_b64 s[4:5], exec, -1
; %bb.455:
	s_or_b64 exec, exec, s[20:21]
	s_and_b64 s[4:5], s[4:5], exec
	s_or_saveexec_b64 s[16:17], s[16:17]
	v_mov_b32_e32 v10, 0x7f800001
	s_xor_b64 exec, exec, s[16:17]
	s_cbranch_execz .LBB244_16
.LBB244_456:
	v_mov_b32_e32 v10, 0
	v_cmp_ne_u16_sdwa s[20:21], v5, v10 src0_sel:BYTE_0 src1_sel:DWORD
	s_andn2_b64 s[4:5], s[4:5], exec
	s_and_b64 s[20:21], s[20:21], exec
	s_or_b64 s[4:5], s[4:5], s[20:21]
	s_or_b64 exec, exec, s[16:17]
	s_and_saveexec_b64 s[16:17], s[4:5]
	s_cbranch_execnz .LBB244_17
	s_branch .LBB244_18
.LBB244_457:
	s_movk_i32 s4, 0x80
	v_cmp_eq_u16_sdwa s[22:23], v1, s4 src0_sel:BYTE_0 src1_sel:DWORD
	s_mov_b64 s[4:5], -1
	s_and_saveexec_b64 s[20:21], s[22:23]
; %bb.458:
	s_xor_b64 s[4:5], exec, -1
; %bb.459:
	s_or_b64 exec, exec, s[20:21]
	s_and_b64 s[4:5], s[4:5], exec
	s_or_saveexec_b64 s[16:17], s[16:17]
	v_mov_b32_e32 v11, 0x7f800001
	s_xor_b64 exec, exec, s[16:17]
	s_cbranch_execz .LBB244_20
.LBB244_460:
	v_mov_b32_e32 v11, 0
	v_cmp_ne_u16_sdwa s[20:21], v1, v11 src0_sel:BYTE_0 src1_sel:DWORD
	s_andn2_b64 s[4:5], s[4:5], exec
	s_and_b64 s[20:21], s[20:21], exec
	s_or_b64 s[4:5], s[4:5], s[20:21]
	s_or_b64 exec, exec, s[16:17]
	s_and_saveexec_b64 s[16:17], s[4:5]
	s_cbranch_execnz .LBB244_21
	s_branch .LBB244_22
.LBB244_461:
	s_movk_i32 s18, 0x80
	v_cmp_eq_u16_sdwa s[24:25], v17, s18 src0_sel:BYTE_0 src1_sel:DWORD
	s_mov_b64 s[18:19], -1
	s_and_saveexec_b64 s[22:23], s[24:25]
; %bb.462:
	s_xor_b64 s[18:19], exec, -1
; %bb.463:
	s_or_b64 exec, exec, s[22:23]
	s_and_b64 s[18:19], s[18:19], exec
	s_or_saveexec_b64 s[20:21], s[20:21]
	v_mov_b32_e32 v18, 0x7f800001
	s_xor_b64 exec, exec, s[20:21]
	s_cbranch_execz .LBB244_176
.LBB244_464:
	v_mov_b32_e32 v18, 0
	v_cmp_ne_u16_sdwa s[22:23], v17, v18 src0_sel:BYTE_0 src1_sel:DWORD
	s_andn2_b64 s[18:19], s[18:19], exec
	s_and_b64 s[22:23], s[22:23], exec
	s_or_b64 s[18:19], s[18:19], s[22:23]
	s_or_b64 exec, exec, s[20:21]
	s_and_saveexec_b64 s[20:21], s[18:19]
	s_cbranch_execnz .LBB244_177
	s_branch .LBB244_178
.LBB244_465:
	s_movk_i32 s18, 0x80
	v_cmp_eq_u16_sdwa s[24:25], v16, s18 src0_sel:BYTE_0 src1_sel:DWORD
	s_mov_b64 s[18:19], -1
	s_and_saveexec_b64 s[22:23], s[24:25]
; %bb.466:
	s_xor_b64 s[18:19], exec, -1
; %bb.467:
	s_or_b64 exec, exec, s[22:23]
	s_and_b64 s[18:19], s[18:19], exec
	s_or_saveexec_b64 s[20:21], s[20:21]
	v_mov_b32_e32 v17, 0x7f800001
	s_xor_b64 exec, exec, s[20:21]
	s_cbranch_execz .LBB244_180
.LBB244_468:
	v_mov_b32_e32 v17, 0
	v_cmp_ne_u16_sdwa s[22:23], v16, v17 src0_sel:BYTE_0 src1_sel:DWORD
	s_andn2_b64 s[18:19], s[18:19], exec
	s_and_b64 s[22:23], s[22:23], exec
	s_or_b64 s[18:19], s[18:19], s[22:23]
	s_or_b64 exec, exec, s[20:21]
	s_and_saveexec_b64 s[20:21], s[18:19]
	s_cbranch_execnz .LBB244_181
	s_branch .LBB244_182
.LBB244_469:
	s_movk_i32 s20, 0x80
	v_cmp_eq_u16_e32 vcc, s20, v17
	s_mov_b64 s[20:21], -1
	s_and_saveexec_b64 s[24:25], vcc
; %bb.470:
	s_xor_b64 s[20:21], exec, -1
; %bb.471:
	s_or_b64 exec, exec, s[24:25]
	s_and_b64 s[20:21], s[20:21], exec
                                        ; implicit-def: $vgpr17
	s_or_saveexec_b64 s[22:23], s[22:23]
	v_mov_b32_e32 v16, 0x7f800001
	s_xor_b64 exec, exec, s[22:23]
	s_cbranch_execz .LBB244_186
.LBB244_472:
	v_cmp_ne_u16_e32 vcc, 0, v17
	s_andn2_b64 s[20:21], s[20:21], exec
	s_and_b64 s[24:25], vcc, exec
	v_mov_b32_e32 v16, 0
	s_or_b64 s[20:21], s[20:21], s[24:25]
	s_or_b64 exec, exec, s[22:23]
	s_and_saveexec_b64 s[22:23], s[20:21]
	s_cbranch_execnz .LBB244_187
	s_branch .LBB244_188
.LBB244_473:
	s_movk_i32 s20, 0x80
	v_cmp_eq_u16_e32 vcc, s20, v17
	s_mov_b64 s[20:21], -1
	s_and_saveexec_b64 s[24:25], vcc
; %bb.474:
	s_xor_b64 s[20:21], exec, -1
; %bb.475:
	s_or_b64 exec, exec, s[24:25]
	s_and_b64 s[20:21], s[20:21], exec
                                        ; implicit-def: $vgpr17
	s_or_saveexec_b64 s[22:23], s[22:23]
	v_mov_b32_e32 v18, 0x7f800001
	s_xor_b64 exec, exec, s[22:23]
	s_cbranch_execz .LBB244_190
.LBB244_476:
	v_cmp_ne_u16_e32 vcc, 0, v17
	s_andn2_b64 s[20:21], s[20:21], exec
	s_and_b64 s[24:25], vcc, exec
	v_mov_b32_e32 v18, 0
	s_or_b64 s[20:21], s[20:21], s[24:25]
	s_or_b64 exec, exec, s[22:23]
	s_and_saveexec_b64 s[22:23], s[20:21]
	s_cbranch_execnz .LBB244_191
	s_branch .LBB244_192
.LBB244_477:
	s_movk_i32 s22, 0x80
	v_cmp_eq_u16_sdwa s[28:29], v5, s22 src0_sel:BYTE_3 src1_sel:DWORD
	s_mov_b64 s[22:23], -1
	s_and_saveexec_b64 s[26:27], s[28:29]
; %bb.478:
	s_xor_b64 s[22:23], exec, -1
; %bb.479:
	s_or_b64 exec, exec, s[26:27]
	s_and_b64 s[22:23], s[22:23], exec
	s_or_saveexec_b64 s[24:25], s[24:25]
	v_mov_b32_e32 v16, 0x7f800001
	s_xor_b64 exec, exec, s[24:25]
	s_cbranch_execz .LBB244_196
.LBB244_480:
	v_mov_b32_e32 v16, 0
	v_cmp_ne_u16_sdwa s[26:27], v5, v16 src0_sel:BYTE_3 src1_sel:DWORD
	s_andn2_b64 s[22:23], s[22:23], exec
	s_and_b64 s[26:27], s[26:27], exec
	s_or_b64 s[22:23], s[22:23], s[26:27]
	s_or_b64 exec, exec, s[24:25]
	s_and_saveexec_b64 s[24:25], s[22:23]
	s_cbranch_execnz .LBB244_197
	s_branch .LBB244_198
.LBB244_481:
	s_movk_i32 s22, 0x80
	v_cmp_eq_u16_sdwa s[28:29], v1, s22 src0_sel:BYTE_3 src1_sel:DWORD
	s_mov_b64 s[22:23], -1
	s_and_saveexec_b64 s[26:27], s[28:29]
; %bb.482:
	s_xor_b64 s[22:23], exec, -1
; %bb.483:
	s_or_b64 exec, exec, s[26:27]
	s_and_b64 s[22:23], s[22:23], exec
	s_or_saveexec_b64 s[24:25], s[24:25]
	v_mov_b32_e32 v5, 0x7f800001
	s_xor_b64 exec, exec, s[24:25]
	s_cbranch_execz .LBB244_200
.LBB244_484:
	v_mov_b32_e32 v5, 0
	v_cmp_ne_u16_sdwa s[26:27], v1, v5 src0_sel:BYTE_3 src1_sel:DWORD
	s_andn2_b64 s[22:23], s[22:23], exec
	s_and_b64 s[26:27], s[26:27], exec
	s_or_b64 s[22:23], s[22:23], s[26:27]
	s_or_b64 exec, exec, s[24:25]
	s_and_saveexec_b64 s[24:25], s[22:23]
	s_cbranch_execnz .LBB244_201
	s_branch .LBB244_202
.LBB244_485:
	s_movk_i32 s24, 0x80
	v_cmp_eq_u16_sdwa s[30:31], v6, s24 src0_sel:BYTE_0 src1_sel:DWORD
	s_mov_b64 s[24:25], -1
	s_and_saveexec_b64 s[28:29], s[30:31]
; %bb.486:
	s_xor_b64 s[24:25], exec, -1
; %bb.487:
	s_or_b64 exec, exec, s[28:29]
	s_and_b64 s[24:25], s[24:25], exec
	s_or_saveexec_b64 s[26:27], s[26:27]
	v_mov_b32_e32 v1, 0x7f800001
	s_xor_b64 exec, exec, s[26:27]
	s_cbranch_execz .LBB244_206
.LBB244_488:
	v_mov_b32_e32 v1, 0
	v_cmp_ne_u16_sdwa s[28:29], v6, v1 src0_sel:BYTE_0 src1_sel:DWORD
	s_andn2_b64 s[24:25], s[24:25], exec
	s_and_b64 s[28:29], s[28:29], exec
	s_or_b64 s[24:25], s[24:25], s[28:29]
	s_or_b64 exec, exec, s[26:27]
	s_and_saveexec_b64 s[26:27], s[24:25]
	s_cbranch_execnz .LBB244_207
	s_branch .LBB244_208
.LBB244_489:
	s_movk_i32 s24, 0x80
	v_cmp_eq_u16_sdwa s[30:31], v2, s24 src0_sel:BYTE_0 src1_sel:DWORD
	s_mov_b64 s[24:25], -1
	s_and_saveexec_b64 s[28:29], s[30:31]
; %bb.490:
	s_xor_b64 s[24:25], exec, -1
; %bb.491:
	s_or_b64 exec, exec, s[28:29]
	s_and_b64 s[24:25], s[24:25], exec
	s_or_saveexec_b64 s[26:27], s[26:27]
	v_mov_b32_e32 v5, 0x7f800001
	s_xor_b64 exec, exec, s[26:27]
	s_cbranch_execz .LBB244_210
.LBB244_492:
	v_mov_b32_e32 v5, 0
	v_cmp_ne_u16_sdwa s[28:29], v2, v5 src0_sel:BYTE_0 src1_sel:DWORD
	s_andn2_b64 s[24:25], s[24:25], exec
	s_and_b64 s[28:29], s[28:29], exec
	s_or_b64 s[24:25], s[24:25], s[28:29]
	s_or_b64 exec, exec, s[26:27]
	s_and_saveexec_b64 s[26:27], s[24:25]
	s_cbranch_execnz .LBB244_211
	s_branch .LBB244_212
.LBB244_493:
	s_movk_i32 s26, 0x80
	v_cmp_eq_u16_sdwa s[34:35], v15, s26 src0_sel:BYTE_0 src1_sel:DWORD
	s_mov_b64 s[26:27], -1
	s_and_saveexec_b64 s[30:31], s[34:35]
; %bb.494:
	s_xor_b64 s[26:27], exec, -1
; %bb.495:
	s_or_b64 exec, exec, s[30:31]
	s_and_b64 s[26:27], s[26:27], exec
	s_or_saveexec_b64 s[28:29], s[28:29]
	v_mov_b32_e32 v1, 0x7f800001
	s_xor_b64 exec, exec, s[28:29]
	s_cbranch_execz .LBB244_216
.LBB244_496:
	v_mov_b32_e32 v1, 0
	v_cmp_ne_u16_sdwa s[30:31], v15, v1 src0_sel:BYTE_0 src1_sel:DWORD
	s_andn2_b64 s[26:27], s[26:27], exec
	s_and_b64 s[30:31], s[30:31], exec
	s_or_b64 s[26:27], s[26:27], s[30:31]
	s_or_b64 exec, exec, s[28:29]
	s_and_saveexec_b64 s[28:29], s[26:27]
	s_cbranch_execnz .LBB244_217
	s_branch .LBB244_218
.LBB244_497:
	s_movk_i32 s26, 0x80
	v_cmp_eq_u16_sdwa s[34:35], v14, s26 src0_sel:BYTE_0 src1_sel:DWORD
	s_mov_b64 s[26:27], -1
	s_and_saveexec_b64 s[30:31], s[34:35]
; %bb.498:
	s_xor_b64 s[26:27], exec, -1
; %bb.499:
	s_or_b64 exec, exec, s[30:31]
	s_and_b64 s[26:27], s[26:27], exec
	s_or_saveexec_b64 s[28:29], s[28:29]
	v_mov_b32_e32 v5, 0x7f800001
	s_xor_b64 exec, exec, s[28:29]
	s_cbranch_execz .LBB244_220
.LBB244_500:
	v_mov_b32_e32 v5, 0
	v_cmp_ne_u16_sdwa s[30:31], v14, v5 src0_sel:BYTE_0 src1_sel:DWORD
	s_andn2_b64 s[26:27], s[26:27], exec
	s_and_b64 s[30:31], s[30:31], exec
	s_or_b64 s[26:27], s[26:27], s[30:31]
	s_or_b64 exec, exec, s[28:29]
	s_and_saveexec_b64 s[28:29], s[26:27]
	s_cbranch_execnz .LBB244_221
	s_branch .LBB244_222
.LBB244_501:
	s_movk_i32 s28, 0x80
	v_cmp_eq_u16_e32 vcc, s28, v5
	s_mov_b64 s[28:29], -1
	s_and_saveexec_b64 s[34:35], vcc
; %bb.502:
	s_xor_b64 s[28:29], exec, -1
; %bb.503:
	s_or_b64 exec, exec, s[34:35]
	s_and_b64 s[28:29], s[28:29], exec
                                        ; implicit-def: $vgpr5
	s_or_saveexec_b64 s[30:31], s[30:31]
	v_mov_b32_e32 v1, 0x7f800001
	s_xor_b64 exec, exec, s[30:31]
	s_cbranch_execz .LBB244_226
.LBB244_504:
	v_cmp_ne_u16_e32 vcc, 0, v5
	s_andn2_b64 s[28:29], s[28:29], exec
	s_and_b64 s[34:35], vcc, exec
	v_mov_b32_e32 v1, 0
	s_or_b64 s[28:29], s[28:29], s[34:35]
	s_or_b64 exec, exec, s[30:31]
	s_and_saveexec_b64 s[30:31], s[28:29]
	s_cbranch_execnz .LBB244_227
	s_branch .LBB244_228
.LBB244_505:
	s_movk_i32 s28, 0x80
	v_cmp_eq_u16_e32 vcc, s28, v5
	s_mov_b64 s[28:29], -1
	s_and_saveexec_b64 s[34:35], vcc
; %bb.506:
	s_xor_b64 s[28:29], exec, -1
; %bb.507:
	s_or_b64 exec, exec, s[34:35]
	s_and_b64 s[28:29], s[28:29], exec
                                        ; implicit-def: $vgpr5
	s_or_saveexec_b64 s[30:31], s[30:31]
	v_mov_b32_e32 v14, 0x7f800001
	s_xor_b64 exec, exec, s[30:31]
	s_cbranch_execz .LBB244_230
.LBB244_508:
	v_cmp_ne_u16_e32 vcc, 0, v5
	s_andn2_b64 s[28:29], s[28:29], exec
	s_and_b64 s[34:35], vcc, exec
	v_mov_b32_e32 v14, 0
	s_or_b64 s[28:29], s[28:29], s[34:35]
	s_or_b64 exec, exec, s[30:31]
	s_and_saveexec_b64 s[30:31], s[28:29]
	s_cbranch_execnz .LBB244_231
	s_branch .LBB244_232
.LBB244_509:
	s_movk_i32 s30, 0x80
	v_cmp_eq_u16_sdwa s[38:39], v6, s30 src0_sel:BYTE_3 src1_sel:DWORD
	s_mov_b64 s[30:31], -1
	s_and_saveexec_b64 s[36:37], s[38:39]
; %bb.510:
	s_xor_b64 s[30:31], exec, -1
; %bb.511:
	s_or_b64 exec, exec, s[36:37]
	s_and_b64 s[30:31], s[30:31], exec
	s_or_saveexec_b64 s[34:35], s[34:35]
	v_mov_b32_e32 v1, 0x7f800001
	s_xor_b64 exec, exec, s[34:35]
	s_cbranch_execz .LBB244_236
.LBB244_512:
	v_mov_b32_e32 v1, 0
	v_cmp_ne_u16_sdwa s[36:37], v6, v1 src0_sel:BYTE_3 src1_sel:DWORD
	s_andn2_b64 s[30:31], s[30:31], exec
	s_and_b64 s[36:37], s[36:37], exec
	s_or_b64 s[30:31], s[30:31], s[36:37]
	s_or_b64 exec, exec, s[34:35]
	s_and_saveexec_b64 s[34:35], s[30:31]
	s_cbranch_execnz .LBB244_237
	s_branch .LBB244_238
.LBB244_513:
	s_movk_i32 s30, 0x80
	v_cmp_eq_u16_sdwa s[38:39], v2, s30 src0_sel:BYTE_3 src1_sel:DWORD
	s_mov_b64 s[30:31], -1
	s_and_saveexec_b64 s[36:37], s[38:39]
; %bb.514:
	s_xor_b64 s[30:31], exec, -1
; %bb.515:
	s_or_b64 exec, exec, s[36:37]
	s_and_b64 s[30:31], s[30:31], exec
	s_or_saveexec_b64 s[34:35], s[34:35]
	v_mov_b32_e32 v5, 0x7f800001
	s_xor_b64 exec, exec, s[34:35]
	s_cbranch_execz .LBB244_240
.LBB244_516:
	v_mov_b32_e32 v5, 0
	v_cmp_ne_u16_sdwa s[36:37], v2, v5 src0_sel:BYTE_3 src1_sel:DWORD
	s_andn2_b64 s[30:31], s[30:31], exec
	s_and_b64 s[36:37], s[36:37], exec
	s_or_b64 s[30:31], s[30:31], s[36:37]
	s_or_b64 exec, exec, s[34:35]
	s_and_saveexec_b64 s[34:35], s[30:31]
	s_cbranch_execnz .LBB244_241
	s_branch .LBB244_242
.LBB244_517:
	s_movk_i32 s34, 0x80
	v_cmp_eq_u16_sdwa s[40:41], v7, s34 src0_sel:BYTE_0 src1_sel:DWORD
	s_mov_b64 s[34:35], -1
	s_and_saveexec_b64 s[38:39], s[40:41]
; %bb.518:
	s_xor_b64 s[34:35], exec, -1
; %bb.519:
	s_or_b64 exec, exec, s[38:39]
	s_and_b64 s[34:35], s[34:35], exec
	s_or_saveexec_b64 s[36:37], s[36:37]
	v_mov_b32_e32 v1, 0x7f800001
	s_xor_b64 exec, exec, s[36:37]
	s_cbranch_execz .LBB244_246
.LBB244_520:
	v_mov_b32_e32 v1, 0
	v_cmp_ne_u16_sdwa s[38:39], v7, v1 src0_sel:BYTE_0 src1_sel:DWORD
	s_andn2_b64 s[34:35], s[34:35], exec
	s_and_b64 s[38:39], s[38:39], exec
	s_or_b64 s[34:35], s[34:35], s[38:39]
	s_or_b64 exec, exec, s[36:37]
	s_and_saveexec_b64 s[36:37], s[34:35]
	s_cbranch_execnz .LBB244_247
	s_branch .LBB244_248
.LBB244_521:
	s_movk_i32 s34, 0x80
	v_cmp_eq_u16_sdwa s[40:41], v3, s34 src0_sel:BYTE_0 src1_sel:DWORD
	s_mov_b64 s[34:35], -1
	s_and_saveexec_b64 s[38:39], s[40:41]
; %bb.522:
	s_xor_b64 s[34:35], exec, -1
; %bb.523:
	s_or_b64 exec, exec, s[38:39]
	s_and_b64 s[34:35], s[34:35], exec
	s_or_saveexec_b64 s[36:37], s[36:37]
	v_mov_b32_e32 v2, 0x7f800001
	s_xor_b64 exec, exec, s[36:37]
	s_cbranch_execz .LBB244_250
.LBB244_524:
	v_mov_b32_e32 v2, 0
	v_cmp_ne_u16_sdwa s[38:39], v3, v2 src0_sel:BYTE_0 src1_sel:DWORD
	s_andn2_b64 s[34:35], s[34:35], exec
	s_and_b64 s[38:39], s[38:39], exec
	s_or_b64 s[34:35], s[34:35], s[38:39]
	s_or_b64 exec, exec, s[36:37]
	s_and_saveexec_b64 s[36:37], s[34:35]
	s_cbranch_execnz .LBB244_251
	s_branch .LBB244_252
.LBB244_525:
	s_movk_i32 s36, 0x80
	v_cmp_eq_u16_sdwa s[42:43], v13, s36 src0_sel:BYTE_0 src1_sel:DWORD
	s_mov_b64 s[36:37], -1
	s_and_saveexec_b64 s[40:41], s[42:43]
; %bb.526:
	s_xor_b64 s[36:37], exec, -1
; %bb.527:
	s_or_b64 exec, exec, s[40:41]
	s_and_b64 s[36:37], s[36:37], exec
	s_or_saveexec_b64 s[38:39], s[38:39]
	v_mov_b32_e32 v1, 0x7f800001
	s_xor_b64 exec, exec, s[38:39]
	s_cbranch_execz .LBB244_256
.LBB244_528:
	v_mov_b32_e32 v1, 0
	v_cmp_ne_u16_sdwa s[40:41], v13, v1 src0_sel:BYTE_0 src1_sel:DWORD
	s_andn2_b64 s[36:37], s[36:37], exec
	s_and_b64 s[40:41], s[40:41], exec
	s_or_b64 s[36:37], s[36:37], s[40:41]
	s_or_b64 exec, exec, s[38:39]
	s_and_saveexec_b64 s[38:39], s[36:37]
	s_cbranch_execnz .LBB244_257
	s_branch .LBB244_258
.LBB244_529:
	s_movk_i32 s36, 0x80
	v_cmp_eq_u16_sdwa s[42:43], v12, s36 src0_sel:BYTE_0 src1_sel:DWORD
	s_mov_b64 s[36:37], -1
	s_and_saveexec_b64 s[40:41], s[42:43]
; %bb.530:
	s_xor_b64 s[36:37], exec, -1
; %bb.531:
	s_or_b64 exec, exec, s[40:41]
	s_and_b64 s[36:37], s[36:37], exec
	s_or_saveexec_b64 s[38:39], s[38:39]
	v_mov_b32_e32 v2, 0x7f800001
	s_xor_b64 exec, exec, s[38:39]
	s_cbranch_execz .LBB244_260
.LBB244_532:
	v_mov_b32_e32 v2, 0
	v_cmp_ne_u16_sdwa s[40:41], v12, v2 src0_sel:BYTE_0 src1_sel:DWORD
	s_andn2_b64 s[36:37], s[36:37], exec
	s_and_b64 s[40:41], s[40:41], exec
	s_or_b64 s[36:37], s[36:37], s[40:41]
	s_or_b64 exec, exec, s[38:39]
	s_and_saveexec_b64 s[38:39], s[36:37]
	s_cbranch_execnz .LBB244_261
	s_branch .LBB244_262
.LBB244_533:
	s_movk_i32 s38, 0x80
	v_cmp_eq_u16_e32 vcc, s38, v2
	s_mov_b64 s[38:39], -1
	s_and_saveexec_b64 s[42:43], vcc
; %bb.534:
	s_xor_b64 s[38:39], exec, -1
; %bb.535:
	s_or_b64 exec, exec, s[42:43]
	s_and_b64 s[38:39], s[38:39], exec
                                        ; implicit-def: $vgpr2
	s_or_saveexec_b64 s[40:41], s[40:41]
	v_mov_b32_e32 v1, 0x7f800001
	s_xor_b64 exec, exec, s[40:41]
	s_cbranch_execz .LBB244_266
.LBB244_536:
	v_cmp_ne_u16_e32 vcc, 0, v2
	s_andn2_b64 s[38:39], s[38:39], exec
	s_and_b64 s[42:43], vcc, exec
	v_mov_b32_e32 v1, 0
	s_or_b64 s[38:39], s[38:39], s[42:43]
	s_or_b64 exec, exec, s[40:41]
	s_and_saveexec_b64 s[40:41], s[38:39]
	s_cbranch_execnz .LBB244_267
	s_branch .LBB244_268
.LBB244_537:
	s_movk_i32 s38, 0x80
	v_cmp_eq_u16_e32 vcc, s38, v2
	s_mov_b64 s[38:39], -1
	s_and_saveexec_b64 s[42:43], vcc
; %bb.538:
	s_xor_b64 s[38:39], exec, -1
; %bb.539:
	s_or_b64 exec, exec, s[42:43]
	s_and_b64 s[38:39], s[38:39], exec
                                        ; implicit-def: $vgpr2
	s_or_saveexec_b64 s[40:41], s[40:41]
	v_mov_b32_e32 v5, 0x7f800001
	s_xor_b64 exec, exec, s[40:41]
	s_cbranch_execz .LBB244_270
.LBB244_540:
	v_cmp_ne_u16_e32 vcc, 0, v2
	s_andn2_b64 s[38:39], s[38:39], exec
	s_and_b64 s[42:43], vcc, exec
	v_mov_b32_e32 v5, 0
	s_or_b64 s[38:39], s[38:39], s[42:43]
	s_or_b64 exec, exec, s[40:41]
	s_and_saveexec_b64 s[40:41], s[38:39]
	s_cbranch_execnz .LBB244_271
	s_branch .LBB244_272
.LBB244_541:
	s_movk_i32 s40, 0x80
	v_cmp_eq_u16_sdwa s[46:47], v7, s40 src0_sel:BYTE_3 src1_sel:DWORD
	s_mov_b64 s[40:41], -1
	s_and_saveexec_b64 s[44:45], s[46:47]
; %bb.542:
	s_xor_b64 s[40:41], exec, -1
; %bb.543:
	s_or_b64 exec, exec, s[44:45]
	s_and_b64 s[40:41], s[40:41], exec
	s_or_saveexec_b64 s[42:43], s[42:43]
	v_mov_b32_e32 v1, 0x7f800001
	s_xor_b64 exec, exec, s[42:43]
	s_cbranch_execz .LBB244_276
.LBB244_544:
	v_mov_b32_e32 v1, 0
	v_cmp_ne_u16_sdwa s[44:45], v7, v1 src0_sel:BYTE_3 src1_sel:DWORD
	s_andn2_b64 s[40:41], s[40:41], exec
	s_and_b64 s[44:45], s[44:45], exec
	s_or_b64 s[40:41], s[40:41], s[44:45]
	s_or_b64 exec, exec, s[42:43]
	s_and_saveexec_b64 s[42:43], s[40:41]
	s_cbranch_execnz .LBB244_277
	s_branch .LBB244_278
.LBB244_545:
	s_movk_i32 s40, 0x80
	v_cmp_eq_u16_sdwa s[46:47], v3, s40 src0_sel:BYTE_3 src1_sel:DWORD
	s_mov_b64 s[40:41], -1
	s_and_saveexec_b64 s[44:45], s[46:47]
; %bb.546:
	s_xor_b64 s[40:41], exec, -1
; %bb.547:
	s_or_b64 exec, exec, s[44:45]
	s_and_b64 s[40:41], s[40:41], exec
	s_or_saveexec_b64 s[42:43], s[42:43]
	v_mov_b32_e32 v2, 0x7f800001
	s_xor_b64 exec, exec, s[42:43]
	s_cbranch_execz .LBB244_280
.LBB244_548:
	v_mov_b32_e32 v2, 0
	v_cmp_ne_u16_sdwa s[44:45], v3, v2 src0_sel:BYTE_3 src1_sel:DWORD
	s_andn2_b64 s[40:41], s[40:41], exec
	s_and_b64 s[44:45], s[44:45], exec
	s_or_b64 s[40:41], s[40:41], s[44:45]
	s_or_b64 exec, exec, s[42:43]
	s_and_saveexec_b64 s[42:43], s[40:41]
	s_cbranch_execnz .LBB244_281
	s_branch .LBB244_282
.LBB244_549:
	s_movk_i32 s42, 0x80
	v_cmp_eq_u16_sdwa s[48:49], v8, s42 src0_sel:BYTE_0 src1_sel:DWORD
	s_mov_b64 s[42:43], -1
	s_and_saveexec_b64 s[46:47], s[48:49]
; %bb.550:
	s_xor_b64 s[42:43], exec, -1
; %bb.551:
	s_or_b64 exec, exec, s[46:47]
	s_and_b64 s[42:43], s[42:43], exec
	s_or_saveexec_b64 s[44:45], s[44:45]
	v_mov_b32_e32 v1, 0x7f800001
	s_xor_b64 exec, exec, s[44:45]
	s_cbranch_execz .LBB244_286
.LBB244_552:
	v_mov_b32_e32 v1, 0
	v_cmp_ne_u16_sdwa s[46:47], v8, v1 src0_sel:BYTE_0 src1_sel:DWORD
	s_andn2_b64 s[42:43], s[42:43], exec
	s_and_b64 s[46:47], s[46:47], exec
	s_or_b64 s[42:43], s[42:43], s[46:47]
	s_or_b64 exec, exec, s[44:45]
	s_and_saveexec_b64 s[44:45], s[42:43]
	s_cbranch_execnz .LBB244_287
	s_branch .LBB244_288
.LBB244_553:
	s_movk_i32 s42, 0x80
	v_cmp_eq_u16_sdwa s[48:49], v4, s42 src0_sel:BYTE_0 src1_sel:DWORD
	s_mov_b64 s[42:43], -1
	s_and_saveexec_b64 s[46:47], s[48:49]
; %bb.554:
	s_xor_b64 s[42:43], exec, -1
; %bb.555:
	s_or_b64 exec, exec, s[46:47]
	s_and_b64 s[42:43], s[42:43], exec
	s_or_saveexec_b64 s[44:45], s[44:45]
	v_mov_b32_e32 v2, 0x7f800001
	s_xor_b64 exec, exec, s[44:45]
	s_cbranch_execz .LBB244_290
.LBB244_556:
	v_mov_b32_e32 v2, 0
	v_cmp_ne_u16_sdwa s[46:47], v4, v2 src0_sel:BYTE_0 src1_sel:DWORD
	s_andn2_b64 s[42:43], s[42:43], exec
	s_and_b64 s[46:47], s[46:47], exec
	s_or_b64 s[42:43], s[42:43], s[46:47]
	s_or_b64 exec, exec, s[44:45]
	s_and_saveexec_b64 s[44:45], s[42:43]
	s_cbranch_execnz .LBB244_291
	s_branch .LBB244_292
.LBB244_557:
	s_movk_i32 s44, 0x80
	v_cmp_eq_u16_sdwa s[50:51], v11, s44 src0_sel:BYTE_0 src1_sel:DWORD
	s_mov_b64 s[44:45], -1
	s_and_saveexec_b64 s[48:49], s[50:51]
; %bb.558:
	s_xor_b64 s[44:45], exec, -1
; %bb.559:
	s_or_b64 exec, exec, s[48:49]
	s_and_b64 s[44:45], s[44:45], exec
	s_or_saveexec_b64 s[46:47], s[46:47]
	v_mov_b32_e32 v1, 0x7f800001
	s_xor_b64 exec, exec, s[46:47]
	s_cbranch_execz .LBB244_296
.LBB244_560:
	v_mov_b32_e32 v1, 0
	v_cmp_ne_u16_sdwa s[48:49], v11, v1 src0_sel:BYTE_0 src1_sel:DWORD
	s_andn2_b64 s[44:45], s[44:45], exec
	s_and_b64 s[48:49], s[48:49], exec
	s_or_b64 s[44:45], s[44:45], s[48:49]
	s_or_b64 exec, exec, s[46:47]
	s_and_saveexec_b64 s[46:47], s[44:45]
	s_cbranch_execnz .LBB244_297
	s_branch .LBB244_298
.LBB244_561:
	s_movk_i32 s44, 0x80
	v_cmp_eq_u16_sdwa s[50:51], v10, s44 src0_sel:BYTE_0 src1_sel:DWORD
	s_mov_b64 s[44:45], -1
	s_and_saveexec_b64 s[48:49], s[50:51]
; %bb.562:
	s_xor_b64 s[44:45], exec, -1
; %bb.563:
	s_or_b64 exec, exec, s[48:49]
	s_and_b64 s[44:45], s[44:45], exec
	s_or_saveexec_b64 s[46:47], s[46:47]
	v_mov_b32_e32 v2, 0x7f800001
	s_xor_b64 exec, exec, s[46:47]
	s_cbranch_execz .LBB244_300
.LBB244_564:
	v_mov_b32_e32 v2, 0
	v_cmp_ne_u16_sdwa s[48:49], v10, v2 src0_sel:BYTE_0 src1_sel:DWORD
	s_andn2_b64 s[44:45], s[44:45], exec
	s_and_b64 s[48:49], s[48:49], exec
	s_or_b64 s[44:45], s[44:45], s[48:49]
	s_or_b64 exec, exec, s[46:47]
	s_and_saveexec_b64 s[46:47], s[44:45]
	s_cbranch_execnz .LBB244_301
	s_branch .LBB244_302
.LBB244_565:
	s_movk_i32 s46, 0x80
	v_cmp_eq_u16_e32 vcc, s46, v2
	s_mov_b64 s[46:47], -1
	s_and_saveexec_b64 s[50:51], vcc
; %bb.566:
	s_xor_b64 s[46:47], exec, -1
; %bb.567:
	s_or_b64 exec, exec, s[50:51]
	s_and_b64 s[46:47], s[46:47], exec
                                        ; implicit-def: $vgpr2
	s_or_saveexec_b64 s[48:49], s[48:49]
	v_mov_b32_e32 v1, 0x7f800001
	s_xor_b64 exec, exec, s[48:49]
	s_cbranch_execz .LBB244_306
.LBB244_568:
	v_cmp_ne_u16_e32 vcc, 0, v2
	s_andn2_b64 s[46:47], s[46:47], exec
	s_and_b64 s[50:51], vcc, exec
	v_mov_b32_e32 v1, 0
	s_or_b64 s[46:47], s[46:47], s[50:51]
	s_or_b64 exec, exec, s[48:49]
	s_and_saveexec_b64 s[48:49], s[46:47]
	s_cbranch_execnz .LBB244_307
	s_branch .LBB244_308
.LBB244_569:
	s_movk_i32 s46, 0x80
	v_cmp_eq_u16_e32 vcc, s46, v2
	s_mov_b64 s[46:47], -1
	s_and_saveexec_b64 s[50:51], vcc
; %bb.570:
	s_xor_b64 s[46:47], exec, -1
; %bb.571:
	s_or_b64 exec, exec, s[50:51]
	s_and_b64 s[46:47], s[46:47], exec
                                        ; implicit-def: $vgpr2
	s_or_saveexec_b64 s[48:49], s[48:49]
	v_mov_b32_e32 v3, 0x7f800001
	s_xor_b64 exec, exec, s[48:49]
	s_cbranch_execz .LBB244_310
.LBB244_572:
	v_cmp_ne_u16_e32 vcc, 0, v2
	s_andn2_b64 s[46:47], s[46:47], exec
	s_and_b64 s[50:51], vcc, exec
	v_mov_b32_e32 v3, 0
	s_or_b64 s[46:47], s[46:47], s[50:51]
	s_or_b64 exec, exec, s[48:49]
	s_and_saveexec_b64 s[48:49], s[46:47]
	s_cbranch_execnz .LBB244_311
	s_branch .LBB244_312
.LBB244_573:
	s_movk_i32 s4, 0x80
	v_cmp_eq_u16_sdwa s[52:53], v8, s4 src0_sel:BYTE_3 src1_sel:DWORD
	s_mov_b64 s[4:5], -1
	s_and_saveexec_b64 s[50:51], s[52:53]
; %bb.574:
	s_xor_b64 s[4:5], exec, -1
; %bb.575:
	s_or_b64 exec, exec, s[50:51]
	s_and_b64 s[4:5], s[4:5], exec
	s_or_saveexec_b64 s[48:49], s[48:49]
	v_mov_b32_e32 v1, 0x7f800001
	s_xor_b64 exec, exec, s[48:49]
	s_cbranch_execz .LBB244_316
.LBB244_576:
	v_mov_b32_e32 v1, 0
	v_cmp_ne_u16_sdwa s[50:51], v8, v1 src0_sel:BYTE_3 src1_sel:DWORD
	s_andn2_b64 s[4:5], s[4:5], exec
	s_and_b64 s[50:51], s[50:51], exec
	s_or_b64 s[4:5], s[4:5], s[50:51]
	s_or_b64 exec, exec, s[48:49]
	s_and_saveexec_b64 s[48:49], s[4:5]
	s_cbranch_execnz .LBB244_317
	s_branch .LBB244_318
.LBB244_577:
	s_movk_i32 s4, 0x80
	v_cmp_eq_u16_sdwa s[52:53], v4, s4 src0_sel:BYTE_3 src1_sel:DWORD
	s_mov_b64 s[4:5], -1
	s_and_saveexec_b64 s[50:51], s[52:53]
; %bb.578:
	s_xor_b64 s[4:5], exec, -1
; %bb.579:
	s_or_b64 exec, exec, s[50:51]
	s_and_b64 s[4:5], s[4:5], exec
	s_or_saveexec_b64 s[48:49], s[48:49]
	v_mov_b32_e32 v2, 0x7f800001
	s_xor_b64 exec, exec, s[48:49]
	s_cbranch_execz .LBB244_320
.LBB244_580:
	v_mov_b32_e32 v2, 0
	v_cmp_ne_u16_sdwa s[50:51], v4, v2 src0_sel:BYTE_3 src1_sel:DWORD
	s_andn2_b64 s[4:5], s[4:5], exec
	s_and_b64 s[50:51], s[50:51], exec
	s_or_b64 s[4:5], s[4:5], s[50:51]
	s_or_b64 exec, exec, s[48:49]
	s_and_saveexec_b64 s[48:49], s[4:5]
	s_cbranch_execnz .LBB244_321
	s_branch .LBB244_322
	.section	.rodata,"a",@progbits
	.p2align	6, 0x0
	.amdhsa_kernel _ZN2at6native29vectorized_elementwise_kernelILi16ENS0_13BinaryFunctorIN3c1015Float8_e5m2fnuzES4_bNS0_12_GLOBAL__N_116CompareEqFunctorIS4_EEEESt5arrayIPcLm3EEEEviT0_T1_
		.amdhsa_group_segment_fixed_size 0
		.amdhsa_private_segment_fixed_size 0
		.amdhsa_kernarg_size 32
		.amdhsa_user_sgpr_count 6
		.amdhsa_user_sgpr_private_segment_buffer 1
		.amdhsa_user_sgpr_dispatch_ptr 0
		.amdhsa_user_sgpr_queue_ptr 0
		.amdhsa_user_sgpr_kernarg_segment_ptr 1
		.amdhsa_user_sgpr_dispatch_id 0
		.amdhsa_user_sgpr_flat_scratch_init 0
		.amdhsa_user_sgpr_private_segment_size 0
		.amdhsa_uses_dynamic_stack 0
		.amdhsa_system_sgpr_private_segment_wavefront_offset 0
		.amdhsa_system_sgpr_workgroup_id_x 1
		.amdhsa_system_sgpr_workgroup_id_y 0
		.amdhsa_system_sgpr_workgroup_id_z 0
		.amdhsa_system_sgpr_workgroup_info 0
		.amdhsa_system_vgpr_workitem_id 0
		.amdhsa_next_free_vgpr 55
		.amdhsa_next_free_sgpr 57
		.amdhsa_reserve_vcc 1
		.amdhsa_reserve_flat_scratch 0
		.amdhsa_float_round_mode_32 0
		.amdhsa_float_round_mode_16_64 0
		.amdhsa_float_denorm_mode_32 3
		.amdhsa_float_denorm_mode_16_64 3
		.amdhsa_dx10_clamp 1
		.amdhsa_ieee_mode 1
		.amdhsa_fp16_overflow 0
		.amdhsa_exception_fp_ieee_invalid_op 0
		.amdhsa_exception_fp_denorm_src 0
		.amdhsa_exception_fp_ieee_div_zero 0
		.amdhsa_exception_fp_ieee_overflow 0
		.amdhsa_exception_fp_ieee_underflow 0
		.amdhsa_exception_fp_ieee_inexact 0
		.amdhsa_exception_int_div_zero 0
	.end_amdhsa_kernel
	.section	.text._ZN2at6native29vectorized_elementwise_kernelILi16ENS0_13BinaryFunctorIN3c1015Float8_e5m2fnuzES4_bNS0_12_GLOBAL__N_116CompareEqFunctorIS4_EEEESt5arrayIPcLm3EEEEviT0_T1_,"axG",@progbits,_ZN2at6native29vectorized_elementwise_kernelILi16ENS0_13BinaryFunctorIN3c1015Float8_e5m2fnuzES4_bNS0_12_GLOBAL__N_116CompareEqFunctorIS4_EEEESt5arrayIPcLm3EEEEviT0_T1_,comdat
.Lfunc_end244:
	.size	_ZN2at6native29vectorized_elementwise_kernelILi16ENS0_13BinaryFunctorIN3c1015Float8_e5m2fnuzES4_bNS0_12_GLOBAL__N_116CompareEqFunctorIS4_EEEESt5arrayIPcLm3EEEEviT0_T1_, .Lfunc_end244-_ZN2at6native29vectorized_elementwise_kernelILi16ENS0_13BinaryFunctorIN3c1015Float8_e5m2fnuzES4_bNS0_12_GLOBAL__N_116CompareEqFunctorIS4_EEEESt5arrayIPcLm3EEEEviT0_T1_
                                        ; -- End function
	.set _ZN2at6native29vectorized_elementwise_kernelILi16ENS0_13BinaryFunctorIN3c1015Float8_e5m2fnuzES4_bNS0_12_GLOBAL__N_116CompareEqFunctorIS4_EEEESt5arrayIPcLm3EEEEviT0_T1_.num_vgpr, max(32, .L_ZN2at6native25elementwise_kernel_helperILb0ENS0_13BinaryFunctorIN3c1015Float8_e5m2fnuzES4_bNS0_12_GLOBAL__N_116CompareEqFunctorIS4_EEEENS0_6memory8policies11unroll_baseILi256ESt5arrayIPcLm3EE23TrivialOffsetCalculatorILi2EjESF_ILi1EjENS9_15LoadWithoutCastENS9_16StoreWithoutCastELi16ELi1EEEEEvT0_T1_.num_vgpr)
	.set _ZN2at6native29vectorized_elementwise_kernelILi16ENS0_13BinaryFunctorIN3c1015Float8_e5m2fnuzES4_bNS0_12_GLOBAL__N_116CompareEqFunctorIS4_EEEESt5arrayIPcLm3EEEEviT0_T1_.num_agpr, max(0, .L_ZN2at6native25elementwise_kernel_helperILb0ENS0_13BinaryFunctorIN3c1015Float8_e5m2fnuzES4_bNS0_12_GLOBAL__N_116CompareEqFunctorIS4_EEEENS0_6memory8policies11unroll_baseILi256ESt5arrayIPcLm3EE23TrivialOffsetCalculatorILi2EjESF_ILi1EjENS9_15LoadWithoutCastENS9_16StoreWithoutCastELi16ELi1EEEEEvT0_T1_.num_agpr)
	.set _ZN2at6native29vectorized_elementwise_kernelILi16ENS0_13BinaryFunctorIN3c1015Float8_e5m2fnuzES4_bNS0_12_GLOBAL__N_116CompareEqFunctorIS4_EEEESt5arrayIPcLm3EEEEviT0_T1_.numbered_sgpr, max(54, .L_ZN2at6native25elementwise_kernel_helperILb0ENS0_13BinaryFunctorIN3c1015Float8_e5m2fnuzES4_bNS0_12_GLOBAL__N_116CompareEqFunctorIS4_EEEENS0_6memory8policies11unroll_baseILi256ESt5arrayIPcLm3EE23TrivialOffsetCalculatorILi2EjESF_ILi1EjENS9_15LoadWithoutCastENS9_16StoreWithoutCastELi16ELi1EEEEEvT0_T1_.numbered_sgpr)
	.set _ZN2at6native29vectorized_elementwise_kernelILi16ENS0_13BinaryFunctorIN3c1015Float8_e5m2fnuzES4_bNS0_12_GLOBAL__N_116CompareEqFunctorIS4_EEEESt5arrayIPcLm3EEEEviT0_T1_.num_named_barrier, max(0, .L_ZN2at6native25elementwise_kernel_helperILb0ENS0_13BinaryFunctorIN3c1015Float8_e5m2fnuzES4_bNS0_12_GLOBAL__N_116CompareEqFunctorIS4_EEEENS0_6memory8policies11unroll_baseILi256ESt5arrayIPcLm3EE23TrivialOffsetCalculatorILi2EjESF_ILi1EjENS9_15LoadWithoutCastENS9_16StoreWithoutCastELi16ELi1EEEEEvT0_T1_.num_named_barrier)
	.set _ZN2at6native29vectorized_elementwise_kernelILi16ENS0_13BinaryFunctorIN3c1015Float8_e5m2fnuzES4_bNS0_12_GLOBAL__N_116CompareEqFunctorIS4_EEEESt5arrayIPcLm3EEEEviT0_T1_.private_seg_size, 0+max(.L_ZN2at6native25elementwise_kernel_helperILb0ENS0_13BinaryFunctorIN3c1015Float8_e5m2fnuzES4_bNS0_12_GLOBAL__N_116CompareEqFunctorIS4_EEEENS0_6memory8policies11unroll_baseILi256ESt5arrayIPcLm3EE23TrivialOffsetCalculatorILi2EjESF_ILi1EjENS9_15LoadWithoutCastENS9_16StoreWithoutCastELi16ELi1EEEEEvT0_T1_.private_seg_size)
	.set _ZN2at6native29vectorized_elementwise_kernelILi16ENS0_13BinaryFunctorIN3c1015Float8_e5m2fnuzES4_bNS0_12_GLOBAL__N_116CompareEqFunctorIS4_EEEESt5arrayIPcLm3EEEEviT0_T1_.uses_vcc, or(1, .L_ZN2at6native25elementwise_kernel_helperILb0ENS0_13BinaryFunctorIN3c1015Float8_e5m2fnuzES4_bNS0_12_GLOBAL__N_116CompareEqFunctorIS4_EEEENS0_6memory8policies11unroll_baseILi256ESt5arrayIPcLm3EE23TrivialOffsetCalculatorILi2EjESF_ILi1EjENS9_15LoadWithoutCastENS9_16StoreWithoutCastELi16ELi1EEEEEvT0_T1_.uses_vcc)
	.set _ZN2at6native29vectorized_elementwise_kernelILi16ENS0_13BinaryFunctorIN3c1015Float8_e5m2fnuzES4_bNS0_12_GLOBAL__N_116CompareEqFunctorIS4_EEEESt5arrayIPcLm3EEEEviT0_T1_.uses_flat_scratch, or(0, .L_ZN2at6native25elementwise_kernel_helperILb0ENS0_13BinaryFunctorIN3c1015Float8_e5m2fnuzES4_bNS0_12_GLOBAL__N_116CompareEqFunctorIS4_EEEENS0_6memory8policies11unroll_baseILi256ESt5arrayIPcLm3EE23TrivialOffsetCalculatorILi2EjESF_ILi1EjENS9_15LoadWithoutCastENS9_16StoreWithoutCastELi16ELi1EEEEEvT0_T1_.uses_flat_scratch)
	.set _ZN2at6native29vectorized_elementwise_kernelILi16ENS0_13BinaryFunctorIN3c1015Float8_e5m2fnuzES4_bNS0_12_GLOBAL__N_116CompareEqFunctorIS4_EEEESt5arrayIPcLm3EEEEviT0_T1_.has_dyn_sized_stack, or(0, .L_ZN2at6native25elementwise_kernel_helperILb0ENS0_13BinaryFunctorIN3c1015Float8_e5m2fnuzES4_bNS0_12_GLOBAL__N_116CompareEqFunctorIS4_EEEENS0_6memory8policies11unroll_baseILi256ESt5arrayIPcLm3EE23TrivialOffsetCalculatorILi2EjESF_ILi1EjENS9_15LoadWithoutCastENS9_16StoreWithoutCastELi16ELi1EEEEEvT0_T1_.has_dyn_sized_stack)
	.set _ZN2at6native29vectorized_elementwise_kernelILi16ENS0_13BinaryFunctorIN3c1015Float8_e5m2fnuzES4_bNS0_12_GLOBAL__N_116CompareEqFunctorIS4_EEEESt5arrayIPcLm3EEEEviT0_T1_.has_recursion, or(0, .L_ZN2at6native25elementwise_kernel_helperILb0ENS0_13BinaryFunctorIN3c1015Float8_e5m2fnuzES4_bNS0_12_GLOBAL__N_116CompareEqFunctorIS4_EEEENS0_6memory8policies11unroll_baseILi256ESt5arrayIPcLm3EE23TrivialOffsetCalculatorILi2EjESF_ILi1EjENS9_15LoadWithoutCastENS9_16StoreWithoutCastELi16ELi1EEEEEvT0_T1_.has_recursion)
	.set _ZN2at6native29vectorized_elementwise_kernelILi16ENS0_13BinaryFunctorIN3c1015Float8_e5m2fnuzES4_bNS0_12_GLOBAL__N_116CompareEqFunctorIS4_EEEESt5arrayIPcLm3EEEEviT0_T1_.has_indirect_call, or(0, .L_ZN2at6native25elementwise_kernel_helperILb0ENS0_13BinaryFunctorIN3c1015Float8_e5m2fnuzES4_bNS0_12_GLOBAL__N_116CompareEqFunctorIS4_EEEENS0_6memory8policies11unroll_baseILi256ESt5arrayIPcLm3EE23TrivialOffsetCalculatorILi2EjESF_ILi1EjENS9_15LoadWithoutCastENS9_16StoreWithoutCastELi16ELi1EEEEEvT0_T1_.has_indirect_call)
	.section	.AMDGPU.csdata,"",@progbits
; Kernel info:
; codeLenInByte = 17536
; TotalNumSgprs: 61
; NumVgprs: 55
; ScratchSize: 0
; MemoryBound: 1
; FloatMode: 240
; IeeeMode: 1
; LDSByteSize: 0 bytes/workgroup (compile time only)
; SGPRBlocks: 7
; VGPRBlocks: 13
; NumSGPRsForWavesPerEU: 61
; NumVGPRsForWavesPerEU: 55
; Occupancy: 4
; WaveLimiterHint : 0
; COMPUTE_PGM_RSRC2:SCRATCH_EN: 0
; COMPUTE_PGM_RSRC2:USER_SGPR: 6
; COMPUTE_PGM_RSRC2:TRAP_HANDLER: 0
; COMPUTE_PGM_RSRC2:TGID_X_EN: 1
; COMPUTE_PGM_RSRC2:TGID_Y_EN: 0
; COMPUTE_PGM_RSRC2:TGID_Z_EN: 0
; COMPUTE_PGM_RSRC2:TIDIG_COMP_CNT: 0
	.section	.text._ZN2at6native29vectorized_elementwise_kernelILi8ENS0_13BinaryFunctorIN3c1015Float8_e5m2fnuzES4_bNS0_12_GLOBAL__N_116CompareEqFunctorIS4_EEEESt5arrayIPcLm3EEEEviT0_T1_,"axG",@progbits,_ZN2at6native29vectorized_elementwise_kernelILi8ENS0_13BinaryFunctorIN3c1015Float8_e5m2fnuzES4_bNS0_12_GLOBAL__N_116CompareEqFunctorIS4_EEEESt5arrayIPcLm3EEEEviT0_T1_,comdat
	.globl	_ZN2at6native29vectorized_elementwise_kernelILi8ENS0_13BinaryFunctorIN3c1015Float8_e5m2fnuzES4_bNS0_12_GLOBAL__N_116CompareEqFunctorIS4_EEEESt5arrayIPcLm3EEEEviT0_T1_ ; -- Begin function _ZN2at6native29vectorized_elementwise_kernelILi8ENS0_13BinaryFunctorIN3c1015Float8_e5m2fnuzES4_bNS0_12_GLOBAL__N_116CompareEqFunctorIS4_EEEESt5arrayIPcLm3EEEEviT0_T1_
	.p2align	8
	.type	_ZN2at6native29vectorized_elementwise_kernelILi8ENS0_13BinaryFunctorIN3c1015Float8_e5m2fnuzES4_bNS0_12_GLOBAL__N_116CompareEqFunctorIS4_EEEESt5arrayIPcLm3EEEEviT0_T1_,@function
_ZN2at6native29vectorized_elementwise_kernelILi8ENS0_13BinaryFunctorIN3c1015Float8_e5m2fnuzES4_bNS0_12_GLOBAL__N_116CompareEqFunctorIS4_EEEESt5arrayIPcLm3EEEEviT0_T1_: ; @_ZN2at6native29vectorized_elementwise_kernelILi8ENS0_13BinaryFunctorIN3c1015Float8_e5m2fnuzES4_bNS0_12_GLOBAL__N_116CompareEqFunctorIS4_EEEESt5arrayIPcLm3EEEEviT0_T1_
; %bb.0:
	s_load_dwordx2 s[12:13], s[4:5], 0x0
	s_load_dwordx4 s[8:11], s[4:5], 0x8
	s_load_dwordx2 s[14:15], s[4:5], 0x18
	s_add_u32 s0, s0, s7
	s_addc_u32 s1, s1, 0
	s_lshl_b32 s33, s6, 12
	s_waitcnt lgkmcnt(0)
	s_sub_i32 s7, s12, s33
	s_cmpk_gt_i32 s7, 0xfff
	s_mov_b64 s[4:5], -1
	s_mov_b32 s32, 0
	s_cbranch_scc1 .LBB245_3
; %bb.1:
	s_and_b64 vcc, exec, s[4:5]
	s_cbranch_vccnz .LBB245_324
.LBB245_2:
	s_endpgm
.LBB245_3:
	s_ashr_i32 s12, s33, 31
	s_add_u32 s4, s10, s33
	s_addc_u32 s5, s11, s12
	v_lshlrev_b32_e32 v9, 3, v0
	s_add_u32 s16, s14, s33
	s_addc_u32 s17, s15, s12
	global_load_dwordx2 v[7:8], v9, s[4:5]
	global_load_dwordx2 v[3:4], v9, s[4:5] offset:2048
	global_load_dwordx2 v[5:6], v9, s[16:17]
	global_load_dwordx2 v[1:2], v9, s[16:17] offset:2048
	s_cmp_lg_u32 s13, 0
	s_cselect_b64 s[18:19], -1, 0
	s_and_b64 vcc, exec, s[18:19]
	s_cbranch_vccz .LBB245_13
; %bb.4:
	s_movk_i32 s4, 0x7f
	s_waitcnt vmcnt(3)
	v_cmp_gt_i16_sdwa s[16:17], v7, s4 src0_sel:BYTE_0 src1_sel:DWORD
	s_mov_b64 s[4:5], 0
	s_and_saveexec_b64 s[20:21], s[16:17]
	s_xor_b64 s[16:17], exec, s[20:21]
	s_cbranch_execnz .LBB245_325
; %bb.5:
	s_or_saveexec_b64 s[16:17], s[16:17]
	v_mov_b32_e32 v10, 0x7f800001
	s_xor_b64 exec, exec, s[16:17]
	s_cbranch_execnz .LBB245_328
.LBB245_6:
	s_or_b64 exec, exec, s[16:17]
	s_and_saveexec_b64 s[16:17], s[4:5]
	s_cbranch_execz .LBB245_8
.LBB245_7:
	v_and_b32_e32 v10, 3, v7
	v_ffbh_u32_e32 v12, v10
	v_min_u32_e32 v12, 32, v12
	v_subrev_u32_e32 v13, 29, v12
	v_bfe_u32 v11, v7, 2, 5
	v_lshlrev_b32_e32 v13, v13, v7
	v_sub_u32_e32 v12, 30, v12
	v_and_b32_e32 v13, 3, v13
	v_cmp_eq_u32_e32 vcc, 0, v11
	v_cndmask_b32_e32 v11, v11, v12, vcc
	v_cndmask_b32_e32 v10, v10, v13, vcc
	v_lshlrev_b32_e32 v12, 24, v7
	v_mov_b32_e32 v13, 0x37800000
	v_lshlrev_b32_e32 v10, 21, v10
	v_and_b32_e32 v12, 0x80000000, v12
	v_lshl_add_u32 v11, v11, 23, v13
	v_or3_b32 v10, v12, v11, v10
.LBB245_8:
	s_or_b64 exec, exec, s[16:17]
	s_movk_i32 s4, 0x7f
	s_waitcnt vmcnt(1)
	v_cmp_gt_i16_sdwa s[16:17], v5, s4 src0_sel:BYTE_0 src1_sel:DWORD
	s_mov_b64 s[4:5], 0
	s_and_saveexec_b64 s[20:21], s[16:17]
	s_xor_b64 s[16:17], exec, s[20:21]
	s_cbranch_execnz .LBB245_329
; %bb.9:
	s_or_saveexec_b64 s[16:17], s[16:17]
	v_mov_b32_e32 v11, 0x7f800001
	s_xor_b64 exec, exec, s[16:17]
	s_cbranch_execnz .LBB245_332
.LBB245_10:
	s_or_b64 exec, exec, s[16:17]
	s_and_saveexec_b64 s[16:17], s[4:5]
	s_cbranch_execz .LBB245_12
.LBB245_11:
	v_and_b32_e32 v11, 3, v5
	v_ffbh_u32_e32 v13, v11
	v_min_u32_e32 v13, 32, v13
	v_subrev_u32_e32 v14, 29, v13
	v_bfe_u32 v12, v5, 2, 5
	v_lshlrev_b32_e32 v14, v14, v5
	v_sub_u32_e32 v13, 30, v13
	v_and_b32_e32 v14, 3, v14
	v_cmp_eq_u32_e32 vcc, 0, v12
	v_cndmask_b32_e32 v12, v12, v13, vcc
	v_cndmask_b32_e32 v11, v11, v14, vcc
	v_lshlrev_b32_e32 v13, 24, v5
	v_mov_b32_e32 v14, 0x37800000
	v_lshlrev_b32_e32 v11, 21, v11
	v_and_b32_e32 v13, 0x80000000, v13
	v_lshl_add_u32 v12, v12, 23, v14
	v_or3_b32 v11, v13, v12, v11
.LBB245_12:
	s_or_b64 exec, exec, s[16:17]
	v_cmp_neq_f32_e64 s[16:17], v10, v11
	s_branch .LBB245_23
.LBB245_13:
                                        ; implicit-def: $sgpr16_sgpr17
	s_cbranch_execz .LBB245_23
; %bb.14:
	s_movk_i32 s4, 0x7f
	s_waitcnt vmcnt(3)
	v_cmp_gt_i16_sdwa s[16:17], v7, s4 src0_sel:BYTE_0 src1_sel:DWORD
	s_mov_b64 s[4:5], 0
	s_and_saveexec_b64 s[20:21], s[16:17]
	s_xor_b64 s[16:17], exec, s[20:21]
	s_cbranch_execnz .LBB245_453
; %bb.15:
	s_or_saveexec_b64 s[16:17], s[16:17]
	v_mov_b32_e32 v10, 0x7f800001
	s_xor_b64 exec, exec, s[16:17]
	s_cbranch_execnz .LBB245_456
.LBB245_16:
	s_or_b64 exec, exec, s[16:17]
	s_and_saveexec_b64 s[16:17], s[4:5]
	s_cbranch_execz .LBB245_18
.LBB245_17:
	v_and_b32_e32 v10, 3, v7
	v_ffbh_u32_e32 v12, v10
	v_min_u32_e32 v12, 32, v12
	v_subrev_u32_e32 v13, 29, v12
	v_bfe_u32 v11, v7, 2, 5
	v_lshlrev_b32_e32 v13, v13, v7
	v_sub_u32_e32 v12, 30, v12
	v_and_b32_e32 v13, 3, v13
	v_cmp_eq_u32_e32 vcc, 0, v11
	v_cndmask_b32_e32 v11, v11, v12, vcc
	v_cndmask_b32_e32 v10, v10, v13, vcc
	v_lshlrev_b32_e32 v12, 24, v7
	v_mov_b32_e32 v13, 0x37800000
	v_lshlrev_b32_e32 v10, 21, v10
	v_and_b32_e32 v12, 0x80000000, v12
	v_lshl_add_u32 v11, v11, 23, v13
	v_or3_b32 v10, v12, v11, v10
.LBB245_18:
	s_or_b64 exec, exec, s[16:17]
	s_movk_i32 s4, 0x7f
	s_waitcnt vmcnt(1)
	v_cmp_gt_i16_sdwa s[16:17], v5, s4 src0_sel:BYTE_0 src1_sel:DWORD
	s_mov_b64 s[4:5], 0
	s_and_saveexec_b64 s[20:21], s[16:17]
	s_xor_b64 s[16:17], exec, s[20:21]
	s_cbranch_execnz .LBB245_457
; %bb.19:
	s_or_saveexec_b64 s[16:17], s[16:17]
	v_mov_b32_e32 v11, 0x7f800001
	s_xor_b64 exec, exec, s[16:17]
	s_cbranch_execnz .LBB245_460
.LBB245_20:
	s_or_b64 exec, exec, s[16:17]
	s_and_saveexec_b64 s[16:17], s[4:5]
	s_cbranch_execz .LBB245_22
.LBB245_21:
	v_and_b32_e32 v11, 3, v5
	v_ffbh_u32_e32 v13, v11
	v_min_u32_e32 v13, 32, v13
	v_subrev_u32_e32 v14, 29, v13
	v_bfe_u32 v12, v5, 2, 5
	v_lshlrev_b32_e32 v14, v14, v5
	v_sub_u32_e32 v13, 30, v13
	v_and_b32_e32 v14, 3, v14
	v_cmp_eq_u32_e32 vcc, 0, v12
	v_cndmask_b32_e32 v12, v12, v13, vcc
	v_cndmask_b32_e32 v11, v11, v14, vcc
	v_lshlrev_b32_e32 v13, 24, v5
	v_mov_b32_e32 v14, 0x37800000
	v_lshlrev_b32_e32 v11, 21, v11
	v_and_b32_e32 v13, 0x80000000, v13
	v_lshl_add_u32 v12, v12, 23, v14
	v_or3_b32 v11, v13, v12, v11
.LBB245_22:
	s_or_b64 exec, exec, s[16:17]
	v_cmp_eq_f32_e64 s[16:17], v10, v11
.LBB245_23:
	v_cndmask_b32_e64 v10, 0, 1, s[18:19]
	s_waitcnt vmcnt(3)
	v_lshrrev_b32_e32 v11, 8, v7
	v_cmp_ne_u32_e64 s[4:5], 1, v10
	s_andn2_b64 vcc, exec, s[18:19]
	s_waitcnt vmcnt(1)
	v_lshrrev_b32_e32 v10, 8, v5
	s_cbranch_vccnz .LBB245_173
; %bb.24:
	s_movk_i32 s18, 0x7f
	v_cmp_gt_i16_sdwa s[20:21], v11, s18 src0_sel:BYTE_0 src1_sel:DWORD
	s_mov_b64 s[18:19], 0
	s_and_saveexec_b64 s[22:23], s[20:21]
	s_xor_b64 s[20:21], exec, s[22:23]
	s_cbranch_execnz .LBB245_333
; %bb.25:
	s_or_saveexec_b64 s[20:21], s[20:21]
	v_mov_b32_e32 v12, 0x7f800001
	s_xor_b64 exec, exec, s[20:21]
	s_cbranch_execnz .LBB245_336
.LBB245_26:
	s_or_b64 exec, exec, s[20:21]
	s_and_saveexec_b64 s[20:21], s[18:19]
	s_cbranch_execz .LBB245_28
.LBB245_27:
	v_bfe_u32 v12, v7, 8, 2
	v_ffbh_u32_e32 v14, v12
	v_min_u32_e32 v14, 32, v14
	v_subrev_u32_e32 v15, 29, v14
	v_bfe_u32 v13, v7, 10, 5
	v_lshlrev_b32_e32 v15, v15, v11
	v_sub_u32_e32 v14, 30, v14
	v_and_b32_e32 v15, 3, v15
	v_cmp_eq_u32_e32 vcc, 0, v13
	v_cndmask_b32_e32 v13, v13, v14, vcc
	v_cndmask_b32_e32 v12, v12, v15, vcc
	v_lshlrev_b32_e32 v14, 24, v11
	v_mov_b32_e32 v15, 0x37800000
	v_lshlrev_b32_e32 v12, 21, v12
	v_and_b32_e32 v14, 0x80000000, v14
	v_lshl_add_u32 v13, v13, 23, v15
	v_or3_b32 v12, v14, v13, v12
.LBB245_28:
	s_or_b64 exec, exec, s[20:21]
	s_movk_i32 s18, 0x7f
	v_cmp_gt_i16_sdwa s[20:21], v10, s18 src0_sel:BYTE_0 src1_sel:DWORD
	s_mov_b64 s[18:19], 0
	s_and_saveexec_b64 s[22:23], s[20:21]
	s_xor_b64 s[20:21], exec, s[22:23]
	s_cbranch_execnz .LBB245_337
; %bb.29:
	s_or_saveexec_b64 s[20:21], s[20:21]
	v_mov_b32_e32 v13, 0x7f800001
	s_xor_b64 exec, exec, s[20:21]
	s_cbranch_execnz .LBB245_340
.LBB245_30:
	s_or_b64 exec, exec, s[20:21]
	s_and_saveexec_b64 s[20:21], s[18:19]
	s_cbranch_execz .LBB245_32
.LBB245_31:
	v_bfe_u32 v13, v5, 8, 2
	v_ffbh_u32_e32 v15, v13
	v_min_u32_e32 v15, 32, v15
	v_subrev_u32_e32 v16, 29, v15
	v_bfe_u32 v14, v5, 10, 5
	v_lshlrev_b32_e32 v16, v16, v10
	v_sub_u32_e32 v15, 30, v15
	v_and_b32_e32 v16, 3, v16
	v_cmp_eq_u32_e32 vcc, 0, v14
	v_cndmask_b32_e32 v14, v14, v15, vcc
	v_cndmask_b32_e32 v13, v13, v16, vcc
	v_lshlrev_b32_e32 v15, 24, v10
	v_mov_b32_e32 v16, 0x37800000
	v_lshlrev_b32_e32 v13, 21, v13
	v_and_b32_e32 v15, 0x80000000, v15
	v_lshl_add_u32 v14, v14, 23, v16
	v_or3_b32 v13, v15, v14, v13
.LBB245_32:
	s_or_b64 exec, exec, s[20:21]
	v_cmp_neq_f32_e64 s[18:19], v12, v13
.LBB245_33:
	s_and_b64 vcc, exec, s[4:5]
	s_cbranch_vccnz .LBB245_183
.LBB245_34:
	s_movk_i32 s20, 0xff
	v_and_b32_sdwa v11, v7, s20 dst_sel:DWORD dst_unused:UNUSED_PAD src0_sel:WORD_1 src1_sel:DWORD
	s_movk_i32 s20, 0x7f
	v_cmp_lt_i16_e32 vcc, s20, v11
	s_mov_b64 s[20:21], 0
	s_and_saveexec_b64 s[22:23], vcc
	s_xor_b64 s[22:23], exec, s[22:23]
	s_cbranch_execnz .LBB245_341
; %bb.35:
	s_or_saveexec_b64 s[22:23], s[22:23]
	v_mov_b32_e32 v10, 0x7f800001
	s_xor_b64 exec, exec, s[22:23]
	s_cbranch_execnz .LBB245_344
.LBB245_36:
	s_or_b64 exec, exec, s[22:23]
	s_and_saveexec_b64 s[22:23], s[20:21]
	s_cbranch_execz .LBB245_38
.LBB245_37:
	v_bfe_u32 v10, v7, 16, 2
	v_ffbh_u32_e32 v12, v10
	v_min_u32_e32 v12, 32, v12
	v_bfe_u32 v11, v7, 18, 5
	v_subrev_u32_e32 v13, 29, v12
	v_lshlrev_b32_sdwa v13, v13, v7 dst_sel:DWORD dst_unused:UNUSED_PAD src0_sel:DWORD src1_sel:WORD_1
	v_sub_u32_e32 v12, 30, v12
	v_cmp_eq_u32_e32 vcc, 0, v11
	v_and_b32_e32 v13, 3, v13
	v_cndmask_b32_e32 v11, v11, v12, vcc
	v_mov_b32_e32 v12, 24
	v_cndmask_b32_e32 v10, v10, v13, vcc
	v_lshlrev_b32_sdwa v12, v12, v7 dst_sel:DWORD dst_unused:UNUSED_PAD src0_sel:DWORD src1_sel:WORD_1
	v_mov_b32_e32 v13, 0x37800000
	v_lshlrev_b32_e32 v10, 21, v10
	v_and_b32_e32 v12, 0x80000000, v12
	v_lshl_add_u32 v11, v11, 23, v13
	v_or3_b32 v10, v12, v11, v10
.LBB245_38:
	s_or_b64 exec, exec, s[22:23]
	s_movk_i32 s20, 0xff
	v_and_b32_sdwa v11, v5, s20 dst_sel:DWORD dst_unused:UNUSED_PAD src0_sel:WORD_1 src1_sel:DWORD
	s_movk_i32 s20, 0x7f
	v_cmp_lt_i16_e32 vcc, s20, v11
	s_mov_b64 s[20:21], 0
	s_and_saveexec_b64 s[22:23], vcc
	s_xor_b64 s[22:23], exec, s[22:23]
	s_cbranch_execnz .LBB245_345
; %bb.39:
	s_or_saveexec_b64 s[22:23], s[22:23]
	v_mov_b32_e32 v12, 0x7f800001
	s_xor_b64 exec, exec, s[22:23]
	s_cbranch_execnz .LBB245_348
.LBB245_40:
	s_or_b64 exec, exec, s[22:23]
	s_and_saveexec_b64 s[22:23], s[20:21]
	s_cbranch_execz .LBB245_42
.LBB245_41:
	v_bfe_u32 v11, v5, 16, 2
	v_ffbh_u32_e32 v13, v11
	v_min_u32_e32 v13, 32, v13
	v_bfe_u32 v12, v5, 18, 5
	v_subrev_u32_e32 v14, 29, v13
	v_lshlrev_b32_sdwa v14, v14, v5 dst_sel:DWORD dst_unused:UNUSED_PAD src0_sel:DWORD src1_sel:WORD_1
	v_sub_u32_e32 v13, 30, v13
	v_cmp_eq_u32_e32 vcc, 0, v12
	v_and_b32_e32 v14, 3, v14
	v_cndmask_b32_e32 v12, v12, v13, vcc
	v_mov_b32_e32 v13, 24
	v_cndmask_b32_e32 v11, v11, v14, vcc
	v_lshlrev_b32_sdwa v13, v13, v5 dst_sel:DWORD dst_unused:UNUSED_PAD src0_sel:DWORD src1_sel:WORD_1
	v_mov_b32_e32 v14, 0x37800000
	v_lshlrev_b32_e32 v11, 21, v11
	v_and_b32_e32 v13, 0x80000000, v13
	v_lshl_add_u32 v12, v12, 23, v14
	v_or3_b32 v12, v13, v12, v11
.LBB245_42:
	s_or_b64 exec, exec, s[22:23]
	v_cmp_neq_f32_e64 s[20:21], v10, v12
.LBB245_43:
	s_and_b64 vcc, exec, s[4:5]
	s_cbranch_vccnz .LBB245_193
.LBB245_44:
	s_movk_i32 s22, 0x7f
	v_cmp_gt_i16_sdwa s[24:25], v7, s22 src0_sel:BYTE_3 src1_sel:DWORD
	s_mov_b64 s[22:23], 0
	s_and_saveexec_b64 s[26:27], s[24:25]
	s_xor_b64 s[24:25], exec, s[26:27]
	s_cbranch_execnz .LBB245_349
; %bb.45:
	s_or_saveexec_b64 s[24:25], s[24:25]
	v_mov_b32_e32 v10, 0x7f800001
	s_xor_b64 exec, exec, s[24:25]
	s_cbranch_execnz .LBB245_352
.LBB245_46:
	s_or_b64 exec, exec, s[24:25]
	s_and_saveexec_b64 s[24:25], s[22:23]
	s_cbranch_execz .LBB245_48
.LBB245_47:
	v_bfe_u32 v10, v7, 24, 2
	v_ffbh_u32_e32 v12, v10
	v_min_u32_e32 v12, 32, v12
	v_subrev_u32_e32 v13, 29, v12
	v_bfe_u32 v11, v7, 26, 5
	v_lshlrev_b32_sdwa v13, v13, v7 dst_sel:DWORD dst_unused:UNUSED_PAD src0_sel:DWORD src1_sel:BYTE_3
	v_sub_u32_e32 v12, 30, v12
	v_and_b32_e32 v13, 3, v13
	v_cmp_eq_u32_e32 vcc, 0, v11
	v_cndmask_b32_e32 v11, v11, v12, vcc
	v_cndmask_b32_e32 v10, v10, v13, vcc
	v_mov_b32_e32 v13, 0x37800000
	v_lshlrev_b32_e32 v10, 21, v10
	v_and_b32_e32 v12, 0x80000000, v7
	v_lshl_add_u32 v11, v11, 23, v13
	v_or3_b32 v10, v12, v11, v10
.LBB245_48:
	s_or_b64 exec, exec, s[24:25]
	s_movk_i32 s22, 0x7f
	v_cmp_gt_i16_sdwa s[24:25], v5, s22 src0_sel:BYTE_3 src1_sel:DWORD
	s_mov_b64 s[22:23], 0
	s_and_saveexec_b64 s[26:27], s[24:25]
	s_xor_b64 s[24:25], exec, s[26:27]
	s_cbranch_execnz .LBB245_353
; %bb.49:
	s_or_saveexec_b64 s[24:25], s[24:25]
	v_mov_b32_e32 v11, 0x7f800001
	s_xor_b64 exec, exec, s[24:25]
	s_cbranch_execnz .LBB245_356
.LBB245_50:
	s_or_b64 exec, exec, s[24:25]
	s_and_saveexec_b64 s[24:25], s[22:23]
	s_cbranch_execz .LBB245_52
.LBB245_51:
	v_bfe_u32 v11, v5, 24, 2
	v_ffbh_u32_e32 v13, v11
	v_min_u32_e32 v13, 32, v13
	v_subrev_u32_e32 v14, 29, v13
	v_bfe_u32 v12, v5, 26, 5
	v_lshlrev_b32_sdwa v14, v14, v5 dst_sel:DWORD dst_unused:UNUSED_PAD src0_sel:DWORD src1_sel:BYTE_3
	v_sub_u32_e32 v13, 30, v13
	v_and_b32_e32 v14, 3, v14
	v_cmp_eq_u32_e32 vcc, 0, v12
	v_cndmask_b32_e32 v12, v12, v13, vcc
	v_cndmask_b32_e32 v11, v11, v14, vcc
	v_mov_b32_e32 v14, 0x37800000
	v_lshlrev_b32_e32 v11, 21, v11
	v_and_b32_e32 v13, 0x80000000, v5
	v_lshl_add_u32 v12, v12, 23, v14
	v_or3_b32 v11, v13, v12, v11
.LBB245_52:
	s_or_b64 exec, exec, s[24:25]
	v_cmp_neq_f32_e64 s[22:23], v10, v11
.LBB245_53:
	s_and_b64 vcc, exec, s[4:5]
	s_cbranch_vccnz .LBB245_203
.LBB245_54:
	s_movk_i32 s24, 0x7f
	v_cmp_gt_i16_sdwa s[26:27], v8, s24 src0_sel:BYTE_0 src1_sel:DWORD
	s_mov_b64 s[24:25], 0
	s_and_saveexec_b64 s[28:29], s[26:27]
	s_xor_b64 s[26:27], exec, s[28:29]
	s_cbranch_execnz .LBB245_357
; %bb.55:
	s_or_saveexec_b64 s[26:27], s[26:27]
	v_mov_b32_e32 v5, 0x7f800001
	s_xor_b64 exec, exec, s[26:27]
	s_cbranch_execnz .LBB245_360
.LBB245_56:
	s_or_b64 exec, exec, s[26:27]
	s_and_saveexec_b64 s[26:27], s[24:25]
	s_cbranch_execz .LBB245_58
.LBB245_57:
	v_and_b32_e32 v5, 3, v8
	v_ffbh_u32_e32 v10, v5
	v_min_u32_e32 v10, 32, v10
	v_subrev_u32_e32 v11, 29, v10
	v_bfe_u32 v7, v8, 2, 5
	v_lshlrev_b32_e32 v11, v11, v8
	v_sub_u32_e32 v10, 30, v10
	v_and_b32_e32 v11, 3, v11
	v_cmp_eq_u32_e32 vcc, 0, v7
	v_cndmask_b32_e32 v7, v7, v10, vcc
	v_cndmask_b32_e32 v5, v5, v11, vcc
	v_lshlrev_b32_e32 v10, 24, v8
	v_mov_b32_e32 v11, 0x37800000
	v_lshlrev_b32_e32 v5, 21, v5
	v_and_b32_e32 v10, 0x80000000, v10
	v_lshl_add_u32 v7, v7, 23, v11
	v_or3_b32 v5, v10, v7, v5
.LBB245_58:
	s_or_b64 exec, exec, s[26:27]
	s_movk_i32 s24, 0x7f
	v_cmp_gt_i16_sdwa s[26:27], v6, s24 src0_sel:BYTE_0 src1_sel:DWORD
	s_mov_b64 s[24:25], 0
	s_and_saveexec_b64 s[28:29], s[26:27]
	s_xor_b64 s[26:27], exec, s[28:29]
	s_cbranch_execnz .LBB245_361
; %bb.59:
	s_or_saveexec_b64 s[26:27], s[26:27]
	v_mov_b32_e32 v7, 0x7f800001
	s_xor_b64 exec, exec, s[26:27]
	s_cbranch_execnz .LBB245_364
.LBB245_60:
	s_or_b64 exec, exec, s[26:27]
	s_and_saveexec_b64 s[26:27], s[24:25]
	s_cbranch_execz .LBB245_62
.LBB245_61:
	v_and_b32_e32 v7, 3, v6
	v_ffbh_u32_e32 v11, v7
	v_min_u32_e32 v11, 32, v11
	v_subrev_u32_e32 v12, 29, v11
	v_bfe_u32 v10, v6, 2, 5
	v_lshlrev_b32_e32 v12, v12, v6
	v_sub_u32_e32 v11, 30, v11
	v_and_b32_e32 v12, 3, v12
	v_cmp_eq_u32_e32 vcc, 0, v10
	v_cndmask_b32_e32 v10, v10, v11, vcc
	v_cndmask_b32_e32 v7, v7, v12, vcc
	v_lshlrev_b32_e32 v11, 24, v6
	v_mov_b32_e32 v12, 0x37800000
	v_lshlrev_b32_e32 v7, 21, v7
	v_and_b32_e32 v11, 0x80000000, v11
	v_lshl_add_u32 v10, v10, 23, v12
	v_or3_b32 v7, v11, v10, v7
.LBB245_62:
	s_or_b64 exec, exec, s[26:27]
	v_cmp_neq_f32_e64 s[24:25], v5, v7
.LBB245_63:
	v_lshrrev_b32_e32 v7, 8, v8
	s_and_b64 vcc, exec, s[4:5]
	v_lshrrev_b32_e32 v5, 8, v6
	s_cbranch_vccnz .LBB245_213
.LBB245_64:
	s_movk_i32 s26, 0x7f
	v_cmp_gt_i16_sdwa s[28:29], v7, s26 src0_sel:BYTE_0 src1_sel:DWORD
	s_mov_b64 s[26:27], 0
	s_and_saveexec_b64 s[30:31], s[28:29]
	s_xor_b64 s[28:29], exec, s[30:31]
	s_cbranch_execnz .LBB245_365
; %bb.65:
	s_or_saveexec_b64 s[28:29], s[28:29]
	v_mov_b32_e32 v10, 0x7f800001
	s_xor_b64 exec, exec, s[28:29]
	s_cbranch_execnz .LBB245_368
.LBB245_66:
	s_or_b64 exec, exec, s[28:29]
	s_and_saveexec_b64 s[28:29], s[26:27]
	s_cbranch_execz .LBB245_68
.LBB245_67:
	v_bfe_u32 v10, v8, 8, 2
	v_ffbh_u32_e32 v12, v10
	v_min_u32_e32 v12, 32, v12
	v_subrev_u32_e32 v13, 29, v12
	v_bfe_u32 v11, v8, 10, 5
	v_lshlrev_b32_e32 v13, v13, v7
	v_sub_u32_e32 v12, 30, v12
	v_and_b32_e32 v13, 3, v13
	v_cmp_eq_u32_e32 vcc, 0, v11
	v_cndmask_b32_e32 v11, v11, v12, vcc
	v_cndmask_b32_e32 v10, v10, v13, vcc
	v_lshlrev_b32_e32 v12, 24, v7
	v_mov_b32_e32 v13, 0x37800000
	v_lshlrev_b32_e32 v10, 21, v10
	v_and_b32_e32 v12, 0x80000000, v12
	v_lshl_add_u32 v11, v11, 23, v13
	v_or3_b32 v10, v12, v11, v10
.LBB245_68:
	s_or_b64 exec, exec, s[28:29]
	s_movk_i32 s26, 0x7f
	v_cmp_gt_i16_sdwa s[28:29], v5, s26 src0_sel:BYTE_0 src1_sel:DWORD
	s_mov_b64 s[26:27], 0
	s_and_saveexec_b64 s[30:31], s[28:29]
	s_xor_b64 s[28:29], exec, s[30:31]
	s_cbranch_execnz .LBB245_369
; %bb.69:
	s_or_saveexec_b64 s[28:29], s[28:29]
	v_mov_b32_e32 v11, 0x7f800001
	s_xor_b64 exec, exec, s[28:29]
	s_cbranch_execnz .LBB245_372
.LBB245_70:
	s_or_b64 exec, exec, s[28:29]
	s_and_saveexec_b64 s[28:29], s[26:27]
	s_cbranch_execz .LBB245_72
.LBB245_71:
	v_bfe_u32 v11, v6, 8, 2
	v_ffbh_u32_e32 v13, v11
	v_min_u32_e32 v13, 32, v13
	v_subrev_u32_e32 v14, 29, v13
	v_bfe_u32 v12, v6, 10, 5
	v_lshlrev_b32_e32 v14, v14, v5
	v_sub_u32_e32 v13, 30, v13
	v_and_b32_e32 v14, 3, v14
	v_cmp_eq_u32_e32 vcc, 0, v12
	v_cndmask_b32_e32 v12, v12, v13, vcc
	v_cndmask_b32_e32 v11, v11, v14, vcc
	v_lshlrev_b32_e32 v13, 24, v5
	v_mov_b32_e32 v14, 0x37800000
	v_lshlrev_b32_e32 v11, 21, v11
	v_and_b32_e32 v13, 0x80000000, v13
	v_lshl_add_u32 v12, v12, 23, v14
	v_or3_b32 v11, v13, v12, v11
.LBB245_72:
	s_or_b64 exec, exec, s[28:29]
	v_cmp_neq_f32_e64 s[26:27], v10, v11
.LBB245_73:
	s_and_b64 vcc, exec, s[4:5]
	s_cbranch_vccnz .LBB245_223
.LBB245_74:
	s_movk_i32 s28, 0xff
	v_and_b32_sdwa v7, v8, s28 dst_sel:DWORD dst_unused:UNUSED_PAD src0_sel:WORD_1 src1_sel:DWORD
	s_movk_i32 s28, 0x7f
	v_cmp_lt_i16_e32 vcc, s28, v7
	s_mov_b64 s[28:29], 0
	s_and_saveexec_b64 s[30:31], vcc
	s_xor_b64 s[30:31], exec, s[30:31]
	s_cbranch_execnz .LBB245_373
; %bb.75:
	s_or_saveexec_b64 s[30:31], s[30:31]
	v_mov_b32_e32 v5, 0x7f800001
	s_xor_b64 exec, exec, s[30:31]
	s_cbranch_execnz .LBB245_376
.LBB245_76:
	s_or_b64 exec, exec, s[30:31]
	s_and_saveexec_b64 s[30:31], s[28:29]
	s_cbranch_execz .LBB245_78
.LBB245_77:
	v_bfe_u32 v5, v8, 16, 2
	v_ffbh_u32_e32 v10, v5
	v_min_u32_e32 v10, 32, v10
	v_bfe_u32 v7, v8, 18, 5
	v_subrev_u32_e32 v11, 29, v10
	v_lshlrev_b32_sdwa v11, v11, v8 dst_sel:DWORD dst_unused:UNUSED_PAD src0_sel:DWORD src1_sel:WORD_1
	v_sub_u32_e32 v10, 30, v10
	v_cmp_eq_u32_e32 vcc, 0, v7
	v_and_b32_e32 v11, 3, v11
	v_cndmask_b32_e32 v7, v7, v10, vcc
	v_mov_b32_e32 v10, 24
	v_cndmask_b32_e32 v5, v5, v11, vcc
	v_lshlrev_b32_sdwa v10, v10, v8 dst_sel:DWORD dst_unused:UNUSED_PAD src0_sel:DWORD src1_sel:WORD_1
	v_mov_b32_e32 v11, 0x37800000
	v_lshlrev_b32_e32 v5, 21, v5
	v_and_b32_e32 v10, 0x80000000, v10
	v_lshl_add_u32 v7, v7, 23, v11
	v_or3_b32 v5, v10, v7, v5
.LBB245_78:
	s_or_b64 exec, exec, s[30:31]
	s_movk_i32 s28, 0xff
	v_and_b32_sdwa v7, v6, s28 dst_sel:DWORD dst_unused:UNUSED_PAD src0_sel:WORD_1 src1_sel:DWORD
	s_movk_i32 s28, 0x7f
	v_cmp_lt_i16_e32 vcc, s28, v7
	s_mov_b64 s[28:29], 0
	s_and_saveexec_b64 s[30:31], vcc
	s_xor_b64 s[30:31], exec, s[30:31]
	s_cbranch_execnz .LBB245_377
; %bb.79:
	s_or_saveexec_b64 s[30:31], s[30:31]
	v_mov_b32_e32 v10, 0x7f800001
	s_xor_b64 exec, exec, s[30:31]
	s_cbranch_execnz .LBB245_380
.LBB245_80:
	s_or_b64 exec, exec, s[30:31]
	s_and_saveexec_b64 s[30:31], s[28:29]
	s_cbranch_execz .LBB245_82
.LBB245_81:
	v_bfe_u32 v7, v6, 16, 2
	v_ffbh_u32_e32 v11, v7
	v_min_u32_e32 v11, 32, v11
	v_bfe_u32 v10, v6, 18, 5
	v_subrev_u32_e32 v12, 29, v11
	v_lshlrev_b32_sdwa v12, v12, v6 dst_sel:DWORD dst_unused:UNUSED_PAD src0_sel:DWORD src1_sel:WORD_1
	v_sub_u32_e32 v11, 30, v11
	v_cmp_eq_u32_e32 vcc, 0, v10
	v_and_b32_e32 v12, 3, v12
	v_cndmask_b32_e32 v10, v10, v11, vcc
	v_mov_b32_e32 v11, 24
	v_cndmask_b32_e32 v7, v7, v12, vcc
	v_lshlrev_b32_sdwa v11, v11, v6 dst_sel:DWORD dst_unused:UNUSED_PAD src0_sel:DWORD src1_sel:WORD_1
	v_mov_b32_e32 v12, 0x37800000
	v_lshlrev_b32_e32 v7, 21, v7
	v_and_b32_e32 v11, 0x80000000, v11
	v_lshl_add_u32 v10, v10, 23, v12
	v_or3_b32 v10, v11, v10, v7
.LBB245_82:
	s_or_b64 exec, exec, s[30:31]
	v_cmp_neq_f32_e64 s[28:29], v5, v10
.LBB245_83:
	s_and_b64 vcc, exec, s[4:5]
	s_cbranch_vccnz .LBB245_233
.LBB245_84:
	s_movk_i32 s30, 0x7f
	v_cmp_gt_i16_sdwa s[34:35], v8, s30 src0_sel:BYTE_3 src1_sel:DWORD
	s_mov_b64 s[30:31], 0
	s_and_saveexec_b64 s[36:37], s[34:35]
	s_xor_b64 s[34:35], exec, s[36:37]
	s_cbranch_execnz .LBB245_381
; %bb.85:
	s_or_saveexec_b64 s[34:35], s[34:35]
	v_mov_b32_e32 v5, 0x7f800001
	s_xor_b64 exec, exec, s[34:35]
	s_cbranch_execnz .LBB245_384
.LBB245_86:
	s_or_b64 exec, exec, s[34:35]
	s_and_saveexec_b64 s[34:35], s[30:31]
	s_cbranch_execz .LBB245_88
.LBB245_87:
	v_bfe_u32 v5, v8, 24, 2
	v_ffbh_u32_e32 v10, v5
	v_min_u32_e32 v10, 32, v10
	v_subrev_u32_e32 v11, 29, v10
	v_bfe_u32 v7, v8, 26, 5
	v_lshlrev_b32_sdwa v11, v11, v8 dst_sel:DWORD dst_unused:UNUSED_PAD src0_sel:DWORD src1_sel:BYTE_3
	v_sub_u32_e32 v10, 30, v10
	v_and_b32_e32 v11, 3, v11
	v_cmp_eq_u32_e32 vcc, 0, v7
	v_cndmask_b32_e32 v7, v7, v10, vcc
	v_cndmask_b32_e32 v5, v5, v11, vcc
	v_mov_b32_e32 v11, 0x37800000
	v_lshlrev_b32_e32 v5, 21, v5
	v_and_b32_e32 v10, 0x80000000, v8
	v_lshl_add_u32 v7, v7, 23, v11
	v_or3_b32 v5, v10, v7, v5
.LBB245_88:
	s_or_b64 exec, exec, s[34:35]
	s_movk_i32 s30, 0x7f
	v_cmp_gt_i16_sdwa s[34:35], v6, s30 src0_sel:BYTE_3 src1_sel:DWORD
	s_mov_b64 s[30:31], 0
	s_and_saveexec_b64 s[36:37], s[34:35]
	s_xor_b64 s[34:35], exec, s[36:37]
	s_cbranch_execnz .LBB245_385
; %bb.89:
	s_or_saveexec_b64 s[34:35], s[34:35]
	v_mov_b32_e32 v7, 0x7f800001
	s_xor_b64 exec, exec, s[34:35]
	s_cbranch_execnz .LBB245_388
.LBB245_90:
	s_or_b64 exec, exec, s[34:35]
	s_and_saveexec_b64 s[34:35], s[30:31]
	s_cbranch_execz .LBB245_92
.LBB245_91:
	v_bfe_u32 v7, v6, 24, 2
	v_ffbh_u32_e32 v11, v7
	v_min_u32_e32 v11, 32, v11
	v_subrev_u32_e32 v12, 29, v11
	v_bfe_u32 v10, v6, 26, 5
	v_lshlrev_b32_sdwa v12, v12, v6 dst_sel:DWORD dst_unused:UNUSED_PAD src0_sel:DWORD src1_sel:BYTE_3
	v_sub_u32_e32 v11, 30, v11
	v_and_b32_e32 v12, 3, v12
	v_cmp_eq_u32_e32 vcc, 0, v10
	v_cndmask_b32_e32 v10, v10, v11, vcc
	v_cndmask_b32_e32 v7, v7, v12, vcc
	v_mov_b32_e32 v12, 0x37800000
	v_lshlrev_b32_e32 v7, 21, v7
	v_and_b32_e32 v11, 0x80000000, v6
	v_lshl_add_u32 v10, v10, 23, v12
	v_or3_b32 v7, v11, v10, v7
.LBB245_92:
	s_or_b64 exec, exec, s[34:35]
	v_cmp_neq_f32_e64 s[30:31], v5, v7
.LBB245_93:
	s_and_b64 vcc, exec, s[4:5]
	s_cbranch_vccnz .LBB245_243
.LBB245_94:
	s_movk_i32 s34, 0x7f
	v_cmp_gt_i16_sdwa s[36:37], v3, s34 src0_sel:BYTE_0 src1_sel:DWORD
	s_mov_b64 s[34:35], 0
	s_and_saveexec_b64 s[38:39], s[36:37]
	s_xor_b64 s[36:37], exec, s[38:39]
	s_cbranch_execnz .LBB245_389
; %bb.95:
	s_or_saveexec_b64 s[36:37], s[36:37]
	v_mov_b32_e32 v5, 0x7f800001
	s_xor_b64 exec, exec, s[36:37]
	s_cbranch_execnz .LBB245_392
.LBB245_96:
	s_or_b64 exec, exec, s[36:37]
	s_and_saveexec_b64 s[36:37], s[34:35]
	s_cbranch_execz .LBB245_98
.LBB245_97:
	v_and_b32_e32 v5, 3, v3
	v_ffbh_u32_e32 v7, v5
	v_min_u32_e32 v7, 32, v7
	v_subrev_u32_e32 v8, 29, v7
	v_bfe_u32 v6, v3, 2, 5
	v_lshlrev_b32_e32 v8, v8, v3
	v_sub_u32_e32 v7, 30, v7
	v_and_b32_e32 v8, 3, v8
	v_cmp_eq_u32_e32 vcc, 0, v6
	v_cndmask_b32_e32 v6, v6, v7, vcc
	v_cndmask_b32_e32 v5, v5, v8, vcc
	v_lshlrev_b32_e32 v7, 24, v3
	v_mov_b32_e32 v8, 0x37800000
	v_lshlrev_b32_e32 v5, 21, v5
	v_and_b32_e32 v7, 0x80000000, v7
	v_lshl_add_u32 v6, v6, 23, v8
	v_or3_b32 v5, v7, v6, v5
.LBB245_98:
	s_or_b64 exec, exec, s[36:37]
	s_movk_i32 s34, 0x7f
	s_waitcnt vmcnt(0)
	v_cmp_gt_i16_sdwa s[36:37], v1, s34 src0_sel:BYTE_0 src1_sel:DWORD
	s_mov_b64 s[34:35], 0
	s_and_saveexec_b64 s[38:39], s[36:37]
	s_xor_b64 s[36:37], exec, s[38:39]
	s_cbranch_execnz .LBB245_393
; %bb.99:
	s_or_saveexec_b64 s[36:37], s[36:37]
	v_mov_b32_e32 v6, 0x7f800001
	s_xor_b64 exec, exec, s[36:37]
	s_cbranch_execnz .LBB245_396
.LBB245_100:
	s_or_b64 exec, exec, s[36:37]
	s_and_saveexec_b64 s[36:37], s[34:35]
	s_cbranch_execz .LBB245_102
.LBB245_101:
	v_and_b32_e32 v6, 3, v1
	v_ffbh_u32_e32 v8, v6
	v_min_u32_e32 v8, 32, v8
	v_subrev_u32_e32 v10, 29, v8
	v_bfe_u32 v7, v1, 2, 5
	v_lshlrev_b32_e32 v10, v10, v1
	v_sub_u32_e32 v8, 30, v8
	v_and_b32_e32 v10, 3, v10
	v_cmp_eq_u32_e32 vcc, 0, v7
	v_cndmask_b32_e32 v7, v7, v8, vcc
	v_cndmask_b32_e32 v6, v6, v10, vcc
	v_lshlrev_b32_e32 v8, 24, v1
	v_mov_b32_e32 v10, 0x37800000
	v_lshlrev_b32_e32 v6, 21, v6
	v_and_b32_e32 v8, 0x80000000, v8
	v_lshl_add_u32 v7, v7, 23, v10
	v_or3_b32 v6, v8, v7, v6
.LBB245_102:
	s_or_b64 exec, exec, s[36:37]
	v_cmp_neq_f32_e64 s[34:35], v5, v6
.LBB245_103:
	v_lshrrev_b32_e32 v6, 8, v3
	s_and_b64 vcc, exec, s[4:5]
	s_waitcnt vmcnt(0)
	v_lshrrev_b32_e32 v5, 8, v1
	s_cbranch_vccnz .LBB245_253
.LBB245_104:
	s_movk_i32 s36, 0x7f
	v_cmp_gt_i16_sdwa s[38:39], v6, s36 src0_sel:BYTE_0 src1_sel:DWORD
	s_mov_b64 s[36:37], 0
	s_and_saveexec_b64 s[40:41], s[38:39]
	s_xor_b64 s[38:39], exec, s[40:41]
	s_cbranch_execnz .LBB245_397
; %bb.105:
	s_or_saveexec_b64 s[38:39], s[38:39]
	v_mov_b32_e32 v7, 0x7f800001
	s_xor_b64 exec, exec, s[38:39]
	s_cbranch_execnz .LBB245_400
.LBB245_106:
	s_or_b64 exec, exec, s[38:39]
	s_and_saveexec_b64 s[38:39], s[36:37]
	s_cbranch_execz .LBB245_108
.LBB245_107:
	v_bfe_u32 v7, v3, 8, 2
	v_ffbh_u32_e32 v10, v7
	v_min_u32_e32 v10, 32, v10
	v_subrev_u32_e32 v11, 29, v10
	v_bfe_u32 v8, v3, 10, 5
	v_lshlrev_b32_e32 v11, v11, v6
	v_sub_u32_e32 v10, 30, v10
	v_and_b32_e32 v11, 3, v11
	v_cmp_eq_u32_e32 vcc, 0, v8
	v_cndmask_b32_e32 v8, v8, v10, vcc
	v_cndmask_b32_e32 v7, v7, v11, vcc
	v_lshlrev_b32_e32 v10, 24, v6
	v_mov_b32_e32 v11, 0x37800000
	v_lshlrev_b32_e32 v7, 21, v7
	v_and_b32_e32 v10, 0x80000000, v10
	v_lshl_add_u32 v8, v8, 23, v11
	v_or3_b32 v7, v10, v8, v7
.LBB245_108:
	s_or_b64 exec, exec, s[38:39]
	s_movk_i32 s36, 0x7f
	v_cmp_gt_i16_sdwa s[38:39], v5, s36 src0_sel:BYTE_0 src1_sel:DWORD
	s_mov_b64 s[36:37], 0
	s_and_saveexec_b64 s[40:41], s[38:39]
	s_xor_b64 s[38:39], exec, s[40:41]
	s_cbranch_execnz .LBB245_401
; %bb.109:
	s_or_saveexec_b64 s[38:39], s[38:39]
	v_mov_b32_e32 v8, 0x7f800001
	s_xor_b64 exec, exec, s[38:39]
	s_cbranch_execnz .LBB245_404
.LBB245_110:
	s_or_b64 exec, exec, s[38:39]
	s_and_saveexec_b64 s[38:39], s[36:37]
	s_cbranch_execz .LBB245_112
.LBB245_111:
	v_bfe_u32 v8, v1, 8, 2
	v_ffbh_u32_e32 v11, v8
	v_min_u32_e32 v11, 32, v11
	v_subrev_u32_e32 v12, 29, v11
	v_bfe_u32 v10, v1, 10, 5
	v_lshlrev_b32_e32 v12, v12, v5
	v_sub_u32_e32 v11, 30, v11
	v_and_b32_e32 v12, 3, v12
	v_cmp_eq_u32_e32 vcc, 0, v10
	v_cndmask_b32_e32 v10, v10, v11, vcc
	v_cndmask_b32_e32 v8, v8, v12, vcc
	v_lshlrev_b32_e32 v11, 24, v5
	v_mov_b32_e32 v12, 0x37800000
	v_lshlrev_b32_e32 v8, 21, v8
	v_and_b32_e32 v11, 0x80000000, v11
	v_lshl_add_u32 v10, v10, 23, v12
	v_or3_b32 v8, v11, v10, v8
.LBB245_112:
	s_or_b64 exec, exec, s[38:39]
	v_cmp_neq_f32_e64 s[36:37], v7, v8
.LBB245_113:
	s_and_b64 vcc, exec, s[4:5]
	s_cbranch_vccnz .LBB245_263
.LBB245_114:
	s_movk_i32 s38, 0xff
	v_and_b32_sdwa v6, v3, s38 dst_sel:DWORD dst_unused:UNUSED_PAD src0_sel:WORD_1 src1_sel:DWORD
	s_movk_i32 s38, 0x7f
	v_cmp_lt_i16_e32 vcc, s38, v6
	s_mov_b64 s[38:39], 0
	s_and_saveexec_b64 s[40:41], vcc
	s_xor_b64 s[40:41], exec, s[40:41]
	s_cbranch_execnz .LBB245_405
; %bb.115:
	s_or_saveexec_b64 s[40:41], s[40:41]
	v_mov_b32_e32 v5, 0x7f800001
	s_xor_b64 exec, exec, s[40:41]
	s_cbranch_execnz .LBB245_408
.LBB245_116:
	s_or_b64 exec, exec, s[40:41]
	s_and_saveexec_b64 s[40:41], s[38:39]
	s_cbranch_execz .LBB245_118
.LBB245_117:
	v_bfe_u32 v5, v3, 16, 2
	v_ffbh_u32_e32 v7, v5
	v_min_u32_e32 v7, 32, v7
	v_bfe_u32 v6, v3, 18, 5
	v_subrev_u32_e32 v8, 29, v7
	v_lshlrev_b32_sdwa v8, v8, v3 dst_sel:DWORD dst_unused:UNUSED_PAD src0_sel:DWORD src1_sel:WORD_1
	v_sub_u32_e32 v7, 30, v7
	v_cmp_eq_u32_e32 vcc, 0, v6
	v_and_b32_e32 v8, 3, v8
	v_cndmask_b32_e32 v6, v6, v7, vcc
	v_mov_b32_e32 v7, 24
	v_cndmask_b32_e32 v5, v5, v8, vcc
	v_lshlrev_b32_sdwa v7, v7, v3 dst_sel:DWORD dst_unused:UNUSED_PAD src0_sel:DWORD src1_sel:WORD_1
	v_mov_b32_e32 v8, 0x37800000
	v_lshlrev_b32_e32 v5, 21, v5
	v_and_b32_e32 v7, 0x80000000, v7
	v_lshl_add_u32 v6, v6, 23, v8
	v_or3_b32 v5, v7, v6, v5
.LBB245_118:
	s_or_b64 exec, exec, s[40:41]
	s_movk_i32 s38, 0xff
	v_and_b32_sdwa v6, v1, s38 dst_sel:DWORD dst_unused:UNUSED_PAD src0_sel:WORD_1 src1_sel:DWORD
	s_movk_i32 s38, 0x7f
	v_cmp_lt_i16_e32 vcc, s38, v6
	s_mov_b64 s[38:39], 0
	s_and_saveexec_b64 s[40:41], vcc
	s_xor_b64 s[40:41], exec, s[40:41]
	s_cbranch_execnz .LBB245_409
; %bb.119:
	s_or_saveexec_b64 s[40:41], s[40:41]
	v_mov_b32_e32 v7, 0x7f800001
	s_xor_b64 exec, exec, s[40:41]
	s_cbranch_execnz .LBB245_412
.LBB245_120:
	s_or_b64 exec, exec, s[40:41]
	s_and_saveexec_b64 s[40:41], s[38:39]
	s_cbranch_execz .LBB245_122
.LBB245_121:
	v_bfe_u32 v6, v1, 16, 2
	v_ffbh_u32_e32 v8, v6
	v_min_u32_e32 v8, 32, v8
	v_bfe_u32 v7, v1, 18, 5
	v_subrev_u32_e32 v10, 29, v8
	v_lshlrev_b32_sdwa v10, v10, v1 dst_sel:DWORD dst_unused:UNUSED_PAD src0_sel:DWORD src1_sel:WORD_1
	v_sub_u32_e32 v8, 30, v8
	v_cmp_eq_u32_e32 vcc, 0, v7
	v_and_b32_e32 v10, 3, v10
	v_cndmask_b32_e32 v7, v7, v8, vcc
	v_mov_b32_e32 v8, 24
	v_cndmask_b32_e32 v6, v6, v10, vcc
	v_lshlrev_b32_sdwa v8, v8, v1 dst_sel:DWORD dst_unused:UNUSED_PAD src0_sel:DWORD src1_sel:WORD_1
	v_mov_b32_e32 v10, 0x37800000
	v_lshlrev_b32_e32 v6, 21, v6
	v_and_b32_e32 v8, 0x80000000, v8
	v_lshl_add_u32 v7, v7, 23, v10
	v_or3_b32 v7, v8, v7, v6
.LBB245_122:
	s_or_b64 exec, exec, s[40:41]
	v_cmp_neq_f32_e64 s[38:39], v5, v7
.LBB245_123:
	s_and_b64 vcc, exec, s[4:5]
	s_cbranch_vccnz .LBB245_273
.LBB245_124:
	s_movk_i32 s40, 0x7f
	v_cmp_gt_i16_sdwa s[42:43], v3, s40 src0_sel:BYTE_3 src1_sel:DWORD
	s_mov_b64 s[40:41], 0
	s_and_saveexec_b64 s[44:45], s[42:43]
	s_xor_b64 s[42:43], exec, s[44:45]
	s_cbranch_execnz .LBB245_413
; %bb.125:
	s_or_saveexec_b64 s[42:43], s[42:43]
	v_mov_b32_e32 v5, 0x7f800001
	s_xor_b64 exec, exec, s[42:43]
	s_cbranch_execnz .LBB245_416
.LBB245_126:
	s_or_b64 exec, exec, s[42:43]
	s_and_saveexec_b64 s[42:43], s[40:41]
	s_cbranch_execz .LBB245_128
.LBB245_127:
	v_bfe_u32 v5, v3, 24, 2
	v_ffbh_u32_e32 v7, v5
	v_min_u32_e32 v7, 32, v7
	v_subrev_u32_e32 v8, 29, v7
	v_bfe_u32 v6, v3, 26, 5
	v_lshlrev_b32_sdwa v8, v8, v3 dst_sel:DWORD dst_unused:UNUSED_PAD src0_sel:DWORD src1_sel:BYTE_3
	v_sub_u32_e32 v7, 30, v7
	v_and_b32_e32 v8, 3, v8
	v_cmp_eq_u32_e32 vcc, 0, v6
	v_cndmask_b32_e32 v6, v6, v7, vcc
	v_cndmask_b32_e32 v5, v5, v8, vcc
	v_mov_b32_e32 v8, 0x37800000
	v_lshlrev_b32_e32 v5, 21, v5
	v_and_b32_e32 v7, 0x80000000, v3
	v_lshl_add_u32 v6, v6, 23, v8
	v_or3_b32 v5, v7, v6, v5
.LBB245_128:
	s_or_b64 exec, exec, s[42:43]
	s_movk_i32 s40, 0x7f
	v_cmp_gt_i16_sdwa s[42:43], v1, s40 src0_sel:BYTE_3 src1_sel:DWORD
	s_mov_b64 s[40:41], 0
	s_and_saveexec_b64 s[44:45], s[42:43]
	s_xor_b64 s[42:43], exec, s[44:45]
	s_cbranch_execnz .LBB245_417
; %bb.129:
	s_or_saveexec_b64 s[42:43], s[42:43]
	v_mov_b32_e32 v6, 0x7f800001
	s_xor_b64 exec, exec, s[42:43]
	s_cbranch_execnz .LBB245_420
.LBB245_130:
	s_or_b64 exec, exec, s[42:43]
	s_and_saveexec_b64 s[42:43], s[40:41]
	s_cbranch_execz .LBB245_132
.LBB245_131:
	v_bfe_u32 v6, v1, 24, 2
	v_ffbh_u32_e32 v8, v6
	v_min_u32_e32 v8, 32, v8
	v_subrev_u32_e32 v10, 29, v8
	v_bfe_u32 v7, v1, 26, 5
	v_lshlrev_b32_sdwa v10, v10, v1 dst_sel:DWORD dst_unused:UNUSED_PAD src0_sel:DWORD src1_sel:BYTE_3
	v_sub_u32_e32 v8, 30, v8
	v_and_b32_e32 v10, 3, v10
	v_cmp_eq_u32_e32 vcc, 0, v7
	v_cndmask_b32_e32 v7, v7, v8, vcc
	v_cndmask_b32_e32 v6, v6, v10, vcc
	v_mov_b32_e32 v10, 0x37800000
	v_lshlrev_b32_e32 v6, 21, v6
	v_and_b32_e32 v8, 0x80000000, v1
	v_lshl_add_u32 v7, v7, 23, v10
	v_or3_b32 v6, v8, v7, v6
.LBB245_132:
	s_or_b64 exec, exec, s[42:43]
	v_cmp_neq_f32_e64 s[40:41], v5, v6
.LBB245_133:
	s_and_b64 vcc, exec, s[4:5]
	s_cbranch_vccnz .LBB245_283
.LBB245_134:
	s_movk_i32 s42, 0x7f
	v_cmp_gt_i16_sdwa s[44:45], v4, s42 src0_sel:BYTE_0 src1_sel:DWORD
	s_mov_b64 s[42:43], 0
	s_and_saveexec_b64 s[46:47], s[44:45]
	s_xor_b64 s[44:45], exec, s[46:47]
	s_cbranch_execnz .LBB245_421
; %bb.135:
	s_or_saveexec_b64 s[44:45], s[44:45]
	v_mov_b32_e32 v1, 0x7f800001
	s_xor_b64 exec, exec, s[44:45]
	s_cbranch_execnz .LBB245_424
.LBB245_136:
	s_or_b64 exec, exec, s[44:45]
	s_and_saveexec_b64 s[44:45], s[42:43]
	s_cbranch_execz .LBB245_138
.LBB245_137:
	v_and_b32_e32 v1, 3, v4
	v_ffbh_u32_e32 v5, v1
	v_min_u32_e32 v5, 32, v5
	v_subrev_u32_e32 v6, 29, v5
	v_bfe_u32 v3, v4, 2, 5
	v_lshlrev_b32_e32 v6, v6, v4
	v_sub_u32_e32 v5, 30, v5
	v_and_b32_e32 v6, 3, v6
	v_cmp_eq_u32_e32 vcc, 0, v3
	v_cndmask_b32_e32 v3, v3, v5, vcc
	v_cndmask_b32_e32 v1, v1, v6, vcc
	v_lshlrev_b32_e32 v5, 24, v4
	v_mov_b32_e32 v6, 0x37800000
	v_lshlrev_b32_e32 v1, 21, v1
	v_and_b32_e32 v5, 0x80000000, v5
	v_lshl_add_u32 v3, v3, 23, v6
	v_or3_b32 v1, v5, v3, v1
.LBB245_138:
	s_or_b64 exec, exec, s[44:45]
	s_movk_i32 s42, 0x7f
	v_cmp_gt_i16_sdwa s[44:45], v2, s42 src0_sel:BYTE_0 src1_sel:DWORD
	s_mov_b64 s[42:43], 0
	s_and_saveexec_b64 s[46:47], s[44:45]
	s_xor_b64 s[44:45], exec, s[46:47]
	s_cbranch_execnz .LBB245_425
; %bb.139:
	s_or_saveexec_b64 s[44:45], s[44:45]
	v_mov_b32_e32 v3, 0x7f800001
	s_xor_b64 exec, exec, s[44:45]
	s_cbranch_execnz .LBB245_428
.LBB245_140:
	s_or_b64 exec, exec, s[44:45]
	s_and_saveexec_b64 s[44:45], s[42:43]
	s_cbranch_execz .LBB245_142
.LBB245_141:
	v_and_b32_e32 v3, 3, v2
	v_ffbh_u32_e32 v6, v3
	v_min_u32_e32 v6, 32, v6
	v_subrev_u32_e32 v7, 29, v6
	v_bfe_u32 v5, v2, 2, 5
	v_lshlrev_b32_e32 v7, v7, v2
	v_sub_u32_e32 v6, 30, v6
	v_and_b32_e32 v7, 3, v7
	v_cmp_eq_u32_e32 vcc, 0, v5
	v_cndmask_b32_e32 v5, v5, v6, vcc
	v_cndmask_b32_e32 v3, v3, v7, vcc
	v_lshlrev_b32_e32 v6, 24, v2
	v_mov_b32_e32 v7, 0x37800000
	v_lshlrev_b32_e32 v3, 21, v3
	v_and_b32_e32 v6, 0x80000000, v6
	v_lshl_add_u32 v5, v5, 23, v7
	v_or3_b32 v3, v6, v5, v3
.LBB245_142:
	s_or_b64 exec, exec, s[44:45]
	v_cmp_neq_f32_e64 s[42:43], v1, v3
.LBB245_143:
	v_lshrrev_b32_e32 v3, 8, v4
	s_and_b64 vcc, exec, s[4:5]
	v_lshrrev_b32_e32 v1, 8, v2
	s_cbranch_vccnz .LBB245_293
.LBB245_144:
	s_movk_i32 s44, 0x7f
	v_cmp_gt_i16_sdwa s[46:47], v3, s44 src0_sel:BYTE_0 src1_sel:DWORD
	s_mov_b64 s[44:45], 0
	s_and_saveexec_b64 s[48:49], s[46:47]
	s_xor_b64 s[46:47], exec, s[48:49]
	s_cbranch_execnz .LBB245_429
; %bb.145:
	s_or_saveexec_b64 s[46:47], s[46:47]
	v_mov_b32_e32 v5, 0x7f800001
	s_xor_b64 exec, exec, s[46:47]
	s_cbranch_execnz .LBB245_432
.LBB245_146:
	s_or_b64 exec, exec, s[46:47]
	s_and_saveexec_b64 s[46:47], s[44:45]
	s_cbranch_execz .LBB245_148
.LBB245_147:
	v_bfe_u32 v5, v4, 8, 2
	v_ffbh_u32_e32 v7, v5
	v_min_u32_e32 v7, 32, v7
	v_subrev_u32_e32 v8, 29, v7
	v_bfe_u32 v6, v4, 10, 5
	v_lshlrev_b32_e32 v8, v8, v3
	v_sub_u32_e32 v7, 30, v7
	v_and_b32_e32 v8, 3, v8
	v_cmp_eq_u32_e32 vcc, 0, v6
	v_cndmask_b32_e32 v6, v6, v7, vcc
	v_cndmask_b32_e32 v5, v5, v8, vcc
	v_lshlrev_b32_e32 v7, 24, v3
	v_mov_b32_e32 v8, 0x37800000
	v_lshlrev_b32_e32 v5, 21, v5
	v_and_b32_e32 v7, 0x80000000, v7
	v_lshl_add_u32 v6, v6, 23, v8
	v_or3_b32 v5, v7, v6, v5
.LBB245_148:
	s_or_b64 exec, exec, s[46:47]
	s_movk_i32 s44, 0x7f
	v_cmp_gt_i16_sdwa s[46:47], v1, s44 src0_sel:BYTE_0 src1_sel:DWORD
	s_mov_b64 s[44:45], 0
	s_and_saveexec_b64 s[48:49], s[46:47]
	s_xor_b64 s[46:47], exec, s[48:49]
	s_cbranch_execnz .LBB245_433
; %bb.149:
	s_or_saveexec_b64 s[46:47], s[46:47]
	v_mov_b32_e32 v6, 0x7f800001
	s_xor_b64 exec, exec, s[46:47]
	s_cbranch_execnz .LBB245_436
.LBB245_150:
	s_or_b64 exec, exec, s[46:47]
	s_and_saveexec_b64 s[46:47], s[44:45]
	s_cbranch_execz .LBB245_152
.LBB245_151:
	v_bfe_u32 v6, v2, 8, 2
	v_ffbh_u32_e32 v8, v6
	v_min_u32_e32 v8, 32, v8
	v_subrev_u32_e32 v10, 29, v8
	v_bfe_u32 v7, v2, 10, 5
	v_lshlrev_b32_e32 v10, v10, v1
	v_sub_u32_e32 v8, 30, v8
	v_and_b32_e32 v10, 3, v10
	v_cmp_eq_u32_e32 vcc, 0, v7
	v_cndmask_b32_e32 v7, v7, v8, vcc
	v_cndmask_b32_e32 v6, v6, v10, vcc
	v_lshlrev_b32_e32 v8, 24, v1
	v_mov_b32_e32 v10, 0x37800000
	v_lshlrev_b32_e32 v6, 21, v6
	v_and_b32_e32 v8, 0x80000000, v8
	v_lshl_add_u32 v7, v7, 23, v10
	v_or3_b32 v6, v8, v7, v6
.LBB245_152:
	s_or_b64 exec, exec, s[46:47]
	v_cmp_neq_f32_e64 s[44:45], v5, v6
.LBB245_153:
	s_and_b64 vcc, exec, s[4:5]
	s_cbranch_vccnz .LBB245_303
.LBB245_154:
	s_movk_i32 s46, 0xff
	v_and_b32_sdwa v3, v4, s46 dst_sel:DWORD dst_unused:UNUSED_PAD src0_sel:WORD_1 src1_sel:DWORD
	s_movk_i32 s46, 0x7f
	v_cmp_lt_i16_e32 vcc, s46, v3
	s_mov_b64 s[46:47], 0
	s_and_saveexec_b64 s[48:49], vcc
	s_xor_b64 s[48:49], exec, s[48:49]
	s_cbranch_execnz .LBB245_437
; %bb.155:
	s_or_saveexec_b64 s[48:49], s[48:49]
	v_mov_b32_e32 v1, 0x7f800001
	s_xor_b64 exec, exec, s[48:49]
	s_cbranch_execnz .LBB245_440
.LBB245_156:
	s_or_b64 exec, exec, s[48:49]
	s_and_saveexec_b64 s[48:49], s[46:47]
	s_cbranch_execz .LBB245_158
.LBB245_157:
	v_bfe_u32 v1, v4, 16, 2
	v_ffbh_u32_e32 v5, v1
	v_min_u32_e32 v5, 32, v5
	v_bfe_u32 v3, v4, 18, 5
	v_subrev_u32_e32 v6, 29, v5
	v_lshlrev_b32_sdwa v6, v6, v4 dst_sel:DWORD dst_unused:UNUSED_PAD src0_sel:DWORD src1_sel:WORD_1
	v_sub_u32_e32 v5, 30, v5
	v_cmp_eq_u32_e32 vcc, 0, v3
	v_and_b32_e32 v6, 3, v6
	v_cndmask_b32_e32 v3, v3, v5, vcc
	v_mov_b32_e32 v5, 24
	v_cndmask_b32_e32 v1, v1, v6, vcc
	v_lshlrev_b32_sdwa v5, v5, v4 dst_sel:DWORD dst_unused:UNUSED_PAD src0_sel:DWORD src1_sel:WORD_1
	v_mov_b32_e32 v6, 0x37800000
	v_lshlrev_b32_e32 v1, 21, v1
	v_and_b32_e32 v5, 0x80000000, v5
	v_lshl_add_u32 v3, v3, 23, v6
	v_or3_b32 v1, v5, v3, v1
.LBB245_158:
	s_or_b64 exec, exec, s[48:49]
	s_movk_i32 s46, 0xff
	v_and_b32_sdwa v3, v2, s46 dst_sel:DWORD dst_unused:UNUSED_PAD src0_sel:WORD_1 src1_sel:DWORD
	s_movk_i32 s46, 0x7f
	v_cmp_lt_i16_e32 vcc, s46, v3
	s_mov_b64 s[46:47], 0
	s_and_saveexec_b64 s[48:49], vcc
	s_xor_b64 s[48:49], exec, s[48:49]
	s_cbranch_execnz .LBB245_441
; %bb.159:
	s_or_saveexec_b64 s[48:49], s[48:49]
	v_mov_b32_e32 v5, 0x7f800001
	s_xor_b64 exec, exec, s[48:49]
	s_cbranch_execnz .LBB245_444
.LBB245_160:
	s_or_b64 exec, exec, s[48:49]
	s_and_saveexec_b64 s[48:49], s[46:47]
	s_cbranch_execz .LBB245_162
.LBB245_161:
	v_bfe_u32 v3, v2, 16, 2
	v_ffbh_u32_e32 v6, v3
	v_min_u32_e32 v6, 32, v6
	v_bfe_u32 v5, v2, 18, 5
	v_subrev_u32_e32 v7, 29, v6
	v_lshlrev_b32_sdwa v7, v7, v2 dst_sel:DWORD dst_unused:UNUSED_PAD src0_sel:DWORD src1_sel:WORD_1
	v_sub_u32_e32 v6, 30, v6
	v_cmp_eq_u32_e32 vcc, 0, v5
	v_and_b32_e32 v7, 3, v7
	v_cndmask_b32_e32 v5, v5, v6, vcc
	v_mov_b32_e32 v6, 24
	v_cndmask_b32_e32 v3, v3, v7, vcc
	v_lshlrev_b32_sdwa v6, v6, v2 dst_sel:DWORD dst_unused:UNUSED_PAD src0_sel:DWORD src1_sel:WORD_1
	v_mov_b32_e32 v7, 0x37800000
	v_lshlrev_b32_e32 v3, 21, v3
	v_and_b32_e32 v6, 0x80000000, v6
	v_lshl_add_u32 v5, v5, 23, v7
	v_or3_b32 v5, v6, v5, v3
.LBB245_162:
	s_or_b64 exec, exec, s[48:49]
	v_cmp_neq_f32_e64 s[46:47], v1, v5
.LBB245_163:
	s_and_b64 vcc, exec, s[4:5]
	s_cbranch_vccnz .LBB245_313
.LBB245_164:
	s_movk_i32 s4, 0x7f
	v_cmp_gt_i16_sdwa s[48:49], v4, s4 src0_sel:BYTE_3 src1_sel:DWORD
	s_mov_b64 s[4:5], 0
	s_and_saveexec_b64 s[50:51], s[48:49]
	s_xor_b64 s[48:49], exec, s[50:51]
	s_cbranch_execnz .LBB245_445
; %bb.165:
	s_or_saveexec_b64 s[48:49], s[48:49]
	v_mov_b32_e32 v1, 0x7f800001
	s_xor_b64 exec, exec, s[48:49]
	s_cbranch_execnz .LBB245_448
.LBB245_166:
	s_or_b64 exec, exec, s[48:49]
	s_and_saveexec_b64 s[48:49], s[4:5]
	s_cbranch_execz .LBB245_168
.LBB245_167:
	v_bfe_u32 v1, v4, 24, 2
	v_ffbh_u32_e32 v5, v1
	v_min_u32_e32 v5, 32, v5
	v_subrev_u32_e32 v6, 29, v5
	v_bfe_u32 v3, v4, 26, 5
	v_lshlrev_b32_sdwa v6, v6, v4 dst_sel:DWORD dst_unused:UNUSED_PAD src0_sel:DWORD src1_sel:BYTE_3
	v_sub_u32_e32 v5, 30, v5
	v_and_b32_e32 v6, 3, v6
	v_cmp_eq_u32_e32 vcc, 0, v3
	v_cndmask_b32_e32 v3, v3, v5, vcc
	v_cndmask_b32_e32 v1, v1, v6, vcc
	v_mov_b32_e32 v6, 0x37800000
	v_lshlrev_b32_e32 v1, 21, v1
	v_and_b32_e32 v5, 0x80000000, v4
	v_lshl_add_u32 v3, v3, 23, v6
	v_or3_b32 v1, v5, v3, v1
.LBB245_168:
	s_or_b64 exec, exec, s[48:49]
	s_movk_i32 s4, 0x7f
	v_cmp_gt_i16_sdwa s[48:49], v2, s4 src0_sel:BYTE_3 src1_sel:DWORD
	s_mov_b64 s[4:5], 0
	s_and_saveexec_b64 s[50:51], s[48:49]
	s_xor_b64 s[48:49], exec, s[50:51]
	s_cbranch_execnz .LBB245_449
; %bb.169:
	s_or_saveexec_b64 s[48:49], s[48:49]
	v_mov_b32_e32 v3, 0x7f800001
	s_xor_b64 exec, exec, s[48:49]
	s_cbranch_execnz .LBB245_452
.LBB245_170:
	s_or_b64 exec, exec, s[48:49]
	s_and_saveexec_b64 s[48:49], s[4:5]
	s_cbranch_execz .LBB245_172
.LBB245_171:
	v_bfe_u32 v3, v2, 24, 2
	v_ffbh_u32_e32 v6, v3
	v_min_u32_e32 v6, 32, v6
	v_subrev_u32_e32 v7, 29, v6
	v_bfe_u32 v5, v2, 26, 5
	v_lshlrev_b32_sdwa v7, v7, v2 dst_sel:DWORD dst_unused:UNUSED_PAD src0_sel:DWORD src1_sel:BYTE_3
	v_sub_u32_e32 v6, 30, v6
	v_and_b32_e32 v7, 3, v7
	v_cmp_eq_u32_e32 vcc, 0, v5
	v_cndmask_b32_e32 v5, v5, v6, vcc
	v_cndmask_b32_e32 v3, v3, v7, vcc
	v_mov_b32_e32 v7, 0x37800000
	v_lshlrev_b32_e32 v3, 21, v3
	v_and_b32_e32 v6, 0x80000000, v2
	v_lshl_add_u32 v5, v5, 23, v7
	v_or3_b32 v3, v6, v5, v3
.LBB245_172:
	s_or_b64 exec, exec, s[48:49]
	v_cmp_neq_f32_e64 s[4:5], v1, v3
	s_branch .LBB245_323
.LBB245_173:
                                        ; implicit-def: $sgpr18_sgpr19
	s_cbranch_execz .LBB245_33
; %bb.174:
	s_movk_i32 s18, 0x7f
	v_cmp_gt_i16_sdwa s[20:21], v11, s18 src0_sel:BYTE_0 src1_sel:DWORD
	s_mov_b64 s[18:19], 0
	s_and_saveexec_b64 s[22:23], s[20:21]
	s_xor_b64 s[20:21], exec, s[22:23]
	s_cbranch_execnz .LBB245_461
; %bb.175:
	s_or_saveexec_b64 s[20:21], s[20:21]
	v_mov_b32_e32 v12, 0x7f800001
	s_xor_b64 exec, exec, s[20:21]
	s_cbranch_execnz .LBB245_464
.LBB245_176:
	s_or_b64 exec, exec, s[20:21]
	s_and_saveexec_b64 s[20:21], s[18:19]
	s_cbranch_execz .LBB245_178
.LBB245_177:
	v_bfe_u32 v12, v7, 8, 2
	v_ffbh_u32_e32 v14, v12
	v_min_u32_e32 v14, 32, v14
	v_subrev_u32_e32 v15, 29, v14
	v_bfe_u32 v13, v7, 10, 5
	v_lshlrev_b32_e32 v15, v15, v11
	v_sub_u32_e32 v14, 30, v14
	v_and_b32_e32 v15, 3, v15
	v_cmp_eq_u32_e32 vcc, 0, v13
	v_cndmask_b32_e32 v13, v13, v14, vcc
	v_cndmask_b32_e32 v12, v12, v15, vcc
	v_lshlrev_b32_e32 v11, 24, v11
	v_mov_b32_e32 v14, 0x37800000
	v_lshlrev_b32_e32 v12, 21, v12
	v_and_b32_e32 v11, 0x80000000, v11
	v_lshl_add_u32 v13, v13, 23, v14
	v_or3_b32 v12, v11, v13, v12
.LBB245_178:
	s_or_b64 exec, exec, s[20:21]
	s_movk_i32 s18, 0x7f
	v_cmp_gt_i16_sdwa s[20:21], v10, s18 src0_sel:BYTE_0 src1_sel:DWORD
	s_mov_b64 s[18:19], 0
	s_and_saveexec_b64 s[22:23], s[20:21]
	s_xor_b64 s[20:21], exec, s[22:23]
	s_cbranch_execnz .LBB245_465
; %bb.179:
	s_or_saveexec_b64 s[20:21], s[20:21]
	v_mov_b32_e32 v11, 0x7f800001
	s_xor_b64 exec, exec, s[20:21]
	s_cbranch_execnz .LBB245_468
.LBB245_180:
	s_or_b64 exec, exec, s[20:21]
	s_and_saveexec_b64 s[20:21], s[18:19]
	s_cbranch_execz .LBB245_182
.LBB245_181:
	v_bfe_u32 v11, v5, 8, 2
	v_ffbh_u32_e32 v14, v11
	v_min_u32_e32 v14, 32, v14
	v_subrev_u32_e32 v15, 29, v14
	v_bfe_u32 v13, v5, 10, 5
	v_lshlrev_b32_e32 v15, v15, v10
	v_sub_u32_e32 v14, 30, v14
	v_and_b32_e32 v15, 3, v15
	v_cmp_eq_u32_e32 vcc, 0, v13
	v_cndmask_b32_e32 v13, v13, v14, vcc
	v_cndmask_b32_e32 v11, v11, v15, vcc
	v_lshlrev_b32_e32 v10, 24, v10
	v_mov_b32_e32 v14, 0x37800000
	v_lshlrev_b32_e32 v11, 21, v11
	v_and_b32_e32 v10, 0x80000000, v10
	v_lshl_add_u32 v13, v13, 23, v14
	v_or3_b32 v11, v10, v13, v11
.LBB245_182:
	s_or_b64 exec, exec, s[20:21]
	v_cmp_eq_f32_e64 s[18:19], v12, v11
	s_and_b64 vcc, exec, s[4:5]
	s_cbranch_vccz .LBB245_34
.LBB245_183:
                                        ; implicit-def: $sgpr20_sgpr21
	s_cbranch_execz .LBB245_43
; %bb.184:
	s_movk_i32 s20, 0xff
	v_and_b32_sdwa v11, v7, s20 dst_sel:DWORD dst_unused:UNUSED_PAD src0_sel:WORD_1 src1_sel:DWORD
	s_movk_i32 s20, 0x7f
	v_cmp_lt_i16_e32 vcc, s20, v11
	s_mov_b64 s[20:21], 0
	s_and_saveexec_b64 s[22:23], vcc
	s_xor_b64 s[22:23], exec, s[22:23]
	s_cbranch_execnz .LBB245_469
; %bb.185:
	s_or_saveexec_b64 s[22:23], s[22:23]
	v_mov_b32_e32 v10, 0x7f800001
	s_xor_b64 exec, exec, s[22:23]
	s_cbranch_execnz .LBB245_472
.LBB245_186:
	s_or_b64 exec, exec, s[22:23]
	s_and_saveexec_b64 s[22:23], s[20:21]
	s_cbranch_execz .LBB245_188
.LBB245_187:
	v_bfe_u32 v10, v7, 16, 2
	v_ffbh_u32_e32 v12, v10
	v_min_u32_e32 v12, 32, v12
	v_bfe_u32 v11, v7, 18, 5
	v_subrev_u32_e32 v13, 29, v12
	v_lshlrev_b32_sdwa v13, v13, v7 dst_sel:DWORD dst_unused:UNUSED_PAD src0_sel:DWORD src1_sel:WORD_1
	v_sub_u32_e32 v12, 30, v12
	v_cmp_eq_u32_e32 vcc, 0, v11
	v_and_b32_e32 v13, 3, v13
	v_cndmask_b32_e32 v11, v11, v12, vcc
	v_mov_b32_e32 v12, 24
	v_cndmask_b32_e32 v10, v10, v13, vcc
	v_lshlrev_b32_sdwa v12, v12, v7 dst_sel:DWORD dst_unused:UNUSED_PAD src0_sel:DWORD src1_sel:WORD_1
	v_mov_b32_e32 v13, 0x37800000
	v_lshlrev_b32_e32 v10, 21, v10
	v_and_b32_e32 v12, 0x80000000, v12
	v_lshl_add_u32 v11, v11, 23, v13
	v_or3_b32 v10, v12, v11, v10
.LBB245_188:
	s_or_b64 exec, exec, s[22:23]
	s_movk_i32 s20, 0xff
	v_and_b32_sdwa v11, v5, s20 dst_sel:DWORD dst_unused:UNUSED_PAD src0_sel:WORD_1 src1_sel:DWORD
	s_movk_i32 s20, 0x7f
	v_cmp_lt_i16_e32 vcc, s20, v11
	s_mov_b64 s[20:21], 0
	s_and_saveexec_b64 s[22:23], vcc
	s_xor_b64 s[22:23], exec, s[22:23]
	s_cbranch_execnz .LBB245_473
; %bb.189:
	s_or_saveexec_b64 s[22:23], s[22:23]
	v_mov_b32_e32 v12, 0x7f800001
	s_xor_b64 exec, exec, s[22:23]
	s_cbranch_execnz .LBB245_476
.LBB245_190:
	s_or_b64 exec, exec, s[22:23]
	s_and_saveexec_b64 s[22:23], s[20:21]
	s_cbranch_execz .LBB245_192
.LBB245_191:
	v_bfe_u32 v11, v5, 16, 2
	v_ffbh_u32_e32 v13, v11
	v_min_u32_e32 v13, 32, v13
	v_bfe_u32 v12, v5, 18, 5
	v_subrev_u32_e32 v14, 29, v13
	v_lshlrev_b32_sdwa v14, v14, v5 dst_sel:DWORD dst_unused:UNUSED_PAD src0_sel:DWORD src1_sel:WORD_1
	v_sub_u32_e32 v13, 30, v13
	v_cmp_eq_u32_e32 vcc, 0, v12
	v_and_b32_e32 v14, 3, v14
	v_cndmask_b32_e32 v12, v12, v13, vcc
	v_mov_b32_e32 v13, 24
	v_cndmask_b32_e32 v11, v11, v14, vcc
	v_lshlrev_b32_sdwa v13, v13, v5 dst_sel:DWORD dst_unused:UNUSED_PAD src0_sel:DWORD src1_sel:WORD_1
	v_mov_b32_e32 v14, 0x37800000
	v_lshlrev_b32_e32 v11, 21, v11
	v_and_b32_e32 v13, 0x80000000, v13
	v_lshl_add_u32 v12, v12, 23, v14
	v_or3_b32 v12, v13, v12, v11
.LBB245_192:
	s_or_b64 exec, exec, s[22:23]
	v_cmp_eq_f32_e64 s[20:21], v10, v12
	s_and_b64 vcc, exec, s[4:5]
	s_cbranch_vccz .LBB245_44
.LBB245_193:
                                        ; implicit-def: $sgpr22_sgpr23
	s_cbranch_execz .LBB245_53
; %bb.194:
	s_movk_i32 s22, 0x7f
	v_cmp_gt_i16_sdwa s[24:25], v7, s22 src0_sel:BYTE_3 src1_sel:DWORD
	s_mov_b64 s[22:23], 0
	s_and_saveexec_b64 s[26:27], s[24:25]
	s_xor_b64 s[24:25], exec, s[26:27]
	s_cbranch_execnz .LBB245_477
; %bb.195:
	s_or_saveexec_b64 s[24:25], s[24:25]
	v_mov_b32_e32 v10, 0x7f800001
	s_xor_b64 exec, exec, s[24:25]
	s_cbranch_execnz .LBB245_480
.LBB245_196:
	s_or_b64 exec, exec, s[24:25]
	s_and_saveexec_b64 s[24:25], s[22:23]
	s_cbranch_execz .LBB245_198
.LBB245_197:
	v_bfe_u32 v10, v7, 24, 2
	v_ffbh_u32_e32 v12, v10
	v_min_u32_e32 v12, 32, v12
	v_subrev_u32_e32 v13, 29, v12
	v_bfe_u32 v11, v7, 26, 5
	v_lshlrev_b32_sdwa v13, v13, v7 dst_sel:DWORD dst_unused:UNUSED_PAD src0_sel:DWORD src1_sel:BYTE_3
	v_sub_u32_e32 v12, 30, v12
	v_and_b32_e32 v13, 3, v13
	v_cmp_eq_u32_e32 vcc, 0, v11
	v_cndmask_b32_e32 v11, v11, v12, vcc
	v_cndmask_b32_e32 v10, v10, v13, vcc
	v_mov_b32_e32 v12, 0x37800000
	v_lshlrev_b32_e32 v10, 21, v10
	v_and_b32_e32 v7, 0x80000000, v7
	v_lshl_add_u32 v11, v11, 23, v12
	v_or3_b32 v10, v7, v11, v10
.LBB245_198:
	s_or_b64 exec, exec, s[24:25]
	s_movk_i32 s22, 0x7f
	v_cmp_gt_i16_sdwa s[24:25], v5, s22 src0_sel:BYTE_3 src1_sel:DWORD
	s_mov_b64 s[22:23], 0
	s_and_saveexec_b64 s[26:27], s[24:25]
	s_xor_b64 s[24:25], exec, s[26:27]
	s_cbranch_execnz .LBB245_481
; %bb.199:
	s_or_saveexec_b64 s[24:25], s[24:25]
	v_mov_b32_e32 v7, 0x7f800001
	s_xor_b64 exec, exec, s[24:25]
	s_cbranch_execnz .LBB245_484
.LBB245_200:
	s_or_b64 exec, exec, s[24:25]
	s_and_saveexec_b64 s[24:25], s[22:23]
	s_cbranch_execz .LBB245_202
.LBB245_201:
	v_bfe_u32 v7, v5, 24, 2
	v_ffbh_u32_e32 v12, v7
	v_min_u32_e32 v12, 32, v12
	v_subrev_u32_e32 v13, 29, v12
	v_bfe_u32 v11, v5, 26, 5
	v_lshlrev_b32_sdwa v13, v13, v5 dst_sel:DWORD dst_unused:UNUSED_PAD src0_sel:DWORD src1_sel:BYTE_3
	v_sub_u32_e32 v12, 30, v12
	v_and_b32_e32 v13, 3, v13
	v_cmp_eq_u32_e32 vcc, 0, v11
	v_cndmask_b32_e32 v11, v11, v12, vcc
	v_cndmask_b32_e32 v7, v7, v13, vcc
	v_mov_b32_e32 v12, 0x37800000
	v_lshlrev_b32_e32 v7, 21, v7
	v_and_b32_e32 v5, 0x80000000, v5
	v_lshl_add_u32 v11, v11, 23, v12
	v_or3_b32 v7, v5, v11, v7
.LBB245_202:
	s_or_b64 exec, exec, s[24:25]
	v_cmp_eq_f32_e64 s[22:23], v10, v7
	s_and_b64 vcc, exec, s[4:5]
	s_cbranch_vccz .LBB245_54
.LBB245_203:
                                        ; implicit-def: $sgpr24_sgpr25
	s_cbranch_execz .LBB245_63
; %bb.204:
	s_movk_i32 s24, 0x7f
	v_cmp_gt_i16_sdwa s[26:27], v8, s24 src0_sel:BYTE_0 src1_sel:DWORD
	s_mov_b64 s[24:25], 0
	s_and_saveexec_b64 s[28:29], s[26:27]
	s_xor_b64 s[26:27], exec, s[28:29]
	s_cbranch_execnz .LBB245_485
; %bb.205:
	s_or_saveexec_b64 s[26:27], s[26:27]
	v_mov_b32_e32 v5, 0x7f800001
	s_xor_b64 exec, exec, s[26:27]
	s_cbranch_execnz .LBB245_488
.LBB245_206:
	s_or_b64 exec, exec, s[26:27]
	s_and_saveexec_b64 s[26:27], s[24:25]
	s_cbranch_execz .LBB245_208
.LBB245_207:
	v_and_b32_e32 v5, 3, v8
	v_ffbh_u32_e32 v10, v5
	v_min_u32_e32 v10, 32, v10
	v_subrev_u32_e32 v11, 29, v10
	v_bfe_u32 v7, v8, 2, 5
	v_lshlrev_b32_e32 v11, v11, v8
	v_sub_u32_e32 v10, 30, v10
	v_and_b32_e32 v11, 3, v11
	v_cmp_eq_u32_e32 vcc, 0, v7
	v_cndmask_b32_e32 v7, v7, v10, vcc
	v_cndmask_b32_e32 v5, v5, v11, vcc
	v_lshlrev_b32_e32 v10, 24, v8
	v_mov_b32_e32 v11, 0x37800000
	v_lshlrev_b32_e32 v5, 21, v5
	v_and_b32_e32 v10, 0x80000000, v10
	v_lshl_add_u32 v7, v7, 23, v11
	v_or3_b32 v5, v10, v7, v5
.LBB245_208:
	s_or_b64 exec, exec, s[26:27]
	s_movk_i32 s24, 0x7f
	v_cmp_gt_i16_sdwa s[26:27], v6, s24 src0_sel:BYTE_0 src1_sel:DWORD
	s_mov_b64 s[24:25], 0
	s_and_saveexec_b64 s[28:29], s[26:27]
	s_xor_b64 s[26:27], exec, s[28:29]
	s_cbranch_execnz .LBB245_489
; %bb.209:
	s_or_saveexec_b64 s[26:27], s[26:27]
	v_mov_b32_e32 v7, 0x7f800001
	s_xor_b64 exec, exec, s[26:27]
	s_cbranch_execnz .LBB245_492
.LBB245_210:
	s_or_b64 exec, exec, s[26:27]
	s_and_saveexec_b64 s[26:27], s[24:25]
	s_cbranch_execz .LBB245_212
.LBB245_211:
	v_and_b32_e32 v7, 3, v6
	v_ffbh_u32_e32 v11, v7
	v_min_u32_e32 v11, 32, v11
	v_subrev_u32_e32 v12, 29, v11
	v_bfe_u32 v10, v6, 2, 5
	v_lshlrev_b32_e32 v12, v12, v6
	v_sub_u32_e32 v11, 30, v11
	v_and_b32_e32 v12, 3, v12
	v_cmp_eq_u32_e32 vcc, 0, v10
	v_cndmask_b32_e32 v10, v10, v11, vcc
	v_cndmask_b32_e32 v7, v7, v12, vcc
	v_lshlrev_b32_e32 v11, 24, v6
	v_mov_b32_e32 v12, 0x37800000
	v_lshlrev_b32_e32 v7, 21, v7
	v_and_b32_e32 v11, 0x80000000, v11
	v_lshl_add_u32 v10, v10, 23, v12
	v_or3_b32 v7, v11, v10, v7
.LBB245_212:
	s_or_b64 exec, exec, s[26:27]
	v_cmp_eq_f32_e64 s[24:25], v5, v7
	v_lshrrev_b32_e32 v7, 8, v8
	s_and_b64 vcc, exec, s[4:5]
	v_lshrrev_b32_e32 v5, 8, v6
	s_cbranch_vccz .LBB245_64
.LBB245_213:
                                        ; implicit-def: $sgpr26_sgpr27
	s_cbranch_execz .LBB245_73
; %bb.214:
	s_movk_i32 s26, 0x7f
	v_cmp_gt_i16_sdwa s[28:29], v7, s26 src0_sel:BYTE_0 src1_sel:DWORD
	s_mov_b64 s[26:27], 0
	s_and_saveexec_b64 s[30:31], s[28:29]
	s_xor_b64 s[28:29], exec, s[30:31]
	s_cbranch_execnz .LBB245_493
; %bb.215:
	s_or_saveexec_b64 s[28:29], s[28:29]
	v_mov_b32_e32 v10, 0x7f800001
	s_xor_b64 exec, exec, s[28:29]
	s_cbranch_execnz .LBB245_496
.LBB245_216:
	s_or_b64 exec, exec, s[28:29]
	s_and_saveexec_b64 s[28:29], s[26:27]
	s_cbranch_execz .LBB245_218
.LBB245_217:
	v_bfe_u32 v10, v8, 8, 2
	v_ffbh_u32_e32 v12, v10
	v_min_u32_e32 v12, 32, v12
	v_subrev_u32_e32 v13, 29, v12
	v_bfe_u32 v11, v8, 10, 5
	v_lshlrev_b32_e32 v13, v13, v7
	v_sub_u32_e32 v12, 30, v12
	v_and_b32_e32 v13, 3, v13
	v_cmp_eq_u32_e32 vcc, 0, v11
	v_cndmask_b32_e32 v11, v11, v12, vcc
	v_cndmask_b32_e32 v10, v10, v13, vcc
	v_lshlrev_b32_e32 v7, 24, v7
	v_mov_b32_e32 v12, 0x37800000
	v_lshlrev_b32_e32 v10, 21, v10
	v_and_b32_e32 v7, 0x80000000, v7
	v_lshl_add_u32 v11, v11, 23, v12
	v_or3_b32 v10, v7, v11, v10
.LBB245_218:
	s_or_b64 exec, exec, s[28:29]
	s_movk_i32 s26, 0x7f
	v_cmp_gt_i16_sdwa s[28:29], v5, s26 src0_sel:BYTE_0 src1_sel:DWORD
	s_mov_b64 s[26:27], 0
	s_and_saveexec_b64 s[30:31], s[28:29]
	s_xor_b64 s[28:29], exec, s[30:31]
	s_cbranch_execnz .LBB245_497
; %bb.219:
	s_or_saveexec_b64 s[28:29], s[28:29]
	v_mov_b32_e32 v7, 0x7f800001
	s_xor_b64 exec, exec, s[28:29]
	s_cbranch_execnz .LBB245_500
.LBB245_220:
	s_or_b64 exec, exec, s[28:29]
	s_and_saveexec_b64 s[28:29], s[26:27]
	s_cbranch_execz .LBB245_222
.LBB245_221:
	v_bfe_u32 v7, v6, 8, 2
	v_ffbh_u32_e32 v12, v7
	v_min_u32_e32 v12, 32, v12
	v_subrev_u32_e32 v13, 29, v12
	v_bfe_u32 v11, v6, 10, 5
	v_lshlrev_b32_e32 v13, v13, v5
	v_sub_u32_e32 v12, 30, v12
	v_and_b32_e32 v13, 3, v13
	v_cmp_eq_u32_e32 vcc, 0, v11
	v_cndmask_b32_e32 v11, v11, v12, vcc
	v_cndmask_b32_e32 v7, v7, v13, vcc
	v_lshlrev_b32_e32 v5, 24, v5
	v_mov_b32_e32 v12, 0x37800000
	v_lshlrev_b32_e32 v7, 21, v7
	v_and_b32_e32 v5, 0x80000000, v5
	v_lshl_add_u32 v11, v11, 23, v12
	v_or3_b32 v7, v5, v11, v7
.LBB245_222:
	s_or_b64 exec, exec, s[28:29]
	v_cmp_eq_f32_e64 s[26:27], v10, v7
	s_and_b64 vcc, exec, s[4:5]
	s_cbranch_vccz .LBB245_74
.LBB245_223:
                                        ; implicit-def: $sgpr28_sgpr29
	s_cbranch_execz .LBB245_83
; %bb.224:
	s_movk_i32 s28, 0xff
	v_and_b32_sdwa v7, v8, s28 dst_sel:DWORD dst_unused:UNUSED_PAD src0_sel:WORD_1 src1_sel:DWORD
	s_movk_i32 s28, 0x7f
	v_cmp_lt_i16_e32 vcc, s28, v7
	s_mov_b64 s[28:29], 0
	s_and_saveexec_b64 s[30:31], vcc
	s_xor_b64 s[30:31], exec, s[30:31]
	s_cbranch_execnz .LBB245_501
; %bb.225:
	s_or_saveexec_b64 s[30:31], s[30:31]
	v_mov_b32_e32 v5, 0x7f800001
	s_xor_b64 exec, exec, s[30:31]
	s_cbranch_execnz .LBB245_504
.LBB245_226:
	s_or_b64 exec, exec, s[30:31]
	s_and_saveexec_b64 s[30:31], s[28:29]
	s_cbranch_execz .LBB245_228
.LBB245_227:
	v_bfe_u32 v5, v8, 16, 2
	v_ffbh_u32_e32 v10, v5
	v_min_u32_e32 v10, 32, v10
	v_bfe_u32 v7, v8, 18, 5
	v_subrev_u32_e32 v11, 29, v10
	v_lshlrev_b32_sdwa v11, v11, v8 dst_sel:DWORD dst_unused:UNUSED_PAD src0_sel:DWORD src1_sel:WORD_1
	v_sub_u32_e32 v10, 30, v10
	v_cmp_eq_u32_e32 vcc, 0, v7
	v_and_b32_e32 v11, 3, v11
	v_cndmask_b32_e32 v7, v7, v10, vcc
	v_mov_b32_e32 v10, 24
	v_cndmask_b32_e32 v5, v5, v11, vcc
	v_lshlrev_b32_sdwa v10, v10, v8 dst_sel:DWORD dst_unused:UNUSED_PAD src0_sel:DWORD src1_sel:WORD_1
	v_mov_b32_e32 v11, 0x37800000
	v_lshlrev_b32_e32 v5, 21, v5
	v_and_b32_e32 v10, 0x80000000, v10
	v_lshl_add_u32 v7, v7, 23, v11
	v_or3_b32 v5, v10, v7, v5
.LBB245_228:
	s_or_b64 exec, exec, s[30:31]
	s_movk_i32 s28, 0xff
	v_and_b32_sdwa v7, v6, s28 dst_sel:DWORD dst_unused:UNUSED_PAD src0_sel:WORD_1 src1_sel:DWORD
	s_movk_i32 s28, 0x7f
	v_cmp_lt_i16_e32 vcc, s28, v7
	s_mov_b64 s[28:29], 0
	s_and_saveexec_b64 s[30:31], vcc
	s_xor_b64 s[30:31], exec, s[30:31]
	s_cbranch_execnz .LBB245_505
; %bb.229:
	s_or_saveexec_b64 s[30:31], s[30:31]
	v_mov_b32_e32 v10, 0x7f800001
	s_xor_b64 exec, exec, s[30:31]
	s_cbranch_execnz .LBB245_508
.LBB245_230:
	s_or_b64 exec, exec, s[30:31]
	s_and_saveexec_b64 s[30:31], s[28:29]
	s_cbranch_execz .LBB245_232
.LBB245_231:
	v_bfe_u32 v7, v6, 16, 2
	v_ffbh_u32_e32 v11, v7
	v_min_u32_e32 v11, 32, v11
	v_bfe_u32 v10, v6, 18, 5
	v_subrev_u32_e32 v12, 29, v11
	v_lshlrev_b32_sdwa v12, v12, v6 dst_sel:DWORD dst_unused:UNUSED_PAD src0_sel:DWORD src1_sel:WORD_1
	v_sub_u32_e32 v11, 30, v11
	v_cmp_eq_u32_e32 vcc, 0, v10
	v_and_b32_e32 v12, 3, v12
	v_cndmask_b32_e32 v10, v10, v11, vcc
	v_mov_b32_e32 v11, 24
	v_cndmask_b32_e32 v7, v7, v12, vcc
	v_lshlrev_b32_sdwa v11, v11, v6 dst_sel:DWORD dst_unused:UNUSED_PAD src0_sel:DWORD src1_sel:WORD_1
	v_mov_b32_e32 v12, 0x37800000
	v_lshlrev_b32_e32 v7, 21, v7
	v_and_b32_e32 v11, 0x80000000, v11
	v_lshl_add_u32 v10, v10, 23, v12
	v_or3_b32 v10, v11, v10, v7
.LBB245_232:
	s_or_b64 exec, exec, s[30:31]
	v_cmp_eq_f32_e64 s[28:29], v5, v10
	s_and_b64 vcc, exec, s[4:5]
	s_cbranch_vccz .LBB245_84
.LBB245_233:
                                        ; implicit-def: $sgpr30_sgpr31
	s_cbranch_execz .LBB245_93
; %bb.234:
	s_movk_i32 s30, 0x7f
	v_cmp_gt_i16_sdwa s[34:35], v8, s30 src0_sel:BYTE_3 src1_sel:DWORD
	s_mov_b64 s[30:31], 0
	s_and_saveexec_b64 s[36:37], s[34:35]
	s_xor_b64 s[34:35], exec, s[36:37]
	s_cbranch_execnz .LBB245_509
; %bb.235:
	s_or_saveexec_b64 s[34:35], s[34:35]
	v_mov_b32_e32 v5, 0x7f800001
	s_xor_b64 exec, exec, s[34:35]
	s_cbranch_execnz .LBB245_512
.LBB245_236:
	s_or_b64 exec, exec, s[34:35]
	s_and_saveexec_b64 s[34:35], s[30:31]
	s_cbranch_execz .LBB245_238
.LBB245_237:
	v_bfe_u32 v5, v8, 24, 2
	v_ffbh_u32_e32 v10, v5
	v_min_u32_e32 v10, 32, v10
	v_subrev_u32_e32 v11, 29, v10
	v_bfe_u32 v7, v8, 26, 5
	v_lshlrev_b32_sdwa v11, v11, v8 dst_sel:DWORD dst_unused:UNUSED_PAD src0_sel:DWORD src1_sel:BYTE_3
	v_sub_u32_e32 v10, 30, v10
	v_and_b32_e32 v11, 3, v11
	v_cmp_eq_u32_e32 vcc, 0, v7
	v_cndmask_b32_e32 v7, v7, v10, vcc
	v_cndmask_b32_e32 v5, v5, v11, vcc
	v_mov_b32_e32 v10, 0x37800000
	v_lshlrev_b32_e32 v5, 21, v5
	v_and_b32_e32 v8, 0x80000000, v8
	v_lshl_add_u32 v7, v7, 23, v10
	v_or3_b32 v5, v8, v7, v5
.LBB245_238:
	s_or_b64 exec, exec, s[34:35]
	s_movk_i32 s30, 0x7f
	v_cmp_gt_i16_sdwa s[34:35], v6, s30 src0_sel:BYTE_3 src1_sel:DWORD
	s_mov_b64 s[30:31], 0
	s_and_saveexec_b64 s[36:37], s[34:35]
	s_xor_b64 s[34:35], exec, s[36:37]
	s_cbranch_execnz .LBB245_513
; %bb.239:
	s_or_saveexec_b64 s[34:35], s[34:35]
	v_mov_b32_e32 v7, 0x7f800001
	s_xor_b64 exec, exec, s[34:35]
	s_cbranch_execnz .LBB245_516
.LBB245_240:
	s_or_b64 exec, exec, s[34:35]
	s_and_saveexec_b64 s[34:35], s[30:31]
	s_cbranch_execz .LBB245_242
.LBB245_241:
	v_bfe_u32 v7, v6, 24, 2
	v_ffbh_u32_e32 v10, v7
	v_min_u32_e32 v10, 32, v10
	v_subrev_u32_e32 v11, 29, v10
	v_bfe_u32 v8, v6, 26, 5
	v_lshlrev_b32_sdwa v11, v11, v6 dst_sel:DWORD dst_unused:UNUSED_PAD src0_sel:DWORD src1_sel:BYTE_3
	v_sub_u32_e32 v10, 30, v10
	v_and_b32_e32 v11, 3, v11
	v_cmp_eq_u32_e32 vcc, 0, v8
	v_cndmask_b32_e32 v8, v8, v10, vcc
	v_cndmask_b32_e32 v7, v7, v11, vcc
	v_mov_b32_e32 v10, 0x37800000
	v_lshlrev_b32_e32 v7, 21, v7
	v_and_b32_e32 v6, 0x80000000, v6
	v_lshl_add_u32 v8, v8, 23, v10
	v_or3_b32 v7, v6, v8, v7
.LBB245_242:
	s_or_b64 exec, exec, s[34:35]
	v_cmp_eq_f32_e64 s[30:31], v5, v7
	s_and_b64 vcc, exec, s[4:5]
	s_cbranch_vccz .LBB245_94
.LBB245_243:
                                        ; implicit-def: $sgpr34_sgpr35
	s_cbranch_execz .LBB245_103
; %bb.244:
	s_movk_i32 s34, 0x7f
	v_cmp_gt_i16_sdwa s[36:37], v3, s34 src0_sel:BYTE_0 src1_sel:DWORD
	s_mov_b64 s[34:35], 0
	s_and_saveexec_b64 s[38:39], s[36:37]
	s_xor_b64 s[36:37], exec, s[38:39]
	s_cbranch_execnz .LBB245_517
; %bb.245:
	s_or_saveexec_b64 s[36:37], s[36:37]
	v_mov_b32_e32 v5, 0x7f800001
	s_xor_b64 exec, exec, s[36:37]
	s_cbranch_execnz .LBB245_520
.LBB245_246:
	s_or_b64 exec, exec, s[36:37]
	s_and_saveexec_b64 s[36:37], s[34:35]
	s_cbranch_execz .LBB245_248
.LBB245_247:
	v_and_b32_e32 v5, 3, v3
	v_ffbh_u32_e32 v7, v5
	v_min_u32_e32 v7, 32, v7
	v_subrev_u32_e32 v8, 29, v7
	v_bfe_u32 v6, v3, 2, 5
	v_lshlrev_b32_e32 v8, v8, v3
	v_sub_u32_e32 v7, 30, v7
	v_and_b32_e32 v8, 3, v8
	v_cmp_eq_u32_e32 vcc, 0, v6
	v_cndmask_b32_e32 v6, v6, v7, vcc
	v_cndmask_b32_e32 v5, v5, v8, vcc
	v_lshlrev_b32_e32 v7, 24, v3
	v_mov_b32_e32 v8, 0x37800000
	v_lshlrev_b32_e32 v5, 21, v5
	v_and_b32_e32 v7, 0x80000000, v7
	v_lshl_add_u32 v6, v6, 23, v8
	v_or3_b32 v5, v7, v6, v5
.LBB245_248:
	s_or_b64 exec, exec, s[36:37]
	s_movk_i32 s34, 0x7f
	s_waitcnt vmcnt(0)
	v_cmp_gt_i16_sdwa s[36:37], v1, s34 src0_sel:BYTE_0 src1_sel:DWORD
	s_mov_b64 s[34:35], 0
	s_and_saveexec_b64 s[38:39], s[36:37]
	s_xor_b64 s[36:37], exec, s[38:39]
	s_cbranch_execnz .LBB245_521
; %bb.249:
	s_or_saveexec_b64 s[36:37], s[36:37]
	v_mov_b32_e32 v6, 0x7f800001
	s_xor_b64 exec, exec, s[36:37]
	s_cbranch_execnz .LBB245_524
.LBB245_250:
	s_or_b64 exec, exec, s[36:37]
	s_and_saveexec_b64 s[36:37], s[34:35]
	s_cbranch_execz .LBB245_252
.LBB245_251:
	v_and_b32_e32 v6, 3, v1
	v_ffbh_u32_e32 v8, v6
	v_min_u32_e32 v8, 32, v8
	v_subrev_u32_e32 v10, 29, v8
	v_bfe_u32 v7, v1, 2, 5
	v_lshlrev_b32_e32 v10, v10, v1
	v_sub_u32_e32 v8, 30, v8
	v_and_b32_e32 v10, 3, v10
	v_cmp_eq_u32_e32 vcc, 0, v7
	v_cndmask_b32_e32 v7, v7, v8, vcc
	v_cndmask_b32_e32 v6, v6, v10, vcc
	v_lshlrev_b32_e32 v8, 24, v1
	v_mov_b32_e32 v10, 0x37800000
	v_lshlrev_b32_e32 v6, 21, v6
	v_and_b32_e32 v8, 0x80000000, v8
	v_lshl_add_u32 v7, v7, 23, v10
	v_or3_b32 v6, v8, v7, v6
.LBB245_252:
	s_or_b64 exec, exec, s[36:37]
	v_cmp_eq_f32_e64 s[34:35], v5, v6
	v_lshrrev_b32_e32 v6, 8, v3
	s_and_b64 vcc, exec, s[4:5]
	v_lshrrev_b32_e32 v5, 8, v1
	s_cbranch_vccz .LBB245_104
.LBB245_253:
                                        ; implicit-def: $sgpr36_sgpr37
	s_cbranch_execz .LBB245_113
; %bb.254:
	s_movk_i32 s36, 0x7f
	v_cmp_gt_i16_sdwa s[38:39], v6, s36 src0_sel:BYTE_0 src1_sel:DWORD
	s_mov_b64 s[36:37], 0
	s_and_saveexec_b64 s[40:41], s[38:39]
	s_xor_b64 s[38:39], exec, s[40:41]
	s_cbranch_execnz .LBB245_525
; %bb.255:
	s_or_saveexec_b64 s[38:39], s[38:39]
	v_mov_b32_e32 v7, 0x7f800001
	s_xor_b64 exec, exec, s[38:39]
	s_cbranch_execnz .LBB245_528
.LBB245_256:
	s_or_b64 exec, exec, s[38:39]
	s_and_saveexec_b64 s[38:39], s[36:37]
	s_cbranch_execz .LBB245_258
.LBB245_257:
	v_bfe_u32 v7, v3, 8, 2
	v_ffbh_u32_e32 v10, v7
	v_min_u32_e32 v10, 32, v10
	v_subrev_u32_e32 v11, 29, v10
	v_bfe_u32 v8, v3, 10, 5
	v_lshlrev_b32_e32 v11, v11, v6
	v_sub_u32_e32 v10, 30, v10
	v_and_b32_e32 v11, 3, v11
	v_cmp_eq_u32_e32 vcc, 0, v8
	v_cndmask_b32_e32 v8, v8, v10, vcc
	v_cndmask_b32_e32 v7, v7, v11, vcc
	v_lshlrev_b32_e32 v6, 24, v6
	v_mov_b32_e32 v10, 0x37800000
	v_lshlrev_b32_e32 v7, 21, v7
	v_and_b32_e32 v6, 0x80000000, v6
	v_lshl_add_u32 v8, v8, 23, v10
	v_or3_b32 v7, v6, v8, v7
.LBB245_258:
	s_or_b64 exec, exec, s[38:39]
	s_movk_i32 s36, 0x7f
	v_cmp_gt_i16_sdwa s[38:39], v5, s36 src0_sel:BYTE_0 src1_sel:DWORD
	s_mov_b64 s[36:37], 0
	s_and_saveexec_b64 s[40:41], s[38:39]
	s_xor_b64 s[38:39], exec, s[40:41]
	s_cbranch_execnz .LBB245_529
; %bb.259:
	s_or_saveexec_b64 s[38:39], s[38:39]
	v_mov_b32_e32 v6, 0x7f800001
	s_xor_b64 exec, exec, s[38:39]
	s_cbranch_execnz .LBB245_532
.LBB245_260:
	s_or_b64 exec, exec, s[38:39]
	s_and_saveexec_b64 s[38:39], s[36:37]
	s_cbranch_execz .LBB245_262
.LBB245_261:
	v_bfe_u32 v6, v1, 8, 2
	v_ffbh_u32_e32 v10, v6
	v_min_u32_e32 v10, 32, v10
	v_subrev_u32_e32 v11, 29, v10
	v_bfe_u32 v8, v1, 10, 5
	v_lshlrev_b32_e32 v11, v11, v5
	v_sub_u32_e32 v10, 30, v10
	v_and_b32_e32 v11, 3, v11
	v_cmp_eq_u32_e32 vcc, 0, v8
	v_cndmask_b32_e32 v8, v8, v10, vcc
	v_cndmask_b32_e32 v6, v6, v11, vcc
	v_lshlrev_b32_e32 v5, 24, v5
	v_mov_b32_e32 v10, 0x37800000
	v_lshlrev_b32_e32 v6, 21, v6
	v_and_b32_e32 v5, 0x80000000, v5
	v_lshl_add_u32 v8, v8, 23, v10
	v_or3_b32 v6, v5, v8, v6
.LBB245_262:
	s_or_b64 exec, exec, s[38:39]
	v_cmp_eq_f32_e64 s[36:37], v7, v6
	s_and_b64 vcc, exec, s[4:5]
	s_cbranch_vccz .LBB245_114
.LBB245_263:
                                        ; implicit-def: $sgpr38_sgpr39
	s_cbranch_execz .LBB245_123
; %bb.264:
	s_movk_i32 s38, 0xff
	v_and_b32_sdwa v6, v3, s38 dst_sel:DWORD dst_unused:UNUSED_PAD src0_sel:WORD_1 src1_sel:DWORD
	s_movk_i32 s38, 0x7f
	v_cmp_lt_i16_e32 vcc, s38, v6
	s_mov_b64 s[38:39], 0
	s_and_saveexec_b64 s[40:41], vcc
	s_xor_b64 s[40:41], exec, s[40:41]
	s_cbranch_execnz .LBB245_533
; %bb.265:
	s_or_saveexec_b64 s[40:41], s[40:41]
	v_mov_b32_e32 v5, 0x7f800001
	s_xor_b64 exec, exec, s[40:41]
	s_cbranch_execnz .LBB245_536
.LBB245_266:
	s_or_b64 exec, exec, s[40:41]
	s_and_saveexec_b64 s[40:41], s[38:39]
	s_cbranch_execz .LBB245_268
.LBB245_267:
	v_bfe_u32 v5, v3, 16, 2
	v_ffbh_u32_e32 v7, v5
	v_min_u32_e32 v7, 32, v7
	v_bfe_u32 v6, v3, 18, 5
	v_subrev_u32_e32 v8, 29, v7
	v_lshlrev_b32_sdwa v8, v8, v3 dst_sel:DWORD dst_unused:UNUSED_PAD src0_sel:DWORD src1_sel:WORD_1
	v_sub_u32_e32 v7, 30, v7
	v_cmp_eq_u32_e32 vcc, 0, v6
	v_and_b32_e32 v8, 3, v8
	v_cndmask_b32_e32 v6, v6, v7, vcc
	v_mov_b32_e32 v7, 24
	v_cndmask_b32_e32 v5, v5, v8, vcc
	v_lshlrev_b32_sdwa v7, v7, v3 dst_sel:DWORD dst_unused:UNUSED_PAD src0_sel:DWORD src1_sel:WORD_1
	v_mov_b32_e32 v8, 0x37800000
	v_lshlrev_b32_e32 v5, 21, v5
	v_and_b32_e32 v7, 0x80000000, v7
	v_lshl_add_u32 v6, v6, 23, v8
	v_or3_b32 v5, v7, v6, v5
.LBB245_268:
	s_or_b64 exec, exec, s[40:41]
	s_movk_i32 s38, 0xff
	v_and_b32_sdwa v6, v1, s38 dst_sel:DWORD dst_unused:UNUSED_PAD src0_sel:WORD_1 src1_sel:DWORD
	s_movk_i32 s38, 0x7f
	v_cmp_lt_i16_e32 vcc, s38, v6
	s_mov_b64 s[38:39], 0
	s_and_saveexec_b64 s[40:41], vcc
	s_xor_b64 s[40:41], exec, s[40:41]
	s_cbranch_execnz .LBB245_537
; %bb.269:
	s_or_saveexec_b64 s[40:41], s[40:41]
	v_mov_b32_e32 v7, 0x7f800001
	s_xor_b64 exec, exec, s[40:41]
	s_cbranch_execnz .LBB245_540
.LBB245_270:
	s_or_b64 exec, exec, s[40:41]
	s_and_saveexec_b64 s[40:41], s[38:39]
	s_cbranch_execz .LBB245_272
.LBB245_271:
	v_bfe_u32 v6, v1, 16, 2
	v_ffbh_u32_e32 v8, v6
	v_min_u32_e32 v8, 32, v8
	v_bfe_u32 v7, v1, 18, 5
	v_subrev_u32_e32 v10, 29, v8
	v_lshlrev_b32_sdwa v10, v10, v1 dst_sel:DWORD dst_unused:UNUSED_PAD src0_sel:DWORD src1_sel:WORD_1
	v_sub_u32_e32 v8, 30, v8
	v_cmp_eq_u32_e32 vcc, 0, v7
	v_and_b32_e32 v10, 3, v10
	v_cndmask_b32_e32 v7, v7, v8, vcc
	v_mov_b32_e32 v8, 24
	v_cndmask_b32_e32 v6, v6, v10, vcc
	v_lshlrev_b32_sdwa v8, v8, v1 dst_sel:DWORD dst_unused:UNUSED_PAD src0_sel:DWORD src1_sel:WORD_1
	v_mov_b32_e32 v10, 0x37800000
	v_lshlrev_b32_e32 v6, 21, v6
	v_and_b32_e32 v8, 0x80000000, v8
	v_lshl_add_u32 v7, v7, 23, v10
	v_or3_b32 v7, v8, v7, v6
.LBB245_272:
	s_or_b64 exec, exec, s[40:41]
	v_cmp_eq_f32_e64 s[38:39], v5, v7
	s_and_b64 vcc, exec, s[4:5]
	s_cbranch_vccz .LBB245_124
.LBB245_273:
                                        ; implicit-def: $sgpr40_sgpr41
	s_cbranch_execz .LBB245_133
; %bb.274:
	s_movk_i32 s40, 0x7f
	v_cmp_gt_i16_sdwa s[42:43], v3, s40 src0_sel:BYTE_3 src1_sel:DWORD
	s_mov_b64 s[40:41], 0
	s_and_saveexec_b64 s[44:45], s[42:43]
	s_xor_b64 s[42:43], exec, s[44:45]
	s_cbranch_execnz .LBB245_541
; %bb.275:
	s_or_saveexec_b64 s[42:43], s[42:43]
	v_mov_b32_e32 v5, 0x7f800001
	s_xor_b64 exec, exec, s[42:43]
	s_cbranch_execnz .LBB245_544
.LBB245_276:
	s_or_b64 exec, exec, s[42:43]
	s_and_saveexec_b64 s[42:43], s[40:41]
	s_cbranch_execz .LBB245_278
.LBB245_277:
	v_bfe_u32 v5, v3, 24, 2
	v_ffbh_u32_e32 v7, v5
	v_min_u32_e32 v7, 32, v7
	v_subrev_u32_e32 v8, 29, v7
	v_bfe_u32 v6, v3, 26, 5
	v_lshlrev_b32_sdwa v8, v8, v3 dst_sel:DWORD dst_unused:UNUSED_PAD src0_sel:DWORD src1_sel:BYTE_3
	v_sub_u32_e32 v7, 30, v7
	v_and_b32_e32 v8, 3, v8
	v_cmp_eq_u32_e32 vcc, 0, v6
	v_cndmask_b32_e32 v6, v6, v7, vcc
	v_cndmask_b32_e32 v5, v5, v8, vcc
	v_mov_b32_e32 v7, 0x37800000
	v_lshlrev_b32_e32 v5, 21, v5
	v_and_b32_e32 v3, 0x80000000, v3
	v_lshl_add_u32 v6, v6, 23, v7
	v_or3_b32 v5, v3, v6, v5
.LBB245_278:
	s_or_b64 exec, exec, s[42:43]
	s_movk_i32 s40, 0x7f
	v_cmp_gt_i16_sdwa s[42:43], v1, s40 src0_sel:BYTE_3 src1_sel:DWORD
	s_mov_b64 s[40:41], 0
	s_and_saveexec_b64 s[44:45], s[42:43]
	s_xor_b64 s[42:43], exec, s[44:45]
	s_cbranch_execnz .LBB245_545
; %bb.279:
	s_or_saveexec_b64 s[42:43], s[42:43]
	v_mov_b32_e32 v3, 0x7f800001
	s_xor_b64 exec, exec, s[42:43]
	s_cbranch_execnz .LBB245_548
.LBB245_280:
	s_or_b64 exec, exec, s[42:43]
	s_and_saveexec_b64 s[42:43], s[40:41]
	s_cbranch_execz .LBB245_282
.LBB245_281:
	v_bfe_u32 v3, v1, 24, 2
	v_ffbh_u32_e32 v7, v3
	v_min_u32_e32 v7, 32, v7
	v_subrev_u32_e32 v8, 29, v7
	v_bfe_u32 v6, v1, 26, 5
	v_lshlrev_b32_sdwa v8, v8, v1 dst_sel:DWORD dst_unused:UNUSED_PAD src0_sel:DWORD src1_sel:BYTE_3
	v_sub_u32_e32 v7, 30, v7
	v_and_b32_e32 v8, 3, v8
	v_cmp_eq_u32_e32 vcc, 0, v6
	v_cndmask_b32_e32 v6, v6, v7, vcc
	v_cndmask_b32_e32 v3, v3, v8, vcc
	v_mov_b32_e32 v7, 0x37800000
	v_lshlrev_b32_e32 v3, 21, v3
	v_and_b32_e32 v1, 0x80000000, v1
	v_lshl_add_u32 v6, v6, 23, v7
	v_or3_b32 v3, v1, v6, v3
.LBB245_282:
	s_or_b64 exec, exec, s[42:43]
	v_cmp_eq_f32_e64 s[40:41], v5, v3
	s_and_b64 vcc, exec, s[4:5]
	s_cbranch_vccz .LBB245_134
.LBB245_283:
                                        ; implicit-def: $sgpr42_sgpr43
	s_cbranch_execz .LBB245_143
; %bb.284:
	s_movk_i32 s42, 0x7f
	v_cmp_gt_i16_sdwa s[44:45], v4, s42 src0_sel:BYTE_0 src1_sel:DWORD
	s_mov_b64 s[42:43], 0
	s_and_saveexec_b64 s[46:47], s[44:45]
	s_xor_b64 s[44:45], exec, s[46:47]
	s_cbranch_execnz .LBB245_549
; %bb.285:
	s_or_saveexec_b64 s[44:45], s[44:45]
	v_mov_b32_e32 v1, 0x7f800001
	s_xor_b64 exec, exec, s[44:45]
	s_cbranch_execnz .LBB245_552
.LBB245_286:
	s_or_b64 exec, exec, s[44:45]
	s_and_saveexec_b64 s[44:45], s[42:43]
	s_cbranch_execz .LBB245_288
.LBB245_287:
	v_and_b32_e32 v1, 3, v4
	v_ffbh_u32_e32 v5, v1
	v_min_u32_e32 v5, 32, v5
	v_subrev_u32_e32 v6, 29, v5
	v_bfe_u32 v3, v4, 2, 5
	v_lshlrev_b32_e32 v6, v6, v4
	v_sub_u32_e32 v5, 30, v5
	v_and_b32_e32 v6, 3, v6
	v_cmp_eq_u32_e32 vcc, 0, v3
	v_cndmask_b32_e32 v3, v3, v5, vcc
	v_cndmask_b32_e32 v1, v1, v6, vcc
	v_lshlrev_b32_e32 v5, 24, v4
	v_mov_b32_e32 v6, 0x37800000
	v_lshlrev_b32_e32 v1, 21, v1
	v_and_b32_e32 v5, 0x80000000, v5
	v_lshl_add_u32 v3, v3, 23, v6
	v_or3_b32 v1, v5, v3, v1
.LBB245_288:
	s_or_b64 exec, exec, s[44:45]
	s_movk_i32 s42, 0x7f
	v_cmp_gt_i16_sdwa s[44:45], v2, s42 src0_sel:BYTE_0 src1_sel:DWORD
	s_mov_b64 s[42:43], 0
	s_and_saveexec_b64 s[46:47], s[44:45]
	s_xor_b64 s[44:45], exec, s[46:47]
	s_cbranch_execnz .LBB245_553
; %bb.289:
	s_or_saveexec_b64 s[44:45], s[44:45]
	v_mov_b32_e32 v3, 0x7f800001
	s_xor_b64 exec, exec, s[44:45]
	s_cbranch_execnz .LBB245_556
.LBB245_290:
	s_or_b64 exec, exec, s[44:45]
	s_and_saveexec_b64 s[44:45], s[42:43]
	s_cbranch_execz .LBB245_292
.LBB245_291:
	v_and_b32_e32 v3, 3, v2
	v_ffbh_u32_e32 v6, v3
	v_min_u32_e32 v6, 32, v6
	v_subrev_u32_e32 v7, 29, v6
	v_bfe_u32 v5, v2, 2, 5
	v_lshlrev_b32_e32 v7, v7, v2
	v_sub_u32_e32 v6, 30, v6
	v_and_b32_e32 v7, 3, v7
	v_cmp_eq_u32_e32 vcc, 0, v5
	v_cndmask_b32_e32 v5, v5, v6, vcc
	v_cndmask_b32_e32 v3, v3, v7, vcc
	v_lshlrev_b32_e32 v6, 24, v2
	v_mov_b32_e32 v7, 0x37800000
	v_lshlrev_b32_e32 v3, 21, v3
	v_and_b32_e32 v6, 0x80000000, v6
	v_lshl_add_u32 v5, v5, 23, v7
	v_or3_b32 v3, v6, v5, v3
.LBB245_292:
	s_or_b64 exec, exec, s[44:45]
	v_cmp_eq_f32_e64 s[42:43], v1, v3
	v_lshrrev_b32_e32 v3, 8, v4
	s_and_b64 vcc, exec, s[4:5]
	v_lshrrev_b32_e32 v1, 8, v2
	s_cbranch_vccz .LBB245_144
.LBB245_293:
                                        ; implicit-def: $sgpr44_sgpr45
	s_cbranch_execz .LBB245_153
; %bb.294:
	s_movk_i32 s44, 0x7f
	v_cmp_gt_i16_sdwa s[46:47], v3, s44 src0_sel:BYTE_0 src1_sel:DWORD
	s_mov_b64 s[44:45], 0
	s_and_saveexec_b64 s[48:49], s[46:47]
	s_xor_b64 s[46:47], exec, s[48:49]
	s_cbranch_execnz .LBB245_557
; %bb.295:
	s_or_saveexec_b64 s[46:47], s[46:47]
	v_mov_b32_e32 v5, 0x7f800001
	s_xor_b64 exec, exec, s[46:47]
	s_cbranch_execnz .LBB245_560
.LBB245_296:
	s_or_b64 exec, exec, s[46:47]
	s_and_saveexec_b64 s[46:47], s[44:45]
	s_cbranch_execz .LBB245_298
.LBB245_297:
	v_bfe_u32 v5, v4, 8, 2
	v_ffbh_u32_e32 v7, v5
	v_min_u32_e32 v7, 32, v7
	v_subrev_u32_e32 v8, 29, v7
	v_bfe_u32 v6, v4, 10, 5
	v_lshlrev_b32_e32 v8, v8, v3
	v_sub_u32_e32 v7, 30, v7
	v_and_b32_e32 v8, 3, v8
	v_cmp_eq_u32_e32 vcc, 0, v6
	v_cndmask_b32_e32 v6, v6, v7, vcc
	v_cndmask_b32_e32 v5, v5, v8, vcc
	v_lshlrev_b32_e32 v3, 24, v3
	v_mov_b32_e32 v7, 0x37800000
	v_lshlrev_b32_e32 v5, 21, v5
	v_and_b32_e32 v3, 0x80000000, v3
	v_lshl_add_u32 v6, v6, 23, v7
	v_or3_b32 v5, v3, v6, v5
.LBB245_298:
	s_or_b64 exec, exec, s[46:47]
	s_movk_i32 s44, 0x7f
	v_cmp_gt_i16_sdwa s[46:47], v1, s44 src0_sel:BYTE_0 src1_sel:DWORD
	s_mov_b64 s[44:45], 0
	s_and_saveexec_b64 s[48:49], s[46:47]
	s_xor_b64 s[46:47], exec, s[48:49]
	s_cbranch_execnz .LBB245_561
; %bb.299:
	s_or_saveexec_b64 s[46:47], s[46:47]
	v_mov_b32_e32 v3, 0x7f800001
	s_xor_b64 exec, exec, s[46:47]
	s_cbranch_execnz .LBB245_564
.LBB245_300:
	s_or_b64 exec, exec, s[46:47]
	s_and_saveexec_b64 s[46:47], s[44:45]
	s_cbranch_execz .LBB245_302
.LBB245_301:
	v_bfe_u32 v3, v2, 8, 2
	v_ffbh_u32_e32 v7, v3
	v_min_u32_e32 v7, 32, v7
	v_subrev_u32_e32 v8, 29, v7
	v_bfe_u32 v6, v2, 10, 5
	v_lshlrev_b32_e32 v8, v8, v1
	v_sub_u32_e32 v7, 30, v7
	v_and_b32_e32 v8, 3, v8
	v_cmp_eq_u32_e32 vcc, 0, v6
	v_cndmask_b32_e32 v6, v6, v7, vcc
	v_cndmask_b32_e32 v3, v3, v8, vcc
	v_lshlrev_b32_e32 v1, 24, v1
	v_mov_b32_e32 v7, 0x37800000
	v_lshlrev_b32_e32 v3, 21, v3
	v_and_b32_e32 v1, 0x80000000, v1
	v_lshl_add_u32 v6, v6, 23, v7
	v_or3_b32 v3, v1, v6, v3
.LBB245_302:
	s_or_b64 exec, exec, s[46:47]
	v_cmp_eq_f32_e64 s[44:45], v5, v3
	s_and_b64 vcc, exec, s[4:5]
	s_cbranch_vccz .LBB245_154
.LBB245_303:
                                        ; implicit-def: $sgpr46_sgpr47
	s_cbranch_execz .LBB245_163
; %bb.304:
	s_movk_i32 s46, 0xff
	v_and_b32_sdwa v3, v4, s46 dst_sel:DWORD dst_unused:UNUSED_PAD src0_sel:WORD_1 src1_sel:DWORD
	s_movk_i32 s46, 0x7f
	v_cmp_lt_i16_e32 vcc, s46, v3
	s_mov_b64 s[46:47], 0
	s_and_saveexec_b64 s[48:49], vcc
	s_xor_b64 s[48:49], exec, s[48:49]
	s_cbranch_execnz .LBB245_565
; %bb.305:
	s_or_saveexec_b64 s[48:49], s[48:49]
	v_mov_b32_e32 v1, 0x7f800001
	s_xor_b64 exec, exec, s[48:49]
	s_cbranch_execnz .LBB245_568
.LBB245_306:
	s_or_b64 exec, exec, s[48:49]
	s_and_saveexec_b64 s[48:49], s[46:47]
	s_cbranch_execz .LBB245_308
.LBB245_307:
	v_bfe_u32 v1, v4, 16, 2
	v_ffbh_u32_e32 v5, v1
	v_min_u32_e32 v5, 32, v5
	v_bfe_u32 v3, v4, 18, 5
	v_subrev_u32_e32 v6, 29, v5
	v_lshlrev_b32_sdwa v6, v6, v4 dst_sel:DWORD dst_unused:UNUSED_PAD src0_sel:DWORD src1_sel:WORD_1
	v_sub_u32_e32 v5, 30, v5
	v_cmp_eq_u32_e32 vcc, 0, v3
	v_and_b32_e32 v6, 3, v6
	v_cndmask_b32_e32 v3, v3, v5, vcc
	v_mov_b32_e32 v5, 24
	v_cndmask_b32_e32 v1, v1, v6, vcc
	v_lshlrev_b32_sdwa v5, v5, v4 dst_sel:DWORD dst_unused:UNUSED_PAD src0_sel:DWORD src1_sel:WORD_1
	v_mov_b32_e32 v6, 0x37800000
	v_lshlrev_b32_e32 v1, 21, v1
	v_and_b32_e32 v5, 0x80000000, v5
	v_lshl_add_u32 v3, v3, 23, v6
	v_or3_b32 v1, v5, v3, v1
.LBB245_308:
	s_or_b64 exec, exec, s[48:49]
	s_movk_i32 s46, 0xff
	v_and_b32_sdwa v3, v2, s46 dst_sel:DWORD dst_unused:UNUSED_PAD src0_sel:WORD_1 src1_sel:DWORD
	s_movk_i32 s46, 0x7f
	v_cmp_lt_i16_e32 vcc, s46, v3
	s_mov_b64 s[46:47], 0
	s_and_saveexec_b64 s[48:49], vcc
	s_xor_b64 s[48:49], exec, s[48:49]
	s_cbranch_execnz .LBB245_569
; %bb.309:
	s_or_saveexec_b64 s[48:49], s[48:49]
	v_mov_b32_e32 v5, 0x7f800001
	s_xor_b64 exec, exec, s[48:49]
	s_cbranch_execnz .LBB245_572
.LBB245_310:
	s_or_b64 exec, exec, s[48:49]
	s_and_saveexec_b64 s[48:49], s[46:47]
	s_cbranch_execz .LBB245_312
.LBB245_311:
	v_bfe_u32 v3, v2, 16, 2
	v_ffbh_u32_e32 v6, v3
	v_min_u32_e32 v6, 32, v6
	v_bfe_u32 v5, v2, 18, 5
	v_subrev_u32_e32 v7, 29, v6
	v_lshlrev_b32_sdwa v7, v7, v2 dst_sel:DWORD dst_unused:UNUSED_PAD src0_sel:DWORD src1_sel:WORD_1
	v_sub_u32_e32 v6, 30, v6
	v_cmp_eq_u32_e32 vcc, 0, v5
	v_and_b32_e32 v7, 3, v7
	v_cndmask_b32_e32 v5, v5, v6, vcc
	v_mov_b32_e32 v6, 24
	v_cndmask_b32_e32 v3, v3, v7, vcc
	v_lshlrev_b32_sdwa v6, v6, v2 dst_sel:DWORD dst_unused:UNUSED_PAD src0_sel:DWORD src1_sel:WORD_1
	v_mov_b32_e32 v7, 0x37800000
	v_lshlrev_b32_e32 v3, 21, v3
	v_and_b32_e32 v6, 0x80000000, v6
	v_lshl_add_u32 v5, v5, 23, v7
	v_or3_b32 v5, v6, v5, v3
.LBB245_312:
	s_or_b64 exec, exec, s[48:49]
	v_cmp_eq_f32_e64 s[46:47], v1, v5
	s_and_b64 vcc, exec, s[4:5]
	s_cbranch_vccz .LBB245_164
.LBB245_313:
                                        ; implicit-def: $sgpr4_sgpr5
	s_cbranch_execz .LBB245_323
; %bb.314:
	s_movk_i32 s4, 0x7f
	v_cmp_gt_i16_sdwa s[48:49], v4, s4 src0_sel:BYTE_3 src1_sel:DWORD
	s_mov_b64 s[4:5], 0
	s_and_saveexec_b64 s[50:51], s[48:49]
	s_xor_b64 s[48:49], exec, s[50:51]
	s_cbranch_execnz .LBB245_573
; %bb.315:
	s_or_saveexec_b64 s[48:49], s[48:49]
	v_mov_b32_e32 v1, 0x7f800001
	s_xor_b64 exec, exec, s[48:49]
	s_cbranch_execnz .LBB245_576
.LBB245_316:
	s_or_b64 exec, exec, s[48:49]
	s_and_saveexec_b64 s[48:49], s[4:5]
	s_cbranch_execz .LBB245_318
.LBB245_317:
	v_bfe_u32 v1, v4, 24, 2
	v_ffbh_u32_e32 v5, v1
	v_min_u32_e32 v5, 32, v5
	v_subrev_u32_e32 v6, 29, v5
	v_bfe_u32 v3, v4, 26, 5
	v_lshlrev_b32_sdwa v6, v6, v4 dst_sel:DWORD dst_unused:UNUSED_PAD src0_sel:DWORD src1_sel:BYTE_3
	v_sub_u32_e32 v5, 30, v5
	v_and_b32_e32 v6, 3, v6
	v_cmp_eq_u32_e32 vcc, 0, v3
	v_cndmask_b32_e32 v3, v3, v5, vcc
	v_cndmask_b32_e32 v1, v1, v6, vcc
	v_mov_b32_e32 v5, 0x37800000
	v_lshlrev_b32_e32 v1, 21, v1
	v_and_b32_e32 v4, 0x80000000, v4
	v_lshl_add_u32 v3, v3, 23, v5
	v_or3_b32 v1, v4, v3, v1
.LBB245_318:
	s_or_b64 exec, exec, s[48:49]
	s_movk_i32 s4, 0x7f
	v_cmp_gt_i16_sdwa s[48:49], v2, s4 src0_sel:BYTE_3 src1_sel:DWORD
	s_mov_b64 s[4:5], 0
	s_and_saveexec_b64 s[50:51], s[48:49]
	s_xor_b64 s[48:49], exec, s[50:51]
	s_cbranch_execnz .LBB245_577
; %bb.319:
	s_or_saveexec_b64 s[48:49], s[48:49]
	v_mov_b32_e32 v3, 0x7f800001
	s_xor_b64 exec, exec, s[48:49]
	s_cbranch_execnz .LBB245_580
.LBB245_320:
	s_or_b64 exec, exec, s[48:49]
	s_and_saveexec_b64 s[48:49], s[4:5]
	s_cbranch_execz .LBB245_322
.LBB245_321:
	v_bfe_u32 v3, v2, 24, 2
	v_ffbh_u32_e32 v5, v3
	v_min_u32_e32 v5, 32, v5
	v_subrev_u32_e32 v6, 29, v5
	v_bfe_u32 v4, v2, 26, 5
	v_lshlrev_b32_sdwa v6, v6, v2 dst_sel:DWORD dst_unused:UNUSED_PAD src0_sel:DWORD src1_sel:BYTE_3
	v_sub_u32_e32 v5, 30, v5
	v_and_b32_e32 v6, 3, v6
	v_cmp_eq_u32_e32 vcc, 0, v4
	v_cndmask_b32_e32 v4, v4, v5, vcc
	v_cndmask_b32_e32 v3, v3, v6, vcc
	v_mov_b32_e32 v5, 0x37800000
	v_lshlrev_b32_e32 v3, 21, v3
	v_and_b32_e32 v2, 0x80000000, v2
	v_lshl_add_u32 v4, v4, 23, v5
	v_or3_b32 v3, v2, v4, v3
.LBB245_322:
	s_or_b64 exec, exec, s[48:49]
	v_cmp_eq_f32_e64 s[4:5], v1, v3
.LBB245_323:
	v_cndmask_b32_e64 v1, 0, 1, s[18:19]
	v_lshlrev_b16_e32 v1, 8, v1
	v_cndmask_b32_e64 v2, 0, 1, s[16:17]
	v_or_b32_e32 v1, v2, v1
	v_cndmask_b32_e64 v2, 0, 1, s[22:23]
	v_lshlrev_b16_e32 v2, 8, v2
	v_cndmask_b32_e64 v3, 0, 1, s[20:21]
	v_or_b32_sdwa v2, v3, v2 dst_sel:WORD_1 dst_unused:UNUSED_PAD src0_sel:DWORD src1_sel:DWORD
	v_or_b32_sdwa v1, v1, v2 dst_sel:DWORD dst_unused:UNUSED_PAD src0_sel:WORD_0 src1_sel:DWORD
	v_cndmask_b32_e64 v2, 0, 1, s[26:27]
	v_lshlrev_b16_e32 v2, 8, v2
	v_cndmask_b32_e64 v3, 0, 1, s[24:25]
	v_or_b32_e32 v2, v3, v2
	v_cndmask_b32_e64 v3, 0, 1, s[30:31]
	v_lshlrev_b16_e32 v3, 8, v3
	v_cndmask_b32_e64 v4, 0, 1, s[28:29]
	v_or_b32_sdwa v3, v4, v3 dst_sel:WORD_1 dst_unused:UNUSED_PAD src0_sel:DWORD src1_sel:DWORD
	v_or_b32_sdwa v2, v2, v3 dst_sel:DWORD dst_unused:UNUSED_PAD src0_sel:WORD_0 src1_sel:DWORD
	;; [unrolled: 9-line block ×3, first 2 shown]
	v_cndmask_b32_e64 v4, 0, 1, s[44:45]
	v_lshlrev_b16_e32 v4, 8, v4
	v_cndmask_b32_e64 v5, 0, 1, s[42:43]
	v_or_b32_e32 v4, v5, v4
	v_cndmask_b32_e64 v5, 0, 1, s[4:5]
	v_lshlrev_b16_e32 v5, 8, v5
	v_cndmask_b32_e64 v6, 0, 1, s[46:47]
	s_add_u32 s4, s8, s33
	v_or_b32_sdwa v5, v6, v5 dst_sel:WORD_1 dst_unused:UNUSED_PAD src0_sel:DWORD src1_sel:DWORD
	s_addc_u32 s5, s9, s12
	v_or_b32_sdwa v4, v4, v5 dst_sel:DWORD dst_unused:UNUSED_PAD src0_sel:WORD_0 src1_sel:DWORD
	global_store_dwordx2 v9, v[1:2], s[4:5]
	global_store_dwordx2 v9, v[3:4], s[4:5] offset:2048
	s_branch .LBB245_2
.LBB245_324:
	s_getpc_b64 s[4:5]
	s_add_u32 s4, s4, _ZN2at6native25elementwise_kernel_helperILb0ENS0_13BinaryFunctorIN3c1015Float8_e5m2fnuzES4_bNS0_12_GLOBAL__N_116CompareEqFunctorIS4_EEEENS0_6memory8policies11unroll_baseILi256ESt5arrayIPcLm3EE23TrivialOffsetCalculatorILi2EjESF_ILi1EjENS9_15LoadWithoutCastENS9_16StoreWithoutCastELi16ELi1EEEEEvT0_T1_@rel32@lo+4
	s_addc_u32 s5, s5, _ZN2at6native25elementwise_kernel_helperILb0ENS0_13BinaryFunctorIN3c1015Float8_e5m2fnuzES4_bNS0_12_GLOBAL__N_116CompareEqFunctorIS4_EEEENS0_6memory8policies11unroll_baseILi256ESt5arrayIPcLm3EE23TrivialOffsetCalculatorILi2EjESF_ILi1EjENS9_15LoadWithoutCastENS9_16StoreWithoutCastELi16ELi1EEEEEvT0_T1_@rel32@hi+12
	s_mov_b32 s12, s6
	v_mov_b32_e32 v31, v0
	v_mov_b32_e32 v0, s13
	;; [unrolled: 1-line block ×9, first 2 shown]
	s_swappc_b64 s[30:31], s[4:5]
	s_endpgm
.LBB245_325:
	s_movk_i32 s4, 0x80
	v_cmp_eq_u16_sdwa s[22:23], v7, s4 src0_sel:BYTE_0 src1_sel:DWORD
	s_mov_b64 s[4:5], -1
	s_and_saveexec_b64 s[20:21], s[22:23]
; %bb.326:
	s_xor_b64 s[4:5], exec, -1
; %bb.327:
	s_or_b64 exec, exec, s[20:21]
	s_and_b64 s[4:5], s[4:5], exec
	s_or_saveexec_b64 s[16:17], s[16:17]
	v_mov_b32_e32 v10, 0x7f800001
	s_xor_b64 exec, exec, s[16:17]
	s_cbranch_execz .LBB245_6
.LBB245_328:
	v_mov_b32_e32 v10, 0
	v_cmp_ne_u16_sdwa s[20:21], v7, v10 src0_sel:BYTE_0 src1_sel:DWORD
	s_andn2_b64 s[4:5], s[4:5], exec
	s_and_b64 s[20:21], s[20:21], exec
	s_or_b64 s[4:5], s[4:5], s[20:21]
	s_or_b64 exec, exec, s[16:17]
	s_and_saveexec_b64 s[16:17], s[4:5]
	s_cbranch_execnz .LBB245_7
	s_branch .LBB245_8
.LBB245_329:
	s_movk_i32 s4, 0x80
	v_cmp_eq_u16_sdwa s[22:23], v5, s4 src0_sel:BYTE_0 src1_sel:DWORD
	s_mov_b64 s[4:5], -1
	s_and_saveexec_b64 s[20:21], s[22:23]
; %bb.330:
	s_xor_b64 s[4:5], exec, -1
; %bb.331:
	s_or_b64 exec, exec, s[20:21]
	s_and_b64 s[4:5], s[4:5], exec
	s_or_saveexec_b64 s[16:17], s[16:17]
	v_mov_b32_e32 v11, 0x7f800001
	s_xor_b64 exec, exec, s[16:17]
	s_cbranch_execz .LBB245_10
.LBB245_332:
	v_mov_b32_e32 v11, 0
	v_cmp_ne_u16_sdwa s[20:21], v5, v11 src0_sel:BYTE_0 src1_sel:DWORD
	s_andn2_b64 s[4:5], s[4:5], exec
	s_and_b64 s[20:21], s[20:21], exec
	s_or_b64 s[4:5], s[4:5], s[20:21]
	s_or_b64 exec, exec, s[16:17]
	s_and_saveexec_b64 s[16:17], s[4:5]
	s_cbranch_execnz .LBB245_11
	s_branch .LBB245_12
.LBB245_333:
	s_movk_i32 s18, 0x80
	v_cmp_eq_u16_sdwa s[24:25], v11, s18 src0_sel:BYTE_0 src1_sel:DWORD
	s_mov_b64 s[18:19], -1
	s_and_saveexec_b64 s[22:23], s[24:25]
; %bb.334:
	s_xor_b64 s[18:19], exec, -1
; %bb.335:
	s_or_b64 exec, exec, s[22:23]
	s_and_b64 s[18:19], s[18:19], exec
	s_or_saveexec_b64 s[20:21], s[20:21]
	v_mov_b32_e32 v12, 0x7f800001
	s_xor_b64 exec, exec, s[20:21]
	s_cbranch_execz .LBB245_26
.LBB245_336:
	v_mov_b32_e32 v12, 0
	v_cmp_ne_u16_sdwa s[22:23], v11, v12 src0_sel:BYTE_0 src1_sel:DWORD
	s_andn2_b64 s[18:19], s[18:19], exec
	s_and_b64 s[22:23], s[22:23], exec
	s_or_b64 s[18:19], s[18:19], s[22:23]
	s_or_b64 exec, exec, s[20:21]
	s_and_saveexec_b64 s[20:21], s[18:19]
	s_cbranch_execnz .LBB245_27
	s_branch .LBB245_28
.LBB245_337:
	s_movk_i32 s18, 0x80
	v_cmp_eq_u16_sdwa s[24:25], v10, s18 src0_sel:BYTE_0 src1_sel:DWORD
	s_mov_b64 s[18:19], -1
	s_and_saveexec_b64 s[22:23], s[24:25]
; %bb.338:
	s_xor_b64 s[18:19], exec, -1
; %bb.339:
	s_or_b64 exec, exec, s[22:23]
	s_and_b64 s[18:19], s[18:19], exec
	s_or_saveexec_b64 s[20:21], s[20:21]
	v_mov_b32_e32 v13, 0x7f800001
	s_xor_b64 exec, exec, s[20:21]
	s_cbranch_execz .LBB245_30
.LBB245_340:
	v_mov_b32_e32 v13, 0
	v_cmp_ne_u16_sdwa s[22:23], v10, v13 src0_sel:BYTE_0 src1_sel:DWORD
	s_andn2_b64 s[18:19], s[18:19], exec
	s_and_b64 s[22:23], s[22:23], exec
	s_or_b64 s[18:19], s[18:19], s[22:23]
	s_or_b64 exec, exec, s[20:21]
	s_and_saveexec_b64 s[20:21], s[18:19]
	s_cbranch_execnz .LBB245_31
	s_branch .LBB245_32
.LBB245_341:
	s_movk_i32 s20, 0x80
	v_cmp_eq_u16_e32 vcc, s20, v11
	s_mov_b64 s[20:21], -1
	s_and_saveexec_b64 s[24:25], vcc
; %bb.342:
	s_xor_b64 s[20:21], exec, -1
; %bb.343:
	s_or_b64 exec, exec, s[24:25]
	s_and_b64 s[20:21], s[20:21], exec
                                        ; implicit-def: $vgpr11
	s_or_saveexec_b64 s[22:23], s[22:23]
	v_mov_b32_e32 v10, 0x7f800001
	s_xor_b64 exec, exec, s[22:23]
	s_cbranch_execz .LBB245_36
.LBB245_344:
	v_cmp_ne_u16_e32 vcc, 0, v11
	s_andn2_b64 s[20:21], s[20:21], exec
	s_and_b64 s[24:25], vcc, exec
	v_mov_b32_e32 v10, 0
	s_or_b64 s[20:21], s[20:21], s[24:25]
	s_or_b64 exec, exec, s[22:23]
	s_and_saveexec_b64 s[22:23], s[20:21]
	s_cbranch_execnz .LBB245_37
	s_branch .LBB245_38
.LBB245_345:
	s_movk_i32 s20, 0x80
	v_cmp_eq_u16_e32 vcc, s20, v11
	s_mov_b64 s[20:21], -1
	s_and_saveexec_b64 s[24:25], vcc
; %bb.346:
	s_xor_b64 s[20:21], exec, -1
; %bb.347:
	s_or_b64 exec, exec, s[24:25]
	s_and_b64 s[20:21], s[20:21], exec
                                        ; implicit-def: $vgpr11
	s_or_saveexec_b64 s[22:23], s[22:23]
	v_mov_b32_e32 v12, 0x7f800001
	s_xor_b64 exec, exec, s[22:23]
	s_cbranch_execz .LBB245_40
.LBB245_348:
	v_cmp_ne_u16_e32 vcc, 0, v11
	s_andn2_b64 s[20:21], s[20:21], exec
	s_and_b64 s[24:25], vcc, exec
	v_mov_b32_e32 v12, 0
	s_or_b64 s[20:21], s[20:21], s[24:25]
	s_or_b64 exec, exec, s[22:23]
	s_and_saveexec_b64 s[22:23], s[20:21]
	s_cbranch_execnz .LBB245_41
	s_branch .LBB245_42
.LBB245_349:
	s_movk_i32 s22, 0x80
	v_cmp_eq_u16_sdwa s[28:29], v7, s22 src0_sel:BYTE_3 src1_sel:DWORD
	s_mov_b64 s[22:23], -1
	s_and_saveexec_b64 s[26:27], s[28:29]
; %bb.350:
	s_xor_b64 s[22:23], exec, -1
; %bb.351:
	s_or_b64 exec, exec, s[26:27]
	s_and_b64 s[22:23], s[22:23], exec
	s_or_saveexec_b64 s[24:25], s[24:25]
	v_mov_b32_e32 v10, 0x7f800001
	s_xor_b64 exec, exec, s[24:25]
	s_cbranch_execz .LBB245_46
.LBB245_352:
	v_mov_b32_e32 v10, 0
	v_cmp_ne_u16_sdwa s[26:27], v7, v10 src0_sel:BYTE_3 src1_sel:DWORD
	s_andn2_b64 s[22:23], s[22:23], exec
	s_and_b64 s[26:27], s[26:27], exec
	s_or_b64 s[22:23], s[22:23], s[26:27]
	s_or_b64 exec, exec, s[24:25]
	s_and_saveexec_b64 s[24:25], s[22:23]
	s_cbranch_execnz .LBB245_47
	s_branch .LBB245_48
.LBB245_353:
	s_movk_i32 s22, 0x80
	v_cmp_eq_u16_sdwa s[28:29], v5, s22 src0_sel:BYTE_3 src1_sel:DWORD
	s_mov_b64 s[22:23], -1
	s_and_saveexec_b64 s[26:27], s[28:29]
; %bb.354:
	s_xor_b64 s[22:23], exec, -1
; %bb.355:
	s_or_b64 exec, exec, s[26:27]
	s_and_b64 s[22:23], s[22:23], exec
	s_or_saveexec_b64 s[24:25], s[24:25]
	v_mov_b32_e32 v11, 0x7f800001
	s_xor_b64 exec, exec, s[24:25]
	s_cbranch_execz .LBB245_50
.LBB245_356:
	v_mov_b32_e32 v11, 0
	v_cmp_ne_u16_sdwa s[26:27], v5, v11 src0_sel:BYTE_3 src1_sel:DWORD
	s_andn2_b64 s[22:23], s[22:23], exec
	s_and_b64 s[26:27], s[26:27], exec
	s_or_b64 s[22:23], s[22:23], s[26:27]
	s_or_b64 exec, exec, s[24:25]
	s_and_saveexec_b64 s[24:25], s[22:23]
	s_cbranch_execnz .LBB245_51
	s_branch .LBB245_52
.LBB245_357:
	s_movk_i32 s24, 0x80
	v_cmp_eq_u16_sdwa s[30:31], v8, s24 src0_sel:BYTE_0 src1_sel:DWORD
	s_mov_b64 s[24:25], -1
	s_and_saveexec_b64 s[28:29], s[30:31]
; %bb.358:
	s_xor_b64 s[24:25], exec, -1
; %bb.359:
	s_or_b64 exec, exec, s[28:29]
	s_and_b64 s[24:25], s[24:25], exec
	s_or_saveexec_b64 s[26:27], s[26:27]
	v_mov_b32_e32 v5, 0x7f800001
	s_xor_b64 exec, exec, s[26:27]
	s_cbranch_execz .LBB245_56
.LBB245_360:
	v_mov_b32_e32 v5, 0
	v_cmp_ne_u16_sdwa s[28:29], v8, v5 src0_sel:BYTE_0 src1_sel:DWORD
	s_andn2_b64 s[24:25], s[24:25], exec
	s_and_b64 s[28:29], s[28:29], exec
	s_or_b64 s[24:25], s[24:25], s[28:29]
	s_or_b64 exec, exec, s[26:27]
	s_and_saveexec_b64 s[26:27], s[24:25]
	s_cbranch_execnz .LBB245_57
	s_branch .LBB245_58
.LBB245_361:
	s_movk_i32 s24, 0x80
	v_cmp_eq_u16_sdwa s[30:31], v6, s24 src0_sel:BYTE_0 src1_sel:DWORD
	s_mov_b64 s[24:25], -1
	s_and_saveexec_b64 s[28:29], s[30:31]
; %bb.362:
	s_xor_b64 s[24:25], exec, -1
; %bb.363:
	s_or_b64 exec, exec, s[28:29]
	s_and_b64 s[24:25], s[24:25], exec
	s_or_saveexec_b64 s[26:27], s[26:27]
	v_mov_b32_e32 v7, 0x7f800001
	s_xor_b64 exec, exec, s[26:27]
	s_cbranch_execz .LBB245_60
.LBB245_364:
	v_mov_b32_e32 v7, 0
	v_cmp_ne_u16_sdwa s[28:29], v6, v7 src0_sel:BYTE_0 src1_sel:DWORD
	s_andn2_b64 s[24:25], s[24:25], exec
	s_and_b64 s[28:29], s[28:29], exec
	s_or_b64 s[24:25], s[24:25], s[28:29]
	s_or_b64 exec, exec, s[26:27]
	s_and_saveexec_b64 s[26:27], s[24:25]
	s_cbranch_execnz .LBB245_61
	s_branch .LBB245_62
.LBB245_365:
	s_movk_i32 s26, 0x80
	v_cmp_eq_u16_sdwa s[34:35], v7, s26 src0_sel:BYTE_0 src1_sel:DWORD
	s_mov_b64 s[26:27], -1
	s_and_saveexec_b64 s[30:31], s[34:35]
; %bb.366:
	s_xor_b64 s[26:27], exec, -1
; %bb.367:
	s_or_b64 exec, exec, s[30:31]
	s_and_b64 s[26:27], s[26:27], exec
	s_or_saveexec_b64 s[28:29], s[28:29]
	v_mov_b32_e32 v10, 0x7f800001
	s_xor_b64 exec, exec, s[28:29]
	s_cbranch_execz .LBB245_66
.LBB245_368:
	v_mov_b32_e32 v10, 0
	v_cmp_ne_u16_sdwa s[30:31], v7, v10 src0_sel:BYTE_0 src1_sel:DWORD
	s_andn2_b64 s[26:27], s[26:27], exec
	s_and_b64 s[30:31], s[30:31], exec
	s_or_b64 s[26:27], s[26:27], s[30:31]
	s_or_b64 exec, exec, s[28:29]
	s_and_saveexec_b64 s[28:29], s[26:27]
	s_cbranch_execnz .LBB245_67
	s_branch .LBB245_68
.LBB245_369:
	s_movk_i32 s26, 0x80
	v_cmp_eq_u16_sdwa s[34:35], v5, s26 src0_sel:BYTE_0 src1_sel:DWORD
	s_mov_b64 s[26:27], -1
	s_and_saveexec_b64 s[30:31], s[34:35]
; %bb.370:
	s_xor_b64 s[26:27], exec, -1
; %bb.371:
	s_or_b64 exec, exec, s[30:31]
	s_and_b64 s[26:27], s[26:27], exec
	s_or_saveexec_b64 s[28:29], s[28:29]
	v_mov_b32_e32 v11, 0x7f800001
	s_xor_b64 exec, exec, s[28:29]
	s_cbranch_execz .LBB245_70
.LBB245_372:
	v_mov_b32_e32 v11, 0
	v_cmp_ne_u16_sdwa s[30:31], v5, v11 src0_sel:BYTE_0 src1_sel:DWORD
	s_andn2_b64 s[26:27], s[26:27], exec
	s_and_b64 s[30:31], s[30:31], exec
	s_or_b64 s[26:27], s[26:27], s[30:31]
	s_or_b64 exec, exec, s[28:29]
	s_and_saveexec_b64 s[28:29], s[26:27]
	s_cbranch_execnz .LBB245_71
	s_branch .LBB245_72
.LBB245_373:
	s_movk_i32 s28, 0x80
	v_cmp_eq_u16_e32 vcc, s28, v7
	s_mov_b64 s[28:29], -1
	s_and_saveexec_b64 s[34:35], vcc
; %bb.374:
	s_xor_b64 s[28:29], exec, -1
; %bb.375:
	s_or_b64 exec, exec, s[34:35]
	s_and_b64 s[28:29], s[28:29], exec
                                        ; implicit-def: $vgpr7
	s_or_saveexec_b64 s[30:31], s[30:31]
	v_mov_b32_e32 v5, 0x7f800001
	s_xor_b64 exec, exec, s[30:31]
	s_cbranch_execz .LBB245_76
.LBB245_376:
	v_cmp_ne_u16_e32 vcc, 0, v7
	s_andn2_b64 s[28:29], s[28:29], exec
	s_and_b64 s[34:35], vcc, exec
	v_mov_b32_e32 v5, 0
	s_or_b64 s[28:29], s[28:29], s[34:35]
	s_or_b64 exec, exec, s[30:31]
	s_and_saveexec_b64 s[30:31], s[28:29]
	s_cbranch_execnz .LBB245_77
	s_branch .LBB245_78
.LBB245_377:
	s_movk_i32 s28, 0x80
	v_cmp_eq_u16_e32 vcc, s28, v7
	s_mov_b64 s[28:29], -1
	s_and_saveexec_b64 s[34:35], vcc
; %bb.378:
	s_xor_b64 s[28:29], exec, -1
; %bb.379:
	s_or_b64 exec, exec, s[34:35]
	s_and_b64 s[28:29], s[28:29], exec
                                        ; implicit-def: $vgpr7
	s_or_saveexec_b64 s[30:31], s[30:31]
	v_mov_b32_e32 v10, 0x7f800001
	s_xor_b64 exec, exec, s[30:31]
	s_cbranch_execz .LBB245_80
.LBB245_380:
	v_cmp_ne_u16_e32 vcc, 0, v7
	s_andn2_b64 s[28:29], s[28:29], exec
	s_and_b64 s[34:35], vcc, exec
	v_mov_b32_e32 v10, 0
	s_or_b64 s[28:29], s[28:29], s[34:35]
	s_or_b64 exec, exec, s[30:31]
	s_and_saveexec_b64 s[30:31], s[28:29]
	s_cbranch_execnz .LBB245_81
	s_branch .LBB245_82
.LBB245_381:
	s_movk_i32 s30, 0x80
	v_cmp_eq_u16_sdwa s[38:39], v8, s30 src0_sel:BYTE_3 src1_sel:DWORD
	s_mov_b64 s[30:31], -1
	s_and_saveexec_b64 s[36:37], s[38:39]
; %bb.382:
	s_xor_b64 s[30:31], exec, -1
; %bb.383:
	s_or_b64 exec, exec, s[36:37]
	s_and_b64 s[30:31], s[30:31], exec
	s_or_saveexec_b64 s[34:35], s[34:35]
	v_mov_b32_e32 v5, 0x7f800001
	s_xor_b64 exec, exec, s[34:35]
	s_cbranch_execz .LBB245_86
.LBB245_384:
	v_mov_b32_e32 v5, 0
	v_cmp_ne_u16_sdwa s[36:37], v8, v5 src0_sel:BYTE_3 src1_sel:DWORD
	s_andn2_b64 s[30:31], s[30:31], exec
	s_and_b64 s[36:37], s[36:37], exec
	s_or_b64 s[30:31], s[30:31], s[36:37]
	s_or_b64 exec, exec, s[34:35]
	s_and_saveexec_b64 s[34:35], s[30:31]
	s_cbranch_execnz .LBB245_87
	s_branch .LBB245_88
.LBB245_385:
	s_movk_i32 s30, 0x80
	v_cmp_eq_u16_sdwa s[38:39], v6, s30 src0_sel:BYTE_3 src1_sel:DWORD
	s_mov_b64 s[30:31], -1
	s_and_saveexec_b64 s[36:37], s[38:39]
; %bb.386:
	s_xor_b64 s[30:31], exec, -1
; %bb.387:
	s_or_b64 exec, exec, s[36:37]
	s_and_b64 s[30:31], s[30:31], exec
	s_or_saveexec_b64 s[34:35], s[34:35]
	v_mov_b32_e32 v7, 0x7f800001
	s_xor_b64 exec, exec, s[34:35]
	s_cbranch_execz .LBB245_90
.LBB245_388:
	v_mov_b32_e32 v7, 0
	v_cmp_ne_u16_sdwa s[36:37], v6, v7 src0_sel:BYTE_3 src1_sel:DWORD
	s_andn2_b64 s[30:31], s[30:31], exec
	s_and_b64 s[36:37], s[36:37], exec
	s_or_b64 s[30:31], s[30:31], s[36:37]
	s_or_b64 exec, exec, s[34:35]
	s_and_saveexec_b64 s[34:35], s[30:31]
	s_cbranch_execnz .LBB245_91
	s_branch .LBB245_92
.LBB245_389:
	s_movk_i32 s34, 0x80
	v_cmp_eq_u16_sdwa s[40:41], v3, s34 src0_sel:BYTE_0 src1_sel:DWORD
	s_mov_b64 s[34:35], -1
	s_and_saveexec_b64 s[38:39], s[40:41]
; %bb.390:
	s_xor_b64 s[34:35], exec, -1
; %bb.391:
	s_or_b64 exec, exec, s[38:39]
	s_and_b64 s[34:35], s[34:35], exec
	s_or_saveexec_b64 s[36:37], s[36:37]
	v_mov_b32_e32 v5, 0x7f800001
	s_xor_b64 exec, exec, s[36:37]
	s_cbranch_execz .LBB245_96
.LBB245_392:
	v_mov_b32_e32 v5, 0
	v_cmp_ne_u16_sdwa s[38:39], v3, v5 src0_sel:BYTE_0 src1_sel:DWORD
	s_andn2_b64 s[34:35], s[34:35], exec
	s_and_b64 s[38:39], s[38:39], exec
	s_or_b64 s[34:35], s[34:35], s[38:39]
	s_or_b64 exec, exec, s[36:37]
	s_and_saveexec_b64 s[36:37], s[34:35]
	s_cbranch_execnz .LBB245_97
	s_branch .LBB245_98
.LBB245_393:
	s_movk_i32 s34, 0x80
	v_cmp_eq_u16_sdwa s[40:41], v1, s34 src0_sel:BYTE_0 src1_sel:DWORD
	s_mov_b64 s[34:35], -1
	s_and_saveexec_b64 s[38:39], s[40:41]
; %bb.394:
	s_xor_b64 s[34:35], exec, -1
; %bb.395:
	s_or_b64 exec, exec, s[38:39]
	s_and_b64 s[34:35], s[34:35], exec
	s_or_saveexec_b64 s[36:37], s[36:37]
	v_mov_b32_e32 v6, 0x7f800001
	s_xor_b64 exec, exec, s[36:37]
	s_cbranch_execz .LBB245_100
.LBB245_396:
	v_mov_b32_e32 v6, 0
	v_cmp_ne_u16_sdwa s[38:39], v1, v6 src0_sel:BYTE_0 src1_sel:DWORD
	s_andn2_b64 s[34:35], s[34:35], exec
	s_and_b64 s[38:39], s[38:39], exec
	s_or_b64 s[34:35], s[34:35], s[38:39]
	s_or_b64 exec, exec, s[36:37]
	s_and_saveexec_b64 s[36:37], s[34:35]
	s_cbranch_execnz .LBB245_101
	s_branch .LBB245_102
.LBB245_397:
	s_movk_i32 s36, 0x80
	v_cmp_eq_u16_sdwa s[42:43], v6, s36 src0_sel:BYTE_0 src1_sel:DWORD
	s_mov_b64 s[36:37], -1
	s_and_saveexec_b64 s[40:41], s[42:43]
; %bb.398:
	s_xor_b64 s[36:37], exec, -1
; %bb.399:
	s_or_b64 exec, exec, s[40:41]
	s_and_b64 s[36:37], s[36:37], exec
	s_or_saveexec_b64 s[38:39], s[38:39]
	v_mov_b32_e32 v7, 0x7f800001
	s_xor_b64 exec, exec, s[38:39]
	s_cbranch_execz .LBB245_106
.LBB245_400:
	v_mov_b32_e32 v7, 0
	v_cmp_ne_u16_sdwa s[40:41], v6, v7 src0_sel:BYTE_0 src1_sel:DWORD
	s_andn2_b64 s[36:37], s[36:37], exec
	s_and_b64 s[40:41], s[40:41], exec
	s_or_b64 s[36:37], s[36:37], s[40:41]
	s_or_b64 exec, exec, s[38:39]
	s_and_saveexec_b64 s[38:39], s[36:37]
	s_cbranch_execnz .LBB245_107
	s_branch .LBB245_108
.LBB245_401:
	s_movk_i32 s36, 0x80
	v_cmp_eq_u16_sdwa s[42:43], v5, s36 src0_sel:BYTE_0 src1_sel:DWORD
	s_mov_b64 s[36:37], -1
	s_and_saveexec_b64 s[40:41], s[42:43]
; %bb.402:
	s_xor_b64 s[36:37], exec, -1
; %bb.403:
	s_or_b64 exec, exec, s[40:41]
	s_and_b64 s[36:37], s[36:37], exec
	s_or_saveexec_b64 s[38:39], s[38:39]
	v_mov_b32_e32 v8, 0x7f800001
	s_xor_b64 exec, exec, s[38:39]
	s_cbranch_execz .LBB245_110
.LBB245_404:
	v_mov_b32_e32 v8, 0
	v_cmp_ne_u16_sdwa s[40:41], v5, v8 src0_sel:BYTE_0 src1_sel:DWORD
	s_andn2_b64 s[36:37], s[36:37], exec
	s_and_b64 s[40:41], s[40:41], exec
	s_or_b64 s[36:37], s[36:37], s[40:41]
	s_or_b64 exec, exec, s[38:39]
	s_and_saveexec_b64 s[38:39], s[36:37]
	s_cbranch_execnz .LBB245_111
	s_branch .LBB245_112
.LBB245_405:
	s_movk_i32 s38, 0x80
	v_cmp_eq_u16_e32 vcc, s38, v6
	s_mov_b64 s[38:39], -1
	s_and_saveexec_b64 s[42:43], vcc
; %bb.406:
	s_xor_b64 s[38:39], exec, -1
; %bb.407:
	s_or_b64 exec, exec, s[42:43]
	s_and_b64 s[38:39], s[38:39], exec
                                        ; implicit-def: $vgpr6
	s_or_saveexec_b64 s[40:41], s[40:41]
	v_mov_b32_e32 v5, 0x7f800001
	s_xor_b64 exec, exec, s[40:41]
	s_cbranch_execz .LBB245_116
.LBB245_408:
	v_cmp_ne_u16_e32 vcc, 0, v6
	s_andn2_b64 s[38:39], s[38:39], exec
	s_and_b64 s[42:43], vcc, exec
	v_mov_b32_e32 v5, 0
	s_or_b64 s[38:39], s[38:39], s[42:43]
	s_or_b64 exec, exec, s[40:41]
	s_and_saveexec_b64 s[40:41], s[38:39]
	s_cbranch_execnz .LBB245_117
	s_branch .LBB245_118
.LBB245_409:
	s_movk_i32 s38, 0x80
	v_cmp_eq_u16_e32 vcc, s38, v6
	s_mov_b64 s[38:39], -1
	s_and_saveexec_b64 s[42:43], vcc
; %bb.410:
	s_xor_b64 s[38:39], exec, -1
; %bb.411:
	s_or_b64 exec, exec, s[42:43]
	s_and_b64 s[38:39], s[38:39], exec
                                        ; implicit-def: $vgpr6
	s_or_saveexec_b64 s[40:41], s[40:41]
	v_mov_b32_e32 v7, 0x7f800001
	s_xor_b64 exec, exec, s[40:41]
	s_cbranch_execz .LBB245_120
.LBB245_412:
	v_cmp_ne_u16_e32 vcc, 0, v6
	s_andn2_b64 s[38:39], s[38:39], exec
	s_and_b64 s[42:43], vcc, exec
	v_mov_b32_e32 v7, 0
	s_or_b64 s[38:39], s[38:39], s[42:43]
	s_or_b64 exec, exec, s[40:41]
	s_and_saveexec_b64 s[40:41], s[38:39]
	s_cbranch_execnz .LBB245_121
	s_branch .LBB245_122
.LBB245_413:
	s_movk_i32 s40, 0x80
	v_cmp_eq_u16_sdwa s[46:47], v3, s40 src0_sel:BYTE_3 src1_sel:DWORD
	s_mov_b64 s[40:41], -1
	s_and_saveexec_b64 s[44:45], s[46:47]
; %bb.414:
	s_xor_b64 s[40:41], exec, -1
; %bb.415:
	s_or_b64 exec, exec, s[44:45]
	s_and_b64 s[40:41], s[40:41], exec
	s_or_saveexec_b64 s[42:43], s[42:43]
	v_mov_b32_e32 v5, 0x7f800001
	s_xor_b64 exec, exec, s[42:43]
	s_cbranch_execz .LBB245_126
.LBB245_416:
	v_mov_b32_e32 v5, 0
	v_cmp_ne_u16_sdwa s[44:45], v3, v5 src0_sel:BYTE_3 src1_sel:DWORD
	s_andn2_b64 s[40:41], s[40:41], exec
	s_and_b64 s[44:45], s[44:45], exec
	s_or_b64 s[40:41], s[40:41], s[44:45]
	s_or_b64 exec, exec, s[42:43]
	s_and_saveexec_b64 s[42:43], s[40:41]
	s_cbranch_execnz .LBB245_127
	s_branch .LBB245_128
.LBB245_417:
	s_movk_i32 s40, 0x80
	v_cmp_eq_u16_sdwa s[46:47], v1, s40 src0_sel:BYTE_3 src1_sel:DWORD
	s_mov_b64 s[40:41], -1
	s_and_saveexec_b64 s[44:45], s[46:47]
; %bb.418:
	s_xor_b64 s[40:41], exec, -1
; %bb.419:
	s_or_b64 exec, exec, s[44:45]
	s_and_b64 s[40:41], s[40:41], exec
	s_or_saveexec_b64 s[42:43], s[42:43]
	v_mov_b32_e32 v6, 0x7f800001
	s_xor_b64 exec, exec, s[42:43]
	s_cbranch_execz .LBB245_130
.LBB245_420:
	v_mov_b32_e32 v6, 0
	v_cmp_ne_u16_sdwa s[44:45], v1, v6 src0_sel:BYTE_3 src1_sel:DWORD
	s_andn2_b64 s[40:41], s[40:41], exec
	s_and_b64 s[44:45], s[44:45], exec
	s_or_b64 s[40:41], s[40:41], s[44:45]
	s_or_b64 exec, exec, s[42:43]
	s_and_saveexec_b64 s[42:43], s[40:41]
	s_cbranch_execnz .LBB245_131
	s_branch .LBB245_132
.LBB245_421:
	s_movk_i32 s42, 0x80
	v_cmp_eq_u16_sdwa s[48:49], v4, s42 src0_sel:BYTE_0 src1_sel:DWORD
	s_mov_b64 s[42:43], -1
	s_and_saveexec_b64 s[46:47], s[48:49]
; %bb.422:
	s_xor_b64 s[42:43], exec, -1
; %bb.423:
	s_or_b64 exec, exec, s[46:47]
	s_and_b64 s[42:43], s[42:43], exec
	s_or_saveexec_b64 s[44:45], s[44:45]
	v_mov_b32_e32 v1, 0x7f800001
	s_xor_b64 exec, exec, s[44:45]
	s_cbranch_execz .LBB245_136
.LBB245_424:
	v_mov_b32_e32 v1, 0
	v_cmp_ne_u16_sdwa s[46:47], v4, v1 src0_sel:BYTE_0 src1_sel:DWORD
	s_andn2_b64 s[42:43], s[42:43], exec
	s_and_b64 s[46:47], s[46:47], exec
	s_or_b64 s[42:43], s[42:43], s[46:47]
	s_or_b64 exec, exec, s[44:45]
	s_and_saveexec_b64 s[44:45], s[42:43]
	s_cbranch_execnz .LBB245_137
	s_branch .LBB245_138
.LBB245_425:
	s_movk_i32 s42, 0x80
	v_cmp_eq_u16_sdwa s[48:49], v2, s42 src0_sel:BYTE_0 src1_sel:DWORD
	s_mov_b64 s[42:43], -1
	s_and_saveexec_b64 s[46:47], s[48:49]
; %bb.426:
	s_xor_b64 s[42:43], exec, -1
; %bb.427:
	s_or_b64 exec, exec, s[46:47]
	s_and_b64 s[42:43], s[42:43], exec
	s_or_saveexec_b64 s[44:45], s[44:45]
	v_mov_b32_e32 v3, 0x7f800001
	s_xor_b64 exec, exec, s[44:45]
	s_cbranch_execz .LBB245_140
.LBB245_428:
	v_mov_b32_e32 v3, 0
	v_cmp_ne_u16_sdwa s[46:47], v2, v3 src0_sel:BYTE_0 src1_sel:DWORD
	s_andn2_b64 s[42:43], s[42:43], exec
	s_and_b64 s[46:47], s[46:47], exec
	s_or_b64 s[42:43], s[42:43], s[46:47]
	s_or_b64 exec, exec, s[44:45]
	s_and_saveexec_b64 s[44:45], s[42:43]
	s_cbranch_execnz .LBB245_141
	s_branch .LBB245_142
.LBB245_429:
	s_movk_i32 s44, 0x80
	v_cmp_eq_u16_sdwa s[50:51], v3, s44 src0_sel:BYTE_0 src1_sel:DWORD
	s_mov_b64 s[44:45], -1
	s_and_saveexec_b64 s[48:49], s[50:51]
; %bb.430:
	s_xor_b64 s[44:45], exec, -1
; %bb.431:
	s_or_b64 exec, exec, s[48:49]
	s_and_b64 s[44:45], s[44:45], exec
	s_or_saveexec_b64 s[46:47], s[46:47]
	v_mov_b32_e32 v5, 0x7f800001
	s_xor_b64 exec, exec, s[46:47]
	s_cbranch_execz .LBB245_146
.LBB245_432:
	v_mov_b32_e32 v5, 0
	v_cmp_ne_u16_sdwa s[48:49], v3, v5 src0_sel:BYTE_0 src1_sel:DWORD
	s_andn2_b64 s[44:45], s[44:45], exec
	s_and_b64 s[48:49], s[48:49], exec
	s_or_b64 s[44:45], s[44:45], s[48:49]
	s_or_b64 exec, exec, s[46:47]
	s_and_saveexec_b64 s[46:47], s[44:45]
	s_cbranch_execnz .LBB245_147
	s_branch .LBB245_148
.LBB245_433:
	s_movk_i32 s44, 0x80
	v_cmp_eq_u16_sdwa s[50:51], v1, s44 src0_sel:BYTE_0 src1_sel:DWORD
	s_mov_b64 s[44:45], -1
	s_and_saveexec_b64 s[48:49], s[50:51]
; %bb.434:
	s_xor_b64 s[44:45], exec, -1
; %bb.435:
	s_or_b64 exec, exec, s[48:49]
	s_and_b64 s[44:45], s[44:45], exec
	s_or_saveexec_b64 s[46:47], s[46:47]
	v_mov_b32_e32 v6, 0x7f800001
	s_xor_b64 exec, exec, s[46:47]
	s_cbranch_execz .LBB245_150
.LBB245_436:
	v_mov_b32_e32 v6, 0
	v_cmp_ne_u16_sdwa s[48:49], v1, v6 src0_sel:BYTE_0 src1_sel:DWORD
	s_andn2_b64 s[44:45], s[44:45], exec
	s_and_b64 s[48:49], s[48:49], exec
	s_or_b64 s[44:45], s[44:45], s[48:49]
	s_or_b64 exec, exec, s[46:47]
	s_and_saveexec_b64 s[46:47], s[44:45]
	s_cbranch_execnz .LBB245_151
	s_branch .LBB245_152
.LBB245_437:
	s_movk_i32 s46, 0x80
	v_cmp_eq_u16_e32 vcc, s46, v3
	s_mov_b64 s[46:47], -1
	s_and_saveexec_b64 s[50:51], vcc
; %bb.438:
	s_xor_b64 s[46:47], exec, -1
; %bb.439:
	s_or_b64 exec, exec, s[50:51]
	s_and_b64 s[46:47], s[46:47], exec
                                        ; implicit-def: $vgpr3
	s_or_saveexec_b64 s[48:49], s[48:49]
	v_mov_b32_e32 v1, 0x7f800001
	s_xor_b64 exec, exec, s[48:49]
	s_cbranch_execz .LBB245_156
.LBB245_440:
	v_cmp_ne_u16_e32 vcc, 0, v3
	s_andn2_b64 s[46:47], s[46:47], exec
	s_and_b64 s[50:51], vcc, exec
	v_mov_b32_e32 v1, 0
	s_or_b64 s[46:47], s[46:47], s[50:51]
	s_or_b64 exec, exec, s[48:49]
	s_and_saveexec_b64 s[48:49], s[46:47]
	s_cbranch_execnz .LBB245_157
	s_branch .LBB245_158
.LBB245_441:
	s_movk_i32 s46, 0x80
	v_cmp_eq_u16_e32 vcc, s46, v3
	s_mov_b64 s[46:47], -1
	s_and_saveexec_b64 s[50:51], vcc
; %bb.442:
	s_xor_b64 s[46:47], exec, -1
; %bb.443:
	s_or_b64 exec, exec, s[50:51]
	s_and_b64 s[46:47], s[46:47], exec
                                        ; implicit-def: $vgpr3
	s_or_saveexec_b64 s[48:49], s[48:49]
	v_mov_b32_e32 v5, 0x7f800001
	s_xor_b64 exec, exec, s[48:49]
	s_cbranch_execz .LBB245_160
.LBB245_444:
	v_cmp_ne_u16_e32 vcc, 0, v3
	s_andn2_b64 s[46:47], s[46:47], exec
	s_and_b64 s[50:51], vcc, exec
	v_mov_b32_e32 v5, 0
	s_or_b64 s[46:47], s[46:47], s[50:51]
	s_or_b64 exec, exec, s[48:49]
	s_and_saveexec_b64 s[48:49], s[46:47]
	s_cbranch_execnz .LBB245_161
	s_branch .LBB245_162
.LBB245_445:
	s_movk_i32 s4, 0x80
	v_cmp_eq_u16_sdwa s[52:53], v4, s4 src0_sel:BYTE_3 src1_sel:DWORD
	s_mov_b64 s[4:5], -1
	s_and_saveexec_b64 s[50:51], s[52:53]
; %bb.446:
	s_xor_b64 s[4:5], exec, -1
; %bb.447:
	s_or_b64 exec, exec, s[50:51]
	s_and_b64 s[4:5], s[4:5], exec
	s_or_saveexec_b64 s[48:49], s[48:49]
	v_mov_b32_e32 v1, 0x7f800001
	s_xor_b64 exec, exec, s[48:49]
	s_cbranch_execz .LBB245_166
.LBB245_448:
	v_mov_b32_e32 v1, 0
	v_cmp_ne_u16_sdwa s[50:51], v4, v1 src0_sel:BYTE_3 src1_sel:DWORD
	s_andn2_b64 s[4:5], s[4:5], exec
	s_and_b64 s[50:51], s[50:51], exec
	s_or_b64 s[4:5], s[4:5], s[50:51]
	s_or_b64 exec, exec, s[48:49]
	s_and_saveexec_b64 s[48:49], s[4:5]
	s_cbranch_execnz .LBB245_167
	s_branch .LBB245_168
.LBB245_449:
	s_movk_i32 s4, 0x80
	v_cmp_eq_u16_sdwa s[52:53], v2, s4 src0_sel:BYTE_3 src1_sel:DWORD
	s_mov_b64 s[4:5], -1
	s_and_saveexec_b64 s[50:51], s[52:53]
; %bb.450:
	s_xor_b64 s[4:5], exec, -1
; %bb.451:
	s_or_b64 exec, exec, s[50:51]
	s_and_b64 s[4:5], s[4:5], exec
	s_or_saveexec_b64 s[48:49], s[48:49]
	v_mov_b32_e32 v3, 0x7f800001
	s_xor_b64 exec, exec, s[48:49]
	s_cbranch_execz .LBB245_170
.LBB245_452:
	v_mov_b32_e32 v3, 0
	v_cmp_ne_u16_sdwa s[50:51], v2, v3 src0_sel:BYTE_3 src1_sel:DWORD
	s_andn2_b64 s[4:5], s[4:5], exec
	s_and_b64 s[50:51], s[50:51], exec
	s_or_b64 s[4:5], s[4:5], s[50:51]
	s_or_b64 exec, exec, s[48:49]
	s_and_saveexec_b64 s[48:49], s[4:5]
	s_cbranch_execnz .LBB245_171
	s_branch .LBB245_172
.LBB245_453:
	s_movk_i32 s4, 0x80
	v_cmp_eq_u16_sdwa s[22:23], v7, s4 src0_sel:BYTE_0 src1_sel:DWORD
	s_mov_b64 s[4:5], -1
	s_and_saveexec_b64 s[20:21], s[22:23]
; %bb.454:
	s_xor_b64 s[4:5], exec, -1
; %bb.455:
	s_or_b64 exec, exec, s[20:21]
	s_and_b64 s[4:5], s[4:5], exec
	s_or_saveexec_b64 s[16:17], s[16:17]
	v_mov_b32_e32 v10, 0x7f800001
	s_xor_b64 exec, exec, s[16:17]
	s_cbranch_execz .LBB245_16
.LBB245_456:
	v_mov_b32_e32 v10, 0
	v_cmp_ne_u16_sdwa s[20:21], v7, v10 src0_sel:BYTE_0 src1_sel:DWORD
	s_andn2_b64 s[4:5], s[4:5], exec
	s_and_b64 s[20:21], s[20:21], exec
	s_or_b64 s[4:5], s[4:5], s[20:21]
	s_or_b64 exec, exec, s[16:17]
	s_and_saveexec_b64 s[16:17], s[4:5]
	s_cbranch_execnz .LBB245_17
	s_branch .LBB245_18
.LBB245_457:
	s_movk_i32 s4, 0x80
	v_cmp_eq_u16_sdwa s[22:23], v5, s4 src0_sel:BYTE_0 src1_sel:DWORD
	s_mov_b64 s[4:5], -1
	s_and_saveexec_b64 s[20:21], s[22:23]
; %bb.458:
	s_xor_b64 s[4:5], exec, -1
; %bb.459:
	s_or_b64 exec, exec, s[20:21]
	s_and_b64 s[4:5], s[4:5], exec
	s_or_saveexec_b64 s[16:17], s[16:17]
	v_mov_b32_e32 v11, 0x7f800001
	s_xor_b64 exec, exec, s[16:17]
	s_cbranch_execz .LBB245_20
.LBB245_460:
	v_mov_b32_e32 v11, 0
	v_cmp_ne_u16_sdwa s[20:21], v5, v11 src0_sel:BYTE_0 src1_sel:DWORD
	s_andn2_b64 s[4:5], s[4:5], exec
	s_and_b64 s[20:21], s[20:21], exec
	s_or_b64 s[4:5], s[4:5], s[20:21]
	s_or_b64 exec, exec, s[16:17]
	s_and_saveexec_b64 s[16:17], s[4:5]
	s_cbranch_execnz .LBB245_21
	s_branch .LBB245_22
.LBB245_461:
	s_movk_i32 s18, 0x80
	v_cmp_eq_u16_sdwa s[24:25], v11, s18 src0_sel:BYTE_0 src1_sel:DWORD
	s_mov_b64 s[18:19], -1
	s_and_saveexec_b64 s[22:23], s[24:25]
; %bb.462:
	s_xor_b64 s[18:19], exec, -1
; %bb.463:
	s_or_b64 exec, exec, s[22:23]
	s_and_b64 s[18:19], s[18:19], exec
	s_or_saveexec_b64 s[20:21], s[20:21]
	v_mov_b32_e32 v12, 0x7f800001
	s_xor_b64 exec, exec, s[20:21]
	s_cbranch_execz .LBB245_176
.LBB245_464:
	v_mov_b32_e32 v12, 0
	v_cmp_ne_u16_sdwa s[22:23], v11, v12 src0_sel:BYTE_0 src1_sel:DWORD
	s_andn2_b64 s[18:19], s[18:19], exec
	s_and_b64 s[22:23], s[22:23], exec
	s_or_b64 s[18:19], s[18:19], s[22:23]
	s_or_b64 exec, exec, s[20:21]
	s_and_saveexec_b64 s[20:21], s[18:19]
	s_cbranch_execnz .LBB245_177
	s_branch .LBB245_178
.LBB245_465:
	s_movk_i32 s18, 0x80
	v_cmp_eq_u16_sdwa s[24:25], v10, s18 src0_sel:BYTE_0 src1_sel:DWORD
	s_mov_b64 s[18:19], -1
	s_and_saveexec_b64 s[22:23], s[24:25]
; %bb.466:
	s_xor_b64 s[18:19], exec, -1
; %bb.467:
	s_or_b64 exec, exec, s[22:23]
	s_and_b64 s[18:19], s[18:19], exec
	s_or_saveexec_b64 s[20:21], s[20:21]
	v_mov_b32_e32 v11, 0x7f800001
	s_xor_b64 exec, exec, s[20:21]
	s_cbranch_execz .LBB245_180
.LBB245_468:
	v_mov_b32_e32 v11, 0
	v_cmp_ne_u16_sdwa s[22:23], v10, v11 src0_sel:BYTE_0 src1_sel:DWORD
	s_andn2_b64 s[18:19], s[18:19], exec
	s_and_b64 s[22:23], s[22:23], exec
	s_or_b64 s[18:19], s[18:19], s[22:23]
	s_or_b64 exec, exec, s[20:21]
	s_and_saveexec_b64 s[20:21], s[18:19]
	s_cbranch_execnz .LBB245_181
	s_branch .LBB245_182
.LBB245_469:
	s_movk_i32 s20, 0x80
	v_cmp_eq_u16_e32 vcc, s20, v11
	s_mov_b64 s[20:21], -1
	s_and_saveexec_b64 s[24:25], vcc
; %bb.470:
	s_xor_b64 s[20:21], exec, -1
; %bb.471:
	s_or_b64 exec, exec, s[24:25]
	s_and_b64 s[20:21], s[20:21], exec
                                        ; implicit-def: $vgpr11
	s_or_saveexec_b64 s[22:23], s[22:23]
	v_mov_b32_e32 v10, 0x7f800001
	s_xor_b64 exec, exec, s[22:23]
	s_cbranch_execz .LBB245_186
.LBB245_472:
	v_cmp_ne_u16_e32 vcc, 0, v11
	s_andn2_b64 s[20:21], s[20:21], exec
	s_and_b64 s[24:25], vcc, exec
	v_mov_b32_e32 v10, 0
	s_or_b64 s[20:21], s[20:21], s[24:25]
	s_or_b64 exec, exec, s[22:23]
	s_and_saveexec_b64 s[22:23], s[20:21]
	s_cbranch_execnz .LBB245_187
	s_branch .LBB245_188
.LBB245_473:
	s_movk_i32 s20, 0x80
	v_cmp_eq_u16_e32 vcc, s20, v11
	s_mov_b64 s[20:21], -1
	s_and_saveexec_b64 s[24:25], vcc
; %bb.474:
	s_xor_b64 s[20:21], exec, -1
; %bb.475:
	s_or_b64 exec, exec, s[24:25]
	s_and_b64 s[20:21], s[20:21], exec
                                        ; implicit-def: $vgpr11
	s_or_saveexec_b64 s[22:23], s[22:23]
	v_mov_b32_e32 v12, 0x7f800001
	s_xor_b64 exec, exec, s[22:23]
	s_cbranch_execz .LBB245_190
.LBB245_476:
	v_cmp_ne_u16_e32 vcc, 0, v11
	s_andn2_b64 s[20:21], s[20:21], exec
	s_and_b64 s[24:25], vcc, exec
	v_mov_b32_e32 v12, 0
	s_or_b64 s[20:21], s[20:21], s[24:25]
	s_or_b64 exec, exec, s[22:23]
	s_and_saveexec_b64 s[22:23], s[20:21]
	s_cbranch_execnz .LBB245_191
	s_branch .LBB245_192
.LBB245_477:
	s_movk_i32 s22, 0x80
	v_cmp_eq_u16_sdwa s[28:29], v7, s22 src0_sel:BYTE_3 src1_sel:DWORD
	s_mov_b64 s[22:23], -1
	s_and_saveexec_b64 s[26:27], s[28:29]
; %bb.478:
	s_xor_b64 s[22:23], exec, -1
; %bb.479:
	s_or_b64 exec, exec, s[26:27]
	s_and_b64 s[22:23], s[22:23], exec
	s_or_saveexec_b64 s[24:25], s[24:25]
	v_mov_b32_e32 v10, 0x7f800001
	s_xor_b64 exec, exec, s[24:25]
	s_cbranch_execz .LBB245_196
.LBB245_480:
	v_mov_b32_e32 v10, 0
	v_cmp_ne_u16_sdwa s[26:27], v7, v10 src0_sel:BYTE_3 src1_sel:DWORD
	s_andn2_b64 s[22:23], s[22:23], exec
	s_and_b64 s[26:27], s[26:27], exec
	s_or_b64 s[22:23], s[22:23], s[26:27]
	s_or_b64 exec, exec, s[24:25]
	s_and_saveexec_b64 s[24:25], s[22:23]
	s_cbranch_execnz .LBB245_197
	s_branch .LBB245_198
.LBB245_481:
	s_movk_i32 s22, 0x80
	v_cmp_eq_u16_sdwa s[28:29], v5, s22 src0_sel:BYTE_3 src1_sel:DWORD
	s_mov_b64 s[22:23], -1
	s_and_saveexec_b64 s[26:27], s[28:29]
; %bb.482:
	s_xor_b64 s[22:23], exec, -1
; %bb.483:
	s_or_b64 exec, exec, s[26:27]
	s_and_b64 s[22:23], s[22:23], exec
	s_or_saveexec_b64 s[24:25], s[24:25]
	v_mov_b32_e32 v7, 0x7f800001
	s_xor_b64 exec, exec, s[24:25]
	s_cbranch_execz .LBB245_200
.LBB245_484:
	v_mov_b32_e32 v7, 0
	v_cmp_ne_u16_sdwa s[26:27], v5, v7 src0_sel:BYTE_3 src1_sel:DWORD
	s_andn2_b64 s[22:23], s[22:23], exec
	s_and_b64 s[26:27], s[26:27], exec
	s_or_b64 s[22:23], s[22:23], s[26:27]
	s_or_b64 exec, exec, s[24:25]
	s_and_saveexec_b64 s[24:25], s[22:23]
	s_cbranch_execnz .LBB245_201
	s_branch .LBB245_202
.LBB245_485:
	s_movk_i32 s24, 0x80
	v_cmp_eq_u16_sdwa s[30:31], v8, s24 src0_sel:BYTE_0 src1_sel:DWORD
	s_mov_b64 s[24:25], -1
	s_and_saveexec_b64 s[28:29], s[30:31]
; %bb.486:
	s_xor_b64 s[24:25], exec, -1
; %bb.487:
	s_or_b64 exec, exec, s[28:29]
	s_and_b64 s[24:25], s[24:25], exec
	s_or_saveexec_b64 s[26:27], s[26:27]
	v_mov_b32_e32 v5, 0x7f800001
	s_xor_b64 exec, exec, s[26:27]
	s_cbranch_execz .LBB245_206
.LBB245_488:
	v_mov_b32_e32 v5, 0
	v_cmp_ne_u16_sdwa s[28:29], v8, v5 src0_sel:BYTE_0 src1_sel:DWORD
	s_andn2_b64 s[24:25], s[24:25], exec
	s_and_b64 s[28:29], s[28:29], exec
	s_or_b64 s[24:25], s[24:25], s[28:29]
	s_or_b64 exec, exec, s[26:27]
	s_and_saveexec_b64 s[26:27], s[24:25]
	s_cbranch_execnz .LBB245_207
	s_branch .LBB245_208
.LBB245_489:
	s_movk_i32 s24, 0x80
	v_cmp_eq_u16_sdwa s[30:31], v6, s24 src0_sel:BYTE_0 src1_sel:DWORD
	s_mov_b64 s[24:25], -1
	s_and_saveexec_b64 s[28:29], s[30:31]
; %bb.490:
	s_xor_b64 s[24:25], exec, -1
; %bb.491:
	s_or_b64 exec, exec, s[28:29]
	s_and_b64 s[24:25], s[24:25], exec
	s_or_saveexec_b64 s[26:27], s[26:27]
	v_mov_b32_e32 v7, 0x7f800001
	s_xor_b64 exec, exec, s[26:27]
	s_cbranch_execz .LBB245_210
.LBB245_492:
	v_mov_b32_e32 v7, 0
	v_cmp_ne_u16_sdwa s[28:29], v6, v7 src0_sel:BYTE_0 src1_sel:DWORD
	s_andn2_b64 s[24:25], s[24:25], exec
	s_and_b64 s[28:29], s[28:29], exec
	s_or_b64 s[24:25], s[24:25], s[28:29]
	s_or_b64 exec, exec, s[26:27]
	s_and_saveexec_b64 s[26:27], s[24:25]
	s_cbranch_execnz .LBB245_211
	s_branch .LBB245_212
.LBB245_493:
	s_movk_i32 s26, 0x80
	v_cmp_eq_u16_sdwa s[34:35], v7, s26 src0_sel:BYTE_0 src1_sel:DWORD
	s_mov_b64 s[26:27], -1
	s_and_saveexec_b64 s[30:31], s[34:35]
; %bb.494:
	s_xor_b64 s[26:27], exec, -1
; %bb.495:
	s_or_b64 exec, exec, s[30:31]
	s_and_b64 s[26:27], s[26:27], exec
	s_or_saveexec_b64 s[28:29], s[28:29]
	v_mov_b32_e32 v10, 0x7f800001
	s_xor_b64 exec, exec, s[28:29]
	s_cbranch_execz .LBB245_216
.LBB245_496:
	v_mov_b32_e32 v10, 0
	v_cmp_ne_u16_sdwa s[30:31], v7, v10 src0_sel:BYTE_0 src1_sel:DWORD
	s_andn2_b64 s[26:27], s[26:27], exec
	s_and_b64 s[30:31], s[30:31], exec
	s_or_b64 s[26:27], s[26:27], s[30:31]
	s_or_b64 exec, exec, s[28:29]
	s_and_saveexec_b64 s[28:29], s[26:27]
	s_cbranch_execnz .LBB245_217
	s_branch .LBB245_218
.LBB245_497:
	s_movk_i32 s26, 0x80
	v_cmp_eq_u16_sdwa s[34:35], v5, s26 src0_sel:BYTE_0 src1_sel:DWORD
	s_mov_b64 s[26:27], -1
	s_and_saveexec_b64 s[30:31], s[34:35]
; %bb.498:
	s_xor_b64 s[26:27], exec, -1
; %bb.499:
	s_or_b64 exec, exec, s[30:31]
	s_and_b64 s[26:27], s[26:27], exec
	s_or_saveexec_b64 s[28:29], s[28:29]
	v_mov_b32_e32 v7, 0x7f800001
	s_xor_b64 exec, exec, s[28:29]
	s_cbranch_execz .LBB245_220
.LBB245_500:
	v_mov_b32_e32 v7, 0
	v_cmp_ne_u16_sdwa s[30:31], v5, v7 src0_sel:BYTE_0 src1_sel:DWORD
	s_andn2_b64 s[26:27], s[26:27], exec
	s_and_b64 s[30:31], s[30:31], exec
	s_or_b64 s[26:27], s[26:27], s[30:31]
	s_or_b64 exec, exec, s[28:29]
	s_and_saveexec_b64 s[28:29], s[26:27]
	s_cbranch_execnz .LBB245_221
	s_branch .LBB245_222
.LBB245_501:
	s_movk_i32 s28, 0x80
	v_cmp_eq_u16_e32 vcc, s28, v7
	s_mov_b64 s[28:29], -1
	s_and_saveexec_b64 s[34:35], vcc
; %bb.502:
	s_xor_b64 s[28:29], exec, -1
; %bb.503:
	s_or_b64 exec, exec, s[34:35]
	s_and_b64 s[28:29], s[28:29], exec
                                        ; implicit-def: $vgpr7
	s_or_saveexec_b64 s[30:31], s[30:31]
	v_mov_b32_e32 v5, 0x7f800001
	s_xor_b64 exec, exec, s[30:31]
	s_cbranch_execz .LBB245_226
.LBB245_504:
	v_cmp_ne_u16_e32 vcc, 0, v7
	s_andn2_b64 s[28:29], s[28:29], exec
	s_and_b64 s[34:35], vcc, exec
	v_mov_b32_e32 v5, 0
	s_or_b64 s[28:29], s[28:29], s[34:35]
	s_or_b64 exec, exec, s[30:31]
	s_and_saveexec_b64 s[30:31], s[28:29]
	s_cbranch_execnz .LBB245_227
	s_branch .LBB245_228
.LBB245_505:
	s_movk_i32 s28, 0x80
	v_cmp_eq_u16_e32 vcc, s28, v7
	s_mov_b64 s[28:29], -1
	s_and_saveexec_b64 s[34:35], vcc
; %bb.506:
	s_xor_b64 s[28:29], exec, -1
; %bb.507:
	s_or_b64 exec, exec, s[34:35]
	s_and_b64 s[28:29], s[28:29], exec
                                        ; implicit-def: $vgpr7
	s_or_saveexec_b64 s[30:31], s[30:31]
	v_mov_b32_e32 v10, 0x7f800001
	s_xor_b64 exec, exec, s[30:31]
	s_cbranch_execz .LBB245_230
.LBB245_508:
	v_cmp_ne_u16_e32 vcc, 0, v7
	s_andn2_b64 s[28:29], s[28:29], exec
	s_and_b64 s[34:35], vcc, exec
	v_mov_b32_e32 v10, 0
	s_or_b64 s[28:29], s[28:29], s[34:35]
	s_or_b64 exec, exec, s[30:31]
	s_and_saveexec_b64 s[30:31], s[28:29]
	s_cbranch_execnz .LBB245_231
	s_branch .LBB245_232
.LBB245_509:
	s_movk_i32 s30, 0x80
	v_cmp_eq_u16_sdwa s[38:39], v8, s30 src0_sel:BYTE_3 src1_sel:DWORD
	s_mov_b64 s[30:31], -1
	s_and_saveexec_b64 s[36:37], s[38:39]
; %bb.510:
	s_xor_b64 s[30:31], exec, -1
; %bb.511:
	s_or_b64 exec, exec, s[36:37]
	s_and_b64 s[30:31], s[30:31], exec
	s_or_saveexec_b64 s[34:35], s[34:35]
	v_mov_b32_e32 v5, 0x7f800001
	s_xor_b64 exec, exec, s[34:35]
	s_cbranch_execz .LBB245_236
.LBB245_512:
	v_mov_b32_e32 v5, 0
	v_cmp_ne_u16_sdwa s[36:37], v8, v5 src0_sel:BYTE_3 src1_sel:DWORD
	s_andn2_b64 s[30:31], s[30:31], exec
	s_and_b64 s[36:37], s[36:37], exec
	s_or_b64 s[30:31], s[30:31], s[36:37]
	s_or_b64 exec, exec, s[34:35]
	s_and_saveexec_b64 s[34:35], s[30:31]
	s_cbranch_execnz .LBB245_237
	s_branch .LBB245_238
.LBB245_513:
	s_movk_i32 s30, 0x80
	v_cmp_eq_u16_sdwa s[38:39], v6, s30 src0_sel:BYTE_3 src1_sel:DWORD
	s_mov_b64 s[30:31], -1
	s_and_saveexec_b64 s[36:37], s[38:39]
; %bb.514:
	s_xor_b64 s[30:31], exec, -1
; %bb.515:
	s_or_b64 exec, exec, s[36:37]
	s_and_b64 s[30:31], s[30:31], exec
	s_or_saveexec_b64 s[34:35], s[34:35]
	v_mov_b32_e32 v7, 0x7f800001
	s_xor_b64 exec, exec, s[34:35]
	s_cbranch_execz .LBB245_240
.LBB245_516:
	v_mov_b32_e32 v7, 0
	v_cmp_ne_u16_sdwa s[36:37], v6, v7 src0_sel:BYTE_3 src1_sel:DWORD
	s_andn2_b64 s[30:31], s[30:31], exec
	s_and_b64 s[36:37], s[36:37], exec
	s_or_b64 s[30:31], s[30:31], s[36:37]
	s_or_b64 exec, exec, s[34:35]
	s_and_saveexec_b64 s[34:35], s[30:31]
	s_cbranch_execnz .LBB245_241
	s_branch .LBB245_242
.LBB245_517:
	s_movk_i32 s34, 0x80
	v_cmp_eq_u16_sdwa s[40:41], v3, s34 src0_sel:BYTE_0 src1_sel:DWORD
	s_mov_b64 s[34:35], -1
	s_and_saveexec_b64 s[38:39], s[40:41]
; %bb.518:
	s_xor_b64 s[34:35], exec, -1
; %bb.519:
	s_or_b64 exec, exec, s[38:39]
	s_and_b64 s[34:35], s[34:35], exec
	s_or_saveexec_b64 s[36:37], s[36:37]
	v_mov_b32_e32 v5, 0x7f800001
	s_xor_b64 exec, exec, s[36:37]
	s_cbranch_execz .LBB245_246
.LBB245_520:
	v_mov_b32_e32 v5, 0
	v_cmp_ne_u16_sdwa s[38:39], v3, v5 src0_sel:BYTE_0 src1_sel:DWORD
	s_andn2_b64 s[34:35], s[34:35], exec
	s_and_b64 s[38:39], s[38:39], exec
	s_or_b64 s[34:35], s[34:35], s[38:39]
	s_or_b64 exec, exec, s[36:37]
	s_and_saveexec_b64 s[36:37], s[34:35]
	s_cbranch_execnz .LBB245_247
	s_branch .LBB245_248
.LBB245_521:
	s_movk_i32 s34, 0x80
	v_cmp_eq_u16_sdwa s[40:41], v1, s34 src0_sel:BYTE_0 src1_sel:DWORD
	s_mov_b64 s[34:35], -1
	s_and_saveexec_b64 s[38:39], s[40:41]
; %bb.522:
	s_xor_b64 s[34:35], exec, -1
; %bb.523:
	s_or_b64 exec, exec, s[38:39]
	s_and_b64 s[34:35], s[34:35], exec
	s_or_saveexec_b64 s[36:37], s[36:37]
	v_mov_b32_e32 v6, 0x7f800001
	s_xor_b64 exec, exec, s[36:37]
	s_cbranch_execz .LBB245_250
.LBB245_524:
	v_mov_b32_e32 v6, 0
	v_cmp_ne_u16_sdwa s[38:39], v1, v6 src0_sel:BYTE_0 src1_sel:DWORD
	s_andn2_b64 s[34:35], s[34:35], exec
	s_and_b64 s[38:39], s[38:39], exec
	s_or_b64 s[34:35], s[34:35], s[38:39]
	s_or_b64 exec, exec, s[36:37]
	s_and_saveexec_b64 s[36:37], s[34:35]
	s_cbranch_execnz .LBB245_251
	s_branch .LBB245_252
.LBB245_525:
	s_movk_i32 s36, 0x80
	v_cmp_eq_u16_sdwa s[42:43], v6, s36 src0_sel:BYTE_0 src1_sel:DWORD
	s_mov_b64 s[36:37], -1
	s_and_saveexec_b64 s[40:41], s[42:43]
; %bb.526:
	s_xor_b64 s[36:37], exec, -1
; %bb.527:
	s_or_b64 exec, exec, s[40:41]
	s_and_b64 s[36:37], s[36:37], exec
	s_or_saveexec_b64 s[38:39], s[38:39]
	v_mov_b32_e32 v7, 0x7f800001
	s_xor_b64 exec, exec, s[38:39]
	s_cbranch_execz .LBB245_256
.LBB245_528:
	v_mov_b32_e32 v7, 0
	v_cmp_ne_u16_sdwa s[40:41], v6, v7 src0_sel:BYTE_0 src1_sel:DWORD
	s_andn2_b64 s[36:37], s[36:37], exec
	s_and_b64 s[40:41], s[40:41], exec
	s_or_b64 s[36:37], s[36:37], s[40:41]
	s_or_b64 exec, exec, s[38:39]
	s_and_saveexec_b64 s[38:39], s[36:37]
	s_cbranch_execnz .LBB245_257
	s_branch .LBB245_258
.LBB245_529:
	s_movk_i32 s36, 0x80
	v_cmp_eq_u16_sdwa s[42:43], v5, s36 src0_sel:BYTE_0 src1_sel:DWORD
	s_mov_b64 s[36:37], -1
	s_and_saveexec_b64 s[40:41], s[42:43]
; %bb.530:
	s_xor_b64 s[36:37], exec, -1
; %bb.531:
	s_or_b64 exec, exec, s[40:41]
	s_and_b64 s[36:37], s[36:37], exec
	s_or_saveexec_b64 s[38:39], s[38:39]
	v_mov_b32_e32 v6, 0x7f800001
	s_xor_b64 exec, exec, s[38:39]
	s_cbranch_execz .LBB245_260
.LBB245_532:
	v_mov_b32_e32 v6, 0
	v_cmp_ne_u16_sdwa s[40:41], v5, v6 src0_sel:BYTE_0 src1_sel:DWORD
	s_andn2_b64 s[36:37], s[36:37], exec
	s_and_b64 s[40:41], s[40:41], exec
	s_or_b64 s[36:37], s[36:37], s[40:41]
	s_or_b64 exec, exec, s[38:39]
	s_and_saveexec_b64 s[38:39], s[36:37]
	s_cbranch_execnz .LBB245_261
	s_branch .LBB245_262
.LBB245_533:
	s_movk_i32 s38, 0x80
	v_cmp_eq_u16_e32 vcc, s38, v6
	s_mov_b64 s[38:39], -1
	s_and_saveexec_b64 s[42:43], vcc
; %bb.534:
	s_xor_b64 s[38:39], exec, -1
; %bb.535:
	s_or_b64 exec, exec, s[42:43]
	s_and_b64 s[38:39], s[38:39], exec
                                        ; implicit-def: $vgpr6
	s_or_saveexec_b64 s[40:41], s[40:41]
	v_mov_b32_e32 v5, 0x7f800001
	s_xor_b64 exec, exec, s[40:41]
	s_cbranch_execz .LBB245_266
.LBB245_536:
	v_cmp_ne_u16_e32 vcc, 0, v6
	s_andn2_b64 s[38:39], s[38:39], exec
	s_and_b64 s[42:43], vcc, exec
	v_mov_b32_e32 v5, 0
	s_or_b64 s[38:39], s[38:39], s[42:43]
	s_or_b64 exec, exec, s[40:41]
	s_and_saveexec_b64 s[40:41], s[38:39]
	s_cbranch_execnz .LBB245_267
	s_branch .LBB245_268
.LBB245_537:
	s_movk_i32 s38, 0x80
	v_cmp_eq_u16_e32 vcc, s38, v6
	s_mov_b64 s[38:39], -1
	s_and_saveexec_b64 s[42:43], vcc
; %bb.538:
	s_xor_b64 s[38:39], exec, -1
; %bb.539:
	s_or_b64 exec, exec, s[42:43]
	s_and_b64 s[38:39], s[38:39], exec
                                        ; implicit-def: $vgpr6
	s_or_saveexec_b64 s[40:41], s[40:41]
	v_mov_b32_e32 v7, 0x7f800001
	s_xor_b64 exec, exec, s[40:41]
	s_cbranch_execz .LBB245_270
.LBB245_540:
	v_cmp_ne_u16_e32 vcc, 0, v6
	s_andn2_b64 s[38:39], s[38:39], exec
	s_and_b64 s[42:43], vcc, exec
	v_mov_b32_e32 v7, 0
	s_or_b64 s[38:39], s[38:39], s[42:43]
	s_or_b64 exec, exec, s[40:41]
	s_and_saveexec_b64 s[40:41], s[38:39]
	s_cbranch_execnz .LBB245_271
	s_branch .LBB245_272
.LBB245_541:
	s_movk_i32 s40, 0x80
	v_cmp_eq_u16_sdwa s[46:47], v3, s40 src0_sel:BYTE_3 src1_sel:DWORD
	s_mov_b64 s[40:41], -1
	s_and_saveexec_b64 s[44:45], s[46:47]
; %bb.542:
	s_xor_b64 s[40:41], exec, -1
; %bb.543:
	s_or_b64 exec, exec, s[44:45]
	s_and_b64 s[40:41], s[40:41], exec
	s_or_saveexec_b64 s[42:43], s[42:43]
	v_mov_b32_e32 v5, 0x7f800001
	s_xor_b64 exec, exec, s[42:43]
	s_cbranch_execz .LBB245_276
.LBB245_544:
	v_mov_b32_e32 v5, 0
	v_cmp_ne_u16_sdwa s[44:45], v3, v5 src0_sel:BYTE_3 src1_sel:DWORD
	s_andn2_b64 s[40:41], s[40:41], exec
	s_and_b64 s[44:45], s[44:45], exec
	s_or_b64 s[40:41], s[40:41], s[44:45]
	s_or_b64 exec, exec, s[42:43]
	s_and_saveexec_b64 s[42:43], s[40:41]
	s_cbranch_execnz .LBB245_277
	s_branch .LBB245_278
.LBB245_545:
	s_movk_i32 s40, 0x80
	v_cmp_eq_u16_sdwa s[46:47], v1, s40 src0_sel:BYTE_3 src1_sel:DWORD
	s_mov_b64 s[40:41], -1
	s_and_saveexec_b64 s[44:45], s[46:47]
; %bb.546:
	s_xor_b64 s[40:41], exec, -1
; %bb.547:
	s_or_b64 exec, exec, s[44:45]
	s_and_b64 s[40:41], s[40:41], exec
	s_or_saveexec_b64 s[42:43], s[42:43]
	v_mov_b32_e32 v3, 0x7f800001
	s_xor_b64 exec, exec, s[42:43]
	s_cbranch_execz .LBB245_280
.LBB245_548:
	v_mov_b32_e32 v3, 0
	v_cmp_ne_u16_sdwa s[44:45], v1, v3 src0_sel:BYTE_3 src1_sel:DWORD
	s_andn2_b64 s[40:41], s[40:41], exec
	s_and_b64 s[44:45], s[44:45], exec
	s_or_b64 s[40:41], s[40:41], s[44:45]
	s_or_b64 exec, exec, s[42:43]
	s_and_saveexec_b64 s[42:43], s[40:41]
	s_cbranch_execnz .LBB245_281
	s_branch .LBB245_282
.LBB245_549:
	s_movk_i32 s42, 0x80
	v_cmp_eq_u16_sdwa s[48:49], v4, s42 src0_sel:BYTE_0 src1_sel:DWORD
	s_mov_b64 s[42:43], -1
	s_and_saveexec_b64 s[46:47], s[48:49]
; %bb.550:
	s_xor_b64 s[42:43], exec, -1
; %bb.551:
	s_or_b64 exec, exec, s[46:47]
	s_and_b64 s[42:43], s[42:43], exec
	s_or_saveexec_b64 s[44:45], s[44:45]
	v_mov_b32_e32 v1, 0x7f800001
	s_xor_b64 exec, exec, s[44:45]
	s_cbranch_execz .LBB245_286
.LBB245_552:
	v_mov_b32_e32 v1, 0
	v_cmp_ne_u16_sdwa s[46:47], v4, v1 src0_sel:BYTE_0 src1_sel:DWORD
	s_andn2_b64 s[42:43], s[42:43], exec
	s_and_b64 s[46:47], s[46:47], exec
	s_or_b64 s[42:43], s[42:43], s[46:47]
	s_or_b64 exec, exec, s[44:45]
	s_and_saveexec_b64 s[44:45], s[42:43]
	s_cbranch_execnz .LBB245_287
	s_branch .LBB245_288
.LBB245_553:
	s_movk_i32 s42, 0x80
	v_cmp_eq_u16_sdwa s[48:49], v2, s42 src0_sel:BYTE_0 src1_sel:DWORD
	s_mov_b64 s[42:43], -1
	s_and_saveexec_b64 s[46:47], s[48:49]
; %bb.554:
	s_xor_b64 s[42:43], exec, -1
; %bb.555:
	s_or_b64 exec, exec, s[46:47]
	s_and_b64 s[42:43], s[42:43], exec
	s_or_saveexec_b64 s[44:45], s[44:45]
	v_mov_b32_e32 v3, 0x7f800001
	s_xor_b64 exec, exec, s[44:45]
	s_cbranch_execz .LBB245_290
.LBB245_556:
	v_mov_b32_e32 v3, 0
	v_cmp_ne_u16_sdwa s[46:47], v2, v3 src0_sel:BYTE_0 src1_sel:DWORD
	s_andn2_b64 s[42:43], s[42:43], exec
	s_and_b64 s[46:47], s[46:47], exec
	s_or_b64 s[42:43], s[42:43], s[46:47]
	s_or_b64 exec, exec, s[44:45]
	s_and_saveexec_b64 s[44:45], s[42:43]
	s_cbranch_execnz .LBB245_291
	s_branch .LBB245_292
.LBB245_557:
	s_movk_i32 s44, 0x80
	v_cmp_eq_u16_sdwa s[50:51], v3, s44 src0_sel:BYTE_0 src1_sel:DWORD
	s_mov_b64 s[44:45], -1
	s_and_saveexec_b64 s[48:49], s[50:51]
; %bb.558:
	s_xor_b64 s[44:45], exec, -1
; %bb.559:
	s_or_b64 exec, exec, s[48:49]
	s_and_b64 s[44:45], s[44:45], exec
	s_or_saveexec_b64 s[46:47], s[46:47]
	v_mov_b32_e32 v5, 0x7f800001
	s_xor_b64 exec, exec, s[46:47]
	s_cbranch_execz .LBB245_296
.LBB245_560:
	v_mov_b32_e32 v5, 0
	v_cmp_ne_u16_sdwa s[48:49], v3, v5 src0_sel:BYTE_0 src1_sel:DWORD
	s_andn2_b64 s[44:45], s[44:45], exec
	s_and_b64 s[48:49], s[48:49], exec
	s_or_b64 s[44:45], s[44:45], s[48:49]
	s_or_b64 exec, exec, s[46:47]
	s_and_saveexec_b64 s[46:47], s[44:45]
	s_cbranch_execnz .LBB245_297
	s_branch .LBB245_298
.LBB245_561:
	s_movk_i32 s44, 0x80
	v_cmp_eq_u16_sdwa s[50:51], v1, s44 src0_sel:BYTE_0 src1_sel:DWORD
	s_mov_b64 s[44:45], -1
	s_and_saveexec_b64 s[48:49], s[50:51]
; %bb.562:
	s_xor_b64 s[44:45], exec, -1
; %bb.563:
	s_or_b64 exec, exec, s[48:49]
	s_and_b64 s[44:45], s[44:45], exec
	s_or_saveexec_b64 s[46:47], s[46:47]
	v_mov_b32_e32 v3, 0x7f800001
	s_xor_b64 exec, exec, s[46:47]
	s_cbranch_execz .LBB245_300
.LBB245_564:
	v_mov_b32_e32 v3, 0
	v_cmp_ne_u16_sdwa s[48:49], v1, v3 src0_sel:BYTE_0 src1_sel:DWORD
	s_andn2_b64 s[44:45], s[44:45], exec
	s_and_b64 s[48:49], s[48:49], exec
	s_or_b64 s[44:45], s[44:45], s[48:49]
	s_or_b64 exec, exec, s[46:47]
	s_and_saveexec_b64 s[46:47], s[44:45]
	s_cbranch_execnz .LBB245_301
	s_branch .LBB245_302
.LBB245_565:
	s_movk_i32 s46, 0x80
	v_cmp_eq_u16_e32 vcc, s46, v3
	s_mov_b64 s[46:47], -1
	s_and_saveexec_b64 s[50:51], vcc
; %bb.566:
	s_xor_b64 s[46:47], exec, -1
; %bb.567:
	s_or_b64 exec, exec, s[50:51]
	s_and_b64 s[46:47], s[46:47], exec
                                        ; implicit-def: $vgpr3
	s_or_saveexec_b64 s[48:49], s[48:49]
	v_mov_b32_e32 v1, 0x7f800001
	s_xor_b64 exec, exec, s[48:49]
	s_cbranch_execz .LBB245_306
.LBB245_568:
	v_cmp_ne_u16_e32 vcc, 0, v3
	s_andn2_b64 s[46:47], s[46:47], exec
	s_and_b64 s[50:51], vcc, exec
	v_mov_b32_e32 v1, 0
	s_or_b64 s[46:47], s[46:47], s[50:51]
	s_or_b64 exec, exec, s[48:49]
	s_and_saveexec_b64 s[48:49], s[46:47]
	s_cbranch_execnz .LBB245_307
	s_branch .LBB245_308
.LBB245_569:
	s_movk_i32 s46, 0x80
	v_cmp_eq_u16_e32 vcc, s46, v3
	s_mov_b64 s[46:47], -1
	s_and_saveexec_b64 s[50:51], vcc
; %bb.570:
	s_xor_b64 s[46:47], exec, -1
; %bb.571:
	s_or_b64 exec, exec, s[50:51]
	s_and_b64 s[46:47], s[46:47], exec
                                        ; implicit-def: $vgpr3
	s_or_saveexec_b64 s[48:49], s[48:49]
	v_mov_b32_e32 v5, 0x7f800001
	s_xor_b64 exec, exec, s[48:49]
	s_cbranch_execz .LBB245_310
.LBB245_572:
	v_cmp_ne_u16_e32 vcc, 0, v3
	s_andn2_b64 s[46:47], s[46:47], exec
	s_and_b64 s[50:51], vcc, exec
	v_mov_b32_e32 v5, 0
	s_or_b64 s[46:47], s[46:47], s[50:51]
	s_or_b64 exec, exec, s[48:49]
	s_and_saveexec_b64 s[48:49], s[46:47]
	s_cbranch_execnz .LBB245_311
	s_branch .LBB245_312
.LBB245_573:
	s_movk_i32 s4, 0x80
	v_cmp_eq_u16_sdwa s[52:53], v4, s4 src0_sel:BYTE_3 src1_sel:DWORD
	s_mov_b64 s[4:5], -1
	s_and_saveexec_b64 s[50:51], s[52:53]
; %bb.574:
	s_xor_b64 s[4:5], exec, -1
; %bb.575:
	s_or_b64 exec, exec, s[50:51]
	s_and_b64 s[4:5], s[4:5], exec
	s_or_saveexec_b64 s[48:49], s[48:49]
	v_mov_b32_e32 v1, 0x7f800001
	s_xor_b64 exec, exec, s[48:49]
	s_cbranch_execz .LBB245_316
.LBB245_576:
	v_mov_b32_e32 v1, 0
	v_cmp_ne_u16_sdwa s[50:51], v4, v1 src0_sel:BYTE_3 src1_sel:DWORD
	s_andn2_b64 s[4:5], s[4:5], exec
	s_and_b64 s[50:51], s[50:51], exec
	s_or_b64 s[4:5], s[4:5], s[50:51]
	s_or_b64 exec, exec, s[48:49]
	s_and_saveexec_b64 s[48:49], s[4:5]
	s_cbranch_execnz .LBB245_317
	s_branch .LBB245_318
.LBB245_577:
	s_movk_i32 s4, 0x80
	v_cmp_eq_u16_sdwa s[52:53], v2, s4 src0_sel:BYTE_3 src1_sel:DWORD
	s_mov_b64 s[4:5], -1
	s_and_saveexec_b64 s[50:51], s[52:53]
; %bb.578:
	s_xor_b64 s[4:5], exec, -1
; %bb.579:
	s_or_b64 exec, exec, s[50:51]
	s_and_b64 s[4:5], s[4:5], exec
	s_or_saveexec_b64 s[48:49], s[48:49]
	v_mov_b32_e32 v3, 0x7f800001
	s_xor_b64 exec, exec, s[48:49]
	s_cbranch_execz .LBB245_320
.LBB245_580:
	v_mov_b32_e32 v3, 0
	v_cmp_ne_u16_sdwa s[50:51], v2, v3 src0_sel:BYTE_3 src1_sel:DWORD
	s_andn2_b64 s[4:5], s[4:5], exec
	s_and_b64 s[50:51], s[50:51], exec
	s_or_b64 s[4:5], s[4:5], s[50:51]
	s_or_b64 exec, exec, s[48:49]
	s_and_saveexec_b64 s[48:49], s[4:5]
	s_cbranch_execnz .LBB245_321
	s_branch .LBB245_322
	.section	.rodata,"a",@progbits
	.p2align	6, 0x0
	.amdhsa_kernel _ZN2at6native29vectorized_elementwise_kernelILi8ENS0_13BinaryFunctorIN3c1015Float8_e5m2fnuzES4_bNS0_12_GLOBAL__N_116CompareEqFunctorIS4_EEEESt5arrayIPcLm3EEEEviT0_T1_
		.amdhsa_group_segment_fixed_size 0
		.amdhsa_private_segment_fixed_size 0
		.amdhsa_kernarg_size 32
		.amdhsa_user_sgpr_count 6
		.amdhsa_user_sgpr_private_segment_buffer 1
		.amdhsa_user_sgpr_dispatch_ptr 0
		.amdhsa_user_sgpr_queue_ptr 0
		.amdhsa_user_sgpr_kernarg_segment_ptr 1
		.amdhsa_user_sgpr_dispatch_id 0
		.amdhsa_user_sgpr_flat_scratch_init 0
		.amdhsa_user_sgpr_private_segment_size 0
		.amdhsa_uses_dynamic_stack 0
		.amdhsa_system_sgpr_private_segment_wavefront_offset 0
		.amdhsa_system_sgpr_workgroup_id_x 1
		.amdhsa_system_sgpr_workgroup_id_y 0
		.amdhsa_system_sgpr_workgroup_id_z 0
		.amdhsa_system_sgpr_workgroup_info 0
		.amdhsa_system_vgpr_workitem_id 0
		.amdhsa_next_free_vgpr 55
		.amdhsa_next_free_sgpr 57
		.amdhsa_reserve_vcc 1
		.amdhsa_reserve_flat_scratch 0
		.amdhsa_float_round_mode_32 0
		.amdhsa_float_round_mode_16_64 0
		.amdhsa_float_denorm_mode_32 3
		.amdhsa_float_denorm_mode_16_64 3
		.amdhsa_dx10_clamp 1
		.amdhsa_ieee_mode 1
		.amdhsa_fp16_overflow 0
		.amdhsa_exception_fp_ieee_invalid_op 0
		.amdhsa_exception_fp_denorm_src 0
		.amdhsa_exception_fp_ieee_div_zero 0
		.amdhsa_exception_fp_ieee_overflow 0
		.amdhsa_exception_fp_ieee_underflow 0
		.amdhsa_exception_fp_ieee_inexact 0
		.amdhsa_exception_int_div_zero 0
	.end_amdhsa_kernel
	.section	.text._ZN2at6native29vectorized_elementwise_kernelILi8ENS0_13BinaryFunctorIN3c1015Float8_e5m2fnuzES4_bNS0_12_GLOBAL__N_116CompareEqFunctorIS4_EEEESt5arrayIPcLm3EEEEviT0_T1_,"axG",@progbits,_ZN2at6native29vectorized_elementwise_kernelILi8ENS0_13BinaryFunctorIN3c1015Float8_e5m2fnuzES4_bNS0_12_GLOBAL__N_116CompareEqFunctorIS4_EEEESt5arrayIPcLm3EEEEviT0_T1_,comdat
.Lfunc_end245:
	.size	_ZN2at6native29vectorized_elementwise_kernelILi8ENS0_13BinaryFunctorIN3c1015Float8_e5m2fnuzES4_bNS0_12_GLOBAL__N_116CompareEqFunctorIS4_EEEESt5arrayIPcLm3EEEEviT0_T1_, .Lfunc_end245-_ZN2at6native29vectorized_elementwise_kernelILi8ENS0_13BinaryFunctorIN3c1015Float8_e5m2fnuzES4_bNS0_12_GLOBAL__N_116CompareEqFunctorIS4_EEEESt5arrayIPcLm3EEEEviT0_T1_
                                        ; -- End function
	.set _ZN2at6native29vectorized_elementwise_kernelILi8ENS0_13BinaryFunctorIN3c1015Float8_e5m2fnuzES4_bNS0_12_GLOBAL__N_116CompareEqFunctorIS4_EEEESt5arrayIPcLm3EEEEviT0_T1_.num_vgpr, max(32, .L_ZN2at6native25elementwise_kernel_helperILb0ENS0_13BinaryFunctorIN3c1015Float8_e5m2fnuzES4_bNS0_12_GLOBAL__N_116CompareEqFunctorIS4_EEEENS0_6memory8policies11unroll_baseILi256ESt5arrayIPcLm3EE23TrivialOffsetCalculatorILi2EjESF_ILi1EjENS9_15LoadWithoutCastENS9_16StoreWithoutCastELi16ELi1EEEEEvT0_T1_.num_vgpr)
	.set _ZN2at6native29vectorized_elementwise_kernelILi8ENS0_13BinaryFunctorIN3c1015Float8_e5m2fnuzES4_bNS0_12_GLOBAL__N_116CompareEqFunctorIS4_EEEESt5arrayIPcLm3EEEEviT0_T1_.num_agpr, max(0, .L_ZN2at6native25elementwise_kernel_helperILb0ENS0_13BinaryFunctorIN3c1015Float8_e5m2fnuzES4_bNS0_12_GLOBAL__N_116CompareEqFunctorIS4_EEEENS0_6memory8policies11unroll_baseILi256ESt5arrayIPcLm3EE23TrivialOffsetCalculatorILi2EjESF_ILi1EjENS9_15LoadWithoutCastENS9_16StoreWithoutCastELi16ELi1EEEEEvT0_T1_.num_agpr)
	.set _ZN2at6native29vectorized_elementwise_kernelILi8ENS0_13BinaryFunctorIN3c1015Float8_e5m2fnuzES4_bNS0_12_GLOBAL__N_116CompareEqFunctorIS4_EEEESt5arrayIPcLm3EEEEviT0_T1_.numbered_sgpr, max(54, .L_ZN2at6native25elementwise_kernel_helperILb0ENS0_13BinaryFunctorIN3c1015Float8_e5m2fnuzES4_bNS0_12_GLOBAL__N_116CompareEqFunctorIS4_EEEENS0_6memory8policies11unroll_baseILi256ESt5arrayIPcLm3EE23TrivialOffsetCalculatorILi2EjESF_ILi1EjENS9_15LoadWithoutCastENS9_16StoreWithoutCastELi16ELi1EEEEEvT0_T1_.numbered_sgpr)
	.set _ZN2at6native29vectorized_elementwise_kernelILi8ENS0_13BinaryFunctorIN3c1015Float8_e5m2fnuzES4_bNS0_12_GLOBAL__N_116CompareEqFunctorIS4_EEEESt5arrayIPcLm3EEEEviT0_T1_.num_named_barrier, max(0, .L_ZN2at6native25elementwise_kernel_helperILb0ENS0_13BinaryFunctorIN3c1015Float8_e5m2fnuzES4_bNS0_12_GLOBAL__N_116CompareEqFunctorIS4_EEEENS0_6memory8policies11unroll_baseILi256ESt5arrayIPcLm3EE23TrivialOffsetCalculatorILi2EjESF_ILi1EjENS9_15LoadWithoutCastENS9_16StoreWithoutCastELi16ELi1EEEEEvT0_T1_.num_named_barrier)
	.set _ZN2at6native29vectorized_elementwise_kernelILi8ENS0_13BinaryFunctorIN3c1015Float8_e5m2fnuzES4_bNS0_12_GLOBAL__N_116CompareEqFunctorIS4_EEEESt5arrayIPcLm3EEEEviT0_T1_.private_seg_size, 0+max(.L_ZN2at6native25elementwise_kernel_helperILb0ENS0_13BinaryFunctorIN3c1015Float8_e5m2fnuzES4_bNS0_12_GLOBAL__N_116CompareEqFunctorIS4_EEEENS0_6memory8policies11unroll_baseILi256ESt5arrayIPcLm3EE23TrivialOffsetCalculatorILi2EjESF_ILi1EjENS9_15LoadWithoutCastENS9_16StoreWithoutCastELi16ELi1EEEEEvT0_T1_.private_seg_size)
	.set _ZN2at6native29vectorized_elementwise_kernelILi8ENS0_13BinaryFunctorIN3c1015Float8_e5m2fnuzES4_bNS0_12_GLOBAL__N_116CompareEqFunctorIS4_EEEESt5arrayIPcLm3EEEEviT0_T1_.uses_vcc, or(1, .L_ZN2at6native25elementwise_kernel_helperILb0ENS0_13BinaryFunctorIN3c1015Float8_e5m2fnuzES4_bNS0_12_GLOBAL__N_116CompareEqFunctorIS4_EEEENS0_6memory8policies11unroll_baseILi256ESt5arrayIPcLm3EE23TrivialOffsetCalculatorILi2EjESF_ILi1EjENS9_15LoadWithoutCastENS9_16StoreWithoutCastELi16ELi1EEEEEvT0_T1_.uses_vcc)
	.set _ZN2at6native29vectorized_elementwise_kernelILi8ENS0_13BinaryFunctorIN3c1015Float8_e5m2fnuzES4_bNS0_12_GLOBAL__N_116CompareEqFunctorIS4_EEEESt5arrayIPcLm3EEEEviT0_T1_.uses_flat_scratch, or(0, .L_ZN2at6native25elementwise_kernel_helperILb0ENS0_13BinaryFunctorIN3c1015Float8_e5m2fnuzES4_bNS0_12_GLOBAL__N_116CompareEqFunctorIS4_EEEENS0_6memory8policies11unroll_baseILi256ESt5arrayIPcLm3EE23TrivialOffsetCalculatorILi2EjESF_ILi1EjENS9_15LoadWithoutCastENS9_16StoreWithoutCastELi16ELi1EEEEEvT0_T1_.uses_flat_scratch)
	.set _ZN2at6native29vectorized_elementwise_kernelILi8ENS0_13BinaryFunctorIN3c1015Float8_e5m2fnuzES4_bNS0_12_GLOBAL__N_116CompareEqFunctorIS4_EEEESt5arrayIPcLm3EEEEviT0_T1_.has_dyn_sized_stack, or(0, .L_ZN2at6native25elementwise_kernel_helperILb0ENS0_13BinaryFunctorIN3c1015Float8_e5m2fnuzES4_bNS0_12_GLOBAL__N_116CompareEqFunctorIS4_EEEENS0_6memory8policies11unroll_baseILi256ESt5arrayIPcLm3EE23TrivialOffsetCalculatorILi2EjESF_ILi1EjENS9_15LoadWithoutCastENS9_16StoreWithoutCastELi16ELi1EEEEEvT0_T1_.has_dyn_sized_stack)
	.set _ZN2at6native29vectorized_elementwise_kernelILi8ENS0_13BinaryFunctorIN3c1015Float8_e5m2fnuzES4_bNS0_12_GLOBAL__N_116CompareEqFunctorIS4_EEEESt5arrayIPcLm3EEEEviT0_T1_.has_recursion, or(0, .L_ZN2at6native25elementwise_kernel_helperILb0ENS0_13BinaryFunctorIN3c1015Float8_e5m2fnuzES4_bNS0_12_GLOBAL__N_116CompareEqFunctorIS4_EEEENS0_6memory8policies11unroll_baseILi256ESt5arrayIPcLm3EE23TrivialOffsetCalculatorILi2EjESF_ILi1EjENS9_15LoadWithoutCastENS9_16StoreWithoutCastELi16ELi1EEEEEvT0_T1_.has_recursion)
	.set _ZN2at6native29vectorized_elementwise_kernelILi8ENS0_13BinaryFunctorIN3c1015Float8_e5m2fnuzES4_bNS0_12_GLOBAL__N_116CompareEqFunctorIS4_EEEESt5arrayIPcLm3EEEEviT0_T1_.has_indirect_call, or(0, .L_ZN2at6native25elementwise_kernel_helperILb0ENS0_13BinaryFunctorIN3c1015Float8_e5m2fnuzES4_bNS0_12_GLOBAL__N_116CompareEqFunctorIS4_EEEENS0_6memory8policies11unroll_baseILi256ESt5arrayIPcLm3EE23TrivialOffsetCalculatorILi2EjESF_ILi1EjENS9_15LoadWithoutCastENS9_16StoreWithoutCastELi16ELi1EEEEEvT0_T1_.has_indirect_call)
	.section	.AMDGPU.csdata,"",@progbits
; Kernel info:
; codeLenInByte = 17148
; TotalNumSgprs: 61
; NumVgprs: 55
; ScratchSize: 0
; MemoryBound: 0
; FloatMode: 240
; IeeeMode: 1
; LDSByteSize: 0 bytes/workgroup (compile time only)
; SGPRBlocks: 7
; VGPRBlocks: 13
; NumSGPRsForWavesPerEU: 61
; NumVGPRsForWavesPerEU: 55
; Occupancy: 4
; WaveLimiterHint : 1
; COMPUTE_PGM_RSRC2:SCRATCH_EN: 0
; COMPUTE_PGM_RSRC2:USER_SGPR: 6
; COMPUTE_PGM_RSRC2:TRAP_HANDLER: 0
; COMPUTE_PGM_RSRC2:TGID_X_EN: 1
; COMPUTE_PGM_RSRC2:TGID_Y_EN: 0
; COMPUTE_PGM_RSRC2:TGID_Z_EN: 0
; COMPUTE_PGM_RSRC2:TIDIG_COMP_CNT: 0
	.section	.text._ZN2at6native29vectorized_elementwise_kernelILi4ENS0_13BinaryFunctorIN3c1015Float8_e5m2fnuzES4_bNS0_12_GLOBAL__N_116CompareEqFunctorIS4_EEEESt5arrayIPcLm3EEEEviT0_T1_,"axG",@progbits,_ZN2at6native29vectorized_elementwise_kernelILi4ENS0_13BinaryFunctorIN3c1015Float8_e5m2fnuzES4_bNS0_12_GLOBAL__N_116CompareEqFunctorIS4_EEEESt5arrayIPcLm3EEEEviT0_T1_,comdat
	.globl	_ZN2at6native29vectorized_elementwise_kernelILi4ENS0_13BinaryFunctorIN3c1015Float8_e5m2fnuzES4_bNS0_12_GLOBAL__N_116CompareEqFunctorIS4_EEEESt5arrayIPcLm3EEEEviT0_T1_ ; -- Begin function _ZN2at6native29vectorized_elementwise_kernelILi4ENS0_13BinaryFunctorIN3c1015Float8_e5m2fnuzES4_bNS0_12_GLOBAL__N_116CompareEqFunctorIS4_EEEESt5arrayIPcLm3EEEEviT0_T1_
	.p2align	8
	.type	_ZN2at6native29vectorized_elementwise_kernelILi4ENS0_13BinaryFunctorIN3c1015Float8_e5m2fnuzES4_bNS0_12_GLOBAL__N_116CompareEqFunctorIS4_EEEESt5arrayIPcLm3EEEEviT0_T1_,@function
_ZN2at6native29vectorized_elementwise_kernelILi4ENS0_13BinaryFunctorIN3c1015Float8_e5m2fnuzES4_bNS0_12_GLOBAL__N_116CompareEqFunctorIS4_EEEESt5arrayIPcLm3EEEEviT0_T1_: ; @_ZN2at6native29vectorized_elementwise_kernelILi4ENS0_13BinaryFunctorIN3c1015Float8_e5m2fnuzES4_bNS0_12_GLOBAL__N_116CompareEqFunctorIS4_EEEESt5arrayIPcLm3EEEEviT0_T1_
; %bb.0:
	s_load_dwordx2 s[12:13], s[4:5], 0x0
	s_load_dwordx4 s[8:11], s[4:5], 0x8
	s_load_dwordx2 s[14:15], s[4:5], 0x18
	s_add_u32 s0, s0, s7
	s_addc_u32 s1, s1, 0
	s_lshl_b32 s33, s6, 12
	s_waitcnt lgkmcnt(0)
	s_sub_i32 s7, s12, s33
	s_cmpk_gt_i32 s7, 0xfff
	s_mov_b64 s[4:5], -1
	s_mov_b32 s32, 0
	s_cbranch_scc1 .LBB246_3
; %bb.1:
	s_and_b64 vcc, exec, s[4:5]
	s_cbranch_vccnz .LBB246_324
.LBB246_2:
	s_endpgm
.LBB246_3:
	s_ashr_i32 s12, s33, 31
	s_add_u32 s4, s10, s33
	s_addc_u32 s5, s11, s12
	v_lshlrev_b32_e32 v1, 2, v0
	s_add_u32 s16, s14, s33
	s_addc_u32 s17, s15, s12
	global_load_dword v9, v1, s[4:5]
	global_load_dword v7, v1, s[4:5] offset:1024
	global_load_dword v5, v1, s[4:5] offset:2048
	;; [unrolled: 1-line block ×3, first 2 shown]
	global_load_dword v8, v1, s[16:17]
	global_load_dword v6, v1, s[16:17] offset:1024
	global_load_dword v4, v1, s[16:17] offset:2048
	;; [unrolled: 1-line block ×3, first 2 shown]
	s_cmp_lg_u32 s13, 0
	s_cselect_b64 s[18:19], -1, 0
	s_and_b64 vcc, exec, s[18:19]
	s_cbranch_vccz .LBB246_13
; %bb.4:
	s_movk_i32 s4, 0x7f
	s_waitcnt vmcnt(7)
	v_cmp_gt_i16_sdwa s[16:17], v9, s4 src0_sel:BYTE_0 src1_sel:DWORD
	s_mov_b64 s[4:5], 0
	s_and_saveexec_b64 s[20:21], s[16:17]
	s_xor_b64 s[16:17], exec, s[20:21]
	s_cbranch_execnz .LBB246_325
; %bb.5:
	s_or_saveexec_b64 s[16:17], s[16:17]
	v_mov_b32_e32 v10, 0x7f800001
	s_xor_b64 exec, exec, s[16:17]
	s_cbranch_execnz .LBB246_328
.LBB246_6:
	s_or_b64 exec, exec, s[16:17]
	s_and_saveexec_b64 s[16:17], s[4:5]
	s_cbranch_execz .LBB246_8
.LBB246_7:
	v_and_b32_e32 v10, 3, v9
	v_ffbh_u32_e32 v12, v10
	v_min_u32_e32 v12, 32, v12
	v_subrev_u32_e32 v13, 29, v12
	v_bfe_u32 v11, v9, 2, 5
	v_lshlrev_b32_e32 v13, v13, v9
	v_sub_u32_e32 v12, 30, v12
	v_and_b32_e32 v13, 3, v13
	v_cmp_eq_u32_e32 vcc, 0, v11
	v_cndmask_b32_e32 v11, v11, v12, vcc
	v_cndmask_b32_e32 v10, v10, v13, vcc
	v_lshlrev_b32_e32 v12, 24, v9
	v_mov_b32_e32 v13, 0x37800000
	v_lshlrev_b32_e32 v10, 21, v10
	v_and_b32_e32 v12, 0x80000000, v12
	v_lshl_add_u32 v11, v11, 23, v13
	v_or3_b32 v10, v12, v11, v10
.LBB246_8:
	s_or_b64 exec, exec, s[16:17]
	s_movk_i32 s4, 0x7f
	s_waitcnt vmcnt(3)
	v_cmp_gt_i16_sdwa s[16:17], v8, s4 src0_sel:BYTE_0 src1_sel:DWORD
	s_mov_b64 s[4:5], 0
	s_and_saveexec_b64 s[20:21], s[16:17]
	s_xor_b64 s[16:17], exec, s[20:21]
	s_cbranch_execnz .LBB246_329
; %bb.9:
	s_or_saveexec_b64 s[16:17], s[16:17]
	v_mov_b32_e32 v11, 0x7f800001
	s_xor_b64 exec, exec, s[16:17]
	s_cbranch_execnz .LBB246_332
.LBB246_10:
	s_or_b64 exec, exec, s[16:17]
	s_and_saveexec_b64 s[16:17], s[4:5]
	s_cbranch_execz .LBB246_12
.LBB246_11:
	v_and_b32_e32 v11, 3, v8
	v_ffbh_u32_e32 v13, v11
	v_min_u32_e32 v13, 32, v13
	v_subrev_u32_e32 v14, 29, v13
	v_bfe_u32 v12, v8, 2, 5
	v_lshlrev_b32_e32 v14, v14, v8
	v_sub_u32_e32 v13, 30, v13
	v_and_b32_e32 v14, 3, v14
	v_cmp_eq_u32_e32 vcc, 0, v12
	v_cndmask_b32_e32 v12, v12, v13, vcc
	v_cndmask_b32_e32 v11, v11, v14, vcc
	v_lshlrev_b32_e32 v13, 24, v8
	v_mov_b32_e32 v14, 0x37800000
	v_lshlrev_b32_e32 v11, 21, v11
	v_and_b32_e32 v13, 0x80000000, v13
	v_lshl_add_u32 v12, v12, 23, v14
	v_or3_b32 v11, v13, v12, v11
.LBB246_12:
	s_or_b64 exec, exec, s[16:17]
	v_cmp_neq_f32_e64 s[16:17], v10, v11
	s_branch .LBB246_23
.LBB246_13:
                                        ; implicit-def: $sgpr16_sgpr17
	s_cbranch_execz .LBB246_23
; %bb.14:
	s_movk_i32 s4, 0x7f
	s_waitcnt vmcnt(7)
	v_cmp_gt_i16_sdwa s[16:17], v9, s4 src0_sel:BYTE_0 src1_sel:DWORD
	s_mov_b64 s[4:5], 0
	s_and_saveexec_b64 s[20:21], s[16:17]
	s_xor_b64 s[16:17], exec, s[20:21]
	s_cbranch_execnz .LBB246_453
; %bb.15:
	s_or_saveexec_b64 s[16:17], s[16:17]
	v_mov_b32_e32 v10, 0x7f800001
	s_xor_b64 exec, exec, s[16:17]
	s_cbranch_execnz .LBB246_456
.LBB246_16:
	s_or_b64 exec, exec, s[16:17]
	s_and_saveexec_b64 s[16:17], s[4:5]
	s_cbranch_execz .LBB246_18
.LBB246_17:
	v_and_b32_e32 v10, 3, v9
	v_ffbh_u32_e32 v12, v10
	v_min_u32_e32 v12, 32, v12
	v_subrev_u32_e32 v13, 29, v12
	v_bfe_u32 v11, v9, 2, 5
	v_lshlrev_b32_e32 v13, v13, v9
	v_sub_u32_e32 v12, 30, v12
	v_and_b32_e32 v13, 3, v13
	v_cmp_eq_u32_e32 vcc, 0, v11
	v_cndmask_b32_e32 v11, v11, v12, vcc
	v_cndmask_b32_e32 v10, v10, v13, vcc
	v_lshlrev_b32_e32 v12, 24, v9
	v_mov_b32_e32 v13, 0x37800000
	v_lshlrev_b32_e32 v10, 21, v10
	v_and_b32_e32 v12, 0x80000000, v12
	v_lshl_add_u32 v11, v11, 23, v13
	v_or3_b32 v10, v12, v11, v10
.LBB246_18:
	s_or_b64 exec, exec, s[16:17]
	s_movk_i32 s4, 0x7f
	s_waitcnt vmcnt(3)
	v_cmp_gt_i16_sdwa s[16:17], v8, s4 src0_sel:BYTE_0 src1_sel:DWORD
	s_mov_b64 s[4:5], 0
	s_and_saveexec_b64 s[20:21], s[16:17]
	s_xor_b64 s[16:17], exec, s[20:21]
	s_cbranch_execnz .LBB246_457
; %bb.19:
	s_or_saveexec_b64 s[16:17], s[16:17]
	v_mov_b32_e32 v11, 0x7f800001
	s_xor_b64 exec, exec, s[16:17]
	s_cbranch_execnz .LBB246_460
.LBB246_20:
	s_or_b64 exec, exec, s[16:17]
	s_and_saveexec_b64 s[16:17], s[4:5]
	s_cbranch_execz .LBB246_22
.LBB246_21:
	v_and_b32_e32 v11, 3, v8
	v_ffbh_u32_e32 v13, v11
	v_min_u32_e32 v13, 32, v13
	v_subrev_u32_e32 v14, 29, v13
	v_bfe_u32 v12, v8, 2, 5
	v_lshlrev_b32_e32 v14, v14, v8
	v_sub_u32_e32 v13, 30, v13
	v_and_b32_e32 v14, 3, v14
	v_cmp_eq_u32_e32 vcc, 0, v12
	v_cndmask_b32_e32 v12, v12, v13, vcc
	v_cndmask_b32_e32 v11, v11, v14, vcc
	v_lshlrev_b32_e32 v13, 24, v8
	v_mov_b32_e32 v14, 0x37800000
	v_lshlrev_b32_e32 v11, 21, v11
	v_and_b32_e32 v13, 0x80000000, v13
	v_lshl_add_u32 v12, v12, 23, v14
	v_or3_b32 v11, v13, v12, v11
.LBB246_22:
	s_or_b64 exec, exec, s[16:17]
	v_cmp_eq_f32_e64 s[16:17], v10, v11
.LBB246_23:
	v_cndmask_b32_e64 v10, 0, 1, s[18:19]
	s_waitcnt vmcnt(7)
	v_lshrrev_b32_e32 v11, 8, v9
	v_cmp_ne_u32_e64 s[4:5], 1, v10
	s_andn2_b64 vcc, exec, s[18:19]
	s_waitcnt vmcnt(3)
	v_lshrrev_b32_e32 v10, 8, v8
	s_cbranch_vccnz .LBB246_173
; %bb.24:
	s_movk_i32 s18, 0x7f
	v_cmp_gt_i16_sdwa s[20:21], v11, s18 src0_sel:BYTE_0 src1_sel:DWORD
	s_mov_b64 s[18:19], 0
	s_and_saveexec_b64 s[22:23], s[20:21]
	s_xor_b64 s[20:21], exec, s[22:23]
	s_cbranch_execnz .LBB246_333
; %bb.25:
	s_or_saveexec_b64 s[20:21], s[20:21]
	v_mov_b32_e32 v12, 0x7f800001
	s_xor_b64 exec, exec, s[20:21]
	s_cbranch_execnz .LBB246_336
.LBB246_26:
	s_or_b64 exec, exec, s[20:21]
	s_and_saveexec_b64 s[20:21], s[18:19]
	s_cbranch_execz .LBB246_28
.LBB246_27:
	v_bfe_u32 v12, v9, 8, 2
	v_ffbh_u32_e32 v14, v12
	v_min_u32_e32 v14, 32, v14
	v_subrev_u32_e32 v15, 29, v14
	v_bfe_u32 v13, v9, 10, 5
	v_lshlrev_b32_e32 v15, v15, v11
	v_sub_u32_e32 v14, 30, v14
	v_and_b32_e32 v15, 3, v15
	v_cmp_eq_u32_e32 vcc, 0, v13
	v_cndmask_b32_e32 v13, v13, v14, vcc
	v_cndmask_b32_e32 v12, v12, v15, vcc
	v_lshlrev_b32_e32 v14, 24, v11
	v_mov_b32_e32 v15, 0x37800000
	v_lshlrev_b32_e32 v12, 21, v12
	v_and_b32_e32 v14, 0x80000000, v14
	v_lshl_add_u32 v13, v13, 23, v15
	v_or3_b32 v12, v14, v13, v12
.LBB246_28:
	s_or_b64 exec, exec, s[20:21]
	s_movk_i32 s18, 0x7f
	v_cmp_gt_i16_sdwa s[20:21], v10, s18 src0_sel:BYTE_0 src1_sel:DWORD
	s_mov_b64 s[18:19], 0
	s_and_saveexec_b64 s[22:23], s[20:21]
	s_xor_b64 s[20:21], exec, s[22:23]
	s_cbranch_execnz .LBB246_337
; %bb.29:
	s_or_saveexec_b64 s[20:21], s[20:21]
	v_mov_b32_e32 v13, 0x7f800001
	s_xor_b64 exec, exec, s[20:21]
	s_cbranch_execnz .LBB246_340
.LBB246_30:
	s_or_b64 exec, exec, s[20:21]
	s_and_saveexec_b64 s[20:21], s[18:19]
	s_cbranch_execz .LBB246_32
.LBB246_31:
	v_bfe_u32 v13, v8, 8, 2
	v_ffbh_u32_e32 v15, v13
	v_min_u32_e32 v15, 32, v15
	v_subrev_u32_e32 v16, 29, v15
	v_bfe_u32 v14, v8, 10, 5
	v_lshlrev_b32_e32 v16, v16, v10
	v_sub_u32_e32 v15, 30, v15
	v_and_b32_e32 v16, 3, v16
	v_cmp_eq_u32_e32 vcc, 0, v14
	v_cndmask_b32_e32 v14, v14, v15, vcc
	v_cndmask_b32_e32 v13, v13, v16, vcc
	v_lshlrev_b32_e32 v15, 24, v10
	v_mov_b32_e32 v16, 0x37800000
	v_lshlrev_b32_e32 v13, 21, v13
	v_and_b32_e32 v15, 0x80000000, v15
	v_lshl_add_u32 v14, v14, 23, v16
	v_or3_b32 v13, v15, v14, v13
.LBB246_32:
	s_or_b64 exec, exec, s[20:21]
	v_cmp_neq_f32_e64 s[18:19], v12, v13
.LBB246_33:
	s_and_b64 vcc, exec, s[4:5]
	s_cbranch_vccnz .LBB246_183
.LBB246_34:
	s_movk_i32 s20, 0xff
	v_and_b32_sdwa v11, v9, s20 dst_sel:DWORD dst_unused:UNUSED_PAD src0_sel:WORD_1 src1_sel:DWORD
	s_movk_i32 s20, 0x7f
	v_cmp_lt_i16_e32 vcc, s20, v11
	s_mov_b64 s[20:21], 0
	s_and_saveexec_b64 s[22:23], vcc
	s_xor_b64 s[22:23], exec, s[22:23]
	s_cbranch_execnz .LBB246_341
; %bb.35:
	s_or_saveexec_b64 s[22:23], s[22:23]
	v_mov_b32_e32 v10, 0x7f800001
	s_xor_b64 exec, exec, s[22:23]
	s_cbranch_execnz .LBB246_344
.LBB246_36:
	s_or_b64 exec, exec, s[22:23]
	s_and_saveexec_b64 s[22:23], s[20:21]
	s_cbranch_execz .LBB246_38
.LBB246_37:
	v_bfe_u32 v10, v9, 16, 2
	v_ffbh_u32_e32 v12, v10
	v_min_u32_e32 v12, 32, v12
	v_bfe_u32 v11, v9, 18, 5
	v_subrev_u32_e32 v13, 29, v12
	v_lshlrev_b32_sdwa v13, v13, v9 dst_sel:DWORD dst_unused:UNUSED_PAD src0_sel:DWORD src1_sel:WORD_1
	v_sub_u32_e32 v12, 30, v12
	v_cmp_eq_u32_e32 vcc, 0, v11
	v_and_b32_e32 v13, 3, v13
	v_cndmask_b32_e32 v11, v11, v12, vcc
	v_mov_b32_e32 v12, 24
	v_cndmask_b32_e32 v10, v10, v13, vcc
	v_lshlrev_b32_sdwa v12, v12, v9 dst_sel:DWORD dst_unused:UNUSED_PAD src0_sel:DWORD src1_sel:WORD_1
	v_mov_b32_e32 v13, 0x37800000
	v_lshlrev_b32_e32 v10, 21, v10
	v_and_b32_e32 v12, 0x80000000, v12
	v_lshl_add_u32 v11, v11, 23, v13
	v_or3_b32 v10, v12, v11, v10
.LBB246_38:
	s_or_b64 exec, exec, s[22:23]
	s_movk_i32 s20, 0xff
	v_and_b32_sdwa v11, v8, s20 dst_sel:DWORD dst_unused:UNUSED_PAD src0_sel:WORD_1 src1_sel:DWORD
	s_movk_i32 s20, 0x7f
	v_cmp_lt_i16_e32 vcc, s20, v11
	s_mov_b64 s[20:21], 0
	s_and_saveexec_b64 s[22:23], vcc
	s_xor_b64 s[22:23], exec, s[22:23]
	s_cbranch_execnz .LBB246_345
; %bb.39:
	s_or_saveexec_b64 s[22:23], s[22:23]
	v_mov_b32_e32 v12, 0x7f800001
	s_xor_b64 exec, exec, s[22:23]
	s_cbranch_execnz .LBB246_348
.LBB246_40:
	s_or_b64 exec, exec, s[22:23]
	s_and_saveexec_b64 s[22:23], s[20:21]
	s_cbranch_execz .LBB246_42
.LBB246_41:
	v_bfe_u32 v11, v8, 16, 2
	v_ffbh_u32_e32 v13, v11
	v_min_u32_e32 v13, 32, v13
	v_bfe_u32 v12, v8, 18, 5
	v_subrev_u32_e32 v14, 29, v13
	v_lshlrev_b32_sdwa v14, v14, v8 dst_sel:DWORD dst_unused:UNUSED_PAD src0_sel:DWORD src1_sel:WORD_1
	v_sub_u32_e32 v13, 30, v13
	v_cmp_eq_u32_e32 vcc, 0, v12
	v_and_b32_e32 v14, 3, v14
	v_cndmask_b32_e32 v12, v12, v13, vcc
	v_mov_b32_e32 v13, 24
	v_cndmask_b32_e32 v11, v11, v14, vcc
	v_lshlrev_b32_sdwa v13, v13, v8 dst_sel:DWORD dst_unused:UNUSED_PAD src0_sel:DWORD src1_sel:WORD_1
	v_mov_b32_e32 v14, 0x37800000
	v_lshlrev_b32_e32 v11, 21, v11
	v_and_b32_e32 v13, 0x80000000, v13
	v_lshl_add_u32 v12, v12, 23, v14
	v_or3_b32 v12, v13, v12, v11
.LBB246_42:
	s_or_b64 exec, exec, s[22:23]
	v_cmp_neq_f32_e64 s[20:21], v10, v12
.LBB246_43:
	s_and_b64 vcc, exec, s[4:5]
	s_cbranch_vccnz .LBB246_193
.LBB246_44:
	s_movk_i32 s22, 0x7f
	v_cmp_gt_i16_sdwa s[24:25], v9, s22 src0_sel:BYTE_3 src1_sel:DWORD
	s_mov_b64 s[22:23], 0
	s_and_saveexec_b64 s[26:27], s[24:25]
	s_xor_b64 s[24:25], exec, s[26:27]
	s_cbranch_execnz .LBB246_349
; %bb.45:
	s_or_saveexec_b64 s[24:25], s[24:25]
	v_mov_b32_e32 v10, 0x7f800001
	s_xor_b64 exec, exec, s[24:25]
	s_cbranch_execnz .LBB246_352
.LBB246_46:
	s_or_b64 exec, exec, s[24:25]
	s_and_saveexec_b64 s[24:25], s[22:23]
	s_cbranch_execz .LBB246_48
.LBB246_47:
	v_bfe_u32 v10, v9, 24, 2
	v_ffbh_u32_e32 v12, v10
	v_min_u32_e32 v12, 32, v12
	v_subrev_u32_e32 v13, 29, v12
	v_bfe_u32 v11, v9, 26, 5
	v_lshlrev_b32_sdwa v13, v13, v9 dst_sel:DWORD dst_unused:UNUSED_PAD src0_sel:DWORD src1_sel:BYTE_3
	v_sub_u32_e32 v12, 30, v12
	v_and_b32_e32 v13, 3, v13
	v_cmp_eq_u32_e32 vcc, 0, v11
	v_cndmask_b32_e32 v11, v11, v12, vcc
	v_cndmask_b32_e32 v10, v10, v13, vcc
	v_mov_b32_e32 v13, 0x37800000
	v_lshlrev_b32_e32 v10, 21, v10
	v_and_b32_e32 v12, 0x80000000, v9
	v_lshl_add_u32 v11, v11, 23, v13
	v_or3_b32 v10, v12, v11, v10
.LBB246_48:
	s_or_b64 exec, exec, s[24:25]
	s_movk_i32 s22, 0x7f
	v_cmp_gt_i16_sdwa s[24:25], v8, s22 src0_sel:BYTE_3 src1_sel:DWORD
	s_mov_b64 s[22:23], 0
	s_and_saveexec_b64 s[26:27], s[24:25]
	s_xor_b64 s[24:25], exec, s[26:27]
	s_cbranch_execnz .LBB246_353
; %bb.49:
	s_or_saveexec_b64 s[24:25], s[24:25]
	v_mov_b32_e32 v11, 0x7f800001
	s_xor_b64 exec, exec, s[24:25]
	s_cbranch_execnz .LBB246_356
.LBB246_50:
	s_or_b64 exec, exec, s[24:25]
	s_and_saveexec_b64 s[24:25], s[22:23]
	s_cbranch_execz .LBB246_52
.LBB246_51:
	v_bfe_u32 v11, v8, 24, 2
	v_ffbh_u32_e32 v13, v11
	v_min_u32_e32 v13, 32, v13
	v_subrev_u32_e32 v14, 29, v13
	v_bfe_u32 v12, v8, 26, 5
	v_lshlrev_b32_sdwa v14, v14, v8 dst_sel:DWORD dst_unused:UNUSED_PAD src0_sel:DWORD src1_sel:BYTE_3
	v_sub_u32_e32 v13, 30, v13
	v_and_b32_e32 v14, 3, v14
	v_cmp_eq_u32_e32 vcc, 0, v12
	v_cndmask_b32_e32 v12, v12, v13, vcc
	v_cndmask_b32_e32 v11, v11, v14, vcc
	v_mov_b32_e32 v14, 0x37800000
	v_lshlrev_b32_e32 v11, 21, v11
	v_and_b32_e32 v13, 0x80000000, v8
	v_lshl_add_u32 v12, v12, 23, v14
	v_or3_b32 v11, v13, v12, v11
.LBB246_52:
	s_or_b64 exec, exec, s[24:25]
	v_cmp_neq_f32_e64 s[22:23], v10, v11
.LBB246_53:
	s_and_b64 vcc, exec, s[4:5]
	s_cbranch_vccnz .LBB246_203
.LBB246_54:
	s_movk_i32 s24, 0x7f
	v_cmp_gt_i16_sdwa s[26:27], v7, s24 src0_sel:BYTE_0 src1_sel:DWORD
	s_mov_b64 s[24:25], 0
	s_and_saveexec_b64 s[28:29], s[26:27]
	s_xor_b64 s[26:27], exec, s[28:29]
	s_cbranch_execnz .LBB246_357
; %bb.55:
	s_or_saveexec_b64 s[26:27], s[26:27]
	v_mov_b32_e32 v8, 0x7f800001
	s_xor_b64 exec, exec, s[26:27]
	s_cbranch_execnz .LBB246_360
.LBB246_56:
	s_or_b64 exec, exec, s[26:27]
	s_and_saveexec_b64 s[26:27], s[24:25]
	s_cbranch_execz .LBB246_58
.LBB246_57:
	v_and_b32_e32 v8, 3, v7
	v_ffbh_u32_e32 v10, v8
	v_min_u32_e32 v10, 32, v10
	v_subrev_u32_e32 v11, 29, v10
	v_bfe_u32 v9, v7, 2, 5
	v_lshlrev_b32_e32 v11, v11, v7
	v_sub_u32_e32 v10, 30, v10
	v_and_b32_e32 v11, 3, v11
	v_cmp_eq_u32_e32 vcc, 0, v9
	v_cndmask_b32_e32 v9, v9, v10, vcc
	v_cndmask_b32_e32 v8, v8, v11, vcc
	v_lshlrev_b32_e32 v10, 24, v7
	v_mov_b32_e32 v11, 0x37800000
	v_lshlrev_b32_e32 v8, 21, v8
	v_and_b32_e32 v10, 0x80000000, v10
	v_lshl_add_u32 v9, v9, 23, v11
	v_or3_b32 v8, v10, v9, v8
.LBB246_58:
	s_or_b64 exec, exec, s[26:27]
	s_movk_i32 s24, 0x7f
	s_waitcnt vmcnt(2)
	v_cmp_gt_i16_sdwa s[26:27], v6, s24 src0_sel:BYTE_0 src1_sel:DWORD
	s_mov_b64 s[24:25], 0
	s_and_saveexec_b64 s[28:29], s[26:27]
	s_xor_b64 s[26:27], exec, s[28:29]
	s_cbranch_execnz .LBB246_361
; %bb.59:
	s_or_saveexec_b64 s[26:27], s[26:27]
	v_mov_b32_e32 v9, 0x7f800001
	s_xor_b64 exec, exec, s[26:27]
	s_cbranch_execnz .LBB246_364
.LBB246_60:
	s_or_b64 exec, exec, s[26:27]
	s_and_saveexec_b64 s[26:27], s[24:25]
	s_cbranch_execz .LBB246_62
.LBB246_61:
	v_and_b32_e32 v9, 3, v6
	v_ffbh_u32_e32 v11, v9
	v_min_u32_e32 v11, 32, v11
	v_subrev_u32_e32 v12, 29, v11
	v_bfe_u32 v10, v6, 2, 5
	v_lshlrev_b32_e32 v12, v12, v6
	v_sub_u32_e32 v11, 30, v11
	v_and_b32_e32 v12, 3, v12
	v_cmp_eq_u32_e32 vcc, 0, v10
	v_cndmask_b32_e32 v10, v10, v11, vcc
	v_cndmask_b32_e32 v9, v9, v12, vcc
	v_lshlrev_b32_e32 v11, 24, v6
	v_mov_b32_e32 v12, 0x37800000
	v_lshlrev_b32_e32 v9, 21, v9
	v_and_b32_e32 v11, 0x80000000, v11
	v_lshl_add_u32 v10, v10, 23, v12
	v_or3_b32 v9, v11, v10, v9
.LBB246_62:
	s_or_b64 exec, exec, s[26:27]
	v_cmp_neq_f32_e64 s[24:25], v8, v9
.LBB246_63:
	v_lshrrev_b32_e32 v9, 8, v7
	s_and_b64 vcc, exec, s[4:5]
	s_waitcnt vmcnt(2)
	v_lshrrev_b32_e32 v8, 8, v6
	s_cbranch_vccnz .LBB246_213
.LBB246_64:
	s_movk_i32 s26, 0x7f
	v_cmp_gt_i16_sdwa s[28:29], v9, s26 src0_sel:BYTE_0 src1_sel:DWORD
	s_mov_b64 s[26:27], 0
	s_and_saveexec_b64 s[30:31], s[28:29]
	s_xor_b64 s[28:29], exec, s[30:31]
	s_cbranch_execnz .LBB246_365
; %bb.65:
	s_or_saveexec_b64 s[28:29], s[28:29]
	v_mov_b32_e32 v10, 0x7f800001
	s_xor_b64 exec, exec, s[28:29]
	s_cbranch_execnz .LBB246_368
.LBB246_66:
	s_or_b64 exec, exec, s[28:29]
	s_and_saveexec_b64 s[28:29], s[26:27]
	s_cbranch_execz .LBB246_68
.LBB246_67:
	v_bfe_u32 v10, v7, 8, 2
	v_ffbh_u32_e32 v12, v10
	v_min_u32_e32 v12, 32, v12
	v_subrev_u32_e32 v13, 29, v12
	v_bfe_u32 v11, v7, 10, 5
	v_lshlrev_b32_e32 v13, v13, v9
	v_sub_u32_e32 v12, 30, v12
	v_and_b32_e32 v13, 3, v13
	v_cmp_eq_u32_e32 vcc, 0, v11
	v_cndmask_b32_e32 v11, v11, v12, vcc
	v_cndmask_b32_e32 v10, v10, v13, vcc
	v_lshlrev_b32_e32 v12, 24, v9
	v_mov_b32_e32 v13, 0x37800000
	v_lshlrev_b32_e32 v10, 21, v10
	v_and_b32_e32 v12, 0x80000000, v12
	v_lshl_add_u32 v11, v11, 23, v13
	v_or3_b32 v10, v12, v11, v10
.LBB246_68:
	s_or_b64 exec, exec, s[28:29]
	s_movk_i32 s26, 0x7f
	v_cmp_gt_i16_sdwa s[28:29], v8, s26 src0_sel:BYTE_0 src1_sel:DWORD
	s_mov_b64 s[26:27], 0
	s_and_saveexec_b64 s[30:31], s[28:29]
	s_xor_b64 s[28:29], exec, s[30:31]
	s_cbranch_execnz .LBB246_369
; %bb.69:
	s_or_saveexec_b64 s[28:29], s[28:29]
	v_mov_b32_e32 v11, 0x7f800001
	s_xor_b64 exec, exec, s[28:29]
	s_cbranch_execnz .LBB246_372
.LBB246_70:
	s_or_b64 exec, exec, s[28:29]
	s_and_saveexec_b64 s[28:29], s[26:27]
	s_cbranch_execz .LBB246_72
.LBB246_71:
	v_bfe_u32 v11, v6, 8, 2
	v_ffbh_u32_e32 v13, v11
	v_min_u32_e32 v13, 32, v13
	v_subrev_u32_e32 v14, 29, v13
	v_bfe_u32 v12, v6, 10, 5
	v_lshlrev_b32_e32 v14, v14, v8
	v_sub_u32_e32 v13, 30, v13
	v_and_b32_e32 v14, 3, v14
	v_cmp_eq_u32_e32 vcc, 0, v12
	v_cndmask_b32_e32 v12, v12, v13, vcc
	v_cndmask_b32_e32 v11, v11, v14, vcc
	v_lshlrev_b32_e32 v13, 24, v8
	v_mov_b32_e32 v14, 0x37800000
	v_lshlrev_b32_e32 v11, 21, v11
	v_and_b32_e32 v13, 0x80000000, v13
	v_lshl_add_u32 v12, v12, 23, v14
	v_or3_b32 v11, v13, v12, v11
.LBB246_72:
	s_or_b64 exec, exec, s[28:29]
	v_cmp_neq_f32_e64 s[26:27], v10, v11
.LBB246_73:
	s_and_b64 vcc, exec, s[4:5]
	s_cbranch_vccnz .LBB246_223
.LBB246_74:
	s_movk_i32 s28, 0xff
	v_and_b32_sdwa v9, v7, s28 dst_sel:DWORD dst_unused:UNUSED_PAD src0_sel:WORD_1 src1_sel:DWORD
	s_movk_i32 s28, 0x7f
	v_cmp_lt_i16_e32 vcc, s28, v9
	s_mov_b64 s[28:29], 0
	s_and_saveexec_b64 s[30:31], vcc
	s_xor_b64 s[30:31], exec, s[30:31]
	s_cbranch_execnz .LBB246_373
; %bb.75:
	s_or_saveexec_b64 s[30:31], s[30:31]
	v_mov_b32_e32 v8, 0x7f800001
	s_xor_b64 exec, exec, s[30:31]
	s_cbranch_execnz .LBB246_376
.LBB246_76:
	s_or_b64 exec, exec, s[30:31]
	s_and_saveexec_b64 s[30:31], s[28:29]
	s_cbranch_execz .LBB246_78
.LBB246_77:
	v_bfe_u32 v8, v7, 16, 2
	v_ffbh_u32_e32 v10, v8
	v_min_u32_e32 v10, 32, v10
	v_bfe_u32 v9, v7, 18, 5
	v_subrev_u32_e32 v11, 29, v10
	v_lshlrev_b32_sdwa v11, v11, v7 dst_sel:DWORD dst_unused:UNUSED_PAD src0_sel:DWORD src1_sel:WORD_1
	v_sub_u32_e32 v10, 30, v10
	v_cmp_eq_u32_e32 vcc, 0, v9
	v_and_b32_e32 v11, 3, v11
	v_cndmask_b32_e32 v9, v9, v10, vcc
	v_mov_b32_e32 v10, 24
	v_cndmask_b32_e32 v8, v8, v11, vcc
	v_lshlrev_b32_sdwa v10, v10, v7 dst_sel:DWORD dst_unused:UNUSED_PAD src0_sel:DWORD src1_sel:WORD_1
	v_mov_b32_e32 v11, 0x37800000
	v_lshlrev_b32_e32 v8, 21, v8
	v_and_b32_e32 v10, 0x80000000, v10
	v_lshl_add_u32 v9, v9, 23, v11
	v_or3_b32 v8, v10, v9, v8
.LBB246_78:
	s_or_b64 exec, exec, s[30:31]
	s_movk_i32 s28, 0xff
	v_and_b32_sdwa v9, v6, s28 dst_sel:DWORD dst_unused:UNUSED_PAD src0_sel:WORD_1 src1_sel:DWORD
	s_movk_i32 s28, 0x7f
	v_cmp_lt_i16_e32 vcc, s28, v9
	s_mov_b64 s[28:29], 0
	s_and_saveexec_b64 s[30:31], vcc
	s_xor_b64 s[30:31], exec, s[30:31]
	s_cbranch_execnz .LBB246_377
; %bb.79:
	s_or_saveexec_b64 s[30:31], s[30:31]
	v_mov_b32_e32 v10, 0x7f800001
	s_xor_b64 exec, exec, s[30:31]
	s_cbranch_execnz .LBB246_380
.LBB246_80:
	s_or_b64 exec, exec, s[30:31]
	s_and_saveexec_b64 s[30:31], s[28:29]
	s_cbranch_execz .LBB246_82
.LBB246_81:
	v_bfe_u32 v9, v6, 16, 2
	v_ffbh_u32_e32 v11, v9
	v_min_u32_e32 v11, 32, v11
	v_bfe_u32 v10, v6, 18, 5
	v_subrev_u32_e32 v12, 29, v11
	v_lshlrev_b32_sdwa v12, v12, v6 dst_sel:DWORD dst_unused:UNUSED_PAD src0_sel:DWORD src1_sel:WORD_1
	v_sub_u32_e32 v11, 30, v11
	v_cmp_eq_u32_e32 vcc, 0, v10
	v_and_b32_e32 v12, 3, v12
	v_cndmask_b32_e32 v10, v10, v11, vcc
	v_mov_b32_e32 v11, 24
	v_cndmask_b32_e32 v9, v9, v12, vcc
	v_lshlrev_b32_sdwa v11, v11, v6 dst_sel:DWORD dst_unused:UNUSED_PAD src0_sel:DWORD src1_sel:WORD_1
	v_mov_b32_e32 v12, 0x37800000
	v_lshlrev_b32_e32 v9, 21, v9
	v_and_b32_e32 v11, 0x80000000, v11
	v_lshl_add_u32 v10, v10, 23, v12
	v_or3_b32 v10, v11, v10, v9
.LBB246_82:
	s_or_b64 exec, exec, s[30:31]
	v_cmp_neq_f32_e64 s[28:29], v8, v10
.LBB246_83:
	s_and_b64 vcc, exec, s[4:5]
	s_cbranch_vccnz .LBB246_233
.LBB246_84:
	s_movk_i32 s30, 0x7f
	v_cmp_gt_i16_sdwa s[34:35], v7, s30 src0_sel:BYTE_3 src1_sel:DWORD
	s_mov_b64 s[30:31], 0
	s_and_saveexec_b64 s[36:37], s[34:35]
	s_xor_b64 s[34:35], exec, s[36:37]
	s_cbranch_execnz .LBB246_381
; %bb.85:
	s_or_saveexec_b64 s[34:35], s[34:35]
	v_mov_b32_e32 v8, 0x7f800001
	s_xor_b64 exec, exec, s[34:35]
	s_cbranch_execnz .LBB246_384
.LBB246_86:
	s_or_b64 exec, exec, s[34:35]
	s_and_saveexec_b64 s[34:35], s[30:31]
	s_cbranch_execz .LBB246_88
.LBB246_87:
	v_bfe_u32 v8, v7, 24, 2
	v_ffbh_u32_e32 v10, v8
	v_min_u32_e32 v10, 32, v10
	v_subrev_u32_e32 v11, 29, v10
	v_bfe_u32 v9, v7, 26, 5
	v_lshlrev_b32_sdwa v11, v11, v7 dst_sel:DWORD dst_unused:UNUSED_PAD src0_sel:DWORD src1_sel:BYTE_3
	v_sub_u32_e32 v10, 30, v10
	v_and_b32_e32 v11, 3, v11
	v_cmp_eq_u32_e32 vcc, 0, v9
	v_cndmask_b32_e32 v9, v9, v10, vcc
	v_cndmask_b32_e32 v8, v8, v11, vcc
	v_mov_b32_e32 v11, 0x37800000
	v_lshlrev_b32_e32 v8, 21, v8
	v_and_b32_e32 v10, 0x80000000, v7
	v_lshl_add_u32 v9, v9, 23, v11
	v_or3_b32 v8, v10, v9, v8
.LBB246_88:
	s_or_b64 exec, exec, s[34:35]
	s_movk_i32 s30, 0x7f
	v_cmp_gt_i16_sdwa s[34:35], v6, s30 src0_sel:BYTE_3 src1_sel:DWORD
	s_mov_b64 s[30:31], 0
	s_and_saveexec_b64 s[36:37], s[34:35]
	s_xor_b64 s[34:35], exec, s[36:37]
	s_cbranch_execnz .LBB246_385
; %bb.89:
	s_or_saveexec_b64 s[34:35], s[34:35]
	v_mov_b32_e32 v9, 0x7f800001
	s_xor_b64 exec, exec, s[34:35]
	s_cbranch_execnz .LBB246_388
.LBB246_90:
	s_or_b64 exec, exec, s[34:35]
	s_and_saveexec_b64 s[34:35], s[30:31]
	s_cbranch_execz .LBB246_92
.LBB246_91:
	v_bfe_u32 v9, v6, 24, 2
	v_ffbh_u32_e32 v11, v9
	v_min_u32_e32 v11, 32, v11
	v_subrev_u32_e32 v12, 29, v11
	v_bfe_u32 v10, v6, 26, 5
	v_lshlrev_b32_sdwa v12, v12, v6 dst_sel:DWORD dst_unused:UNUSED_PAD src0_sel:DWORD src1_sel:BYTE_3
	v_sub_u32_e32 v11, 30, v11
	v_and_b32_e32 v12, 3, v12
	v_cmp_eq_u32_e32 vcc, 0, v10
	v_cndmask_b32_e32 v10, v10, v11, vcc
	v_cndmask_b32_e32 v9, v9, v12, vcc
	v_mov_b32_e32 v12, 0x37800000
	v_lshlrev_b32_e32 v9, 21, v9
	v_and_b32_e32 v11, 0x80000000, v6
	v_lshl_add_u32 v10, v10, 23, v12
	v_or3_b32 v9, v11, v10, v9
.LBB246_92:
	s_or_b64 exec, exec, s[34:35]
	v_cmp_neq_f32_e64 s[30:31], v8, v9
.LBB246_93:
	s_and_b64 vcc, exec, s[4:5]
	s_cbranch_vccnz .LBB246_243
.LBB246_94:
	s_movk_i32 s34, 0x7f
	v_cmp_gt_i16_sdwa s[36:37], v5, s34 src0_sel:BYTE_0 src1_sel:DWORD
	s_mov_b64 s[34:35], 0
	s_and_saveexec_b64 s[38:39], s[36:37]
	s_xor_b64 s[36:37], exec, s[38:39]
	s_cbranch_execnz .LBB246_389
; %bb.95:
	s_or_saveexec_b64 s[36:37], s[36:37]
	v_mov_b32_e32 v6, 0x7f800001
	s_xor_b64 exec, exec, s[36:37]
	s_cbranch_execnz .LBB246_392
.LBB246_96:
	s_or_b64 exec, exec, s[36:37]
	s_and_saveexec_b64 s[36:37], s[34:35]
	s_cbranch_execz .LBB246_98
.LBB246_97:
	v_and_b32_e32 v6, 3, v5
	v_ffbh_u32_e32 v8, v6
	v_min_u32_e32 v8, 32, v8
	v_subrev_u32_e32 v9, 29, v8
	v_bfe_u32 v7, v5, 2, 5
	v_lshlrev_b32_e32 v9, v9, v5
	v_sub_u32_e32 v8, 30, v8
	v_and_b32_e32 v9, 3, v9
	v_cmp_eq_u32_e32 vcc, 0, v7
	v_cndmask_b32_e32 v7, v7, v8, vcc
	v_cndmask_b32_e32 v6, v6, v9, vcc
	v_lshlrev_b32_e32 v8, 24, v5
	v_mov_b32_e32 v9, 0x37800000
	v_lshlrev_b32_e32 v6, 21, v6
	v_and_b32_e32 v8, 0x80000000, v8
	v_lshl_add_u32 v7, v7, 23, v9
	v_or3_b32 v6, v8, v7, v6
.LBB246_98:
	s_or_b64 exec, exec, s[36:37]
	s_movk_i32 s34, 0x7f
	s_waitcnt vmcnt(1)
	v_cmp_gt_i16_sdwa s[36:37], v4, s34 src0_sel:BYTE_0 src1_sel:DWORD
	s_mov_b64 s[34:35], 0
	s_and_saveexec_b64 s[38:39], s[36:37]
	s_xor_b64 s[36:37], exec, s[38:39]
	s_cbranch_execnz .LBB246_393
; %bb.99:
	s_or_saveexec_b64 s[36:37], s[36:37]
	v_mov_b32_e32 v7, 0x7f800001
	s_xor_b64 exec, exec, s[36:37]
	s_cbranch_execnz .LBB246_396
.LBB246_100:
	s_or_b64 exec, exec, s[36:37]
	s_and_saveexec_b64 s[36:37], s[34:35]
	s_cbranch_execz .LBB246_102
.LBB246_101:
	v_and_b32_e32 v7, 3, v4
	v_ffbh_u32_e32 v9, v7
	v_min_u32_e32 v9, 32, v9
	v_subrev_u32_e32 v10, 29, v9
	v_bfe_u32 v8, v4, 2, 5
	v_lshlrev_b32_e32 v10, v10, v4
	v_sub_u32_e32 v9, 30, v9
	v_and_b32_e32 v10, 3, v10
	v_cmp_eq_u32_e32 vcc, 0, v8
	v_cndmask_b32_e32 v8, v8, v9, vcc
	v_cndmask_b32_e32 v7, v7, v10, vcc
	v_lshlrev_b32_e32 v9, 24, v4
	v_mov_b32_e32 v10, 0x37800000
	v_lshlrev_b32_e32 v7, 21, v7
	v_and_b32_e32 v9, 0x80000000, v9
	v_lshl_add_u32 v8, v8, 23, v10
	v_or3_b32 v7, v9, v8, v7
.LBB246_102:
	s_or_b64 exec, exec, s[36:37]
	v_cmp_neq_f32_e64 s[34:35], v6, v7
.LBB246_103:
	v_lshrrev_b32_e32 v7, 8, v5
	s_and_b64 vcc, exec, s[4:5]
	s_waitcnt vmcnt(1)
	v_lshrrev_b32_e32 v6, 8, v4
	s_cbranch_vccnz .LBB246_253
.LBB246_104:
	s_movk_i32 s36, 0x7f
	v_cmp_gt_i16_sdwa s[38:39], v7, s36 src0_sel:BYTE_0 src1_sel:DWORD
	s_mov_b64 s[36:37], 0
	s_and_saveexec_b64 s[40:41], s[38:39]
	s_xor_b64 s[38:39], exec, s[40:41]
	s_cbranch_execnz .LBB246_397
; %bb.105:
	s_or_saveexec_b64 s[38:39], s[38:39]
	v_mov_b32_e32 v8, 0x7f800001
	s_xor_b64 exec, exec, s[38:39]
	s_cbranch_execnz .LBB246_400
.LBB246_106:
	s_or_b64 exec, exec, s[38:39]
	s_and_saveexec_b64 s[38:39], s[36:37]
	s_cbranch_execz .LBB246_108
.LBB246_107:
	v_bfe_u32 v8, v5, 8, 2
	v_ffbh_u32_e32 v10, v8
	v_min_u32_e32 v10, 32, v10
	v_subrev_u32_e32 v11, 29, v10
	v_bfe_u32 v9, v5, 10, 5
	v_lshlrev_b32_e32 v11, v11, v7
	v_sub_u32_e32 v10, 30, v10
	v_and_b32_e32 v11, 3, v11
	v_cmp_eq_u32_e32 vcc, 0, v9
	v_cndmask_b32_e32 v9, v9, v10, vcc
	v_cndmask_b32_e32 v8, v8, v11, vcc
	v_lshlrev_b32_e32 v10, 24, v7
	v_mov_b32_e32 v11, 0x37800000
	v_lshlrev_b32_e32 v8, 21, v8
	v_and_b32_e32 v10, 0x80000000, v10
	v_lshl_add_u32 v9, v9, 23, v11
	v_or3_b32 v8, v10, v9, v8
.LBB246_108:
	s_or_b64 exec, exec, s[38:39]
	s_movk_i32 s36, 0x7f
	v_cmp_gt_i16_sdwa s[38:39], v6, s36 src0_sel:BYTE_0 src1_sel:DWORD
	s_mov_b64 s[36:37], 0
	s_and_saveexec_b64 s[40:41], s[38:39]
	s_xor_b64 s[38:39], exec, s[40:41]
	s_cbranch_execnz .LBB246_401
; %bb.109:
	s_or_saveexec_b64 s[38:39], s[38:39]
	v_mov_b32_e32 v9, 0x7f800001
	s_xor_b64 exec, exec, s[38:39]
	s_cbranch_execnz .LBB246_404
.LBB246_110:
	s_or_b64 exec, exec, s[38:39]
	s_and_saveexec_b64 s[38:39], s[36:37]
	s_cbranch_execz .LBB246_112
.LBB246_111:
	v_bfe_u32 v9, v4, 8, 2
	v_ffbh_u32_e32 v11, v9
	v_min_u32_e32 v11, 32, v11
	v_subrev_u32_e32 v12, 29, v11
	v_bfe_u32 v10, v4, 10, 5
	v_lshlrev_b32_e32 v12, v12, v6
	v_sub_u32_e32 v11, 30, v11
	v_and_b32_e32 v12, 3, v12
	v_cmp_eq_u32_e32 vcc, 0, v10
	v_cndmask_b32_e32 v10, v10, v11, vcc
	v_cndmask_b32_e32 v9, v9, v12, vcc
	v_lshlrev_b32_e32 v11, 24, v6
	v_mov_b32_e32 v12, 0x37800000
	v_lshlrev_b32_e32 v9, 21, v9
	v_and_b32_e32 v11, 0x80000000, v11
	v_lshl_add_u32 v10, v10, 23, v12
	v_or3_b32 v9, v11, v10, v9
.LBB246_112:
	s_or_b64 exec, exec, s[38:39]
	v_cmp_neq_f32_e64 s[36:37], v8, v9
.LBB246_113:
	s_and_b64 vcc, exec, s[4:5]
	s_cbranch_vccnz .LBB246_263
.LBB246_114:
	s_movk_i32 s38, 0xff
	v_and_b32_sdwa v7, v5, s38 dst_sel:DWORD dst_unused:UNUSED_PAD src0_sel:WORD_1 src1_sel:DWORD
	s_movk_i32 s38, 0x7f
	v_cmp_lt_i16_e32 vcc, s38, v7
	s_mov_b64 s[38:39], 0
	s_and_saveexec_b64 s[40:41], vcc
	s_xor_b64 s[40:41], exec, s[40:41]
	s_cbranch_execnz .LBB246_405
; %bb.115:
	s_or_saveexec_b64 s[40:41], s[40:41]
	v_mov_b32_e32 v6, 0x7f800001
	s_xor_b64 exec, exec, s[40:41]
	s_cbranch_execnz .LBB246_408
.LBB246_116:
	s_or_b64 exec, exec, s[40:41]
	s_and_saveexec_b64 s[40:41], s[38:39]
	s_cbranch_execz .LBB246_118
.LBB246_117:
	v_bfe_u32 v6, v5, 16, 2
	v_ffbh_u32_e32 v8, v6
	v_min_u32_e32 v8, 32, v8
	v_bfe_u32 v7, v5, 18, 5
	v_subrev_u32_e32 v9, 29, v8
	v_lshlrev_b32_sdwa v9, v9, v5 dst_sel:DWORD dst_unused:UNUSED_PAD src0_sel:DWORD src1_sel:WORD_1
	v_sub_u32_e32 v8, 30, v8
	v_cmp_eq_u32_e32 vcc, 0, v7
	v_and_b32_e32 v9, 3, v9
	v_cndmask_b32_e32 v7, v7, v8, vcc
	v_mov_b32_e32 v8, 24
	v_cndmask_b32_e32 v6, v6, v9, vcc
	v_lshlrev_b32_sdwa v8, v8, v5 dst_sel:DWORD dst_unused:UNUSED_PAD src0_sel:DWORD src1_sel:WORD_1
	v_mov_b32_e32 v9, 0x37800000
	v_lshlrev_b32_e32 v6, 21, v6
	v_and_b32_e32 v8, 0x80000000, v8
	v_lshl_add_u32 v7, v7, 23, v9
	v_or3_b32 v6, v8, v7, v6
.LBB246_118:
	s_or_b64 exec, exec, s[40:41]
	s_movk_i32 s38, 0xff
	v_and_b32_sdwa v7, v4, s38 dst_sel:DWORD dst_unused:UNUSED_PAD src0_sel:WORD_1 src1_sel:DWORD
	s_movk_i32 s38, 0x7f
	v_cmp_lt_i16_e32 vcc, s38, v7
	s_mov_b64 s[38:39], 0
	s_and_saveexec_b64 s[40:41], vcc
	s_xor_b64 s[40:41], exec, s[40:41]
	s_cbranch_execnz .LBB246_409
; %bb.119:
	s_or_saveexec_b64 s[40:41], s[40:41]
	v_mov_b32_e32 v8, 0x7f800001
	s_xor_b64 exec, exec, s[40:41]
	s_cbranch_execnz .LBB246_412
.LBB246_120:
	s_or_b64 exec, exec, s[40:41]
	s_and_saveexec_b64 s[40:41], s[38:39]
	s_cbranch_execz .LBB246_122
.LBB246_121:
	v_bfe_u32 v7, v4, 16, 2
	v_ffbh_u32_e32 v9, v7
	v_min_u32_e32 v9, 32, v9
	v_bfe_u32 v8, v4, 18, 5
	v_subrev_u32_e32 v10, 29, v9
	v_lshlrev_b32_sdwa v10, v10, v4 dst_sel:DWORD dst_unused:UNUSED_PAD src0_sel:DWORD src1_sel:WORD_1
	v_sub_u32_e32 v9, 30, v9
	v_cmp_eq_u32_e32 vcc, 0, v8
	v_and_b32_e32 v10, 3, v10
	v_cndmask_b32_e32 v8, v8, v9, vcc
	v_mov_b32_e32 v9, 24
	v_cndmask_b32_e32 v7, v7, v10, vcc
	v_lshlrev_b32_sdwa v9, v9, v4 dst_sel:DWORD dst_unused:UNUSED_PAD src0_sel:DWORD src1_sel:WORD_1
	v_mov_b32_e32 v10, 0x37800000
	v_lshlrev_b32_e32 v7, 21, v7
	v_and_b32_e32 v9, 0x80000000, v9
	v_lshl_add_u32 v8, v8, 23, v10
	v_or3_b32 v8, v9, v8, v7
.LBB246_122:
	s_or_b64 exec, exec, s[40:41]
	v_cmp_neq_f32_e64 s[38:39], v6, v8
.LBB246_123:
	s_and_b64 vcc, exec, s[4:5]
	s_cbranch_vccnz .LBB246_273
.LBB246_124:
	s_movk_i32 s40, 0x7f
	v_cmp_gt_i16_sdwa s[42:43], v5, s40 src0_sel:BYTE_3 src1_sel:DWORD
	s_mov_b64 s[40:41], 0
	s_and_saveexec_b64 s[44:45], s[42:43]
	s_xor_b64 s[42:43], exec, s[44:45]
	s_cbranch_execnz .LBB246_413
; %bb.125:
	s_or_saveexec_b64 s[42:43], s[42:43]
	v_mov_b32_e32 v6, 0x7f800001
	s_xor_b64 exec, exec, s[42:43]
	s_cbranch_execnz .LBB246_416
.LBB246_126:
	s_or_b64 exec, exec, s[42:43]
	s_and_saveexec_b64 s[42:43], s[40:41]
	s_cbranch_execz .LBB246_128
.LBB246_127:
	v_bfe_u32 v6, v5, 24, 2
	v_ffbh_u32_e32 v8, v6
	v_min_u32_e32 v8, 32, v8
	v_subrev_u32_e32 v9, 29, v8
	v_bfe_u32 v7, v5, 26, 5
	v_lshlrev_b32_sdwa v9, v9, v5 dst_sel:DWORD dst_unused:UNUSED_PAD src0_sel:DWORD src1_sel:BYTE_3
	v_sub_u32_e32 v8, 30, v8
	v_and_b32_e32 v9, 3, v9
	v_cmp_eq_u32_e32 vcc, 0, v7
	v_cndmask_b32_e32 v7, v7, v8, vcc
	v_cndmask_b32_e32 v6, v6, v9, vcc
	v_mov_b32_e32 v9, 0x37800000
	v_lshlrev_b32_e32 v6, 21, v6
	v_and_b32_e32 v8, 0x80000000, v5
	v_lshl_add_u32 v7, v7, 23, v9
	v_or3_b32 v6, v8, v7, v6
.LBB246_128:
	s_or_b64 exec, exec, s[42:43]
	s_movk_i32 s40, 0x7f
	v_cmp_gt_i16_sdwa s[42:43], v4, s40 src0_sel:BYTE_3 src1_sel:DWORD
	s_mov_b64 s[40:41], 0
	s_and_saveexec_b64 s[44:45], s[42:43]
	s_xor_b64 s[42:43], exec, s[44:45]
	s_cbranch_execnz .LBB246_417
; %bb.129:
	s_or_saveexec_b64 s[42:43], s[42:43]
	v_mov_b32_e32 v7, 0x7f800001
	s_xor_b64 exec, exec, s[42:43]
	s_cbranch_execnz .LBB246_420
.LBB246_130:
	s_or_b64 exec, exec, s[42:43]
	s_and_saveexec_b64 s[42:43], s[40:41]
	s_cbranch_execz .LBB246_132
.LBB246_131:
	v_bfe_u32 v7, v4, 24, 2
	v_ffbh_u32_e32 v9, v7
	v_min_u32_e32 v9, 32, v9
	v_subrev_u32_e32 v10, 29, v9
	v_bfe_u32 v8, v4, 26, 5
	v_lshlrev_b32_sdwa v10, v10, v4 dst_sel:DWORD dst_unused:UNUSED_PAD src0_sel:DWORD src1_sel:BYTE_3
	v_sub_u32_e32 v9, 30, v9
	v_and_b32_e32 v10, 3, v10
	v_cmp_eq_u32_e32 vcc, 0, v8
	v_cndmask_b32_e32 v8, v8, v9, vcc
	v_cndmask_b32_e32 v7, v7, v10, vcc
	v_mov_b32_e32 v10, 0x37800000
	v_lshlrev_b32_e32 v7, 21, v7
	v_and_b32_e32 v9, 0x80000000, v4
	v_lshl_add_u32 v8, v8, 23, v10
	v_or3_b32 v7, v9, v8, v7
.LBB246_132:
	s_or_b64 exec, exec, s[42:43]
	v_cmp_neq_f32_e64 s[40:41], v6, v7
.LBB246_133:
	s_and_b64 vcc, exec, s[4:5]
	s_cbranch_vccnz .LBB246_283
.LBB246_134:
	s_movk_i32 s42, 0x7f
	v_cmp_gt_i16_sdwa s[44:45], v3, s42 src0_sel:BYTE_0 src1_sel:DWORD
	s_mov_b64 s[42:43], 0
	s_and_saveexec_b64 s[46:47], s[44:45]
	s_xor_b64 s[44:45], exec, s[46:47]
	s_cbranch_execnz .LBB246_421
; %bb.135:
	s_or_saveexec_b64 s[44:45], s[44:45]
	v_mov_b32_e32 v4, 0x7f800001
	s_xor_b64 exec, exec, s[44:45]
	s_cbranch_execnz .LBB246_424
.LBB246_136:
	s_or_b64 exec, exec, s[44:45]
	s_and_saveexec_b64 s[44:45], s[42:43]
	s_cbranch_execz .LBB246_138
.LBB246_137:
	v_and_b32_e32 v4, 3, v3
	v_ffbh_u32_e32 v6, v4
	v_min_u32_e32 v6, 32, v6
	v_subrev_u32_e32 v7, 29, v6
	v_bfe_u32 v5, v3, 2, 5
	v_lshlrev_b32_e32 v7, v7, v3
	v_sub_u32_e32 v6, 30, v6
	v_and_b32_e32 v7, 3, v7
	v_cmp_eq_u32_e32 vcc, 0, v5
	v_cndmask_b32_e32 v5, v5, v6, vcc
	v_cndmask_b32_e32 v4, v4, v7, vcc
	v_lshlrev_b32_e32 v6, 24, v3
	v_mov_b32_e32 v7, 0x37800000
	v_lshlrev_b32_e32 v4, 21, v4
	v_and_b32_e32 v6, 0x80000000, v6
	v_lshl_add_u32 v5, v5, 23, v7
	v_or3_b32 v4, v6, v5, v4
.LBB246_138:
	s_or_b64 exec, exec, s[44:45]
	s_movk_i32 s42, 0x7f
	s_waitcnt vmcnt(0)
	v_cmp_gt_i16_sdwa s[44:45], v2, s42 src0_sel:BYTE_0 src1_sel:DWORD
	s_mov_b64 s[42:43], 0
	s_and_saveexec_b64 s[46:47], s[44:45]
	s_xor_b64 s[44:45], exec, s[46:47]
	s_cbranch_execnz .LBB246_425
; %bb.139:
	s_or_saveexec_b64 s[44:45], s[44:45]
	v_mov_b32_e32 v5, 0x7f800001
	s_xor_b64 exec, exec, s[44:45]
	s_cbranch_execnz .LBB246_428
.LBB246_140:
	s_or_b64 exec, exec, s[44:45]
	s_and_saveexec_b64 s[44:45], s[42:43]
	s_cbranch_execz .LBB246_142
.LBB246_141:
	v_and_b32_e32 v5, 3, v2
	v_ffbh_u32_e32 v7, v5
	v_min_u32_e32 v7, 32, v7
	v_subrev_u32_e32 v8, 29, v7
	v_bfe_u32 v6, v2, 2, 5
	v_lshlrev_b32_e32 v8, v8, v2
	v_sub_u32_e32 v7, 30, v7
	v_and_b32_e32 v8, 3, v8
	v_cmp_eq_u32_e32 vcc, 0, v6
	v_cndmask_b32_e32 v6, v6, v7, vcc
	v_cndmask_b32_e32 v5, v5, v8, vcc
	v_lshlrev_b32_e32 v7, 24, v2
	v_mov_b32_e32 v8, 0x37800000
	v_lshlrev_b32_e32 v5, 21, v5
	v_and_b32_e32 v7, 0x80000000, v7
	v_lshl_add_u32 v6, v6, 23, v8
	v_or3_b32 v5, v7, v6, v5
.LBB246_142:
	s_or_b64 exec, exec, s[44:45]
	v_cmp_neq_f32_e64 s[42:43], v4, v5
.LBB246_143:
	v_lshrrev_b32_e32 v5, 8, v3
	s_and_b64 vcc, exec, s[4:5]
	s_waitcnt vmcnt(0)
	v_lshrrev_b32_e32 v4, 8, v2
	s_cbranch_vccnz .LBB246_293
.LBB246_144:
	s_movk_i32 s44, 0x7f
	v_cmp_gt_i16_sdwa s[46:47], v5, s44 src0_sel:BYTE_0 src1_sel:DWORD
	s_mov_b64 s[44:45], 0
	s_and_saveexec_b64 s[48:49], s[46:47]
	s_xor_b64 s[46:47], exec, s[48:49]
	s_cbranch_execnz .LBB246_429
; %bb.145:
	s_or_saveexec_b64 s[46:47], s[46:47]
	v_mov_b32_e32 v6, 0x7f800001
	s_xor_b64 exec, exec, s[46:47]
	s_cbranch_execnz .LBB246_432
.LBB246_146:
	s_or_b64 exec, exec, s[46:47]
	s_and_saveexec_b64 s[46:47], s[44:45]
	s_cbranch_execz .LBB246_148
.LBB246_147:
	v_bfe_u32 v6, v3, 8, 2
	v_ffbh_u32_e32 v8, v6
	v_min_u32_e32 v8, 32, v8
	v_subrev_u32_e32 v9, 29, v8
	v_bfe_u32 v7, v3, 10, 5
	v_lshlrev_b32_e32 v9, v9, v5
	v_sub_u32_e32 v8, 30, v8
	v_and_b32_e32 v9, 3, v9
	v_cmp_eq_u32_e32 vcc, 0, v7
	v_cndmask_b32_e32 v7, v7, v8, vcc
	v_cndmask_b32_e32 v6, v6, v9, vcc
	v_lshlrev_b32_e32 v8, 24, v5
	v_mov_b32_e32 v9, 0x37800000
	v_lshlrev_b32_e32 v6, 21, v6
	v_and_b32_e32 v8, 0x80000000, v8
	v_lshl_add_u32 v7, v7, 23, v9
	v_or3_b32 v6, v8, v7, v6
.LBB246_148:
	s_or_b64 exec, exec, s[46:47]
	s_movk_i32 s44, 0x7f
	v_cmp_gt_i16_sdwa s[46:47], v4, s44 src0_sel:BYTE_0 src1_sel:DWORD
	s_mov_b64 s[44:45], 0
	s_and_saveexec_b64 s[48:49], s[46:47]
	s_xor_b64 s[46:47], exec, s[48:49]
	s_cbranch_execnz .LBB246_433
; %bb.149:
	s_or_saveexec_b64 s[46:47], s[46:47]
	v_mov_b32_e32 v7, 0x7f800001
	s_xor_b64 exec, exec, s[46:47]
	s_cbranch_execnz .LBB246_436
.LBB246_150:
	s_or_b64 exec, exec, s[46:47]
	s_and_saveexec_b64 s[46:47], s[44:45]
	s_cbranch_execz .LBB246_152
.LBB246_151:
	v_bfe_u32 v7, v2, 8, 2
	v_ffbh_u32_e32 v9, v7
	v_min_u32_e32 v9, 32, v9
	v_subrev_u32_e32 v10, 29, v9
	v_bfe_u32 v8, v2, 10, 5
	v_lshlrev_b32_e32 v10, v10, v4
	v_sub_u32_e32 v9, 30, v9
	v_and_b32_e32 v10, 3, v10
	v_cmp_eq_u32_e32 vcc, 0, v8
	v_cndmask_b32_e32 v8, v8, v9, vcc
	v_cndmask_b32_e32 v7, v7, v10, vcc
	v_lshlrev_b32_e32 v9, 24, v4
	v_mov_b32_e32 v10, 0x37800000
	v_lshlrev_b32_e32 v7, 21, v7
	v_and_b32_e32 v9, 0x80000000, v9
	v_lshl_add_u32 v8, v8, 23, v10
	v_or3_b32 v7, v9, v8, v7
.LBB246_152:
	s_or_b64 exec, exec, s[46:47]
	v_cmp_neq_f32_e64 s[44:45], v6, v7
.LBB246_153:
	s_and_b64 vcc, exec, s[4:5]
	s_cbranch_vccnz .LBB246_303
.LBB246_154:
	s_movk_i32 s46, 0xff
	v_and_b32_sdwa v5, v3, s46 dst_sel:DWORD dst_unused:UNUSED_PAD src0_sel:WORD_1 src1_sel:DWORD
	s_movk_i32 s46, 0x7f
	v_cmp_lt_i16_e32 vcc, s46, v5
	s_mov_b64 s[46:47], 0
	s_and_saveexec_b64 s[48:49], vcc
	s_xor_b64 s[48:49], exec, s[48:49]
	s_cbranch_execnz .LBB246_437
; %bb.155:
	s_or_saveexec_b64 s[48:49], s[48:49]
	v_mov_b32_e32 v4, 0x7f800001
	s_xor_b64 exec, exec, s[48:49]
	s_cbranch_execnz .LBB246_440
.LBB246_156:
	s_or_b64 exec, exec, s[48:49]
	s_and_saveexec_b64 s[48:49], s[46:47]
	s_cbranch_execz .LBB246_158
.LBB246_157:
	v_bfe_u32 v4, v3, 16, 2
	v_ffbh_u32_e32 v6, v4
	v_min_u32_e32 v6, 32, v6
	v_bfe_u32 v5, v3, 18, 5
	v_subrev_u32_e32 v7, 29, v6
	v_lshlrev_b32_sdwa v7, v7, v3 dst_sel:DWORD dst_unused:UNUSED_PAD src0_sel:DWORD src1_sel:WORD_1
	v_sub_u32_e32 v6, 30, v6
	v_cmp_eq_u32_e32 vcc, 0, v5
	v_and_b32_e32 v7, 3, v7
	v_cndmask_b32_e32 v5, v5, v6, vcc
	v_mov_b32_e32 v6, 24
	v_cndmask_b32_e32 v4, v4, v7, vcc
	v_lshlrev_b32_sdwa v6, v6, v3 dst_sel:DWORD dst_unused:UNUSED_PAD src0_sel:DWORD src1_sel:WORD_1
	v_mov_b32_e32 v7, 0x37800000
	v_lshlrev_b32_e32 v4, 21, v4
	v_and_b32_e32 v6, 0x80000000, v6
	v_lshl_add_u32 v5, v5, 23, v7
	v_or3_b32 v4, v6, v5, v4
.LBB246_158:
	s_or_b64 exec, exec, s[48:49]
	s_movk_i32 s46, 0xff
	v_and_b32_sdwa v5, v2, s46 dst_sel:DWORD dst_unused:UNUSED_PAD src0_sel:WORD_1 src1_sel:DWORD
	s_movk_i32 s46, 0x7f
	v_cmp_lt_i16_e32 vcc, s46, v5
	s_mov_b64 s[46:47], 0
	s_and_saveexec_b64 s[48:49], vcc
	s_xor_b64 s[48:49], exec, s[48:49]
	s_cbranch_execnz .LBB246_441
; %bb.159:
	s_or_saveexec_b64 s[48:49], s[48:49]
	v_mov_b32_e32 v6, 0x7f800001
	s_xor_b64 exec, exec, s[48:49]
	s_cbranch_execnz .LBB246_444
.LBB246_160:
	s_or_b64 exec, exec, s[48:49]
	s_and_saveexec_b64 s[48:49], s[46:47]
	s_cbranch_execz .LBB246_162
.LBB246_161:
	v_bfe_u32 v5, v2, 16, 2
	v_ffbh_u32_e32 v7, v5
	v_min_u32_e32 v7, 32, v7
	v_bfe_u32 v6, v2, 18, 5
	v_subrev_u32_e32 v8, 29, v7
	v_lshlrev_b32_sdwa v8, v8, v2 dst_sel:DWORD dst_unused:UNUSED_PAD src0_sel:DWORD src1_sel:WORD_1
	v_sub_u32_e32 v7, 30, v7
	v_cmp_eq_u32_e32 vcc, 0, v6
	v_and_b32_e32 v8, 3, v8
	v_cndmask_b32_e32 v6, v6, v7, vcc
	v_mov_b32_e32 v7, 24
	v_cndmask_b32_e32 v5, v5, v8, vcc
	v_lshlrev_b32_sdwa v7, v7, v2 dst_sel:DWORD dst_unused:UNUSED_PAD src0_sel:DWORD src1_sel:WORD_1
	v_mov_b32_e32 v8, 0x37800000
	v_lshlrev_b32_e32 v5, 21, v5
	v_and_b32_e32 v7, 0x80000000, v7
	v_lshl_add_u32 v6, v6, 23, v8
	v_or3_b32 v6, v7, v6, v5
.LBB246_162:
	s_or_b64 exec, exec, s[48:49]
	v_cmp_neq_f32_e64 s[46:47], v4, v6
.LBB246_163:
	s_and_b64 vcc, exec, s[4:5]
	s_cbranch_vccnz .LBB246_313
.LBB246_164:
	s_movk_i32 s4, 0x7f
	v_cmp_gt_i16_sdwa s[48:49], v3, s4 src0_sel:BYTE_3 src1_sel:DWORD
	s_mov_b64 s[4:5], 0
	s_and_saveexec_b64 s[50:51], s[48:49]
	s_xor_b64 s[48:49], exec, s[50:51]
	s_cbranch_execnz .LBB246_445
; %bb.165:
	s_or_saveexec_b64 s[48:49], s[48:49]
	v_mov_b32_e32 v4, 0x7f800001
	s_xor_b64 exec, exec, s[48:49]
	s_cbranch_execnz .LBB246_448
.LBB246_166:
	s_or_b64 exec, exec, s[48:49]
	s_and_saveexec_b64 s[48:49], s[4:5]
	s_cbranch_execz .LBB246_168
.LBB246_167:
	v_bfe_u32 v4, v3, 24, 2
	v_ffbh_u32_e32 v6, v4
	v_min_u32_e32 v6, 32, v6
	v_subrev_u32_e32 v7, 29, v6
	v_bfe_u32 v5, v3, 26, 5
	v_lshlrev_b32_sdwa v7, v7, v3 dst_sel:DWORD dst_unused:UNUSED_PAD src0_sel:DWORD src1_sel:BYTE_3
	v_sub_u32_e32 v6, 30, v6
	v_and_b32_e32 v7, 3, v7
	v_cmp_eq_u32_e32 vcc, 0, v5
	v_cndmask_b32_e32 v5, v5, v6, vcc
	v_cndmask_b32_e32 v4, v4, v7, vcc
	v_mov_b32_e32 v7, 0x37800000
	v_lshlrev_b32_e32 v4, 21, v4
	v_and_b32_e32 v6, 0x80000000, v3
	v_lshl_add_u32 v5, v5, 23, v7
	v_or3_b32 v4, v6, v5, v4
.LBB246_168:
	s_or_b64 exec, exec, s[48:49]
	s_movk_i32 s4, 0x7f
	v_cmp_gt_i16_sdwa s[48:49], v2, s4 src0_sel:BYTE_3 src1_sel:DWORD
	s_mov_b64 s[4:5], 0
	s_and_saveexec_b64 s[50:51], s[48:49]
	s_xor_b64 s[48:49], exec, s[50:51]
	s_cbranch_execnz .LBB246_449
; %bb.169:
	s_or_saveexec_b64 s[48:49], s[48:49]
	v_mov_b32_e32 v5, 0x7f800001
	s_xor_b64 exec, exec, s[48:49]
	s_cbranch_execnz .LBB246_452
.LBB246_170:
	s_or_b64 exec, exec, s[48:49]
	s_and_saveexec_b64 s[48:49], s[4:5]
	s_cbranch_execz .LBB246_172
.LBB246_171:
	v_bfe_u32 v5, v2, 24, 2
	v_ffbh_u32_e32 v7, v5
	v_min_u32_e32 v7, 32, v7
	v_subrev_u32_e32 v8, 29, v7
	v_bfe_u32 v6, v2, 26, 5
	v_lshlrev_b32_sdwa v8, v8, v2 dst_sel:DWORD dst_unused:UNUSED_PAD src0_sel:DWORD src1_sel:BYTE_3
	v_sub_u32_e32 v7, 30, v7
	v_and_b32_e32 v8, 3, v8
	v_cmp_eq_u32_e32 vcc, 0, v6
	v_cndmask_b32_e32 v6, v6, v7, vcc
	v_cndmask_b32_e32 v5, v5, v8, vcc
	v_mov_b32_e32 v8, 0x37800000
	v_lshlrev_b32_e32 v5, 21, v5
	v_and_b32_e32 v7, 0x80000000, v2
	v_lshl_add_u32 v6, v6, 23, v8
	v_or3_b32 v5, v7, v6, v5
.LBB246_172:
	s_or_b64 exec, exec, s[48:49]
	v_cmp_neq_f32_e64 s[4:5], v4, v5
	s_branch .LBB246_323
.LBB246_173:
                                        ; implicit-def: $sgpr18_sgpr19
	s_cbranch_execz .LBB246_33
; %bb.174:
	s_movk_i32 s18, 0x7f
	v_cmp_gt_i16_sdwa s[20:21], v11, s18 src0_sel:BYTE_0 src1_sel:DWORD
	s_mov_b64 s[18:19], 0
	s_and_saveexec_b64 s[22:23], s[20:21]
	s_xor_b64 s[20:21], exec, s[22:23]
	s_cbranch_execnz .LBB246_461
; %bb.175:
	s_or_saveexec_b64 s[20:21], s[20:21]
	v_mov_b32_e32 v12, 0x7f800001
	s_xor_b64 exec, exec, s[20:21]
	s_cbranch_execnz .LBB246_464
.LBB246_176:
	s_or_b64 exec, exec, s[20:21]
	s_and_saveexec_b64 s[20:21], s[18:19]
	s_cbranch_execz .LBB246_178
.LBB246_177:
	v_bfe_u32 v12, v9, 8, 2
	v_ffbh_u32_e32 v14, v12
	v_min_u32_e32 v14, 32, v14
	v_subrev_u32_e32 v15, 29, v14
	v_bfe_u32 v13, v9, 10, 5
	v_lshlrev_b32_e32 v15, v15, v11
	v_sub_u32_e32 v14, 30, v14
	v_and_b32_e32 v15, 3, v15
	v_cmp_eq_u32_e32 vcc, 0, v13
	v_cndmask_b32_e32 v13, v13, v14, vcc
	v_cndmask_b32_e32 v12, v12, v15, vcc
	v_lshlrev_b32_e32 v11, 24, v11
	v_mov_b32_e32 v14, 0x37800000
	v_lshlrev_b32_e32 v12, 21, v12
	v_and_b32_e32 v11, 0x80000000, v11
	v_lshl_add_u32 v13, v13, 23, v14
	v_or3_b32 v12, v11, v13, v12
.LBB246_178:
	s_or_b64 exec, exec, s[20:21]
	s_movk_i32 s18, 0x7f
	v_cmp_gt_i16_sdwa s[20:21], v10, s18 src0_sel:BYTE_0 src1_sel:DWORD
	s_mov_b64 s[18:19], 0
	s_and_saveexec_b64 s[22:23], s[20:21]
	s_xor_b64 s[20:21], exec, s[22:23]
	s_cbranch_execnz .LBB246_465
; %bb.179:
	s_or_saveexec_b64 s[20:21], s[20:21]
	v_mov_b32_e32 v11, 0x7f800001
	s_xor_b64 exec, exec, s[20:21]
	s_cbranch_execnz .LBB246_468
.LBB246_180:
	s_or_b64 exec, exec, s[20:21]
	s_and_saveexec_b64 s[20:21], s[18:19]
	s_cbranch_execz .LBB246_182
.LBB246_181:
	v_bfe_u32 v11, v8, 8, 2
	v_ffbh_u32_e32 v14, v11
	v_min_u32_e32 v14, 32, v14
	v_subrev_u32_e32 v15, 29, v14
	v_bfe_u32 v13, v8, 10, 5
	v_lshlrev_b32_e32 v15, v15, v10
	v_sub_u32_e32 v14, 30, v14
	v_and_b32_e32 v15, 3, v15
	v_cmp_eq_u32_e32 vcc, 0, v13
	v_cndmask_b32_e32 v13, v13, v14, vcc
	v_cndmask_b32_e32 v11, v11, v15, vcc
	v_lshlrev_b32_e32 v10, 24, v10
	v_mov_b32_e32 v14, 0x37800000
	v_lshlrev_b32_e32 v11, 21, v11
	v_and_b32_e32 v10, 0x80000000, v10
	v_lshl_add_u32 v13, v13, 23, v14
	v_or3_b32 v11, v10, v13, v11
.LBB246_182:
	s_or_b64 exec, exec, s[20:21]
	v_cmp_eq_f32_e64 s[18:19], v12, v11
	s_and_b64 vcc, exec, s[4:5]
	s_cbranch_vccz .LBB246_34
.LBB246_183:
                                        ; implicit-def: $sgpr20_sgpr21
	s_cbranch_execz .LBB246_43
; %bb.184:
	s_movk_i32 s20, 0xff
	v_and_b32_sdwa v11, v9, s20 dst_sel:DWORD dst_unused:UNUSED_PAD src0_sel:WORD_1 src1_sel:DWORD
	s_movk_i32 s20, 0x7f
	v_cmp_lt_i16_e32 vcc, s20, v11
	s_mov_b64 s[20:21], 0
	s_and_saveexec_b64 s[22:23], vcc
	s_xor_b64 s[22:23], exec, s[22:23]
	s_cbranch_execnz .LBB246_469
; %bb.185:
	s_or_saveexec_b64 s[22:23], s[22:23]
	v_mov_b32_e32 v10, 0x7f800001
	s_xor_b64 exec, exec, s[22:23]
	s_cbranch_execnz .LBB246_472
.LBB246_186:
	s_or_b64 exec, exec, s[22:23]
	s_and_saveexec_b64 s[22:23], s[20:21]
	s_cbranch_execz .LBB246_188
.LBB246_187:
	v_bfe_u32 v10, v9, 16, 2
	v_ffbh_u32_e32 v12, v10
	v_min_u32_e32 v12, 32, v12
	v_bfe_u32 v11, v9, 18, 5
	v_subrev_u32_e32 v13, 29, v12
	v_lshlrev_b32_sdwa v13, v13, v9 dst_sel:DWORD dst_unused:UNUSED_PAD src0_sel:DWORD src1_sel:WORD_1
	v_sub_u32_e32 v12, 30, v12
	v_cmp_eq_u32_e32 vcc, 0, v11
	v_and_b32_e32 v13, 3, v13
	v_cndmask_b32_e32 v11, v11, v12, vcc
	v_mov_b32_e32 v12, 24
	v_cndmask_b32_e32 v10, v10, v13, vcc
	v_lshlrev_b32_sdwa v12, v12, v9 dst_sel:DWORD dst_unused:UNUSED_PAD src0_sel:DWORD src1_sel:WORD_1
	v_mov_b32_e32 v13, 0x37800000
	v_lshlrev_b32_e32 v10, 21, v10
	v_and_b32_e32 v12, 0x80000000, v12
	v_lshl_add_u32 v11, v11, 23, v13
	v_or3_b32 v10, v12, v11, v10
.LBB246_188:
	s_or_b64 exec, exec, s[22:23]
	s_movk_i32 s20, 0xff
	v_and_b32_sdwa v11, v8, s20 dst_sel:DWORD dst_unused:UNUSED_PAD src0_sel:WORD_1 src1_sel:DWORD
	s_movk_i32 s20, 0x7f
	v_cmp_lt_i16_e32 vcc, s20, v11
	s_mov_b64 s[20:21], 0
	s_and_saveexec_b64 s[22:23], vcc
	s_xor_b64 s[22:23], exec, s[22:23]
	s_cbranch_execnz .LBB246_473
; %bb.189:
	s_or_saveexec_b64 s[22:23], s[22:23]
	v_mov_b32_e32 v12, 0x7f800001
	s_xor_b64 exec, exec, s[22:23]
	s_cbranch_execnz .LBB246_476
.LBB246_190:
	s_or_b64 exec, exec, s[22:23]
	s_and_saveexec_b64 s[22:23], s[20:21]
	s_cbranch_execz .LBB246_192
.LBB246_191:
	v_bfe_u32 v11, v8, 16, 2
	v_ffbh_u32_e32 v13, v11
	v_min_u32_e32 v13, 32, v13
	v_bfe_u32 v12, v8, 18, 5
	v_subrev_u32_e32 v14, 29, v13
	v_lshlrev_b32_sdwa v14, v14, v8 dst_sel:DWORD dst_unused:UNUSED_PAD src0_sel:DWORD src1_sel:WORD_1
	v_sub_u32_e32 v13, 30, v13
	v_cmp_eq_u32_e32 vcc, 0, v12
	v_and_b32_e32 v14, 3, v14
	v_cndmask_b32_e32 v12, v12, v13, vcc
	v_mov_b32_e32 v13, 24
	v_cndmask_b32_e32 v11, v11, v14, vcc
	v_lshlrev_b32_sdwa v13, v13, v8 dst_sel:DWORD dst_unused:UNUSED_PAD src0_sel:DWORD src1_sel:WORD_1
	v_mov_b32_e32 v14, 0x37800000
	v_lshlrev_b32_e32 v11, 21, v11
	v_and_b32_e32 v13, 0x80000000, v13
	v_lshl_add_u32 v12, v12, 23, v14
	v_or3_b32 v12, v13, v12, v11
.LBB246_192:
	s_or_b64 exec, exec, s[22:23]
	v_cmp_eq_f32_e64 s[20:21], v10, v12
	s_and_b64 vcc, exec, s[4:5]
	s_cbranch_vccz .LBB246_44
.LBB246_193:
                                        ; implicit-def: $sgpr22_sgpr23
	s_cbranch_execz .LBB246_53
; %bb.194:
	s_movk_i32 s22, 0x7f
	v_cmp_gt_i16_sdwa s[24:25], v9, s22 src0_sel:BYTE_3 src1_sel:DWORD
	s_mov_b64 s[22:23], 0
	s_and_saveexec_b64 s[26:27], s[24:25]
	s_xor_b64 s[24:25], exec, s[26:27]
	s_cbranch_execnz .LBB246_477
; %bb.195:
	s_or_saveexec_b64 s[24:25], s[24:25]
	v_mov_b32_e32 v10, 0x7f800001
	s_xor_b64 exec, exec, s[24:25]
	s_cbranch_execnz .LBB246_480
.LBB246_196:
	s_or_b64 exec, exec, s[24:25]
	s_and_saveexec_b64 s[24:25], s[22:23]
	s_cbranch_execz .LBB246_198
.LBB246_197:
	v_bfe_u32 v10, v9, 24, 2
	v_ffbh_u32_e32 v12, v10
	v_min_u32_e32 v12, 32, v12
	v_subrev_u32_e32 v13, 29, v12
	v_bfe_u32 v11, v9, 26, 5
	v_lshlrev_b32_sdwa v13, v13, v9 dst_sel:DWORD dst_unused:UNUSED_PAD src0_sel:DWORD src1_sel:BYTE_3
	v_sub_u32_e32 v12, 30, v12
	v_and_b32_e32 v13, 3, v13
	v_cmp_eq_u32_e32 vcc, 0, v11
	v_cndmask_b32_e32 v11, v11, v12, vcc
	v_cndmask_b32_e32 v10, v10, v13, vcc
	v_mov_b32_e32 v12, 0x37800000
	v_lshlrev_b32_e32 v10, 21, v10
	v_and_b32_e32 v9, 0x80000000, v9
	v_lshl_add_u32 v11, v11, 23, v12
	v_or3_b32 v10, v9, v11, v10
.LBB246_198:
	s_or_b64 exec, exec, s[24:25]
	s_movk_i32 s22, 0x7f
	v_cmp_gt_i16_sdwa s[24:25], v8, s22 src0_sel:BYTE_3 src1_sel:DWORD
	s_mov_b64 s[22:23], 0
	s_and_saveexec_b64 s[26:27], s[24:25]
	s_xor_b64 s[24:25], exec, s[26:27]
	s_cbranch_execnz .LBB246_481
; %bb.199:
	s_or_saveexec_b64 s[24:25], s[24:25]
	v_mov_b32_e32 v9, 0x7f800001
	s_xor_b64 exec, exec, s[24:25]
	s_cbranch_execnz .LBB246_484
.LBB246_200:
	s_or_b64 exec, exec, s[24:25]
	s_and_saveexec_b64 s[24:25], s[22:23]
	s_cbranch_execz .LBB246_202
.LBB246_201:
	v_bfe_u32 v9, v8, 24, 2
	v_ffbh_u32_e32 v12, v9
	v_min_u32_e32 v12, 32, v12
	v_subrev_u32_e32 v13, 29, v12
	v_bfe_u32 v11, v8, 26, 5
	v_lshlrev_b32_sdwa v13, v13, v8 dst_sel:DWORD dst_unused:UNUSED_PAD src0_sel:DWORD src1_sel:BYTE_3
	v_sub_u32_e32 v12, 30, v12
	v_and_b32_e32 v13, 3, v13
	v_cmp_eq_u32_e32 vcc, 0, v11
	v_cndmask_b32_e32 v11, v11, v12, vcc
	v_cndmask_b32_e32 v9, v9, v13, vcc
	v_mov_b32_e32 v12, 0x37800000
	v_lshlrev_b32_e32 v9, 21, v9
	v_and_b32_e32 v8, 0x80000000, v8
	v_lshl_add_u32 v11, v11, 23, v12
	v_or3_b32 v9, v8, v11, v9
.LBB246_202:
	s_or_b64 exec, exec, s[24:25]
	v_cmp_eq_f32_e64 s[22:23], v10, v9
	s_and_b64 vcc, exec, s[4:5]
	s_cbranch_vccz .LBB246_54
.LBB246_203:
                                        ; implicit-def: $sgpr24_sgpr25
	s_cbranch_execz .LBB246_63
; %bb.204:
	s_movk_i32 s24, 0x7f
	v_cmp_gt_i16_sdwa s[26:27], v7, s24 src0_sel:BYTE_0 src1_sel:DWORD
	s_mov_b64 s[24:25], 0
	s_and_saveexec_b64 s[28:29], s[26:27]
	s_xor_b64 s[26:27], exec, s[28:29]
	s_cbranch_execnz .LBB246_485
; %bb.205:
	s_or_saveexec_b64 s[26:27], s[26:27]
	v_mov_b32_e32 v8, 0x7f800001
	s_xor_b64 exec, exec, s[26:27]
	s_cbranch_execnz .LBB246_488
.LBB246_206:
	s_or_b64 exec, exec, s[26:27]
	s_and_saveexec_b64 s[26:27], s[24:25]
	s_cbranch_execz .LBB246_208
.LBB246_207:
	v_and_b32_e32 v8, 3, v7
	v_ffbh_u32_e32 v10, v8
	v_min_u32_e32 v10, 32, v10
	v_subrev_u32_e32 v11, 29, v10
	v_bfe_u32 v9, v7, 2, 5
	v_lshlrev_b32_e32 v11, v11, v7
	v_sub_u32_e32 v10, 30, v10
	v_and_b32_e32 v11, 3, v11
	v_cmp_eq_u32_e32 vcc, 0, v9
	v_cndmask_b32_e32 v9, v9, v10, vcc
	v_cndmask_b32_e32 v8, v8, v11, vcc
	v_lshlrev_b32_e32 v10, 24, v7
	v_mov_b32_e32 v11, 0x37800000
	v_lshlrev_b32_e32 v8, 21, v8
	v_and_b32_e32 v10, 0x80000000, v10
	v_lshl_add_u32 v9, v9, 23, v11
	v_or3_b32 v8, v10, v9, v8
.LBB246_208:
	s_or_b64 exec, exec, s[26:27]
	s_movk_i32 s24, 0x7f
	s_waitcnt vmcnt(2)
	v_cmp_gt_i16_sdwa s[26:27], v6, s24 src0_sel:BYTE_0 src1_sel:DWORD
	s_mov_b64 s[24:25], 0
	s_and_saveexec_b64 s[28:29], s[26:27]
	s_xor_b64 s[26:27], exec, s[28:29]
	s_cbranch_execnz .LBB246_489
; %bb.209:
	s_or_saveexec_b64 s[26:27], s[26:27]
	v_mov_b32_e32 v9, 0x7f800001
	s_xor_b64 exec, exec, s[26:27]
	s_cbranch_execnz .LBB246_492
.LBB246_210:
	s_or_b64 exec, exec, s[26:27]
	s_and_saveexec_b64 s[26:27], s[24:25]
	s_cbranch_execz .LBB246_212
.LBB246_211:
	v_and_b32_e32 v9, 3, v6
	v_ffbh_u32_e32 v11, v9
	v_min_u32_e32 v11, 32, v11
	v_subrev_u32_e32 v12, 29, v11
	v_bfe_u32 v10, v6, 2, 5
	v_lshlrev_b32_e32 v12, v12, v6
	v_sub_u32_e32 v11, 30, v11
	v_and_b32_e32 v12, 3, v12
	v_cmp_eq_u32_e32 vcc, 0, v10
	v_cndmask_b32_e32 v10, v10, v11, vcc
	v_cndmask_b32_e32 v9, v9, v12, vcc
	v_lshlrev_b32_e32 v11, 24, v6
	v_mov_b32_e32 v12, 0x37800000
	v_lshlrev_b32_e32 v9, 21, v9
	v_and_b32_e32 v11, 0x80000000, v11
	v_lshl_add_u32 v10, v10, 23, v12
	v_or3_b32 v9, v11, v10, v9
.LBB246_212:
	s_or_b64 exec, exec, s[26:27]
	v_cmp_eq_f32_e64 s[24:25], v8, v9
	v_lshrrev_b32_e32 v9, 8, v7
	s_and_b64 vcc, exec, s[4:5]
	v_lshrrev_b32_e32 v8, 8, v6
	s_cbranch_vccz .LBB246_64
.LBB246_213:
                                        ; implicit-def: $sgpr26_sgpr27
	s_cbranch_execz .LBB246_73
; %bb.214:
	s_movk_i32 s26, 0x7f
	v_cmp_gt_i16_sdwa s[28:29], v9, s26 src0_sel:BYTE_0 src1_sel:DWORD
	s_mov_b64 s[26:27], 0
	s_and_saveexec_b64 s[30:31], s[28:29]
	s_xor_b64 s[28:29], exec, s[30:31]
	s_cbranch_execnz .LBB246_493
; %bb.215:
	s_or_saveexec_b64 s[28:29], s[28:29]
	v_mov_b32_e32 v10, 0x7f800001
	s_xor_b64 exec, exec, s[28:29]
	s_cbranch_execnz .LBB246_496
.LBB246_216:
	s_or_b64 exec, exec, s[28:29]
	s_and_saveexec_b64 s[28:29], s[26:27]
	s_cbranch_execz .LBB246_218
.LBB246_217:
	v_bfe_u32 v10, v7, 8, 2
	v_ffbh_u32_e32 v12, v10
	v_min_u32_e32 v12, 32, v12
	v_subrev_u32_e32 v13, 29, v12
	v_bfe_u32 v11, v7, 10, 5
	v_lshlrev_b32_e32 v13, v13, v9
	v_sub_u32_e32 v12, 30, v12
	v_and_b32_e32 v13, 3, v13
	v_cmp_eq_u32_e32 vcc, 0, v11
	v_cndmask_b32_e32 v11, v11, v12, vcc
	v_cndmask_b32_e32 v10, v10, v13, vcc
	v_lshlrev_b32_e32 v9, 24, v9
	v_mov_b32_e32 v12, 0x37800000
	v_lshlrev_b32_e32 v10, 21, v10
	v_and_b32_e32 v9, 0x80000000, v9
	v_lshl_add_u32 v11, v11, 23, v12
	v_or3_b32 v10, v9, v11, v10
.LBB246_218:
	s_or_b64 exec, exec, s[28:29]
	s_movk_i32 s26, 0x7f
	v_cmp_gt_i16_sdwa s[28:29], v8, s26 src0_sel:BYTE_0 src1_sel:DWORD
	s_mov_b64 s[26:27], 0
	s_and_saveexec_b64 s[30:31], s[28:29]
	s_xor_b64 s[28:29], exec, s[30:31]
	s_cbranch_execnz .LBB246_497
; %bb.219:
	s_or_saveexec_b64 s[28:29], s[28:29]
	v_mov_b32_e32 v9, 0x7f800001
	s_xor_b64 exec, exec, s[28:29]
	s_cbranch_execnz .LBB246_500
.LBB246_220:
	s_or_b64 exec, exec, s[28:29]
	s_and_saveexec_b64 s[28:29], s[26:27]
	s_cbranch_execz .LBB246_222
.LBB246_221:
	v_bfe_u32 v9, v6, 8, 2
	v_ffbh_u32_e32 v12, v9
	v_min_u32_e32 v12, 32, v12
	v_subrev_u32_e32 v13, 29, v12
	v_bfe_u32 v11, v6, 10, 5
	v_lshlrev_b32_e32 v13, v13, v8
	v_sub_u32_e32 v12, 30, v12
	v_and_b32_e32 v13, 3, v13
	v_cmp_eq_u32_e32 vcc, 0, v11
	v_cndmask_b32_e32 v11, v11, v12, vcc
	v_cndmask_b32_e32 v9, v9, v13, vcc
	v_lshlrev_b32_e32 v8, 24, v8
	v_mov_b32_e32 v12, 0x37800000
	v_lshlrev_b32_e32 v9, 21, v9
	v_and_b32_e32 v8, 0x80000000, v8
	v_lshl_add_u32 v11, v11, 23, v12
	v_or3_b32 v9, v8, v11, v9
.LBB246_222:
	s_or_b64 exec, exec, s[28:29]
	v_cmp_eq_f32_e64 s[26:27], v10, v9
	s_and_b64 vcc, exec, s[4:5]
	s_cbranch_vccz .LBB246_74
.LBB246_223:
                                        ; implicit-def: $sgpr28_sgpr29
	s_cbranch_execz .LBB246_83
; %bb.224:
	s_movk_i32 s28, 0xff
	v_and_b32_sdwa v9, v7, s28 dst_sel:DWORD dst_unused:UNUSED_PAD src0_sel:WORD_1 src1_sel:DWORD
	s_movk_i32 s28, 0x7f
	v_cmp_lt_i16_e32 vcc, s28, v9
	s_mov_b64 s[28:29], 0
	s_and_saveexec_b64 s[30:31], vcc
	s_xor_b64 s[30:31], exec, s[30:31]
	s_cbranch_execnz .LBB246_501
; %bb.225:
	s_or_saveexec_b64 s[30:31], s[30:31]
	v_mov_b32_e32 v8, 0x7f800001
	s_xor_b64 exec, exec, s[30:31]
	s_cbranch_execnz .LBB246_504
.LBB246_226:
	s_or_b64 exec, exec, s[30:31]
	s_and_saveexec_b64 s[30:31], s[28:29]
	s_cbranch_execz .LBB246_228
.LBB246_227:
	v_bfe_u32 v8, v7, 16, 2
	v_ffbh_u32_e32 v10, v8
	v_min_u32_e32 v10, 32, v10
	v_bfe_u32 v9, v7, 18, 5
	v_subrev_u32_e32 v11, 29, v10
	v_lshlrev_b32_sdwa v11, v11, v7 dst_sel:DWORD dst_unused:UNUSED_PAD src0_sel:DWORD src1_sel:WORD_1
	v_sub_u32_e32 v10, 30, v10
	v_cmp_eq_u32_e32 vcc, 0, v9
	v_and_b32_e32 v11, 3, v11
	v_cndmask_b32_e32 v9, v9, v10, vcc
	v_mov_b32_e32 v10, 24
	v_cndmask_b32_e32 v8, v8, v11, vcc
	v_lshlrev_b32_sdwa v10, v10, v7 dst_sel:DWORD dst_unused:UNUSED_PAD src0_sel:DWORD src1_sel:WORD_1
	v_mov_b32_e32 v11, 0x37800000
	v_lshlrev_b32_e32 v8, 21, v8
	v_and_b32_e32 v10, 0x80000000, v10
	v_lshl_add_u32 v9, v9, 23, v11
	v_or3_b32 v8, v10, v9, v8
.LBB246_228:
	s_or_b64 exec, exec, s[30:31]
	s_movk_i32 s28, 0xff
	v_and_b32_sdwa v9, v6, s28 dst_sel:DWORD dst_unused:UNUSED_PAD src0_sel:WORD_1 src1_sel:DWORD
	s_movk_i32 s28, 0x7f
	v_cmp_lt_i16_e32 vcc, s28, v9
	s_mov_b64 s[28:29], 0
	s_and_saveexec_b64 s[30:31], vcc
	s_xor_b64 s[30:31], exec, s[30:31]
	s_cbranch_execnz .LBB246_505
; %bb.229:
	s_or_saveexec_b64 s[30:31], s[30:31]
	v_mov_b32_e32 v10, 0x7f800001
	s_xor_b64 exec, exec, s[30:31]
	s_cbranch_execnz .LBB246_508
.LBB246_230:
	s_or_b64 exec, exec, s[30:31]
	s_and_saveexec_b64 s[30:31], s[28:29]
	s_cbranch_execz .LBB246_232
.LBB246_231:
	v_bfe_u32 v9, v6, 16, 2
	v_ffbh_u32_e32 v11, v9
	v_min_u32_e32 v11, 32, v11
	v_bfe_u32 v10, v6, 18, 5
	v_subrev_u32_e32 v12, 29, v11
	v_lshlrev_b32_sdwa v12, v12, v6 dst_sel:DWORD dst_unused:UNUSED_PAD src0_sel:DWORD src1_sel:WORD_1
	v_sub_u32_e32 v11, 30, v11
	v_cmp_eq_u32_e32 vcc, 0, v10
	v_and_b32_e32 v12, 3, v12
	v_cndmask_b32_e32 v10, v10, v11, vcc
	v_mov_b32_e32 v11, 24
	v_cndmask_b32_e32 v9, v9, v12, vcc
	v_lshlrev_b32_sdwa v11, v11, v6 dst_sel:DWORD dst_unused:UNUSED_PAD src0_sel:DWORD src1_sel:WORD_1
	v_mov_b32_e32 v12, 0x37800000
	v_lshlrev_b32_e32 v9, 21, v9
	v_and_b32_e32 v11, 0x80000000, v11
	v_lshl_add_u32 v10, v10, 23, v12
	v_or3_b32 v10, v11, v10, v9
.LBB246_232:
	s_or_b64 exec, exec, s[30:31]
	v_cmp_eq_f32_e64 s[28:29], v8, v10
	s_and_b64 vcc, exec, s[4:5]
	s_cbranch_vccz .LBB246_84
.LBB246_233:
                                        ; implicit-def: $sgpr30_sgpr31
	s_cbranch_execz .LBB246_93
; %bb.234:
	s_movk_i32 s30, 0x7f
	v_cmp_gt_i16_sdwa s[34:35], v7, s30 src0_sel:BYTE_3 src1_sel:DWORD
	s_mov_b64 s[30:31], 0
	s_and_saveexec_b64 s[36:37], s[34:35]
	s_xor_b64 s[34:35], exec, s[36:37]
	s_cbranch_execnz .LBB246_509
; %bb.235:
	s_or_saveexec_b64 s[34:35], s[34:35]
	v_mov_b32_e32 v8, 0x7f800001
	s_xor_b64 exec, exec, s[34:35]
	s_cbranch_execnz .LBB246_512
.LBB246_236:
	s_or_b64 exec, exec, s[34:35]
	s_and_saveexec_b64 s[34:35], s[30:31]
	s_cbranch_execz .LBB246_238
.LBB246_237:
	v_bfe_u32 v8, v7, 24, 2
	v_ffbh_u32_e32 v10, v8
	v_min_u32_e32 v10, 32, v10
	v_subrev_u32_e32 v11, 29, v10
	v_bfe_u32 v9, v7, 26, 5
	v_lshlrev_b32_sdwa v11, v11, v7 dst_sel:DWORD dst_unused:UNUSED_PAD src0_sel:DWORD src1_sel:BYTE_3
	v_sub_u32_e32 v10, 30, v10
	v_and_b32_e32 v11, 3, v11
	v_cmp_eq_u32_e32 vcc, 0, v9
	v_cndmask_b32_e32 v9, v9, v10, vcc
	v_cndmask_b32_e32 v8, v8, v11, vcc
	v_mov_b32_e32 v10, 0x37800000
	v_lshlrev_b32_e32 v8, 21, v8
	v_and_b32_e32 v7, 0x80000000, v7
	v_lshl_add_u32 v9, v9, 23, v10
	v_or3_b32 v8, v7, v9, v8
.LBB246_238:
	s_or_b64 exec, exec, s[34:35]
	s_movk_i32 s30, 0x7f
	v_cmp_gt_i16_sdwa s[34:35], v6, s30 src0_sel:BYTE_3 src1_sel:DWORD
	s_mov_b64 s[30:31], 0
	s_and_saveexec_b64 s[36:37], s[34:35]
	s_xor_b64 s[34:35], exec, s[36:37]
	s_cbranch_execnz .LBB246_513
; %bb.239:
	s_or_saveexec_b64 s[34:35], s[34:35]
	v_mov_b32_e32 v7, 0x7f800001
	s_xor_b64 exec, exec, s[34:35]
	s_cbranch_execnz .LBB246_516
.LBB246_240:
	s_or_b64 exec, exec, s[34:35]
	s_and_saveexec_b64 s[34:35], s[30:31]
	s_cbranch_execz .LBB246_242
.LBB246_241:
	v_bfe_u32 v7, v6, 24, 2
	v_ffbh_u32_e32 v10, v7
	v_min_u32_e32 v10, 32, v10
	v_subrev_u32_e32 v11, 29, v10
	v_bfe_u32 v9, v6, 26, 5
	v_lshlrev_b32_sdwa v11, v11, v6 dst_sel:DWORD dst_unused:UNUSED_PAD src0_sel:DWORD src1_sel:BYTE_3
	v_sub_u32_e32 v10, 30, v10
	v_and_b32_e32 v11, 3, v11
	v_cmp_eq_u32_e32 vcc, 0, v9
	v_cndmask_b32_e32 v9, v9, v10, vcc
	v_cndmask_b32_e32 v7, v7, v11, vcc
	v_mov_b32_e32 v10, 0x37800000
	v_lshlrev_b32_e32 v7, 21, v7
	v_and_b32_e32 v6, 0x80000000, v6
	v_lshl_add_u32 v9, v9, 23, v10
	v_or3_b32 v7, v6, v9, v7
.LBB246_242:
	s_or_b64 exec, exec, s[34:35]
	v_cmp_eq_f32_e64 s[30:31], v8, v7
	s_and_b64 vcc, exec, s[4:5]
	s_cbranch_vccz .LBB246_94
.LBB246_243:
                                        ; implicit-def: $sgpr34_sgpr35
	s_cbranch_execz .LBB246_103
; %bb.244:
	s_movk_i32 s34, 0x7f
	v_cmp_gt_i16_sdwa s[36:37], v5, s34 src0_sel:BYTE_0 src1_sel:DWORD
	s_mov_b64 s[34:35], 0
	s_and_saveexec_b64 s[38:39], s[36:37]
	s_xor_b64 s[36:37], exec, s[38:39]
	s_cbranch_execnz .LBB246_517
; %bb.245:
	s_or_saveexec_b64 s[36:37], s[36:37]
	v_mov_b32_e32 v6, 0x7f800001
	s_xor_b64 exec, exec, s[36:37]
	s_cbranch_execnz .LBB246_520
.LBB246_246:
	s_or_b64 exec, exec, s[36:37]
	s_and_saveexec_b64 s[36:37], s[34:35]
	s_cbranch_execz .LBB246_248
.LBB246_247:
	v_and_b32_e32 v6, 3, v5
	v_ffbh_u32_e32 v8, v6
	v_min_u32_e32 v8, 32, v8
	v_subrev_u32_e32 v9, 29, v8
	v_bfe_u32 v7, v5, 2, 5
	v_lshlrev_b32_e32 v9, v9, v5
	v_sub_u32_e32 v8, 30, v8
	v_and_b32_e32 v9, 3, v9
	v_cmp_eq_u32_e32 vcc, 0, v7
	v_cndmask_b32_e32 v7, v7, v8, vcc
	v_cndmask_b32_e32 v6, v6, v9, vcc
	v_lshlrev_b32_e32 v8, 24, v5
	v_mov_b32_e32 v9, 0x37800000
	v_lshlrev_b32_e32 v6, 21, v6
	v_and_b32_e32 v8, 0x80000000, v8
	v_lshl_add_u32 v7, v7, 23, v9
	v_or3_b32 v6, v8, v7, v6
.LBB246_248:
	s_or_b64 exec, exec, s[36:37]
	s_movk_i32 s34, 0x7f
	s_waitcnt vmcnt(1)
	v_cmp_gt_i16_sdwa s[36:37], v4, s34 src0_sel:BYTE_0 src1_sel:DWORD
	s_mov_b64 s[34:35], 0
	s_and_saveexec_b64 s[38:39], s[36:37]
	s_xor_b64 s[36:37], exec, s[38:39]
	s_cbranch_execnz .LBB246_521
; %bb.249:
	s_or_saveexec_b64 s[36:37], s[36:37]
	v_mov_b32_e32 v7, 0x7f800001
	s_xor_b64 exec, exec, s[36:37]
	s_cbranch_execnz .LBB246_524
.LBB246_250:
	s_or_b64 exec, exec, s[36:37]
	s_and_saveexec_b64 s[36:37], s[34:35]
	s_cbranch_execz .LBB246_252
.LBB246_251:
	v_and_b32_e32 v7, 3, v4
	v_ffbh_u32_e32 v9, v7
	v_min_u32_e32 v9, 32, v9
	v_subrev_u32_e32 v10, 29, v9
	v_bfe_u32 v8, v4, 2, 5
	v_lshlrev_b32_e32 v10, v10, v4
	v_sub_u32_e32 v9, 30, v9
	v_and_b32_e32 v10, 3, v10
	v_cmp_eq_u32_e32 vcc, 0, v8
	v_cndmask_b32_e32 v8, v8, v9, vcc
	v_cndmask_b32_e32 v7, v7, v10, vcc
	v_lshlrev_b32_e32 v9, 24, v4
	v_mov_b32_e32 v10, 0x37800000
	v_lshlrev_b32_e32 v7, 21, v7
	v_and_b32_e32 v9, 0x80000000, v9
	v_lshl_add_u32 v8, v8, 23, v10
	v_or3_b32 v7, v9, v8, v7
.LBB246_252:
	s_or_b64 exec, exec, s[36:37]
	v_cmp_eq_f32_e64 s[34:35], v6, v7
	v_lshrrev_b32_e32 v7, 8, v5
	s_and_b64 vcc, exec, s[4:5]
	v_lshrrev_b32_e32 v6, 8, v4
	s_cbranch_vccz .LBB246_104
.LBB246_253:
                                        ; implicit-def: $sgpr36_sgpr37
	s_cbranch_execz .LBB246_113
; %bb.254:
	s_movk_i32 s36, 0x7f
	v_cmp_gt_i16_sdwa s[38:39], v7, s36 src0_sel:BYTE_0 src1_sel:DWORD
	s_mov_b64 s[36:37], 0
	s_and_saveexec_b64 s[40:41], s[38:39]
	s_xor_b64 s[38:39], exec, s[40:41]
	s_cbranch_execnz .LBB246_525
; %bb.255:
	s_or_saveexec_b64 s[38:39], s[38:39]
	v_mov_b32_e32 v8, 0x7f800001
	s_xor_b64 exec, exec, s[38:39]
	s_cbranch_execnz .LBB246_528
.LBB246_256:
	s_or_b64 exec, exec, s[38:39]
	s_and_saveexec_b64 s[38:39], s[36:37]
	s_cbranch_execz .LBB246_258
.LBB246_257:
	v_bfe_u32 v8, v5, 8, 2
	v_ffbh_u32_e32 v10, v8
	v_min_u32_e32 v10, 32, v10
	v_subrev_u32_e32 v11, 29, v10
	v_bfe_u32 v9, v5, 10, 5
	v_lshlrev_b32_e32 v11, v11, v7
	v_sub_u32_e32 v10, 30, v10
	v_and_b32_e32 v11, 3, v11
	v_cmp_eq_u32_e32 vcc, 0, v9
	v_cndmask_b32_e32 v9, v9, v10, vcc
	v_cndmask_b32_e32 v8, v8, v11, vcc
	v_lshlrev_b32_e32 v7, 24, v7
	v_mov_b32_e32 v10, 0x37800000
	v_lshlrev_b32_e32 v8, 21, v8
	v_and_b32_e32 v7, 0x80000000, v7
	v_lshl_add_u32 v9, v9, 23, v10
	v_or3_b32 v8, v7, v9, v8
.LBB246_258:
	s_or_b64 exec, exec, s[38:39]
	s_movk_i32 s36, 0x7f
	v_cmp_gt_i16_sdwa s[38:39], v6, s36 src0_sel:BYTE_0 src1_sel:DWORD
	s_mov_b64 s[36:37], 0
	s_and_saveexec_b64 s[40:41], s[38:39]
	s_xor_b64 s[38:39], exec, s[40:41]
	s_cbranch_execnz .LBB246_529
; %bb.259:
	s_or_saveexec_b64 s[38:39], s[38:39]
	v_mov_b32_e32 v7, 0x7f800001
	s_xor_b64 exec, exec, s[38:39]
	s_cbranch_execnz .LBB246_532
.LBB246_260:
	s_or_b64 exec, exec, s[38:39]
	s_and_saveexec_b64 s[38:39], s[36:37]
	s_cbranch_execz .LBB246_262
.LBB246_261:
	v_bfe_u32 v7, v4, 8, 2
	v_ffbh_u32_e32 v10, v7
	v_min_u32_e32 v10, 32, v10
	v_subrev_u32_e32 v11, 29, v10
	v_bfe_u32 v9, v4, 10, 5
	v_lshlrev_b32_e32 v11, v11, v6
	v_sub_u32_e32 v10, 30, v10
	v_and_b32_e32 v11, 3, v11
	v_cmp_eq_u32_e32 vcc, 0, v9
	v_cndmask_b32_e32 v9, v9, v10, vcc
	v_cndmask_b32_e32 v7, v7, v11, vcc
	v_lshlrev_b32_e32 v6, 24, v6
	v_mov_b32_e32 v10, 0x37800000
	v_lshlrev_b32_e32 v7, 21, v7
	v_and_b32_e32 v6, 0x80000000, v6
	v_lshl_add_u32 v9, v9, 23, v10
	v_or3_b32 v7, v6, v9, v7
.LBB246_262:
	s_or_b64 exec, exec, s[38:39]
	v_cmp_eq_f32_e64 s[36:37], v8, v7
	s_and_b64 vcc, exec, s[4:5]
	s_cbranch_vccz .LBB246_114
.LBB246_263:
                                        ; implicit-def: $sgpr38_sgpr39
	s_cbranch_execz .LBB246_123
; %bb.264:
	s_movk_i32 s38, 0xff
	v_and_b32_sdwa v7, v5, s38 dst_sel:DWORD dst_unused:UNUSED_PAD src0_sel:WORD_1 src1_sel:DWORD
	s_movk_i32 s38, 0x7f
	v_cmp_lt_i16_e32 vcc, s38, v7
	s_mov_b64 s[38:39], 0
	s_and_saveexec_b64 s[40:41], vcc
	s_xor_b64 s[40:41], exec, s[40:41]
	s_cbranch_execnz .LBB246_533
; %bb.265:
	s_or_saveexec_b64 s[40:41], s[40:41]
	v_mov_b32_e32 v6, 0x7f800001
	s_xor_b64 exec, exec, s[40:41]
	s_cbranch_execnz .LBB246_536
.LBB246_266:
	s_or_b64 exec, exec, s[40:41]
	s_and_saveexec_b64 s[40:41], s[38:39]
	s_cbranch_execz .LBB246_268
.LBB246_267:
	v_bfe_u32 v6, v5, 16, 2
	v_ffbh_u32_e32 v8, v6
	v_min_u32_e32 v8, 32, v8
	v_bfe_u32 v7, v5, 18, 5
	v_subrev_u32_e32 v9, 29, v8
	v_lshlrev_b32_sdwa v9, v9, v5 dst_sel:DWORD dst_unused:UNUSED_PAD src0_sel:DWORD src1_sel:WORD_1
	v_sub_u32_e32 v8, 30, v8
	v_cmp_eq_u32_e32 vcc, 0, v7
	v_and_b32_e32 v9, 3, v9
	v_cndmask_b32_e32 v7, v7, v8, vcc
	v_mov_b32_e32 v8, 24
	v_cndmask_b32_e32 v6, v6, v9, vcc
	v_lshlrev_b32_sdwa v8, v8, v5 dst_sel:DWORD dst_unused:UNUSED_PAD src0_sel:DWORD src1_sel:WORD_1
	v_mov_b32_e32 v9, 0x37800000
	v_lshlrev_b32_e32 v6, 21, v6
	v_and_b32_e32 v8, 0x80000000, v8
	v_lshl_add_u32 v7, v7, 23, v9
	v_or3_b32 v6, v8, v7, v6
.LBB246_268:
	s_or_b64 exec, exec, s[40:41]
	s_movk_i32 s38, 0xff
	v_and_b32_sdwa v7, v4, s38 dst_sel:DWORD dst_unused:UNUSED_PAD src0_sel:WORD_1 src1_sel:DWORD
	s_movk_i32 s38, 0x7f
	v_cmp_lt_i16_e32 vcc, s38, v7
	s_mov_b64 s[38:39], 0
	s_and_saveexec_b64 s[40:41], vcc
	s_xor_b64 s[40:41], exec, s[40:41]
	s_cbranch_execnz .LBB246_537
; %bb.269:
	s_or_saveexec_b64 s[40:41], s[40:41]
	v_mov_b32_e32 v8, 0x7f800001
	s_xor_b64 exec, exec, s[40:41]
	s_cbranch_execnz .LBB246_540
.LBB246_270:
	s_or_b64 exec, exec, s[40:41]
	s_and_saveexec_b64 s[40:41], s[38:39]
	s_cbranch_execz .LBB246_272
.LBB246_271:
	v_bfe_u32 v7, v4, 16, 2
	v_ffbh_u32_e32 v9, v7
	v_min_u32_e32 v9, 32, v9
	v_bfe_u32 v8, v4, 18, 5
	v_subrev_u32_e32 v10, 29, v9
	v_lshlrev_b32_sdwa v10, v10, v4 dst_sel:DWORD dst_unused:UNUSED_PAD src0_sel:DWORD src1_sel:WORD_1
	v_sub_u32_e32 v9, 30, v9
	v_cmp_eq_u32_e32 vcc, 0, v8
	v_and_b32_e32 v10, 3, v10
	v_cndmask_b32_e32 v8, v8, v9, vcc
	v_mov_b32_e32 v9, 24
	v_cndmask_b32_e32 v7, v7, v10, vcc
	v_lshlrev_b32_sdwa v9, v9, v4 dst_sel:DWORD dst_unused:UNUSED_PAD src0_sel:DWORD src1_sel:WORD_1
	v_mov_b32_e32 v10, 0x37800000
	v_lshlrev_b32_e32 v7, 21, v7
	v_and_b32_e32 v9, 0x80000000, v9
	v_lshl_add_u32 v8, v8, 23, v10
	v_or3_b32 v8, v9, v8, v7
.LBB246_272:
	s_or_b64 exec, exec, s[40:41]
	v_cmp_eq_f32_e64 s[38:39], v6, v8
	s_and_b64 vcc, exec, s[4:5]
	s_cbranch_vccz .LBB246_124
.LBB246_273:
                                        ; implicit-def: $sgpr40_sgpr41
	s_cbranch_execz .LBB246_133
; %bb.274:
	s_movk_i32 s40, 0x7f
	v_cmp_gt_i16_sdwa s[42:43], v5, s40 src0_sel:BYTE_3 src1_sel:DWORD
	s_mov_b64 s[40:41], 0
	s_and_saveexec_b64 s[44:45], s[42:43]
	s_xor_b64 s[42:43], exec, s[44:45]
	s_cbranch_execnz .LBB246_541
; %bb.275:
	s_or_saveexec_b64 s[42:43], s[42:43]
	v_mov_b32_e32 v6, 0x7f800001
	s_xor_b64 exec, exec, s[42:43]
	s_cbranch_execnz .LBB246_544
.LBB246_276:
	s_or_b64 exec, exec, s[42:43]
	s_and_saveexec_b64 s[42:43], s[40:41]
	s_cbranch_execz .LBB246_278
.LBB246_277:
	v_bfe_u32 v6, v5, 24, 2
	v_ffbh_u32_e32 v8, v6
	v_min_u32_e32 v8, 32, v8
	v_subrev_u32_e32 v9, 29, v8
	v_bfe_u32 v7, v5, 26, 5
	v_lshlrev_b32_sdwa v9, v9, v5 dst_sel:DWORD dst_unused:UNUSED_PAD src0_sel:DWORD src1_sel:BYTE_3
	v_sub_u32_e32 v8, 30, v8
	v_and_b32_e32 v9, 3, v9
	v_cmp_eq_u32_e32 vcc, 0, v7
	v_cndmask_b32_e32 v7, v7, v8, vcc
	v_cndmask_b32_e32 v6, v6, v9, vcc
	v_mov_b32_e32 v8, 0x37800000
	v_lshlrev_b32_e32 v6, 21, v6
	v_and_b32_e32 v5, 0x80000000, v5
	v_lshl_add_u32 v7, v7, 23, v8
	v_or3_b32 v6, v5, v7, v6
.LBB246_278:
	s_or_b64 exec, exec, s[42:43]
	s_movk_i32 s40, 0x7f
	v_cmp_gt_i16_sdwa s[42:43], v4, s40 src0_sel:BYTE_3 src1_sel:DWORD
	s_mov_b64 s[40:41], 0
	s_and_saveexec_b64 s[44:45], s[42:43]
	s_xor_b64 s[42:43], exec, s[44:45]
	s_cbranch_execnz .LBB246_545
; %bb.279:
	s_or_saveexec_b64 s[42:43], s[42:43]
	v_mov_b32_e32 v5, 0x7f800001
	s_xor_b64 exec, exec, s[42:43]
	s_cbranch_execnz .LBB246_548
.LBB246_280:
	s_or_b64 exec, exec, s[42:43]
	s_and_saveexec_b64 s[42:43], s[40:41]
	s_cbranch_execz .LBB246_282
.LBB246_281:
	v_bfe_u32 v5, v4, 24, 2
	v_ffbh_u32_e32 v8, v5
	v_min_u32_e32 v8, 32, v8
	v_subrev_u32_e32 v9, 29, v8
	v_bfe_u32 v7, v4, 26, 5
	v_lshlrev_b32_sdwa v9, v9, v4 dst_sel:DWORD dst_unused:UNUSED_PAD src0_sel:DWORD src1_sel:BYTE_3
	v_sub_u32_e32 v8, 30, v8
	v_and_b32_e32 v9, 3, v9
	v_cmp_eq_u32_e32 vcc, 0, v7
	v_cndmask_b32_e32 v7, v7, v8, vcc
	v_cndmask_b32_e32 v5, v5, v9, vcc
	v_mov_b32_e32 v8, 0x37800000
	v_lshlrev_b32_e32 v5, 21, v5
	v_and_b32_e32 v4, 0x80000000, v4
	v_lshl_add_u32 v7, v7, 23, v8
	v_or3_b32 v5, v4, v7, v5
.LBB246_282:
	s_or_b64 exec, exec, s[42:43]
	v_cmp_eq_f32_e64 s[40:41], v6, v5
	s_and_b64 vcc, exec, s[4:5]
	s_cbranch_vccz .LBB246_134
.LBB246_283:
                                        ; implicit-def: $sgpr42_sgpr43
	s_cbranch_execz .LBB246_143
; %bb.284:
	s_movk_i32 s42, 0x7f
	v_cmp_gt_i16_sdwa s[44:45], v3, s42 src0_sel:BYTE_0 src1_sel:DWORD
	s_mov_b64 s[42:43], 0
	s_and_saveexec_b64 s[46:47], s[44:45]
	s_xor_b64 s[44:45], exec, s[46:47]
	s_cbranch_execnz .LBB246_549
; %bb.285:
	s_or_saveexec_b64 s[44:45], s[44:45]
	v_mov_b32_e32 v4, 0x7f800001
	s_xor_b64 exec, exec, s[44:45]
	s_cbranch_execnz .LBB246_552
.LBB246_286:
	s_or_b64 exec, exec, s[44:45]
	s_and_saveexec_b64 s[44:45], s[42:43]
	s_cbranch_execz .LBB246_288
.LBB246_287:
	v_and_b32_e32 v4, 3, v3
	v_ffbh_u32_e32 v6, v4
	v_min_u32_e32 v6, 32, v6
	v_subrev_u32_e32 v7, 29, v6
	v_bfe_u32 v5, v3, 2, 5
	v_lshlrev_b32_e32 v7, v7, v3
	v_sub_u32_e32 v6, 30, v6
	v_and_b32_e32 v7, 3, v7
	v_cmp_eq_u32_e32 vcc, 0, v5
	v_cndmask_b32_e32 v5, v5, v6, vcc
	v_cndmask_b32_e32 v4, v4, v7, vcc
	v_lshlrev_b32_e32 v6, 24, v3
	v_mov_b32_e32 v7, 0x37800000
	v_lshlrev_b32_e32 v4, 21, v4
	v_and_b32_e32 v6, 0x80000000, v6
	v_lshl_add_u32 v5, v5, 23, v7
	v_or3_b32 v4, v6, v5, v4
.LBB246_288:
	s_or_b64 exec, exec, s[44:45]
	s_movk_i32 s42, 0x7f
	s_waitcnt vmcnt(0)
	v_cmp_gt_i16_sdwa s[44:45], v2, s42 src0_sel:BYTE_0 src1_sel:DWORD
	s_mov_b64 s[42:43], 0
	s_and_saveexec_b64 s[46:47], s[44:45]
	s_xor_b64 s[44:45], exec, s[46:47]
	s_cbranch_execnz .LBB246_553
; %bb.289:
	s_or_saveexec_b64 s[44:45], s[44:45]
	v_mov_b32_e32 v5, 0x7f800001
	s_xor_b64 exec, exec, s[44:45]
	s_cbranch_execnz .LBB246_556
.LBB246_290:
	s_or_b64 exec, exec, s[44:45]
	s_and_saveexec_b64 s[44:45], s[42:43]
	s_cbranch_execz .LBB246_292
.LBB246_291:
	v_and_b32_e32 v5, 3, v2
	v_ffbh_u32_e32 v7, v5
	v_min_u32_e32 v7, 32, v7
	v_subrev_u32_e32 v8, 29, v7
	v_bfe_u32 v6, v2, 2, 5
	v_lshlrev_b32_e32 v8, v8, v2
	v_sub_u32_e32 v7, 30, v7
	v_and_b32_e32 v8, 3, v8
	v_cmp_eq_u32_e32 vcc, 0, v6
	v_cndmask_b32_e32 v6, v6, v7, vcc
	v_cndmask_b32_e32 v5, v5, v8, vcc
	v_lshlrev_b32_e32 v7, 24, v2
	v_mov_b32_e32 v8, 0x37800000
	v_lshlrev_b32_e32 v5, 21, v5
	v_and_b32_e32 v7, 0x80000000, v7
	v_lshl_add_u32 v6, v6, 23, v8
	v_or3_b32 v5, v7, v6, v5
.LBB246_292:
	s_or_b64 exec, exec, s[44:45]
	v_cmp_eq_f32_e64 s[42:43], v4, v5
	v_lshrrev_b32_e32 v5, 8, v3
	s_and_b64 vcc, exec, s[4:5]
	v_lshrrev_b32_e32 v4, 8, v2
	s_cbranch_vccz .LBB246_144
.LBB246_293:
                                        ; implicit-def: $sgpr44_sgpr45
	s_cbranch_execz .LBB246_153
; %bb.294:
	s_movk_i32 s44, 0x7f
	v_cmp_gt_i16_sdwa s[46:47], v5, s44 src0_sel:BYTE_0 src1_sel:DWORD
	s_mov_b64 s[44:45], 0
	s_and_saveexec_b64 s[48:49], s[46:47]
	s_xor_b64 s[46:47], exec, s[48:49]
	s_cbranch_execnz .LBB246_557
; %bb.295:
	s_or_saveexec_b64 s[46:47], s[46:47]
	v_mov_b32_e32 v6, 0x7f800001
	s_xor_b64 exec, exec, s[46:47]
	s_cbranch_execnz .LBB246_560
.LBB246_296:
	s_or_b64 exec, exec, s[46:47]
	s_and_saveexec_b64 s[46:47], s[44:45]
	s_cbranch_execz .LBB246_298
.LBB246_297:
	v_bfe_u32 v6, v3, 8, 2
	v_ffbh_u32_e32 v8, v6
	v_min_u32_e32 v8, 32, v8
	v_subrev_u32_e32 v9, 29, v8
	v_bfe_u32 v7, v3, 10, 5
	v_lshlrev_b32_e32 v9, v9, v5
	v_sub_u32_e32 v8, 30, v8
	v_and_b32_e32 v9, 3, v9
	v_cmp_eq_u32_e32 vcc, 0, v7
	v_cndmask_b32_e32 v7, v7, v8, vcc
	v_cndmask_b32_e32 v6, v6, v9, vcc
	v_lshlrev_b32_e32 v5, 24, v5
	v_mov_b32_e32 v8, 0x37800000
	v_lshlrev_b32_e32 v6, 21, v6
	v_and_b32_e32 v5, 0x80000000, v5
	v_lshl_add_u32 v7, v7, 23, v8
	v_or3_b32 v6, v5, v7, v6
.LBB246_298:
	s_or_b64 exec, exec, s[46:47]
	s_movk_i32 s44, 0x7f
	v_cmp_gt_i16_sdwa s[46:47], v4, s44 src0_sel:BYTE_0 src1_sel:DWORD
	s_mov_b64 s[44:45], 0
	s_and_saveexec_b64 s[48:49], s[46:47]
	s_xor_b64 s[46:47], exec, s[48:49]
	s_cbranch_execnz .LBB246_561
; %bb.299:
	s_or_saveexec_b64 s[46:47], s[46:47]
	v_mov_b32_e32 v5, 0x7f800001
	s_xor_b64 exec, exec, s[46:47]
	s_cbranch_execnz .LBB246_564
.LBB246_300:
	s_or_b64 exec, exec, s[46:47]
	s_and_saveexec_b64 s[46:47], s[44:45]
	s_cbranch_execz .LBB246_302
.LBB246_301:
	v_bfe_u32 v5, v2, 8, 2
	v_ffbh_u32_e32 v8, v5
	v_min_u32_e32 v8, 32, v8
	v_subrev_u32_e32 v9, 29, v8
	v_bfe_u32 v7, v2, 10, 5
	v_lshlrev_b32_e32 v9, v9, v4
	v_sub_u32_e32 v8, 30, v8
	v_and_b32_e32 v9, 3, v9
	v_cmp_eq_u32_e32 vcc, 0, v7
	v_cndmask_b32_e32 v7, v7, v8, vcc
	v_cndmask_b32_e32 v5, v5, v9, vcc
	v_lshlrev_b32_e32 v4, 24, v4
	v_mov_b32_e32 v8, 0x37800000
	v_lshlrev_b32_e32 v5, 21, v5
	v_and_b32_e32 v4, 0x80000000, v4
	v_lshl_add_u32 v7, v7, 23, v8
	v_or3_b32 v5, v4, v7, v5
.LBB246_302:
	s_or_b64 exec, exec, s[46:47]
	v_cmp_eq_f32_e64 s[44:45], v6, v5
	s_and_b64 vcc, exec, s[4:5]
	s_cbranch_vccz .LBB246_154
.LBB246_303:
                                        ; implicit-def: $sgpr46_sgpr47
	s_cbranch_execz .LBB246_163
; %bb.304:
	s_movk_i32 s46, 0xff
	v_and_b32_sdwa v5, v3, s46 dst_sel:DWORD dst_unused:UNUSED_PAD src0_sel:WORD_1 src1_sel:DWORD
	s_movk_i32 s46, 0x7f
	v_cmp_lt_i16_e32 vcc, s46, v5
	s_mov_b64 s[46:47], 0
	s_and_saveexec_b64 s[48:49], vcc
	s_xor_b64 s[48:49], exec, s[48:49]
	s_cbranch_execnz .LBB246_565
; %bb.305:
	s_or_saveexec_b64 s[48:49], s[48:49]
	v_mov_b32_e32 v4, 0x7f800001
	s_xor_b64 exec, exec, s[48:49]
	s_cbranch_execnz .LBB246_568
.LBB246_306:
	s_or_b64 exec, exec, s[48:49]
	s_and_saveexec_b64 s[48:49], s[46:47]
	s_cbranch_execz .LBB246_308
.LBB246_307:
	v_bfe_u32 v4, v3, 16, 2
	v_ffbh_u32_e32 v6, v4
	v_min_u32_e32 v6, 32, v6
	v_bfe_u32 v5, v3, 18, 5
	v_subrev_u32_e32 v7, 29, v6
	v_lshlrev_b32_sdwa v7, v7, v3 dst_sel:DWORD dst_unused:UNUSED_PAD src0_sel:DWORD src1_sel:WORD_1
	v_sub_u32_e32 v6, 30, v6
	v_cmp_eq_u32_e32 vcc, 0, v5
	v_and_b32_e32 v7, 3, v7
	v_cndmask_b32_e32 v5, v5, v6, vcc
	v_mov_b32_e32 v6, 24
	v_cndmask_b32_e32 v4, v4, v7, vcc
	v_lshlrev_b32_sdwa v6, v6, v3 dst_sel:DWORD dst_unused:UNUSED_PAD src0_sel:DWORD src1_sel:WORD_1
	v_mov_b32_e32 v7, 0x37800000
	v_lshlrev_b32_e32 v4, 21, v4
	v_and_b32_e32 v6, 0x80000000, v6
	v_lshl_add_u32 v5, v5, 23, v7
	v_or3_b32 v4, v6, v5, v4
.LBB246_308:
	s_or_b64 exec, exec, s[48:49]
	s_movk_i32 s46, 0xff
	v_and_b32_sdwa v5, v2, s46 dst_sel:DWORD dst_unused:UNUSED_PAD src0_sel:WORD_1 src1_sel:DWORD
	s_movk_i32 s46, 0x7f
	v_cmp_lt_i16_e32 vcc, s46, v5
	s_mov_b64 s[46:47], 0
	s_and_saveexec_b64 s[48:49], vcc
	s_xor_b64 s[48:49], exec, s[48:49]
	s_cbranch_execnz .LBB246_569
; %bb.309:
	s_or_saveexec_b64 s[48:49], s[48:49]
	v_mov_b32_e32 v6, 0x7f800001
	s_xor_b64 exec, exec, s[48:49]
	s_cbranch_execnz .LBB246_572
.LBB246_310:
	s_or_b64 exec, exec, s[48:49]
	s_and_saveexec_b64 s[48:49], s[46:47]
	s_cbranch_execz .LBB246_312
.LBB246_311:
	v_bfe_u32 v5, v2, 16, 2
	v_ffbh_u32_e32 v7, v5
	v_min_u32_e32 v7, 32, v7
	v_bfe_u32 v6, v2, 18, 5
	v_subrev_u32_e32 v8, 29, v7
	v_lshlrev_b32_sdwa v8, v8, v2 dst_sel:DWORD dst_unused:UNUSED_PAD src0_sel:DWORD src1_sel:WORD_1
	v_sub_u32_e32 v7, 30, v7
	v_cmp_eq_u32_e32 vcc, 0, v6
	v_and_b32_e32 v8, 3, v8
	v_cndmask_b32_e32 v6, v6, v7, vcc
	v_mov_b32_e32 v7, 24
	v_cndmask_b32_e32 v5, v5, v8, vcc
	v_lshlrev_b32_sdwa v7, v7, v2 dst_sel:DWORD dst_unused:UNUSED_PAD src0_sel:DWORD src1_sel:WORD_1
	v_mov_b32_e32 v8, 0x37800000
	v_lshlrev_b32_e32 v5, 21, v5
	v_and_b32_e32 v7, 0x80000000, v7
	v_lshl_add_u32 v6, v6, 23, v8
	v_or3_b32 v6, v7, v6, v5
.LBB246_312:
	s_or_b64 exec, exec, s[48:49]
	v_cmp_eq_f32_e64 s[46:47], v4, v6
	s_and_b64 vcc, exec, s[4:5]
	s_cbranch_vccz .LBB246_164
.LBB246_313:
                                        ; implicit-def: $sgpr4_sgpr5
	s_cbranch_execz .LBB246_323
; %bb.314:
	s_movk_i32 s4, 0x7f
	v_cmp_gt_i16_sdwa s[48:49], v3, s4 src0_sel:BYTE_3 src1_sel:DWORD
	s_mov_b64 s[4:5], 0
	s_and_saveexec_b64 s[50:51], s[48:49]
	s_xor_b64 s[48:49], exec, s[50:51]
	s_cbranch_execnz .LBB246_573
; %bb.315:
	s_or_saveexec_b64 s[48:49], s[48:49]
	v_mov_b32_e32 v4, 0x7f800001
	s_xor_b64 exec, exec, s[48:49]
	s_cbranch_execnz .LBB246_576
.LBB246_316:
	s_or_b64 exec, exec, s[48:49]
	s_and_saveexec_b64 s[48:49], s[4:5]
	s_cbranch_execz .LBB246_318
.LBB246_317:
	v_bfe_u32 v4, v3, 24, 2
	v_ffbh_u32_e32 v6, v4
	v_min_u32_e32 v6, 32, v6
	v_subrev_u32_e32 v7, 29, v6
	v_bfe_u32 v5, v3, 26, 5
	v_lshlrev_b32_sdwa v7, v7, v3 dst_sel:DWORD dst_unused:UNUSED_PAD src0_sel:DWORD src1_sel:BYTE_3
	v_sub_u32_e32 v6, 30, v6
	v_and_b32_e32 v7, 3, v7
	v_cmp_eq_u32_e32 vcc, 0, v5
	v_cndmask_b32_e32 v5, v5, v6, vcc
	v_cndmask_b32_e32 v4, v4, v7, vcc
	v_mov_b32_e32 v6, 0x37800000
	v_lshlrev_b32_e32 v4, 21, v4
	v_and_b32_e32 v3, 0x80000000, v3
	v_lshl_add_u32 v5, v5, 23, v6
	v_or3_b32 v4, v3, v5, v4
.LBB246_318:
	s_or_b64 exec, exec, s[48:49]
	s_movk_i32 s4, 0x7f
	v_cmp_gt_i16_sdwa s[48:49], v2, s4 src0_sel:BYTE_3 src1_sel:DWORD
	s_mov_b64 s[4:5], 0
	s_and_saveexec_b64 s[50:51], s[48:49]
	s_xor_b64 s[48:49], exec, s[50:51]
	s_cbranch_execnz .LBB246_577
; %bb.319:
	s_or_saveexec_b64 s[48:49], s[48:49]
	v_mov_b32_e32 v3, 0x7f800001
	s_xor_b64 exec, exec, s[48:49]
	s_cbranch_execnz .LBB246_580
.LBB246_320:
	s_or_b64 exec, exec, s[48:49]
	s_and_saveexec_b64 s[48:49], s[4:5]
	s_cbranch_execz .LBB246_322
.LBB246_321:
	v_bfe_u32 v3, v2, 24, 2
	v_ffbh_u32_e32 v6, v3
	v_min_u32_e32 v6, 32, v6
	v_subrev_u32_e32 v7, 29, v6
	v_bfe_u32 v5, v2, 26, 5
	v_lshlrev_b32_sdwa v7, v7, v2 dst_sel:DWORD dst_unused:UNUSED_PAD src0_sel:DWORD src1_sel:BYTE_3
	v_sub_u32_e32 v6, 30, v6
	v_and_b32_e32 v7, 3, v7
	v_cmp_eq_u32_e32 vcc, 0, v5
	v_cndmask_b32_e32 v5, v5, v6, vcc
	v_cndmask_b32_e32 v3, v3, v7, vcc
	v_mov_b32_e32 v6, 0x37800000
	v_lshlrev_b32_e32 v3, 21, v3
	v_and_b32_e32 v2, 0x80000000, v2
	v_lshl_add_u32 v5, v5, 23, v6
	v_or3_b32 v3, v2, v5, v3
.LBB246_322:
	s_or_b64 exec, exec, s[48:49]
	v_cmp_eq_f32_e64 s[4:5], v4, v3
.LBB246_323:
	v_cndmask_b32_e64 v2, 0, 1, s[18:19]
	v_lshlrev_b16_e32 v2, 8, v2
	v_cndmask_b32_e64 v3, 0, 1, s[16:17]
	v_or_b32_e32 v2, v3, v2
	v_cndmask_b32_e64 v3, 0, 1, s[22:23]
	v_lshlrev_b16_e32 v3, 8, v3
	v_cndmask_b32_e64 v4, 0, 1, s[20:21]
	v_or_b32_sdwa v3, v4, v3 dst_sel:WORD_1 dst_unused:UNUSED_PAD src0_sel:DWORD src1_sel:DWORD
	v_or_b32_sdwa v2, v2, v3 dst_sel:DWORD dst_unused:UNUSED_PAD src0_sel:WORD_0 src1_sel:DWORD
	v_cndmask_b32_e64 v3, 0, 1, s[26:27]
	v_lshlrev_b16_e32 v3, 8, v3
	v_cndmask_b32_e64 v4, 0, 1, s[24:25]
	v_or_b32_e32 v3, v4, v3
	v_cndmask_b32_e64 v4, 0, 1, s[30:31]
	v_lshlrev_b16_e32 v4, 8, v4
	v_cndmask_b32_e64 v5, 0, 1, s[28:29]
	v_or_b32_sdwa v4, v5, v4 dst_sel:WORD_1 dst_unused:UNUSED_PAD src0_sel:DWORD src1_sel:DWORD
	v_or_b32_sdwa v3, v3, v4 dst_sel:DWORD dst_unused:UNUSED_PAD src0_sel:WORD_0 src1_sel:DWORD
	;; [unrolled: 9-line block ×3, first 2 shown]
	v_cndmask_b32_e64 v5, 0, 1, s[44:45]
	v_lshlrev_b16_e32 v5, 8, v5
	v_cndmask_b32_e64 v6, 0, 1, s[42:43]
	v_or_b32_e32 v5, v6, v5
	v_cndmask_b32_e64 v6, 0, 1, s[4:5]
	v_lshlrev_b16_e32 v6, 8, v6
	v_cndmask_b32_e64 v7, 0, 1, s[46:47]
	s_add_u32 s4, s8, s33
	v_or_b32_sdwa v6, v7, v6 dst_sel:WORD_1 dst_unused:UNUSED_PAD src0_sel:DWORD src1_sel:DWORD
	s_addc_u32 s5, s9, s12
	v_or_b32_sdwa v5, v5, v6 dst_sel:DWORD dst_unused:UNUSED_PAD src0_sel:WORD_0 src1_sel:DWORD
	global_store_dword v1, v2, s[4:5]
	global_store_dword v1, v3, s[4:5] offset:1024
	global_store_dword v1, v4, s[4:5] offset:2048
	;; [unrolled: 1-line block ×3, first 2 shown]
	s_branch .LBB246_2
.LBB246_324:
	s_getpc_b64 s[4:5]
	s_add_u32 s4, s4, _ZN2at6native25elementwise_kernel_helperILb0ENS0_13BinaryFunctorIN3c1015Float8_e5m2fnuzES4_bNS0_12_GLOBAL__N_116CompareEqFunctorIS4_EEEENS0_6memory8policies11unroll_baseILi256ESt5arrayIPcLm3EE23TrivialOffsetCalculatorILi2EjESF_ILi1EjENS9_15LoadWithoutCastENS9_16StoreWithoutCastELi16ELi1EEEEEvT0_T1_@rel32@lo+4
	s_addc_u32 s5, s5, _ZN2at6native25elementwise_kernel_helperILb0ENS0_13BinaryFunctorIN3c1015Float8_e5m2fnuzES4_bNS0_12_GLOBAL__N_116CompareEqFunctorIS4_EEEENS0_6memory8policies11unroll_baseILi256ESt5arrayIPcLm3EE23TrivialOffsetCalculatorILi2EjESF_ILi1EjENS9_15LoadWithoutCastENS9_16StoreWithoutCastELi16ELi1EEEEEvT0_T1_@rel32@hi+12
	s_mov_b32 s12, s6
	v_mov_b32_e32 v31, v0
	v_mov_b32_e32 v0, s13
	;; [unrolled: 1-line block ×9, first 2 shown]
	s_swappc_b64 s[30:31], s[4:5]
	s_endpgm
.LBB246_325:
	s_movk_i32 s4, 0x80
	v_cmp_eq_u16_sdwa s[22:23], v9, s4 src0_sel:BYTE_0 src1_sel:DWORD
	s_mov_b64 s[4:5], -1
	s_and_saveexec_b64 s[20:21], s[22:23]
; %bb.326:
	s_xor_b64 s[4:5], exec, -1
; %bb.327:
	s_or_b64 exec, exec, s[20:21]
	s_and_b64 s[4:5], s[4:5], exec
	s_or_saveexec_b64 s[16:17], s[16:17]
	v_mov_b32_e32 v10, 0x7f800001
	s_xor_b64 exec, exec, s[16:17]
	s_cbranch_execz .LBB246_6
.LBB246_328:
	v_mov_b32_e32 v10, 0
	v_cmp_ne_u16_sdwa s[20:21], v9, v10 src0_sel:BYTE_0 src1_sel:DWORD
	s_andn2_b64 s[4:5], s[4:5], exec
	s_and_b64 s[20:21], s[20:21], exec
	s_or_b64 s[4:5], s[4:5], s[20:21]
	s_or_b64 exec, exec, s[16:17]
	s_and_saveexec_b64 s[16:17], s[4:5]
	s_cbranch_execnz .LBB246_7
	s_branch .LBB246_8
.LBB246_329:
	s_movk_i32 s4, 0x80
	v_cmp_eq_u16_sdwa s[22:23], v8, s4 src0_sel:BYTE_0 src1_sel:DWORD
	s_mov_b64 s[4:5], -1
	s_and_saveexec_b64 s[20:21], s[22:23]
; %bb.330:
	s_xor_b64 s[4:5], exec, -1
; %bb.331:
	s_or_b64 exec, exec, s[20:21]
	s_and_b64 s[4:5], s[4:5], exec
	s_or_saveexec_b64 s[16:17], s[16:17]
	v_mov_b32_e32 v11, 0x7f800001
	s_xor_b64 exec, exec, s[16:17]
	s_cbranch_execz .LBB246_10
.LBB246_332:
	v_mov_b32_e32 v11, 0
	v_cmp_ne_u16_sdwa s[20:21], v8, v11 src0_sel:BYTE_0 src1_sel:DWORD
	s_andn2_b64 s[4:5], s[4:5], exec
	s_and_b64 s[20:21], s[20:21], exec
	s_or_b64 s[4:5], s[4:5], s[20:21]
	s_or_b64 exec, exec, s[16:17]
	s_and_saveexec_b64 s[16:17], s[4:5]
	s_cbranch_execnz .LBB246_11
	s_branch .LBB246_12
.LBB246_333:
	s_movk_i32 s18, 0x80
	v_cmp_eq_u16_sdwa s[24:25], v11, s18 src0_sel:BYTE_0 src1_sel:DWORD
	s_mov_b64 s[18:19], -1
	s_and_saveexec_b64 s[22:23], s[24:25]
; %bb.334:
	s_xor_b64 s[18:19], exec, -1
; %bb.335:
	s_or_b64 exec, exec, s[22:23]
	s_and_b64 s[18:19], s[18:19], exec
	s_or_saveexec_b64 s[20:21], s[20:21]
	v_mov_b32_e32 v12, 0x7f800001
	s_xor_b64 exec, exec, s[20:21]
	s_cbranch_execz .LBB246_26
.LBB246_336:
	v_mov_b32_e32 v12, 0
	v_cmp_ne_u16_sdwa s[22:23], v11, v12 src0_sel:BYTE_0 src1_sel:DWORD
	s_andn2_b64 s[18:19], s[18:19], exec
	s_and_b64 s[22:23], s[22:23], exec
	s_or_b64 s[18:19], s[18:19], s[22:23]
	s_or_b64 exec, exec, s[20:21]
	s_and_saveexec_b64 s[20:21], s[18:19]
	s_cbranch_execnz .LBB246_27
	s_branch .LBB246_28
.LBB246_337:
	s_movk_i32 s18, 0x80
	v_cmp_eq_u16_sdwa s[24:25], v10, s18 src0_sel:BYTE_0 src1_sel:DWORD
	s_mov_b64 s[18:19], -1
	s_and_saveexec_b64 s[22:23], s[24:25]
; %bb.338:
	s_xor_b64 s[18:19], exec, -1
; %bb.339:
	s_or_b64 exec, exec, s[22:23]
	s_and_b64 s[18:19], s[18:19], exec
	s_or_saveexec_b64 s[20:21], s[20:21]
	v_mov_b32_e32 v13, 0x7f800001
	s_xor_b64 exec, exec, s[20:21]
	s_cbranch_execz .LBB246_30
.LBB246_340:
	v_mov_b32_e32 v13, 0
	v_cmp_ne_u16_sdwa s[22:23], v10, v13 src0_sel:BYTE_0 src1_sel:DWORD
	s_andn2_b64 s[18:19], s[18:19], exec
	s_and_b64 s[22:23], s[22:23], exec
	s_or_b64 s[18:19], s[18:19], s[22:23]
	s_or_b64 exec, exec, s[20:21]
	s_and_saveexec_b64 s[20:21], s[18:19]
	s_cbranch_execnz .LBB246_31
	s_branch .LBB246_32
.LBB246_341:
	s_movk_i32 s20, 0x80
	v_cmp_eq_u16_e32 vcc, s20, v11
	s_mov_b64 s[20:21], -1
	s_and_saveexec_b64 s[24:25], vcc
; %bb.342:
	s_xor_b64 s[20:21], exec, -1
; %bb.343:
	s_or_b64 exec, exec, s[24:25]
	s_and_b64 s[20:21], s[20:21], exec
                                        ; implicit-def: $vgpr11
	s_or_saveexec_b64 s[22:23], s[22:23]
	v_mov_b32_e32 v10, 0x7f800001
	s_xor_b64 exec, exec, s[22:23]
	s_cbranch_execz .LBB246_36
.LBB246_344:
	v_cmp_ne_u16_e32 vcc, 0, v11
	s_andn2_b64 s[20:21], s[20:21], exec
	s_and_b64 s[24:25], vcc, exec
	v_mov_b32_e32 v10, 0
	s_or_b64 s[20:21], s[20:21], s[24:25]
	s_or_b64 exec, exec, s[22:23]
	s_and_saveexec_b64 s[22:23], s[20:21]
	s_cbranch_execnz .LBB246_37
	s_branch .LBB246_38
.LBB246_345:
	s_movk_i32 s20, 0x80
	v_cmp_eq_u16_e32 vcc, s20, v11
	s_mov_b64 s[20:21], -1
	s_and_saveexec_b64 s[24:25], vcc
; %bb.346:
	s_xor_b64 s[20:21], exec, -1
; %bb.347:
	s_or_b64 exec, exec, s[24:25]
	s_and_b64 s[20:21], s[20:21], exec
                                        ; implicit-def: $vgpr11
	s_or_saveexec_b64 s[22:23], s[22:23]
	v_mov_b32_e32 v12, 0x7f800001
	s_xor_b64 exec, exec, s[22:23]
	s_cbranch_execz .LBB246_40
.LBB246_348:
	v_cmp_ne_u16_e32 vcc, 0, v11
	s_andn2_b64 s[20:21], s[20:21], exec
	s_and_b64 s[24:25], vcc, exec
	v_mov_b32_e32 v12, 0
	s_or_b64 s[20:21], s[20:21], s[24:25]
	s_or_b64 exec, exec, s[22:23]
	s_and_saveexec_b64 s[22:23], s[20:21]
	s_cbranch_execnz .LBB246_41
	s_branch .LBB246_42
.LBB246_349:
	s_movk_i32 s22, 0x80
	v_cmp_eq_u16_sdwa s[28:29], v9, s22 src0_sel:BYTE_3 src1_sel:DWORD
	s_mov_b64 s[22:23], -1
	s_and_saveexec_b64 s[26:27], s[28:29]
; %bb.350:
	s_xor_b64 s[22:23], exec, -1
; %bb.351:
	s_or_b64 exec, exec, s[26:27]
	s_and_b64 s[22:23], s[22:23], exec
	s_or_saveexec_b64 s[24:25], s[24:25]
	v_mov_b32_e32 v10, 0x7f800001
	s_xor_b64 exec, exec, s[24:25]
	s_cbranch_execz .LBB246_46
.LBB246_352:
	v_mov_b32_e32 v10, 0
	v_cmp_ne_u16_sdwa s[26:27], v9, v10 src0_sel:BYTE_3 src1_sel:DWORD
	s_andn2_b64 s[22:23], s[22:23], exec
	s_and_b64 s[26:27], s[26:27], exec
	s_or_b64 s[22:23], s[22:23], s[26:27]
	s_or_b64 exec, exec, s[24:25]
	s_and_saveexec_b64 s[24:25], s[22:23]
	s_cbranch_execnz .LBB246_47
	s_branch .LBB246_48
.LBB246_353:
	s_movk_i32 s22, 0x80
	v_cmp_eq_u16_sdwa s[28:29], v8, s22 src0_sel:BYTE_3 src1_sel:DWORD
	s_mov_b64 s[22:23], -1
	s_and_saveexec_b64 s[26:27], s[28:29]
; %bb.354:
	s_xor_b64 s[22:23], exec, -1
; %bb.355:
	s_or_b64 exec, exec, s[26:27]
	s_and_b64 s[22:23], s[22:23], exec
	s_or_saveexec_b64 s[24:25], s[24:25]
	v_mov_b32_e32 v11, 0x7f800001
	s_xor_b64 exec, exec, s[24:25]
	s_cbranch_execz .LBB246_50
.LBB246_356:
	v_mov_b32_e32 v11, 0
	v_cmp_ne_u16_sdwa s[26:27], v8, v11 src0_sel:BYTE_3 src1_sel:DWORD
	s_andn2_b64 s[22:23], s[22:23], exec
	s_and_b64 s[26:27], s[26:27], exec
	s_or_b64 s[22:23], s[22:23], s[26:27]
	s_or_b64 exec, exec, s[24:25]
	s_and_saveexec_b64 s[24:25], s[22:23]
	s_cbranch_execnz .LBB246_51
	s_branch .LBB246_52
.LBB246_357:
	s_movk_i32 s24, 0x80
	v_cmp_eq_u16_sdwa s[30:31], v7, s24 src0_sel:BYTE_0 src1_sel:DWORD
	s_mov_b64 s[24:25], -1
	s_and_saveexec_b64 s[28:29], s[30:31]
; %bb.358:
	s_xor_b64 s[24:25], exec, -1
; %bb.359:
	s_or_b64 exec, exec, s[28:29]
	s_and_b64 s[24:25], s[24:25], exec
	s_or_saveexec_b64 s[26:27], s[26:27]
	v_mov_b32_e32 v8, 0x7f800001
	s_xor_b64 exec, exec, s[26:27]
	s_cbranch_execz .LBB246_56
.LBB246_360:
	v_mov_b32_e32 v8, 0
	v_cmp_ne_u16_sdwa s[28:29], v7, v8 src0_sel:BYTE_0 src1_sel:DWORD
	s_andn2_b64 s[24:25], s[24:25], exec
	s_and_b64 s[28:29], s[28:29], exec
	s_or_b64 s[24:25], s[24:25], s[28:29]
	s_or_b64 exec, exec, s[26:27]
	s_and_saveexec_b64 s[26:27], s[24:25]
	s_cbranch_execnz .LBB246_57
	s_branch .LBB246_58
.LBB246_361:
	s_movk_i32 s24, 0x80
	v_cmp_eq_u16_sdwa s[30:31], v6, s24 src0_sel:BYTE_0 src1_sel:DWORD
	s_mov_b64 s[24:25], -1
	s_and_saveexec_b64 s[28:29], s[30:31]
; %bb.362:
	s_xor_b64 s[24:25], exec, -1
; %bb.363:
	s_or_b64 exec, exec, s[28:29]
	s_and_b64 s[24:25], s[24:25], exec
	s_or_saveexec_b64 s[26:27], s[26:27]
	v_mov_b32_e32 v9, 0x7f800001
	s_xor_b64 exec, exec, s[26:27]
	s_cbranch_execz .LBB246_60
.LBB246_364:
	v_mov_b32_e32 v9, 0
	v_cmp_ne_u16_sdwa s[28:29], v6, v9 src0_sel:BYTE_0 src1_sel:DWORD
	s_andn2_b64 s[24:25], s[24:25], exec
	s_and_b64 s[28:29], s[28:29], exec
	s_or_b64 s[24:25], s[24:25], s[28:29]
	s_or_b64 exec, exec, s[26:27]
	s_and_saveexec_b64 s[26:27], s[24:25]
	s_cbranch_execnz .LBB246_61
	s_branch .LBB246_62
.LBB246_365:
	s_movk_i32 s26, 0x80
	v_cmp_eq_u16_sdwa s[34:35], v9, s26 src0_sel:BYTE_0 src1_sel:DWORD
	s_mov_b64 s[26:27], -1
	s_and_saveexec_b64 s[30:31], s[34:35]
; %bb.366:
	s_xor_b64 s[26:27], exec, -1
; %bb.367:
	s_or_b64 exec, exec, s[30:31]
	s_and_b64 s[26:27], s[26:27], exec
	s_or_saveexec_b64 s[28:29], s[28:29]
	v_mov_b32_e32 v10, 0x7f800001
	s_xor_b64 exec, exec, s[28:29]
	s_cbranch_execz .LBB246_66
.LBB246_368:
	v_mov_b32_e32 v10, 0
	v_cmp_ne_u16_sdwa s[30:31], v9, v10 src0_sel:BYTE_0 src1_sel:DWORD
	s_andn2_b64 s[26:27], s[26:27], exec
	s_and_b64 s[30:31], s[30:31], exec
	s_or_b64 s[26:27], s[26:27], s[30:31]
	s_or_b64 exec, exec, s[28:29]
	s_and_saveexec_b64 s[28:29], s[26:27]
	s_cbranch_execnz .LBB246_67
	s_branch .LBB246_68
.LBB246_369:
	s_movk_i32 s26, 0x80
	v_cmp_eq_u16_sdwa s[34:35], v8, s26 src0_sel:BYTE_0 src1_sel:DWORD
	s_mov_b64 s[26:27], -1
	s_and_saveexec_b64 s[30:31], s[34:35]
; %bb.370:
	s_xor_b64 s[26:27], exec, -1
; %bb.371:
	s_or_b64 exec, exec, s[30:31]
	s_and_b64 s[26:27], s[26:27], exec
	s_or_saveexec_b64 s[28:29], s[28:29]
	v_mov_b32_e32 v11, 0x7f800001
	s_xor_b64 exec, exec, s[28:29]
	s_cbranch_execz .LBB246_70
.LBB246_372:
	v_mov_b32_e32 v11, 0
	v_cmp_ne_u16_sdwa s[30:31], v8, v11 src0_sel:BYTE_0 src1_sel:DWORD
	s_andn2_b64 s[26:27], s[26:27], exec
	s_and_b64 s[30:31], s[30:31], exec
	s_or_b64 s[26:27], s[26:27], s[30:31]
	s_or_b64 exec, exec, s[28:29]
	s_and_saveexec_b64 s[28:29], s[26:27]
	s_cbranch_execnz .LBB246_71
	s_branch .LBB246_72
.LBB246_373:
	s_movk_i32 s28, 0x80
	v_cmp_eq_u16_e32 vcc, s28, v9
	s_mov_b64 s[28:29], -1
	s_and_saveexec_b64 s[34:35], vcc
; %bb.374:
	s_xor_b64 s[28:29], exec, -1
; %bb.375:
	s_or_b64 exec, exec, s[34:35]
	s_and_b64 s[28:29], s[28:29], exec
                                        ; implicit-def: $vgpr9
	s_or_saveexec_b64 s[30:31], s[30:31]
	v_mov_b32_e32 v8, 0x7f800001
	s_xor_b64 exec, exec, s[30:31]
	s_cbranch_execz .LBB246_76
.LBB246_376:
	v_cmp_ne_u16_e32 vcc, 0, v9
	s_andn2_b64 s[28:29], s[28:29], exec
	s_and_b64 s[34:35], vcc, exec
	v_mov_b32_e32 v8, 0
	s_or_b64 s[28:29], s[28:29], s[34:35]
	s_or_b64 exec, exec, s[30:31]
	s_and_saveexec_b64 s[30:31], s[28:29]
	s_cbranch_execnz .LBB246_77
	s_branch .LBB246_78
.LBB246_377:
	s_movk_i32 s28, 0x80
	v_cmp_eq_u16_e32 vcc, s28, v9
	s_mov_b64 s[28:29], -1
	s_and_saveexec_b64 s[34:35], vcc
; %bb.378:
	s_xor_b64 s[28:29], exec, -1
; %bb.379:
	s_or_b64 exec, exec, s[34:35]
	s_and_b64 s[28:29], s[28:29], exec
                                        ; implicit-def: $vgpr9
	s_or_saveexec_b64 s[30:31], s[30:31]
	v_mov_b32_e32 v10, 0x7f800001
	s_xor_b64 exec, exec, s[30:31]
	s_cbranch_execz .LBB246_80
.LBB246_380:
	v_cmp_ne_u16_e32 vcc, 0, v9
	s_andn2_b64 s[28:29], s[28:29], exec
	s_and_b64 s[34:35], vcc, exec
	v_mov_b32_e32 v10, 0
	s_or_b64 s[28:29], s[28:29], s[34:35]
	s_or_b64 exec, exec, s[30:31]
	s_and_saveexec_b64 s[30:31], s[28:29]
	s_cbranch_execnz .LBB246_81
	s_branch .LBB246_82
.LBB246_381:
	s_movk_i32 s30, 0x80
	v_cmp_eq_u16_sdwa s[38:39], v7, s30 src0_sel:BYTE_3 src1_sel:DWORD
	s_mov_b64 s[30:31], -1
	s_and_saveexec_b64 s[36:37], s[38:39]
; %bb.382:
	s_xor_b64 s[30:31], exec, -1
; %bb.383:
	s_or_b64 exec, exec, s[36:37]
	s_and_b64 s[30:31], s[30:31], exec
	s_or_saveexec_b64 s[34:35], s[34:35]
	v_mov_b32_e32 v8, 0x7f800001
	s_xor_b64 exec, exec, s[34:35]
	s_cbranch_execz .LBB246_86
.LBB246_384:
	v_mov_b32_e32 v8, 0
	v_cmp_ne_u16_sdwa s[36:37], v7, v8 src0_sel:BYTE_3 src1_sel:DWORD
	s_andn2_b64 s[30:31], s[30:31], exec
	s_and_b64 s[36:37], s[36:37], exec
	s_or_b64 s[30:31], s[30:31], s[36:37]
	s_or_b64 exec, exec, s[34:35]
	s_and_saveexec_b64 s[34:35], s[30:31]
	s_cbranch_execnz .LBB246_87
	s_branch .LBB246_88
.LBB246_385:
	s_movk_i32 s30, 0x80
	v_cmp_eq_u16_sdwa s[38:39], v6, s30 src0_sel:BYTE_3 src1_sel:DWORD
	s_mov_b64 s[30:31], -1
	s_and_saveexec_b64 s[36:37], s[38:39]
; %bb.386:
	s_xor_b64 s[30:31], exec, -1
; %bb.387:
	s_or_b64 exec, exec, s[36:37]
	s_and_b64 s[30:31], s[30:31], exec
	s_or_saveexec_b64 s[34:35], s[34:35]
	v_mov_b32_e32 v9, 0x7f800001
	s_xor_b64 exec, exec, s[34:35]
	s_cbranch_execz .LBB246_90
.LBB246_388:
	v_mov_b32_e32 v9, 0
	v_cmp_ne_u16_sdwa s[36:37], v6, v9 src0_sel:BYTE_3 src1_sel:DWORD
	s_andn2_b64 s[30:31], s[30:31], exec
	s_and_b64 s[36:37], s[36:37], exec
	s_or_b64 s[30:31], s[30:31], s[36:37]
	s_or_b64 exec, exec, s[34:35]
	s_and_saveexec_b64 s[34:35], s[30:31]
	s_cbranch_execnz .LBB246_91
	s_branch .LBB246_92
.LBB246_389:
	s_movk_i32 s34, 0x80
	v_cmp_eq_u16_sdwa s[40:41], v5, s34 src0_sel:BYTE_0 src1_sel:DWORD
	s_mov_b64 s[34:35], -1
	s_and_saveexec_b64 s[38:39], s[40:41]
; %bb.390:
	s_xor_b64 s[34:35], exec, -1
; %bb.391:
	s_or_b64 exec, exec, s[38:39]
	s_and_b64 s[34:35], s[34:35], exec
	s_or_saveexec_b64 s[36:37], s[36:37]
	v_mov_b32_e32 v6, 0x7f800001
	s_xor_b64 exec, exec, s[36:37]
	s_cbranch_execz .LBB246_96
.LBB246_392:
	v_mov_b32_e32 v6, 0
	v_cmp_ne_u16_sdwa s[38:39], v5, v6 src0_sel:BYTE_0 src1_sel:DWORD
	s_andn2_b64 s[34:35], s[34:35], exec
	s_and_b64 s[38:39], s[38:39], exec
	s_or_b64 s[34:35], s[34:35], s[38:39]
	s_or_b64 exec, exec, s[36:37]
	s_and_saveexec_b64 s[36:37], s[34:35]
	s_cbranch_execnz .LBB246_97
	s_branch .LBB246_98
.LBB246_393:
	s_movk_i32 s34, 0x80
	v_cmp_eq_u16_sdwa s[40:41], v4, s34 src0_sel:BYTE_0 src1_sel:DWORD
	s_mov_b64 s[34:35], -1
	s_and_saveexec_b64 s[38:39], s[40:41]
; %bb.394:
	s_xor_b64 s[34:35], exec, -1
; %bb.395:
	s_or_b64 exec, exec, s[38:39]
	s_and_b64 s[34:35], s[34:35], exec
	s_or_saveexec_b64 s[36:37], s[36:37]
	v_mov_b32_e32 v7, 0x7f800001
	s_xor_b64 exec, exec, s[36:37]
	s_cbranch_execz .LBB246_100
.LBB246_396:
	v_mov_b32_e32 v7, 0
	v_cmp_ne_u16_sdwa s[38:39], v4, v7 src0_sel:BYTE_0 src1_sel:DWORD
	s_andn2_b64 s[34:35], s[34:35], exec
	s_and_b64 s[38:39], s[38:39], exec
	s_or_b64 s[34:35], s[34:35], s[38:39]
	s_or_b64 exec, exec, s[36:37]
	s_and_saveexec_b64 s[36:37], s[34:35]
	s_cbranch_execnz .LBB246_101
	s_branch .LBB246_102
.LBB246_397:
	s_movk_i32 s36, 0x80
	v_cmp_eq_u16_sdwa s[42:43], v7, s36 src0_sel:BYTE_0 src1_sel:DWORD
	s_mov_b64 s[36:37], -1
	s_and_saveexec_b64 s[40:41], s[42:43]
; %bb.398:
	s_xor_b64 s[36:37], exec, -1
; %bb.399:
	s_or_b64 exec, exec, s[40:41]
	s_and_b64 s[36:37], s[36:37], exec
	s_or_saveexec_b64 s[38:39], s[38:39]
	v_mov_b32_e32 v8, 0x7f800001
	s_xor_b64 exec, exec, s[38:39]
	s_cbranch_execz .LBB246_106
.LBB246_400:
	v_mov_b32_e32 v8, 0
	v_cmp_ne_u16_sdwa s[40:41], v7, v8 src0_sel:BYTE_0 src1_sel:DWORD
	s_andn2_b64 s[36:37], s[36:37], exec
	s_and_b64 s[40:41], s[40:41], exec
	s_or_b64 s[36:37], s[36:37], s[40:41]
	s_or_b64 exec, exec, s[38:39]
	s_and_saveexec_b64 s[38:39], s[36:37]
	s_cbranch_execnz .LBB246_107
	s_branch .LBB246_108
.LBB246_401:
	s_movk_i32 s36, 0x80
	v_cmp_eq_u16_sdwa s[42:43], v6, s36 src0_sel:BYTE_0 src1_sel:DWORD
	s_mov_b64 s[36:37], -1
	s_and_saveexec_b64 s[40:41], s[42:43]
; %bb.402:
	s_xor_b64 s[36:37], exec, -1
; %bb.403:
	s_or_b64 exec, exec, s[40:41]
	s_and_b64 s[36:37], s[36:37], exec
	s_or_saveexec_b64 s[38:39], s[38:39]
	v_mov_b32_e32 v9, 0x7f800001
	s_xor_b64 exec, exec, s[38:39]
	s_cbranch_execz .LBB246_110
.LBB246_404:
	v_mov_b32_e32 v9, 0
	v_cmp_ne_u16_sdwa s[40:41], v6, v9 src0_sel:BYTE_0 src1_sel:DWORD
	s_andn2_b64 s[36:37], s[36:37], exec
	s_and_b64 s[40:41], s[40:41], exec
	s_or_b64 s[36:37], s[36:37], s[40:41]
	s_or_b64 exec, exec, s[38:39]
	s_and_saveexec_b64 s[38:39], s[36:37]
	s_cbranch_execnz .LBB246_111
	s_branch .LBB246_112
.LBB246_405:
	s_movk_i32 s38, 0x80
	v_cmp_eq_u16_e32 vcc, s38, v7
	s_mov_b64 s[38:39], -1
	s_and_saveexec_b64 s[42:43], vcc
; %bb.406:
	s_xor_b64 s[38:39], exec, -1
; %bb.407:
	s_or_b64 exec, exec, s[42:43]
	s_and_b64 s[38:39], s[38:39], exec
                                        ; implicit-def: $vgpr7
	s_or_saveexec_b64 s[40:41], s[40:41]
	v_mov_b32_e32 v6, 0x7f800001
	s_xor_b64 exec, exec, s[40:41]
	s_cbranch_execz .LBB246_116
.LBB246_408:
	v_cmp_ne_u16_e32 vcc, 0, v7
	s_andn2_b64 s[38:39], s[38:39], exec
	s_and_b64 s[42:43], vcc, exec
	v_mov_b32_e32 v6, 0
	s_or_b64 s[38:39], s[38:39], s[42:43]
	s_or_b64 exec, exec, s[40:41]
	s_and_saveexec_b64 s[40:41], s[38:39]
	s_cbranch_execnz .LBB246_117
	s_branch .LBB246_118
.LBB246_409:
	s_movk_i32 s38, 0x80
	v_cmp_eq_u16_e32 vcc, s38, v7
	s_mov_b64 s[38:39], -1
	s_and_saveexec_b64 s[42:43], vcc
; %bb.410:
	s_xor_b64 s[38:39], exec, -1
; %bb.411:
	s_or_b64 exec, exec, s[42:43]
	s_and_b64 s[38:39], s[38:39], exec
                                        ; implicit-def: $vgpr7
	s_or_saveexec_b64 s[40:41], s[40:41]
	v_mov_b32_e32 v8, 0x7f800001
	s_xor_b64 exec, exec, s[40:41]
	s_cbranch_execz .LBB246_120
.LBB246_412:
	v_cmp_ne_u16_e32 vcc, 0, v7
	s_andn2_b64 s[38:39], s[38:39], exec
	s_and_b64 s[42:43], vcc, exec
	v_mov_b32_e32 v8, 0
	s_or_b64 s[38:39], s[38:39], s[42:43]
	s_or_b64 exec, exec, s[40:41]
	s_and_saveexec_b64 s[40:41], s[38:39]
	s_cbranch_execnz .LBB246_121
	s_branch .LBB246_122
.LBB246_413:
	s_movk_i32 s40, 0x80
	v_cmp_eq_u16_sdwa s[46:47], v5, s40 src0_sel:BYTE_3 src1_sel:DWORD
	s_mov_b64 s[40:41], -1
	s_and_saveexec_b64 s[44:45], s[46:47]
; %bb.414:
	s_xor_b64 s[40:41], exec, -1
; %bb.415:
	s_or_b64 exec, exec, s[44:45]
	s_and_b64 s[40:41], s[40:41], exec
	s_or_saveexec_b64 s[42:43], s[42:43]
	v_mov_b32_e32 v6, 0x7f800001
	s_xor_b64 exec, exec, s[42:43]
	s_cbranch_execz .LBB246_126
.LBB246_416:
	v_mov_b32_e32 v6, 0
	v_cmp_ne_u16_sdwa s[44:45], v5, v6 src0_sel:BYTE_3 src1_sel:DWORD
	s_andn2_b64 s[40:41], s[40:41], exec
	s_and_b64 s[44:45], s[44:45], exec
	s_or_b64 s[40:41], s[40:41], s[44:45]
	s_or_b64 exec, exec, s[42:43]
	s_and_saveexec_b64 s[42:43], s[40:41]
	s_cbranch_execnz .LBB246_127
	s_branch .LBB246_128
.LBB246_417:
	s_movk_i32 s40, 0x80
	v_cmp_eq_u16_sdwa s[46:47], v4, s40 src0_sel:BYTE_3 src1_sel:DWORD
	s_mov_b64 s[40:41], -1
	s_and_saveexec_b64 s[44:45], s[46:47]
; %bb.418:
	s_xor_b64 s[40:41], exec, -1
; %bb.419:
	s_or_b64 exec, exec, s[44:45]
	s_and_b64 s[40:41], s[40:41], exec
	s_or_saveexec_b64 s[42:43], s[42:43]
	v_mov_b32_e32 v7, 0x7f800001
	s_xor_b64 exec, exec, s[42:43]
	s_cbranch_execz .LBB246_130
.LBB246_420:
	v_mov_b32_e32 v7, 0
	v_cmp_ne_u16_sdwa s[44:45], v4, v7 src0_sel:BYTE_3 src1_sel:DWORD
	s_andn2_b64 s[40:41], s[40:41], exec
	s_and_b64 s[44:45], s[44:45], exec
	s_or_b64 s[40:41], s[40:41], s[44:45]
	s_or_b64 exec, exec, s[42:43]
	s_and_saveexec_b64 s[42:43], s[40:41]
	s_cbranch_execnz .LBB246_131
	s_branch .LBB246_132
.LBB246_421:
	s_movk_i32 s42, 0x80
	v_cmp_eq_u16_sdwa s[48:49], v3, s42 src0_sel:BYTE_0 src1_sel:DWORD
	s_mov_b64 s[42:43], -1
	s_and_saveexec_b64 s[46:47], s[48:49]
; %bb.422:
	s_xor_b64 s[42:43], exec, -1
; %bb.423:
	s_or_b64 exec, exec, s[46:47]
	s_and_b64 s[42:43], s[42:43], exec
	s_or_saveexec_b64 s[44:45], s[44:45]
	v_mov_b32_e32 v4, 0x7f800001
	s_xor_b64 exec, exec, s[44:45]
	s_cbranch_execz .LBB246_136
.LBB246_424:
	v_mov_b32_e32 v4, 0
	v_cmp_ne_u16_sdwa s[46:47], v3, v4 src0_sel:BYTE_0 src1_sel:DWORD
	s_andn2_b64 s[42:43], s[42:43], exec
	s_and_b64 s[46:47], s[46:47], exec
	s_or_b64 s[42:43], s[42:43], s[46:47]
	s_or_b64 exec, exec, s[44:45]
	s_and_saveexec_b64 s[44:45], s[42:43]
	s_cbranch_execnz .LBB246_137
	s_branch .LBB246_138
.LBB246_425:
	s_movk_i32 s42, 0x80
	v_cmp_eq_u16_sdwa s[48:49], v2, s42 src0_sel:BYTE_0 src1_sel:DWORD
	s_mov_b64 s[42:43], -1
	s_and_saveexec_b64 s[46:47], s[48:49]
; %bb.426:
	s_xor_b64 s[42:43], exec, -1
; %bb.427:
	s_or_b64 exec, exec, s[46:47]
	s_and_b64 s[42:43], s[42:43], exec
	s_or_saveexec_b64 s[44:45], s[44:45]
	v_mov_b32_e32 v5, 0x7f800001
	s_xor_b64 exec, exec, s[44:45]
	s_cbranch_execz .LBB246_140
.LBB246_428:
	v_mov_b32_e32 v5, 0
	v_cmp_ne_u16_sdwa s[46:47], v2, v5 src0_sel:BYTE_0 src1_sel:DWORD
	s_andn2_b64 s[42:43], s[42:43], exec
	s_and_b64 s[46:47], s[46:47], exec
	s_or_b64 s[42:43], s[42:43], s[46:47]
	s_or_b64 exec, exec, s[44:45]
	s_and_saveexec_b64 s[44:45], s[42:43]
	s_cbranch_execnz .LBB246_141
	s_branch .LBB246_142
.LBB246_429:
	s_movk_i32 s44, 0x80
	v_cmp_eq_u16_sdwa s[50:51], v5, s44 src0_sel:BYTE_0 src1_sel:DWORD
	s_mov_b64 s[44:45], -1
	s_and_saveexec_b64 s[48:49], s[50:51]
; %bb.430:
	s_xor_b64 s[44:45], exec, -1
; %bb.431:
	s_or_b64 exec, exec, s[48:49]
	s_and_b64 s[44:45], s[44:45], exec
	s_or_saveexec_b64 s[46:47], s[46:47]
	v_mov_b32_e32 v6, 0x7f800001
	s_xor_b64 exec, exec, s[46:47]
	s_cbranch_execz .LBB246_146
.LBB246_432:
	v_mov_b32_e32 v6, 0
	v_cmp_ne_u16_sdwa s[48:49], v5, v6 src0_sel:BYTE_0 src1_sel:DWORD
	s_andn2_b64 s[44:45], s[44:45], exec
	s_and_b64 s[48:49], s[48:49], exec
	s_or_b64 s[44:45], s[44:45], s[48:49]
	s_or_b64 exec, exec, s[46:47]
	s_and_saveexec_b64 s[46:47], s[44:45]
	s_cbranch_execnz .LBB246_147
	s_branch .LBB246_148
.LBB246_433:
	s_movk_i32 s44, 0x80
	v_cmp_eq_u16_sdwa s[50:51], v4, s44 src0_sel:BYTE_0 src1_sel:DWORD
	s_mov_b64 s[44:45], -1
	s_and_saveexec_b64 s[48:49], s[50:51]
; %bb.434:
	s_xor_b64 s[44:45], exec, -1
; %bb.435:
	s_or_b64 exec, exec, s[48:49]
	s_and_b64 s[44:45], s[44:45], exec
	s_or_saveexec_b64 s[46:47], s[46:47]
	v_mov_b32_e32 v7, 0x7f800001
	s_xor_b64 exec, exec, s[46:47]
	s_cbranch_execz .LBB246_150
.LBB246_436:
	v_mov_b32_e32 v7, 0
	v_cmp_ne_u16_sdwa s[48:49], v4, v7 src0_sel:BYTE_0 src1_sel:DWORD
	s_andn2_b64 s[44:45], s[44:45], exec
	s_and_b64 s[48:49], s[48:49], exec
	s_or_b64 s[44:45], s[44:45], s[48:49]
	s_or_b64 exec, exec, s[46:47]
	s_and_saveexec_b64 s[46:47], s[44:45]
	s_cbranch_execnz .LBB246_151
	s_branch .LBB246_152
.LBB246_437:
	s_movk_i32 s46, 0x80
	v_cmp_eq_u16_e32 vcc, s46, v5
	s_mov_b64 s[46:47], -1
	s_and_saveexec_b64 s[50:51], vcc
; %bb.438:
	s_xor_b64 s[46:47], exec, -1
; %bb.439:
	s_or_b64 exec, exec, s[50:51]
	s_and_b64 s[46:47], s[46:47], exec
                                        ; implicit-def: $vgpr5
	s_or_saveexec_b64 s[48:49], s[48:49]
	v_mov_b32_e32 v4, 0x7f800001
	s_xor_b64 exec, exec, s[48:49]
	s_cbranch_execz .LBB246_156
.LBB246_440:
	v_cmp_ne_u16_e32 vcc, 0, v5
	s_andn2_b64 s[46:47], s[46:47], exec
	s_and_b64 s[50:51], vcc, exec
	v_mov_b32_e32 v4, 0
	s_or_b64 s[46:47], s[46:47], s[50:51]
	s_or_b64 exec, exec, s[48:49]
	s_and_saveexec_b64 s[48:49], s[46:47]
	s_cbranch_execnz .LBB246_157
	s_branch .LBB246_158
.LBB246_441:
	s_movk_i32 s46, 0x80
	v_cmp_eq_u16_e32 vcc, s46, v5
	s_mov_b64 s[46:47], -1
	s_and_saveexec_b64 s[50:51], vcc
; %bb.442:
	s_xor_b64 s[46:47], exec, -1
; %bb.443:
	s_or_b64 exec, exec, s[50:51]
	s_and_b64 s[46:47], s[46:47], exec
                                        ; implicit-def: $vgpr5
	s_or_saveexec_b64 s[48:49], s[48:49]
	v_mov_b32_e32 v6, 0x7f800001
	s_xor_b64 exec, exec, s[48:49]
	s_cbranch_execz .LBB246_160
.LBB246_444:
	v_cmp_ne_u16_e32 vcc, 0, v5
	s_andn2_b64 s[46:47], s[46:47], exec
	s_and_b64 s[50:51], vcc, exec
	v_mov_b32_e32 v6, 0
	s_or_b64 s[46:47], s[46:47], s[50:51]
	s_or_b64 exec, exec, s[48:49]
	s_and_saveexec_b64 s[48:49], s[46:47]
	s_cbranch_execnz .LBB246_161
	s_branch .LBB246_162
.LBB246_445:
	s_movk_i32 s4, 0x80
	v_cmp_eq_u16_sdwa s[52:53], v3, s4 src0_sel:BYTE_3 src1_sel:DWORD
	s_mov_b64 s[4:5], -1
	s_and_saveexec_b64 s[50:51], s[52:53]
; %bb.446:
	s_xor_b64 s[4:5], exec, -1
; %bb.447:
	s_or_b64 exec, exec, s[50:51]
	s_and_b64 s[4:5], s[4:5], exec
	s_or_saveexec_b64 s[48:49], s[48:49]
	v_mov_b32_e32 v4, 0x7f800001
	s_xor_b64 exec, exec, s[48:49]
	s_cbranch_execz .LBB246_166
.LBB246_448:
	v_mov_b32_e32 v4, 0
	v_cmp_ne_u16_sdwa s[50:51], v3, v4 src0_sel:BYTE_3 src1_sel:DWORD
	s_andn2_b64 s[4:5], s[4:5], exec
	s_and_b64 s[50:51], s[50:51], exec
	s_or_b64 s[4:5], s[4:5], s[50:51]
	s_or_b64 exec, exec, s[48:49]
	s_and_saveexec_b64 s[48:49], s[4:5]
	s_cbranch_execnz .LBB246_167
	s_branch .LBB246_168
.LBB246_449:
	s_movk_i32 s4, 0x80
	v_cmp_eq_u16_sdwa s[52:53], v2, s4 src0_sel:BYTE_3 src1_sel:DWORD
	s_mov_b64 s[4:5], -1
	s_and_saveexec_b64 s[50:51], s[52:53]
; %bb.450:
	s_xor_b64 s[4:5], exec, -1
; %bb.451:
	s_or_b64 exec, exec, s[50:51]
	s_and_b64 s[4:5], s[4:5], exec
	s_or_saveexec_b64 s[48:49], s[48:49]
	v_mov_b32_e32 v5, 0x7f800001
	s_xor_b64 exec, exec, s[48:49]
	s_cbranch_execz .LBB246_170
.LBB246_452:
	v_mov_b32_e32 v5, 0
	v_cmp_ne_u16_sdwa s[50:51], v2, v5 src0_sel:BYTE_3 src1_sel:DWORD
	s_andn2_b64 s[4:5], s[4:5], exec
	s_and_b64 s[50:51], s[50:51], exec
	s_or_b64 s[4:5], s[4:5], s[50:51]
	s_or_b64 exec, exec, s[48:49]
	s_and_saveexec_b64 s[48:49], s[4:5]
	s_cbranch_execnz .LBB246_171
	s_branch .LBB246_172
.LBB246_453:
	s_movk_i32 s4, 0x80
	v_cmp_eq_u16_sdwa s[22:23], v9, s4 src0_sel:BYTE_0 src1_sel:DWORD
	s_mov_b64 s[4:5], -1
	s_and_saveexec_b64 s[20:21], s[22:23]
; %bb.454:
	s_xor_b64 s[4:5], exec, -1
; %bb.455:
	s_or_b64 exec, exec, s[20:21]
	s_and_b64 s[4:5], s[4:5], exec
	s_or_saveexec_b64 s[16:17], s[16:17]
	v_mov_b32_e32 v10, 0x7f800001
	s_xor_b64 exec, exec, s[16:17]
	s_cbranch_execz .LBB246_16
.LBB246_456:
	v_mov_b32_e32 v10, 0
	v_cmp_ne_u16_sdwa s[20:21], v9, v10 src0_sel:BYTE_0 src1_sel:DWORD
	s_andn2_b64 s[4:5], s[4:5], exec
	s_and_b64 s[20:21], s[20:21], exec
	s_or_b64 s[4:5], s[4:5], s[20:21]
	s_or_b64 exec, exec, s[16:17]
	s_and_saveexec_b64 s[16:17], s[4:5]
	s_cbranch_execnz .LBB246_17
	s_branch .LBB246_18
.LBB246_457:
	s_movk_i32 s4, 0x80
	v_cmp_eq_u16_sdwa s[22:23], v8, s4 src0_sel:BYTE_0 src1_sel:DWORD
	s_mov_b64 s[4:5], -1
	s_and_saveexec_b64 s[20:21], s[22:23]
; %bb.458:
	s_xor_b64 s[4:5], exec, -1
; %bb.459:
	s_or_b64 exec, exec, s[20:21]
	s_and_b64 s[4:5], s[4:5], exec
	s_or_saveexec_b64 s[16:17], s[16:17]
	v_mov_b32_e32 v11, 0x7f800001
	s_xor_b64 exec, exec, s[16:17]
	s_cbranch_execz .LBB246_20
.LBB246_460:
	v_mov_b32_e32 v11, 0
	v_cmp_ne_u16_sdwa s[20:21], v8, v11 src0_sel:BYTE_0 src1_sel:DWORD
	s_andn2_b64 s[4:5], s[4:5], exec
	s_and_b64 s[20:21], s[20:21], exec
	s_or_b64 s[4:5], s[4:5], s[20:21]
	s_or_b64 exec, exec, s[16:17]
	s_and_saveexec_b64 s[16:17], s[4:5]
	s_cbranch_execnz .LBB246_21
	s_branch .LBB246_22
.LBB246_461:
	s_movk_i32 s18, 0x80
	v_cmp_eq_u16_sdwa s[24:25], v11, s18 src0_sel:BYTE_0 src1_sel:DWORD
	s_mov_b64 s[18:19], -1
	s_and_saveexec_b64 s[22:23], s[24:25]
; %bb.462:
	s_xor_b64 s[18:19], exec, -1
; %bb.463:
	s_or_b64 exec, exec, s[22:23]
	s_and_b64 s[18:19], s[18:19], exec
	s_or_saveexec_b64 s[20:21], s[20:21]
	v_mov_b32_e32 v12, 0x7f800001
	s_xor_b64 exec, exec, s[20:21]
	s_cbranch_execz .LBB246_176
.LBB246_464:
	v_mov_b32_e32 v12, 0
	v_cmp_ne_u16_sdwa s[22:23], v11, v12 src0_sel:BYTE_0 src1_sel:DWORD
	s_andn2_b64 s[18:19], s[18:19], exec
	s_and_b64 s[22:23], s[22:23], exec
	s_or_b64 s[18:19], s[18:19], s[22:23]
	s_or_b64 exec, exec, s[20:21]
	s_and_saveexec_b64 s[20:21], s[18:19]
	s_cbranch_execnz .LBB246_177
	s_branch .LBB246_178
.LBB246_465:
	s_movk_i32 s18, 0x80
	v_cmp_eq_u16_sdwa s[24:25], v10, s18 src0_sel:BYTE_0 src1_sel:DWORD
	s_mov_b64 s[18:19], -1
	s_and_saveexec_b64 s[22:23], s[24:25]
; %bb.466:
	s_xor_b64 s[18:19], exec, -1
; %bb.467:
	s_or_b64 exec, exec, s[22:23]
	s_and_b64 s[18:19], s[18:19], exec
	s_or_saveexec_b64 s[20:21], s[20:21]
	v_mov_b32_e32 v11, 0x7f800001
	s_xor_b64 exec, exec, s[20:21]
	s_cbranch_execz .LBB246_180
.LBB246_468:
	v_mov_b32_e32 v11, 0
	v_cmp_ne_u16_sdwa s[22:23], v10, v11 src0_sel:BYTE_0 src1_sel:DWORD
	s_andn2_b64 s[18:19], s[18:19], exec
	s_and_b64 s[22:23], s[22:23], exec
	s_or_b64 s[18:19], s[18:19], s[22:23]
	s_or_b64 exec, exec, s[20:21]
	s_and_saveexec_b64 s[20:21], s[18:19]
	s_cbranch_execnz .LBB246_181
	s_branch .LBB246_182
.LBB246_469:
	s_movk_i32 s20, 0x80
	v_cmp_eq_u16_e32 vcc, s20, v11
	s_mov_b64 s[20:21], -1
	s_and_saveexec_b64 s[24:25], vcc
; %bb.470:
	s_xor_b64 s[20:21], exec, -1
; %bb.471:
	s_or_b64 exec, exec, s[24:25]
	s_and_b64 s[20:21], s[20:21], exec
                                        ; implicit-def: $vgpr11
	s_or_saveexec_b64 s[22:23], s[22:23]
	v_mov_b32_e32 v10, 0x7f800001
	s_xor_b64 exec, exec, s[22:23]
	s_cbranch_execz .LBB246_186
.LBB246_472:
	v_cmp_ne_u16_e32 vcc, 0, v11
	s_andn2_b64 s[20:21], s[20:21], exec
	s_and_b64 s[24:25], vcc, exec
	v_mov_b32_e32 v10, 0
	s_or_b64 s[20:21], s[20:21], s[24:25]
	s_or_b64 exec, exec, s[22:23]
	s_and_saveexec_b64 s[22:23], s[20:21]
	s_cbranch_execnz .LBB246_187
	s_branch .LBB246_188
.LBB246_473:
	s_movk_i32 s20, 0x80
	v_cmp_eq_u16_e32 vcc, s20, v11
	s_mov_b64 s[20:21], -1
	s_and_saveexec_b64 s[24:25], vcc
; %bb.474:
	s_xor_b64 s[20:21], exec, -1
; %bb.475:
	s_or_b64 exec, exec, s[24:25]
	s_and_b64 s[20:21], s[20:21], exec
                                        ; implicit-def: $vgpr11
	s_or_saveexec_b64 s[22:23], s[22:23]
	v_mov_b32_e32 v12, 0x7f800001
	s_xor_b64 exec, exec, s[22:23]
	s_cbranch_execz .LBB246_190
.LBB246_476:
	v_cmp_ne_u16_e32 vcc, 0, v11
	s_andn2_b64 s[20:21], s[20:21], exec
	s_and_b64 s[24:25], vcc, exec
	v_mov_b32_e32 v12, 0
	s_or_b64 s[20:21], s[20:21], s[24:25]
	s_or_b64 exec, exec, s[22:23]
	s_and_saveexec_b64 s[22:23], s[20:21]
	s_cbranch_execnz .LBB246_191
	s_branch .LBB246_192
.LBB246_477:
	s_movk_i32 s22, 0x80
	v_cmp_eq_u16_sdwa s[28:29], v9, s22 src0_sel:BYTE_3 src1_sel:DWORD
	s_mov_b64 s[22:23], -1
	s_and_saveexec_b64 s[26:27], s[28:29]
; %bb.478:
	s_xor_b64 s[22:23], exec, -1
; %bb.479:
	s_or_b64 exec, exec, s[26:27]
	s_and_b64 s[22:23], s[22:23], exec
	s_or_saveexec_b64 s[24:25], s[24:25]
	v_mov_b32_e32 v10, 0x7f800001
	s_xor_b64 exec, exec, s[24:25]
	s_cbranch_execz .LBB246_196
.LBB246_480:
	v_mov_b32_e32 v10, 0
	v_cmp_ne_u16_sdwa s[26:27], v9, v10 src0_sel:BYTE_3 src1_sel:DWORD
	s_andn2_b64 s[22:23], s[22:23], exec
	s_and_b64 s[26:27], s[26:27], exec
	s_or_b64 s[22:23], s[22:23], s[26:27]
	s_or_b64 exec, exec, s[24:25]
	s_and_saveexec_b64 s[24:25], s[22:23]
	s_cbranch_execnz .LBB246_197
	s_branch .LBB246_198
.LBB246_481:
	s_movk_i32 s22, 0x80
	v_cmp_eq_u16_sdwa s[28:29], v8, s22 src0_sel:BYTE_3 src1_sel:DWORD
	s_mov_b64 s[22:23], -1
	s_and_saveexec_b64 s[26:27], s[28:29]
; %bb.482:
	s_xor_b64 s[22:23], exec, -1
; %bb.483:
	s_or_b64 exec, exec, s[26:27]
	s_and_b64 s[22:23], s[22:23], exec
	s_or_saveexec_b64 s[24:25], s[24:25]
	v_mov_b32_e32 v9, 0x7f800001
	s_xor_b64 exec, exec, s[24:25]
	s_cbranch_execz .LBB246_200
.LBB246_484:
	v_mov_b32_e32 v9, 0
	v_cmp_ne_u16_sdwa s[26:27], v8, v9 src0_sel:BYTE_3 src1_sel:DWORD
	s_andn2_b64 s[22:23], s[22:23], exec
	s_and_b64 s[26:27], s[26:27], exec
	s_or_b64 s[22:23], s[22:23], s[26:27]
	s_or_b64 exec, exec, s[24:25]
	s_and_saveexec_b64 s[24:25], s[22:23]
	s_cbranch_execnz .LBB246_201
	s_branch .LBB246_202
.LBB246_485:
	s_movk_i32 s24, 0x80
	v_cmp_eq_u16_sdwa s[30:31], v7, s24 src0_sel:BYTE_0 src1_sel:DWORD
	s_mov_b64 s[24:25], -1
	s_and_saveexec_b64 s[28:29], s[30:31]
; %bb.486:
	s_xor_b64 s[24:25], exec, -1
; %bb.487:
	s_or_b64 exec, exec, s[28:29]
	s_and_b64 s[24:25], s[24:25], exec
	s_or_saveexec_b64 s[26:27], s[26:27]
	v_mov_b32_e32 v8, 0x7f800001
	s_xor_b64 exec, exec, s[26:27]
	s_cbranch_execz .LBB246_206
.LBB246_488:
	v_mov_b32_e32 v8, 0
	v_cmp_ne_u16_sdwa s[28:29], v7, v8 src0_sel:BYTE_0 src1_sel:DWORD
	s_andn2_b64 s[24:25], s[24:25], exec
	s_and_b64 s[28:29], s[28:29], exec
	s_or_b64 s[24:25], s[24:25], s[28:29]
	s_or_b64 exec, exec, s[26:27]
	s_and_saveexec_b64 s[26:27], s[24:25]
	s_cbranch_execnz .LBB246_207
	s_branch .LBB246_208
.LBB246_489:
	s_movk_i32 s24, 0x80
	v_cmp_eq_u16_sdwa s[30:31], v6, s24 src0_sel:BYTE_0 src1_sel:DWORD
	s_mov_b64 s[24:25], -1
	s_and_saveexec_b64 s[28:29], s[30:31]
; %bb.490:
	s_xor_b64 s[24:25], exec, -1
; %bb.491:
	s_or_b64 exec, exec, s[28:29]
	s_and_b64 s[24:25], s[24:25], exec
	s_or_saveexec_b64 s[26:27], s[26:27]
	v_mov_b32_e32 v9, 0x7f800001
	s_xor_b64 exec, exec, s[26:27]
	s_cbranch_execz .LBB246_210
.LBB246_492:
	v_mov_b32_e32 v9, 0
	v_cmp_ne_u16_sdwa s[28:29], v6, v9 src0_sel:BYTE_0 src1_sel:DWORD
	s_andn2_b64 s[24:25], s[24:25], exec
	s_and_b64 s[28:29], s[28:29], exec
	s_or_b64 s[24:25], s[24:25], s[28:29]
	s_or_b64 exec, exec, s[26:27]
	s_and_saveexec_b64 s[26:27], s[24:25]
	s_cbranch_execnz .LBB246_211
	s_branch .LBB246_212
.LBB246_493:
	s_movk_i32 s26, 0x80
	v_cmp_eq_u16_sdwa s[34:35], v9, s26 src0_sel:BYTE_0 src1_sel:DWORD
	s_mov_b64 s[26:27], -1
	s_and_saveexec_b64 s[30:31], s[34:35]
; %bb.494:
	s_xor_b64 s[26:27], exec, -1
; %bb.495:
	s_or_b64 exec, exec, s[30:31]
	s_and_b64 s[26:27], s[26:27], exec
	s_or_saveexec_b64 s[28:29], s[28:29]
	v_mov_b32_e32 v10, 0x7f800001
	s_xor_b64 exec, exec, s[28:29]
	s_cbranch_execz .LBB246_216
.LBB246_496:
	v_mov_b32_e32 v10, 0
	v_cmp_ne_u16_sdwa s[30:31], v9, v10 src0_sel:BYTE_0 src1_sel:DWORD
	s_andn2_b64 s[26:27], s[26:27], exec
	s_and_b64 s[30:31], s[30:31], exec
	s_or_b64 s[26:27], s[26:27], s[30:31]
	s_or_b64 exec, exec, s[28:29]
	s_and_saveexec_b64 s[28:29], s[26:27]
	s_cbranch_execnz .LBB246_217
	s_branch .LBB246_218
.LBB246_497:
	s_movk_i32 s26, 0x80
	v_cmp_eq_u16_sdwa s[34:35], v8, s26 src0_sel:BYTE_0 src1_sel:DWORD
	s_mov_b64 s[26:27], -1
	s_and_saveexec_b64 s[30:31], s[34:35]
; %bb.498:
	s_xor_b64 s[26:27], exec, -1
; %bb.499:
	s_or_b64 exec, exec, s[30:31]
	s_and_b64 s[26:27], s[26:27], exec
	s_or_saveexec_b64 s[28:29], s[28:29]
	v_mov_b32_e32 v9, 0x7f800001
	s_xor_b64 exec, exec, s[28:29]
	s_cbranch_execz .LBB246_220
.LBB246_500:
	v_mov_b32_e32 v9, 0
	v_cmp_ne_u16_sdwa s[30:31], v8, v9 src0_sel:BYTE_0 src1_sel:DWORD
	s_andn2_b64 s[26:27], s[26:27], exec
	s_and_b64 s[30:31], s[30:31], exec
	s_or_b64 s[26:27], s[26:27], s[30:31]
	s_or_b64 exec, exec, s[28:29]
	s_and_saveexec_b64 s[28:29], s[26:27]
	s_cbranch_execnz .LBB246_221
	s_branch .LBB246_222
.LBB246_501:
	s_movk_i32 s28, 0x80
	v_cmp_eq_u16_e32 vcc, s28, v9
	s_mov_b64 s[28:29], -1
	s_and_saveexec_b64 s[34:35], vcc
; %bb.502:
	s_xor_b64 s[28:29], exec, -1
; %bb.503:
	s_or_b64 exec, exec, s[34:35]
	s_and_b64 s[28:29], s[28:29], exec
                                        ; implicit-def: $vgpr9
	s_or_saveexec_b64 s[30:31], s[30:31]
	v_mov_b32_e32 v8, 0x7f800001
	s_xor_b64 exec, exec, s[30:31]
	s_cbranch_execz .LBB246_226
.LBB246_504:
	v_cmp_ne_u16_e32 vcc, 0, v9
	s_andn2_b64 s[28:29], s[28:29], exec
	s_and_b64 s[34:35], vcc, exec
	v_mov_b32_e32 v8, 0
	s_or_b64 s[28:29], s[28:29], s[34:35]
	s_or_b64 exec, exec, s[30:31]
	s_and_saveexec_b64 s[30:31], s[28:29]
	s_cbranch_execnz .LBB246_227
	s_branch .LBB246_228
.LBB246_505:
	s_movk_i32 s28, 0x80
	v_cmp_eq_u16_e32 vcc, s28, v9
	s_mov_b64 s[28:29], -1
	s_and_saveexec_b64 s[34:35], vcc
; %bb.506:
	s_xor_b64 s[28:29], exec, -1
; %bb.507:
	s_or_b64 exec, exec, s[34:35]
	s_and_b64 s[28:29], s[28:29], exec
                                        ; implicit-def: $vgpr9
	s_or_saveexec_b64 s[30:31], s[30:31]
	v_mov_b32_e32 v10, 0x7f800001
	s_xor_b64 exec, exec, s[30:31]
	s_cbranch_execz .LBB246_230
.LBB246_508:
	v_cmp_ne_u16_e32 vcc, 0, v9
	s_andn2_b64 s[28:29], s[28:29], exec
	s_and_b64 s[34:35], vcc, exec
	v_mov_b32_e32 v10, 0
	s_or_b64 s[28:29], s[28:29], s[34:35]
	s_or_b64 exec, exec, s[30:31]
	s_and_saveexec_b64 s[30:31], s[28:29]
	s_cbranch_execnz .LBB246_231
	s_branch .LBB246_232
.LBB246_509:
	s_movk_i32 s30, 0x80
	v_cmp_eq_u16_sdwa s[38:39], v7, s30 src0_sel:BYTE_3 src1_sel:DWORD
	s_mov_b64 s[30:31], -1
	s_and_saveexec_b64 s[36:37], s[38:39]
; %bb.510:
	s_xor_b64 s[30:31], exec, -1
; %bb.511:
	s_or_b64 exec, exec, s[36:37]
	s_and_b64 s[30:31], s[30:31], exec
	s_or_saveexec_b64 s[34:35], s[34:35]
	v_mov_b32_e32 v8, 0x7f800001
	s_xor_b64 exec, exec, s[34:35]
	s_cbranch_execz .LBB246_236
.LBB246_512:
	v_mov_b32_e32 v8, 0
	v_cmp_ne_u16_sdwa s[36:37], v7, v8 src0_sel:BYTE_3 src1_sel:DWORD
	s_andn2_b64 s[30:31], s[30:31], exec
	s_and_b64 s[36:37], s[36:37], exec
	s_or_b64 s[30:31], s[30:31], s[36:37]
	s_or_b64 exec, exec, s[34:35]
	s_and_saveexec_b64 s[34:35], s[30:31]
	s_cbranch_execnz .LBB246_237
	s_branch .LBB246_238
.LBB246_513:
	s_movk_i32 s30, 0x80
	v_cmp_eq_u16_sdwa s[38:39], v6, s30 src0_sel:BYTE_3 src1_sel:DWORD
	s_mov_b64 s[30:31], -1
	s_and_saveexec_b64 s[36:37], s[38:39]
; %bb.514:
	s_xor_b64 s[30:31], exec, -1
; %bb.515:
	s_or_b64 exec, exec, s[36:37]
	s_and_b64 s[30:31], s[30:31], exec
	s_or_saveexec_b64 s[34:35], s[34:35]
	v_mov_b32_e32 v7, 0x7f800001
	s_xor_b64 exec, exec, s[34:35]
	s_cbranch_execz .LBB246_240
.LBB246_516:
	v_mov_b32_e32 v7, 0
	v_cmp_ne_u16_sdwa s[36:37], v6, v7 src0_sel:BYTE_3 src1_sel:DWORD
	s_andn2_b64 s[30:31], s[30:31], exec
	s_and_b64 s[36:37], s[36:37], exec
	s_or_b64 s[30:31], s[30:31], s[36:37]
	s_or_b64 exec, exec, s[34:35]
	s_and_saveexec_b64 s[34:35], s[30:31]
	s_cbranch_execnz .LBB246_241
	s_branch .LBB246_242
.LBB246_517:
	s_movk_i32 s34, 0x80
	v_cmp_eq_u16_sdwa s[40:41], v5, s34 src0_sel:BYTE_0 src1_sel:DWORD
	s_mov_b64 s[34:35], -1
	s_and_saveexec_b64 s[38:39], s[40:41]
; %bb.518:
	s_xor_b64 s[34:35], exec, -1
; %bb.519:
	s_or_b64 exec, exec, s[38:39]
	s_and_b64 s[34:35], s[34:35], exec
	s_or_saveexec_b64 s[36:37], s[36:37]
	v_mov_b32_e32 v6, 0x7f800001
	s_xor_b64 exec, exec, s[36:37]
	s_cbranch_execz .LBB246_246
.LBB246_520:
	v_mov_b32_e32 v6, 0
	v_cmp_ne_u16_sdwa s[38:39], v5, v6 src0_sel:BYTE_0 src1_sel:DWORD
	s_andn2_b64 s[34:35], s[34:35], exec
	s_and_b64 s[38:39], s[38:39], exec
	s_or_b64 s[34:35], s[34:35], s[38:39]
	s_or_b64 exec, exec, s[36:37]
	s_and_saveexec_b64 s[36:37], s[34:35]
	s_cbranch_execnz .LBB246_247
	s_branch .LBB246_248
.LBB246_521:
	s_movk_i32 s34, 0x80
	v_cmp_eq_u16_sdwa s[40:41], v4, s34 src0_sel:BYTE_0 src1_sel:DWORD
	s_mov_b64 s[34:35], -1
	s_and_saveexec_b64 s[38:39], s[40:41]
; %bb.522:
	s_xor_b64 s[34:35], exec, -1
; %bb.523:
	s_or_b64 exec, exec, s[38:39]
	s_and_b64 s[34:35], s[34:35], exec
	s_or_saveexec_b64 s[36:37], s[36:37]
	v_mov_b32_e32 v7, 0x7f800001
	s_xor_b64 exec, exec, s[36:37]
	s_cbranch_execz .LBB246_250
.LBB246_524:
	v_mov_b32_e32 v7, 0
	v_cmp_ne_u16_sdwa s[38:39], v4, v7 src0_sel:BYTE_0 src1_sel:DWORD
	s_andn2_b64 s[34:35], s[34:35], exec
	s_and_b64 s[38:39], s[38:39], exec
	s_or_b64 s[34:35], s[34:35], s[38:39]
	s_or_b64 exec, exec, s[36:37]
	s_and_saveexec_b64 s[36:37], s[34:35]
	s_cbranch_execnz .LBB246_251
	s_branch .LBB246_252
.LBB246_525:
	s_movk_i32 s36, 0x80
	v_cmp_eq_u16_sdwa s[42:43], v7, s36 src0_sel:BYTE_0 src1_sel:DWORD
	s_mov_b64 s[36:37], -1
	s_and_saveexec_b64 s[40:41], s[42:43]
; %bb.526:
	s_xor_b64 s[36:37], exec, -1
; %bb.527:
	s_or_b64 exec, exec, s[40:41]
	s_and_b64 s[36:37], s[36:37], exec
	s_or_saveexec_b64 s[38:39], s[38:39]
	v_mov_b32_e32 v8, 0x7f800001
	s_xor_b64 exec, exec, s[38:39]
	s_cbranch_execz .LBB246_256
.LBB246_528:
	v_mov_b32_e32 v8, 0
	v_cmp_ne_u16_sdwa s[40:41], v7, v8 src0_sel:BYTE_0 src1_sel:DWORD
	s_andn2_b64 s[36:37], s[36:37], exec
	s_and_b64 s[40:41], s[40:41], exec
	s_or_b64 s[36:37], s[36:37], s[40:41]
	s_or_b64 exec, exec, s[38:39]
	s_and_saveexec_b64 s[38:39], s[36:37]
	s_cbranch_execnz .LBB246_257
	s_branch .LBB246_258
.LBB246_529:
	s_movk_i32 s36, 0x80
	v_cmp_eq_u16_sdwa s[42:43], v6, s36 src0_sel:BYTE_0 src1_sel:DWORD
	s_mov_b64 s[36:37], -1
	s_and_saveexec_b64 s[40:41], s[42:43]
; %bb.530:
	s_xor_b64 s[36:37], exec, -1
; %bb.531:
	s_or_b64 exec, exec, s[40:41]
	s_and_b64 s[36:37], s[36:37], exec
	s_or_saveexec_b64 s[38:39], s[38:39]
	v_mov_b32_e32 v7, 0x7f800001
	s_xor_b64 exec, exec, s[38:39]
	s_cbranch_execz .LBB246_260
.LBB246_532:
	v_mov_b32_e32 v7, 0
	v_cmp_ne_u16_sdwa s[40:41], v6, v7 src0_sel:BYTE_0 src1_sel:DWORD
	s_andn2_b64 s[36:37], s[36:37], exec
	s_and_b64 s[40:41], s[40:41], exec
	s_or_b64 s[36:37], s[36:37], s[40:41]
	s_or_b64 exec, exec, s[38:39]
	s_and_saveexec_b64 s[38:39], s[36:37]
	s_cbranch_execnz .LBB246_261
	s_branch .LBB246_262
.LBB246_533:
	s_movk_i32 s38, 0x80
	v_cmp_eq_u16_e32 vcc, s38, v7
	s_mov_b64 s[38:39], -1
	s_and_saveexec_b64 s[42:43], vcc
; %bb.534:
	s_xor_b64 s[38:39], exec, -1
; %bb.535:
	s_or_b64 exec, exec, s[42:43]
	s_and_b64 s[38:39], s[38:39], exec
                                        ; implicit-def: $vgpr7
	s_or_saveexec_b64 s[40:41], s[40:41]
	v_mov_b32_e32 v6, 0x7f800001
	s_xor_b64 exec, exec, s[40:41]
	s_cbranch_execz .LBB246_266
.LBB246_536:
	v_cmp_ne_u16_e32 vcc, 0, v7
	s_andn2_b64 s[38:39], s[38:39], exec
	s_and_b64 s[42:43], vcc, exec
	v_mov_b32_e32 v6, 0
	s_or_b64 s[38:39], s[38:39], s[42:43]
	s_or_b64 exec, exec, s[40:41]
	s_and_saveexec_b64 s[40:41], s[38:39]
	s_cbranch_execnz .LBB246_267
	s_branch .LBB246_268
.LBB246_537:
	s_movk_i32 s38, 0x80
	v_cmp_eq_u16_e32 vcc, s38, v7
	s_mov_b64 s[38:39], -1
	s_and_saveexec_b64 s[42:43], vcc
; %bb.538:
	s_xor_b64 s[38:39], exec, -1
; %bb.539:
	s_or_b64 exec, exec, s[42:43]
	s_and_b64 s[38:39], s[38:39], exec
                                        ; implicit-def: $vgpr7
	s_or_saveexec_b64 s[40:41], s[40:41]
	v_mov_b32_e32 v8, 0x7f800001
	s_xor_b64 exec, exec, s[40:41]
	s_cbranch_execz .LBB246_270
.LBB246_540:
	v_cmp_ne_u16_e32 vcc, 0, v7
	s_andn2_b64 s[38:39], s[38:39], exec
	s_and_b64 s[42:43], vcc, exec
	v_mov_b32_e32 v8, 0
	s_or_b64 s[38:39], s[38:39], s[42:43]
	s_or_b64 exec, exec, s[40:41]
	s_and_saveexec_b64 s[40:41], s[38:39]
	s_cbranch_execnz .LBB246_271
	s_branch .LBB246_272
.LBB246_541:
	s_movk_i32 s40, 0x80
	v_cmp_eq_u16_sdwa s[46:47], v5, s40 src0_sel:BYTE_3 src1_sel:DWORD
	s_mov_b64 s[40:41], -1
	s_and_saveexec_b64 s[44:45], s[46:47]
; %bb.542:
	s_xor_b64 s[40:41], exec, -1
; %bb.543:
	s_or_b64 exec, exec, s[44:45]
	s_and_b64 s[40:41], s[40:41], exec
	s_or_saveexec_b64 s[42:43], s[42:43]
	v_mov_b32_e32 v6, 0x7f800001
	s_xor_b64 exec, exec, s[42:43]
	s_cbranch_execz .LBB246_276
.LBB246_544:
	v_mov_b32_e32 v6, 0
	v_cmp_ne_u16_sdwa s[44:45], v5, v6 src0_sel:BYTE_3 src1_sel:DWORD
	s_andn2_b64 s[40:41], s[40:41], exec
	s_and_b64 s[44:45], s[44:45], exec
	s_or_b64 s[40:41], s[40:41], s[44:45]
	s_or_b64 exec, exec, s[42:43]
	s_and_saveexec_b64 s[42:43], s[40:41]
	s_cbranch_execnz .LBB246_277
	s_branch .LBB246_278
.LBB246_545:
	s_movk_i32 s40, 0x80
	v_cmp_eq_u16_sdwa s[46:47], v4, s40 src0_sel:BYTE_3 src1_sel:DWORD
	s_mov_b64 s[40:41], -1
	s_and_saveexec_b64 s[44:45], s[46:47]
; %bb.546:
	s_xor_b64 s[40:41], exec, -1
; %bb.547:
	s_or_b64 exec, exec, s[44:45]
	s_and_b64 s[40:41], s[40:41], exec
	s_or_saveexec_b64 s[42:43], s[42:43]
	v_mov_b32_e32 v5, 0x7f800001
	s_xor_b64 exec, exec, s[42:43]
	s_cbranch_execz .LBB246_280
.LBB246_548:
	v_mov_b32_e32 v5, 0
	v_cmp_ne_u16_sdwa s[44:45], v4, v5 src0_sel:BYTE_3 src1_sel:DWORD
	s_andn2_b64 s[40:41], s[40:41], exec
	s_and_b64 s[44:45], s[44:45], exec
	s_or_b64 s[40:41], s[40:41], s[44:45]
	s_or_b64 exec, exec, s[42:43]
	s_and_saveexec_b64 s[42:43], s[40:41]
	s_cbranch_execnz .LBB246_281
	s_branch .LBB246_282
.LBB246_549:
	s_movk_i32 s42, 0x80
	v_cmp_eq_u16_sdwa s[48:49], v3, s42 src0_sel:BYTE_0 src1_sel:DWORD
	s_mov_b64 s[42:43], -1
	s_and_saveexec_b64 s[46:47], s[48:49]
; %bb.550:
	s_xor_b64 s[42:43], exec, -1
; %bb.551:
	s_or_b64 exec, exec, s[46:47]
	s_and_b64 s[42:43], s[42:43], exec
	s_or_saveexec_b64 s[44:45], s[44:45]
	v_mov_b32_e32 v4, 0x7f800001
	s_xor_b64 exec, exec, s[44:45]
	s_cbranch_execz .LBB246_286
.LBB246_552:
	v_mov_b32_e32 v4, 0
	v_cmp_ne_u16_sdwa s[46:47], v3, v4 src0_sel:BYTE_0 src1_sel:DWORD
	s_andn2_b64 s[42:43], s[42:43], exec
	s_and_b64 s[46:47], s[46:47], exec
	s_or_b64 s[42:43], s[42:43], s[46:47]
	s_or_b64 exec, exec, s[44:45]
	s_and_saveexec_b64 s[44:45], s[42:43]
	s_cbranch_execnz .LBB246_287
	s_branch .LBB246_288
.LBB246_553:
	s_movk_i32 s42, 0x80
	v_cmp_eq_u16_sdwa s[48:49], v2, s42 src0_sel:BYTE_0 src1_sel:DWORD
	s_mov_b64 s[42:43], -1
	s_and_saveexec_b64 s[46:47], s[48:49]
; %bb.554:
	s_xor_b64 s[42:43], exec, -1
; %bb.555:
	s_or_b64 exec, exec, s[46:47]
	s_and_b64 s[42:43], s[42:43], exec
	s_or_saveexec_b64 s[44:45], s[44:45]
	v_mov_b32_e32 v5, 0x7f800001
	s_xor_b64 exec, exec, s[44:45]
	s_cbranch_execz .LBB246_290
.LBB246_556:
	v_mov_b32_e32 v5, 0
	v_cmp_ne_u16_sdwa s[46:47], v2, v5 src0_sel:BYTE_0 src1_sel:DWORD
	s_andn2_b64 s[42:43], s[42:43], exec
	s_and_b64 s[46:47], s[46:47], exec
	s_or_b64 s[42:43], s[42:43], s[46:47]
	s_or_b64 exec, exec, s[44:45]
	s_and_saveexec_b64 s[44:45], s[42:43]
	s_cbranch_execnz .LBB246_291
	s_branch .LBB246_292
.LBB246_557:
	s_movk_i32 s44, 0x80
	v_cmp_eq_u16_sdwa s[50:51], v5, s44 src0_sel:BYTE_0 src1_sel:DWORD
	s_mov_b64 s[44:45], -1
	s_and_saveexec_b64 s[48:49], s[50:51]
; %bb.558:
	s_xor_b64 s[44:45], exec, -1
; %bb.559:
	s_or_b64 exec, exec, s[48:49]
	s_and_b64 s[44:45], s[44:45], exec
	s_or_saveexec_b64 s[46:47], s[46:47]
	v_mov_b32_e32 v6, 0x7f800001
	s_xor_b64 exec, exec, s[46:47]
	s_cbranch_execz .LBB246_296
.LBB246_560:
	v_mov_b32_e32 v6, 0
	v_cmp_ne_u16_sdwa s[48:49], v5, v6 src0_sel:BYTE_0 src1_sel:DWORD
	s_andn2_b64 s[44:45], s[44:45], exec
	s_and_b64 s[48:49], s[48:49], exec
	s_or_b64 s[44:45], s[44:45], s[48:49]
	s_or_b64 exec, exec, s[46:47]
	s_and_saveexec_b64 s[46:47], s[44:45]
	s_cbranch_execnz .LBB246_297
	s_branch .LBB246_298
.LBB246_561:
	s_movk_i32 s44, 0x80
	v_cmp_eq_u16_sdwa s[50:51], v4, s44 src0_sel:BYTE_0 src1_sel:DWORD
	s_mov_b64 s[44:45], -1
	s_and_saveexec_b64 s[48:49], s[50:51]
; %bb.562:
	s_xor_b64 s[44:45], exec, -1
; %bb.563:
	s_or_b64 exec, exec, s[48:49]
	s_and_b64 s[44:45], s[44:45], exec
	s_or_saveexec_b64 s[46:47], s[46:47]
	v_mov_b32_e32 v5, 0x7f800001
	s_xor_b64 exec, exec, s[46:47]
	s_cbranch_execz .LBB246_300
.LBB246_564:
	v_mov_b32_e32 v5, 0
	v_cmp_ne_u16_sdwa s[48:49], v4, v5 src0_sel:BYTE_0 src1_sel:DWORD
	s_andn2_b64 s[44:45], s[44:45], exec
	s_and_b64 s[48:49], s[48:49], exec
	s_or_b64 s[44:45], s[44:45], s[48:49]
	s_or_b64 exec, exec, s[46:47]
	s_and_saveexec_b64 s[46:47], s[44:45]
	s_cbranch_execnz .LBB246_301
	s_branch .LBB246_302
.LBB246_565:
	s_movk_i32 s46, 0x80
	v_cmp_eq_u16_e32 vcc, s46, v5
	s_mov_b64 s[46:47], -1
	s_and_saveexec_b64 s[50:51], vcc
; %bb.566:
	s_xor_b64 s[46:47], exec, -1
; %bb.567:
	s_or_b64 exec, exec, s[50:51]
	s_and_b64 s[46:47], s[46:47], exec
                                        ; implicit-def: $vgpr5
	s_or_saveexec_b64 s[48:49], s[48:49]
	v_mov_b32_e32 v4, 0x7f800001
	s_xor_b64 exec, exec, s[48:49]
	s_cbranch_execz .LBB246_306
.LBB246_568:
	v_cmp_ne_u16_e32 vcc, 0, v5
	s_andn2_b64 s[46:47], s[46:47], exec
	s_and_b64 s[50:51], vcc, exec
	v_mov_b32_e32 v4, 0
	s_or_b64 s[46:47], s[46:47], s[50:51]
	s_or_b64 exec, exec, s[48:49]
	s_and_saveexec_b64 s[48:49], s[46:47]
	s_cbranch_execnz .LBB246_307
	s_branch .LBB246_308
.LBB246_569:
	s_movk_i32 s46, 0x80
	v_cmp_eq_u16_e32 vcc, s46, v5
	s_mov_b64 s[46:47], -1
	s_and_saveexec_b64 s[50:51], vcc
; %bb.570:
	s_xor_b64 s[46:47], exec, -1
; %bb.571:
	s_or_b64 exec, exec, s[50:51]
	s_and_b64 s[46:47], s[46:47], exec
                                        ; implicit-def: $vgpr5
	s_or_saveexec_b64 s[48:49], s[48:49]
	v_mov_b32_e32 v6, 0x7f800001
	s_xor_b64 exec, exec, s[48:49]
	s_cbranch_execz .LBB246_310
.LBB246_572:
	v_cmp_ne_u16_e32 vcc, 0, v5
	s_andn2_b64 s[46:47], s[46:47], exec
	s_and_b64 s[50:51], vcc, exec
	v_mov_b32_e32 v6, 0
	s_or_b64 s[46:47], s[46:47], s[50:51]
	s_or_b64 exec, exec, s[48:49]
	s_and_saveexec_b64 s[48:49], s[46:47]
	s_cbranch_execnz .LBB246_311
	s_branch .LBB246_312
.LBB246_573:
	s_movk_i32 s4, 0x80
	v_cmp_eq_u16_sdwa s[52:53], v3, s4 src0_sel:BYTE_3 src1_sel:DWORD
	s_mov_b64 s[4:5], -1
	s_and_saveexec_b64 s[50:51], s[52:53]
; %bb.574:
	s_xor_b64 s[4:5], exec, -1
; %bb.575:
	s_or_b64 exec, exec, s[50:51]
	s_and_b64 s[4:5], s[4:5], exec
	s_or_saveexec_b64 s[48:49], s[48:49]
	v_mov_b32_e32 v4, 0x7f800001
	s_xor_b64 exec, exec, s[48:49]
	s_cbranch_execz .LBB246_316
.LBB246_576:
	v_mov_b32_e32 v4, 0
	v_cmp_ne_u16_sdwa s[50:51], v3, v4 src0_sel:BYTE_3 src1_sel:DWORD
	s_andn2_b64 s[4:5], s[4:5], exec
	s_and_b64 s[50:51], s[50:51], exec
	s_or_b64 s[4:5], s[4:5], s[50:51]
	s_or_b64 exec, exec, s[48:49]
	s_and_saveexec_b64 s[48:49], s[4:5]
	s_cbranch_execnz .LBB246_317
	s_branch .LBB246_318
.LBB246_577:
	s_movk_i32 s4, 0x80
	v_cmp_eq_u16_sdwa s[52:53], v2, s4 src0_sel:BYTE_3 src1_sel:DWORD
	s_mov_b64 s[4:5], -1
	s_and_saveexec_b64 s[50:51], s[52:53]
; %bb.578:
	s_xor_b64 s[4:5], exec, -1
; %bb.579:
	s_or_b64 exec, exec, s[50:51]
	s_and_b64 s[4:5], s[4:5], exec
	s_or_saveexec_b64 s[48:49], s[48:49]
	v_mov_b32_e32 v3, 0x7f800001
	s_xor_b64 exec, exec, s[48:49]
	s_cbranch_execz .LBB246_320
.LBB246_580:
	v_mov_b32_e32 v3, 0
	v_cmp_ne_u16_sdwa s[50:51], v2, v3 src0_sel:BYTE_3 src1_sel:DWORD
	s_andn2_b64 s[4:5], s[4:5], exec
	s_and_b64 s[50:51], s[50:51], exec
	s_or_b64 s[4:5], s[4:5], s[50:51]
	s_or_b64 exec, exec, s[48:49]
	s_and_saveexec_b64 s[48:49], s[4:5]
	s_cbranch_execnz .LBB246_321
	s_branch .LBB246_322
	.section	.rodata,"a",@progbits
	.p2align	6, 0x0
	.amdhsa_kernel _ZN2at6native29vectorized_elementwise_kernelILi4ENS0_13BinaryFunctorIN3c1015Float8_e5m2fnuzES4_bNS0_12_GLOBAL__N_116CompareEqFunctorIS4_EEEESt5arrayIPcLm3EEEEviT0_T1_
		.amdhsa_group_segment_fixed_size 0
		.amdhsa_private_segment_fixed_size 0
		.amdhsa_kernarg_size 32
		.amdhsa_user_sgpr_count 6
		.amdhsa_user_sgpr_private_segment_buffer 1
		.amdhsa_user_sgpr_dispatch_ptr 0
		.amdhsa_user_sgpr_queue_ptr 0
		.amdhsa_user_sgpr_kernarg_segment_ptr 1
		.amdhsa_user_sgpr_dispatch_id 0
		.amdhsa_user_sgpr_flat_scratch_init 0
		.amdhsa_user_sgpr_private_segment_size 0
		.amdhsa_uses_dynamic_stack 0
		.amdhsa_system_sgpr_private_segment_wavefront_offset 0
		.amdhsa_system_sgpr_workgroup_id_x 1
		.amdhsa_system_sgpr_workgroup_id_y 0
		.amdhsa_system_sgpr_workgroup_id_z 0
		.amdhsa_system_sgpr_workgroup_info 0
		.amdhsa_system_vgpr_workitem_id 0
		.amdhsa_next_free_vgpr 55
		.amdhsa_next_free_sgpr 57
		.amdhsa_reserve_vcc 1
		.amdhsa_reserve_flat_scratch 0
		.amdhsa_float_round_mode_32 0
		.amdhsa_float_round_mode_16_64 0
		.amdhsa_float_denorm_mode_32 3
		.amdhsa_float_denorm_mode_16_64 3
		.amdhsa_dx10_clamp 1
		.amdhsa_ieee_mode 1
		.amdhsa_fp16_overflow 0
		.amdhsa_exception_fp_ieee_invalid_op 0
		.amdhsa_exception_fp_denorm_src 0
		.amdhsa_exception_fp_ieee_div_zero 0
		.amdhsa_exception_fp_ieee_overflow 0
		.amdhsa_exception_fp_ieee_underflow 0
		.amdhsa_exception_fp_ieee_inexact 0
		.amdhsa_exception_int_div_zero 0
	.end_amdhsa_kernel
	.section	.text._ZN2at6native29vectorized_elementwise_kernelILi4ENS0_13BinaryFunctorIN3c1015Float8_e5m2fnuzES4_bNS0_12_GLOBAL__N_116CompareEqFunctorIS4_EEEESt5arrayIPcLm3EEEEviT0_T1_,"axG",@progbits,_ZN2at6native29vectorized_elementwise_kernelILi4ENS0_13BinaryFunctorIN3c1015Float8_e5m2fnuzES4_bNS0_12_GLOBAL__N_116CompareEqFunctorIS4_EEEESt5arrayIPcLm3EEEEviT0_T1_,comdat
.Lfunc_end246:
	.size	_ZN2at6native29vectorized_elementwise_kernelILi4ENS0_13BinaryFunctorIN3c1015Float8_e5m2fnuzES4_bNS0_12_GLOBAL__N_116CompareEqFunctorIS4_EEEESt5arrayIPcLm3EEEEviT0_T1_, .Lfunc_end246-_ZN2at6native29vectorized_elementwise_kernelILi4ENS0_13BinaryFunctorIN3c1015Float8_e5m2fnuzES4_bNS0_12_GLOBAL__N_116CompareEqFunctorIS4_EEEESt5arrayIPcLm3EEEEviT0_T1_
                                        ; -- End function
	.set _ZN2at6native29vectorized_elementwise_kernelILi4ENS0_13BinaryFunctorIN3c1015Float8_e5m2fnuzES4_bNS0_12_GLOBAL__N_116CompareEqFunctorIS4_EEEESt5arrayIPcLm3EEEEviT0_T1_.num_vgpr, max(32, .L_ZN2at6native25elementwise_kernel_helperILb0ENS0_13BinaryFunctorIN3c1015Float8_e5m2fnuzES4_bNS0_12_GLOBAL__N_116CompareEqFunctorIS4_EEEENS0_6memory8policies11unroll_baseILi256ESt5arrayIPcLm3EE23TrivialOffsetCalculatorILi2EjESF_ILi1EjENS9_15LoadWithoutCastENS9_16StoreWithoutCastELi16ELi1EEEEEvT0_T1_.num_vgpr)
	.set _ZN2at6native29vectorized_elementwise_kernelILi4ENS0_13BinaryFunctorIN3c1015Float8_e5m2fnuzES4_bNS0_12_GLOBAL__N_116CompareEqFunctorIS4_EEEESt5arrayIPcLm3EEEEviT0_T1_.num_agpr, max(0, .L_ZN2at6native25elementwise_kernel_helperILb0ENS0_13BinaryFunctorIN3c1015Float8_e5m2fnuzES4_bNS0_12_GLOBAL__N_116CompareEqFunctorIS4_EEEENS0_6memory8policies11unroll_baseILi256ESt5arrayIPcLm3EE23TrivialOffsetCalculatorILi2EjESF_ILi1EjENS9_15LoadWithoutCastENS9_16StoreWithoutCastELi16ELi1EEEEEvT0_T1_.num_agpr)
	.set _ZN2at6native29vectorized_elementwise_kernelILi4ENS0_13BinaryFunctorIN3c1015Float8_e5m2fnuzES4_bNS0_12_GLOBAL__N_116CompareEqFunctorIS4_EEEESt5arrayIPcLm3EEEEviT0_T1_.numbered_sgpr, max(54, .L_ZN2at6native25elementwise_kernel_helperILb0ENS0_13BinaryFunctorIN3c1015Float8_e5m2fnuzES4_bNS0_12_GLOBAL__N_116CompareEqFunctorIS4_EEEENS0_6memory8policies11unroll_baseILi256ESt5arrayIPcLm3EE23TrivialOffsetCalculatorILi2EjESF_ILi1EjENS9_15LoadWithoutCastENS9_16StoreWithoutCastELi16ELi1EEEEEvT0_T1_.numbered_sgpr)
	.set _ZN2at6native29vectorized_elementwise_kernelILi4ENS0_13BinaryFunctorIN3c1015Float8_e5m2fnuzES4_bNS0_12_GLOBAL__N_116CompareEqFunctorIS4_EEEESt5arrayIPcLm3EEEEviT0_T1_.num_named_barrier, max(0, .L_ZN2at6native25elementwise_kernel_helperILb0ENS0_13BinaryFunctorIN3c1015Float8_e5m2fnuzES4_bNS0_12_GLOBAL__N_116CompareEqFunctorIS4_EEEENS0_6memory8policies11unroll_baseILi256ESt5arrayIPcLm3EE23TrivialOffsetCalculatorILi2EjESF_ILi1EjENS9_15LoadWithoutCastENS9_16StoreWithoutCastELi16ELi1EEEEEvT0_T1_.num_named_barrier)
	.set _ZN2at6native29vectorized_elementwise_kernelILi4ENS0_13BinaryFunctorIN3c1015Float8_e5m2fnuzES4_bNS0_12_GLOBAL__N_116CompareEqFunctorIS4_EEEESt5arrayIPcLm3EEEEviT0_T1_.private_seg_size, 0+max(.L_ZN2at6native25elementwise_kernel_helperILb0ENS0_13BinaryFunctorIN3c1015Float8_e5m2fnuzES4_bNS0_12_GLOBAL__N_116CompareEqFunctorIS4_EEEENS0_6memory8policies11unroll_baseILi256ESt5arrayIPcLm3EE23TrivialOffsetCalculatorILi2EjESF_ILi1EjENS9_15LoadWithoutCastENS9_16StoreWithoutCastELi16ELi1EEEEEvT0_T1_.private_seg_size)
	.set _ZN2at6native29vectorized_elementwise_kernelILi4ENS0_13BinaryFunctorIN3c1015Float8_e5m2fnuzES4_bNS0_12_GLOBAL__N_116CompareEqFunctorIS4_EEEESt5arrayIPcLm3EEEEviT0_T1_.uses_vcc, or(1, .L_ZN2at6native25elementwise_kernel_helperILb0ENS0_13BinaryFunctorIN3c1015Float8_e5m2fnuzES4_bNS0_12_GLOBAL__N_116CompareEqFunctorIS4_EEEENS0_6memory8policies11unroll_baseILi256ESt5arrayIPcLm3EE23TrivialOffsetCalculatorILi2EjESF_ILi1EjENS9_15LoadWithoutCastENS9_16StoreWithoutCastELi16ELi1EEEEEvT0_T1_.uses_vcc)
	.set _ZN2at6native29vectorized_elementwise_kernelILi4ENS0_13BinaryFunctorIN3c1015Float8_e5m2fnuzES4_bNS0_12_GLOBAL__N_116CompareEqFunctorIS4_EEEESt5arrayIPcLm3EEEEviT0_T1_.uses_flat_scratch, or(0, .L_ZN2at6native25elementwise_kernel_helperILb0ENS0_13BinaryFunctorIN3c1015Float8_e5m2fnuzES4_bNS0_12_GLOBAL__N_116CompareEqFunctorIS4_EEEENS0_6memory8policies11unroll_baseILi256ESt5arrayIPcLm3EE23TrivialOffsetCalculatorILi2EjESF_ILi1EjENS9_15LoadWithoutCastENS9_16StoreWithoutCastELi16ELi1EEEEEvT0_T1_.uses_flat_scratch)
	.set _ZN2at6native29vectorized_elementwise_kernelILi4ENS0_13BinaryFunctorIN3c1015Float8_e5m2fnuzES4_bNS0_12_GLOBAL__N_116CompareEqFunctorIS4_EEEESt5arrayIPcLm3EEEEviT0_T1_.has_dyn_sized_stack, or(0, .L_ZN2at6native25elementwise_kernel_helperILb0ENS0_13BinaryFunctorIN3c1015Float8_e5m2fnuzES4_bNS0_12_GLOBAL__N_116CompareEqFunctorIS4_EEEENS0_6memory8policies11unroll_baseILi256ESt5arrayIPcLm3EE23TrivialOffsetCalculatorILi2EjESF_ILi1EjENS9_15LoadWithoutCastENS9_16StoreWithoutCastELi16ELi1EEEEEvT0_T1_.has_dyn_sized_stack)
	.set _ZN2at6native29vectorized_elementwise_kernelILi4ENS0_13BinaryFunctorIN3c1015Float8_e5m2fnuzES4_bNS0_12_GLOBAL__N_116CompareEqFunctorIS4_EEEESt5arrayIPcLm3EEEEviT0_T1_.has_recursion, or(0, .L_ZN2at6native25elementwise_kernel_helperILb0ENS0_13BinaryFunctorIN3c1015Float8_e5m2fnuzES4_bNS0_12_GLOBAL__N_116CompareEqFunctorIS4_EEEENS0_6memory8policies11unroll_baseILi256ESt5arrayIPcLm3EE23TrivialOffsetCalculatorILi2EjESF_ILi1EjENS9_15LoadWithoutCastENS9_16StoreWithoutCastELi16ELi1EEEEEvT0_T1_.has_recursion)
	.set _ZN2at6native29vectorized_elementwise_kernelILi4ENS0_13BinaryFunctorIN3c1015Float8_e5m2fnuzES4_bNS0_12_GLOBAL__N_116CompareEqFunctorIS4_EEEESt5arrayIPcLm3EEEEviT0_T1_.has_indirect_call, or(0, .L_ZN2at6native25elementwise_kernel_helperILb0ENS0_13BinaryFunctorIN3c1015Float8_e5m2fnuzES4_bNS0_12_GLOBAL__N_116CompareEqFunctorIS4_EEEENS0_6memory8policies11unroll_baseILi256ESt5arrayIPcLm3EE23TrivialOffsetCalculatorILi2EjESF_ILi1EjENS9_15LoadWithoutCastENS9_16StoreWithoutCastELi16ELi1EEEEEvT0_T1_.has_indirect_call)
	.section	.AMDGPU.csdata,"",@progbits
; Kernel info:
; codeLenInByte = 17220
; TotalNumSgprs: 61
; NumVgprs: 55
; ScratchSize: 0
; MemoryBound: 0
; FloatMode: 240
; IeeeMode: 1
; LDSByteSize: 0 bytes/workgroup (compile time only)
; SGPRBlocks: 7
; VGPRBlocks: 13
; NumSGPRsForWavesPerEU: 61
; NumVGPRsForWavesPerEU: 55
; Occupancy: 4
; WaveLimiterHint : 1
; COMPUTE_PGM_RSRC2:SCRATCH_EN: 0
; COMPUTE_PGM_RSRC2:USER_SGPR: 6
; COMPUTE_PGM_RSRC2:TRAP_HANDLER: 0
; COMPUTE_PGM_RSRC2:TGID_X_EN: 1
; COMPUTE_PGM_RSRC2:TGID_Y_EN: 0
; COMPUTE_PGM_RSRC2:TGID_Z_EN: 0
; COMPUTE_PGM_RSRC2:TIDIG_COMP_CNT: 0
	.section	.text._ZN2at6native29vectorized_elementwise_kernelILi2ENS0_13BinaryFunctorIN3c1015Float8_e5m2fnuzES4_bNS0_12_GLOBAL__N_116CompareEqFunctorIS4_EEEESt5arrayIPcLm3EEEEviT0_T1_,"axG",@progbits,_ZN2at6native29vectorized_elementwise_kernelILi2ENS0_13BinaryFunctorIN3c1015Float8_e5m2fnuzES4_bNS0_12_GLOBAL__N_116CompareEqFunctorIS4_EEEESt5arrayIPcLm3EEEEviT0_T1_,comdat
	.globl	_ZN2at6native29vectorized_elementwise_kernelILi2ENS0_13BinaryFunctorIN3c1015Float8_e5m2fnuzES4_bNS0_12_GLOBAL__N_116CompareEqFunctorIS4_EEEESt5arrayIPcLm3EEEEviT0_T1_ ; -- Begin function _ZN2at6native29vectorized_elementwise_kernelILi2ENS0_13BinaryFunctorIN3c1015Float8_e5m2fnuzES4_bNS0_12_GLOBAL__N_116CompareEqFunctorIS4_EEEESt5arrayIPcLm3EEEEviT0_T1_
	.p2align	8
	.type	_ZN2at6native29vectorized_elementwise_kernelILi2ENS0_13BinaryFunctorIN3c1015Float8_e5m2fnuzES4_bNS0_12_GLOBAL__N_116CompareEqFunctorIS4_EEEESt5arrayIPcLm3EEEEviT0_T1_,@function
_ZN2at6native29vectorized_elementwise_kernelILi2ENS0_13BinaryFunctorIN3c1015Float8_e5m2fnuzES4_bNS0_12_GLOBAL__N_116CompareEqFunctorIS4_EEEESt5arrayIPcLm3EEEEviT0_T1_: ; @_ZN2at6native29vectorized_elementwise_kernelILi2ENS0_13BinaryFunctorIN3c1015Float8_e5m2fnuzES4_bNS0_12_GLOBAL__N_116CompareEqFunctorIS4_EEEESt5arrayIPcLm3EEEEviT0_T1_
; %bb.0:
	s_load_dwordx2 s[12:13], s[4:5], 0x0
	s_load_dwordx4 s[8:11], s[4:5], 0x8
	s_load_dwordx2 s[14:15], s[4:5], 0x18
	s_add_u32 s0, s0, s7
	s_addc_u32 s1, s1, 0
	s_lshl_b32 s33, s6, 12
	s_waitcnt lgkmcnt(0)
	s_sub_i32 s7, s12, s33
	s_cmpk_gt_i32 s7, 0xfff
	s_mov_b64 s[4:5], -1
	s_mov_b32 s32, 0
	s_cbranch_scc1 .LBB247_3
; %bb.1:
	s_and_b64 vcc, exec, s[4:5]
	s_cbranch_vccnz .LBB247_324
.LBB247_2:
	s_endpgm
.LBB247_3:
	s_ashr_i32 s12, s33, 31
	s_add_u32 s4, s10, s33
	s_addc_u32 s5, s11, s12
	v_lshlrev_b32_e32 v1, 1, v0
	global_load_ushort v17, v1, s[4:5]
	global_load_ushort v15, v1, s[4:5] offset:512
	global_load_ushort v13, v1, s[4:5] offset:1024
	;; [unrolled: 1-line block ×7, first 2 shown]
	s_add_u32 s4, s14, s33
	s_addc_u32 s5, s15, s12
	global_load_ushort v16, v1, s[4:5]
	global_load_ushort v14, v1, s[4:5] offset:512
	global_load_ushort v12, v1, s[4:5] offset:1024
	;; [unrolled: 1-line block ×7, first 2 shown]
	s_cmp_lg_u32 s13, 0
	s_cselect_b64 s[18:19], -1, 0
	s_and_b64 vcc, exec, s[18:19]
	s_cbranch_vccz .LBB247_13
; %bb.4:
	s_movk_i32 s4, 0x7f
	s_waitcnt vmcnt(15)
	v_cmp_gt_i16_sdwa s[16:17], v17, s4 src0_sel:BYTE_0 src1_sel:DWORD
	s_mov_b64 s[4:5], 0
	s_and_saveexec_b64 s[20:21], s[16:17]
	s_xor_b64 s[16:17], exec, s[20:21]
	s_cbranch_execnz .LBB247_325
; %bb.5:
	s_or_saveexec_b64 s[16:17], s[16:17]
	v_mov_b32_e32 v18, 0x7f800001
	s_xor_b64 exec, exec, s[16:17]
	s_cbranch_execnz .LBB247_328
.LBB247_6:
	s_or_b64 exec, exec, s[16:17]
	s_and_saveexec_b64 s[16:17], s[4:5]
	s_cbranch_execz .LBB247_8
.LBB247_7:
	s_mov_b32 s4, 0xffff
	v_and_b32_sdwa v18, s4, v17 dst_sel:DWORD dst_unused:UNUSED_PAD src0_sel:DWORD src1_sel:BYTE_0
	v_and_b32_e32 v19, 3, v18
	v_ffbh_u32_e32 v21, v19
	v_min_u32_e32 v21, 32, v21
	v_subrev_u32_e32 v22, 29, v21
	v_bfe_u32 v20, v18, 2, 5
	v_lshlrev_b32_e32 v18, v22, v18
	v_sub_u32_e32 v21, 30, v21
	v_and_b32_e32 v18, 3, v18
	v_cmp_eq_u32_e32 vcc, 0, v20
	v_cndmask_b32_e32 v20, v20, v21, vcc
	v_cndmask_b32_e32 v18, v19, v18, vcc
	v_lshlrev_b32_e32 v19, 24, v17
	v_mov_b32_e32 v21, 0x37800000
	v_lshlrev_b32_e32 v18, 21, v18
	v_and_b32_e32 v19, 0x80000000, v19
	v_lshl_add_u32 v20, v20, 23, v21
	v_or3_b32 v18, v19, v20, v18
.LBB247_8:
	s_or_b64 exec, exec, s[16:17]
	s_movk_i32 s4, 0x7f
	s_waitcnt vmcnt(7)
	v_cmp_gt_i16_sdwa s[16:17], v16, s4 src0_sel:BYTE_0 src1_sel:DWORD
	s_mov_b64 s[4:5], 0
	s_and_saveexec_b64 s[20:21], s[16:17]
	s_xor_b64 s[16:17], exec, s[20:21]
	s_cbranch_execnz .LBB247_329
; %bb.9:
	s_or_saveexec_b64 s[16:17], s[16:17]
	v_mov_b32_e32 v19, 0x7f800001
	s_xor_b64 exec, exec, s[16:17]
	s_cbranch_execnz .LBB247_332
.LBB247_10:
	s_or_b64 exec, exec, s[16:17]
	s_and_saveexec_b64 s[16:17], s[4:5]
	s_cbranch_execz .LBB247_12
.LBB247_11:
	s_mov_b32 s4, 0xffff
	v_and_b32_sdwa v19, s4, v16 dst_sel:DWORD dst_unused:UNUSED_PAD src0_sel:DWORD src1_sel:BYTE_0
	v_and_b32_e32 v20, 3, v19
	v_ffbh_u32_e32 v22, v20
	v_min_u32_e32 v22, 32, v22
	v_subrev_u32_e32 v23, 29, v22
	v_bfe_u32 v21, v19, 2, 5
	v_lshlrev_b32_e32 v19, v23, v19
	v_sub_u32_e32 v22, 30, v22
	v_and_b32_e32 v19, 3, v19
	v_cmp_eq_u32_e32 vcc, 0, v21
	v_cndmask_b32_e32 v21, v21, v22, vcc
	v_cndmask_b32_e32 v19, v20, v19, vcc
	v_lshlrev_b32_e32 v20, 24, v16
	v_mov_b32_e32 v22, 0x37800000
	v_lshlrev_b32_e32 v19, 21, v19
	v_and_b32_e32 v20, 0x80000000, v20
	v_lshl_add_u32 v21, v21, 23, v22
	v_or3_b32 v19, v20, v21, v19
.LBB247_12:
	s_or_b64 exec, exec, s[16:17]
	v_cmp_neq_f32_e64 s[16:17], v18, v19
	s_branch .LBB247_23
.LBB247_13:
                                        ; implicit-def: $sgpr16_sgpr17
	s_cbranch_execz .LBB247_23
; %bb.14:
	s_movk_i32 s4, 0x7f
	s_waitcnt vmcnt(15)
	v_cmp_gt_i16_sdwa s[16:17], v17, s4 src0_sel:BYTE_0 src1_sel:DWORD
	s_mov_b64 s[4:5], 0
	s_and_saveexec_b64 s[20:21], s[16:17]
	s_xor_b64 s[16:17], exec, s[20:21]
	s_cbranch_execnz .LBB247_453
; %bb.15:
	s_or_saveexec_b64 s[16:17], s[16:17]
	v_mov_b32_e32 v18, 0x7f800001
	s_xor_b64 exec, exec, s[16:17]
	s_cbranch_execnz .LBB247_456
.LBB247_16:
	s_or_b64 exec, exec, s[16:17]
	s_and_saveexec_b64 s[16:17], s[4:5]
	s_cbranch_execz .LBB247_18
.LBB247_17:
	s_mov_b32 s4, 0xffff
	v_and_b32_sdwa v18, s4, v17 dst_sel:DWORD dst_unused:UNUSED_PAD src0_sel:DWORD src1_sel:BYTE_0
	v_and_b32_e32 v19, 3, v18
	v_ffbh_u32_e32 v21, v19
	v_min_u32_e32 v21, 32, v21
	v_subrev_u32_e32 v22, 29, v21
	v_bfe_u32 v20, v18, 2, 5
	v_lshlrev_b32_e32 v18, v22, v18
	v_sub_u32_e32 v21, 30, v21
	v_and_b32_e32 v18, 3, v18
	v_cmp_eq_u32_e32 vcc, 0, v20
	v_cndmask_b32_e32 v20, v20, v21, vcc
	v_cndmask_b32_e32 v18, v19, v18, vcc
	v_lshlrev_b32_e32 v19, 24, v17
	v_mov_b32_e32 v21, 0x37800000
	v_lshlrev_b32_e32 v18, 21, v18
	v_and_b32_e32 v19, 0x80000000, v19
	v_lshl_add_u32 v20, v20, 23, v21
	v_or3_b32 v18, v19, v20, v18
.LBB247_18:
	s_or_b64 exec, exec, s[16:17]
	s_movk_i32 s4, 0x7f
	s_waitcnt vmcnt(7)
	v_cmp_gt_i16_sdwa s[16:17], v16, s4 src0_sel:BYTE_0 src1_sel:DWORD
	s_mov_b64 s[4:5], 0
	s_and_saveexec_b64 s[20:21], s[16:17]
	s_xor_b64 s[16:17], exec, s[20:21]
	s_cbranch_execnz .LBB247_457
; %bb.19:
	s_or_saveexec_b64 s[16:17], s[16:17]
	v_mov_b32_e32 v19, 0x7f800001
	s_xor_b64 exec, exec, s[16:17]
	s_cbranch_execnz .LBB247_460
.LBB247_20:
	s_or_b64 exec, exec, s[16:17]
	s_and_saveexec_b64 s[16:17], s[4:5]
	s_cbranch_execz .LBB247_22
.LBB247_21:
	s_mov_b32 s4, 0xffff
	v_and_b32_sdwa v19, s4, v16 dst_sel:DWORD dst_unused:UNUSED_PAD src0_sel:DWORD src1_sel:BYTE_0
	v_and_b32_e32 v20, 3, v19
	v_ffbh_u32_e32 v22, v20
	v_min_u32_e32 v22, 32, v22
	v_subrev_u32_e32 v23, 29, v22
	v_bfe_u32 v21, v19, 2, 5
	v_lshlrev_b32_e32 v19, v23, v19
	v_sub_u32_e32 v22, 30, v22
	v_and_b32_e32 v19, 3, v19
	v_cmp_eq_u32_e32 vcc, 0, v21
	v_cndmask_b32_e32 v21, v21, v22, vcc
	v_cndmask_b32_e32 v19, v20, v19, vcc
	v_lshlrev_b32_e32 v20, 24, v16
	v_mov_b32_e32 v22, 0x37800000
	v_lshlrev_b32_e32 v19, 21, v19
	v_and_b32_e32 v20, 0x80000000, v20
	v_lshl_add_u32 v21, v21, 23, v22
	v_or3_b32 v19, v20, v21, v19
.LBB247_22:
	s_or_b64 exec, exec, s[16:17]
	v_cmp_eq_f32_e64 s[16:17], v18, v19
.LBB247_23:
	v_cndmask_b32_e64 v18, 0, 1, s[18:19]
	s_waitcnt vmcnt(15)
	v_lshrrev_b16_e32 v19, 8, v17
	v_cmp_ne_u32_e64 s[4:5], 1, v18
	s_andn2_b64 vcc, exec, s[18:19]
	s_waitcnt vmcnt(7)
	v_lshrrev_b16_e32 v18, 8, v16
	s_cbranch_vccnz .LBB247_173
; %bb.24:
	s_movk_i32 s18, 0x7f
	v_cmp_lt_i16_e32 vcc, s18, v19
	s_mov_b64 s[18:19], 0
	s_and_saveexec_b64 s[20:21], vcc
	s_xor_b64 s[20:21], exec, s[20:21]
	s_cbranch_execnz .LBB247_333
; %bb.25:
	s_or_saveexec_b64 s[20:21], s[20:21]
	v_mov_b32_e32 v20, 0x7f800001
	s_xor_b64 exec, exec, s[20:21]
	s_cbranch_execnz .LBB247_336
.LBB247_26:
	s_or_b64 exec, exec, s[20:21]
	s_and_saveexec_b64 s[20:21], s[18:19]
	s_cbranch_execz .LBB247_28
.LBB247_27:
	v_and_b32_e32 v20, 3, v19
	v_ffbh_u32_e32 v22, v20
	v_min_u32_e32 v22, 32, v22
	v_subrev_u32_e32 v23, 29, v22
	v_bfe_u32 v21, v19, 2, 5
	v_lshlrev_b32_e32 v23, v23, v19
	v_sub_u32_e32 v22, 30, v22
	v_and_b32_e32 v23, 3, v23
	v_cmp_eq_u32_e32 vcc, 0, v21
	v_cndmask_b32_e32 v21, v21, v22, vcc
	v_cndmask_b32_e32 v20, v20, v23, vcc
	v_lshlrev_b32_e32 v22, 16, v17
	v_mov_b32_e32 v23, 0x37800000
	v_lshlrev_b32_e32 v20, 21, v20
	v_and_b32_e32 v22, 0x80000000, v22
	v_lshl_add_u32 v21, v21, 23, v23
	v_or3_b32 v20, v22, v21, v20
.LBB247_28:
	s_or_b64 exec, exec, s[20:21]
	s_movk_i32 s18, 0x7f
	v_cmp_gt_i16_sdwa s[20:21], v16, s18 src0_sel:BYTE_1 src1_sel:DWORD
	s_mov_b64 s[18:19], 0
	s_and_saveexec_b64 s[22:23], s[20:21]
	s_xor_b64 s[20:21], exec, s[22:23]
	s_cbranch_execnz .LBB247_337
; %bb.29:
	s_or_saveexec_b64 s[20:21], s[20:21]
	v_mov_b32_e32 v21, 0x7f800001
	s_xor_b64 exec, exec, s[20:21]
	s_cbranch_execnz .LBB247_340
.LBB247_30:
	s_or_b64 exec, exec, s[20:21]
	s_and_saveexec_b64 s[20:21], s[18:19]
	s_cbranch_execz .LBB247_32
.LBB247_31:
	v_and_b32_e32 v21, 3, v18
	v_ffbh_u32_e32 v23, v21
	v_min_u32_e32 v23, 32, v23
	v_subrev_u32_e32 v24, 29, v23
	v_bfe_u32 v22, v18, 2, 5
	v_lshlrev_b32_e32 v24, v24, v18
	v_sub_u32_e32 v23, 30, v23
	v_and_b32_e32 v24, 3, v24
	v_cmp_eq_u32_e32 vcc, 0, v22
	v_cndmask_b32_e32 v22, v22, v23, vcc
	v_cndmask_b32_e32 v21, v21, v24, vcc
	v_lshlrev_b32_e32 v23, 16, v16
	v_mov_b32_e32 v24, 0x37800000
	v_lshlrev_b32_e32 v21, 21, v21
	v_and_b32_e32 v23, 0x80000000, v23
	v_lshl_add_u32 v22, v22, 23, v24
	v_or3_b32 v21, v23, v22, v21
.LBB247_32:
	s_or_b64 exec, exec, s[20:21]
	v_cmp_neq_f32_e64 s[18:19], v20, v21
.LBB247_33:
	s_and_b64 vcc, exec, s[4:5]
	s_cbranch_vccnz .LBB247_183
.LBB247_34:
	s_movk_i32 s20, 0x7f
	v_cmp_gt_i16_sdwa s[22:23], v15, s20 src0_sel:BYTE_0 src1_sel:DWORD
	s_mov_b64 s[20:21], 0
	s_and_saveexec_b64 s[24:25], s[22:23]
	s_xor_b64 s[22:23], exec, s[24:25]
	s_cbranch_execnz .LBB247_341
; %bb.35:
	s_or_saveexec_b64 s[22:23], s[22:23]
	v_mov_b32_e32 v16, 0x7f800001
	s_xor_b64 exec, exec, s[22:23]
	s_cbranch_execnz .LBB247_344
.LBB247_36:
	s_or_b64 exec, exec, s[22:23]
	s_and_saveexec_b64 s[22:23], s[20:21]
	s_cbranch_execz .LBB247_38
.LBB247_37:
	s_mov_b32 s20, 0xffff
	v_and_b32_sdwa v16, s20, v15 dst_sel:DWORD dst_unused:UNUSED_PAD src0_sel:DWORD src1_sel:BYTE_0
	v_and_b32_e32 v17, 3, v16
	v_ffbh_u32_e32 v19, v17
	v_min_u32_e32 v19, 32, v19
	v_subrev_u32_e32 v20, 29, v19
	v_bfe_u32 v18, v16, 2, 5
	v_lshlrev_b32_e32 v16, v20, v16
	v_sub_u32_e32 v19, 30, v19
	v_and_b32_e32 v16, 3, v16
	v_cmp_eq_u32_e32 vcc, 0, v18
	v_cndmask_b32_e32 v18, v18, v19, vcc
	v_cndmask_b32_e32 v16, v17, v16, vcc
	v_lshlrev_b32_e32 v17, 24, v15
	v_mov_b32_e32 v19, 0x37800000
	v_lshlrev_b32_e32 v16, 21, v16
	v_and_b32_e32 v17, 0x80000000, v17
	v_lshl_add_u32 v18, v18, 23, v19
	v_or3_b32 v16, v17, v18, v16
.LBB247_38:
	s_or_b64 exec, exec, s[22:23]
	s_movk_i32 s20, 0x7f
	s_waitcnt vmcnt(6)
	v_cmp_gt_i16_sdwa s[22:23], v14, s20 src0_sel:BYTE_0 src1_sel:DWORD
	s_mov_b64 s[20:21], 0
	s_and_saveexec_b64 s[24:25], s[22:23]
	s_xor_b64 s[22:23], exec, s[24:25]
	s_cbranch_execnz .LBB247_345
; %bb.39:
	s_or_saveexec_b64 s[22:23], s[22:23]
	v_mov_b32_e32 v17, 0x7f800001
	s_xor_b64 exec, exec, s[22:23]
	s_cbranch_execnz .LBB247_348
.LBB247_40:
	s_or_b64 exec, exec, s[22:23]
	s_and_saveexec_b64 s[22:23], s[20:21]
	s_cbranch_execz .LBB247_42
.LBB247_41:
	s_mov_b32 s20, 0xffff
	v_and_b32_sdwa v17, s20, v14 dst_sel:DWORD dst_unused:UNUSED_PAD src0_sel:DWORD src1_sel:BYTE_0
	v_and_b32_e32 v18, 3, v17
	v_ffbh_u32_e32 v20, v18
	v_min_u32_e32 v20, 32, v20
	v_subrev_u32_e32 v21, 29, v20
	v_bfe_u32 v19, v17, 2, 5
	v_lshlrev_b32_e32 v17, v21, v17
	v_sub_u32_e32 v20, 30, v20
	v_and_b32_e32 v17, 3, v17
	v_cmp_eq_u32_e32 vcc, 0, v19
	v_cndmask_b32_e32 v19, v19, v20, vcc
	v_cndmask_b32_e32 v17, v18, v17, vcc
	v_lshlrev_b32_e32 v18, 24, v14
	v_mov_b32_e32 v20, 0x37800000
	v_lshlrev_b32_e32 v17, 21, v17
	v_and_b32_e32 v18, 0x80000000, v18
	v_lshl_add_u32 v19, v19, 23, v20
	v_or3_b32 v17, v18, v19, v17
.LBB247_42:
	s_or_b64 exec, exec, s[22:23]
	v_cmp_neq_f32_e64 s[20:21], v16, v17
.LBB247_43:
	v_lshrrev_b16_e32 v17, 8, v15
	s_and_b64 vcc, exec, s[4:5]
	s_waitcnt vmcnt(6)
	v_lshrrev_b16_e32 v16, 8, v14
	s_cbranch_vccnz .LBB247_193
.LBB247_44:
	s_movk_i32 s22, 0x7f
	v_cmp_lt_i16_e32 vcc, s22, v17
	s_mov_b64 s[22:23], 0
	s_and_saveexec_b64 s[24:25], vcc
	s_xor_b64 s[24:25], exec, s[24:25]
	s_cbranch_execnz .LBB247_349
; %bb.45:
	s_or_saveexec_b64 s[24:25], s[24:25]
	v_mov_b32_e32 v18, 0x7f800001
	s_xor_b64 exec, exec, s[24:25]
	s_cbranch_execnz .LBB247_352
.LBB247_46:
	s_or_b64 exec, exec, s[24:25]
	s_and_saveexec_b64 s[24:25], s[22:23]
	s_cbranch_execz .LBB247_48
.LBB247_47:
	v_and_b32_e32 v18, 3, v17
	v_ffbh_u32_e32 v20, v18
	v_min_u32_e32 v20, 32, v20
	v_subrev_u32_e32 v21, 29, v20
	v_bfe_u32 v19, v17, 2, 5
	v_lshlrev_b32_e32 v21, v21, v17
	v_sub_u32_e32 v20, 30, v20
	v_and_b32_e32 v21, 3, v21
	v_cmp_eq_u32_e32 vcc, 0, v19
	v_cndmask_b32_e32 v19, v19, v20, vcc
	v_cndmask_b32_e32 v18, v18, v21, vcc
	v_lshlrev_b32_e32 v20, 16, v15
	v_mov_b32_e32 v21, 0x37800000
	v_lshlrev_b32_e32 v18, 21, v18
	v_and_b32_e32 v20, 0x80000000, v20
	v_lshl_add_u32 v19, v19, 23, v21
	v_or3_b32 v18, v20, v19, v18
.LBB247_48:
	s_or_b64 exec, exec, s[24:25]
	s_movk_i32 s22, 0x7f
	v_cmp_gt_i16_sdwa s[24:25], v14, s22 src0_sel:BYTE_1 src1_sel:DWORD
	s_mov_b64 s[22:23], 0
	s_and_saveexec_b64 s[26:27], s[24:25]
	s_xor_b64 s[24:25], exec, s[26:27]
	s_cbranch_execnz .LBB247_353
; %bb.49:
	s_or_saveexec_b64 s[24:25], s[24:25]
	v_mov_b32_e32 v19, 0x7f800001
	s_xor_b64 exec, exec, s[24:25]
	s_cbranch_execnz .LBB247_356
.LBB247_50:
	s_or_b64 exec, exec, s[24:25]
	s_and_saveexec_b64 s[24:25], s[22:23]
	s_cbranch_execz .LBB247_52
.LBB247_51:
	v_and_b32_e32 v19, 3, v16
	v_ffbh_u32_e32 v21, v19
	v_min_u32_e32 v21, 32, v21
	v_subrev_u32_e32 v22, 29, v21
	v_bfe_u32 v20, v16, 2, 5
	v_lshlrev_b32_e32 v22, v22, v16
	v_sub_u32_e32 v21, 30, v21
	v_and_b32_e32 v22, 3, v22
	v_cmp_eq_u32_e32 vcc, 0, v20
	v_cndmask_b32_e32 v20, v20, v21, vcc
	v_cndmask_b32_e32 v19, v19, v22, vcc
	v_lshlrev_b32_e32 v21, 16, v14
	v_mov_b32_e32 v22, 0x37800000
	v_lshlrev_b32_e32 v19, 21, v19
	v_and_b32_e32 v21, 0x80000000, v21
	v_lshl_add_u32 v20, v20, 23, v22
	v_or3_b32 v19, v21, v20, v19
.LBB247_52:
	s_or_b64 exec, exec, s[24:25]
	v_cmp_neq_f32_e64 s[22:23], v18, v19
.LBB247_53:
	s_and_b64 vcc, exec, s[4:5]
	s_cbranch_vccnz .LBB247_203
.LBB247_54:
	s_movk_i32 s24, 0x7f
	v_cmp_gt_i16_sdwa s[26:27], v13, s24 src0_sel:BYTE_0 src1_sel:DWORD
	s_mov_b64 s[24:25], 0
	s_and_saveexec_b64 s[28:29], s[26:27]
	s_xor_b64 s[26:27], exec, s[28:29]
	s_cbranch_execnz .LBB247_357
; %bb.55:
	s_or_saveexec_b64 s[26:27], s[26:27]
	v_mov_b32_e32 v14, 0x7f800001
	s_xor_b64 exec, exec, s[26:27]
	s_cbranch_execnz .LBB247_360
.LBB247_56:
	s_or_b64 exec, exec, s[26:27]
	s_and_saveexec_b64 s[26:27], s[24:25]
	s_cbranch_execz .LBB247_58
.LBB247_57:
	s_mov_b32 s24, 0xffff
	v_and_b32_sdwa v14, s24, v13 dst_sel:DWORD dst_unused:UNUSED_PAD src0_sel:DWORD src1_sel:BYTE_0
	v_and_b32_e32 v15, 3, v14
	v_ffbh_u32_e32 v17, v15
	v_min_u32_e32 v17, 32, v17
	v_subrev_u32_e32 v18, 29, v17
	v_bfe_u32 v16, v14, 2, 5
	v_lshlrev_b32_e32 v14, v18, v14
	v_sub_u32_e32 v17, 30, v17
	v_and_b32_e32 v14, 3, v14
	v_cmp_eq_u32_e32 vcc, 0, v16
	v_cndmask_b32_e32 v16, v16, v17, vcc
	v_cndmask_b32_e32 v14, v15, v14, vcc
	v_lshlrev_b32_e32 v15, 24, v13
	v_mov_b32_e32 v17, 0x37800000
	v_lshlrev_b32_e32 v14, 21, v14
	v_and_b32_e32 v15, 0x80000000, v15
	v_lshl_add_u32 v16, v16, 23, v17
	v_or3_b32 v14, v15, v16, v14
.LBB247_58:
	s_or_b64 exec, exec, s[26:27]
	s_movk_i32 s24, 0x7f
	s_waitcnt vmcnt(5)
	v_cmp_gt_i16_sdwa s[26:27], v12, s24 src0_sel:BYTE_0 src1_sel:DWORD
	s_mov_b64 s[24:25], 0
	s_and_saveexec_b64 s[28:29], s[26:27]
	s_xor_b64 s[26:27], exec, s[28:29]
	s_cbranch_execnz .LBB247_361
; %bb.59:
	s_or_saveexec_b64 s[26:27], s[26:27]
	v_mov_b32_e32 v15, 0x7f800001
	s_xor_b64 exec, exec, s[26:27]
	s_cbranch_execnz .LBB247_364
.LBB247_60:
	s_or_b64 exec, exec, s[26:27]
	s_and_saveexec_b64 s[26:27], s[24:25]
	s_cbranch_execz .LBB247_62
.LBB247_61:
	s_mov_b32 s24, 0xffff
	v_and_b32_sdwa v15, s24, v12 dst_sel:DWORD dst_unused:UNUSED_PAD src0_sel:DWORD src1_sel:BYTE_0
	v_and_b32_e32 v16, 3, v15
	v_ffbh_u32_e32 v18, v16
	v_min_u32_e32 v18, 32, v18
	v_subrev_u32_e32 v19, 29, v18
	v_bfe_u32 v17, v15, 2, 5
	v_lshlrev_b32_e32 v15, v19, v15
	v_sub_u32_e32 v18, 30, v18
	v_and_b32_e32 v15, 3, v15
	v_cmp_eq_u32_e32 vcc, 0, v17
	v_cndmask_b32_e32 v17, v17, v18, vcc
	v_cndmask_b32_e32 v15, v16, v15, vcc
	v_lshlrev_b32_e32 v16, 24, v12
	v_mov_b32_e32 v18, 0x37800000
	v_lshlrev_b32_e32 v15, 21, v15
	v_and_b32_e32 v16, 0x80000000, v16
	v_lshl_add_u32 v17, v17, 23, v18
	v_or3_b32 v15, v16, v17, v15
.LBB247_62:
	s_or_b64 exec, exec, s[26:27]
	v_cmp_neq_f32_e64 s[24:25], v14, v15
.LBB247_63:
	v_lshrrev_b16_e32 v15, 8, v13
	s_and_b64 vcc, exec, s[4:5]
	s_waitcnt vmcnt(5)
	v_lshrrev_b16_e32 v14, 8, v12
	s_cbranch_vccnz .LBB247_213
.LBB247_64:
	s_movk_i32 s26, 0x7f
	v_cmp_lt_i16_e32 vcc, s26, v15
	s_mov_b64 s[26:27], 0
	s_and_saveexec_b64 s[28:29], vcc
	s_xor_b64 s[28:29], exec, s[28:29]
	s_cbranch_execnz .LBB247_365
; %bb.65:
	s_or_saveexec_b64 s[28:29], s[28:29]
	v_mov_b32_e32 v16, 0x7f800001
	s_xor_b64 exec, exec, s[28:29]
	s_cbranch_execnz .LBB247_368
.LBB247_66:
	s_or_b64 exec, exec, s[28:29]
	s_and_saveexec_b64 s[28:29], s[26:27]
	s_cbranch_execz .LBB247_68
.LBB247_67:
	v_and_b32_e32 v16, 3, v15
	v_ffbh_u32_e32 v18, v16
	v_min_u32_e32 v18, 32, v18
	v_subrev_u32_e32 v19, 29, v18
	v_bfe_u32 v17, v15, 2, 5
	v_lshlrev_b32_e32 v19, v19, v15
	v_sub_u32_e32 v18, 30, v18
	v_and_b32_e32 v19, 3, v19
	v_cmp_eq_u32_e32 vcc, 0, v17
	v_cndmask_b32_e32 v17, v17, v18, vcc
	v_cndmask_b32_e32 v16, v16, v19, vcc
	v_lshlrev_b32_e32 v18, 16, v13
	v_mov_b32_e32 v19, 0x37800000
	v_lshlrev_b32_e32 v16, 21, v16
	v_and_b32_e32 v18, 0x80000000, v18
	v_lshl_add_u32 v17, v17, 23, v19
	v_or3_b32 v16, v18, v17, v16
.LBB247_68:
	s_or_b64 exec, exec, s[28:29]
	s_movk_i32 s26, 0x7f
	v_cmp_gt_i16_sdwa s[28:29], v12, s26 src0_sel:BYTE_1 src1_sel:DWORD
	s_mov_b64 s[26:27], 0
	s_and_saveexec_b64 s[30:31], s[28:29]
	s_xor_b64 s[28:29], exec, s[30:31]
	s_cbranch_execnz .LBB247_369
; %bb.69:
	s_or_saveexec_b64 s[28:29], s[28:29]
	v_mov_b32_e32 v17, 0x7f800001
	s_xor_b64 exec, exec, s[28:29]
	s_cbranch_execnz .LBB247_372
.LBB247_70:
	s_or_b64 exec, exec, s[28:29]
	s_and_saveexec_b64 s[28:29], s[26:27]
	s_cbranch_execz .LBB247_72
.LBB247_71:
	v_and_b32_e32 v17, 3, v14
	v_ffbh_u32_e32 v19, v17
	v_min_u32_e32 v19, 32, v19
	v_subrev_u32_e32 v20, 29, v19
	v_bfe_u32 v18, v14, 2, 5
	v_lshlrev_b32_e32 v20, v20, v14
	v_sub_u32_e32 v19, 30, v19
	v_and_b32_e32 v20, 3, v20
	v_cmp_eq_u32_e32 vcc, 0, v18
	v_cndmask_b32_e32 v18, v18, v19, vcc
	v_cndmask_b32_e32 v17, v17, v20, vcc
	v_lshlrev_b32_e32 v19, 16, v12
	v_mov_b32_e32 v20, 0x37800000
	v_lshlrev_b32_e32 v17, 21, v17
	v_and_b32_e32 v19, 0x80000000, v19
	v_lshl_add_u32 v18, v18, 23, v20
	v_or3_b32 v17, v19, v18, v17
.LBB247_72:
	s_or_b64 exec, exec, s[28:29]
	v_cmp_neq_f32_e64 s[26:27], v16, v17
.LBB247_73:
	s_and_b64 vcc, exec, s[4:5]
	s_cbranch_vccnz .LBB247_223
.LBB247_74:
	s_movk_i32 s28, 0x7f
	v_cmp_gt_i16_sdwa s[30:31], v11, s28 src0_sel:BYTE_0 src1_sel:DWORD
	s_mov_b64 s[28:29], 0
	s_and_saveexec_b64 s[34:35], s[30:31]
	s_xor_b64 s[30:31], exec, s[34:35]
	s_cbranch_execnz .LBB247_373
; %bb.75:
	s_or_saveexec_b64 s[30:31], s[30:31]
	v_mov_b32_e32 v12, 0x7f800001
	s_xor_b64 exec, exec, s[30:31]
	s_cbranch_execnz .LBB247_376
.LBB247_76:
	s_or_b64 exec, exec, s[30:31]
	s_and_saveexec_b64 s[30:31], s[28:29]
	s_cbranch_execz .LBB247_78
.LBB247_77:
	s_mov_b32 s28, 0xffff
	v_and_b32_sdwa v12, s28, v11 dst_sel:DWORD dst_unused:UNUSED_PAD src0_sel:DWORD src1_sel:BYTE_0
	v_and_b32_e32 v13, 3, v12
	v_ffbh_u32_e32 v15, v13
	v_min_u32_e32 v15, 32, v15
	v_subrev_u32_e32 v16, 29, v15
	v_bfe_u32 v14, v12, 2, 5
	v_lshlrev_b32_e32 v12, v16, v12
	v_sub_u32_e32 v15, 30, v15
	v_and_b32_e32 v12, 3, v12
	v_cmp_eq_u32_e32 vcc, 0, v14
	v_cndmask_b32_e32 v14, v14, v15, vcc
	v_cndmask_b32_e32 v12, v13, v12, vcc
	v_lshlrev_b32_e32 v13, 24, v11
	v_mov_b32_e32 v15, 0x37800000
	v_lshlrev_b32_e32 v12, 21, v12
	v_and_b32_e32 v13, 0x80000000, v13
	v_lshl_add_u32 v14, v14, 23, v15
	v_or3_b32 v12, v13, v14, v12
.LBB247_78:
	s_or_b64 exec, exec, s[30:31]
	s_movk_i32 s28, 0x7f
	s_waitcnt vmcnt(4)
	v_cmp_gt_i16_sdwa s[30:31], v10, s28 src0_sel:BYTE_0 src1_sel:DWORD
	s_mov_b64 s[28:29], 0
	s_and_saveexec_b64 s[34:35], s[30:31]
	s_xor_b64 s[30:31], exec, s[34:35]
	s_cbranch_execnz .LBB247_377
; %bb.79:
	s_or_saveexec_b64 s[30:31], s[30:31]
	v_mov_b32_e32 v13, 0x7f800001
	s_xor_b64 exec, exec, s[30:31]
	s_cbranch_execnz .LBB247_380
.LBB247_80:
	s_or_b64 exec, exec, s[30:31]
	s_and_saveexec_b64 s[30:31], s[28:29]
	s_cbranch_execz .LBB247_82
.LBB247_81:
	s_mov_b32 s28, 0xffff
	v_and_b32_sdwa v13, s28, v10 dst_sel:DWORD dst_unused:UNUSED_PAD src0_sel:DWORD src1_sel:BYTE_0
	v_and_b32_e32 v14, 3, v13
	v_ffbh_u32_e32 v16, v14
	v_min_u32_e32 v16, 32, v16
	v_subrev_u32_e32 v17, 29, v16
	v_bfe_u32 v15, v13, 2, 5
	v_lshlrev_b32_e32 v13, v17, v13
	v_sub_u32_e32 v16, 30, v16
	v_and_b32_e32 v13, 3, v13
	v_cmp_eq_u32_e32 vcc, 0, v15
	v_cndmask_b32_e32 v15, v15, v16, vcc
	v_cndmask_b32_e32 v13, v14, v13, vcc
	v_lshlrev_b32_e32 v14, 24, v10
	v_mov_b32_e32 v16, 0x37800000
	v_lshlrev_b32_e32 v13, 21, v13
	v_and_b32_e32 v14, 0x80000000, v14
	v_lshl_add_u32 v15, v15, 23, v16
	v_or3_b32 v13, v14, v15, v13
.LBB247_82:
	s_or_b64 exec, exec, s[30:31]
	v_cmp_neq_f32_e64 s[28:29], v12, v13
.LBB247_83:
	v_lshrrev_b16_e32 v13, 8, v11
	s_and_b64 vcc, exec, s[4:5]
	s_waitcnt vmcnt(4)
	v_lshrrev_b16_e32 v12, 8, v10
	s_cbranch_vccnz .LBB247_233
.LBB247_84:
	s_movk_i32 s30, 0x7f
	v_cmp_lt_i16_e32 vcc, s30, v13
	s_mov_b64 s[30:31], 0
	s_and_saveexec_b64 s[34:35], vcc
	s_xor_b64 s[34:35], exec, s[34:35]
	s_cbranch_execnz .LBB247_381
; %bb.85:
	s_or_saveexec_b64 s[34:35], s[34:35]
	v_mov_b32_e32 v14, 0x7f800001
	s_xor_b64 exec, exec, s[34:35]
	s_cbranch_execnz .LBB247_384
.LBB247_86:
	s_or_b64 exec, exec, s[34:35]
	s_and_saveexec_b64 s[34:35], s[30:31]
	s_cbranch_execz .LBB247_88
.LBB247_87:
	v_and_b32_e32 v14, 3, v13
	v_ffbh_u32_e32 v16, v14
	v_min_u32_e32 v16, 32, v16
	v_subrev_u32_e32 v17, 29, v16
	v_bfe_u32 v15, v13, 2, 5
	v_lshlrev_b32_e32 v17, v17, v13
	v_sub_u32_e32 v16, 30, v16
	v_and_b32_e32 v17, 3, v17
	v_cmp_eq_u32_e32 vcc, 0, v15
	v_cndmask_b32_e32 v15, v15, v16, vcc
	v_cndmask_b32_e32 v14, v14, v17, vcc
	v_lshlrev_b32_e32 v16, 16, v11
	v_mov_b32_e32 v17, 0x37800000
	v_lshlrev_b32_e32 v14, 21, v14
	v_and_b32_e32 v16, 0x80000000, v16
	v_lshl_add_u32 v15, v15, 23, v17
	v_or3_b32 v14, v16, v15, v14
.LBB247_88:
	s_or_b64 exec, exec, s[34:35]
	s_movk_i32 s30, 0x7f
	v_cmp_gt_i16_sdwa s[34:35], v10, s30 src0_sel:BYTE_1 src1_sel:DWORD
	s_mov_b64 s[30:31], 0
	s_and_saveexec_b64 s[36:37], s[34:35]
	s_xor_b64 s[34:35], exec, s[36:37]
	s_cbranch_execnz .LBB247_385
; %bb.89:
	s_or_saveexec_b64 s[34:35], s[34:35]
	v_mov_b32_e32 v15, 0x7f800001
	s_xor_b64 exec, exec, s[34:35]
	s_cbranch_execnz .LBB247_388
.LBB247_90:
	s_or_b64 exec, exec, s[34:35]
	s_and_saveexec_b64 s[34:35], s[30:31]
	s_cbranch_execz .LBB247_92
.LBB247_91:
	v_and_b32_e32 v15, 3, v12
	v_ffbh_u32_e32 v17, v15
	v_min_u32_e32 v17, 32, v17
	v_subrev_u32_e32 v18, 29, v17
	v_bfe_u32 v16, v12, 2, 5
	v_lshlrev_b32_e32 v18, v18, v12
	v_sub_u32_e32 v17, 30, v17
	v_and_b32_e32 v18, 3, v18
	v_cmp_eq_u32_e32 vcc, 0, v16
	v_cndmask_b32_e32 v16, v16, v17, vcc
	v_cndmask_b32_e32 v15, v15, v18, vcc
	v_lshlrev_b32_e32 v17, 16, v10
	v_mov_b32_e32 v18, 0x37800000
	v_lshlrev_b32_e32 v15, 21, v15
	v_and_b32_e32 v17, 0x80000000, v17
	v_lshl_add_u32 v16, v16, 23, v18
	v_or3_b32 v15, v17, v16, v15
.LBB247_92:
	s_or_b64 exec, exec, s[34:35]
	v_cmp_neq_f32_e64 s[30:31], v14, v15
.LBB247_93:
	s_and_b64 vcc, exec, s[4:5]
	s_cbranch_vccnz .LBB247_243
.LBB247_94:
	s_movk_i32 s34, 0x7f
	v_cmp_gt_i16_sdwa s[36:37], v9, s34 src0_sel:BYTE_0 src1_sel:DWORD
	s_mov_b64 s[34:35], 0
	s_and_saveexec_b64 s[38:39], s[36:37]
	s_xor_b64 s[36:37], exec, s[38:39]
	s_cbranch_execnz .LBB247_389
; %bb.95:
	s_or_saveexec_b64 s[36:37], s[36:37]
	v_mov_b32_e32 v10, 0x7f800001
	s_xor_b64 exec, exec, s[36:37]
	s_cbranch_execnz .LBB247_392
.LBB247_96:
	s_or_b64 exec, exec, s[36:37]
	s_and_saveexec_b64 s[36:37], s[34:35]
	s_cbranch_execz .LBB247_98
.LBB247_97:
	s_mov_b32 s34, 0xffff
	v_and_b32_sdwa v10, s34, v9 dst_sel:DWORD dst_unused:UNUSED_PAD src0_sel:DWORD src1_sel:BYTE_0
	v_and_b32_e32 v11, 3, v10
	v_ffbh_u32_e32 v13, v11
	v_min_u32_e32 v13, 32, v13
	v_subrev_u32_e32 v14, 29, v13
	v_bfe_u32 v12, v10, 2, 5
	v_lshlrev_b32_e32 v10, v14, v10
	v_sub_u32_e32 v13, 30, v13
	v_and_b32_e32 v10, 3, v10
	v_cmp_eq_u32_e32 vcc, 0, v12
	v_cndmask_b32_e32 v12, v12, v13, vcc
	v_cndmask_b32_e32 v10, v11, v10, vcc
	v_lshlrev_b32_e32 v11, 24, v9
	v_mov_b32_e32 v13, 0x37800000
	v_lshlrev_b32_e32 v10, 21, v10
	v_and_b32_e32 v11, 0x80000000, v11
	v_lshl_add_u32 v12, v12, 23, v13
	v_or3_b32 v10, v11, v12, v10
.LBB247_98:
	s_or_b64 exec, exec, s[36:37]
	s_movk_i32 s34, 0x7f
	s_waitcnt vmcnt(3)
	v_cmp_gt_i16_sdwa s[36:37], v8, s34 src0_sel:BYTE_0 src1_sel:DWORD
	s_mov_b64 s[34:35], 0
	s_and_saveexec_b64 s[38:39], s[36:37]
	s_xor_b64 s[36:37], exec, s[38:39]
	s_cbranch_execnz .LBB247_393
; %bb.99:
	s_or_saveexec_b64 s[36:37], s[36:37]
	v_mov_b32_e32 v11, 0x7f800001
	s_xor_b64 exec, exec, s[36:37]
	s_cbranch_execnz .LBB247_396
.LBB247_100:
	s_or_b64 exec, exec, s[36:37]
	s_and_saveexec_b64 s[36:37], s[34:35]
	s_cbranch_execz .LBB247_102
.LBB247_101:
	s_mov_b32 s34, 0xffff
	v_and_b32_sdwa v11, s34, v8 dst_sel:DWORD dst_unused:UNUSED_PAD src0_sel:DWORD src1_sel:BYTE_0
	v_and_b32_e32 v12, 3, v11
	v_ffbh_u32_e32 v14, v12
	v_min_u32_e32 v14, 32, v14
	v_subrev_u32_e32 v15, 29, v14
	v_bfe_u32 v13, v11, 2, 5
	v_lshlrev_b32_e32 v11, v15, v11
	v_sub_u32_e32 v14, 30, v14
	v_and_b32_e32 v11, 3, v11
	v_cmp_eq_u32_e32 vcc, 0, v13
	v_cndmask_b32_e32 v13, v13, v14, vcc
	v_cndmask_b32_e32 v11, v12, v11, vcc
	v_lshlrev_b32_e32 v12, 24, v8
	v_mov_b32_e32 v14, 0x37800000
	v_lshlrev_b32_e32 v11, 21, v11
	v_and_b32_e32 v12, 0x80000000, v12
	v_lshl_add_u32 v13, v13, 23, v14
	v_or3_b32 v11, v12, v13, v11
.LBB247_102:
	s_or_b64 exec, exec, s[36:37]
	v_cmp_neq_f32_e64 s[34:35], v10, v11
.LBB247_103:
	v_lshrrev_b16_e32 v11, 8, v9
	s_and_b64 vcc, exec, s[4:5]
	s_waitcnt vmcnt(3)
	v_lshrrev_b16_e32 v10, 8, v8
	s_cbranch_vccnz .LBB247_253
.LBB247_104:
	s_movk_i32 s36, 0x7f
	v_cmp_lt_i16_e32 vcc, s36, v11
	s_mov_b64 s[36:37], 0
	s_and_saveexec_b64 s[38:39], vcc
	s_xor_b64 s[38:39], exec, s[38:39]
	s_cbranch_execnz .LBB247_397
; %bb.105:
	s_or_saveexec_b64 s[38:39], s[38:39]
	v_mov_b32_e32 v12, 0x7f800001
	s_xor_b64 exec, exec, s[38:39]
	s_cbranch_execnz .LBB247_400
.LBB247_106:
	s_or_b64 exec, exec, s[38:39]
	s_and_saveexec_b64 s[38:39], s[36:37]
	s_cbranch_execz .LBB247_108
.LBB247_107:
	v_and_b32_e32 v12, 3, v11
	v_ffbh_u32_e32 v14, v12
	v_min_u32_e32 v14, 32, v14
	v_subrev_u32_e32 v15, 29, v14
	v_bfe_u32 v13, v11, 2, 5
	v_lshlrev_b32_e32 v15, v15, v11
	v_sub_u32_e32 v14, 30, v14
	v_and_b32_e32 v15, 3, v15
	v_cmp_eq_u32_e32 vcc, 0, v13
	v_cndmask_b32_e32 v13, v13, v14, vcc
	v_cndmask_b32_e32 v12, v12, v15, vcc
	v_lshlrev_b32_e32 v14, 16, v9
	v_mov_b32_e32 v15, 0x37800000
	v_lshlrev_b32_e32 v12, 21, v12
	v_and_b32_e32 v14, 0x80000000, v14
	v_lshl_add_u32 v13, v13, 23, v15
	v_or3_b32 v12, v14, v13, v12
.LBB247_108:
	s_or_b64 exec, exec, s[38:39]
	s_movk_i32 s36, 0x7f
	v_cmp_gt_i16_sdwa s[38:39], v8, s36 src0_sel:BYTE_1 src1_sel:DWORD
	s_mov_b64 s[36:37], 0
	s_and_saveexec_b64 s[40:41], s[38:39]
	s_xor_b64 s[38:39], exec, s[40:41]
	s_cbranch_execnz .LBB247_401
; %bb.109:
	s_or_saveexec_b64 s[38:39], s[38:39]
	v_mov_b32_e32 v13, 0x7f800001
	s_xor_b64 exec, exec, s[38:39]
	s_cbranch_execnz .LBB247_404
.LBB247_110:
	s_or_b64 exec, exec, s[38:39]
	s_and_saveexec_b64 s[38:39], s[36:37]
	s_cbranch_execz .LBB247_112
.LBB247_111:
	v_and_b32_e32 v13, 3, v10
	v_ffbh_u32_e32 v15, v13
	v_min_u32_e32 v15, 32, v15
	v_subrev_u32_e32 v16, 29, v15
	v_bfe_u32 v14, v10, 2, 5
	v_lshlrev_b32_e32 v16, v16, v10
	v_sub_u32_e32 v15, 30, v15
	v_and_b32_e32 v16, 3, v16
	v_cmp_eq_u32_e32 vcc, 0, v14
	v_cndmask_b32_e32 v14, v14, v15, vcc
	v_cndmask_b32_e32 v13, v13, v16, vcc
	v_lshlrev_b32_e32 v15, 16, v8
	v_mov_b32_e32 v16, 0x37800000
	v_lshlrev_b32_e32 v13, 21, v13
	v_and_b32_e32 v15, 0x80000000, v15
	v_lshl_add_u32 v14, v14, 23, v16
	v_or3_b32 v13, v15, v14, v13
.LBB247_112:
	s_or_b64 exec, exec, s[38:39]
	v_cmp_neq_f32_e64 s[36:37], v12, v13
.LBB247_113:
	s_and_b64 vcc, exec, s[4:5]
	s_cbranch_vccnz .LBB247_263
.LBB247_114:
	s_movk_i32 s38, 0x7f
	v_cmp_gt_i16_sdwa s[40:41], v7, s38 src0_sel:BYTE_0 src1_sel:DWORD
	s_mov_b64 s[38:39], 0
	s_and_saveexec_b64 s[42:43], s[40:41]
	s_xor_b64 s[40:41], exec, s[42:43]
	s_cbranch_execnz .LBB247_405
; %bb.115:
	s_or_saveexec_b64 s[40:41], s[40:41]
	v_mov_b32_e32 v8, 0x7f800001
	s_xor_b64 exec, exec, s[40:41]
	s_cbranch_execnz .LBB247_408
.LBB247_116:
	s_or_b64 exec, exec, s[40:41]
	s_and_saveexec_b64 s[40:41], s[38:39]
	s_cbranch_execz .LBB247_118
.LBB247_117:
	s_mov_b32 s38, 0xffff
	v_and_b32_sdwa v8, s38, v7 dst_sel:DWORD dst_unused:UNUSED_PAD src0_sel:DWORD src1_sel:BYTE_0
	v_and_b32_e32 v9, 3, v8
	v_ffbh_u32_e32 v11, v9
	v_min_u32_e32 v11, 32, v11
	v_subrev_u32_e32 v12, 29, v11
	v_bfe_u32 v10, v8, 2, 5
	v_lshlrev_b32_e32 v8, v12, v8
	v_sub_u32_e32 v11, 30, v11
	v_and_b32_e32 v8, 3, v8
	v_cmp_eq_u32_e32 vcc, 0, v10
	v_cndmask_b32_e32 v10, v10, v11, vcc
	v_cndmask_b32_e32 v8, v9, v8, vcc
	v_lshlrev_b32_e32 v9, 24, v7
	v_mov_b32_e32 v11, 0x37800000
	v_lshlrev_b32_e32 v8, 21, v8
	v_and_b32_e32 v9, 0x80000000, v9
	v_lshl_add_u32 v10, v10, 23, v11
	v_or3_b32 v8, v9, v10, v8
.LBB247_118:
	s_or_b64 exec, exec, s[40:41]
	s_movk_i32 s38, 0x7f
	s_waitcnt vmcnt(2)
	v_cmp_gt_i16_sdwa s[40:41], v6, s38 src0_sel:BYTE_0 src1_sel:DWORD
	s_mov_b64 s[38:39], 0
	s_and_saveexec_b64 s[42:43], s[40:41]
	s_xor_b64 s[40:41], exec, s[42:43]
	s_cbranch_execnz .LBB247_409
; %bb.119:
	s_or_saveexec_b64 s[40:41], s[40:41]
	v_mov_b32_e32 v9, 0x7f800001
	s_xor_b64 exec, exec, s[40:41]
	s_cbranch_execnz .LBB247_412
.LBB247_120:
	s_or_b64 exec, exec, s[40:41]
	s_and_saveexec_b64 s[40:41], s[38:39]
	s_cbranch_execz .LBB247_122
.LBB247_121:
	s_mov_b32 s38, 0xffff
	v_and_b32_sdwa v9, s38, v6 dst_sel:DWORD dst_unused:UNUSED_PAD src0_sel:DWORD src1_sel:BYTE_0
	v_and_b32_e32 v10, 3, v9
	v_ffbh_u32_e32 v12, v10
	v_min_u32_e32 v12, 32, v12
	v_subrev_u32_e32 v13, 29, v12
	v_bfe_u32 v11, v9, 2, 5
	v_lshlrev_b32_e32 v9, v13, v9
	v_sub_u32_e32 v12, 30, v12
	v_and_b32_e32 v9, 3, v9
	v_cmp_eq_u32_e32 vcc, 0, v11
	v_cndmask_b32_e32 v11, v11, v12, vcc
	v_cndmask_b32_e32 v9, v10, v9, vcc
	v_lshlrev_b32_e32 v10, 24, v6
	v_mov_b32_e32 v12, 0x37800000
	v_lshlrev_b32_e32 v9, 21, v9
	v_and_b32_e32 v10, 0x80000000, v10
	v_lshl_add_u32 v11, v11, 23, v12
	v_or3_b32 v9, v10, v11, v9
.LBB247_122:
	s_or_b64 exec, exec, s[40:41]
	v_cmp_neq_f32_e64 s[38:39], v8, v9
.LBB247_123:
	v_lshrrev_b16_e32 v9, 8, v7
	s_and_b64 vcc, exec, s[4:5]
	s_waitcnt vmcnt(2)
	v_lshrrev_b16_e32 v8, 8, v6
	s_cbranch_vccnz .LBB247_273
.LBB247_124:
	s_movk_i32 s40, 0x7f
	v_cmp_lt_i16_e32 vcc, s40, v9
	s_mov_b64 s[40:41], 0
	s_and_saveexec_b64 s[42:43], vcc
	s_xor_b64 s[42:43], exec, s[42:43]
	s_cbranch_execnz .LBB247_413
; %bb.125:
	s_or_saveexec_b64 s[42:43], s[42:43]
	v_mov_b32_e32 v10, 0x7f800001
	s_xor_b64 exec, exec, s[42:43]
	s_cbranch_execnz .LBB247_416
.LBB247_126:
	s_or_b64 exec, exec, s[42:43]
	s_and_saveexec_b64 s[42:43], s[40:41]
	s_cbranch_execz .LBB247_128
.LBB247_127:
	v_and_b32_e32 v10, 3, v9
	v_ffbh_u32_e32 v12, v10
	v_min_u32_e32 v12, 32, v12
	v_subrev_u32_e32 v13, 29, v12
	v_bfe_u32 v11, v9, 2, 5
	v_lshlrev_b32_e32 v13, v13, v9
	v_sub_u32_e32 v12, 30, v12
	v_and_b32_e32 v13, 3, v13
	v_cmp_eq_u32_e32 vcc, 0, v11
	v_cndmask_b32_e32 v11, v11, v12, vcc
	v_cndmask_b32_e32 v10, v10, v13, vcc
	v_lshlrev_b32_e32 v12, 16, v7
	v_mov_b32_e32 v13, 0x37800000
	v_lshlrev_b32_e32 v10, 21, v10
	v_and_b32_e32 v12, 0x80000000, v12
	v_lshl_add_u32 v11, v11, 23, v13
	v_or3_b32 v10, v12, v11, v10
.LBB247_128:
	s_or_b64 exec, exec, s[42:43]
	s_movk_i32 s40, 0x7f
	v_cmp_gt_i16_sdwa s[42:43], v6, s40 src0_sel:BYTE_1 src1_sel:DWORD
	s_mov_b64 s[40:41], 0
	s_and_saveexec_b64 s[44:45], s[42:43]
	s_xor_b64 s[42:43], exec, s[44:45]
	s_cbranch_execnz .LBB247_417
; %bb.129:
	s_or_saveexec_b64 s[42:43], s[42:43]
	v_mov_b32_e32 v11, 0x7f800001
	s_xor_b64 exec, exec, s[42:43]
	s_cbranch_execnz .LBB247_420
.LBB247_130:
	s_or_b64 exec, exec, s[42:43]
	s_and_saveexec_b64 s[42:43], s[40:41]
	s_cbranch_execz .LBB247_132
.LBB247_131:
	v_and_b32_e32 v11, 3, v8
	v_ffbh_u32_e32 v13, v11
	v_min_u32_e32 v13, 32, v13
	v_subrev_u32_e32 v14, 29, v13
	v_bfe_u32 v12, v8, 2, 5
	v_lshlrev_b32_e32 v14, v14, v8
	v_sub_u32_e32 v13, 30, v13
	v_and_b32_e32 v14, 3, v14
	v_cmp_eq_u32_e32 vcc, 0, v12
	v_cndmask_b32_e32 v12, v12, v13, vcc
	v_cndmask_b32_e32 v11, v11, v14, vcc
	v_lshlrev_b32_e32 v13, 16, v6
	v_mov_b32_e32 v14, 0x37800000
	v_lshlrev_b32_e32 v11, 21, v11
	v_and_b32_e32 v13, 0x80000000, v13
	v_lshl_add_u32 v12, v12, 23, v14
	v_or3_b32 v11, v13, v12, v11
.LBB247_132:
	s_or_b64 exec, exec, s[42:43]
	v_cmp_neq_f32_e64 s[40:41], v10, v11
.LBB247_133:
	s_and_b64 vcc, exec, s[4:5]
	s_cbranch_vccnz .LBB247_283
.LBB247_134:
	s_movk_i32 s42, 0x7f
	v_cmp_gt_i16_sdwa s[44:45], v5, s42 src0_sel:BYTE_0 src1_sel:DWORD
	s_mov_b64 s[42:43], 0
	s_and_saveexec_b64 s[46:47], s[44:45]
	s_xor_b64 s[44:45], exec, s[46:47]
	s_cbranch_execnz .LBB247_421
; %bb.135:
	s_or_saveexec_b64 s[44:45], s[44:45]
	v_mov_b32_e32 v6, 0x7f800001
	s_xor_b64 exec, exec, s[44:45]
	s_cbranch_execnz .LBB247_424
.LBB247_136:
	s_or_b64 exec, exec, s[44:45]
	s_and_saveexec_b64 s[44:45], s[42:43]
	s_cbranch_execz .LBB247_138
.LBB247_137:
	s_mov_b32 s42, 0xffff
	v_and_b32_sdwa v6, s42, v5 dst_sel:DWORD dst_unused:UNUSED_PAD src0_sel:DWORD src1_sel:BYTE_0
	v_and_b32_e32 v7, 3, v6
	v_ffbh_u32_e32 v9, v7
	v_min_u32_e32 v9, 32, v9
	v_subrev_u32_e32 v10, 29, v9
	v_bfe_u32 v8, v6, 2, 5
	v_lshlrev_b32_e32 v6, v10, v6
	v_sub_u32_e32 v9, 30, v9
	v_and_b32_e32 v6, 3, v6
	v_cmp_eq_u32_e32 vcc, 0, v8
	v_cndmask_b32_e32 v8, v8, v9, vcc
	v_cndmask_b32_e32 v6, v7, v6, vcc
	v_lshlrev_b32_e32 v7, 24, v5
	v_mov_b32_e32 v9, 0x37800000
	v_lshlrev_b32_e32 v6, 21, v6
	v_and_b32_e32 v7, 0x80000000, v7
	v_lshl_add_u32 v8, v8, 23, v9
	v_or3_b32 v6, v7, v8, v6
.LBB247_138:
	s_or_b64 exec, exec, s[44:45]
	s_movk_i32 s42, 0x7f
	s_waitcnt vmcnt(1)
	v_cmp_gt_i16_sdwa s[44:45], v4, s42 src0_sel:BYTE_0 src1_sel:DWORD
	s_mov_b64 s[42:43], 0
	s_and_saveexec_b64 s[46:47], s[44:45]
	s_xor_b64 s[44:45], exec, s[46:47]
	s_cbranch_execnz .LBB247_425
; %bb.139:
	s_or_saveexec_b64 s[44:45], s[44:45]
	v_mov_b32_e32 v7, 0x7f800001
	s_xor_b64 exec, exec, s[44:45]
	s_cbranch_execnz .LBB247_428
.LBB247_140:
	s_or_b64 exec, exec, s[44:45]
	s_and_saveexec_b64 s[44:45], s[42:43]
	s_cbranch_execz .LBB247_142
.LBB247_141:
	s_mov_b32 s42, 0xffff
	v_and_b32_sdwa v7, s42, v4 dst_sel:DWORD dst_unused:UNUSED_PAD src0_sel:DWORD src1_sel:BYTE_0
	v_and_b32_e32 v8, 3, v7
	v_ffbh_u32_e32 v10, v8
	v_min_u32_e32 v10, 32, v10
	v_subrev_u32_e32 v11, 29, v10
	v_bfe_u32 v9, v7, 2, 5
	v_lshlrev_b32_e32 v7, v11, v7
	v_sub_u32_e32 v10, 30, v10
	v_and_b32_e32 v7, 3, v7
	v_cmp_eq_u32_e32 vcc, 0, v9
	v_cndmask_b32_e32 v9, v9, v10, vcc
	v_cndmask_b32_e32 v7, v8, v7, vcc
	v_lshlrev_b32_e32 v8, 24, v4
	v_mov_b32_e32 v10, 0x37800000
	v_lshlrev_b32_e32 v7, 21, v7
	v_and_b32_e32 v8, 0x80000000, v8
	v_lshl_add_u32 v9, v9, 23, v10
	v_or3_b32 v7, v8, v9, v7
.LBB247_142:
	s_or_b64 exec, exec, s[44:45]
	v_cmp_neq_f32_e64 s[42:43], v6, v7
.LBB247_143:
	v_lshrrev_b16_e32 v7, 8, v5
	s_and_b64 vcc, exec, s[4:5]
	s_waitcnt vmcnt(1)
	v_lshrrev_b16_e32 v6, 8, v4
	s_cbranch_vccnz .LBB247_293
.LBB247_144:
	s_movk_i32 s44, 0x7f
	v_cmp_lt_i16_e32 vcc, s44, v7
	s_mov_b64 s[44:45], 0
	s_and_saveexec_b64 s[46:47], vcc
	s_xor_b64 s[46:47], exec, s[46:47]
	s_cbranch_execnz .LBB247_429
; %bb.145:
	s_or_saveexec_b64 s[46:47], s[46:47]
	v_mov_b32_e32 v8, 0x7f800001
	s_xor_b64 exec, exec, s[46:47]
	s_cbranch_execnz .LBB247_432
.LBB247_146:
	s_or_b64 exec, exec, s[46:47]
	s_and_saveexec_b64 s[46:47], s[44:45]
	s_cbranch_execz .LBB247_148
.LBB247_147:
	v_and_b32_e32 v8, 3, v7
	v_ffbh_u32_e32 v10, v8
	v_min_u32_e32 v10, 32, v10
	v_subrev_u32_e32 v11, 29, v10
	v_bfe_u32 v9, v7, 2, 5
	v_lshlrev_b32_e32 v11, v11, v7
	v_sub_u32_e32 v10, 30, v10
	v_and_b32_e32 v11, 3, v11
	v_cmp_eq_u32_e32 vcc, 0, v9
	v_cndmask_b32_e32 v9, v9, v10, vcc
	v_cndmask_b32_e32 v8, v8, v11, vcc
	v_lshlrev_b32_e32 v10, 16, v5
	v_mov_b32_e32 v11, 0x37800000
	v_lshlrev_b32_e32 v8, 21, v8
	v_and_b32_e32 v10, 0x80000000, v10
	v_lshl_add_u32 v9, v9, 23, v11
	v_or3_b32 v8, v10, v9, v8
.LBB247_148:
	s_or_b64 exec, exec, s[46:47]
	s_movk_i32 s44, 0x7f
	v_cmp_gt_i16_sdwa s[46:47], v4, s44 src0_sel:BYTE_1 src1_sel:DWORD
	s_mov_b64 s[44:45], 0
	s_and_saveexec_b64 s[48:49], s[46:47]
	s_xor_b64 s[46:47], exec, s[48:49]
	s_cbranch_execnz .LBB247_433
; %bb.149:
	s_or_saveexec_b64 s[46:47], s[46:47]
	v_mov_b32_e32 v9, 0x7f800001
	s_xor_b64 exec, exec, s[46:47]
	s_cbranch_execnz .LBB247_436
.LBB247_150:
	s_or_b64 exec, exec, s[46:47]
	s_and_saveexec_b64 s[46:47], s[44:45]
	s_cbranch_execz .LBB247_152
.LBB247_151:
	v_and_b32_e32 v9, 3, v6
	v_ffbh_u32_e32 v11, v9
	v_min_u32_e32 v11, 32, v11
	v_subrev_u32_e32 v12, 29, v11
	v_bfe_u32 v10, v6, 2, 5
	v_lshlrev_b32_e32 v12, v12, v6
	v_sub_u32_e32 v11, 30, v11
	v_and_b32_e32 v12, 3, v12
	v_cmp_eq_u32_e32 vcc, 0, v10
	v_cndmask_b32_e32 v10, v10, v11, vcc
	v_cndmask_b32_e32 v9, v9, v12, vcc
	v_lshlrev_b32_e32 v11, 16, v4
	v_mov_b32_e32 v12, 0x37800000
	v_lshlrev_b32_e32 v9, 21, v9
	v_and_b32_e32 v11, 0x80000000, v11
	v_lshl_add_u32 v10, v10, 23, v12
	v_or3_b32 v9, v11, v10, v9
.LBB247_152:
	s_or_b64 exec, exec, s[46:47]
	v_cmp_neq_f32_e64 s[44:45], v8, v9
.LBB247_153:
	s_and_b64 vcc, exec, s[4:5]
	s_cbranch_vccnz .LBB247_303
.LBB247_154:
	s_movk_i32 s46, 0x7f
	v_cmp_gt_i16_sdwa s[48:49], v3, s46 src0_sel:BYTE_0 src1_sel:DWORD
	s_mov_b64 s[46:47], 0
	s_and_saveexec_b64 s[50:51], s[48:49]
	s_xor_b64 s[48:49], exec, s[50:51]
	s_cbranch_execnz .LBB247_437
; %bb.155:
	s_or_saveexec_b64 s[48:49], s[48:49]
	v_mov_b32_e32 v4, 0x7f800001
	s_xor_b64 exec, exec, s[48:49]
	s_cbranch_execnz .LBB247_440
.LBB247_156:
	s_or_b64 exec, exec, s[48:49]
	s_and_saveexec_b64 s[48:49], s[46:47]
	s_cbranch_execz .LBB247_158
.LBB247_157:
	s_mov_b32 s46, 0xffff
	v_and_b32_sdwa v4, s46, v3 dst_sel:DWORD dst_unused:UNUSED_PAD src0_sel:DWORD src1_sel:BYTE_0
	v_and_b32_e32 v5, 3, v4
	v_ffbh_u32_e32 v7, v5
	v_min_u32_e32 v7, 32, v7
	v_subrev_u32_e32 v8, 29, v7
	v_bfe_u32 v6, v4, 2, 5
	v_lshlrev_b32_e32 v4, v8, v4
	v_sub_u32_e32 v7, 30, v7
	v_and_b32_e32 v4, 3, v4
	v_cmp_eq_u32_e32 vcc, 0, v6
	v_cndmask_b32_e32 v6, v6, v7, vcc
	v_cndmask_b32_e32 v4, v5, v4, vcc
	v_lshlrev_b32_e32 v5, 24, v3
	v_mov_b32_e32 v7, 0x37800000
	v_lshlrev_b32_e32 v4, 21, v4
	v_and_b32_e32 v5, 0x80000000, v5
	v_lshl_add_u32 v6, v6, 23, v7
	v_or3_b32 v4, v5, v6, v4
.LBB247_158:
	s_or_b64 exec, exec, s[48:49]
	s_movk_i32 s46, 0x7f
	s_waitcnt vmcnt(0)
	v_cmp_gt_i16_sdwa s[48:49], v2, s46 src0_sel:BYTE_0 src1_sel:DWORD
	s_mov_b64 s[46:47], 0
	s_and_saveexec_b64 s[50:51], s[48:49]
	s_xor_b64 s[48:49], exec, s[50:51]
	s_cbranch_execnz .LBB247_441
; %bb.159:
	s_or_saveexec_b64 s[48:49], s[48:49]
	v_mov_b32_e32 v5, 0x7f800001
	s_xor_b64 exec, exec, s[48:49]
	s_cbranch_execnz .LBB247_444
.LBB247_160:
	s_or_b64 exec, exec, s[48:49]
	s_and_saveexec_b64 s[48:49], s[46:47]
	s_cbranch_execz .LBB247_162
.LBB247_161:
	s_mov_b32 s46, 0xffff
	v_and_b32_sdwa v5, s46, v2 dst_sel:DWORD dst_unused:UNUSED_PAD src0_sel:DWORD src1_sel:BYTE_0
	v_and_b32_e32 v6, 3, v5
	v_ffbh_u32_e32 v8, v6
	v_min_u32_e32 v8, 32, v8
	v_subrev_u32_e32 v9, 29, v8
	v_bfe_u32 v7, v5, 2, 5
	v_lshlrev_b32_e32 v5, v9, v5
	v_sub_u32_e32 v8, 30, v8
	v_and_b32_e32 v5, 3, v5
	v_cmp_eq_u32_e32 vcc, 0, v7
	v_cndmask_b32_e32 v7, v7, v8, vcc
	v_cndmask_b32_e32 v5, v6, v5, vcc
	v_lshlrev_b32_e32 v6, 24, v2
	v_mov_b32_e32 v8, 0x37800000
	v_lshlrev_b32_e32 v5, 21, v5
	v_and_b32_e32 v6, 0x80000000, v6
	v_lshl_add_u32 v7, v7, 23, v8
	v_or3_b32 v5, v6, v7, v5
.LBB247_162:
	s_or_b64 exec, exec, s[48:49]
	v_cmp_neq_f32_e64 s[46:47], v4, v5
.LBB247_163:
	v_lshrrev_b16_e32 v5, 8, v3
	s_and_b64 vcc, exec, s[4:5]
	s_waitcnt vmcnt(0)
	v_lshrrev_b16_e32 v4, 8, v2
	s_cbranch_vccnz .LBB247_313
.LBB247_164:
	s_movk_i32 s4, 0x7f
	v_cmp_lt_i16_e32 vcc, s4, v5
	s_mov_b64 s[4:5], 0
	s_and_saveexec_b64 s[48:49], vcc
	s_xor_b64 s[48:49], exec, s[48:49]
	s_cbranch_execnz .LBB247_445
; %bb.165:
	s_or_saveexec_b64 s[48:49], s[48:49]
	v_mov_b32_e32 v6, 0x7f800001
	s_xor_b64 exec, exec, s[48:49]
	s_cbranch_execnz .LBB247_448
.LBB247_166:
	s_or_b64 exec, exec, s[48:49]
	s_and_saveexec_b64 s[48:49], s[4:5]
	s_cbranch_execz .LBB247_168
.LBB247_167:
	v_and_b32_e32 v6, 3, v5
	v_ffbh_u32_e32 v8, v6
	v_min_u32_e32 v8, 32, v8
	v_subrev_u32_e32 v9, 29, v8
	v_bfe_u32 v7, v5, 2, 5
	v_lshlrev_b32_e32 v9, v9, v5
	v_sub_u32_e32 v8, 30, v8
	v_and_b32_e32 v9, 3, v9
	v_cmp_eq_u32_e32 vcc, 0, v7
	v_cndmask_b32_e32 v7, v7, v8, vcc
	v_cndmask_b32_e32 v6, v6, v9, vcc
	v_lshlrev_b32_e32 v8, 16, v3
	v_mov_b32_e32 v9, 0x37800000
	v_lshlrev_b32_e32 v6, 21, v6
	v_and_b32_e32 v8, 0x80000000, v8
	v_lshl_add_u32 v7, v7, 23, v9
	v_or3_b32 v6, v8, v7, v6
.LBB247_168:
	s_or_b64 exec, exec, s[48:49]
	s_movk_i32 s4, 0x7f
	v_cmp_gt_i16_sdwa s[48:49], v2, s4 src0_sel:BYTE_1 src1_sel:DWORD
	s_mov_b64 s[4:5], 0
	s_and_saveexec_b64 s[50:51], s[48:49]
	s_xor_b64 s[48:49], exec, s[50:51]
	s_cbranch_execnz .LBB247_449
; %bb.169:
	s_or_saveexec_b64 s[48:49], s[48:49]
	v_mov_b32_e32 v7, 0x7f800001
	s_xor_b64 exec, exec, s[48:49]
	s_cbranch_execnz .LBB247_452
.LBB247_170:
	s_or_b64 exec, exec, s[48:49]
	s_and_saveexec_b64 s[48:49], s[4:5]
	s_cbranch_execz .LBB247_172
.LBB247_171:
	v_and_b32_e32 v7, 3, v4
	v_ffbh_u32_e32 v9, v7
	v_min_u32_e32 v9, 32, v9
	v_subrev_u32_e32 v10, 29, v9
	v_bfe_u32 v8, v4, 2, 5
	v_lshlrev_b32_e32 v10, v10, v4
	v_sub_u32_e32 v9, 30, v9
	v_and_b32_e32 v10, 3, v10
	v_cmp_eq_u32_e32 vcc, 0, v8
	v_cndmask_b32_e32 v8, v8, v9, vcc
	v_cndmask_b32_e32 v7, v7, v10, vcc
	v_lshlrev_b32_e32 v9, 16, v2
	v_mov_b32_e32 v10, 0x37800000
	v_lshlrev_b32_e32 v7, 21, v7
	v_and_b32_e32 v9, 0x80000000, v9
	v_lshl_add_u32 v8, v8, 23, v10
	v_or3_b32 v7, v9, v8, v7
.LBB247_172:
	s_or_b64 exec, exec, s[48:49]
	v_cmp_neq_f32_e64 s[4:5], v6, v7
	s_branch .LBB247_323
.LBB247_173:
                                        ; implicit-def: $sgpr18_sgpr19
	s_cbranch_execz .LBB247_33
; %bb.174:
	s_movk_i32 s18, 0x7f
	v_cmp_gt_i16_sdwa s[20:21], v17, s18 src0_sel:BYTE_1 src1_sel:DWORD
	s_mov_b64 s[18:19], 0
	s_and_saveexec_b64 s[22:23], s[20:21]
	s_xor_b64 s[20:21], exec, s[22:23]
	s_cbranch_execnz .LBB247_461
; %bb.175:
	s_or_saveexec_b64 s[20:21], s[20:21]
	v_mov_b32_e32 v20, 0x7f800001
	s_xor_b64 exec, exec, s[20:21]
	s_cbranch_execnz .LBB247_464
.LBB247_176:
	s_or_b64 exec, exec, s[20:21]
	s_and_saveexec_b64 s[20:21], s[18:19]
	s_cbranch_execz .LBB247_178
.LBB247_177:
	v_and_b32_e32 v20, 3, v19
	v_ffbh_u32_e32 v22, v20
	v_min_u32_e32 v22, 32, v22
	v_subrev_u32_e32 v23, 29, v22
	v_bfe_u32 v21, v19, 2, 5
	v_lshlrev_b32_e32 v19, v23, v19
	v_sub_u32_e32 v22, 30, v22
	v_and_b32_e32 v19, 3, v19
	v_cmp_eq_u32_e32 vcc, 0, v21
	v_cndmask_b32_e32 v21, v21, v22, vcc
	v_cndmask_b32_e32 v19, v20, v19, vcc
	v_lshlrev_b32_e32 v17, 16, v17
	v_mov_b32_e32 v20, 0x37800000
	v_lshlrev_b32_e32 v19, 21, v19
	v_and_b32_e32 v17, 0x80000000, v17
	v_lshl_add_u32 v20, v21, 23, v20
	v_or3_b32 v20, v17, v20, v19
.LBB247_178:
	s_or_b64 exec, exec, s[20:21]
	s_movk_i32 s18, 0x7f
	v_cmp_gt_i16_sdwa s[20:21], v16, s18 src0_sel:BYTE_1 src1_sel:DWORD
	s_mov_b64 s[18:19], 0
	s_and_saveexec_b64 s[22:23], s[20:21]
	s_xor_b64 s[20:21], exec, s[22:23]
	s_cbranch_execnz .LBB247_465
; %bb.179:
	s_or_saveexec_b64 s[20:21], s[20:21]
	v_mov_b32_e32 v17, 0x7f800001
	s_xor_b64 exec, exec, s[20:21]
	s_cbranch_execnz .LBB247_468
.LBB247_180:
	s_or_b64 exec, exec, s[20:21]
	s_and_saveexec_b64 s[20:21], s[18:19]
	s_cbranch_execz .LBB247_182
.LBB247_181:
	v_and_b32_e32 v17, 3, v18
	v_ffbh_u32_e32 v21, v17
	v_min_u32_e32 v21, 32, v21
	v_subrev_u32_e32 v22, 29, v21
	v_bfe_u32 v19, v18, 2, 5
	v_lshlrev_b32_e32 v18, v22, v18
	v_sub_u32_e32 v21, 30, v21
	v_and_b32_e32 v18, 3, v18
	v_cmp_eq_u32_e32 vcc, 0, v19
	v_cndmask_b32_e32 v19, v19, v21, vcc
	v_cndmask_b32_e32 v17, v17, v18, vcc
	v_lshlrev_b32_e32 v16, 16, v16
	v_mov_b32_e32 v18, 0x37800000
	v_lshlrev_b32_e32 v17, 21, v17
	v_and_b32_e32 v16, 0x80000000, v16
	v_lshl_add_u32 v18, v19, 23, v18
	v_or3_b32 v17, v16, v18, v17
.LBB247_182:
	s_or_b64 exec, exec, s[20:21]
	v_cmp_eq_f32_e64 s[18:19], v20, v17
	s_and_b64 vcc, exec, s[4:5]
	s_cbranch_vccz .LBB247_34
.LBB247_183:
                                        ; implicit-def: $sgpr20_sgpr21
	s_cbranch_execz .LBB247_43
; %bb.184:
	s_movk_i32 s20, 0x7f
	v_cmp_gt_i16_sdwa s[22:23], v15, s20 src0_sel:BYTE_0 src1_sel:DWORD
	s_mov_b64 s[20:21], 0
	s_and_saveexec_b64 s[24:25], s[22:23]
	s_xor_b64 s[22:23], exec, s[24:25]
	s_cbranch_execnz .LBB247_469
; %bb.185:
	s_or_saveexec_b64 s[22:23], s[22:23]
	v_mov_b32_e32 v16, 0x7f800001
	s_xor_b64 exec, exec, s[22:23]
	s_cbranch_execnz .LBB247_472
.LBB247_186:
	s_or_b64 exec, exec, s[22:23]
	s_and_saveexec_b64 s[22:23], s[20:21]
	s_cbranch_execz .LBB247_188
.LBB247_187:
	s_mov_b32 s20, 0xffff
	v_and_b32_sdwa v16, s20, v15 dst_sel:DWORD dst_unused:UNUSED_PAD src0_sel:DWORD src1_sel:BYTE_0
	v_and_b32_e32 v17, 3, v16
	v_ffbh_u32_e32 v19, v17
	v_min_u32_e32 v19, 32, v19
	v_subrev_u32_e32 v20, 29, v19
	v_bfe_u32 v18, v16, 2, 5
	v_lshlrev_b32_e32 v16, v20, v16
	v_sub_u32_e32 v19, 30, v19
	v_and_b32_e32 v16, 3, v16
	v_cmp_eq_u32_e32 vcc, 0, v18
	v_cndmask_b32_e32 v18, v18, v19, vcc
	v_cndmask_b32_e32 v16, v17, v16, vcc
	v_lshlrev_b32_e32 v17, 24, v15
	v_mov_b32_e32 v19, 0x37800000
	v_lshlrev_b32_e32 v16, 21, v16
	v_and_b32_e32 v17, 0x80000000, v17
	v_lshl_add_u32 v18, v18, 23, v19
	v_or3_b32 v16, v17, v18, v16
.LBB247_188:
	s_or_b64 exec, exec, s[22:23]
	s_movk_i32 s20, 0x7f
	s_waitcnt vmcnt(6)
	v_cmp_gt_i16_sdwa s[22:23], v14, s20 src0_sel:BYTE_0 src1_sel:DWORD
	s_mov_b64 s[20:21], 0
	s_and_saveexec_b64 s[24:25], s[22:23]
	s_xor_b64 s[22:23], exec, s[24:25]
	s_cbranch_execnz .LBB247_473
; %bb.189:
	s_or_saveexec_b64 s[22:23], s[22:23]
	v_mov_b32_e32 v17, 0x7f800001
	s_xor_b64 exec, exec, s[22:23]
	s_cbranch_execnz .LBB247_476
.LBB247_190:
	s_or_b64 exec, exec, s[22:23]
	s_and_saveexec_b64 s[22:23], s[20:21]
	s_cbranch_execz .LBB247_192
.LBB247_191:
	s_mov_b32 s20, 0xffff
	v_and_b32_sdwa v17, s20, v14 dst_sel:DWORD dst_unused:UNUSED_PAD src0_sel:DWORD src1_sel:BYTE_0
	v_and_b32_e32 v18, 3, v17
	v_ffbh_u32_e32 v20, v18
	v_min_u32_e32 v20, 32, v20
	v_subrev_u32_e32 v21, 29, v20
	v_bfe_u32 v19, v17, 2, 5
	v_lshlrev_b32_e32 v17, v21, v17
	v_sub_u32_e32 v20, 30, v20
	v_and_b32_e32 v17, 3, v17
	v_cmp_eq_u32_e32 vcc, 0, v19
	v_cndmask_b32_e32 v19, v19, v20, vcc
	v_cndmask_b32_e32 v17, v18, v17, vcc
	v_lshlrev_b32_e32 v18, 24, v14
	v_mov_b32_e32 v20, 0x37800000
	v_lshlrev_b32_e32 v17, 21, v17
	v_and_b32_e32 v18, 0x80000000, v18
	v_lshl_add_u32 v19, v19, 23, v20
	v_or3_b32 v17, v18, v19, v17
.LBB247_192:
	s_or_b64 exec, exec, s[22:23]
	v_cmp_eq_f32_e64 s[20:21], v16, v17
	v_lshrrev_b16_e32 v17, 8, v15
	s_and_b64 vcc, exec, s[4:5]
	v_lshrrev_b16_e32 v16, 8, v14
	s_cbranch_vccz .LBB247_44
.LBB247_193:
                                        ; implicit-def: $sgpr22_sgpr23
	s_cbranch_execz .LBB247_53
; %bb.194:
	s_movk_i32 s22, 0x7f
	v_cmp_gt_i16_sdwa s[24:25], v15, s22 src0_sel:BYTE_1 src1_sel:DWORD
	s_mov_b64 s[22:23], 0
	s_and_saveexec_b64 s[26:27], s[24:25]
	s_xor_b64 s[24:25], exec, s[26:27]
	s_cbranch_execnz .LBB247_477
; %bb.195:
	s_or_saveexec_b64 s[24:25], s[24:25]
	v_mov_b32_e32 v18, 0x7f800001
	s_xor_b64 exec, exec, s[24:25]
	s_cbranch_execnz .LBB247_480
.LBB247_196:
	s_or_b64 exec, exec, s[24:25]
	s_and_saveexec_b64 s[24:25], s[22:23]
	s_cbranch_execz .LBB247_198
.LBB247_197:
	v_and_b32_e32 v18, 3, v17
	v_ffbh_u32_e32 v20, v18
	v_min_u32_e32 v20, 32, v20
	v_subrev_u32_e32 v21, 29, v20
	v_bfe_u32 v19, v17, 2, 5
	v_lshlrev_b32_e32 v17, v21, v17
	v_sub_u32_e32 v20, 30, v20
	v_and_b32_e32 v17, 3, v17
	v_cmp_eq_u32_e32 vcc, 0, v19
	v_cndmask_b32_e32 v19, v19, v20, vcc
	v_cndmask_b32_e32 v17, v18, v17, vcc
	v_lshlrev_b32_e32 v15, 16, v15
	v_mov_b32_e32 v18, 0x37800000
	v_lshlrev_b32_e32 v17, 21, v17
	v_and_b32_e32 v15, 0x80000000, v15
	v_lshl_add_u32 v18, v19, 23, v18
	v_or3_b32 v18, v15, v18, v17
.LBB247_198:
	s_or_b64 exec, exec, s[24:25]
	s_movk_i32 s22, 0x7f
	v_cmp_gt_i16_sdwa s[24:25], v14, s22 src0_sel:BYTE_1 src1_sel:DWORD
	s_mov_b64 s[22:23], 0
	s_and_saveexec_b64 s[26:27], s[24:25]
	s_xor_b64 s[24:25], exec, s[26:27]
	s_cbranch_execnz .LBB247_481
; %bb.199:
	s_or_saveexec_b64 s[24:25], s[24:25]
	v_mov_b32_e32 v15, 0x7f800001
	s_xor_b64 exec, exec, s[24:25]
	s_cbranch_execnz .LBB247_484
.LBB247_200:
	s_or_b64 exec, exec, s[24:25]
	s_and_saveexec_b64 s[24:25], s[22:23]
	s_cbranch_execz .LBB247_202
.LBB247_201:
	v_and_b32_e32 v15, 3, v16
	v_ffbh_u32_e32 v19, v15
	v_min_u32_e32 v19, 32, v19
	v_subrev_u32_e32 v20, 29, v19
	v_bfe_u32 v17, v16, 2, 5
	v_lshlrev_b32_e32 v16, v20, v16
	v_sub_u32_e32 v19, 30, v19
	v_and_b32_e32 v16, 3, v16
	v_cmp_eq_u32_e32 vcc, 0, v17
	v_cndmask_b32_e32 v17, v17, v19, vcc
	v_cndmask_b32_e32 v15, v15, v16, vcc
	v_lshlrev_b32_e32 v14, 16, v14
	v_mov_b32_e32 v16, 0x37800000
	v_lshlrev_b32_e32 v15, 21, v15
	v_and_b32_e32 v14, 0x80000000, v14
	v_lshl_add_u32 v16, v17, 23, v16
	v_or3_b32 v15, v14, v16, v15
.LBB247_202:
	s_or_b64 exec, exec, s[24:25]
	v_cmp_eq_f32_e64 s[22:23], v18, v15
	s_and_b64 vcc, exec, s[4:5]
	s_cbranch_vccz .LBB247_54
.LBB247_203:
                                        ; implicit-def: $sgpr24_sgpr25
	s_cbranch_execz .LBB247_63
; %bb.204:
	s_movk_i32 s24, 0x7f
	v_cmp_gt_i16_sdwa s[26:27], v13, s24 src0_sel:BYTE_0 src1_sel:DWORD
	s_mov_b64 s[24:25], 0
	s_and_saveexec_b64 s[28:29], s[26:27]
	s_xor_b64 s[26:27], exec, s[28:29]
	s_cbranch_execnz .LBB247_485
; %bb.205:
	s_or_saveexec_b64 s[26:27], s[26:27]
	v_mov_b32_e32 v14, 0x7f800001
	s_xor_b64 exec, exec, s[26:27]
	s_cbranch_execnz .LBB247_488
.LBB247_206:
	s_or_b64 exec, exec, s[26:27]
	s_and_saveexec_b64 s[26:27], s[24:25]
	s_cbranch_execz .LBB247_208
.LBB247_207:
	s_mov_b32 s24, 0xffff
	v_and_b32_sdwa v14, s24, v13 dst_sel:DWORD dst_unused:UNUSED_PAD src0_sel:DWORD src1_sel:BYTE_0
	v_and_b32_e32 v15, 3, v14
	v_ffbh_u32_e32 v17, v15
	v_min_u32_e32 v17, 32, v17
	v_subrev_u32_e32 v18, 29, v17
	v_bfe_u32 v16, v14, 2, 5
	v_lshlrev_b32_e32 v14, v18, v14
	v_sub_u32_e32 v17, 30, v17
	v_and_b32_e32 v14, 3, v14
	v_cmp_eq_u32_e32 vcc, 0, v16
	v_cndmask_b32_e32 v16, v16, v17, vcc
	v_cndmask_b32_e32 v14, v15, v14, vcc
	v_lshlrev_b32_e32 v15, 24, v13
	v_mov_b32_e32 v17, 0x37800000
	v_lshlrev_b32_e32 v14, 21, v14
	v_and_b32_e32 v15, 0x80000000, v15
	v_lshl_add_u32 v16, v16, 23, v17
	v_or3_b32 v14, v15, v16, v14
.LBB247_208:
	s_or_b64 exec, exec, s[26:27]
	s_movk_i32 s24, 0x7f
	s_waitcnt vmcnt(5)
	v_cmp_gt_i16_sdwa s[26:27], v12, s24 src0_sel:BYTE_0 src1_sel:DWORD
	s_mov_b64 s[24:25], 0
	s_and_saveexec_b64 s[28:29], s[26:27]
	s_xor_b64 s[26:27], exec, s[28:29]
	s_cbranch_execnz .LBB247_489
; %bb.209:
	s_or_saveexec_b64 s[26:27], s[26:27]
	v_mov_b32_e32 v15, 0x7f800001
	s_xor_b64 exec, exec, s[26:27]
	s_cbranch_execnz .LBB247_492
.LBB247_210:
	s_or_b64 exec, exec, s[26:27]
	s_and_saveexec_b64 s[26:27], s[24:25]
	s_cbranch_execz .LBB247_212
.LBB247_211:
	s_mov_b32 s24, 0xffff
	v_and_b32_sdwa v15, s24, v12 dst_sel:DWORD dst_unused:UNUSED_PAD src0_sel:DWORD src1_sel:BYTE_0
	v_and_b32_e32 v16, 3, v15
	v_ffbh_u32_e32 v18, v16
	v_min_u32_e32 v18, 32, v18
	v_subrev_u32_e32 v19, 29, v18
	v_bfe_u32 v17, v15, 2, 5
	v_lshlrev_b32_e32 v15, v19, v15
	v_sub_u32_e32 v18, 30, v18
	v_and_b32_e32 v15, 3, v15
	v_cmp_eq_u32_e32 vcc, 0, v17
	v_cndmask_b32_e32 v17, v17, v18, vcc
	v_cndmask_b32_e32 v15, v16, v15, vcc
	v_lshlrev_b32_e32 v16, 24, v12
	v_mov_b32_e32 v18, 0x37800000
	v_lshlrev_b32_e32 v15, 21, v15
	v_and_b32_e32 v16, 0x80000000, v16
	v_lshl_add_u32 v17, v17, 23, v18
	v_or3_b32 v15, v16, v17, v15
.LBB247_212:
	s_or_b64 exec, exec, s[26:27]
	v_cmp_eq_f32_e64 s[24:25], v14, v15
	v_lshrrev_b16_e32 v15, 8, v13
	s_and_b64 vcc, exec, s[4:5]
	v_lshrrev_b16_e32 v14, 8, v12
	s_cbranch_vccz .LBB247_64
.LBB247_213:
                                        ; implicit-def: $sgpr26_sgpr27
	s_cbranch_execz .LBB247_73
; %bb.214:
	s_movk_i32 s26, 0x7f
	v_cmp_gt_i16_sdwa s[28:29], v13, s26 src0_sel:BYTE_1 src1_sel:DWORD
	s_mov_b64 s[26:27], 0
	s_and_saveexec_b64 s[30:31], s[28:29]
	s_xor_b64 s[28:29], exec, s[30:31]
	s_cbranch_execnz .LBB247_493
; %bb.215:
	s_or_saveexec_b64 s[28:29], s[28:29]
	v_mov_b32_e32 v16, 0x7f800001
	s_xor_b64 exec, exec, s[28:29]
	s_cbranch_execnz .LBB247_496
.LBB247_216:
	s_or_b64 exec, exec, s[28:29]
	s_and_saveexec_b64 s[28:29], s[26:27]
	s_cbranch_execz .LBB247_218
.LBB247_217:
	v_and_b32_e32 v16, 3, v15
	v_ffbh_u32_e32 v18, v16
	v_min_u32_e32 v18, 32, v18
	v_subrev_u32_e32 v19, 29, v18
	v_bfe_u32 v17, v15, 2, 5
	v_lshlrev_b32_e32 v15, v19, v15
	v_sub_u32_e32 v18, 30, v18
	v_and_b32_e32 v15, 3, v15
	v_cmp_eq_u32_e32 vcc, 0, v17
	v_cndmask_b32_e32 v17, v17, v18, vcc
	v_cndmask_b32_e32 v15, v16, v15, vcc
	v_lshlrev_b32_e32 v13, 16, v13
	v_mov_b32_e32 v16, 0x37800000
	v_lshlrev_b32_e32 v15, 21, v15
	v_and_b32_e32 v13, 0x80000000, v13
	v_lshl_add_u32 v16, v17, 23, v16
	v_or3_b32 v16, v13, v16, v15
.LBB247_218:
	s_or_b64 exec, exec, s[28:29]
	s_movk_i32 s26, 0x7f
	v_cmp_gt_i16_sdwa s[28:29], v12, s26 src0_sel:BYTE_1 src1_sel:DWORD
	s_mov_b64 s[26:27], 0
	s_and_saveexec_b64 s[30:31], s[28:29]
	s_xor_b64 s[28:29], exec, s[30:31]
	s_cbranch_execnz .LBB247_497
; %bb.219:
	s_or_saveexec_b64 s[28:29], s[28:29]
	v_mov_b32_e32 v13, 0x7f800001
	s_xor_b64 exec, exec, s[28:29]
	s_cbranch_execnz .LBB247_500
.LBB247_220:
	s_or_b64 exec, exec, s[28:29]
	s_and_saveexec_b64 s[28:29], s[26:27]
	s_cbranch_execz .LBB247_222
.LBB247_221:
	v_and_b32_e32 v13, 3, v14
	v_ffbh_u32_e32 v17, v13
	v_min_u32_e32 v17, 32, v17
	v_subrev_u32_e32 v18, 29, v17
	v_bfe_u32 v15, v14, 2, 5
	v_lshlrev_b32_e32 v14, v18, v14
	v_sub_u32_e32 v17, 30, v17
	v_and_b32_e32 v14, 3, v14
	v_cmp_eq_u32_e32 vcc, 0, v15
	v_cndmask_b32_e32 v15, v15, v17, vcc
	v_cndmask_b32_e32 v13, v13, v14, vcc
	v_lshlrev_b32_e32 v12, 16, v12
	v_mov_b32_e32 v14, 0x37800000
	v_lshlrev_b32_e32 v13, 21, v13
	v_and_b32_e32 v12, 0x80000000, v12
	v_lshl_add_u32 v14, v15, 23, v14
	v_or3_b32 v13, v12, v14, v13
.LBB247_222:
	s_or_b64 exec, exec, s[28:29]
	v_cmp_eq_f32_e64 s[26:27], v16, v13
	s_and_b64 vcc, exec, s[4:5]
	s_cbranch_vccz .LBB247_74
.LBB247_223:
                                        ; implicit-def: $sgpr28_sgpr29
	s_cbranch_execz .LBB247_83
; %bb.224:
	s_movk_i32 s28, 0x7f
	v_cmp_gt_i16_sdwa s[30:31], v11, s28 src0_sel:BYTE_0 src1_sel:DWORD
	s_mov_b64 s[28:29], 0
	s_and_saveexec_b64 s[34:35], s[30:31]
	s_xor_b64 s[30:31], exec, s[34:35]
	s_cbranch_execnz .LBB247_501
; %bb.225:
	s_or_saveexec_b64 s[30:31], s[30:31]
	v_mov_b32_e32 v12, 0x7f800001
	s_xor_b64 exec, exec, s[30:31]
	s_cbranch_execnz .LBB247_504
.LBB247_226:
	s_or_b64 exec, exec, s[30:31]
	s_and_saveexec_b64 s[30:31], s[28:29]
	s_cbranch_execz .LBB247_228
.LBB247_227:
	s_mov_b32 s28, 0xffff
	v_and_b32_sdwa v12, s28, v11 dst_sel:DWORD dst_unused:UNUSED_PAD src0_sel:DWORD src1_sel:BYTE_0
	v_and_b32_e32 v13, 3, v12
	v_ffbh_u32_e32 v15, v13
	v_min_u32_e32 v15, 32, v15
	v_subrev_u32_e32 v16, 29, v15
	v_bfe_u32 v14, v12, 2, 5
	v_lshlrev_b32_e32 v12, v16, v12
	v_sub_u32_e32 v15, 30, v15
	v_and_b32_e32 v12, 3, v12
	v_cmp_eq_u32_e32 vcc, 0, v14
	v_cndmask_b32_e32 v14, v14, v15, vcc
	v_cndmask_b32_e32 v12, v13, v12, vcc
	v_lshlrev_b32_e32 v13, 24, v11
	v_mov_b32_e32 v15, 0x37800000
	v_lshlrev_b32_e32 v12, 21, v12
	v_and_b32_e32 v13, 0x80000000, v13
	v_lshl_add_u32 v14, v14, 23, v15
	v_or3_b32 v12, v13, v14, v12
.LBB247_228:
	s_or_b64 exec, exec, s[30:31]
	s_movk_i32 s28, 0x7f
	s_waitcnt vmcnt(4)
	v_cmp_gt_i16_sdwa s[30:31], v10, s28 src0_sel:BYTE_0 src1_sel:DWORD
	s_mov_b64 s[28:29], 0
	s_and_saveexec_b64 s[34:35], s[30:31]
	s_xor_b64 s[30:31], exec, s[34:35]
	s_cbranch_execnz .LBB247_505
; %bb.229:
	s_or_saveexec_b64 s[30:31], s[30:31]
	v_mov_b32_e32 v13, 0x7f800001
	s_xor_b64 exec, exec, s[30:31]
	s_cbranch_execnz .LBB247_508
.LBB247_230:
	s_or_b64 exec, exec, s[30:31]
	s_and_saveexec_b64 s[30:31], s[28:29]
	s_cbranch_execz .LBB247_232
.LBB247_231:
	s_mov_b32 s28, 0xffff
	v_and_b32_sdwa v13, s28, v10 dst_sel:DWORD dst_unused:UNUSED_PAD src0_sel:DWORD src1_sel:BYTE_0
	v_and_b32_e32 v14, 3, v13
	v_ffbh_u32_e32 v16, v14
	v_min_u32_e32 v16, 32, v16
	v_subrev_u32_e32 v17, 29, v16
	v_bfe_u32 v15, v13, 2, 5
	v_lshlrev_b32_e32 v13, v17, v13
	v_sub_u32_e32 v16, 30, v16
	v_and_b32_e32 v13, 3, v13
	v_cmp_eq_u32_e32 vcc, 0, v15
	v_cndmask_b32_e32 v15, v15, v16, vcc
	v_cndmask_b32_e32 v13, v14, v13, vcc
	v_lshlrev_b32_e32 v14, 24, v10
	v_mov_b32_e32 v16, 0x37800000
	v_lshlrev_b32_e32 v13, 21, v13
	v_and_b32_e32 v14, 0x80000000, v14
	v_lshl_add_u32 v15, v15, 23, v16
	v_or3_b32 v13, v14, v15, v13
.LBB247_232:
	s_or_b64 exec, exec, s[30:31]
	v_cmp_eq_f32_e64 s[28:29], v12, v13
	v_lshrrev_b16_e32 v13, 8, v11
	s_and_b64 vcc, exec, s[4:5]
	v_lshrrev_b16_e32 v12, 8, v10
	s_cbranch_vccz .LBB247_84
.LBB247_233:
                                        ; implicit-def: $sgpr30_sgpr31
	s_cbranch_execz .LBB247_93
; %bb.234:
	s_movk_i32 s30, 0x7f
	v_cmp_gt_i16_sdwa s[34:35], v11, s30 src0_sel:BYTE_1 src1_sel:DWORD
	s_mov_b64 s[30:31], 0
	s_and_saveexec_b64 s[36:37], s[34:35]
	s_xor_b64 s[34:35], exec, s[36:37]
	s_cbranch_execnz .LBB247_509
; %bb.235:
	s_or_saveexec_b64 s[34:35], s[34:35]
	v_mov_b32_e32 v14, 0x7f800001
	s_xor_b64 exec, exec, s[34:35]
	s_cbranch_execnz .LBB247_512
.LBB247_236:
	s_or_b64 exec, exec, s[34:35]
	s_and_saveexec_b64 s[34:35], s[30:31]
	s_cbranch_execz .LBB247_238
.LBB247_237:
	v_and_b32_e32 v14, 3, v13
	v_ffbh_u32_e32 v16, v14
	v_min_u32_e32 v16, 32, v16
	v_subrev_u32_e32 v17, 29, v16
	v_bfe_u32 v15, v13, 2, 5
	v_lshlrev_b32_e32 v13, v17, v13
	v_sub_u32_e32 v16, 30, v16
	v_and_b32_e32 v13, 3, v13
	v_cmp_eq_u32_e32 vcc, 0, v15
	v_cndmask_b32_e32 v15, v15, v16, vcc
	v_cndmask_b32_e32 v13, v14, v13, vcc
	v_lshlrev_b32_e32 v11, 16, v11
	v_mov_b32_e32 v14, 0x37800000
	v_lshlrev_b32_e32 v13, 21, v13
	v_and_b32_e32 v11, 0x80000000, v11
	v_lshl_add_u32 v14, v15, 23, v14
	v_or3_b32 v14, v11, v14, v13
.LBB247_238:
	s_or_b64 exec, exec, s[34:35]
	s_movk_i32 s30, 0x7f
	v_cmp_gt_i16_sdwa s[34:35], v10, s30 src0_sel:BYTE_1 src1_sel:DWORD
	s_mov_b64 s[30:31], 0
	s_and_saveexec_b64 s[36:37], s[34:35]
	s_xor_b64 s[34:35], exec, s[36:37]
	s_cbranch_execnz .LBB247_513
; %bb.239:
	s_or_saveexec_b64 s[34:35], s[34:35]
	v_mov_b32_e32 v11, 0x7f800001
	s_xor_b64 exec, exec, s[34:35]
	s_cbranch_execnz .LBB247_516
.LBB247_240:
	s_or_b64 exec, exec, s[34:35]
	s_and_saveexec_b64 s[34:35], s[30:31]
	s_cbranch_execz .LBB247_242
.LBB247_241:
	v_and_b32_e32 v11, 3, v12
	v_ffbh_u32_e32 v15, v11
	v_min_u32_e32 v15, 32, v15
	v_subrev_u32_e32 v16, 29, v15
	v_bfe_u32 v13, v12, 2, 5
	v_lshlrev_b32_e32 v12, v16, v12
	v_sub_u32_e32 v15, 30, v15
	v_and_b32_e32 v12, 3, v12
	v_cmp_eq_u32_e32 vcc, 0, v13
	v_cndmask_b32_e32 v13, v13, v15, vcc
	v_cndmask_b32_e32 v11, v11, v12, vcc
	v_lshlrev_b32_e32 v10, 16, v10
	v_mov_b32_e32 v12, 0x37800000
	v_lshlrev_b32_e32 v11, 21, v11
	v_and_b32_e32 v10, 0x80000000, v10
	v_lshl_add_u32 v12, v13, 23, v12
	v_or3_b32 v11, v10, v12, v11
.LBB247_242:
	s_or_b64 exec, exec, s[34:35]
	v_cmp_eq_f32_e64 s[30:31], v14, v11
	s_and_b64 vcc, exec, s[4:5]
	s_cbranch_vccz .LBB247_94
.LBB247_243:
                                        ; implicit-def: $sgpr34_sgpr35
	s_cbranch_execz .LBB247_103
; %bb.244:
	s_movk_i32 s34, 0x7f
	v_cmp_gt_i16_sdwa s[36:37], v9, s34 src0_sel:BYTE_0 src1_sel:DWORD
	s_mov_b64 s[34:35], 0
	s_and_saveexec_b64 s[38:39], s[36:37]
	s_xor_b64 s[36:37], exec, s[38:39]
	s_cbranch_execnz .LBB247_517
; %bb.245:
	s_or_saveexec_b64 s[36:37], s[36:37]
	v_mov_b32_e32 v10, 0x7f800001
	s_xor_b64 exec, exec, s[36:37]
	s_cbranch_execnz .LBB247_520
.LBB247_246:
	s_or_b64 exec, exec, s[36:37]
	s_and_saveexec_b64 s[36:37], s[34:35]
	s_cbranch_execz .LBB247_248
.LBB247_247:
	s_mov_b32 s34, 0xffff
	v_and_b32_sdwa v10, s34, v9 dst_sel:DWORD dst_unused:UNUSED_PAD src0_sel:DWORD src1_sel:BYTE_0
	v_and_b32_e32 v11, 3, v10
	v_ffbh_u32_e32 v13, v11
	v_min_u32_e32 v13, 32, v13
	v_subrev_u32_e32 v14, 29, v13
	v_bfe_u32 v12, v10, 2, 5
	v_lshlrev_b32_e32 v10, v14, v10
	v_sub_u32_e32 v13, 30, v13
	v_and_b32_e32 v10, 3, v10
	v_cmp_eq_u32_e32 vcc, 0, v12
	v_cndmask_b32_e32 v12, v12, v13, vcc
	v_cndmask_b32_e32 v10, v11, v10, vcc
	v_lshlrev_b32_e32 v11, 24, v9
	v_mov_b32_e32 v13, 0x37800000
	v_lshlrev_b32_e32 v10, 21, v10
	v_and_b32_e32 v11, 0x80000000, v11
	v_lshl_add_u32 v12, v12, 23, v13
	v_or3_b32 v10, v11, v12, v10
.LBB247_248:
	s_or_b64 exec, exec, s[36:37]
	s_movk_i32 s34, 0x7f
	s_waitcnt vmcnt(3)
	v_cmp_gt_i16_sdwa s[36:37], v8, s34 src0_sel:BYTE_0 src1_sel:DWORD
	s_mov_b64 s[34:35], 0
	s_and_saveexec_b64 s[38:39], s[36:37]
	s_xor_b64 s[36:37], exec, s[38:39]
	s_cbranch_execnz .LBB247_521
; %bb.249:
	s_or_saveexec_b64 s[36:37], s[36:37]
	v_mov_b32_e32 v11, 0x7f800001
	s_xor_b64 exec, exec, s[36:37]
	s_cbranch_execnz .LBB247_524
.LBB247_250:
	s_or_b64 exec, exec, s[36:37]
	s_and_saveexec_b64 s[36:37], s[34:35]
	s_cbranch_execz .LBB247_252
.LBB247_251:
	s_mov_b32 s34, 0xffff
	v_and_b32_sdwa v11, s34, v8 dst_sel:DWORD dst_unused:UNUSED_PAD src0_sel:DWORD src1_sel:BYTE_0
	v_and_b32_e32 v12, 3, v11
	v_ffbh_u32_e32 v14, v12
	v_min_u32_e32 v14, 32, v14
	v_subrev_u32_e32 v15, 29, v14
	v_bfe_u32 v13, v11, 2, 5
	v_lshlrev_b32_e32 v11, v15, v11
	v_sub_u32_e32 v14, 30, v14
	v_and_b32_e32 v11, 3, v11
	v_cmp_eq_u32_e32 vcc, 0, v13
	v_cndmask_b32_e32 v13, v13, v14, vcc
	v_cndmask_b32_e32 v11, v12, v11, vcc
	v_lshlrev_b32_e32 v12, 24, v8
	v_mov_b32_e32 v14, 0x37800000
	v_lshlrev_b32_e32 v11, 21, v11
	v_and_b32_e32 v12, 0x80000000, v12
	v_lshl_add_u32 v13, v13, 23, v14
	v_or3_b32 v11, v12, v13, v11
.LBB247_252:
	s_or_b64 exec, exec, s[36:37]
	v_cmp_eq_f32_e64 s[34:35], v10, v11
	v_lshrrev_b16_e32 v11, 8, v9
	s_and_b64 vcc, exec, s[4:5]
	v_lshrrev_b16_e32 v10, 8, v8
	s_cbranch_vccz .LBB247_104
.LBB247_253:
                                        ; implicit-def: $sgpr36_sgpr37
	s_cbranch_execz .LBB247_113
; %bb.254:
	s_movk_i32 s36, 0x7f
	v_cmp_gt_i16_sdwa s[38:39], v9, s36 src0_sel:BYTE_1 src1_sel:DWORD
	s_mov_b64 s[36:37], 0
	s_and_saveexec_b64 s[40:41], s[38:39]
	s_xor_b64 s[38:39], exec, s[40:41]
	s_cbranch_execnz .LBB247_525
; %bb.255:
	s_or_saveexec_b64 s[38:39], s[38:39]
	v_mov_b32_e32 v12, 0x7f800001
	s_xor_b64 exec, exec, s[38:39]
	s_cbranch_execnz .LBB247_528
.LBB247_256:
	s_or_b64 exec, exec, s[38:39]
	s_and_saveexec_b64 s[38:39], s[36:37]
	s_cbranch_execz .LBB247_258
.LBB247_257:
	v_and_b32_e32 v12, 3, v11
	v_ffbh_u32_e32 v14, v12
	v_min_u32_e32 v14, 32, v14
	v_subrev_u32_e32 v15, 29, v14
	v_bfe_u32 v13, v11, 2, 5
	v_lshlrev_b32_e32 v11, v15, v11
	v_sub_u32_e32 v14, 30, v14
	v_and_b32_e32 v11, 3, v11
	v_cmp_eq_u32_e32 vcc, 0, v13
	v_cndmask_b32_e32 v13, v13, v14, vcc
	v_cndmask_b32_e32 v11, v12, v11, vcc
	v_lshlrev_b32_e32 v9, 16, v9
	v_mov_b32_e32 v12, 0x37800000
	v_lshlrev_b32_e32 v11, 21, v11
	v_and_b32_e32 v9, 0x80000000, v9
	v_lshl_add_u32 v12, v13, 23, v12
	v_or3_b32 v12, v9, v12, v11
.LBB247_258:
	s_or_b64 exec, exec, s[38:39]
	s_movk_i32 s36, 0x7f
	v_cmp_gt_i16_sdwa s[38:39], v8, s36 src0_sel:BYTE_1 src1_sel:DWORD
	s_mov_b64 s[36:37], 0
	s_and_saveexec_b64 s[40:41], s[38:39]
	s_xor_b64 s[38:39], exec, s[40:41]
	s_cbranch_execnz .LBB247_529
; %bb.259:
	s_or_saveexec_b64 s[38:39], s[38:39]
	v_mov_b32_e32 v9, 0x7f800001
	s_xor_b64 exec, exec, s[38:39]
	s_cbranch_execnz .LBB247_532
.LBB247_260:
	s_or_b64 exec, exec, s[38:39]
	s_and_saveexec_b64 s[38:39], s[36:37]
	s_cbranch_execz .LBB247_262
.LBB247_261:
	v_and_b32_e32 v9, 3, v10
	v_ffbh_u32_e32 v13, v9
	v_min_u32_e32 v13, 32, v13
	v_subrev_u32_e32 v14, 29, v13
	v_bfe_u32 v11, v10, 2, 5
	v_lshlrev_b32_e32 v10, v14, v10
	v_sub_u32_e32 v13, 30, v13
	v_and_b32_e32 v10, 3, v10
	v_cmp_eq_u32_e32 vcc, 0, v11
	v_cndmask_b32_e32 v11, v11, v13, vcc
	v_cndmask_b32_e32 v9, v9, v10, vcc
	v_lshlrev_b32_e32 v8, 16, v8
	v_mov_b32_e32 v10, 0x37800000
	v_lshlrev_b32_e32 v9, 21, v9
	v_and_b32_e32 v8, 0x80000000, v8
	v_lshl_add_u32 v10, v11, 23, v10
	v_or3_b32 v9, v8, v10, v9
.LBB247_262:
	s_or_b64 exec, exec, s[38:39]
	v_cmp_eq_f32_e64 s[36:37], v12, v9
	s_and_b64 vcc, exec, s[4:5]
	s_cbranch_vccz .LBB247_114
.LBB247_263:
                                        ; implicit-def: $sgpr38_sgpr39
	s_cbranch_execz .LBB247_123
; %bb.264:
	s_movk_i32 s38, 0x7f
	v_cmp_gt_i16_sdwa s[40:41], v7, s38 src0_sel:BYTE_0 src1_sel:DWORD
	s_mov_b64 s[38:39], 0
	s_and_saveexec_b64 s[42:43], s[40:41]
	s_xor_b64 s[40:41], exec, s[42:43]
	s_cbranch_execnz .LBB247_533
; %bb.265:
	s_or_saveexec_b64 s[40:41], s[40:41]
	v_mov_b32_e32 v8, 0x7f800001
	s_xor_b64 exec, exec, s[40:41]
	s_cbranch_execnz .LBB247_536
.LBB247_266:
	s_or_b64 exec, exec, s[40:41]
	s_and_saveexec_b64 s[40:41], s[38:39]
	s_cbranch_execz .LBB247_268
.LBB247_267:
	s_mov_b32 s38, 0xffff
	v_and_b32_sdwa v8, s38, v7 dst_sel:DWORD dst_unused:UNUSED_PAD src0_sel:DWORD src1_sel:BYTE_0
	v_and_b32_e32 v9, 3, v8
	v_ffbh_u32_e32 v11, v9
	v_min_u32_e32 v11, 32, v11
	v_subrev_u32_e32 v12, 29, v11
	v_bfe_u32 v10, v8, 2, 5
	v_lshlrev_b32_e32 v8, v12, v8
	v_sub_u32_e32 v11, 30, v11
	v_and_b32_e32 v8, 3, v8
	v_cmp_eq_u32_e32 vcc, 0, v10
	v_cndmask_b32_e32 v10, v10, v11, vcc
	v_cndmask_b32_e32 v8, v9, v8, vcc
	v_lshlrev_b32_e32 v9, 24, v7
	v_mov_b32_e32 v11, 0x37800000
	v_lshlrev_b32_e32 v8, 21, v8
	v_and_b32_e32 v9, 0x80000000, v9
	v_lshl_add_u32 v10, v10, 23, v11
	v_or3_b32 v8, v9, v10, v8
.LBB247_268:
	s_or_b64 exec, exec, s[40:41]
	s_movk_i32 s38, 0x7f
	s_waitcnt vmcnt(2)
	v_cmp_gt_i16_sdwa s[40:41], v6, s38 src0_sel:BYTE_0 src1_sel:DWORD
	s_mov_b64 s[38:39], 0
	s_and_saveexec_b64 s[42:43], s[40:41]
	s_xor_b64 s[40:41], exec, s[42:43]
	s_cbranch_execnz .LBB247_537
; %bb.269:
	s_or_saveexec_b64 s[40:41], s[40:41]
	v_mov_b32_e32 v9, 0x7f800001
	s_xor_b64 exec, exec, s[40:41]
	s_cbranch_execnz .LBB247_540
.LBB247_270:
	s_or_b64 exec, exec, s[40:41]
	s_and_saveexec_b64 s[40:41], s[38:39]
	s_cbranch_execz .LBB247_272
.LBB247_271:
	s_mov_b32 s38, 0xffff
	v_and_b32_sdwa v9, s38, v6 dst_sel:DWORD dst_unused:UNUSED_PAD src0_sel:DWORD src1_sel:BYTE_0
	v_and_b32_e32 v10, 3, v9
	v_ffbh_u32_e32 v12, v10
	v_min_u32_e32 v12, 32, v12
	v_subrev_u32_e32 v13, 29, v12
	v_bfe_u32 v11, v9, 2, 5
	v_lshlrev_b32_e32 v9, v13, v9
	v_sub_u32_e32 v12, 30, v12
	v_and_b32_e32 v9, 3, v9
	v_cmp_eq_u32_e32 vcc, 0, v11
	v_cndmask_b32_e32 v11, v11, v12, vcc
	v_cndmask_b32_e32 v9, v10, v9, vcc
	v_lshlrev_b32_e32 v10, 24, v6
	v_mov_b32_e32 v12, 0x37800000
	v_lshlrev_b32_e32 v9, 21, v9
	v_and_b32_e32 v10, 0x80000000, v10
	v_lshl_add_u32 v11, v11, 23, v12
	v_or3_b32 v9, v10, v11, v9
.LBB247_272:
	s_or_b64 exec, exec, s[40:41]
	v_cmp_eq_f32_e64 s[38:39], v8, v9
	v_lshrrev_b16_e32 v9, 8, v7
	s_and_b64 vcc, exec, s[4:5]
	v_lshrrev_b16_e32 v8, 8, v6
	s_cbranch_vccz .LBB247_124
.LBB247_273:
                                        ; implicit-def: $sgpr40_sgpr41
	s_cbranch_execz .LBB247_133
; %bb.274:
	s_movk_i32 s40, 0x7f
	v_cmp_gt_i16_sdwa s[42:43], v7, s40 src0_sel:BYTE_1 src1_sel:DWORD
	s_mov_b64 s[40:41], 0
	s_and_saveexec_b64 s[44:45], s[42:43]
	s_xor_b64 s[42:43], exec, s[44:45]
	s_cbranch_execnz .LBB247_541
; %bb.275:
	s_or_saveexec_b64 s[42:43], s[42:43]
	v_mov_b32_e32 v10, 0x7f800001
	s_xor_b64 exec, exec, s[42:43]
	s_cbranch_execnz .LBB247_544
.LBB247_276:
	s_or_b64 exec, exec, s[42:43]
	s_and_saveexec_b64 s[42:43], s[40:41]
	s_cbranch_execz .LBB247_278
.LBB247_277:
	v_and_b32_e32 v10, 3, v9
	v_ffbh_u32_e32 v12, v10
	v_min_u32_e32 v12, 32, v12
	v_subrev_u32_e32 v13, 29, v12
	v_bfe_u32 v11, v9, 2, 5
	v_lshlrev_b32_e32 v9, v13, v9
	v_sub_u32_e32 v12, 30, v12
	v_and_b32_e32 v9, 3, v9
	v_cmp_eq_u32_e32 vcc, 0, v11
	v_cndmask_b32_e32 v11, v11, v12, vcc
	v_cndmask_b32_e32 v9, v10, v9, vcc
	v_lshlrev_b32_e32 v7, 16, v7
	v_mov_b32_e32 v10, 0x37800000
	v_lshlrev_b32_e32 v9, 21, v9
	v_and_b32_e32 v7, 0x80000000, v7
	v_lshl_add_u32 v10, v11, 23, v10
	v_or3_b32 v10, v7, v10, v9
.LBB247_278:
	s_or_b64 exec, exec, s[42:43]
	s_movk_i32 s40, 0x7f
	v_cmp_gt_i16_sdwa s[42:43], v6, s40 src0_sel:BYTE_1 src1_sel:DWORD
	s_mov_b64 s[40:41], 0
	s_and_saveexec_b64 s[44:45], s[42:43]
	s_xor_b64 s[42:43], exec, s[44:45]
	s_cbranch_execnz .LBB247_545
; %bb.279:
	s_or_saveexec_b64 s[42:43], s[42:43]
	v_mov_b32_e32 v7, 0x7f800001
	s_xor_b64 exec, exec, s[42:43]
	s_cbranch_execnz .LBB247_548
.LBB247_280:
	s_or_b64 exec, exec, s[42:43]
	s_and_saveexec_b64 s[42:43], s[40:41]
	s_cbranch_execz .LBB247_282
.LBB247_281:
	v_and_b32_e32 v7, 3, v8
	v_ffbh_u32_e32 v11, v7
	v_min_u32_e32 v11, 32, v11
	v_subrev_u32_e32 v12, 29, v11
	v_bfe_u32 v9, v8, 2, 5
	v_lshlrev_b32_e32 v8, v12, v8
	v_sub_u32_e32 v11, 30, v11
	v_and_b32_e32 v8, 3, v8
	v_cmp_eq_u32_e32 vcc, 0, v9
	v_cndmask_b32_e32 v9, v9, v11, vcc
	v_cndmask_b32_e32 v7, v7, v8, vcc
	v_lshlrev_b32_e32 v6, 16, v6
	v_mov_b32_e32 v8, 0x37800000
	v_lshlrev_b32_e32 v7, 21, v7
	v_and_b32_e32 v6, 0x80000000, v6
	v_lshl_add_u32 v8, v9, 23, v8
	v_or3_b32 v7, v6, v8, v7
.LBB247_282:
	s_or_b64 exec, exec, s[42:43]
	v_cmp_eq_f32_e64 s[40:41], v10, v7
	s_and_b64 vcc, exec, s[4:5]
	s_cbranch_vccz .LBB247_134
.LBB247_283:
                                        ; implicit-def: $sgpr42_sgpr43
	s_cbranch_execz .LBB247_143
; %bb.284:
	s_movk_i32 s42, 0x7f
	v_cmp_gt_i16_sdwa s[44:45], v5, s42 src0_sel:BYTE_0 src1_sel:DWORD
	s_mov_b64 s[42:43], 0
	s_and_saveexec_b64 s[46:47], s[44:45]
	s_xor_b64 s[44:45], exec, s[46:47]
	s_cbranch_execnz .LBB247_549
; %bb.285:
	s_or_saveexec_b64 s[44:45], s[44:45]
	v_mov_b32_e32 v6, 0x7f800001
	s_xor_b64 exec, exec, s[44:45]
	s_cbranch_execnz .LBB247_552
.LBB247_286:
	s_or_b64 exec, exec, s[44:45]
	s_and_saveexec_b64 s[44:45], s[42:43]
	s_cbranch_execz .LBB247_288
.LBB247_287:
	s_mov_b32 s42, 0xffff
	v_and_b32_sdwa v6, s42, v5 dst_sel:DWORD dst_unused:UNUSED_PAD src0_sel:DWORD src1_sel:BYTE_0
	v_and_b32_e32 v7, 3, v6
	v_ffbh_u32_e32 v9, v7
	v_min_u32_e32 v9, 32, v9
	v_subrev_u32_e32 v10, 29, v9
	v_bfe_u32 v8, v6, 2, 5
	v_lshlrev_b32_e32 v6, v10, v6
	v_sub_u32_e32 v9, 30, v9
	v_and_b32_e32 v6, 3, v6
	v_cmp_eq_u32_e32 vcc, 0, v8
	v_cndmask_b32_e32 v8, v8, v9, vcc
	v_cndmask_b32_e32 v6, v7, v6, vcc
	v_lshlrev_b32_e32 v7, 24, v5
	v_mov_b32_e32 v9, 0x37800000
	v_lshlrev_b32_e32 v6, 21, v6
	v_and_b32_e32 v7, 0x80000000, v7
	v_lshl_add_u32 v8, v8, 23, v9
	v_or3_b32 v6, v7, v8, v6
.LBB247_288:
	s_or_b64 exec, exec, s[44:45]
	s_movk_i32 s42, 0x7f
	s_waitcnt vmcnt(1)
	v_cmp_gt_i16_sdwa s[44:45], v4, s42 src0_sel:BYTE_0 src1_sel:DWORD
	s_mov_b64 s[42:43], 0
	s_and_saveexec_b64 s[46:47], s[44:45]
	s_xor_b64 s[44:45], exec, s[46:47]
	s_cbranch_execnz .LBB247_553
; %bb.289:
	s_or_saveexec_b64 s[44:45], s[44:45]
	v_mov_b32_e32 v7, 0x7f800001
	s_xor_b64 exec, exec, s[44:45]
	s_cbranch_execnz .LBB247_556
.LBB247_290:
	s_or_b64 exec, exec, s[44:45]
	s_and_saveexec_b64 s[44:45], s[42:43]
	s_cbranch_execz .LBB247_292
.LBB247_291:
	s_mov_b32 s42, 0xffff
	v_and_b32_sdwa v7, s42, v4 dst_sel:DWORD dst_unused:UNUSED_PAD src0_sel:DWORD src1_sel:BYTE_0
	v_and_b32_e32 v8, 3, v7
	v_ffbh_u32_e32 v10, v8
	v_min_u32_e32 v10, 32, v10
	v_subrev_u32_e32 v11, 29, v10
	v_bfe_u32 v9, v7, 2, 5
	v_lshlrev_b32_e32 v7, v11, v7
	v_sub_u32_e32 v10, 30, v10
	v_and_b32_e32 v7, 3, v7
	v_cmp_eq_u32_e32 vcc, 0, v9
	v_cndmask_b32_e32 v9, v9, v10, vcc
	v_cndmask_b32_e32 v7, v8, v7, vcc
	v_lshlrev_b32_e32 v8, 24, v4
	v_mov_b32_e32 v10, 0x37800000
	v_lshlrev_b32_e32 v7, 21, v7
	v_and_b32_e32 v8, 0x80000000, v8
	v_lshl_add_u32 v9, v9, 23, v10
	v_or3_b32 v7, v8, v9, v7
.LBB247_292:
	s_or_b64 exec, exec, s[44:45]
	v_cmp_eq_f32_e64 s[42:43], v6, v7
	v_lshrrev_b16_e32 v7, 8, v5
	s_and_b64 vcc, exec, s[4:5]
	v_lshrrev_b16_e32 v6, 8, v4
	s_cbranch_vccz .LBB247_144
.LBB247_293:
                                        ; implicit-def: $sgpr44_sgpr45
	s_cbranch_execz .LBB247_153
; %bb.294:
	s_movk_i32 s44, 0x7f
	v_cmp_gt_i16_sdwa s[46:47], v5, s44 src0_sel:BYTE_1 src1_sel:DWORD
	s_mov_b64 s[44:45], 0
	s_and_saveexec_b64 s[48:49], s[46:47]
	s_xor_b64 s[46:47], exec, s[48:49]
	s_cbranch_execnz .LBB247_557
; %bb.295:
	s_or_saveexec_b64 s[46:47], s[46:47]
	v_mov_b32_e32 v8, 0x7f800001
	s_xor_b64 exec, exec, s[46:47]
	s_cbranch_execnz .LBB247_560
.LBB247_296:
	s_or_b64 exec, exec, s[46:47]
	s_and_saveexec_b64 s[46:47], s[44:45]
	s_cbranch_execz .LBB247_298
.LBB247_297:
	v_and_b32_e32 v8, 3, v7
	v_ffbh_u32_e32 v10, v8
	v_min_u32_e32 v10, 32, v10
	v_subrev_u32_e32 v11, 29, v10
	v_bfe_u32 v9, v7, 2, 5
	v_lshlrev_b32_e32 v7, v11, v7
	v_sub_u32_e32 v10, 30, v10
	v_and_b32_e32 v7, 3, v7
	v_cmp_eq_u32_e32 vcc, 0, v9
	v_cndmask_b32_e32 v9, v9, v10, vcc
	v_cndmask_b32_e32 v7, v8, v7, vcc
	v_lshlrev_b32_e32 v5, 16, v5
	v_mov_b32_e32 v8, 0x37800000
	v_lshlrev_b32_e32 v7, 21, v7
	v_and_b32_e32 v5, 0x80000000, v5
	v_lshl_add_u32 v8, v9, 23, v8
	v_or3_b32 v8, v5, v8, v7
.LBB247_298:
	s_or_b64 exec, exec, s[46:47]
	s_movk_i32 s44, 0x7f
	v_cmp_gt_i16_sdwa s[46:47], v4, s44 src0_sel:BYTE_1 src1_sel:DWORD
	s_mov_b64 s[44:45], 0
	s_and_saveexec_b64 s[48:49], s[46:47]
	s_xor_b64 s[46:47], exec, s[48:49]
	s_cbranch_execnz .LBB247_561
; %bb.299:
	s_or_saveexec_b64 s[46:47], s[46:47]
	v_mov_b32_e32 v5, 0x7f800001
	s_xor_b64 exec, exec, s[46:47]
	s_cbranch_execnz .LBB247_564
.LBB247_300:
	s_or_b64 exec, exec, s[46:47]
	s_and_saveexec_b64 s[46:47], s[44:45]
	s_cbranch_execz .LBB247_302
.LBB247_301:
	v_and_b32_e32 v5, 3, v6
	v_ffbh_u32_e32 v9, v5
	v_min_u32_e32 v9, 32, v9
	v_subrev_u32_e32 v10, 29, v9
	v_bfe_u32 v7, v6, 2, 5
	v_lshlrev_b32_e32 v6, v10, v6
	v_sub_u32_e32 v9, 30, v9
	v_and_b32_e32 v6, 3, v6
	v_cmp_eq_u32_e32 vcc, 0, v7
	v_cndmask_b32_e32 v7, v7, v9, vcc
	v_cndmask_b32_e32 v5, v5, v6, vcc
	v_lshlrev_b32_e32 v4, 16, v4
	v_mov_b32_e32 v6, 0x37800000
	v_lshlrev_b32_e32 v5, 21, v5
	v_and_b32_e32 v4, 0x80000000, v4
	v_lshl_add_u32 v6, v7, 23, v6
	v_or3_b32 v5, v4, v6, v5
.LBB247_302:
	s_or_b64 exec, exec, s[46:47]
	v_cmp_eq_f32_e64 s[44:45], v8, v5
	s_and_b64 vcc, exec, s[4:5]
	s_cbranch_vccz .LBB247_154
.LBB247_303:
                                        ; implicit-def: $sgpr46_sgpr47
	s_cbranch_execz .LBB247_163
; %bb.304:
	s_movk_i32 s46, 0x7f
	v_cmp_gt_i16_sdwa s[48:49], v3, s46 src0_sel:BYTE_0 src1_sel:DWORD
	s_mov_b64 s[46:47], 0
	s_and_saveexec_b64 s[50:51], s[48:49]
	s_xor_b64 s[48:49], exec, s[50:51]
	s_cbranch_execnz .LBB247_565
; %bb.305:
	s_or_saveexec_b64 s[48:49], s[48:49]
	v_mov_b32_e32 v4, 0x7f800001
	s_xor_b64 exec, exec, s[48:49]
	s_cbranch_execnz .LBB247_568
.LBB247_306:
	s_or_b64 exec, exec, s[48:49]
	s_and_saveexec_b64 s[48:49], s[46:47]
	s_cbranch_execz .LBB247_308
.LBB247_307:
	s_mov_b32 s46, 0xffff
	v_and_b32_sdwa v4, s46, v3 dst_sel:DWORD dst_unused:UNUSED_PAD src0_sel:DWORD src1_sel:BYTE_0
	v_and_b32_e32 v5, 3, v4
	v_ffbh_u32_e32 v7, v5
	v_min_u32_e32 v7, 32, v7
	v_subrev_u32_e32 v8, 29, v7
	v_bfe_u32 v6, v4, 2, 5
	v_lshlrev_b32_e32 v4, v8, v4
	v_sub_u32_e32 v7, 30, v7
	v_and_b32_e32 v4, 3, v4
	v_cmp_eq_u32_e32 vcc, 0, v6
	v_cndmask_b32_e32 v6, v6, v7, vcc
	v_cndmask_b32_e32 v4, v5, v4, vcc
	v_lshlrev_b32_e32 v5, 24, v3
	v_mov_b32_e32 v7, 0x37800000
	v_lshlrev_b32_e32 v4, 21, v4
	v_and_b32_e32 v5, 0x80000000, v5
	v_lshl_add_u32 v6, v6, 23, v7
	v_or3_b32 v4, v5, v6, v4
.LBB247_308:
	s_or_b64 exec, exec, s[48:49]
	s_movk_i32 s46, 0x7f
	s_waitcnt vmcnt(0)
	v_cmp_gt_i16_sdwa s[48:49], v2, s46 src0_sel:BYTE_0 src1_sel:DWORD
	s_mov_b64 s[46:47], 0
	s_and_saveexec_b64 s[50:51], s[48:49]
	s_xor_b64 s[48:49], exec, s[50:51]
	s_cbranch_execnz .LBB247_569
; %bb.309:
	s_or_saveexec_b64 s[48:49], s[48:49]
	v_mov_b32_e32 v5, 0x7f800001
	s_xor_b64 exec, exec, s[48:49]
	s_cbranch_execnz .LBB247_572
.LBB247_310:
	s_or_b64 exec, exec, s[48:49]
	s_and_saveexec_b64 s[48:49], s[46:47]
	s_cbranch_execz .LBB247_312
.LBB247_311:
	s_mov_b32 s46, 0xffff
	v_and_b32_sdwa v5, s46, v2 dst_sel:DWORD dst_unused:UNUSED_PAD src0_sel:DWORD src1_sel:BYTE_0
	v_and_b32_e32 v6, 3, v5
	v_ffbh_u32_e32 v8, v6
	v_min_u32_e32 v8, 32, v8
	v_subrev_u32_e32 v9, 29, v8
	v_bfe_u32 v7, v5, 2, 5
	v_lshlrev_b32_e32 v5, v9, v5
	v_sub_u32_e32 v8, 30, v8
	v_and_b32_e32 v5, 3, v5
	v_cmp_eq_u32_e32 vcc, 0, v7
	v_cndmask_b32_e32 v7, v7, v8, vcc
	v_cndmask_b32_e32 v5, v6, v5, vcc
	v_lshlrev_b32_e32 v6, 24, v2
	v_mov_b32_e32 v8, 0x37800000
	v_lshlrev_b32_e32 v5, 21, v5
	v_and_b32_e32 v6, 0x80000000, v6
	v_lshl_add_u32 v7, v7, 23, v8
	v_or3_b32 v5, v6, v7, v5
.LBB247_312:
	s_or_b64 exec, exec, s[48:49]
	v_cmp_eq_f32_e64 s[46:47], v4, v5
	v_lshrrev_b16_e32 v5, 8, v3
	s_and_b64 vcc, exec, s[4:5]
	v_lshrrev_b16_e32 v4, 8, v2
	s_cbranch_vccz .LBB247_164
.LBB247_313:
                                        ; implicit-def: $sgpr4_sgpr5
	s_cbranch_execz .LBB247_323
; %bb.314:
	s_movk_i32 s4, 0x7f
	v_cmp_gt_i16_sdwa s[48:49], v3, s4 src0_sel:BYTE_1 src1_sel:DWORD
	s_mov_b64 s[4:5], 0
	s_and_saveexec_b64 s[50:51], s[48:49]
	s_xor_b64 s[48:49], exec, s[50:51]
	s_cbranch_execnz .LBB247_573
; %bb.315:
	s_or_saveexec_b64 s[48:49], s[48:49]
	v_mov_b32_e32 v6, 0x7f800001
	s_xor_b64 exec, exec, s[48:49]
	s_cbranch_execnz .LBB247_576
.LBB247_316:
	s_or_b64 exec, exec, s[48:49]
	s_and_saveexec_b64 s[48:49], s[4:5]
	s_cbranch_execz .LBB247_318
.LBB247_317:
	v_and_b32_e32 v6, 3, v5
	v_ffbh_u32_e32 v8, v6
	v_min_u32_e32 v8, 32, v8
	v_subrev_u32_e32 v9, 29, v8
	v_bfe_u32 v7, v5, 2, 5
	v_lshlrev_b32_e32 v5, v9, v5
	v_sub_u32_e32 v8, 30, v8
	v_and_b32_e32 v5, 3, v5
	v_cmp_eq_u32_e32 vcc, 0, v7
	v_cndmask_b32_e32 v7, v7, v8, vcc
	v_cndmask_b32_e32 v5, v6, v5, vcc
	v_lshlrev_b32_e32 v3, 16, v3
	v_mov_b32_e32 v6, 0x37800000
	v_lshlrev_b32_e32 v5, 21, v5
	v_and_b32_e32 v3, 0x80000000, v3
	v_lshl_add_u32 v6, v7, 23, v6
	v_or3_b32 v6, v3, v6, v5
.LBB247_318:
	s_or_b64 exec, exec, s[48:49]
	s_movk_i32 s4, 0x7f
	v_cmp_gt_i16_sdwa s[48:49], v2, s4 src0_sel:BYTE_1 src1_sel:DWORD
	s_mov_b64 s[4:5], 0
	s_and_saveexec_b64 s[50:51], s[48:49]
	s_xor_b64 s[48:49], exec, s[50:51]
	s_cbranch_execnz .LBB247_577
; %bb.319:
	s_or_saveexec_b64 s[48:49], s[48:49]
	v_mov_b32_e32 v3, 0x7f800001
	s_xor_b64 exec, exec, s[48:49]
	s_cbranch_execnz .LBB247_580
.LBB247_320:
	s_or_b64 exec, exec, s[48:49]
	s_and_saveexec_b64 s[48:49], s[4:5]
	s_cbranch_execz .LBB247_322
.LBB247_321:
	v_and_b32_e32 v3, 3, v4
	v_ffbh_u32_e32 v7, v3
	v_min_u32_e32 v7, 32, v7
	v_subrev_u32_e32 v8, 29, v7
	v_bfe_u32 v5, v4, 2, 5
	v_lshlrev_b32_e32 v4, v8, v4
	v_sub_u32_e32 v7, 30, v7
	v_and_b32_e32 v4, 3, v4
	v_cmp_eq_u32_e32 vcc, 0, v5
	v_cndmask_b32_e32 v5, v5, v7, vcc
	v_cndmask_b32_e32 v3, v3, v4, vcc
	v_lshlrev_b32_e32 v2, 16, v2
	v_mov_b32_e32 v4, 0x37800000
	v_lshlrev_b32_e32 v3, 21, v3
	v_and_b32_e32 v2, 0x80000000, v2
	v_lshl_add_u32 v4, v5, 23, v4
	v_or3_b32 v3, v2, v4, v3
.LBB247_322:
	s_or_b64 exec, exec, s[48:49]
	v_cmp_eq_f32_e64 s[4:5], v6, v3
.LBB247_323:
	v_cndmask_b32_e64 v2, 0, 1, s[22:23]
	v_lshlrev_b16_e32 v2, 8, v2
	v_cndmask_b32_e64 v3, 0, 1, s[20:21]
	v_or_b32_e32 v2, v3, v2
	v_cndmask_b32_e64 v3, 0, 1, s[18:19]
	v_lshlrev_b16_e32 v3, 8, v3
	v_cndmask_b32_e64 v4, 0, 1, s[16:17]
	v_or_b32_e32 v3, v4, v3
	;; [unrolled: 4-line block ×7, first 2 shown]
	v_cndmask_b32_e64 v9, 0, 1, s[44:45]
	s_add_u32 s4, s8, s33
	v_lshlrev_b16_e32 v9, 8, v9
	v_cndmask_b32_e64 v10, 0, 1, s[42:43]
	s_addc_u32 s5, s9, s12
	v_or_b32_e32 v9, v10, v9
	global_store_short v1, v3, s[4:5]
	global_store_short v1, v2, s[4:5] offset:512
	global_store_short v1, v5, s[4:5] offset:1024
	global_store_short v1, v4, s[4:5] offset:1536
	global_store_short v1, v7, s[4:5] offset:2048
	global_store_short v1, v6, s[4:5] offset:2560
	global_store_short v1, v9, s[4:5] offset:3072
	global_store_short v1, v8, s[4:5] offset:3584
	s_branch .LBB247_2
.LBB247_324:
	s_getpc_b64 s[4:5]
	s_add_u32 s4, s4, _ZN2at6native25elementwise_kernel_helperILb0ENS0_13BinaryFunctorIN3c1015Float8_e5m2fnuzES4_bNS0_12_GLOBAL__N_116CompareEqFunctorIS4_EEEENS0_6memory8policies11unroll_baseILi256ESt5arrayIPcLm3EE23TrivialOffsetCalculatorILi2EjESF_ILi1EjENS9_15LoadWithoutCastENS9_16StoreWithoutCastELi16ELi1EEEEEvT0_T1_@rel32@lo+4
	s_addc_u32 s5, s5, _ZN2at6native25elementwise_kernel_helperILb0ENS0_13BinaryFunctorIN3c1015Float8_e5m2fnuzES4_bNS0_12_GLOBAL__N_116CompareEqFunctorIS4_EEEENS0_6memory8policies11unroll_baseILi256ESt5arrayIPcLm3EE23TrivialOffsetCalculatorILi2EjESF_ILi1EjENS9_15LoadWithoutCastENS9_16StoreWithoutCastELi16ELi1EEEEEvT0_T1_@rel32@hi+12
	s_mov_b32 s12, s6
	v_mov_b32_e32 v31, v0
	v_mov_b32_e32 v0, s13
	v_mov_b32_e32 v1, s8
	v_mov_b32_e32 v2, s9
	v_mov_b32_e32 v3, s10
	v_mov_b32_e32 v4, s11
	v_mov_b32_e32 v5, s14
	v_mov_b32_e32 v6, s15
	v_mov_b32_e32 v7, s7
	s_swappc_b64 s[30:31], s[4:5]
	s_endpgm
.LBB247_325:
	s_movk_i32 s4, 0x80
	v_cmp_eq_u16_sdwa s[22:23], v17, s4 src0_sel:BYTE_0 src1_sel:DWORD
	s_mov_b64 s[4:5], -1
	s_and_saveexec_b64 s[20:21], s[22:23]
; %bb.326:
	s_xor_b64 s[4:5], exec, -1
; %bb.327:
	s_or_b64 exec, exec, s[20:21]
	s_and_b64 s[4:5], s[4:5], exec
	s_or_saveexec_b64 s[16:17], s[16:17]
	v_mov_b32_e32 v18, 0x7f800001
	s_xor_b64 exec, exec, s[16:17]
	s_cbranch_execz .LBB247_6
.LBB247_328:
	v_mov_b32_e32 v18, 0
	v_cmp_ne_u16_sdwa s[20:21], v17, v18 src0_sel:BYTE_0 src1_sel:DWORD
	s_andn2_b64 s[4:5], s[4:5], exec
	s_and_b64 s[20:21], s[20:21], exec
	s_or_b64 s[4:5], s[4:5], s[20:21]
	s_or_b64 exec, exec, s[16:17]
	s_and_saveexec_b64 s[16:17], s[4:5]
	s_cbranch_execnz .LBB247_7
	s_branch .LBB247_8
.LBB247_329:
	s_movk_i32 s4, 0x80
	v_cmp_eq_u16_sdwa s[22:23], v16, s4 src0_sel:BYTE_0 src1_sel:DWORD
	s_mov_b64 s[4:5], -1
	s_and_saveexec_b64 s[20:21], s[22:23]
; %bb.330:
	s_xor_b64 s[4:5], exec, -1
; %bb.331:
	s_or_b64 exec, exec, s[20:21]
	s_and_b64 s[4:5], s[4:5], exec
	s_or_saveexec_b64 s[16:17], s[16:17]
	v_mov_b32_e32 v19, 0x7f800001
	s_xor_b64 exec, exec, s[16:17]
	s_cbranch_execz .LBB247_10
.LBB247_332:
	v_mov_b32_e32 v19, 0
	v_cmp_ne_u16_sdwa s[20:21], v16, v19 src0_sel:BYTE_0 src1_sel:DWORD
	s_andn2_b64 s[4:5], s[4:5], exec
	s_and_b64 s[20:21], s[20:21], exec
	s_or_b64 s[4:5], s[4:5], s[20:21]
	s_or_b64 exec, exec, s[16:17]
	s_and_saveexec_b64 s[16:17], s[4:5]
	s_cbranch_execnz .LBB247_11
	s_branch .LBB247_12
.LBB247_333:
	s_movk_i32 s18, 0x80
	v_cmp_eq_u16_e32 vcc, s18, v19
	s_mov_b64 s[18:19], -1
	s_and_saveexec_b64 s[22:23], vcc
; %bb.334:
	s_xor_b64 s[18:19], exec, -1
; %bb.335:
	s_or_b64 exec, exec, s[22:23]
	s_and_b64 s[18:19], s[18:19], exec
	s_or_saveexec_b64 s[20:21], s[20:21]
	v_mov_b32_e32 v20, 0x7f800001
	s_xor_b64 exec, exec, s[20:21]
	s_cbranch_execz .LBB247_26
.LBB247_336:
	v_cmp_ne_u16_e32 vcc, 0, v19
	s_andn2_b64 s[18:19], s[18:19], exec
	s_and_b64 s[22:23], vcc, exec
	v_mov_b32_e32 v20, 0
	s_or_b64 s[18:19], s[18:19], s[22:23]
	s_or_b64 exec, exec, s[20:21]
	s_and_saveexec_b64 s[20:21], s[18:19]
	s_cbranch_execnz .LBB247_27
	s_branch .LBB247_28
.LBB247_337:
	s_movk_i32 s18, 0x80
	v_cmp_eq_u16_sdwa s[24:25], v16, s18 src0_sel:BYTE_1 src1_sel:DWORD
	s_mov_b64 s[18:19], -1
	s_and_saveexec_b64 s[22:23], s[24:25]
; %bb.338:
	s_xor_b64 s[18:19], exec, -1
; %bb.339:
	s_or_b64 exec, exec, s[22:23]
	s_and_b64 s[18:19], s[18:19], exec
	s_or_saveexec_b64 s[20:21], s[20:21]
	v_mov_b32_e32 v21, 0x7f800001
	s_xor_b64 exec, exec, s[20:21]
	s_cbranch_execz .LBB247_30
.LBB247_340:
	v_mov_b32_e32 v21, 0
	v_cmp_ne_u16_sdwa s[22:23], v16, v21 src0_sel:BYTE_1 src1_sel:DWORD
	s_andn2_b64 s[18:19], s[18:19], exec
	s_and_b64 s[22:23], s[22:23], exec
	s_or_b64 s[18:19], s[18:19], s[22:23]
	s_or_b64 exec, exec, s[20:21]
	s_and_saveexec_b64 s[20:21], s[18:19]
	s_cbranch_execnz .LBB247_31
	s_branch .LBB247_32
.LBB247_341:
	s_movk_i32 s20, 0x80
	v_cmp_eq_u16_sdwa s[26:27], v15, s20 src0_sel:BYTE_0 src1_sel:DWORD
	s_mov_b64 s[20:21], -1
	s_and_saveexec_b64 s[24:25], s[26:27]
; %bb.342:
	s_xor_b64 s[20:21], exec, -1
; %bb.343:
	s_or_b64 exec, exec, s[24:25]
	s_and_b64 s[20:21], s[20:21], exec
	s_or_saveexec_b64 s[22:23], s[22:23]
	v_mov_b32_e32 v16, 0x7f800001
	s_xor_b64 exec, exec, s[22:23]
	s_cbranch_execz .LBB247_36
.LBB247_344:
	v_mov_b32_e32 v16, 0
	v_cmp_ne_u16_sdwa s[24:25], v15, v16 src0_sel:BYTE_0 src1_sel:DWORD
	s_andn2_b64 s[20:21], s[20:21], exec
	s_and_b64 s[24:25], s[24:25], exec
	s_or_b64 s[20:21], s[20:21], s[24:25]
	s_or_b64 exec, exec, s[22:23]
	s_and_saveexec_b64 s[22:23], s[20:21]
	s_cbranch_execnz .LBB247_37
	s_branch .LBB247_38
.LBB247_345:
	s_movk_i32 s20, 0x80
	v_cmp_eq_u16_sdwa s[26:27], v14, s20 src0_sel:BYTE_0 src1_sel:DWORD
	s_mov_b64 s[20:21], -1
	s_and_saveexec_b64 s[24:25], s[26:27]
; %bb.346:
	s_xor_b64 s[20:21], exec, -1
; %bb.347:
	s_or_b64 exec, exec, s[24:25]
	s_and_b64 s[20:21], s[20:21], exec
	s_or_saveexec_b64 s[22:23], s[22:23]
	v_mov_b32_e32 v17, 0x7f800001
	s_xor_b64 exec, exec, s[22:23]
	s_cbranch_execz .LBB247_40
.LBB247_348:
	v_mov_b32_e32 v17, 0
	v_cmp_ne_u16_sdwa s[24:25], v14, v17 src0_sel:BYTE_0 src1_sel:DWORD
	s_andn2_b64 s[20:21], s[20:21], exec
	s_and_b64 s[24:25], s[24:25], exec
	s_or_b64 s[20:21], s[20:21], s[24:25]
	s_or_b64 exec, exec, s[22:23]
	s_and_saveexec_b64 s[22:23], s[20:21]
	s_cbranch_execnz .LBB247_41
	s_branch .LBB247_42
.LBB247_349:
	s_movk_i32 s22, 0x80
	v_cmp_eq_u16_e32 vcc, s22, v17
	s_mov_b64 s[22:23], -1
	s_and_saveexec_b64 s[26:27], vcc
; %bb.350:
	s_xor_b64 s[22:23], exec, -1
; %bb.351:
	s_or_b64 exec, exec, s[26:27]
	s_and_b64 s[22:23], s[22:23], exec
	s_or_saveexec_b64 s[24:25], s[24:25]
	v_mov_b32_e32 v18, 0x7f800001
	s_xor_b64 exec, exec, s[24:25]
	s_cbranch_execz .LBB247_46
.LBB247_352:
	v_cmp_ne_u16_e32 vcc, 0, v17
	s_andn2_b64 s[22:23], s[22:23], exec
	s_and_b64 s[26:27], vcc, exec
	v_mov_b32_e32 v18, 0
	s_or_b64 s[22:23], s[22:23], s[26:27]
	s_or_b64 exec, exec, s[24:25]
	s_and_saveexec_b64 s[24:25], s[22:23]
	s_cbranch_execnz .LBB247_47
	s_branch .LBB247_48
.LBB247_353:
	s_movk_i32 s22, 0x80
	v_cmp_eq_u16_sdwa s[28:29], v14, s22 src0_sel:BYTE_1 src1_sel:DWORD
	s_mov_b64 s[22:23], -1
	s_and_saveexec_b64 s[26:27], s[28:29]
; %bb.354:
	s_xor_b64 s[22:23], exec, -1
; %bb.355:
	s_or_b64 exec, exec, s[26:27]
	s_and_b64 s[22:23], s[22:23], exec
	s_or_saveexec_b64 s[24:25], s[24:25]
	v_mov_b32_e32 v19, 0x7f800001
	s_xor_b64 exec, exec, s[24:25]
	s_cbranch_execz .LBB247_50
.LBB247_356:
	v_mov_b32_e32 v19, 0
	v_cmp_ne_u16_sdwa s[26:27], v14, v19 src0_sel:BYTE_1 src1_sel:DWORD
	s_andn2_b64 s[22:23], s[22:23], exec
	s_and_b64 s[26:27], s[26:27], exec
	s_or_b64 s[22:23], s[22:23], s[26:27]
	s_or_b64 exec, exec, s[24:25]
	s_and_saveexec_b64 s[24:25], s[22:23]
	s_cbranch_execnz .LBB247_51
	s_branch .LBB247_52
.LBB247_357:
	s_movk_i32 s24, 0x80
	v_cmp_eq_u16_sdwa s[30:31], v13, s24 src0_sel:BYTE_0 src1_sel:DWORD
	s_mov_b64 s[24:25], -1
	s_and_saveexec_b64 s[28:29], s[30:31]
; %bb.358:
	s_xor_b64 s[24:25], exec, -1
; %bb.359:
	s_or_b64 exec, exec, s[28:29]
	s_and_b64 s[24:25], s[24:25], exec
	s_or_saveexec_b64 s[26:27], s[26:27]
	v_mov_b32_e32 v14, 0x7f800001
	s_xor_b64 exec, exec, s[26:27]
	s_cbranch_execz .LBB247_56
.LBB247_360:
	v_mov_b32_e32 v14, 0
	v_cmp_ne_u16_sdwa s[28:29], v13, v14 src0_sel:BYTE_0 src1_sel:DWORD
	s_andn2_b64 s[24:25], s[24:25], exec
	s_and_b64 s[28:29], s[28:29], exec
	s_or_b64 s[24:25], s[24:25], s[28:29]
	s_or_b64 exec, exec, s[26:27]
	s_and_saveexec_b64 s[26:27], s[24:25]
	s_cbranch_execnz .LBB247_57
	s_branch .LBB247_58
.LBB247_361:
	s_movk_i32 s24, 0x80
	v_cmp_eq_u16_sdwa s[30:31], v12, s24 src0_sel:BYTE_0 src1_sel:DWORD
	s_mov_b64 s[24:25], -1
	s_and_saveexec_b64 s[28:29], s[30:31]
; %bb.362:
	s_xor_b64 s[24:25], exec, -1
; %bb.363:
	s_or_b64 exec, exec, s[28:29]
	s_and_b64 s[24:25], s[24:25], exec
	s_or_saveexec_b64 s[26:27], s[26:27]
	v_mov_b32_e32 v15, 0x7f800001
	s_xor_b64 exec, exec, s[26:27]
	s_cbranch_execz .LBB247_60
.LBB247_364:
	v_mov_b32_e32 v15, 0
	v_cmp_ne_u16_sdwa s[28:29], v12, v15 src0_sel:BYTE_0 src1_sel:DWORD
	s_andn2_b64 s[24:25], s[24:25], exec
	s_and_b64 s[28:29], s[28:29], exec
	s_or_b64 s[24:25], s[24:25], s[28:29]
	s_or_b64 exec, exec, s[26:27]
	s_and_saveexec_b64 s[26:27], s[24:25]
	s_cbranch_execnz .LBB247_61
	s_branch .LBB247_62
.LBB247_365:
	s_movk_i32 s26, 0x80
	v_cmp_eq_u16_e32 vcc, s26, v15
	s_mov_b64 s[26:27], -1
	s_and_saveexec_b64 s[30:31], vcc
; %bb.366:
	s_xor_b64 s[26:27], exec, -1
; %bb.367:
	s_or_b64 exec, exec, s[30:31]
	s_and_b64 s[26:27], s[26:27], exec
	s_or_saveexec_b64 s[28:29], s[28:29]
	v_mov_b32_e32 v16, 0x7f800001
	s_xor_b64 exec, exec, s[28:29]
	s_cbranch_execz .LBB247_66
.LBB247_368:
	v_cmp_ne_u16_e32 vcc, 0, v15
	s_andn2_b64 s[26:27], s[26:27], exec
	s_and_b64 s[30:31], vcc, exec
	v_mov_b32_e32 v16, 0
	s_or_b64 s[26:27], s[26:27], s[30:31]
	s_or_b64 exec, exec, s[28:29]
	s_and_saveexec_b64 s[28:29], s[26:27]
	s_cbranch_execnz .LBB247_67
	s_branch .LBB247_68
.LBB247_369:
	s_movk_i32 s26, 0x80
	v_cmp_eq_u16_sdwa s[34:35], v12, s26 src0_sel:BYTE_1 src1_sel:DWORD
	s_mov_b64 s[26:27], -1
	s_and_saveexec_b64 s[30:31], s[34:35]
; %bb.370:
	s_xor_b64 s[26:27], exec, -1
; %bb.371:
	s_or_b64 exec, exec, s[30:31]
	s_and_b64 s[26:27], s[26:27], exec
	s_or_saveexec_b64 s[28:29], s[28:29]
	v_mov_b32_e32 v17, 0x7f800001
	s_xor_b64 exec, exec, s[28:29]
	s_cbranch_execz .LBB247_70
.LBB247_372:
	v_mov_b32_e32 v17, 0
	v_cmp_ne_u16_sdwa s[30:31], v12, v17 src0_sel:BYTE_1 src1_sel:DWORD
	s_andn2_b64 s[26:27], s[26:27], exec
	s_and_b64 s[30:31], s[30:31], exec
	s_or_b64 s[26:27], s[26:27], s[30:31]
	s_or_b64 exec, exec, s[28:29]
	s_and_saveexec_b64 s[28:29], s[26:27]
	s_cbranch_execnz .LBB247_71
	s_branch .LBB247_72
.LBB247_373:
	s_movk_i32 s28, 0x80
	v_cmp_eq_u16_sdwa s[36:37], v11, s28 src0_sel:BYTE_0 src1_sel:DWORD
	s_mov_b64 s[28:29], -1
	s_and_saveexec_b64 s[34:35], s[36:37]
; %bb.374:
	s_xor_b64 s[28:29], exec, -1
; %bb.375:
	s_or_b64 exec, exec, s[34:35]
	s_and_b64 s[28:29], s[28:29], exec
	s_or_saveexec_b64 s[30:31], s[30:31]
	v_mov_b32_e32 v12, 0x7f800001
	s_xor_b64 exec, exec, s[30:31]
	s_cbranch_execz .LBB247_76
.LBB247_376:
	v_mov_b32_e32 v12, 0
	v_cmp_ne_u16_sdwa s[34:35], v11, v12 src0_sel:BYTE_0 src1_sel:DWORD
	s_andn2_b64 s[28:29], s[28:29], exec
	s_and_b64 s[34:35], s[34:35], exec
	s_or_b64 s[28:29], s[28:29], s[34:35]
	s_or_b64 exec, exec, s[30:31]
	s_and_saveexec_b64 s[30:31], s[28:29]
	s_cbranch_execnz .LBB247_77
	s_branch .LBB247_78
.LBB247_377:
	s_movk_i32 s28, 0x80
	v_cmp_eq_u16_sdwa s[36:37], v10, s28 src0_sel:BYTE_0 src1_sel:DWORD
	s_mov_b64 s[28:29], -1
	s_and_saveexec_b64 s[34:35], s[36:37]
; %bb.378:
	s_xor_b64 s[28:29], exec, -1
; %bb.379:
	s_or_b64 exec, exec, s[34:35]
	s_and_b64 s[28:29], s[28:29], exec
	s_or_saveexec_b64 s[30:31], s[30:31]
	v_mov_b32_e32 v13, 0x7f800001
	s_xor_b64 exec, exec, s[30:31]
	s_cbranch_execz .LBB247_80
.LBB247_380:
	v_mov_b32_e32 v13, 0
	v_cmp_ne_u16_sdwa s[34:35], v10, v13 src0_sel:BYTE_0 src1_sel:DWORD
	s_andn2_b64 s[28:29], s[28:29], exec
	s_and_b64 s[34:35], s[34:35], exec
	s_or_b64 s[28:29], s[28:29], s[34:35]
	s_or_b64 exec, exec, s[30:31]
	s_and_saveexec_b64 s[30:31], s[28:29]
	s_cbranch_execnz .LBB247_81
	s_branch .LBB247_82
.LBB247_381:
	s_movk_i32 s30, 0x80
	v_cmp_eq_u16_e32 vcc, s30, v13
	s_mov_b64 s[30:31], -1
	s_and_saveexec_b64 s[36:37], vcc
; %bb.382:
	s_xor_b64 s[30:31], exec, -1
; %bb.383:
	s_or_b64 exec, exec, s[36:37]
	s_and_b64 s[30:31], s[30:31], exec
	s_or_saveexec_b64 s[34:35], s[34:35]
	v_mov_b32_e32 v14, 0x7f800001
	s_xor_b64 exec, exec, s[34:35]
	s_cbranch_execz .LBB247_86
.LBB247_384:
	v_cmp_ne_u16_e32 vcc, 0, v13
	s_andn2_b64 s[30:31], s[30:31], exec
	s_and_b64 s[36:37], vcc, exec
	v_mov_b32_e32 v14, 0
	s_or_b64 s[30:31], s[30:31], s[36:37]
	s_or_b64 exec, exec, s[34:35]
	s_and_saveexec_b64 s[34:35], s[30:31]
	s_cbranch_execnz .LBB247_87
	s_branch .LBB247_88
.LBB247_385:
	s_movk_i32 s30, 0x80
	v_cmp_eq_u16_sdwa s[38:39], v10, s30 src0_sel:BYTE_1 src1_sel:DWORD
	s_mov_b64 s[30:31], -1
	s_and_saveexec_b64 s[36:37], s[38:39]
; %bb.386:
	s_xor_b64 s[30:31], exec, -1
; %bb.387:
	s_or_b64 exec, exec, s[36:37]
	s_and_b64 s[30:31], s[30:31], exec
	s_or_saveexec_b64 s[34:35], s[34:35]
	v_mov_b32_e32 v15, 0x7f800001
	s_xor_b64 exec, exec, s[34:35]
	s_cbranch_execz .LBB247_90
.LBB247_388:
	v_mov_b32_e32 v15, 0
	v_cmp_ne_u16_sdwa s[36:37], v10, v15 src0_sel:BYTE_1 src1_sel:DWORD
	s_andn2_b64 s[30:31], s[30:31], exec
	s_and_b64 s[36:37], s[36:37], exec
	s_or_b64 s[30:31], s[30:31], s[36:37]
	s_or_b64 exec, exec, s[34:35]
	s_and_saveexec_b64 s[34:35], s[30:31]
	s_cbranch_execnz .LBB247_91
	s_branch .LBB247_92
.LBB247_389:
	s_movk_i32 s34, 0x80
	v_cmp_eq_u16_sdwa s[40:41], v9, s34 src0_sel:BYTE_0 src1_sel:DWORD
	s_mov_b64 s[34:35], -1
	s_and_saveexec_b64 s[38:39], s[40:41]
; %bb.390:
	s_xor_b64 s[34:35], exec, -1
; %bb.391:
	s_or_b64 exec, exec, s[38:39]
	s_and_b64 s[34:35], s[34:35], exec
	s_or_saveexec_b64 s[36:37], s[36:37]
	v_mov_b32_e32 v10, 0x7f800001
	s_xor_b64 exec, exec, s[36:37]
	s_cbranch_execz .LBB247_96
.LBB247_392:
	v_mov_b32_e32 v10, 0
	v_cmp_ne_u16_sdwa s[38:39], v9, v10 src0_sel:BYTE_0 src1_sel:DWORD
	s_andn2_b64 s[34:35], s[34:35], exec
	s_and_b64 s[38:39], s[38:39], exec
	s_or_b64 s[34:35], s[34:35], s[38:39]
	s_or_b64 exec, exec, s[36:37]
	s_and_saveexec_b64 s[36:37], s[34:35]
	s_cbranch_execnz .LBB247_97
	s_branch .LBB247_98
.LBB247_393:
	s_movk_i32 s34, 0x80
	v_cmp_eq_u16_sdwa s[40:41], v8, s34 src0_sel:BYTE_0 src1_sel:DWORD
	s_mov_b64 s[34:35], -1
	s_and_saveexec_b64 s[38:39], s[40:41]
; %bb.394:
	s_xor_b64 s[34:35], exec, -1
; %bb.395:
	s_or_b64 exec, exec, s[38:39]
	s_and_b64 s[34:35], s[34:35], exec
	s_or_saveexec_b64 s[36:37], s[36:37]
	v_mov_b32_e32 v11, 0x7f800001
	s_xor_b64 exec, exec, s[36:37]
	s_cbranch_execz .LBB247_100
.LBB247_396:
	v_mov_b32_e32 v11, 0
	v_cmp_ne_u16_sdwa s[38:39], v8, v11 src0_sel:BYTE_0 src1_sel:DWORD
	s_andn2_b64 s[34:35], s[34:35], exec
	s_and_b64 s[38:39], s[38:39], exec
	s_or_b64 s[34:35], s[34:35], s[38:39]
	s_or_b64 exec, exec, s[36:37]
	s_and_saveexec_b64 s[36:37], s[34:35]
	s_cbranch_execnz .LBB247_101
	s_branch .LBB247_102
.LBB247_397:
	s_movk_i32 s36, 0x80
	v_cmp_eq_u16_e32 vcc, s36, v11
	s_mov_b64 s[36:37], -1
	s_and_saveexec_b64 s[40:41], vcc
; %bb.398:
	s_xor_b64 s[36:37], exec, -1
; %bb.399:
	s_or_b64 exec, exec, s[40:41]
	s_and_b64 s[36:37], s[36:37], exec
	s_or_saveexec_b64 s[38:39], s[38:39]
	v_mov_b32_e32 v12, 0x7f800001
	s_xor_b64 exec, exec, s[38:39]
	s_cbranch_execz .LBB247_106
.LBB247_400:
	v_cmp_ne_u16_e32 vcc, 0, v11
	s_andn2_b64 s[36:37], s[36:37], exec
	s_and_b64 s[40:41], vcc, exec
	v_mov_b32_e32 v12, 0
	s_or_b64 s[36:37], s[36:37], s[40:41]
	s_or_b64 exec, exec, s[38:39]
	s_and_saveexec_b64 s[38:39], s[36:37]
	s_cbranch_execnz .LBB247_107
	s_branch .LBB247_108
.LBB247_401:
	s_movk_i32 s36, 0x80
	v_cmp_eq_u16_sdwa s[42:43], v8, s36 src0_sel:BYTE_1 src1_sel:DWORD
	s_mov_b64 s[36:37], -1
	s_and_saveexec_b64 s[40:41], s[42:43]
; %bb.402:
	s_xor_b64 s[36:37], exec, -1
; %bb.403:
	s_or_b64 exec, exec, s[40:41]
	s_and_b64 s[36:37], s[36:37], exec
	s_or_saveexec_b64 s[38:39], s[38:39]
	v_mov_b32_e32 v13, 0x7f800001
	s_xor_b64 exec, exec, s[38:39]
	s_cbranch_execz .LBB247_110
.LBB247_404:
	v_mov_b32_e32 v13, 0
	v_cmp_ne_u16_sdwa s[40:41], v8, v13 src0_sel:BYTE_1 src1_sel:DWORD
	s_andn2_b64 s[36:37], s[36:37], exec
	s_and_b64 s[40:41], s[40:41], exec
	s_or_b64 s[36:37], s[36:37], s[40:41]
	s_or_b64 exec, exec, s[38:39]
	s_and_saveexec_b64 s[38:39], s[36:37]
	s_cbranch_execnz .LBB247_111
	s_branch .LBB247_112
.LBB247_405:
	s_movk_i32 s38, 0x80
	v_cmp_eq_u16_sdwa s[44:45], v7, s38 src0_sel:BYTE_0 src1_sel:DWORD
	s_mov_b64 s[38:39], -1
	s_and_saveexec_b64 s[42:43], s[44:45]
; %bb.406:
	s_xor_b64 s[38:39], exec, -1
; %bb.407:
	s_or_b64 exec, exec, s[42:43]
	s_and_b64 s[38:39], s[38:39], exec
	s_or_saveexec_b64 s[40:41], s[40:41]
	v_mov_b32_e32 v8, 0x7f800001
	s_xor_b64 exec, exec, s[40:41]
	s_cbranch_execz .LBB247_116
.LBB247_408:
	v_mov_b32_e32 v8, 0
	v_cmp_ne_u16_sdwa s[42:43], v7, v8 src0_sel:BYTE_0 src1_sel:DWORD
	s_andn2_b64 s[38:39], s[38:39], exec
	s_and_b64 s[42:43], s[42:43], exec
	s_or_b64 s[38:39], s[38:39], s[42:43]
	s_or_b64 exec, exec, s[40:41]
	s_and_saveexec_b64 s[40:41], s[38:39]
	s_cbranch_execnz .LBB247_117
	s_branch .LBB247_118
.LBB247_409:
	s_movk_i32 s38, 0x80
	v_cmp_eq_u16_sdwa s[44:45], v6, s38 src0_sel:BYTE_0 src1_sel:DWORD
	s_mov_b64 s[38:39], -1
	s_and_saveexec_b64 s[42:43], s[44:45]
; %bb.410:
	s_xor_b64 s[38:39], exec, -1
; %bb.411:
	s_or_b64 exec, exec, s[42:43]
	s_and_b64 s[38:39], s[38:39], exec
	s_or_saveexec_b64 s[40:41], s[40:41]
	v_mov_b32_e32 v9, 0x7f800001
	s_xor_b64 exec, exec, s[40:41]
	s_cbranch_execz .LBB247_120
.LBB247_412:
	v_mov_b32_e32 v9, 0
	v_cmp_ne_u16_sdwa s[42:43], v6, v9 src0_sel:BYTE_0 src1_sel:DWORD
	s_andn2_b64 s[38:39], s[38:39], exec
	s_and_b64 s[42:43], s[42:43], exec
	s_or_b64 s[38:39], s[38:39], s[42:43]
	s_or_b64 exec, exec, s[40:41]
	s_and_saveexec_b64 s[40:41], s[38:39]
	s_cbranch_execnz .LBB247_121
	s_branch .LBB247_122
.LBB247_413:
	s_movk_i32 s40, 0x80
	v_cmp_eq_u16_e32 vcc, s40, v9
	s_mov_b64 s[40:41], -1
	s_and_saveexec_b64 s[44:45], vcc
; %bb.414:
	s_xor_b64 s[40:41], exec, -1
; %bb.415:
	s_or_b64 exec, exec, s[44:45]
	s_and_b64 s[40:41], s[40:41], exec
	s_or_saveexec_b64 s[42:43], s[42:43]
	v_mov_b32_e32 v10, 0x7f800001
	s_xor_b64 exec, exec, s[42:43]
	s_cbranch_execz .LBB247_126
.LBB247_416:
	v_cmp_ne_u16_e32 vcc, 0, v9
	s_andn2_b64 s[40:41], s[40:41], exec
	s_and_b64 s[44:45], vcc, exec
	v_mov_b32_e32 v10, 0
	s_or_b64 s[40:41], s[40:41], s[44:45]
	s_or_b64 exec, exec, s[42:43]
	s_and_saveexec_b64 s[42:43], s[40:41]
	s_cbranch_execnz .LBB247_127
	s_branch .LBB247_128
.LBB247_417:
	s_movk_i32 s40, 0x80
	v_cmp_eq_u16_sdwa s[46:47], v6, s40 src0_sel:BYTE_1 src1_sel:DWORD
	s_mov_b64 s[40:41], -1
	s_and_saveexec_b64 s[44:45], s[46:47]
; %bb.418:
	s_xor_b64 s[40:41], exec, -1
; %bb.419:
	s_or_b64 exec, exec, s[44:45]
	s_and_b64 s[40:41], s[40:41], exec
	s_or_saveexec_b64 s[42:43], s[42:43]
	v_mov_b32_e32 v11, 0x7f800001
	s_xor_b64 exec, exec, s[42:43]
	s_cbranch_execz .LBB247_130
.LBB247_420:
	v_mov_b32_e32 v11, 0
	v_cmp_ne_u16_sdwa s[44:45], v6, v11 src0_sel:BYTE_1 src1_sel:DWORD
	s_andn2_b64 s[40:41], s[40:41], exec
	s_and_b64 s[44:45], s[44:45], exec
	s_or_b64 s[40:41], s[40:41], s[44:45]
	s_or_b64 exec, exec, s[42:43]
	s_and_saveexec_b64 s[42:43], s[40:41]
	s_cbranch_execnz .LBB247_131
	s_branch .LBB247_132
.LBB247_421:
	s_movk_i32 s42, 0x80
	v_cmp_eq_u16_sdwa s[48:49], v5, s42 src0_sel:BYTE_0 src1_sel:DWORD
	s_mov_b64 s[42:43], -1
	s_and_saveexec_b64 s[46:47], s[48:49]
; %bb.422:
	s_xor_b64 s[42:43], exec, -1
; %bb.423:
	s_or_b64 exec, exec, s[46:47]
	s_and_b64 s[42:43], s[42:43], exec
	s_or_saveexec_b64 s[44:45], s[44:45]
	v_mov_b32_e32 v6, 0x7f800001
	s_xor_b64 exec, exec, s[44:45]
	s_cbranch_execz .LBB247_136
.LBB247_424:
	v_mov_b32_e32 v6, 0
	v_cmp_ne_u16_sdwa s[46:47], v5, v6 src0_sel:BYTE_0 src1_sel:DWORD
	s_andn2_b64 s[42:43], s[42:43], exec
	s_and_b64 s[46:47], s[46:47], exec
	s_or_b64 s[42:43], s[42:43], s[46:47]
	s_or_b64 exec, exec, s[44:45]
	s_and_saveexec_b64 s[44:45], s[42:43]
	s_cbranch_execnz .LBB247_137
	s_branch .LBB247_138
.LBB247_425:
	s_movk_i32 s42, 0x80
	v_cmp_eq_u16_sdwa s[48:49], v4, s42 src0_sel:BYTE_0 src1_sel:DWORD
	s_mov_b64 s[42:43], -1
	s_and_saveexec_b64 s[46:47], s[48:49]
; %bb.426:
	s_xor_b64 s[42:43], exec, -1
; %bb.427:
	s_or_b64 exec, exec, s[46:47]
	s_and_b64 s[42:43], s[42:43], exec
	s_or_saveexec_b64 s[44:45], s[44:45]
	v_mov_b32_e32 v7, 0x7f800001
	s_xor_b64 exec, exec, s[44:45]
	s_cbranch_execz .LBB247_140
.LBB247_428:
	v_mov_b32_e32 v7, 0
	v_cmp_ne_u16_sdwa s[46:47], v4, v7 src0_sel:BYTE_0 src1_sel:DWORD
	s_andn2_b64 s[42:43], s[42:43], exec
	s_and_b64 s[46:47], s[46:47], exec
	s_or_b64 s[42:43], s[42:43], s[46:47]
	s_or_b64 exec, exec, s[44:45]
	s_and_saveexec_b64 s[44:45], s[42:43]
	s_cbranch_execnz .LBB247_141
	s_branch .LBB247_142
.LBB247_429:
	s_movk_i32 s44, 0x80
	v_cmp_eq_u16_e32 vcc, s44, v7
	s_mov_b64 s[44:45], -1
	s_and_saveexec_b64 s[48:49], vcc
; %bb.430:
	s_xor_b64 s[44:45], exec, -1
; %bb.431:
	s_or_b64 exec, exec, s[48:49]
	s_and_b64 s[44:45], s[44:45], exec
	s_or_saveexec_b64 s[46:47], s[46:47]
	v_mov_b32_e32 v8, 0x7f800001
	s_xor_b64 exec, exec, s[46:47]
	s_cbranch_execz .LBB247_146
.LBB247_432:
	v_cmp_ne_u16_e32 vcc, 0, v7
	s_andn2_b64 s[44:45], s[44:45], exec
	s_and_b64 s[48:49], vcc, exec
	v_mov_b32_e32 v8, 0
	s_or_b64 s[44:45], s[44:45], s[48:49]
	s_or_b64 exec, exec, s[46:47]
	s_and_saveexec_b64 s[46:47], s[44:45]
	s_cbranch_execnz .LBB247_147
	s_branch .LBB247_148
.LBB247_433:
	s_movk_i32 s44, 0x80
	v_cmp_eq_u16_sdwa s[50:51], v4, s44 src0_sel:BYTE_1 src1_sel:DWORD
	s_mov_b64 s[44:45], -1
	s_and_saveexec_b64 s[48:49], s[50:51]
; %bb.434:
	s_xor_b64 s[44:45], exec, -1
; %bb.435:
	s_or_b64 exec, exec, s[48:49]
	s_and_b64 s[44:45], s[44:45], exec
	s_or_saveexec_b64 s[46:47], s[46:47]
	v_mov_b32_e32 v9, 0x7f800001
	s_xor_b64 exec, exec, s[46:47]
	s_cbranch_execz .LBB247_150
.LBB247_436:
	v_mov_b32_e32 v9, 0
	v_cmp_ne_u16_sdwa s[48:49], v4, v9 src0_sel:BYTE_1 src1_sel:DWORD
	s_andn2_b64 s[44:45], s[44:45], exec
	s_and_b64 s[48:49], s[48:49], exec
	s_or_b64 s[44:45], s[44:45], s[48:49]
	s_or_b64 exec, exec, s[46:47]
	s_and_saveexec_b64 s[46:47], s[44:45]
	s_cbranch_execnz .LBB247_151
	s_branch .LBB247_152
.LBB247_437:
	s_movk_i32 s46, 0x80
	v_cmp_eq_u16_sdwa s[52:53], v3, s46 src0_sel:BYTE_0 src1_sel:DWORD
	s_mov_b64 s[46:47], -1
	s_and_saveexec_b64 s[50:51], s[52:53]
; %bb.438:
	s_xor_b64 s[46:47], exec, -1
; %bb.439:
	s_or_b64 exec, exec, s[50:51]
	s_and_b64 s[46:47], s[46:47], exec
	s_or_saveexec_b64 s[48:49], s[48:49]
	v_mov_b32_e32 v4, 0x7f800001
	s_xor_b64 exec, exec, s[48:49]
	s_cbranch_execz .LBB247_156
.LBB247_440:
	v_mov_b32_e32 v4, 0
	v_cmp_ne_u16_sdwa s[50:51], v3, v4 src0_sel:BYTE_0 src1_sel:DWORD
	s_andn2_b64 s[46:47], s[46:47], exec
	s_and_b64 s[50:51], s[50:51], exec
	s_or_b64 s[46:47], s[46:47], s[50:51]
	s_or_b64 exec, exec, s[48:49]
	s_and_saveexec_b64 s[48:49], s[46:47]
	s_cbranch_execnz .LBB247_157
	s_branch .LBB247_158
.LBB247_441:
	s_movk_i32 s46, 0x80
	v_cmp_eq_u16_sdwa s[52:53], v2, s46 src0_sel:BYTE_0 src1_sel:DWORD
	s_mov_b64 s[46:47], -1
	s_and_saveexec_b64 s[50:51], s[52:53]
; %bb.442:
	s_xor_b64 s[46:47], exec, -1
; %bb.443:
	s_or_b64 exec, exec, s[50:51]
	s_and_b64 s[46:47], s[46:47], exec
	s_or_saveexec_b64 s[48:49], s[48:49]
	v_mov_b32_e32 v5, 0x7f800001
	s_xor_b64 exec, exec, s[48:49]
	s_cbranch_execz .LBB247_160
.LBB247_444:
	v_mov_b32_e32 v5, 0
	v_cmp_ne_u16_sdwa s[50:51], v2, v5 src0_sel:BYTE_0 src1_sel:DWORD
	s_andn2_b64 s[46:47], s[46:47], exec
	s_and_b64 s[50:51], s[50:51], exec
	s_or_b64 s[46:47], s[46:47], s[50:51]
	s_or_b64 exec, exec, s[48:49]
	s_and_saveexec_b64 s[48:49], s[46:47]
	s_cbranch_execnz .LBB247_161
	s_branch .LBB247_162
.LBB247_445:
	s_movk_i32 s4, 0x80
	v_cmp_eq_u16_e32 vcc, s4, v5
	s_mov_b64 s[4:5], -1
	s_and_saveexec_b64 s[50:51], vcc
; %bb.446:
	s_xor_b64 s[4:5], exec, -1
; %bb.447:
	s_or_b64 exec, exec, s[50:51]
	s_and_b64 s[4:5], s[4:5], exec
	s_or_saveexec_b64 s[48:49], s[48:49]
	v_mov_b32_e32 v6, 0x7f800001
	s_xor_b64 exec, exec, s[48:49]
	s_cbranch_execz .LBB247_166
.LBB247_448:
	v_cmp_ne_u16_e32 vcc, 0, v5
	s_andn2_b64 s[4:5], s[4:5], exec
	s_and_b64 s[50:51], vcc, exec
	v_mov_b32_e32 v6, 0
	s_or_b64 s[4:5], s[4:5], s[50:51]
	s_or_b64 exec, exec, s[48:49]
	s_and_saveexec_b64 s[48:49], s[4:5]
	s_cbranch_execnz .LBB247_167
	s_branch .LBB247_168
.LBB247_449:
	s_movk_i32 s4, 0x80
	v_cmp_eq_u16_sdwa s[52:53], v2, s4 src0_sel:BYTE_1 src1_sel:DWORD
	s_mov_b64 s[4:5], -1
	s_and_saveexec_b64 s[50:51], s[52:53]
; %bb.450:
	s_xor_b64 s[4:5], exec, -1
; %bb.451:
	s_or_b64 exec, exec, s[50:51]
	s_and_b64 s[4:5], s[4:5], exec
	s_or_saveexec_b64 s[48:49], s[48:49]
	v_mov_b32_e32 v7, 0x7f800001
	s_xor_b64 exec, exec, s[48:49]
	s_cbranch_execz .LBB247_170
.LBB247_452:
	v_mov_b32_e32 v7, 0
	v_cmp_ne_u16_sdwa s[50:51], v2, v7 src0_sel:BYTE_1 src1_sel:DWORD
	s_andn2_b64 s[4:5], s[4:5], exec
	s_and_b64 s[50:51], s[50:51], exec
	s_or_b64 s[4:5], s[4:5], s[50:51]
	s_or_b64 exec, exec, s[48:49]
	s_and_saveexec_b64 s[48:49], s[4:5]
	s_cbranch_execnz .LBB247_171
	s_branch .LBB247_172
.LBB247_453:
	s_movk_i32 s4, 0x80
	v_cmp_eq_u16_sdwa s[22:23], v17, s4 src0_sel:BYTE_0 src1_sel:DWORD
	s_mov_b64 s[4:5], -1
	s_and_saveexec_b64 s[20:21], s[22:23]
; %bb.454:
	s_xor_b64 s[4:5], exec, -1
; %bb.455:
	s_or_b64 exec, exec, s[20:21]
	s_and_b64 s[4:5], s[4:5], exec
	s_or_saveexec_b64 s[16:17], s[16:17]
	v_mov_b32_e32 v18, 0x7f800001
	s_xor_b64 exec, exec, s[16:17]
	s_cbranch_execz .LBB247_16
.LBB247_456:
	v_mov_b32_e32 v18, 0
	v_cmp_ne_u16_sdwa s[20:21], v17, v18 src0_sel:BYTE_0 src1_sel:DWORD
	s_andn2_b64 s[4:5], s[4:5], exec
	s_and_b64 s[20:21], s[20:21], exec
	s_or_b64 s[4:5], s[4:5], s[20:21]
	s_or_b64 exec, exec, s[16:17]
	s_and_saveexec_b64 s[16:17], s[4:5]
	s_cbranch_execnz .LBB247_17
	s_branch .LBB247_18
.LBB247_457:
	s_movk_i32 s4, 0x80
	v_cmp_eq_u16_sdwa s[22:23], v16, s4 src0_sel:BYTE_0 src1_sel:DWORD
	s_mov_b64 s[4:5], -1
	s_and_saveexec_b64 s[20:21], s[22:23]
; %bb.458:
	s_xor_b64 s[4:5], exec, -1
; %bb.459:
	s_or_b64 exec, exec, s[20:21]
	s_and_b64 s[4:5], s[4:5], exec
	s_or_saveexec_b64 s[16:17], s[16:17]
	v_mov_b32_e32 v19, 0x7f800001
	s_xor_b64 exec, exec, s[16:17]
	s_cbranch_execz .LBB247_20
.LBB247_460:
	v_mov_b32_e32 v19, 0
	v_cmp_ne_u16_sdwa s[20:21], v16, v19 src0_sel:BYTE_0 src1_sel:DWORD
	s_andn2_b64 s[4:5], s[4:5], exec
	s_and_b64 s[20:21], s[20:21], exec
	s_or_b64 s[4:5], s[4:5], s[20:21]
	s_or_b64 exec, exec, s[16:17]
	s_and_saveexec_b64 s[16:17], s[4:5]
	s_cbranch_execnz .LBB247_21
	s_branch .LBB247_22
.LBB247_461:
	s_movk_i32 s18, 0x80
	v_cmp_eq_u16_sdwa s[24:25], v17, s18 src0_sel:BYTE_1 src1_sel:DWORD
	s_mov_b64 s[18:19], -1
	s_and_saveexec_b64 s[22:23], s[24:25]
; %bb.462:
	s_xor_b64 s[18:19], exec, -1
; %bb.463:
	s_or_b64 exec, exec, s[22:23]
	s_and_b64 s[18:19], s[18:19], exec
	s_or_saveexec_b64 s[20:21], s[20:21]
	v_mov_b32_e32 v20, 0x7f800001
	s_xor_b64 exec, exec, s[20:21]
	s_cbranch_execz .LBB247_176
.LBB247_464:
	v_mov_b32_e32 v20, 0
	v_cmp_ne_u16_sdwa s[22:23], v17, v20 src0_sel:BYTE_1 src1_sel:DWORD
	s_andn2_b64 s[18:19], s[18:19], exec
	s_and_b64 s[22:23], s[22:23], exec
	s_or_b64 s[18:19], s[18:19], s[22:23]
	s_or_b64 exec, exec, s[20:21]
	s_and_saveexec_b64 s[20:21], s[18:19]
	s_cbranch_execnz .LBB247_177
	s_branch .LBB247_178
.LBB247_465:
	s_movk_i32 s18, 0x80
	v_cmp_eq_u16_sdwa s[24:25], v16, s18 src0_sel:BYTE_1 src1_sel:DWORD
	s_mov_b64 s[18:19], -1
	s_and_saveexec_b64 s[22:23], s[24:25]
; %bb.466:
	s_xor_b64 s[18:19], exec, -1
; %bb.467:
	s_or_b64 exec, exec, s[22:23]
	s_and_b64 s[18:19], s[18:19], exec
	s_or_saveexec_b64 s[20:21], s[20:21]
	v_mov_b32_e32 v17, 0x7f800001
	s_xor_b64 exec, exec, s[20:21]
	s_cbranch_execz .LBB247_180
.LBB247_468:
	v_mov_b32_e32 v17, 0
	v_cmp_ne_u16_sdwa s[22:23], v16, v17 src0_sel:BYTE_1 src1_sel:DWORD
	s_andn2_b64 s[18:19], s[18:19], exec
	s_and_b64 s[22:23], s[22:23], exec
	s_or_b64 s[18:19], s[18:19], s[22:23]
	s_or_b64 exec, exec, s[20:21]
	s_and_saveexec_b64 s[20:21], s[18:19]
	s_cbranch_execnz .LBB247_181
	s_branch .LBB247_182
.LBB247_469:
	s_movk_i32 s20, 0x80
	v_cmp_eq_u16_sdwa s[26:27], v15, s20 src0_sel:BYTE_0 src1_sel:DWORD
	s_mov_b64 s[20:21], -1
	s_and_saveexec_b64 s[24:25], s[26:27]
; %bb.470:
	s_xor_b64 s[20:21], exec, -1
; %bb.471:
	s_or_b64 exec, exec, s[24:25]
	s_and_b64 s[20:21], s[20:21], exec
	s_or_saveexec_b64 s[22:23], s[22:23]
	v_mov_b32_e32 v16, 0x7f800001
	s_xor_b64 exec, exec, s[22:23]
	s_cbranch_execz .LBB247_186
.LBB247_472:
	v_mov_b32_e32 v16, 0
	v_cmp_ne_u16_sdwa s[24:25], v15, v16 src0_sel:BYTE_0 src1_sel:DWORD
	s_andn2_b64 s[20:21], s[20:21], exec
	s_and_b64 s[24:25], s[24:25], exec
	s_or_b64 s[20:21], s[20:21], s[24:25]
	s_or_b64 exec, exec, s[22:23]
	s_and_saveexec_b64 s[22:23], s[20:21]
	s_cbranch_execnz .LBB247_187
	s_branch .LBB247_188
.LBB247_473:
	s_movk_i32 s20, 0x80
	v_cmp_eq_u16_sdwa s[26:27], v14, s20 src0_sel:BYTE_0 src1_sel:DWORD
	s_mov_b64 s[20:21], -1
	s_and_saveexec_b64 s[24:25], s[26:27]
; %bb.474:
	s_xor_b64 s[20:21], exec, -1
; %bb.475:
	s_or_b64 exec, exec, s[24:25]
	s_and_b64 s[20:21], s[20:21], exec
	s_or_saveexec_b64 s[22:23], s[22:23]
	v_mov_b32_e32 v17, 0x7f800001
	s_xor_b64 exec, exec, s[22:23]
	s_cbranch_execz .LBB247_190
.LBB247_476:
	v_mov_b32_e32 v17, 0
	v_cmp_ne_u16_sdwa s[24:25], v14, v17 src0_sel:BYTE_0 src1_sel:DWORD
	s_andn2_b64 s[20:21], s[20:21], exec
	s_and_b64 s[24:25], s[24:25], exec
	s_or_b64 s[20:21], s[20:21], s[24:25]
	s_or_b64 exec, exec, s[22:23]
	s_and_saveexec_b64 s[22:23], s[20:21]
	s_cbranch_execnz .LBB247_191
	s_branch .LBB247_192
.LBB247_477:
	s_movk_i32 s22, 0x80
	v_cmp_eq_u16_sdwa s[28:29], v15, s22 src0_sel:BYTE_1 src1_sel:DWORD
	s_mov_b64 s[22:23], -1
	s_and_saveexec_b64 s[26:27], s[28:29]
; %bb.478:
	s_xor_b64 s[22:23], exec, -1
; %bb.479:
	s_or_b64 exec, exec, s[26:27]
	s_and_b64 s[22:23], s[22:23], exec
	s_or_saveexec_b64 s[24:25], s[24:25]
	v_mov_b32_e32 v18, 0x7f800001
	s_xor_b64 exec, exec, s[24:25]
	s_cbranch_execz .LBB247_196
.LBB247_480:
	v_mov_b32_e32 v18, 0
	v_cmp_ne_u16_sdwa s[26:27], v15, v18 src0_sel:BYTE_1 src1_sel:DWORD
	s_andn2_b64 s[22:23], s[22:23], exec
	s_and_b64 s[26:27], s[26:27], exec
	s_or_b64 s[22:23], s[22:23], s[26:27]
	s_or_b64 exec, exec, s[24:25]
	s_and_saveexec_b64 s[24:25], s[22:23]
	s_cbranch_execnz .LBB247_197
	s_branch .LBB247_198
.LBB247_481:
	s_movk_i32 s22, 0x80
	v_cmp_eq_u16_sdwa s[28:29], v14, s22 src0_sel:BYTE_1 src1_sel:DWORD
	s_mov_b64 s[22:23], -1
	s_and_saveexec_b64 s[26:27], s[28:29]
; %bb.482:
	s_xor_b64 s[22:23], exec, -1
; %bb.483:
	s_or_b64 exec, exec, s[26:27]
	s_and_b64 s[22:23], s[22:23], exec
	s_or_saveexec_b64 s[24:25], s[24:25]
	v_mov_b32_e32 v15, 0x7f800001
	s_xor_b64 exec, exec, s[24:25]
	s_cbranch_execz .LBB247_200
.LBB247_484:
	v_mov_b32_e32 v15, 0
	v_cmp_ne_u16_sdwa s[26:27], v14, v15 src0_sel:BYTE_1 src1_sel:DWORD
	s_andn2_b64 s[22:23], s[22:23], exec
	s_and_b64 s[26:27], s[26:27], exec
	s_or_b64 s[22:23], s[22:23], s[26:27]
	s_or_b64 exec, exec, s[24:25]
	s_and_saveexec_b64 s[24:25], s[22:23]
	s_cbranch_execnz .LBB247_201
	s_branch .LBB247_202
.LBB247_485:
	s_movk_i32 s24, 0x80
	v_cmp_eq_u16_sdwa s[30:31], v13, s24 src0_sel:BYTE_0 src1_sel:DWORD
	s_mov_b64 s[24:25], -1
	s_and_saveexec_b64 s[28:29], s[30:31]
; %bb.486:
	s_xor_b64 s[24:25], exec, -1
; %bb.487:
	s_or_b64 exec, exec, s[28:29]
	s_and_b64 s[24:25], s[24:25], exec
	s_or_saveexec_b64 s[26:27], s[26:27]
	v_mov_b32_e32 v14, 0x7f800001
	s_xor_b64 exec, exec, s[26:27]
	s_cbranch_execz .LBB247_206
.LBB247_488:
	v_mov_b32_e32 v14, 0
	v_cmp_ne_u16_sdwa s[28:29], v13, v14 src0_sel:BYTE_0 src1_sel:DWORD
	s_andn2_b64 s[24:25], s[24:25], exec
	s_and_b64 s[28:29], s[28:29], exec
	s_or_b64 s[24:25], s[24:25], s[28:29]
	s_or_b64 exec, exec, s[26:27]
	s_and_saveexec_b64 s[26:27], s[24:25]
	s_cbranch_execnz .LBB247_207
	s_branch .LBB247_208
.LBB247_489:
	s_movk_i32 s24, 0x80
	v_cmp_eq_u16_sdwa s[30:31], v12, s24 src0_sel:BYTE_0 src1_sel:DWORD
	s_mov_b64 s[24:25], -1
	s_and_saveexec_b64 s[28:29], s[30:31]
; %bb.490:
	s_xor_b64 s[24:25], exec, -1
; %bb.491:
	s_or_b64 exec, exec, s[28:29]
	s_and_b64 s[24:25], s[24:25], exec
	s_or_saveexec_b64 s[26:27], s[26:27]
	v_mov_b32_e32 v15, 0x7f800001
	s_xor_b64 exec, exec, s[26:27]
	s_cbranch_execz .LBB247_210
.LBB247_492:
	v_mov_b32_e32 v15, 0
	v_cmp_ne_u16_sdwa s[28:29], v12, v15 src0_sel:BYTE_0 src1_sel:DWORD
	s_andn2_b64 s[24:25], s[24:25], exec
	s_and_b64 s[28:29], s[28:29], exec
	s_or_b64 s[24:25], s[24:25], s[28:29]
	s_or_b64 exec, exec, s[26:27]
	s_and_saveexec_b64 s[26:27], s[24:25]
	s_cbranch_execnz .LBB247_211
	s_branch .LBB247_212
.LBB247_493:
	s_movk_i32 s26, 0x80
	v_cmp_eq_u16_sdwa s[34:35], v13, s26 src0_sel:BYTE_1 src1_sel:DWORD
	s_mov_b64 s[26:27], -1
	s_and_saveexec_b64 s[30:31], s[34:35]
; %bb.494:
	s_xor_b64 s[26:27], exec, -1
; %bb.495:
	s_or_b64 exec, exec, s[30:31]
	s_and_b64 s[26:27], s[26:27], exec
	s_or_saveexec_b64 s[28:29], s[28:29]
	v_mov_b32_e32 v16, 0x7f800001
	s_xor_b64 exec, exec, s[28:29]
	s_cbranch_execz .LBB247_216
.LBB247_496:
	v_mov_b32_e32 v16, 0
	v_cmp_ne_u16_sdwa s[30:31], v13, v16 src0_sel:BYTE_1 src1_sel:DWORD
	s_andn2_b64 s[26:27], s[26:27], exec
	s_and_b64 s[30:31], s[30:31], exec
	s_or_b64 s[26:27], s[26:27], s[30:31]
	s_or_b64 exec, exec, s[28:29]
	s_and_saveexec_b64 s[28:29], s[26:27]
	s_cbranch_execnz .LBB247_217
	s_branch .LBB247_218
.LBB247_497:
	s_movk_i32 s26, 0x80
	v_cmp_eq_u16_sdwa s[34:35], v12, s26 src0_sel:BYTE_1 src1_sel:DWORD
	s_mov_b64 s[26:27], -1
	s_and_saveexec_b64 s[30:31], s[34:35]
; %bb.498:
	s_xor_b64 s[26:27], exec, -1
; %bb.499:
	s_or_b64 exec, exec, s[30:31]
	s_and_b64 s[26:27], s[26:27], exec
	s_or_saveexec_b64 s[28:29], s[28:29]
	v_mov_b32_e32 v13, 0x7f800001
	s_xor_b64 exec, exec, s[28:29]
	s_cbranch_execz .LBB247_220
.LBB247_500:
	v_mov_b32_e32 v13, 0
	v_cmp_ne_u16_sdwa s[30:31], v12, v13 src0_sel:BYTE_1 src1_sel:DWORD
	s_andn2_b64 s[26:27], s[26:27], exec
	s_and_b64 s[30:31], s[30:31], exec
	s_or_b64 s[26:27], s[26:27], s[30:31]
	s_or_b64 exec, exec, s[28:29]
	s_and_saveexec_b64 s[28:29], s[26:27]
	s_cbranch_execnz .LBB247_221
	s_branch .LBB247_222
.LBB247_501:
	s_movk_i32 s28, 0x80
	v_cmp_eq_u16_sdwa s[36:37], v11, s28 src0_sel:BYTE_0 src1_sel:DWORD
	s_mov_b64 s[28:29], -1
	s_and_saveexec_b64 s[34:35], s[36:37]
; %bb.502:
	s_xor_b64 s[28:29], exec, -1
; %bb.503:
	s_or_b64 exec, exec, s[34:35]
	s_and_b64 s[28:29], s[28:29], exec
	s_or_saveexec_b64 s[30:31], s[30:31]
	v_mov_b32_e32 v12, 0x7f800001
	s_xor_b64 exec, exec, s[30:31]
	s_cbranch_execz .LBB247_226
.LBB247_504:
	v_mov_b32_e32 v12, 0
	v_cmp_ne_u16_sdwa s[34:35], v11, v12 src0_sel:BYTE_0 src1_sel:DWORD
	s_andn2_b64 s[28:29], s[28:29], exec
	s_and_b64 s[34:35], s[34:35], exec
	s_or_b64 s[28:29], s[28:29], s[34:35]
	s_or_b64 exec, exec, s[30:31]
	s_and_saveexec_b64 s[30:31], s[28:29]
	s_cbranch_execnz .LBB247_227
	s_branch .LBB247_228
.LBB247_505:
	s_movk_i32 s28, 0x80
	v_cmp_eq_u16_sdwa s[36:37], v10, s28 src0_sel:BYTE_0 src1_sel:DWORD
	s_mov_b64 s[28:29], -1
	s_and_saveexec_b64 s[34:35], s[36:37]
; %bb.506:
	s_xor_b64 s[28:29], exec, -1
; %bb.507:
	s_or_b64 exec, exec, s[34:35]
	s_and_b64 s[28:29], s[28:29], exec
	s_or_saveexec_b64 s[30:31], s[30:31]
	v_mov_b32_e32 v13, 0x7f800001
	s_xor_b64 exec, exec, s[30:31]
	s_cbranch_execz .LBB247_230
.LBB247_508:
	v_mov_b32_e32 v13, 0
	v_cmp_ne_u16_sdwa s[34:35], v10, v13 src0_sel:BYTE_0 src1_sel:DWORD
	s_andn2_b64 s[28:29], s[28:29], exec
	s_and_b64 s[34:35], s[34:35], exec
	s_or_b64 s[28:29], s[28:29], s[34:35]
	s_or_b64 exec, exec, s[30:31]
	s_and_saveexec_b64 s[30:31], s[28:29]
	s_cbranch_execnz .LBB247_231
	s_branch .LBB247_232
.LBB247_509:
	s_movk_i32 s30, 0x80
	v_cmp_eq_u16_sdwa s[38:39], v11, s30 src0_sel:BYTE_1 src1_sel:DWORD
	s_mov_b64 s[30:31], -1
	s_and_saveexec_b64 s[36:37], s[38:39]
; %bb.510:
	s_xor_b64 s[30:31], exec, -1
; %bb.511:
	s_or_b64 exec, exec, s[36:37]
	s_and_b64 s[30:31], s[30:31], exec
	s_or_saveexec_b64 s[34:35], s[34:35]
	v_mov_b32_e32 v14, 0x7f800001
	s_xor_b64 exec, exec, s[34:35]
	s_cbranch_execz .LBB247_236
.LBB247_512:
	v_mov_b32_e32 v14, 0
	v_cmp_ne_u16_sdwa s[36:37], v11, v14 src0_sel:BYTE_1 src1_sel:DWORD
	s_andn2_b64 s[30:31], s[30:31], exec
	s_and_b64 s[36:37], s[36:37], exec
	s_or_b64 s[30:31], s[30:31], s[36:37]
	s_or_b64 exec, exec, s[34:35]
	s_and_saveexec_b64 s[34:35], s[30:31]
	s_cbranch_execnz .LBB247_237
	s_branch .LBB247_238
.LBB247_513:
	s_movk_i32 s30, 0x80
	v_cmp_eq_u16_sdwa s[38:39], v10, s30 src0_sel:BYTE_1 src1_sel:DWORD
	s_mov_b64 s[30:31], -1
	s_and_saveexec_b64 s[36:37], s[38:39]
; %bb.514:
	s_xor_b64 s[30:31], exec, -1
; %bb.515:
	s_or_b64 exec, exec, s[36:37]
	s_and_b64 s[30:31], s[30:31], exec
	s_or_saveexec_b64 s[34:35], s[34:35]
	v_mov_b32_e32 v11, 0x7f800001
	s_xor_b64 exec, exec, s[34:35]
	s_cbranch_execz .LBB247_240
.LBB247_516:
	v_mov_b32_e32 v11, 0
	v_cmp_ne_u16_sdwa s[36:37], v10, v11 src0_sel:BYTE_1 src1_sel:DWORD
	s_andn2_b64 s[30:31], s[30:31], exec
	s_and_b64 s[36:37], s[36:37], exec
	s_or_b64 s[30:31], s[30:31], s[36:37]
	s_or_b64 exec, exec, s[34:35]
	s_and_saveexec_b64 s[34:35], s[30:31]
	s_cbranch_execnz .LBB247_241
	s_branch .LBB247_242
.LBB247_517:
	s_movk_i32 s34, 0x80
	v_cmp_eq_u16_sdwa s[40:41], v9, s34 src0_sel:BYTE_0 src1_sel:DWORD
	s_mov_b64 s[34:35], -1
	s_and_saveexec_b64 s[38:39], s[40:41]
; %bb.518:
	s_xor_b64 s[34:35], exec, -1
; %bb.519:
	s_or_b64 exec, exec, s[38:39]
	s_and_b64 s[34:35], s[34:35], exec
	s_or_saveexec_b64 s[36:37], s[36:37]
	v_mov_b32_e32 v10, 0x7f800001
	s_xor_b64 exec, exec, s[36:37]
	s_cbranch_execz .LBB247_246
.LBB247_520:
	v_mov_b32_e32 v10, 0
	v_cmp_ne_u16_sdwa s[38:39], v9, v10 src0_sel:BYTE_0 src1_sel:DWORD
	s_andn2_b64 s[34:35], s[34:35], exec
	s_and_b64 s[38:39], s[38:39], exec
	s_or_b64 s[34:35], s[34:35], s[38:39]
	s_or_b64 exec, exec, s[36:37]
	s_and_saveexec_b64 s[36:37], s[34:35]
	s_cbranch_execnz .LBB247_247
	s_branch .LBB247_248
.LBB247_521:
	s_movk_i32 s34, 0x80
	v_cmp_eq_u16_sdwa s[40:41], v8, s34 src0_sel:BYTE_0 src1_sel:DWORD
	s_mov_b64 s[34:35], -1
	s_and_saveexec_b64 s[38:39], s[40:41]
; %bb.522:
	s_xor_b64 s[34:35], exec, -1
; %bb.523:
	s_or_b64 exec, exec, s[38:39]
	s_and_b64 s[34:35], s[34:35], exec
	s_or_saveexec_b64 s[36:37], s[36:37]
	v_mov_b32_e32 v11, 0x7f800001
	s_xor_b64 exec, exec, s[36:37]
	s_cbranch_execz .LBB247_250
.LBB247_524:
	v_mov_b32_e32 v11, 0
	v_cmp_ne_u16_sdwa s[38:39], v8, v11 src0_sel:BYTE_0 src1_sel:DWORD
	s_andn2_b64 s[34:35], s[34:35], exec
	s_and_b64 s[38:39], s[38:39], exec
	s_or_b64 s[34:35], s[34:35], s[38:39]
	s_or_b64 exec, exec, s[36:37]
	s_and_saveexec_b64 s[36:37], s[34:35]
	s_cbranch_execnz .LBB247_251
	s_branch .LBB247_252
.LBB247_525:
	s_movk_i32 s36, 0x80
	v_cmp_eq_u16_sdwa s[42:43], v9, s36 src0_sel:BYTE_1 src1_sel:DWORD
	s_mov_b64 s[36:37], -1
	s_and_saveexec_b64 s[40:41], s[42:43]
; %bb.526:
	s_xor_b64 s[36:37], exec, -1
; %bb.527:
	s_or_b64 exec, exec, s[40:41]
	s_and_b64 s[36:37], s[36:37], exec
	s_or_saveexec_b64 s[38:39], s[38:39]
	v_mov_b32_e32 v12, 0x7f800001
	s_xor_b64 exec, exec, s[38:39]
	s_cbranch_execz .LBB247_256
.LBB247_528:
	v_mov_b32_e32 v12, 0
	v_cmp_ne_u16_sdwa s[40:41], v9, v12 src0_sel:BYTE_1 src1_sel:DWORD
	s_andn2_b64 s[36:37], s[36:37], exec
	s_and_b64 s[40:41], s[40:41], exec
	s_or_b64 s[36:37], s[36:37], s[40:41]
	s_or_b64 exec, exec, s[38:39]
	s_and_saveexec_b64 s[38:39], s[36:37]
	s_cbranch_execnz .LBB247_257
	s_branch .LBB247_258
.LBB247_529:
	s_movk_i32 s36, 0x80
	v_cmp_eq_u16_sdwa s[42:43], v8, s36 src0_sel:BYTE_1 src1_sel:DWORD
	s_mov_b64 s[36:37], -1
	s_and_saveexec_b64 s[40:41], s[42:43]
; %bb.530:
	s_xor_b64 s[36:37], exec, -1
; %bb.531:
	s_or_b64 exec, exec, s[40:41]
	s_and_b64 s[36:37], s[36:37], exec
	s_or_saveexec_b64 s[38:39], s[38:39]
	v_mov_b32_e32 v9, 0x7f800001
	s_xor_b64 exec, exec, s[38:39]
	s_cbranch_execz .LBB247_260
.LBB247_532:
	v_mov_b32_e32 v9, 0
	v_cmp_ne_u16_sdwa s[40:41], v8, v9 src0_sel:BYTE_1 src1_sel:DWORD
	s_andn2_b64 s[36:37], s[36:37], exec
	s_and_b64 s[40:41], s[40:41], exec
	s_or_b64 s[36:37], s[36:37], s[40:41]
	s_or_b64 exec, exec, s[38:39]
	s_and_saveexec_b64 s[38:39], s[36:37]
	s_cbranch_execnz .LBB247_261
	s_branch .LBB247_262
.LBB247_533:
	s_movk_i32 s38, 0x80
	v_cmp_eq_u16_sdwa s[44:45], v7, s38 src0_sel:BYTE_0 src1_sel:DWORD
	s_mov_b64 s[38:39], -1
	s_and_saveexec_b64 s[42:43], s[44:45]
; %bb.534:
	s_xor_b64 s[38:39], exec, -1
; %bb.535:
	s_or_b64 exec, exec, s[42:43]
	s_and_b64 s[38:39], s[38:39], exec
	s_or_saveexec_b64 s[40:41], s[40:41]
	v_mov_b32_e32 v8, 0x7f800001
	s_xor_b64 exec, exec, s[40:41]
	s_cbranch_execz .LBB247_266
.LBB247_536:
	v_mov_b32_e32 v8, 0
	v_cmp_ne_u16_sdwa s[42:43], v7, v8 src0_sel:BYTE_0 src1_sel:DWORD
	s_andn2_b64 s[38:39], s[38:39], exec
	s_and_b64 s[42:43], s[42:43], exec
	s_or_b64 s[38:39], s[38:39], s[42:43]
	s_or_b64 exec, exec, s[40:41]
	s_and_saveexec_b64 s[40:41], s[38:39]
	s_cbranch_execnz .LBB247_267
	s_branch .LBB247_268
.LBB247_537:
	s_movk_i32 s38, 0x80
	v_cmp_eq_u16_sdwa s[44:45], v6, s38 src0_sel:BYTE_0 src1_sel:DWORD
	s_mov_b64 s[38:39], -1
	s_and_saveexec_b64 s[42:43], s[44:45]
; %bb.538:
	s_xor_b64 s[38:39], exec, -1
; %bb.539:
	s_or_b64 exec, exec, s[42:43]
	s_and_b64 s[38:39], s[38:39], exec
	s_or_saveexec_b64 s[40:41], s[40:41]
	v_mov_b32_e32 v9, 0x7f800001
	s_xor_b64 exec, exec, s[40:41]
	s_cbranch_execz .LBB247_270
.LBB247_540:
	v_mov_b32_e32 v9, 0
	v_cmp_ne_u16_sdwa s[42:43], v6, v9 src0_sel:BYTE_0 src1_sel:DWORD
	s_andn2_b64 s[38:39], s[38:39], exec
	s_and_b64 s[42:43], s[42:43], exec
	s_or_b64 s[38:39], s[38:39], s[42:43]
	s_or_b64 exec, exec, s[40:41]
	s_and_saveexec_b64 s[40:41], s[38:39]
	s_cbranch_execnz .LBB247_271
	s_branch .LBB247_272
.LBB247_541:
	s_movk_i32 s40, 0x80
	v_cmp_eq_u16_sdwa s[46:47], v7, s40 src0_sel:BYTE_1 src1_sel:DWORD
	s_mov_b64 s[40:41], -1
	s_and_saveexec_b64 s[44:45], s[46:47]
; %bb.542:
	s_xor_b64 s[40:41], exec, -1
; %bb.543:
	s_or_b64 exec, exec, s[44:45]
	s_and_b64 s[40:41], s[40:41], exec
	s_or_saveexec_b64 s[42:43], s[42:43]
	v_mov_b32_e32 v10, 0x7f800001
	s_xor_b64 exec, exec, s[42:43]
	s_cbranch_execz .LBB247_276
.LBB247_544:
	v_mov_b32_e32 v10, 0
	v_cmp_ne_u16_sdwa s[44:45], v7, v10 src0_sel:BYTE_1 src1_sel:DWORD
	s_andn2_b64 s[40:41], s[40:41], exec
	s_and_b64 s[44:45], s[44:45], exec
	s_or_b64 s[40:41], s[40:41], s[44:45]
	s_or_b64 exec, exec, s[42:43]
	s_and_saveexec_b64 s[42:43], s[40:41]
	s_cbranch_execnz .LBB247_277
	s_branch .LBB247_278
.LBB247_545:
	s_movk_i32 s40, 0x80
	v_cmp_eq_u16_sdwa s[46:47], v6, s40 src0_sel:BYTE_1 src1_sel:DWORD
	s_mov_b64 s[40:41], -1
	s_and_saveexec_b64 s[44:45], s[46:47]
; %bb.546:
	s_xor_b64 s[40:41], exec, -1
; %bb.547:
	s_or_b64 exec, exec, s[44:45]
	s_and_b64 s[40:41], s[40:41], exec
	s_or_saveexec_b64 s[42:43], s[42:43]
	v_mov_b32_e32 v7, 0x7f800001
	s_xor_b64 exec, exec, s[42:43]
	s_cbranch_execz .LBB247_280
.LBB247_548:
	v_mov_b32_e32 v7, 0
	v_cmp_ne_u16_sdwa s[44:45], v6, v7 src0_sel:BYTE_1 src1_sel:DWORD
	s_andn2_b64 s[40:41], s[40:41], exec
	s_and_b64 s[44:45], s[44:45], exec
	s_or_b64 s[40:41], s[40:41], s[44:45]
	s_or_b64 exec, exec, s[42:43]
	s_and_saveexec_b64 s[42:43], s[40:41]
	s_cbranch_execnz .LBB247_281
	s_branch .LBB247_282
.LBB247_549:
	s_movk_i32 s42, 0x80
	v_cmp_eq_u16_sdwa s[48:49], v5, s42 src0_sel:BYTE_0 src1_sel:DWORD
	s_mov_b64 s[42:43], -1
	s_and_saveexec_b64 s[46:47], s[48:49]
; %bb.550:
	s_xor_b64 s[42:43], exec, -1
; %bb.551:
	s_or_b64 exec, exec, s[46:47]
	s_and_b64 s[42:43], s[42:43], exec
	s_or_saveexec_b64 s[44:45], s[44:45]
	v_mov_b32_e32 v6, 0x7f800001
	s_xor_b64 exec, exec, s[44:45]
	s_cbranch_execz .LBB247_286
.LBB247_552:
	v_mov_b32_e32 v6, 0
	v_cmp_ne_u16_sdwa s[46:47], v5, v6 src0_sel:BYTE_0 src1_sel:DWORD
	s_andn2_b64 s[42:43], s[42:43], exec
	s_and_b64 s[46:47], s[46:47], exec
	s_or_b64 s[42:43], s[42:43], s[46:47]
	s_or_b64 exec, exec, s[44:45]
	s_and_saveexec_b64 s[44:45], s[42:43]
	s_cbranch_execnz .LBB247_287
	s_branch .LBB247_288
.LBB247_553:
	s_movk_i32 s42, 0x80
	v_cmp_eq_u16_sdwa s[48:49], v4, s42 src0_sel:BYTE_0 src1_sel:DWORD
	s_mov_b64 s[42:43], -1
	s_and_saveexec_b64 s[46:47], s[48:49]
; %bb.554:
	s_xor_b64 s[42:43], exec, -1
; %bb.555:
	s_or_b64 exec, exec, s[46:47]
	s_and_b64 s[42:43], s[42:43], exec
	s_or_saveexec_b64 s[44:45], s[44:45]
	v_mov_b32_e32 v7, 0x7f800001
	s_xor_b64 exec, exec, s[44:45]
	s_cbranch_execz .LBB247_290
.LBB247_556:
	v_mov_b32_e32 v7, 0
	v_cmp_ne_u16_sdwa s[46:47], v4, v7 src0_sel:BYTE_0 src1_sel:DWORD
	s_andn2_b64 s[42:43], s[42:43], exec
	s_and_b64 s[46:47], s[46:47], exec
	s_or_b64 s[42:43], s[42:43], s[46:47]
	s_or_b64 exec, exec, s[44:45]
	s_and_saveexec_b64 s[44:45], s[42:43]
	s_cbranch_execnz .LBB247_291
	s_branch .LBB247_292
.LBB247_557:
	s_movk_i32 s44, 0x80
	v_cmp_eq_u16_sdwa s[50:51], v5, s44 src0_sel:BYTE_1 src1_sel:DWORD
	s_mov_b64 s[44:45], -1
	s_and_saveexec_b64 s[48:49], s[50:51]
; %bb.558:
	s_xor_b64 s[44:45], exec, -1
; %bb.559:
	s_or_b64 exec, exec, s[48:49]
	s_and_b64 s[44:45], s[44:45], exec
	s_or_saveexec_b64 s[46:47], s[46:47]
	v_mov_b32_e32 v8, 0x7f800001
	s_xor_b64 exec, exec, s[46:47]
	s_cbranch_execz .LBB247_296
.LBB247_560:
	v_mov_b32_e32 v8, 0
	v_cmp_ne_u16_sdwa s[48:49], v5, v8 src0_sel:BYTE_1 src1_sel:DWORD
	s_andn2_b64 s[44:45], s[44:45], exec
	s_and_b64 s[48:49], s[48:49], exec
	s_or_b64 s[44:45], s[44:45], s[48:49]
	s_or_b64 exec, exec, s[46:47]
	s_and_saveexec_b64 s[46:47], s[44:45]
	s_cbranch_execnz .LBB247_297
	s_branch .LBB247_298
.LBB247_561:
	s_movk_i32 s44, 0x80
	v_cmp_eq_u16_sdwa s[50:51], v4, s44 src0_sel:BYTE_1 src1_sel:DWORD
	s_mov_b64 s[44:45], -1
	s_and_saveexec_b64 s[48:49], s[50:51]
; %bb.562:
	s_xor_b64 s[44:45], exec, -1
; %bb.563:
	s_or_b64 exec, exec, s[48:49]
	s_and_b64 s[44:45], s[44:45], exec
	s_or_saveexec_b64 s[46:47], s[46:47]
	v_mov_b32_e32 v5, 0x7f800001
	s_xor_b64 exec, exec, s[46:47]
	s_cbranch_execz .LBB247_300
.LBB247_564:
	v_mov_b32_e32 v5, 0
	v_cmp_ne_u16_sdwa s[48:49], v4, v5 src0_sel:BYTE_1 src1_sel:DWORD
	s_andn2_b64 s[44:45], s[44:45], exec
	s_and_b64 s[48:49], s[48:49], exec
	s_or_b64 s[44:45], s[44:45], s[48:49]
	s_or_b64 exec, exec, s[46:47]
	s_and_saveexec_b64 s[46:47], s[44:45]
	s_cbranch_execnz .LBB247_301
	s_branch .LBB247_302
.LBB247_565:
	s_movk_i32 s46, 0x80
	v_cmp_eq_u16_sdwa s[52:53], v3, s46 src0_sel:BYTE_0 src1_sel:DWORD
	s_mov_b64 s[46:47], -1
	s_and_saveexec_b64 s[50:51], s[52:53]
; %bb.566:
	s_xor_b64 s[46:47], exec, -1
; %bb.567:
	s_or_b64 exec, exec, s[50:51]
	s_and_b64 s[46:47], s[46:47], exec
	s_or_saveexec_b64 s[48:49], s[48:49]
	v_mov_b32_e32 v4, 0x7f800001
	s_xor_b64 exec, exec, s[48:49]
	s_cbranch_execz .LBB247_306
.LBB247_568:
	v_mov_b32_e32 v4, 0
	v_cmp_ne_u16_sdwa s[50:51], v3, v4 src0_sel:BYTE_0 src1_sel:DWORD
	s_andn2_b64 s[46:47], s[46:47], exec
	s_and_b64 s[50:51], s[50:51], exec
	s_or_b64 s[46:47], s[46:47], s[50:51]
	s_or_b64 exec, exec, s[48:49]
	s_and_saveexec_b64 s[48:49], s[46:47]
	s_cbranch_execnz .LBB247_307
	s_branch .LBB247_308
.LBB247_569:
	s_movk_i32 s46, 0x80
	v_cmp_eq_u16_sdwa s[52:53], v2, s46 src0_sel:BYTE_0 src1_sel:DWORD
	s_mov_b64 s[46:47], -1
	s_and_saveexec_b64 s[50:51], s[52:53]
; %bb.570:
	s_xor_b64 s[46:47], exec, -1
; %bb.571:
	s_or_b64 exec, exec, s[50:51]
	s_and_b64 s[46:47], s[46:47], exec
	s_or_saveexec_b64 s[48:49], s[48:49]
	v_mov_b32_e32 v5, 0x7f800001
	s_xor_b64 exec, exec, s[48:49]
	s_cbranch_execz .LBB247_310
.LBB247_572:
	v_mov_b32_e32 v5, 0
	v_cmp_ne_u16_sdwa s[50:51], v2, v5 src0_sel:BYTE_0 src1_sel:DWORD
	s_andn2_b64 s[46:47], s[46:47], exec
	s_and_b64 s[50:51], s[50:51], exec
	s_or_b64 s[46:47], s[46:47], s[50:51]
	s_or_b64 exec, exec, s[48:49]
	s_and_saveexec_b64 s[48:49], s[46:47]
	s_cbranch_execnz .LBB247_311
	s_branch .LBB247_312
.LBB247_573:
	s_movk_i32 s4, 0x80
	v_cmp_eq_u16_sdwa s[52:53], v3, s4 src0_sel:BYTE_1 src1_sel:DWORD
	s_mov_b64 s[4:5], -1
	s_and_saveexec_b64 s[50:51], s[52:53]
; %bb.574:
	s_xor_b64 s[4:5], exec, -1
; %bb.575:
	s_or_b64 exec, exec, s[50:51]
	s_and_b64 s[4:5], s[4:5], exec
	s_or_saveexec_b64 s[48:49], s[48:49]
	v_mov_b32_e32 v6, 0x7f800001
	s_xor_b64 exec, exec, s[48:49]
	s_cbranch_execz .LBB247_316
.LBB247_576:
	v_mov_b32_e32 v6, 0
	v_cmp_ne_u16_sdwa s[50:51], v3, v6 src0_sel:BYTE_1 src1_sel:DWORD
	s_andn2_b64 s[4:5], s[4:5], exec
	s_and_b64 s[50:51], s[50:51], exec
	s_or_b64 s[4:5], s[4:5], s[50:51]
	s_or_b64 exec, exec, s[48:49]
	s_and_saveexec_b64 s[48:49], s[4:5]
	s_cbranch_execnz .LBB247_317
	s_branch .LBB247_318
.LBB247_577:
	s_movk_i32 s4, 0x80
	v_cmp_eq_u16_sdwa s[52:53], v2, s4 src0_sel:BYTE_1 src1_sel:DWORD
	s_mov_b64 s[4:5], -1
	s_and_saveexec_b64 s[50:51], s[52:53]
; %bb.578:
	s_xor_b64 s[4:5], exec, -1
; %bb.579:
	s_or_b64 exec, exec, s[50:51]
	s_and_b64 s[4:5], s[4:5], exec
	s_or_saveexec_b64 s[48:49], s[48:49]
	v_mov_b32_e32 v3, 0x7f800001
	s_xor_b64 exec, exec, s[48:49]
	s_cbranch_execz .LBB247_320
.LBB247_580:
	v_mov_b32_e32 v3, 0
	v_cmp_ne_u16_sdwa s[50:51], v2, v3 src0_sel:BYTE_1 src1_sel:DWORD
	s_andn2_b64 s[4:5], s[4:5], exec
	s_and_b64 s[50:51], s[50:51], exec
	s_or_b64 s[4:5], s[4:5], s[50:51]
	s_or_b64 exec, exec, s[48:49]
	s_and_saveexec_b64 s[48:49], s[4:5]
	s_cbranch_execnz .LBB247_321
	s_branch .LBB247_322
	.section	.rodata,"a",@progbits
	.p2align	6, 0x0
	.amdhsa_kernel _ZN2at6native29vectorized_elementwise_kernelILi2ENS0_13BinaryFunctorIN3c1015Float8_e5m2fnuzES4_bNS0_12_GLOBAL__N_116CompareEqFunctorIS4_EEEESt5arrayIPcLm3EEEEviT0_T1_
		.amdhsa_group_segment_fixed_size 0
		.amdhsa_private_segment_fixed_size 0
		.amdhsa_kernarg_size 32
		.amdhsa_user_sgpr_count 6
		.amdhsa_user_sgpr_private_segment_buffer 1
		.amdhsa_user_sgpr_dispatch_ptr 0
		.amdhsa_user_sgpr_queue_ptr 0
		.amdhsa_user_sgpr_kernarg_segment_ptr 1
		.amdhsa_user_sgpr_dispatch_id 0
		.amdhsa_user_sgpr_flat_scratch_init 0
		.amdhsa_user_sgpr_private_segment_size 0
		.amdhsa_uses_dynamic_stack 0
		.amdhsa_system_sgpr_private_segment_wavefront_offset 0
		.amdhsa_system_sgpr_workgroup_id_x 1
		.amdhsa_system_sgpr_workgroup_id_y 0
		.amdhsa_system_sgpr_workgroup_id_z 0
		.amdhsa_system_sgpr_workgroup_info 0
		.amdhsa_system_vgpr_workitem_id 0
		.amdhsa_next_free_vgpr 55
		.amdhsa_next_free_sgpr 57
		.amdhsa_reserve_vcc 1
		.amdhsa_reserve_flat_scratch 0
		.amdhsa_float_round_mode_32 0
		.amdhsa_float_round_mode_16_64 0
		.amdhsa_float_denorm_mode_32 3
		.amdhsa_float_denorm_mode_16_64 3
		.amdhsa_dx10_clamp 1
		.amdhsa_ieee_mode 1
		.amdhsa_fp16_overflow 0
		.amdhsa_exception_fp_ieee_invalid_op 0
		.amdhsa_exception_fp_denorm_src 0
		.amdhsa_exception_fp_ieee_div_zero 0
		.amdhsa_exception_fp_ieee_overflow 0
		.amdhsa_exception_fp_ieee_underflow 0
		.amdhsa_exception_fp_ieee_inexact 0
		.amdhsa_exception_int_div_zero 0
	.end_amdhsa_kernel
	.section	.text._ZN2at6native29vectorized_elementwise_kernelILi2ENS0_13BinaryFunctorIN3c1015Float8_e5m2fnuzES4_bNS0_12_GLOBAL__N_116CompareEqFunctorIS4_EEEESt5arrayIPcLm3EEEEviT0_T1_,"axG",@progbits,_ZN2at6native29vectorized_elementwise_kernelILi2ENS0_13BinaryFunctorIN3c1015Float8_e5m2fnuzES4_bNS0_12_GLOBAL__N_116CompareEqFunctorIS4_EEEESt5arrayIPcLm3EEEEviT0_T1_,comdat
.Lfunc_end247:
	.size	_ZN2at6native29vectorized_elementwise_kernelILi2ENS0_13BinaryFunctorIN3c1015Float8_e5m2fnuzES4_bNS0_12_GLOBAL__N_116CompareEqFunctorIS4_EEEESt5arrayIPcLm3EEEEviT0_T1_, .Lfunc_end247-_ZN2at6native29vectorized_elementwise_kernelILi2ENS0_13BinaryFunctorIN3c1015Float8_e5m2fnuzES4_bNS0_12_GLOBAL__N_116CompareEqFunctorIS4_EEEESt5arrayIPcLm3EEEEviT0_T1_
                                        ; -- End function
	.set _ZN2at6native29vectorized_elementwise_kernelILi2ENS0_13BinaryFunctorIN3c1015Float8_e5m2fnuzES4_bNS0_12_GLOBAL__N_116CompareEqFunctorIS4_EEEESt5arrayIPcLm3EEEEviT0_T1_.num_vgpr, max(32, .L_ZN2at6native25elementwise_kernel_helperILb0ENS0_13BinaryFunctorIN3c1015Float8_e5m2fnuzES4_bNS0_12_GLOBAL__N_116CompareEqFunctorIS4_EEEENS0_6memory8policies11unroll_baseILi256ESt5arrayIPcLm3EE23TrivialOffsetCalculatorILi2EjESF_ILi1EjENS9_15LoadWithoutCastENS9_16StoreWithoutCastELi16ELi1EEEEEvT0_T1_.num_vgpr)
	.set _ZN2at6native29vectorized_elementwise_kernelILi2ENS0_13BinaryFunctorIN3c1015Float8_e5m2fnuzES4_bNS0_12_GLOBAL__N_116CompareEqFunctorIS4_EEEESt5arrayIPcLm3EEEEviT0_T1_.num_agpr, max(0, .L_ZN2at6native25elementwise_kernel_helperILb0ENS0_13BinaryFunctorIN3c1015Float8_e5m2fnuzES4_bNS0_12_GLOBAL__N_116CompareEqFunctorIS4_EEEENS0_6memory8policies11unroll_baseILi256ESt5arrayIPcLm3EE23TrivialOffsetCalculatorILi2EjESF_ILi1EjENS9_15LoadWithoutCastENS9_16StoreWithoutCastELi16ELi1EEEEEvT0_T1_.num_agpr)
	.set _ZN2at6native29vectorized_elementwise_kernelILi2ENS0_13BinaryFunctorIN3c1015Float8_e5m2fnuzES4_bNS0_12_GLOBAL__N_116CompareEqFunctorIS4_EEEESt5arrayIPcLm3EEEEviT0_T1_.numbered_sgpr, max(54, .L_ZN2at6native25elementwise_kernel_helperILb0ENS0_13BinaryFunctorIN3c1015Float8_e5m2fnuzES4_bNS0_12_GLOBAL__N_116CompareEqFunctorIS4_EEEENS0_6memory8policies11unroll_baseILi256ESt5arrayIPcLm3EE23TrivialOffsetCalculatorILi2EjESF_ILi1EjENS9_15LoadWithoutCastENS9_16StoreWithoutCastELi16ELi1EEEEEvT0_T1_.numbered_sgpr)
	.set _ZN2at6native29vectorized_elementwise_kernelILi2ENS0_13BinaryFunctorIN3c1015Float8_e5m2fnuzES4_bNS0_12_GLOBAL__N_116CompareEqFunctorIS4_EEEESt5arrayIPcLm3EEEEviT0_T1_.num_named_barrier, max(0, .L_ZN2at6native25elementwise_kernel_helperILb0ENS0_13BinaryFunctorIN3c1015Float8_e5m2fnuzES4_bNS0_12_GLOBAL__N_116CompareEqFunctorIS4_EEEENS0_6memory8policies11unroll_baseILi256ESt5arrayIPcLm3EE23TrivialOffsetCalculatorILi2EjESF_ILi1EjENS9_15LoadWithoutCastENS9_16StoreWithoutCastELi16ELi1EEEEEvT0_T1_.num_named_barrier)
	.set _ZN2at6native29vectorized_elementwise_kernelILi2ENS0_13BinaryFunctorIN3c1015Float8_e5m2fnuzES4_bNS0_12_GLOBAL__N_116CompareEqFunctorIS4_EEEESt5arrayIPcLm3EEEEviT0_T1_.private_seg_size, 0+max(.L_ZN2at6native25elementwise_kernel_helperILb0ENS0_13BinaryFunctorIN3c1015Float8_e5m2fnuzES4_bNS0_12_GLOBAL__N_116CompareEqFunctorIS4_EEEENS0_6memory8policies11unroll_baseILi256ESt5arrayIPcLm3EE23TrivialOffsetCalculatorILi2EjESF_ILi1EjENS9_15LoadWithoutCastENS9_16StoreWithoutCastELi16ELi1EEEEEvT0_T1_.private_seg_size)
	.set _ZN2at6native29vectorized_elementwise_kernelILi2ENS0_13BinaryFunctorIN3c1015Float8_e5m2fnuzES4_bNS0_12_GLOBAL__N_116CompareEqFunctorIS4_EEEESt5arrayIPcLm3EEEEviT0_T1_.uses_vcc, or(1, .L_ZN2at6native25elementwise_kernel_helperILb0ENS0_13BinaryFunctorIN3c1015Float8_e5m2fnuzES4_bNS0_12_GLOBAL__N_116CompareEqFunctorIS4_EEEENS0_6memory8policies11unroll_baseILi256ESt5arrayIPcLm3EE23TrivialOffsetCalculatorILi2EjESF_ILi1EjENS9_15LoadWithoutCastENS9_16StoreWithoutCastELi16ELi1EEEEEvT0_T1_.uses_vcc)
	.set _ZN2at6native29vectorized_elementwise_kernelILi2ENS0_13BinaryFunctorIN3c1015Float8_e5m2fnuzES4_bNS0_12_GLOBAL__N_116CompareEqFunctorIS4_EEEESt5arrayIPcLm3EEEEviT0_T1_.uses_flat_scratch, or(0, .L_ZN2at6native25elementwise_kernel_helperILb0ENS0_13BinaryFunctorIN3c1015Float8_e5m2fnuzES4_bNS0_12_GLOBAL__N_116CompareEqFunctorIS4_EEEENS0_6memory8policies11unroll_baseILi256ESt5arrayIPcLm3EE23TrivialOffsetCalculatorILi2EjESF_ILi1EjENS9_15LoadWithoutCastENS9_16StoreWithoutCastELi16ELi1EEEEEvT0_T1_.uses_flat_scratch)
	.set _ZN2at6native29vectorized_elementwise_kernelILi2ENS0_13BinaryFunctorIN3c1015Float8_e5m2fnuzES4_bNS0_12_GLOBAL__N_116CompareEqFunctorIS4_EEEESt5arrayIPcLm3EEEEviT0_T1_.has_dyn_sized_stack, or(0, .L_ZN2at6native25elementwise_kernel_helperILb0ENS0_13BinaryFunctorIN3c1015Float8_e5m2fnuzES4_bNS0_12_GLOBAL__N_116CompareEqFunctorIS4_EEEENS0_6memory8policies11unroll_baseILi256ESt5arrayIPcLm3EE23TrivialOffsetCalculatorILi2EjESF_ILi1EjENS9_15LoadWithoutCastENS9_16StoreWithoutCastELi16ELi1EEEEEvT0_T1_.has_dyn_sized_stack)
	.set _ZN2at6native29vectorized_elementwise_kernelILi2ENS0_13BinaryFunctorIN3c1015Float8_e5m2fnuzES4_bNS0_12_GLOBAL__N_116CompareEqFunctorIS4_EEEESt5arrayIPcLm3EEEEviT0_T1_.has_recursion, or(0, .L_ZN2at6native25elementwise_kernel_helperILb0ENS0_13BinaryFunctorIN3c1015Float8_e5m2fnuzES4_bNS0_12_GLOBAL__N_116CompareEqFunctorIS4_EEEENS0_6memory8policies11unroll_baseILi256ESt5arrayIPcLm3EE23TrivialOffsetCalculatorILi2EjESF_ILi1EjENS9_15LoadWithoutCastENS9_16StoreWithoutCastELi16ELi1EEEEEvT0_T1_.has_recursion)
	.set _ZN2at6native29vectorized_elementwise_kernelILi2ENS0_13BinaryFunctorIN3c1015Float8_e5m2fnuzES4_bNS0_12_GLOBAL__N_116CompareEqFunctorIS4_EEEESt5arrayIPcLm3EEEEviT0_T1_.has_indirect_call, or(0, .L_ZN2at6native25elementwise_kernel_helperILb0ENS0_13BinaryFunctorIN3c1015Float8_e5m2fnuzES4_bNS0_12_GLOBAL__N_116CompareEqFunctorIS4_EEEENS0_6memory8policies11unroll_baseILi256ESt5arrayIPcLm3EE23TrivialOffsetCalculatorILi2EjESF_ILi1EjENS9_15LoadWithoutCastENS9_16StoreWithoutCastELi16ELi1EEEEEvT0_T1_.has_indirect_call)
	.section	.AMDGPU.csdata,"",@progbits
; Kernel info:
; codeLenInByte = 17412
; TotalNumSgprs: 61
; NumVgprs: 55
; ScratchSize: 0
; MemoryBound: 0
; FloatMode: 240
; IeeeMode: 1
; LDSByteSize: 0 bytes/workgroup (compile time only)
; SGPRBlocks: 7
; VGPRBlocks: 13
; NumSGPRsForWavesPerEU: 61
; NumVGPRsForWavesPerEU: 55
; Occupancy: 4
; WaveLimiterHint : 1
; COMPUTE_PGM_RSRC2:SCRATCH_EN: 0
; COMPUTE_PGM_RSRC2:USER_SGPR: 6
; COMPUTE_PGM_RSRC2:TRAP_HANDLER: 0
; COMPUTE_PGM_RSRC2:TGID_X_EN: 1
; COMPUTE_PGM_RSRC2:TGID_Y_EN: 0
; COMPUTE_PGM_RSRC2:TGID_Z_EN: 0
; COMPUTE_PGM_RSRC2:TIDIG_COMP_CNT: 0
	.section	.text._ZN2at6native27unrolled_elementwise_kernelINS0_13BinaryFunctorIN3c1015Float8_e5m2fnuzES4_bNS0_12_GLOBAL__N_116CompareEqFunctorIS4_EEEESt5arrayIPcLm3EELi4E23TrivialOffsetCalculatorILi2EjESC_ILi1EjENS0_6memory15LoadWithoutCastENSF_16StoreWithoutCastEEEviT_T0_T2_T3_T4_T5_,"axG",@progbits,_ZN2at6native27unrolled_elementwise_kernelINS0_13BinaryFunctorIN3c1015Float8_e5m2fnuzES4_bNS0_12_GLOBAL__N_116CompareEqFunctorIS4_EEEESt5arrayIPcLm3EELi4E23TrivialOffsetCalculatorILi2EjESC_ILi1EjENS0_6memory15LoadWithoutCastENSF_16StoreWithoutCastEEEviT_T0_T2_T3_T4_T5_,comdat
	.globl	_ZN2at6native27unrolled_elementwise_kernelINS0_13BinaryFunctorIN3c1015Float8_e5m2fnuzES4_bNS0_12_GLOBAL__N_116CompareEqFunctorIS4_EEEESt5arrayIPcLm3EELi4E23TrivialOffsetCalculatorILi2EjESC_ILi1EjENS0_6memory15LoadWithoutCastENSF_16StoreWithoutCastEEEviT_T0_T2_T3_T4_T5_ ; -- Begin function _ZN2at6native27unrolled_elementwise_kernelINS0_13BinaryFunctorIN3c1015Float8_e5m2fnuzES4_bNS0_12_GLOBAL__N_116CompareEqFunctorIS4_EEEESt5arrayIPcLm3EELi4E23TrivialOffsetCalculatorILi2EjESC_ILi1EjENS0_6memory15LoadWithoutCastENSF_16StoreWithoutCastEEEviT_T0_T2_T3_T4_T5_
	.p2align	8
	.type	_ZN2at6native27unrolled_elementwise_kernelINS0_13BinaryFunctorIN3c1015Float8_e5m2fnuzES4_bNS0_12_GLOBAL__N_116CompareEqFunctorIS4_EEEESt5arrayIPcLm3EELi4E23TrivialOffsetCalculatorILi2EjESC_ILi1EjENS0_6memory15LoadWithoutCastENSF_16StoreWithoutCastEEEviT_T0_T2_T3_T4_T5_,@function
_ZN2at6native27unrolled_elementwise_kernelINS0_13BinaryFunctorIN3c1015Float8_e5m2fnuzES4_bNS0_12_GLOBAL__N_116CompareEqFunctorIS4_EEEESt5arrayIPcLm3EELi4E23TrivialOffsetCalculatorILi2EjESC_ILi1EjENS0_6memory15LoadWithoutCastENSF_16StoreWithoutCastEEEviT_T0_T2_T3_T4_T5_: ; @_ZN2at6native27unrolled_elementwise_kernelINS0_13BinaryFunctorIN3c1015Float8_e5m2fnuzES4_bNS0_12_GLOBAL__N_116CompareEqFunctorIS4_EEEESt5arrayIPcLm3EELi4E23TrivialOffsetCalculatorILi2EjESC_ILi1EjENS0_6memory15LoadWithoutCastENSF_16StoreWithoutCastEEEviT_T0_T2_T3_T4_T5_
; %bb.0:
	s_load_dwordx2 s[2:3], s[4:5], 0x0
	s_load_dwordx4 s[8:11], s[4:5], 0x8
	s_load_dwordx2 s[12:13], s[4:5], 0x18
	s_lshl_b32 s18, s6, 10
	v_mov_b32_e32 v4, 0
	s_waitcnt lgkmcnt(0)
	s_sub_i32 s19, s2, s18
	v_cmp_gt_i32_e64 s[0:1], s19, v0
	v_or_b32_e32 v1, s18, v0
	v_mov_b32_e32 v3, 0
	v_mov_b32_e32 v2, 0
	v_mov_b32_e32 v7, 0
	v_mov_b32_e32 v5, 0
	v_mov_b32_e32 v9, 0
	v_mov_b32_e32 v8, 0
	v_mov_b32_e32 v10, 0
	v_mov_b32_e32 v6, 0
	s_and_saveexec_b64 s[4:5], s[0:1]
	s_cbranch_execz .LBB248_8
; %bb.1:
	global_load_ubyte v10, v1, s[10:11]
	global_load_ubyte v6, v1, s[12:13]
	v_or_b32_e32 v11, 0x100, v0
	v_cmp_gt_u32_e32 vcc, s19, v11
	v_mov_b32_e32 v8, 0
	v_mov_b32_e32 v9, 0
	;; [unrolled: 1-line block ×6, first 2 shown]
	s_and_saveexec_b64 s[6:7], vcc
	s_cbranch_execz .LBB248_7
; %bb.2:
	v_add_u32_e32 v2, s18, v11
	global_load_ubyte v9, v2, s[10:11]
	global_load_ubyte v8, v2, s[12:13]
	v_or_b32_e32 v11, 0x200, v0
	v_cmp_gt_u32_e32 vcc, s19, v11
	v_mov_b32_e32 v5, 0
	v_mov_b32_e32 v7, 0
	;; [unrolled: 1-line block ×4, first 2 shown]
	s_and_saveexec_b64 s[14:15], vcc
	s_cbranch_execz .LBB248_6
; %bb.3:
	v_add_u32_e32 v2, s18, v11
	global_load_ubyte v7, v2, s[10:11]
	global_load_ubyte v5, v2, s[12:13]
	v_or_b32_e32 v11, 0x300, v0
	v_cmp_gt_u32_e32 vcc, s19, v11
	v_mov_b32_e32 v2, 0
	v_mov_b32_e32 v3, 0
	s_and_saveexec_b64 s[16:17], vcc
	s_cbranch_execz .LBB248_5
; %bb.4:
	v_add_u32_e32 v11, s18, v11
	global_load_ubyte v3, v11, s[10:11]
	global_load_ubyte v2, v11, s[12:13]
.LBB248_5:
	s_or_b64 exec, exec, s[16:17]
.LBB248_6:
	s_or_b64 exec, exec, s[14:15]
.LBB248_7:
	s_or_b64 exec, exec, s[6:7]
.LBB248_8:
	s_or_b64 exec, exec, s[4:5]
	s_cmp_lg_u32 s3, 0
	s_cselect_b64 s[2:3], -1, 0
	s_and_saveexec_b64 s[4:5], s[0:1]
	s_cbranch_execz .LBB248_30
; %bb.9:
	s_and_b64 vcc, exec, s[2:3]
	s_cbranch_vccz .LBB248_19
; %bb.10:
	s_movk_i32 s6, 0x7f
	s_waitcnt vmcnt(1)
	v_cmp_gt_i16_sdwa s[10:11], v10, s6 src0_sel:BYTE_0 src1_sel:DWORD
	s_mov_b64 s[6:7], 0
	s_and_saveexec_b64 s[12:13], s[10:11]
	s_xor_b64 s[10:11], exec, s[12:13]
	s_cbranch_execnz .LBB248_105
; %bb.11:
	s_or_saveexec_b64 s[10:11], s[10:11]
	v_mov_b32_e32 v4, 0x7f800001
	s_xor_b64 exec, exec, s[10:11]
	s_cbranch_execnz .LBB248_108
.LBB248_12:
	s_or_b64 exec, exec, s[10:11]
	s_and_saveexec_b64 s[10:11], s[6:7]
	s_cbranch_execz .LBB248_14
.LBB248_13:
	v_and_b32_e32 v11, 3, v10
	v_ffbh_u32_e32 v12, v11
	v_min_u32_e32 v12, 32, v12
	v_lshrrev_b16_e32 v4, 2, v10
	v_subrev_u32_e32 v13, 29, v12
	v_and_b32_e32 v4, 31, v4
	v_lshlrev_b32_e32 v13, v13, v10
	v_sub_u32_e32 v12, 30, v12
	v_and_b32_e32 v13, 3, v13
	v_cmp_eq_u32_e32 vcc, 0, v4
	v_cndmask_b32_e32 v4, v4, v12, vcc
	v_cndmask_b32_e32 v11, v11, v13, vcc
	v_lshlrev_b32_e32 v12, 24, v10
	v_mov_b32_e32 v13, 0x37800000
	v_lshlrev_b32_e32 v11, 21, v11
	v_and_b32_e32 v12, 0x80000000, v12
	v_lshl_add_u32 v4, v4, 23, v13
	v_or3_b32 v4, v12, v4, v11
.LBB248_14:
	s_or_b64 exec, exec, s[10:11]
	s_movk_i32 s6, 0x7f
	s_waitcnt vmcnt(0)
	v_cmp_gt_i16_sdwa s[10:11], v6, s6 src0_sel:BYTE_0 src1_sel:DWORD
	s_mov_b64 s[6:7], 0
	s_and_saveexec_b64 s[12:13], s[10:11]
	s_xor_b64 s[10:11], exec, s[12:13]
	s_cbranch_execnz .LBB248_109
; %bb.15:
	s_or_saveexec_b64 s[10:11], s[10:11]
	v_mov_b32_e32 v11, 0x7f800001
	s_xor_b64 exec, exec, s[10:11]
	s_cbranch_execnz .LBB248_112
.LBB248_16:
	s_or_b64 exec, exec, s[10:11]
	s_and_saveexec_b64 s[10:11], s[6:7]
	s_cbranch_execz .LBB248_18
.LBB248_17:
	v_and_b32_e32 v12, 3, v6
	v_ffbh_u32_e32 v13, v12
	v_min_u32_e32 v13, 32, v13
	v_lshrrev_b16_e32 v11, 2, v6
	v_subrev_u32_e32 v14, 29, v13
	v_and_b32_e32 v11, 31, v11
	v_lshlrev_b32_e32 v14, v14, v6
	v_sub_u32_e32 v13, 30, v13
	v_and_b32_e32 v14, 3, v14
	v_cmp_eq_u32_e32 vcc, 0, v11
	v_cndmask_b32_e32 v11, v11, v13, vcc
	v_cndmask_b32_e32 v12, v12, v14, vcc
	v_lshlrev_b32_e32 v13, 24, v6
	v_mov_b32_e32 v14, 0x37800000
	v_lshlrev_b32_e32 v12, 21, v12
	v_and_b32_e32 v13, 0x80000000, v13
	v_lshl_add_u32 v11, v11, 23, v14
	v_or3_b32 v11, v13, v11, v12
.LBB248_18:
	s_or_b64 exec, exec, s[10:11]
	v_cmp_neq_f32_e64 s[6:7], v4, v11
	s_branch .LBB248_29
.LBB248_19:
                                        ; implicit-def: $sgpr6_sgpr7
	s_cbranch_execz .LBB248_29
; %bb.20:
	s_movk_i32 s6, 0x7f
	s_waitcnt vmcnt(1)
	v_cmp_gt_i16_sdwa s[10:11], v10, s6 src0_sel:BYTE_0 src1_sel:DWORD
	s_mov_b64 s[6:7], 0
	s_and_saveexec_b64 s[12:13], s[10:11]
	s_xor_b64 s[10:11], exec, s[12:13]
	s_cbranch_execnz .LBB248_137
; %bb.21:
	s_or_saveexec_b64 s[10:11], s[10:11]
	v_mov_b32_e32 v4, 0x7f800001
	s_xor_b64 exec, exec, s[10:11]
	s_cbranch_execnz .LBB248_140
.LBB248_22:
	s_or_b64 exec, exec, s[10:11]
	s_and_saveexec_b64 s[10:11], s[6:7]
	s_cbranch_execz .LBB248_24
.LBB248_23:
	v_and_b32_e32 v11, 3, v10
	v_ffbh_u32_e32 v12, v11
	v_min_u32_e32 v12, 32, v12
	v_lshrrev_b16_e32 v4, 2, v10
	v_subrev_u32_e32 v13, 29, v12
	v_and_b32_e32 v4, 31, v4
	v_lshlrev_b32_e32 v13, v13, v10
	v_sub_u32_e32 v12, 30, v12
	v_and_b32_e32 v13, 3, v13
	v_cmp_eq_u32_e32 vcc, 0, v4
	v_cndmask_b32_e32 v4, v4, v12, vcc
	v_cndmask_b32_e32 v11, v11, v13, vcc
	v_lshlrev_b32_e32 v10, 24, v10
	v_mov_b32_e32 v12, 0x37800000
	v_lshlrev_b32_e32 v11, 21, v11
	v_and_b32_e32 v10, 0x80000000, v10
	v_lshl_add_u32 v4, v4, 23, v12
	v_or3_b32 v4, v10, v4, v11
.LBB248_24:
	s_or_b64 exec, exec, s[10:11]
	s_movk_i32 s6, 0x7f
	s_waitcnt vmcnt(0)
	v_cmp_gt_i16_sdwa s[10:11], v6, s6 src0_sel:BYTE_0 src1_sel:DWORD
	s_mov_b64 s[6:7], 0
	s_and_saveexec_b64 s[12:13], s[10:11]
	s_xor_b64 s[10:11], exec, s[12:13]
	s_cbranch_execnz .LBB248_141
; %bb.25:
	s_or_saveexec_b64 s[10:11], s[10:11]
	v_mov_b32_e32 v10, 0x7f800001
	s_xor_b64 exec, exec, s[10:11]
	s_cbranch_execnz .LBB248_144
.LBB248_26:
	s_or_b64 exec, exec, s[10:11]
	s_and_saveexec_b64 s[10:11], s[6:7]
	s_cbranch_execz .LBB248_28
.LBB248_27:
	v_and_b32_e32 v11, 3, v6
	v_ffbh_u32_e32 v12, v11
	v_min_u32_e32 v12, 32, v12
	v_lshrrev_b16_e32 v10, 2, v6
	v_subrev_u32_e32 v13, 29, v12
	v_and_b32_e32 v10, 31, v10
	v_lshlrev_b32_e32 v13, v13, v6
	v_sub_u32_e32 v12, 30, v12
	v_and_b32_e32 v13, 3, v13
	v_cmp_eq_u32_e32 vcc, 0, v10
	v_cndmask_b32_e32 v10, v10, v12, vcc
	v_cndmask_b32_e32 v11, v11, v13, vcc
	v_lshlrev_b32_e32 v6, 24, v6
	v_mov_b32_e32 v12, 0x37800000
	v_lshlrev_b32_e32 v11, 21, v11
	v_and_b32_e32 v6, 0x80000000, v6
	v_lshl_add_u32 v10, v10, 23, v12
	v_or3_b32 v10, v6, v10, v11
.LBB248_28:
	s_or_b64 exec, exec, s[10:11]
	v_cmp_eq_f32_e64 s[6:7], v4, v10
.LBB248_29:
	v_cndmask_b32_e64 v4, 0, 1, s[6:7]
.LBB248_30:
	s_or_b64 exec, exec, s[4:5]
	s_waitcnt vmcnt(0)
	v_or_b32_e32 v6, 0x100, v0
	v_cndmask_b32_e64 v10, 0, 1, s[2:3]
	v_cmp_gt_i32_e32 vcc, s19, v6
	v_cmp_ne_u32_e64 s[2:3], 1, v10
	s_and_saveexec_b64 s[4:5], vcc
	s_cbranch_execz .LBB248_52
; %bb.31:
	s_and_b64 vcc, exec, s[2:3]
	s_cbranch_vccnz .LBB248_41
; %bb.32:
	s_movk_i32 s6, 0x7f
	v_cmp_gt_i16_sdwa s[10:11], v9, s6 src0_sel:BYTE_0 src1_sel:DWORD
	s_mov_b64 s[6:7], 0
	s_and_saveexec_b64 s[12:13], s[10:11]
	s_xor_b64 s[10:11], exec, s[12:13]
	s_cbranch_execnz .LBB248_113
; %bb.33:
	s_or_saveexec_b64 s[10:11], s[10:11]
	v_mov_b32_e32 v10, 0x7f800001
	s_xor_b64 exec, exec, s[10:11]
	s_cbranch_execnz .LBB248_116
.LBB248_34:
	s_or_b64 exec, exec, s[10:11]
	s_and_saveexec_b64 s[10:11], s[6:7]
	s_cbranch_execz .LBB248_36
.LBB248_35:
	v_and_b32_e32 v11, 3, v9
	v_ffbh_u32_e32 v12, v11
	v_min_u32_e32 v12, 32, v12
	v_lshrrev_b16_e32 v10, 2, v9
	v_subrev_u32_e32 v13, 29, v12
	v_and_b32_e32 v10, 31, v10
	v_lshlrev_b32_e32 v13, v13, v9
	v_sub_u32_e32 v12, 30, v12
	v_and_b32_e32 v13, 3, v13
	v_cmp_eq_u32_e32 vcc, 0, v10
	v_cndmask_b32_e32 v10, v10, v12, vcc
	v_cndmask_b32_e32 v11, v11, v13, vcc
	v_lshlrev_b32_e32 v12, 24, v9
	v_mov_b32_e32 v13, 0x37800000
	v_lshlrev_b32_e32 v11, 21, v11
	v_and_b32_e32 v12, 0x80000000, v12
	v_lshl_add_u32 v10, v10, 23, v13
	v_or3_b32 v10, v12, v10, v11
.LBB248_36:
	s_or_b64 exec, exec, s[10:11]
	s_movk_i32 s6, 0x7f
	v_cmp_gt_i16_sdwa s[10:11], v8, s6 src0_sel:BYTE_0 src1_sel:DWORD
	s_mov_b64 s[6:7], 0
	s_and_saveexec_b64 s[12:13], s[10:11]
	s_xor_b64 s[10:11], exec, s[12:13]
	s_cbranch_execnz .LBB248_117
; %bb.37:
	s_or_saveexec_b64 s[10:11], s[10:11]
	v_mov_b32_e32 v11, 0x7f800001
	s_xor_b64 exec, exec, s[10:11]
	s_cbranch_execnz .LBB248_120
.LBB248_38:
	s_or_b64 exec, exec, s[10:11]
	s_and_saveexec_b64 s[10:11], s[6:7]
	s_cbranch_execz .LBB248_40
.LBB248_39:
	v_and_b32_e32 v12, 3, v8
	v_ffbh_u32_e32 v13, v12
	v_min_u32_e32 v13, 32, v13
	v_lshrrev_b16_e32 v11, 2, v8
	v_subrev_u32_e32 v14, 29, v13
	v_and_b32_e32 v11, 31, v11
	v_lshlrev_b32_e32 v14, v14, v8
	v_sub_u32_e32 v13, 30, v13
	v_and_b32_e32 v14, 3, v14
	v_cmp_eq_u32_e32 vcc, 0, v11
	v_cndmask_b32_e32 v11, v11, v13, vcc
	v_cndmask_b32_e32 v12, v12, v14, vcc
	v_lshlrev_b32_e32 v13, 24, v8
	v_mov_b32_e32 v14, 0x37800000
	v_lshlrev_b32_e32 v12, 21, v12
	v_and_b32_e32 v13, 0x80000000, v13
	v_lshl_add_u32 v11, v11, 23, v14
	v_or3_b32 v11, v13, v11, v12
.LBB248_40:
	s_or_b64 exec, exec, s[10:11]
	v_cmp_neq_f32_e64 s[6:7], v10, v11
	s_branch .LBB248_51
.LBB248_41:
                                        ; implicit-def: $sgpr6_sgpr7
	s_cbranch_execz .LBB248_51
; %bb.42:
	s_movk_i32 s6, 0x7f
	v_cmp_gt_i16_sdwa s[10:11], v9, s6 src0_sel:BYTE_0 src1_sel:DWORD
	s_mov_b64 s[6:7], 0
	s_and_saveexec_b64 s[12:13], s[10:11]
	s_xor_b64 s[10:11], exec, s[12:13]
	s_cbranch_execnz .LBB248_145
; %bb.43:
	s_or_saveexec_b64 s[10:11], s[10:11]
	v_mov_b32_e32 v10, 0x7f800001
	s_xor_b64 exec, exec, s[10:11]
	s_cbranch_execnz .LBB248_148
.LBB248_44:
	s_or_b64 exec, exec, s[10:11]
	s_and_saveexec_b64 s[10:11], s[6:7]
	s_cbranch_execz .LBB248_46
.LBB248_45:
	v_and_b32_e32 v11, 3, v9
	v_ffbh_u32_e32 v12, v11
	v_min_u32_e32 v12, 32, v12
	v_lshrrev_b16_e32 v10, 2, v9
	v_subrev_u32_e32 v13, 29, v12
	v_and_b32_e32 v10, 31, v10
	v_lshlrev_b32_e32 v13, v13, v9
	v_sub_u32_e32 v12, 30, v12
	v_and_b32_e32 v13, 3, v13
	v_cmp_eq_u32_e32 vcc, 0, v10
	v_cndmask_b32_e32 v10, v10, v12, vcc
	v_cndmask_b32_e32 v11, v11, v13, vcc
	v_lshlrev_b32_e32 v9, 24, v9
	v_mov_b32_e32 v12, 0x37800000
	v_lshlrev_b32_e32 v11, 21, v11
	v_and_b32_e32 v9, 0x80000000, v9
	v_lshl_add_u32 v10, v10, 23, v12
	v_or3_b32 v10, v9, v10, v11
.LBB248_46:
	s_or_b64 exec, exec, s[10:11]
	s_movk_i32 s6, 0x7f
	v_cmp_gt_i16_sdwa s[10:11], v8, s6 src0_sel:BYTE_0 src1_sel:DWORD
	s_mov_b64 s[6:7], 0
	s_and_saveexec_b64 s[12:13], s[10:11]
	s_xor_b64 s[10:11], exec, s[12:13]
	s_cbranch_execnz .LBB248_149
; %bb.47:
	s_or_saveexec_b64 s[10:11], s[10:11]
	v_mov_b32_e32 v9, 0x7f800001
	s_xor_b64 exec, exec, s[10:11]
	s_cbranch_execnz .LBB248_152
.LBB248_48:
	s_or_b64 exec, exec, s[10:11]
	s_and_saveexec_b64 s[10:11], s[6:7]
	s_cbranch_execz .LBB248_50
.LBB248_49:
	v_and_b32_e32 v11, 3, v8
	v_ffbh_u32_e32 v12, v11
	v_min_u32_e32 v12, 32, v12
	v_lshrrev_b16_e32 v9, 2, v8
	v_subrev_u32_e32 v13, 29, v12
	v_and_b32_e32 v9, 31, v9
	v_lshlrev_b32_e32 v13, v13, v8
	v_sub_u32_e32 v12, 30, v12
	v_and_b32_e32 v13, 3, v13
	v_cmp_eq_u32_e32 vcc, 0, v9
	v_cndmask_b32_e32 v9, v9, v12, vcc
	v_cndmask_b32_e32 v11, v11, v13, vcc
	v_lshlrev_b32_e32 v8, 24, v8
	v_mov_b32_e32 v12, 0x37800000
	v_lshlrev_b32_e32 v11, 21, v11
	v_and_b32_e32 v8, 0x80000000, v8
	v_lshl_add_u32 v9, v9, 23, v12
	v_or3_b32 v9, v8, v9, v11
.LBB248_50:
	s_or_b64 exec, exec, s[10:11]
	v_cmp_eq_f32_e64 s[6:7], v10, v9
.LBB248_51:
	v_cndmask_b32_e64 v8, 0, 1, s[6:7]
	v_lshlrev_b16_e32 v8, 8, v8
	v_or_b32_e32 v4, v4, v8
	v_and_b32_e32 v4, 0xffff, v4
.LBB248_52:
	s_or_b64 exec, exec, s[4:5]
	v_or_b32_e32 v8, 0x200, v0
	v_cmp_gt_i32_e32 vcc, s19, v8
	s_and_saveexec_b64 s[4:5], vcc
	s_cbranch_execz .LBB248_74
; %bb.53:
	s_and_b64 vcc, exec, s[2:3]
	s_cbranch_vccnz .LBB248_63
; %bb.54:
	s_movk_i32 s6, 0x7f
	v_cmp_gt_i16_sdwa s[10:11], v7, s6 src0_sel:BYTE_0 src1_sel:DWORD
	s_mov_b64 s[6:7], 0
	s_and_saveexec_b64 s[12:13], s[10:11]
	s_xor_b64 s[10:11], exec, s[12:13]
	s_cbranch_execnz .LBB248_121
; %bb.55:
	s_or_saveexec_b64 s[10:11], s[10:11]
	v_mov_b32_e32 v8, 0x7f800001
	s_xor_b64 exec, exec, s[10:11]
	s_cbranch_execnz .LBB248_124
.LBB248_56:
	s_or_b64 exec, exec, s[10:11]
	s_and_saveexec_b64 s[10:11], s[6:7]
	s_cbranch_execz .LBB248_58
.LBB248_57:
	v_and_b32_e32 v9, 3, v7
	v_ffbh_u32_e32 v10, v9
	v_min_u32_e32 v10, 32, v10
	v_lshrrev_b16_e32 v8, 2, v7
	v_subrev_u32_e32 v11, 29, v10
	v_and_b32_e32 v8, 31, v8
	v_lshlrev_b32_e32 v11, v11, v7
	v_sub_u32_e32 v10, 30, v10
	v_and_b32_e32 v11, 3, v11
	v_cmp_eq_u32_e32 vcc, 0, v8
	v_cndmask_b32_e32 v8, v8, v10, vcc
	v_cndmask_b32_e32 v9, v9, v11, vcc
	v_lshlrev_b32_e32 v10, 24, v7
	v_mov_b32_e32 v11, 0x37800000
	v_lshlrev_b32_e32 v9, 21, v9
	v_and_b32_e32 v10, 0x80000000, v10
	v_lshl_add_u32 v8, v8, 23, v11
	v_or3_b32 v8, v10, v8, v9
.LBB248_58:
	s_or_b64 exec, exec, s[10:11]
	s_movk_i32 s6, 0x7f
	v_cmp_gt_i16_sdwa s[10:11], v5, s6 src0_sel:BYTE_0 src1_sel:DWORD
	s_mov_b64 s[6:7], 0
	s_and_saveexec_b64 s[12:13], s[10:11]
	s_xor_b64 s[10:11], exec, s[12:13]
	s_cbranch_execnz .LBB248_125
; %bb.59:
	s_or_saveexec_b64 s[10:11], s[10:11]
	v_mov_b32_e32 v9, 0x7f800001
	s_xor_b64 exec, exec, s[10:11]
	s_cbranch_execnz .LBB248_128
.LBB248_60:
	s_or_b64 exec, exec, s[10:11]
	s_and_saveexec_b64 s[10:11], s[6:7]
	s_cbranch_execz .LBB248_62
.LBB248_61:
	v_and_b32_e32 v10, 3, v5
	v_ffbh_u32_e32 v11, v10
	v_min_u32_e32 v11, 32, v11
	v_lshrrev_b16_e32 v9, 2, v5
	v_subrev_u32_e32 v12, 29, v11
	v_and_b32_e32 v9, 31, v9
	v_lshlrev_b32_e32 v12, v12, v5
	v_sub_u32_e32 v11, 30, v11
	v_and_b32_e32 v12, 3, v12
	v_cmp_eq_u32_e32 vcc, 0, v9
	v_cndmask_b32_e32 v9, v9, v11, vcc
	v_cndmask_b32_e32 v10, v10, v12, vcc
	v_lshlrev_b32_e32 v11, 24, v5
	v_mov_b32_e32 v12, 0x37800000
	v_lshlrev_b32_e32 v10, 21, v10
	v_and_b32_e32 v11, 0x80000000, v11
	v_lshl_add_u32 v9, v9, 23, v12
	v_or3_b32 v9, v11, v9, v10
.LBB248_62:
	s_or_b64 exec, exec, s[10:11]
	v_cmp_neq_f32_e64 s[6:7], v8, v9
	s_branch .LBB248_73
.LBB248_63:
                                        ; implicit-def: $sgpr6_sgpr7
	s_cbranch_execz .LBB248_73
; %bb.64:
	s_movk_i32 s6, 0x7f
	v_cmp_gt_i16_sdwa s[10:11], v7, s6 src0_sel:BYTE_0 src1_sel:DWORD
	s_mov_b64 s[6:7], 0
	s_and_saveexec_b64 s[12:13], s[10:11]
	s_xor_b64 s[10:11], exec, s[12:13]
	s_cbranch_execnz .LBB248_153
; %bb.65:
	s_or_saveexec_b64 s[10:11], s[10:11]
	v_mov_b32_e32 v8, 0x7f800001
	s_xor_b64 exec, exec, s[10:11]
	s_cbranch_execnz .LBB248_156
.LBB248_66:
	s_or_b64 exec, exec, s[10:11]
	s_and_saveexec_b64 s[10:11], s[6:7]
	s_cbranch_execz .LBB248_68
.LBB248_67:
	v_and_b32_e32 v9, 3, v7
	v_ffbh_u32_e32 v10, v9
	v_min_u32_e32 v10, 32, v10
	v_lshrrev_b16_e32 v8, 2, v7
	v_subrev_u32_e32 v11, 29, v10
	v_and_b32_e32 v8, 31, v8
	v_lshlrev_b32_e32 v11, v11, v7
	v_sub_u32_e32 v10, 30, v10
	v_and_b32_e32 v11, 3, v11
	v_cmp_eq_u32_e32 vcc, 0, v8
	v_cndmask_b32_e32 v8, v8, v10, vcc
	v_cndmask_b32_e32 v9, v9, v11, vcc
	v_lshlrev_b32_e32 v7, 24, v7
	v_mov_b32_e32 v10, 0x37800000
	v_lshlrev_b32_e32 v9, 21, v9
	v_and_b32_e32 v7, 0x80000000, v7
	v_lshl_add_u32 v8, v8, 23, v10
	v_or3_b32 v8, v7, v8, v9
.LBB248_68:
	s_or_b64 exec, exec, s[10:11]
	s_movk_i32 s6, 0x7f
	v_cmp_gt_i16_sdwa s[10:11], v5, s6 src0_sel:BYTE_0 src1_sel:DWORD
	s_mov_b64 s[6:7], 0
	s_and_saveexec_b64 s[12:13], s[10:11]
	s_xor_b64 s[10:11], exec, s[12:13]
	s_cbranch_execnz .LBB248_157
; %bb.69:
	s_or_saveexec_b64 s[10:11], s[10:11]
	v_mov_b32_e32 v7, 0x7f800001
	s_xor_b64 exec, exec, s[10:11]
	s_cbranch_execnz .LBB248_160
.LBB248_70:
	s_or_b64 exec, exec, s[10:11]
	s_and_saveexec_b64 s[10:11], s[6:7]
	s_cbranch_execz .LBB248_72
.LBB248_71:
	v_and_b32_e32 v9, 3, v5
	v_ffbh_u32_e32 v10, v9
	v_min_u32_e32 v10, 32, v10
	v_lshrrev_b16_e32 v7, 2, v5
	v_subrev_u32_e32 v11, 29, v10
	v_and_b32_e32 v7, 31, v7
	v_lshlrev_b32_e32 v11, v11, v5
	v_sub_u32_e32 v10, 30, v10
	v_and_b32_e32 v11, 3, v11
	v_cmp_eq_u32_e32 vcc, 0, v7
	v_cndmask_b32_e32 v7, v7, v10, vcc
	v_cndmask_b32_e32 v9, v9, v11, vcc
	v_lshlrev_b32_e32 v5, 24, v5
	v_mov_b32_e32 v10, 0x37800000
	v_lshlrev_b32_e32 v9, 21, v9
	v_and_b32_e32 v5, 0x80000000, v5
	v_lshl_add_u32 v7, v7, 23, v10
	v_or3_b32 v7, v5, v7, v9
.LBB248_72:
	s_or_b64 exec, exec, s[10:11]
	v_cmp_eq_f32_e64 s[6:7], v8, v7
.LBB248_73:
	v_cndmask_b32_e64 v5, 0, 1, s[6:7]
	v_lshl_or_b32 v4, v5, 16, v4
.LBB248_74:
	s_or_b64 exec, exec, s[4:5]
	v_or_b32_e32 v5, 0x300, v0
	v_cmp_gt_i32_e32 vcc, s19, v5
	s_and_saveexec_b64 s[4:5], vcc
	s_cbranch_execz .LBB248_96
; %bb.75:
	s_and_b64 vcc, exec, s[2:3]
	s_cbranch_vccnz .LBB248_85
; %bb.76:
	s_movk_i32 s2, 0x7f
	v_cmp_gt_i16_sdwa s[6:7], v3, s2 src0_sel:BYTE_0 src1_sel:DWORD
	s_mov_b64 s[2:3], 0
	s_and_saveexec_b64 s[10:11], s[6:7]
	s_xor_b64 s[6:7], exec, s[10:11]
	s_cbranch_execnz .LBB248_129
; %bb.77:
	s_or_saveexec_b64 s[6:7], s[6:7]
	v_mov_b32_e32 v5, 0x7f800001
	s_xor_b64 exec, exec, s[6:7]
	s_cbranch_execnz .LBB248_132
.LBB248_78:
	s_or_b64 exec, exec, s[6:7]
	s_and_saveexec_b64 s[6:7], s[2:3]
	s_cbranch_execz .LBB248_80
.LBB248_79:
	v_and_b32_e32 v7, 3, v3
	v_ffbh_u32_e32 v8, v7
	v_min_u32_e32 v8, 32, v8
	v_lshrrev_b16_e32 v5, 2, v3
	v_subrev_u32_e32 v9, 29, v8
	v_and_b32_e32 v5, 31, v5
	v_lshlrev_b32_e32 v9, v9, v3
	v_sub_u32_e32 v8, 30, v8
	v_and_b32_e32 v9, 3, v9
	v_cmp_eq_u32_e32 vcc, 0, v5
	v_cndmask_b32_e32 v5, v5, v8, vcc
	v_cndmask_b32_e32 v7, v7, v9, vcc
	v_lshlrev_b32_e32 v8, 24, v3
	v_mov_b32_e32 v9, 0x37800000
	v_lshlrev_b32_e32 v7, 21, v7
	v_and_b32_e32 v8, 0x80000000, v8
	v_lshl_add_u32 v5, v5, 23, v9
	v_or3_b32 v5, v8, v5, v7
.LBB248_80:
	s_or_b64 exec, exec, s[6:7]
	s_movk_i32 s2, 0x7f
	v_cmp_gt_i16_sdwa s[6:7], v2, s2 src0_sel:BYTE_0 src1_sel:DWORD
	s_mov_b64 s[2:3], 0
	s_and_saveexec_b64 s[10:11], s[6:7]
	s_xor_b64 s[6:7], exec, s[10:11]
	s_cbranch_execnz .LBB248_133
; %bb.81:
	s_or_saveexec_b64 s[6:7], s[6:7]
	v_mov_b32_e32 v7, 0x7f800001
	s_xor_b64 exec, exec, s[6:7]
	s_cbranch_execnz .LBB248_136
.LBB248_82:
	s_or_b64 exec, exec, s[6:7]
	s_and_saveexec_b64 s[6:7], s[2:3]
	s_cbranch_execz .LBB248_84
.LBB248_83:
	v_and_b32_e32 v8, 3, v2
	v_ffbh_u32_e32 v9, v8
	v_min_u32_e32 v9, 32, v9
	v_lshrrev_b16_e32 v7, 2, v2
	v_subrev_u32_e32 v10, 29, v9
	v_and_b32_e32 v7, 31, v7
	v_lshlrev_b32_e32 v10, v10, v2
	v_sub_u32_e32 v9, 30, v9
	v_and_b32_e32 v10, 3, v10
	v_cmp_eq_u32_e32 vcc, 0, v7
	v_cndmask_b32_e32 v7, v7, v9, vcc
	v_cndmask_b32_e32 v8, v8, v10, vcc
	v_lshlrev_b32_e32 v9, 24, v2
	v_mov_b32_e32 v10, 0x37800000
	v_lshlrev_b32_e32 v8, 21, v8
	v_and_b32_e32 v9, 0x80000000, v9
	v_lshl_add_u32 v7, v7, 23, v10
	v_or3_b32 v7, v9, v7, v8
.LBB248_84:
	s_or_b64 exec, exec, s[6:7]
	v_cmp_neq_f32_e64 s[2:3], v5, v7
	s_branch .LBB248_95
.LBB248_85:
                                        ; implicit-def: $sgpr2_sgpr3
	s_cbranch_execz .LBB248_95
; %bb.86:
	s_movk_i32 s2, 0x7f
	v_cmp_gt_i16_sdwa s[6:7], v3, s2 src0_sel:BYTE_0 src1_sel:DWORD
	s_mov_b64 s[2:3], 0
	s_and_saveexec_b64 s[10:11], s[6:7]
	s_xor_b64 s[6:7], exec, s[10:11]
	s_cbranch_execnz .LBB248_161
; %bb.87:
	s_or_saveexec_b64 s[6:7], s[6:7]
	v_mov_b32_e32 v5, 0x7f800001
	s_xor_b64 exec, exec, s[6:7]
	s_cbranch_execnz .LBB248_164
.LBB248_88:
	s_or_b64 exec, exec, s[6:7]
	s_and_saveexec_b64 s[6:7], s[2:3]
	s_cbranch_execz .LBB248_90
.LBB248_89:
	v_and_b32_e32 v7, 3, v3
	v_ffbh_u32_e32 v8, v7
	v_min_u32_e32 v8, 32, v8
	v_lshrrev_b16_e32 v5, 2, v3
	v_subrev_u32_e32 v9, 29, v8
	v_and_b32_e32 v5, 31, v5
	v_lshlrev_b32_e32 v9, v9, v3
	v_sub_u32_e32 v8, 30, v8
	v_and_b32_e32 v9, 3, v9
	v_cmp_eq_u32_e32 vcc, 0, v5
	v_cndmask_b32_e32 v5, v5, v8, vcc
	v_cndmask_b32_e32 v7, v7, v9, vcc
	v_lshlrev_b32_e32 v3, 24, v3
	v_mov_b32_e32 v8, 0x37800000
	v_lshlrev_b32_e32 v7, 21, v7
	v_and_b32_e32 v3, 0x80000000, v3
	v_lshl_add_u32 v5, v5, 23, v8
	v_or3_b32 v5, v3, v5, v7
.LBB248_90:
	s_or_b64 exec, exec, s[6:7]
	s_movk_i32 s2, 0x7f
	v_cmp_gt_i16_sdwa s[6:7], v2, s2 src0_sel:BYTE_0 src1_sel:DWORD
	s_mov_b64 s[2:3], 0
	s_and_saveexec_b64 s[10:11], s[6:7]
	s_xor_b64 s[6:7], exec, s[10:11]
	s_cbranch_execnz .LBB248_165
; %bb.91:
	s_or_saveexec_b64 s[6:7], s[6:7]
	v_mov_b32_e32 v3, 0x7f800001
	s_xor_b64 exec, exec, s[6:7]
	s_cbranch_execnz .LBB248_168
.LBB248_92:
	s_or_b64 exec, exec, s[6:7]
	s_and_saveexec_b64 s[6:7], s[2:3]
	s_cbranch_execz .LBB248_94
.LBB248_93:
	v_and_b32_e32 v7, 3, v2
	v_ffbh_u32_e32 v8, v7
	v_min_u32_e32 v8, 32, v8
	v_lshrrev_b16_e32 v3, 2, v2
	v_subrev_u32_e32 v9, 29, v8
	v_and_b32_e32 v3, 31, v3
	v_lshlrev_b32_e32 v9, v9, v2
	v_sub_u32_e32 v8, 30, v8
	v_and_b32_e32 v9, 3, v9
	v_cmp_eq_u32_e32 vcc, 0, v3
	v_cndmask_b32_e32 v3, v3, v8, vcc
	v_cndmask_b32_e32 v7, v7, v9, vcc
	v_lshlrev_b32_e32 v2, 24, v2
	v_mov_b32_e32 v8, 0x37800000
	v_lshlrev_b32_e32 v7, 21, v7
	v_and_b32_e32 v2, 0x80000000, v2
	v_lshl_add_u32 v3, v3, 23, v8
	v_or3_b32 v3, v2, v3, v7
.LBB248_94:
	s_or_b64 exec, exec, s[6:7]
	v_cmp_eq_f32_e64 s[2:3], v5, v3
.LBB248_95:
	v_cndmask_b32_e64 v2, 0, 1, s[2:3]
	v_lshlrev_b16_e32 v2, 8, v2
	v_or_b32_sdwa v2, v4, v2 dst_sel:WORD_1 dst_unused:UNUSED_PAD src0_sel:WORD_1 src1_sel:DWORD
	s_mov_b32 s2, 0xffff
	v_and_or_b32 v4, v4, s2, v2
.LBB248_96:
	s_or_b64 exec, exec, s[4:5]
	s_and_saveexec_b64 s[2:3], s[0:1]
	s_xor_b64 s[0:1], exec, s[2:3]
	s_cbranch_execz .LBB248_98
; %bb.97:
	v_mov_b32_e32 v0, v6
	global_store_byte v1, v4, s[8:9]
.LBB248_98:
	s_or_b64 exec, exec, s[0:1]
	v_cmp_gt_i32_e32 vcc, s19, v0
	s_and_saveexec_b64 s[0:1], vcc
	s_cbranch_execnz .LBB248_102
; %bb.99:
	s_or_b64 exec, exec, s[0:1]
	v_cmp_gt_i32_e32 vcc, s19, v0
	s_and_saveexec_b64 s[0:1], vcc
	s_cbranch_execnz .LBB248_103
.LBB248_100:
	s_or_b64 exec, exec, s[0:1]
	v_cmp_gt_i32_e32 vcc, s19, v0
	s_and_saveexec_b64 s[0:1], vcc
	s_cbranch_execnz .LBB248_104
.LBB248_101:
	s_endpgm
.LBB248_102:
	v_add_u32_e32 v1, 0x100, v0
	v_add_u32_e32 v0, s18, v0
	v_lshrrev_b32_e32 v2, 8, v4
	global_store_byte v0, v2, s[8:9]
	v_mov_b32_e32 v0, v1
	s_or_b64 exec, exec, s[0:1]
	v_cmp_gt_i32_e32 vcc, s19, v0
	s_and_saveexec_b64 s[0:1], vcc
	s_cbranch_execz .LBB248_100
.LBB248_103:
	v_add_u32_e32 v1, 0x100, v0
	v_add_u32_e32 v0, s18, v0
	global_store_byte_d16_hi v0, v4, s[8:9]
	v_mov_b32_e32 v0, v1
	s_or_b64 exec, exec, s[0:1]
	v_cmp_gt_i32_e32 vcc, s19, v0
	s_and_saveexec_b64 s[0:1], vcc
	s_cbranch_execz .LBB248_101
.LBB248_104:
	v_add_u32_e32 v0, s18, v0
	v_lshrrev_b32_e32 v1, 24, v4
	global_store_byte v0, v1, s[8:9]
	s_endpgm
.LBB248_105:
	s_movk_i32 s6, 0x80
	v_cmp_eq_u16_sdwa s[14:15], v10, s6 src0_sel:BYTE_0 src1_sel:DWORD
	s_mov_b64 s[6:7], -1
	s_and_saveexec_b64 s[12:13], s[14:15]
; %bb.106:
	s_xor_b64 s[6:7], exec, -1
; %bb.107:
	s_or_b64 exec, exec, s[12:13]
	s_and_b64 s[6:7], s[6:7], exec
	s_or_saveexec_b64 s[10:11], s[10:11]
	v_mov_b32_e32 v4, 0x7f800001
	s_xor_b64 exec, exec, s[10:11]
	s_cbranch_execz .LBB248_12
.LBB248_108:
	v_mov_b32_e32 v4, 0
	v_cmp_ne_u16_sdwa s[12:13], v10, v4 src0_sel:BYTE_0 src1_sel:DWORD
	s_andn2_b64 s[6:7], s[6:7], exec
	s_and_b64 s[12:13], s[12:13], exec
	s_or_b64 s[6:7], s[6:7], s[12:13]
	s_or_b64 exec, exec, s[10:11]
	s_and_saveexec_b64 s[10:11], s[6:7]
	s_cbranch_execnz .LBB248_13
	s_branch .LBB248_14
.LBB248_109:
	s_movk_i32 s6, 0x80
	v_cmp_eq_u16_sdwa s[14:15], v6, s6 src0_sel:BYTE_0 src1_sel:DWORD
	s_mov_b64 s[6:7], -1
	s_and_saveexec_b64 s[12:13], s[14:15]
; %bb.110:
	s_xor_b64 s[6:7], exec, -1
; %bb.111:
	s_or_b64 exec, exec, s[12:13]
	s_and_b64 s[6:7], s[6:7], exec
	s_or_saveexec_b64 s[10:11], s[10:11]
	v_mov_b32_e32 v11, 0x7f800001
	s_xor_b64 exec, exec, s[10:11]
	s_cbranch_execz .LBB248_16
.LBB248_112:
	v_mov_b32_e32 v11, 0
	v_cmp_ne_u16_sdwa s[12:13], v6, v11 src0_sel:BYTE_0 src1_sel:DWORD
	s_andn2_b64 s[6:7], s[6:7], exec
	s_and_b64 s[12:13], s[12:13], exec
	s_or_b64 s[6:7], s[6:7], s[12:13]
	s_or_b64 exec, exec, s[10:11]
	s_and_saveexec_b64 s[10:11], s[6:7]
	s_cbranch_execnz .LBB248_17
	s_branch .LBB248_18
.LBB248_113:
	s_movk_i32 s6, 0x80
	v_cmp_eq_u16_sdwa s[14:15], v9, s6 src0_sel:BYTE_0 src1_sel:DWORD
	s_mov_b64 s[6:7], -1
	s_and_saveexec_b64 s[12:13], s[14:15]
; %bb.114:
	s_xor_b64 s[6:7], exec, -1
; %bb.115:
	s_or_b64 exec, exec, s[12:13]
	s_and_b64 s[6:7], s[6:7], exec
	s_or_saveexec_b64 s[10:11], s[10:11]
	v_mov_b32_e32 v10, 0x7f800001
	s_xor_b64 exec, exec, s[10:11]
	s_cbranch_execz .LBB248_34
.LBB248_116:
	v_mov_b32_e32 v10, 0
	v_cmp_ne_u16_sdwa s[12:13], v9, v10 src0_sel:BYTE_0 src1_sel:DWORD
	s_andn2_b64 s[6:7], s[6:7], exec
	s_and_b64 s[12:13], s[12:13], exec
	s_or_b64 s[6:7], s[6:7], s[12:13]
	s_or_b64 exec, exec, s[10:11]
	s_and_saveexec_b64 s[10:11], s[6:7]
	s_cbranch_execnz .LBB248_35
	s_branch .LBB248_36
.LBB248_117:
	s_movk_i32 s6, 0x80
	v_cmp_eq_u16_sdwa s[14:15], v8, s6 src0_sel:BYTE_0 src1_sel:DWORD
	s_mov_b64 s[6:7], -1
	s_and_saveexec_b64 s[12:13], s[14:15]
; %bb.118:
	s_xor_b64 s[6:7], exec, -1
; %bb.119:
	s_or_b64 exec, exec, s[12:13]
	s_and_b64 s[6:7], s[6:7], exec
	s_or_saveexec_b64 s[10:11], s[10:11]
	v_mov_b32_e32 v11, 0x7f800001
	s_xor_b64 exec, exec, s[10:11]
	s_cbranch_execz .LBB248_38
.LBB248_120:
	v_mov_b32_e32 v11, 0
	v_cmp_ne_u16_sdwa s[12:13], v8, v11 src0_sel:BYTE_0 src1_sel:DWORD
	s_andn2_b64 s[6:7], s[6:7], exec
	s_and_b64 s[12:13], s[12:13], exec
	s_or_b64 s[6:7], s[6:7], s[12:13]
	s_or_b64 exec, exec, s[10:11]
	s_and_saveexec_b64 s[10:11], s[6:7]
	s_cbranch_execnz .LBB248_39
	s_branch .LBB248_40
.LBB248_121:
	s_movk_i32 s6, 0x80
	v_cmp_eq_u16_sdwa s[14:15], v7, s6 src0_sel:BYTE_0 src1_sel:DWORD
	s_mov_b64 s[6:7], -1
	s_and_saveexec_b64 s[12:13], s[14:15]
; %bb.122:
	s_xor_b64 s[6:7], exec, -1
; %bb.123:
	s_or_b64 exec, exec, s[12:13]
	s_and_b64 s[6:7], s[6:7], exec
	s_or_saveexec_b64 s[10:11], s[10:11]
	v_mov_b32_e32 v8, 0x7f800001
	s_xor_b64 exec, exec, s[10:11]
	s_cbranch_execz .LBB248_56
.LBB248_124:
	v_mov_b32_e32 v8, 0
	v_cmp_ne_u16_sdwa s[12:13], v7, v8 src0_sel:BYTE_0 src1_sel:DWORD
	s_andn2_b64 s[6:7], s[6:7], exec
	s_and_b64 s[12:13], s[12:13], exec
	s_or_b64 s[6:7], s[6:7], s[12:13]
	s_or_b64 exec, exec, s[10:11]
	s_and_saveexec_b64 s[10:11], s[6:7]
	s_cbranch_execnz .LBB248_57
	s_branch .LBB248_58
.LBB248_125:
	s_movk_i32 s6, 0x80
	v_cmp_eq_u16_sdwa s[14:15], v5, s6 src0_sel:BYTE_0 src1_sel:DWORD
	s_mov_b64 s[6:7], -1
	s_and_saveexec_b64 s[12:13], s[14:15]
; %bb.126:
	s_xor_b64 s[6:7], exec, -1
; %bb.127:
	s_or_b64 exec, exec, s[12:13]
	s_and_b64 s[6:7], s[6:7], exec
	s_or_saveexec_b64 s[10:11], s[10:11]
	v_mov_b32_e32 v9, 0x7f800001
	s_xor_b64 exec, exec, s[10:11]
	s_cbranch_execz .LBB248_60
.LBB248_128:
	v_mov_b32_e32 v9, 0
	v_cmp_ne_u16_sdwa s[12:13], v5, v9 src0_sel:BYTE_0 src1_sel:DWORD
	s_andn2_b64 s[6:7], s[6:7], exec
	s_and_b64 s[12:13], s[12:13], exec
	s_or_b64 s[6:7], s[6:7], s[12:13]
	s_or_b64 exec, exec, s[10:11]
	s_and_saveexec_b64 s[10:11], s[6:7]
	s_cbranch_execnz .LBB248_61
	s_branch .LBB248_62
.LBB248_129:
	s_movk_i32 s2, 0x80
	v_cmp_eq_u16_sdwa s[12:13], v3, s2 src0_sel:BYTE_0 src1_sel:DWORD
	s_mov_b64 s[2:3], -1
	s_and_saveexec_b64 s[10:11], s[12:13]
; %bb.130:
	s_xor_b64 s[2:3], exec, -1
; %bb.131:
	s_or_b64 exec, exec, s[10:11]
	s_and_b64 s[2:3], s[2:3], exec
	s_or_saveexec_b64 s[6:7], s[6:7]
	v_mov_b32_e32 v5, 0x7f800001
	s_xor_b64 exec, exec, s[6:7]
	s_cbranch_execz .LBB248_78
.LBB248_132:
	v_mov_b32_e32 v5, 0
	v_cmp_ne_u16_sdwa s[10:11], v3, v5 src0_sel:BYTE_0 src1_sel:DWORD
	s_andn2_b64 s[2:3], s[2:3], exec
	s_and_b64 s[10:11], s[10:11], exec
	s_or_b64 s[2:3], s[2:3], s[10:11]
	s_or_b64 exec, exec, s[6:7]
	s_and_saveexec_b64 s[6:7], s[2:3]
	s_cbranch_execnz .LBB248_79
	s_branch .LBB248_80
.LBB248_133:
	s_movk_i32 s2, 0x80
	v_cmp_eq_u16_sdwa s[12:13], v2, s2 src0_sel:BYTE_0 src1_sel:DWORD
	s_mov_b64 s[2:3], -1
	s_and_saveexec_b64 s[10:11], s[12:13]
; %bb.134:
	s_xor_b64 s[2:3], exec, -1
; %bb.135:
	s_or_b64 exec, exec, s[10:11]
	s_and_b64 s[2:3], s[2:3], exec
	s_or_saveexec_b64 s[6:7], s[6:7]
	v_mov_b32_e32 v7, 0x7f800001
	s_xor_b64 exec, exec, s[6:7]
	s_cbranch_execz .LBB248_82
.LBB248_136:
	v_mov_b32_e32 v7, 0
	v_cmp_ne_u16_sdwa s[10:11], v2, v7 src0_sel:BYTE_0 src1_sel:DWORD
	s_andn2_b64 s[2:3], s[2:3], exec
	s_and_b64 s[10:11], s[10:11], exec
	s_or_b64 s[2:3], s[2:3], s[10:11]
	s_or_b64 exec, exec, s[6:7]
	s_and_saveexec_b64 s[6:7], s[2:3]
	s_cbranch_execnz .LBB248_83
	s_branch .LBB248_84
.LBB248_137:
	s_movk_i32 s6, 0x80
	v_cmp_eq_u16_sdwa s[14:15], v10, s6 src0_sel:BYTE_0 src1_sel:DWORD
	s_mov_b64 s[6:7], -1
	s_and_saveexec_b64 s[12:13], s[14:15]
; %bb.138:
	s_xor_b64 s[6:7], exec, -1
; %bb.139:
	s_or_b64 exec, exec, s[12:13]
	s_and_b64 s[6:7], s[6:7], exec
	s_or_saveexec_b64 s[10:11], s[10:11]
	v_mov_b32_e32 v4, 0x7f800001
	s_xor_b64 exec, exec, s[10:11]
	s_cbranch_execz .LBB248_22
.LBB248_140:
	v_mov_b32_e32 v4, 0
	v_cmp_ne_u16_sdwa s[12:13], v10, v4 src0_sel:BYTE_0 src1_sel:DWORD
	s_andn2_b64 s[6:7], s[6:7], exec
	s_and_b64 s[12:13], s[12:13], exec
	s_or_b64 s[6:7], s[6:7], s[12:13]
	s_or_b64 exec, exec, s[10:11]
	s_and_saveexec_b64 s[10:11], s[6:7]
	s_cbranch_execnz .LBB248_23
	s_branch .LBB248_24
.LBB248_141:
	s_movk_i32 s6, 0x80
	v_cmp_eq_u16_sdwa s[14:15], v6, s6 src0_sel:BYTE_0 src1_sel:DWORD
	s_mov_b64 s[6:7], -1
	s_and_saveexec_b64 s[12:13], s[14:15]
; %bb.142:
	s_xor_b64 s[6:7], exec, -1
; %bb.143:
	s_or_b64 exec, exec, s[12:13]
	s_and_b64 s[6:7], s[6:7], exec
	s_or_saveexec_b64 s[10:11], s[10:11]
	v_mov_b32_e32 v10, 0x7f800001
	s_xor_b64 exec, exec, s[10:11]
	s_cbranch_execz .LBB248_26
.LBB248_144:
	v_mov_b32_e32 v10, 0
	v_cmp_ne_u16_sdwa s[12:13], v6, v10 src0_sel:BYTE_0 src1_sel:DWORD
	s_andn2_b64 s[6:7], s[6:7], exec
	s_and_b64 s[12:13], s[12:13], exec
	s_or_b64 s[6:7], s[6:7], s[12:13]
	s_or_b64 exec, exec, s[10:11]
	s_and_saveexec_b64 s[10:11], s[6:7]
	s_cbranch_execnz .LBB248_27
	s_branch .LBB248_28
.LBB248_145:
	s_movk_i32 s6, 0x80
	v_cmp_eq_u16_sdwa s[14:15], v9, s6 src0_sel:BYTE_0 src1_sel:DWORD
	s_mov_b64 s[6:7], -1
	s_and_saveexec_b64 s[12:13], s[14:15]
; %bb.146:
	s_xor_b64 s[6:7], exec, -1
; %bb.147:
	s_or_b64 exec, exec, s[12:13]
	s_and_b64 s[6:7], s[6:7], exec
	s_or_saveexec_b64 s[10:11], s[10:11]
	v_mov_b32_e32 v10, 0x7f800001
	s_xor_b64 exec, exec, s[10:11]
	s_cbranch_execz .LBB248_44
.LBB248_148:
	v_mov_b32_e32 v10, 0
	v_cmp_ne_u16_sdwa s[12:13], v9, v10 src0_sel:BYTE_0 src1_sel:DWORD
	s_andn2_b64 s[6:7], s[6:7], exec
	s_and_b64 s[12:13], s[12:13], exec
	s_or_b64 s[6:7], s[6:7], s[12:13]
	s_or_b64 exec, exec, s[10:11]
	s_and_saveexec_b64 s[10:11], s[6:7]
	s_cbranch_execnz .LBB248_45
	s_branch .LBB248_46
.LBB248_149:
	s_movk_i32 s6, 0x80
	v_cmp_eq_u16_sdwa s[14:15], v8, s6 src0_sel:BYTE_0 src1_sel:DWORD
	s_mov_b64 s[6:7], -1
	s_and_saveexec_b64 s[12:13], s[14:15]
; %bb.150:
	s_xor_b64 s[6:7], exec, -1
; %bb.151:
	s_or_b64 exec, exec, s[12:13]
	s_and_b64 s[6:7], s[6:7], exec
	s_or_saveexec_b64 s[10:11], s[10:11]
	v_mov_b32_e32 v9, 0x7f800001
	s_xor_b64 exec, exec, s[10:11]
	s_cbranch_execz .LBB248_48
.LBB248_152:
	v_mov_b32_e32 v9, 0
	v_cmp_ne_u16_sdwa s[12:13], v8, v9 src0_sel:BYTE_0 src1_sel:DWORD
	s_andn2_b64 s[6:7], s[6:7], exec
	s_and_b64 s[12:13], s[12:13], exec
	s_or_b64 s[6:7], s[6:7], s[12:13]
	s_or_b64 exec, exec, s[10:11]
	s_and_saveexec_b64 s[10:11], s[6:7]
	s_cbranch_execnz .LBB248_49
	s_branch .LBB248_50
.LBB248_153:
	s_movk_i32 s6, 0x80
	v_cmp_eq_u16_sdwa s[14:15], v7, s6 src0_sel:BYTE_0 src1_sel:DWORD
	s_mov_b64 s[6:7], -1
	s_and_saveexec_b64 s[12:13], s[14:15]
; %bb.154:
	s_xor_b64 s[6:7], exec, -1
; %bb.155:
	s_or_b64 exec, exec, s[12:13]
	s_and_b64 s[6:7], s[6:7], exec
	s_or_saveexec_b64 s[10:11], s[10:11]
	v_mov_b32_e32 v8, 0x7f800001
	s_xor_b64 exec, exec, s[10:11]
	s_cbranch_execz .LBB248_66
.LBB248_156:
	v_mov_b32_e32 v8, 0
	v_cmp_ne_u16_sdwa s[12:13], v7, v8 src0_sel:BYTE_0 src1_sel:DWORD
	s_andn2_b64 s[6:7], s[6:7], exec
	s_and_b64 s[12:13], s[12:13], exec
	s_or_b64 s[6:7], s[6:7], s[12:13]
	s_or_b64 exec, exec, s[10:11]
	s_and_saveexec_b64 s[10:11], s[6:7]
	s_cbranch_execnz .LBB248_67
	s_branch .LBB248_68
.LBB248_157:
	s_movk_i32 s6, 0x80
	v_cmp_eq_u16_sdwa s[14:15], v5, s6 src0_sel:BYTE_0 src1_sel:DWORD
	s_mov_b64 s[6:7], -1
	s_and_saveexec_b64 s[12:13], s[14:15]
; %bb.158:
	s_xor_b64 s[6:7], exec, -1
; %bb.159:
	s_or_b64 exec, exec, s[12:13]
	s_and_b64 s[6:7], s[6:7], exec
	s_or_saveexec_b64 s[10:11], s[10:11]
	v_mov_b32_e32 v7, 0x7f800001
	s_xor_b64 exec, exec, s[10:11]
	s_cbranch_execz .LBB248_70
.LBB248_160:
	v_mov_b32_e32 v7, 0
	v_cmp_ne_u16_sdwa s[12:13], v5, v7 src0_sel:BYTE_0 src1_sel:DWORD
	s_andn2_b64 s[6:7], s[6:7], exec
	s_and_b64 s[12:13], s[12:13], exec
	s_or_b64 s[6:7], s[6:7], s[12:13]
	s_or_b64 exec, exec, s[10:11]
	s_and_saveexec_b64 s[10:11], s[6:7]
	s_cbranch_execnz .LBB248_71
	s_branch .LBB248_72
.LBB248_161:
	s_movk_i32 s2, 0x80
	v_cmp_eq_u16_sdwa s[12:13], v3, s2 src0_sel:BYTE_0 src1_sel:DWORD
	s_mov_b64 s[2:3], -1
	s_and_saveexec_b64 s[10:11], s[12:13]
; %bb.162:
	s_xor_b64 s[2:3], exec, -1
; %bb.163:
	s_or_b64 exec, exec, s[10:11]
	s_and_b64 s[2:3], s[2:3], exec
	s_or_saveexec_b64 s[6:7], s[6:7]
	v_mov_b32_e32 v5, 0x7f800001
	s_xor_b64 exec, exec, s[6:7]
	s_cbranch_execz .LBB248_88
.LBB248_164:
	v_mov_b32_e32 v5, 0
	v_cmp_ne_u16_sdwa s[10:11], v3, v5 src0_sel:BYTE_0 src1_sel:DWORD
	s_andn2_b64 s[2:3], s[2:3], exec
	s_and_b64 s[10:11], s[10:11], exec
	s_or_b64 s[2:3], s[2:3], s[10:11]
	s_or_b64 exec, exec, s[6:7]
	s_and_saveexec_b64 s[6:7], s[2:3]
	s_cbranch_execnz .LBB248_89
	s_branch .LBB248_90
.LBB248_165:
	s_movk_i32 s2, 0x80
	v_cmp_eq_u16_sdwa s[12:13], v2, s2 src0_sel:BYTE_0 src1_sel:DWORD
	s_mov_b64 s[2:3], -1
	s_and_saveexec_b64 s[10:11], s[12:13]
; %bb.166:
	s_xor_b64 s[2:3], exec, -1
; %bb.167:
	s_or_b64 exec, exec, s[10:11]
	s_and_b64 s[2:3], s[2:3], exec
	s_or_saveexec_b64 s[6:7], s[6:7]
	v_mov_b32_e32 v3, 0x7f800001
	s_xor_b64 exec, exec, s[6:7]
	s_cbranch_execz .LBB248_92
.LBB248_168:
	v_mov_b32_e32 v3, 0
	v_cmp_ne_u16_sdwa s[10:11], v2, v3 src0_sel:BYTE_0 src1_sel:DWORD
	s_andn2_b64 s[2:3], s[2:3], exec
	s_and_b64 s[10:11], s[10:11], exec
	s_or_b64 s[2:3], s[2:3], s[10:11]
	s_or_b64 exec, exec, s[6:7]
	s_and_saveexec_b64 s[6:7], s[2:3]
	s_cbranch_execnz .LBB248_93
	s_branch .LBB248_94
	.section	.rodata,"a",@progbits
	.p2align	6, 0x0
	.amdhsa_kernel _ZN2at6native27unrolled_elementwise_kernelINS0_13BinaryFunctorIN3c1015Float8_e5m2fnuzES4_bNS0_12_GLOBAL__N_116CompareEqFunctorIS4_EEEESt5arrayIPcLm3EELi4E23TrivialOffsetCalculatorILi2EjESC_ILi1EjENS0_6memory15LoadWithoutCastENSF_16StoreWithoutCastEEEviT_T0_T2_T3_T4_T5_
		.amdhsa_group_segment_fixed_size 0
		.amdhsa_private_segment_fixed_size 0
		.amdhsa_kernarg_size 36
		.amdhsa_user_sgpr_count 6
		.amdhsa_user_sgpr_private_segment_buffer 1
		.amdhsa_user_sgpr_dispatch_ptr 0
		.amdhsa_user_sgpr_queue_ptr 0
		.amdhsa_user_sgpr_kernarg_segment_ptr 1
		.amdhsa_user_sgpr_dispatch_id 0
		.amdhsa_user_sgpr_flat_scratch_init 0
		.amdhsa_user_sgpr_private_segment_size 0
		.amdhsa_uses_dynamic_stack 0
		.amdhsa_system_sgpr_private_segment_wavefront_offset 0
		.amdhsa_system_sgpr_workgroup_id_x 1
		.amdhsa_system_sgpr_workgroup_id_y 0
		.amdhsa_system_sgpr_workgroup_id_z 0
		.amdhsa_system_sgpr_workgroup_info 0
		.amdhsa_system_vgpr_workitem_id 0
		.amdhsa_next_free_vgpr 15
		.amdhsa_next_free_sgpr 20
		.amdhsa_reserve_vcc 1
		.amdhsa_reserve_flat_scratch 0
		.amdhsa_float_round_mode_32 0
		.amdhsa_float_round_mode_16_64 0
		.amdhsa_float_denorm_mode_32 3
		.amdhsa_float_denorm_mode_16_64 3
		.amdhsa_dx10_clamp 1
		.amdhsa_ieee_mode 1
		.amdhsa_fp16_overflow 0
		.amdhsa_exception_fp_ieee_invalid_op 0
		.amdhsa_exception_fp_denorm_src 0
		.amdhsa_exception_fp_ieee_div_zero 0
		.amdhsa_exception_fp_ieee_overflow 0
		.amdhsa_exception_fp_ieee_underflow 0
		.amdhsa_exception_fp_ieee_inexact 0
		.amdhsa_exception_int_div_zero 0
	.end_amdhsa_kernel
	.section	.text._ZN2at6native27unrolled_elementwise_kernelINS0_13BinaryFunctorIN3c1015Float8_e5m2fnuzES4_bNS0_12_GLOBAL__N_116CompareEqFunctorIS4_EEEESt5arrayIPcLm3EELi4E23TrivialOffsetCalculatorILi2EjESC_ILi1EjENS0_6memory15LoadWithoutCastENSF_16StoreWithoutCastEEEviT_T0_T2_T3_T4_T5_,"axG",@progbits,_ZN2at6native27unrolled_elementwise_kernelINS0_13BinaryFunctorIN3c1015Float8_e5m2fnuzES4_bNS0_12_GLOBAL__N_116CompareEqFunctorIS4_EEEESt5arrayIPcLm3EELi4E23TrivialOffsetCalculatorILi2EjESC_ILi1EjENS0_6memory15LoadWithoutCastENSF_16StoreWithoutCastEEEviT_T0_T2_T3_T4_T5_,comdat
.Lfunc_end248:
	.size	_ZN2at6native27unrolled_elementwise_kernelINS0_13BinaryFunctorIN3c1015Float8_e5m2fnuzES4_bNS0_12_GLOBAL__N_116CompareEqFunctorIS4_EEEESt5arrayIPcLm3EELi4E23TrivialOffsetCalculatorILi2EjESC_ILi1EjENS0_6memory15LoadWithoutCastENSF_16StoreWithoutCastEEEviT_T0_T2_T3_T4_T5_, .Lfunc_end248-_ZN2at6native27unrolled_elementwise_kernelINS0_13BinaryFunctorIN3c1015Float8_e5m2fnuzES4_bNS0_12_GLOBAL__N_116CompareEqFunctorIS4_EEEESt5arrayIPcLm3EELi4E23TrivialOffsetCalculatorILi2EjESC_ILi1EjENS0_6memory15LoadWithoutCastENSF_16StoreWithoutCastEEEviT_T0_T2_T3_T4_T5_
                                        ; -- End function
	.set _ZN2at6native27unrolled_elementwise_kernelINS0_13BinaryFunctorIN3c1015Float8_e5m2fnuzES4_bNS0_12_GLOBAL__N_116CompareEqFunctorIS4_EEEESt5arrayIPcLm3EELi4E23TrivialOffsetCalculatorILi2EjESC_ILi1EjENS0_6memory15LoadWithoutCastENSF_16StoreWithoutCastEEEviT_T0_T2_T3_T4_T5_.num_vgpr, 15
	.set _ZN2at6native27unrolled_elementwise_kernelINS0_13BinaryFunctorIN3c1015Float8_e5m2fnuzES4_bNS0_12_GLOBAL__N_116CompareEqFunctorIS4_EEEESt5arrayIPcLm3EELi4E23TrivialOffsetCalculatorILi2EjESC_ILi1EjENS0_6memory15LoadWithoutCastENSF_16StoreWithoutCastEEEviT_T0_T2_T3_T4_T5_.num_agpr, 0
	.set _ZN2at6native27unrolled_elementwise_kernelINS0_13BinaryFunctorIN3c1015Float8_e5m2fnuzES4_bNS0_12_GLOBAL__N_116CompareEqFunctorIS4_EEEESt5arrayIPcLm3EELi4E23TrivialOffsetCalculatorILi2EjESC_ILi1EjENS0_6memory15LoadWithoutCastENSF_16StoreWithoutCastEEEviT_T0_T2_T3_T4_T5_.numbered_sgpr, 20
	.set _ZN2at6native27unrolled_elementwise_kernelINS0_13BinaryFunctorIN3c1015Float8_e5m2fnuzES4_bNS0_12_GLOBAL__N_116CompareEqFunctorIS4_EEEESt5arrayIPcLm3EELi4E23TrivialOffsetCalculatorILi2EjESC_ILi1EjENS0_6memory15LoadWithoutCastENSF_16StoreWithoutCastEEEviT_T0_T2_T3_T4_T5_.num_named_barrier, 0
	.set _ZN2at6native27unrolled_elementwise_kernelINS0_13BinaryFunctorIN3c1015Float8_e5m2fnuzES4_bNS0_12_GLOBAL__N_116CompareEqFunctorIS4_EEEESt5arrayIPcLm3EELi4E23TrivialOffsetCalculatorILi2EjESC_ILi1EjENS0_6memory15LoadWithoutCastENSF_16StoreWithoutCastEEEviT_T0_T2_T3_T4_T5_.private_seg_size, 0
	.set _ZN2at6native27unrolled_elementwise_kernelINS0_13BinaryFunctorIN3c1015Float8_e5m2fnuzES4_bNS0_12_GLOBAL__N_116CompareEqFunctorIS4_EEEESt5arrayIPcLm3EELi4E23TrivialOffsetCalculatorILi2EjESC_ILi1EjENS0_6memory15LoadWithoutCastENSF_16StoreWithoutCastEEEviT_T0_T2_T3_T4_T5_.uses_vcc, 1
	.set _ZN2at6native27unrolled_elementwise_kernelINS0_13BinaryFunctorIN3c1015Float8_e5m2fnuzES4_bNS0_12_GLOBAL__N_116CompareEqFunctorIS4_EEEESt5arrayIPcLm3EELi4E23TrivialOffsetCalculatorILi2EjESC_ILi1EjENS0_6memory15LoadWithoutCastENSF_16StoreWithoutCastEEEviT_T0_T2_T3_T4_T5_.uses_flat_scratch, 0
	.set _ZN2at6native27unrolled_elementwise_kernelINS0_13BinaryFunctorIN3c1015Float8_e5m2fnuzES4_bNS0_12_GLOBAL__N_116CompareEqFunctorIS4_EEEESt5arrayIPcLm3EELi4E23TrivialOffsetCalculatorILi2EjESC_ILi1EjENS0_6memory15LoadWithoutCastENSF_16StoreWithoutCastEEEviT_T0_T2_T3_T4_T5_.has_dyn_sized_stack, 0
	.set _ZN2at6native27unrolled_elementwise_kernelINS0_13BinaryFunctorIN3c1015Float8_e5m2fnuzES4_bNS0_12_GLOBAL__N_116CompareEqFunctorIS4_EEEESt5arrayIPcLm3EELi4E23TrivialOffsetCalculatorILi2EjESC_ILi1EjENS0_6memory15LoadWithoutCastENSF_16StoreWithoutCastEEEviT_T0_T2_T3_T4_T5_.has_recursion, 0
	.set _ZN2at6native27unrolled_elementwise_kernelINS0_13BinaryFunctorIN3c1015Float8_e5m2fnuzES4_bNS0_12_GLOBAL__N_116CompareEqFunctorIS4_EEEESt5arrayIPcLm3EELi4E23TrivialOffsetCalculatorILi2EjESC_ILi1EjENS0_6memory15LoadWithoutCastENSF_16StoreWithoutCastEEEviT_T0_T2_T3_T4_T5_.has_indirect_call, 0
	.section	.AMDGPU.csdata,"",@progbits
; Kernel info:
; codeLenInByte = 4716
; TotalNumSgprs: 24
; NumVgprs: 15
; ScratchSize: 0
; MemoryBound: 0
; FloatMode: 240
; IeeeMode: 1
; LDSByteSize: 0 bytes/workgroup (compile time only)
; SGPRBlocks: 2
; VGPRBlocks: 3
; NumSGPRsForWavesPerEU: 24
; NumVGPRsForWavesPerEU: 15
; Occupancy: 10
; WaveLimiterHint : 0
; COMPUTE_PGM_RSRC2:SCRATCH_EN: 0
; COMPUTE_PGM_RSRC2:USER_SGPR: 6
; COMPUTE_PGM_RSRC2:TRAP_HANDLER: 0
; COMPUTE_PGM_RSRC2:TGID_X_EN: 1
; COMPUTE_PGM_RSRC2:TGID_Y_EN: 0
; COMPUTE_PGM_RSRC2:TGID_Z_EN: 0
; COMPUTE_PGM_RSRC2:TIDIG_COMP_CNT: 0
	.section	.text._ZN2at6native32elementwise_kernel_manual_unrollILi128ELi8EZNS0_22gpu_kernel_impl_nocastINS0_13BinaryFunctorIN3c1015Float8_e5m2fnuzES5_bNS0_12_GLOBAL__N_116CompareEqFunctorIS5_EEEEEEvRNS_18TensorIteratorBaseERKT_EUlibE_EEviT1_,"axG",@progbits,_ZN2at6native32elementwise_kernel_manual_unrollILi128ELi8EZNS0_22gpu_kernel_impl_nocastINS0_13BinaryFunctorIN3c1015Float8_e5m2fnuzES5_bNS0_12_GLOBAL__N_116CompareEqFunctorIS5_EEEEEEvRNS_18TensorIteratorBaseERKT_EUlibE_EEviT1_,comdat
	.globl	_ZN2at6native32elementwise_kernel_manual_unrollILi128ELi8EZNS0_22gpu_kernel_impl_nocastINS0_13BinaryFunctorIN3c1015Float8_e5m2fnuzES5_bNS0_12_GLOBAL__N_116CompareEqFunctorIS5_EEEEEEvRNS_18TensorIteratorBaseERKT_EUlibE_EEviT1_ ; -- Begin function _ZN2at6native32elementwise_kernel_manual_unrollILi128ELi8EZNS0_22gpu_kernel_impl_nocastINS0_13BinaryFunctorIN3c1015Float8_e5m2fnuzES5_bNS0_12_GLOBAL__N_116CompareEqFunctorIS5_EEEEEEvRNS_18TensorIteratorBaseERKT_EUlibE_EEviT1_
	.p2align	8
	.type	_ZN2at6native32elementwise_kernel_manual_unrollILi128ELi8EZNS0_22gpu_kernel_impl_nocastINS0_13BinaryFunctorIN3c1015Float8_e5m2fnuzES5_bNS0_12_GLOBAL__N_116CompareEqFunctorIS5_EEEEEEvRNS_18TensorIteratorBaseERKT_EUlibE_EEviT1_,@function
_ZN2at6native32elementwise_kernel_manual_unrollILi128ELi8EZNS0_22gpu_kernel_impl_nocastINS0_13BinaryFunctorIN3c1015Float8_e5m2fnuzES5_bNS0_12_GLOBAL__N_116CompareEqFunctorIS5_EEEEEEvRNS_18TensorIteratorBaseERKT_EUlibE_EEviT1_: ; @_ZN2at6native32elementwise_kernel_manual_unrollILi128ELi8EZNS0_22gpu_kernel_impl_nocastINS0_13BinaryFunctorIN3c1015Float8_e5m2fnuzES5_bNS0_12_GLOBAL__N_116CompareEqFunctorIS5_EEEEEEvRNS_18TensorIteratorBaseERKT_EUlibE_EEviT1_
; %bb.0:
	s_load_dword s42, s[4:5], 0x0
	s_load_dword s33, s[4:5], 0x8
	s_add_u32 s12, s4, 8
	s_addc_u32 s13, s5, 0
	v_lshl_or_b32 v7, s6, 10, v0
	v_or_b32_e32 v41, 0x380, v7
	s_waitcnt lgkmcnt(0)
	s_add_i32 s40, s33, -1
	s_cmp_gt_u32 s40, 1
	v_cmp_le_i32_e32 vcc, s42, v41
	s_cselect_b64 s[14:15], -1, 0
	s_and_saveexec_b64 s[0:1], vcc
	s_xor_b64 s[16:17], exec, s[0:1]
	s_cbranch_execz .LBB249_378
; %bb.1:
	s_load_dwordx4 s[8:11], s[12:13], 0x4
	s_load_dwordx2 s[24:25], s[12:13], 0x14
	s_load_dwordx4 s[4:7], s[12:13], 0xc4
	s_load_dwordx2 s[22:23], s[12:13], 0xd4
	s_load_dword s18, s[12:13], 0x1a0
	s_cmp_lg_u32 s33, 0
	s_load_dwordx2 s[20:21], s[12:13], 0x198
	s_load_dwordx4 s[0:3], s[12:13], 0x188
	s_cselect_b64 s[28:29], -1, 0
	s_min_u32 s41, s40, 15
	s_cmp_gt_u32 s33, 1
	s_cselect_b64 s[26:27], -1, 0
	s_waitcnt lgkmcnt(0)
	s_cmp_lg_u32 s18, 0
	s_cselect_b64 s[18:19], -1, 0
	v_cmp_gt_i32_e32 vcc, s42, v7
	s_and_saveexec_b64 s[30:31], vcc
	s_cbranch_execnz .LBB249_9
; %bb.2:
	s_or_b64 exec, exec, s[30:31]
	v_cmp_gt_i32_e32 vcc, s42, v7
	s_and_saveexec_b64 s[30:31], vcc
	s_cbranch_execnz .LBB249_41
.LBB249_3:
	s_or_b64 exec, exec, s[30:31]
	v_cmp_gt_i32_e32 vcc, s42, v7
	s_and_saveexec_b64 s[30:31], vcc
	s_cbranch_execnz .LBB249_89
.LBB249_4:
	s_or_b64 exec, exec, s[30:31]
	v_cmp_gt_i32_e32 vcc, s42, v7
	s_and_saveexec_b64 s[30:31], vcc
	s_cbranch_execnz .LBB249_137
.LBB249_5:
	s_or_b64 exec, exec, s[30:31]
	v_cmp_gt_i32_e32 vcc, s42, v7
	s_and_saveexec_b64 s[30:31], vcc
	s_cbranch_execnz .LBB249_185
.LBB249_6:
	s_or_b64 exec, exec, s[30:31]
	v_cmp_gt_i32_e32 vcc, s42, v7
	s_and_saveexec_b64 s[30:31], vcc
	s_cbranch_execnz .LBB249_233
.LBB249_7:
	s_or_b64 exec, exec, s[30:31]
	v_cmp_gt_i32_e32 vcc, s42, v7
	s_and_saveexec_b64 s[30:31], vcc
	s_cbranch_execnz .LBB249_281
.LBB249_8:
	s_or_b64 exec, exec, s[30:31]
	v_cmp_gt_i32_e32 vcc, s42, v7
	s_and_saveexec_b64 s[30:31], vcc
	s_cbranch_execnz .LBB249_329
	s_branch .LBB249_377
.LBB249_9:
	s_andn2_b64 vcc, exec, s[14:15]
	s_cbranch_vccnz .LBB249_15
; %bb.10:
	s_andn2_b64 vcc, exec, s[28:29]
	s_cbranch_vccnz .LBB249_16
; %bb.11:
	s_add_i32 s34, s41, 1
	s_and_b32 s36, s34, 30
	s_add_u32 s34, s12, 0xffffffe8
	s_addc_u32 s35, s13, -1
	v_mov_b32_e32 v2, 0
	v_mov_b32_e32 v4, 0
	;; [unrolled: 1-line block ×4, first 2 shown]
.LBB249_12:                             ; =>This Inner Loop Header: Depth=1
	s_load_dwordx4 s[44:47], s[34:35], 0x1c
	s_load_dwordx2 s[38:39], s[34:35], 0x2c
	s_load_dwordx2 s[52:53], s[34:35], 0xec
	s_load_dwordx4 s[48:51], s[34:35], 0xdc
	s_add_u32 s34, s34, 24
	s_waitcnt lgkmcnt(0)
	v_mul_hi_u32 v3, s45, v1
	s_addc_u32 s35, s35, 0
	s_add_i32 s36, s36, -2
	s_cmp_lg_u32 s36, 0
	v_add_u32_e32 v3, v1, v3
	v_lshrrev_b32_e32 v3, s46, v3
	v_mul_lo_u32 v5, v3, s44
	v_mul_hi_u32 v6, s38, v3
	v_sub_u32_e32 v5, v1, v5
	v_add_u32_e32 v1, v3, v6
	v_lshrrev_b32_e32 v1, s39, v1
	v_mul_lo_u32 v9, v1, s47
	v_mul_lo_u32 v6, v5, s48
	;; [unrolled: 1-line block ×4, first 2 shown]
	v_sub_u32_e32 v3, v3, v9
	v_mul_lo_u32 v9, v3, s51
	v_mul_lo_u32 v10, v3, s52
	v_mul_lo_u32 v3, v3, s53
	v_add3_u32 v0, v6, v0, v9
	v_add3_u32 v4, v8, v4, v10
	;; [unrolled: 1-line block ×3, first 2 shown]
	s_cbranch_scc1 .LBB249_12
; %bb.13:
	s_bitcmp1_b32 s41, 0
	s_cselect_b64 s[36:37], -1, 0
	s_and_b64 vcc, exec, s[36:37]
	s_cbranch_vccnz .LBB249_17
; %bb.14:
	s_load_dwordx2 s[36:37], s[34:35], 0x1c
	s_load_dword s43, s[34:35], 0x24
	s_load_dwordx2 s[38:39], s[34:35], 0xdc
	s_waitcnt lgkmcnt(0)
	v_mul_hi_u32 v3, s37, v1
	v_add_u32_e32 v3, v1, v3
	v_lshrrev_b32_e32 v3, s43, v3
	v_mul_lo_u32 v3, v3, s36
	s_load_dword s36, s[34:35], 0xe4
	v_sub_u32_e32 v3, v1, v3
	v_mad_u64_u32 v[0:1], s[34:35], v3, s38, v[0:1]
	v_mad_u64_u32 v[4:5], s[34:35], v3, s39, v[4:5]
	s_waitcnt lgkmcnt(0)
	v_mad_u64_u32 v[2:3], s[34:35], v3, s36, v[2:3]
	s_cbranch_execz .LBB249_18
	s_branch .LBB249_20
.LBB249_15:
                                        ; implicit-def: $vgpr0
                                        ; implicit-def: $vgpr4
                                        ; implicit-def: $vgpr2
	s_branch .LBB249_18
.LBB249_16:
	v_mov_b32_e32 v0, 0
	v_mov_b32_e32 v4, 0
	;; [unrolled: 1-line block ×3, first 2 shown]
.LBB249_17:
	s_cbranch_execnz .LBB249_20
.LBB249_18:
	v_mul_hi_u32 v0, s9, v7
	s_andn2_b64 vcc, exec, s[26:27]
	v_add_u32_e32 v0, v7, v0
	v_lshrrev_b32_e32 v1, s10, v0
	v_mul_lo_u32 v0, v1, s8
	v_sub_u32_e32 v2, v7, v0
	v_mul_lo_u32 v0, v2, s4
	v_mul_lo_u32 v4, v2, s5
	;; [unrolled: 1-line block ×3, first 2 shown]
	s_cbranch_vccnz .LBB249_20
; %bb.19:
	v_mul_hi_u32 v3, s24, v1
	v_add_u32_e32 v3, v1, v3
	v_lshrrev_b32_e32 v3, s25, v3
	v_mul_lo_u32 v3, v3, s11
	v_sub_u32_e32 v3, v1, v3
	v_mad_u64_u32 v[0:1], s[34:35], v3, s7, v[0:1]
	v_mad_u64_u32 v[4:5], s[34:35], v3, s22, v[4:5]
	;; [unrolled: 1-line block ×3, first 2 shown]
.LBB249_20:
	global_load_ubyte v3, v4, s[2:3]
	global_load_ubyte v1, v2, s[20:21]
	s_and_b64 vcc, exec, s[18:19]
	s_cbranch_vccz .LBB249_30
; %bb.21:
	s_movk_i32 s34, 0x7f
	s_waitcnt vmcnt(1)
	v_cmp_gt_i16_sdwa s[36:37], v3, s34 src0_sel:BYTE_0 src1_sel:DWORD
	s_mov_b64 s[34:35], 0
	s_and_saveexec_b64 s[38:39], s[36:37]
	s_xor_b64 s[36:37], exec, s[38:39]
	s_cbranch_execnz .LBB249_48
; %bb.22:
	s_or_saveexec_b64 s[36:37], s[36:37]
	v_mov_b32_e32 v2, 0x7f800001
	s_xor_b64 exec, exec, s[36:37]
	s_cbranch_execnz .LBB249_51
.LBB249_23:
	s_or_b64 exec, exec, s[36:37]
	s_and_saveexec_b64 s[36:37], s[34:35]
	s_cbranch_execz .LBB249_25
.LBB249_24:
	v_and_b32_e32 v5, 3, v3
	v_ffbh_u32_e32 v6, v5
	v_min_u32_e32 v6, 32, v6
	v_lshrrev_b16_e32 v4, 2, v3
	v_subrev_u32_e32 v8, 29, v6
	v_and_b32_e32 v4, 31, v4
	v_lshlrev_b32_e32 v8, v8, v3
	v_sub_u32_e32 v6, 30, v6
	v_and_b32_e32 v8, 3, v8
	v_cmp_eq_u32_e32 vcc, 0, v4
	v_lshlrev_b32_e32 v2, 24, v3
	v_cndmask_b32_e32 v4, v4, v6, vcc
	v_cndmask_b32_e32 v5, v5, v8, vcc
	v_mov_b32_e32 v6, 0x37800000
	v_lshlrev_b32_e32 v5, 21, v5
	v_and_b32_e32 v2, 0x80000000, v2
	v_lshl_add_u32 v4, v4, 23, v6
	v_or3_b32 v2, v2, v4, v5
.LBB249_25:
	s_or_b64 exec, exec, s[36:37]
	s_movk_i32 s34, 0x7f
	s_waitcnt vmcnt(0)
	v_cmp_gt_i16_sdwa s[36:37], v1, s34 src0_sel:BYTE_0 src1_sel:DWORD
	s_mov_b64 s[34:35], 0
	s_and_saveexec_b64 s[38:39], s[36:37]
	s_xor_b64 s[36:37], exec, s[38:39]
	s_cbranch_execnz .LBB249_52
; %bb.26:
	s_or_saveexec_b64 s[36:37], s[36:37]
	v_mov_b32_e32 v4, 0x7f800001
	s_xor_b64 exec, exec, s[36:37]
	s_cbranch_execnz .LBB249_55
.LBB249_27:
	s_or_b64 exec, exec, s[36:37]
	s_and_saveexec_b64 s[36:37], s[34:35]
	s_cbranch_execz .LBB249_29
.LBB249_28:
	v_and_b32_e32 v6, 3, v1
	v_ffbh_u32_e32 v8, v6
	v_min_u32_e32 v8, 32, v8
	v_lshrrev_b16_e32 v5, 2, v1
	v_subrev_u32_e32 v9, 29, v8
	v_and_b32_e32 v5, 31, v5
	v_lshlrev_b32_e32 v9, v9, v1
	v_sub_u32_e32 v8, 30, v8
	v_and_b32_e32 v9, 3, v9
	v_cmp_eq_u32_e32 vcc, 0, v5
	v_lshlrev_b32_e32 v4, 24, v1
	v_cndmask_b32_e32 v5, v5, v8, vcc
	v_cndmask_b32_e32 v6, v6, v9, vcc
	v_mov_b32_e32 v8, 0x37800000
	v_lshlrev_b32_e32 v6, 21, v6
	v_and_b32_e32 v4, 0x80000000, v4
	v_lshl_add_u32 v5, v5, 23, v8
	v_or3_b32 v4, v4, v5, v6
.LBB249_29:
	s_or_b64 exec, exec, s[36:37]
	v_cmp_neq_f32_e64 s[34:35], v2, v4
	s_branch .LBB249_40
.LBB249_30:
                                        ; implicit-def: $sgpr34_sgpr35
	s_cbranch_execz .LBB249_40
; %bb.31:
	s_movk_i32 s34, 0x7f
	s_waitcnt vmcnt(1)
	v_cmp_gt_i16_sdwa s[36:37], v3, s34 src0_sel:BYTE_0 src1_sel:DWORD
	s_mov_b64 s[34:35], 0
	s_and_saveexec_b64 s[38:39], s[36:37]
	s_xor_b64 s[36:37], exec, s[38:39]
	s_cbranch_execnz .LBB249_56
; %bb.32:
	s_or_saveexec_b64 s[36:37], s[36:37]
	v_mov_b32_e32 v2, 0x7f800001
	s_xor_b64 exec, exec, s[36:37]
	s_cbranch_execnz .LBB249_59
.LBB249_33:
	s_or_b64 exec, exec, s[36:37]
	s_and_saveexec_b64 s[36:37], s[34:35]
	s_cbranch_execz .LBB249_35
.LBB249_34:
	v_and_b32_e32 v5, 3, v3
	v_ffbh_u32_e32 v6, v5
	v_min_u32_e32 v6, 32, v6
	v_lshrrev_b16_e32 v4, 2, v3
	v_subrev_u32_e32 v8, 29, v6
	v_lshlrev_b32_e32 v2, 24, v3
	v_and_b32_e32 v4, 31, v4
	v_lshlrev_b32_e32 v3, v8, v3
	v_sub_u32_e32 v6, 30, v6
	v_and_b32_e32 v3, 3, v3
	v_cmp_eq_u32_e32 vcc, 0, v4
	v_cndmask_b32_e32 v4, v4, v6, vcc
	v_cndmask_b32_e32 v3, v5, v3, vcc
	v_mov_b32_e32 v5, 0x37800000
	v_lshlrev_b32_e32 v3, 21, v3
	v_and_b32_e32 v2, 0x80000000, v2
	v_lshl_add_u32 v4, v4, 23, v5
	v_or3_b32 v2, v2, v4, v3
.LBB249_35:
	s_or_b64 exec, exec, s[36:37]
	s_movk_i32 s34, 0x7f
	s_waitcnt vmcnt(0)
	v_cmp_gt_i16_sdwa s[36:37], v1, s34 src0_sel:BYTE_0 src1_sel:DWORD
	s_mov_b64 s[34:35], 0
	s_and_saveexec_b64 s[38:39], s[36:37]
	s_xor_b64 s[36:37], exec, s[38:39]
	s_cbranch_execnz .LBB249_60
; %bb.36:
	s_or_saveexec_b64 s[36:37], s[36:37]
	v_mov_b32_e32 v3, 0x7f800001
	s_xor_b64 exec, exec, s[36:37]
	s_cbranch_execnz .LBB249_63
.LBB249_37:
	s_or_b64 exec, exec, s[36:37]
	s_and_saveexec_b64 s[36:37], s[34:35]
	s_cbranch_execz .LBB249_39
.LBB249_38:
	v_and_b32_e32 v5, 3, v1
	v_ffbh_u32_e32 v6, v5
	v_min_u32_e32 v6, 32, v6
	v_lshrrev_b16_e32 v4, 2, v1
	v_subrev_u32_e32 v8, 29, v6
	v_lshlrev_b32_e32 v3, 24, v1
	v_and_b32_e32 v4, 31, v4
	v_lshlrev_b32_e32 v1, v8, v1
	v_sub_u32_e32 v6, 30, v6
	v_and_b32_e32 v1, 3, v1
	v_cmp_eq_u32_e32 vcc, 0, v4
	v_cndmask_b32_e32 v4, v4, v6, vcc
	v_cndmask_b32_e32 v1, v5, v1, vcc
	v_mov_b32_e32 v5, 0x37800000
	v_lshlrev_b32_e32 v1, 21, v1
	v_and_b32_e32 v3, 0x80000000, v3
	v_lshl_add_u32 v4, v4, 23, v5
	v_or3_b32 v3, v3, v4, v1
.LBB249_39:
	s_or_b64 exec, exec, s[36:37]
	v_cmp_eq_f32_e64 s[34:35], v2, v3
.LBB249_40:
	s_waitcnt vmcnt(0)
	v_cndmask_b32_e64 v1, 0, 1, s[34:35]
	v_add_u32_e32 v7, 0x80, v7
	global_store_byte v0, v1, s[0:1]
	s_or_b64 exec, exec, s[30:31]
	v_cmp_gt_i32_e32 vcc, s42, v7
	s_and_saveexec_b64 s[30:31], vcc
	s_cbranch_execz .LBB249_3
.LBB249_41:
	s_andn2_b64 vcc, exec, s[14:15]
	s_cbranch_vccnz .LBB249_47
; %bb.42:
	s_andn2_b64 vcc, exec, s[28:29]
	s_cbranch_vccnz .LBB249_64
; %bb.43:
	s_add_i32 s34, s41, 1
	s_and_b32 s36, s34, 30
	s_add_u32 s34, s12, 0xffffffe8
	s_addc_u32 s35, s13, -1
	v_mov_b32_e32 v2, 0
	v_mov_b32_e32 v4, 0
	;; [unrolled: 1-line block ×4, first 2 shown]
.LBB249_44:                             ; =>This Inner Loop Header: Depth=1
	s_load_dwordx4 s[44:47], s[34:35], 0x1c
	s_load_dwordx2 s[38:39], s[34:35], 0x2c
	s_load_dwordx2 s[52:53], s[34:35], 0xec
	s_load_dwordx4 s[48:51], s[34:35], 0xdc
	s_add_u32 s34, s34, 24
	s_waitcnt lgkmcnt(0)
	v_mul_hi_u32 v3, s45, v1
	s_addc_u32 s35, s35, 0
	s_add_i32 s36, s36, -2
	s_cmp_eq_u32 s36, 0
	v_add_u32_e32 v3, v1, v3
	v_lshrrev_b32_e32 v3, s46, v3
	v_mul_lo_u32 v5, v3, s44
	v_mul_hi_u32 v6, s38, v3
	v_sub_u32_e32 v5, v1, v5
	v_add_u32_e32 v1, v3, v6
	v_lshrrev_b32_e32 v1, s39, v1
	v_mul_lo_u32 v9, v1, s47
	v_mul_lo_u32 v6, v5, s48
	v_mul_lo_u32 v8, v5, s49
	v_mul_lo_u32 v5, v5, s50
	v_sub_u32_e32 v3, v3, v9
	v_mul_lo_u32 v9, v3, s51
	v_mul_lo_u32 v10, v3, s52
	;; [unrolled: 1-line block ×3, first 2 shown]
	v_add3_u32 v0, v6, v0, v9
	v_add3_u32 v4, v8, v4, v10
	;; [unrolled: 1-line block ×3, first 2 shown]
	s_cbranch_scc0 .LBB249_44
; %bb.45:
	s_bitcmp1_b32 s41, 0
	s_cselect_b64 s[36:37], -1, 0
	s_and_b64 vcc, exec, s[36:37]
	s_cbranch_vccnz .LBB249_65
; %bb.46:
	s_load_dwordx2 s[36:37], s[34:35], 0x1c
	s_load_dword s43, s[34:35], 0x24
	s_load_dwordx2 s[38:39], s[34:35], 0xdc
	s_waitcnt lgkmcnt(0)
	v_mul_hi_u32 v3, s37, v1
	v_add_u32_e32 v3, v1, v3
	v_lshrrev_b32_e32 v3, s43, v3
	v_mul_lo_u32 v3, v3, s36
	s_load_dword s36, s[34:35], 0xe4
	v_sub_u32_e32 v3, v1, v3
	v_mad_u64_u32 v[0:1], s[34:35], v3, s38, v[0:1]
	v_mad_u64_u32 v[4:5], s[34:35], v3, s39, v[4:5]
	s_waitcnt lgkmcnt(0)
	v_mad_u64_u32 v[2:3], s[34:35], v3, s36, v[2:3]
	s_branch .LBB249_65
.LBB249_47:
                                        ; implicit-def: $vgpr0
                                        ; implicit-def: $vgpr4
                                        ; implicit-def: $vgpr2
	s_branch .LBB249_66
.LBB249_48:
	s_movk_i32 s34, 0x80
	v_cmp_eq_u16_sdwa s[44:45], v3, s34 src0_sel:BYTE_0 src1_sel:DWORD
	s_mov_b64 s[34:35], -1
	s_and_saveexec_b64 s[38:39], s[44:45]
; %bb.49:
	s_xor_b64 s[34:35], exec, -1
; %bb.50:
	s_or_b64 exec, exec, s[38:39]
	s_and_b64 s[34:35], s[34:35], exec
	s_or_saveexec_b64 s[36:37], s[36:37]
	v_mov_b32_e32 v2, 0x7f800001
	s_xor_b64 exec, exec, s[36:37]
	s_cbranch_execz .LBB249_23
.LBB249_51:
	v_mov_b32_e32 v2, 0
	v_cmp_ne_u16_sdwa s[38:39], v3, v2 src0_sel:BYTE_0 src1_sel:DWORD
	s_andn2_b64 s[34:35], s[34:35], exec
	s_and_b64 s[38:39], s[38:39], exec
	s_or_b64 s[34:35], s[34:35], s[38:39]
	s_or_b64 exec, exec, s[36:37]
	s_and_saveexec_b64 s[36:37], s[34:35]
	s_cbranch_execnz .LBB249_24
	s_branch .LBB249_25
.LBB249_52:
	s_movk_i32 s34, 0x80
	v_cmp_eq_u16_sdwa s[44:45], v1, s34 src0_sel:BYTE_0 src1_sel:DWORD
	s_mov_b64 s[34:35], -1
	s_and_saveexec_b64 s[38:39], s[44:45]
; %bb.53:
	s_xor_b64 s[34:35], exec, -1
; %bb.54:
	s_or_b64 exec, exec, s[38:39]
	s_and_b64 s[34:35], s[34:35], exec
	s_or_saveexec_b64 s[36:37], s[36:37]
	v_mov_b32_e32 v4, 0x7f800001
	s_xor_b64 exec, exec, s[36:37]
	s_cbranch_execz .LBB249_27
.LBB249_55:
	v_mov_b32_e32 v4, 0
	v_cmp_ne_u16_sdwa s[38:39], v1, v4 src0_sel:BYTE_0 src1_sel:DWORD
	s_andn2_b64 s[34:35], s[34:35], exec
	s_and_b64 s[38:39], s[38:39], exec
	s_or_b64 s[34:35], s[34:35], s[38:39]
	s_or_b64 exec, exec, s[36:37]
	s_and_saveexec_b64 s[36:37], s[34:35]
	s_cbranch_execnz .LBB249_28
	s_branch .LBB249_29
.LBB249_56:
	s_movk_i32 s34, 0x80
	v_cmp_eq_u16_sdwa s[44:45], v3, s34 src0_sel:BYTE_0 src1_sel:DWORD
	s_mov_b64 s[34:35], -1
	s_and_saveexec_b64 s[38:39], s[44:45]
; %bb.57:
	s_xor_b64 s[34:35], exec, -1
; %bb.58:
	s_or_b64 exec, exec, s[38:39]
	s_and_b64 s[34:35], s[34:35], exec
	s_or_saveexec_b64 s[36:37], s[36:37]
	v_mov_b32_e32 v2, 0x7f800001
	s_xor_b64 exec, exec, s[36:37]
	s_cbranch_execz .LBB249_33
.LBB249_59:
	v_mov_b32_e32 v2, 0
	v_cmp_ne_u16_sdwa s[38:39], v3, v2 src0_sel:BYTE_0 src1_sel:DWORD
	s_andn2_b64 s[34:35], s[34:35], exec
	s_and_b64 s[38:39], s[38:39], exec
	s_or_b64 s[34:35], s[34:35], s[38:39]
	s_or_b64 exec, exec, s[36:37]
	s_and_saveexec_b64 s[36:37], s[34:35]
	s_cbranch_execnz .LBB249_34
	s_branch .LBB249_35
.LBB249_60:
	s_movk_i32 s34, 0x80
	v_cmp_eq_u16_sdwa s[44:45], v1, s34 src0_sel:BYTE_0 src1_sel:DWORD
	s_mov_b64 s[34:35], -1
	s_and_saveexec_b64 s[38:39], s[44:45]
; %bb.61:
	s_xor_b64 s[34:35], exec, -1
; %bb.62:
	s_or_b64 exec, exec, s[38:39]
	s_and_b64 s[34:35], s[34:35], exec
	s_or_saveexec_b64 s[36:37], s[36:37]
	v_mov_b32_e32 v3, 0x7f800001
	s_xor_b64 exec, exec, s[36:37]
	s_cbranch_execz .LBB249_37
.LBB249_63:
	v_mov_b32_e32 v3, 0
	v_cmp_ne_u16_sdwa s[38:39], v1, v3 src0_sel:BYTE_0 src1_sel:DWORD
	s_andn2_b64 s[34:35], s[34:35], exec
	s_and_b64 s[38:39], s[38:39], exec
	s_or_b64 s[34:35], s[34:35], s[38:39]
	s_or_b64 exec, exec, s[36:37]
	s_and_saveexec_b64 s[36:37], s[34:35]
	s_cbranch_execnz .LBB249_38
	s_branch .LBB249_39
.LBB249_64:
	v_mov_b32_e32 v0, 0
	v_mov_b32_e32 v4, 0
	v_mov_b32_e32 v2, 0
.LBB249_65:
	s_cbranch_execnz .LBB249_68
.LBB249_66:
	v_mul_hi_u32 v0, s9, v7
	s_andn2_b64 vcc, exec, s[26:27]
	v_add_u32_e32 v0, v7, v0
	v_lshrrev_b32_e32 v1, s10, v0
	v_mul_lo_u32 v0, v1, s8
	v_sub_u32_e32 v2, v7, v0
	v_mul_lo_u32 v0, v2, s4
	v_mul_lo_u32 v4, v2, s5
	;; [unrolled: 1-line block ×3, first 2 shown]
	s_cbranch_vccnz .LBB249_68
; %bb.67:
	v_mul_hi_u32 v3, s24, v1
	v_add_u32_e32 v3, v1, v3
	v_lshrrev_b32_e32 v3, s25, v3
	v_mul_lo_u32 v3, v3, s11
	v_sub_u32_e32 v3, v1, v3
	v_mad_u64_u32 v[0:1], s[34:35], v3, s7, v[0:1]
	v_mad_u64_u32 v[4:5], s[34:35], v3, s22, v[4:5]
	;; [unrolled: 1-line block ×3, first 2 shown]
.LBB249_68:
	global_load_ubyte v3, v4, s[2:3]
	global_load_ubyte v1, v2, s[20:21]
	s_andn2_b64 vcc, exec, s[18:19]
	s_cbranch_vccnz .LBB249_78
; %bb.69:
	s_movk_i32 s34, 0x7f
	s_waitcnt vmcnt(1)
	v_cmp_gt_i16_sdwa s[36:37], v3, s34 src0_sel:BYTE_0 src1_sel:DWORD
	s_mov_b64 s[34:35], 0
	s_and_saveexec_b64 s[38:39], s[36:37]
	s_xor_b64 s[36:37], exec, s[38:39]
	s_cbranch_execnz .LBB249_96
; %bb.70:
	s_or_saveexec_b64 s[36:37], s[36:37]
	v_mov_b32_e32 v2, 0x7f800001
	s_xor_b64 exec, exec, s[36:37]
	s_cbranch_execnz .LBB249_99
.LBB249_71:
	s_or_b64 exec, exec, s[36:37]
	s_and_saveexec_b64 s[36:37], s[34:35]
	s_cbranch_execz .LBB249_73
.LBB249_72:
	v_and_b32_e32 v5, 3, v3
	v_ffbh_u32_e32 v6, v5
	v_min_u32_e32 v6, 32, v6
	v_lshrrev_b16_e32 v4, 2, v3
	v_subrev_u32_e32 v8, 29, v6
	v_and_b32_e32 v4, 31, v4
	v_lshlrev_b32_e32 v8, v8, v3
	v_sub_u32_e32 v6, 30, v6
	v_and_b32_e32 v8, 3, v8
	v_cmp_eq_u32_e32 vcc, 0, v4
	v_lshlrev_b32_e32 v2, 24, v3
	v_cndmask_b32_e32 v4, v4, v6, vcc
	v_cndmask_b32_e32 v5, v5, v8, vcc
	v_mov_b32_e32 v6, 0x37800000
	v_lshlrev_b32_e32 v5, 21, v5
	v_and_b32_e32 v2, 0x80000000, v2
	v_lshl_add_u32 v4, v4, 23, v6
	v_or3_b32 v2, v2, v4, v5
.LBB249_73:
	s_or_b64 exec, exec, s[36:37]
	s_movk_i32 s34, 0x7f
	s_waitcnt vmcnt(0)
	v_cmp_gt_i16_sdwa s[36:37], v1, s34 src0_sel:BYTE_0 src1_sel:DWORD
	s_mov_b64 s[34:35], 0
	s_and_saveexec_b64 s[38:39], s[36:37]
	s_xor_b64 s[36:37], exec, s[38:39]
	s_cbranch_execnz .LBB249_100
; %bb.74:
	s_or_saveexec_b64 s[36:37], s[36:37]
	v_mov_b32_e32 v4, 0x7f800001
	s_xor_b64 exec, exec, s[36:37]
	s_cbranch_execnz .LBB249_103
.LBB249_75:
	s_or_b64 exec, exec, s[36:37]
	s_and_saveexec_b64 s[36:37], s[34:35]
	s_cbranch_execz .LBB249_77
.LBB249_76:
	v_and_b32_e32 v6, 3, v1
	v_ffbh_u32_e32 v8, v6
	v_min_u32_e32 v8, 32, v8
	v_lshrrev_b16_e32 v5, 2, v1
	v_subrev_u32_e32 v9, 29, v8
	v_and_b32_e32 v5, 31, v5
	v_lshlrev_b32_e32 v9, v9, v1
	v_sub_u32_e32 v8, 30, v8
	v_and_b32_e32 v9, 3, v9
	v_cmp_eq_u32_e32 vcc, 0, v5
	v_lshlrev_b32_e32 v4, 24, v1
	v_cndmask_b32_e32 v5, v5, v8, vcc
	v_cndmask_b32_e32 v6, v6, v9, vcc
	v_mov_b32_e32 v8, 0x37800000
	v_lshlrev_b32_e32 v6, 21, v6
	v_and_b32_e32 v4, 0x80000000, v4
	v_lshl_add_u32 v5, v5, 23, v8
	v_or3_b32 v4, v4, v5, v6
.LBB249_77:
	s_or_b64 exec, exec, s[36:37]
	v_cmp_neq_f32_e64 s[34:35], v2, v4
	s_branch .LBB249_88
.LBB249_78:
                                        ; implicit-def: $sgpr34_sgpr35
	s_cbranch_execz .LBB249_88
; %bb.79:
	s_movk_i32 s34, 0x7f
	s_waitcnt vmcnt(1)
	v_cmp_gt_i16_sdwa s[36:37], v3, s34 src0_sel:BYTE_0 src1_sel:DWORD
	s_mov_b64 s[34:35], 0
	s_and_saveexec_b64 s[38:39], s[36:37]
	s_xor_b64 s[36:37], exec, s[38:39]
	s_cbranch_execnz .LBB249_104
; %bb.80:
	s_or_saveexec_b64 s[36:37], s[36:37]
	v_mov_b32_e32 v2, 0x7f800001
	s_xor_b64 exec, exec, s[36:37]
	s_cbranch_execnz .LBB249_107
.LBB249_81:
	s_or_b64 exec, exec, s[36:37]
	s_and_saveexec_b64 s[36:37], s[34:35]
	s_cbranch_execz .LBB249_83
.LBB249_82:
	v_and_b32_e32 v5, 3, v3
	v_ffbh_u32_e32 v6, v5
	v_min_u32_e32 v6, 32, v6
	v_lshrrev_b16_e32 v4, 2, v3
	v_subrev_u32_e32 v8, 29, v6
	v_lshlrev_b32_e32 v2, 24, v3
	v_and_b32_e32 v4, 31, v4
	v_lshlrev_b32_e32 v3, v8, v3
	v_sub_u32_e32 v6, 30, v6
	v_and_b32_e32 v3, 3, v3
	v_cmp_eq_u32_e32 vcc, 0, v4
	v_cndmask_b32_e32 v4, v4, v6, vcc
	v_cndmask_b32_e32 v3, v5, v3, vcc
	v_mov_b32_e32 v5, 0x37800000
	v_lshlrev_b32_e32 v3, 21, v3
	v_and_b32_e32 v2, 0x80000000, v2
	v_lshl_add_u32 v4, v4, 23, v5
	v_or3_b32 v2, v2, v4, v3
.LBB249_83:
	s_or_b64 exec, exec, s[36:37]
	s_movk_i32 s34, 0x7f
	s_waitcnt vmcnt(0)
	v_cmp_gt_i16_sdwa s[36:37], v1, s34 src0_sel:BYTE_0 src1_sel:DWORD
	s_mov_b64 s[34:35], 0
	s_and_saveexec_b64 s[38:39], s[36:37]
	s_xor_b64 s[36:37], exec, s[38:39]
	s_cbranch_execnz .LBB249_108
; %bb.84:
	s_or_saveexec_b64 s[36:37], s[36:37]
	v_mov_b32_e32 v3, 0x7f800001
	s_xor_b64 exec, exec, s[36:37]
	s_cbranch_execnz .LBB249_111
.LBB249_85:
	s_or_b64 exec, exec, s[36:37]
	s_and_saveexec_b64 s[36:37], s[34:35]
	s_cbranch_execz .LBB249_87
.LBB249_86:
	v_and_b32_e32 v5, 3, v1
	v_ffbh_u32_e32 v6, v5
	v_min_u32_e32 v6, 32, v6
	v_lshrrev_b16_e32 v4, 2, v1
	v_subrev_u32_e32 v8, 29, v6
	v_lshlrev_b32_e32 v3, 24, v1
	v_and_b32_e32 v4, 31, v4
	v_lshlrev_b32_e32 v1, v8, v1
	v_sub_u32_e32 v6, 30, v6
	v_and_b32_e32 v1, 3, v1
	v_cmp_eq_u32_e32 vcc, 0, v4
	v_cndmask_b32_e32 v4, v4, v6, vcc
	v_cndmask_b32_e32 v1, v5, v1, vcc
	v_mov_b32_e32 v5, 0x37800000
	v_lshlrev_b32_e32 v1, 21, v1
	v_and_b32_e32 v3, 0x80000000, v3
	v_lshl_add_u32 v4, v4, 23, v5
	v_or3_b32 v3, v3, v4, v1
.LBB249_87:
	s_or_b64 exec, exec, s[36:37]
	v_cmp_eq_f32_e64 s[34:35], v2, v3
.LBB249_88:
	s_waitcnt vmcnt(0)
	v_cndmask_b32_e64 v1, 0, 1, s[34:35]
	v_add_u32_e32 v7, 0x80, v7
	global_store_byte v0, v1, s[0:1]
	s_or_b64 exec, exec, s[30:31]
	v_cmp_gt_i32_e32 vcc, s42, v7
	s_and_saveexec_b64 s[30:31], vcc
	s_cbranch_execz .LBB249_4
.LBB249_89:
	s_andn2_b64 vcc, exec, s[14:15]
	s_cbranch_vccnz .LBB249_95
; %bb.90:
	s_andn2_b64 vcc, exec, s[28:29]
	s_cbranch_vccnz .LBB249_112
; %bb.91:
	s_add_i32 s34, s41, 1
	s_and_b32 s36, s34, 30
	s_add_u32 s34, s12, 0xffffffe8
	s_addc_u32 s35, s13, -1
	v_mov_b32_e32 v2, 0
	v_mov_b32_e32 v4, 0
	;; [unrolled: 1-line block ×4, first 2 shown]
.LBB249_92:                             ; =>This Inner Loop Header: Depth=1
	s_load_dwordx4 s[44:47], s[34:35], 0x1c
	s_load_dwordx2 s[38:39], s[34:35], 0x2c
	s_load_dwordx2 s[52:53], s[34:35], 0xec
	s_load_dwordx4 s[48:51], s[34:35], 0xdc
	s_add_u32 s34, s34, 24
	s_waitcnt lgkmcnt(0)
	v_mul_hi_u32 v3, s45, v1
	s_addc_u32 s35, s35, 0
	s_add_i32 s36, s36, -2
	s_cmp_eq_u32 s36, 0
	v_add_u32_e32 v3, v1, v3
	v_lshrrev_b32_e32 v3, s46, v3
	v_mul_lo_u32 v5, v3, s44
	v_mul_hi_u32 v6, s38, v3
	v_sub_u32_e32 v5, v1, v5
	v_add_u32_e32 v1, v3, v6
	v_lshrrev_b32_e32 v1, s39, v1
	v_mul_lo_u32 v9, v1, s47
	v_mul_lo_u32 v6, v5, s48
	;; [unrolled: 1-line block ×4, first 2 shown]
	v_sub_u32_e32 v3, v3, v9
	v_mul_lo_u32 v9, v3, s51
	v_mul_lo_u32 v10, v3, s52
	;; [unrolled: 1-line block ×3, first 2 shown]
	v_add3_u32 v0, v6, v0, v9
	v_add3_u32 v4, v8, v4, v10
	;; [unrolled: 1-line block ×3, first 2 shown]
	s_cbranch_scc0 .LBB249_92
; %bb.93:
	s_bitcmp1_b32 s41, 0
	s_cselect_b64 s[36:37], -1, 0
	s_and_b64 vcc, exec, s[36:37]
	s_cbranch_vccnz .LBB249_113
; %bb.94:
	s_load_dwordx2 s[36:37], s[34:35], 0x1c
	s_load_dword s43, s[34:35], 0x24
	s_load_dwordx2 s[38:39], s[34:35], 0xdc
	s_waitcnt lgkmcnt(0)
	v_mul_hi_u32 v3, s37, v1
	v_add_u32_e32 v3, v1, v3
	v_lshrrev_b32_e32 v3, s43, v3
	v_mul_lo_u32 v3, v3, s36
	s_load_dword s36, s[34:35], 0xe4
	v_sub_u32_e32 v3, v1, v3
	v_mad_u64_u32 v[0:1], s[34:35], v3, s38, v[0:1]
	v_mad_u64_u32 v[4:5], s[34:35], v3, s39, v[4:5]
	s_waitcnt lgkmcnt(0)
	v_mad_u64_u32 v[2:3], s[34:35], v3, s36, v[2:3]
	s_branch .LBB249_113
.LBB249_95:
                                        ; implicit-def: $vgpr0
                                        ; implicit-def: $vgpr4
                                        ; implicit-def: $vgpr2
	s_branch .LBB249_114
.LBB249_96:
	s_movk_i32 s34, 0x80
	v_cmp_eq_u16_sdwa s[44:45], v3, s34 src0_sel:BYTE_0 src1_sel:DWORD
	s_mov_b64 s[34:35], -1
	s_and_saveexec_b64 s[38:39], s[44:45]
; %bb.97:
	s_xor_b64 s[34:35], exec, -1
; %bb.98:
	s_or_b64 exec, exec, s[38:39]
	s_and_b64 s[34:35], s[34:35], exec
	s_or_saveexec_b64 s[36:37], s[36:37]
	v_mov_b32_e32 v2, 0x7f800001
	s_xor_b64 exec, exec, s[36:37]
	s_cbranch_execz .LBB249_71
.LBB249_99:
	v_mov_b32_e32 v2, 0
	v_cmp_ne_u16_sdwa s[38:39], v3, v2 src0_sel:BYTE_0 src1_sel:DWORD
	s_andn2_b64 s[34:35], s[34:35], exec
	s_and_b64 s[38:39], s[38:39], exec
	s_or_b64 s[34:35], s[34:35], s[38:39]
	s_or_b64 exec, exec, s[36:37]
	s_and_saveexec_b64 s[36:37], s[34:35]
	s_cbranch_execnz .LBB249_72
	s_branch .LBB249_73
.LBB249_100:
	s_movk_i32 s34, 0x80
	v_cmp_eq_u16_sdwa s[44:45], v1, s34 src0_sel:BYTE_0 src1_sel:DWORD
	s_mov_b64 s[34:35], -1
	s_and_saveexec_b64 s[38:39], s[44:45]
; %bb.101:
	s_xor_b64 s[34:35], exec, -1
; %bb.102:
	s_or_b64 exec, exec, s[38:39]
	s_and_b64 s[34:35], s[34:35], exec
	s_or_saveexec_b64 s[36:37], s[36:37]
	v_mov_b32_e32 v4, 0x7f800001
	s_xor_b64 exec, exec, s[36:37]
	s_cbranch_execz .LBB249_75
.LBB249_103:
	v_mov_b32_e32 v4, 0
	v_cmp_ne_u16_sdwa s[38:39], v1, v4 src0_sel:BYTE_0 src1_sel:DWORD
	s_andn2_b64 s[34:35], s[34:35], exec
	s_and_b64 s[38:39], s[38:39], exec
	s_or_b64 s[34:35], s[34:35], s[38:39]
	s_or_b64 exec, exec, s[36:37]
	s_and_saveexec_b64 s[36:37], s[34:35]
	s_cbranch_execnz .LBB249_76
	s_branch .LBB249_77
.LBB249_104:
	s_movk_i32 s34, 0x80
	v_cmp_eq_u16_sdwa s[44:45], v3, s34 src0_sel:BYTE_0 src1_sel:DWORD
	s_mov_b64 s[34:35], -1
	s_and_saveexec_b64 s[38:39], s[44:45]
; %bb.105:
	s_xor_b64 s[34:35], exec, -1
; %bb.106:
	s_or_b64 exec, exec, s[38:39]
	s_and_b64 s[34:35], s[34:35], exec
	s_or_saveexec_b64 s[36:37], s[36:37]
	v_mov_b32_e32 v2, 0x7f800001
	s_xor_b64 exec, exec, s[36:37]
	s_cbranch_execz .LBB249_81
.LBB249_107:
	v_mov_b32_e32 v2, 0
	v_cmp_ne_u16_sdwa s[38:39], v3, v2 src0_sel:BYTE_0 src1_sel:DWORD
	s_andn2_b64 s[34:35], s[34:35], exec
	s_and_b64 s[38:39], s[38:39], exec
	s_or_b64 s[34:35], s[34:35], s[38:39]
	s_or_b64 exec, exec, s[36:37]
	s_and_saveexec_b64 s[36:37], s[34:35]
	s_cbranch_execnz .LBB249_82
	s_branch .LBB249_83
.LBB249_108:
	s_movk_i32 s34, 0x80
	v_cmp_eq_u16_sdwa s[44:45], v1, s34 src0_sel:BYTE_0 src1_sel:DWORD
	s_mov_b64 s[34:35], -1
	s_and_saveexec_b64 s[38:39], s[44:45]
; %bb.109:
	s_xor_b64 s[34:35], exec, -1
; %bb.110:
	s_or_b64 exec, exec, s[38:39]
	s_and_b64 s[34:35], s[34:35], exec
	s_or_saveexec_b64 s[36:37], s[36:37]
	v_mov_b32_e32 v3, 0x7f800001
	s_xor_b64 exec, exec, s[36:37]
	s_cbranch_execz .LBB249_85
.LBB249_111:
	v_mov_b32_e32 v3, 0
	v_cmp_ne_u16_sdwa s[38:39], v1, v3 src0_sel:BYTE_0 src1_sel:DWORD
	s_andn2_b64 s[34:35], s[34:35], exec
	s_and_b64 s[38:39], s[38:39], exec
	s_or_b64 s[34:35], s[34:35], s[38:39]
	s_or_b64 exec, exec, s[36:37]
	s_and_saveexec_b64 s[36:37], s[34:35]
	s_cbranch_execnz .LBB249_86
	s_branch .LBB249_87
.LBB249_112:
	v_mov_b32_e32 v0, 0
	v_mov_b32_e32 v4, 0
	;; [unrolled: 1-line block ×3, first 2 shown]
.LBB249_113:
	s_cbranch_execnz .LBB249_116
.LBB249_114:
	v_mul_hi_u32 v0, s9, v7
	s_andn2_b64 vcc, exec, s[26:27]
	v_add_u32_e32 v0, v7, v0
	v_lshrrev_b32_e32 v1, s10, v0
	v_mul_lo_u32 v0, v1, s8
	v_sub_u32_e32 v2, v7, v0
	v_mul_lo_u32 v0, v2, s4
	v_mul_lo_u32 v4, v2, s5
	;; [unrolled: 1-line block ×3, first 2 shown]
	s_cbranch_vccnz .LBB249_116
; %bb.115:
	v_mul_hi_u32 v3, s24, v1
	v_add_u32_e32 v3, v1, v3
	v_lshrrev_b32_e32 v3, s25, v3
	v_mul_lo_u32 v3, v3, s11
	v_sub_u32_e32 v3, v1, v3
	v_mad_u64_u32 v[0:1], s[34:35], v3, s7, v[0:1]
	v_mad_u64_u32 v[4:5], s[34:35], v3, s22, v[4:5]
	v_mad_u64_u32 v[2:3], s[34:35], v3, s23, v[2:3]
.LBB249_116:
	global_load_ubyte v3, v4, s[2:3]
	global_load_ubyte v1, v2, s[20:21]
	s_andn2_b64 vcc, exec, s[18:19]
	s_cbranch_vccnz .LBB249_126
; %bb.117:
	s_movk_i32 s34, 0x7f
	s_waitcnt vmcnt(1)
	v_cmp_gt_i16_sdwa s[36:37], v3, s34 src0_sel:BYTE_0 src1_sel:DWORD
	s_mov_b64 s[34:35], 0
	s_and_saveexec_b64 s[38:39], s[36:37]
	s_xor_b64 s[36:37], exec, s[38:39]
	s_cbranch_execnz .LBB249_144
; %bb.118:
	s_or_saveexec_b64 s[36:37], s[36:37]
	v_mov_b32_e32 v2, 0x7f800001
	s_xor_b64 exec, exec, s[36:37]
	s_cbranch_execnz .LBB249_147
.LBB249_119:
	s_or_b64 exec, exec, s[36:37]
	s_and_saveexec_b64 s[36:37], s[34:35]
	s_cbranch_execz .LBB249_121
.LBB249_120:
	v_and_b32_e32 v5, 3, v3
	v_ffbh_u32_e32 v6, v5
	v_min_u32_e32 v6, 32, v6
	v_lshrrev_b16_e32 v4, 2, v3
	v_subrev_u32_e32 v8, 29, v6
	v_and_b32_e32 v4, 31, v4
	v_lshlrev_b32_e32 v8, v8, v3
	v_sub_u32_e32 v6, 30, v6
	v_and_b32_e32 v8, 3, v8
	v_cmp_eq_u32_e32 vcc, 0, v4
	v_lshlrev_b32_e32 v2, 24, v3
	v_cndmask_b32_e32 v4, v4, v6, vcc
	v_cndmask_b32_e32 v5, v5, v8, vcc
	v_mov_b32_e32 v6, 0x37800000
	v_lshlrev_b32_e32 v5, 21, v5
	v_and_b32_e32 v2, 0x80000000, v2
	v_lshl_add_u32 v4, v4, 23, v6
	v_or3_b32 v2, v2, v4, v5
.LBB249_121:
	s_or_b64 exec, exec, s[36:37]
	s_movk_i32 s34, 0x7f
	s_waitcnt vmcnt(0)
	v_cmp_gt_i16_sdwa s[36:37], v1, s34 src0_sel:BYTE_0 src1_sel:DWORD
	s_mov_b64 s[34:35], 0
	s_and_saveexec_b64 s[38:39], s[36:37]
	s_xor_b64 s[36:37], exec, s[38:39]
	s_cbranch_execnz .LBB249_148
; %bb.122:
	s_or_saveexec_b64 s[36:37], s[36:37]
	v_mov_b32_e32 v4, 0x7f800001
	s_xor_b64 exec, exec, s[36:37]
	s_cbranch_execnz .LBB249_151
.LBB249_123:
	s_or_b64 exec, exec, s[36:37]
	s_and_saveexec_b64 s[36:37], s[34:35]
	s_cbranch_execz .LBB249_125
.LBB249_124:
	v_and_b32_e32 v6, 3, v1
	v_ffbh_u32_e32 v8, v6
	v_min_u32_e32 v8, 32, v8
	v_lshrrev_b16_e32 v5, 2, v1
	v_subrev_u32_e32 v9, 29, v8
	v_and_b32_e32 v5, 31, v5
	v_lshlrev_b32_e32 v9, v9, v1
	v_sub_u32_e32 v8, 30, v8
	v_and_b32_e32 v9, 3, v9
	v_cmp_eq_u32_e32 vcc, 0, v5
	v_lshlrev_b32_e32 v4, 24, v1
	v_cndmask_b32_e32 v5, v5, v8, vcc
	v_cndmask_b32_e32 v6, v6, v9, vcc
	v_mov_b32_e32 v8, 0x37800000
	v_lshlrev_b32_e32 v6, 21, v6
	v_and_b32_e32 v4, 0x80000000, v4
	v_lshl_add_u32 v5, v5, 23, v8
	v_or3_b32 v4, v4, v5, v6
.LBB249_125:
	s_or_b64 exec, exec, s[36:37]
	v_cmp_neq_f32_e64 s[34:35], v2, v4
	s_branch .LBB249_136
.LBB249_126:
                                        ; implicit-def: $sgpr34_sgpr35
	s_cbranch_execz .LBB249_136
; %bb.127:
	s_movk_i32 s34, 0x7f
	s_waitcnt vmcnt(1)
	v_cmp_gt_i16_sdwa s[36:37], v3, s34 src0_sel:BYTE_0 src1_sel:DWORD
	s_mov_b64 s[34:35], 0
	s_and_saveexec_b64 s[38:39], s[36:37]
	s_xor_b64 s[36:37], exec, s[38:39]
	s_cbranch_execnz .LBB249_152
; %bb.128:
	s_or_saveexec_b64 s[36:37], s[36:37]
	v_mov_b32_e32 v2, 0x7f800001
	s_xor_b64 exec, exec, s[36:37]
	s_cbranch_execnz .LBB249_155
.LBB249_129:
	s_or_b64 exec, exec, s[36:37]
	s_and_saveexec_b64 s[36:37], s[34:35]
	s_cbranch_execz .LBB249_131
.LBB249_130:
	v_and_b32_e32 v5, 3, v3
	v_ffbh_u32_e32 v6, v5
	v_min_u32_e32 v6, 32, v6
	v_lshrrev_b16_e32 v4, 2, v3
	v_subrev_u32_e32 v8, 29, v6
	v_lshlrev_b32_e32 v2, 24, v3
	v_and_b32_e32 v4, 31, v4
	v_lshlrev_b32_e32 v3, v8, v3
	v_sub_u32_e32 v6, 30, v6
	v_and_b32_e32 v3, 3, v3
	v_cmp_eq_u32_e32 vcc, 0, v4
	v_cndmask_b32_e32 v4, v4, v6, vcc
	v_cndmask_b32_e32 v3, v5, v3, vcc
	v_mov_b32_e32 v5, 0x37800000
	v_lshlrev_b32_e32 v3, 21, v3
	v_and_b32_e32 v2, 0x80000000, v2
	v_lshl_add_u32 v4, v4, 23, v5
	v_or3_b32 v2, v2, v4, v3
.LBB249_131:
	s_or_b64 exec, exec, s[36:37]
	s_movk_i32 s34, 0x7f
	s_waitcnt vmcnt(0)
	v_cmp_gt_i16_sdwa s[36:37], v1, s34 src0_sel:BYTE_0 src1_sel:DWORD
	s_mov_b64 s[34:35], 0
	s_and_saveexec_b64 s[38:39], s[36:37]
	s_xor_b64 s[36:37], exec, s[38:39]
	s_cbranch_execnz .LBB249_156
; %bb.132:
	s_or_saveexec_b64 s[36:37], s[36:37]
	v_mov_b32_e32 v3, 0x7f800001
	s_xor_b64 exec, exec, s[36:37]
	s_cbranch_execnz .LBB249_159
.LBB249_133:
	s_or_b64 exec, exec, s[36:37]
	s_and_saveexec_b64 s[36:37], s[34:35]
	s_cbranch_execz .LBB249_135
.LBB249_134:
	v_and_b32_e32 v5, 3, v1
	v_ffbh_u32_e32 v6, v5
	v_min_u32_e32 v6, 32, v6
	v_lshrrev_b16_e32 v4, 2, v1
	v_subrev_u32_e32 v8, 29, v6
	v_lshlrev_b32_e32 v3, 24, v1
	v_and_b32_e32 v4, 31, v4
	v_lshlrev_b32_e32 v1, v8, v1
	v_sub_u32_e32 v6, 30, v6
	v_and_b32_e32 v1, 3, v1
	v_cmp_eq_u32_e32 vcc, 0, v4
	v_cndmask_b32_e32 v4, v4, v6, vcc
	v_cndmask_b32_e32 v1, v5, v1, vcc
	v_mov_b32_e32 v5, 0x37800000
	v_lshlrev_b32_e32 v1, 21, v1
	v_and_b32_e32 v3, 0x80000000, v3
	v_lshl_add_u32 v4, v4, 23, v5
	v_or3_b32 v3, v3, v4, v1
.LBB249_135:
	s_or_b64 exec, exec, s[36:37]
	v_cmp_eq_f32_e64 s[34:35], v2, v3
.LBB249_136:
	s_waitcnt vmcnt(0)
	v_cndmask_b32_e64 v1, 0, 1, s[34:35]
	v_add_u32_e32 v7, 0x80, v7
	global_store_byte v0, v1, s[0:1]
	s_or_b64 exec, exec, s[30:31]
	v_cmp_gt_i32_e32 vcc, s42, v7
	s_and_saveexec_b64 s[30:31], vcc
	s_cbranch_execz .LBB249_5
.LBB249_137:
	s_andn2_b64 vcc, exec, s[14:15]
	s_cbranch_vccnz .LBB249_143
; %bb.138:
	s_andn2_b64 vcc, exec, s[28:29]
	s_cbranch_vccnz .LBB249_160
; %bb.139:
	s_add_i32 s34, s41, 1
	s_and_b32 s36, s34, 30
	s_add_u32 s34, s12, 0xffffffe8
	s_addc_u32 s35, s13, -1
	v_mov_b32_e32 v2, 0
	v_mov_b32_e32 v4, 0
	;; [unrolled: 1-line block ×4, first 2 shown]
.LBB249_140:                            ; =>This Inner Loop Header: Depth=1
	s_load_dwordx4 s[44:47], s[34:35], 0x1c
	s_load_dwordx2 s[38:39], s[34:35], 0x2c
	s_load_dwordx2 s[52:53], s[34:35], 0xec
	s_load_dwordx4 s[48:51], s[34:35], 0xdc
	s_add_u32 s34, s34, 24
	s_waitcnt lgkmcnt(0)
	v_mul_hi_u32 v3, s45, v1
	s_addc_u32 s35, s35, 0
	s_add_i32 s36, s36, -2
	s_cmp_eq_u32 s36, 0
	v_add_u32_e32 v3, v1, v3
	v_lshrrev_b32_e32 v3, s46, v3
	v_mul_lo_u32 v5, v3, s44
	v_mul_hi_u32 v6, s38, v3
	v_sub_u32_e32 v5, v1, v5
	v_add_u32_e32 v1, v3, v6
	v_lshrrev_b32_e32 v1, s39, v1
	v_mul_lo_u32 v9, v1, s47
	v_mul_lo_u32 v6, v5, s48
	;; [unrolled: 1-line block ×4, first 2 shown]
	v_sub_u32_e32 v3, v3, v9
	v_mul_lo_u32 v9, v3, s51
	v_mul_lo_u32 v10, v3, s52
	;; [unrolled: 1-line block ×3, first 2 shown]
	v_add3_u32 v0, v6, v0, v9
	v_add3_u32 v4, v8, v4, v10
	;; [unrolled: 1-line block ×3, first 2 shown]
	s_cbranch_scc0 .LBB249_140
; %bb.141:
	s_bitcmp1_b32 s41, 0
	s_cselect_b64 s[36:37], -1, 0
	s_and_b64 vcc, exec, s[36:37]
	s_cbranch_vccnz .LBB249_161
; %bb.142:
	s_load_dwordx2 s[36:37], s[34:35], 0x1c
	s_load_dword s43, s[34:35], 0x24
	s_load_dwordx2 s[38:39], s[34:35], 0xdc
	s_waitcnt lgkmcnt(0)
	v_mul_hi_u32 v3, s37, v1
	v_add_u32_e32 v3, v1, v3
	v_lshrrev_b32_e32 v3, s43, v3
	v_mul_lo_u32 v3, v3, s36
	s_load_dword s36, s[34:35], 0xe4
	v_sub_u32_e32 v3, v1, v3
	v_mad_u64_u32 v[0:1], s[34:35], v3, s38, v[0:1]
	v_mad_u64_u32 v[4:5], s[34:35], v3, s39, v[4:5]
	s_waitcnt lgkmcnt(0)
	v_mad_u64_u32 v[2:3], s[34:35], v3, s36, v[2:3]
	s_branch .LBB249_161
.LBB249_143:
                                        ; implicit-def: $vgpr0
                                        ; implicit-def: $vgpr4
                                        ; implicit-def: $vgpr2
	s_branch .LBB249_162
.LBB249_144:
	s_movk_i32 s34, 0x80
	v_cmp_eq_u16_sdwa s[44:45], v3, s34 src0_sel:BYTE_0 src1_sel:DWORD
	s_mov_b64 s[34:35], -1
	s_and_saveexec_b64 s[38:39], s[44:45]
; %bb.145:
	s_xor_b64 s[34:35], exec, -1
; %bb.146:
	s_or_b64 exec, exec, s[38:39]
	s_and_b64 s[34:35], s[34:35], exec
	s_or_saveexec_b64 s[36:37], s[36:37]
	v_mov_b32_e32 v2, 0x7f800001
	s_xor_b64 exec, exec, s[36:37]
	s_cbranch_execz .LBB249_119
.LBB249_147:
	v_mov_b32_e32 v2, 0
	v_cmp_ne_u16_sdwa s[38:39], v3, v2 src0_sel:BYTE_0 src1_sel:DWORD
	s_andn2_b64 s[34:35], s[34:35], exec
	s_and_b64 s[38:39], s[38:39], exec
	s_or_b64 s[34:35], s[34:35], s[38:39]
	s_or_b64 exec, exec, s[36:37]
	s_and_saveexec_b64 s[36:37], s[34:35]
	s_cbranch_execnz .LBB249_120
	s_branch .LBB249_121
.LBB249_148:
	s_movk_i32 s34, 0x80
	v_cmp_eq_u16_sdwa s[44:45], v1, s34 src0_sel:BYTE_0 src1_sel:DWORD
	s_mov_b64 s[34:35], -1
	s_and_saveexec_b64 s[38:39], s[44:45]
; %bb.149:
	s_xor_b64 s[34:35], exec, -1
; %bb.150:
	s_or_b64 exec, exec, s[38:39]
	s_and_b64 s[34:35], s[34:35], exec
	s_or_saveexec_b64 s[36:37], s[36:37]
	v_mov_b32_e32 v4, 0x7f800001
	s_xor_b64 exec, exec, s[36:37]
	s_cbranch_execz .LBB249_123
.LBB249_151:
	v_mov_b32_e32 v4, 0
	v_cmp_ne_u16_sdwa s[38:39], v1, v4 src0_sel:BYTE_0 src1_sel:DWORD
	s_andn2_b64 s[34:35], s[34:35], exec
	s_and_b64 s[38:39], s[38:39], exec
	s_or_b64 s[34:35], s[34:35], s[38:39]
	s_or_b64 exec, exec, s[36:37]
	s_and_saveexec_b64 s[36:37], s[34:35]
	s_cbranch_execnz .LBB249_124
	s_branch .LBB249_125
.LBB249_152:
	s_movk_i32 s34, 0x80
	v_cmp_eq_u16_sdwa s[44:45], v3, s34 src0_sel:BYTE_0 src1_sel:DWORD
	s_mov_b64 s[34:35], -1
	s_and_saveexec_b64 s[38:39], s[44:45]
; %bb.153:
	s_xor_b64 s[34:35], exec, -1
; %bb.154:
	s_or_b64 exec, exec, s[38:39]
	s_and_b64 s[34:35], s[34:35], exec
	s_or_saveexec_b64 s[36:37], s[36:37]
	v_mov_b32_e32 v2, 0x7f800001
	s_xor_b64 exec, exec, s[36:37]
	s_cbranch_execz .LBB249_129
.LBB249_155:
	v_mov_b32_e32 v2, 0
	v_cmp_ne_u16_sdwa s[38:39], v3, v2 src0_sel:BYTE_0 src1_sel:DWORD
	s_andn2_b64 s[34:35], s[34:35], exec
	s_and_b64 s[38:39], s[38:39], exec
	s_or_b64 s[34:35], s[34:35], s[38:39]
	s_or_b64 exec, exec, s[36:37]
	s_and_saveexec_b64 s[36:37], s[34:35]
	s_cbranch_execnz .LBB249_130
	s_branch .LBB249_131
.LBB249_156:
	s_movk_i32 s34, 0x80
	v_cmp_eq_u16_sdwa s[44:45], v1, s34 src0_sel:BYTE_0 src1_sel:DWORD
	s_mov_b64 s[34:35], -1
	s_and_saveexec_b64 s[38:39], s[44:45]
; %bb.157:
	s_xor_b64 s[34:35], exec, -1
; %bb.158:
	s_or_b64 exec, exec, s[38:39]
	s_and_b64 s[34:35], s[34:35], exec
	s_or_saveexec_b64 s[36:37], s[36:37]
	v_mov_b32_e32 v3, 0x7f800001
	s_xor_b64 exec, exec, s[36:37]
	s_cbranch_execz .LBB249_133
.LBB249_159:
	v_mov_b32_e32 v3, 0
	v_cmp_ne_u16_sdwa s[38:39], v1, v3 src0_sel:BYTE_0 src1_sel:DWORD
	s_andn2_b64 s[34:35], s[34:35], exec
	s_and_b64 s[38:39], s[38:39], exec
	s_or_b64 s[34:35], s[34:35], s[38:39]
	s_or_b64 exec, exec, s[36:37]
	s_and_saveexec_b64 s[36:37], s[34:35]
	s_cbranch_execnz .LBB249_134
	s_branch .LBB249_135
.LBB249_160:
	v_mov_b32_e32 v0, 0
	v_mov_b32_e32 v4, 0
	;; [unrolled: 1-line block ×3, first 2 shown]
.LBB249_161:
	s_cbranch_execnz .LBB249_164
.LBB249_162:
	v_mul_hi_u32 v0, s9, v7
	s_andn2_b64 vcc, exec, s[26:27]
	v_add_u32_e32 v0, v7, v0
	v_lshrrev_b32_e32 v1, s10, v0
	v_mul_lo_u32 v0, v1, s8
	v_sub_u32_e32 v2, v7, v0
	v_mul_lo_u32 v0, v2, s4
	v_mul_lo_u32 v4, v2, s5
	v_mul_lo_u32 v2, v2, s6
	s_cbranch_vccnz .LBB249_164
; %bb.163:
	v_mul_hi_u32 v3, s24, v1
	v_add_u32_e32 v3, v1, v3
	v_lshrrev_b32_e32 v3, s25, v3
	v_mul_lo_u32 v3, v3, s11
	v_sub_u32_e32 v3, v1, v3
	v_mad_u64_u32 v[0:1], s[34:35], v3, s7, v[0:1]
	v_mad_u64_u32 v[4:5], s[34:35], v3, s22, v[4:5]
	;; [unrolled: 1-line block ×3, first 2 shown]
.LBB249_164:
	global_load_ubyte v3, v4, s[2:3]
	global_load_ubyte v1, v2, s[20:21]
	s_andn2_b64 vcc, exec, s[18:19]
	s_cbranch_vccnz .LBB249_174
; %bb.165:
	s_movk_i32 s34, 0x7f
	s_waitcnt vmcnt(1)
	v_cmp_gt_i16_sdwa s[36:37], v3, s34 src0_sel:BYTE_0 src1_sel:DWORD
	s_mov_b64 s[34:35], 0
	s_and_saveexec_b64 s[38:39], s[36:37]
	s_xor_b64 s[36:37], exec, s[38:39]
	s_cbranch_execnz .LBB249_192
; %bb.166:
	s_or_saveexec_b64 s[36:37], s[36:37]
	v_mov_b32_e32 v2, 0x7f800001
	s_xor_b64 exec, exec, s[36:37]
	s_cbranch_execnz .LBB249_195
.LBB249_167:
	s_or_b64 exec, exec, s[36:37]
	s_and_saveexec_b64 s[36:37], s[34:35]
	s_cbranch_execz .LBB249_169
.LBB249_168:
	v_and_b32_e32 v5, 3, v3
	v_ffbh_u32_e32 v6, v5
	v_min_u32_e32 v6, 32, v6
	v_lshrrev_b16_e32 v4, 2, v3
	v_subrev_u32_e32 v8, 29, v6
	v_and_b32_e32 v4, 31, v4
	v_lshlrev_b32_e32 v8, v8, v3
	v_sub_u32_e32 v6, 30, v6
	v_and_b32_e32 v8, 3, v8
	v_cmp_eq_u32_e32 vcc, 0, v4
	v_lshlrev_b32_e32 v2, 24, v3
	v_cndmask_b32_e32 v4, v4, v6, vcc
	v_cndmask_b32_e32 v5, v5, v8, vcc
	v_mov_b32_e32 v6, 0x37800000
	v_lshlrev_b32_e32 v5, 21, v5
	v_and_b32_e32 v2, 0x80000000, v2
	v_lshl_add_u32 v4, v4, 23, v6
	v_or3_b32 v2, v2, v4, v5
.LBB249_169:
	s_or_b64 exec, exec, s[36:37]
	s_movk_i32 s34, 0x7f
	s_waitcnt vmcnt(0)
	v_cmp_gt_i16_sdwa s[36:37], v1, s34 src0_sel:BYTE_0 src1_sel:DWORD
	s_mov_b64 s[34:35], 0
	s_and_saveexec_b64 s[38:39], s[36:37]
	s_xor_b64 s[36:37], exec, s[38:39]
	s_cbranch_execnz .LBB249_196
; %bb.170:
	s_or_saveexec_b64 s[36:37], s[36:37]
	v_mov_b32_e32 v4, 0x7f800001
	s_xor_b64 exec, exec, s[36:37]
	s_cbranch_execnz .LBB249_199
.LBB249_171:
	s_or_b64 exec, exec, s[36:37]
	s_and_saveexec_b64 s[36:37], s[34:35]
	s_cbranch_execz .LBB249_173
.LBB249_172:
	v_and_b32_e32 v6, 3, v1
	v_ffbh_u32_e32 v8, v6
	v_min_u32_e32 v8, 32, v8
	v_lshrrev_b16_e32 v5, 2, v1
	v_subrev_u32_e32 v9, 29, v8
	v_and_b32_e32 v5, 31, v5
	v_lshlrev_b32_e32 v9, v9, v1
	v_sub_u32_e32 v8, 30, v8
	v_and_b32_e32 v9, 3, v9
	v_cmp_eq_u32_e32 vcc, 0, v5
	v_lshlrev_b32_e32 v4, 24, v1
	v_cndmask_b32_e32 v5, v5, v8, vcc
	v_cndmask_b32_e32 v6, v6, v9, vcc
	v_mov_b32_e32 v8, 0x37800000
	v_lshlrev_b32_e32 v6, 21, v6
	v_and_b32_e32 v4, 0x80000000, v4
	v_lshl_add_u32 v5, v5, 23, v8
	v_or3_b32 v4, v4, v5, v6
.LBB249_173:
	s_or_b64 exec, exec, s[36:37]
	v_cmp_neq_f32_e64 s[34:35], v2, v4
	s_branch .LBB249_184
.LBB249_174:
                                        ; implicit-def: $sgpr34_sgpr35
	s_cbranch_execz .LBB249_184
; %bb.175:
	s_movk_i32 s34, 0x7f
	s_waitcnt vmcnt(1)
	v_cmp_gt_i16_sdwa s[36:37], v3, s34 src0_sel:BYTE_0 src1_sel:DWORD
	s_mov_b64 s[34:35], 0
	s_and_saveexec_b64 s[38:39], s[36:37]
	s_xor_b64 s[36:37], exec, s[38:39]
	s_cbranch_execnz .LBB249_200
; %bb.176:
	s_or_saveexec_b64 s[36:37], s[36:37]
	v_mov_b32_e32 v2, 0x7f800001
	s_xor_b64 exec, exec, s[36:37]
	s_cbranch_execnz .LBB249_203
.LBB249_177:
	s_or_b64 exec, exec, s[36:37]
	s_and_saveexec_b64 s[36:37], s[34:35]
	s_cbranch_execz .LBB249_179
.LBB249_178:
	v_and_b32_e32 v5, 3, v3
	v_ffbh_u32_e32 v6, v5
	v_min_u32_e32 v6, 32, v6
	v_lshrrev_b16_e32 v4, 2, v3
	v_subrev_u32_e32 v8, 29, v6
	v_lshlrev_b32_e32 v2, 24, v3
	v_and_b32_e32 v4, 31, v4
	v_lshlrev_b32_e32 v3, v8, v3
	v_sub_u32_e32 v6, 30, v6
	v_and_b32_e32 v3, 3, v3
	v_cmp_eq_u32_e32 vcc, 0, v4
	v_cndmask_b32_e32 v4, v4, v6, vcc
	v_cndmask_b32_e32 v3, v5, v3, vcc
	v_mov_b32_e32 v5, 0x37800000
	v_lshlrev_b32_e32 v3, 21, v3
	v_and_b32_e32 v2, 0x80000000, v2
	v_lshl_add_u32 v4, v4, 23, v5
	v_or3_b32 v2, v2, v4, v3
.LBB249_179:
	s_or_b64 exec, exec, s[36:37]
	s_movk_i32 s34, 0x7f
	s_waitcnt vmcnt(0)
	v_cmp_gt_i16_sdwa s[36:37], v1, s34 src0_sel:BYTE_0 src1_sel:DWORD
	s_mov_b64 s[34:35], 0
	s_and_saveexec_b64 s[38:39], s[36:37]
	s_xor_b64 s[36:37], exec, s[38:39]
	s_cbranch_execnz .LBB249_204
; %bb.180:
	s_or_saveexec_b64 s[36:37], s[36:37]
	v_mov_b32_e32 v3, 0x7f800001
	s_xor_b64 exec, exec, s[36:37]
	s_cbranch_execnz .LBB249_207
.LBB249_181:
	s_or_b64 exec, exec, s[36:37]
	s_and_saveexec_b64 s[36:37], s[34:35]
	s_cbranch_execz .LBB249_183
.LBB249_182:
	v_and_b32_e32 v5, 3, v1
	v_ffbh_u32_e32 v6, v5
	v_min_u32_e32 v6, 32, v6
	v_lshrrev_b16_e32 v4, 2, v1
	v_subrev_u32_e32 v8, 29, v6
	v_lshlrev_b32_e32 v3, 24, v1
	v_and_b32_e32 v4, 31, v4
	v_lshlrev_b32_e32 v1, v8, v1
	v_sub_u32_e32 v6, 30, v6
	v_and_b32_e32 v1, 3, v1
	v_cmp_eq_u32_e32 vcc, 0, v4
	v_cndmask_b32_e32 v4, v4, v6, vcc
	v_cndmask_b32_e32 v1, v5, v1, vcc
	v_mov_b32_e32 v5, 0x37800000
	v_lshlrev_b32_e32 v1, 21, v1
	v_and_b32_e32 v3, 0x80000000, v3
	v_lshl_add_u32 v4, v4, 23, v5
	v_or3_b32 v3, v3, v4, v1
.LBB249_183:
	s_or_b64 exec, exec, s[36:37]
	v_cmp_eq_f32_e64 s[34:35], v2, v3
.LBB249_184:
	s_waitcnt vmcnt(0)
	v_cndmask_b32_e64 v1, 0, 1, s[34:35]
	v_add_u32_e32 v7, 0x80, v7
	global_store_byte v0, v1, s[0:1]
	s_or_b64 exec, exec, s[30:31]
	v_cmp_gt_i32_e32 vcc, s42, v7
	s_and_saveexec_b64 s[30:31], vcc
	s_cbranch_execz .LBB249_6
.LBB249_185:
	s_andn2_b64 vcc, exec, s[14:15]
	s_cbranch_vccnz .LBB249_191
; %bb.186:
	s_andn2_b64 vcc, exec, s[28:29]
	s_cbranch_vccnz .LBB249_208
; %bb.187:
	s_add_i32 s34, s41, 1
	s_and_b32 s36, s34, 30
	s_add_u32 s34, s12, 0xffffffe8
	s_addc_u32 s35, s13, -1
	v_mov_b32_e32 v2, 0
	v_mov_b32_e32 v4, 0
	v_mov_b32_e32 v0, 0
	v_mov_b32_e32 v1, v7
.LBB249_188:                            ; =>This Inner Loop Header: Depth=1
	s_load_dwordx4 s[44:47], s[34:35], 0x1c
	s_load_dwordx2 s[38:39], s[34:35], 0x2c
	s_load_dwordx2 s[52:53], s[34:35], 0xec
	s_load_dwordx4 s[48:51], s[34:35], 0xdc
	s_add_u32 s34, s34, 24
	s_waitcnt lgkmcnt(0)
	v_mul_hi_u32 v3, s45, v1
	s_addc_u32 s35, s35, 0
	s_add_i32 s36, s36, -2
	s_cmp_eq_u32 s36, 0
	v_add_u32_e32 v3, v1, v3
	v_lshrrev_b32_e32 v3, s46, v3
	v_mul_lo_u32 v5, v3, s44
	v_mul_hi_u32 v6, s38, v3
	v_sub_u32_e32 v5, v1, v5
	v_add_u32_e32 v1, v3, v6
	v_lshrrev_b32_e32 v1, s39, v1
	v_mul_lo_u32 v9, v1, s47
	v_mul_lo_u32 v6, v5, s48
	;; [unrolled: 1-line block ×4, first 2 shown]
	v_sub_u32_e32 v3, v3, v9
	v_mul_lo_u32 v9, v3, s51
	v_mul_lo_u32 v10, v3, s52
	;; [unrolled: 1-line block ×3, first 2 shown]
	v_add3_u32 v0, v6, v0, v9
	v_add3_u32 v4, v8, v4, v10
	;; [unrolled: 1-line block ×3, first 2 shown]
	s_cbranch_scc0 .LBB249_188
; %bb.189:
	s_bitcmp1_b32 s41, 0
	s_cselect_b64 s[36:37], -1, 0
	s_and_b64 vcc, exec, s[36:37]
	s_cbranch_vccnz .LBB249_209
; %bb.190:
	s_load_dwordx2 s[36:37], s[34:35], 0x1c
	s_load_dword s43, s[34:35], 0x24
	s_load_dwordx2 s[38:39], s[34:35], 0xdc
	s_waitcnt lgkmcnt(0)
	v_mul_hi_u32 v3, s37, v1
	v_add_u32_e32 v3, v1, v3
	v_lshrrev_b32_e32 v3, s43, v3
	v_mul_lo_u32 v3, v3, s36
	s_load_dword s36, s[34:35], 0xe4
	v_sub_u32_e32 v3, v1, v3
	v_mad_u64_u32 v[0:1], s[34:35], v3, s38, v[0:1]
	v_mad_u64_u32 v[4:5], s[34:35], v3, s39, v[4:5]
	s_waitcnt lgkmcnt(0)
	v_mad_u64_u32 v[2:3], s[34:35], v3, s36, v[2:3]
	s_branch .LBB249_209
.LBB249_191:
                                        ; implicit-def: $vgpr0
                                        ; implicit-def: $vgpr4
                                        ; implicit-def: $vgpr2
	s_branch .LBB249_210
.LBB249_192:
	s_movk_i32 s34, 0x80
	v_cmp_eq_u16_sdwa s[44:45], v3, s34 src0_sel:BYTE_0 src1_sel:DWORD
	s_mov_b64 s[34:35], -1
	s_and_saveexec_b64 s[38:39], s[44:45]
; %bb.193:
	s_xor_b64 s[34:35], exec, -1
; %bb.194:
	s_or_b64 exec, exec, s[38:39]
	s_and_b64 s[34:35], s[34:35], exec
	s_or_saveexec_b64 s[36:37], s[36:37]
	v_mov_b32_e32 v2, 0x7f800001
	s_xor_b64 exec, exec, s[36:37]
	s_cbranch_execz .LBB249_167
.LBB249_195:
	v_mov_b32_e32 v2, 0
	v_cmp_ne_u16_sdwa s[38:39], v3, v2 src0_sel:BYTE_0 src1_sel:DWORD
	s_andn2_b64 s[34:35], s[34:35], exec
	s_and_b64 s[38:39], s[38:39], exec
	s_or_b64 s[34:35], s[34:35], s[38:39]
	s_or_b64 exec, exec, s[36:37]
	s_and_saveexec_b64 s[36:37], s[34:35]
	s_cbranch_execnz .LBB249_168
	s_branch .LBB249_169
.LBB249_196:
	s_movk_i32 s34, 0x80
	v_cmp_eq_u16_sdwa s[44:45], v1, s34 src0_sel:BYTE_0 src1_sel:DWORD
	s_mov_b64 s[34:35], -1
	s_and_saveexec_b64 s[38:39], s[44:45]
; %bb.197:
	s_xor_b64 s[34:35], exec, -1
; %bb.198:
	s_or_b64 exec, exec, s[38:39]
	s_and_b64 s[34:35], s[34:35], exec
	s_or_saveexec_b64 s[36:37], s[36:37]
	v_mov_b32_e32 v4, 0x7f800001
	s_xor_b64 exec, exec, s[36:37]
	s_cbranch_execz .LBB249_171
.LBB249_199:
	v_mov_b32_e32 v4, 0
	v_cmp_ne_u16_sdwa s[38:39], v1, v4 src0_sel:BYTE_0 src1_sel:DWORD
	s_andn2_b64 s[34:35], s[34:35], exec
	s_and_b64 s[38:39], s[38:39], exec
	s_or_b64 s[34:35], s[34:35], s[38:39]
	s_or_b64 exec, exec, s[36:37]
	s_and_saveexec_b64 s[36:37], s[34:35]
	s_cbranch_execnz .LBB249_172
	s_branch .LBB249_173
.LBB249_200:
	s_movk_i32 s34, 0x80
	v_cmp_eq_u16_sdwa s[44:45], v3, s34 src0_sel:BYTE_0 src1_sel:DWORD
	s_mov_b64 s[34:35], -1
	s_and_saveexec_b64 s[38:39], s[44:45]
; %bb.201:
	s_xor_b64 s[34:35], exec, -1
; %bb.202:
	s_or_b64 exec, exec, s[38:39]
	s_and_b64 s[34:35], s[34:35], exec
	s_or_saveexec_b64 s[36:37], s[36:37]
	v_mov_b32_e32 v2, 0x7f800001
	s_xor_b64 exec, exec, s[36:37]
	s_cbranch_execz .LBB249_177
.LBB249_203:
	v_mov_b32_e32 v2, 0
	v_cmp_ne_u16_sdwa s[38:39], v3, v2 src0_sel:BYTE_0 src1_sel:DWORD
	s_andn2_b64 s[34:35], s[34:35], exec
	s_and_b64 s[38:39], s[38:39], exec
	s_or_b64 s[34:35], s[34:35], s[38:39]
	s_or_b64 exec, exec, s[36:37]
	s_and_saveexec_b64 s[36:37], s[34:35]
	s_cbranch_execnz .LBB249_178
	s_branch .LBB249_179
.LBB249_204:
	s_movk_i32 s34, 0x80
	v_cmp_eq_u16_sdwa s[44:45], v1, s34 src0_sel:BYTE_0 src1_sel:DWORD
	s_mov_b64 s[34:35], -1
	s_and_saveexec_b64 s[38:39], s[44:45]
; %bb.205:
	s_xor_b64 s[34:35], exec, -1
; %bb.206:
	s_or_b64 exec, exec, s[38:39]
	s_and_b64 s[34:35], s[34:35], exec
	s_or_saveexec_b64 s[36:37], s[36:37]
	v_mov_b32_e32 v3, 0x7f800001
	s_xor_b64 exec, exec, s[36:37]
	s_cbranch_execz .LBB249_181
.LBB249_207:
	v_mov_b32_e32 v3, 0
	v_cmp_ne_u16_sdwa s[38:39], v1, v3 src0_sel:BYTE_0 src1_sel:DWORD
	s_andn2_b64 s[34:35], s[34:35], exec
	s_and_b64 s[38:39], s[38:39], exec
	s_or_b64 s[34:35], s[34:35], s[38:39]
	s_or_b64 exec, exec, s[36:37]
	s_and_saveexec_b64 s[36:37], s[34:35]
	s_cbranch_execnz .LBB249_182
	s_branch .LBB249_183
.LBB249_208:
	v_mov_b32_e32 v0, 0
	v_mov_b32_e32 v4, 0
	;; [unrolled: 1-line block ×3, first 2 shown]
.LBB249_209:
	s_cbranch_execnz .LBB249_212
.LBB249_210:
	v_mul_hi_u32 v0, s9, v7
	s_andn2_b64 vcc, exec, s[26:27]
	v_add_u32_e32 v0, v7, v0
	v_lshrrev_b32_e32 v1, s10, v0
	v_mul_lo_u32 v0, v1, s8
	v_sub_u32_e32 v2, v7, v0
	v_mul_lo_u32 v0, v2, s4
	v_mul_lo_u32 v4, v2, s5
	;; [unrolled: 1-line block ×3, first 2 shown]
	s_cbranch_vccnz .LBB249_212
; %bb.211:
	v_mul_hi_u32 v3, s24, v1
	v_add_u32_e32 v3, v1, v3
	v_lshrrev_b32_e32 v3, s25, v3
	v_mul_lo_u32 v3, v3, s11
	v_sub_u32_e32 v3, v1, v3
	v_mad_u64_u32 v[0:1], s[34:35], v3, s7, v[0:1]
	v_mad_u64_u32 v[4:5], s[34:35], v3, s22, v[4:5]
	;; [unrolled: 1-line block ×3, first 2 shown]
.LBB249_212:
	global_load_ubyte v3, v4, s[2:3]
	global_load_ubyte v1, v2, s[20:21]
	s_andn2_b64 vcc, exec, s[18:19]
	s_cbranch_vccnz .LBB249_222
; %bb.213:
	s_movk_i32 s34, 0x7f
	s_waitcnt vmcnt(1)
	v_cmp_gt_i16_sdwa s[36:37], v3, s34 src0_sel:BYTE_0 src1_sel:DWORD
	s_mov_b64 s[34:35], 0
	s_and_saveexec_b64 s[38:39], s[36:37]
	s_xor_b64 s[36:37], exec, s[38:39]
	s_cbranch_execnz .LBB249_240
; %bb.214:
	s_or_saveexec_b64 s[36:37], s[36:37]
	v_mov_b32_e32 v2, 0x7f800001
	s_xor_b64 exec, exec, s[36:37]
	s_cbranch_execnz .LBB249_243
.LBB249_215:
	s_or_b64 exec, exec, s[36:37]
	s_and_saveexec_b64 s[36:37], s[34:35]
	s_cbranch_execz .LBB249_217
.LBB249_216:
	v_and_b32_e32 v5, 3, v3
	v_ffbh_u32_e32 v6, v5
	v_min_u32_e32 v6, 32, v6
	v_lshrrev_b16_e32 v4, 2, v3
	v_subrev_u32_e32 v8, 29, v6
	v_and_b32_e32 v4, 31, v4
	v_lshlrev_b32_e32 v8, v8, v3
	v_sub_u32_e32 v6, 30, v6
	v_and_b32_e32 v8, 3, v8
	v_cmp_eq_u32_e32 vcc, 0, v4
	v_lshlrev_b32_e32 v2, 24, v3
	v_cndmask_b32_e32 v4, v4, v6, vcc
	v_cndmask_b32_e32 v5, v5, v8, vcc
	v_mov_b32_e32 v6, 0x37800000
	v_lshlrev_b32_e32 v5, 21, v5
	v_and_b32_e32 v2, 0x80000000, v2
	v_lshl_add_u32 v4, v4, 23, v6
	v_or3_b32 v2, v2, v4, v5
.LBB249_217:
	s_or_b64 exec, exec, s[36:37]
	s_movk_i32 s34, 0x7f
	s_waitcnt vmcnt(0)
	v_cmp_gt_i16_sdwa s[36:37], v1, s34 src0_sel:BYTE_0 src1_sel:DWORD
	s_mov_b64 s[34:35], 0
	s_and_saveexec_b64 s[38:39], s[36:37]
	s_xor_b64 s[36:37], exec, s[38:39]
	s_cbranch_execnz .LBB249_244
; %bb.218:
	s_or_saveexec_b64 s[36:37], s[36:37]
	v_mov_b32_e32 v4, 0x7f800001
	s_xor_b64 exec, exec, s[36:37]
	s_cbranch_execnz .LBB249_247
.LBB249_219:
	s_or_b64 exec, exec, s[36:37]
	s_and_saveexec_b64 s[36:37], s[34:35]
	s_cbranch_execz .LBB249_221
.LBB249_220:
	v_and_b32_e32 v6, 3, v1
	v_ffbh_u32_e32 v8, v6
	v_min_u32_e32 v8, 32, v8
	v_lshrrev_b16_e32 v5, 2, v1
	v_subrev_u32_e32 v9, 29, v8
	v_and_b32_e32 v5, 31, v5
	v_lshlrev_b32_e32 v9, v9, v1
	v_sub_u32_e32 v8, 30, v8
	v_and_b32_e32 v9, 3, v9
	v_cmp_eq_u32_e32 vcc, 0, v5
	v_lshlrev_b32_e32 v4, 24, v1
	v_cndmask_b32_e32 v5, v5, v8, vcc
	v_cndmask_b32_e32 v6, v6, v9, vcc
	v_mov_b32_e32 v8, 0x37800000
	v_lshlrev_b32_e32 v6, 21, v6
	v_and_b32_e32 v4, 0x80000000, v4
	v_lshl_add_u32 v5, v5, 23, v8
	v_or3_b32 v4, v4, v5, v6
.LBB249_221:
	s_or_b64 exec, exec, s[36:37]
	v_cmp_neq_f32_e64 s[34:35], v2, v4
	s_branch .LBB249_232
.LBB249_222:
                                        ; implicit-def: $sgpr34_sgpr35
	s_cbranch_execz .LBB249_232
; %bb.223:
	s_movk_i32 s34, 0x7f
	s_waitcnt vmcnt(1)
	v_cmp_gt_i16_sdwa s[36:37], v3, s34 src0_sel:BYTE_0 src1_sel:DWORD
	s_mov_b64 s[34:35], 0
	s_and_saveexec_b64 s[38:39], s[36:37]
	s_xor_b64 s[36:37], exec, s[38:39]
	s_cbranch_execnz .LBB249_248
; %bb.224:
	s_or_saveexec_b64 s[36:37], s[36:37]
	v_mov_b32_e32 v2, 0x7f800001
	s_xor_b64 exec, exec, s[36:37]
	s_cbranch_execnz .LBB249_251
.LBB249_225:
	s_or_b64 exec, exec, s[36:37]
	s_and_saveexec_b64 s[36:37], s[34:35]
	s_cbranch_execz .LBB249_227
.LBB249_226:
	v_and_b32_e32 v5, 3, v3
	v_ffbh_u32_e32 v6, v5
	v_min_u32_e32 v6, 32, v6
	v_lshrrev_b16_e32 v4, 2, v3
	v_subrev_u32_e32 v8, 29, v6
	v_lshlrev_b32_e32 v2, 24, v3
	v_and_b32_e32 v4, 31, v4
	v_lshlrev_b32_e32 v3, v8, v3
	v_sub_u32_e32 v6, 30, v6
	v_and_b32_e32 v3, 3, v3
	v_cmp_eq_u32_e32 vcc, 0, v4
	v_cndmask_b32_e32 v4, v4, v6, vcc
	v_cndmask_b32_e32 v3, v5, v3, vcc
	v_mov_b32_e32 v5, 0x37800000
	v_lshlrev_b32_e32 v3, 21, v3
	v_and_b32_e32 v2, 0x80000000, v2
	v_lshl_add_u32 v4, v4, 23, v5
	v_or3_b32 v2, v2, v4, v3
.LBB249_227:
	s_or_b64 exec, exec, s[36:37]
	s_movk_i32 s34, 0x7f
	s_waitcnt vmcnt(0)
	v_cmp_gt_i16_sdwa s[36:37], v1, s34 src0_sel:BYTE_0 src1_sel:DWORD
	s_mov_b64 s[34:35], 0
	s_and_saveexec_b64 s[38:39], s[36:37]
	s_xor_b64 s[36:37], exec, s[38:39]
	s_cbranch_execnz .LBB249_252
; %bb.228:
	s_or_saveexec_b64 s[36:37], s[36:37]
	v_mov_b32_e32 v3, 0x7f800001
	s_xor_b64 exec, exec, s[36:37]
	s_cbranch_execnz .LBB249_255
.LBB249_229:
	s_or_b64 exec, exec, s[36:37]
	s_and_saveexec_b64 s[36:37], s[34:35]
	s_cbranch_execz .LBB249_231
.LBB249_230:
	v_and_b32_e32 v5, 3, v1
	v_ffbh_u32_e32 v6, v5
	v_min_u32_e32 v6, 32, v6
	v_lshrrev_b16_e32 v4, 2, v1
	v_subrev_u32_e32 v8, 29, v6
	v_lshlrev_b32_e32 v3, 24, v1
	v_and_b32_e32 v4, 31, v4
	v_lshlrev_b32_e32 v1, v8, v1
	v_sub_u32_e32 v6, 30, v6
	v_and_b32_e32 v1, 3, v1
	v_cmp_eq_u32_e32 vcc, 0, v4
	v_cndmask_b32_e32 v4, v4, v6, vcc
	v_cndmask_b32_e32 v1, v5, v1, vcc
	v_mov_b32_e32 v5, 0x37800000
	v_lshlrev_b32_e32 v1, 21, v1
	v_and_b32_e32 v3, 0x80000000, v3
	v_lshl_add_u32 v4, v4, 23, v5
	v_or3_b32 v3, v3, v4, v1
.LBB249_231:
	s_or_b64 exec, exec, s[36:37]
	v_cmp_eq_f32_e64 s[34:35], v2, v3
.LBB249_232:
	s_waitcnt vmcnt(0)
	v_cndmask_b32_e64 v1, 0, 1, s[34:35]
	v_add_u32_e32 v7, 0x80, v7
	global_store_byte v0, v1, s[0:1]
	s_or_b64 exec, exec, s[30:31]
	v_cmp_gt_i32_e32 vcc, s42, v7
	s_and_saveexec_b64 s[30:31], vcc
	s_cbranch_execz .LBB249_7
.LBB249_233:
	s_andn2_b64 vcc, exec, s[14:15]
	s_cbranch_vccnz .LBB249_239
; %bb.234:
	s_andn2_b64 vcc, exec, s[28:29]
	s_cbranch_vccnz .LBB249_256
; %bb.235:
	s_add_i32 s34, s41, 1
	s_and_b32 s36, s34, 30
	s_add_u32 s34, s12, 0xffffffe8
	s_addc_u32 s35, s13, -1
	v_mov_b32_e32 v2, 0
	v_mov_b32_e32 v4, 0
	;; [unrolled: 1-line block ×4, first 2 shown]
.LBB249_236:                            ; =>This Inner Loop Header: Depth=1
	s_load_dwordx4 s[44:47], s[34:35], 0x1c
	s_load_dwordx2 s[38:39], s[34:35], 0x2c
	s_load_dwordx2 s[52:53], s[34:35], 0xec
	s_load_dwordx4 s[48:51], s[34:35], 0xdc
	s_add_u32 s34, s34, 24
	s_waitcnt lgkmcnt(0)
	v_mul_hi_u32 v3, s45, v1
	s_addc_u32 s35, s35, 0
	s_add_i32 s36, s36, -2
	s_cmp_eq_u32 s36, 0
	v_add_u32_e32 v3, v1, v3
	v_lshrrev_b32_e32 v3, s46, v3
	v_mul_lo_u32 v5, v3, s44
	v_mul_hi_u32 v6, s38, v3
	v_sub_u32_e32 v5, v1, v5
	v_add_u32_e32 v1, v3, v6
	v_lshrrev_b32_e32 v1, s39, v1
	v_mul_lo_u32 v9, v1, s47
	v_mul_lo_u32 v6, v5, s48
	;; [unrolled: 1-line block ×4, first 2 shown]
	v_sub_u32_e32 v3, v3, v9
	v_mul_lo_u32 v9, v3, s51
	v_mul_lo_u32 v10, v3, s52
	;; [unrolled: 1-line block ×3, first 2 shown]
	v_add3_u32 v0, v6, v0, v9
	v_add3_u32 v4, v8, v4, v10
	;; [unrolled: 1-line block ×3, first 2 shown]
	s_cbranch_scc0 .LBB249_236
; %bb.237:
	s_bitcmp1_b32 s41, 0
	s_cselect_b64 s[36:37], -1, 0
	s_and_b64 vcc, exec, s[36:37]
	s_cbranch_vccnz .LBB249_257
; %bb.238:
	s_load_dwordx2 s[36:37], s[34:35], 0x1c
	s_load_dword s43, s[34:35], 0x24
	s_load_dwordx2 s[38:39], s[34:35], 0xdc
	s_waitcnt lgkmcnt(0)
	v_mul_hi_u32 v3, s37, v1
	v_add_u32_e32 v3, v1, v3
	v_lshrrev_b32_e32 v3, s43, v3
	v_mul_lo_u32 v3, v3, s36
	s_load_dword s36, s[34:35], 0xe4
	v_sub_u32_e32 v3, v1, v3
	v_mad_u64_u32 v[0:1], s[34:35], v3, s38, v[0:1]
	v_mad_u64_u32 v[4:5], s[34:35], v3, s39, v[4:5]
	s_waitcnt lgkmcnt(0)
	v_mad_u64_u32 v[2:3], s[34:35], v3, s36, v[2:3]
	s_branch .LBB249_257
.LBB249_239:
                                        ; implicit-def: $vgpr0
                                        ; implicit-def: $vgpr4
                                        ; implicit-def: $vgpr2
	s_branch .LBB249_258
.LBB249_240:
	s_movk_i32 s34, 0x80
	v_cmp_eq_u16_sdwa s[44:45], v3, s34 src0_sel:BYTE_0 src1_sel:DWORD
	s_mov_b64 s[34:35], -1
	s_and_saveexec_b64 s[38:39], s[44:45]
; %bb.241:
	s_xor_b64 s[34:35], exec, -1
; %bb.242:
	s_or_b64 exec, exec, s[38:39]
	s_and_b64 s[34:35], s[34:35], exec
	s_or_saveexec_b64 s[36:37], s[36:37]
	v_mov_b32_e32 v2, 0x7f800001
	s_xor_b64 exec, exec, s[36:37]
	s_cbranch_execz .LBB249_215
.LBB249_243:
	v_mov_b32_e32 v2, 0
	v_cmp_ne_u16_sdwa s[38:39], v3, v2 src0_sel:BYTE_0 src1_sel:DWORD
	s_andn2_b64 s[34:35], s[34:35], exec
	s_and_b64 s[38:39], s[38:39], exec
	s_or_b64 s[34:35], s[34:35], s[38:39]
	s_or_b64 exec, exec, s[36:37]
	s_and_saveexec_b64 s[36:37], s[34:35]
	s_cbranch_execnz .LBB249_216
	s_branch .LBB249_217
.LBB249_244:
	s_movk_i32 s34, 0x80
	v_cmp_eq_u16_sdwa s[44:45], v1, s34 src0_sel:BYTE_0 src1_sel:DWORD
	s_mov_b64 s[34:35], -1
	s_and_saveexec_b64 s[38:39], s[44:45]
; %bb.245:
	s_xor_b64 s[34:35], exec, -1
; %bb.246:
	s_or_b64 exec, exec, s[38:39]
	s_and_b64 s[34:35], s[34:35], exec
	s_or_saveexec_b64 s[36:37], s[36:37]
	v_mov_b32_e32 v4, 0x7f800001
	s_xor_b64 exec, exec, s[36:37]
	s_cbranch_execz .LBB249_219
.LBB249_247:
	v_mov_b32_e32 v4, 0
	v_cmp_ne_u16_sdwa s[38:39], v1, v4 src0_sel:BYTE_0 src1_sel:DWORD
	s_andn2_b64 s[34:35], s[34:35], exec
	s_and_b64 s[38:39], s[38:39], exec
	s_or_b64 s[34:35], s[34:35], s[38:39]
	s_or_b64 exec, exec, s[36:37]
	s_and_saveexec_b64 s[36:37], s[34:35]
	s_cbranch_execnz .LBB249_220
	s_branch .LBB249_221
.LBB249_248:
	s_movk_i32 s34, 0x80
	v_cmp_eq_u16_sdwa s[44:45], v3, s34 src0_sel:BYTE_0 src1_sel:DWORD
	s_mov_b64 s[34:35], -1
	s_and_saveexec_b64 s[38:39], s[44:45]
; %bb.249:
	s_xor_b64 s[34:35], exec, -1
; %bb.250:
	s_or_b64 exec, exec, s[38:39]
	s_and_b64 s[34:35], s[34:35], exec
	s_or_saveexec_b64 s[36:37], s[36:37]
	v_mov_b32_e32 v2, 0x7f800001
	s_xor_b64 exec, exec, s[36:37]
	s_cbranch_execz .LBB249_225
.LBB249_251:
	v_mov_b32_e32 v2, 0
	v_cmp_ne_u16_sdwa s[38:39], v3, v2 src0_sel:BYTE_0 src1_sel:DWORD
	s_andn2_b64 s[34:35], s[34:35], exec
	s_and_b64 s[38:39], s[38:39], exec
	s_or_b64 s[34:35], s[34:35], s[38:39]
	s_or_b64 exec, exec, s[36:37]
	s_and_saveexec_b64 s[36:37], s[34:35]
	s_cbranch_execnz .LBB249_226
	s_branch .LBB249_227
.LBB249_252:
	s_movk_i32 s34, 0x80
	v_cmp_eq_u16_sdwa s[44:45], v1, s34 src0_sel:BYTE_0 src1_sel:DWORD
	s_mov_b64 s[34:35], -1
	s_and_saveexec_b64 s[38:39], s[44:45]
; %bb.253:
	s_xor_b64 s[34:35], exec, -1
; %bb.254:
	s_or_b64 exec, exec, s[38:39]
	s_and_b64 s[34:35], s[34:35], exec
	s_or_saveexec_b64 s[36:37], s[36:37]
	v_mov_b32_e32 v3, 0x7f800001
	s_xor_b64 exec, exec, s[36:37]
	s_cbranch_execz .LBB249_229
.LBB249_255:
	v_mov_b32_e32 v3, 0
	v_cmp_ne_u16_sdwa s[38:39], v1, v3 src0_sel:BYTE_0 src1_sel:DWORD
	s_andn2_b64 s[34:35], s[34:35], exec
	s_and_b64 s[38:39], s[38:39], exec
	s_or_b64 s[34:35], s[34:35], s[38:39]
	s_or_b64 exec, exec, s[36:37]
	s_and_saveexec_b64 s[36:37], s[34:35]
	s_cbranch_execnz .LBB249_230
	s_branch .LBB249_231
.LBB249_256:
	v_mov_b32_e32 v0, 0
	v_mov_b32_e32 v4, 0
	;; [unrolled: 1-line block ×3, first 2 shown]
.LBB249_257:
	s_cbranch_execnz .LBB249_260
.LBB249_258:
	v_mul_hi_u32 v0, s9, v7
	s_andn2_b64 vcc, exec, s[26:27]
	v_add_u32_e32 v0, v7, v0
	v_lshrrev_b32_e32 v1, s10, v0
	v_mul_lo_u32 v0, v1, s8
	v_sub_u32_e32 v2, v7, v0
	v_mul_lo_u32 v0, v2, s4
	v_mul_lo_u32 v4, v2, s5
	;; [unrolled: 1-line block ×3, first 2 shown]
	s_cbranch_vccnz .LBB249_260
; %bb.259:
	v_mul_hi_u32 v3, s24, v1
	v_add_u32_e32 v3, v1, v3
	v_lshrrev_b32_e32 v3, s25, v3
	v_mul_lo_u32 v3, v3, s11
	v_sub_u32_e32 v3, v1, v3
	v_mad_u64_u32 v[0:1], s[34:35], v3, s7, v[0:1]
	v_mad_u64_u32 v[4:5], s[34:35], v3, s22, v[4:5]
	;; [unrolled: 1-line block ×3, first 2 shown]
.LBB249_260:
	global_load_ubyte v3, v4, s[2:3]
	global_load_ubyte v1, v2, s[20:21]
	s_andn2_b64 vcc, exec, s[18:19]
	s_cbranch_vccnz .LBB249_270
; %bb.261:
	s_movk_i32 s34, 0x7f
	s_waitcnt vmcnt(1)
	v_cmp_gt_i16_sdwa s[36:37], v3, s34 src0_sel:BYTE_0 src1_sel:DWORD
	s_mov_b64 s[34:35], 0
	s_and_saveexec_b64 s[38:39], s[36:37]
	s_xor_b64 s[36:37], exec, s[38:39]
	s_cbranch_execnz .LBB249_288
; %bb.262:
	s_or_saveexec_b64 s[36:37], s[36:37]
	v_mov_b32_e32 v2, 0x7f800001
	s_xor_b64 exec, exec, s[36:37]
	s_cbranch_execnz .LBB249_291
.LBB249_263:
	s_or_b64 exec, exec, s[36:37]
	s_and_saveexec_b64 s[36:37], s[34:35]
	s_cbranch_execz .LBB249_265
.LBB249_264:
	v_and_b32_e32 v5, 3, v3
	v_ffbh_u32_e32 v6, v5
	v_min_u32_e32 v6, 32, v6
	v_lshrrev_b16_e32 v4, 2, v3
	v_subrev_u32_e32 v8, 29, v6
	v_and_b32_e32 v4, 31, v4
	v_lshlrev_b32_e32 v8, v8, v3
	v_sub_u32_e32 v6, 30, v6
	v_and_b32_e32 v8, 3, v8
	v_cmp_eq_u32_e32 vcc, 0, v4
	v_lshlrev_b32_e32 v2, 24, v3
	v_cndmask_b32_e32 v4, v4, v6, vcc
	v_cndmask_b32_e32 v5, v5, v8, vcc
	v_mov_b32_e32 v6, 0x37800000
	v_lshlrev_b32_e32 v5, 21, v5
	v_and_b32_e32 v2, 0x80000000, v2
	v_lshl_add_u32 v4, v4, 23, v6
	v_or3_b32 v2, v2, v4, v5
.LBB249_265:
	s_or_b64 exec, exec, s[36:37]
	s_movk_i32 s34, 0x7f
	s_waitcnt vmcnt(0)
	v_cmp_gt_i16_sdwa s[36:37], v1, s34 src0_sel:BYTE_0 src1_sel:DWORD
	s_mov_b64 s[34:35], 0
	s_and_saveexec_b64 s[38:39], s[36:37]
	s_xor_b64 s[36:37], exec, s[38:39]
	s_cbranch_execnz .LBB249_292
; %bb.266:
	s_or_saveexec_b64 s[36:37], s[36:37]
	v_mov_b32_e32 v4, 0x7f800001
	s_xor_b64 exec, exec, s[36:37]
	s_cbranch_execnz .LBB249_295
.LBB249_267:
	s_or_b64 exec, exec, s[36:37]
	s_and_saveexec_b64 s[36:37], s[34:35]
	s_cbranch_execz .LBB249_269
.LBB249_268:
	v_and_b32_e32 v6, 3, v1
	v_ffbh_u32_e32 v8, v6
	v_min_u32_e32 v8, 32, v8
	v_lshrrev_b16_e32 v5, 2, v1
	v_subrev_u32_e32 v9, 29, v8
	v_and_b32_e32 v5, 31, v5
	v_lshlrev_b32_e32 v9, v9, v1
	v_sub_u32_e32 v8, 30, v8
	v_and_b32_e32 v9, 3, v9
	v_cmp_eq_u32_e32 vcc, 0, v5
	v_lshlrev_b32_e32 v4, 24, v1
	v_cndmask_b32_e32 v5, v5, v8, vcc
	v_cndmask_b32_e32 v6, v6, v9, vcc
	v_mov_b32_e32 v8, 0x37800000
	v_lshlrev_b32_e32 v6, 21, v6
	v_and_b32_e32 v4, 0x80000000, v4
	v_lshl_add_u32 v5, v5, 23, v8
	v_or3_b32 v4, v4, v5, v6
.LBB249_269:
	s_or_b64 exec, exec, s[36:37]
	v_cmp_neq_f32_e64 s[34:35], v2, v4
	s_branch .LBB249_280
.LBB249_270:
                                        ; implicit-def: $sgpr34_sgpr35
	s_cbranch_execz .LBB249_280
; %bb.271:
	s_movk_i32 s34, 0x7f
	s_waitcnt vmcnt(1)
	v_cmp_gt_i16_sdwa s[36:37], v3, s34 src0_sel:BYTE_0 src1_sel:DWORD
	s_mov_b64 s[34:35], 0
	s_and_saveexec_b64 s[38:39], s[36:37]
	s_xor_b64 s[36:37], exec, s[38:39]
	s_cbranch_execnz .LBB249_296
; %bb.272:
	s_or_saveexec_b64 s[36:37], s[36:37]
	v_mov_b32_e32 v2, 0x7f800001
	s_xor_b64 exec, exec, s[36:37]
	s_cbranch_execnz .LBB249_299
.LBB249_273:
	s_or_b64 exec, exec, s[36:37]
	s_and_saveexec_b64 s[36:37], s[34:35]
	s_cbranch_execz .LBB249_275
.LBB249_274:
	v_and_b32_e32 v5, 3, v3
	v_ffbh_u32_e32 v6, v5
	v_min_u32_e32 v6, 32, v6
	v_lshrrev_b16_e32 v4, 2, v3
	v_subrev_u32_e32 v8, 29, v6
	v_lshlrev_b32_e32 v2, 24, v3
	v_and_b32_e32 v4, 31, v4
	v_lshlrev_b32_e32 v3, v8, v3
	v_sub_u32_e32 v6, 30, v6
	v_and_b32_e32 v3, 3, v3
	v_cmp_eq_u32_e32 vcc, 0, v4
	v_cndmask_b32_e32 v4, v4, v6, vcc
	v_cndmask_b32_e32 v3, v5, v3, vcc
	v_mov_b32_e32 v5, 0x37800000
	v_lshlrev_b32_e32 v3, 21, v3
	v_and_b32_e32 v2, 0x80000000, v2
	v_lshl_add_u32 v4, v4, 23, v5
	v_or3_b32 v2, v2, v4, v3
.LBB249_275:
	s_or_b64 exec, exec, s[36:37]
	s_movk_i32 s34, 0x7f
	s_waitcnt vmcnt(0)
	v_cmp_gt_i16_sdwa s[36:37], v1, s34 src0_sel:BYTE_0 src1_sel:DWORD
	s_mov_b64 s[34:35], 0
	s_and_saveexec_b64 s[38:39], s[36:37]
	s_xor_b64 s[36:37], exec, s[38:39]
	s_cbranch_execnz .LBB249_300
; %bb.276:
	s_or_saveexec_b64 s[36:37], s[36:37]
	v_mov_b32_e32 v3, 0x7f800001
	s_xor_b64 exec, exec, s[36:37]
	s_cbranch_execnz .LBB249_303
.LBB249_277:
	s_or_b64 exec, exec, s[36:37]
	s_and_saveexec_b64 s[36:37], s[34:35]
	s_cbranch_execz .LBB249_279
.LBB249_278:
	v_and_b32_e32 v5, 3, v1
	v_ffbh_u32_e32 v6, v5
	v_min_u32_e32 v6, 32, v6
	v_lshrrev_b16_e32 v4, 2, v1
	v_subrev_u32_e32 v8, 29, v6
	v_lshlrev_b32_e32 v3, 24, v1
	v_and_b32_e32 v4, 31, v4
	v_lshlrev_b32_e32 v1, v8, v1
	v_sub_u32_e32 v6, 30, v6
	v_and_b32_e32 v1, 3, v1
	v_cmp_eq_u32_e32 vcc, 0, v4
	v_cndmask_b32_e32 v4, v4, v6, vcc
	v_cndmask_b32_e32 v1, v5, v1, vcc
	v_mov_b32_e32 v5, 0x37800000
	v_lshlrev_b32_e32 v1, 21, v1
	v_and_b32_e32 v3, 0x80000000, v3
	v_lshl_add_u32 v4, v4, 23, v5
	v_or3_b32 v3, v3, v4, v1
.LBB249_279:
	s_or_b64 exec, exec, s[36:37]
	v_cmp_eq_f32_e64 s[34:35], v2, v3
.LBB249_280:
	s_waitcnt vmcnt(0)
	v_cndmask_b32_e64 v1, 0, 1, s[34:35]
	v_add_u32_e32 v7, 0x80, v7
	global_store_byte v0, v1, s[0:1]
	s_or_b64 exec, exec, s[30:31]
	v_cmp_gt_i32_e32 vcc, s42, v7
	s_and_saveexec_b64 s[30:31], vcc
	s_cbranch_execz .LBB249_8
.LBB249_281:
	s_andn2_b64 vcc, exec, s[14:15]
	s_cbranch_vccnz .LBB249_287
; %bb.282:
	s_andn2_b64 vcc, exec, s[28:29]
	s_cbranch_vccnz .LBB249_304
; %bb.283:
	s_add_i32 s34, s41, 1
	s_and_b32 s36, s34, 30
	s_add_u32 s34, s12, 0xffffffe8
	s_addc_u32 s35, s13, -1
	v_mov_b32_e32 v2, 0
	v_mov_b32_e32 v4, 0
	;; [unrolled: 1-line block ×4, first 2 shown]
.LBB249_284:                            ; =>This Inner Loop Header: Depth=1
	s_load_dwordx4 s[44:47], s[34:35], 0x1c
	s_load_dwordx2 s[38:39], s[34:35], 0x2c
	s_load_dwordx2 s[52:53], s[34:35], 0xec
	s_load_dwordx4 s[48:51], s[34:35], 0xdc
	s_add_u32 s34, s34, 24
	s_waitcnt lgkmcnt(0)
	v_mul_hi_u32 v3, s45, v1
	s_addc_u32 s35, s35, 0
	s_add_i32 s36, s36, -2
	s_cmp_eq_u32 s36, 0
	v_add_u32_e32 v3, v1, v3
	v_lshrrev_b32_e32 v3, s46, v3
	v_mul_lo_u32 v5, v3, s44
	v_mul_hi_u32 v6, s38, v3
	v_sub_u32_e32 v5, v1, v5
	v_add_u32_e32 v1, v3, v6
	v_lshrrev_b32_e32 v1, s39, v1
	v_mul_lo_u32 v9, v1, s47
	v_mul_lo_u32 v6, v5, s48
	;; [unrolled: 1-line block ×4, first 2 shown]
	v_sub_u32_e32 v3, v3, v9
	v_mul_lo_u32 v9, v3, s51
	v_mul_lo_u32 v10, v3, s52
	;; [unrolled: 1-line block ×3, first 2 shown]
	v_add3_u32 v0, v6, v0, v9
	v_add3_u32 v4, v8, v4, v10
	;; [unrolled: 1-line block ×3, first 2 shown]
	s_cbranch_scc0 .LBB249_284
; %bb.285:
	s_bitcmp1_b32 s41, 0
	s_cselect_b64 s[36:37], -1, 0
	s_and_b64 vcc, exec, s[36:37]
	s_cbranch_vccnz .LBB249_305
; %bb.286:
	s_load_dwordx2 s[36:37], s[34:35], 0x1c
	s_load_dword s43, s[34:35], 0x24
	s_load_dwordx2 s[38:39], s[34:35], 0xdc
	s_waitcnt lgkmcnt(0)
	v_mul_hi_u32 v3, s37, v1
	v_add_u32_e32 v3, v1, v3
	v_lshrrev_b32_e32 v3, s43, v3
	v_mul_lo_u32 v3, v3, s36
	s_load_dword s36, s[34:35], 0xe4
	v_sub_u32_e32 v3, v1, v3
	v_mad_u64_u32 v[0:1], s[34:35], v3, s38, v[0:1]
	v_mad_u64_u32 v[4:5], s[34:35], v3, s39, v[4:5]
	s_waitcnt lgkmcnt(0)
	v_mad_u64_u32 v[2:3], s[34:35], v3, s36, v[2:3]
	s_branch .LBB249_305
.LBB249_287:
                                        ; implicit-def: $vgpr0
                                        ; implicit-def: $vgpr4
                                        ; implicit-def: $vgpr2
	s_branch .LBB249_306
.LBB249_288:
	s_movk_i32 s34, 0x80
	v_cmp_eq_u16_sdwa s[44:45], v3, s34 src0_sel:BYTE_0 src1_sel:DWORD
	s_mov_b64 s[34:35], -1
	s_and_saveexec_b64 s[38:39], s[44:45]
; %bb.289:
	s_xor_b64 s[34:35], exec, -1
; %bb.290:
	s_or_b64 exec, exec, s[38:39]
	s_and_b64 s[34:35], s[34:35], exec
	s_or_saveexec_b64 s[36:37], s[36:37]
	v_mov_b32_e32 v2, 0x7f800001
	s_xor_b64 exec, exec, s[36:37]
	s_cbranch_execz .LBB249_263
.LBB249_291:
	v_mov_b32_e32 v2, 0
	v_cmp_ne_u16_sdwa s[38:39], v3, v2 src0_sel:BYTE_0 src1_sel:DWORD
	s_andn2_b64 s[34:35], s[34:35], exec
	s_and_b64 s[38:39], s[38:39], exec
	s_or_b64 s[34:35], s[34:35], s[38:39]
	s_or_b64 exec, exec, s[36:37]
	s_and_saveexec_b64 s[36:37], s[34:35]
	s_cbranch_execnz .LBB249_264
	s_branch .LBB249_265
.LBB249_292:
	s_movk_i32 s34, 0x80
	v_cmp_eq_u16_sdwa s[44:45], v1, s34 src0_sel:BYTE_0 src1_sel:DWORD
	s_mov_b64 s[34:35], -1
	s_and_saveexec_b64 s[38:39], s[44:45]
; %bb.293:
	s_xor_b64 s[34:35], exec, -1
; %bb.294:
	s_or_b64 exec, exec, s[38:39]
	s_and_b64 s[34:35], s[34:35], exec
	s_or_saveexec_b64 s[36:37], s[36:37]
	v_mov_b32_e32 v4, 0x7f800001
	s_xor_b64 exec, exec, s[36:37]
	s_cbranch_execz .LBB249_267
.LBB249_295:
	v_mov_b32_e32 v4, 0
	v_cmp_ne_u16_sdwa s[38:39], v1, v4 src0_sel:BYTE_0 src1_sel:DWORD
	s_andn2_b64 s[34:35], s[34:35], exec
	s_and_b64 s[38:39], s[38:39], exec
	s_or_b64 s[34:35], s[34:35], s[38:39]
	s_or_b64 exec, exec, s[36:37]
	s_and_saveexec_b64 s[36:37], s[34:35]
	s_cbranch_execnz .LBB249_268
	s_branch .LBB249_269
.LBB249_296:
	s_movk_i32 s34, 0x80
	v_cmp_eq_u16_sdwa s[44:45], v3, s34 src0_sel:BYTE_0 src1_sel:DWORD
	s_mov_b64 s[34:35], -1
	s_and_saveexec_b64 s[38:39], s[44:45]
; %bb.297:
	s_xor_b64 s[34:35], exec, -1
; %bb.298:
	s_or_b64 exec, exec, s[38:39]
	s_and_b64 s[34:35], s[34:35], exec
	s_or_saveexec_b64 s[36:37], s[36:37]
	v_mov_b32_e32 v2, 0x7f800001
	s_xor_b64 exec, exec, s[36:37]
	s_cbranch_execz .LBB249_273
.LBB249_299:
	v_mov_b32_e32 v2, 0
	v_cmp_ne_u16_sdwa s[38:39], v3, v2 src0_sel:BYTE_0 src1_sel:DWORD
	s_andn2_b64 s[34:35], s[34:35], exec
	s_and_b64 s[38:39], s[38:39], exec
	s_or_b64 s[34:35], s[34:35], s[38:39]
	s_or_b64 exec, exec, s[36:37]
	s_and_saveexec_b64 s[36:37], s[34:35]
	s_cbranch_execnz .LBB249_274
	s_branch .LBB249_275
.LBB249_300:
	s_movk_i32 s34, 0x80
	v_cmp_eq_u16_sdwa s[44:45], v1, s34 src0_sel:BYTE_0 src1_sel:DWORD
	s_mov_b64 s[34:35], -1
	s_and_saveexec_b64 s[38:39], s[44:45]
; %bb.301:
	s_xor_b64 s[34:35], exec, -1
; %bb.302:
	s_or_b64 exec, exec, s[38:39]
	s_and_b64 s[34:35], s[34:35], exec
	s_or_saveexec_b64 s[36:37], s[36:37]
	v_mov_b32_e32 v3, 0x7f800001
	s_xor_b64 exec, exec, s[36:37]
	s_cbranch_execz .LBB249_277
.LBB249_303:
	v_mov_b32_e32 v3, 0
	v_cmp_ne_u16_sdwa s[38:39], v1, v3 src0_sel:BYTE_0 src1_sel:DWORD
	s_andn2_b64 s[34:35], s[34:35], exec
	s_and_b64 s[38:39], s[38:39], exec
	s_or_b64 s[34:35], s[34:35], s[38:39]
	s_or_b64 exec, exec, s[36:37]
	s_and_saveexec_b64 s[36:37], s[34:35]
	s_cbranch_execnz .LBB249_278
	s_branch .LBB249_279
.LBB249_304:
	v_mov_b32_e32 v0, 0
	v_mov_b32_e32 v4, 0
	;; [unrolled: 1-line block ×3, first 2 shown]
.LBB249_305:
	s_cbranch_execnz .LBB249_308
.LBB249_306:
	v_mul_hi_u32 v0, s9, v7
	s_andn2_b64 vcc, exec, s[26:27]
	v_add_u32_e32 v0, v7, v0
	v_lshrrev_b32_e32 v1, s10, v0
	v_mul_lo_u32 v0, v1, s8
	v_sub_u32_e32 v2, v7, v0
	v_mul_lo_u32 v0, v2, s4
	v_mul_lo_u32 v4, v2, s5
	;; [unrolled: 1-line block ×3, first 2 shown]
	s_cbranch_vccnz .LBB249_308
; %bb.307:
	v_mul_hi_u32 v3, s24, v1
	v_add_u32_e32 v3, v1, v3
	v_lshrrev_b32_e32 v3, s25, v3
	v_mul_lo_u32 v3, v3, s11
	v_sub_u32_e32 v3, v1, v3
	v_mad_u64_u32 v[0:1], s[34:35], v3, s7, v[0:1]
	v_mad_u64_u32 v[4:5], s[34:35], v3, s22, v[4:5]
	;; [unrolled: 1-line block ×3, first 2 shown]
.LBB249_308:
	global_load_ubyte v3, v4, s[2:3]
	global_load_ubyte v1, v2, s[20:21]
	s_andn2_b64 vcc, exec, s[18:19]
	s_cbranch_vccnz .LBB249_318
; %bb.309:
	s_movk_i32 s34, 0x7f
	s_waitcnt vmcnt(1)
	v_cmp_gt_i16_sdwa s[36:37], v3, s34 src0_sel:BYTE_0 src1_sel:DWORD
	s_mov_b64 s[34:35], 0
	s_and_saveexec_b64 s[38:39], s[36:37]
	s_xor_b64 s[36:37], exec, s[38:39]
	s_cbranch_execnz .LBB249_336
; %bb.310:
	s_or_saveexec_b64 s[36:37], s[36:37]
	v_mov_b32_e32 v2, 0x7f800001
	s_xor_b64 exec, exec, s[36:37]
	s_cbranch_execnz .LBB249_339
.LBB249_311:
	s_or_b64 exec, exec, s[36:37]
	s_and_saveexec_b64 s[36:37], s[34:35]
	s_cbranch_execz .LBB249_313
.LBB249_312:
	v_and_b32_e32 v5, 3, v3
	v_ffbh_u32_e32 v6, v5
	v_min_u32_e32 v6, 32, v6
	v_lshrrev_b16_e32 v4, 2, v3
	v_subrev_u32_e32 v8, 29, v6
	v_and_b32_e32 v4, 31, v4
	v_lshlrev_b32_e32 v8, v8, v3
	v_sub_u32_e32 v6, 30, v6
	v_and_b32_e32 v8, 3, v8
	v_cmp_eq_u32_e32 vcc, 0, v4
	v_lshlrev_b32_e32 v2, 24, v3
	v_cndmask_b32_e32 v4, v4, v6, vcc
	v_cndmask_b32_e32 v5, v5, v8, vcc
	v_mov_b32_e32 v6, 0x37800000
	v_lshlrev_b32_e32 v5, 21, v5
	v_and_b32_e32 v2, 0x80000000, v2
	v_lshl_add_u32 v4, v4, 23, v6
	v_or3_b32 v2, v2, v4, v5
.LBB249_313:
	s_or_b64 exec, exec, s[36:37]
	s_movk_i32 s34, 0x7f
	s_waitcnt vmcnt(0)
	v_cmp_gt_i16_sdwa s[36:37], v1, s34 src0_sel:BYTE_0 src1_sel:DWORD
	s_mov_b64 s[34:35], 0
	s_and_saveexec_b64 s[38:39], s[36:37]
	s_xor_b64 s[36:37], exec, s[38:39]
	s_cbranch_execnz .LBB249_340
; %bb.314:
	s_or_saveexec_b64 s[36:37], s[36:37]
	v_mov_b32_e32 v4, 0x7f800001
	s_xor_b64 exec, exec, s[36:37]
	s_cbranch_execnz .LBB249_343
.LBB249_315:
	s_or_b64 exec, exec, s[36:37]
	s_and_saveexec_b64 s[36:37], s[34:35]
	s_cbranch_execz .LBB249_317
.LBB249_316:
	v_and_b32_e32 v6, 3, v1
	v_ffbh_u32_e32 v8, v6
	v_min_u32_e32 v8, 32, v8
	v_lshrrev_b16_e32 v5, 2, v1
	v_subrev_u32_e32 v9, 29, v8
	v_and_b32_e32 v5, 31, v5
	v_lshlrev_b32_e32 v9, v9, v1
	v_sub_u32_e32 v8, 30, v8
	v_and_b32_e32 v9, 3, v9
	v_cmp_eq_u32_e32 vcc, 0, v5
	v_lshlrev_b32_e32 v4, 24, v1
	v_cndmask_b32_e32 v5, v5, v8, vcc
	v_cndmask_b32_e32 v6, v6, v9, vcc
	v_mov_b32_e32 v8, 0x37800000
	v_lshlrev_b32_e32 v6, 21, v6
	v_and_b32_e32 v4, 0x80000000, v4
	v_lshl_add_u32 v5, v5, 23, v8
	v_or3_b32 v4, v4, v5, v6
.LBB249_317:
	s_or_b64 exec, exec, s[36:37]
	v_cmp_neq_f32_e64 s[34:35], v2, v4
	s_branch .LBB249_328
.LBB249_318:
                                        ; implicit-def: $sgpr34_sgpr35
	s_cbranch_execz .LBB249_328
; %bb.319:
	s_movk_i32 s34, 0x7f
	s_waitcnt vmcnt(1)
	v_cmp_gt_i16_sdwa s[36:37], v3, s34 src0_sel:BYTE_0 src1_sel:DWORD
	s_mov_b64 s[34:35], 0
	s_and_saveexec_b64 s[38:39], s[36:37]
	s_xor_b64 s[36:37], exec, s[38:39]
	s_cbranch_execnz .LBB249_344
; %bb.320:
	s_or_saveexec_b64 s[36:37], s[36:37]
	v_mov_b32_e32 v2, 0x7f800001
	s_xor_b64 exec, exec, s[36:37]
	s_cbranch_execnz .LBB249_347
.LBB249_321:
	s_or_b64 exec, exec, s[36:37]
	s_and_saveexec_b64 s[36:37], s[34:35]
	s_cbranch_execz .LBB249_323
.LBB249_322:
	v_and_b32_e32 v5, 3, v3
	v_ffbh_u32_e32 v6, v5
	v_min_u32_e32 v6, 32, v6
	v_lshrrev_b16_e32 v4, 2, v3
	v_subrev_u32_e32 v8, 29, v6
	v_lshlrev_b32_e32 v2, 24, v3
	v_and_b32_e32 v4, 31, v4
	v_lshlrev_b32_e32 v3, v8, v3
	v_sub_u32_e32 v6, 30, v6
	v_and_b32_e32 v3, 3, v3
	v_cmp_eq_u32_e32 vcc, 0, v4
	v_cndmask_b32_e32 v4, v4, v6, vcc
	v_cndmask_b32_e32 v3, v5, v3, vcc
	v_mov_b32_e32 v5, 0x37800000
	v_lshlrev_b32_e32 v3, 21, v3
	v_and_b32_e32 v2, 0x80000000, v2
	v_lshl_add_u32 v4, v4, 23, v5
	v_or3_b32 v2, v2, v4, v3
.LBB249_323:
	s_or_b64 exec, exec, s[36:37]
	s_movk_i32 s34, 0x7f
	s_waitcnt vmcnt(0)
	v_cmp_gt_i16_sdwa s[36:37], v1, s34 src0_sel:BYTE_0 src1_sel:DWORD
	s_mov_b64 s[34:35], 0
	s_and_saveexec_b64 s[38:39], s[36:37]
	s_xor_b64 s[36:37], exec, s[38:39]
	s_cbranch_execnz .LBB249_348
; %bb.324:
	s_or_saveexec_b64 s[36:37], s[36:37]
	v_mov_b32_e32 v3, 0x7f800001
	s_xor_b64 exec, exec, s[36:37]
	s_cbranch_execnz .LBB249_351
.LBB249_325:
	s_or_b64 exec, exec, s[36:37]
	s_and_saveexec_b64 s[36:37], s[34:35]
	s_cbranch_execz .LBB249_327
.LBB249_326:
	v_and_b32_e32 v5, 3, v1
	v_ffbh_u32_e32 v6, v5
	v_min_u32_e32 v6, 32, v6
	v_lshrrev_b16_e32 v4, 2, v1
	v_subrev_u32_e32 v8, 29, v6
	v_lshlrev_b32_e32 v3, 24, v1
	v_and_b32_e32 v4, 31, v4
	v_lshlrev_b32_e32 v1, v8, v1
	v_sub_u32_e32 v6, 30, v6
	v_and_b32_e32 v1, 3, v1
	v_cmp_eq_u32_e32 vcc, 0, v4
	v_cndmask_b32_e32 v4, v4, v6, vcc
	v_cndmask_b32_e32 v1, v5, v1, vcc
	v_mov_b32_e32 v5, 0x37800000
	v_lshlrev_b32_e32 v1, 21, v1
	v_and_b32_e32 v3, 0x80000000, v3
	v_lshl_add_u32 v4, v4, 23, v5
	v_or3_b32 v3, v3, v4, v1
.LBB249_327:
	s_or_b64 exec, exec, s[36:37]
	v_cmp_eq_f32_e64 s[34:35], v2, v3
.LBB249_328:
	s_waitcnt vmcnt(0)
	v_cndmask_b32_e64 v1, 0, 1, s[34:35]
	v_add_u32_e32 v7, 0x80, v7
	global_store_byte v0, v1, s[0:1]
	s_or_b64 exec, exec, s[30:31]
	v_cmp_gt_i32_e32 vcc, s42, v7
	s_and_saveexec_b64 s[30:31], vcc
	s_cbranch_execz .LBB249_377
.LBB249_329:
	s_andn2_b64 vcc, exec, s[14:15]
	s_cbranch_vccnz .LBB249_335
; %bb.330:
	s_andn2_b64 vcc, exec, s[28:29]
	s_cbranch_vccnz .LBB249_352
; %bb.331:
	s_add_i32 s28, s41, 1
	s_and_b32 s34, s28, 30
	s_add_u32 s28, s12, 0xffffffe8
	s_addc_u32 s29, s13, -1
	v_mov_b32_e32 v2, 0
	v_mov_b32_e32 v4, 0
	;; [unrolled: 1-line block ×4, first 2 shown]
.LBB249_332:                            ; =>This Inner Loop Header: Depth=1
	s_load_dwordx4 s[36:39], s[28:29], 0x1c
	s_load_dwordx2 s[42:43], s[28:29], 0x2c
	s_load_dwordx2 s[48:49], s[28:29], 0xec
	s_load_dwordx4 s[44:47], s[28:29], 0xdc
	s_add_u32 s28, s28, 24
	s_waitcnt lgkmcnt(0)
	v_mul_hi_u32 v3, s37, v1
	s_addc_u32 s29, s29, 0
	s_add_i32 s34, s34, -2
	s_cmp_eq_u32 s34, 0
	v_add_u32_e32 v3, v1, v3
	v_lshrrev_b32_e32 v3, s38, v3
	v_mul_lo_u32 v5, v3, s36
	v_mul_hi_u32 v6, s42, v3
	v_sub_u32_e32 v5, v1, v5
	v_add_u32_e32 v1, v3, v6
	v_lshrrev_b32_e32 v1, s43, v1
	v_mul_lo_u32 v9, v1, s39
	v_mul_lo_u32 v6, v5, s44
	;; [unrolled: 1-line block ×4, first 2 shown]
	v_sub_u32_e32 v3, v3, v9
	v_mul_lo_u32 v9, v3, s47
	v_mul_lo_u32 v10, v3, s48
	;; [unrolled: 1-line block ×3, first 2 shown]
	v_add3_u32 v0, v6, v0, v9
	v_add3_u32 v4, v8, v4, v10
	;; [unrolled: 1-line block ×3, first 2 shown]
	s_cbranch_scc0 .LBB249_332
; %bb.333:
	s_bitcmp1_b32 s41, 0
	s_cselect_b64 s[34:35], -1, 0
	s_and_b64 vcc, exec, s[34:35]
	s_cbranch_vccnz .LBB249_353
; %bb.334:
	s_load_dwordx2 s[34:35], s[28:29], 0x1c
	s_load_dword s38, s[28:29], 0x24
	s_load_dwordx2 s[36:37], s[28:29], 0xdc
	s_waitcnt lgkmcnt(0)
	v_mul_hi_u32 v3, s35, v1
	v_add_u32_e32 v3, v1, v3
	v_lshrrev_b32_e32 v3, s38, v3
	v_mul_lo_u32 v3, v3, s34
	s_load_dword s34, s[28:29], 0xe4
	v_sub_u32_e32 v3, v1, v3
	v_mad_u64_u32 v[0:1], s[28:29], v3, s36, v[0:1]
	v_mad_u64_u32 v[4:5], s[28:29], v3, s37, v[4:5]
	s_waitcnt lgkmcnt(0)
	v_mad_u64_u32 v[2:3], s[28:29], v3, s34, v[2:3]
	s_branch .LBB249_353
.LBB249_335:
                                        ; implicit-def: $vgpr0
                                        ; implicit-def: $vgpr4
                                        ; implicit-def: $vgpr2
	s_branch .LBB249_354
.LBB249_336:
	s_movk_i32 s34, 0x80
	v_cmp_eq_u16_sdwa s[44:45], v3, s34 src0_sel:BYTE_0 src1_sel:DWORD
	s_mov_b64 s[34:35], -1
	s_and_saveexec_b64 s[38:39], s[44:45]
; %bb.337:
	s_xor_b64 s[34:35], exec, -1
; %bb.338:
	s_or_b64 exec, exec, s[38:39]
	s_and_b64 s[34:35], s[34:35], exec
	s_or_saveexec_b64 s[36:37], s[36:37]
	v_mov_b32_e32 v2, 0x7f800001
	s_xor_b64 exec, exec, s[36:37]
	s_cbranch_execz .LBB249_311
.LBB249_339:
	v_mov_b32_e32 v2, 0
	v_cmp_ne_u16_sdwa s[38:39], v3, v2 src0_sel:BYTE_0 src1_sel:DWORD
	s_andn2_b64 s[34:35], s[34:35], exec
	s_and_b64 s[38:39], s[38:39], exec
	s_or_b64 s[34:35], s[34:35], s[38:39]
	s_or_b64 exec, exec, s[36:37]
	s_and_saveexec_b64 s[36:37], s[34:35]
	s_cbranch_execnz .LBB249_312
	s_branch .LBB249_313
.LBB249_340:
	s_movk_i32 s34, 0x80
	v_cmp_eq_u16_sdwa s[44:45], v1, s34 src0_sel:BYTE_0 src1_sel:DWORD
	s_mov_b64 s[34:35], -1
	s_and_saveexec_b64 s[38:39], s[44:45]
; %bb.341:
	s_xor_b64 s[34:35], exec, -1
; %bb.342:
	s_or_b64 exec, exec, s[38:39]
	s_and_b64 s[34:35], s[34:35], exec
	s_or_saveexec_b64 s[36:37], s[36:37]
	v_mov_b32_e32 v4, 0x7f800001
	s_xor_b64 exec, exec, s[36:37]
	s_cbranch_execz .LBB249_315
.LBB249_343:
	v_mov_b32_e32 v4, 0
	v_cmp_ne_u16_sdwa s[38:39], v1, v4 src0_sel:BYTE_0 src1_sel:DWORD
	s_andn2_b64 s[34:35], s[34:35], exec
	s_and_b64 s[38:39], s[38:39], exec
	s_or_b64 s[34:35], s[34:35], s[38:39]
	s_or_b64 exec, exec, s[36:37]
	s_and_saveexec_b64 s[36:37], s[34:35]
	s_cbranch_execnz .LBB249_316
	s_branch .LBB249_317
.LBB249_344:
	s_movk_i32 s34, 0x80
	v_cmp_eq_u16_sdwa s[44:45], v3, s34 src0_sel:BYTE_0 src1_sel:DWORD
	s_mov_b64 s[34:35], -1
	s_and_saveexec_b64 s[38:39], s[44:45]
; %bb.345:
	s_xor_b64 s[34:35], exec, -1
; %bb.346:
	s_or_b64 exec, exec, s[38:39]
	s_and_b64 s[34:35], s[34:35], exec
	s_or_saveexec_b64 s[36:37], s[36:37]
	v_mov_b32_e32 v2, 0x7f800001
	s_xor_b64 exec, exec, s[36:37]
	s_cbranch_execz .LBB249_321
.LBB249_347:
	v_mov_b32_e32 v2, 0
	v_cmp_ne_u16_sdwa s[38:39], v3, v2 src0_sel:BYTE_0 src1_sel:DWORD
	s_andn2_b64 s[34:35], s[34:35], exec
	s_and_b64 s[38:39], s[38:39], exec
	s_or_b64 s[34:35], s[34:35], s[38:39]
	s_or_b64 exec, exec, s[36:37]
	s_and_saveexec_b64 s[36:37], s[34:35]
	s_cbranch_execnz .LBB249_322
	s_branch .LBB249_323
.LBB249_348:
	s_movk_i32 s34, 0x80
	v_cmp_eq_u16_sdwa s[44:45], v1, s34 src0_sel:BYTE_0 src1_sel:DWORD
	s_mov_b64 s[34:35], -1
	s_and_saveexec_b64 s[38:39], s[44:45]
; %bb.349:
	s_xor_b64 s[34:35], exec, -1
; %bb.350:
	s_or_b64 exec, exec, s[38:39]
	s_and_b64 s[34:35], s[34:35], exec
	s_or_saveexec_b64 s[36:37], s[36:37]
	v_mov_b32_e32 v3, 0x7f800001
	s_xor_b64 exec, exec, s[36:37]
	s_cbranch_execz .LBB249_325
.LBB249_351:
	v_mov_b32_e32 v3, 0
	v_cmp_ne_u16_sdwa s[38:39], v1, v3 src0_sel:BYTE_0 src1_sel:DWORD
	s_andn2_b64 s[34:35], s[34:35], exec
	s_and_b64 s[38:39], s[38:39], exec
	s_or_b64 s[34:35], s[34:35], s[38:39]
	s_or_b64 exec, exec, s[36:37]
	s_and_saveexec_b64 s[36:37], s[34:35]
	s_cbranch_execnz .LBB249_326
	s_branch .LBB249_327
.LBB249_352:
	v_mov_b32_e32 v0, 0
	v_mov_b32_e32 v4, 0
	;; [unrolled: 1-line block ×3, first 2 shown]
.LBB249_353:
	s_cbranch_execnz .LBB249_356
.LBB249_354:
	v_mul_hi_u32 v0, s9, v7
	s_andn2_b64 vcc, exec, s[26:27]
	v_add_u32_e32 v0, v7, v0
	v_lshrrev_b32_e32 v1, s10, v0
	v_mul_lo_u32 v0, v1, s8
	v_sub_u32_e32 v2, v7, v0
	v_mul_lo_u32 v0, v2, s4
	v_mul_lo_u32 v4, v2, s5
	;; [unrolled: 1-line block ×3, first 2 shown]
	s_cbranch_vccnz .LBB249_356
; %bb.355:
	v_mul_hi_u32 v3, s24, v1
	v_add_u32_e32 v3, v1, v3
	v_lshrrev_b32_e32 v3, s25, v3
	v_mul_lo_u32 v3, v3, s11
	v_sub_u32_e32 v3, v1, v3
	v_mad_u64_u32 v[0:1], s[4:5], v3, s7, v[0:1]
	v_mad_u64_u32 v[4:5], s[4:5], v3, s22, v[4:5]
	;; [unrolled: 1-line block ×3, first 2 shown]
.LBB249_356:
	global_load_ubyte v3, v4, s[2:3]
	global_load_ubyte v1, v2, s[20:21]
	s_andn2_b64 vcc, exec, s[18:19]
	s_cbranch_vccnz .LBB249_366
; %bb.357:
	s_movk_i32 s2, 0x7f
	s_waitcnt vmcnt(1)
	v_cmp_gt_i16_sdwa s[4:5], v3, s2 src0_sel:BYTE_0 src1_sel:DWORD
	s_mov_b64 s[2:3], 0
	s_and_saveexec_b64 s[6:7], s[4:5]
	s_xor_b64 s[4:5], exec, s[6:7]
	s_cbranch_execnz .LBB249_757
; %bb.358:
	s_or_saveexec_b64 s[4:5], s[4:5]
	v_mov_b32_e32 v2, 0x7f800001
	s_xor_b64 exec, exec, s[4:5]
	s_cbranch_execnz .LBB249_760
.LBB249_359:
	s_or_b64 exec, exec, s[4:5]
	s_and_saveexec_b64 s[4:5], s[2:3]
	s_cbranch_execz .LBB249_361
.LBB249_360:
	v_and_b32_e32 v5, 3, v3
	v_ffbh_u32_e32 v6, v5
	v_min_u32_e32 v6, 32, v6
	v_lshrrev_b16_e32 v4, 2, v3
	v_subrev_u32_e32 v7, 29, v6
	v_and_b32_e32 v4, 31, v4
	v_lshlrev_b32_e32 v7, v7, v3
	v_sub_u32_e32 v6, 30, v6
	v_and_b32_e32 v7, 3, v7
	v_cmp_eq_u32_e32 vcc, 0, v4
	v_lshlrev_b32_e32 v2, 24, v3
	v_cndmask_b32_e32 v4, v4, v6, vcc
	v_cndmask_b32_e32 v5, v5, v7, vcc
	v_mov_b32_e32 v6, 0x37800000
	v_lshlrev_b32_e32 v5, 21, v5
	v_and_b32_e32 v2, 0x80000000, v2
	v_lshl_add_u32 v4, v4, 23, v6
	v_or3_b32 v2, v2, v4, v5
.LBB249_361:
	s_or_b64 exec, exec, s[4:5]
	s_movk_i32 s2, 0x7f
	s_waitcnt vmcnt(0)
	v_cmp_gt_i16_sdwa s[4:5], v1, s2 src0_sel:BYTE_0 src1_sel:DWORD
	s_mov_b64 s[2:3], 0
	s_and_saveexec_b64 s[6:7], s[4:5]
	s_xor_b64 s[4:5], exec, s[6:7]
	s_cbranch_execnz .LBB249_761
; %bb.362:
	s_or_saveexec_b64 s[4:5], s[4:5]
	v_mov_b32_e32 v4, 0x7f800001
	s_xor_b64 exec, exec, s[4:5]
	s_cbranch_execnz .LBB249_764
.LBB249_363:
	s_or_b64 exec, exec, s[4:5]
	s_and_saveexec_b64 s[4:5], s[2:3]
	s_cbranch_execz .LBB249_365
.LBB249_364:
	v_and_b32_e32 v6, 3, v1
	v_ffbh_u32_e32 v7, v6
	v_min_u32_e32 v7, 32, v7
	v_lshrrev_b16_e32 v5, 2, v1
	v_subrev_u32_e32 v8, 29, v7
	v_and_b32_e32 v5, 31, v5
	v_lshlrev_b32_e32 v8, v8, v1
	v_sub_u32_e32 v7, 30, v7
	v_and_b32_e32 v8, 3, v8
	v_cmp_eq_u32_e32 vcc, 0, v5
	v_lshlrev_b32_e32 v4, 24, v1
	v_cndmask_b32_e32 v5, v5, v7, vcc
	v_cndmask_b32_e32 v6, v6, v8, vcc
	v_mov_b32_e32 v7, 0x37800000
	v_lshlrev_b32_e32 v6, 21, v6
	v_and_b32_e32 v4, 0x80000000, v4
	v_lshl_add_u32 v5, v5, 23, v7
	v_or3_b32 v4, v4, v5, v6
.LBB249_365:
	s_or_b64 exec, exec, s[4:5]
	v_cmp_neq_f32_e64 s[2:3], v2, v4
	s_branch .LBB249_376
.LBB249_366:
                                        ; implicit-def: $sgpr2_sgpr3
	s_cbranch_execz .LBB249_376
; %bb.367:
	s_movk_i32 s2, 0x7f
	s_waitcnt vmcnt(1)
	v_cmp_gt_i16_sdwa s[4:5], v3, s2 src0_sel:BYTE_0 src1_sel:DWORD
	s_mov_b64 s[2:3], 0
	s_and_saveexec_b64 s[6:7], s[4:5]
	s_xor_b64 s[4:5], exec, s[6:7]
	s_cbranch_execnz .LBB249_765
; %bb.368:
	s_or_saveexec_b64 s[4:5], s[4:5]
	v_mov_b32_e32 v2, 0x7f800001
	s_xor_b64 exec, exec, s[4:5]
	s_cbranch_execnz .LBB249_768
.LBB249_369:
	s_or_b64 exec, exec, s[4:5]
	s_and_saveexec_b64 s[4:5], s[2:3]
	s_cbranch_execz .LBB249_371
.LBB249_370:
	v_and_b32_e32 v5, 3, v3
	v_ffbh_u32_e32 v6, v5
	v_min_u32_e32 v6, 32, v6
	v_lshrrev_b16_e32 v4, 2, v3
	v_subrev_u32_e32 v7, 29, v6
	v_lshlrev_b32_e32 v2, 24, v3
	v_and_b32_e32 v4, 31, v4
	v_lshlrev_b32_e32 v3, v7, v3
	v_sub_u32_e32 v6, 30, v6
	v_and_b32_e32 v3, 3, v3
	v_cmp_eq_u32_e32 vcc, 0, v4
	v_cndmask_b32_e32 v4, v4, v6, vcc
	v_cndmask_b32_e32 v3, v5, v3, vcc
	v_mov_b32_e32 v5, 0x37800000
	v_lshlrev_b32_e32 v3, 21, v3
	v_and_b32_e32 v2, 0x80000000, v2
	v_lshl_add_u32 v4, v4, 23, v5
	v_or3_b32 v2, v2, v4, v3
.LBB249_371:
	s_or_b64 exec, exec, s[4:5]
	s_movk_i32 s2, 0x7f
	s_waitcnt vmcnt(0)
	v_cmp_gt_i16_sdwa s[4:5], v1, s2 src0_sel:BYTE_0 src1_sel:DWORD
	s_mov_b64 s[2:3], 0
	s_and_saveexec_b64 s[6:7], s[4:5]
	s_xor_b64 s[4:5], exec, s[6:7]
	s_cbranch_execnz .LBB249_769
; %bb.372:
	s_or_saveexec_b64 s[4:5], s[4:5]
	v_mov_b32_e32 v3, 0x7f800001
	s_xor_b64 exec, exec, s[4:5]
	s_cbranch_execnz .LBB249_772
.LBB249_373:
	s_or_b64 exec, exec, s[4:5]
	s_and_saveexec_b64 s[4:5], s[2:3]
	s_cbranch_execz .LBB249_375
.LBB249_374:
	v_and_b32_e32 v5, 3, v1
	v_ffbh_u32_e32 v6, v5
	v_min_u32_e32 v6, 32, v6
	v_lshrrev_b16_e32 v4, 2, v1
	v_subrev_u32_e32 v7, 29, v6
	v_lshlrev_b32_e32 v3, 24, v1
	v_and_b32_e32 v4, 31, v4
	v_lshlrev_b32_e32 v1, v7, v1
	v_sub_u32_e32 v6, 30, v6
	v_and_b32_e32 v1, 3, v1
	v_cmp_eq_u32_e32 vcc, 0, v4
	v_cndmask_b32_e32 v4, v4, v6, vcc
	v_cndmask_b32_e32 v1, v5, v1, vcc
	v_mov_b32_e32 v5, 0x37800000
	v_lshlrev_b32_e32 v1, 21, v1
	v_and_b32_e32 v3, 0x80000000, v3
	v_lshl_add_u32 v4, v4, 23, v5
	v_or3_b32 v3, v3, v4, v1
.LBB249_375:
	s_or_b64 exec, exec, s[4:5]
	v_cmp_eq_f32_e64 s[2:3], v2, v3
.LBB249_376:
	s_waitcnt vmcnt(0)
	v_cndmask_b32_e64 v1, 0, 1, s[2:3]
	global_store_byte v0, v1, s[0:1]
.LBB249_377:
	s_or_b64 exec, exec, s[30:31]
                                        ; implicit-def: $vgpr41
                                        ; implicit-def: $vgpr7
.LBB249_378:
	s_andn2_saveexec_b64 s[0:1], s[16:17]
	s_cbranch_execz .LBB249_385
; %bb.379:
	v_cndmask_b32_e64 v0, 0, 1, s[14:15]
	v_cmp_ne_u32_e64 s[0:1], 1, v0
	s_andn2_b64 vcc, exec, s[14:15]
	s_cbranch_vccnz .LBB249_386
; %bb.380:
	s_cmp_lg_u32 s33, 0
	s_cbranch_scc0 .LBB249_387
; %bb.381:
	s_min_u32 s4, s40, 15
	s_add_i32 s2, s4, 1
	s_and_b32 s5, s2, 30
	s_add_u32 s2, s12, 0xffffffe8
	s_addc_u32 s3, s13, -1
	v_mov_b32_e32 v37, 0
	v_mov_b32_e32 v39, 0
	;; [unrolled: 1-line block ×4, first 2 shown]
.LBB249_382:                            ; =>This Inner Loop Header: Depth=1
	s_load_dwordx4 s[8:11], s[2:3], 0x1c
	s_load_dwordx2 s[6:7], s[2:3], 0x2c
	s_load_dwordx2 s[14:15], s[2:3], 0xec
	s_load_dwordx4 s[16:19], s[2:3], 0xdc
	s_add_u32 s2, s2, 24
	s_waitcnt lgkmcnt(0)
	v_mul_hi_u32 v2, s9, v1
	s_addc_u32 s3, s3, 0
	s_add_i32 s5, s5, -2
	s_cmp_lg_u32 s5, 0
	v_add_u32_e32 v2, v1, v2
	v_lshrrev_b32_e32 v2, s10, v2
	v_mul_lo_u32 v3, v2, s8
	v_mul_hi_u32 v4, s6, v2
	v_sub_u32_e32 v3, v1, v3
	v_add_u32_e32 v1, v2, v4
	v_lshrrev_b32_e32 v1, s7, v1
	v_mul_lo_u32 v6, v1, s11
	v_mul_lo_u32 v4, v3, s16
	;; [unrolled: 1-line block ×4, first 2 shown]
	v_sub_u32_e32 v2, v2, v6
	v_mul_lo_u32 v6, v2, s19
	v_mul_lo_u32 v8, v2, s14
	;; [unrolled: 1-line block ×3, first 2 shown]
	v_add3_u32 v0, v4, v0, v6
	v_add3_u32 v39, v5, v39, v8
	;; [unrolled: 1-line block ×3, first 2 shown]
	s_cbranch_scc1 .LBB249_382
; %bb.383:
	s_bitcmp1_b32 s4, 0
	s_cselect_b64 s[4:5], -1, 0
	s_and_b64 vcc, exec, s[4:5]
	s_cbranch_vccnz .LBB249_388
; %bb.384:
	s_load_dwordx2 s[4:5], s[2:3], 0x1c
	s_load_dword s8, s[2:3], 0x24
	s_load_dwordx2 s[6:7], s[2:3], 0xdc
	s_waitcnt lgkmcnt(0)
	v_mul_hi_u32 v2, s5, v1
	v_add_u32_e32 v2, v1, v2
	v_lshrrev_b32_e32 v2, s8, v2
	v_mul_lo_u32 v2, v2, s4
	s_load_dword s4, s[2:3], 0xe4
	v_sub_u32_e32 v2, v1, v2
	v_mad_u64_u32 v[0:1], s[2:3], v2, s6, v[0:1]
	v_mad_u64_u32 v[39:40], s[2:3], v2, s7, v[39:40]
	s_waitcnt lgkmcnt(0)
	v_mad_u64_u32 v[37:38], s[2:3], v2, s4, v[37:38]
	s_cbranch_execz .LBB249_389
	s_branch .LBB249_391
.LBB249_385:
	s_endpgm
.LBB249_386:
                                        ; implicit-def: $vgpr0
                                        ; implicit-def: $vgpr39
                                        ; implicit-def: $vgpr37
	s_branch .LBB249_389
.LBB249_387:
	v_mov_b32_e32 v0, 0
	v_mov_b32_e32 v39, 0
	;; [unrolled: 1-line block ×3, first 2 shown]
.LBB249_388:
	s_cbranch_execnz .LBB249_391
.LBB249_389:
	s_load_dwordx4 s[4:7], s[12:13], 0x4
	s_load_dwordx4 s[8:11], s[12:13], 0xc4
	s_cmp_lt_u32 s33, 2
	s_waitcnt lgkmcnt(0)
	v_mul_hi_u32 v0, s5, v7
	v_add_u32_e32 v0, v7, v0
	v_lshrrev_b32_e32 v1, s6, v0
	v_mul_lo_u32 v0, v1, s4
	v_sub_u32_e32 v2, v7, v0
	v_mul_lo_u32 v0, v2, s8
	v_mul_lo_u32 v39, v2, s9
	;; [unrolled: 1-line block ×3, first 2 shown]
	s_cbranch_scc1 .LBB249_391
; %bb.390:
	s_load_dwordx4 s[4:7], s[12:13], 0x10
	s_load_dwordx4 s[8:11], s[12:13], 0xd0
	s_waitcnt lgkmcnt(0)
	v_mul_hi_u32 v2, s5, v1
	v_add_u32_e32 v2, v1, v2
	v_lshrrev_b32_e32 v2, s6, v2
	v_mul_lo_u32 v2, v2, s4
	v_sub_u32_e32 v2, v1, v2
	v_mad_u64_u32 v[0:1], s[2:3], v2, s8, v[0:1]
	v_mad_u64_u32 v[39:40], s[2:3], v2, s9, v[39:40]
	v_mad_u64_u32 v[37:38], s[2:3], v2, s10, v[37:38]
.LBB249_391:
	s_and_b64 vcc, exec, s[0:1]
	v_add_u32_e32 v3, 0x80, v7
	s_cbranch_vccnz .LBB249_397
; %bb.392:
	s_cmp_lg_u32 s33, 0
	s_cbranch_scc0 .LBB249_398
; %bb.393:
	s_min_u32 s4, s40, 15
	s_add_i32 s2, s4, 1
	s_and_b32 s5, s2, 30
	s_add_u32 s2, s12, 0xffffffe8
	s_addc_u32 s3, s13, -1
	v_mov_b32_e32 v33, 0
	v_mov_b32_e32 v35, 0
	;; [unrolled: 1-line block ×4, first 2 shown]
.LBB249_394:                            ; =>This Inner Loop Header: Depth=1
	s_load_dwordx4 s[8:11], s[2:3], 0x1c
	s_load_dwordx2 s[6:7], s[2:3], 0x2c
	s_load_dwordx2 s[14:15], s[2:3], 0xec
	s_load_dwordx4 s[16:19], s[2:3], 0xdc
	s_add_u32 s2, s2, 24
	s_waitcnt lgkmcnt(0)
	v_mul_hi_u32 v4, s9, v2
	s_addc_u32 s3, s3, 0
	s_add_i32 s5, s5, -2
	s_cmp_lg_u32 s5, 0
	v_add_u32_e32 v4, v2, v4
	v_lshrrev_b32_e32 v4, s10, v4
	v_mul_lo_u32 v5, v4, s8
	v_mul_hi_u32 v6, s6, v4
	v_sub_u32_e32 v5, v2, v5
	v_add_u32_e32 v2, v4, v6
	v_lshrrev_b32_e32 v2, s7, v2
	v_mul_lo_u32 v9, v2, s11
	v_mul_lo_u32 v6, v5, s16
	v_mul_lo_u32 v8, v5, s17
	v_mul_lo_u32 v5, v5, s18
	v_sub_u32_e32 v4, v4, v9
	v_mul_lo_u32 v9, v4, s19
	v_mul_lo_u32 v10, v4, s14
	;; [unrolled: 1-line block ×3, first 2 shown]
	v_add3_u32 v1, v6, v1, v9
	v_add3_u32 v35, v8, v35, v10
	;; [unrolled: 1-line block ×3, first 2 shown]
	s_cbranch_scc1 .LBB249_394
; %bb.395:
	s_bitcmp1_b32 s4, 0
	s_cselect_b64 s[4:5], -1, 0
	s_and_b64 vcc, exec, s[4:5]
	s_cbranch_vccnz .LBB249_399
; %bb.396:
	s_load_dwordx2 s[4:5], s[2:3], 0x1c
	s_load_dword s8, s[2:3], 0x24
	s_load_dwordx2 s[6:7], s[2:3], 0xdc
	s_waitcnt lgkmcnt(0)
	v_mul_hi_u32 v4, s5, v2
	v_add_u32_e32 v4, v2, v4
	v_lshrrev_b32_e32 v4, s8, v4
	v_mul_lo_u32 v4, v4, s4
	s_load_dword s4, s[2:3], 0xe4
	v_sub_u32_e32 v4, v2, v4
	v_mad_u64_u32 v[1:2], s[2:3], v4, s6, v[1:2]
	v_mad_u64_u32 v[35:36], s[2:3], v4, s7, v[35:36]
	s_waitcnt lgkmcnt(0)
	v_mad_u64_u32 v[33:34], s[2:3], v4, s4, v[33:34]
	s_cbranch_execz .LBB249_400
	s_branch .LBB249_402
.LBB249_397:
                                        ; implicit-def: $vgpr1
                                        ; implicit-def: $vgpr35
                                        ; implicit-def: $vgpr33
	s_branch .LBB249_400
.LBB249_398:
	v_mov_b32_e32 v1, 0
	v_mov_b32_e32 v35, 0
	v_mov_b32_e32 v33, 0
.LBB249_399:
	s_cbranch_execnz .LBB249_402
.LBB249_400:
	s_load_dwordx4 s[4:7], s[12:13], 0x4
	s_load_dwordx4 s[8:11], s[12:13], 0xc4
	s_cmp_lt_u32 s33, 2
	s_waitcnt lgkmcnt(0)
	v_mul_hi_u32 v1, s5, v3
	v_add_u32_e32 v1, v3, v1
	v_lshrrev_b32_e32 v2, s6, v1
	v_mul_lo_u32 v1, v2, s4
	v_sub_u32_e32 v3, v3, v1
	v_mul_lo_u32 v1, v3, s8
	v_mul_lo_u32 v35, v3, s9
	;; [unrolled: 1-line block ×3, first 2 shown]
	s_cbranch_scc1 .LBB249_402
; %bb.401:
	s_load_dwordx4 s[4:7], s[12:13], 0x10
	s_load_dwordx4 s[8:11], s[12:13], 0xd0
	s_waitcnt lgkmcnt(0)
	v_mul_hi_u32 v3, s5, v2
	v_add_u32_e32 v3, v2, v3
	v_lshrrev_b32_e32 v3, s6, v3
	v_mul_lo_u32 v3, v3, s4
	v_sub_u32_e32 v3, v2, v3
	v_mad_u64_u32 v[1:2], s[2:3], v3, s8, v[1:2]
	v_mad_u64_u32 v[35:36], s[2:3], v3, s9, v[35:36]
	;; [unrolled: 1-line block ×3, first 2 shown]
.LBB249_402:
	s_and_b64 vcc, exec, s[0:1]
	v_add_u32_e32 v4, 0x100, v7
	s_cbranch_vccnz .LBB249_408
; %bb.403:
	s_cmp_lg_u32 s33, 0
	s_cbranch_scc0 .LBB249_409
; %bb.404:
	s_min_u32 s4, s40, 15
	s_add_i32 s2, s4, 1
	s_and_b32 s5, s2, 30
	s_add_u32 s2, s12, 0xffffffe8
	s_addc_u32 s3, s13, -1
	v_mov_b32_e32 v29, 0
	v_mov_b32_e32 v31, 0
	;; [unrolled: 1-line block ×4, first 2 shown]
.LBB249_405:                            ; =>This Inner Loop Header: Depth=1
	s_load_dwordx4 s[8:11], s[2:3], 0x1c
	s_load_dwordx2 s[6:7], s[2:3], 0x2c
	s_load_dwordx2 s[14:15], s[2:3], 0xec
	s_load_dwordx4 s[16:19], s[2:3], 0xdc
	s_add_u32 s2, s2, 24
	s_waitcnt lgkmcnt(0)
	v_mul_hi_u32 v5, s9, v3
	s_addc_u32 s3, s3, 0
	s_add_i32 s5, s5, -2
	s_cmp_lg_u32 s5, 0
	v_add_u32_e32 v5, v3, v5
	v_lshrrev_b32_e32 v5, s10, v5
	v_mul_lo_u32 v6, v5, s8
	v_mul_hi_u32 v8, s6, v5
	v_sub_u32_e32 v6, v3, v6
	v_add_u32_e32 v3, v5, v8
	v_lshrrev_b32_e32 v3, s7, v3
	v_mul_lo_u32 v10, v3, s11
	v_mul_lo_u32 v8, v6, s16
	;; [unrolled: 1-line block ×4, first 2 shown]
	v_sub_u32_e32 v5, v5, v10
	v_mul_lo_u32 v10, v5, s19
	v_mul_lo_u32 v11, v5, s14
	;; [unrolled: 1-line block ×3, first 2 shown]
	v_add3_u32 v2, v8, v2, v10
	v_add3_u32 v31, v9, v31, v11
	;; [unrolled: 1-line block ×3, first 2 shown]
	s_cbranch_scc1 .LBB249_405
; %bb.406:
	s_bitcmp1_b32 s4, 0
	s_cselect_b64 s[4:5], -1, 0
	s_and_b64 vcc, exec, s[4:5]
	s_cbranch_vccnz .LBB249_410
; %bb.407:
	s_load_dwordx2 s[4:5], s[2:3], 0x1c
	s_load_dword s8, s[2:3], 0x24
	s_load_dwordx2 s[6:7], s[2:3], 0xdc
	s_waitcnt lgkmcnt(0)
	v_mul_hi_u32 v5, s5, v3
	v_add_u32_e32 v5, v3, v5
	v_lshrrev_b32_e32 v5, s8, v5
	v_mul_lo_u32 v5, v5, s4
	s_load_dword s4, s[2:3], 0xe4
	v_sub_u32_e32 v5, v3, v5
	v_mad_u64_u32 v[2:3], s[2:3], v5, s6, v[2:3]
	v_mad_u64_u32 v[31:32], s[2:3], v5, s7, v[31:32]
	s_waitcnt lgkmcnt(0)
	v_mad_u64_u32 v[29:30], s[2:3], v5, s4, v[29:30]
	s_cbranch_execz .LBB249_411
	s_branch .LBB249_413
.LBB249_408:
                                        ; implicit-def: $vgpr2
                                        ; implicit-def: $vgpr31
                                        ; implicit-def: $vgpr29
	s_branch .LBB249_411
.LBB249_409:
	v_mov_b32_e32 v2, 0
	v_mov_b32_e32 v31, 0
	;; [unrolled: 1-line block ×3, first 2 shown]
.LBB249_410:
	s_cbranch_execnz .LBB249_413
.LBB249_411:
	s_load_dwordx4 s[4:7], s[12:13], 0x4
	s_load_dwordx4 s[8:11], s[12:13], 0xc4
	s_cmp_lt_u32 s33, 2
	s_waitcnt lgkmcnt(0)
	v_mul_hi_u32 v2, s5, v4
	v_add_u32_e32 v2, v4, v2
	v_lshrrev_b32_e32 v3, s6, v2
	v_mul_lo_u32 v2, v3, s4
	v_sub_u32_e32 v4, v4, v2
	v_mul_lo_u32 v2, v4, s8
	v_mul_lo_u32 v31, v4, s9
	;; [unrolled: 1-line block ×3, first 2 shown]
	s_cbranch_scc1 .LBB249_413
; %bb.412:
	s_load_dwordx4 s[4:7], s[12:13], 0x10
	s_load_dwordx4 s[8:11], s[12:13], 0xd0
	s_waitcnt lgkmcnt(0)
	v_mul_hi_u32 v4, s5, v3
	v_add_u32_e32 v4, v3, v4
	v_lshrrev_b32_e32 v4, s6, v4
	v_mul_lo_u32 v4, v4, s4
	v_sub_u32_e32 v4, v3, v4
	v_mad_u64_u32 v[2:3], s[2:3], v4, s8, v[2:3]
	v_mad_u64_u32 v[31:32], s[2:3], v4, s9, v[31:32]
	v_mad_u64_u32 v[29:30], s[2:3], v4, s10, v[29:30]
.LBB249_413:
	s_and_b64 vcc, exec, s[0:1]
	v_add_u32_e32 v5, 0x180, v7
	s_cbranch_vccnz .LBB249_419
; %bb.414:
	s_cmp_lg_u32 s33, 0
	s_cbranch_scc0 .LBB249_420
; %bb.415:
	s_min_u32 s4, s40, 15
	s_add_i32 s2, s4, 1
	s_and_b32 s5, s2, 30
	s_add_u32 s2, s12, 0xffffffe8
	s_addc_u32 s3, s13, -1
	v_mov_b32_e32 v25, 0
	v_mov_b32_e32 v27, 0
	;; [unrolled: 1-line block ×4, first 2 shown]
.LBB249_416:                            ; =>This Inner Loop Header: Depth=1
	s_load_dwordx4 s[8:11], s[2:3], 0x1c
	s_load_dwordx2 s[6:7], s[2:3], 0x2c
	s_load_dwordx2 s[14:15], s[2:3], 0xec
	s_load_dwordx4 s[16:19], s[2:3], 0xdc
	s_add_u32 s2, s2, 24
	s_waitcnt lgkmcnt(0)
	v_mul_hi_u32 v6, s9, v4
	s_addc_u32 s3, s3, 0
	s_add_i32 s5, s5, -2
	s_cmp_lg_u32 s5, 0
	v_add_u32_e32 v6, v4, v6
	v_lshrrev_b32_e32 v6, s10, v6
	v_mul_lo_u32 v8, v6, s8
	v_mul_hi_u32 v9, s6, v6
	v_sub_u32_e32 v8, v4, v8
	v_add_u32_e32 v4, v6, v9
	v_lshrrev_b32_e32 v4, s7, v4
	v_mul_lo_u32 v11, v4, s11
	v_mul_lo_u32 v9, v8, s16
	;; [unrolled: 1-line block ×4, first 2 shown]
	v_sub_u32_e32 v6, v6, v11
	v_mul_lo_u32 v11, v6, s19
	v_mul_lo_u32 v12, v6, s14
	;; [unrolled: 1-line block ×3, first 2 shown]
	v_add3_u32 v3, v9, v3, v11
	v_add3_u32 v27, v10, v27, v12
	v_add3_u32 v25, v8, v25, v6
	s_cbranch_scc1 .LBB249_416
; %bb.417:
	s_bitcmp1_b32 s4, 0
	s_cselect_b64 s[4:5], -1, 0
	s_and_b64 vcc, exec, s[4:5]
	s_cbranch_vccnz .LBB249_421
; %bb.418:
	s_load_dwordx2 s[4:5], s[2:3], 0x1c
	s_load_dword s8, s[2:3], 0x24
	s_load_dwordx2 s[6:7], s[2:3], 0xdc
	s_waitcnt lgkmcnt(0)
	v_mul_hi_u32 v6, s5, v4
	v_add_u32_e32 v6, v4, v6
	v_lshrrev_b32_e32 v6, s8, v6
	v_mul_lo_u32 v6, v6, s4
	s_load_dword s4, s[2:3], 0xe4
	v_sub_u32_e32 v6, v4, v6
	v_mad_u64_u32 v[3:4], s[2:3], v6, s6, v[3:4]
	v_mad_u64_u32 v[27:28], s[2:3], v6, s7, v[27:28]
	s_waitcnt lgkmcnt(0)
	v_mad_u64_u32 v[25:26], s[2:3], v6, s4, v[25:26]
	s_cbranch_execz .LBB249_422
	s_branch .LBB249_424
.LBB249_419:
                                        ; implicit-def: $vgpr3
                                        ; implicit-def: $vgpr27
                                        ; implicit-def: $vgpr25
	s_branch .LBB249_422
.LBB249_420:
	v_mov_b32_e32 v3, 0
	v_mov_b32_e32 v27, 0
	;; [unrolled: 1-line block ×3, first 2 shown]
.LBB249_421:
	s_cbranch_execnz .LBB249_424
.LBB249_422:
	s_load_dwordx4 s[4:7], s[12:13], 0x4
	s_load_dwordx4 s[8:11], s[12:13], 0xc4
	s_cmp_lt_u32 s33, 2
	s_waitcnt lgkmcnt(0)
	v_mul_hi_u32 v3, s5, v5
	v_add_u32_e32 v3, v5, v3
	v_lshrrev_b32_e32 v4, s6, v3
	v_mul_lo_u32 v3, v4, s4
	v_sub_u32_e32 v5, v5, v3
	v_mul_lo_u32 v3, v5, s8
	v_mul_lo_u32 v27, v5, s9
	;; [unrolled: 1-line block ×3, first 2 shown]
	s_cbranch_scc1 .LBB249_424
; %bb.423:
	s_load_dwordx4 s[4:7], s[12:13], 0x10
	s_load_dwordx4 s[8:11], s[12:13], 0xd0
	s_waitcnt lgkmcnt(0)
	v_mul_hi_u32 v5, s5, v4
	v_add_u32_e32 v5, v4, v5
	v_lshrrev_b32_e32 v5, s6, v5
	v_mul_lo_u32 v5, v5, s4
	v_sub_u32_e32 v5, v4, v5
	v_mad_u64_u32 v[3:4], s[2:3], v5, s8, v[3:4]
	v_mad_u64_u32 v[27:28], s[2:3], v5, s9, v[27:28]
	;; [unrolled: 1-line block ×3, first 2 shown]
.LBB249_424:
	s_and_b64 vcc, exec, s[0:1]
	v_add_u32_e32 v6, 0x200, v7
	s_cbranch_vccnz .LBB249_430
; %bb.425:
	s_cmp_lg_u32 s33, 0
	s_cbranch_scc0 .LBB249_431
; %bb.426:
	s_min_u32 s4, s40, 15
	s_add_i32 s2, s4, 1
	s_and_b32 s5, s2, 30
	s_add_u32 s2, s12, 0xffffffe8
	s_addc_u32 s3, s13, -1
	v_mov_b32_e32 v21, 0
	v_mov_b32_e32 v23, 0
	;; [unrolled: 1-line block ×4, first 2 shown]
.LBB249_427:                            ; =>This Inner Loop Header: Depth=1
	s_load_dwordx4 s[8:11], s[2:3], 0x1c
	s_load_dwordx2 s[6:7], s[2:3], 0x2c
	s_load_dwordx2 s[14:15], s[2:3], 0xec
	s_load_dwordx4 s[16:19], s[2:3], 0xdc
	s_add_u32 s2, s2, 24
	s_waitcnt lgkmcnt(0)
	v_mul_hi_u32 v8, s9, v5
	s_addc_u32 s3, s3, 0
	s_add_i32 s5, s5, -2
	s_cmp_lg_u32 s5, 0
	v_add_u32_e32 v8, v5, v8
	v_lshrrev_b32_e32 v8, s10, v8
	v_mul_lo_u32 v9, v8, s8
	v_mul_hi_u32 v10, s6, v8
	v_sub_u32_e32 v9, v5, v9
	v_add_u32_e32 v5, v8, v10
	v_lshrrev_b32_e32 v5, s7, v5
	v_mul_lo_u32 v12, v5, s11
	v_mul_lo_u32 v10, v9, s16
	;; [unrolled: 1-line block ×4, first 2 shown]
	v_sub_u32_e32 v8, v8, v12
	v_mul_lo_u32 v12, v8, s19
	v_mul_lo_u32 v13, v8, s14
	;; [unrolled: 1-line block ×3, first 2 shown]
	v_add3_u32 v4, v10, v4, v12
	v_add3_u32 v23, v11, v23, v13
	;; [unrolled: 1-line block ×3, first 2 shown]
	s_cbranch_scc1 .LBB249_427
; %bb.428:
	s_bitcmp1_b32 s4, 0
	s_cselect_b64 s[4:5], -1, 0
	s_and_b64 vcc, exec, s[4:5]
	s_cbranch_vccnz .LBB249_432
; %bb.429:
	s_load_dwordx2 s[4:5], s[2:3], 0x1c
	s_load_dword s8, s[2:3], 0x24
	s_load_dwordx2 s[6:7], s[2:3], 0xdc
	s_waitcnt lgkmcnt(0)
	v_mul_hi_u32 v8, s5, v5
	v_add_u32_e32 v8, v5, v8
	v_lshrrev_b32_e32 v8, s8, v8
	v_mul_lo_u32 v8, v8, s4
	s_load_dword s4, s[2:3], 0xe4
	v_sub_u32_e32 v8, v5, v8
	v_mad_u64_u32 v[4:5], s[2:3], v8, s6, v[4:5]
	v_mad_u64_u32 v[23:24], s[2:3], v8, s7, v[23:24]
	s_waitcnt lgkmcnt(0)
	v_mad_u64_u32 v[21:22], s[2:3], v8, s4, v[21:22]
	s_cbranch_execz .LBB249_433
	s_branch .LBB249_435
.LBB249_430:
                                        ; implicit-def: $vgpr4
                                        ; implicit-def: $vgpr23
                                        ; implicit-def: $vgpr21
	s_branch .LBB249_433
.LBB249_431:
	v_mov_b32_e32 v4, 0
	v_mov_b32_e32 v23, 0
	;; [unrolled: 1-line block ×3, first 2 shown]
.LBB249_432:
	s_cbranch_execnz .LBB249_435
.LBB249_433:
	s_load_dwordx4 s[4:7], s[12:13], 0x4
	s_load_dwordx4 s[8:11], s[12:13], 0xc4
	s_cmp_lt_u32 s33, 2
	s_waitcnt lgkmcnt(0)
	v_mul_hi_u32 v4, s5, v6
	v_add_u32_e32 v4, v6, v4
	v_lshrrev_b32_e32 v5, s6, v4
	v_mul_lo_u32 v4, v5, s4
	v_sub_u32_e32 v6, v6, v4
	v_mul_lo_u32 v4, v6, s8
	v_mul_lo_u32 v23, v6, s9
	;; [unrolled: 1-line block ×3, first 2 shown]
	s_cbranch_scc1 .LBB249_435
; %bb.434:
	s_load_dwordx4 s[4:7], s[12:13], 0x10
	s_load_dwordx4 s[8:11], s[12:13], 0xd0
	s_waitcnt lgkmcnt(0)
	v_mul_hi_u32 v6, s5, v5
	v_add_u32_e32 v6, v5, v6
	v_lshrrev_b32_e32 v6, s6, v6
	v_mul_lo_u32 v6, v6, s4
	v_sub_u32_e32 v6, v5, v6
	v_mad_u64_u32 v[4:5], s[2:3], v6, s8, v[4:5]
	v_mad_u64_u32 v[23:24], s[2:3], v6, s9, v[23:24]
	v_mad_u64_u32 v[21:22], s[2:3], v6, s10, v[21:22]
.LBB249_435:
	s_and_b64 vcc, exec, s[0:1]
	v_add_u32_e32 v8, 0x280, v7
	s_cbranch_vccnz .LBB249_441
; %bb.436:
	s_cmp_lg_u32 s33, 0
	s_cbranch_scc0 .LBB249_442
; %bb.437:
	s_min_u32 s4, s40, 15
	s_add_i32 s2, s4, 1
	s_and_b32 s5, s2, 30
	s_add_u32 s2, s12, 0xffffffe8
	s_addc_u32 s3, s13, -1
	v_mov_b32_e32 v17, 0
	v_mov_b32_e32 v19, 0
	;; [unrolled: 1-line block ×4, first 2 shown]
.LBB249_438:                            ; =>This Inner Loop Header: Depth=1
	s_load_dwordx4 s[8:11], s[2:3], 0x1c
	s_load_dwordx2 s[6:7], s[2:3], 0x2c
	s_load_dwordx2 s[14:15], s[2:3], 0xec
	s_load_dwordx4 s[16:19], s[2:3], 0xdc
	s_add_u32 s2, s2, 24
	s_waitcnt lgkmcnt(0)
	v_mul_hi_u32 v9, s9, v6
	s_addc_u32 s3, s3, 0
	s_add_i32 s5, s5, -2
	s_cmp_lg_u32 s5, 0
	v_add_u32_e32 v9, v6, v9
	v_lshrrev_b32_e32 v9, s10, v9
	v_mul_lo_u32 v10, v9, s8
	v_mul_hi_u32 v11, s6, v9
	v_sub_u32_e32 v10, v6, v10
	v_add_u32_e32 v6, v9, v11
	v_lshrrev_b32_e32 v6, s7, v6
	v_mul_lo_u32 v13, v6, s11
	v_mul_lo_u32 v11, v10, s16
	;; [unrolled: 1-line block ×4, first 2 shown]
	v_sub_u32_e32 v9, v9, v13
	v_mul_lo_u32 v13, v9, s19
	v_mul_lo_u32 v14, v9, s14
	;; [unrolled: 1-line block ×3, first 2 shown]
	v_add3_u32 v5, v11, v5, v13
	v_add3_u32 v19, v12, v19, v14
	v_add3_u32 v17, v10, v17, v9
	s_cbranch_scc1 .LBB249_438
; %bb.439:
	s_bitcmp1_b32 s4, 0
	s_cselect_b64 s[4:5], -1, 0
	s_and_b64 vcc, exec, s[4:5]
	s_cbranch_vccnz .LBB249_443
; %bb.440:
	s_load_dwordx2 s[4:5], s[2:3], 0x1c
	s_load_dword s8, s[2:3], 0x24
	s_load_dwordx2 s[6:7], s[2:3], 0xdc
	s_waitcnt lgkmcnt(0)
	v_mul_hi_u32 v9, s5, v6
	v_add_u32_e32 v9, v6, v9
	v_lshrrev_b32_e32 v9, s8, v9
	v_mul_lo_u32 v9, v9, s4
	s_load_dword s4, s[2:3], 0xe4
	v_sub_u32_e32 v9, v6, v9
	v_mad_u64_u32 v[5:6], s[2:3], v9, s6, v[5:6]
	v_mad_u64_u32 v[19:20], s[2:3], v9, s7, v[19:20]
	s_waitcnt lgkmcnt(0)
	v_mad_u64_u32 v[17:18], s[2:3], v9, s4, v[17:18]
	s_cbranch_execz .LBB249_444
	s_branch .LBB249_446
.LBB249_441:
                                        ; implicit-def: $vgpr5
                                        ; implicit-def: $vgpr19
                                        ; implicit-def: $vgpr17
	s_branch .LBB249_444
.LBB249_442:
	v_mov_b32_e32 v5, 0
	v_mov_b32_e32 v19, 0
	;; [unrolled: 1-line block ×3, first 2 shown]
.LBB249_443:
	s_cbranch_execnz .LBB249_446
.LBB249_444:
	s_load_dwordx4 s[4:7], s[12:13], 0x4
	s_load_dwordx4 s[8:11], s[12:13], 0xc4
	s_cmp_lt_u32 s33, 2
	s_waitcnt lgkmcnt(0)
	v_mul_hi_u32 v5, s5, v8
	v_add_u32_e32 v5, v8, v5
	v_lshrrev_b32_e32 v6, s6, v5
	v_mul_lo_u32 v5, v6, s4
	v_sub_u32_e32 v8, v8, v5
	v_mul_lo_u32 v5, v8, s8
	v_mul_lo_u32 v19, v8, s9
	;; [unrolled: 1-line block ×3, first 2 shown]
	s_cbranch_scc1 .LBB249_446
; %bb.445:
	s_load_dwordx4 s[4:7], s[12:13], 0x10
	s_load_dwordx4 s[8:11], s[12:13], 0xd0
	s_waitcnt lgkmcnt(0)
	v_mul_hi_u32 v8, s5, v6
	v_add_u32_e32 v8, v6, v8
	v_lshrrev_b32_e32 v8, s6, v8
	v_mul_lo_u32 v8, v8, s4
	v_sub_u32_e32 v8, v6, v8
	v_mad_u64_u32 v[5:6], s[2:3], v8, s8, v[5:6]
	v_mad_u64_u32 v[19:20], s[2:3], v8, s9, v[19:20]
	;; [unrolled: 1-line block ×3, first 2 shown]
.LBB249_446:
	s_and_b64 vcc, exec, s[0:1]
	v_add_u32_e32 v8, 0x300, v7
	s_cbranch_vccnz .LBB249_452
; %bb.447:
	s_cmp_lg_u32 s33, 0
	s_cbranch_scc0 .LBB249_453
; %bb.448:
	s_min_u32 s4, s40, 15
	s_add_i32 s2, s4, 1
	s_and_b32 s5, s2, 30
	s_add_u32 s2, s12, 0xffffffe8
	s_addc_u32 s3, s13, -1
	v_mov_b32_e32 v13, 0
	v_mov_b32_e32 v15, 0
	;; [unrolled: 1-line block ×4, first 2 shown]
.LBB249_449:                            ; =>This Inner Loop Header: Depth=1
	s_load_dwordx4 s[8:11], s[2:3], 0x1c
	s_load_dwordx2 s[6:7], s[2:3], 0x2c
	s_load_dwordx2 s[14:15], s[2:3], 0xec
	s_load_dwordx4 s[16:19], s[2:3], 0xdc
	s_add_u32 s2, s2, 24
	s_waitcnt lgkmcnt(0)
	v_mul_hi_u32 v9, s9, v7
	s_addc_u32 s3, s3, 0
	s_add_i32 s5, s5, -2
	s_cmp_lg_u32 s5, 0
	v_add_u32_e32 v9, v7, v9
	v_lshrrev_b32_e32 v9, s10, v9
	v_mul_lo_u32 v10, v9, s8
	v_mul_hi_u32 v11, s6, v9
	v_sub_u32_e32 v10, v7, v10
	v_add_u32_e32 v7, v9, v11
	v_lshrrev_b32_e32 v7, s7, v7
	v_mul_lo_u32 v14, v7, s11
	v_mul_lo_u32 v11, v10, s16
	;; [unrolled: 1-line block ×4, first 2 shown]
	v_sub_u32_e32 v9, v9, v14
	v_mul_lo_u32 v14, v9, s19
	v_mul_lo_u32 v16, v9, s14
	;; [unrolled: 1-line block ×3, first 2 shown]
	v_add3_u32 v6, v11, v6, v14
	v_add3_u32 v15, v12, v15, v16
	;; [unrolled: 1-line block ×3, first 2 shown]
	s_cbranch_scc1 .LBB249_449
; %bb.450:
	s_bitcmp1_b32 s4, 0
	s_cselect_b64 s[4:5], -1, 0
	s_and_b64 vcc, exec, s[4:5]
	s_cbranch_vccnz .LBB249_454
; %bb.451:
	s_load_dwordx2 s[4:5], s[2:3], 0x1c
	s_load_dword s8, s[2:3], 0x24
	s_load_dwordx2 s[6:7], s[2:3], 0xdc
	s_waitcnt lgkmcnt(0)
	v_mul_hi_u32 v9, s5, v7
	v_add_u32_e32 v9, v7, v9
	v_lshrrev_b32_e32 v9, s8, v9
	v_mul_lo_u32 v9, v9, s4
	s_load_dword s4, s[2:3], 0xe4
	v_sub_u32_e32 v9, v7, v9
	v_mad_u64_u32 v[6:7], s[2:3], v9, s6, v[6:7]
	v_mad_u64_u32 v[15:16], s[2:3], v9, s7, v[15:16]
	s_waitcnt lgkmcnt(0)
	v_mad_u64_u32 v[13:14], s[2:3], v9, s4, v[13:14]
	s_cbranch_execz .LBB249_455
	s_branch .LBB249_457
.LBB249_452:
                                        ; implicit-def: $vgpr6
                                        ; implicit-def: $vgpr15
                                        ; implicit-def: $vgpr13
	s_branch .LBB249_455
.LBB249_453:
	v_mov_b32_e32 v6, 0
	v_mov_b32_e32 v15, 0
	;; [unrolled: 1-line block ×3, first 2 shown]
.LBB249_454:
	s_cbranch_execnz .LBB249_457
.LBB249_455:
	s_load_dwordx4 s[4:7], s[12:13], 0x4
	s_load_dwordx4 s[8:11], s[12:13], 0xc4
	s_cmp_lt_u32 s33, 2
	s_waitcnt lgkmcnt(0)
	v_mul_hi_u32 v6, s5, v8
	v_add_u32_e32 v6, v8, v6
	v_lshrrev_b32_e32 v7, s6, v6
	v_mul_lo_u32 v6, v7, s4
	v_sub_u32_e32 v8, v8, v6
	v_mul_lo_u32 v6, v8, s8
	v_mul_lo_u32 v15, v8, s9
	;; [unrolled: 1-line block ×3, first 2 shown]
	s_cbranch_scc1 .LBB249_457
; %bb.456:
	s_load_dwordx4 s[4:7], s[12:13], 0x10
	s_load_dwordx4 s[8:11], s[12:13], 0xd0
	s_waitcnt lgkmcnt(0)
	v_mul_hi_u32 v8, s5, v7
	v_add_u32_e32 v8, v7, v8
	v_lshrrev_b32_e32 v8, s6, v8
	v_mul_lo_u32 v8, v8, s4
	v_sub_u32_e32 v8, v7, v8
	v_mad_u64_u32 v[6:7], s[2:3], v8, s8, v[6:7]
	v_mad_u64_u32 v[15:16], s[2:3], v8, s9, v[15:16]
	;; [unrolled: 1-line block ×3, first 2 shown]
.LBB249_457:
	s_and_b64 vcc, exec, s[0:1]
	s_cbranch_vccnz .LBB249_463
; %bb.458:
	s_cmp_lg_u32 s33, 0
	s_cbranch_scc0 .LBB249_464
; %bb.459:
	s_min_u32 s2, s40, 15
	s_add_i32 s0, s2, 1
	s_and_b32 s3, s0, 30
	s_add_u32 s0, s12, 0xffffffe8
	s_addc_u32 s1, s13, -1
	v_mov_b32_e32 v11, 0
	v_mov_b32_e32 v9, 0
	;; [unrolled: 1-line block ×4, first 2 shown]
.LBB249_460:                            ; =>This Inner Loop Header: Depth=1
	s_load_dwordx4 s[4:7], s[0:1], 0x1c
	s_load_dwordx2 s[14:15], s[0:1], 0x2c
	s_load_dwordx2 s[16:17], s[0:1], 0xec
	s_load_dwordx4 s[8:11], s[0:1], 0xdc
	s_add_u32 s0, s0, 24
	s_waitcnt lgkmcnt(0)
	v_mul_hi_u32 v10, s5, v8
	s_addc_u32 s1, s1, 0
	s_add_i32 s3, s3, -2
	s_cmp_lg_u32 s3, 0
	v_add_u32_e32 v10, v8, v10
	v_lshrrev_b32_e32 v10, s6, v10
	v_mul_lo_u32 v12, v10, s4
	v_mul_hi_u32 v14, s14, v10
	v_sub_u32_e32 v12, v8, v12
	v_add_u32_e32 v8, v10, v14
	v_lshrrev_b32_e32 v8, s15, v8
	v_mul_lo_u32 v18, v8, s7
	v_mul_lo_u32 v14, v12, s8
	;; [unrolled: 1-line block ×4, first 2 shown]
	v_sub_u32_e32 v10, v10, v18
	v_mul_lo_u32 v18, v10, s11
	v_mul_lo_u32 v20, v10, s16
	v_mul_lo_u32 v10, v10, s17
	v_add3_u32 v7, v14, v7, v18
	v_add3_u32 v9, v16, v9, v20
	;; [unrolled: 1-line block ×3, first 2 shown]
	s_cbranch_scc1 .LBB249_460
; %bb.461:
	s_bitcmp1_b32 s2, 0
	s_cselect_b64 s[2:3], -1, 0
	s_and_b64 vcc, exec, s[2:3]
	s_cbranch_vccnz .LBB249_465
; %bb.462:
	s_load_dwordx2 s[2:3], s[0:1], 0x1c
	s_load_dword s6, s[0:1], 0x24
	s_load_dwordx2 s[4:5], s[0:1], 0xdc
	s_waitcnt lgkmcnt(0)
	v_mul_hi_u32 v10, s3, v8
	v_add_u32_e32 v10, v8, v10
	v_lshrrev_b32_e32 v10, s6, v10
	v_mul_lo_u32 v10, v10, s2
	s_load_dword s2, s[0:1], 0xe4
	v_sub_u32_e32 v12, v8, v10
	v_mad_u64_u32 v[7:8], s[0:1], v12, s4, v[7:8]
	v_mad_u64_u32 v[9:10], s[0:1], v12, s5, v[9:10]
	s_waitcnt lgkmcnt(0)
	v_mad_u64_u32 v[11:12], s[0:1], v12, s2, v[11:12]
	s_cbranch_execz .LBB249_466
	s_branch .LBB249_468
.LBB249_463:
                                        ; implicit-def: $vgpr7
                                        ; implicit-def: $vgpr9
                                        ; implicit-def: $vgpr11
	s_branch .LBB249_466
.LBB249_464:
	v_mov_b32_e32 v7, 0
	v_mov_b32_e32 v9, 0
	;; [unrolled: 1-line block ×3, first 2 shown]
.LBB249_465:
	s_cbranch_execnz .LBB249_468
.LBB249_466:
	s_load_dwordx4 s[0:3], s[12:13], 0x4
	s_load_dwordx4 s[4:7], s[12:13], 0xc4
	s_cmp_lt_u32 s33, 2
	s_waitcnt lgkmcnt(0)
	v_mul_hi_u32 v7, s1, v41
	v_add_u32_e32 v7, v41, v7
	v_lshrrev_b32_e32 v8, s2, v7
	v_mul_lo_u32 v7, v8, s0
	v_sub_u32_e32 v10, v41, v7
	v_mul_lo_u32 v7, v10, s4
	v_mul_lo_u32 v9, v10, s5
	;; [unrolled: 1-line block ×3, first 2 shown]
	s_cbranch_scc1 .LBB249_468
; %bb.467:
	s_load_dwordx4 s[0:3], s[12:13], 0x10
	s_load_dwordx4 s[4:7], s[12:13], 0xd0
	s_waitcnt lgkmcnt(0)
	v_mul_hi_u32 v10, s1, v8
	v_add_u32_e32 v10, v8, v10
	v_lshrrev_b32_e32 v10, s2, v10
	v_mul_lo_u32 v10, v10, s0
	v_sub_u32_e32 v12, v8, v10
	v_mad_u64_u32 v[7:8], s[0:1], v12, s4, v[7:8]
	v_mad_u64_u32 v[9:10], s[0:1], v12, s5, v[9:10]
	;; [unrolled: 1-line block ×3, first 2 shown]
.LBB249_468:
	s_load_dwordx4 s[0:3], s[12:13], 0x188
	s_load_dwordx2 s[6:7], s[12:13], 0x198
	s_load_dword s4, s[12:13], 0x1a0
	s_waitcnt lgkmcnt(0)
	global_load_ubyte v10, v39, s[2:3]
	global_load_ubyte v8, v37, s[6:7]
	s_cmp_lg_u32 s4, 0
	s_cselect_b64 s[8:9], -1, 0
	s_and_b64 vcc, exec, s[8:9]
	s_cbranch_vccz .LBB249_548
; %bb.469:
	s_movk_i32 s4, 0x7f
	s_waitcnt vmcnt(1)
	v_cmp_gt_i16_sdwa s[10:11], v10, s4 src0_sel:BYTE_0 src1_sel:DWORD
	s_mov_b64 s[4:5], 0
	s_and_saveexec_b64 s[12:13], s[10:11]
	s_xor_b64 s[10:11], exec, s[12:13]
	s_cbranch_execnz .LBB249_629
; %bb.470:
	s_or_saveexec_b64 s[10:11], s[10:11]
	v_mov_b32_e32 v12, 0x7f800001
	s_xor_b64 exec, exec, s[10:11]
	s_cbranch_execnz .LBB249_632
.LBB249_471:
	s_or_b64 exec, exec, s[10:11]
	s_and_saveexec_b64 s[10:11], s[4:5]
	s_cbranch_execz .LBB249_473
.LBB249_472:
	v_and_b32_e32 v16, 3, v10
	v_ffbh_u32_e32 v18, v16
	v_min_u32_e32 v18, 32, v18
	v_lshrrev_b16_e32 v14, 2, v10
	v_subrev_u32_e32 v20, 29, v18
	v_and_b32_e32 v14, 31, v14
	v_lshlrev_b32_e32 v20, v20, v10
	v_sub_u32_e32 v18, 30, v18
	v_and_b32_e32 v20, 3, v20
	v_cmp_eq_u32_e32 vcc, 0, v14
	v_lshlrev_b32_e32 v12, 24, v10
	v_cndmask_b32_e32 v14, v14, v18, vcc
	v_cndmask_b32_e32 v16, v16, v20, vcc
	v_mov_b32_e32 v18, 0x37800000
	v_lshlrev_b32_e32 v16, 21, v16
	v_and_b32_e32 v12, 0x80000000, v12
	v_lshl_add_u32 v14, v14, 23, v18
	v_or3_b32 v12, v12, v14, v16
.LBB249_473:
	s_or_b64 exec, exec, s[10:11]
	s_movk_i32 s4, 0x7f
	s_waitcnt vmcnt(0)
	v_cmp_gt_i16_sdwa s[10:11], v8, s4 src0_sel:BYTE_0 src1_sel:DWORD
	s_mov_b64 s[4:5], 0
	s_and_saveexec_b64 s[12:13], s[10:11]
	s_xor_b64 s[10:11], exec, s[12:13]
	s_cbranch_execnz .LBB249_633
; %bb.474:
	s_or_saveexec_b64 s[10:11], s[10:11]
	v_mov_b32_e32 v14, 0x7f800001
	s_xor_b64 exec, exec, s[10:11]
	s_cbranch_execnz .LBB249_636
.LBB249_475:
	s_or_b64 exec, exec, s[10:11]
	s_and_saveexec_b64 s[10:11], s[4:5]
	s_cbranch_execz .LBB249_477
.LBB249_476:
	v_and_b32_e32 v18, 3, v8
	v_ffbh_u32_e32 v20, v18
	v_min_u32_e32 v20, 32, v20
	v_lshrrev_b16_e32 v16, 2, v8
	v_subrev_u32_e32 v22, 29, v20
	v_and_b32_e32 v16, 31, v16
	v_lshlrev_b32_e32 v22, v22, v8
	v_sub_u32_e32 v20, 30, v20
	v_and_b32_e32 v22, 3, v22
	v_cmp_eq_u32_e32 vcc, 0, v16
	v_lshlrev_b32_e32 v14, 24, v8
	v_cndmask_b32_e32 v16, v16, v20, vcc
	v_cndmask_b32_e32 v18, v18, v22, vcc
	v_mov_b32_e32 v20, 0x37800000
	v_lshlrev_b32_e32 v18, 21, v18
	v_and_b32_e32 v14, 0x80000000, v14
	v_lshl_add_u32 v16, v16, 23, v20
	v_or3_b32 v14, v14, v16, v18
.LBB249_477:
	s_or_b64 exec, exec, s[10:11]
	v_cmp_neq_f32_e64 s[4:5], v12, v14
.LBB249_478:
	global_load_ubyte v10, v35, s[2:3]
	global_load_ubyte v8, v33, s[6:7]
	s_and_b64 vcc, exec, s[8:9]
	s_cbranch_vccz .LBB249_558
.LBB249_479:
	s_movk_i32 s10, 0x7f
	s_waitcnt vmcnt(1)
	v_cmp_gt_i16_sdwa s[12:13], v10, s10 src0_sel:BYTE_0 src1_sel:DWORD
	s_mov_b64 s[10:11], 0
	s_and_saveexec_b64 s[14:15], s[12:13]
	s_xor_b64 s[12:13], exec, s[14:15]
	s_cbranch_execnz .LBB249_637
; %bb.480:
	s_or_saveexec_b64 s[12:13], s[12:13]
	v_mov_b32_e32 v12, 0x7f800001
	s_xor_b64 exec, exec, s[12:13]
	s_cbranch_execnz .LBB249_640
.LBB249_481:
	s_or_b64 exec, exec, s[12:13]
	s_and_saveexec_b64 s[12:13], s[10:11]
	s_cbranch_execz .LBB249_483
.LBB249_482:
	v_and_b32_e32 v16, 3, v10
	v_ffbh_u32_e32 v18, v16
	v_min_u32_e32 v18, 32, v18
	v_lshrrev_b16_e32 v14, 2, v10
	v_subrev_u32_e32 v20, 29, v18
	v_and_b32_e32 v14, 31, v14
	v_lshlrev_b32_e32 v20, v20, v10
	v_sub_u32_e32 v18, 30, v18
	v_and_b32_e32 v20, 3, v20
	v_cmp_eq_u32_e32 vcc, 0, v14
	v_lshlrev_b32_e32 v12, 24, v10
	v_cndmask_b32_e32 v14, v14, v18, vcc
	v_cndmask_b32_e32 v16, v16, v20, vcc
	v_mov_b32_e32 v18, 0x37800000
	v_lshlrev_b32_e32 v16, 21, v16
	v_and_b32_e32 v12, 0x80000000, v12
	v_lshl_add_u32 v14, v14, 23, v18
	v_or3_b32 v12, v12, v14, v16
.LBB249_483:
	s_or_b64 exec, exec, s[12:13]
	s_movk_i32 s10, 0x7f
	s_waitcnt vmcnt(0)
	v_cmp_gt_i16_sdwa s[12:13], v8, s10 src0_sel:BYTE_0 src1_sel:DWORD
	s_mov_b64 s[10:11], 0
	s_and_saveexec_b64 s[14:15], s[12:13]
	s_xor_b64 s[12:13], exec, s[14:15]
	s_cbranch_execnz .LBB249_641
; %bb.484:
	s_or_saveexec_b64 s[12:13], s[12:13]
	v_mov_b32_e32 v14, 0x7f800001
	s_xor_b64 exec, exec, s[12:13]
	s_cbranch_execnz .LBB249_644
.LBB249_485:
	s_or_b64 exec, exec, s[12:13]
	s_and_saveexec_b64 s[12:13], s[10:11]
	s_cbranch_execz .LBB249_487
.LBB249_486:
	v_and_b32_e32 v18, 3, v8
	v_ffbh_u32_e32 v20, v18
	v_min_u32_e32 v20, 32, v20
	v_lshrrev_b16_e32 v16, 2, v8
	v_subrev_u32_e32 v22, 29, v20
	v_and_b32_e32 v16, 31, v16
	v_lshlrev_b32_e32 v22, v22, v8
	v_sub_u32_e32 v20, 30, v20
	v_and_b32_e32 v22, 3, v22
	v_cmp_eq_u32_e32 vcc, 0, v16
	v_lshlrev_b32_e32 v14, 24, v8
	v_cndmask_b32_e32 v16, v16, v20, vcc
	v_cndmask_b32_e32 v18, v18, v22, vcc
	v_mov_b32_e32 v20, 0x37800000
	v_lshlrev_b32_e32 v18, 21, v18
	v_and_b32_e32 v14, 0x80000000, v14
	v_lshl_add_u32 v16, v16, 23, v20
	v_or3_b32 v14, v14, v16, v18
.LBB249_487:
	s_or_b64 exec, exec, s[12:13]
	v_cmp_neq_f32_e64 s[10:11], v12, v14
.LBB249_488:
	global_load_ubyte v10, v31, s[2:3]
	global_load_ubyte v8, v29, s[6:7]
	s_and_b64 vcc, exec, s[8:9]
	s_cbranch_vccz .LBB249_568
.LBB249_489:
	s_movk_i32 s12, 0x7f
	s_waitcnt vmcnt(1)
	v_cmp_gt_i16_sdwa s[14:15], v10, s12 src0_sel:BYTE_0 src1_sel:DWORD
	s_mov_b64 s[12:13], 0
	s_and_saveexec_b64 s[16:17], s[14:15]
	s_xor_b64 s[14:15], exec, s[16:17]
	s_cbranch_execnz .LBB249_645
; %bb.490:
	s_or_saveexec_b64 s[14:15], s[14:15]
	v_mov_b32_e32 v12, 0x7f800001
	s_xor_b64 exec, exec, s[14:15]
	s_cbranch_execnz .LBB249_648
.LBB249_491:
	s_or_b64 exec, exec, s[14:15]
	s_and_saveexec_b64 s[14:15], s[12:13]
	s_cbranch_execz .LBB249_493
.LBB249_492:
	v_and_b32_e32 v16, 3, v10
	v_ffbh_u32_e32 v18, v16
	v_min_u32_e32 v18, 32, v18
	v_lshrrev_b16_e32 v14, 2, v10
	v_subrev_u32_e32 v20, 29, v18
	v_and_b32_e32 v14, 31, v14
	v_lshlrev_b32_e32 v20, v20, v10
	v_sub_u32_e32 v18, 30, v18
	v_and_b32_e32 v20, 3, v20
	v_cmp_eq_u32_e32 vcc, 0, v14
	v_lshlrev_b32_e32 v12, 24, v10
	v_cndmask_b32_e32 v14, v14, v18, vcc
	v_cndmask_b32_e32 v16, v16, v20, vcc
	v_mov_b32_e32 v18, 0x37800000
	v_lshlrev_b32_e32 v16, 21, v16
	v_and_b32_e32 v12, 0x80000000, v12
	v_lshl_add_u32 v14, v14, 23, v18
	v_or3_b32 v12, v12, v14, v16
.LBB249_493:
	s_or_b64 exec, exec, s[14:15]
	s_movk_i32 s12, 0x7f
	s_waitcnt vmcnt(0)
	v_cmp_gt_i16_sdwa s[14:15], v8, s12 src0_sel:BYTE_0 src1_sel:DWORD
	s_mov_b64 s[12:13], 0
	s_and_saveexec_b64 s[16:17], s[14:15]
	s_xor_b64 s[14:15], exec, s[16:17]
	s_cbranch_execnz .LBB249_649
; %bb.494:
	s_or_saveexec_b64 s[14:15], s[14:15]
	v_mov_b32_e32 v14, 0x7f800001
	s_xor_b64 exec, exec, s[14:15]
	s_cbranch_execnz .LBB249_652
.LBB249_495:
	s_or_b64 exec, exec, s[14:15]
	s_and_saveexec_b64 s[14:15], s[12:13]
	s_cbranch_execz .LBB249_497
.LBB249_496:
	v_and_b32_e32 v18, 3, v8
	v_ffbh_u32_e32 v20, v18
	v_min_u32_e32 v20, 32, v20
	v_lshrrev_b16_e32 v16, 2, v8
	v_subrev_u32_e32 v22, 29, v20
	v_and_b32_e32 v16, 31, v16
	v_lshlrev_b32_e32 v22, v22, v8
	v_sub_u32_e32 v20, 30, v20
	v_and_b32_e32 v22, 3, v22
	v_cmp_eq_u32_e32 vcc, 0, v16
	v_lshlrev_b32_e32 v14, 24, v8
	v_cndmask_b32_e32 v16, v16, v20, vcc
	v_cndmask_b32_e32 v18, v18, v22, vcc
	v_mov_b32_e32 v20, 0x37800000
	v_lshlrev_b32_e32 v18, 21, v18
	v_and_b32_e32 v14, 0x80000000, v14
	v_lshl_add_u32 v16, v16, 23, v20
	v_or3_b32 v14, v14, v16, v18
.LBB249_497:
	s_or_b64 exec, exec, s[14:15]
	v_cmp_neq_f32_e64 s[12:13], v12, v14
.LBB249_498:
	global_load_ubyte v10, v27, s[2:3]
	global_load_ubyte v8, v25, s[6:7]
	s_and_b64 vcc, exec, s[8:9]
	s_cbranch_vccz .LBB249_578
.LBB249_499:
	s_movk_i32 s14, 0x7f
	s_waitcnt vmcnt(1)
	v_cmp_gt_i16_sdwa s[16:17], v10, s14 src0_sel:BYTE_0 src1_sel:DWORD
	s_mov_b64 s[14:15], 0
	s_and_saveexec_b64 s[18:19], s[16:17]
	s_xor_b64 s[16:17], exec, s[18:19]
	s_cbranch_execnz .LBB249_653
; %bb.500:
	s_or_saveexec_b64 s[16:17], s[16:17]
	v_mov_b32_e32 v12, 0x7f800001
	s_xor_b64 exec, exec, s[16:17]
	s_cbranch_execnz .LBB249_656
.LBB249_501:
	s_or_b64 exec, exec, s[16:17]
	s_and_saveexec_b64 s[16:17], s[14:15]
	s_cbranch_execz .LBB249_503
.LBB249_502:
	v_and_b32_e32 v16, 3, v10
	v_ffbh_u32_e32 v18, v16
	v_min_u32_e32 v18, 32, v18
	v_lshrrev_b16_e32 v14, 2, v10
	v_subrev_u32_e32 v20, 29, v18
	v_and_b32_e32 v14, 31, v14
	v_lshlrev_b32_e32 v20, v20, v10
	v_sub_u32_e32 v18, 30, v18
	v_and_b32_e32 v20, 3, v20
	v_cmp_eq_u32_e32 vcc, 0, v14
	v_lshlrev_b32_e32 v12, 24, v10
	v_cndmask_b32_e32 v14, v14, v18, vcc
	v_cndmask_b32_e32 v16, v16, v20, vcc
	v_mov_b32_e32 v18, 0x37800000
	v_lshlrev_b32_e32 v16, 21, v16
	v_and_b32_e32 v12, 0x80000000, v12
	v_lshl_add_u32 v14, v14, 23, v18
	v_or3_b32 v12, v12, v14, v16
.LBB249_503:
	s_or_b64 exec, exec, s[16:17]
	s_movk_i32 s14, 0x7f
	s_waitcnt vmcnt(0)
	v_cmp_gt_i16_sdwa s[16:17], v8, s14 src0_sel:BYTE_0 src1_sel:DWORD
	s_mov_b64 s[14:15], 0
	s_and_saveexec_b64 s[18:19], s[16:17]
	s_xor_b64 s[16:17], exec, s[18:19]
	s_cbranch_execnz .LBB249_657
; %bb.504:
	s_or_saveexec_b64 s[16:17], s[16:17]
	v_mov_b32_e32 v14, 0x7f800001
	s_xor_b64 exec, exec, s[16:17]
	s_cbranch_execnz .LBB249_660
.LBB249_505:
	s_or_b64 exec, exec, s[16:17]
	s_and_saveexec_b64 s[16:17], s[14:15]
	s_cbranch_execz .LBB249_507
.LBB249_506:
	v_and_b32_e32 v18, 3, v8
	v_ffbh_u32_e32 v20, v18
	v_min_u32_e32 v20, 32, v20
	v_lshrrev_b16_e32 v16, 2, v8
	v_subrev_u32_e32 v22, 29, v20
	v_and_b32_e32 v16, 31, v16
	v_lshlrev_b32_e32 v22, v22, v8
	v_sub_u32_e32 v20, 30, v20
	v_and_b32_e32 v22, 3, v22
	v_cmp_eq_u32_e32 vcc, 0, v16
	v_lshlrev_b32_e32 v14, 24, v8
	v_cndmask_b32_e32 v16, v16, v20, vcc
	v_cndmask_b32_e32 v18, v18, v22, vcc
	v_mov_b32_e32 v20, 0x37800000
	v_lshlrev_b32_e32 v18, 21, v18
	v_and_b32_e32 v14, 0x80000000, v14
	v_lshl_add_u32 v16, v16, 23, v20
	v_or3_b32 v14, v14, v16, v18
.LBB249_507:
	s_or_b64 exec, exec, s[16:17]
	v_cmp_neq_f32_e64 s[14:15], v12, v14
.LBB249_508:
	global_load_ubyte v10, v23, s[2:3]
	global_load_ubyte v8, v21, s[6:7]
	s_and_b64 vcc, exec, s[8:9]
	s_cbranch_vccz .LBB249_588
.LBB249_509:
	s_movk_i32 s16, 0x7f
	s_waitcnt vmcnt(1)
	v_cmp_gt_i16_sdwa s[18:19], v10, s16 src0_sel:BYTE_0 src1_sel:DWORD
	s_mov_b64 s[16:17], 0
	s_and_saveexec_b64 s[20:21], s[18:19]
	s_xor_b64 s[18:19], exec, s[20:21]
	s_cbranch_execnz .LBB249_661
; %bb.510:
	s_or_saveexec_b64 s[18:19], s[18:19]
	v_mov_b32_e32 v12, 0x7f800001
	s_xor_b64 exec, exec, s[18:19]
	s_cbranch_execnz .LBB249_664
.LBB249_511:
	s_or_b64 exec, exec, s[18:19]
	s_and_saveexec_b64 s[18:19], s[16:17]
	s_cbranch_execz .LBB249_513
.LBB249_512:
	v_and_b32_e32 v16, 3, v10
	v_ffbh_u32_e32 v18, v16
	v_min_u32_e32 v18, 32, v18
	v_lshrrev_b16_e32 v14, 2, v10
	v_subrev_u32_e32 v20, 29, v18
	v_and_b32_e32 v14, 31, v14
	v_lshlrev_b32_e32 v20, v20, v10
	v_sub_u32_e32 v18, 30, v18
	v_and_b32_e32 v20, 3, v20
	v_cmp_eq_u32_e32 vcc, 0, v14
	v_lshlrev_b32_e32 v12, 24, v10
	v_cndmask_b32_e32 v14, v14, v18, vcc
	v_cndmask_b32_e32 v16, v16, v20, vcc
	v_mov_b32_e32 v18, 0x37800000
	v_lshlrev_b32_e32 v16, 21, v16
	v_and_b32_e32 v12, 0x80000000, v12
	v_lshl_add_u32 v14, v14, 23, v18
	v_or3_b32 v12, v12, v14, v16
.LBB249_513:
	s_or_b64 exec, exec, s[18:19]
	s_movk_i32 s16, 0x7f
	s_waitcnt vmcnt(0)
	v_cmp_gt_i16_sdwa s[18:19], v8, s16 src0_sel:BYTE_0 src1_sel:DWORD
	s_mov_b64 s[16:17], 0
	s_and_saveexec_b64 s[20:21], s[18:19]
	s_xor_b64 s[18:19], exec, s[20:21]
	s_cbranch_execnz .LBB249_665
; %bb.514:
	s_or_saveexec_b64 s[18:19], s[18:19]
	v_mov_b32_e32 v14, 0x7f800001
	s_xor_b64 exec, exec, s[18:19]
	s_cbranch_execnz .LBB249_668
.LBB249_515:
	s_or_b64 exec, exec, s[18:19]
	s_and_saveexec_b64 s[18:19], s[16:17]
	s_cbranch_execz .LBB249_517
.LBB249_516:
	v_and_b32_e32 v18, 3, v8
	v_ffbh_u32_e32 v20, v18
	v_min_u32_e32 v20, 32, v20
	v_lshrrev_b16_e32 v16, 2, v8
	v_subrev_u32_e32 v21, 29, v20
	v_and_b32_e32 v16, 31, v16
	v_lshlrev_b32_e32 v21, v21, v8
	v_sub_u32_e32 v20, 30, v20
	v_and_b32_e32 v21, 3, v21
	v_cmp_eq_u32_e32 vcc, 0, v16
	v_lshlrev_b32_e32 v14, 24, v8
	v_cndmask_b32_e32 v16, v16, v20, vcc
	v_cndmask_b32_e32 v18, v18, v21, vcc
	v_mov_b32_e32 v20, 0x37800000
	v_lshlrev_b32_e32 v18, 21, v18
	v_and_b32_e32 v14, 0x80000000, v14
	v_lshl_add_u32 v16, v16, 23, v20
	v_or3_b32 v14, v14, v16, v18
.LBB249_517:
	s_or_b64 exec, exec, s[18:19]
	v_cmp_neq_f32_e64 s[16:17], v12, v14
.LBB249_518:
	global_load_ubyte v10, v19, s[2:3]
	global_load_ubyte v8, v17, s[6:7]
	s_and_b64 vcc, exec, s[8:9]
	s_cbranch_vccz .LBB249_598
.LBB249_519:
	s_movk_i32 s18, 0x7f
	s_waitcnt vmcnt(1)
	v_cmp_gt_i16_sdwa s[20:21], v10, s18 src0_sel:BYTE_0 src1_sel:DWORD
	s_mov_b64 s[18:19], 0
	s_and_saveexec_b64 s[22:23], s[20:21]
	s_xor_b64 s[20:21], exec, s[22:23]
	s_cbranch_execnz .LBB249_669
; %bb.520:
	s_or_saveexec_b64 s[20:21], s[20:21]
	v_mov_b32_e32 v12, 0x7f800001
	s_xor_b64 exec, exec, s[20:21]
	s_cbranch_execnz .LBB249_672
.LBB249_521:
	s_or_b64 exec, exec, s[20:21]
	s_and_saveexec_b64 s[20:21], s[18:19]
	s_cbranch_execz .LBB249_523
.LBB249_522:
	v_and_b32_e32 v16, 3, v10
	v_ffbh_u32_e32 v17, v16
	v_min_u32_e32 v17, 32, v17
	v_lshrrev_b16_e32 v14, 2, v10
	v_subrev_u32_e32 v18, 29, v17
	v_and_b32_e32 v14, 31, v14
	v_lshlrev_b32_e32 v18, v18, v10
	v_sub_u32_e32 v17, 30, v17
	v_and_b32_e32 v18, 3, v18
	v_cmp_eq_u32_e32 vcc, 0, v14
	v_lshlrev_b32_e32 v12, 24, v10
	v_cndmask_b32_e32 v14, v14, v17, vcc
	v_cndmask_b32_e32 v16, v16, v18, vcc
	v_mov_b32_e32 v17, 0x37800000
	v_lshlrev_b32_e32 v16, 21, v16
	v_and_b32_e32 v12, 0x80000000, v12
	v_lshl_add_u32 v14, v14, 23, v17
	v_or3_b32 v12, v12, v14, v16
.LBB249_523:
	s_or_b64 exec, exec, s[20:21]
	s_movk_i32 s18, 0x7f
	s_waitcnt vmcnt(0)
	v_cmp_gt_i16_sdwa s[20:21], v8, s18 src0_sel:BYTE_0 src1_sel:DWORD
	s_mov_b64 s[18:19], 0
	s_and_saveexec_b64 s[22:23], s[20:21]
	s_xor_b64 s[20:21], exec, s[22:23]
	s_cbranch_execnz .LBB249_673
; %bb.524:
	s_or_saveexec_b64 s[20:21], s[20:21]
	v_mov_b32_e32 v14, 0x7f800001
	s_xor_b64 exec, exec, s[20:21]
	s_cbranch_execnz .LBB249_676
.LBB249_525:
	s_or_b64 exec, exec, s[20:21]
	s_and_saveexec_b64 s[20:21], s[18:19]
	s_cbranch_execz .LBB249_527
.LBB249_526:
	v_and_b32_e32 v17, 3, v8
	v_ffbh_u32_e32 v18, v17
	v_min_u32_e32 v18, 32, v18
	v_lshrrev_b16_e32 v16, 2, v8
	v_subrev_u32_e32 v19, 29, v18
	v_and_b32_e32 v16, 31, v16
	v_lshlrev_b32_e32 v19, v19, v8
	v_sub_u32_e32 v18, 30, v18
	v_and_b32_e32 v19, 3, v19
	v_cmp_eq_u32_e32 vcc, 0, v16
	v_lshlrev_b32_e32 v14, 24, v8
	v_cndmask_b32_e32 v16, v16, v18, vcc
	v_cndmask_b32_e32 v17, v17, v19, vcc
	v_mov_b32_e32 v18, 0x37800000
	v_lshlrev_b32_e32 v17, 21, v17
	v_and_b32_e32 v14, 0x80000000, v14
	v_lshl_add_u32 v16, v16, 23, v18
	v_or3_b32 v14, v14, v16, v17
.LBB249_527:
	s_or_b64 exec, exec, s[20:21]
	v_cmp_neq_f32_e64 s[18:19], v12, v14
.LBB249_528:
	global_load_ubyte v10, v15, s[2:3]
	global_load_ubyte v8, v13, s[6:7]
	s_and_b64 vcc, exec, s[8:9]
	s_cbranch_vccz .LBB249_608
.LBB249_529:
	s_movk_i32 s20, 0x7f
	s_waitcnt vmcnt(1)
	v_cmp_gt_i16_sdwa s[22:23], v10, s20 src0_sel:BYTE_0 src1_sel:DWORD
	s_mov_b64 s[20:21], 0
	s_and_saveexec_b64 s[24:25], s[22:23]
	s_xor_b64 s[22:23], exec, s[24:25]
	s_cbranch_execnz .LBB249_677
; %bb.530:
	s_or_saveexec_b64 s[22:23], s[22:23]
	v_mov_b32_e32 v12, 0x7f800001
	s_xor_b64 exec, exec, s[22:23]
	s_cbranch_execnz .LBB249_680
.LBB249_531:
	s_or_b64 exec, exec, s[22:23]
	s_and_saveexec_b64 s[22:23], s[20:21]
	s_cbranch_execz .LBB249_533
.LBB249_532:
	v_and_b32_e32 v14, 3, v10
	v_ffbh_u32_e32 v15, v14
	v_min_u32_e32 v15, 32, v15
	v_lshrrev_b16_e32 v13, 2, v10
	v_subrev_u32_e32 v16, 29, v15
	v_and_b32_e32 v13, 31, v13
	v_lshlrev_b32_e32 v16, v16, v10
	v_sub_u32_e32 v15, 30, v15
	v_and_b32_e32 v16, 3, v16
	v_cmp_eq_u32_e32 vcc, 0, v13
	v_lshlrev_b32_e32 v12, 24, v10
	v_cndmask_b32_e32 v13, v13, v15, vcc
	v_cndmask_b32_e32 v14, v14, v16, vcc
	v_mov_b32_e32 v15, 0x37800000
	v_lshlrev_b32_e32 v14, 21, v14
	v_and_b32_e32 v12, 0x80000000, v12
	v_lshl_add_u32 v13, v13, 23, v15
	v_or3_b32 v12, v12, v13, v14
.LBB249_533:
	s_or_b64 exec, exec, s[22:23]
	s_movk_i32 s20, 0x7f
	s_waitcnt vmcnt(0)
	v_cmp_gt_i16_sdwa s[22:23], v8, s20 src0_sel:BYTE_0 src1_sel:DWORD
	s_mov_b64 s[20:21], 0
	s_and_saveexec_b64 s[24:25], s[22:23]
	s_xor_b64 s[22:23], exec, s[24:25]
	s_cbranch_execnz .LBB249_681
; %bb.534:
	s_or_saveexec_b64 s[22:23], s[22:23]
	v_mov_b32_e32 v13, 0x7f800001
	s_xor_b64 exec, exec, s[22:23]
	s_cbranch_execnz .LBB249_684
.LBB249_535:
	s_or_b64 exec, exec, s[22:23]
	s_and_saveexec_b64 s[22:23], s[20:21]
	s_cbranch_execz .LBB249_537
.LBB249_536:
	v_and_b32_e32 v15, 3, v8
	v_ffbh_u32_e32 v16, v15
	v_min_u32_e32 v16, 32, v16
	v_lshrrev_b16_e32 v14, 2, v8
	v_subrev_u32_e32 v17, 29, v16
	v_and_b32_e32 v14, 31, v14
	v_lshlrev_b32_e32 v17, v17, v8
	v_sub_u32_e32 v16, 30, v16
	v_and_b32_e32 v17, 3, v17
	v_cmp_eq_u32_e32 vcc, 0, v14
	v_lshlrev_b32_e32 v13, 24, v8
	v_cndmask_b32_e32 v14, v14, v16, vcc
	v_cndmask_b32_e32 v15, v15, v17, vcc
	v_mov_b32_e32 v16, 0x37800000
	v_lshlrev_b32_e32 v15, 21, v15
	v_and_b32_e32 v13, 0x80000000, v13
	v_lshl_add_u32 v14, v14, 23, v16
	v_or3_b32 v13, v13, v14, v15
.LBB249_537:
	s_or_b64 exec, exec, s[22:23]
	v_cmp_neq_f32_e64 s[20:21], v12, v13
.LBB249_538:
	global_load_ubyte v10, v9, s[2:3]
	global_load_ubyte v8, v11, s[6:7]
	s_and_b64 vcc, exec, s[8:9]
	s_cbranch_vccz .LBB249_618
.LBB249_539:
	s_movk_i32 s2, 0x7f
	s_waitcnt vmcnt(1)
	v_cmp_gt_i16_sdwa s[6:7], v10, s2 src0_sel:BYTE_0 src1_sel:DWORD
	s_mov_b64 s[2:3], 0
	s_and_saveexec_b64 s[8:9], s[6:7]
	s_xor_b64 s[6:7], exec, s[8:9]
	s_cbranch_execnz .LBB249_685
; %bb.540:
	s_or_saveexec_b64 s[6:7], s[6:7]
	v_mov_b32_e32 v9, 0x7f800001
	s_xor_b64 exec, exec, s[6:7]
	s_cbranch_execnz .LBB249_688
.LBB249_541:
	s_or_b64 exec, exec, s[6:7]
	s_and_saveexec_b64 s[6:7], s[2:3]
	s_cbranch_execz .LBB249_543
.LBB249_542:
	v_and_b32_e32 v12, 3, v10
	v_ffbh_u32_e32 v13, v12
	v_min_u32_e32 v13, 32, v13
	v_lshrrev_b16_e32 v11, 2, v10
	v_subrev_u32_e32 v14, 29, v13
	v_and_b32_e32 v11, 31, v11
	v_lshlrev_b32_e32 v14, v14, v10
	v_sub_u32_e32 v13, 30, v13
	v_and_b32_e32 v14, 3, v14
	v_cmp_eq_u32_e32 vcc, 0, v11
	v_lshlrev_b32_e32 v9, 24, v10
	v_cndmask_b32_e32 v11, v11, v13, vcc
	v_cndmask_b32_e32 v12, v12, v14, vcc
	v_mov_b32_e32 v13, 0x37800000
	v_lshlrev_b32_e32 v12, 21, v12
	v_and_b32_e32 v9, 0x80000000, v9
	v_lshl_add_u32 v11, v11, 23, v13
	v_or3_b32 v9, v9, v11, v12
.LBB249_543:
	s_or_b64 exec, exec, s[6:7]
	s_movk_i32 s2, 0x7f
	s_waitcnt vmcnt(0)
	v_cmp_gt_i16_sdwa s[6:7], v8, s2 src0_sel:BYTE_0 src1_sel:DWORD
	s_mov_b64 s[2:3], 0
	s_and_saveexec_b64 s[8:9], s[6:7]
	s_xor_b64 s[6:7], exec, s[8:9]
	s_cbranch_execnz .LBB249_689
; %bb.544:
	s_or_saveexec_b64 s[6:7], s[6:7]
	v_mov_b32_e32 v11, 0x7f800001
	s_xor_b64 exec, exec, s[6:7]
	s_cbranch_execnz .LBB249_692
.LBB249_545:
	s_or_b64 exec, exec, s[6:7]
	s_and_saveexec_b64 s[6:7], s[2:3]
	s_cbranch_execz .LBB249_547
.LBB249_546:
	v_and_b32_e32 v13, 3, v8
	v_ffbh_u32_e32 v14, v13
	v_min_u32_e32 v14, 32, v14
	v_lshrrev_b16_e32 v12, 2, v8
	v_subrev_u32_e32 v15, 29, v14
	v_and_b32_e32 v12, 31, v12
	v_lshlrev_b32_e32 v15, v15, v8
	v_sub_u32_e32 v14, 30, v14
	v_and_b32_e32 v15, 3, v15
	v_cmp_eq_u32_e32 vcc, 0, v12
	v_lshlrev_b32_e32 v11, 24, v8
	v_cndmask_b32_e32 v12, v12, v14, vcc
	v_cndmask_b32_e32 v13, v13, v15, vcc
	v_mov_b32_e32 v14, 0x37800000
	v_lshlrev_b32_e32 v13, 21, v13
	v_and_b32_e32 v11, 0x80000000, v11
	v_lshl_add_u32 v12, v12, 23, v14
	v_or3_b32 v11, v11, v12, v13
.LBB249_547:
	s_or_b64 exec, exec, s[6:7]
	v_cmp_neq_f32_e64 s[2:3], v9, v11
	s_branch .LBB249_628
.LBB249_548:
                                        ; implicit-def: $sgpr4_sgpr5
	s_cbranch_execz .LBB249_478
; %bb.549:
	s_movk_i32 s4, 0x7f
	s_waitcnt vmcnt(1)
	v_cmp_gt_i16_sdwa s[10:11], v10, s4 src0_sel:BYTE_0 src1_sel:DWORD
	s_mov_b64 s[4:5], 0
	s_and_saveexec_b64 s[12:13], s[10:11]
	s_xor_b64 s[10:11], exec, s[12:13]
	s_cbranch_execnz .LBB249_693
; %bb.550:
	s_or_saveexec_b64 s[10:11], s[10:11]
	v_mov_b32_e32 v12, 0x7f800001
	s_xor_b64 exec, exec, s[10:11]
	s_cbranch_execnz .LBB249_696
.LBB249_551:
	s_or_b64 exec, exec, s[10:11]
	s_and_saveexec_b64 s[10:11], s[4:5]
	s_cbranch_execz .LBB249_553
.LBB249_552:
	v_and_b32_e32 v16, 3, v10
	v_ffbh_u32_e32 v18, v16
	v_min_u32_e32 v18, 32, v18
	v_lshrrev_b16_e32 v14, 2, v10
	v_subrev_u32_e32 v20, 29, v18
	v_lshlrev_b32_e32 v12, 24, v10
	v_and_b32_e32 v14, 31, v14
	v_lshlrev_b32_e32 v10, v20, v10
	v_sub_u32_e32 v18, 30, v18
	v_and_b32_e32 v10, 3, v10
	v_cmp_eq_u32_e32 vcc, 0, v14
	v_cndmask_b32_e32 v14, v14, v18, vcc
	v_cndmask_b32_e32 v10, v16, v10, vcc
	v_mov_b32_e32 v16, 0x37800000
	v_lshlrev_b32_e32 v10, 21, v10
	v_and_b32_e32 v12, 0x80000000, v12
	v_lshl_add_u32 v14, v14, 23, v16
	v_or3_b32 v12, v12, v14, v10
.LBB249_553:
	s_or_b64 exec, exec, s[10:11]
	s_movk_i32 s4, 0x7f
	s_waitcnt vmcnt(0)
	v_cmp_gt_i16_sdwa s[10:11], v8, s4 src0_sel:BYTE_0 src1_sel:DWORD
	s_mov_b64 s[4:5], 0
	s_and_saveexec_b64 s[12:13], s[10:11]
	s_xor_b64 s[10:11], exec, s[12:13]
	s_cbranch_execnz .LBB249_697
; %bb.554:
	s_or_saveexec_b64 s[10:11], s[10:11]
	v_mov_b32_e32 v10, 0x7f800001
	s_xor_b64 exec, exec, s[10:11]
	s_cbranch_execnz .LBB249_700
.LBB249_555:
	s_or_b64 exec, exec, s[10:11]
	s_and_saveexec_b64 s[10:11], s[4:5]
	s_cbranch_execz .LBB249_557
.LBB249_556:
	v_and_b32_e32 v16, 3, v8
	v_ffbh_u32_e32 v18, v16
	v_min_u32_e32 v18, 32, v18
	v_lshrrev_b16_e32 v14, 2, v8
	v_subrev_u32_e32 v20, 29, v18
	v_lshlrev_b32_e32 v10, 24, v8
	v_and_b32_e32 v14, 31, v14
	v_lshlrev_b32_e32 v8, v20, v8
	v_sub_u32_e32 v18, 30, v18
	v_and_b32_e32 v8, 3, v8
	v_cmp_eq_u32_e32 vcc, 0, v14
	v_cndmask_b32_e32 v14, v14, v18, vcc
	v_cndmask_b32_e32 v8, v16, v8, vcc
	v_mov_b32_e32 v16, 0x37800000
	v_lshlrev_b32_e32 v8, 21, v8
	v_and_b32_e32 v10, 0x80000000, v10
	v_lshl_add_u32 v14, v14, 23, v16
	v_or3_b32 v10, v10, v14, v8
.LBB249_557:
	s_or_b64 exec, exec, s[10:11]
	v_cmp_eq_f32_e64 s[4:5], v12, v10
	global_load_ubyte v10, v35, s[2:3]
	global_load_ubyte v8, v33, s[6:7]
	s_and_b64 vcc, exec, s[8:9]
	s_cbranch_vccnz .LBB249_479
.LBB249_558:
                                        ; implicit-def: $sgpr10_sgpr11
	s_cbranch_execz .LBB249_488
; %bb.559:
	s_movk_i32 s10, 0x7f
	s_waitcnt vmcnt(1)
	v_cmp_gt_i16_sdwa s[12:13], v10, s10 src0_sel:BYTE_0 src1_sel:DWORD
	s_mov_b64 s[10:11], 0
	s_and_saveexec_b64 s[14:15], s[12:13]
	s_xor_b64 s[12:13], exec, s[14:15]
	s_cbranch_execnz .LBB249_701
; %bb.560:
	s_or_saveexec_b64 s[12:13], s[12:13]
	v_mov_b32_e32 v12, 0x7f800001
	s_xor_b64 exec, exec, s[12:13]
	s_cbranch_execnz .LBB249_704
.LBB249_561:
	s_or_b64 exec, exec, s[12:13]
	s_and_saveexec_b64 s[12:13], s[10:11]
	s_cbranch_execz .LBB249_563
.LBB249_562:
	v_and_b32_e32 v16, 3, v10
	v_ffbh_u32_e32 v18, v16
	v_min_u32_e32 v18, 32, v18
	v_lshrrev_b16_e32 v14, 2, v10
	v_subrev_u32_e32 v20, 29, v18
	v_lshlrev_b32_e32 v12, 24, v10
	v_and_b32_e32 v14, 31, v14
	v_lshlrev_b32_e32 v10, v20, v10
	v_sub_u32_e32 v18, 30, v18
	v_and_b32_e32 v10, 3, v10
	v_cmp_eq_u32_e32 vcc, 0, v14
	v_cndmask_b32_e32 v14, v14, v18, vcc
	v_cndmask_b32_e32 v10, v16, v10, vcc
	v_mov_b32_e32 v16, 0x37800000
	v_lshlrev_b32_e32 v10, 21, v10
	v_and_b32_e32 v12, 0x80000000, v12
	v_lshl_add_u32 v14, v14, 23, v16
	v_or3_b32 v12, v12, v14, v10
.LBB249_563:
	s_or_b64 exec, exec, s[12:13]
	s_movk_i32 s10, 0x7f
	s_waitcnt vmcnt(0)
	v_cmp_gt_i16_sdwa s[12:13], v8, s10 src0_sel:BYTE_0 src1_sel:DWORD
	s_mov_b64 s[10:11], 0
	s_and_saveexec_b64 s[14:15], s[12:13]
	s_xor_b64 s[12:13], exec, s[14:15]
	s_cbranch_execnz .LBB249_705
; %bb.564:
	s_or_saveexec_b64 s[12:13], s[12:13]
	v_mov_b32_e32 v10, 0x7f800001
	s_xor_b64 exec, exec, s[12:13]
	s_cbranch_execnz .LBB249_708
.LBB249_565:
	s_or_b64 exec, exec, s[12:13]
	s_and_saveexec_b64 s[12:13], s[10:11]
	s_cbranch_execz .LBB249_567
.LBB249_566:
	v_and_b32_e32 v16, 3, v8
	v_ffbh_u32_e32 v18, v16
	v_min_u32_e32 v18, 32, v18
	v_lshrrev_b16_e32 v14, 2, v8
	v_subrev_u32_e32 v20, 29, v18
	v_lshlrev_b32_e32 v10, 24, v8
	v_and_b32_e32 v14, 31, v14
	v_lshlrev_b32_e32 v8, v20, v8
	v_sub_u32_e32 v18, 30, v18
	v_and_b32_e32 v8, 3, v8
	v_cmp_eq_u32_e32 vcc, 0, v14
	v_cndmask_b32_e32 v14, v14, v18, vcc
	v_cndmask_b32_e32 v8, v16, v8, vcc
	v_mov_b32_e32 v16, 0x37800000
	v_lshlrev_b32_e32 v8, 21, v8
	v_and_b32_e32 v10, 0x80000000, v10
	v_lshl_add_u32 v14, v14, 23, v16
	v_or3_b32 v10, v10, v14, v8
.LBB249_567:
	s_or_b64 exec, exec, s[12:13]
	v_cmp_eq_f32_e64 s[10:11], v12, v10
	global_load_ubyte v10, v31, s[2:3]
	global_load_ubyte v8, v29, s[6:7]
	s_and_b64 vcc, exec, s[8:9]
	s_cbranch_vccnz .LBB249_489
.LBB249_568:
                                        ; implicit-def: $sgpr12_sgpr13
	s_cbranch_execz .LBB249_498
; %bb.569:
	s_movk_i32 s12, 0x7f
	s_waitcnt vmcnt(1)
	v_cmp_gt_i16_sdwa s[14:15], v10, s12 src0_sel:BYTE_0 src1_sel:DWORD
	s_mov_b64 s[12:13], 0
	s_and_saveexec_b64 s[16:17], s[14:15]
	s_xor_b64 s[14:15], exec, s[16:17]
	s_cbranch_execnz .LBB249_709
; %bb.570:
	s_or_saveexec_b64 s[14:15], s[14:15]
	v_mov_b32_e32 v12, 0x7f800001
	s_xor_b64 exec, exec, s[14:15]
	s_cbranch_execnz .LBB249_712
.LBB249_571:
	s_or_b64 exec, exec, s[14:15]
	s_and_saveexec_b64 s[14:15], s[12:13]
	s_cbranch_execz .LBB249_573
.LBB249_572:
	v_and_b32_e32 v16, 3, v10
	v_ffbh_u32_e32 v18, v16
	v_min_u32_e32 v18, 32, v18
	v_lshrrev_b16_e32 v14, 2, v10
	v_subrev_u32_e32 v20, 29, v18
	v_lshlrev_b32_e32 v12, 24, v10
	v_and_b32_e32 v14, 31, v14
	v_lshlrev_b32_e32 v10, v20, v10
	v_sub_u32_e32 v18, 30, v18
	v_and_b32_e32 v10, 3, v10
	v_cmp_eq_u32_e32 vcc, 0, v14
	v_cndmask_b32_e32 v14, v14, v18, vcc
	v_cndmask_b32_e32 v10, v16, v10, vcc
	v_mov_b32_e32 v16, 0x37800000
	v_lshlrev_b32_e32 v10, 21, v10
	v_and_b32_e32 v12, 0x80000000, v12
	v_lshl_add_u32 v14, v14, 23, v16
	v_or3_b32 v12, v12, v14, v10
.LBB249_573:
	s_or_b64 exec, exec, s[14:15]
	s_movk_i32 s12, 0x7f
	s_waitcnt vmcnt(0)
	v_cmp_gt_i16_sdwa s[14:15], v8, s12 src0_sel:BYTE_0 src1_sel:DWORD
	s_mov_b64 s[12:13], 0
	s_and_saveexec_b64 s[16:17], s[14:15]
	s_xor_b64 s[14:15], exec, s[16:17]
	s_cbranch_execnz .LBB249_713
; %bb.574:
	s_or_saveexec_b64 s[14:15], s[14:15]
	v_mov_b32_e32 v10, 0x7f800001
	s_xor_b64 exec, exec, s[14:15]
	s_cbranch_execnz .LBB249_716
.LBB249_575:
	s_or_b64 exec, exec, s[14:15]
	s_and_saveexec_b64 s[14:15], s[12:13]
	s_cbranch_execz .LBB249_577
.LBB249_576:
	v_and_b32_e32 v16, 3, v8
	v_ffbh_u32_e32 v18, v16
	v_min_u32_e32 v18, 32, v18
	v_lshrrev_b16_e32 v14, 2, v8
	v_subrev_u32_e32 v20, 29, v18
	v_lshlrev_b32_e32 v10, 24, v8
	v_and_b32_e32 v14, 31, v14
	v_lshlrev_b32_e32 v8, v20, v8
	v_sub_u32_e32 v18, 30, v18
	v_and_b32_e32 v8, 3, v8
	v_cmp_eq_u32_e32 vcc, 0, v14
	v_cndmask_b32_e32 v14, v14, v18, vcc
	v_cndmask_b32_e32 v8, v16, v8, vcc
	v_mov_b32_e32 v16, 0x37800000
	v_lshlrev_b32_e32 v8, 21, v8
	v_and_b32_e32 v10, 0x80000000, v10
	v_lshl_add_u32 v14, v14, 23, v16
	v_or3_b32 v10, v10, v14, v8
.LBB249_577:
	s_or_b64 exec, exec, s[14:15]
	v_cmp_eq_f32_e64 s[12:13], v12, v10
	global_load_ubyte v10, v27, s[2:3]
	global_load_ubyte v8, v25, s[6:7]
	s_and_b64 vcc, exec, s[8:9]
	s_cbranch_vccnz .LBB249_499
.LBB249_578:
                                        ; implicit-def: $sgpr14_sgpr15
	s_cbranch_execz .LBB249_508
; %bb.579:
	s_movk_i32 s14, 0x7f
	s_waitcnt vmcnt(1)
	v_cmp_gt_i16_sdwa s[16:17], v10, s14 src0_sel:BYTE_0 src1_sel:DWORD
	s_mov_b64 s[14:15], 0
	s_and_saveexec_b64 s[18:19], s[16:17]
	s_xor_b64 s[16:17], exec, s[18:19]
	s_cbranch_execnz .LBB249_717
; %bb.580:
	s_or_saveexec_b64 s[16:17], s[16:17]
	v_mov_b32_e32 v12, 0x7f800001
	s_xor_b64 exec, exec, s[16:17]
	s_cbranch_execnz .LBB249_720
.LBB249_581:
	s_or_b64 exec, exec, s[16:17]
	s_and_saveexec_b64 s[16:17], s[14:15]
	s_cbranch_execz .LBB249_583
.LBB249_582:
	v_and_b32_e32 v16, 3, v10
	v_ffbh_u32_e32 v18, v16
	v_min_u32_e32 v18, 32, v18
	v_lshrrev_b16_e32 v14, 2, v10
	v_subrev_u32_e32 v20, 29, v18
	v_lshlrev_b32_e32 v12, 24, v10
	v_and_b32_e32 v14, 31, v14
	v_lshlrev_b32_e32 v10, v20, v10
	v_sub_u32_e32 v18, 30, v18
	v_and_b32_e32 v10, 3, v10
	v_cmp_eq_u32_e32 vcc, 0, v14
	v_cndmask_b32_e32 v14, v14, v18, vcc
	v_cndmask_b32_e32 v10, v16, v10, vcc
	v_mov_b32_e32 v16, 0x37800000
	v_lshlrev_b32_e32 v10, 21, v10
	v_and_b32_e32 v12, 0x80000000, v12
	v_lshl_add_u32 v14, v14, 23, v16
	v_or3_b32 v12, v12, v14, v10
.LBB249_583:
	s_or_b64 exec, exec, s[16:17]
	s_movk_i32 s14, 0x7f
	s_waitcnt vmcnt(0)
	v_cmp_gt_i16_sdwa s[16:17], v8, s14 src0_sel:BYTE_0 src1_sel:DWORD
	s_mov_b64 s[14:15], 0
	s_and_saveexec_b64 s[18:19], s[16:17]
	s_xor_b64 s[16:17], exec, s[18:19]
	s_cbranch_execnz .LBB249_721
; %bb.584:
	s_or_saveexec_b64 s[16:17], s[16:17]
	v_mov_b32_e32 v10, 0x7f800001
	s_xor_b64 exec, exec, s[16:17]
	s_cbranch_execnz .LBB249_724
.LBB249_585:
	s_or_b64 exec, exec, s[16:17]
	s_and_saveexec_b64 s[16:17], s[14:15]
	s_cbranch_execz .LBB249_587
.LBB249_586:
	v_and_b32_e32 v16, 3, v8
	v_ffbh_u32_e32 v18, v16
	v_min_u32_e32 v18, 32, v18
	v_lshrrev_b16_e32 v14, 2, v8
	v_subrev_u32_e32 v20, 29, v18
	v_lshlrev_b32_e32 v10, 24, v8
	v_and_b32_e32 v14, 31, v14
	v_lshlrev_b32_e32 v8, v20, v8
	v_sub_u32_e32 v18, 30, v18
	v_and_b32_e32 v8, 3, v8
	v_cmp_eq_u32_e32 vcc, 0, v14
	v_cndmask_b32_e32 v14, v14, v18, vcc
	v_cndmask_b32_e32 v8, v16, v8, vcc
	v_mov_b32_e32 v16, 0x37800000
	v_lshlrev_b32_e32 v8, 21, v8
	v_and_b32_e32 v10, 0x80000000, v10
	v_lshl_add_u32 v14, v14, 23, v16
	v_or3_b32 v10, v10, v14, v8
.LBB249_587:
	s_or_b64 exec, exec, s[16:17]
	v_cmp_eq_f32_e64 s[14:15], v12, v10
	global_load_ubyte v10, v23, s[2:3]
	global_load_ubyte v8, v21, s[6:7]
	s_and_b64 vcc, exec, s[8:9]
	s_cbranch_vccnz .LBB249_509
.LBB249_588:
                                        ; implicit-def: $sgpr16_sgpr17
	s_cbranch_execz .LBB249_518
; %bb.589:
	s_movk_i32 s16, 0x7f
	s_waitcnt vmcnt(1)
	v_cmp_gt_i16_sdwa s[18:19], v10, s16 src0_sel:BYTE_0 src1_sel:DWORD
	s_mov_b64 s[16:17], 0
	s_and_saveexec_b64 s[20:21], s[18:19]
	s_xor_b64 s[18:19], exec, s[20:21]
	s_cbranch_execnz .LBB249_725
; %bb.590:
	s_or_saveexec_b64 s[18:19], s[18:19]
	v_mov_b32_e32 v12, 0x7f800001
	s_xor_b64 exec, exec, s[18:19]
	s_cbranch_execnz .LBB249_728
.LBB249_591:
	s_or_b64 exec, exec, s[18:19]
	s_and_saveexec_b64 s[18:19], s[16:17]
	s_cbranch_execz .LBB249_593
.LBB249_592:
	v_and_b32_e32 v16, 3, v10
	v_ffbh_u32_e32 v18, v16
	v_min_u32_e32 v18, 32, v18
	v_lshrrev_b16_e32 v14, 2, v10
	v_subrev_u32_e32 v20, 29, v18
	v_lshlrev_b32_e32 v12, 24, v10
	v_and_b32_e32 v14, 31, v14
	v_lshlrev_b32_e32 v10, v20, v10
	v_sub_u32_e32 v18, 30, v18
	v_and_b32_e32 v10, 3, v10
	v_cmp_eq_u32_e32 vcc, 0, v14
	v_cndmask_b32_e32 v14, v14, v18, vcc
	v_cndmask_b32_e32 v10, v16, v10, vcc
	v_mov_b32_e32 v16, 0x37800000
	v_lshlrev_b32_e32 v10, 21, v10
	v_and_b32_e32 v12, 0x80000000, v12
	v_lshl_add_u32 v14, v14, 23, v16
	v_or3_b32 v12, v12, v14, v10
.LBB249_593:
	s_or_b64 exec, exec, s[18:19]
	s_movk_i32 s16, 0x7f
	s_waitcnt vmcnt(0)
	v_cmp_gt_i16_sdwa s[18:19], v8, s16 src0_sel:BYTE_0 src1_sel:DWORD
	s_mov_b64 s[16:17], 0
	s_and_saveexec_b64 s[20:21], s[18:19]
	s_xor_b64 s[18:19], exec, s[20:21]
	s_cbranch_execnz .LBB249_729
; %bb.594:
	s_or_saveexec_b64 s[18:19], s[18:19]
	v_mov_b32_e32 v10, 0x7f800001
	s_xor_b64 exec, exec, s[18:19]
	s_cbranch_execnz .LBB249_732
.LBB249_595:
	s_or_b64 exec, exec, s[18:19]
	s_and_saveexec_b64 s[18:19], s[16:17]
	s_cbranch_execz .LBB249_597
.LBB249_596:
	v_and_b32_e32 v16, 3, v8
	v_ffbh_u32_e32 v18, v16
	v_min_u32_e32 v18, 32, v18
	v_lshrrev_b16_e32 v14, 2, v8
	v_subrev_u32_e32 v20, 29, v18
	v_lshlrev_b32_e32 v10, 24, v8
	v_and_b32_e32 v14, 31, v14
	v_lshlrev_b32_e32 v8, v20, v8
	v_sub_u32_e32 v18, 30, v18
	v_and_b32_e32 v8, 3, v8
	v_cmp_eq_u32_e32 vcc, 0, v14
	v_cndmask_b32_e32 v14, v14, v18, vcc
	v_cndmask_b32_e32 v8, v16, v8, vcc
	v_mov_b32_e32 v16, 0x37800000
	v_lshlrev_b32_e32 v8, 21, v8
	v_and_b32_e32 v10, 0x80000000, v10
	v_lshl_add_u32 v14, v14, 23, v16
	v_or3_b32 v10, v10, v14, v8
.LBB249_597:
	s_or_b64 exec, exec, s[18:19]
	v_cmp_eq_f32_e64 s[16:17], v12, v10
	global_load_ubyte v10, v19, s[2:3]
	global_load_ubyte v8, v17, s[6:7]
	s_and_b64 vcc, exec, s[8:9]
	s_cbranch_vccnz .LBB249_519
.LBB249_598:
                                        ; implicit-def: $sgpr18_sgpr19
	s_cbranch_execz .LBB249_528
; %bb.599:
	s_movk_i32 s18, 0x7f
	s_waitcnt vmcnt(1)
	v_cmp_gt_i16_sdwa s[20:21], v10, s18 src0_sel:BYTE_0 src1_sel:DWORD
	s_mov_b64 s[18:19], 0
	s_and_saveexec_b64 s[22:23], s[20:21]
	s_xor_b64 s[20:21], exec, s[22:23]
	s_cbranch_execnz .LBB249_733
; %bb.600:
	s_or_saveexec_b64 s[20:21], s[20:21]
	v_mov_b32_e32 v12, 0x7f800001
	s_xor_b64 exec, exec, s[20:21]
	s_cbranch_execnz .LBB249_736
.LBB249_601:
	s_or_b64 exec, exec, s[20:21]
	s_and_saveexec_b64 s[20:21], s[18:19]
	s_cbranch_execz .LBB249_603
.LBB249_602:
	v_and_b32_e32 v16, 3, v10
	v_ffbh_u32_e32 v17, v16
	v_min_u32_e32 v17, 32, v17
	v_lshrrev_b16_e32 v14, 2, v10
	v_subrev_u32_e32 v18, 29, v17
	v_lshlrev_b32_e32 v12, 24, v10
	v_and_b32_e32 v14, 31, v14
	v_lshlrev_b32_e32 v10, v18, v10
	v_sub_u32_e32 v17, 30, v17
	v_and_b32_e32 v10, 3, v10
	v_cmp_eq_u32_e32 vcc, 0, v14
	v_cndmask_b32_e32 v14, v14, v17, vcc
	v_cndmask_b32_e32 v10, v16, v10, vcc
	v_mov_b32_e32 v16, 0x37800000
	v_lshlrev_b32_e32 v10, 21, v10
	v_and_b32_e32 v12, 0x80000000, v12
	v_lshl_add_u32 v14, v14, 23, v16
	v_or3_b32 v12, v12, v14, v10
.LBB249_603:
	s_or_b64 exec, exec, s[20:21]
	s_movk_i32 s18, 0x7f
	s_waitcnt vmcnt(0)
	v_cmp_gt_i16_sdwa s[20:21], v8, s18 src0_sel:BYTE_0 src1_sel:DWORD
	s_mov_b64 s[18:19], 0
	s_and_saveexec_b64 s[22:23], s[20:21]
	s_xor_b64 s[20:21], exec, s[22:23]
	s_cbranch_execnz .LBB249_737
; %bb.604:
	s_or_saveexec_b64 s[20:21], s[20:21]
	v_mov_b32_e32 v10, 0x7f800001
	s_xor_b64 exec, exec, s[20:21]
	s_cbranch_execnz .LBB249_740
.LBB249_605:
	s_or_b64 exec, exec, s[20:21]
	s_and_saveexec_b64 s[20:21], s[18:19]
	s_cbranch_execz .LBB249_607
.LBB249_606:
	v_and_b32_e32 v16, 3, v8
	v_ffbh_u32_e32 v17, v16
	v_min_u32_e32 v17, 32, v17
	v_lshrrev_b16_e32 v14, 2, v8
	v_subrev_u32_e32 v18, 29, v17
	v_lshlrev_b32_e32 v10, 24, v8
	v_and_b32_e32 v14, 31, v14
	v_lshlrev_b32_e32 v8, v18, v8
	v_sub_u32_e32 v17, 30, v17
	v_and_b32_e32 v8, 3, v8
	v_cmp_eq_u32_e32 vcc, 0, v14
	v_cndmask_b32_e32 v14, v14, v17, vcc
	v_cndmask_b32_e32 v8, v16, v8, vcc
	v_mov_b32_e32 v16, 0x37800000
	v_lshlrev_b32_e32 v8, 21, v8
	v_and_b32_e32 v10, 0x80000000, v10
	v_lshl_add_u32 v14, v14, 23, v16
	v_or3_b32 v10, v10, v14, v8
.LBB249_607:
	s_or_b64 exec, exec, s[20:21]
	v_cmp_eq_f32_e64 s[18:19], v12, v10
	global_load_ubyte v10, v15, s[2:3]
	global_load_ubyte v8, v13, s[6:7]
	s_and_b64 vcc, exec, s[8:9]
	s_cbranch_vccnz .LBB249_529
.LBB249_608:
                                        ; implicit-def: $sgpr20_sgpr21
	s_cbranch_execz .LBB249_538
; %bb.609:
	s_movk_i32 s20, 0x7f
	s_waitcnt vmcnt(1)
	v_cmp_gt_i16_sdwa s[22:23], v10, s20 src0_sel:BYTE_0 src1_sel:DWORD
	s_mov_b64 s[20:21], 0
	s_and_saveexec_b64 s[24:25], s[22:23]
	s_xor_b64 s[22:23], exec, s[24:25]
	s_cbranch_execnz .LBB249_741
; %bb.610:
	s_or_saveexec_b64 s[22:23], s[22:23]
	v_mov_b32_e32 v12, 0x7f800001
	s_xor_b64 exec, exec, s[22:23]
	s_cbranch_execnz .LBB249_744
.LBB249_611:
	s_or_b64 exec, exec, s[22:23]
	s_and_saveexec_b64 s[22:23], s[20:21]
	s_cbranch_execz .LBB249_613
.LBB249_612:
	v_and_b32_e32 v14, 3, v10
	v_ffbh_u32_e32 v15, v14
	v_min_u32_e32 v15, 32, v15
	v_lshrrev_b16_e32 v13, 2, v10
	v_subrev_u32_e32 v16, 29, v15
	v_lshlrev_b32_e32 v12, 24, v10
	v_and_b32_e32 v13, 31, v13
	v_lshlrev_b32_e32 v10, v16, v10
	v_sub_u32_e32 v15, 30, v15
	v_and_b32_e32 v10, 3, v10
	v_cmp_eq_u32_e32 vcc, 0, v13
	v_cndmask_b32_e32 v13, v13, v15, vcc
	v_cndmask_b32_e32 v10, v14, v10, vcc
	v_mov_b32_e32 v14, 0x37800000
	v_lshlrev_b32_e32 v10, 21, v10
	v_and_b32_e32 v12, 0x80000000, v12
	v_lshl_add_u32 v13, v13, 23, v14
	v_or3_b32 v12, v12, v13, v10
.LBB249_613:
	s_or_b64 exec, exec, s[22:23]
	s_movk_i32 s20, 0x7f
	s_waitcnt vmcnt(0)
	v_cmp_gt_i16_sdwa s[22:23], v8, s20 src0_sel:BYTE_0 src1_sel:DWORD
	s_mov_b64 s[20:21], 0
	s_and_saveexec_b64 s[24:25], s[22:23]
	s_xor_b64 s[22:23], exec, s[24:25]
	s_cbranch_execnz .LBB249_745
; %bb.614:
	s_or_saveexec_b64 s[22:23], s[22:23]
	v_mov_b32_e32 v10, 0x7f800001
	s_xor_b64 exec, exec, s[22:23]
	s_cbranch_execnz .LBB249_748
.LBB249_615:
	s_or_b64 exec, exec, s[22:23]
	s_and_saveexec_b64 s[22:23], s[20:21]
	s_cbranch_execz .LBB249_617
.LBB249_616:
	v_and_b32_e32 v14, 3, v8
	v_ffbh_u32_e32 v15, v14
	v_min_u32_e32 v15, 32, v15
	v_lshrrev_b16_e32 v13, 2, v8
	v_subrev_u32_e32 v16, 29, v15
	v_lshlrev_b32_e32 v10, 24, v8
	v_and_b32_e32 v13, 31, v13
	v_lshlrev_b32_e32 v8, v16, v8
	v_sub_u32_e32 v15, 30, v15
	v_and_b32_e32 v8, 3, v8
	v_cmp_eq_u32_e32 vcc, 0, v13
	v_cndmask_b32_e32 v13, v13, v15, vcc
	v_cndmask_b32_e32 v8, v14, v8, vcc
	v_mov_b32_e32 v14, 0x37800000
	v_lshlrev_b32_e32 v8, 21, v8
	v_and_b32_e32 v10, 0x80000000, v10
	v_lshl_add_u32 v13, v13, 23, v14
	v_or3_b32 v10, v10, v13, v8
.LBB249_617:
	s_or_b64 exec, exec, s[22:23]
	v_cmp_eq_f32_e64 s[20:21], v12, v10
	global_load_ubyte v10, v9, s[2:3]
	global_load_ubyte v8, v11, s[6:7]
	s_and_b64 vcc, exec, s[8:9]
	s_cbranch_vccnz .LBB249_539
.LBB249_618:
                                        ; implicit-def: $sgpr2_sgpr3
	s_cbranch_execz .LBB249_628
; %bb.619:
	s_movk_i32 s2, 0x7f
	s_waitcnt vmcnt(1)
	v_cmp_gt_i16_sdwa s[6:7], v10, s2 src0_sel:BYTE_0 src1_sel:DWORD
	s_mov_b64 s[2:3], 0
	s_and_saveexec_b64 s[8:9], s[6:7]
	s_xor_b64 s[6:7], exec, s[8:9]
	s_cbranch_execnz .LBB249_749
; %bb.620:
	s_or_saveexec_b64 s[6:7], s[6:7]
	v_mov_b32_e32 v9, 0x7f800001
	s_xor_b64 exec, exec, s[6:7]
	s_cbranch_execnz .LBB249_752
.LBB249_621:
	s_or_b64 exec, exec, s[6:7]
	s_and_saveexec_b64 s[6:7], s[2:3]
	s_cbranch_execz .LBB249_623
.LBB249_622:
	v_and_b32_e32 v12, 3, v10
	v_ffbh_u32_e32 v13, v12
	v_min_u32_e32 v13, 32, v13
	v_lshrrev_b16_e32 v11, 2, v10
	v_subrev_u32_e32 v14, 29, v13
	v_lshlrev_b32_e32 v9, 24, v10
	v_and_b32_e32 v11, 31, v11
	v_lshlrev_b32_e32 v10, v14, v10
	v_sub_u32_e32 v13, 30, v13
	v_and_b32_e32 v10, 3, v10
	v_cmp_eq_u32_e32 vcc, 0, v11
	v_cndmask_b32_e32 v11, v11, v13, vcc
	v_cndmask_b32_e32 v10, v12, v10, vcc
	v_mov_b32_e32 v12, 0x37800000
	v_lshlrev_b32_e32 v10, 21, v10
	v_and_b32_e32 v9, 0x80000000, v9
	v_lshl_add_u32 v11, v11, 23, v12
	v_or3_b32 v9, v9, v11, v10
.LBB249_623:
	s_or_b64 exec, exec, s[6:7]
	s_movk_i32 s2, 0x7f
	s_waitcnt vmcnt(0)
	v_cmp_gt_i16_sdwa s[6:7], v8, s2 src0_sel:BYTE_0 src1_sel:DWORD
	s_mov_b64 s[2:3], 0
	s_and_saveexec_b64 s[8:9], s[6:7]
	s_xor_b64 s[6:7], exec, s[8:9]
	s_cbranch_execnz .LBB249_753
; %bb.624:
	s_or_saveexec_b64 s[6:7], s[6:7]
	v_mov_b32_e32 v10, 0x7f800001
	s_xor_b64 exec, exec, s[6:7]
	s_cbranch_execnz .LBB249_756
.LBB249_625:
	s_or_b64 exec, exec, s[6:7]
	s_and_saveexec_b64 s[6:7], s[2:3]
	s_cbranch_execz .LBB249_627
.LBB249_626:
	v_and_b32_e32 v12, 3, v8
	v_ffbh_u32_e32 v13, v12
	v_min_u32_e32 v13, 32, v13
	v_lshrrev_b16_e32 v11, 2, v8
	v_subrev_u32_e32 v14, 29, v13
	v_lshlrev_b32_e32 v10, 24, v8
	v_and_b32_e32 v11, 31, v11
	v_lshlrev_b32_e32 v8, v14, v8
	v_sub_u32_e32 v13, 30, v13
	v_and_b32_e32 v8, 3, v8
	v_cmp_eq_u32_e32 vcc, 0, v11
	v_cndmask_b32_e32 v11, v11, v13, vcc
	v_cndmask_b32_e32 v8, v12, v8, vcc
	v_mov_b32_e32 v12, 0x37800000
	v_lshlrev_b32_e32 v8, 21, v8
	v_and_b32_e32 v10, 0x80000000, v10
	v_lshl_add_u32 v11, v11, 23, v12
	v_or3_b32 v10, v10, v11, v8
.LBB249_627:
	s_or_b64 exec, exec, s[6:7]
	v_cmp_eq_f32_e64 s[2:3], v9, v10
.LBB249_628:
	v_cndmask_b32_e64 v14, 0, 1, s[4:5]
	s_waitcnt vmcnt(0)
	v_cndmask_b32_e64 v8, 0, 1, s[20:21]
	v_cndmask_b32_e64 v9, 0, 1, s[18:19]
	;; [unrolled: 1-line block ×7, first 2 shown]
	global_store_byte v0, v14, s[0:1]
	global_store_byte v1, v13, s[0:1]
	;; [unrolled: 1-line block ×8, first 2 shown]
	s_endpgm
.LBB249_629:
	s_movk_i32 s4, 0x80
	v_cmp_eq_u16_sdwa s[14:15], v10, s4 src0_sel:BYTE_0 src1_sel:DWORD
	s_mov_b64 s[4:5], -1
	s_and_saveexec_b64 s[12:13], s[14:15]
; %bb.630:
	s_xor_b64 s[4:5], exec, -1
; %bb.631:
	s_or_b64 exec, exec, s[12:13]
	s_and_b64 s[4:5], s[4:5], exec
	s_or_saveexec_b64 s[10:11], s[10:11]
	v_mov_b32_e32 v12, 0x7f800001
	s_xor_b64 exec, exec, s[10:11]
	s_cbranch_execz .LBB249_471
.LBB249_632:
	v_mov_b32_e32 v12, 0
	v_cmp_ne_u16_sdwa s[12:13], v10, v12 src0_sel:BYTE_0 src1_sel:DWORD
	s_andn2_b64 s[4:5], s[4:5], exec
	s_and_b64 s[12:13], s[12:13], exec
	s_or_b64 s[4:5], s[4:5], s[12:13]
	s_or_b64 exec, exec, s[10:11]
	s_and_saveexec_b64 s[10:11], s[4:5]
	s_cbranch_execnz .LBB249_472
	s_branch .LBB249_473
.LBB249_633:
	s_movk_i32 s4, 0x80
	v_cmp_eq_u16_sdwa s[14:15], v8, s4 src0_sel:BYTE_0 src1_sel:DWORD
	s_mov_b64 s[4:5], -1
	s_and_saveexec_b64 s[12:13], s[14:15]
; %bb.634:
	s_xor_b64 s[4:5], exec, -1
; %bb.635:
	s_or_b64 exec, exec, s[12:13]
	s_and_b64 s[4:5], s[4:5], exec
	s_or_saveexec_b64 s[10:11], s[10:11]
	v_mov_b32_e32 v14, 0x7f800001
	s_xor_b64 exec, exec, s[10:11]
	s_cbranch_execz .LBB249_475
.LBB249_636:
	v_mov_b32_e32 v14, 0
	v_cmp_ne_u16_sdwa s[12:13], v8, v14 src0_sel:BYTE_0 src1_sel:DWORD
	s_andn2_b64 s[4:5], s[4:5], exec
	s_and_b64 s[12:13], s[12:13], exec
	s_or_b64 s[4:5], s[4:5], s[12:13]
	s_or_b64 exec, exec, s[10:11]
	s_and_saveexec_b64 s[10:11], s[4:5]
	s_cbranch_execnz .LBB249_476
	s_branch .LBB249_477
.LBB249_637:
	s_movk_i32 s10, 0x80
	v_cmp_eq_u16_sdwa s[16:17], v10, s10 src0_sel:BYTE_0 src1_sel:DWORD
	s_mov_b64 s[10:11], -1
	s_and_saveexec_b64 s[14:15], s[16:17]
; %bb.638:
	s_xor_b64 s[10:11], exec, -1
; %bb.639:
	s_or_b64 exec, exec, s[14:15]
	s_and_b64 s[10:11], s[10:11], exec
	s_or_saveexec_b64 s[12:13], s[12:13]
	v_mov_b32_e32 v12, 0x7f800001
	s_xor_b64 exec, exec, s[12:13]
	s_cbranch_execz .LBB249_481
.LBB249_640:
	v_mov_b32_e32 v12, 0
	v_cmp_ne_u16_sdwa s[14:15], v10, v12 src0_sel:BYTE_0 src1_sel:DWORD
	s_andn2_b64 s[10:11], s[10:11], exec
	s_and_b64 s[14:15], s[14:15], exec
	s_or_b64 s[10:11], s[10:11], s[14:15]
	s_or_b64 exec, exec, s[12:13]
	s_and_saveexec_b64 s[12:13], s[10:11]
	s_cbranch_execnz .LBB249_482
	s_branch .LBB249_483
.LBB249_641:
	s_movk_i32 s10, 0x80
	v_cmp_eq_u16_sdwa s[16:17], v8, s10 src0_sel:BYTE_0 src1_sel:DWORD
	s_mov_b64 s[10:11], -1
	s_and_saveexec_b64 s[14:15], s[16:17]
; %bb.642:
	s_xor_b64 s[10:11], exec, -1
; %bb.643:
	s_or_b64 exec, exec, s[14:15]
	s_and_b64 s[10:11], s[10:11], exec
	s_or_saveexec_b64 s[12:13], s[12:13]
	v_mov_b32_e32 v14, 0x7f800001
	s_xor_b64 exec, exec, s[12:13]
	s_cbranch_execz .LBB249_485
.LBB249_644:
	v_mov_b32_e32 v14, 0
	v_cmp_ne_u16_sdwa s[14:15], v8, v14 src0_sel:BYTE_0 src1_sel:DWORD
	s_andn2_b64 s[10:11], s[10:11], exec
	s_and_b64 s[14:15], s[14:15], exec
	s_or_b64 s[10:11], s[10:11], s[14:15]
	s_or_b64 exec, exec, s[12:13]
	s_and_saveexec_b64 s[12:13], s[10:11]
	s_cbranch_execnz .LBB249_486
	s_branch .LBB249_487
.LBB249_645:
	s_movk_i32 s12, 0x80
	v_cmp_eq_u16_sdwa s[18:19], v10, s12 src0_sel:BYTE_0 src1_sel:DWORD
	s_mov_b64 s[12:13], -1
	s_and_saveexec_b64 s[16:17], s[18:19]
; %bb.646:
	s_xor_b64 s[12:13], exec, -1
; %bb.647:
	s_or_b64 exec, exec, s[16:17]
	s_and_b64 s[12:13], s[12:13], exec
	s_or_saveexec_b64 s[14:15], s[14:15]
	v_mov_b32_e32 v12, 0x7f800001
	s_xor_b64 exec, exec, s[14:15]
	s_cbranch_execz .LBB249_491
.LBB249_648:
	v_mov_b32_e32 v12, 0
	v_cmp_ne_u16_sdwa s[16:17], v10, v12 src0_sel:BYTE_0 src1_sel:DWORD
	s_andn2_b64 s[12:13], s[12:13], exec
	s_and_b64 s[16:17], s[16:17], exec
	s_or_b64 s[12:13], s[12:13], s[16:17]
	s_or_b64 exec, exec, s[14:15]
	s_and_saveexec_b64 s[14:15], s[12:13]
	s_cbranch_execnz .LBB249_492
	s_branch .LBB249_493
.LBB249_649:
	s_movk_i32 s12, 0x80
	v_cmp_eq_u16_sdwa s[18:19], v8, s12 src0_sel:BYTE_0 src1_sel:DWORD
	s_mov_b64 s[12:13], -1
	s_and_saveexec_b64 s[16:17], s[18:19]
; %bb.650:
	s_xor_b64 s[12:13], exec, -1
; %bb.651:
	s_or_b64 exec, exec, s[16:17]
	s_and_b64 s[12:13], s[12:13], exec
	s_or_saveexec_b64 s[14:15], s[14:15]
	v_mov_b32_e32 v14, 0x7f800001
	s_xor_b64 exec, exec, s[14:15]
	s_cbranch_execz .LBB249_495
.LBB249_652:
	v_mov_b32_e32 v14, 0
	v_cmp_ne_u16_sdwa s[16:17], v8, v14 src0_sel:BYTE_0 src1_sel:DWORD
	s_andn2_b64 s[12:13], s[12:13], exec
	s_and_b64 s[16:17], s[16:17], exec
	s_or_b64 s[12:13], s[12:13], s[16:17]
	s_or_b64 exec, exec, s[14:15]
	s_and_saveexec_b64 s[14:15], s[12:13]
	s_cbranch_execnz .LBB249_496
	s_branch .LBB249_497
.LBB249_653:
	s_movk_i32 s14, 0x80
	v_cmp_eq_u16_sdwa s[20:21], v10, s14 src0_sel:BYTE_0 src1_sel:DWORD
	s_mov_b64 s[14:15], -1
	s_and_saveexec_b64 s[18:19], s[20:21]
; %bb.654:
	s_xor_b64 s[14:15], exec, -1
; %bb.655:
	s_or_b64 exec, exec, s[18:19]
	s_and_b64 s[14:15], s[14:15], exec
	s_or_saveexec_b64 s[16:17], s[16:17]
	v_mov_b32_e32 v12, 0x7f800001
	s_xor_b64 exec, exec, s[16:17]
	s_cbranch_execz .LBB249_501
.LBB249_656:
	v_mov_b32_e32 v12, 0
	v_cmp_ne_u16_sdwa s[18:19], v10, v12 src0_sel:BYTE_0 src1_sel:DWORD
	s_andn2_b64 s[14:15], s[14:15], exec
	s_and_b64 s[18:19], s[18:19], exec
	s_or_b64 s[14:15], s[14:15], s[18:19]
	s_or_b64 exec, exec, s[16:17]
	s_and_saveexec_b64 s[16:17], s[14:15]
	s_cbranch_execnz .LBB249_502
	s_branch .LBB249_503
.LBB249_657:
	s_movk_i32 s14, 0x80
	v_cmp_eq_u16_sdwa s[20:21], v8, s14 src0_sel:BYTE_0 src1_sel:DWORD
	s_mov_b64 s[14:15], -1
	s_and_saveexec_b64 s[18:19], s[20:21]
; %bb.658:
	s_xor_b64 s[14:15], exec, -1
; %bb.659:
	s_or_b64 exec, exec, s[18:19]
	s_and_b64 s[14:15], s[14:15], exec
	s_or_saveexec_b64 s[16:17], s[16:17]
	v_mov_b32_e32 v14, 0x7f800001
	s_xor_b64 exec, exec, s[16:17]
	s_cbranch_execz .LBB249_505
.LBB249_660:
	v_mov_b32_e32 v14, 0
	v_cmp_ne_u16_sdwa s[18:19], v8, v14 src0_sel:BYTE_0 src1_sel:DWORD
	s_andn2_b64 s[14:15], s[14:15], exec
	s_and_b64 s[18:19], s[18:19], exec
	s_or_b64 s[14:15], s[14:15], s[18:19]
	s_or_b64 exec, exec, s[16:17]
	s_and_saveexec_b64 s[16:17], s[14:15]
	s_cbranch_execnz .LBB249_506
	s_branch .LBB249_507
.LBB249_661:
	s_movk_i32 s16, 0x80
	v_cmp_eq_u16_sdwa s[22:23], v10, s16 src0_sel:BYTE_0 src1_sel:DWORD
	s_mov_b64 s[16:17], -1
	s_and_saveexec_b64 s[20:21], s[22:23]
; %bb.662:
	s_xor_b64 s[16:17], exec, -1
; %bb.663:
	s_or_b64 exec, exec, s[20:21]
	s_and_b64 s[16:17], s[16:17], exec
	s_or_saveexec_b64 s[18:19], s[18:19]
	v_mov_b32_e32 v12, 0x7f800001
	s_xor_b64 exec, exec, s[18:19]
	s_cbranch_execz .LBB249_511
.LBB249_664:
	v_mov_b32_e32 v12, 0
	v_cmp_ne_u16_sdwa s[20:21], v10, v12 src0_sel:BYTE_0 src1_sel:DWORD
	s_andn2_b64 s[16:17], s[16:17], exec
	s_and_b64 s[20:21], s[20:21], exec
	s_or_b64 s[16:17], s[16:17], s[20:21]
	s_or_b64 exec, exec, s[18:19]
	s_and_saveexec_b64 s[18:19], s[16:17]
	s_cbranch_execnz .LBB249_512
	s_branch .LBB249_513
.LBB249_665:
	s_movk_i32 s16, 0x80
	v_cmp_eq_u16_sdwa s[22:23], v8, s16 src0_sel:BYTE_0 src1_sel:DWORD
	s_mov_b64 s[16:17], -1
	s_and_saveexec_b64 s[20:21], s[22:23]
; %bb.666:
	s_xor_b64 s[16:17], exec, -1
; %bb.667:
	s_or_b64 exec, exec, s[20:21]
	s_and_b64 s[16:17], s[16:17], exec
	s_or_saveexec_b64 s[18:19], s[18:19]
	v_mov_b32_e32 v14, 0x7f800001
	s_xor_b64 exec, exec, s[18:19]
	s_cbranch_execz .LBB249_515
.LBB249_668:
	v_mov_b32_e32 v14, 0
	v_cmp_ne_u16_sdwa s[20:21], v8, v14 src0_sel:BYTE_0 src1_sel:DWORD
	s_andn2_b64 s[16:17], s[16:17], exec
	s_and_b64 s[20:21], s[20:21], exec
	s_or_b64 s[16:17], s[16:17], s[20:21]
	s_or_b64 exec, exec, s[18:19]
	s_and_saveexec_b64 s[18:19], s[16:17]
	s_cbranch_execnz .LBB249_516
	s_branch .LBB249_517
.LBB249_669:
	s_movk_i32 s18, 0x80
	v_cmp_eq_u16_sdwa s[24:25], v10, s18 src0_sel:BYTE_0 src1_sel:DWORD
	s_mov_b64 s[18:19], -1
	s_and_saveexec_b64 s[22:23], s[24:25]
; %bb.670:
	s_xor_b64 s[18:19], exec, -1
; %bb.671:
	s_or_b64 exec, exec, s[22:23]
	s_and_b64 s[18:19], s[18:19], exec
	s_or_saveexec_b64 s[20:21], s[20:21]
	v_mov_b32_e32 v12, 0x7f800001
	s_xor_b64 exec, exec, s[20:21]
	s_cbranch_execz .LBB249_521
.LBB249_672:
	v_mov_b32_e32 v12, 0
	v_cmp_ne_u16_sdwa s[22:23], v10, v12 src0_sel:BYTE_0 src1_sel:DWORD
	s_andn2_b64 s[18:19], s[18:19], exec
	s_and_b64 s[22:23], s[22:23], exec
	s_or_b64 s[18:19], s[18:19], s[22:23]
	s_or_b64 exec, exec, s[20:21]
	s_and_saveexec_b64 s[20:21], s[18:19]
	s_cbranch_execnz .LBB249_522
	s_branch .LBB249_523
.LBB249_673:
	s_movk_i32 s18, 0x80
	v_cmp_eq_u16_sdwa s[24:25], v8, s18 src0_sel:BYTE_0 src1_sel:DWORD
	s_mov_b64 s[18:19], -1
	s_and_saveexec_b64 s[22:23], s[24:25]
; %bb.674:
	s_xor_b64 s[18:19], exec, -1
; %bb.675:
	s_or_b64 exec, exec, s[22:23]
	s_and_b64 s[18:19], s[18:19], exec
	s_or_saveexec_b64 s[20:21], s[20:21]
	v_mov_b32_e32 v14, 0x7f800001
	s_xor_b64 exec, exec, s[20:21]
	s_cbranch_execz .LBB249_525
.LBB249_676:
	v_mov_b32_e32 v14, 0
	v_cmp_ne_u16_sdwa s[22:23], v8, v14 src0_sel:BYTE_0 src1_sel:DWORD
	s_andn2_b64 s[18:19], s[18:19], exec
	s_and_b64 s[22:23], s[22:23], exec
	s_or_b64 s[18:19], s[18:19], s[22:23]
	s_or_b64 exec, exec, s[20:21]
	s_and_saveexec_b64 s[20:21], s[18:19]
	s_cbranch_execnz .LBB249_526
	s_branch .LBB249_527
.LBB249_677:
	s_movk_i32 s20, 0x80
	v_cmp_eq_u16_sdwa s[26:27], v10, s20 src0_sel:BYTE_0 src1_sel:DWORD
	s_mov_b64 s[20:21], -1
	s_and_saveexec_b64 s[24:25], s[26:27]
; %bb.678:
	s_xor_b64 s[20:21], exec, -1
; %bb.679:
	s_or_b64 exec, exec, s[24:25]
	s_and_b64 s[20:21], s[20:21], exec
	s_or_saveexec_b64 s[22:23], s[22:23]
	v_mov_b32_e32 v12, 0x7f800001
	s_xor_b64 exec, exec, s[22:23]
	s_cbranch_execz .LBB249_531
.LBB249_680:
	v_mov_b32_e32 v12, 0
	v_cmp_ne_u16_sdwa s[24:25], v10, v12 src0_sel:BYTE_0 src1_sel:DWORD
	s_andn2_b64 s[20:21], s[20:21], exec
	s_and_b64 s[24:25], s[24:25], exec
	s_or_b64 s[20:21], s[20:21], s[24:25]
	s_or_b64 exec, exec, s[22:23]
	s_and_saveexec_b64 s[22:23], s[20:21]
	s_cbranch_execnz .LBB249_532
	s_branch .LBB249_533
.LBB249_681:
	s_movk_i32 s20, 0x80
	v_cmp_eq_u16_sdwa s[26:27], v8, s20 src0_sel:BYTE_0 src1_sel:DWORD
	s_mov_b64 s[20:21], -1
	s_and_saveexec_b64 s[24:25], s[26:27]
; %bb.682:
	s_xor_b64 s[20:21], exec, -1
; %bb.683:
	s_or_b64 exec, exec, s[24:25]
	s_and_b64 s[20:21], s[20:21], exec
	s_or_saveexec_b64 s[22:23], s[22:23]
	v_mov_b32_e32 v13, 0x7f800001
	s_xor_b64 exec, exec, s[22:23]
	s_cbranch_execz .LBB249_535
.LBB249_684:
	v_mov_b32_e32 v13, 0
	v_cmp_ne_u16_sdwa s[24:25], v8, v13 src0_sel:BYTE_0 src1_sel:DWORD
	s_andn2_b64 s[20:21], s[20:21], exec
	s_and_b64 s[24:25], s[24:25], exec
	s_or_b64 s[20:21], s[20:21], s[24:25]
	s_or_b64 exec, exec, s[22:23]
	s_and_saveexec_b64 s[22:23], s[20:21]
	s_cbranch_execnz .LBB249_536
	s_branch .LBB249_537
.LBB249_685:
	s_movk_i32 s2, 0x80
	v_cmp_eq_u16_sdwa s[22:23], v10, s2 src0_sel:BYTE_0 src1_sel:DWORD
	s_mov_b64 s[2:3], -1
	s_and_saveexec_b64 s[8:9], s[22:23]
; %bb.686:
	s_xor_b64 s[2:3], exec, -1
; %bb.687:
	s_or_b64 exec, exec, s[8:9]
	s_and_b64 s[2:3], s[2:3], exec
	s_or_saveexec_b64 s[6:7], s[6:7]
	v_mov_b32_e32 v9, 0x7f800001
	s_xor_b64 exec, exec, s[6:7]
	s_cbranch_execz .LBB249_541
.LBB249_688:
	v_mov_b32_e32 v9, 0
	v_cmp_ne_u16_sdwa s[8:9], v10, v9 src0_sel:BYTE_0 src1_sel:DWORD
	s_andn2_b64 s[2:3], s[2:3], exec
	s_and_b64 s[8:9], s[8:9], exec
	s_or_b64 s[2:3], s[2:3], s[8:9]
	s_or_b64 exec, exec, s[6:7]
	s_and_saveexec_b64 s[6:7], s[2:3]
	s_cbranch_execnz .LBB249_542
	s_branch .LBB249_543
.LBB249_689:
	s_movk_i32 s2, 0x80
	v_cmp_eq_u16_sdwa s[22:23], v8, s2 src0_sel:BYTE_0 src1_sel:DWORD
	s_mov_b64 s[2:3], -1
	s_and_saveexec_b64 s[8:9], s[22:23]
; %bb.690:
	s_xor_b64 s[2:3], exec, -1
; %bb.691:
	s_or_b64 exec, exec, s[8:9]
	s_and_b64 s[2:3], s[2:3], exec
	s_or_saveexec_b64 s[6:7], s[6:7]
	v_mov_b32_e32 v11, 0x7f800001
	s_xor_b64 exec, exec, s[6:7]
	s_cbranch_execz .LBB249_545
.LBB249_692:
	v_mov_b32_e32 v11, 0
	v_cmp_ne_u16_sdwa s[8:9], v8, v11 src0_sel:BYTE_0 src1_sel:DWORD
	s_andn2_b64 s[2:3], s[2:3], exec
	s_and_b64 s[8:9], s[8:9], exec
	s_or_b64 s[2:3], s[2:3], s[8:9]
	s_or_b64 exec, exec, s[6:7]
	s_and_saveexec_b64 s[6:7], s[2:3]
	s_cbranch_execnz .LBB249_546
	s_branch .LBB249_547
.LBB249_693:
	s_movk_i32 s4, 0x80
	v_cmp_eq_u16_sdwa s[14:15], v10, s4 src0_sel:BYTE_0 src1_sel:DWORD
	s_mov_b64 s[4:5], -1
	s_and_saveexec_b64 s[12:13], s[14:15]
; %bb.694:
	s_xor_b64 s[4:5], exec, -1
; %bb.695:
	s_or_b64 exec, exec, s[12:13]
	s_and_b64 s[4:5], s[4:5], exec
	s_or_saveexec_b64 s[10:11], s[10:11]
	v_mov_b32_e32 v12, 0x7f800001
	s_xor_b64 exec, exec, s[10:11]
	s_cbranch_execz .LBB249_551
.LBB249_696:
	v_mov_b32_e32 v12, 0
	v_cmp_ne_u16_sdwa s[12:13], v10, v12 src0_sel:BYTE_0 src1_sel:DWORD
	s_andn2_b64 s[4:5], s[4:5], exec
	s_and_b64 s[12:13], s[12:13], exec
	s_or_b64 s[4:5], s[4:5], s[12:13]
	s_or_b64 exec, exec, s[10:11]
	s_and_saveexec_b64 s[10:11], s[4:5]
	s_cbranch_execnz .LBB249_552
	s_branch .LBB249_553
.LBB249_697:
	s_movk_i32 s4, 0x80
	v_cmp_eq_u16_sdwa s[14:15], v8, s4 src0_sel:BYTE_0 src1_sel:DWORD
	s_mov_b64 s[4:5], -1
	s_and_saveexec_b64 s[12:13], s[14:15]
; %bb.698:
	s_xor_b64 s[4:5], exec, -1
; %bb.699:
	s_or_b64 exec, exec, s[12:13]
	s_and_b64 s[4:5], s[4:5], exec
	s_or_saveexec_b64 s[10:11], s[10:11]
	v_mov_b32_e32 v10, 0x7f800001
	s_xor_b64 exec, exec, s[10:11]
	s_cbranch_execz .LBB249_555
.LBB249_700:
	v_mov_b32_e32 v10, 0
	v_cmp_ne_u16_sdwa s[12:13], v8, v10 src0_sel:BYTE_0 src1_sel:DWORD
	s_andn2_b64 s[4:5], s[4:5], exec
	s_and_b64 s[12:13], s[12:13], exec
	s_or_b64 s[4:5], s[4:5], s[12:13]
	s_or_b64 exec, exec, s[10:11]
	s_and_saveexec_b64 s[10:11], s[4:5]
	s_cbranch_execnz .LBB249_556
	s_branch .LBB249_557
.LBB249_701:
	s_movk_i32 s10, 0x80
	v_cmp_eq_u16_sdwa s[16:17], v10, s10 src0_sel:BYTE_0 src1_sel:DWORD
	s_mov_b64 s[10:11], -1
	s_and_saveexec_b64 s[14:15], s[16:17]
; %bb.702:
	s_xor_b64 s[10:11], exec, -1
; %bb.703:
	s_or_b64 exec, exec, s[14:15]
	s_and_b64 s[10:11], s[10:11], exec
	s_or_saveexec_b64 s[12:13], s[12:13]
	v_mov_b32_e32 v12, 0x7f800001
	s_xor_b64 exec, exec, s[12:13]
	s_cbranch_execz .LBB249_561
.LBB249_704:
	v_mov_b32_e32 v12, 0
	v_cmp_ne_u16_sdwa s[14:15], v10, v12 src0_sel:BYTE_0 src1_sel:DWORD
	s_andn2_b64 s[10:11], s[10:11], exec
	s_and_b64 s[14:15], s[14:15], exec
	s_or_b64 s[10:11], s[10:11], s[14:15]
	s_or_b64 exec, exec, s[12:13]
	s_and_saveexec_b64 s[12:13], s[10:11]
	s_cbranch_execnz .LBB249_562
	s_branch .LBB249_563
.LBB249_705:
	s_movk_i32 s10, 0x80
	v_cmp_eq_u16_sdwa s[16:17], v8, s10 src0_sel:BYTE_0 src1_sel:DWORD
	s_mov_b64 s[10:11], -1
	s_and_saveexec_b64 s[14:15], s[16:17]
; %bb.706:
	s_xor_b64 s[10:11], exec, -1
; %bb.707:
	s_or_b64 exec, exec, s[14:15]
	s_and_b64 s[10:11], s[10:11], exec
	s_or_saveexec_b64 s[12:13], s[12:13]
	v_mov_b32_e32 v10, 0x7f800001
	s_xor_b64 exec, exec, s[12:13]
	s_cbranch_execz .LBB249_565
.LBB249_708:
	v_mov_b32_e32 v10, 0
	v_cmp_ne_u16_sdwa s[14:15], v8, v10 src0_sel:BYTE_0 src1_sel:DWORD
	s_andn2_b64 s[10:11], s[10:11], exec
	s_and_b64 s[14:15], s[14:15], exec
	s_or_b64 s[10:11], s[10:11], s[14:15]
	s_or_b64 exec, exec, s[12:13]
	s_and_saveexec_b64 s[12:13], s[10:11]
	s_cbranch_execnz .LBB249_566
	s_branch .LBB249_567
.LBB249_709:
	s_movk_i32 s12, 0x80
	v_cmp_eq_u16_sdwa s[18:19], v10, s12 src0_sel:BYTE_0 src1_sel:DWORD
	s_mov_b64 s[12:13], -1
	s_and_saveexec_b64 s[16:17], s[18:19]
; %bb.710:
	s_xor_b64 s[12:13], exec, -1
; %bb.711:
	s_or_b64 exec, exec, s[16:17]
	s_and_b64 s[12:13], s[12:13], exec
	s_or_saveexec_b64 s[14:15], s[14:15]
	v_mov_b32_e32 v12, 0x7f800001
	s_xor_b64 exec, exec, s[14:15]
	s_cbranch_execz .LBB249_571
.LBB249_712:
	v_mov_b32_e32 v12, 0
	v_cmp_ne_u16_sdwa s[16:17], v10, v12 src0_sel:BYTE_0 src1_sel:DWORD
	s_andn2_b64 s[12:13], s[12:13], exec
	s_and_b64 s[16:17], s[16:17], exec
	s_or_b64 s[12:13], s[12:13], s[16:17]
	s_or_b64 exec, exec, s[14:15]
	s_and_saveexec_b64 s[14:15], s[12:13]
	s_cbranch_execnz .LBB249_572
	s_branch .LBB249_573
.LBB249_713:
	s_movk_i32 s12, 0x80
	v_cmp_eq_u16_sdwa s[18:19], v8, s12 src0_sel:BYTE_0 src1_sel:DWORD
	s_mov_b64 s[12:13], -1
	s_and_saveexec_b64 s[16:17], s[18:19]
; %bb.714:
	s_xor_b64 s[12:13], exec, -1
; %bb.715:
	s_or_b64 exec, exec, s[16:17]
	s_and_b64 s[12:13], s[12:13], exec
	s_or_saveexec_b64 s[14:15], s[14:15]
	v_mov_b32_e32 v10, 0x7f800001
	s_xor_b64 exec, exec, s[14:15]
	s_cbranch_execz .LBB249_575
.LBB249_716:
	v_mov_b32_e32 v10, 0
	v_cmp_ne_u16_sdwa s[16:17], v8, v10 src0_sel:BYTE_0 src1_sel:DWORD
	s_andn2_b64 s[12:13], s[12:13], exec
	s_and_b64 s[16:17], s[16:17], exec
	s_or_b64 s[12:13], s[12:13], s[16:17]
	s_or_b64 exec, exec, s[14:15]
	s_and_saveexec_b64 s[14:15], s[12:13]
	s_cbranch_execnz .LBB249_576
	s_branch .LBB249_577
.LBB249_717:
	s_movk_i32 s14, 0x80
	v_cmp_eq_u16_sdwa s[20:21], v10, s14 src0_sel:BYTE_0 src1_sel:DWORD
	s_mov_b64 s[14:15], -1
	s_and_saveexec_b64 s[18:19], s[20:21]
; %bb.718:
	s_xor_b64 s[14:15], exec, -1
; %bb.719:
	s_or_b64 exec, exec, s[18:19]
	s_and_b64 s[14:15], s[14:15], exec
	s_or_saveexec_b64 s[16:17], s[16:17]
	v_mov_b32_e32 v12, 0x7f800001
	s_xor_b64 exec, exec, s[16:17]
	s_cbranch_execz .LBB249_581
.LBB249_720:
	v_mov_b32_e32 v12, 0
	v_cmp_ne_u16_sdwa s[18:19], v10, v12 src0_sel:BYTE_0 src1_sel:DWORD
	s_andn2_b64 s[14:15], s[14:15], exec
	s_and_b64 s[18:19], s[18:19], exec
	s_or_b64 s[14:15], s[14:15], s[18:19]
	s_or_b64 exec, exec, s[16:17]
	s_and_saveexec_b64 s[16:17], s[14:15]
	s_cbranch_execnz .LBB249_582
	s_branch .LBB249_583
.LBB249_721:
	s_movk_i32 s14, 0x80
	v_cmp_eq_u16_sdwa s[20:21], v8, s14 src0_sel:BYTE_0 src1_sel:DWORD
	s_mov_b64 s[14:15], -1
	s_and_saveexec_b64 s[18:19], s[20:21]
; %bb.722:
	s_xor_b64 s[14:15], exec, -1
; %bb.723:
	s_or_b64 exec, exec, s[18:19]
	s_and_b64 s[14:15], s[14:15], exec
	s_or_saveexec_b64 s[16:17], s[16:17]
	v_mov_b32_e32 v10, 0x7f800001
	s_xor_b64 exec, exec, s[16:17]
	s_cbranch_execz .LBB249_585
.LBB249_724:
	v_mov_b32_e32 v10, 0
	v_cmp_ne_u16_sdwa s[18:19], v8, v10 src0_sel:BYTE_0 src1_sel:DWORD
	s_andn2_b64 s[14:15], s[14:15], exec
	s_and_b64 s[18:19], s[18:19], exec
	s_or_b64 s[14:15], s[14:15], s[18:19]
	s_or_b64 exec, exec, s[16:17]
	s_and_saveexec_b64 s[16:17], s[14:15]
	s_cbranch_execnz .LBB249_586
	s_branch .LBB249_587
.LBB249_725:
	s_movk_i32 s16, 0x80
	v_cmp_eq_u16_sdwa s[22:23], v10, s16 src0_sel:BYTE_0 src1_sel:DWORD
	s_mov_b64 s[16:17], -1
	s_and_saveexec_b64 s[20:21], s[22:23]
; %bb.726:
	s_xor_b64 s[16:17], exec, -1
; %bb.727:
	s_or_b64 exec, exec, s[20:21]
	s_and_b64 s[16:17], s[16:17], exec
	s_or_saveexec_b64 s[18:19], s[18:19]
	v_mov_b32_e32 v12, 0x7f800001
	s_xor_b64 exec, exec, s[18:19]
	s_cbranch_execz .LBB249_591
.LBB249_728:
	v_mov_b32_e32 v12, 0
	v_cmp_ne_u16_sdwa s[20:21], v10, v12 src0_sel:BYTE_0 src1_sel:DWORD
	s_andn2_b64 s[16:17], s[16:17], exec
	s_and_b64 s[20:21], s[20:21], exec
	s_or_b64 s[16:17], s[16:17], s[20:21]
	s_or_b64 exec, exec, s[18:19]
	s_and_saveexec_b64 s[18:19], s[16:17]
	s_cbranch_execnz .LBB249_592
	s_branch .LBB249_593
.LBB249_729:
	s_movk_i32 s16, 0x80
	v_cmp_eq_u16_sdwa s[22:23], v8, s16 src0_sel:BYTE_0 src1_sel:DWORD
	s_mov_b64 s[16:17], -1
	s_and_saveexec_b64 s[20:21], s[22:23]
; %bb.730:
	s_xor_b64 s[16:17], exec, -1
; %bb.731:
	s_or_b64 exec, exec, s[20:21]
	s_and_b64 s[16:17], s[16:17], exec
	s_or_saveexec_b64 s[18:19], s[18:19]
	v_mov_b32_e32 v10, 0x7f800001
	s_xor_b64 exec, exec, s[18:19]
	s_cbranch_execz .LBB249_595
.LBB249_732:
	v_mov_b32_e32 v10, 0
	v_cmp_ne_u16_sdwa s[20:21], v8, v10 src0_sel:BYTE_0 src1_sel:DWORD
	s_andn2_b64 s[16:17], s[16:17], exec
	s_and_b64 s[20:21], s[20:21], exec
	s_or_b64 s[16:17], s[16:17], s[20:21]
	s_or_b64 exec, exec, s[18:19]
	s_and_saveexec_b64 s[18:19], s[16:17]
	s_cbranch_execnz .LBB249_596
	s_branch .LBB249_597
.LBB249_733:
	s_movk_i32 s18, 0x80
	v_cmp_eq_u16_sdwa s[24:25], v10, s18 src0_sel:BYTE_0 src1_sel:DWORD
	s_mov_b64 s[18:19], -1
	s_and_saveexec_b64 s[22:23], s[24:25]
; %bb.734:
	s_xor_b64 s[18:19], exec, -1
; %bb.735:
	s_or_b64 exec, exec, s[22:23]
	s_and_b64 s[18:19], s[18:19], exec
	s_or_saveexec_b64 s[20:21], s[20:21]
	v_mov_b32_e32 v12, 0x7f800001
	s_xor_b64 exec, exec, s[20:21]
	s_cbranch_execz .LBB249_601
.LBB249_736:
	v_mov_b32_e32 v12, 0
	v_cmp_ne_u16_sdwa s[22:23], v10, v12 src0_sel:BYTE_0 src1_sel:DWORD
	s_andn2_b64 s[18:19], s[18:19], exec
	s_and_b64 s[22:23], s[22:23], exec
	s_or_b64 s[18:19], s[18:19], s[22:23]
	s_or_b64 exec, exec, s[20:21]
	s_and_saveexec_b64 s[20:21], s[18:19]
	s_cbranch_execnz .LBB249_602
	s_branch .LBB249_603
.LBB249_737:
	s_movk_i32 s18, 0x80
	v_cmp_eq_u16_sdwa s[24:25], v8, s18 src0_sel:BYTE_0 src1_sel:DWORD
	s_mov_b64 s[18:19], -1
	s_and_saveexec_b64 s[22:23], s[24:25]
; %bb.738:
	s_xor_b64 s[18:19], exec, -1
; %bb.739:
	s_or_b64 exec, exec, s[22:23]
	s_and_b64 s[18:19], s[18:19], exec
	s_or_saveexec_b64 s[20:21], s[20:21]
	v_mov_b32_e32 v10, 0x7f800001
	s_xor_b64 exec, exec, s[20:21]
	s_cbranch_execz .LBB249_605
.LBB249_740:
	v_mov_b32_e32 v10, 0
	v_cmp_ne_u16_sdwa s[22:23], v8, v10 src0_sel:BYTE_0 src1_sel:DWORD
	s_andn2_b64 s[18:19], s[18:19], exec
	s_and_b64 s[22:23], s[22:23], exec
	s_or_b64 s[18:19], s[18:19], s[22:23]
	s_or_b64 exec, exec, s[20:21]
	s_and_saveexec_b64 s[20:21], s[18:19]
	s_cbranch_execnz .LBB249_606
	s_branch .LBB249_607
.LBB249_741:
	s_movk_i32 s20, 0x80
	v_cmp_eq_u16_sdwa s[26:27], v10, s20 src0_sel:BYTE_0 src1_sel:DWORD
	s_mov_b64 s[20:21], -1
	s_and_saveexec_b64 s[24:25], s[26:27]
; %bb.742:
	s_xor_b64 s[20:21], exec, -1
; %bb.743:
	s_or_b64 exec, exec, s[24:25]
	s_and_b64 s[20:21], s[20:21], exec
	s_or_saveexec_b64 s[22:23], s[22:23]
	v_mov_b32_e32 v12, 0x7f800001
	s_xor_b64 exec, exec, s[22:23]
	s_cbranch_execz .LBB249_611
.LBB249_744:
	v_mov_b32_e32 v12, 0
	v_cmp_ne_u16_sdwa s[24:25], v10, v12 src0_sel:BYTE_0 src1_sel:DWORD
	s_andn2_b64 s[20:21], s[20:21], exec
	s_and_b64 s[24:25], s[24:25], exec
	s_or_b64 s[20:21], s[20:21], s[24:25]
	s_or_b64 exec, exec, s[22:23]
	s_and_saveexec_b64 s[22:23], s[20:21]
	s_cbranch_execnz .LBB249_612
	s_branch .LBB249_613
.LBB249_745:
	s_movk_i32 s20, 0x80
	v_cmp_eq_u16_sdwa s[26:27], v8, s20 src0_sel:BYTE_0 src1_sel:DWORD
	s_mov_b64 s[20:21], -1
	s_and_saveexec_b64 s[24:25], s[26:27]
; %bb.746:
	s_xor_b64 s[20:21], exec, -1
; %bb.747:
	s_or_b64 exec, exec, s[24:25]
	s_and_b64 s[20:21], s[20:21], exec
	s_or_saveexec_b64 s[22:23], s[22:23]
	v_mov_b32_e32 v10, 0x7f800001
	s_xor_b64 exec, exec, s[22:23]
	s_cbranch_execz .LBB249_615
.LBB249_748:
	v_mov_b32_e32 v10, 0
	v_cmp_ne_u16_sdwa s[24:25], v8, v10 src0_sel:BYTE_0 src1_sel:DWORD
	s_andn2_b64 s[20:21], s[20:21], exec
	s_and_b64 s[24:25], s[24:25], exec
	s_or_b64 s[20:21], s[20:21], s[24:25]
	s_or_b64 exec, exec, s[22:23]
	s_and_saveexec_b64 s[22:23], s[20:21]
	s_cbranch_execnz .LBB249_616
	s_branch .LBB249_617
.LBB249_749:
	s_movk_i32 s2, 0x80
	v_cmp_eq_u16_sdwa s[22:23], v10, s2 src0_sel:BYTE_0 src1_sel:DWORD
	s_mov_b64 s[2:3], -1
	s_and_saveexec_b64 s[8:9], s[22:23]
; %bb.750:
	s_xor_b64 s[2:3], exec, -1
; %bb.751:
	s_or_b64 exec, exec, s[8:9]
	s_and_b64 s[2:3], s[2:3], exec
	s_or_saveexec_b64 s[6:7], s[6:7]
	v_mov_b32_e32 v9, 0x7f800001
	s_xor_b64 exec, exec, s[6:7]
	s_cbranch_execz .LBB249_621
.LBB249_752:
	v_mov_b32_e32 v9, 0
	v_cmp_ne_u16_sdwa s[8:9], v10, v9 src0_sel:BYTE_0 src1_sel:DWORD
	s_andn2_b64 s[2:3], s[2:3], exec
	s_and_b64 s[8:9], s[8:9], exec
	s_or_b64 s[2:3], s[2:3], s[8:9]
	s_or_b64 exec, exec, s[6:7]
	s_and_saveexec_b64 s[6:7], s[2:3]
	s_cbranch_execnz .LBB249_622
	s_branch .LBB249_623
.LBB249_753:
	s_movk_i32 s2, 0x80
	v_cmp_eq_u16_sdwa s[22:23], v8, s2 src0_sel:BYTE_0 src1_sel:DWORD
	s_mov_b64 s[2:3], -1
	s_and_saveexec_b64 s[8:9], s[22:23]
; %bb.754:
	s_xor_b64 s[2:3], exec, -1
; %bb.755:
	s_or_b64 exec, exec, s[8:9]
	s_and_b64 s[2:3], s[2:3], exec
	s_or_saveexec_b64 s[6:7], s[6:7]
	v_mov_b32_e32 v10, 0x7f800001
	s_xor_b64 exec, exec, s[6:7]
	s_cbranch_execz .LBB249_625
.LBB249_756:
	v_mov_b32_e32 v10, 0
	v_cmp_ne_u16_sdwa s[8:9], v8, v10 src0_sel:BYTE_0 src1_sel:DWORD
	s_andn2_b64 s[2:3], s[2:3], exec
	s_and_b64 s[8:9], s[8:9], exec
	s_or_b64 s[2:3], s[2:3], s[8:9]
	s_or_b64 exec, exec, s[6:7]
	s_and_saveexec_b64 s[6:7], s[2:3]
	s_cbranch_execnz .LBB249_626
	s_branch .LBB249_627
.LBB249_757:
	s_movk_i32 s2, 0x80
	v_cmp_eq_u16_sdwa s[8:9], v3, s2 src0_sel:BYTE_0 src1_sel:DWORD
	s_mov_b64 s[2:3], -1
	s_and_saveexec_b64 s[6:7], s[8:9]
; %bb.758:
	s_xor_b64 s[2:3], exec, -1
; %bb.759:
	s_or_b64 exec, exec, s[6:7]
	s_and_b64 s[2:3], s[2:3], exec
	s_or_saveexec_b64 s[4:5], s[4:5]
	v_mov_b32_e32 v2, 0x7f800001
	s_xor_b64 exec, exec, s[4:5]
	s_cbranch_execz .LBB249_359
.LBB249_760:
	v_mov_b32_e32 v2, 0
	v_cmp_ne_u16_sdwa s[6:7], v3, v2 src0_sel:BYTE_0 src1_sel:DWORD
	s_andn2_b64 s[2:3], s[2:3], exec
	s_and_b64 s[6:7], s[6:7], exec
	s_or_b64 s[2:3], s[2:3], s[6:7]
	s_or_b64 exec, exec, s[4:5]
	s_and_saveexec_b64 s[4:5], s[2:3]
	s_cbranch_execnz .LBB249_360
	s_branch .LBB249_361
.LBB249_761:
	s_movk_i32 s2, 0x80
	v_cmp_eq_u16_sdwa s[8:9], v1, s2 src0_sel:BYTE_0 src1_sel:DWORD
	s_mov_b64 s[2:3], -1
	s_and_saveexec_b64 s[6:7], s[8:9]
; %bb.762:
	s_xor_b64 s[2:3], exec, -1
; %bb.763:
	s_or_b64 exec, exec, s[6:7]
	s_and_b64 s[2:3], s[2:3], exec
	s_or_saveexec_b64 s[4:5], s[4:5]
	v_mov_b32_e32 v4, 0x7f800001
	s_xor_b64 exec, exec, s[4:5]
	s_cbranch_execz .LBB249_363
.LBB249_764:
	v_mov_b32_e32 v4, 0
	v_cmp_ne_u16_sdwa s[6:7], v1, v4 src0_sel:BYTE_0 src1_sel:DWORD
	s_andn2_b64 s[2:3], s[2:3], exec
	s_and_b64 s[6:7], s[6:7], exec
	s_or_b64 s[2:3], s[2:3], s[6:7]
	s_or_b64 exec, exec, s[4:5]
	s_and_saveexec_b64 s[4:5], s[2:3]
	s_cbranch_execnz .LBB249_364
	s_branch .LBB249_365
.LBB249_765:
	s_movk_i32 s2, 0x80
	v_cmp_eq_u16_sdwa s[8:9], v3, s2 src0_sel:BYTE_0 src1_sel:DWORD
	s_mov_b64 s[2:3], -1
	s_and_saveexec_b64 s[6:7], s[8:9]
; %bb.766:
	s_xor_b64 s[2:3], exec, -1
; %bb.767:
	s_or_b64 exec, exec, s[6:7]
	s_and_b64 s[2:3], s[2:3], exec
	s_or_saveexec_b64 s[4:5], s[4:5]
	v_mov_b32_e32 v2, 0x7f800001
	s_xor_b64 exec, exec, s[4:5]
	s_cbranch_execz .LBB249_369
.LBB249_768:
	v_mov_b32_e32 v2, 0
	v_cmp_ne_u16_sdwa s[6:7], v3, v2 src0_sel:BYTE_0 src1_sel:DWORD
	s_andn2_b64 s[2:3], s[2:3], exec
	s_and_b64 s[6:7], s[6:7], exec
	s_or_b64 s[2:3], s[2:3], s[6:7]
	s_or_b64 exec, exec, s[4:5]
	s_and_saveexec_b64 s[4:5], s[2:3]
	s_cbranch_execnz .LBB249_370
	s_branch .LBB249_371
.LBB249_769:
	s_movk_i32 s2, 0x80
	v_cmp_eq_u16_sdwa s[8:9], v1, s2 src0_sel:BYTE_0 src1_sel:DWORD
	s_mov_b64 s[2:3], -1
	s_and_saveexec_b64 s[6:7], s[8:9]
; %bb.770:
	s_xor_b64 s[2:3], exec, -1
; %bb.771:
	s_or_b64 exec, exec, s[6:7]
	s_and_b64 s[2:3], s[2:3], exec
	s_or_saveexec_b64 s[4:5], s[4:5]
	v_mov_b32_e32 v3, 0x7f800001
	s_xor_b64 exec, exec, s[4:5]
	s_cbranch_execz .LBB249_373
.LBB249_772:
	v_mov_b32_e32 v3, 0
	v_cmp_ne_u16_sdwa s[6:7], v1, v3 src0_sel:BYTE_0 src1_sel:DWORD
	s_andn2_b64 s[2:3], s[2:3], exec
	s_and_b64 s[6:7], s[6:7], exec
	s_or_b64 s[2:3], s[2:3], s[6:7]
	s_or_b64 exec, exec, s[4:5]
	s_and_saveexec_b64 s[4:5], s[2:3]
	s_cbranch_execnz .LBB249_374
	s_branch .LBB249_375
	.section	.rodata,"a",@progbits
	.p2align	6, 0x0
	.amdhsa_kernel _ZN2at6native32elementwise_kernel_manual_unrollILi128ELi8EZNS0_22gpu_kernel_impl_nocastINS0_13BinaryFunctorIN3c1015Float8_e5m2fnuzES5_bNS0_12_GLOBAL__N_116CompareEqFunctorIS5_EEEEEEvRNS_18TensorIteratorBaseERKT_EUlibE_EEviT1_
		.amdhsa_group_segment_fixed_size 0
		.amdhsa_private_segment_fixed_size 0
		.amdhsa_kernarg_size 432
		.amdhsa_user_sgpr_count 6
		.amdhsa_user_sgpr_private_segment_buffer 1
		.amdhsa_user_sgpr_dispatch_ptr 0
		.amdhsa_user_sgpr_queue_ptr 0
		.amdhsa_user_sgpr_kernarg_segment_ptr 1
		.amdhsa_user_sgpr_dispatch_id 0
		.amdhsa_user_sgpr_flat_scratch_init 0
		.amdhsa_user_sgpr_private_segment_size 0
		.amdhsa_uses_dynamic_stack 0
		.amdhsa_system_sgpr_private_segment_wavefront_offset 0
		.amdhsa_system_sgpr_workgroup_id_x 1
		.amdhsa_system_sgpr_workgroup_id_y 0
		.amdhsa_system_sgpr_workgroup_id_z 0
		.amdhsa_system_sgpr_workgroup_info 0
		.amdhsa_system_vgpr_workitem_id 0
		.amdhsa_next_free_vgpr 42
		.amdhsa_next_free_sgpr 54
		.amdhsa_reserve_vcc 1
		.amdhsa_reserve_flat_scratch 0
		.amdhsa_float_round_mode_32 0
		.amdhsa_float_round_mode_16_64 0
		.amdhsa_float_denorm_mode_32 3
		.amdhsa_float_denorm_mode_16_64 3
		.amdhsa_dx10_clamp 1
		.amdhsa_ieee_mode 1
		.amdhsa_fp16_overflow 0
		.amdhsa_exception_fp_ieee_invalid_op 0
		.amdhsa_exception_fp_denorm_src 0
		.amdhsa_exception_fp_ieee_div_zero 0
		.amdhsa_exception_fp_ieee_overflow 0
		.amdhsa_exception_fp_ieee_underflow 0
		.amdhsa_exception_fp_ieee_inexact 0
		.amdhsa_exception_int_div_zero 0
	.end_amdhsa_kernel
	.section	.text._ZN2at6native32elementwise_kernel_manual_unrollILi128ELi8EZNS0_22gpu_kernel_impl_nocastINS0_13BinaryFunctorIN3c1015Float8_e5m2fnuzES5_bNS0_12_GLOBAL__N_116CompareEqFunctorIS5_EEEEEEvRNS_18TensorIteratorBaseERKT_EUlibE_EEviT1_,"axG",@progbits,_ZN2at6native32elementwise_kernel_manual_unrollILi128ELi8EZNS0_22gpu_kernel_impl_nocastINS0_13BinaryFunctorIN3c1015Float8_e5m2fnuzES5_bNS0_12_GLOBAL__N_116CompareEqFunctorIS5_EEEEEEvRNS_18TensorIteratorBaseERKT_EUlibE_EEviT1_,comdat
.Lfunc_end249:
	.size	_ZN2at6native32elementwise_kernel_manual_unrollILi128ELi8EZNS0_22gpu_kernel_impl_nocastINS0_13BinaryFunctorIN3c1015Float8_e5m2fnuzES5_bNS0_12_GLOBAL__N_116CompareEqFunctorIS5_EEEEEEvRNS_18TensorIteratorBaseERKT_EUlibE_EEviT1_, .Lfunc_end249-_ZN2at6native32elementwise_kernel_manual_unrollILi128ELi8EZNS0_22gpu_kernel_impl_nocastINS0_13BinaryFunctorIN3c1015Float8_e5m2fnuzES5_bNS0_12_GLOBAL__N_116CompareEqFunctorIS5_EEEEEEvRNS_18TensorIteratorBaseERKT_EUlibE_EEviT1_
                                        ; -- End function
	.set _ZN2at6native32elementwise_kernel_manual_unrollILi128ELi8EZNS0_22gpu_kernel_impl_nocastINS0_13BinaryFunctorIN3c1015Float8_e5m2fnuzES5_bNS0_12_GLOBAL__N_116CompareEqFunctorIS5_EEEEEEvRNS_18TensorIteratorBaseERKT_EUlibE_EEviT1_.num_vgpr, 42
	.set _ZN2at6native32elementwise_kernel_manual_unrollILi128ELi8EZNS0_22gpu_kernel_impl_nocastINS0_13BinaryFunctorIN3c1015Float8_e5m2fnuzES5_bNS0_12_GLOBAL__N_116CompareEqFunctorIS5_EEEEEEvRNS_18TensorIteratorBaseERKT_EUlibE_EEviT1_.num_agpr, 0
	.set _ZN2at6native32elementwise_kernel_manual_unrollILi128ELi8EZNS0_22gpu_kernel_impl_nocastINS0_13BinaryFunctorIN3c1015Float8_e5m2fnuzES5_bNS0_12_GLOBAL__N_116CompareEqFunctorIS5_EEEEEEvRNS_18TensorIteratorBaseERKT_EUlibE_EEviT1_.numbered_sgpr, 54
	.set _ZN2at6native32elementwise_kernel_manual_unrollILi128ELi8EZNS0_22gpu_kernel_impl_nocastINS0_13BinaryFunctorIN3c1015Float8_e5m2fnuzES5_bNS0_12_GLOBAL__N_116CompareEqFunctorIS5_EEEEEEvRNS_18TensorIteratorBaseERKT_EUlibE_EEviT1_.num_named_barrier, 0
	.set _ZN2at6native32elementwise_kernel_manual_unrollILi128ELi8EZNS0_22gpu_kernel_impl_nocastINS0_13BinaryFunctorIN3c1015Float8_e5m2fnuzES5_bNS0_12_GLOBAL__N_116CompareEqFunctorIS5_EEEEEEvRNS_18TensorIteratorBaseERKT_EUlibE_EEviT1_.private_seg_size, 0
	.set _ZN2at6native32elementwise_kernel_manual_unrollILi128ELi8EZNS0_22gpu_kernel_impl_nocastINS0_13BinaryFunctorIN3c1015Float8_e5m2fnuzES5_bNS0_12_GLOBAL__N_116CompareEqFunctorIS5_EEEEEEvRNS_18TensorIteratorBaseERKT_EUlibE_EEviT1_.uses_vcc, 1
	.set _ZN2at6native32elementwise_kernel_manual_unrollILi128ELi8EZNS0_22gpu_kernel_impl_nocastINS0_13BinaryFunctorIN3c1015Float8_e5m2fnuzES5_bNS0_12_GLOBAL__N_116CompareEqFunctorIS5_EEEEEEvRNS_18TensorIteratorBaseERKT_EUlibE_EEviT1_.uses_flat_scratch, 0
	.set _ZN2at6native32elementwise_kernel_manual_unrollILi128ELi8EZNS0_22gpu_kernel_impl_nocastINS0_13BinaryFunctorIN3c1015Float8_e5m2fnuzES5_bNS0_12_GLOBAL__N_116CompareEqFunctorIS5_EEEEEEvRNS_18TensorIteratorBaseERKT_EUlibE_EEviT1_.has_dyn_sized_stack, 0
	.set _ZN2at6native32elementwise_kernel_manual_unrollILi128ELi8EZNS0_22gpu_kernel_impl_nocastINS0_13BinaryFunctorIN3c1015Float8_e5m2fnuzES5_bNS0_12_GLOBAL__N_116CompareEqFunctorIS5_EEEEEEvRNS_18TensorIteratorBaseERKT_EUlibE_EEviT1_.has_recursion, 0
	.set _ZN2at6native32elementwise_kernel_manual_unrollILi128ELi8EZNS0_22gpu_kernel_impl_nocastINS0_13BinaryFunctorIN3c1015Float8_e5m2fnuzES5_bNS0_12_GLOBAL__N_116CompareEqFunctorIS5_EEEEEEvRNS_18TensorIteratorBaseERKT_EUlibE_EEviT1_.has_indirect_call, 0
	.section	.AMDGPU.csdata,"",@progbits
; Kernel info:
; codeLenInByte = 25716
; TotalNumSgprs: 58
; NumVgprs: 42
; ScratchSize: 0
; MemoryBound: 0
; FloatMode: 240
; IeeeMode: 1
; LDSByteSize: 0 bytes/workgroup (compile time only)
; SGPRBlocks: 7
; VGPRBlocks: 10
; NumSGPRsForWavesPerEU: 58
; NumVGPRsForWavesPerEU: 42
; Occupancy: 5
; WaveLimiterHint : 1
; COMPUTE_PGM_RSRC2:SCRATCH_EN: 0
; COMPUTE_PGM_RSRC2:USER_SGPR: 6
; COMPUTE_PGM_RSRC2:TRAP_HANDLER: 0
; COMPUTE_PGM_RSRC2:TGID_X_EN: 1
; COMPUTE_PGM_RSRC2:TGID_Y_EN: 0
; COMPUTE_PGM_RSRC2:TGID_Z_EN: 0
; COMPUTE_PGM_RSRC2:TIDIG_COMP_CNT: 0
	.text
	.p2align	2                               ; -- Begin function _ZN2at6native6invokeINS0_13BinaryFunctorIN3c1015Float8_e5m2fnuzES4_bNS0_12_GLOBAL__N_116CompareEqFunctorIS4_EEEEi15function_traitsIS8_EEENT1_11result_typeERKT_PrKPcPKT0_PKNS3_10ScalarTypeEi
	.type	_ZN2at6native6invokeINS0_13BinaryFunctorIN3c1015Float8_e5m2fnuzES4_bNS0_12_GLOBAL__N_116CompareEqFunctorIS4_EEEEi15function_traitsIS8_EEENT1_11result_typeERKT_PrKPcPKT0_PKNS3_10ScalarTypeEi,@function
_ZN2at6native6invokeINS0_13BinaryFunctorIN3c1015Float8_e5m2fnuzES4_bNS0_12_GLOBAL__N_116CompareEqFunctorIS4_EEEEi15function_traitsIS8_EEENT1_11result_typeERKT_PrKPcPKT0_PKNS3_10ScalarTypeEi: ; @_ZN2at6native6invokeINS0_13BinaryFunctorIN3c1015Float8_e5m2fnuzES4_bNS0_12_GLOBAL__N_116CompareEqFunctorIS4_EEEEi15function_traitsIS8_EEENT1_11result_typeERKT_PrKPcPKT0_PKNS3_10ScalarTypeEi
; %bb.0:
	s_waitcnt vmcnt(0) expcnt(0) lgkmcnt(0)
	flat_load_dword v10, v[3:4]
	flat_load_ubyte v11, v[5:6]
	flat_load_dwordx2 v[8:9], v[1:2]
	s_mov_b64 s[10:11], 0
	s_mov_b64 s[6:7], 0
	s_waitcnt vmcnt(0) lgkmcnt(0)
	v_mul_lo_u32 v10, v10, v7
	v_cmp_lt_i16_e32 vcc, 10, v11
	v_ashrrev_i32_e32 v12, 31, v10
	v_add_co_u32_e64 v8, s[4:5], v8, v10
	v_addc_co_u32_e64 v9, s[4:5], v9, v12, s[4:5]
                                        ; implicit-def: $vgpr10
	s_and_saveexec_b64 s[4:5], vcc
	s_xor_b64 s[4:5], exec, s[4:5]
	s_cbranch_execz .LBB250_13
; %bb.1:
	v_cmp_lt_i16_e32 vcc, 25, v11
	s_mov_b64 s[12:13], 0
                                        ; implicit-def: $vgpr10
	s_and_saveexec_b64 s[8:9], vcc
	s_xor_b64 s[8:9], exec, s[8:9]
	s_cbranch_execnz .LBB250_268
; %bb.2:
	s_andn2_saveexec_b64 s[8:9], s[8:9]
	s_cbranch_execnz .LBB250_335
.LBB250_3:
	s_or_b64 exec, exec, s[8:9]
	s_mov_b64 s[8:9], 0
	s_and_saveexec_b64 s[14:15], s[12:13]
	s_cbranch_execnz .LBB250_372
.LBB250_4:
	s_or_b64 exec, exec, s[14:15]
	s_and_saveexec_b64 s[12:13], s[6:7]
	s_xor_b64 s[6:7], exec, s[12:13]
	s_cbranch_execz .LBB250_12
.LBB250_5:
	flat_load_ubyte v8, v[8:9]
	s_mov_b32 s12, 0x47800000
	s_waitcnt vmcnt(0) lgkmcnt(0)
	v_mov_b32_e32 v10, 0x80
	v_cmp_ne_u16_e32 vcc, 0, v8
	v_cndmask_b32_e64 v9, 0, 1.0, vcc
	v_cmp_gt_u32_e32 vcc, s12, v9
	s_and_saveexec_b64 s[12:13], vcc
	s_cbranch_execz .LBB250_11
; %bb.6:
	s_mov_b32 s14, 0x37ffffff
	v_cmp_lt_u32_e32 vcc, s14, v9
	s_mov_b64 s[14:15], 0
                                        ; implicit-def: $vgpr8
	s_and_saveexec_b64 s[16:17], vcc
	s_xor_b64 s[16:17], exec, s[16:17]
	s_cbranch_execnz .LBB250_496
; %bb.7:
	s_andn2_saveexec_b64 s[16:17], s[16:17]
	s_cbranch_execnz .LBB250_497
.LBB250_8:
	s_or_b64 exec, exec, s[16:17]
	v_mov_b32_e32 v10, 0
	s_and_saveexec_b64 s[16:17], s[14:15]
.LBB250_9:
	v_mov_b32_e32 v10, v8
.LBB250_10:
	s_or_b64 exec, exec, s[16:17]
.LBB250_11:
	s_or_b64 exec, exec, s[12:13]
	s_or_b64 s[10:11], s[10:11], exec
.LBB250_12:
	s_or_b64 exec, exec, s[6:7]
	s_and_b64 s[6:7], s[8:9], exec
	s_and_b64 s[10:11], s[10:11], exec
                                        ; implicit-def: $vgpr11
                                        ; implicit-def: $vgpr8_vgpr9
.LBB250_13:
	s_andn2_saveexec_b64 s[4:5], s[4:5]
	s_cbranch_execz .LBB250_121
; %bb.14:
	v_cmp_lt_i16_e32 vcc, 4, v11
                                        ; implicit-def: $vgpr10
	s_and_saveexec_b64 s[8:9], vcc
	s_xor_b64 s[8:9], exec, s[8:9]
	s_cbranch_execz .LBB250_72
; %bb.15:
	v_cmp_lt_i16_e32 vcc, 7, v11
                                        ; implicit-def: $vgpr10
	s_and_saveexec_b64 s[12:13], vcc
	s_xor_b64 s[12:13], exec, s[12:13]
	;; [unrolled: 6-line block ×4, first 2 shown]
	s_cbranch_execz .LBB250_25
; %bb.18:
	flat_load_dwordx2 v[8:9], v[8:9]
	s_mov_b32 s18, 0x47800000
	s_waitcnt vmcnt(0) lgkmcnt(0)
	v_mov_b32_e32 v10, 0x80
	v_cvt_f32_f64_e32 v8, v[8:9]
	v_and_b32_e32 v9, 0x7fffffff, v8
	v_cmp_gt_u32_e32 vcc, s18, v9
	s_and_saveexec_b64 s[18:19], vcc
	s_cbranch_execz .LBB250_24
; %bb.19:
	s_mov_b32 s20, 0x37ffffff
	v_cmp_lt_u32_e32 vcc, s20, v9
	s_mov_b64 s[20:21], 0
                                        ; implicit-def: $vgpr9
	s_and_saveexec_b64 s[22:23], vcc
	s_xor_b64 s[22:23], exec, s[22:23]
	s_cbranch_execnz .LBB250_530
; %bb.20:
	s_andn2_saveexec_b64 s[22:23], s[22:23]
	s_cbranch_execnz .LBB250_531
.LBB250_21:
	s_or_b64 exec, exec, s[22:23]
	v_mov_b32_e32 v10, 0
	s_and_saveexec_b64 s[22:23], s[20:21]
.LBB250_22:
	v_lshrrev_b32_e32 v8, 24, v8
	s_movk_i32 s20, 0x80
	v_and_or_b32 v10, v8, s20, v9
.LBB250_23:
	s_or_b64 exec, exec, s[22:23]
.LBB250_24:
	s_or_b64 exec, exec, s[18:19]
                                        ; implicit-def: $vgpr8_vgpr9
.LBB250_25:
	s_andn2_saveexec_b64 s[16:17], s[16:17]
	s_cbranch_execz .LBB250_33
; %bb.26:
	flat_load_dword v8, v[8:9]
	s_mov_b32 s18, 0x47800000
	s_waitcnt vmcnt(0) lgkmcnt(0)
	v_mov_b32_e32 v10, 0x80
	v_and_b32_e32 v9, 0x7fffffff, v8
	v_cmp_gt_u32_e32 vcc, s18, v9
	s_and_saveexec_b64 s[18:19], vcc
	s_cbranch_execz .LBB250_32
; %bb.27:
	s_mov_b32 s20, 0x37ffffff
	v_cmp_lt_u32_e32 vcc, s20, v9
	s_mov_b64 s[20:21], 0
                                        ; implicit-def: $vgpr9
	s_and_saveexec_b64 s[22:23], vcc
	s_xor_b64 s[22:23], exec, s[22:23]
	s_cbranch_execnz .LBB250_532
; %bb.28:
	s_andn2_saveexec_b64 s[22:23], s[22:23]
	s_cbranch_execnz .LBB250_533
.LBB250_29:
	s_or_b64 exec, exec, s[22:23]
	v_mov_b32_e32 v10, 0
	s_and_saveexec_b64 s[22:23], s[20:21]
.LBB250_30:
	v_lshrrev_b32_e32 v8, 24, v8
	s_movk_i32 s20, 0x80
	v_and_or_b32 v10, v8, s20, v9
.LBB250_31:
	s_or_b64 exec, exec, s[22:23]
.LBB250_32:
	s_or_b64 exec, exec, s[18:19]
.LBB250_33:
	s_or_b64 exec, exec, s[16:17]
                                        ; implicit-def: $vgpr8_vgpr9
.LBB250_34:
	s_andn2_saveexec_b64 s[14:15], s[14:15]
	s_cbranch_execz .LBB250_42
; %bb.35:
	flat_load_dword v8, v[8:9]
	s_mov_b32 s16, 0x47800000
	s_waitcnt vmcnt(0) lgkmcnt(0)
	v_mov_b32_e32 v10, 0x80
	v_cvt_f32_f16_e32 v8, v8
	v_and_b32_e32 v9, 0x7fffffff, v8
	v_cmp_gt_u32_e32 vcc, s16, v9
	s_and_saveexec_b64 s[16:17], vcc
	s_cbranch_execz .LBB250_41
; %bb.36:
	s_mov_b32 s18, 0x37ffffff
	v_cmp_lt_u32_e32 vcc, s18, v9
	s_mov_b64 s[18:19], 0
                                        ; implicit-def: $vgpr9
	s_and_saveexec_b64 s[20:21], vcc
	s_xor_b64 s[20:21], exec, s[20:21]
	s_cbranch_execnz .LBB250_502
; %bb.37:
	s_andn2_saveexec_b64 s[20:21], s[20:21]
	s_cbranch_execnz .LBB250_503
.LBB250_38:
	s_or_b64 exec, exec, s[20:21]
	v_mov_b32_e32 v10, 0
	s_and_saveexec_b64 s[20:21], s[18:19]
.LBB250_39:
	v_lshrrev_b32_e32 v8, 24, v8
	s_movk_i32 s18, 0x80
	v_and_or_b32 v10, v8, s18, v9
.LBB250_40:
	s_or_b64 exec, exec, s[20:21]
.LBB250_41:
	s_or_b64 exec, exec, s[16:17]
.LBB250_42:
	s_or_b64 exec, exec, s[14:15]
                                        ; implicit-def: $vgpr11
                                        ; implicit-def: $vgpr8_vgpr9
.LBB250_43:
	s_andn2_saveexec_b64 s[12:13], s[12:13]
	s_cbranch_execz .LBB250_71
; %bb.44:
	v_cmp_lt_i16_e32 vcc, 5, v11
                                        ; implicit-def: $vgpr10
	s_and_saveexec_b64 s[14:15], vcc
	s_xor_b64 s[14:15], exec, s[14:15]
	s_cbranch_execz .LBB250_62
; %bb.45:
	v_cmp_lt_i16_e32 vcc, 6, v11
                                        ; implicit-def: $vgpr10
	s_and_saveexec_b64 s[16:17], vcc
	s_xor_b64 s[16:17], exec, s[16:17]
	s_cbranch_execz .LBB250_53
; %bb.46:
	flat_load_dwordx2 v[8:9], v[8:9]
	s_mov_b32 s18, 0x47800000
	s_waitcnt vmcnt(0) lgkmcnt(0)
	v_mov_b32_e32 v10, 0x80
	v_cvt_f32_f64_e32 v8, v[8:9]
	v_and_b32_e32 v9, 0x7fffffff, v8
	v_cmp_gt_u32_e32 vcc, s18, v9
	s_and_saveexec_b64 s[18:19], vcc
	s_cbranch_execz .LBB250_52
; %bb.47:
	s_mov_b32 s20, 0x37ffffff
	v_cmp_lt_u32_e32 vcc, s20, v9
	s_mov_b64 s[20:21], 0
                                        ; implicit-def: $vgpr9
	s_and_saveexec_b64 s[22:23], vcc
	s_xor_b64 s[22:23], exec, s[22:23]
	s_cbranch_execnz .LBB250_534
; %bb.48:
	s_andn2_saveexec_b64 s[22:23], s[22:23]
	s_cbranch_execnz .LBB250_535
.LBB250_49:
	s_or_b64 exec, exec, s[22:23]
	v_mov_b32_e32 v10, 0
	s_and_saveexec_b64 s[22:23], s[20:21]
.LBB250_50:
	v_lshrrev_b32_e32 v8, 24, v8
	s_movk_i32 s20, 0x80
	v_and_or_b32 v10, v8, s20, v9
.LBB250_51:
	s_or_b64 exec, exec, s[22:23]
.LBB250_52:
	s_or_b64 exec, exec, s[18:19]
                                        ; implicit-def: $vgpr8_vgpr9
.LBB250_53:
	s_andn2_saveexec_b64 s[16:17], s[16:17]
	s_cbranch_execz .LBB250_61
; %bb.54:
	flat_load_dword v8, v[8:9]
	s_mov_b32 s18, 0x47800000
	s_waitcnt vmcnt(0) lgkmcnt(0)
	v_mov_b32_e32 v10, 0x80
	v_and_b32_e32 v9, 0x7fffffff, v8
	v_cmp_gt_u32_e32 vcc, s18, v9
	s_and_saveexec_b64 s[18:19], vcc
	s_cbranch_execz .LBB250_60
; %bb.55:
	s_mov_b32 s20, 0x37ffffff
	v_cmp_lt_u32_e32 vcc, s20, v9
	s_mov_b64 s[20:21], 0
                                        ; implicit-def: $vgpr9
	s_and_saveexec_b64 s[22:23], vcc
	s_xor_b64 s[22:23], exec, s[22:23]
	s_cbranch_execnz .LBB250_536
; %bb.56:
	s_andn2_saveexec_b64 s[22:23], s[22:23]
	s_cbranch_execnz .LBB250_537
.LBB250_57:
	s_or_b64 exec, exec, s[22:23]
	v_mov_b32_e32 v10, 0
	s_and_saveexec_b64 s[22:23], s[20:21]
.LBB250_58:
	v_lshrrev_b32_e32 v8, 24, v8
	s_movk_i32 s20, 0x80
	v_and_or_b32 v10, v8, s20, v9
.LBB250_59:
	s_or_b64 exec, exec, s[22:23]
.LBB250_60:
	s_or_b64 exec, exec, s[18:19]
.LBB250_61:
	s_or_b64 exec, exec, s[16:17]
                                        ; implicit-def: $vgpr8_vgpr9
.LBB250_62:
	s_andn2_saveexec_b64 s[14:15], s[14:15]
	s_cbranch_execz .LBB250_70
; %bb.63:
	flat_load_ushort v8, v[8:9]
	s_mov_b32 s16, 0x47800000
	s_waitcnt vmcnt(0) lgkmcnt(0)
	v_mov_b32_e32 v10, 0x80
	v_cvt_f32_f16_e32 v8, v8
	v_and_b32_e32 v9, 0x7fffffff, v8
	v_cmp_gt_u32_e32 vcc, s16, v9
	s_and_saveexec_b64 s[16:17], vcc
	s_cbranch_execz .LBB250_69
; %bb.64:
	s_mov_b32 s18, 0x37ffffff
	v_cmp_lt_u32_e32 vcc, s18, v9
	s_mov_b64 s[18:19], 0
                                        ; implicit-def: $vgpr9
	s_and_saveexec_b64 s[20:21], vcc
	s_xor_b64 s[20:21], exec, s[20:21]
	s_cbranch_execnz .LBB250_504
; %bb.65:
	s_andn2_saveexec_b64 s[20:21], s[20:21]
	s_cbranch_execnz .LBB250_505
.LBB250_66:
	s_or_b64 exec, exec, s[20:21]
	v_mov_b32_e32 v10, 0
	s_and_saveexec_b64 s[20:21], s[18:19]
.LBB250_67:
	v_lshrrev_b32_e32 v8, 24, v8
	s_movk_i32 s18, 0x80
	v_and_or_b32 v10, v8, s18, v9
.LBB250_68:
	s_or_b64 exec, exec, s[20:21]
.LBB250_69:
	s_or_b64 exec, exec, s[16:17]
.LBB250_70:
	s_or_b64 exec, exec, s[14:15]
.LBB250_71:
	s_or_b64 exec, exec, s[12:13]
                                        ; implicit-def: $vgpr11
                                        ; implicit-def: $vgpr8_vgpr9
.LBB250_72:
	s_andn2_saveexec_b64 s[8:9], s[8:9]
	s_cbranch_execz .LBB250_120
; %bb.73:
	v_cmp_lt_i16_e32 vcc, 1, v11
                                        ; implicit-def: $vgpr10
	s_and_saveexec_b64 s[12:13], vcc
	s_xor_b64 s[12:13], exec, s[12:13]
	s_cbranch_execz .LBB250_101
; %bb.74:
	v_cmp_lt_i16_e32 vcc, 2, v11
                                        ; implicit-def: $vgpr10
	s_and_saveexec_b64 s[14:15], vcc
	s_xor_b64 s[14:15], exec, s[14:15]
	;; [unrolled: 6-line block ×3, first 2 shown]
	s_cbranch_execz .LBB250_83
; %bb.76:
	flat_load_dwordx2 v[8:9], v[8:9]
	s_mov_b32 s18, 0x47800000
	s_waitcnt vmcnt(0) lgkmcnt(0)
	v_xor_b32_e32 v11, v8, v9
	v_ffbh_i32_e32 v10, v9
	v_ashrrev_i32_e32 v11, 31, v11
	v_add_u32_e32 v10, -1, v10
	v_add_u32_e32 v11, 32, v11
	v_min_u32_e32 v10, v10, v11
	v_lshlrev_b64 v[8:9], v10, v[8:9]
	v_min_u32_e32 v8, 1, v8
	v_or_b32_e32 v8, v9, v8
	v_cvt_f32_i32_e32 v8, v8
	v_sub_u32_e32 v9, 32, v10
	v_mov_b32_e32 v10, 0x80
	v_ldexp_f32 v8, v8, v9
	v_and_b32_e32 v9, 0x7fffffff, v8
	v_cmp_gt_u32_e32 vcc, s18, v9
	s_and_saveexec_b64 s[18:19], vcc
	s_cbranch_execz .LBB250_82
; %bb.77:
	s_mov_b32 s20, 0x37ffffff
	v_cmp_lt_u32_e32 vcc, s20, v9
	s_mov_b64 s[20:21], 0
                                        ; implicit-def: $vgpr9
	s_and_saveexec_b64 s[22:23], vcc
	s_xor_b64 s[22:23], exec, s[22:23]
	s_cbranch_execnz .LBB250_538
; %bb.78:
	s_andn2_saveexec_b64 s[22:23], s[22:23]
	s_cbranch_execnz .LBB250_539
.LBB250_79:
	s_or_b64 exec, exec, s[22:23]
	v_mov_b32_e32 v10, 0
	s_and_saveexec_b64 s[22:23], s[20:21]
.LBB250_80:
	v_lshrrev_b32_e32 v8, 24, v8
	s_movk_i32 s20, 0x80
	v_and_or_b32 v10, v8, s20, v9
.LBB250_81:
	s_or_b64 exec, exec, s[22:23]
.LBB250_82:
	s_or_b64 exec, exec, s[18:19]
                                        ; implicit-def: $vgpr8_vgpr9
.LBB250_83:
	s_andn2_saveexec_b64 s[16:17], s[16:17]
	s_cbranch_execz .LBB250_91
; %bb.84:
	flat_load_dword v8, v[8:9]
	s_mov_b32 s18, 0x47800000
	s_waitcnt vmcnt(0) lgkmcnt(0)
	v_mov_b32_e32 v10, 0x80
	v_cvt_f32_i32_e32 v8, v8
	v_and_b32_e32 v9, 0x7fffffff, v8
	v_cmp_gt_u32_e32 vcc, s18, v9
	s_and_saveexec_b64 s[18:19], vcc
	s_cbranch_execz .LBB250_90
; %bb.85:
	s_mov_b32 s20, 0x37ffffff
	v_cmp_lt_u32_e32 vcc, s20, v9
	s_mov_b64 s[20:21], 0
                                        ; implicit-def: $vgpr9
	s_and_saveexec_b64 s[22:23], vcc
	s_xor_b64 s[22:23], exec, s[22:23]
	s_cbranch_execnz .LBB250_540
; %bb.86:
	s_andn2_saveexec_b64 s[22:23], s[22:23]
	s_cbranch_execnz .LBB250_541
.LBB250_87:
	s_or_b64 exec, exec, s[22:23]
	v_mov_b32_e32 v10, 0
	s_and_saveexec_b64 s[22:23], s[20:21]
.LBB250_88:
	v_lshrrev_b32_e32 v8, 24, v8
	s_movk_i32 s20, 0x80
	v_and_or_b32 v10, v8, s20, v9
.LBB250_89:
	s_or_b64 exec, exec, s[22:23]
.LBB250_90:
	s_or_b64 exec, exec, s[18:19]
.LBB250_91:
	s_or_b64 exec, exec, s[16:17]
                                        ; implicit-def: $vgpr8_vgpr9
.LBB250_92:
	s_andn2_saveexec_b64 s[14:15], s[14:15]
	s_cbranch_execz .LBB250_100
; %bb.93:
	flat_load_sshort v8, v[8:9]
	s_mov_b32 s16, 0x47800000
	s_waitcnt vmcnt(0) lgkmcnt(0)
	v_mov_b32_e32 v10, 0x80
	v_cvt_f32_i32_e32 v8, v8
	v_and_b32_e32 v9, 0x7fffffff, v8
	v_cmp_gt_u32_e32 vcc, s16, v9
	s_and_saveexec_b64 s[16:17], vcc
	s_cbranch_execz .LBB250_99
; %bb.94:
	s_mov_b32 s18, 0x37ffffff
	v_cmp_lt_u32_e32 vcc, s18, v9
	s_mov_b64 s[18:19], 0
                                        ; implicit-def: $vgpr9
	s_and_saveexec_b64 s[20:21], vcc
	s_xor_b64 s[20:21], exec, s[20:21]
	s_cbranch_execnz .LBB250_506
; %bb.95:
	s_andn2_saveexec_b64 s[20:21], s[20:21]
	s_cbranch_execnz .LBB250_507
.LBB250_96:
	s_or_b64 exec, exec, s[20:21]
	v_mov_b32_e32 v10, 0
	s_and_saveexec_b64 s[20:21], s[18:19]
.LBB250_97:
	v_lshrrev_b32_e32 v8, 24, v8
	s_movk_i32 s18, 0x80
	v_and_or_b32 v10, v8, s18, v9
.LBB250_98:
	s_or_b64 exec, exec, s[20:21]
.LBB250_99:
	s_or_b64 exec, exec, s[16:17]
.LBB250_100:
	s_or_b64 exec, exec, s[14:15]
                                        ; implicit-def: $vgpr11
                                        ; implicit-def: $vgpr8_vgpr9
.LBB250_101:
	s_andn2_saveexec_b64 s[12:13], s[12:13]
	s_cbranch_execz .LBB250_119
; %bb.102:
	v_cmp_lt_i16_e32 vcc, 0, v11
                                        ; implicit-def: $vgpr10
	s_and_saveexec_b64 s[14:15], vcc
	s_xor_b64 s[14:15], exec, s[14:15]
	s_cbranch_execz .LBB250_110
; %bb.103:
	flat_load_sbyte v8, v[8:9]
	s_mov_b32 s16, 0x47800000
	s_waitcnt vmcnt(0) lgkmcnt(0)
	v_mov_b32_e32 v10, 0x80
	v_cvt_f32_i32_e32 v8, v8
	v_and_b32_e32 v9, 0x7fffffff, v8
	v_cmp_gt_u32_e32 vcc, s16, v9
	s_and_saveexec_b64 s[16:17], vcc
	s_cbranch_execz .LBB250_109
; %bb.104:
	s_mov_b32 s18, 0x37ffffff
	v_cmp_lt_u32_e32 vcc, s18, v9
	s_mov_b64 s[18:19], 0
                                        ; implicit-def: $vgpr9
	s_and_saveexec_b64 s[20:21], vcc
	s_xor_b64 s[20:21], exec, s[20:21]
	s_cbranch_execnz .LBB250_508
; %bb.105:
	s_andn2_saveexec_b64 s[20:21], s[20:21]
	s_cbranch_execnz .LBB250_509
.LBB250_106:
	s_or_b64 exec, exec, s[20:21]
	v_mov_b32_e32 v10, 0
	s_and_saveexec_b64 s[20:21], s[18:19]
.LBB250_107:
	v_lshrrev_b32_e32 v8, 24, v8
	s_movk_i32 s18, 0x80
	v_and_or_b32 v10, v8, s18, v9
.LBB250_108:
	s_or_b64 exec, exec, s[20:21]
.LBB250_109:
	s_or_b64 exec, exec, s[16:17]
                                        ; implicit-def: $vgpr8_vgpr9
.LBB250_110:
	s_andn2_saveexec_b64 s[14:15], s[14:15]
	s_cbranch_execz .LBB250_118
; %bb.111:
	flat_load_ubyte v8, v[8:9]
	s_mov_b32 s16, 0x47800000
	s_waitcnt vmcnt(0) lgkmcnt(0)
	v_mov_b32_e32 v10, 0x80
	v_cvt_f32_ubyte0_e32 v9, v8
	v_cmp_gt_u32_e32 vcc, s16, v9
	s_and_saveexec_b64 s[16:17], vcc
	s_cbranch_execz .LBB250_117
; %bb.112:
	s_mov_b32 s18, 0x37ffffff
	v_cmp_lt_u32_e32 vcc, s18, v9
	s_mov_b64 s[18:19], 0
                                        ; implicit-def: $vgpr8
	s_and_saveexec_b64 s[20:21], vcc
	s_xor_b64 s[20:21], exec, s[20:21]
	s_cbranch_execnz .LBB250_510
; %bb.113:
	s_andn2_saveexec_b64 s[20:21], s[20:21]
	s_cbranch_execnz .LBB250_511
.LBB250_114:
	s_or_b64 exec, exec, s[20:21]
	v_mov_b32_e32 v10, 0
	s_and_saveexec_b64 s[20:21], s[18:19]
.LBB250_115:
	v_mov_b32_e32 v10, v8
.LBB250_116:
	s_or_b64 exec, exec, s[20:21]
.LBB250_117:
	s_or_b64 exec, exec, s[16:17]
.LBB250_118:
	s_or_b64 exec, exec, s[14:15]
.LBB250_119:
	s_or_b64 exec, exec, s[12:13]
.LBB250_120:
	s_or_b64 exec, exec, s[8:9]
	s_or_b64 s[10:11], s[10:11], exec
.LBB250_121:
	s_or_b64 exec, exec, s[4:5]
	s_mov_b64 s[14:15], 0
	s_mov_b64 s[12:13], 0
	;; [unrolled: 1-line block ×3, first 2 shown]
                                        ; implicit-def: $vgpr11
                                        ; implicit-def: $vgpr8_vgpr9
                                        ; implicit-def: $vgpr12
	s_and_saveexec_b64 s[8:9], s[10:11]
	s_cbranch_execnz .LBB250_127
; %bb.122:
	s_or_b64 exec, exec, s[8:9]
	s_and_saveexec_b64 s[8:9], s[6:7]
	s_cbranch_execnz .LBB250_133
.LBB250_123:
	s_or_b64 exec, exec, s[8:9]
	s_and_saveexec_b64 s[6:7], s[14:15]
	s_xor_b64 s[6:7], exec, s[6:7]
	s_cbranch_execnz .LBB250_134
.LBB250_124:
	s_or_b64 exec, exec, s[6:7]
	s_and_saveexec_b64 s[6:7], s[12:13]
	s_cbranch_execnz .LBB250_141
.LBB250_125:
	s_or_b64 exec, exec, s[6:7]
                                        ; implicit-def: $sgpr8_sgpr9
	s_and_saveexec_b64 s[6:7], s[4:5]
	s_cbranch_execnz .LBB250_248
.LBB250_126:
	s_or_b64 exec, exec, s[6:7]
	v_cndmask_b32_e64 v0, 0, 1, s[8:9]
	s_waitcnt vmcnt(0) lgkmcnt(0)
	s_setpc_b64 s[30:31]
.LBB250_127:
	flat_load_dword v12, v[3:4] offset:4
	flat_load_ubyte v11, v[5:6] offset:1
	flat_load_dwordx2 v[8:9], v[1:2] offset:8
	s_mov_b64 s[12:13], -1
	s_mov_b64 s[10:11], 0
	s_mov_b64 s[16:17], s[6:7]
	s_waitcnt vmcnt(0) lgkmcnt(0)
	v_mul_lo_u32 v1, v12, v7
	v_cmp_lt_i16_e32 vcc, 10, v11
                                        ; implicit-def: $vgpr12
	v_ashrrev_i32_e32 v2, 31, v1
	v_add_co_u32_e64 v8, s[4:5], v8, v1
	v_addc_co_u32_e64 v9, s[4:5], v9, v2, s[4:5]
	s_and_saveexec_b64 s[4:5], vcc
	s_cbranch_execz .LBB250_132
; %bb.128:
	v_cmp_lt_i16_e32 vcc, 25, v11
	s_mov_b64 s[16:17], 0
                                        ; implicit-def: $vgpr12
	s_and_saveexec_b64 s[12:13], vcc
	s_xor_b64 s[12:13], exec, s[12:13]
	s_cbranch_execnz .LBB250_373
; %bb.129:
	s_andn2_saveexec_b64 s[12:13], s[12:13]
	s_cbranch_execnz .LBB250_440
.LBB250_130:
	s_or_b64 exec, exec, s[12:13]
	s_mov_b64 s[18:19], s[6:7]
	s_and_saveexec_b64 s[12:13], s[16:17]
	s_cbranch_execnz .LBB250_477
.LBB250_131:
	s_or_b64 exec, exec, s[12:13]
	s_andn2_b64 s[16:17], s[6:7], exec
	s_and_b64 s[18:19], s[18:19], exec
	s_and_b64 s[14:15], s[14:15], exec
	s_xor_b64 s[12:13], exec, -1
	s_and_b64 s[10:11], s[10:11], exec
	s_or_b64 s[16:17], s[16:17], s[18:19]
.LBB250_132:
	s_or_b64 exec, exec, s[4:5]
	s_and_b64 s[4:5], s[14:15], exec
	s_and_b64 s[14:15], s[10:11], exec
	s_andn2_b64 s[6:7], s[6:7], exec
	s_and_b64 s[10:11], s[16:17], exec
	s_and_b64 s[12:13], s[12:13], exec
	s_or_b64 s[6:7], s[6:7], s[10:11]
	s_or_b64 exec, exec, s[8:9]
	s_and_saveexec_b64 s[8:9], s[6:7]
	s_cbranch_execz .LBB250_123
.LBB250_133:
	; divergent unreachable
	s_or_b64 exec, exec, s[8:9]
	s_and_saveexec_b64 s[6:7], s[14:15]
	s_xor_b64 s[6:7], exec, s[6:7]
	s_cbranch_execz .LBB250_124
.LBB250_134:
	flat_load_ubyte v1, v[8:9]
	s_mov_b32 s8, 0x47800000
	s_waitcnt vmcnt(0) lgkmcnt(0)
	v_mov_b32_e32 v12, 0x80
	v_cmp_ne_u16_e32 vcc, 0, v1
	v_cndmask_b32_e64 v2, 0, 1.0, vcc
	v_cmp_gt_u32_e32 vcc, s8, v2
	s_and_saveexec_b64 s[8:9], vcc
	s_cbranch_execz .LBB250_140
; %bb.135:
	s_mov_b32 s10, 0x37ffffff
	v_cmp_lt_u32_e32 vcc, s10, v2
	s_mov_b64 s[10:11], 0
                                        ; implicit-def: $vgpr1
	s_and_saveexec_b64 s[14:15], vcc
	s_xor_b64 s[14:15], exec, s[14:15]
	s_cbranch_execnz .LBB250_478
; %bb.136:
	s_andn2_saveexec_b64 s[14:15], s[14:15]
	s_cbranch_execnz .LBB250_479
.LBB250_137:
	s_or_b64 exec, exec, s[14:15]
	v_mov_b32_e32 v12, 0
	s_and_saveexec_b64 s[14:15], s[10:11]
.LBB250_138:
	v_mov_b32_e32 v12, v1
.LBB250_139:
	s_or_b64 exec, exec, s[14:15]
.LBB250_140:
	s_or_b64 exec, exec, s[8:9]
	s_or_b64 s[4:5], s[4:5], exec
	s_or_b64 exec, exec, s[6:7]
	s_and_saveexec_b64 s[6:7], s[12:13]
	s_cbranch_execz .LBB250_125
.LBB250_141:
	v_cmp_lt_i16_e32 vcc, 4, v11
                                        ; implicit-def: $vgpr12
	s_and_saveexec_b64 s[8:9], vcc
	s_xor_b64 s[8:9], exec, s[8:9]
	s_cbranch_execz .LBB250_199
; %bb.142:
	v_cmp_lt_i16_e32 vcc, 7, v11
                                        ; implicit-def: $vgpr12
	s_and_saveexec_b64 s[10:11], vcc
	s_xor_b64 s[10:11], exec, s[10:11]
	s_cbranch_execz .LBB250_170
; %bb.143:
	;; [unrolled: 6-line block ×4, first 2 shown]
	flat_load_dwordx2 v[1:2], v[8:9]
	s_mov_b32 s16, 0x47800000
	s_waitcnt vmcnt(0) lgkmcnt(0)
	v_mov_b32_e32 v12, 0x80
	v_cvt_f32_f64_e32 v1, v[1:2]
	v_and_b32_e32 v2, 0x7fffffff, v1
	v_cmp_gt_u32_e32 vcc, s16, v2
	s_and_saveexec_b64 s[16:17], vcc
	s_cbranch_execz .LBB250_151
; %bb.146:
	s_mov_b32 s18, 0x37ffffff
	v_cmp_lt_u32_e32 vcc, s18, v2
	s_mov_b64 s[18:19], 0
                                        ; implicit-def: $vgpr2
	s_and_saveexec_b64 s[20:21], vcc
	s_xor_b64 s[20:21], exec, s[20:21]
	s_cbranch_execnz .LBB250_542
; %bb.147:
	s_andn2_saveexec_b64 s[20:21], s[20:21]
	s_cbranch_execnz .LBB250_543
.LBB250_148:
	s_or_b64 exec, exec, s[20:21]
	v_mov_b32_e32 v12, 0
	s_and_saveexec_b64 s[20:21], s[18:19]
.LBB250_149:
	v_lshrrev_b32_e32 v1, 24, v1
	s_movk_i32 s18, 0x80
	v_and_or_b32 v12, v1, s18, v2
.LBB250_150:
	s_or_b64 exec, exec, s[20:21]
.LBB250_151:
	s_or_b64 exec, exec, s[16:17]
                                        ; implicit-def: $vgpr8_vgpr9
.LBB250_152:
	s_andn2_saveexec_b64 s[14:15], s[14:15]
	s_cbranch_execz .LBB250_160
; %bb.153:
	flat_load_dword v1, v[8:9]
	s_mov_b32 s16, 0x47800000
	s_waitcnt vmcnt(0) lgkmcnt(0)
	v_mov_b32_e32 v12, 0x80
	v_and_b32_e32 v2, 0x7fffffff, v1
	v_cmp_gt_u32_e32 vcc, s16, v2
	s_and_saveexec_b64 s[16:17], vcc
	s_cbranch_execz .LBB250_159
; %bb.154:
	s_mov_b32 s18, 0x37ffffff
	v_cmp_lt_u32_e32 vcc, s18, v2
	s_mov_b64 s[18:19], 0
                                        ; implicit-def: $vgpr2
	s_and_saveexec_b64 s[20:21], vcc
	s_xor_b64 s[20:21], exec, s[20:21]
	s_cbranch_execnz .LBB250_544
; %bb.155:
	s_andn2_saveexec_b64 s[20:21], s[20:21]
	s_cbranch_execnz .LBB250_545
.LBB250_156:
	s_or_b64 exec, exec, s[20:21]
	v_mov_b32_e32 v12, 0
	s_and_saveexec_b64 s[20:21], s[18:19]
.LBB250_157:
	v_lshrrev_b32_e32 v1, 24, v1
	s_movk_i32 s18, 0x80
	v_and_or_b32 v12, v1, s18, v2
.LBB250_158:
	s_or_b64 exec, exec, s[20:21]
.LBB250_159:
	s_or_b64 exec, exec, s[16:17]
.LBB250_160:
	s_or_b64 exec, exec, s[14:15]
                                        ; implicit-def: $vgpr8_vgpr9
.LBB250_161:
	s_andn2_saveexec_b64 s[12:13], s[12:13]
	s_cbranch_execz .LBB250_169
; %bb.162:
	flat_load_dword v1, v[8:9]
	s_mov_b32 s14, 0x47800000
	s_waitcnt vmcnt(0) lgkmcnt(0)
	v_mov_b32_e32 v12, 0x80
	v_cvt_f32_f16_e32 v1, v1
	v_and_b32_e32 v2, 0x7fffffff, v1
	v_cmp_gt_u32_e32 vcc, s14, v2
	s_and_saveexec_b64 s[14:15], vcc
	s_cbranch_execz .LBB250_168
; %bb.163:
	s_mov_b32 s16, 0x37ffffff
	v_cmp_lt_u32_e32 vcc, s16, v2
	s_mov_b64 s[16:17], 0
                                        ; implicit-def: $vgpr2
	s_and_saveexec_b64 s[18:19], vcc
	s_xor_b64 s[18:19], exec, s[18:19]
	s_cbranch_execnz .LBB250_512
; %bb.164:
	s_andn2_saveexec_b64 s[18:19], s[18:19]
	s_cbranch_execnz .LBB250_513
.LBB250_165:
	s_or_b64 exec, exec, s[18:19]
	v_mov_b32_e32 v12, 0
	s_and_saveexec_b64 s[18:19], s[16:17]
.LBB250_166:
	v_lshrrev_b32_e32 v1, 24, v1
	s_movk_i32 s16, 0x80
	v_and_or_b32 v12, v1, s16, v2
.LBB250_167:
	s_or_b64 exec, exec, s[18:19]
.LBB250_168:
	s_or_b64 exec, exec, s[14:15]
.LBB250_169:
	s_or_b64 exec, exec, s[12:13]
                                        ; implicit-def: $vgpr8_vgpr9
.LBB250_170:
	s_andn2_saveexec_b64 s[10:11], s[10:11]
	s_cbranch_execz .LBB250_198
; %bb.171:
	v_cmp_lt_i16_e32 vcc, 5, v11
                                        ; implicit-def: $vgpr12
	s_and_saveexec_b64 s[12:13], vcc
	s_xor_b64 s[12:13], exec, s[12:13]
	s_cbranch_execz .LBB250_189
; %bb.172:
	v_cmp_lt_i16_e32 vcc, 6, v11
                                        ; implicit-def: $vgpr12
	s_and_saveexec_b64 s[14:15], vcc
	s_xor_b64 s[14:15], exec, s[14:15]
	s_cbranch_execz .LBB250_180
; %bb.173:
	flat_load_dwordx2 v[1:2], v[8:9]
	s_mov_b32 s16, 0x47800000
	s_waitcnt vmcnt(0) lgkmcnt(0)
	v_mov_b32_e32 v12, 0x80
	v_cvt_f32_f64_e32 v1, v[1:2]
	v_and_b32_e32 v2, 0x7fffffff, v1
	v_cmp_gt_u32_e32 vcc, s16, v2
	s_and_saveexec_b64 s[16:17], vcc
	s_cbranch_execz .LBB250_179
; %bb.174:
	s_mov_b32 s18, 0x37ffffff
	v_cmp_lt_u32_e32 vcc, s18, v2
	s_mov_b64 s[18:19], 0
                                        ; implicit-def: $vgpr2
	s_and_saveexec_b64 s[20:21], vcc
	s_xor_b64 s[20:21], exec, s[20:21]
	s_cbranch_execnz .LBB250_546
; %bb.175:
	s_andn2_saveexec_b64 s[20:21], s[20:21]
	s_cbranch_execnz .LBB250_547
.LBB250_176:
	s_or_b64 exec, exec, s[20:21]
	v_mov_b32_e32 v12, 0
	s_and_saveexec_b64 s[20:21], s[18:19]
.LBB250_177:
	v_lshrrev_b32_e32 v1, 24, v1
	s_movk_i32 s18, 0x80
	v_and_or_b32 v12, v1, s18, v2
.LBB250_178:
	s_or_b64 exec, exec, s[20:21]
.LBB250_179:
	s_or_b64 exec, exec, s[16:17]
                                        ; implicit-def: $vgpr8_vgpr9
.LBB250_180:
	s_andn2_saveexec_b64 s[14:15], s[14:15]
	s_cbranch_execz .LBB250_188
; %bb.181:
	flat_load_dword v1, v[8:9]
	s_mov_b32 s16, 0x47800000
	s_waitcnt vmcnt(0) lgkmcnt(0)
	v_mov_b32_e32 v12, 0x80
	v_and_b32_e32 v2, 0x7fffffff, v1
	v_cmp_gt_u32_e32 vcc, s16, v2
	s_and_saveexec_b64 s[16:17], vcc
	s_cbranch_execz .LBB250_187
; %bb.182:
	s_mov_b32 s18, 0x37ffffff
	v_cmp_lt_u32_e32 vcc, s18, v2
	s_mov_b64 s[18:19], 0
                                        ; implicit-def: $vgpr2
	s_and_saveexec_b64 s[20:21], vcc
	s_xor_b64 s[20:21], exec, s[20:21]
	s_cbranch_execnz .LBB250_548
; %bb.183:
	s_andn2_saveexec_b64 s[20:21], s[20:21]
	s_cbranch_execnz .LBB250_549
.LBB250_184:
	s_or_b64 exec, exec, s[20:21]
	v_mov_b32_e32 v12, 0
	s_and_saveexec_b64 s[20:21], s[18:19]
.LBB250_185:
	v_lshrrev_b32_e32 v1, 24, v1
	s_movk_i32 s18, 0x80
	v_and_or_b32 v12, v1, s18, v2
.LBB250_186:
	s_or_b64 exec, exec, s[20:21]
.LBB250_187:
	s_or_b64 exec, exec, s[16:17]
.LBB250_188:
	s_or_b64 exec, exec, s[14:15]
                                        ; implicit-def: $vgpr8_vgpr9
.LBB250_189:
	s_andn2_saveexec_b64 s[12:13], s[12:13]
	s_cbranch_execz .LBB250_197
; %bb.190:
	flat_load_ushort v1, v[8:9]
	s_mov_b32 s14, 0x47800000
	s_waitcnt vmcnt(0) lgkmcnt(0)
	v_mov_b32_e32 v12, 0x80
	v_cvt_f32_f16_e32 v1, v1
	v_and_b32_e32 v2, 0x7fffffff, v1
	v_cmp_gt_u32_e32 vcc, s14, v2
	s_and_saveexec_b64 s[14:15], vcc
	s_cbranch_execz .LBB250_196
; %bb.191:
	s_mov_b32 s16, 0x37ffffff
	v_cmp_lt_u32_e32 vcc, s16, v2
	s_mov_b64 s[16:17], 0
                                        ; implicit-def: $vgpr2
	s_and_saveexec_b64 s[18:19], vcc
	s_xor_b64 s[18:19], exec, s[18:19]
	s_cbranch_execnz .LBB250_514
; %bb.192:
	s_andn2_saveexec_b64 s[18:19], s[18:19]
	s_cbranch_execnz .LBB250_515
.LBB250_193:
	s_or_b64 exec, exec, s[18:19]
	v_mov_b32_e32 v12, 0
	s_and_saveexec_b64 s[18:19], s[16:17]
.LBB250_194:
	v_lshrrev_b32_e32 v1, 24, v1
	s_movk_i32 s16, 0x80
	v_and_or_b32 v12, v1, s16, v2
.LBB250_195:
	s_or_b64 exec, exec, s[18:19]
.LBB250_196:
	s_or_b64 exec, exec, s[14:15]
.LBB250_197:
	s_or_b64 exec, exec, s[12:13]
.LBB250_198:
	s_or_b64 exec, exec, s[10:11]
                                        ; implicit-def: $vgpr8_vgpr9
.LBB250_199:
	s_andn2_saveexec_b64 s[8:9], s[8:9]
	s_cbranch_execz .LBB250_247
; %bb.200:
	v_cmp_lt_i16_e32 vcc, 1, v11
                                        ; implicit-def: $vgpr12
	s_and_saveexec_b64 s[10:11], vcc
	s_xor_b64 s[10:11], exec, s[10:11]
	s_cbranch_execz .LBB250_228
; %bb.201:
	v_cmp_lt_i16_e32 vcc, 2, v11
                                        ; implicit-def: $vgpr12
	s_and_saveexec_b64 s[12:13], vcc
	s_xor_b64 s[12:13], exec, s[12:13]
	;; [unrolled: 6-line block ×3, first 2 shown]
	s_cbranch_execz .LBB250_210
; %bb.203:
	flat_load_dwordx2 v[1:2], v[8:9]
	s_mov_b32 s16, 0x47800000
	s_waitcnt vmcnt(0) lgkmcnt(0)
	v_mov_b32_e32 v12, 0x80
	v_xor_b32_e32 v4, v1, v2
	v_ffbh_i32_e32 v3, v2
	v_ashrrev_i32_e32 v4, 31, v4
	v_add_u32_e32 v3, -1, v3
	v_add_u32_e32 v4, 32, v4
	v_min_u32_e32 v3, v3, v4
	v_lshlrev_b64 v[1:2], v3, v[1:2]
	v_min_u32_e32 v1, 1, v1
	v_or_b32_e32 v1, v2, v1
	v_cvt_f32_i32_e32 v1, v1
	v_sub_u32_e32 v2, 32, v3
	v_ldexp_f32 v1, v1, v2
	v_and_b32_e32 v2, 0x7fffffff, v1
	v_cmp_gt_u32_e32 vcc, s16, v2
	s_and_saveexec_b64 s[16:17], vcc
	s_cbranch_execz .LBB250_209
; %bb.204:
	s_mov_b32 s18, 0x37ffffff
	v_cmp_lt_u32_e32 vcc, s18, v2
	s_mov_b64 s[18:19], 0
                                        ; implicit-def: $vgpr2
	s_and_saveexec_b64 s[20:21], vcc
	s_xor_b64 s[20:21], exec, s[20:21]
	s_cbranch_execnz .LBB250_550
; %bb.205:
	s_andn2_saveexec_b64 s[20:21], s[20:21]
	s_cbranch_execnz .LBB250_551
.LBB250_206:
	s_or_b64 exec, exec, s[20:21]
	v_mov_b32_e32 v12, 0
	s_and_saveexec_b64 s[20:21], s[18:19]
.LBB250_207:
	v_lshrrev_b32_e32 v1, 24, v1
	s_movk_i32 s18, 0x80
	v_and_or_b32 v12, v1, s18, v2
.LBB250_208:
	s_or_b64 exec, exec, s[20:21]
.LBB250_209:
	s_or_b64 exec, exec, s[16:17]
                                        ; implicit-def: $vgpr8_vgpr9
.LBB250_210:
	s_andn2_saveexec_b64 s[14:15], s[14:15]
	s_cbranch_execz .LBB250_218
; %bb.211:
	flat_load_dword v1, v[8:9]
	s_mov_b32 s16, 0x47800000
	s_waitcnt vmcnt(0) lgkmcnt(0)
	v_mov_b32_e32 v12, 0x80
	v_cvt_f32_i32_e32 v1, v1
	v_and_b32_e32 v2, 0x7fffffff, v1
	v_cmp_gt_u32_e32 vcc, s16, v2
	s_and_saveexec_b64 s[16:17], vcc
	s_cbranch_execz .LBB250_217
; %bb.212:
	s_mov_b32 s18, 0x37ffffff
	v_cmp_lt_u32_e32 vcc, s18, v2
	s_mov_b64 s[18:19], 0
                                        ; implicit-def: $vgpr2
	s_and_saveexec_b64 s[20:21], vcc
	s_xor_b64 s[20:21], exec, s[20:21]
	s_cbranch_execnz .LBB250_552
; %bb.213:
	s_andn2_saveexec_b64 s[20:21], s[20:21]
	s_cbranch_execnz .LBB250_553
.LBB250_214:
	s_or_b64 exec, exec, s[20:21]
	v_mov_b32_e32 v12, 0
	s_and_saveexec_b64 s[20:21], s[18:19]
.LBB250_215:
	v_lshrrev_b32_e32 v1, 24, v1
	s_movk_i32 s18, 0x80
	v_and_or_b32 v12, v1, s18, v2
.LBB250_216:
	s_or_b64 exec, exec, s[20:21]
.LBB250_217:
	s_or_b64 exec, exec, s[16:17]
.LBB250_218:
	s_or_b64 exec, exec, s[14:15]
                                        ; implicit-def: $vgpr8_vgpr9
.LBB250_219:
	s_andn2_saveexec_b64 s[12:13], s[12:13]
	s_cbranch_execz .LBB250_227
; %bb.220:
	flat_load_sshort v1, v[8:9]
	s_mov_b32 s14, 0x47800000
	s_waitcnt vmcnt(0) lgkmcnt(0)
	v_mov_b32_e32 v12, 0x80
	v_cvt_f32_i32_e32 v1, v1
	v_and_b32_e32 v2, 0x7fffffff, v1
	v_cmp_gt_u32_e32 vcc, s14, v2
	s_and_saveexec_b64 s[14:15], vcc
	s_cbranch_execz .LBB250_226
; %bb.221:
	s_mov_b32 s16, 0x37ffffff
	v_cmp_lt_u32_e32 vcc, s16, v2
	s_mov_b64 s[16:17], 0
                                        ; implicit-def: $vgpr2
	s_and_saveexec_b64 s[18:19], vcc
	s_xor_b64 s[18:19], exec, s[18:19]
	s_cbranch_execnz .LBB250_516
; %bb.222:
	s_andn2_saveexec_b64 s[18:19], s[18:19]
	s_cbranch_execnz .LBB250_517
.LBB250_223:
	s_or_b64 exec, exec, s[18:19]
	v_mov_b32_e32 v12, 0
	s_and_saveexec_b64 s[18:19], s[16:17]
.LBB250_224:
	v_lshrrev_b32_e32 v1, 24, v1
	s_movk_i32 s16, 0x80
	v_and_or_b32 v12, v1, s16, v2
.LBB250_225:
	s_or_b64 exec, exec, s[18:19]
.LBB250_226:
	s_or_b64 exec, exec, s[14:15]
.LBB250_227:
	s_or_b64 exec, exec, s[12:13]
                                        ; implicit-def: $vgpr8_vgpr9
.LBB250_228:
	s_andn2_saveexec_b64 s[10:11], s[10:11]
	s_cbranch_execz .LBB250_246
; %bb.229:
	v_cmp_lt_i16_e32 vcc, 0, v11
                                        ; implicit-def: $vgpr12
	s_and_saveexec_b64 s[12:13], vcc
	s_xor_b64 s[12:13], exec, s[12:13]
	s_cbranch_execz .LBB250_237
; %bb.230:
	flat_load_sbyte v1, v[8:9]
	s_mov_b32 s14, 0x47800000
	s_waitcnt vmcnt(0) lgkmcnt(0)
	v_mov_b32_e32 v12, 0x80
	v_cvt_f32_i32_e32 v1, v1
	v_and_b32_e32 v2, 0x7fffffff, v1
	v_cmp_gt_u32_e32 vcc, s14, v2
	s_and_saveexec_b64 s[14:15], vcc
	s_cbranch_execz .LBB250_236
; %bb.231:
	s_mov_b32 s16, 0x37ffffff
	v_cmp_lt_u32_e32 vcc, s16, v2
	s_mov_b64 s[16:17], 0
                                        ; implicit-def: $vgpr2
	s_and_saveexec_b64 s[18:19], vcc
	s_xor_b64 s[18:19], exec, s[18:19]
	s_cbranch_execnz .LBB250_518
; %bb.232:
	s_andn2_saveexec_b64 s[18:19], s[18:19]
	s_cbranch_execnz .LBB250_519
.LBB250_233:
	s_or_b64 exec, exec, s[18:19]
	v_mov_b32_e32 v12, 0
	s_and_saveexec_b64 s[18:19], s[16:17]
.LBB250_234:
	v_lshrrev_b32_e32 v1, 24, v1
	s_movk_i32 s16, 0x80
	v_and_or_b32 v12, v1, s16, v2
.LBB250_235:
	s_or_b64 exec, exec, s[18:19]
.LBB250_236:
	s_or_b64 exec, exec, s[14:15]
                                        ; implicit-def: $vgpr8_vgpr9
.LBB250_237:
	s_andn2_saveexec_b64 s[12:13], s[12:13]
	s_cbranch_execz .LBB250_245
; %bb.238:
	flat_load_ubyte v1, v[8:9]
	s_mov_b32 s14, 0x47800000
	s_waitcnt vmcnt(0) lgkmcnt(0)
	v_mov_b32_e32 v12, 0x80
	v_cvt_f32_ubyte0_e32 v2, v1
	v_cmp_gt_u32_e32 vcc, s14, v2
	s_and_saveexec_b64 s[14:15], vcc
	s_cbranch_execz .LBB250_244
; %bb.239:
	s_mov_b32 s16, 0x37ffffff
	v_cmp_lt_u32_e32 vcc, s16, v2
	s_mov_b64 s[16:17], 0
                                        ; implicit-def: $vgpr1
	s_and_saveexec_b64 s[18:19], vcc
	s_xor_b64 s[18:19], exec, s[18:19]
	s_cbranch_execnz .LBB250_520
; %bb.240:
	s_andn2_saveexec_b64 s[18:19], s[18:19]
	s_cbranch_execnz .LBB250_521
.LBB250_241:
	s_or_b64 exec, exec, s[18:19]
	v_mov_b32_e32 v12, 0
	s_and_saveexec_b64 s[18:19], s[16:17]
.LBB250_242:
	v_mov_b32_e32 v12, v1
.LBB250_243:
	s_or_b64 exec, exec, s[18:19]
.LBB250_244:
	s_or_b64 exec, exec, s[14:15]
.LBB250_245:
	s_or_b64 exec, exec, s[12:13]
.LBB250_246:
	s_or_b64 exec, exec, s[10:11]
.LBB250_247:
	s_or_b64 exec, exec, s[8:9]
	s_or_b64 s[4:5], s[4:5], exec
	s_or_b64 exec, exec, s[6:7]
                                        ; implicit-def: $sgpr8_sgpr9
	s_and_saveexec_b64 s[6:7], s[4:5]
	s_cbranch_execz .LBB250_126
.LBB250_248:
	v_cmp_ne_u32_e32 vcc, 0, v0
                                        ; implicit-def: $sgpr8_sgpr9
	s_and_saveexec_b64 s[4:5], vcc
	s_xor_b64 s[4:5], exec, s[4:5]
	s_cbranch_execz .LBB250_258
; %bb.249:
	s_movk_i32 s8, 0x7f
	s_waitcnt vmcnt(0) lgkmcnt(0)
	v_cmp_gt_i16_sdwa s[10:11], v10, s8 src0_sel:BYTE_0 src1_sel:DWORD
	s_mov_b64 s[8:9], 0
	s_and_saveexec_b64 s[12:13], s[10:11]
	s_xor_b64 s[10:11], exec, s[12:13]
	s_cbranch_execnz .LBB250_480
; %bb.250:
	s_or_saveexec_b64 s[10:11], s[10:11]
	v_mov_b32_e32 v0, 0x7f800001
	s_xor_b64 exec, exec, s[10:11]
	s_cbranch_execnz .LBB250_483
.LBB250_251:
	s_or_b64 exec, exec, s[10:11]
	s_and_saveexec_b64 s[10:11], s[8:9]
	s_cbranch_execz .LBB250_253
.LBB250_252:
	v_and_b32_e32 v1, 3, v10
	v_ffbh_u32_e32 v2, v1
	v_min_u32_e32 v2, 32, v2
	v_lshrrev_b16_e32 v0, 2, v10
	v_subrev_u32_e32 v3, 29, v2
	v_and_b32_e32 v0, 31, v0
	v_lshlrev_b32_e32 v3, v3, v10
	v_sub_u32_e32 v2, 30, v2
	v_and_b32_e32 v3, 3, v3
	v_cmp_eq_u32_e32 vcc, 0, v0
	v_cndmask_b32_e32 v0, v0, v2, vcc
	v_cndmask_b32_e32 v1, v1, v3, vcc
	v_lshlrev_b32_e32 v2, 24, v10
	v_mov_b32_e32 v3, 0x37800000
	v_lshlrev_b32_e32 v1, 21, v1
	v_and_b32_e32 v2, 0x80000000, v2
	v_lshl_add_u32 v0, v0, 23, v3
	v_or3_b32 v0, v2, v0, v1
.LBB250_253:
	s_or_b64 exec, exec, s[10:11]
	s_movk_i32 s8, 0x7f
	v_cmp_gt_i16_sdwa s[10:11], v12, s8 src0_sel:BYTE_0 src1_sel:DWORD
	s_mov_b64 s[8:9], 0
	s_and_saveexec_b64 s[12:13], s[10:11]
	s_xor_b64 s[10:11], exec, s[12:13]
	s_cbranch_execnz .LBB250_484
; %bb.254:
	s_or_saveexec_b64 s[10:11], s[10:11]
	v_mov_b32_e32 v1, 0x7f800001
	s_xor_b64 exec, exec, s[10:11]
	s_cbranch_execnz .LBB250_487
.LBB250_255:
	s_or_b64 exec, exec, s[10:11]
	s_and_saveexec_b64 s[10:11], s[8:9]
	s_cbranch_execz .LBB250_257
.LBB250_256:
	v_and_b32_e32 v2, 3, v12
	v_ffbh_u32_e32 v3, v2
	v_min_u32_e32 v3, 32, v3
	v_lshrrev_b16_e32 v1, 2, v12
	v_subrev_u32_e32 v4, 29, v3
	v_and_b32_e32 v1, 31, v1
	v_lshlrev_b32_e32 v4, v4, v12
	v_sub_u32_e32 v3, 30, v3
	v_and_b32_e32 v4, 3, v4
	v_cmp_eq_u32_e32 vcc, 0, v1
	v_cndmask_b32_e32 v1, v1, v3, vcc
	v_cndmask_b32_e32 v2, v2, v4, vcc
	v_lshlrev_b32_e32 v3, 24, v12
	v_mov_b32_e32 v4, 0x37800000
	v_lshlrev_b32_e32 v2, 21, v2
	v_and_b32_e32 v3, 0x80000000, v3
	v_lshl_add_u32 v1, v1, 23, v4
	v_or3_b32 v1, v3, v1, v2
.LBB250_257:
	s_or_b64 exec, exec, s[10:11]
	v_cmp_neq_f32_e64 s[8:9], v0, v1
                                        ; implicit-def: $vgpr12
                                        ; implicit-def: $vgpr10
.LBB250_258:
	s_andn2_saveexec_b64 s[4:5], s[4:5]
	s_cbranch_execz .LBB250_126
; %bb.259:
	s_movk_i32 s4, 0x7f
	s_waitcnt vmcnt(0) lgkmcnt(0)
	v_cmp_gt_i16_sdwa s[10:11], v10, s4 src0_sel:BYTE_0 src1_sel:DWORD
	s_mov_b64 s[4:5], 0
	s_and_saveexec_b64 s[12:13], s[10:11]
	s_xor_b64 s[10:11], exec, s[12:13]
	s_cbranch_execnz .LBB250_488
; %bb.260:
	s_or_saveexec_b64 s[10:11], s[10:11]
	v_mov_b32_e32 v0, 0x7f800001
	s_xor_b64 exec, exec, s[10:11]
	s_cbranch_execnz .LBB250_491
.LBB250_261:
	s_or_b64 exec, exec, s[10:11]
	s_and_saveexec_b64 s[10:11], s[4:5]
	s_cbranch_execz .LBB250_263
.LBB250_262:
	v_and_b32_e32 v1, 3, v10
	v_ffbh_u32_e32 v2, v1
	v_min_u32_e32 v2, 32, v2
	v_lshrrev_b16_e32 v0, 2, v10
	v_subrev_u32_e32 v3, 29, v2
	v_and_b32_e32 v0, 31, v0
	v_lshlrev_b32_e32 v3, v3, v10
	v_sub_u32_e32 v2, 30, v2
	v_and_b32_e32 v3, 3, v3
	v_cmp_eq_u32_e32 vcc, 0, v0
	v_cndmask_b32_e32 v0, v0, v2, vcc
	v_cndmask_b32_e32 v1, v1, v3, vcc
	v_lshlrev_b32_e32 v2, 24, v10
	v_mov_b32_e32 v3, 0x37800000
	v_lshlrev_b32_e32 v1, 21, v1
	v_and_b32_e32 v2, 0x80000000, v2
	v_lshl_add_u32 v0, v0, 23, v3
	v_or3_b32 v0, v2, v0, v1
.LBB250_263:
	s_or_b64 exec, exec, s[10:11]
	s_movk_i32 s4, 0x7f
	v_cmp_gt_i16_sdwa s[10:11], v12, s4 src0_sel:BYTE_0 src1_sel:DWORD
	s_mov_b64 s[4:5], 0
	s_and_saveexec_b64 s[12:13], s[10:11]
	s_xor_b64 s[10:11], exec, s[12:13]
	s_cbranch_execnz .LBB250_492
; %bb.264:
	s_or_saveexec_b64 s[10:11], s[10:11]
	v_mov_b32_e32 v1, 0x7f800001
	s_xor_b64 exec, exec, s[10:11]
	s_cbranch_execnz .LBB250_495
.LBB250_265:
	s_or_b64 exec, exec, s[10:11]
	s_and_saveexec_b64 s[10:11], s[4:5]
	s_cbranch_execz .LBB250_267
.LBB250_266:
	v_and_b32_e32 v2, 3, v12
	v_ffbh_u32_e32 v3, v2
	v_min_u32_e32 v3, 32, v3
	v_lshrrev_b16_e32 v1, 2, v12
	v_subrev_u32_e32 v4, 29, v3
	v_and_b32_e32 v1, 31, v1
	v_lshlrev_b32_e32 v4, v4, v12
	v_sub_u32_e32 v3, 30, v3
	v_and_b32_e32 v4, 3, v4
	v_cmp_eq_u32_e32 vcc, 0, v1
	v_cndmask_b32_e32 v1, v1, v3, vcc
	v_cndmask_b32_e32 v2, v2, v4, vcc
	v_lshlrev_b32_e32 v3, 24, v12
	v_mov_b32_e32 v4, 0x37800000
	v_lshlrev_b32_e32 v2, 21, v2
	v_and_b32_e32 v3, 0x80000000, v3
	v_lshl_add_u32 v1, v1, 23, v4
	v_or3_b32 v1, v3, v1, v2
.LBB250_267:
	s_or_b64 exec, exec, s[10:11]
	v_cmp_eq_f32_e32 vcc, v0, v1
	s_andn2_b64 s[4:5], s[8:9], exec
	s_and_b64 s[8:9], vcc, exec
	s_or_b64 s[8:9], s[4:5], s[8:9]
	s_or_b64 exec, exec, s[6:7]
	v_cndmask_b32_e64 v0, 0, 1, s[8:9]
	s_setpc_b64 s[30:31]
.LBB250_268:
	v_cmp_lt_i16_e32 vcc, 28, v11
	s_mov_b64 s[14:15], 0
                                        ; implicit-def: $vgpr10
	s_and_saveexec_b64 s[10:11], vcc
	s_xor_b64 s[10:11], exec, s[10:11]
	s_cbranch_execz .LBB250_302
; %bb.269:
	v_cmp_lt_i16_e32 vcc, 43, v11
	s_mov_b64 s[16:17], 0
	s_mov_b64 s[18:19], 0
                                        ; implicit-def: $vgpr10
	s_and_saveexec_b64 s[12:13], vcc
	s_xor_b64 s[12:13], exec, s[12:13]
	s_cbranch_execz .LBB250_291
; %bb.270:
	v_cmp_lt_i16_e32 vcc, 45, v11
                                        ; implicit-def: $vgpr10
	s_and_saveexec_b64 s[18:19], vcc
	s_xor_b64 s[18:19], exec, s[18:19]
	s_cbranch_execz .LBB250_280
; %bb.271:
	v_cmp_eq_u16_e32 vcc, 46, v11
	s_mov_b64 s[20:21], -1
                                        ; implicit-def: $vgpr10
	s_and_saveexec_b64 s[14:15], vcc
	s_cbranch_execz .LBB250_279
; %bb.272:
	flat_load_dword v10, v[8:9]
	s_mov_b32 s16, 0x47800000
	s_waitcnt vmcnt(0) lgkmcnt(0)
	v_lshlrev_b32_e32 v11, 16, v10
	v_and_b32_e32 v12, 0x7fffffff, v11
	v_cmp_gt_u32_e32 vcc, s16, v12
	v_mov_b32_e32 v10, 0x80
	s_and_saveexec_b64 s[16:17], vcc
	s_cbranch_execz .LBB250_278
; %bb.273:
	s_mov_b32 s20, 0x37ffffff
	v_cmp_lt_u32_e32 vcc, s20, v12
	s_mov_b64 s[20:21], 0
                                        ; implicit-def: $vgpr12
	s_and_saveexec_b64 s[22:23], vcc
	s_xor_b64 s[22:23], exec, s[22:23]
	s_cbranch_execnz .LBB250_568
; %bb.274:
	s_andn2_saveexec_b64 s[22:23], s[22:23]
	s_cbranch_execnz .LBB250_569
.LBB250_275:
	s_or_b64 exec, exec, s[22:23]
	v_mov_b32_e32 v10, 0
	s_and_saveexec_b64 s[22:23], s[20:21]
.LBB250_276:
	v_lshrrev_b32_e32 v10, 24, v11
	s_movk_i32 s20, 0x80
	v_and_or_b32 v10, v10, s20, v12
.LBB250_277:
	s_or_b64 exec, exec, s[22:23]
.LBB250_278:
	s_or_b64 exec, exec, s[16:17]
	s_mov_b64 s[16:17], exec
	s_xor_b64 s[20:21], exec, -1
.LBB250_279:
	s_or_b64 exec, exec, s[14:15]
	s_and_b64 s[16:17], s[16:17], exec
	s_and_b64 s[14:15], s[20:21], exec
                                        ; implicit-def: $vgpr11
.LBB250_280:
	s_andn2_saveexec_b64 s[18:19], s[18:19]
	s_cbranch_execz .LBB250_290
; %bb.281:
	v_cmp_eq_u16_e32 vcc, 44, v11
	s_mov_b64 s[22:23], -1
	s_mov_b64 s[24:25], s[16:17]
                                        ; implicit-def: $vgpr10
	s_and_saveexec_b64 s[20:21], vcc
	s_cbranch_execz .LBB250_289
; %bb.282:
	flat_load_ubyte v10, v[8:9]
	s_movk_i32 s22, 0xff
	v_mov_b32_e32 v11, 0x7f800001
	v_mov_b32_e32 v12, 0x400000
	s_mov_b32 s23, 0x47800000
	s_waitcnt vmcnt(0) lgkmcnt(0)
	v_lshlrev_b32_e32 v13, 23, v10
	v_cmp_ne_u32_e32 vcc, s22, v10
	v_cndmask_b32_e32 v11, v11, v13, vcc
	v_cmp_ne_u32_e32 vcc, 0, v10
	v_cndmask_b32_e32 v12, v12, v11, vcc
	v_cmp_gt_u32_e32 vcc, s23, v12
	v_mov_b32_e32 v10, 0x80
	s_and_saveexec_b64 s[22:23], vcc
	s_cbranch_execz .LBB250_288
; %bb.283:
	s_mov_b32 s24, 0x37ffffff
	v_cmp_lt_u32_e32 vcc, s24, v12
	s_mov_b64 s[24:25], 0
                                        ; implicit-def: $vgpr11
	s_and_saveexec_b64 s[26:27], vcc
	s_xor_b64 s[26:27], exec, s[26:27]
	s_cbranch_execnz .LBB250_570
; %bb.284:
	s_andn2_saveexec_b64 s[26:27], s[26:27]
	s_cbranch_execnz .LBB250_571
.LBB250_285:
	s_or_b64 exec, exec, s[26:27]
	v_mov_b32_e32 v10, 0
	s_and_saveexec_b64 s[26:27], s[24:25]
.LBB250_286:
	v_mov_b32_e32 v10, v11
.LBB250_287:
	s_or_b64 exec, exec, s[26:27]
.LBB250_288:
	s_or_b64 exec, exec, s[22:23]
	s_or_b64 s[24:25], s[16:17], exec
	s_xor_b64 s[22:23], exec, -1
.LBB250_289:
	s_or_b64 exec, exec, s[20:21]
	s_andn2_b64 s[16:17], s[16:17], exec
	s_and_b64 s[20:21], s[24:25], exec
	s_or_b64 s[16:17], s[16:17], s[20:21]
	s_andn2_b64 s[14:15], s[14:15], exec
	s_and_b64 s[20:21], s[22:23], exec
	s_or_b64 s[14:15], s[14:15], s[20:21]
.LBB250_290:
	s_or_b64 exec, exec, s[18:19]
	s_and_b64 s[18:19], s[16:17], exec
	s_and_b64 s[16:17], s[14:15], exec
                                        ; implicit-def: $vgpr11
.LBB250_291:
	s_andn2_saveexec_b64 s[12:13], s[12:13]
	s_cbranch_execz .LBB250_301
; %bb.292:
	v_cmp_eq_u16_e32 vcc, 29, v11
	s_mov_b64 s[20:21], -1
	s_mov_b64 s[22:23], s[18:19]
                                        ; implicit-def: $vgpr10
	s_and_saveexec_b64 s[14:15], vcc
	s_cbranch_execz .LBB250_300
; %bb.293:
	flat_load_dwordx2 v[10:11], v[8:9]
	s_mov_b32 s20, 0x47800000
	s_waitcnt vmcnt(0) lgkmcnt(0)
	v_ffbh_u32_e32 v12, v11
	v_min_u32_e32 v12, 32, v12
	v_lshlrev_b64 v[10:11], v12, v[10:11]
	v_min_u32_e32 v10, 1, v10
	v_or_b32_e32 v10, v11, v10
	v_cvt_f32_u32_e32 v10, v10
	v_sub_u32_e32 v11, 32, v12
	v_ldexp_f32 v12, v10, v11
	v_cmp_gt_u32_e32 vcc, s20, v12
	v_mov_b32_e32 v10, 0x80
	s_and_saveexec_b64 s[20:21], vcc
	s_cbranch_execz .LBB250_299
; %bb.294:
	s_mov_b32 s22, 0x37ffffff
	v_cmp_lt_u32_e32 vcc, s22, v12
	s_mov_b64 s[22:23], 0
                                        ; implicit-def: $vgpr11
	s_and_saveexec_b64 s[24:25], vcc
	s_xor_b64 s[24:25], exec, s[24:25]
	s_cbranch_execnz .LBB250_554
; %bb.295:
	s_andn2_saveexec_b64 s[24:25], s[24:25]
	s_cbranch_execnz .LBB250_555
.LBB250_296:
	s_or_b64 exec, exec, s[24:25]
	v_mov_b32_e32 v10, 0
	s_and_saveexec_b64 s[24:25], s[22:23]
.LBB250_297:
	v_mov_b32_e32 v10, v11
.LBB250_298:
	s_or_b64 exec, exec, s[24:25]
.LBB250_299:
	s_or_b64 exec, exec, s[20:21]
	s_or_b64 s[22:23], s[18:19], exec
	s_xor_b64 s[20:21], exec, -1
.LBB250_300:
	s_or_b64 exec, exec, s[14:15]
	s_andn2_b64 s[14:15], s[18:19], exec
	s_and_b64 s[18:19], s[22:23], exec
	s_or_b64 s[18:19], s[14:15], s[18:19]
	s_andn2_b64 s[14:15], s[16:17], exec
	s_and_b64 s[16:17], s[20:21], exec
	s_or_b64 s[16:17], s[14:15], s[16:17]
.LBB250_301:
	s_or_b64 exec, exec, s[12:13]
	s_and_b64 s[14:15], s[18:19], exec
	s_and_b64 s[12:13], s[16:17], exec
                                        ; implicit-def: $vgpr11
.LBB250_302:
	s_andn2_saveexec_b64 s[10:11], s[10:11]
	s_cbranch_execz .LBB250_334
; %bb.303:
	v_cmp_lt_i16_e32 vcc, 26, v11
                                        ; implicit-def: $vgpr10
	s_and_saveexec_b64 s[16:17], vcc
	s_xor_b64 s[16:17], exec, s[16:17]
	s_cbranch_execz .LBB250_321
; %bb.304:
	v_cmp_lt_i16_e32 vcc, 27, v11
                                        ; implicit-def: $vgpr10
	s_and_saveexec_b64 s[18:19], vcc
	s_xor_b64 s[18:19], exec, s[18:19]
	s_cbranch_execz .LBB250_312
; %bb.305:
	flat_load_dword v10, v[8:9]
	s_mov_b32 s20, 0x47800000
	s_waitcnt vmcnt(0) lgkmcnt(0)
	v_cvt_f32_u32_e32 v12, v10
	v_mov_b32_e32 v10, 0x80
	v_cmp_gt_u32_e32 vcc, s20, v12
	s_and_saveexec_b64 s[20:21], vcc
	s_cbranch_execz .LBB250_311
; %bb.306:
	s_mov_b32 s22, 0x37ffffff
	v_cmp_lt_u32_e32 vcc, s22, v12
	s_mov_b64 s[22:23], 0
                                        ; implicit-def: $vgpr11
	s_and_saveexec_b64 s[24:25], vcc
	s_xor_b64 s[24:25], exec, s[24:25]
	s_cbranch_execnz .LBB250_556
; %bb.307:
	s_andn2_saveexec_b64 s[24:25], s[24:25]
	s_cbranch_execnz .LBB250_557
.LBB250_308:
	s_or_b64 exec, exec, s[24:25]
	v_mov_b32_e32 v10, 0
	s_and_saveexec_b64 s[24:25], s[22:23]
.LBB250_309:
	v_mov_b32_e32 v10, v11
.LBB250_310:
	s_or_b64 exec, exec, s[24:25]
.LBB250_311:
	s_or_b64 exec, exec, s[20:21]
.LBB250_312:
	s_andn2_saveexec_b64 s[18:19], s[18:19]
	s_cbranch_execz .LBB250_320
; %bb.313:
	flat_load_ushort v10, v[8:9]
	s_mov_b32 s20, 0x47800000
	s_waitcnt vmcnt(0) lgkmcnt(0)
	v_cvt_f32_u32_e32 v12, v10
	v_mov_b32_e32 v10, 0x80
	v_cmp_gt_u32_e32 vcc, s20, v12
	s_and_saveexec_b64 s[20:21], vcc
	s_cbranch_execz .LBB250_319
; %bb.314:
	s_mov_b32 s22, 0x37ffffff
	v_cmp_lt_u32_e32 vcc, s22, v12
	s_mov_b64 s[22:23], 0
                                        ; implicit-def: $vgpr11
	s_and_saveexec_b64 s[24:25], vcc
	s_xor_b64 s[24:25], exec, s[24:25]
	s_cbranch_execnz .LBB250_558
; %bb.315:
	s_andn2_saveexec_b64 s[24:25], s[24:25]
	s_cbranch_execnz .LBB250_559
.LBB250_316:
	s_or_b64 exec, exec, s[24:25]
	v_mov_b32_e32 v10, 0
	s_and_saveexec_b64 s[24:25], s[22:23]
.LBB250_317:
	v_mov_b32_e32 v10, v11
.LBB250_318:
	s_or_b64 exec, exec, s[24:25]
.LBB250_319:
	s_or_b64 exec, exec, s[20:21]
.LBB250_320:
	s_or_b64 exec, exec, s[18:19]
.LBB250_321:
	s_andn2_saveexec_b64 s[16:17], s[16:17]
	s_cbranch_execz .LBB250_333
; %bb.322:
	flat_load_ubyte v10, v[8:9]
	s_movk_i32 s18, 0x7f
	s_waitcnt vmcnt(0) lgkmcnt(0)
	v_cmp_lt_i16_e32 vcc, s18, v10
	s_mov_b64 s[18:19], 0
	s_and_saveexec_b64 s[20:21], vcc
	s_xor_b64 s[20:21], exec, s[20:21]
	s_cbranch_execnz .LBB250_498
; %bb.323:
	s_or_saveexec_b64 s[20:21], s[20:21]
	v_mov_b32_e32 v11, 0x7f800001
	s_xor_b64 exec, exec, s[20:21]
	s_cbranch_execnz .LBB250_501
.LBB250_324:
	s_or_b64 exec, exec, s[20:21]
	s_and_saveexec_b64 s[20:21], s[18:19]
	s_cbranch_execz .LBB250_326
.LBB250_325:
	v_lshlrev_b32_e32 v11, 24, v10
	v_and_b32_e32 v10, 0xffff, v10
	v_and_b32_e32 v12, 7, v10
	v_ffbh_u32_e32 v14, v12
	v_min_u32_e32 v14, 32, v14
	v_subrev_u32_e32 v15, 28, v14
	v_bfe_u32 v13, v10, 3, 4
	v_lshlrev_b32_e32 v10, v15, v10
	v_sub_u32_e32 v14, 29, v14
	v_and_b32_e32 v10, 7, v10
	v_cmp_eq_u32_e32 vcc, 0, v13
	v_cndmask_b32_e32 v13, v13, v14, vcc
	v_cndmask_b32_e32 v10, v12, v10, vcc
	v_mov_b32_e32 v12, 0x3b800000
	v_lshlrev_b32_e32 v10, 20, v10
	v_and_b32_e32 v11, 0x80000000, v11
	v_lshl_add_u32 v12, v13, 23, v12
	v_or3_b32 v11, v11, v12, v10
.LBB250_326:
	s_or_b64 exec, exec, s[20:21]
	v_and_b32_e32 v12, 0x7fffffff, v11
	s_mov_b32 s18, 0x47800000
	v_cmp_gt_u32_e32 vcc, s18, v12
	v_mov_b32_e32 v10, 0x80
	s_and_saveexec_b64 s[18:19], vcc
	s_cbranch_execz .LBB250_332
; %bb.327:
	s_mov_b32 s20, 0x37ffffff
	v_cmp_lt_u32_e32 vcc, s20, v12
	s_mov_b64 s[20:21], 0
                                        ; implicit-def: $vgpr12
	s_and_saveexec_b64 s[22:23], vcc
	s_xor_b64 s[22:23], exec, s[22:23]
	s_cbranch_execnz .LBB250_522
; %bb.328:
	s_andn2_saveexec_b64 s[22:23], s[22:23]
	s_cbranch_execnz .LBB250_523
.LBB250_329:
	s_or_b64 exec, exec, s[22:23]
	v_mov_b32_e32 v10, 0
	s_and_saveexec_b64 s[22:23], s[20:21]
.LBB250_330:
	v_lshrrev_b32_e32 v10, 24, v11
	s_movk_i32 s20, 0x80
	v_and_or_b32 v10, v10, s20, v12
.LBB250_331:
	s_or_b64 exec, exec, s[22:23]
.LBB250_332:
	s_or_b64 exec, exec, s[18:19]
.LBB250_333:
	s_or_b64 exec, exec, s[16:17]
	s_or_b64 s[14:15], s[14:15], exec
.LBB250_334:
	s_or_b64 exec, exec, s[10:11]
	s_and_b64 s[10:11], s[14:15], exec
	s_and_b64 s[12:13], s[12:13], exec
                                        ; implicit-def: $vgpr11
	s_andn2_saveexec_b64 s[8:9], s[8:9]
	s_cbranch_execz .LBB250_3
.LBB250_335:
	v_cmp_lt_i16_e32 vcc, 22, v11
	s_mov_b64 s[14:15], s[10:11]
                                        ; implicit-def: $vgpr10
	s_and_saveexec_b64 s[6:7], vcc
	s_xor_b64 s[6:7], exec, s[6:7]
	s_cbranch_execz .LBB250_357
; %bb.336:
	v_cmp_lt_i16_e32 vcc, 23, v11
                                        ; implicit-def: $vgpr10
	s_and_saveexec_b64 s[14:15], vcc
	s_xor_b64 s[14:15], exec, s[14:15]
	s_cbranch_execz .LBB250_348
; %bb.337:
	v_cmp_lt_i16_e32 vcc, 24, v11
                                        ; implicit-def: $vgpr10
	s_and_saveexec_b64 s[16:17], vcc
	s_xor_b64 s[16:17], exec, s[16:17]
	s_cbranch_execz .LBB250_339
; %bb.338:
	flat_load_ubyte v10, v[8:9]
.LBB250_339:
	s_andn2_saveexec_b64 s[16:17], s[16:17]
	s_cbranch_execz .LBB250_347
; %bb.340:
	s_waitcnt vmcnt(0) lgkmcnt(0)
	flat_load_ubyte v10, v[8:9]
	s_mov_b32 s18, 0x7f800000
	s_brev_b32 s19, 1
	s_mov_b32 s20, 0x47800000
	s_waitcnt vmcnt(0) lgkmcnt(0)
	v_lshlrev_b32_e32 v10, 24, v10
	v_and_b32_e32 v11, 0x7f000000, v10
	v_ffbh_u32_e32 v12, v11
	v_min_u32_e32 v12, 32, v12
	v_sub_u32_e64 v12, v12, 4 clamp
	v_lshlrev_b32_e32 v14, v12, v11
	v_lshlrev_b32_e32 v12, 23, v12
	v_lshrrev_b32_e32 v14, 4, v14
	v_add_u32_e32 v13, 0x1000000, v11
	v_sub_u32_e32 v12, v14, v12
	v_ashrrev_i32_e32 v13, 8, v13
	v_add_u32_e32 v12, 0x3c000000, v12
	v_and_or_b32 v12, v13, s18, v12
	v_cmp_ne_u32_e32 vcc, 0, v11
	v_cndmask_b32_e32 v13, 0, v12, vcc
	v_and_or_b32 v11, v10, s19, v13
	v_and_b32_e32 v12, 0x7fffffff, v11
	v_cmp_gt_u32_e32 vcc, s20, v12
	v_mov_b32_e32 v10, 0x80
	s_and_saveexec_b64 s[18:19], vcc
	s_cbranch_execz .LBB250_346
; %bb.341:
	s_mov_b32 s20, 0x37ffffff
	v_cmp_lt_u32_e32 vcc, s20, v12
	s_mov_b64 s[20:21], 0
                                        ; implicit-def: $vgpr12
	s_and_saveexec_b64 s[22:23], vcc
	s_xor_b64 s[22:23], exec, s[22:23]
	s_cbranch_execnz .LBB250_560
; %bb.342:
	s_andn2_saveexec_b64 s[22:23], s[22:23]
	s_cbranch_execnz .LBB250_561
.LBB250_343:
	s_or_b64 exec, exec, s[22:23]
	v_mov_b32_e32 v10, 0
	s_and_saveexec_b64 s[22:23], s[20:21]
.LBB250_344:
	v_lshrrev_b32_e32 v10, 24, v11
	s_movk_i32 s20, 0x80
	v_and_or_b32 v10, v10, s20, v12
.LBB250_345:
	s_or_b64 exec, exec, s[22:23]
.LBB250_346:
	s_or_b64 exec, exec, s[18:19]
.LBB250_347:
	s_or_b64 exec, exec, s[16:17]
.LBB250_348:
	s_andn2_saveexec_b64 s[14:15], s[14:15]
	s_cbranch_execz .LBB250_356
; %bb.349:
	s_waitcnt vmcnt(0) lgkmcnt(0)
	flat_load_ubyte v10, v[8:9]
	s_movk_i32 s16, 0x7f00
	s_brev_b32 s17, 16
	s_brev_b32 s18, 1
	s_mov_b32 s19, 0x47800000
	s_waitcnt vmcnt(0) lgkmcnt(0)
	v_lshlrev_b16_e32 v11, 8, v10
	v_lshlrev_b32_e32 v10, 25, v10
	v_lshrrev_b32_e32 v12, 4, v10
	v_and_or_b32 v13, v11, s16, 0.5
	v_or_b32_e32 v12, 0x70000000, v12
	v_add_f32_e32 v13, -0.5, v13
	v_mul_f32_e32 v12, 0x7800000, v12
	v_cmp_gt_u32_e32 vcc, s17, v10
	v_bfe_i32 v11, v11, 0, 16
	v_cndmask_b32_e32 v13, v12, v13, vcc
	v_and_or_b32 v11, v11, s18, v13
	v_and_b32_e32 v12, 0x7fffffff, v11
	v_cmp_gt_u32_e32 vcc, s19, v12
	v_mov_b32_e32 v10, 0x80
	s_and_saveexec_b64 s[16:17], vcc
	s_cbranch_execz .LBB250_355
; %bb.350:
	s_mov_b32 s18, 0x37ffffff
	v_cmp_lt_u32_e32 vcc, s18, v12
	s_mov_b64 s[18:19], 0
                                        ; implicit-def: $vgpr12
	s_and_saveexec_b64 s[20:21], vcc
	s_xor_b64 s[20:21], exec, s[20:21]
	s_cbranch_execnz .LBB250_524
; %bb.351:
	s_andn2_saveexec_b64 s[20:21], s[20:21]
	s_cbranch_execnz .LBB250_525
.LBB250_352:
	s_or_b64 exec, exec, s[20:21]
	v_mov_b32_e32 v10, 0
	s_and_saveexec_b64 s[20:21], s[18:19]
.LBB250_353:
	v_lshrrev_b32_e32 v10, 24, v11
	s_movk_i32 s18, 0x80
	v_and_or_b32 v10, v10, s18, v12
.LBB250_354:
	s_or_b64 exec, exec, s[20:21]
.LBB250_355:
	s_or_b64 exec, exec, s[16:17]
.LBB250_356:
	s_or_b64 exec, exec, s[14:15]
	s_or_b64 s[14:15], s[10:11], exec
                                        ; implicit-def: $vgpr11
.LBB250_357:
	s_or_saveexec_b64 s[6:7], s[6:7]
	s_mov_b64 s[16:17], 0
	s_mov_b64 s[18:19], s[12:13]
	s_xor_b64 exec, exec, s[6:7]
	s_cbranch_execz .LBB250_371
; %bb.358:
	v_cmp_lt_i16_e32 vcc, 14, v11
	s_mov_b64 s[18:19], s[12:13]
	s_mov_b64 s[20:21], s[14:15]
                                        ; implicit-def: $vgpr10
	s_and_saveexec_b64 s[16:17], vcc
	s_xor_b64 s[16:17], exec, s[16:17]
	s_cbranch_execz .LBB250_368
; %bb.359:
	v_cmp_eq_u16_e32 vcc, 15, v11
	s_mov_b64 s[22:23], -1
	s_mov_b64 s[20:21], s[14:15]
                                        ; implicit-def: $vgpr10
	s_and_saveexec_b64 s[18:19], vcc
	s_cbranch_execz .LBB250_367
; %bb.360:
	flat_load_ushort v11, v[8:9]
	s_mov_b32 s20, 0x47800000
	s_waitcnt vmcnt(0) lgkmcnt(0)
	v_mov_b32_e32 v10, 0x80
	v_lshlrev_b32_e32 v13, 16, v11
	v_and_b32_e32 v12, 0x7fffffff, v13
	v_cmp_gt_u32_e32 vcc, s20, v12
	s_and_saveexec_b64 s[20:21], vcc
	s_cbranch_execz .LBB250_366
; %bb.361:
	s_mov_b32 s22, 0x37ffffff
	v_cmp_lt_u32_e32 vcc, s22, v12
	s_mov_b64 s[22:23], 0
                                        ; implicit-def: $vgpr12
	s_and_saveexec_b64 s[24:25], vcc
	s_xor_b64 s[24:25], exec, s[24:25]
	s_cbranch_execnz .LBB250_562
; %bb.362:
	s_andn2_saveexec_b64 s[24:25], s[24:25]
	s_cbranch_execnz .LBB250_563
.LBB250_363:
	s_or_b64 exec, exec, s[24:25]
	v_mov_b32_e32 v10, 0
	s_and_saveexec_b64 s[24:25], s[22:23]
.LBB250_364:
	v_lshrrev_b32_e32 v10, 8, v11
	s_movk_i32 s22, 0x80
	v_and_or_b32 v10, v10, s22, v12
.LBB250_365:
	s_or_b64 exec, exec, s[24:25]
.LBB250_366:
	s_or_b64 exec, exec, s[20:21]
	s_or_b64 s[20:21], s[14:15], exec
	s_xor_b64 s[22:23], exec, -1
.LBB250_367:
	s_or_b64 exec, exec, s[18:19]
	s_andn2_b64 s[18:19], s[14:15], exec
	s_and_b64 s[20:21], s[20:21], exec
	s_or_b64 s[20:21], s[18:19], s[20:21]
	s_andn2_b64 s[18:19], s[12:13], exec
	s_and_b64 s[22:23], s[22:23], exec
	s_or_b64 s[18:19], s[18:19], s[22:23]
                                        ; implicit-def: $vgpr11
.LBB250_368:
	s_or_saveexec_b64 s[16:17], s[16:17]
	s_mov_b64 s[22:23], 0
	s_xor_b64 exec, exec, s[16:17]
; %bb.369:
	v_cmp_ne_u16_e32 vcc, 11, v11
	s_andn2_b64 s[18:19], s[18:19], exec
	s_and_b64 s[24:25], vcc, exec
	s_mov_b64 s[22:23], exec
	s_or_b64 s[18:19], s[18:19], s[24:25]
; %bb.370:
	s_or_b64 exec, exec, s[16:17]
	s_andn2_b64 s[14:15], s[14:15], exec
	s_and_b64 s[16:17], s[20:21], exec
	s_andn2_b64 s[20:21], s[12:13], exec
	s_and_b64 s[18:19], s[18:19], exec
	s_or_b64 s[14:15], s[14:15], s[16:17]
	s_and_b64 s[16:17], s[22:23], exec
	s_or_b64 s[18:19], s[20:21], s[18:19]
.LBB250_371:
	s_or_b64 exec, exec, s[6:7]
	s_andn2_b64 s[6:7], s[10:11], exec
	s_and_b64 s[10:11], s[14:15], exec
	s_andn2_b64 s[12:13], s[12:13], exec
	s_and_b64 s[14:15], s[18:19], exec
	s_or_b64 s[10:11], s[6:7], s[10:11]
	s_and_b64 s[6:7], s[16:17], exec
	s_or_b64 s[12:13], s[12:13], s[14:15]
	s_or_b64 exec, exec, s[8:9]
	s_mov_b64 s[8:9], 0
	s_and_saveexec_b64 s[14:15], s[12:13]
	s_cbranch_execz .LBB250_4
.LBB250_372:
	s_mov_b64 s[8:9], exec
	s_trap 2
	s_andn2_b64 s[6:7], s[6:7], exec
	s_or_b64 exec, exec, s[14:15]
	s_and_saveexec_b64 s[12:13], s[6:7]
	s_xor_b64 s[6:7], exec, s[12:13]
	s_cbranch_execnz .LBB250_5
	s_branch .LBB250_12
.LBB250_373:
	v_cmp_lt_i16_e32 vcc, 28, v11
	s_mov_b64 s[18:19], 0
                                        ; implicit-def: $vgpr12
	s_and_saveexec_b64 s[14:15], vcc
	s_xor_b64 s[14:15], exec, s[14:15]
	s_cbranch_execz .LBB250_407
; %bb.374:
	v_cmp_lt_i16_e32 vcc, 43, v11
	s_mov_b64 s[20:21], 0
	s_mov_b64 s[22:23], 0
                                        ; implicit-def: $vgpr12
	s_and_saveexec_b64 s[16:17], vcc
	s_xor_b64 s[16:17], exec, s[16:17]
	s_cbranch_execz .LBB250_396
; %bb.375:
	v_cmp_lt_i16_e32 vcc, 45, v11
                                        ; implicit-def: $vgpr12
	s_and_saveexec_b64 s[22:23], vcc
	s_xor_b64 s[22:23], exec, s[22:23]
	s_cbranch_execz .LBB250_385
; %bb.376:
	v_cmp_eq_u16_e32 vcc, 46, v11
	s_mov_b64 s[24:25], -1
                                        ; implicit-def: $vgpr12
	s_and_saveexec_b64 s[18:19], vcc
	s_cbranch_execz .LBB250_384
; %bb.377:
	flat_load_dword v1, v[8:9]
	s_mov_b32 s20, 0x47800000
	v_mov_b32_e32 v12, 0x80
	s_waitcnt vmcnt(0) lgkmcnt(0)
	v_lshlrev_b32_e32 v1, 16, v1
	v_and_b32_e32 v2, 0x7fffffff, v1
	v_cmp_gt_u32_e32 vcc, s20, v2
	s_and_saveexec_b64 s[20:21], vcc
	s_cbranch_execz .LBB250_383
; %bb.378:
	s_mov_b32 s24, 0x37ffffff
	v_cmp_lt_u32_e32 vcc, s24, v2
	s_mov_b64 s[24:25], 0
                                        ; implicit-def: $vgpr2
	s_and_saveexec_b64 s[26:27], vcc
	s_xor_b64 s[26:27], exec, s[26:27]
	s_cbranch_execnz .LBB250_582
; %bb.379:
	s_andn2_saveexec_b64 s[26:27], s[26:27]
	s_cbranch_execnz .LBB250_583
.LBB250_380:
	s_or_b64 exec, exec, s[26:27]
	v_mov_b32_e32 v12, 0
	s_and_saveexec_b64 s[26:27], s[24:25]
.LBB250_381:
	v_lshrrev_b32_e32 v1, 24, v1
	s_movk_i32 s24, 0x80
	v_and_or_b32 v12, v1, s24, v2
.LBB250_382:
	s_or_b64 exec, exec, s[26:27]
.LBB250_383:
	s_or_b64 exec, exec, s[20:21]
	s_mov_b64 s[20:21], exec
	s_xor_b64 s[24:25], exec, -1
.LBB250_384:
	s_or_b64 exec, exec, s[18:19]
	s_and_b64 s[20:21], s[20:21], exec
	s_and_b64 s[18:19], s[24:25], exec
.LBB250_385:
	s_andn2_saveexec_b64 s[22:23], s[22:23]
	s_cbranch_execz .LBB250_395
; %bb.386:
	v_cmp_eq_u16_e32 vcc, 44, v11
	s_mov_b64 s[26:27], -1
	s_mov_b64 s[28:29], s[20:21]
                                        ; implicit-def: $vgpr12
	s_and_saveexec_b64 s[24:25], vcc
	s_cbranch_execz .LBB250_394
; %bb.387:
	flat_load_ubyte v1, v[8:9]
	s_movk_i32 s26, 0xff
	v_mov_b32_e32 v2, 0x7f800001
	v_mov_b32_e32 v3, 0x400000
	s_mov_b32 s27, 0x47800000
	v_mov_b32_e32 v12, 0x80
	s_waitcnt vmcnt(0) lgkmcnt(0)
	v_lshlrev_b32_e32 v4, 23, v1
	v_cmp_ne_u32_e32 vcc, s26, v1
	v_cndmask_b32_e32 v2, v2, v4, vcc
	v_cmp_ne_u32_e32 vcc, 0, v1
	v_cndmask_b32_e32 v2, v3, v2, vcc
	v_cmp_gt_u32_e32 vcc, s27, v2
	s_and_saveexec_b64 s[26:27], vcc
	s_cbranch_execz .LBB250_393
; %bb.388:
	s_mov_b32 s28, 0x37ffffff
	v_cmp_lt_u32_e32 vcc, s28, v2
	s_mov_b64 s[28:29], 0
                                        ; implicit-def: $vgpr1
	s_and_saveexec_b64 s[40:41], vcc
	s_xor_b64 s[40:41], exec, s[40:41]
	s_cbranch_execnz .LBB250_584
; %bb.389:
	s_andn2_saveexec_b64 s[40:41], s[40:41]
	s_cbranch_execnz .LBB250_585
.LBB250_390:
	s_or_b64 exec, exec, s[40:41]
	v_mov_b32_e32 v12, 0
	s_and_saveexec_b64 s[40:41], s[28:29]
.LBB250_391:
	v_mov_b32_e32 v12, v1
.LBB250_392:
	s_or_b64 exec, exec, s[40:41]
.LBB250_393:
	s_or_b64 exec, exec, s[26:27]
	s_or_b64 s[28:29], s[20:21], exec
	s_xor_b64 s[26:27], exec, -1
.LBB250_394:
	s_or_b64 exec, exec, s[24:25]
	s_andn2_b64 s[20:21], s[20:21], exec
	s_and_b64 s[24:25], s[28:29], exec
	s_or_b64 s[20:21], s[20:21], s[24:25]
	s_andn2_b64 s[18:19], s[18:19], exec
	s_and_b64 s[24:25], s[26:27], exec
	s_or_b64 s[18:19], s[18:19], s[24:25]
.LBB250_395:
	s_or_b64 exec, exec, s[22:23]
	s_and_b64 s[22:23], s[20:21], exec
	s_and_b64 s[20:21], s[18:19], exec
.LBB250_396:
	s_andn2_saveexec_b64 s[16:17], s[16:17]
	s_cbranch_execz .LBB250_406
; %bb.397:
	v_cmp_eq_u16_e32 vcc, 29, v11
	s_mov_b64 s[24:25], -1
	s_mov_b64 s[26:27], s[22:23]
                                        ; implicit-def: $vgpr12
	s_and_saveexec_b64 s[18:19], vcc
	s_cbranch_execz .LBB250_405
; %bb.398:
	flat_load_dwordx2 v[1:2], v[8:9]
	s_mov_b32 s24, 0x47800000
	v_mov_b32_e32 v12, 0x80
	s_waitcnt vmcnt(0) lgkmcnt(0)
	v_ffbh_u32_e32 v3, v2
	v_min_u32_e32 v3, 32, v3
	v_lshlrev_b64 v[1:2], v3, v[1:2]
	v_min_u32_e32 v1, 1, v1
	v_or_b32_e32 v1, v2, v1
	v_cvt_f32_u32_e32 v1, v1
	v_sub_u32_e32 v2, 32, v3
	v_ldexp_f32 v2, v1, v2
	v_cmp_gt_u32_e32 vcc, s24, v2
	s_and_saveexec_b64 s[24:25], vcc
	s_cbranch_execz .LBB250_404
; %bb.399:
	s_mov_b32 s26, 0x37ffffff
	v_cmp_lt_u32_e32 vcc, s26, v2
	s_mov_b64 s[26:27], 0
                                        ; implicit-def: $vgpr1
	s_and_saveexec_b64 s[28:29], vcc
	s_xor_b64 s[28:29], exec, s[28:29]
	s_cbranch_execnz .LBB250_572
; %bb.400:
	s_andn2_saveexec_b64 s[28:29], s[28:29]
	s_cbranch_execnz .LBB250_573
.LBB250_401:
	s_or_b64 exec, exec, s[28:29]
	v_mov_b32_e32 v12, 0
	s_and_saveexec_b64 s[28:29], s[26:27]
.LBB250_402:
	v_mov_b32_e32 v12, v1
.LBB250_403:
	s_or_b64 exec, exec, s[28:29]
.LBB250_404:
	s_or_b64 exec, exec, s[24:25]
	s_or_b64 s[26:27], s[22:23], exec
	s_xor_b64 s[24:25], exec, -1
.LBB250_405:
	s_or_b64 exec, exec, s[18:19]
	s_andn2_b64 s[18:19], s[22:23], exec
	s_and_b64 s[22:23], s[26:27], exec
	s_or_b64 s[22:23], s[18:19], s[22:23]
	s_andn2_b64 s[18:19], s[20:21], exec
	s_and_b64 s[20:21], s[24:25], exec
	s_or_b64 s[20:21], s[18:19], s[20:21]
.LBB250_406:
	s_or_b64 exec, exec, s[16:17]
	s_and_b64 s[18:19], s[22:23], exec
	s_and_b64 s[16:17], s[20:21], exec
.LBB250_407:
	s_andn2_saveexec_b64 s[14:15], s[14:15]
	s_cbranch_execz .LBB250_439
; %bb.408:
	v_cmp_lt_i16_e32 vcc, 26, v11
                                        ; implicit-def: $vgpr12
	s_and_saveexec_b64 s[20:21], vcc
	s_xor_b64 s[20:21], exec, s[20:21]
	s_cbranch_execz .LBB250_426
; %bb.409:
	v_cmp_lt_i16_e32 vcc, 27, v11
                                        ; implicit-def: $vgpr12
	s_and_saveexec_b64 s[22:23], vcc
	s_xor_b64 s[22:23], exec, s[22:23]
	s_cbranch_execz .LBB250_417
; %bb.410:
	flat_load_dword v1, v[8:9]
	s_mov_b32 s24, 0x47800000
	v_mov_b32_e32 v12, 0x80
	s_waitcnt vmcnt(0) lgkmcnt(0)
	v_cvt_f32_u32_e32 v2, v1
	v_cmp_gt_u32_e32 vcc, s24, v2
	s_and_saveexec_b64 s[24:25], vcc
	s_cbranch_execz .LBB250_416
; %bb.411:
	s_mov_b32 s26, 0x37ffffff
	v_cmp_lt_u32_e32 vcc, s26, v2
	s_mov_b64 s[26:27], 0
                                        ; implicit-def: $vgpr1
	s_and_saveexec_b64 s[28:29], vcc
	s_xor_b64 s[28:29], exec, s[28:29]
	s_cbranch_execnz .LBB250_574
; %bb.412:
	s_andn2_saveexec_b64 s[28:29], s[28:29]
	s_cbranch_execnz .LBB250_575
.LBB250_413:
	s_or_b64 exec, exec, s[28:29]
	v_mov_b32_e32 v12, 0
	s_and_saveexec_b64 s[28:29], s[26:27]
.LBB250_414:
	v_mov_b32_e32 v12, v1
.LBB250_415:
	s_or_b64 exec, exec, s[28:29]
.LBB250_416:
	s_or_b64 exec, exec, s[24:25]
.LBB250_417:
	s_andn2_saveexec_b64 s[22:23], s[22:23]
	s_cbranch_execz .LBB250_425
; %bb.418:
	flat_load_ushort v1, v[8:9]
	s_mov_b32 s24, 0x47800000
	v_mov_b32_e32 v12, 0x80
	s_waitcnt vmcnt(0) lgkmcnt(0)
	v_cvt_f32_u32_e32 v2, v1
	v_cmp_gt_u32_e32 vcc, s24, v2
	s_and_saveexec_b64 s[24:25], vcc
	s_cbranch_execz .LBB250_424
; %bb.419:
	s_mov_b32 s26, 0x37ffffff
	v_cmp_lt_u32_e32 vcc, s26, v2
	s_mov_b64 s[26:27], 0
                                        ; implicit-def: $vgpr1
	s_and_saveexec_b64 s[28:29], vcc
	s_xor_b64 s[28:29], exec, s[28:29]
	s_cbranch_execnz .LBB250_576
; %bb.420:
	s_andn2_saveexec_b64 s[28:29], s[28:29]
	s_cbranch_execnz .LBB250_577
.LBB250_421:
	s_or_b64 exec, exec, s[28:29]
	v_mov_b32_e32 v12, 0
	s_and_saveexec_b64 s[28:29], s[26:27]
.LBB250_422:
	v_mov_b32_e32 v12, v1
.LBB250_423:
	s_or_b64 exec, exec, s[28:29]
.LBB250_424:
	s_or_b64 exec, exec, s[24:25]
.LBB250_425:
	s_or_b64 exec, exec, s[22:23]
.LBB250_426:
	s_andn2_saveexec_b64 s[20:21], s[20:21]
	s_cbranch_execz .LBB250_438
; %bb.427:
	flat_load_ubyte v2, v[8:9]
	s_movk_i32 s22, 0x7f
	s_waitcnt vmcnt(0) lgkmcnt(0)
	v_cmp_lt_i16_e32 vcc, s22, v2
	s_mov_b64 s[22:23], 0
	s_and_saveexec_b64 s[24:25], vcc
	s_xor_b64 s[24:25], exec, s[24:25]
	s_cbranch_execnz .LBB250_526
; %bb.428:
	s_or_saveexec_b64 s[24:25], s[24:25]
	v_mov_b32_e32 v1, 0x7f800001
	s_xor_b64 exec, exec, s[24:25]
	s_cbranch_execnz .LBB250_529
.LBB250_429:
	s_or_b64 exec, exec, s[24:25]
	s_and_saveexec_b64 s[24:25], s[22:23]
	s_cbranch_execz .LBB250_431
.LBB250_430:
	v_lshlrev_b32_e32 v1, 24, v2
	v_and_b32_e32 v2, 0xffff, v2
	v_and_b32_e32 v3, 7, v2
	v_ffbh_u32_e32 v5, v3
	v_min_u32_e32 v5, 32, v5
	v_subrev_u32_e32 v6, 28, v5
	v_bfe_u32 v4, v2, 3, 4
	v_lshlrev_b32_e32 v2, v6, v2
	v_sub_u32_e32 v5, 29, v5
	v_and_b32_e32 v2, 7, v2
	v_cmp_eq_u32_e32 vcc, 0, v4
	v_cndmask_b32_e32 v4, v4, v5, vcc
	v_cndmask_b32_e32 v2, v3, v2, vcc
	v_mov_b32_e32 v3, 0x3b800000
	v_lshlrev_b32_e32 v2, 20, v2
	v_and_b32_e32 v1, 0x80000000, v1
	v_lshl_add_u32 v3, v4, 23, v3
	v_or3_b32 v1, v1, v3, v2
.LBB250_431:
	s_or_b64 exec, exec, s[24:25]
	v_and_b32_e32 v2, 0x7fffffff, v1
	s_mov_b32 s22, 0x47800000
	v_cmp_gt_u32_e32 vcc, s22, v2
	v_mov_b32_e32 v12, 0x80
	s_and_saveexec_b64 s[22:23], vcc
	s_cbranch_execz .LBB250_437
; %bb.432:
	s_mov_b32 s24, 0x37ffffff
	v_cmp_lt_u32_e32 vcc, s24, v2
	s_mov_b64 s[24:25], 0
                                        ; implicit-def: $vgpr2
	s_and_saveexec_b64 s[26:27], vcc
	s_xor_b64 s[26:27], exec, s[26:27]
	s_cbranch_execnz .LBB250_564
; %bb.433:
	s_andn2_saveexec_b64 s[26:27], s[26:27]
	s_cbranch_execnz .LBB250_565
.LBB250_434:
	s_or_b64 exec, exec, s[26:27]
	v_mov_b32_e32 v12, 0
	s_and_saveexec_b64 s[26:27], s[24:25]
.LBB250_435:
	v_lshrrev_b32_e32 v1, 24, v1
	s_movk_i32 s24, 0x80
	v_and_or_b32 v12, v1, s24, v2
.LBB250_436:
	s_or_b64 exec, exec, s[26:27]
.LBB250_437:
	s_or_b64 exec, exec, s[22:23]
.LBB250_438:
	s_or_b64 exec, exec, s[20:21]
	s_or_b64 s[18:19], s[18:19], exec
.LBB250_439:
	s_or_b64 exec, exec, s[14:15]
	s_and_b64 s[14:15], s[18:19], exec
	s_and_b64 s[16:17], s[16:17], exec
	s_andn2_saveexec_b64 s[12:13], s[12:13]
	s_cbranch_execz .LBB250_130
.LBB250_440:
	v_cmp_lt_i16_e32 vcc, 22, v11
	s_mov_b64 s[18:19], s[14:15]
                                        ; implicit-def: $vgpr12
	s_and_saveexec_b64 s[10:11], vcc
	s_xor_b64 s[10:11], exec, s[10:11]
	s_cbranch_execz .LBB250_462
; %bb.441:
	v_cmp_lt_i16_e32 vcc, 23, v11
                                        ; implicit-def: $vgpr12
	s_and_saveexec_b64 s[18:19], vcc
	s_xor_b64 s[18:19], exec, s[18:19]
	s_cbranch_execz .LBB250_453
; %bb.442:
	v_cmp_lt_i16_e32 vcc, 24, v11
                                        ; implicit-def: $vgpr12
	s_and_saveexec_b64 s[20:21], vcc
	s_xor_b64 s[20:21], exec, s[20:21]
	s_cbranch_execz .LBB250_444
; %bb.443:
	flat_load_ubyte v12, v[8:9]
.LBB250_444:
	s_andn2_saveexec_b64 s[20:21], s[20:21]
	s_cbranch_execz .LBB250_452
; %bb.445:
	flat_load_ubyte v1, v[8:9]
	s_mov_b32 s22, 0x7f800000
	s_brev_b32 s23, 1
	s_mov_b32 s24, 0x47800000
	s_waitcnt vmcnt(0) lgkmcnt(0)
	v_mov_b32_e32 v12, 0x80
	v_lshlrev_b32_e32 v1, 24, v1
	v_and_b32_e32 v2, 0x7f000000, v1
	v_ffbh_u32_e32 v3, v2
	v_min_u32_e32 v3, 32, v3
	v_sub_u32_e64 v3, v3, 4 clamp
	v_lshlrev_b32_e32 v5, v3, v2
	v_lshlrev_b32_e32 v3, 23, v3
	v_lshrrev_b32_e32 v5, 4, v5
	v_add_u32_e32 v4, 0x1000000, v2
	v_sub_u32_e32 v3, v5, v3
	v_ashrrev_i32_e32 v4, 8, v4
	v_add_u32_e32 v3, 0x3c000000, v3
	v_and_or_b32 v3, v4, s22, v3
	v_cmp_ne_u32_e32 vcc, 0, v2
	v_cndmask_b32_e32 v3, 0, v3, vcc
	v_and_or_b32 v1, v1, s23, v3
	v_and_b32_e32 v2, 0x7fffffff, v1
	v_cmp_gt_u32_e32 vcc, s24, v2
	s_and_saveexec_b64 s[22:23], vcc
	s_cbranch_execz .LBB250_451
; %bb.446:
	s_mov_b32 s24, 0x37ffffff
	v_cmp_lt_u32_e32 vcc, s24, v2
	s_mov_b64 s[24:25], 0
                                        ; implicit-def: $vgpr2
	s_and_saveexec_b64 s[26:27], vcc
	s_xor_b64 s[26:27], exec, s[26:27]
	s_cbranch_execnz .LBB250_578
; %bb.447:
	s_andn2_saveexec_b64 s[26:27], s[26:27]
	s_cbranch_execnz .LBB250_579
.LBB250_448:
	s_or_b64 exec, exec, s[26:27]
	v_mov_b32_e32 v12, 0
	s_and_saveexec_b64 s[26:27], s[24:25]
.LBB250_449:
	v_lshrrev_b32_e32 v1, 24, v1
	s_movk_i32 s24, 0x80
	v_and_or_b32 v12, v1, s24, v2
.LBB250_450:
	s_or_b64 exec, exec, s[26:27]
.LBB250_451:
	s_or_b64 exec, exec, s[22:23]
.LBB250_452:
	s_or_b64 exec, exec, s[20:21]
.LBB250_453:
	s_andn2_saveexec_b64 s[18:19], s[18:19]
	s_cbranch_execz .LBB250_461
; %bb.454:
	flat_load_ubyte v1, v[8:9]
	s_movk_i32 s20, 0x7f00
	s_brev_b32 s21, 16
	s_brev_b32 s22, 1
	s_mov_b32 s23, 0x47800000
	s_waitcnt vmcnt(0) lgkmcnt(0)
	v_mov_b32_e32 v12, 0x80
	v_lshlrev_b16_e32 v2, 8, v1
	v_lshlrev_b32_e32 v1, 25, v1
	v_lshrrev_b32_e32 v3, 4, v1
	v_and_or_b32 v4, v2, s20, 0.5
	v_or_b32_e32 v3, 0x70000000, v3
	v_add_f32_e32 v4, -0.5, v4
	v_mul_f32_e32 v3, 0x7800000, v3
	v_cmp_gt_u32_e32 vcc, s21, v1
	v_bfe_i32 v2, v2, 0, 16
	v_cndmask_b32_e32 v3, v3, v4, vcc
	v_and_or_b32 v1, v2, s22, v3
	v_and_b32_e32 v2, 0x7fffffff, v1
	v_cmp_gt_u32_e32 vcc, s23, v2
	s_and_saveexec_b64 s[20:21], vcc
	s_cbranch_execz .LBB250_460
; %bb.455:
	s_mov_b32 s22, 0x37ffffff
	v_cmp_lt_u32_e32 vcc, s22, v2
	s_mov_b64 s[22:23], 0
                                        ; implicit-def: $vgpr2
	s_and_saveexec_b64 s[24:25], vcc
	s_xor_b64 s[24:25], exec, s[24:25]
	s_cbranch_execnz .LBB250_566
; %bb.456:
	s_andn2_saveexec_b64 s[24:25], s[24:25]
	s_cbranch_execnz .LBB250_567
.LBB250_457:
	s_or_b64 exec, exec, s[24:25]
	v_mov_b32_e32 v12, 0
	s_and_saveexec_b64 s[24:25], s[22:23]
.LBB250_458:
	v_lshrrev_b32_e32 v1, 24, v1
	s_movk_i32 s22, 0x80
	v_and_or_b32 v12, v1, s22, v2
.LBB250_459:
	s_or_b64 exec, exec, s[24:25]
.LBB250_460:
	s_or_b64 exec, exec, s[20:21]
.LBB250_461:
	s_or_b64 exec, exec, s[18:19]
	s_or_b64 s[18:19], s[14:15], exec
.LBB250_462:
	s_or_saveexec_b64 s[10:11], s[10:11]
	s_mov_b64 s[20:21], 0
	s_mov_b64 s[22:23], s[16:17]
	s_xor_b64 exec, exec, s[10:11]
	s_cbranch_execz .LBB250_476
; %bb.463:
	v_cmp_lt_i16_e32 vcc, 14, v11
	s_mov_b64 s[22:23], s[16:17]
	s_mov_b64 s[24:25], s[18:19]
                                        ; implicit-def: $vgpr12
	s_and_saveexec_b64 s[20:21], vcc
	s_xor_b64 s[20:21], exec, s[20:21]
	s_cbranch_execz .LBB250_473
; %bb.464:
	v_cmp_eq_u16_e32 vcc, 15, v11
	s_mov_b64 s[26:27], -1
	s_mov_b64 s[24:25], s[18:19]
                                        ; implicit-def: $vgpr12
	s_and_saveexec_b64 s[22:23], vcc
	s_cbranch_execz .LBB250_472
; %bb.465:
	flat_load_ushort v1, v[8:9]
	s_mov_b32 s24, 0x47800000
	s_waitcnt vmcnt(0) lgkmcnt(0)
	v_mov_b32_e32 v12, 0x80
	v_lshlrev_b32_e32 v3, 16, v1
	v_and_b32_e32 v2, 0x7fffffff, v3
	v_cmp_gt_u32_e32 vcc, s24, v2
	s_and_saveexec_b64 s[24:25], vcc
	s_cbranch_execz .LBB250_471
; %bb.466:
	s_mov_b32 s26, 0x37ffffff
	v_cmp_lt_u32_e32 vcc, s26, v2
	s_mov_b64 s[26:27], 0
                                        ; implicit-def: $vgpr2
	s_and_saveexec_b64 s[28:29], vcc
	s_xor_b64 s[28:29], exec, s[28:29]
	s_cbranch_execnz .LBB250_580
; %bb.467:
	s_andn2_saveexec_b64 s[28:29], s[28:29]
	s_cbranch_execnz .LBB250_581
.LBB250_468:
	s_or_b64 exec, exec, s[28:29]
	v_mov_b32_e32 v12, 0
	s_and_saveexec_b64 s[28:29], s[26:27]
.LBB250_469:
	v_lshrrev_b32_e32 v1, 8, v1
	s_movk_i32 s26, 0x80
	v_and_or_b32 v12, v1, s26, v2
.LBB250_470:
	s_or_b64 exec, exec, s[28:29]
.LBB250_471:
	s_or_b64 exec, exec, s[24:25]
	s_or_b64 s[24:25], s[18:19], exec
	s_xor_b64 s[26:27], exec, -1
.LBB250_472:
	s_or_b64 exec, exec, s[22:23]
	s_andn2_b64 s[22:23], s[18:19], exec
	s_and_b64 s[24:25], s[24:25], exec
	s_or_b64 s[24:25], s[22:23], s[24:25]
	s_andn2_b64 s[22:23], s[16:17], exec
	s_and_b64 s[26:27], s[26:27], exec
	s_or_b64 s[22:23], s[22:23], s[26:27]
.LBB250_473:
	s_or_saveexec_b64 s[20:21], s[20:21]
	s_mov_b64 s[26:27], 0
	s_xor_b64 exec, exec, s[20:21]
; %bb.474:
	v_cmp_ne_u16_e32 vcc, 11, v11
	s_andn2_b64 s[22:23], s[22:23], exec
	s_and_b64 s[28:29], vcc, exec
	s_mov_b64 s[26:27], exec
	s_or_b64 s[22:23], s[22:23], s[28:29]
; %bb.475:
	s_or_b64 exec, exec, s[20:21]
	s_andn2_b64 s[18:19], s[18:19], exec
	s_and_b64 s[20:21], s[24:25], exec
	s_andn2_b64 s[24:25], s[16:17], exec
	s_and_b64 s[22:23], s[22:23], exec
	s_or_b64 s[18:19], s[18:19], s[20:21]
	s_and_b64 s[20:21], s[26:27], exec
	s_or_b64 s[22:23], s[24:25], s[22:23]
.LBB250_476:
	s_or_b64 exec, exec, s[10:11]
	s_andn2_b64 s[10:11], s[14:15], exec
	s_and_b64 s[14:15], s[18:19], exec
	s_andn2_b64 s[16:17], s[16:17], exec
	s_and_b64 s[18:19], s[22:23], exec
	s_or_b64 s[14:15], s[10:11], s[14:15]
	s_and_b64 s[10:11], s[20:21], exec
	s_or_b64 s[16:17], s[16:17], s[18:19]
	s_or_b64 exec, exec, s[12:13]
	s_mov_b64 s[18:19], s[6:7]
	s_and_saveexec_b64 s[12:13], s[16:17]
	s_cbranch_execz .LBB250_131
.LBB250_477:
	s_andn2_b64 s[10:11], s[10:11], exec
	s_or_b64 s[18:19], s[6:7], exec
	s_trap 2
	s_branch .LBB250_131
.LBB250_478:
	v_bfe_u32 v1, v2, 21, 1
	s_mov_b32 s16, 0x88fffff
	v_add3_u32 v1, v2, v1, s16
	s_mov_b64 s[10:11], exec
	v_lshrrev_b32_e32 v1, 21, v1
                                        ; implicit-def: $vgpr2
	s_andn2_saveexec_b64 s[14:15], s[14:15]
	s_cbranch_execz .LBB250_137
.LBB250_479:
	v_add_f32_e32 v1, 0x42800000, v2
	v_and_b32_e32 v1, 0xff, v1
	v_cmp_ne_u32_e32 vcc, 0, v1
	s_andn2_b64 s[10:11], s[10:11], exec
	s_and_b64 s[16:17], vcc, exec
	s_or_b64 s[10:11], s[10:11], s[16:17]
	s_or_b64 exec, exec, s[14:15]
	v_mov_b32_e32 v12, 0
	s_and_saveexec_b64 s[14:15], s[10:11]
	s_cbranch_execnz .LBB250_138
	s_branch .LBB250_139
.LBB250_480:
	s_movk_i32 s8, 0x80
	v_cmp_eq_u16_sdwa s[14:15], v10, s8 src0_sel:BYTE_0 src1_sel:DWORD
	s_mov_b64 s[8:9], -1
	s_and_saveexec_b64 s[12:13], s[14:15]
; %bb.481:
	s_xor_b64 s[8:9], exec, -1
; %bb.482:
	s_or_b64 exec, exec, s[12:13]
	s_and_b64 s[8:9], s[8:9], exec
	s_or_saveexec_b64 s[10:11], s[10:11]
	v_mov_b32_e32 v0, 0x7f800001
	s_xor_b64 exec, exec, s[10:11]
	s_cbranch_execz .LBB250_251
.LBB250_483:
	v_mov_b32_e32 v0, 0
	v_cmp_ne_u16_sdwa s[12:13], v10, v0 src0_sel:BYTE_0 src1_sel:DWORD
	s_andn2_b64 s[8:9], s[8:9], exec
	s_and_b64 s[12:13], s[12:13], exec
	s_or_b64 s[8:9], s[8:9], s[12:13]
	s_or_b64 exec, exec, s[10:11]
	s_and_saveexec_b64 s[10:11], s[8:9]
	s_cbranch_execnz .LBB250_252
	s_branch .LBB250_253
.LBB250_484:
	s_movk_i32 s8, 0x80
	v_cmp_eq_u16_sdwa s[14:15], v12, s8 src0_sel:BYTE_0 src1_sel:DWORD
	s_mov_b64 s[8:9], -1
	s_and_saveexec_b64 s[12:13], s[14:15]
; %bb.485:
	s_xor_b64 s[8:9], exec, -1
; %bb.486:
	s_or_b64 exec, exec, s[12:13]
	s_and_b64 s[8:9], s[8:9], exec
	s_or_saveexec_b64 s[10:11], s[10:11]
	v_mov_b32_e32 v1, 0x7f800001
	s_xor_b64 exec, exec, s[10:11]
	s_cbranch_execz .LBB250_255
.LBB250_487:
	v_mov_b32_e32 v1, 0
	v_cmp_ne_u16_sdwa s[12:13], v12, v1 src0_sel:BYTE_0 src1_sel:DWORD
	s_andn2_b64 s[8:9], s[8:9], exec
	s_and_b64 s[12:13], s[12:13], exec
	s_or_b64 s[8:9], s[8:9], s[12:13]
	s_or_b64 exec, exec, s[10:11]
	s_and_saveexec_b64 s[10:11], s[8:9]
	s_cbranch_execnz .LBB250_256
	s_branch .LBB250_257
.LBB250_488:
	s_movk_i32 s4, 0x80
	v_cmp_eq_u16_sdwa s[14:15], v10, s4 src0_sel:BYTE_0 src1_sel:DWORD
	s_mov_b64 s[4:5], -1
	s_and_saveexec_b64 s[12:13], s[14:15]
; %bb.489:
	s_xor_b64 s[4:5], exec, -1
; %bb.490:
	s_or_b64 exec, exec, s[12:13]
	s_and_b64 s[4:5], s[4:5], exec
	s_or_saveexec_b64 s[10:11], s[10:11]
	v_mov_b32_e32 v0, 0x7f800001
	s_xor_b64 exec, exec, s[10:11]
	s_cbranch_execz .LBB250_261
.LBB250_491:
	v_mov_b32_e32 v0, 0
	v_cmp_ne_u16_sdwa s[12:13], v10, v0 src0_sel:BYTE_0 src1_sel:DWORD
	s_andn2_b64 s[4:5], s[4:5], exec
	s_and_b64 s[12:13], s[12:13], exec
	s_or_b64 s[4:5], s[4:5], s[12:13]
	s_or_b64 exec, exec, s[10:11]
	s_and_saveexec_b64 s[10:11], s[4:5]
	s_cbranch_execnz .LBB250_262
	s_branch .LBB250_263
.LBB250_492:
	s_movk_i32 s4, 0x80
	v_cmp_eq_u16_sdwa s[14:15], v12, s4 src0_sel:BYTE_0 src1_sel:DWORD
	s_mov_b64 s[4:5], -1
	s_and_saveexec_b64 s[12:13], s[14:15]
; %bb.493:
	s_xor_b64 s[4:5], exec, -1
; %bb.494:
	s_or_b64 exec, exec, s[12:13]
	s_and_b64 s[4:5], s[4:5], exec
	s_or_saveexec_b64 s[10:11], s[10:11]
	v_mov_b32_e32 v1, 0x7f800001
	s_xor_b64 exec, exec, s[10:11]
	s_cbranch_execz .LBB250_265
.LBB250_495:
	v_mov_b32_e32 v1, 0
	v_cmp_ne_u16_sdwa s[12:13], v12, v1 src0_sel:BYTE_0 src1_sel:DWORD
	s_andn2_b64 s[4:5], s[4:5], exec
	s_and_b64 s[12:13], s[12:13], exec
	s_or_b64 s[4:5], s[4:5], s[12:13]
	s_or_b64 exec, exec, s[10:11]
	s_and_saveexec_b64 s[10:11], s[4:5]
	s_cbranch_execnz .LBB250_266
	s_branch .LBB250_267
.LBB250_496:
	v_bfe_u32 v8, v9, 21, 1
	s_mov_b32 s18, 0x88fffff
	v_add3_u32 v8, v9, v8, s18
	s_mov_b64 s[14:15], exec
	v_lshrrev_b32_e32 v8, 21, v8
                                        ; implicit-def: $vgpr9
	s_andn2_saveexec_b64 s[16:17], s[16:17]
	s_cbranch_execz .LBB250_8
.LBB250_497:
	v_add_f32_e32 v8, 0x42800000, v9
	v_and_b32_e32 v8, 0xff, v8
	v_cmp_ne_u32_e32 vcc, 0, v8
	s_andn2_b64 s[14:15], s[14:15], exec
	s_and_b64 s[18:19], vcc, exec
	s_or_b64 s[14:15], s[14:15], s[18:19]
	s_or_b64 exec, exec, s[16:17]
	v_mov_b32_e32 v10, 0
	s_and_saveexec_b64 s[16:17], s[14:15]
	s_cbranch_execnz .LBB250_9
	s_branch .LBB250_10
.LBB250_498:
	s_movk_i32 s18, 0x80
	v_cmp_eq_u16_e32 vcc, s18, v10
	s_mov_b64 s[18:19], -1
	s_and_saveexec_b64 s[22:23], vcc
; %bb.499:
	s_xor_b64 s[18:19], exec, -1
; %bb.500:
	s_or_b64 exec, exec, s[22:23]
	s_and_b64 s[18:19], s[18:19], exec
	s_or_saveexec_b64 s[20:21], s[20:21]
	v_mov_b32_e32 v11, 0x7f800001
	s_xor_b64 exec, exec, s[20:21]
	s_cbranch_execz .LBB250_324
.LBB250_501:
	v_cmp_ne_u16_e32 vcc, 0, v10
	s_andn2_b64 s[18:19], s[18:19], exec
	s_and_b64 s[22:23], vcc, exec
	v_mov_b32_e32 v11, 0
	s_or_b64 s[18:19], s[18:19], s[22:23]
	s_or_b64 exec, exec, s[20:21]
	s_and_saveexec_b64 s[20:21], s[18:19]
	s_cbranch_execnz .LBB250_325
	s_branch .LBB250_326
.LBB250_502:
	v_bfe_u32 v9, v8, 21, 1
	s_mov_b32 s22, 0x88fffff
	v_add3_u32 v9, v8, v9, s22
	s_mov_b64 s[18:19], exec
	v_lshrrev_b32_e32 v9, 21, v9
	s_andn2_saveexec_b64 s[20:21], s[20:21]
	s_cbranch_execz .LBB250_38
.LBB250_503:
	s_mov_b32 s22, 0x42800000
	v_add_f32_e64 v9, |v8|, s22
	v_and_b32_e32 v9, 0xff, v9
	v_cmp_ne_u32_e32 vcc, 0, v9
	s_andn2_b64 s[18:19], s[18:19], exec
	s_and_b64 s[22:23], vcc, exec
	s_or_b64 s[18:19], s[18:19], s[22:23]
	s_or_b64 exec, exec, s[20:21]
	v_mov_b32_e32 v10, 0
	s_and_saveexec_b64 s[20:21], s[18:19]
	s_cbranch_execnz .LBB250_39
	s_branch .LBB250_40
.LBB250_504:
	v_bfe_u32 v9, v8, 21, 1
	s_mov_b32 s22, 0x88fffff
	v_add3_u32 v9, v8, v9, s22
	s_mov_b64 s[18:19], exec
	v_lshrrev_b32_e32 v9, 21, v9
	s_andn2_saveexec_b64 s[20:21], s[20:21]
	s_cbranch_execz .LBB250_66
.LBB250_505:
	s_mov_b32 s22, 0x42800000
	v_add_f32_e64 v9, |v8|, s22
	v_and_b32_e32 v9, 0xff, v9
	v_cmp_ne_u32_e32 vcc, 0, v9
	s_andn2_b64 s[18:19], s[18:19], exec
	s_and_b64 s[22:23], vcc, exec
	s_or_b64 s[18:19], s[18:19], s[22:23]
	s_or_b64 exec, exec, s[20:21]
	v_mov_b32_e32 v10, 0
	s_and_saveexec_b64 s[20:21], s[18:19]
	s_cbranch_execnz .LBB250_67
	s_branch .LBB250_68
.LBB250_506:
	v_bfe_u32 v9, v8, 21, 1
	s_mov_b32 s22, 0x88fffff
	v_add3_u32 v9, v8, v9, s22
	s_mov_b64 s[18:19], exec
	v_lshrrev_b32_e32 v9, 21, v9
	s_andn2_saveexec_b64 s[20:21], s[20:21]
	s_cbranch_execz .LBB250_96
.LBB250_507:
	s_mov_b32 s22, 0x42800000
	v_add_f32_e64 v9, |v8|, s22
	v_and_b32_e32 v9, 0xff, v9
	v_cmp_ne_u32_e32 vcc, 0, v9
	s_andn2_b64 s[18:19], s[18:19], exec
	s_and_b64 s[22:23], vcc, exec
	s_or_b64 s[18:19], s[18:19], s[22:23]
	s_or_b64 exec, exec, s[20:21]
	v_mov_b32_e32 v10, 0
	s_and_saveexec_b64 s[20:21], s[18:19]
	s_cbranch_execnz .LBB250_97
	s_branch .LBB250_98
.LBB250_508:
	v_bfe_u32 v9, v8, 21, 1
	s_mov_b32 s22, 0x88fffff
	v_add3_u32 v9, v8, v9, s22
	s_mov_b64 s[18:19], exec
	v_lshrrev_b32_e32 v9, 21, v9
	s_andn2_saveexec_b64 s[20:21], s[20:21]
	s_cbranch_execz .LBB250_106
.LBB250_509:
	s_mov_b32 s22, 0x42800000
	v_add_f32_e64 v9, |v8|, s22
	v_and_b32_e32 v9, 0xff, v9
	v_cmp_ne_u32_e32 vcc, 0, v9
	s_andn2_b64 s[18:19], s[18:19], exec
	s_and_b64 s[22:23], vcc, exec
	s_or_b64 s[18:19], s[18:19], s[22:23]
	s_or_b64 exec, exec, s[20:21]
	v_mov_b32_e32 v10, 0
	s_and_saveexec_b64 s[20:21], s[18:19]
	s_cbranch_execnz .LBB250_107
	s_branch .LBB250_108
.LBB250_510:
	v_bfe_u32 v8, v9, 21, 1
	s_mov_b32 s22, 0x88fffff
	v_add3_u32 v8, v9, v8, s22
	s_mov_b64 s[18:19], exec
	v_lshrrev_b32_e32 v8, 21, v8
                                        ; implicit-def: $vgpr9
	s_andn2_saveexec_b64 s[20:21], s[20:21]
	s_cbranch_execz .LBB250_114
.LBB250_511:
	v_add_f32_e32 v8, 0x42800000, v9
	v_and_b32_e32 v8, 0xff, v8
	v_cmp_ne_u32_e32 vcc, 0, v8
	s_andn2_b64 s[18:19], s[18:19], exec
	s_and_b64 s[22:23], vcc, exec
	s_or_b64 s[18:19], s[18:19], s[22:23]
	s_or_b64 exec, exec, s[20:21]
	v_mov_b32_e32 v10, 0
	s_and_saveexec_b64 s[20:21], s[18:19]
	s_cbranch_execnz .LBB250_115
	s_branch .LBB250_116
.LBB250_512:
	v_bfe_u32 v2, v1, 21, 1
	s_mov_b32 s20, 0x88fffff
	v_add3_u32 v2, v1, v2, s20
	s_mov_b64 s[16:17], exec
	v_lshrrev_b32_e32 v2, 21, v2
	s_andn2_saveexec_b64 s[18:19], s[18:19]
	s_cbranch_execz .LBB250_165
.LBB250_513:
	s_mov_b32 s20, 0x42800000
	v_add_f32_e64 v2, |v1|, s20
	v_and_b32_e32 v2, 0xff, v2
	v_cmp_ne_u32_e32 vcc, 0, v2
	s_andn2_b64 s[16:17], s[16:17], exec
	s_and_b64 s[20:21], vcc, exec
	s_or_b64 s[16:17], s[16:17], s[20:21]
	s_or_b64 exec, exec, s[18:19]
	v_mov_b32_e32 v12, 0
	s_and_saveexec_b64 s[18:19], s[16:17]
	s_cbranch_execnz .LBB250_166
	s_branch .LBB250_167
.LBB250_514:
	v_bfe_u32 v2, v1, 21, 1
	s_mov_b32 s20, 0x88fffff
	v_add3_u32 v2, v1, v2, s20
	s_mov_b64 s[16:17], exec
	v_lshrrev_b32_e32 v2, 21, v2
	s_andn2_saveexec_b64 s[18:19], s[18:19]
	s_cbranch_execz .LBB250_193
.LBB250_515:
	s_mov_b32 s20, 0x42800000
	v_add_f32_e64 v2, |v1|, s20
	v_and_b32_e32 v2, 0xff, v2
	v_cmp_ne_u32_e32 vcc, 0, v2
	s_andn2_b64 s[16:17], s[16:17], exec
	s_and_b64 s[20:21], vcc, exec
	s_or_b64 s[16:17], s[16:17], s[20:21]
	s_or_b64 exec, exec, s[18:19]
	v_mov_b32_e32 v12, 0
	s_and_saveexec_b64 s[18:19], s[16:17]
	s_cbranch_execnz .LBB250_194
	s_branch .LBB250_195
.LBB250_516:
	v_bfe_u32 v2, v1, 21, 1
	s_mov_b32 s20, 0x88fffff
	v_add3_u32 v2, v1, v2, s20
	s_mov_b64 s[16:17], exec
	v_lshrrev_b32_e32 v2, 21, v2
	s_andn2_saveexec_b64 s[18:19], s[18:19]
	s_cbranch_execz .LBB250_223
.LBB250_517:
	s_mov_b32 s20, 0x42800000
	v_add_f32_e64 v2, |v1|, s20
	v_and_b32_e32 v2, 0xff, v2
	v_cmp_ne_u32_e32 vcc, 0, v2
	s_andn2_b64 s[16:17], s[16:17], exec
	s_and_b64 s[20:21], vcc, exec
	s_or_b64 s[16:17], s[16:17], s[20:21]
	s_or_b64 exec, exec, s[18:19]
	v_mov_b32_e32 v12, 0
	s_and_saveexec_b64 s[18:19], s[16:17]
	s_cbranch_execnz .LBB250_224
	s_branch .LBB250_225
.LBB250_518:
	v_bfe_u32 v2, v1, 21, 1
	s_mov_b32 s20, 0x88fffff
	v_add3_u32 v2, v1, v2, s20
	s_mov_b64 s[16:17], exec
	v_lshrrev_b32_e32 v2, 21, v2
	s_andn2_saveexec_b64 s[18:19], s[18:19]
	s_cbranch_execz .LBB250_233
.LBB250_519:
	s_mov_b32 s20, 0x42800000
	v_add_f32_e64 v2, |v1|, s20
	v_and_b32_e32 v2, 0xff, v2
	v_cmp_ne_u32_e32 vcc, 0, v2
	s_andn2_b64 s[16:17], s[16:17], exec
	s_and_b64 s[20:21], vcc, exec
	s_or_b64 s[16:17], s[16:17], s[20:21]
	s_or_b64 exec, exec, s[18:19]
	v_mov_b32_e32 v12, 0
	s_and_saveexec_b64 s[18:19], s[16:17]
	s_cbranch_execnz .LBB250_234
	s_branch .LBB250_235
.LBB250_520:
	v_bfe_u32 v1, v2, 21, 1
	s_mov_b32 s20, 0x88fffff
	v_add3_u32 v1, v2, v1, s20
	s_mov_b64 s[16:17], exec
	v_lshrrev_b32_e32 v1, 21, v1
                                        ; implicit-def: $vgpr2
	s_andn2_saveexec_b64 s[18:19], s[18:19]
	s_cbranch_execz .LBB250_241
.LBB250_521:
	v_add_f32_e32 v1, 0x42800000, v2
	v_and_b32_e32 v1, 0xff, v1
	v_cmp_ne_u32_e32 vcc, 0, v1
	s_andn2_b64 s[16:17], s[16:17], exec
	s_and_b64 s[20:21], vcc, exec
	s_or_b64 s[16:17], s[16:17], s[20:21]
	s_or_b64 exec, exec, s[18:19]
	v_mov_b32_e32 v12, 0
	s_and_saveexec_b64 s[18:19], s[16:17]
	s_cbranch_execnz .LBB250_242
	s_branch .LBB250_243
.LBB250_522:
	v_bfe_u32 v10, v11, 21, 1
	s_mov_b32 s24, 0x88fffff
	v_add3_u32 v10, v11, v10, s24
	s_mov_b64 s[20:21], exec
	v_lshrrev_b32_e32 v12, 21, v10
	s_andn2_saveexec_b64 s[22:23], s[22:23]
	s_cbranch_execz .LBB250_329
.LBB250_523:
	s_mov_b32 s24, 0x42800000
	v_add_f32_e64 v10, |v11|, s24
	v_and_b32_e32 v12, 0xff, v10
	v_cmp_ne_u32_e32 vcc, 0, v12
	s_andn2_b64 s[20:21], s[20:21], exec
	s_and_b64 s[24:25], vcc, exec
	s_or_b64 s[20:21], s[20:21], s[24:25]
	s_or_b64 exec, exec, s[22:23]
	v_mov_b32_e32 v10, 0
	s_and_saveexec_b64 s[22:23], s[20:21]
	s_cbranch_execnz .LBB250_330
	s_branch .LBB250_331
.LBB250_524:
	v_bfe_u32 v10, v13, 21, 1
	s_mov_b32 s22, 0x88fffff
	v_add3_u32 v10, v11, v10, s22
	s_mov_b64 s[18:19], exec
	v_lshrrev_b32_e32 v12, 21, v10
	s_andn2_saveexec_b64 s[20:21], s[20:21]
	s_cbranch_execz .LBB250_352
.LBB250_525:
	s_mov_b32 s22, 0x42800000
	v_add_f32_e64 v10, |v11|, s22
	v_and_b32_e32 v12, 0xff, v10
	v_cmp_ne_u32_e32 vcc, 0, v12
	s_andn2_b64 s[18:19], s[18:19], exec
	s_and_b64 s[22:23], vcc, exec
	s_or_b64 s[18:19], s[18:19], s[22:23]
	s_or_b64 exec, exec, s[20:21]
	v_mov_b32_e32 v10, 0
	s_and_saveexec_b64 s[20:21], s[18:19]
	s_cbranch_execnz .LBB250_353
	s_branch .LBB250_354
.LBB250_526:
	s_movk_i32 s22, 0x80
	v_cmp_eq_u16_e32 vcc, s22, v2
	s_mov_b64 s[22:23], -1
	s_and_saveexec_b64 s[26:27], vcc
; %bb.527:
	s_xor_b64 s[22:23], exec, -1
; %bb.528:
	s_or_b64 exec, exec, s[26:27]
	s_and_b64 s[22:23], s[22:23], exec
	s_or_saveexec_b64 s[24:25], s[24:25]
	v_mov_b32_e32 v1, 0x7f800001
	s_xor_b64 exec, exec, s[24:25]
	s_cbranch_execz .LBB250_429
.LBB250_529:
	v_cmp_ne_u16_e32 vcc, 0, v2
	s_andn2_b64 s[22:23], s[22:23], exec
	s_and_b64 s[26:27], vcc, exec
	v_mov_b32_e32 v1, 0
	s_or_b64 s[22:23], s[22:23], s[26:27]
	s_or_b64 exec, exec, s[24:25]
	s_and_saveexec_b64 s[24:25], s[22:23]
	s_cbranch_execnz .LBB250_430
	s_branch .LBB250_431
.LBB250_530:
	v_bfe_u32 v9, v8, 21, 1
	s_mov_b32 s24, 0x88fffff
	v_add3_u32 v9, v8, v9, s24
	s_mov_b64 s[20:21], exec
	v_lshrrev_b32_e32 v9, 21, v9
	s_andn2_saveexec_b64 s[22:23], s[22:23]
	s_cbranch_execz .LBB250_21
.LBB250_531:
	s_mov_b32 s24, 0x42800000
	v_add_f32_e64 v9, |v8|, s24
	v_and_b32_e32 v9, 0xff, v9
	v_cmp_ne_u32_e32 vcc, 0, v9
	s_andn2_b64 s[20:21], s[20:21], exec
	s_and_b64 s[24:25], vcc, exec
	s_or_b64 s[20:21], s[20:21], s[24:25]
	s_or_b64 exec, exec, s[22:23]
	v_mov_b32_e32 v10, 0
	s_and_saveexec_b64 s[22:23], s[20:21]
	s_cbranch_execnz .LBB250_22
	s_branch .LBB250_23
.LBB250_532:
	v_bfe_u32 v9, v8, 21, 1
	s_mov_b32 s24, 0x88fffff
	v_add3_u32 v9, v8, v9, s24
	s_mov_b64 s[20:21], exec
	v_lshrrev_b32_e32 v9, 21, v9
	s_andn2_saveexec_b64 s[22:23], s[22:23]
	s_cbranch_execz .LBB250_29
.LBB250_533:
	s_mov_b32 s24, 0x42800000
	v_add_f32_e64 v9, |v8|, s24
	v_and_b32_e32 v9, 0xff, v9
	v_cmp_ne_u32_e32 vcc, 0, v9
	s_andn2_b64 s[20:21], s[20:21], exec
	s_and_b64 s[24:25], vcc, exec
	s_or_b64 s[20:21], s[20:21], s[24:25]
	s_or_b64 exec, exec, s[22:23]
	v_mov_b32_e32 v10, 0
	s_and_saveexec_b64 s[22:23], s[20:21]
	s_cbranch_execnz .LBB250_30
	s_branch .LBB250_31
.LBB250_534:
	v_bfe_u32 v9, v8, 21, 1
	s_mov_b32 s24, 0x88fffff
	v_add3_u32 v9, v8, v9, s24
	s_mov_b64 s[20:21], exec
	v_lshrrev_b32_e32 v9, 21, v9
	s_andn2_saveexec_b64 s[22:23], s[22:23]
	s_cbranch_execz .LBB250_49
.LBB250_535:
	s_mov_b32 s24, 0x42800000
	v_add_f32_e64 v9, |v8|, s24
	v_and_b32_e32 v9, 0xff, v9
	v_cmp_ne_u32_e32 vcc, 0, v9
	s_andn2_b64 s[20:21], s[20:21], exec
	s_and_b64 s[24:25], vcc, exec
	s_or_b64 s[20:21], s[20:21], s[24:25]
	s_or_b64 exec, exec, s[22:23]
	v_mov_b32_e32 v10, 0
	s_and_saveexec_b64 s[22:23], s[20:21]
	s_cbranch_execnz .LBB250_50
	s_branch .LBB250_51
.LBB250_536:
	v_bfe_u32 v9, v8, 21, 1
	s_mov_b32 s24, 0x88fffff
	v_add3_u32 v9, v8, v9, s24
	s_mov_b64 s[20:21], exec
	v_lshrrev_b32_e32 v9, 21, v9
	s_andn2_saveexec_b64 s[22:23], s[22:23]
	s_cbranch_execz .LBB250_57
.LBB250_537:
	s_mov_b32 s24, 0x42800000
	v_add_f32_e64 v9, |v8|, s24
	v_and_b32_e32 v9, 0xff, v9
	v_cmp_ne_u32_e32 vcc, 0, v9
	s_andn2_b64 s[20:21], s[20:21], exec
	s_and_b64 s[24:25], vcc, exec
	s_or_b64 s[20:21], s[20:21], s[24:25]
	s_or_b64 exec, exec, s[22:23]
	v_mov_b32_e32 v10, 0
	s_and_saveexec_b64 s[22:23], s[20:21]
	s_cbranch_execnz .LBB250_58
	s_branch .LBB250_59
.LBB250_538:
	v_bfe_u32 v9, v8, 21, 1
	s_mov_b32 s24, 0x88fffff
	v_add3_u32 v9, v8, v9, s24
	s_mov_b64 s[20:21], exec
	v_lshrrev_b32_e32 v9, 21, v9
	s_andn2_saveexec_b64 s[22:23], s[22:23]
	s_cbranch_execz .LBB250_79
.LBB250_539:
	s_mov_b32 s24, 0x42800000
	v_add_f32_e64 v9, |v8|, s24
	v_and_b32_e32 v9, 0xff, v9
	v_cmp_ne_u32_e32 vcc, 0, v9
	s_andn2_b64 s[20:21], s[20:21], exec
	s_and_b64 s[24:25], vcc, exec
	s_or_b64 s[20:21], s[20:21], s[24:25]
	s_or_b64 exec, exec, s[22:23]
	v_mov_b32_e32 v10, 0
	s_and_saveexec_b64 s[22:23], s[20:21]
	s_cbranch_execnz .LBB250_80
	s_branch .LBB250_81
.LBB250_540:
	v_bfe_u32 v9, v8, 21, 1
	s_mov_b32 s24, 0x88fffff
	v_add3_u32 v9, v8, v9, s24
	s_mov_b64 s[20:21], exec
	v_lshrrev_b32_e32 v9, 21, v9
	s_andn2_saveexec_b64 s[22:23], s[22:23]
	s_cbranch_execz .LBB250_87
.LBB250_541:
	s_mov_b32 s24, 0x42800000
	v_add_f32_e64 v9, |v8|, s24
	v_and_b32_e32 v9, 0xff, v9
	v_cmp_ne_u32_e32 vcc, 0, v9
	s_andn2_b64 s[20:21], s[20:21], exec
	s_and_b64 s[24:25], vcc, exec
	s_or_b64 s[20:21], s[20:21], s[24:25]
	s_or_b64 exec, exec, s[22:23]
	v_mov_b32_e32 v10, 0
	s_and_saveexec_b64 s[22:23], s[20:21]
	s_cbranch_execnz .LBB250_88
	s_branch .LBB250_89
.LBB250_542:
	v_bfe_u32 v2, v1, 21, 1
	s_mov_b32 s22, 0x88fffff
	v_add3_u32 v2, v1, v2, s22
	s_mov_b64 s[18:19], exec
	v_lshrrev_b32_e32 v2, 21, v2
	s_andn2_saveexec_b64 s[20:21], s[20:21]
	s_cbranch_execz .LBB250_148
.LBB250_543:
	s_mov_b32 s22, 0x42800000
	v_add_f32_e64 v2, |v1|, s22
	v_and_b32_e32 v2, 0xff, v2
	v_cmp_ne_u32_e32 vcc, 0, v2
	s_andn2_b64 s[18:19], s[18:19], exec
	s_and_b64 s[22:23], vcc, exec
	s_or_b64 s[18:19], s[18:19], s[22:23]
	s_or_b64 exec, exec, s[20:21]
	v_mov_b32_e32 v12, 0
	s_and_saveexec_b64 s[20:21], s[18:19]
	s_cbranch_execnz .LBB250_149
	s_branch .LBB250_150
.LBB250_544:
	v_bfe_u32 v2, v1, 21, 1
	s_mov_b32 s22, 0x88fffff
	v_add3_u32 v2, v1, v2, s22
	s_mov_b64 s[18:19], exec
	v_lshrrev_b32_e32 v2, 21, v2
	s_andn2_saveexec_b64 s[20:21], s[20:21]
	s_cbranch_execz .LBB250_156
.LBB250_545:
	s_mov_b32 s22, 0x42800000
	v_add_f32_e64 v2, |v1|, s22
	v_and_b32_e32 v2, 0xff, v2
	v_cmp_ne_u32_e32 vcc, 0, v2
	s_andn2_b64 s[18:19], s[18:19], exec
	s_and_b64 s[22:23], vcc, exec
	s_or_b64 s[18:19], s[18:19], s[22:23]
	s_or_b64 exec, exec, s[20:21]
	v_mov_b32_e32 v12, 0
	s_and_saveexec_b64 s[20:21], s[18:19]
	s_cbranch_execnz .LBB250_157
	s_branch .LBB250_158
.LBB250_546:
	v_bfe_u32 v2, v1, 21, 1
	s_mov_b32 s22, 0x88fffff
	v_add3_u32 v2, v1, v2, s22
	s_mov_b64 s[18:19], exec
	v_lshrrev_b32_e32 v2, 21, v2
	s_andn2_saveexec_b64 s[20:21], s[20:21]
	s_cbranch_execz .LBB250_176
.LBB250_547:
	s_mov_b32 s22, 0x42800000
	v_add_f32_e64 v2, |v1|, s22
	v_and_b32_e32 v2, 0xff, v2
	v_cmp_ne_u32_e32 vcc, 0, v2
	s_andn2_b64 s[18:19], s[18:19], exec
	s_and_b64 s[22:23], vcc, exec
	s_or_b64 s[18:19], s[18:19], s[22:23]
	s_or_b64 exec, exec, s[20:21]
	v_mov_b32_e32 v12, 0
	s_and_saveexec_b64 s[20:21], s[18:19]
	s_cbranch_execnz .LBB250_177
	s_branch .LBB250_178
.LBB250_548:
	v_bfe_u32 v2, v1, 21, 1
	s_mov_b32 s22, 0x88fffff
	v_add3_u32 v2, v1, v2, s22
	s_mov_b64 s[18:19], exec
	v_lshrrev_b32_e32 v2, 21, v2
	s_andn2_saveexec_b64 s[20:21], s[20:21]
	s_cbranch_execz .LBB250_184
.LBB250_549:
	s_mov_b32 s22, 0x42800000
	v_add_f32_e64 v2, |v1|, s22
	v_and_b32_e32 v2, 0xff, v2
	v_cmp_ne_u32_e32 vcc, 0, v2
	s_andn2_b64 s[18:19], s[18:19], exec
	s_and_b64 s[22:23], vcc, exec
	s_or_b64 s[18:19], s[18:19], s[22:23]
	s_or_b64 exec, exec, s[20:21]
	v_mov_b32_e32 v12, 0
	s_and_saveexec_b64 s[20:21], s[18:19]
	s_cbranch_execnz .LBB250_185
	s_branch .LBB250_186
.LBB250_550:
	v_bfe_u32 v2, v1, 21, 1
	s_mov_b32 s22, 0x88fffff
	v_add3_u32 v2, v1, v2, s22
	s_mov_b64 s[18:19], exec
	v_lshrrev_b32_e32 v2, 21, v2
	s_andn2_saveexec_b64 s[20:21], s[20:21]
	s_cbranch_execz .LBB250_206
.LBB250_551:
	s_mov_b32 s22, 0x42800000
	v_add_f32_e64 v2, |v1|, s22
	v_and_b32_e32 v2, 0xff, v2
	v_cmp_ne_u32_e32 vcc, 0, v2
	s_andn2_b64 s[18:19], s[18:19], exec
	s_and_b64 s[22:23], vcc, exec
	s_or_b64 s[18:19], s[18:19], s[22:23]
	s_or_b64 exec, exec, s[20:21]
	v_mov_b32_e32 v12, 0
	s_and_saveexec_b64 s[20:21], s[18:19]
	s_cbranch_execnz .LBB250_207
	s_branch .LBB250_208
.LBB250_552:
	v_bfe_u32 v2, v1, 21, 1
	s_mov_b32 s22, 0x88fffff
	v_add3_u32 v2, v1, v2, s22
	s_mov_b64 s[18:19], exec
	v_lshrrev_b32_e32 v2, 21, v2
	s_andn2_saveexec_b64 s[20:21], s[20:21]
	s_cbranch_execz .LBB250_214
.LBB250_553:
	s_mov_b32 s22, 0x42800000
	v_add_f32_e64 v2, |v1|, s22
	v_and_b32_e32 v2, 0xff, v2
	v_cmp_ne_u32_e32 vcc, 0, v2
	s_andn2_b64 s[18:19], s[18:19], exec
	s_and_b64 s[22:23], vcc, exec
	s_or_b64 s[18:19], s[18:19], s[22:23]
	s_or_b64 exec, exec, s[20:21]
	v_mov_b32_e32 v12, 0
	s_and_saveexec_b64 s[20:21], s[18:19]
	s_cbranch_execnz .LBB250_215
	s_branch .LBB250_216
.LBB250_554:
	v_bfe_u32 v10, v12, 21, 1
	s_mov_b32 s26, 0x88fffff
	v_add3_u32 v10, v12, v10, s26
	s_mov_b64 s[22:23], exec
	v_lshrrev_b32_e32 v11, 21, v10
                                        ; implicit-def: $vgpr12
	s_andn2_saveexec_b64 s[24:25], s[24:25]
	s_cbranch_execz .LBB250_296
.LBB250_555:
	v_add_f32_e32 v10, 0x42800000, v12
	v_and_b32_e32 v11, 0xff, v10
	v_cmp_ne_u32_e32 vcc, 0, v11
	s_andn2_b64 s[22:23], s[22:23], exec
	s_and_b64 s[26:27], vcc, exec
	s_or_b64 s[22:23], s[22:23], s[26:27]
	s_or_b64 exec, exec, s[24:25]
	v_mov_b32_e32 v10, 0
	s_and_saveexec_b64 s[24:25], s[22:23]
	s_cbranch_execnz .LBB250_297
	s_branch .LBB250_298
.LBB250_556:
	v_bfe_u32 v10, v12, 21, 1
	s_mov_b32 s26, 0x88fffff
	v_add3_u32 v10, v12, v10, s26
	s_mov_b64 s[22:23], exec
	v_lshrrev_b32_e32 v11, 21, v10
                                        ; implicit-def: $vgpr12
	s_andn2_saveexec_b64 s[24:25], s[24:25]
	s_cbranch_execz .LBB250_308
.LBB250_557:
	v_add_f32_e32 v10, 0x42800000, v12
	v_and_b32_e32 v11, 0xff, v10
	v_cmp_ne_u32_e32 vcc, 0, v11
	s_andn2_b64 s[22:23], s[22:23], exec
	s_and_b64 s[26:27], vcc, exec
	s_or_b64 s[22:23], s[22:23], s[26:27]
	s_or_b64 exec, exec, s[24:25]
	v_mov_b32_e32 v10, 0
	s_and_saveexec_b64 s[24:25], s[22:23]
	s_cbranch_execnz .LBB250_309
	s_branch .LBB250_310
.LBB250_558:
	v_bfe_u32 v10, v12, 21, 1
	s_mov_b32 s26, 0x88fffff
	v_add3_u32 v10, v12, v10, s26
	s_mov_b64 s[22:23], exec
	v_lshrrev_b32_e32 v11, 21, v10
                                        ; implicit-def: $vgpr12
	s_andn2_saveexec_b64 s[24:25], s[24:25]
	s_cbranch_execz .LBB250_316
.LBB250_559:
	v_add_f32_e32 v10, 0x42800000, v12
	v_and_b32_e32 v11, 0xff, v10
	v_cmp_ne_u32_e32 vcc, 0, v11
	s_andn2_b64 s[22:23], s[22:23], exec
	s_and_b64 s[26:27], vcc, exec
	s_or_b64 s[22:23], s[22:23], s[26:27]
	s_or_b64 exec, exec, s[24:25]
	v_mov_b32_e32 v10, 0
	s_and_saveexec_b64 s[24:25], s[22:23]
	s_cbranch_execnz .LBB250_317
	s_branch .LBB250_318
.LBB250_560:
	v_bfe_u32 v10, v13, 21, 1
	s_mov_b32 s24, 0x88fffff
	v_add3_u32 v10, v11, v10, s24
	s_mov_b64 s[20:21], exec
	v_lshrrev_b32_e32 v12, 21, v10
	s_andn2_saveexec_b64 s[22:23], s[22:23]
	s_cbranch_execz .LBB250_343
.LBB250_561:
	s_mov_b32 s24, 0x42800000
	v_add_f32_e64 v10, |v11|, s24
	v_and_b32_e32 v12, 0xff, v10
	v_cmp_ne_u32_e32 vcc, 0, v12
	s_andn2_b64 s[20:21], s[20:21], exec
	s_and_b64 s[24:25], vcc, exec
	s_or_b64 s[20:21], s[20:21], s[24:25]
	s_or_b64 exec, exec, s[22:23]
	v_mov_b32_e32 v10, 0
	s_and_saveexec_b64 s[22:23], s[20:21]
	s_cbranch_execnz .LBB250_344
	s_branch .LBB250_345
.LBB250_562:
	v_bfe_u32 v10, v11, 5, 1
	s_mov_b32 s26, 0x88fffff
	v_add3_u32 v10, v13, v10, s26
	s_mov_b64 s[22:23], exec
	v_lshrrev_b32_e32 v12, 21, v10
                                        ; implicit-def: $vgpr13
	s_andn2_saveexec_b64 s[24:25], s[24:25]
	s_cbranch_execz .LBB250_363
.LBB250_563:
	s_mov_b32 s26, 0x42800000
	v_add_f32_e64 v10, |v13|, s26
	v_and_b32_e32 v12, 0xff, v10
	v_cmp_ne_u32_e32 vcc, 0, v12
	s_andn2_b64 s[22:23], s[22:23], exec
	s_and_b64 s[26:27], vcc, exec
	s_or_b64 s[22:23], s[22:23], s[26:27]
	s_or_b64 exec, exec, s[24:25]
	v_mov_b32_e32 v10, 0
	s_and_saveexec_b64 s[24:25], s[22:23]
	s_cbranch_execnz .LBB250_364
	s_branch .LBB250_365
.LBB250_564:
	v_bfe_u32 v2, v1, 21, 1
	s_mov_b32 s28, 0x88fffff
	v_add3_u32 v2, v1, v2, s28
	s_mov_b64 s[24:25], exec
	v_lshrrev_b32_e32 v2, 21, v2
	s_andn2_saveexec_b64 s[26:27], s[26:27]
	s_cbranch_execz .LBB250_434
.LBB250_565:
	s_mov_b32 s28, 0x42800000
	v_add_f32_e64 v2, |v1|, s28
	v_and_b32_e32 v2, 0xff, v2
	v_cmp_ne_u32_e32 vcc, 0, v2
	s_andn2_b64 s[24:25], s[24:25], exec
	s_and_b64 s[28:29], vcc, exec
	s_or_b64 s[24:25], s[24:25], s[28:29]
	s_or_b64 exec, exec, s[26:27]
	v_mov_b32_e32 v12, 0
	s_and_saveexec_b64 s[26:27], s[24:25]
	s_cbranch_execnz .LBB250_435
	s_branch .LBB250_436
.LBB250_566:
	v_bfe_u32 v2, v3, 21, 1
	s_mov_b32 s26, 0x88fffff
	v_add3_u32 v2, v1, v2, s26
	s_mov_b64 s[22:23], exec
	v_lshrrev_b32_e32 v2, 21, v2
	s_andn2_saveexec_b64 s[24:25], s[24:25]
	s_cbranch_execz .LBB250_457
.LBB250_567:
	s_mov_b32 s26, 0x42800000
	v_add_f32_e64 v2, |v1|, s26
	v_and_b32_e32 v2, 0xff, v2
	v_cmp_ne_u32_e32 vcc, 0, v2
	s_andn2_b64 s[22:23], s[22:23], exec
	s_and_b64 s[26:27], vcc, exec
	s_or_b64 s[22:23], s[22:23], s[26:27]
	s_or_b64 exec, exec, s[24:25]
	v_mov_b32_e32 v12, 0
	s_and_saveexec_b64 s[24:25], s[22:23]
	s_cbranch_execnz .LBB250_458
	s_branch .LBB250_459
.LBB250_568:
	v_bfe_u32 v10, v11, 21, 1
	s_mov_b32 s24, 0x88fffff
	v_add3_u32 v10, v11, v10, s24
	s_mov_b64 s[20:21], exec
	v_lshrrev_b32_e32 v12, 21, v10
	s_andn2_saveexec_b64 s[22:23], s[22:23]
	s_cbranch_execz .LBB250_275
.LBB250_569:
	s_mov_b32 s24, 0x42800000
	v_add_f32_e64 v10, |v11|, s24
	v_and_b32_e32 v12, 0xff, v10
	v_cmp_ne_u32_e32 vcc, 0, v12
	s_andn2_b64 s[20:21], s[20:21], exec
	s_and_b64 s[24:25], vcc, exec
	s_or_b64 s[20:21], s[20:21], s[24:25]
	s_or_b64 exec, exec, s[22:23]
	v_mov_b32_e32 v10, 0
	s_and_saveexec_b64 s[22:23], s[20:21]
	s_cbranch_execnz .LBB250_276
	s_branch .LBB250_277
.LBB250_570:
	v_bfe_u32 v10, v12, 21, 1
	s_mov_b32 s28, 0x88fffff
	v_add3_u32 v10, v12, v10, s28
	s_mov_b64 s[24:25], exec
	v_lshrrev_b32_e32 v11, 21, v10
                                        ; implicit-def: $vgpr12
	s_andn2_saveexec_b64 s[26:27], s[26:27]
	s_cbranch_execz .LBB250_285
.LBB250_571:
	v_add_f32_e32 v10, 0x42800000, v12
	v_and_b32_e32 v11, 0xff, v10
	v_cmp_ne_u32_e32 vcc, 0, v11
	s_andn2_b64 s[24:25], s[24:25], exec
	s_and_b64 s[28:29], vcc, exec
	s_or_b64 s[24:25], s[24:25], s[28:29]
	s_or_b64 exec, exec, s[26:27]
	v_mov_b32_e32 v10, 0
	s_and_saveexec_b64 s[26:27], s[24:25]
	s_cbranch_execnz .LBB250_286
	s_branch .LBB250_287
.LBB250_572:
	v_bfe_u32 v1, v2, 21, 1
	s_mov_b32 s40, 0x88fffff
	v_add3_u32 v1, v2, v1, s40
	s_mov_b64 s[26:27], exec
	v_lshrrev_b32_e32 v1, 21, v1
                                        ; implicit-def: $vgpr2
	s_andn2_saveexec_b64 s[28:29], s[28:29]
	s_cbranch_execz .LBB250_401
.LBB250_573:
	v_add_f32_e32 v1, 0x42800000, v2
	v_and_b32_e32 v1, 0xff, v1
	v_cmp_ne_u32_e32 vcc, 0, v1
	s_andn2_b64 s[26:27], s[26:27], exec
	s_and_b64 s[40:41], vcc, exec
	s_or_b64 s[26:27], s[26:27], s[40:41]
	s_or_b64 exec, exec, s[28:29]
	v_mov_b32_e32 v12, 0
	s_and_saveexec_b64 s[28:29], s[26:27]
	s_cbranch_execnz .LBB250_402
	s_branch .LBB250_403
.LBB250_574:
	v_bfe_u32 v1, v2, 21, 1
	s_mov_b32 s40, 0x88fffff
	v_add3_u32 v1, v2, v1, s40
	s_mov_b64 s[26:27], exec
	v_lshrrev_b32_e32 v1, 21, v1
                                        ; implicit-def: $vgpr2
	s_andn2_saveexec_b64 s[28:29], s[28:29]
	s_cbranch_execz .LBB250_413
.LBB250_575:
	v_add_f32_e32 v1, 0x42800000, v2
	v_and_b32_e32 v1, 0xff, v1
	v_cmp_ne_u32_e32 vcc, 0, v1
	s_andn2_b64 s[26:27], s[26:27], exec
	s_and_b64 s[40:41], vcc, exec
	s_or_b64 s[26:27], s[26:27], s[40:41]
	s_or_b64 exec, exec, s[28:29]
	v_mov_b32_e32 v12, 0
	s_and_saveexec_b64 s[28:29], s[26:27]
	s_cbranch_execnz .LBB250_414
	s_branch .LBB250_415
.LBB250_576:
	v_bfe_u32 v1, v2, 21, 1
	s_mov_b32 s40, 0x88fffff
	v_add3_u32 v1, v2, v1, s40
	s_mov_b64 s[26:27], exec
	v_lshrrev_b32_e32 v1, 21, v1
                                        ; implicit-def: $vgpr2
	s_andn2_saveexec_b64 s[28:29], s[28:29]
	s_cbranch_execz .LBB250_421
.LBB250_577:
	v_add_f32_e32 v1, 0x42800000, v2
	v_and_b32_e32 v1, 0xff, v1
	v_cmp_ne_u32_e32 vcc, 0, v1
	s_andn2_b64 s[26:27], s[26:27], exec
	s_and_b64 s[40:41], vcc, exec
	s_or_b64 s[26:27], s[26:27], s[40:41]
	s_or_b64 exec, exec, s[28:29]
	v_mov_b32_e32 v12, 0
	s_and_saveexec_b64 s[28:29], s[26:27]
	s_cbranch_execnz .LBB250_422
	s_branch .LBB250_423
.LBB250_578:
	v_bfe_u32 v2, v3, 21, 1
	s_mov_b32 s28, 0x88fffff
	v_add3_u32 v2, v1, v2, s28
	s_mov_b64 s[24:25], exec
	v_lshrrev_b32_e32 v2, 21, v2
	s_andn2_saveexec_b64 s[26:27], s[26:27]
	s_cbranch_execz .LBB250_448
.LBB250_579:
	s_mov_b32 s28, 0x42800000
	v_add_f32_e64 v2, |v1|, s28
	v_and_b32_e32 v2, 0xff, v2
	v_cmp_ne_u32_e32 vcc, 0, v2
	s_andn2_b64 s[24:25], s[24:25], exec
	s_and_b64 s[28:29], vcc, exec
	s_or_b64 s[24:25], s[24:25], s[28:29]
	s_or_b64 exec, exec, s[26:27]
	v_mov_b32_e32 v12, 0
	s_and_saveexec_b64 s[26:27], s[24:25]
	s_cbranch_execnz .LBB250_449
	s_branch .LBB250_450
.LBB250_580:
	v_bfe_u32 v2, v1, 5, 1
	s_mov_b32 s40, 0x88fffff
	v_add3_u32 v2, v3, v2, s40
	s_mov_b64 s[26:27], exec
	v_lshrrev_b32_e32 v2, 21, v2
                                        ; implicit-def: $vgpr3
	s_andn2_saveexec_b64 s[28:29], s[28:29]
	s_cbranch_execz .LBB250_468
.LBB250_581:
	s_mov_b32 s40, 0x42800000
	v_add_f32_e64 v2, |v3|, s40
	v_and_b32_e32 v2, 0xff, v2
	v_cmp_ne_u32_e32 vcc, 0, v2
	s_andn2_b64 s[26:27], s[26:27], exec
	s_and_b64 s[40:41], vcc, exec
	s_or_b64 s[26:27], s[26:27], s[40:41]
	s_or_b64 exec, exec, s[28:29]
	v_mov_b32_e32 v12, 0
	s_and_saveexec_b64 s[28:29], s[26:27]
	s_cbranch_execnz .LBB250_469
	s_branch .LBB250_470
.LBB250_582:
	v_bfe_u32 v2, v1, 21, 1
	s_mov_b32 s28, 0x88fffff
	v_add3_u32 v2, v1, v2, s28
	s_mov_b64 s[24:25], exec
	v_lshrrev_b32_e32 v2, 21, v2
	s_andn2_saveexec_b64 s[26:27], s[26:27]
	s_cbranch_execz .LBB250_380
.LBB250_583:
	s_mov_b32 s28, 0x42800000
	v_add_f32_e64 v2, |v1|, s28
	v_and_b32_e32 v2, 0xff, v2
	v_cmp_ne_u32_e32 vcc, 0, v2
	s_andn2_b64 s[24:25], s[24:25], exec
	s_and_b64 s[28:29], vcc, exec
	s_or_b64 s[24:25], s[24:25], s[28:29]
	s_or_b64 exec, exec, s[26:27]
	v_mov_b32_e32 v12, 0
	s_and_saveexec_b64 s[26:27], s[24:25]
	s_cbranch_execnz .LBB250_381
	s_branch .LBB250_382
.LBB250_584:
	v_bfe_u32 v1, v2, 21, 1
	s_mov_b32 s42, 0x88fffff
	v_add3_u32 v1, v2, v1, s42
	s_mov_b64 s[28:29], exec
	v_lshrrev_b32_e32 v1, 21, v1
                                        ; implicit-def: $vgpr2
	s_andn2_saveexec_b64 s[40:41], s[40:41]
	s_cbranch_execz .LBB250_390
.LBB250_585:
	v_add_f32_e32 v1, 0x42800000, v2
	v_and_b32_e32 v1, 0xff, v1
	v_cmp_ne_u32_e32 vcc, 0, v1
	s_andn2_b64 s[28:29], s[28:29], exec
	s_and_b64 s[42:43], vcc, exec
	s_or_b64 s[28:29], s[28:29], s[42:43]
	s_or_b64 exec, exec, s[40:41]
	v_mov_b32_e32 v12, 0
	s_and_saveexec_b64 s[40:41], s[28:29]
	s_cbranch_execnz .LBB250_391
	s_branch .LBB250_392
.Lfunc_end250:
	.size	_ZN2at6native6invokeINS0_13BinaryFunctorIN3c1015Float8_e5m2fnuzES4_bNS0_12_GLOBAL__N_116CompareEqFunctorIS4_EEEEi15function_traitsIS8_EEENT1_11result_typeERKT_PrKPcPKT0_PKNS3_10ScalarTypeEi, .Lfunc_end250-_ZN2at6native6invokeINS0_13BinaryFunctorIN3c1015Float8_e5m2fnuzES4_bNS0_12_GLOBAL__N_116CompareEqFunctorIS4_EEEEi15function_traitsIS8_EEENT1_11result_typeERKT_PrKPcPKT0_PKNS3_10ScalarTypeEi
                                        ; -- End function
	.set .L_ZN2at6native6invokeINS0_13BinaryFunctorIN3c1015Float8_e5m2fnuzES4_bNS0_12_GLOBAL__N_116CompareEqFunctorIS4_EEEEi15function_traitsIS8_EEENT1_11result_typeERKT_PrKPcPKT0_PKNS3_10ScalarTypeEi.num_vgpr, 16
	.set .L_ZN2at6native6invokeINS0_13BinaryFunctorIN3c1015Float8_e5m2fnuzES4_bNS0_12_GLOBAL__N_116CompareEqFunctorIS4_EEEEi15function_traitsIS8_EEENT1_11result_typeERKT_PrKPcPKT0_PKNS3_10ScalarTypeEi.num_agpr, 0
	.set .L_ZN2at6native6invokeINS0_13BinaryFunctorIN3c1015Float8_e5m2fnuzES4_bNS0_12_GLOBAL__N_116CompareEqFunctorIS4_EEEEi15function_traitsIS8_EEENT1_11result_typeERKT_PrKPcPKT0_PKNS3_10ScalarTypeEi.numbered_sgpr, 44
	.set .L_ZN2at6native6invokeINS0_13BinaryFunctorIN3c1015Float8_e5m2fnuzES4_bNS0_12_GLOBAL__N_116CompareEqFunctorIS4_EEEEi15function_traitsIS8_EEENT1_11result_typeERKT_PrKPcPKT0_PKNS3_10ScalarTypeEi.num_named_barrier, 0
	.set .L_ZN2at6native6invokeINS0_13BinaryFunctorIN3c1015Float8_e5m2fnuzES4_bNS0_12_GLOBAL__N_116CompareEqFunctorIS4_EEEEi15function_traitsIS8_EEENT1_11result_typeERKT_PrKPcPKT0_PKNS3_10ScalarTypeEi.private_seg_size, 0
	.set .L_ZN2at6native6invokeINS0_13BinaryFunctorIN3c1015Float8_e5m2fnuzES4_bNS0_12_GLOBAL__N_116CompareEqFunctorIS4_EEEEi15function_traitsIS8_EEENT1_11result_typeERKT_PrKPcPKT0_PKNS3_10ScalarTypeEi.uses_vcc, 1
	.set .L_ZN2at6native6invokeINS0_13BinaryFunctorIN3c1015Float8_e5m2fnuzES4_bNS0_12_GLOBAL__N_116CompareEqFunctorIS4_EEEEi15function_traitsIS8_EEENT1_11result_typeERKT_PrKPcPKT0_PKNS3_10ScalarTypeEi.uses_flat_scratch, 0
	.set .L_ZN2at6native6invokeINS0_13BinaryFunctorIN3c1015Float8_e5m2fnuzES4_bNS0_12_GLOBAL__N_116CompareEqFunctorIS4_EEEEi15function_traitsIS8_EEENT1_11result_typeERKT_PrKPcPKT0_PKNS3_10ScalarTypeEi.has_dyn_sized_stack, 0
	.set .L_ZN2at6native6invokeINS0_13BinaryFunctorIN3c1015Float8_e5m2fnuzES4_bNS0_12_GLOBAL__N_116CompareEqFunctorIS4_EEEEi15function_traitsIS8_EEENT1_11result_typeERKT_PrKPcPKT0_PKNS3_10ScalarTypeEi.has_recursion, 0
	.set .L_ZN2at6native6invokeINS0_13BinaryFunctorIN3c1015Float8_e5m2fnuzES4_bNS0_12_GLOBAL__N_116CompareEqFunctorIS4_EEEEi15function_traitsIS8_EEENT1_11result_typeERKT_PrKPcPKT0_PKNS3_10ScalarTypeEi.has_indirect_call, 0
	.section	.AMDGPU.csdata,"",@progbits
; Function info:
; codeLenInByte = 13572
; TotalNumSgprs: 48
; NumVgprs: 16
; ScratchSize: 0
; MemoryBound: 0
	.section	.text._ZN2at6native32elementwise_kernel_manual_unrollILi128ELi4EZNS0_15gpu_kernel_implINS0_13BinaryFunctorIN3c1015Float8_e5m2fnuzES5_bNS0_12_GLOBAL__N_116CompareEqFunctorIS5_EEEEEEvRNS_18TensorIteratorBaseERKT_EUlibE_EEviT1_,"axG",@progbits,_ZN2at6native32elementwise_kernel_manual_unrollILi128ELi4EZNS0_15gpu_kernel_implINS0_13BinaryFunctorIN3c1015Float8_e5m2fnuzES5_bNS0_12_GLOBAL__N_116CompareEqFunctorIS5_EEEEEEvRNS_18TensorIteratorBaseERKT_EUlibE_EEviT1_,comdat
	.globl	_ZN2at6native32elementwise_kernel_manual_unrollILi128ELi4EZNS0_15gpu_kernel_implINS0_13BinaryFunctorIN3c1015Float8_e5m2fnuzES5_bNS0_12_GLOBAL__N_116CompareEqFunctorIS5_EEEEEEvRNS_18TensorIteratorBaseERKT_EUlibE_EEviT1_ ; -- Begin function _ZN2at6native32elementwise_kernel_manual_unrollILi128ELi4EZNS0_15gpu_kernel_implINS0_13BinaryFunctorIN3c1015Float8_e5m2fnuzES5_bNS0_12_GLOBAL__N_116CompareEqFunctorIS5_EEEEEEvRNS_18TensorIteratorBaseERKT_EUlibE_EEviT1_
	.p2align	8
	.type	_ZN2at6native32elementwise_kernel_manual_unrollILi128ELi4EZNS0_15gpu_kernel_implINS0_13BinaryFunctorIN3c1015Float8_e5m2fnuzES5_bNS0_12_GLOBAL__N_116CompareEqFunctorIS5_EEEEEEvRNS_18TensorIteratorBaseERKT_EUlibE_EEviT1_,@function
_ZN2at6native32elementwise_kernel_manual_unrollILi128ELi4EZNS0_15gpu_kernel_implINS0_13BinaryFunctorIN3c1015Float8_e5m2fnuzES5_bNS0_12_GLOBAL__N_116CompareEqFunctorIS5_EEEEEEvRNS_18TensorIteratorBaseERKT_EUlibE_EEviT1_: ; @_ZN2at6native32elementwise_kernel_manual_unrollILi128ELi4EZNS0_15gpu_kernel_implINS0_13BinaryFunctorIN3c1015Float8_e5m2fnuzES5_bNS0_12_GLOBAL__N_116CompareEqFunctorIS5_EEEEEEvRNS_18TensorIteratorBaseERKT_EUlibE_EEviT1_
; %bb.0:
	s_add_u32 flat_scratch_lo, s6, s9
	s_load_dwordx8 s[12:19], s[4:5], 0x8
	s_load_dword s33, s[4:5], 0x0
	s_load_dwordx4 s[20:23], s[4:5], 0x28
	s_addc_u32 flat_scratch_hi, s7, 0
	s_add_u32 s0, s0, s9
	s_addc_u32 s1, s1, 0
	s_waitcnt lgkmcnt(0)
	v_mov_b32_e32 v1, s15
	buffer_store_dword v1, off, s[0:3], 0 offset:12
	v_mov_b32_e32 v1, s14
	buffer_store_dword v1, off, s[0:3], 0 offset:8
	;; [unrolled: 2-line block ×3, first 2 shown]
	v_mov_b32_e32 v1, s12
	buffer_store_dword v1, off, s[0:3], 0
	v_mov_b32_e32 v1, s19
	buffer_store_dword v1, off, s[0:3], 0 offset:28
	v_mov_b32_e32 v1, s18
	buffer_store_dword v1, off, s[0:3], 0 offset:24
	;; [unrolled: 2-line block ×5, first 2 shown]
	v_mov_b32_e32 v1, s22
	v_lshl_or_b32 v7, s8, 9, v0
	buffer_store_dword v1, off, s[0:3], 0 offset:40
	v_mov_b32_e32 v1, s21
	v_or_b32_e32 v0, 0x180, v7
	buffer_store_dword v1, off, s[0:3], 0 offset:36
	v_mov_b32_e32 v1, s20
	v_cmp_le_i32_e32 vcc, s33, v0
	s_mov_b64 s[38:39], 0
	s_mov_b64 s[34:35], 0
	s_movk_i32 s32, 0x1000
	buffer_store_dword v1, off, s[0:3], 0 offset:32
	s_and_saveexec_b64 s[4:5], vcc
	s_xor_b64 s[36:37], exec, s[4:5]
	s_cbranch_execz .LBB251_394
; %bb.1:
	buffer_load_dword v18, off, s[0:3], 0
	buffer_load_dword v19, off, s[0:3], 0 offset:4
	buffer_load_dword v20, off, s[0:3], 0 offset:24
	;; [unrolled: 1-line block ×3, first 2 shown]
	buffer_load_ubyte v17, off, s[0:3], 0 offset:40
	s_mov_b64 s[4:5], src_private_base
	s_add_u32 s56, 0, 8
	s_addc_u32 s57, s5, 0
	s_add_u32 s58, 0, 28
	s_addc_u32 s59, s5, 0
	;; [unrolled: 2-line block ×3, first 2 shown]
	v_cmp_gt_i32_e32 vcc, s33, v7
	s_mov_b64 s[4:5], -1
	s_mov_b64 s[48:49], 0
	s_and_saveexec_b64 s[44:45], vcc
	s_cbranch_execz .LBB251_87
; %bb.2:
	s_getpc_b64 s[4:5]
	s_add_u32 s4, s4, _ZN2at6native6invokeINS0_13BinaryFunctorIN3c1015Float8_e5m2fnuzES4_bNS0_12_GLOBAL__N_116CompareEqFunctorIS4_EEEEi15function_traitsIS8_EEENT1_11result_typeERKT_PrKPcPKT0_PKNS3_10ScalarTypeEi@rel32@lo+4
	s_addc_u32 s5, s5, _ZN2at6native6invokeINS0_13BinaryFunctorIN3c1015Float8_e5m2fnuzES4_bNS0_12_GLOBAL__N_116CompareEqFunctorIS4_EEEEi15function_traitsIS8_EEENT1_11result_typeERKT_PrKPcPKT0_PKNS3_10ScalarTypeEi@rel32@hi+12
	s_waitcnt vmcnt(1)
	v_mov_b32_e32 v0, v16
	v_mov_b32_e32 v1, s56
	;; [unrolled: 1-line block ×7, first 2 shown]
	s_swappc_b64 s[30:31], s[4:5]
	v_and_b32_e32 v0, 1, v0
	v_cmp_eq_u32_e32 vcc, 1, v0
	v_mul_lo_u32 v0, v20, v7
	v_mov_b32_e32 v2, 10
	v_cmp_gt_i16_sdwa s[8:9], v17, v2 src0_sel:BYTE_0 src1_sel:DWORD
	s_mov_b64 s[6:7], 0
	v_ashrrev_i32_e32 v1, 31, v0
	v_add_co_u32_e64 v0, s[4:5], v18, v0
	v_addc_co_u32_e64 v1, s[4:5], v19, v1, s[4:5]
	s_mov_b64 s[4:5], 0
	s_and_saveexec_b64 s[10:11], s[8:9]
	s_xor_b64 s[8:9], exec, s[10:11]
	s_cbranch_execz .LBB251_1964
; %bb.3:
	v_mov_b32_e32 v2, 25
	v_cmp_gt_i16_sdwa s[4:5], v17, v2 src0_sel:BYTE_0 src1_sel:DWORD
	s_mov_b64 s[10:11], 0
	s_and_saveexec_b64 s[12:13], s[4:5]
	s_xor_b64 s[12:13], exec, s[12:13]
	s_cbranch_execz .LBB251_39
; %bb.4:
	v_mov_b32_e32 v2, 28
	v_cmp_gt_i16_sdwa s[4:5], v17, v2 src0_sel:BYTE_0 src1_sel:DWORD
	;; [unrolled: 7-line block ×4, first 2 shown]
	s_mov_b64 s[16:17], 0
	s_mov_b64 s[18:19], 0
	s_and_saveexec_b64 s[6:7], s[4:5]
	s_xor_b64 s[4:5], exec, s[6:7]
	s_cbranch_execz .LBB251_10
; %bb.7:
	v_mov_b32_e32 v2, 46
	v_cmp_eq_u16_sdwa s[20:21], v17, v2 src0_sel:BYTE_0 src1_sel:DWORD
	s_mov_b64 s[6:7], 0
	s_mov_b64 s[18:19], -1
	s_and_saveexec_b64 s[16:17], s[20:21]
	s_cbranch_execz .LBB251_9
; %bb.8:
	v_cndmask_b32_e64 v2, 0, 1.0, vcc
	v_bfe_u32 v3, v2, 16, 1
	s_movk_i32 s18, 0x7fff
	v_add3_u32 v2, v2, v3, s18
	v_lshrrev_b32_e32 v2, 16, v2
	s_mov_b64 s[6:7], exec
	flat_store_dword v[0:1], v2
	s_xor_b64 s[18:19], exec, -1
.LBB251_9:
	s_or_b64 exec, exec, s[16:17]
	s_and_b64 s[18:19], s[18:19], exec
	s_and_b64 s[16:17], s[6:7], exec
                                        ; implicit-def: $vgpr0_vgpr1
.LBB251_10:
	s_andn2_saveexec_b64 s[20:21], s[4:5]
	s_cbranch_execz .LBB251_16
; %bb.11:
	v_mov_b32_e32 v2, 44
	v_cmp_eq_u16_sdwa s[24:25], v17, v2 src0_sel:BYTE_0 src1_sel:DWORD
	s_mov_b64 s[6:7], -1
	s_mov_b64 s[4:5], s[16:17]
	s_and_saveexec_b64 s[22:23], s[24:25]
	s_cbranch_execz .LBB251_15
; %bb.12:
	v_cndmask_b32_e64 v3, 0, 1.0, vcc
	v_lshrrev_b32_e32 v2, 23, v3
	s_movk_i32 s4, 0xff
	v_cmp_ne_u32_e64 s[4:5], s4, v2
	v_mov_b32_e32 v4, 0xff
	s_and_saveexec_b64 s[24:25], s[4:5]
; %bb.13:
	s_mov_b32 s6, 0x3fffff
	v_and_b32_e32 v4, 0x400000, v3
	v_and_or_b32 v3, v3, s6, v2
	v_cmp_ne_u32_e64 s[4:5], 0, v4
	v_cmp_ne_u32_e64 s[6:7], 0, v3
	s_and_b64 s[4:5], s[4:5], s[6:7]
	v_cndmask_b32_e64 v3, 0, 1, s[4:5]
	v_add_u32_e32 v4, v2, v3
; %bb.14:
	s_or_b64 exec, exec, s[24:25]
	s_xor_b64 s[6:7], exec, -1
	s_or_b64 s[4:5], s[16:17], exec
	flat_store_byte v[0:1], v4
.LBB251_15:
	s_or_b64 exec, exec, s[22:23]
	s_andn2_b64 s[18:19], s[18:19], exec
	s_and_b64 s[6:7], s[6:7], exec
	s_or_b64 s[18:19], s[18:19], s[6:7]
	s_andn2_b64 s[6:7], s[16:17], exec
	s_and_b64 s[4:5], s[4:5], exec
	s_or_b64 s[16:17], s[6:7], s[4:5]
.LBB251_16:
	s_or_b64 exec, exec, s[20:21]
	s_and_b64 s[6:7], s[18:19], exec
	s_and_b64 s[4:5], s[16:17], exec
                                        ; implicit-def: $vgpr0_vgpr1
.LBB251_17:
	s_andn2_saveexec_b64 s[14:15], s[14:15]
	s_cbranch_execz .LBB251_21
; %bb.18:
	v_mov_b32_e32 v2, 29
	v_cmp_eq_u16_sdwa s[22:23], v17, v2 src0_sel:BYTE_0 src1_sel:DWORD
	s_mov_b64 s[18:19], -1
	s_mov_b64 s[16:17], s[4:5]
	s_and_saveexec_b64 s[20:21], s[22:23]
	s_cbranch_execz .LBB251_20
; %bb.19:
	s_mov_b32 s16, 0
	v_cndmask_b32_e64 v2, 0, 1, vcc
	v_mov_b32_e32 v3, s16
	flat_store_dwordx2 v[0:1], v[2:3]
	s_xor_b64 s[18:19], exec, -1
	s_or_b64 s[16:17], s[4:5], exec
.LBB251_20:
	s_or_b64 exec, exec, s[20:21]
	s_andn2_b64 s[6:7], s[6:7], exec
	s_and_b64 s[18:19], s[18:19], exec
	s_andn2_b64 s[4:5], s[4:5], exec
	s_and_b64 s[16:17], s[16:17], exec
	s_or_b64 s[6:7], s[6:7], s[18:19]
	s_or_b64 s[4:5], s[4:5], s[16:17]
.LBB251_21:
	s_or_b64 exec, exec, s[14:15]
	s_and_b64 s[14:15], s[6:7], exec
	s_and_b64 s[6:7], s[4:5], exec
                                        ; implicit-def: $vgpr0_vgpr1
.LBB251_22:
	s_andn2_saveexec_b64 s[10:11], s[10:11]
	s_cbranch_execz .LBB251_38
; %bb.23:
	v_mov_b32_e32 v2, 26
	v_cmp_gt_i16_sdwa s[4:5], v17, v2 src0_sel:BYTE_0 src1_sel:DWORD
	s_and_saveexec_b64 s[16:17], s[4:5]
	s_xor_b64 s[4:5], exec, s[16:17]
	s_cbranch_execz .LBB251_29
; %bb.24:
	v_mov_b32_e32 v2, 27
	v_cmp_gt_i16_sdwa s[16:17], v17, v2 src0_sel:BYTE_0 src1_sel:DWORD
	s_and_saveexec_b64 s[18:19], s[16:17]
	s_xor_b64 s[16:17], exec, s[18:19]
	s_cbranch_execz .LBB251_26
; %bb.25:
	v_cndmask_b32_e64 v2, 0, 1, vcc
	flat_store_dword v[0:1], v2
                                        ; implicit-def: $vgpr0_vgpr1
.LBB251_26:
	s_andn2_saveexec_b64 s[16:17], s[16:17]
	s_cbranch_execz .LBB251_28
; %bb.27:
	v_cndmask_b32_e64 v2, 0, 1, vcc
	flat_store_short v[0:1], v2
.LBB251_28:
	s_or_b64 exec, exec, s[16:17]
                                        ; implicit-def: $vgpr0_vgpr1
.LBB251_29:
	s_andn2_saveexec_b64 s[16:17], s[4:5]
	s_cbranch_execz .LBB251_37
; %bb.30:
	v_cndmask_b32_e64 v3, 0, 1.0, vcc
	s_mov_b32 s4, 0x43800000
	v_cmp_gt_u32_e64 s[4:5], s4, v3
	v_mov_b32_e32 v4, 0x80
	s_and_saveexec_b64 s[18:19], s[4:5]
	s_cbranch_execz .LBB251_36
; %bb.31:
	s_mov_b32 s4, 0x3bffffff
	v_cmp_lt_u32_e64 s[4:5], s4, v3
	s_mov_b64 s[20:21], 0
                                        ; implicit-def: $vgpr2
	s_and_saveexec_b64 s[22:23], s[4:5]
	s_xor_b64 s[4:5], exec, s[22:23]
	s_cbranch_execz .LBB251_2325
; %bb.32:
	v_bfe_u32 v2, v3, 20, 1
	s_mov_b32 s22, 0x487ffff
	v_add3_u32 v2, v3, v2, s22
	s_mov_b64 s[20:21], exec
	v_lshrrev_b32_e32 v2, 20, v2
                                        ; implicit-def: $vgpr3
	s_andn2_saveexec_b64 s[22:23], s[4:5]
	s_cbranch_execnz .LBB251_2326
.LBB251_33:
	s_or_b64 exec, exec, s[22:23]
	v_mov_b32_e32 v4, 0
	s_and_saveexec_b64 s[4:5], s[20:21]
.LBB251_34:
	v_mov_b32_e32 v4, v2
.LBB251_35:
	s_or_b64 exec, exec, s[4:5]
.LBB251_36:
	s_or_b64 exec, exec, s[18:19]
	flat_store_byte v[0:1], v4
.LBB251_37:
	s_or_b64 exec, exec, s[16:17]
	s_or_b64 s[6:7], s[6:7], exec
.LBB251_38:
	s_or_b64 exec, exec, s[10:11]
	s_and_b64 s[10:11], s[14:15], exec
	s_and_b64 s[6:7], s[6:7], exec
                                        ; implicit-def: $vgpr0_vgpr1
.LBB251_39:
	s_andn2_saveexec_b64 s[12:13], s[12:13]
	s_cbranch_execz .LBB251_83
; %bb.40:
	v_mov_b32_e32 v2, 22
	v_cmp_gt_i16_sdwa s[14:15], v17, v2 src0_sel:BYTE_0 src1_sel:DWORD
	s_mov_b64 s[4:5], s[6:7]
	s_and_saveexec_b64 s[16:17], s[14:15]
	s_xor_b64 s[14:15], exec, s[16:17]
	s_cbranch_execz .LBB251_72
; %bb.41:
	v_mov_b32_e32 v2, 23
	v_cmp_gt_i16_sdwa s[4:5], v17, v2 src0_sel:BYTE_0 src1_sel:DWORD
	s_and_saveexec_b64 s[16:17], s[4:5]
	s_xor_b64 s[16:17], exec, s[16:17]
	s_cbranch_execz .LBB251_61
; %bb.42:
	v_mov_b32_e32 v2, 24
	v_cmp_gt_i16_sdwa s[4:5], v17, v2 src0_sel:BYTE_0 src1_sel:DWORD
	s_and_saveexec_b64 s[18:19], s[4:5]
	s_xor_b64 s[18:19], exec, s[18:19]
	s_cbranch_execz .LBB251_50
; %bb.43:
	v_cndmask_b32_e64 v3, 0, 1.0, vcc
	s_mov_b32 s4, 0x47800000
	v_cmp_gt_u32_e64 s[4:5], s4, v3
	v_mov_b32_e32 v4, 0x80
	s_and_saveexec_b64 s[20:21], s[4:5]
	s_cbranch_execz .LBB251_49
; %bb.44:
	s_mov_b32 s4, 0x37ffffff
	v_cmp_lt_u32_e64 s[4:5], s4, v3
	s_mov_b64 s[22:23], 0
                                        ; implicit-def: $vgpr2
	s_and_saveexec_b64 s[24:25], s[4:5]
	s_xor_b64 s[4:5], exec, s[24:25]
	s_cbranch_execz .LBB251_2406
; %bb.45:
	v_bfe_u32 v2, v3, 21, 1
	s_mov_b32 s24, 0x88fffff
	v_add3_u32 v2, v3, v2, s24
	s_mov_b64 s[22:23], exec
	v_lshrrev_b32_e32 v2, 21, v2
                                        ; implicit-def: $vgpr3
	s_andn2_saveexec_b64 s[24:25], s[4:5]
	s_cbranch_execnz .LBB251_2407
.LBB251_46:
	s_or_b64 exec, exec, s[24:25]
	v_mov_b32_e32 v4, 0
	s_and_saveexec_b64 s[4:5], s[22:23]
.LBB251_47:
	v_mov_b32_e32 v4, v2
.LBB251_48:
	s_or_b64 exec, exec, s[4:5]
.LBB251_49:
	s_or_b64 exec, exec, s[20:21]
	flat_store_byte v[0:1], v4
                                        ; implicit-def: $vgpr0_vgpr1
.LBB251_50:
	s_andn2_saveexec_b64 s[18:19], s[18:19]
	s_cbranch_execz .LBB251_60
; %bb.51:
	v_cndmask_b32_e64 v2, 0, 1.0, vcc
	s_mov_b32 s4, 0x43f00000
	v_cmp_gt_u32_e64 s[4:5], s4, v2
                                        ; implicit-def: $vgpr3
	s_and_saveexec_b64 s[20:21], s[4:5]
	s_xor_b64 s[20:21], exec, s[20:21]
	s_cbranch_execz .LBB251_57
; %bb.52:
	s_mov_b32 s4, 0x3c7fffff
	v_cmp_lt_u32_e64 s[4:5], s4, v2
                                        ; implicit-def: $vgpr3
	s_and_saveexec_b64 s[22:23], s[4:5]
	s_xor_b64 s[22:23], exec, s[22:23]
; %bb.53:
	v_bfe_u32 v3, v2, 20, 1
	s_mov_b32 s4, 0x407ffff
	v_add3_u32 v2, v2, v3, s4
	v_lshrrev_b32_e32 v3, 20, v2
	v_and_b32_e32 v2, 0xff00000, v2
	s_mov_b32 s4, 0x7f00000
	v_mov_b32_e32 v4, 0x7e
	v_cmp_ne_u32_e64 s[4:5], s4, v2
	v_cndmask_b32_e64 v3, v4, v3, s[4:5]
                                        ; implicit-def: $vgpr2
; %bb.54:
	s_andn2_saveexec_b64 s[4:5], s[22:23]
; %bb.55:
	v_add_f32_e32 v3, 0x46800000, v2
; %bb.56:
	s_or_b64 exec, exec, s[4:5]
                                        ; implicit-def: $vgpr2
.LBB251_57:
	s_andn2_saveexec_b64 s[20:21], s[20:21]
; %bb.58:
	s_mov_b32 s4, 0x7f800000
	v_mov_b32_e32 v3, 0x7e
	v_mov_b32_e32 v4, 0x7f
	v_cmp_lt_u32_e64 s[4:5], s4, v2
	v_cndmask_b32_e64 v3, v3, v4, s[4:5]
; %bb.59:
	s_or_b64 exec, exec, s[20:21]
	flat_store_byte v[0:1], v3
.LBB251_60:
	s_or_b64 exec, exec, s[18:19]
                                        ; implicit-def: $vgpr0_vgpr1
.LBB251_61:
	s_andn2_saveexec_b64 s[16:17], s[16:17]
	s_cbranch_execz .LBB251_71
; %bb.62:
	v_cndmask_b32_e64 v2, 0, 1.0, vcc
	s_mov_b32 s4, 0x47800000
	v_cmp_gt_u32_e64 s[4:5], s4, v2
                                        ; implicit-def: $vgpr3
	s_and_saveexec_b64 s[18:19], s[4:5]
	s_xor_b64 s[18:19], exec, s[18:19]
	s_cbranch_execz .LBB251_68
; %bb.63:
	s_mov_b32 s4, 0x387fffff
	v_cmp_lt_u32_e64 s[4:5], s4, v2
                                        ; implicit-def: $vgpr3
	s_and_saveexec_b64 s[20:21], s[4:5]
	s_xor_b64 s[4:5], exec, s[20:21]
; %bb.64:
	v_bfe_u32 v3, v2, 21, 1
	s_mov_b32 s20, 0x80fffff
	v_add3_u32 v2, v2, v3, s20
	v_lshrrev_b32_e32 v3, 21, v2
                                        ; implicit-def: $vgpr2
; %bb.65:
	s_andn2_saveexec_b64 s[4:5], s[4:5]
; %bb.66:
	v_add_f32_e32 v3, 0x43000000, v2
; %bb.67:
	s_or_b64 exec, exec, s[4:5]
                                        ; implicit-def: $vgpr2
.LBB251_68:
	s_andn2_saveexec_b64 s[18:19], s[18:19]
; %bb.69:
	s_mov_b32 s4, 0x7f800000
	v_mov_b32_e32 v3, 0x7c
	v_mov_b32_e32 v4, 0x7f
	v_cmp_lt_u32_e64 s[4:5], s4, v2
	v_cndmask_b32_e64 v3, v3, v4, s[4:5]
; %bb.70:
	s_or_b64 exec, exec, s[18:19]
	flat_store_byte v[0:1], v3
.LBB251_71:
	s_or_b64 exec, exec, s[16:17]
	s_or_b64 s[4:5], s[6:7], exec
                                        ; implicit-def: $vgpr0_vgpr1
.LBB251_72:
	s_or_saveexec_b64 s[14:15], s[14:15]
	s_mov_b64 s[18:19], s[10:11]
	s_xor_b64 exec, exec, s[14:15]
	s_cbranch_execz .LBB251_82
; %bb.73:
	v_mov_b32_e32 v2, 14
	v_cmp_gt_i16_sdwa s[20:21], v17, v2 src0_sel:BYTE_0 src1_sel:DWORD
	s_mov_b64 s[16:17], s[4:5]
	s_mov_b64 s[18:19], s[10:11]
	s_and_saveexec_b64 s[22:23], s[20:21]
	s_xor_b64 s[20:21], exec, s[22:23]
	s_cbranch_execz .LBB251_77
; %bb.74:
	v_mov_b32_e32 v2, 15
	v_cmp_eq_u16_sdwa s[24:25], v17, v2 src0_sel:BYTE_0 src1_sel:DWORD
	s_mov_b64 s[18:19], -1
	s_mov_b64 s[16:17], s[4:5]
	s_and_saveexec_b64 s[22:23], s[24:25]
	s_cbranch_execz .LBB251_76
; %bb.75:
	v_cndmask_b32_e64 v2, 0, 1.0, vcc
	v_bfe_u32 v3, v2, 16, 1
	s_movk_i32 s16, 0x7fff
	v_add3_u32 v2, v2, v3, s16
	flat_store_short_d16_hi v[0:1], v2
	s_xor_b64 s[18:19], exec, -1
	s_or_b64 s[16:17], s[4:5], exec
.LBB251_76:
	s_or_b64 exec, exec, s[22:23]
	s_andn2_b64 s[22:23], s[10:11], exec
	s_and_b64 s[18:19], s[18:19], exec
	s_or_b64 s[18:19], s[22:23], s[18:19]
	s_andn2_b64 s[22:23], s[4:5], exec
	s_and_b64 s[16:17], s[16:17], exec
	s_or_b64 s[16:17], s[22:23], s[16:17]
                                        ; implicit-def: $vgpr0_vgpr1
.LBB251_77:
	s_andn2_saveexec_b64 s[20:21], s[20:21]
	s_cbranch_execz .LBB251_81
; %bb.78:
	v_mov_b32_e32 v2, 11
	v_cmp_eq_u16_sdwa s[28:29], v17, v2 src0_sel:BYTE_0 src1_sel:DWORD
	s_mov_b64 s[24:25], -1
	s_mov_b64 s[22:23], s[16:17]
	s_and_saveexec_b64 s[26:27], s[28:29]
	s_cbranch_execz .LBB251_80
; %bb.79:
	v_cndmask_b32_e64 v2, 0, 1, vcc
	flat_store_byte v[0:1], v2
	s_xor_b64 s[24:25], exec, -1
	s_or_b64 s[22:23], s[16:17], exec
.LBB251_80:
	s_or_b64 exec, exec, s[26:27]
	s_andn2_b64 s[18:19], s[18:19], exec
	s_and_b64 s[24:25], s[24:25], exec
	s_andn2_b64 s[16:17], s[16:17], exec
	s_and_b64 s[22:23], s[22:23], exec
	s_or_b64 s[18:19], s[18:19], s[24:25]
	s_or_b64 s[16:17], s[16:17], s[22:23]
.LBB251_81:
	s_or_b64 exec, exec, s[20:21]
	s_andn2_b64 s[20:21], s[10:11], exec
	s_and_b64 s[18:19], s[18:19], exec
	s_andn2_b64 s[4:5], s[4:5], exec
	s_and_b64 s[16:17], s[16:17], exec
	s_or_b64 s[18:19], s[20:21], s[18:19]
	s_or_b64 s[4:5], s[4:5], s[16:17]
.LBB251_82:
	s_or_b64 exec, exec, s[14:15]
	s_andn2_b64 s[10:11], s[10:11], exec
	s_and_b64 s[14:15], s[18:19], exec
	s_andn2_b64 s[6:7], s[6:7], exec
	s_and_b64 s[4:5], s[4:5], exec
	s_or_b64 s[10:11], s[10:11], s[14:15]
	s_or_b64 s[6:7], s[6:7], s[4:5]
.LBB251_83:
	s_or_b64 exec, exec, s[12:13]
	s_and_b64 s[4:5], s[10:11], exec
	s_and_b64 s[6:7], s[6:7], exec
                                        ; implicit-def: $vgpr0_vgpr1
	s_andn2_saveexec_b64 s[8:9], s[8:9]
	s_cbranch_execnz .LBB251_1965
.LBB251_84:
	s_or_b64 exec, exec, s[8:9]
	s_mov_b64 s[8:9], 0
	s_and_saveexec_b64 s[10:11], s[6:7]
.LBB251_85:
	s_mov_b64 s[8:9], exec
	v_add_u32_e32 v7, 0x80, v7
.LBB251_86:
	s_or_b64 exec, exec, s[10:11]
	s_and_b64 s[34:35], s[4:5], exec
	s_orn2_b64 s[4:5], s[8:9], exec
.LBB251_87:
	s_or_b64 exec, exec, s[44:45]
	s_mov_b64 s[8:9], 0
                                        ; implicit-def: $sgpr6_sgpr7
                                        ; implicit-def: $vgpr2
                                        ; implicit-def: $vgpr0_vgpr1
	s_and_saveexec_b64 s[44:45], s[4:5]
	s_cbranch_execz .LBB251_349
; %bb.88:
	v_cmp_gt_i32_e32 vcc, s33, v7
	s_mov_b64 s[10:11], -1
	s_mov_b64 s[46:47], s[34:35]
	s_and_saveexec_b64 s[48:49], vcc
	s_cbranch_execz .LBB251_174
; %bb.89:
	s_getpc_b64 s[4:5]
	s_add_u32 s4, s4, _ZN2at6native6invokeINS0_13BinaryFunctorIN3c1015Float8_e5m2fnuzES4_bNS0_12_GLOBAL__N_116CompareEqFunctorIS4_EEEEi15function_traitsIS8_EEENT1_11result_typeERKT_PrKPcPKT0_PKNS3_10ScalarTypeEi@rel32@lo+4
	s_addc_u32 s5, s5, _ZN2at6native6invokeINS0_13BinaryFunctorIN3c1015Float8_e5m2fnuzES4_bNS0_12_GLOBAL__N_116CompareEqFunctorIS4_EEEEi15function_traitsIS8_EEENT1_11result_typeERKT_PrKPcPKT0_PKNS3_10ScalarTypeEi@rel32@hi+12
	s_waitcnt vmcnt(0)
	v_mov_b32_e32 v0, v16
	v_mov_b32_e32 v1, s56
	;; [unrolled: 1-line block ×7, first 2 shown]
	s_swappc_b64 s[30:31], s[4:5]
	v_and_b32_e32 v0, 1, v0
	v_cmp_eq_u32_e32 vcc, 1, v0
	v_mul_lo_u32 v0, v20, v7
	v_mov_b32_e32 v2, 10
	v_cmp_gt_i16_sdwa s[8:9], v17, v2 src0_sel:BYTE_0 src1_sel:DWORD
	s_mov_b64 s[6:7], 0
	v_ashrrev_i32_e32 v1, 31, v0
	v_add_co_u32_e64 v0, s[4:5], v18, v0
	v_addc_co_u32_e64 v1, s[4:5], v19, v1, s[4:5]
	s_mov_b64 s[4:5], s[34:35]
	s_and_saveexec_b64 s[10:11], s[8:9]
	s_xor_b64 s[8:9], exec, s[10:11]
	s_cbranch_execz .LBB251_2045
; %bb.90:
	v_mov_b32_e32 v2, 25
	v_cmp_gt_i16_sdwa s[4:5], v17, v2 src0_sel:BYTE_0 src1_sel:DWORD
	s_mov_b64 s[10:11], s[34:35]
	s_and_saveexec_b64 s[12:13], s[4:5]
	s_xor_b64 s[12:13], exec, s[12:13]
	s_cbranch_execz .LBB251_126
; %bb.91:
	v_mov_b32_e32 v2, 28
	v_cmp_gt_i16_sdwa s[4:5], v17, v2 src0_sel:BYTE_0 src1_sel:DWORD
	;; [unrolled: 7-line block ×3, first 2 shown]
	s_mov_b64 s[4:5], 0
	s_mov_b64 s[6:7], s[34:35]
	s_and_saveexec_b64 s[16:17], s[14:15]
	s_xor_b64 s[14:15], exec, s[16:17]
	s_cbranch_execz .LBB251_104
; %bb.93:
	v_mov_b32_e32 v2, 45
	v_cmp_gt_i16_sdwa s[4:5], v17, v2 src0_sel:BYTE_0 src1_sel:DWORD
	s_mov_b64 s[16:17], 0
	s_mov_b64 s[18:19], s[34:35]
	s_and_saveexec_b64 s[6:7], s[4:5]
	s_xor_b64 s[4:5], exec, s[6:7]
	s_cbranch_execz .LBB251_97
; %bb.94:
	v_mov_b32_e32 v2, 46
	v_cmp_eq_u16_sdwa s[20:21], v17, v2 src0_sel:BYTE_0 src1_sel:DWORD
	s_mov_b64 s[6:7], 0
	s_mov_b64 s[18:19], -1
	s_and_saveexec_b64 s[16:17], s[20:21]
	s_cbranch_execz .LBB251_96
; %bb.95:
	v_cndmask_b32_e64 v2, 0, 1.0, vcc
	v_bfe_u32 v3, v2, 16, 1
	s_movk_i32 s18, 0x7fff
	v_add3_u32 v2, v2, v3, s18
	v_lshrrev_b32_e32 v2, 16, v2
	s_mov_b64 s[6:7], exec
	flat_store_dword v[0:1], v2
	s_xor_b64 s[18:19], exec, -1
.LBB251_96:
	s_or_b64 exec, exec, s[16:17]
	s_andn2_b64 s[16:17], s[34:35], exec
	s_and_b64 s[18:19], s[18:19], exec
	s_or_b64 s[18:19], s[16:17], s[18:19]
	s_and_b64 s[16:17], s[6:7], exec
                                        ; implicit-def: $vgpr0_vgpr1
.LBB251_97:
	s_andn2_saveexec_b64 s[20:21], s[4:5]
	s_cbranch_execz .LBB251_103
; %bb.98:
	v_mov_b32_e32 v2, 44
	v_cmp_eq_u16_sdwa s[24:25], v17, v2 src0_sel:BYTE_0 src1_sel:DWORD
	s_mov_b64 s[6:7], -1
	s_mov_b64 s[4:5], s[16:17]
	s_and_saveexec_b64 s[22:23], s[24:25]
	s_cbranch_execz .LBB251_102
; %bb.99:
	v_cndmask_b32_e64 v3, 0, 1.0, vcc
	v_lshrrev_b32_e32 v2, 23, v3
	s_movk_i32 s4, 0xff
	v_cmp_ne_u32_e64 s[4:5], s4, v2
	v_mov_b32_e32 v4, 0xff
	s_and_saveexec_b64 s[24:25], s[4:5]
; %bb.100:
	s_mov_b32 s6, 0x3fffff
	v_and_b32_e32 v4, 0x400000, v3
	v_and_or_b32 v3, v3, s6, v2
	v_cmp_ne_u32_e64 s[4:5], 0, v4
	v_cmp_ne_u32_e64 s[6:7], 0, v3
	s_and_b64 s[4:5], s[4:5], s[6:7]
	v_cndmask_b32_e64 v3, 0, 1, s[4:5]
	v_add_u32_e32 v4, v2, v3
; %bb.101:
	s_or_b64 exec, exec, s[24:25]
	s_xor_b64 s[6:7], exec, -1
	s_or_b64 s[4:5], s[16:17], exec
	flat_store_byte v[0:1], v4
.LBB251_102:
	s_or_b64 exec, exec, s[22:23]
	s_andn2_b64 s[18:19], s[18:19], exec
	s_and_b64 s[6:7], s[6:7], exec
	s_or_b64 s[18:19], s[18:19], s[6:7]
	s_andn2_b64 s[6:7], s[16:17], exec
	s_and_b64 s[4:5], s[4:5], exec
	s_or_b64 s[16:17], s[6:7], s[4:5]
.LBB251_103:
	s_or_b64 exec, exec, s[20:21]
	s_andn2_b64 s[4:5], s[34:35], exec
	s_and_b64 s[6:7], s[18:19], exec
	s_or_b64 s[6:7], s[4:5], s[6:7]
	s_and_b64 s[4:5], s[16:17], exec
                                        ; implicit-def: $vgpr0_vgpr1
.LBB251_104:
	s_andn2_saveexec_b64 s[14:15], s[14:15]
	s_cbranch_execz .LBB251_108
; %bb.105:
	v_mov_b32_e32 v2, 29
	v_cmp_eq_u16_sdwa s[22:23], v17, v2 src0_sel:BYTE_0 src1_sel:DWORD
	s_mov_b64 s[18:19], -1
	s_mov_b64 s[16:17], s[4:5]
	s_and_saveexec_b64 s[20:21], s[22:23]
	s_cbranch_execz .LBB251_107
; %bb.106:
	s_mov_b32 s16, 0
	v_cndmask_b32_e64 v2, 0, 1, vcc
	v_mov_b32_e32 v3, s16
	flat_store_dwordx2 v[0:1], v[2:3]
	s_xor_b64 s[18:19], exec, -1
	s_or_b64 s[16:17], s[4:5], exec
.LBB251_107:
	s_or_b64 exec, exec, s[20:21]
	s_andn2_b64 s[6:7], s[6:7], exec
	s_and_b64 s[18:19], s[18:19], exec
	s_andn2_b64 s[4:5], s[4:5], exec
	s_and_b64 s[16:17], s[16:17], exec
	s_or_b64 s[6:7], s[6:7], s[18:19]
	s_or_b64 s[4:5], s[4:5], s[16:17]
.LBB251_108:
	s_or_b64 exec, exec, s[14:15]
	s_andn2_b64 s[14:15], s[34:35], exec
	s_and_b64 s[6:7], s[6:7], exec
	s_or_b64 s[14:15], s[14:15], s[6:7]
	s_and_b64 s[6:7], s[4:5], exec
                                        ; implicit-def: $vgpr0_vgpr1
.LBB251_109:
	s_andn2_saveexec_b64 s[10:11], s[10:11]
	s_cbranch_execz .LBB251_125
; %bb.110:
	v_mov_b32_e32 v2, 26
	v_cmp_gt_i16_sdwa s[4:5], v17, v2 src0_sel:BYTE_0 src1_sel:DWORD
	s_and_saveexec_b64 s[16:17], s[4:5]
	s_xor_b64 s[4:5], exec, s[16:17]
	s_cbranch_execz .LBB251_116
; %bb.111:
	v_mov_b32_e32 v2, 27
	v_cmp_gt_i16_sdwa s[16:17], v17, v2 src0_sel:BYTE_0 src1_sel:DWORD
	s_and_saveexec_b64 s[18:19], s[16:17]
	s_xor_b64 s[16:17], exec, s[18:19]
	s_cbranch_execz .LBB251_113
; %bb.112:
	v_cndmask_b32_e64 v2, 0, 1, vcc
	flat_store_dword v[0:1], v2
                                        ; implicit-def: $vgpr0_vgpr1
.LBB251_113:
	s_andn2_saveexec_b64 s[16:17], s[16:17]
	s_cbranch_execz .LBB251_115
; %bb.114:
	v_cndmask_b32_e64 v2, 0, 1, vcc
	flat_store_short v[0:1], v2
.LBB251_115:
	s_or_b64 exec, exec, s[16:17]
                                        ; implicit-def: $vgpr0_vgpr1
.LBB251_116:
	s_andn2_saveexec_b64 s[16:17], s[4:5]
	s_cbranch_execz .LBB251_124
; %bb.117:
	v_cndmask_b32_e64 v3, 0, 1.0, vcc
	s_mov_b32 s4, 0x43800000
	v_cmp_gt_u32_e64 s[4:5], s4, v3
	v_mov_b32_e32 v4, 0x80
	s_and_saveexec_b64 s[18:19], s[4:5]
	s_cbranch_execz .LBB251_123
; %bb.118:
	s_mov_b32 s4, 0x3bffffff
	v_cmp_lt_u32_e64 s[4:5], s4, v3
	s_mov_b64 s[20:21], 0
                                        ; implicit-def: $vgpr2
	s_and_saveexec_b64 s[22:23], s[4:5]
	s_xor_b64 s[4:5], exec, s[22:23]
	s_cbranch_execz .LBB251_2408
; %bb.119:
	v_bfe_u32 v2, v3, 20, 1
	s_mov_b32 s22, 0x487ffff
	v_add3_u32 v2, v3, v2, s22
	s_mov_b64 s[20:21], exec
	v_lshrrev_b32_e32 v2, 20, v2
                                        ; implicit-def: $vgpr3
	s_andn2_saveexec_b64 s[22:23], s[4:5]
	s_cbranch_execnz .LBB251_2409
.LBB251_120:
	s_or_b64 exec, exec, s[22:23]
	v_mov_b32_e32 v4, 0
	s_and_saveexec_b64 s[4:5], s[20:21]
.LBB251_121:
	v_mov_b32_e32 v4, v2
.LBB251_122:
	s_or_b64 exec, exec, s[4:5]
.LBB251_123:
	s_or_b64 exec, exec, s[18:19]
	flat_store_byte v[0:1], v4
.LBB251_124:
	s_or_b64 exec, exec, s[16:17]
	s_or_b64 s[6:7], s[6:7], exec
.LBB251_125:
	s_or_b64 exec, exec, s[10:11]
	s_andn2_b64 s[4:5], s[34:35], exec
	s_and_b64 s[10:11], s[14:15], exec
	s_or_b64 s[10:11], s[4:5], s[10:11]
	s_and_b64 s[6:7], s[6:7], exec
                                        ; implicit-def: $vgpr0_vgpr1
.LBB251_126:
	s_andn2_saveexec_b64 s[12:13], s[12:13]
	s_cbranch_execz .LBB251_170
; %bb.127:
	v_mov_b32_e32 v2, 22
	v_cmp_gt_i16_sdwa s[14:15], v17, v2 src0_sel:BYTE_0 src1_sel:DWORD
	s_mov_b64 s[4:5], s[6:7]
	s_and_saveexec_b64 s[16:17], s[14:15]
	s_xor_b64 s[14:15], exec, s[16:17]
	s_cbranch_execz .LBB251_159
; %bb.128:
	v_mov_b32_e32 v2, 23
	v_cmp_gt_i16_sdwa s[4:5], v17, v2 src0_sel:BYTE_0 src1_sel:DWORD
	s_and_saveexec_b64 s[16:17], s[4:5]
	s_xor_b64 s[16:17], exec, s[16:17]
	s_cbranch_execz .LBB251_148
; %bb.129:
	v_mov_b32_e32 v2, 24
	v_cmp_gt_i16_sdwa s[4:5], v17, v2 src0_sel:BYTE_0 src1_sel:DWORD
	s_and_saveexec_b64 s[18:19], s[4:5]
	s_xor_b64 s[18:19], exec, s[18:19]
	s_cbranch_execz .LBB251_137
; %bb.130:
	v_cndmask_b32_e64 v3, 0, 1.0, vcc
	s_mov_b32 s4, 0x47800000
	v_cmp_gt_u32_e64 s[4:5], s4, v3
	v_mov_b32_e32 v4, 0x80
	s_and_saveexec_b64 s[20:21], s[4:5]
	s_cbranch_execz .LBB251_136
; %bb.131:
	s_mov_b32 s4, 0x37ffffff
	v_cmp_lt_u32_e64 s[4:5], s4, v3
	s_mov_b64 s[22:23], 0
                                        ; implicit-def: $vgpr2
	s_and_saveexec_b64 s[24:25], s[4:5]
	s_xor_b64 s[4:5], exec, s[24:25]
	s_cbranch_execz .LBB251_2505
; %bb.132:
	v_bfe_u32 v2, v3, 21, 1
	s_mov_b32 s24, 0x88fffff
	v_add3_u32 v2, v3, v2, s24
	s_mov_b64 s[22:23], exec
	v_lshrrev_b32_e32 v2, 21, v2
                                        ; implicit-def: $vgpr3
	s_andn2_saveexec_b64 s[24:25], s[4:5]
	s_cbranch_execnz .LBB251_2506
.LBB251_133:
	s_or_b64 exec, exec, s[24:25]
	v_mov_b32_e32 v4, 0
	s_and_saveexec_b64 s[4:5], s[22:23]
.LBB251_134:
	v_mov_b32_e32 v4, v2
.LBB251_135:
	s_or_b64 exec, exec, s[4:5]
.LBB251_136:
	s_or_b64 exec, exec, s[20:21]
	flat_store_byte v[0:1], v4
                                        ; implicit-def: $vgpr0_vgpr1
.LBB251_137:
	s_andn2_saveexec_b64 s[18:19], s[18:19]
	s_cbranch_execz .LBB251_147
; %bb.138:
	v_cndmask_b32_e64 v2, 0, 1.0, vcc
	s_mov_b32 s4, 0x43f00000
	v_cmp_gt_u32_e64 s[4:5], s4, v2
                                        ; implicit-def: $vgpr3
	s_and_saveexec_b64 s[20:21], s[4:5]
	s_xor_b64 s[20:21], exec, s[20:21]
	s_cbranch_execz .LBB251_144
; %bb.139:
	s_mov_b32 s4, 0x3c7fffff
	v_cmp_lt_u32_e64 s[4:5], s4, v2
                                        ; implicit-def: $vgpr3
	s_and_saveexec_b64 s[22:23], s[4:5]
	s_xor_b64 s[22:23], exec, s[22:23]
; %bb.140:
	v_bfe_u32 v3, v2, 20, 1
	s_mov_b32 s4, 0x407ffff
	v_add3_u32 v2, v2, v3, s4
	v_lshrrev_b32_e32 v3, 20, v2
	v_and_b32_e32 v2, 0xff00000, v2
	s_mov_b32 s4, 0x7f00000
	v_mov_b32_e32 v4, 0x7e
	v_cmp_ne_u32_e64 s[4:5], s4, v2
	v_cndmask_b32_e64 v3, v4, v3, s[4:5]
                                        ; implicit-def: $vgpr2
; %bb.141:
	s_andn2_saveexec_b64 s[4:5], s[22:23]
; %bb.142:
	v_add_f32_e32 v3, 0x46800000, v2
; %bb.143:
	s_or_b64 exec, exec, s[4:5]
                                        ; implicit-def: $vgpr2
.LBB251_144:
	s_andn2_saveexec_b64 s[20:21], s[20:21]
; %bb.145:
	s_mov_b32 s4, 0x7f800000
	v_mov_b32_e32 v3, 0x7e
	v_mov_b32_e32 v4, 0x7f
	v_cmp_lt_u32_e64 s[4:5], s4, v2
	v_cndmask_b32_e64 v3, v3, v4, s[4:5]
; %bb.146:
	s_or_b64 exec, exec, s[20:21]
	flat_store_byte v[0:1], v3
.LBB251_147:
	s_or_b64 exec, exec, s[18:19]
                                        ; implicit-def: $vgpr0_vgpr1
.LBB251_148:
	s_andn2_saveexec_b64 s[16:17], s[16:17]
	s_cbranch_execz .LBB251_158
; %bb.149:
	v_cndmask_b32_e64 v2, 0, 1.0, vcc
	s_mov_b32 s4, 0x47800000
	v_cmp_gt_u32_e64 s[4:5], s4, v2
                                        ; implicit-def: $vgpr3
	s_and_saveexec_b64 s[18:19], s[4:5]
	s_xor_b64 s[18:19], exec, s[18:19]
	s_cbranch_execz .LBB251_155
; %bb.150:
	s_mov_b32 s4, 0x387fffff
	v_cmp_lt_u32_e64 s[4:5], s4, v2
                                        ; implicit-def: $vgpr3
	s_and_saveexec_b64 s[20:21], s[4:5]
	s_xor_b64 s[4:5], exec, s[20:21]
; %bb.151:
	v_bfe_u32 v3, v2, 21, 1
	s_mov_b32 s20, 0x80fffff
	v_add3_u32 v2, v2, v3, s20
	v_lshrrev_b32_e32 v3, 21, v2
                                        ; implicit-def: $vgpr2
; %bb.152:
	s_andn2_saveexec_b64 s[4:5], s[4:5]
; %bb.153:
	v_add_f32_e32 v3, 0x43000000, v2
; %bb.154:
	s_or_b64 exec, exec, s[4:5]
                                        ; implicit-def: $vgpr2
.LBB251_155:
	s_andn2_saveexec_b64 s[18:19], s[18:19]
; %bb.156:
	s_mov_b32 s4, 0x7f800000
	v_mov_b32_e32 v3, 0x7c
	v_mov_b32_e32 v4, 0x7f
	v_cmp_lt_u32_e64 s[4:5], s4, v2
	v_cndmask_b32_e64 v3, v3, v4, s[4:5]
; %bb.157:
	s_or_b64 exec, exec, s[18:19]
	flat_store_byte v[0:1], v3
.LBB251_158:
	s_or_b64 exec, exec, s[16:17]
	s_or_b64 s[4:5], s[6:7], exec
                                        ; implicit-def: $vgpr0_vgpr1
.LBB251_159:
	s_or_saveexec_b64 s[14:15], s[14:15]
	s_mov_b64 s[18:19], s[10:11]
	s_xor_b64 exec, exec, s[14:15]
	s_cbranch_execz .LBB251_169
; %bb.160:
	v_mov_b32_e32 v2, 14
	v_cmp_gt_i16_sdwa s[20:21], v17, v2 src0_sel:BYTE_0 src1_sel:DWORD
	s_mov_b64 s[16:17], s[4:5]
	s_mov_b64 s[18:19], s[10:11]
	s_and_saveexec_b64 s[22:23], s[20:21]
	s_xor_b64 s[20:21], exec, s[22:23]
	s_cbranch_execz .LBB251_164
; %bb.161:
	v_mov_b32_e32 v2, 15
	v_cmp_eq_u16_sdwa s[24:25], v17, v2 src0_sel:BYTE_0 src1_sel:DWORD
	s_mov_b64 s[18:19], -1
	s_mov_b64 s[16:17], s[4:5]
	s_and_saveexec_b64 s[22:23], s[24:25]
	s_cbranch_execz .LBB251_163
; %bb.162:
	v_cndmask_b32_e64 v2, 0, 1.0, vcc
	v_bfe_u32 v3, v2, 16, 1
	s_movk_i32 s16, 0x7fff
	v_add3_u32 v2, v2, v3, s16
	flat_store_short_d16_hi v[0:1], v2
	s_xor_b64 s[18:19], exec, -1
	s_or_b64 s[16:17], s[4:5], exec
.LBB251_163:
	s_or_b64 exec, exec, s[22:23]
	s_andn2_b64 s[22:23], s[10:11], exec
	s_and_b64 s[18:19], s[18:19], exec
	s_or_b64 s[18:19], s[22:23], s[18:19]
	s_andn2_b64 s[22:23], s[4:5], exec
	s_and_b64 s[16:17], s[16:17], exec
	s_or_b64 s[16:17], s[22:23], s[16:17]
                                        ; implicit-def: $vgpr0_vgpr1
.LBB251_164:
	s_andn2_saveexec_b64 s[20:21], s[20:21]
	s_cbranch_execz .LBB251_168
; %bb.165:
	v_mov_b32_e32 v2, 11
	v_cmp_eq_u16_sdwa s[28:29], v17, v2 src0_sel:BYTE_0 src1_sel:DWORD
	s_mov_b64 s[24:25], -1
	s_mov_b64 s[22:23], s[16:17]
	s_and_saveexec_b64 s[26:27], s[28:29]
	s_cbranch_execz .LBB251_167
; %bb.166:
	v_cndmask_b32_e64 v2, 0, 1, vcc
	flat_store_byte v[0:1], v2
	s_xor_b64 s[24:25], exec, -1
	s_or_b64 s[22:23], s[16:17], exec
.LBB251_167:
	s_or_b64 exec, exec, s[26:27]
	s_andn2_b64 s[18:19], s[18:19], exec
	s_and_b64 s[24:25], s[24:25], exec
	s_andn2_b64 s[16:17], s[16:17], exec
	s_and_b64 s[22:23], s[22:23], exec
	s_or_b64 s[18:19], s[18:19], s[24:25]
	s_or_b64 s[16:17], s[16:17], s[22:23]
.LBB251_168:
	s_or_b64 exec, exec, s[20:21]
	s_andn2_b64 s[20:21], s[10:11], exec
	s_and_b64 s[18:19], s[18:19], exec
	s_andn2_b64 s[4:5], s[4:5], exec
	s_and_b64 s[16:17], s[16:17], exec
	s_or_b64 s[18:19], s[20:21], s[18:19]
	s_or_b64 s[4:5], s[4:5], s[16:17]
.LBB251_169:
	s_or_b64 exec, exec, s[14:15]
	s_andn2_b64 s[10:11], s[10:11], exec
	s_and_b64 s[14:15], s[18:19], exec
	s_andn2_b64 s[6:7], s[6:7], exec
	s_and_b64 s[4:5], s[4:5], exec
	s_or_b64 s[10:11], s[10:11], s[14:15]
	s_or_b64 s[6:7], s[6:7], s[4:5]
.LBB251_170:
	s_or_b64 exec, exec, s[12:13]
	s_andn2_b64 s[4:5], s[34:35], exec
	s_and_b64 s[10:11], s[10:11], exec
	s_or_b64 s[4:5], s[4:5], s[10:11]
	s_and_b64 s[6:7], s[6:7], exec
                                        ; implicit-def: $vgpr0_vgpr1
	s_andn2_saveexec_b64 s[8:9], s[8:9]
	s_cbranch_execnz .LBB251_2046
.LBB251_171:
	s_or_b64 exec, exec, s[8:9]
	s_mov_b64 s[8:9], 0
	s_and_saveexec_b64 s[10:11], s[6:7]
.LBB251_172:
	s_mov_b64 s[8:9], exec
	v_add_u32_e32 v7, 0x80, v7
.LBB251_173:
	s_or_b64 exec, exec, s[10:11]
	s_andn2_b64 s[6:7], s[34:35], exec
	s_and_b64 s[4:5], s[4:5], exec
	s_or_b64 s[46:47], s[6:7], s[4:5]
	s_orn2_b64 s[10:11], s[8:9], exec
.LBB251_174:
	s_or_b64 exec, exec, s[48:49]
	s_mov_b64 s[4:5], 0
	s_mov_b64 s[8:9], 0
                                        ; implicit-def: $sgpr6_sgpr7
                                        ; implicit-def: $vgpr2
                                        ; implicit-def: $vgpr0_vgpr1
	s_and_saveexec_b64 s[48:49], s[10:11]
	s_cbranch_execz .LBB251_346
; %bb.175:
	v_cmp_gt_i32_e32 vcc, s33, v7
	s_mov_b64 s[8:9], -1
	s_mov_b64 s[52:53], s[46:47]
	s_and_saveexec_b64 s[50:51], vcc
	s_cbranch_execz .LBB251_261
; %bb.176:
	s_getpc_b64 s[4:5]
	s_add_u32 s4, s4, _ZN2at6native6invokeINS0_13BinaryFunctorIN3c1015Float8_e5m2fnuzES4_bNS0_12_GLOBAL__N_116CompareEqFunctorIS4_EEEEi15function_traitsIS8_EEENT1_11result_typeERKT_PrKPcPKT0_PKNS3_10ScalarTypeEi@rel32@lo+4
	s_addc_u32 s5, s5, _ZN2at6native6invokeINS0_13BinaryFunctorIN3c1015Float8_e5m2fnuzES4_bNS0_12_GLOBAL__N_116CompareEqFunctorIS4_EEEEi15function_traitsIS8_EEENT1_11result_typeERKT_PrKPcPKT0_PKNS3_10ScalarTypeEi@rel32@hi+12
	s_waitcnt vmcnt(0)
	v_mov_b32_e32 v0, v16
	v_mov_b32_e32 v1, s56
	;; [unrolled: 1-line block ×7, first 2 shown]
	s_swappc_b64 s[30:31], s[4:5]
	v_and_b32_e32 v0, 1, v0
	v_cmp_eq_u32_e32 vcc, 1, v0
	v_mul_lo_u32 v0, v20, v7
	v_mov_b32_e32 v2, 10
	v_cmp_gt_i16_sdwa s[8:9], v17, v2 src0_sel:BYTE_0 src1_sel:DWORD
	s_mov_b64 s[6:7], 0
	v_ashrrev_i32_e32 v1, 31, v0
	v_add_co_u32_e64 v0, s[4:5], v18, v0
	v_addc_co_u32_e64 v1, s[4:5], v19, v1, s[4:5]
	s_mov_b64 s[4:5], s[46:47]
	s_and_saveexec_b64 s[10:11], s[8:9]
	s_xor_b64 s[8:9], exec, s[10:11]
	s_cbranch_execz .LBB251_2126
; %bb.177:
	v_mov_b32_e32 v2, 25
	v_cmp_gt_i16_sdwa s[4:5], v17, v2 src0_sel:BYTE_0 src1_sel:DWORD
	s_mov_b64 s[10:11], s[46:47]
	s_and_saveexec_b64 s[12:13], s[4:5]
	s_xor_b64 s[12:13], exec, s[12:13]
	s_cbranch_execz .LBB251_213
; %bb.178:
	v_mov_b32_e32 v2, 28
	v_cmp_gt_i16_sdwa s[4:5], v17, v2 src0_sel:BYTE_0 src1_sel:DWORD
	;; [unrolled: 7-line block ×3, first 2 shown]
	s_mov_b64 s[4:5], 0
	s_mov_b64 s[6:7], s[46:47]
	s_and_saveexec_b64 s[16:17], s[14:15]
	s_xor_b64 s[14:15], exec, s[16:17]
	s_cbranch_execz .LBB251_191
; %bb.180:
	v_mov_b32_e32 v2, 45
	v_cmp_gt_i16_sdwa s[4:5], v17, v2 src0_sel:BYTE_0 src1_sel:DWORD
	s_mov_b64 s[16:17], 0
	s_mov_b64 s[18:19], s[46:47]
	s_and_saveexec_b64 s[6:7], s[4:5]
	s_xor_b64 s[4:5], exec, s[6:7]
	s_cbranch_execz .LBB251_184
; %bb.181:
	v_mov_b32_e32 v2, 46
	v_cmp_eq_u16_sdwa s[20:21], v17, v2 src0_sel:BYTE_0 src1_sel:DWORD
	s_mov_b64 s[6:7], 0
	s_mov_b64 s[18:19], -1
	s_and_saveexec_b64 s[16:17], s[20:21]
	s_cbranch_execz .LBB251_183
; %bb.182:
	v_cndmask_b32_e64 v2, 0, 1.0, vcc
	v_bfe_u32 v3, v2, 16, 1
	s_movk_i32 s18, 0x7fff
	v_add3_u32 v2, v2, v3, s18
	v_lshrrev_b32_e32 v2, 16, v2
	s_mov_b64 s[6:7], exec
	flat_store_dword v[0:1], v2
	s_xor_b64 s[18:19], exec, -1
.LBB251_183:
	s_or_b64 exec, exec, s[16:17]
	s_andn2_b64 s[16:17], s[46:47], exec
	s_and_b64 s[18:19], s[18:19], exec
	s_or_b64 s[18:19], s[16:17], s[18:19]
	s_and_b64 s[16:17], s[6:7], exec
                                        ; implicit-def: $vgpr0_vgpr1
.LBB251_184:
	s_andn2_saveexec_b64 s[20:21], s[4:5]
	s_cbranch_execz .LBB251_190
; %bb.185:
	v_mov_b32_e32 v2, 44
	v_cmp_eq_u16_sdwa s[24:25], v17, v2 src0_sel:BYTE_0 src1_sel:DWORD
	s_mov_b64 s[6:7], -1
	s_mov_b64 s[4:5], s[16:17]
	s_and_saveexec_b64 s[22:23], s[24:25]
	s_cbranch_execz .LBB251_189
; %bb.186:
	v_cndmask_b32_e64 v3, 0, 1.0, vcc
	v_lshrrev_b32_e32 v2, 23, v3
	s_movk_i32 s4, 0xff
	v_cmp_ne_u32_e64 s[4:5], s4, v2
	v_mov_b32_e32 v4, 0xff
	s_and_saveexec_b64 s[24:25], s[4:5]
; %bb.187:
	s_mov_b32 s6, 0x3fffff
	v_and_b32_e32 v4, 0x400000, v3
	v_and_or_b32 v3, v3, s6, v2
	v_cmp_ne_u32_e64 s[4:5], 0, v4
	v_cmp_ne_u32_e64 s[6:7], 0, v3
	s_and_b64 s[4:5], s[4:5], s[6:7]
	v_cndmask_b32_e64 v3, 0, 1, s[4:5]
	v_add_u32_e32 v4, v2, v3
; %bb.188:
	s_or_b64 exec, exec, s[24:25]
	s_xor_b64 s[6:7], exec, -1
	s_or_b64 s[4:5], s[16:17], exec
	flat_store_byte v[0:1], v4
.LBB251_189:
	s_or_b64 exec, exec, s[22:23]
	s_andn2_b64 s[18:19], s[18:19], exec
	s_and_b64 s[6:7], s[6:7], exec
	s_or_b64 s[18:19], s[18:19], s[6:7]
	s_andn2_b64 s[6:7], s[16:17], exec
	s_and_b64 s[4:5], s[4:5], exec
	s_or_b64 s[16:17], s[6:7], s[4:5]
.LBB251_190:
	s_or_b64 exec, exec, s[20:21]
	s_andn2_b64 s[4:5], s[46:47], exec
	s_and_b64 s[6:7], s[18:19], exec
	s_or_b64 s[6:7], s[4:5], s[6:7]
	s_and_b64 s[4:5], s[16:17], exec
                                        ; implicit-def: $vgpr0_vgpr1
.LBB251_191:
	s_andn2_saveexec_b64 s[14:15], s[14:15]
	s_cbranch_execz .LBB251_195
; %bb.192:
	v_mov_b32_e32 v2, 29
	v_cmp_eq_u16_sdwa s[22:23], v17, v2 src0_sel:BYTE_0 src1_sel:DWORD
	s_mov_b64 s[18:19], -1
	s_mov_b64 s[16:17], s[4:5]
	s_and_saveexec_b64 s[20:21], s[22:23]
	s_cbranch_execz .LBB251_194
; %bb.193:
	s_mov_b32 s16, 0
	v_cndmask_b32_e64 v2, 0, 1, vcc
	v_mov_b32_e32 v3, s16
	flat_store_dwordx2 v[0:1], v[2:3]
	s_xor_b64 s[18:19], exec, -1
	s_or_b64 s[16:17], s[4:5], exec
.LBB251_194:
	s_or_b64 exec, exec, s[20:21]
	s_andn2_b64 s[6:7], s[6:7], exec
	s_and_b64 s[18:19], s[18:19], exec
	s_andn2_b64 s[4:5], s[4:5], exec
	s_and_b64 s[16:17], s[16:17], exec
	s_or_b64 s[6:7], s[6:7], s[18:19]
	s_or_b64 s[4:5], s[4:5], s[16:17]
.LBB251_195:
	s_or_b64 exec, exec, s[14:15]
	s_andn2_b64 s[14:15], s[46:47], exec
	s_and_b64 s[6:7], s[6:7], exec
	s_or_b64 s[14:15], s[14:15], s[6:7]
	s_and_b64 s[6:7], s[4:5], exec
                                        ; implicit-def: $vgpr0_vgpr1
.LBB251_196:
	s_andn2_saveexec_b64 s[10:11], s[10:11]
	s_cbranch_execz .LBB251_212
; %bb.197:
	v_mov_b32_e32 v2, 26
	v_cmp_gt_i16_sdwa s[4:5], v17, v2 src0_sel:BYTE_0 src1_sel:DWORD
	s_and_saveexec_b64 s[16:17], s[4:5]
	s_xor_b64 s[4:5], exec, s[16:17]
	s_cbranch_execz .LBB251_203
; %bb.198:
	v_mov_b32_e32 v2, 27
	v_cmp_gt_i16_sdwa s[16:17], v17, v2 src0_sel:BYTE_0 src1_sel:DWORD
	s_and_saveexec_b64 s[18:19], s[16:17]
	s_xor_b64 s[16:17], exec, s[18:19]
	s_cbranch_execz .LBB251_200
; %bb.199:
	v_cndmask_b32_e64 v2, 0, 1, vcc
	flat_store_dword v[0:1], v2
                                        ; implicit-def: $vgpr0_vgpr1
.LBB251_200:
	s_andn2_saveexec_b64 s[16:17], s[16:17]
	s_cbranch_execz .LBB251_202
; %bb.201:
	v_cndmask_b32_e64 v2, 0, 1, vcc
	flat_store_short v[0:1], v2
.LBB251_202:
	s_or_b64 exec, exec, s[16:17]
                                        ; implicit-def: $vgpr0_vgpr1
.LBB251_203:
	s_andn2_saveexec_b64 s[16:17], s[4:5]
	s_cbranch_execz .LBB251_211
; %bb.204:
	v_cndmask_b32_e64 v3, 0, 1.0, vcc
	s_mov_b32 s4, 0x43800000
	v_cmp_gt_u32_e64 s[4:5], s4, v3
	v_mov_b32_e32 v4, 0x80
	s_and_saveexec_b64 s[18:19], s[4:5]
	s_cbranch_execz .LBB251_210
; %bb.205:
	s_mov_b32 s4, 0x3bffffff
	v_cmp_lt_u32_e64 s[4:5], s4, v3
	s_mov_b64 s[20:21], 0
                                        ; implicit-def: $vgpr2
	s_and_saveexec_b64 s[22:23], s[4:5]
	s_xor_b64 s[4:5], exec, s[22:23]
	s_cbranch_execz .LBB251_2507
; %bb.206:
	v_bfe_u32 v2, v3, 20, 1
	s_mov_b32 s22, 0x487ffff
	v_add3_u32 v2, v3, v2, s22
	s_mov_b64 s[20:21], exec
	v_lshrrev_b32_e32 v2, 20, v2
                                        ; implicit-def: $vgpr3
	s_andn2_saveexec_b64 s[22:23], s[4:5]
	s_cbranch_execnz .LBB251_2508
.LBB251_207:
	s_or_b64 exec, exec, s[22:23]
	v_mov_b32_e32 v4, 0
	s_and_saveexec_b64 s[4:5], s[20:21]
.LBB251_208:
	v_mov_b32_e32 v4, v2
.LBB251_209:
	s_or_b64 exec, exec, s[4:5]
.LBB251_210:
	s_or_b64 exec, exec, s[18:19]
	flat_store_byte v[0:1], v4
.LBB251_211:
	s_or_b64 exec, exec, s[16:17]
	s_or_b64 s[6:7], s[6:7], exec
.LBB251_212:
	s_or_b64 exec, exec, s[10:11]
	s_andn2_b64 s[4:5], s[46:47], exec
	s_and_b64 s[10:11], s[14:15], exec
	s_or_b64 s[10:11], s[4:5], s[10:11]
	s_and_b64 s[6:7], s[6:7], exec
                                        ; implicit-def: $vgpr0_vgpr1
.LBB251_213:
	s_andn2_saveexec_b64 s[12:13], s[12:13]
	s_cbranch_execz .LBB251_257
; %bb.214:
	v_mov_b32_e32 v2, 22
	v_cmp_gt_i16_sdwa s[14:15], v17, v2 src0_sel:BYTE_0 src1_sel:DWORD
	s_mov_b64 s[4:5], s[6:7]
	s_and_saveexec_b64 s[16:17], s[14:15]
	s_xor_b64 s[14:15], exec, s[16:17]
	s_cbranch_execz .LBB251_246
; %bb.215:
	v_mov_b32_e32 v2, 23
	v_cmp_gt_i16_sdwa s[4:5], v17, v2 src0_sel:BYTE_0 src1_sel:DWORD
	s_and_saveexec_b64 s[16:17], s[4:5]
	s_xor_b64 s[16:17], exec, s[16:17]
	s_cbranch_execz .LBB251_235
; %bb.216:
	v_mov_b32_e32 v2, 24
	v_cmp_gt_i16_sdwa s[4:5], v17, v2 src0_sel:BYTE_0 src1_sel:DWORD
	s_and_saveexec_b64 s[18:19], s[4:5]
	s_xor_b64 s[18:19], exec, s[18:19]
	s_cbranch_execz .LBB251_224
; %bb.217:
	v_cndmask_b32_e64 v3, 0, 1.0, vcc
	s_mov_b32 s4, 0x47800000
	v_cmp_gt_u32_e64 s[4:5], s4, v3
	v_mov_b32_e32 v4, 0x80
	s_and_saveexec_b64 s[20:21], s[4:5]
	s_cbranch_execz .LBB251_223
; %bb.218:
	s_mov_b32 s4, 0x37ffffff
	v_cmp_lt_u32_e64 s[4:5], s4, v3
	s_mov_b64 s[22:23], 0
                                        ; implicit-def: $vgpr2
	s_and_saveexec_b64 s[24:25], s[4:5]
	s_xor_b64 s[4:5], exec, s[24:25]
	s_cbranch_execz .LBB251_2596
; %bb.219:
	v_bfe_u32 v2, v3, 21, 1
	s_mov_b32 s24, 0x88fffff
	v_add3_u32 v2, v3, v2, s24
	s_mov_b64 s[22:23], exec
	v_lshrrev_b32_e32 v2, 21, v2
                                        ; implicit-def: $vgpr3
	s_andn2_saveexec_b64 s[24:25], s[4:5]
	s_cbranch_execnz .LBB251_2597
.LBB251_220:
	s_or_b64 exec, exec, s[24:25]
	v_mov_b32_e32 v4, 0
	s_and_saveexec_b64 s[4:5], s[22:23]
.LBB251_221:
	v_mov_b32_e32 v4, v2
.LBB251_222:
	s_or_b64 exec, exec, s[4:5]
.LBB251_223:
	s_or_b64 exec, exec, s[20:21]
	flat_store_byte v[0:1], v4
                                        ; implicit-def: $vgpr0_vgpr1
.LBB251_224:
	s_andn2_saveexec_b64 s[18:19], s[18:19]
	s_cbranch_execz .LBB251_234
; %bb.225:
	v_cndmask_b32_e64 v2, 0, 1.0, vcc
	s_mov_b32 s4, 0x43f00000
	v_cmp_gt_u32_e64 s[4:5], s4, v2
                                        ; implicit-def: $vgpr3
	s_and_saveexec_b64 s[20:21], s[4:5]
	s_xor_b64 s[20:21], exec, s[20:21]
	s_cbranch_execz .LBB251_231
; %bb.226:
	s_mov_b32 s4, 0x3c7fffff
	v_cmp_lt_u32_e64 s[4:5], s4, v2
                                        ; implicit-def: $vgpr3
	s_and_saveexec_b64 s[22:23], s[4:5]
	s_xor_b64 s[22:23], exec, s[22:23]
; %bb.227:
	v_bfe_u32 v3, v2, 20, 1
	s_mov_b32 s4, 0x407ffff
	v_add3_u32 v2, v2, v3, s4
	v_lshrrev_b32_e32 v3, 20, v2
	v_and_b32_e32 v2, 0xff00000, v2
	s_mov_b32 s4, 0x7f00000
	v_mov_b32_e32 v4, 0x7e
	v_cmp_ne_u32_e64 s[4:5], s4, v2
	v_cndmask_b32_e64 v3, v4, v3, s[4:5]
                                        ; implicit-def: $vgpr2
; %bb.228:
	s_andn2_saveexec_b64 s[4:5], s[22:23]
; %bb.229:
	v_add_f32_e32 v3, 0x46800000, v2
; %bb.230:
	s_or_b64 exec, exec, s[4:5]
                                        ; implicit-def: $vgpr2
.LBB251_231:
	s_andn2_saveexec_b64 s[20:21], s[20:21]
; %bb.232:
	s_mov_b32 s4, 0x7f800000
	v_mov_b32_e32 v3, 0x7e
	v_mov_b32_e32 v4, 0x7f
	v_cmp_lt_u32_e64 s[4:5], s4, v2
	v_cndmask_b32_e64 v3, v3, v4, s[4:5]
; %bb.233:
	s_or_b64 exec, exec, s[20:21]
	flat_store_byte v[0:1], v3
.LBB251_234:
	s_or_b64 exec, exec, s[18:19]
                                        ; implicit-def: $vgpr0_vgpr1
.LBB251_235:
	s_andn2_saveexec_b64 s[16:17], s[16:17]
	s_cbranch_execz .LBB251_245
; %bb.236:
	v_cndmask_b32_e64 v2, 0, 1.0, vcc
	s_mov_b32 s4, 0x47800000
	v_cmp_gt_u32_e64 s[4:5], s4, v2
                                        ; implicit-def: $vgpr3
	s_and_saveexec_b64 s[18:19], s[4:5]
	s_xor_b64 s[18:19], exec, s[18:19]
	s_cbranch_execz .LBB251_242
; %bb.237:
	s_mov_b32 s4, 0x387fffff
	v_cmp_lt_u32_e64 s[4:5], s4, v2
                                        ; implicit-def: $vgpr3
	s_and_saveexec_b64 s[20:21], s[4:5]
	s_xor_b64 s[4:5], exec, s[20:21]
; %bb.238:
	v_bfe_u32 v3, v2, 21, 1
	s_mov_b32 s20, 0x80fffff
	v_add3_u32 v2, v2, v3, s20
	v_lshrrev_b32_e32 v3, 21, v2
                                        ; implicit-def: $vgpr2
; %bb.239:
	s_andn2_saveexec_b64 s[4:5], s[4:5]
; %bb.240:
	v_add_f32_e32 v3, 0x43000000, v2
; %bb.241:
	s_or_b64 exec, exec, s[4:5]
                                        ; implicit-def: $vgpr2
.LBB251_242:
	s_andn2_saveexec_b64 s[18:19], s[18:19]
; %bb.243:
	s_mov_b32 s4, 0x7f800000
	v_mov_b32_e32 v3, 0x7c
	v_mov_b32_e32 v4, 0x7f
	v_cmp_lt_u32_e64 s[4:5], s4, v2
	v_cndmask_b32_e64 v3, v3, v4, s[4:5]
; %bb.244:
	s_or_b64 exec, exec, s[18:19]
	flat_store_byte v[0:1], v3
.LBB251_245:
	s_or_b64 exec, exec, s[16:17]
	s_or_b64 s[4:5], s[6:7], exec
                                        ; implicit-def: $vgpr0_vgpr1
.LBB251_246:
	s_or_saveexec_b64 s[14:15], s[14:15]
	s_mov_b64 s[18:19], s[10:11]
	s_xor_b64 exec, exec, s[14:15]
	s_cbranch_execz .LBB251_256
; %bb.247:
	v_mov_b32_e32 v2, 14
	v_cmp_gt_i16_sdwa s[20:21], v17, v2 src0_sel:BYTE_0 src1_sel:DWORD
	s_mov_b64 s[16:17], s[4:5]
	s_mov_b64 s[18:19], s[10:11]
	s_and_saveexec_b64 s[22:23], s[20:21]
	s_xor_b64 s[20:21], exec, s[22:23]
	s_cbranch_execz .LBB251_251
; %bb.248:
	v_mov_b32_e32 v2, 15
	v_cmp_eq_u16_sdwa s[24:25], v17, v2 src0_sel:BYTE_0 src1_sel:DWORD
	s_mov_b64 s[18:19], -1
	s_mov_b64 s[16:17], s[4:5]
	s_and_saveexec_b64 s[22:23], s[24:25]
	s_cbranch_execz .LBB251_250
; %bb.249:
	v_cndmask_b32_e64 v2, 0, 1.0, vcc
	v_bfe_u32 v3, v2, 16, 1
	s_movk_i32 s16, 0x7fff
	v_add3_u32 v2, v2, v3, s16
	flat_store_short_d16_hi v[0:1], v2
	s_xor_b64 s[18:19], exec, -1
	s_or_b64 s[16:17], s[4:5], exec
.LBB251_250:
	s_or_b64 exec, exec, s[22:23]
	s_andn2_b64 s[22:23], s[10:11], exec
	s_and_b64 s[18:19], s[18:19], exec
	s_or_b64 s[18:19], s[22:23], s[18:19]
	s_andn2_b64 s[22:23], s[4:5], exec
	s_and_b64 s[16:17], s[16:17], exec
	s_or_b64 s[16:17], s[22:23], s[16:17]
                                        ; implicit-def: $vgpr0_vgpr1
.LBB251_251:
	s_andn2_saveexec_b64 s[20:21], s[20:21]
	s_cbranch_execz .LBB251_255
; %bb.252:
	v_mov_b32_e32 v2, 11
	v_cmp_eq_u16_sdwa s[28:29], v17, v2 src0_sel:BYTE_0 src1_sel:DWORD
	s_mov_b64 s[24:25], -1
	s_mov_b64 s[22:23], s[16:17]
	s_and_saveexec_b64 s[26:27], s[28:29]
	s_cbranch_execz .LBB251_254
; %bb.253:
	v_cndmask_b32_e64 v2, 0, 1, vcc
	flat_store_byte v[0:1], v2
	s_xor_b64 s[24:25], exec, -1
	s_or_b64 s[22:23], s[16:17], exec
.LBB251_254:
	s_or_b64 exec, exec, s[26:27]
	s_andn2_b64 s[18:19], s[18:19], exec
	s_and_b64 s[24:25], s[24:25], exec
	s_andn2_b64 s[16:17], s[16:17], exec
	s_and_b64 s[22:23], s[22:23], exec
	s_or_b64 s[18:19], s[18:19], s[24:25]
	s_or_b64 s[16:17], s[16:17], s[22:23]
.LBB251_255:
	s_or_b64 exec, exec, s[20:21]
	s_andn2_b64 s[20:21], s[10:11], exec
	s_and_b64 s[18:19], s[18:19], exec
	s_andn2_b64 s[4:5], s[4:5], exec
	s_and_b64 s[16:17], s[16:17], exec
	s_or_b64 s[18:19], s[20:21], s[18:19]
	s_or_b64 s[4:5], s[4:5], s[16:17]
.LBB251_256:
	s_or_b64 exec, exec, s[14:15]
	s_andn2_b64 s[10:11], s[10:11], exec
	s_and_b64 s[14:15], s[18:19], exec
	s_andn2_b64 s[6:7], s[6:7], exec
	s_and_b64 s[4:5], s[4:5], exec
	s_or_b64 s[10:11], s[10:11], s[14:15]
	s_or_b64 s[6:7], s[6:7], s[4:5]
.LBB251_257:
	s_or_b64 exec, exec, s[12:13]
	s_andn2_b64 s[4:5], s[46:47], exec
	s_and_b64 s[10:11], s[10:11], exec
	s_or_b64 s[4:5], s[4:5], s[10:11]
	s_and_b64 s[6:7], s[6:7], exec
                                        ; implicit-def: $vgpr0_vgpr1
	s_andn2_saveexec_b64 s[8:9], s[8:9]
	s_cbranch_execnz .LBB251_2127
.LBB251_258:
	s_or_b64 exec, exec, s[8:9]
	s_mov_b64 s[8:9], 0
	s_and_saveexec_b64 s[10:11], s[6:7]
.LBB251_259:
	s_mov_b64 s[8:9], exec
	v_add_u32_e32 v7, 0x80, v7
.LBB251_260:
	s_or_b64 exec, exec, s[10:11]
	s_andn2_b64 s[6:7], s[46:47], exec
	s_and_b64 s[4:5], s[4:5], exec
	s_or_b64 s[52:53], s[6:7], s[4:5]
	s_orn2_b64 s[8:9], s[8:9], exec
.LBB251_261:
	s_or_b64 exec, exec, s[50:51]
	s_mov_b64 s[4:5], 0
	s_mov_b64 s[10:11], 0
                                        ; implicit-def: $sgpr6_sgpr7
                                        ; implicit-def: $vgpr2
                                        ; implicit-def: $vgpr0_vgpr1
	s_and_saveexec_b64 s[50:51], s[8:9]
	s_cbranch_execz .LBB251_345
; %bb.262:
	v_cmp_gt_i32_e32 vcc, s33, v7
	s_mov_b64 s[8:9], s[52:53]
                                        ; implicit-def: $sgpr6_sgpr7
                                        ; implicit-def: $vgpr2
                                        ; implicit-def: $vgpr0_vgpr1
	s_and_saveexec_b64 s[54:55], vcc
	s_cbranch_execz .LBB251_344
; %bb.263:
	s_getpc_b64 s[4:5]
	s_add_u32 s4, s4, _ZN2at6native6invokeINS0_13BinaryFunctorIN3c1015Float8_e5m2fnuzES4_bNS0_12_GLOBAL__N_116CompareEqFunctorIS4_EEEEi15function_traitsIS8_EEENT1_11result_typeERKT_PrKPcPKT0_PKNS3_10ScalarTypeEi@rel32@lo+4
	s_addc_u32 s5, s5, _ZN2at6native6invokeINS0_13BinaryFunctorIN3c1015Float8_e5m2fnuzES4_bNS0_12_GLOBAL__N_116CompareEqFunctorIS4_EEEEi15function_traitsIS8_EEENT1_11result_typeERKT_PrKPcPKT0_PKNS3_10ScalarTypeEi@rel32@hi+12
	s_waitcnt vmcnt(0)
	v_mov_b32_e32 v0, v16
	v_mov_b32_e32 v1, s56
	;; [unrolled: 1-line block ×7, first 2 shown]
	s_swappc_b64 s[30:31], s[4:5]
	v_and_b32_e32 v0, 1, v0
	v_cmp_eq_u32_e64 s[6:7], 1, v0
	v_mul_lo_u32 v0, v20, v7
	v_and_b32_e32 v2, 0xff, v17
	s_mov_b64 s[12:13], 0
	s_mov_b64 s[10:11], -1
	v_ashrrev_i32_e32 v1, 31, v0
	v_add_co_u32_e32 v0, vcc, v18, v0
	v_addc_co_u32_e32 v1, vcc, v19, v1, vcc
	v_cmp_lt_i16_e32 vcc, 10, v2
	s_mov_b64 s[14:15], s[52:53]
	s_and_saveexec_b64 s[8:9], vcc
	s_cbranch_execz .LBB251_343
; %bb.264:
	v_cmp_lt_i16_e32 vcc, 25, v2
	s_mov_b64 s[4:5], s[52:53]
	s_and_saveexec_b64 s[10:11], vcc
	s_xor_b64 s[10:11], exec, s[10:11]
	s_cbranch_execz .LBB251_300
; %bb.265:
	v_cmp_lt_i16_e32 vcc, 28, v2
	s_mov_b64 s[4:5], s[52:53]
	s_and_saveexec_b64 s[12:13], vcc
	s_xor_b64 s[12:13], exec, s[12:13]
	;; [unrolled: 6-line block ×4, first 2 shown]
	s_cbranch_execz .LBB251_271
; %bb.268:
	v_cmp_eq_u16_e32 vcc, 46, v2
	s_mov_b64 s[18:19], -1
	s_and_saveexec_b64 s[16:17], vcc
	s_cbranch_execz .LBB251_270
; %bb.269:
	v_cndmask_b32_e64 v3, 0, 1.0, s[6:7]
	v_bfe_u32 v4, v3, 16, 1
	s_movk_i32 s18, 0x7fff
	v_add3_u32 v3, v3, v4, s18
	v_lshrrev_b32_e32 v3, 16, v3
	flat_store_dword v[0:1], v3
	s_xor_b64 s[18:19], exec, -1
.LBB251_270:
	s_or_b64 exec, exec, s[16:17]
	s_andn2_b64 s[16:17], s[52:53], exec
	s_and_b64 s[18:19], s[18:19], exec
	s_or_b64 s[16:17], s[16:17], s[18:19]
.LBB251_271:
	s_andn2_saveexec_b64 s[18:19], s[4:5]
	s_cbranch_execz .LBB251_277
; %bb.272:
	v_cmp_eq_u16_e32 vcc, 44, v2
	s_mov_b64 s[4:5], -1
	s_and_saveexec_b64 s[20:21], vcc
	s_cbranch_execz .LBB251_276
; %bb.273:
	v_cndmask_b32_e64 v4, 0, 1.0, s[6:7]
	v_lshrrev_b32_e32 v3, 23, v4
	s_movk_i32 s4, 0xff
	v_cmp_ne_u32_e32 vcc, s4, v3
	v_mov_b32_e32 v5, 0xff
	s_and_saveexec_b64 s[22:23], vcc
; %bb.274:
	s_mov_b32 s4, 0x3fffff
	v_and_b32_e32 v5, 0x400000, v4
	v_and_or_b32 v4, v4, s4, v3
	v_cmp_ne_u32_e32 vcc, 0, v5
	v_cmp_ne_u32_e64 s[4:5], 0, v4
	s_and_b64 s[4:5], vcc, s[4:5]
	v_cndmask_b32_e64 v4, 0, 1, s[4:5]
	v_add_u32_e32 v5, v3, v4
; %bb.275:
	s_or_b64 exec, exec, s[22:23]
	s_xor_b64 s[4:5], exec, -1
	flat_store_byte v[0:1], v5
.LBB251_276:
	s_or_b64 exec, exec, s[20:21]
	s_andn2_b64 s[16:17], s[16:17], exec
	s_and_b64 s[4:5], s[4:5], exec
	s_or_b64 s[16:17], s[16:17], s[4:5]
.LBB251_277:
	s_or_b64 exec, exec, s[18:19]
	s_andn2_b64 s[4:5], s[52:53], exec
	s_and_b64 s[16:17], s[16:17], exec
	s_or_b64 s[4:5], s[4:5], s[16:17]
.LBB251_278:
	s_andn2_saveexec_b64 s[14:15], s[14:15]
	s_cbranch_execz .LBB251_282
; %bb.279:
	v_cmp_eq_u16_e32 vcc, 29, v2
	s_mov_b64 s[18:19], -1
	s_and_saveexec_b64 s[16:17], vcc
	s_cbranch_execz .LBB251_281
; %bb.280:
	s_mov_b32 s18, 0
	v_cndmask_b32_e64 v3, 0, 1, s[6:7]
	v_mov_b32_e32 v4, s18
	flat_store_dwordx2 v[0:1], v[3:4]
	s_xor_b64 s[18:19], exec, -1
.LBB251_281:
	s_or_b64 exec, exec, s[16:17]
	s_andn2_b64 s[4:5], s[4:5], exec
	s_and_b64 s[16:17], s[18:19], exec
	s_or_b64 s[4:5], s[4:5], s[16:17]
.LBB251_282:
	s_or_b64 exec, exec, s[14:15]
	s_andn2_b64 s[14:15], s[52:53], exec
	s_and_b64 s[4:5], s[4:5], exec
	s_or_b64 s[4:5], s[14:15], s[4:5]
.LBB251_283:
	s_andn2_saveexec_b64 s[12:13], s[12:13]
	s_cbranch_execz .LBB251_299
; %bb.284:
	v_cmp_lt_i16_e32 vcc, 26, v2
	s_and_saveexec_b64 s[14:15], vcc
	s_xor_b64 s[14:15], exec, s[14:15]
	s_cbranch_execz .LBB251_290
; %bb.285:
	v_cmp_lt_i16_e32 vcc, 27, v2
	v_cndmask_b32_e64 v3, 0, 1, s[6:7]
	s_and_saveexec_b64 s[16:17], vcc
	s_xor_b64 s[16:17], exec, s[16:17]
	s_cbranch_execz .LBB251_287
; %bb.286:
	flat_store_dword v[0:1], v3
                                        ; implicit-def: $vgpr3
.LBB251_287:
	s_andn2_saveexec_b64 s[16:17], s[16:17]
	s_cbranch_execz .LBB251_289
; %bb.288:
	flat_store_short v[0:1], v3
.LBB251_289:
	s_or_b64 exec, exec, s[16:17]
.LBB251_290:
	s_andn2_saveexec_b64 s[14:15], s[14:15]
	s_cbranch_execz .LBB251_298
; %bb.291:
	v_cndmask_b32_e64 v4, 0, 1.0, s[6:7]
	s_mov_b32 s16, 0x43800000
	v_cmp_gt_u32_e32 vcc, s16, v4
	v_mov_b32_e32 v5, 0x80
	s_and_saveexec_b64 s[16:17], vcc
	s_cbranch_execz .LBB251_297
; %bb.292:
	s_mov_b32 s18, 0x3bffffff
	v_cmp_lt_u32_e32 vcc, s18, v4
	s_mov_b64 s[18:19], 0
                                        ; implicit-def: $vgpr3
	s_and_saveexec_b64 s[20:21], vcc
	s_xor_b64 s[20:21], exec, s[20:21]
	s_cbranch_execz .LBB251_2598
; %bb.293:
	v_bfe_u32 v3, v4, 20, 1
	s_mov_b32 s22, 0x487ffff
	v_add3_u32 v3, v4, v3, s22
	s_mov_b64 s[18:19], exec
	v_lshrrev_b32_e32 v3, 20, v3
                                        ; implicit-def: $vgpr4
	s_andn2_saveexec_b64 s[20:21], s[20:21]
	s_cbranch_execnz .LBB251_2599
.LBB251_294:
	s_or_b64 exec, exec, s[20:21]
	v_mov_b32_e32 v5, 0
	s_and_saveexec_b64 s[20:21], s[18:19]
.LBB251_295:
	v_mov_b32_e32 v5, v3
.LBB251_296:
	s_or_b64 exec, exec, s[20:21]
.LBB251_297:
	s_or_b64 exec, exec, s[16:17]
	flat_store_byte v[0:1], v5
.LBB251_298:
	s_or_b64 exec, exec, s[14:15]
.LBB251_299:
	s_or_b64 exec, exec, s[12:13]
	s_andn2_b64 s[12:13], s[52:53], exec
	s_and_b64 s[4:5], s[4:5], exec
	s_or_b64 s[4:5], s[12:13], s[4:5]
.LBB251_300:
	s_or_saveexec_b64 s[10:11], s[10:11]
	s_mov_b64 s[12:13], 0
	s_xor_b64 exec, exec, s[10:11]
	s_cbranch_execz .LBB251_342
; %bb.301:
	v_cmp_lt_i16_e32 vcc, 22, v2
	s_and_saveexec_b64 s[12:13], vcc
	s_xor_b64 s[12:13], exec, s[12:13]
	s_cbranch_execz .LBB251_333
; %bb.302:
	v_cmp_lt_i16_e32 vcc, 23, v2
	s_and_saveexec_b64 s[14:15], vcc
	s_xor_b64 s[14:15], exec, s[14:15]
	;; [unrolled: 5-line block ×3, first 2 shown]
	s_cbranch_execz .LBB251_311
; %bb.304:
	v_cndmask_b32_e64 v4, 0, 1.0, s[6:7]
	s_mov_b32 s18, 0x47800000
	v_cmp_gt_u32_e32 vcc, s18, v4
	v_mov_b32_e32 v5, 0x80
	s_and_saveexec_b64 s[18:19], vcc
	s_cbranch_execz .LBB251_310
; %bb.305:
	s_mov_b32 s20, 0x37ffffff
	v_cmp_lt_u32_e32 vcc, s20, v4
	s_mov_b64 s[20:21], 0
                                        ; implicit-def: $vgpr3
	s_and_saveexec_b64 s[22:23], vcc
	s_xor_b64 s[22:23], exec, s[22:23]
	s_cbranch_execz .LBB251_2685
; %bb.306:
	v_bfe_u32 v3, v4, 21, 1
	s_mov_b32 s24, 0x88fffff
	v_add3_u32 v3, v4, v3, s24
	s_mov_b64 s[20:21], exec
	v_lshrrev_b32_e32 v3, 21, v3
                                        ; implicit-def: $vgpr4
	s_andn2_saveexec_b64 s[22:23], s[22:23]
	s_cbranch_execnz .LBB251_2686
.LBB251_307:
	s_or_b64 exec, exec, s[22:23]
	v_mov_b32_e32 v5, 0
	s_and_saveexec_b64 s[22:23], s[20:21]
.LBB251_308:
	v_mov_b32_e32 v5, v3
.LBB251_309:
	s_or_b64 exec, exec, s[22:23]
.LBB251_310:
	s_or_b64 exec, exec, s[18:19]
	flat_store_byte v[0:1], v5
.LBB251_311:
	s_andn2_saveexec_b64 s[16:17], s[16:17]
	s_cbranch_execz .LBB251_321
; %bb.312:
	v_cndmask_b32_e64 v3, 0, 1.0, s[6:7]
	s_mov_b32 s18, 0x43f00000
	v_cmp_gt_u32_e32 vcc, s18, v3
                                        ; implicit-def: $vgpr4
	s_and_saveexec_b64 s[18:19], vcc
	s_xor_b64 s[18:19], exec, s[18:19]
	s_cbranch_execz .LBB251_318
; %bb.313:
	s_mov_b32 s20, 0x3c7fffff
	v_cmp_lt_u32_e32 vcc, s20, v3
                                        ; implicit-def: $vgpr4
	s_and_saveexec_b64 s[20:21], vcc
	s_xor_b64 s[20:21], exec, s[20:21]
; %bb.314:
	v_bfe_u32 v4, v3, 20, 1
	s_mov_b32 s22, 0x407ffff
	v_add3_u32 v3, v3, v4, s22
	v_lshrrev_b32_e32 v4, 20, v3
	v_and_b32_e32 v3, 0xff00000, v3
	s_mov_b32 s22, 0x7f00000
	v_mov_b32_e32 v5, 0x7e
	v_cmp_ne_u32_e32 vcc, s22, v3
	v_cndmask_b32_e32 v4, v5, v4, vcc
                                        ; implicit-def: $vgpr3
; %bb.315:
	s_andn2_saveexec_b64 s[20:21], s[20:21]
; %bb.316:
	v_add_f32_e32 v4, 0x46800000, v3
; %bb.317:
	s_or_b64 exec, exec, s[20:21]
                                        ; implicit-def: $vgpr3
.LBB251_318:
	s_andn2_saveexec_b64 s[18:19], s[18:19]
; %bb.319:
	s_mov_b32 s20, 0x7f800000
	v_mov_b32_e32 v4, 0x7e
	v_mov_b32_e32 v5, 0x7f
	v_cmp_lt_u32_e32 vcc, s20, v3
	v_cndmask_b32_e32 v4, v4, v5, vcc
; %bb.320:
	s_or_b64 exec, exec, s[18:19]
	flat_store_byte v[0:1], v4
.LBB251_321:
	s_or_b64 exec, exec, s[16:17]
.LBB251_322:
	s_andn2_saveexec_b64 s[14:15], s[14:15]
	s_cbranch_execz .LBB251_332
; %bb.323:
	v_cndmask_b32_e64 v3, 0, 1.0, s[6:7]
	s_mov_b32 s16, 0x47800000
	v_cmp_gt_u32_e32 vcc, s16, v3
                                        ; implicit-def: $vgpr4
	s_and_saveexec_b64 s[16:17], vcc
	s_xor_b64 s[16:17], exec, s[16:17]
	s_cbranch_execz .LBB251_329
; %bb.324:
	s_mov_b32 s18, 0x387fffff
	v_cmp_lt_u32_e32 vcc, s18, v3
                                        ; implicit-def: $vgpr4
	s_and_saveexec_b64 s[18:19], vcc
	s_xor_b64 s[18:19], exec, s[18:19]
; %bb.325:
	v_bfe_u32 v4, v3, 21, 1
	s_mov_b32 s20, 0x80fffff
	v_add3_u32 v3, v3, v4, s20
	v_lshrrev_b32_e32 v4, 21, v3
                                        ; implicit-def: $vgpr3
; %bb.326:
	s_andn2_saveexec_b64 s[18:19], s[18:19]
; %bb.327:
	v_add_f32_e32 v4, 0x43000000, v3
; %bb.328:
	s_or_b64 exec, exec, s[18:19]
                                        ; implicit-def: $vgpr3
.LBB251_329:
	s_andn2_saveexec_b64 s[16:17], s[16:17]
; %bb.330:
	s_mov_b32 s18, 0x7f800000
	v_mov_b32_e32 v4, 0x7c
	v_mov_b32_e32 v5, 0x7f
	v_cmp_lt_u32_e32 vcc, s18, v3
	v_cndmask_b32_e32 v4, v4, v5, vcc
; %bb.331:
	s_or_b64 exec, exec, s[16:17]
	flat_store_byte v[0:1], v4
.LBB251_332:
	s_or_b64 exec, exec, s[14:15]
.LBB251_333:
	s_or_saveexec_b64 s[12:13], s[12:13]
	s_mov_b64 s[16:17], 0
	s_mov_b64 s[14:15], s[4:5]
	s_xor_b64 exec, exec, s[12:13]
	s_cbranch_execz .LBB251_341
; %bb.334:
	v_cmp_lt_i16_e32 vcc, 14, v2
	s_mov_b64 s[14:15], s[4:5]
	s_and_saveexec_b64 s[16:17], vcc
	s_xor_b64 s[16:17], exec, s[16:17]
	s_cbranch_execz .LBB251_338
; %bb.335:
	v_cmp_eq_u16_e32 vcc, 15, v2
	s_mov_b64 s[18:19], -1
	s_and_saveexec_b64 s[14:15], vcc
	s_cbranch_execz .LBB251_337
; %bb.336:
	v_cndmask_b32_e64 v3, 0, 1.0, s[6:7]
	v_bfe_u32 v4, v3, 16, 1
	s_movk_i32 s18, 0x7fff
	v_add3_u32 v3, v3, v4, s18
	flat_store_short_d16_hi v[0:1], v3
	s_xor_b64 s[18:19], exec, -1
.LBB251_337:
	s_or_b64 exec, exec, s[14:15]
	s_andn2_b64 s[14:15], s[4:5], exec
	s_and_b64 s[18:19], s[18:19], exec
	s_or_b64 s[14:15], s[14:15], s[18:19]
.LBB251_338:
	s_or_saveexec_b64 s[16:17], s[16:17]
	s_mov_b64 s[18:19], 0
	s_xor_b64 exec, exec, s[16:17]
; %bb.339:
	v_cmp_ne_u16_e32 vcc, 11, v2
	s_andn2_b64 s[14:15], s[14:15], exec
	s_and_b64 s[20:21], vcc, exec
	s_mov_b64 s[18:19], exec
	s_or_b64 s[14:15], s[14:15], s[20:21]
; %bb.340:
	s_or_b64 exec, exec, s[16:17]
	s_and_b64 s[16:17], s[18:19], exec
	s_andn2_b64 s[18:19], s[4:5], exec
	s_and_b64 s[14:15], s[14:15], exec
	s_or_b64 s[14:15], s[18:19], s[14:15]
.LBB251_341:
	s_or_b64 exec, exec, s[12:13]
	s_andn2_b64 s[4:5], s[4:5], exec
	s_and_b64 s[14:15], s[14:15], exec
	s_and_b64 s[12:13], s[16:17], exec
	s_or_b64 s[4:5], s[4:5], s[14:15]
.LBB251_342:
	s_or_b64 exec, exec, s[10:11]
	s_andn2_b64 s[14:15], s[52:53], exec
	s_and_b64 s[4:5], s[4:5], exec
	s_xor_b64 s[10:11], exec, -1
	s_and_b64 s[12:13], s[12:13], exec
	s_or_b64 s[14:15], s[14:15], s[4:5]
.LBB251_343:
	s_or_b64 exec, exec, s[8:9]
	s_and_b64 s[4:5], s[12:13], exec
	s_andn2_b64 s[8:9], s[52:53], exec
	s_and_b64 s[12:13], s[14:15], exec
	s_and_b64 s[10:11], s[10:11], exec
	s_or_b64 s[8:9], s[8:9], s[12:13]
.LBB251_344:
	s_or_b64 exec, exec, s[54:55]
	s_andn2_b64 s[12:13], s[52:53], exec
	s_and_b64 s[8:9], s[8:9], exec
	s_and_b64 s[10:11], s[10:11], exec
	;; [unrolled: 1-line block ×3, first 2 shown]
	s_or_b64 s[52:53], s[12:13], s[8:9]
.LBB251_345:
	s_or_b64 exec, exec, s[50:51]
	s_and_b64 s[8:9], s[10:11], exec
	s_andn2_b64 s[10:11], s[46:47], exec
	s_and_b64 s[12:13], s[52:53], exec
	s_and_b64 s[4:5], s[4:5], exec
	s_or_b64 s[46:47], s[10:11], s[12:13]
.LBB251_346:
	s_or_b64 exec, exec, s[48:49]
	s_and_b64 s[48:49], s[4:5], exec
	s_andn2_b64 s[4:5], s[34:35], exec
	s_and_b64 s[10:11], s[46:47], exec
	s_and_b64 s[8:9], s[8:9], exec
	s_or_b64 s[34:35], s[4:5], s[10:11]
	s_or_b64 exec, exec, s[44:45]
	s_mov_b64 s[4:5], 0
	s_and_saveexec_b64 s[10:11], s[34:35]
	s_cbranch_execz .LBB251_350
.LBB251_347:
	s_mov_b64 s[4:5], exec
	s_andn2_b64 s[48:49], s[48:49], exec
	s_trap 2
	s_or_b64 exec, exec, s[10:11]
	s_and_saveexec_b64 s[10:11], s[48:49]
	s_xor_b64 s[10:11], exec, s[10:11]
	s_cbranch_execnz .LBB251_351
.LBB251_348:
	s_or_b64 exec, exec, s[10:11]
	s_and_saveexec_b64 s[10:11], s[8:9]
	s_xor_b64 s[8:9], exec, s[10:11]
	s_cbranch_execnz .LBB251_352
	s_branch .LBB251_393
.LBB251_349:
	s_or_b64 exec, exec, s[44:45]
	s_mov_b64 s[4:5], 0
	s_and_saveexec_b64 s[10:11], s[34:35]
	s_cbranch_execnz .LBB251_347
.LBB251_350:
	s_or_b64 exec, exec, s[10:11]
	s_and_saveexec_b64 s[10:11], s[48:49]
	s_xor_b64 s[10:11], exec, s[10:11]
	s_cbranch_execz .LBB251_348
.LBB251_351:
	v_cndmask_b32_e64 v3, 0, 1, s[6:7]
	flat_store_byte v[0:1], v3
	s_or_b64 exec, exec, s[10:11]
	s_and_saveexec_b64 s[10:11], s[8:9]
	s_xor_b64 s[8:9], exec, s[10:11]
	s_cbranch_execz .LBB251_393
.LBB251_352:
	v_cmp_lt_i16_e32 vcc, 4, v2
	s_and_saveexec_b64 s[10:11], vcc
	s_xor_b64 s[10:11], exec, s[10:11]
	s_cbranch_execz .LBB251_374
; %bb.353:
	v_cmp_lt_i16_e32 vcc, 7, v2
	s_and_saveexec_b64 s[12:13], vcc
	s_xor_b64 s[12:13], exec, s[12:13]
	s_cbranch_execz .LBB251_363
; %bb.354:
	;; [unrolled: 5-line block ×4, first 2 shown]
	v_cndmask_b32_e64 v3, 0, 1, s[6:7]
	v_cvt_f64_u32_e32 v[3:4], v3
	v_mov_b32_e32 v5, 0
	v_mov_b32_e32 v6, v5
	flat_store_dwordx4 v[0:1], v[3:6]
.LBB251_357:
	s_andn2_saveexec_b64 s[16:17], s[16:17]
	s_cbranch_execz .LBB251_359
; %bb.358:
	v_cndmask_b32_e64 v3, 0, 1.0, s[6:7]
	v_mov_b32_e32 v4, 0
	flat_store_dwordx2 v[0:1], v[3:4]
.LBB251_359:
	s_or_b64 exec, exec, s[16:17]
.LBB251_360:
	s_andn2_saveexec_b64 s[14:15], s[14:15]
	s_cbranch_execz .LBB251_362
; %bb.361:
	v_cndmask_b32_e64 v3, 0, 1.0, s[6:7]
	v_cvt_f16_f32_e32 v3, v3
	flat_store_dword v[0:1], v3
.LBB251_362:
	s_or_b64 exec, exec, s[14:15]
.LBB251_363:
	s_andn2_saveexec_b64 s[12:13], s[12:13]
	s_cbranch_execz .LBB251_373
; %bb.364:
	v_cmp_lt_i16_e32 vcc, 5, v2
	s_and_saveexec_b64 s[14:15], vcc
	s_xor_b64 s[14:15], exec, s[14:15]
	s_cbranch_execz .LBB251_370
; %bb.365:
	v_cmp_lt_i16_e32 vcc, 6, v2
	s_and_saveexec_b64 s[16:17], vcc
	s_xor_b64 s[16:17], exec, s[16:17]
	s_cbranch_execz .LBB251_367
; %bb.366:
	v_cndmask_b32_e64 v3, 0, 1, s[6:7]
	v_cvt_f64_u32_e32 v[3:4], v3
	flat_store_dwordx2 v[0:1], v[3:4]
.LBB251_367:
	s_andn2_saveexec_b64 s[16:17], s[16:17]
	s_cbranch_execz .LBB251_369
; %bb.368:
	v_cndmask_b32_e64 v3, 0, 1.0, s[6:7]
	flat_store_dword v[0:1], v3
.LBB251_369:
	s_or_b64 exec, exec, s[16:17]
.LBB251_370:
	s_andn2_saveexec_b64 s[14:15], s[14:15]
	s_cbranch_execz .LBB251_372
; %bb.371:
	v_cndmask_b32_e64 v3, 0, 1.0, s[6:7]
	v_cvt_f16_f32_e32 v3, v3
	flat_store_short v[0:1], v3
.LBB251_372:
	s_or_b64 exec, exec, s[14:15]
.LBB251_373:
	s_or_b64 exec, exec, s[12:13]
.LBB251_374:
	s_andn2_saveexec_b64 s[10:11], s[10:11]
	s_cbranch_execz .LBB251_392
; %bb.375:
	v_cmp_lt_i16_e32 vcc, 1, v2
	s_and_saveexec_b64 s[12:13], vcc
	s_xor_b64 s[12:13], exec, s[12:13]
	s_cbranch_execz .LBB251_385
; %bb.376:
	v_cmp_lt_i16_e32 vcc, 2, v2
	s_and_saveexec_b64 s[14:15], vcc
	s_xor_b64 s[14:15], exec, s[14:15]
	;; [unrolled: 5-line block ×3, first 2 shown]
	s_cbranch_execz .LBB251_379
; %bb.378:
	s_mov_b32 s18, 0
	v_cndmask_b32_e64 v3, 0, 1, s[6:7]
	v_mov_b32_e32 v4, s18
	flat_store_dwordx2 v[0:1], v[3:4]
                                        ; implicit-def: $vgpr0_vgpr1
.LBB251_379:
	s_andn2_saveexec_b64 s[16:17], s[16:17]
	s_cbranch_execz .LBB251_381
; %bb.380:
	v_cndmask_b32_e64 v3, 0, 1, s[6:7]
	flat_store_dword v[0:1], v3
.LBB251_381:
	s_or_b64 exec, exec, s[16:17]
                                        ; implicit-def: $vgpr0_vgpr1
.LBB251_382:
	s_andn2_saveexec_b64 s[14:15], s[14:15]
	s_cbranch_execz .LBB251_384
; %bb.383:
	v_cndmask_b32_e64 v3, 0, 1, s[6:7]
	flat_store_short v[0:1], v3
.LBB251_384:
	s_or_b64 exec, exec, s[14:15]
                                        ; implicit-def: $vgpr0_vgpr1
.LBB251_385:
	s_andn2_saveexec_b64 s[12:13], s[12:13]
	s_cbranch_execz .LBB251_391
; %bb.386:
	v_cmp_lt_i16_e32 vcc, 0, v2
	v_cndmask_b32_e64 v2, 0, 1, s[6:7]
	s_and_saveexec_b64 s[6:7], vcc
	s_xor_b64 s[6:7], exec, s[6:7]
	s_cbranch_execz .LBB251_388
; %bb.387:
	flat_store_byte v[0:1], v2
                                        ; implicit-def: $vgpr0_vgpr1
                                        ; implicit-def: $vgpr2
.LBB251_388:
	s_andn2_saveexec_b64 s[6:7], s[6:7]
	s_cbranch_execz .LBB251_390
; %bb.389:
	flat_store_byte v[0:1], v2
.LBB251_390:
	s_or_b64 exec, exec, s[6:7]
.LBB251_391:
	s_or_b64 exec, exec, s[12:13]
.LBB251_392:
	s_or_b64 exec, exec, s[10:11]
.LBB251_393:
	s_or_b64 exec, exec, s[8:9]
	s_and_b64 s[34:35], s[4:5], exec
                                        ; implicit-def: $vgpr7
.LBB251_394:
	s_or_saveexec_b64 s[36:37], s[36:37]
	s_mov_b64 s[4:5], 0
                                        ; implicit-def: $sgpr40_sgpr41
                                        ; implicit-def: $vgpr0_vgpr1
                                        ; implicit-def: $vgpr18
	s_xor_b64 exec, exec, s[36:37]
	s_cbranch_execz .LBB251_1922
; %bb.395:
	buffer_load_dword v16, off, s[0:3], 0 offset:36
	s_mov_b64 s[4:5], src_private_base
	s_mov_b32 s33, 8
	s_mov_b32 s39, 28
	;; [unrolled: 1-line block ×3, first 2 shown]
	s_getpc_b64 s[6:7]
	s_add_u32 s6, s6, _ZN2at6native6invokeINS0_13BinaryFunctorIN3c1015Float8_e5m2fnuzES4_bNS0_12_GLOBAL__N_116CompareEqFunctorIS4_EEEEi15function_traitsIS8_EEENT1_11result_typeERKT_PrKPcPKT0_PKNS3_10ScalarTypeEi@rel32@lo+4
	s_addc_u32 s7, s7, _ZN2at6native6invokeINS0_13BinaryFunctorIN3c1015Float8_e5m2fnuzES4_bNS0_12_GLOBAL__N_116CompareEqFunctorIS4_EEEEi15function_traitsIS8_EEENT1_11result_typeERKT_PrKPcPKT0_PKNS3_10ScalarTypeEi@rel32@hi+12
	v_mov_b32_e32 v1, s33
	v_mov_b32_e32 v2, s5
	;; [unrolled: 1-line block ×6, first 2 shown]
	s_waitcnt vmcnt(0)
	v_mov_b32_e32 v0, v16
	s_swappc_b64 s[30:31], s[6:7]
	v_and_b32_e32 v0, 1, v0
	v_cmp_eq_u32_e32 vcc, 1, v0
	v_mov_b32_e32 v0, s39
	buffer_load_dword v12, v0, s[0:3], 0 offen
	v_mov_b32_e32 v0, s38
	buffer_load_ubyte v6, v0, s[0:3], 0 offen
	v_mov_b32_e32 v0, s33
	buffer_load_dword v10, v0, s[0:3], 0 offen
	buffer_load_dword v11, v0, s[0:3], 0 offen offset:4
                                        ; kill: killed $vgpr0
	buffer_load_dword v2, off, s[0:3], 0
	buffer_load_dword v3, off, s[0:3], 0 offset:4
	buffer_load_dword v4, off, s[0:3], 0 offset:24
	v_add_u32_e32 v15, 0x80, v7
	s_mov_b64 s[12:13], 0
	s_mov_b64 s[8:9], s[34:35]
                                        ; implicit-def: $vgpr17
	s_waitcnt vmcnt(6)
	v_mul_lo_u32 v13, v12, v15
	s_waitcnt vmcnt(5)
	v_cmp_lt_i16_e64 s[4:5], 10, v6
	v_ashrrev_i32_e32 v1, 31, v13
	s_waitcnt vmcnt(4)
	v_add_co_u32_e64 v0, s[6:7], v10, v13
	s_waitcnt vmcnt(3)
	v_addc_co_u32_e64 v1, s[6:7], v11, v1, s[6:7]
	s_and_saveexec_b64 s[6:7], s[4:5]
	s_xor_b64 s[6:7], exec, s[6:7]
	s_cbranch_execz .LBB251_476
; %bb.396:
	v_cmp_lt_i16_e64 s[4:5], 25, v6
	s_mov_b64 s[8:9], 0
	s_mov_b64 s[14:15], 0
                                        ; implicit-def: $vgpr17
	s_and_saveexec_b64 s[10:11], s[4:5]
	s_xor_b64 s[10:11], exec, s[10:11]
	s_cbranch_execz .LBB251_2006
; %bb.397:
	v_cmp_lt_i16_e64 s[4:5], 28, v6
	s_mov_b64 s[16:17], 0
                                        ; implicit-def: $vgpr17
	s_and_saveexec_b64 s[12:13], s[4:5]
	s_xor_b64 s[12:13], exec, s[12:13]
	s_cbranch_execz .LBB251_431
; %bb.398:
	v_cmp_lt_i16_e64 s[4:5], 43, v6
	s_mov_b64 s[18:19], 0
	s_mov_b64 s[20:21], 0
                                        ; implicit-def: $vgpr17
	s_and_saveexec_b64 s[14:15], s[4:5]
	s_xor_b64 s[14:15], exec, s[14:15]
	s_cbranch_execz .LBB251_420
; %bb.399:
	v_cmp_lt_i16_e64 s[4:5], 45, v6
                                        ; implicit-def: $vgpr17
	s_and_saveexec_b64 s[20:21], s[4:5]
	s_xor_b64 s[20:21], exec, s[20:21]
	s_cbranch_execz .LBB251_409
; %bb.400:
	v_cmp_eq_u16_e64 s[4:5], 46, v6
	s_mov_b64 s[22:23], -1
                                        ; implicit-def: $vgpr17
	s_and_saveexec_b64 s[16:17], s[4:5]
	s_cbranch_execz .LBB251_408
; %bb.401:
	flat_load_dword v5, v[0:1]
	s_mov_b32 s4, 0x47800000
	v_mov_b32_e32 v17, 0x80
	s_waitcnt vmcnt(0) lgkmcnt(0)
	v_lshlrev_b32_e32 v5, 16, v5
	v_and_b32_e32 v8, 0x7fffffff, v5
	v_cmp_gt_u32_e64 s[4:5], s4, v8
	s_and_saveexec_b64 s[18:19], s[4:5]
	s_cbranch_execz .LBB251_407
; %bb.402:
	s_mov_b32 s4, 0x37ffffff
	v_cmp_lt_u32_e64 s[4:5], s4, v8
	s_mov_b64 s[22:23], 0
                                        ; implicit-def: $vgpr8
	s_and_saveexec_b64 s[24:25], s[4:5]
	s_xor_b64 s[4:5], exec, s[24:25]
	s_cbranch_execz .LBB251_2410
; %bb.403:
	v_bfe_u32 v8, v5, 21, 1
	s_mov_b32 s24, 0x88fffff
	v_add3_u32 v8, v5, v8, s24
	s_mov_b64 s[22:23], exec
	v_lshrrev_b32_e32 v8, 21, v8
	s_andn2_saveexec_b64 s[24:25], s[4:5]
	s_cbranch_execnz .LBB251_2411
.LBB251_404:
	s_or_b64 exec, exec, s[24:25]
	v_mov_b32_e32 v17, 0
	s_and_saveexec_b64 s[4:5], s[22:23]
.LBB251_405:
	v_lshrrev_b32_e32 v5, 24, v5
	s_movk_i32 s22, 0x80
	v_and_or_b32 v17, v5, s22, v8
.LBB251_406:
	s_or_b64 exec, exec, s[4:5]
.LBB251_407:
	s_or_b64 exec, exec, s[18:19]
	s_mov_b64 s[18:19], exec
	s_xor_b64 s[22:23], exec, -1
.LBB251_408:
	s_or_b64 exec, exec, s[16:17]
	s_and_b64 s[18:19], s[18:19], exec
	s_and_b64 s[16:17], s[22:23], exec
.LBB251_409:
	s_andn2_saveexec_b64 s[20:21], s[20:21]
	s_cbranch_execz .LBB251_419
; %bb.410:
	v_cmp_eq_u16_e64 s[4:5], 44, v6
	s_mov_b64 s[24:25], -1
	s_mov_b64 s[26:27], s[18:19]
                                        ; implicit-def: $vgpr17
	s_and_saveexec_b64 s[22:23], s[4:5]
	s_cbranch_execz .LBB251_418
; %bb.411:
	flat_load_ubyte v5, v[0:1]
	s_movk_i32 s4, 0xff
	v_mov_b32_e32 v8, 0x7f800001
	v_mov_b32_e32 v9, 0x400000
	s_mov_b32 s24, 0x47800000
	v_mov_b32_e32 v17, 0x80
	s_waitcnt vmcnt(0) lgkmcnt(0)
	v_lshlrev_b32_e32 v14, 23, v5
	v_cmp_ne_u32_e64 s[4:5], s4, v5
	v_cndmask_b32_e64 v8, v8, v14, s[4:5]
	v_cmp_ne_u32_e64 s[4:5], 0, v5
	v_cndmask_b32_e64 v8, v9, v8, s[4:5]
	v_cmp_gt_u32_e64 s[4:5], s24, v8
	s_and_saveexec_b64 s[24:25], s[4:5]
	s_cbranch_execz .LBB251_417
; %bb.412:
	s_mov_b32 s4, 0x37ffffff
	v_cmp_lt_u32_e64 s[4:5], s4, v8
	s_mov_b64 s[26:27], 0
                                        ; implicit-def: $vgpr5
	s_and_saveexec_b64 s[28:29], s[4:5]
	s_xor_b64 s[4:5], exec, s[28:29]
	s_cbranch_execz .LBB251_2412
; %bb.413:
	v_bfe_u32 v5, v8, 21, 1
	s_mov_b32 s28, 0x88fffff
	v_add3_u32 v5, v8, v5, s28
	s_mov_b64 s[26:27], exec
	v_lshrrev_b32_e32 v5, 21, v5
                                        ; implicit-def: $vgpr8
	s_andn2_saveexec_b64 s[28:29], s[4:5]
	s_cbranch_execnz .LBB251_2413
.LBB251_414:
	s_or_b64 exec, exec, s[28:29]
	v_mov_b32_e32 v17, 0
	s_and_saveexec_b64 s[4:5], s[26:27]
.LBB251_415:
	v_mov_b32_e32 v17, v5
.LBB251_416:
	s_or_b64 exec, exec, s[4:5]
.LBB251_417:
	s_or_b64 exec, exec, s[24:25]
	s_or_b64 s[26:27], s[18:19], exec
	s_xor_b64 s[24:25], exec, -1
.LBB251_418:
	s_or_b64 exec, exec, s[22:23]
	s_andn2_b64 s[4:5], s[18:19], exec
	s_and_b64 s[18:19], s[26:27], exec
	s_or_b64 s[18:19], s[4:5], s[18:19]
	s_andn2_b64 s[4:5], s[16:17], exec
	s_and_b64 s[16:17], s[24:25], exec
	s_or_b64 s[16:17], s[4:5], s[16:17]
.LBB251_419:
	s_or_b64 exec, exec, s[20:21]
	s_and_b64 s[20:21], s[18:19], exec
	s_and_b64 s[18:19], s[16:17], exec
.LBB251_420:
	s_andn2_saveexec_b64 s[14:15], s[14:15]
	s_cbranch_execz .LBB251_430
; %bb.421:
	v_cmp_eq_u16_e64 s[4:5], 29, v6
	s_mov_b64 s[22:23], -1
	s_mov_b64 s[24:25], s[20:21]
                                        ; implicit-def: $vgpr17
	s_and_saveexec_b64 s[16:17], s[4:5]
	s_cbranch_execz .LBB251_429
; %bb.422:
	flat_load_dwordx2 v[8:9], v[0:1]
	s_mov_b32 s4, 0x47800000
	v_mov_b32_e32 v17, 0x80
	s_waitcnt vmcnt(0) lgkmcnt(0)
	v_ffbh_u32_e32 v5, v9
	v_min_u32_e32 v5, 32, v5
	v_lshlrev_b64 v[8:9], v5, v[8:9]
	v_sub_u32_e32 v5, 32, v5
	v_min_u32_e32 v8, 1, v8
	v_or_b32_e32 v8, v9, v8
	v_cvt_f32_u32_e32 v8, v8
	v_ldexp_f32 v8, v8, v5
	v_cmp_gt_u32_e64 s[4:5], s4, v8
	s_and_saveexec_b64 s[22:23], s[4:5]
	s_cbranch_execz .LBB251_428
; %bb.423:
	s_mov_b32 s4, 0x37ffffff
	v_cmp_lt_u32_e64 s[4:5], s4, v8
	s_mov_b64 s[24:25], 0
                                        ; implicit-def: $vgpr5
	s_and_saveexec_b64 s[26:27], s[4:5]
	s_xor_b64 s[4:5], exec, s[26:27]
	s_cbranch_execz .LBB251_2327
; %bb.424:
	v_bfe_u32 v5, v8, 21, 1
	s_mov_b32 s26, 0x88fffff
	v_add3_u32 v5, v8, v5, s26
	s_mov_b64 s[24:25], exec
	v_lshrrev_b32_e32 v5, 21, v5
                                        ; implicit-def: $vgpr8
	s_andn2_saveexec_b64 s[26:27], s[4:5]
	s_cbranch_execnz .LBB251_2328
.LBB251_425:
	s_or_b64 exec, exec, s[26:27]
	v_mov_b32_e32 v17, 0
	s_and_saveexec_b64 s[4:5], s[24:25]
.LBB251_426:
	v_mov_b32_e32 v17, v5
.LBB251_427:
	s_or_b64 exec, exec, s[4:5]
.LBB251_428:
	s_or_b64 exec, exec, s[22:23]
	s_or_b64 s[24:25], s[20:21], exec
	s_xor_b64 s[22:23], exec, -1
.LBB251_429:
	s_or_b64 exec, exec, s[16:17]
	s_andn2_b64 s[4:5], s[20:21], exec
	s_and_b64 s[16:17], s[24:25], exec
	s_or_b64 s[20:21], s[4:5], s[16:17]
	s_andn2_b64 s[4:5], s[18:19], exec
	s_and_b64 s[16:17], s[22:23], exec
	s_or_b64 s[18:19], s[4:5], s[16:17]
.LBB251_430:
	s_or_b64 exec, exec, s[14:15]
	s_and_b64 s[16:17], s[20:21], exec
	s_and_b64 s[14:15], s[18:19], exec
.LBB251_431:
	s_andn2_saveexec_b64 s[12:13], s[12:13]
	s_cbranch_execz .LBB251_465
; %bb.432:
	v_cmp_lt_i16_e64 s[4:5], 26, v6
                                        ; implicit-def: $vgpr17
	s_and_saveexec_b64 s[18:19], s[4:5]
	s_xor_b64 s[18:19], exec, s[18:19]
	s_cbranch_execz .LBB251_450
; %bb.433:
	v_cmp_lt_i16_e64 s[4:5], 27, v6
                                        ; implicit-def: $vgpr17
	s_and_saveexec_b64 s[20:21], s[4:5]
	s_xor_b64 s[20:21], exec, s[20:21]
	s_cbranch_execz .LBB251_441
; %bb.434:
	flat_load_dword v5, v[0:1]
	s_mov_b32 s4, 0x47800000
	v_mov_b32_e32 v17, 0x80
	s_waitcnt vmcnt(0) lgkmcnt(0)
	v_cvt_f32_u32_e32 v8, v5
	v_cmp_gt_u32_e64 s[4:5], s4, v8
	s_and_saveexec_b64 s[22:23], s[4:5]
	s_cbranch_execz .LBB251_440
; %bb.435:
	s_mov_b32 s4, 0x37ffffff
	v_cmp_lt_u32_e64 s[4:5], s4, v8
	s_mov_b64 s[24:25], 0
                                        ; implicit-def: $vgpr5
	s_and_saveexec_b64 s[26:27], s[4:5]
	s_xor_b64 s[4:5], exec, s[26:27]
	s_cbranch_execz .LBB251_2329
; %bb.436:
	v_bfe_u32 v5, v8, 21, 1
	s_mov_b32 s26, 0x88fffff
	v_add3_u32 v5, v8, v5, s26
	s_mov_b64 s[24:25], exec
	v_lshrrev_b32_e32 v5, 21, v5
                                        ; implicit-def: $vgpr8
	s_andn2_saveexec_b64 s[26:27], s[4:5]
	s_cbranch_execnz .LBB251_2330
.LBB251_437:
	s_or_b64 exec, exec, s[26:27]
	v_mov_b32_e32 v17, 0
	s_and_saveexec_b64 s[4:5], s[24:25]
.LBB251_438:
	v_mov_b32_e32 v17, v5
.LBB251_439:
	s_or_b64 exec, exec, s[4:5]
.LBB251_440:
	s_or_b64 exec, exec, s[22:23]
.LBB251_441:
	s_andn2_saveexec_b64 s[20:21], s[20:21]
	s_cbranch_execz .LBB251_449
; %bb.442:
	flat_load_ushort v5, v[0:1]
	s_mov_b32 s4, 0x47800000
	v_mov_b32_e32 v17, 0x80
	s_waitcnt vmcnt(0) lgkmcnt(0)
	v_cvt_f32_u32_e32 v8, v5
	v_cmp_gt_u32_e64 s[4:5], s4, v8
	s_and_saveexec_b64 s[22:23], s[4:5]
	s_cbranch_execz .LBB251_448
; %bb.443:
	s_mov_b32 s4, 0x37ffffff
	v_cmp_lt_u32_e64 s[4:5], s4, v8
	s_mov_b64 s[24:25], 0
                                        ; implicit-def: $vgpr5
	s_and_saveexec_b64 s[26:27], s[4:5]
	s_xor_b64 s[4:5], exec, s[26:27]
	s_cbranch_execz .LBB251_2331
; %bb.444:
	v_bfe_u32 v5, v8, 21, 1
	s_mov_b32 s26, 0x88fffff
	v_add3_u32 v5, v8, v5, s26
	s_mov_b64 s[24:25], exec
	v_lshrrev_b32_e32 v5, 21, v5
                                        ; implicit-def: $vgpr8
	s_andn2_saveexec_b64 s[26:27], s[4:5]
	s_cbranch_execnz .LBB251_2332
.LBB251_445:
	s_or_b64 exec, exec, s[26:27]
	v_mov_b32_e32 v17, 0
	s_and_saveexec_b64 s[4:5], s[24:25]
.LBB251_446:
	v_mov_b32_e32 v17, v5
.LBB251_447:
	s_or_b64 exec, exec, s[4:5]
.LBB251_448:
	s_or_b64 exec, exec, s[22:23]
.LBB251_449:
	s_or_b64 exec, exec, s[20:21]
.LBB251_450:
	s_andn2_saveexec_b64 s[18:19], s[18:19]
	s_cbranch_execz .LBB251_464
; %bb.451:
	flat_load_ubyte v8, v[0:1]
	s_movk_i32 s4, 0x7f
	s_mov_b64 s[20:21], 0
	s_waitcnt vmcnt(0) lgkmcnt(0)
	v_cmp_lt_i16_e64 s[4:5], s4, v8
	s_and_saveexec_b64 s[22:23], s[4:5]
	s_xor_b64 s[22:23], exec, s[22:23]
	s_cbranch_execz .LBB251_2217
; %bb.452:
	s_movk_i32 s4, 0x80
	v_cmp_eq_u16_e64 s[4:5], s4, v8
	s_mov_b64 s[20:21], -1
	s_and_saveexec_b64 s[24:25], s[4:5]
; %bb.453:
	s_xor_b64 s[20:21], exec, -1
; %bb.454:
	s_or_b64 exec, exec, s[24:25]
	s_and_b64 s[20:21], s[20:21], exec
	s_or_saveexec_b64 s[22:23], s[22:23]
	v_mov_b32_e32 v5, 0x7f800001
	s_xor_b64 exec, exec, s[22:23]
	s_cbranch_execnz .LBB251_2218
.LBB251_455:
	s_or_b64 exec, exec, s[22:23]
	s_and_saveexec_b64 s[22:23], s[20:21]
	s_cbranch_execz .LBB251_457
.LBB251_456:
	v_lshlrev_b32_e32 v5, 24, v8
	v_and_b32_e32 v8, 0xffff, v8
	v_and_b32_e32 v9, 7, v8
	v_ffbh_u32_e32 v17, v9
	v_min_u32_e32 v17, 32, v17
	v_subrev_u32_e32 v18, 28, v17
	v_bfe_u32 v14, v8, 3, 4
	v_lshlrev_b32_e32 v8, v18, v8
	v_sub_u32_e32 v17, 29, v17
	v_and_b32_e32 v8, 7, v8
	v_cmp_eq_u32_e64 s[4:5], 0, v14
	v_cndmask_b32_e64 v14, v14, v17, s[4:5]
	v_cndmask_b32_e64 v8, v9, v8, s[4:5]
	v_mov_b32_e32 v9, 0x3b800000
	v_lshlrev_b32_e32 v8, 20, v8
	v_and_b32_e32 v5, 0x80000000, v5
	v_lshl_add_u32 v9, v14, 23, v9
	v_or3_b32 v5, v5, v9, v8
.LBB251_457:
	s_or_b64 exec, exec, s[22:23]
	v_and_b32_e32 v8, 0x7fffffff, v5
	s_mov_b32 s4, 0x47800000
	v_cmp_gt_u32_e64 s[4:5], s4, v8
	v_mov_b32_e32 v17, 0x80
	s_and_saveexec_b64 s[20:21], s[4:5]
	s_cbranch_execz .LBB251_463
; %bb.458:
	s_mov_b32 s4, 0x37ffffff
	v_cmp_lt_u32_e64 s[4:5], s4, v8
	s_mov_b64 s[22:23], 0
                                        ; implicit-def: $vgpr8
	s_and_saveexec_b64 s[24:25], s[4:5]
	s_xor_b64 s[4:5], exec, s[24:25]
	s_cbranch_execz .LBB251_2260
; %bb.459:
	v_bfe_u32 v8, v5, 21, 1
	s_mov_b32 s24, 0x88fffff
	v_add3_u32 v8, v5, v8, s24
	s_mov_b64 s[22:23], exec
	v_lshrrev_b32_e32 v8, 21, v8
	s_andn2_saveexec_b64 s[24:25], s[4:5]
	s_cbranch_execnz .LBB251_2261
.LBB251_460:
	s_or_b64 exec, exec, s[24:25]
	v_mov_b32_e32 v17, 0
	s_and_saveexec_b64 s[4:5], s[22:23]
.LBB251_461:
	v_lshrrev_b32_e32 v5, 24, v5
	s_movk_i32 s22, 0x80
	v_and_or_b32 v17, v5, s22, v8
.LBB251_462:
	s_or_b64 exec, exec, s[4:5]
.LBB251_463:
	s_or_b64 exec, exec, s[20:21]
.LBB251_464:
	s_or_b64 exec, exec, s[18:19]
	s_or_b64 s[16:17], s[16:17], exec
.LBB251_465:
	s_or_b64 exec, exec, s[12:13]
	s_and_b64 s[12:13], s[16:17], exec
	s_and_b64 s[14:15], s[14:15], exec
	s_andn2_saveexec_b64 s[10:11], s[10:11]
	s_cbranch_execnz .LBB251_2007
.LBB251_466:
	s_or_b64 exec, exec, s[10:11]
	s_mov_b64 s[10:11], s[34:35]
	s_and_saveexec_b64 s[4:5], s[14:15]
	s_cbranch_execnz .LBB251_2044
.LBB251_467:
	s_or_b64 exec, exec, s[4:5]
	s_and_saveexec_b64 s[4:5], s[8:9]
	s_xor_b64 s[8:9], exec, s[4:5]
	s_cbranch_execz .LBB251_475
.LBB251_468:
	flat_load_ubyte v0, v[0:1]
	s_mov_b32 s14, 0x47800000
	s_waitcnt vmcnt(0) lgkmcnt(0)
	v_mov_b32_e32 v17, 0x80
	v_cmp_ne_u16_e64 s[4:5], 0, v0
	v_cndmask_b32_e64 v1, 0, 1.0, s[4:5]
	v_cmp_gt_u32_e64 s[4:5], s14, v1
	s_and_saveexec_b64 s[14:15], s[4:5]
	s_cbranch_execz .LBB251_474
; %bb.469:
	s_mov_b32 s4, 0x37ffffff
	v_cmp_lt_u32_e64 s[4:5], s4, v1
	s_mov_b64 s[16:17], 0
                                        ; implicit-def: $vgpr0
	s_and_saveexec_b64 s[18:19], s[4:5]
	s_xor_b64 s[4:5], exec, s[18:19]
	s_cbranch_execz .LBB251_2168
; %bb.470:
	v_bfe_u32 v0, v1, 21, 1
	s_mov_b32 s18, 0x88fffff
	v_add3_u32 v0, v1, v0, s18
	s_mov_b64 s[16:17], exec
	v_lshrrev_b32_e32 v0, 21, v0
                                        ; implicit-def: $vgpr1
	s_andn2_saveexec_b64 s[18:19], s[4:5]
	s_cbranch_execnz .LBB251_2169
.LBB251_471:
	s_or_b64 exec, exec, s[18:19]
	v_mov_b32_e32 v17, 0
	s_and_saveexec_b64 s[4:5], s[16:17]
.LBB251_472:
	v_mov_b32_e32 v17, v0
.LBB251_473:
	s_or_b64 exec, exec, s[4:5]
.LBB251_474:
	s_or_b64 exec, exec, s[14:15]
	s_or_b64 s[12:13], s[12:13], exec
.LBB251_475:
	s_or_b64 exec, exec, s[8:9]
	s_andn2_b64 s[4:5], s[34:35], exec
	s_and_b64 s[8:9], s[10:11], exec
	s_or_b64 s[8:9], s[4:5], s[8:9]
	s_and_b64 s[12:13], s[12:13], exec
                                        ; implicit-def: $vgpr0_vgpr1
.LBB251_476:
	s_andn2_saveexec_b64 s[6:7], s[6:7]
	s_cbranch_execz .LBB251_584
; %bb.477:
	v_cmp_lt_i16_e64 s[4:5], 4, v6
                                        ; implicit-def: $vgpr17
	s_and_saveexec_b64 s[10:11], s[4:5]
	s_xor_b64 s[10:11], exec, s[10:11]
	s_cbranch_execz .LBB251_535
; %bb.478:
	v_cmp_lt_i16_e64 s[4:5], 7, v6
                                        ; implicit-def: $vgpr17
	s_and_saveexec_b64 s[14:15], s[4:5]
	s_xor_b64 s[14:15], exec, s[14:15]
	;; [unrolled: 6-line block ×4, first 2 shown]
	s_cbranch_execz .LBB251_488
; %bb.481:
	flat_load_dwordx2 v[0:1], v[0:1]
	s_mov_b32 s4, 0x47800000
	s_waitcnt vmcnt(0) lgkmcnt(0)
	v_mov_b32_e32 v17, 0x80
	v_cvt_f32_f64_e32 v0, v[0:1]
	v_and_b32_e32 v1, 0x7fffffff, v0
	v_cmp_gt_u32_e64 s[4:5], s4, v1
	s_and_saveexec_b64 s[20:21], s[4:5]
	s_cbranch_execz .LBB251_487
; %bb.482:
	s_mov_b32 s4, 0x37ffffff
	v_cmp_lt_u32_e64 s[4:5], s4, v1
	s_mov_b64 s[22:23], 0
                                        ; implicit-def: $vgpr1
	s_and_saveexec_b64 s[24:25], s[4:5]
	s_xor_b64 s[4:5], exec, s[24:25]
	s_cbranch_execz .LBB251_2333
; %bb.483:
	v_bfe_u32 v1, v0, 21, 1
	s_mov_b32 s24, 0x88fffff
	v_add3_u32 v1, v0, v1, s24
	s_mov_b64 s[22:23], exec
	v_lshrrev_b32_e32 v1, 21, v1
	s_andn2_saveexec_b64 s[24:25], s[4:5]
	s_cbranch_execnz .LBB251_2334
.LBB251_484:
	s_or_b64 exec, exec, s[24:25]
	v_mov_b32_e32 v17, 0
	s_and_saveexec_b64 s[4:5], s[22:23]
.LBB251_485:
	v_lshrrev_b32_e32 v0, 24, v0
	s_movk_i32 s22, 0x80
	v_and_or_b32 v17, v0, s22, v1
.LBB251_486:
	s_or_b64 exec, exec, s[4:5]
.LBB251_487:
	s_or_b64 exec, exec, s[20:21]
                                        ; implicit-def: $vgpr0_vgpr1
.LBB251_488:
	s_andn2_saveexec_b64 s[18:19], s[18:19]
	s_cbranch_execz .LBB251_496
; %bb.489:
	flat_load_dword v0, v[0:1]
	s_mov_b32 s4, 0x47800000
	s_waitcnt vmcnt(0) lgkmcnt(0)
	v_mov_b32_e32 v17, 0x80
	v_and_b32_e32 v1, 0x7fffffff, v0
	v_cmp_gt_u32_e64 s[4:5], s4, v1
	s_and_saveexec_b64 s[20:21], s[4:5]
	s_cbranch_execz .LBB251_495
; %bb.490:
	s_mov_b32 s4, 0x37ffffff
	v_cmp_lt_u32_e64 s[4:5], s4, v1
	s_mov_b64 s[22:23], 0
                                        ; implicit-def: $vgpr1
	s_and_saveexec_b64 s[24:25], s[4:5]
	s_xor_b64 s[4:5], exec, s[24:25]
	s_cbranch_execz .LBB251_2335
; %bb.491:
	v_bfe_u32 v1, v0, 21, 1
	s_mov_b32 s24, 0x88fffff
	v_add3_u32 v1, v0, v1, s24
	s_mov_b64 s[22:23], exec
	v_lshrrev_b32_e32 v1, 21, v1
	s_andn2_saveexec_b64 s[24:25], s[4:5]
	s_cbranch_execnz .LBB251_2336
.LBB251_492:
	s_or_b64 exec, exec, s[24:25]
	v_mov_b32_e32 v17, 0
	s_and_saveexec_b64 s[4:5], s[22:23]
.LBB251_493:
	v_lshrrev_b32_e32 v0, 24, v0
	s_movk_i32 s22, 0x80
	v_and_or_b32 v17, v0, s22, v1
.LBB251_494:
	s_or_b64 exec, exec, s[4:5]
.LBB251_495:
	s_or_b64 exec, exec, s[20:21]
.LBB251_496:
	s_or_b64 exec, exec, s[18:19]
                                        ; implicit-def: $vgpr0_vgpr1
.LBB251_497:
	s_andn2_saveexec_b64 s[16:17], s[16:17]
	s_cbranch_execz .LBB251_505
; %bb.498:
	flat_load_dword v0, v[0:1]
	s_mov_b32 s4, 0x47800000
	s_waitcnt vmcnt(0) lgkmcnt(0)
	v_mov_b32_e32 v17, 0x80
	v_cvt_f32_f16_e32 v0, v0
	v_and_b32_e32 v1, 0x7fffffff, v0
	v_cmp_gt_u32_e64 s[4:5], s4, v1
	s_and_saveexec_b64 s[18:19], s[4:5]
	s_cbranch_execz .LBB251_504
; %bb.499:
	s_mov_b32 s4, 0x37ffffff
	v_cmp_lt_u32_e64 s[4:5], s4, v1
	s_mov_b64 s[20:21], 0
                                        ; implicit-def: $vgpr1
	s_and_saveexec_b64 s[22:23], s[4:5]
	s_xor_b64 s[4:5], exec, s[22:23]
	s_cbranch_execz .LBB251_2262
; %bb.500:
	v_bfe_u32 v1, v0, 21, 1
	s_mov_b32 s22, 0x88fffff
	v_add3_u32 v1, v0, v1, s22
	s_mov_b64 s[20:21], exec
	v_lshrrev_b32_e32 v1, 21, v1
	s_andn2_saveexec_b64 s[22:23], s[4:5]
	s_cbranch_execnz .LBB251_2263
.LBB251_501:
	s_or_b64 exec, exec, s[22:23]
	v_mov_b32_e32 v17, 0
	s_and_saveexec_b64 s[4:5], s[20:21]
.LBB251_502:
	v_lshrrev_b32_e32 v0, 24, v0
	s_movk_i32 s20, 0x80
	v_and_or_b32 v17, v0, s20, v1
.LBB251_503:
	s_or_b64 exec, exec, s[4:5]
.LBB251_504:
	s_or_b64 exec, exec, s[18:19]
.LBB251_505:
	s_or_b64 exec, exec, s[16:17]
                                        ; implicit-def: $vgpr0_vgpr1
.LBB251_506:
	s_andn2_saveexec_b64 s[14:15], s[14:15]
	s_cbranch_execz .LBB251_534
; %bb.507:
	v_cmp_lt_i16_e64 s[4:5], 5, v6
                                        ; implicit-def: $vgpr17
	s_and_saveexec_b64 s[16:17], s[4:5]
	s_xor_b64 s[16:17], exec, s[16:17]
	s_cbranch_execz .LBB251_525
; %bb.508:
	v_cmp_lt_i16_e64 s[4:5], 6, v6
                                        ; implicit-def: $vgpr17
	s_and_saveexec_b64 s[18:19], s[4:5]
	s_xor_b64 s[18:19], exec, s[18:19]
	s_cbranch_execz .LBB251_516
; %bb.509:
	flat_load_dwordx2 v[0:1], v[0:1]
	s_mov_b32 s4, 0x47800000
	s_waitcnt vmcnt(0) lgkmcnt(0)
	v_mov_b32_e32 v17, 0x80
	v_cvt_f32_f64_e32 v0, v[0:1]
	v_and_b32_e32 v1, 0x7fffffff, v0
	v_cmp_gt_u32_e64 s[4:5], s4, v1
	s_and_saveexec_b64 s[20:21], s[4:5]
	s_cbranch_execz .LBB251_515
; %bb.510:
	s_mov_b32 s4, 0x37ffffff
	v_cmp_lt_u32_e64 s[4:5], s4, v1
	s_mov_b64 s[22:23], 0
                                        ; implicit-def: $vgpr1
	s_and_saveexec_b64 s[24:25], s[4:5]
	s_xor_b64 s[4:5], exec, s[24:25]
	s_cbranch_execz .LBB251_2337
; %bb.511:
	v_bfe_u32 v1, v0, 21, 1
	s_mov_b32 s24, 0x88fffff
	v_add3_u32 v1, v0, v1, s24
	s_mov_b64 s[22:23], exec
	v_lshrrev_b32_e32 v1, 21, v1
	s_andn2_saveexec_b64 s[24:25], s[4:5]
	s_cbranch_execnz .LBB251_2338
.LBB251_512:
	s_or_b64 exec, exec, s[24:25]
	v_mov_b32_e32 v17, 0
	s_and_saveexec_b64 s[4:5], s[22:23]
.LBB251_513:
	v_lshrrev_b32_e32 v0, 24, v0
	s_movk_i32 s22, 0x80
	v_and_or_b32 v17, v0, s22, v1
.LBB251_514:
	s_or_b64 exec, exec, s[4:5]
.LBB251_515:
	s_or_b64 exec, exec, s[20:21]
                                        ; implicit-def: $vgpr0_vgpr1
.LBB251_516:
	s_andn2_saveexec_b64 s[18:19], s[18:19]
	s_cbranch_execz .LBB251_524
; %bb.517:
	flat_load_dword v0, v[0:1]
	s_mov_b32 s4, 0x47800000
	s_waitcnt vmcnt(0) lgkmcnt(0)
	v_mov_b32_e32 v17, 0x80
	v_and_b32_e32 v1, 0x7fffffff, v0
	v_cmp_gt_u32_e64 s[4:5], s4, v1
	s_and_saveexec_b64 s[20:21], s[4:5]
	s_cbranch_execz .LBB251_523
; %bb.518:
	s_mov_b32 s4, 0x37ffffff
	v_cmp_lt_u32_e64 s[4:5], s4, v1
	s_mov_b64 s[22:23], 0
                                        ; implicit-def: $vgpr1
	s_and_saveexec_b64 s[24:25], s[4:5]
	s_xor_b64 s[4:5], exec, s[24:25]
	s_cbranch_execz .LBB251_2339
; %bb.519:
	v_bfe_u32 v1, v0, 21, 1
	s_mov_b32 s24, 0x88fffff
	v_add3_u32 v1, v0, v1, s24
	s_mov_b64 s[22:23], exec
	v_lshrrev_b32_e32 v1, 21, v1
	s_andn2_saveexec_b64 s[24:25], s[4:5]
	s_cbranch_execnz .LBB251_2340
.LBB251_520:
	s_or_b64 exec, exec, s[24:25]
	v_mov_b32_e32 v17, 0
	s_and_saveexec_b64 s[4:5], s[22:23]
.LBB251_521:
	v_lshrrev_b32_e32 v0, 24, v0
	s_movk_i32 s22, 0x80
	v_and_or_b32 v17, v0, s22, v1
.LBB251_522:
	s_or_b64 exec, exec, s[4:5]
.LBB251_523:
	s_or_b64 exec, exec, s[20:21]
.LBB251_524:
	s_or_b64 exec, exec, s[18:19]
                                        ; implicit-def: $vgpr0_vgpr1
.LBB251_525:
	s_andn2_saveexec_b64 s[16:17], s[16:17]
	s_cbranch_execz .LBB251_533
; %bb.526:
	flat_load_ushort v0, v[0:1]
	s_mov_b32 s4, 0x47800000
	s_waitcnt vmcnt(0) lgkmcnt(0)
	v_mov_b32_e32 v17, 0x80
	v_cvt_f32_f16_e32 v0, v0
	v_and_b32_e32 v1, 0x7fffffff, v0
	v_cmp_gt_u32_e64 s[4:5], s4, v1
	s_and_saveexec_b64 s[18:19], s[4:5]
	s_cbranch_execz .LBB251_532
; %bb.527:
	s_mov_b32 s4, 0x37ffffff
	v_cmp_lt_u32_e64 s[4:5], s4, v1
	s_mov_b64 s[20:21], 0
                                        ; implicit-def: $vgpr1
	s_and_saveexec_b64 s[22:23], s[4:5]
	s_xor_b64 s[4:5], exec, s[22:23]
	s_cbranch_execz .LBB251_2264
; %bb.528:
	v_bfe_u32 v1, v0, 21, 1
	s_mov_b32 s22, 0x88fffff
	v_add3_u32 v1, v0, v1, s22
	s_mov_b64 s[20:21], exec
	v_lshrrev_b32_e32 v1, 21, v1
	s_andn2_saveexec_b64 s[22:23], s[4:5]
	s_cbranch_execnz .LBB251_2265
.LBB251_529:
	s_or_b64 exec, exec, s[22:23]
	v_mov_b32_e32 v17, 0
	s_and_saveexec_b64 s[4:5], s[20:21]
.LBB251_530:
	v_lshrrev_b32_e32 v0, 24, v0
	s_movk_i32 s20, 0x80
	v_and_or_b32 v17, v0, s20, v1
.LBB251_531:
	s_or_b64 exec, exec, s[4:5]
.LBB251_532:
	s_or_b64 exec, exec, s[18:19]
.LBB251_533:
	s_or_b64 exec, exec, s[16:17]
.LBB251_534:
	s_or_b64 exec, exec, s[14:15]
                                        ; implicit-def: $vgpr0_vgpr1
.LBB251_535:
	s_andn2_saveexec_b64 s[10:11], s[10:11]
	s_cbranch_execz .LBB251_583
; %bb.536:
	v_cmp_lt_i16_e64 s[4:5], 1, v6
                                        ; implicit-def: $vgpr17
	s_and_saveexec_b64 s[14:15], s[4:5]
	s_xor_b64 s[14:15], exec, s[14:15]
	s_cbranch_execz .LBB251_564
; %bb.537:
	v_cmp_lt_i16_e64 s[4:5], 2, v6
                                        ; implicit-def: $vgpr17
	s_and_saveexec_b64 s[16:17], s[4:5]
	s_xor_b64 s[16:17], exec, s[16:17]
	;; [unrolled: 6-line block ×3, first 2 shown]
	s_cbranch_execz .LBB251_546
; %bb.539:
	flat_load_dwordx2 v[0:1], v[0:1]
	s_mov_b32 s4, 0x47800000
	s_waitcnt vmcnt(0) lgkmcnt(0)
	v_mov_b32_e32 v17, 0x80
	v_xor_b32_e32 v8, v0, v1
	v_ffbh_i32_e32 v5, v1
	v_ashrrev_i32_e32 v8, 31, v8
	v_add_u32_e32 v5, -1, v5
	v_add_u32_e32 v8, 32, v8
	v_min_u32_e32 v5, v5, v8
	v_lshlrev_b64 v[0:1], v5, v[0:1]
	v_min_u32_e32 v0, 1, v0
	v_or_b32_e32 v0, v1, v0
	v_cvt_f32_i32_e32 v0, v0
	v_sub_u32_e32 v1, 32, v5
	v_ldexp_f32 v0, v0, v1
	v_and_b32_e32 v1, 0x7fffffff, v0
	v_cmp_gt_u32_e64 s[4:5], s4, v1
	s_and_saveexec_b64 s[20:21], s[4:5]
	s_cbranch_execz .LBB251_545
; %bb.540:
	s_mov_b32 s4, 0x37ffffff
	v_cmp_lt_u32_e64 s[4:5], s4, v1
	s_mov_b64 s[22:23], 0
                                        ; implicit-def: $vgpr1
	s_and_saveexec_b64 s[24:25], s[4:5]
	s_xor_b64 s[4:5], exec, s[24:25]
	s_cbranch_execz .LBB251_2341
; %bb.541:
	v_bfe_u32 v1, v0, 21, 1
	s_mov_b32 s24, 0x88fffff
	v_add3_u32 v1, v0, v1, s24
	s_mov_b64 s[22:23], exec
	v_lshrrev_b32_e32 v1, 21, v1
	s_andn2_saveexec_b64 s[24:25], s[4:5]
	s_cbranch_execnz .LBB251_2342
.LBB251_542:
	s_or_b64 exec, exec, s[24:25]
	v_mov_b32_e32 v17, 0
	s_and_saveexec_b64 s[4:5], s[22:23]
.LBB251_543:
	v_lshrrev_b32_e32 v0, 24, v0
	s_movk_i32 s22, 0x80
	v_and_or_b32 v17, v0, s22, v1
.LBB251_544:
	s_or_b64 exec, exec, s[4:5]
.LBB251_545:
	s_or_b64 exec, exec, s[20:21]
                                        ; implicit-def: $vgpr0_vgpr1
.LBB251_546:
	s_andn2_saveexec_b64 s[18:19], s[18:19]
	s_cbranch_execz .LBB251_554
; %bb.547:
	flat_load_dword v0, v[0:1]
	s_mov_b32 s4, 0x47800000
	s_waitcnt vmcnt(0) lgkmcnt(0)
	v_mov_b32_e32 v17, 0x80
	v_cvt_f32_i32_e32 v0, v0
	v_and_b32_e32 v1, 0x7fffffff, v0
	v_cmp_gt_u32_e64 s[4:5], s4, v1
	s_and_saveexec_b64 s[20:21], s[4:5]
	s_cbranch_execz .LBB251_553
; %bb.548:
	s_mov_b32 s4, 0x37ffffff
	v_cmp_lt_u32_e64 s[4:5], s4, v1
	s_mov_b64 s[22:23], 0
                                        ; implicit-def: $vgpr1
	s_and_saveexec_b64 s[24:25], s[4:5]
	s_xor_b64 s[4:5], exec, s[24:25]
	s_cbranch_execz .LBB251_2343
; %bb.549:
	v_bfe_u32 v1, v0, 21, 1
	s_mov_b32 s24, 0x88fffff
	v_add3_u32 v1, v0, v1, s24
	s_mov_b64 s[22:23], exec
	v_lshrrev_b32_e32 v1, 21, v1
	s_andn2_saveexec_b64 s[24:25], s[4:5]
	s_cbranch_execnz .LBB251_2344
.LBB251_550:
	s_or_b64 exec, exec, s[24:25]
	v_mov_b32_e32 v17, 0
	s_and_saveexec_b64 s[4:5], s[22:23]
.LBB251_551:
	v_lshrrev_b32_e32 v0, 24, v0
	s_movk_i32 s22, 0x80
	v_and_or_b32 v17, v0, s22, v1
.LBB251_552:
	s_or_b64 exec, exec, s[4:5]
.LBB251_553:
	s_or_b64 exec, exec, s[20:21]
.LBB251_554:
	s_or_b64 exec, exec, s[18:19]
                                        ; implicit-def: $vgpr0_vgpr1
.LBB251_555:
	s_andn2_saveexec_b64 s[16:17], s[16:17]
	s_cbranch_execz .LBB251_563
; %bb.556:
	flat_load_sshort v0, v[0:1]
	s_mov_b32 s4, 0x47800000
	s_waitcnt vmcnt(0) lgkmcnt(0)
	v_mov_b32_e32 v17, 0x80
	v_cvt_f32_i32_e32 v0, v0
	v_and_b32_e32 v1, 0x7fffffff, v0
	v_cmp_gt_u32_e64 s[4:5], s4, v1
	s_and_saveexec_b64 s[18:19], s[4:5]
	s_cbranch_execz .LBB251_562
; %bb.557:
	s_mov_b32 s4, 0x37ffffff
	v_cmp_lt_u32_e64 s[4:5], s4, v1
	s_mov_b64 s[20:21], 0
                                        ; implicit-def: $vgpr1
	s_and_saveexec_b64 s[22:23], s[4:5]
	s_xor_b64 s[4:5], exec, s[22:23]
	s_cbranch_execz .LBB251_2266
; %bb.558:
	v_bfe_u32 v1, v0, 21, 1
	s_mov_b32 s22, 0x88fffff
	v_add3_u32 v1, v0, v1, s22
	s_mov_b64 s[20:21], exec
	v_lshrrev_b32_e32 v1, 21, v1
	s_andn2_saveexec_b64 s[22:23], s[4:5]
	s_cbranch_execnz .LBB251_2267
.LBB251_559:
	s_or_b64 exec, exec, s[22:23]
	v_mov_b32_e32 v17, 0
	s_and_saveexec_b64 s[4:5], s[20:21]
.LBB251_560:
	v_lshrrev_b32_e32 v0, 24, v0
	s_movk_i32 s20, 0x80
	v_and_or_b32 v17, v0, s20, v1
.LBB251_561:
	s_or_b64 exec, exec, s[4:5]
.LBB251_562:
	s_or_b64 exec, exec, s[18:19]
.LBB251_563:
	s_or_b64 exec, exec, s[16:17]
                                        ; implicit-def: $vgpr0_vgpr1
.LBB251_564:
	s_andn2_saveexec_b64 s[14:15], s[14:15]
	s_cbranch_execz .LBB251_582
; %bb.565:
	v_cmp_lt_i16_e64 s[4:5], 0, v6
                                        ; implicit-def: $vgpr17
	s_and_saveexec_b64 s[16:17], s[4:5]
	s_xor_b64 s[16:17], exec, s[16:17]
	s_cbranch_execz .LBB251_573
; %bb.566:
	flat_load_sbyte v0, v[0:1]
	s_mov_b32 s4, 0x47800000
	s_waitcnt vmcnt(0) lgkmcnt(0)
	v_mov_b32_e32 v17, 0x80
	v_cvt_f32_i32_e32 v0, v0
	v_and_b32_e32 v1, 0x7fffffff, v0
	v_cmp_gt_u32_e64 s[4:5], s4, v1
	s_and_saveexec_b64 s[18:19], s[4:5]
	s_cbranch_execz .LBB251_572
; %bb.567:
	s_mov_b32 s4, 0x37ffffff
	v_cmp_lt_u32_e64 s[4:5], s4, v1
	s_mov_b64 s[20:21], 0
                                        ; implicit-def: $vgpr1
	s_and_saveexec_b64 s[22:23], s[4:5]
	s_xor_b64 s[4:5], exec, s[22:23]
	s_cbranch_execz .LBB251_2268
; %bb.568:
	v_bfe_u32 v1, v0, 21, 1
	s_mov_b32 s22, 0x88fffff
	v_add3_u32 v1, v0, v1, s22
	s_mov_b64 s[20:21], exec
	v_lshrrev_b32_e32 v1, 21, v1
	s_andn2_saveexec_b64 s[22:23], s[4:5]
	s_cbranch_execnz .LBB251_2269
.LBB251_569:
	s_or_b64 exec, exec, s[22:23]
	v_mov_b32_e32 v17, 0
	s_and_saveexec_b64 s[4:5], s[20:21]
.LBB251_570:
	v_lshrrev_b32_e32 v0, 24, v0
	s_movk_i32 s20, 0x80
	v_and_or_b32 v17, v0, s20, v1
.LBB251_571:
	s_or_b64 exec, exec, s[4:5]
.LBB251_572:
	s_or_b64 exec, exec, s[18:19]
                                        ; implicit-def: $vgpr0_vgpr1
.LBB251_573:
	s_andn2_saveexec_b64 s[16:17], s[16:17]
	s_cbranch_execz .LBB251_581
; %bb.574:
	flat_load_ubyte v0, v[0:1]
	s_mov_b32 s4, 0x47800000
	s_waitcnt vmcnt(0) lgkmcnt(0)
	v_mov_b32_e32 v17, 0x80
	v_cvt_f32_ubyte0_e32 v1, v0
	v_cmp_gt_u32_e64 s[4:5], s4, v1
	s_and_saveexec_b64 s[18:19], s[4:5]
	s_cbranch_execz .LBB251_580
; %bb.575:
	s_mov_b32 s4, 0x37ffffff
	v_cmp_lt_u32_e64 s[4:5], s4, v1
	s_mov_b64 s[20:21], 0
                                        ; implicit-def: $vgpr0
	s_and_saveexec_b64 s[22:23], s[4:5]
	s_xor_b64 s[4:5], exec, s[22:23]
	s_cbranch_execz .LBB251_2270
; %bb.576:
	v_bfe_u32 v0, v1, 21, 1
	s_mov_b32 s22, 0x88fffff
	v_add3_u32 v0, v1, v0, s22
	s_mov_b64 s[20:21], exec
	v_lshrrev_b32_e32 v0, 21, v0
                                        ; implicit-def: $vgpr1
	s_andn2_saveexec_b64 s[22:23], s[4:5]
	s_cbranch_execnz .LBB251_2271
.LBB251_577:
	s_or_b64 exec, exec, s[22:23]
	v_mov_b32_e32 v17, 0
	s_and_saveexec_b64 s[4:5], s[20:21]
.LBB251_578:
	v_mov_b32_e32 v17, v0
.LBB251_579:
	s_or_b64 exec, exec, s[4:5]
.LBB251_580:
	s_or_b64 exec, exec, s[18:19]
.LBB251_581:
	s_or_b64 exec, exec, s[16:17]
.LBB251_582:
	s_or_b64 exec, exec, s[14:15]
.LBB251_583:
	s_or_b64 exec, exec, s[10:11]
	s_or_b64 s[12:13], s[12:13], exec
.LBB251_584:
	s_or_b64 exec, exec, s[6:7]
	s_mov_b64 s[6:7], 0
	s_mov_b64 s[14:15], 0
                                        ; implicit-def: $sgpr40_sgpr41
                                        ; implicit-def: $vgpr0_vgpr1
                                        ; implicit-def: $vgpr18
	s_and_saveexec_b64 s[10:11], s[12:13]
	s_cbranch_execz .LBB251_1919
; %bb.585:
	buffer_load_dword v14, off, s[0:3], 0 offset:32
	buffer_load_ubyte v5, off, s[0:3], 0 offset:42
	buffer_load_dword v8, off, s[0:3], 0 offset:16
	buffer_load_dword v9, off, s[0:3], 0 offset:20
	s_mov_b64 s[16:17], 0
	s_mov_b64 s[12:13], s[8:9]
                                        ; implicit-def: $vgpr19
	s_waitcnt vmcnt(0)
	v_mul_lo_u32 v15, v14, v15
	v_cmp_lt_i16_e64 s[4:5], 10, v5
	v_ashrrev_i32_e32 v1, 31, v15
	v_add_co_u32_e64 v0, s[6:7], v8, v15
	v_addc_co_u32_e64 v1, s[6:7], v9, v1, s[6:7]
	s_and_saveexec_b64 s[6:7], s[4:5]
	s_xor_b64 s[6:7], exec, s[6:7]
	s_cbranch_execz .LBB251_666
; %bb.586:
	v_cmp_lt_i16_e64 s[4:5], 25, v5
	s_mov_b64 s[12:13], 0
	s_mov_b64 s[18:19], 0
                                        ; implicit-def: $vgpr19
	s_and_saveexec_b64 s[14:15], s[4:5]
	s_xor_b64 s[14:15], exec, s[14:15]
	s_cbranch_execz .LBB251_2087
; %bb.587:
	v_cmp_lt_i16_e64 s[4:5], 28, v5
	s_mov_b64 s[20:21], 0
                                        ; implicit-def: $vgpr19
	s_and_saveexec_b64 s[16:17], s[4:5]
	s_xor_b64 s[16:17], exec, s[16:17]
	s_cbranch_execz .LBB251_621
; %bb.588:
	v_cmp_lt_i16_e64 s[4:5], 43, v5
	s_mov_b64 s[22:23], 0
	s_mov_b64 s[24:25], 0
                                        ; implicit-def: $vgpr19
	s_and_saveexec_b64 s[18:19], s[4:5]
	s_xor_b64 s[18:19], exec, s[18:19]
	s_cbranch_execz .LBB251_610
; %bb.589:
	v_cmp_lt_i16_e64 s[4:5], 45, v5
                                        ; implicit-def: $vgpr19
	s_and_saveexec_b64 s[24:25], s[4:5]
	s_xor_b64 s[24:25], exec, s[24:25]
	s_cbranch_execz .LBB251_599
; %bb.590:
	v_cmp_eq_u16_e64 s[4:5], 46, v5
	s_mov_b64 s[26:27], -1
                                        ; implicit-def: $vgpr19
	s_and_saveexec_b64 s[20:21], s[4:5]
	s_cbranch_execz .LBB251_598
; %bb.591:
	flat_load_dword v18, v[0:1]
	s_mov_b32 s4, 0x47800000
	v_mov_b32_e32 v19, 0x80
	s_waitcnt vmcnt(0) lgkmcnt(0)
	v_lshlrev_b32_e32 v18, 16, v18
	v_and_b32_e32 v20, 0x7fffffff, v18
	v_cmp_gt_u32_e64 s[4:5], s4, v20
	s_and_saveexec_b64 s[22:23], s[4:5]
	s_cbranch_execz .LBB251_597
; %bb.592:
	s_mov_b32 s4, 0x37ffffff
	v_cmp_lt_u32_e64 s[4:5], s4, v20
	s_mov_b64 s[26:27], 0
                                        ; implicit-def: $vgpr20
	s_and_saveexec_b64 s[28:29], s[4:5]
	s_xor_b64 s[4:5], exec, s[28:29]
	s_cbranch_execz .LBB251_2509
; %bb.593:
	v_bfe_u32 v19, v18, 21, 1
	s_mov_b32 s28, 0x88fffff
	v_add3_u32 v19, v18, v19, s28
	s_mov_b64 s[26:27], exec
	v_lshrrev_b32_e32 v20, 21, v19
	s_andn2_saveexec_b64 s[28:29], s[4:5]
	s_cbranch_execnz .LBB251_2510
.LBB251_594:
	s_or_b64 exec, exec, s[28:29]
	v_mov_b32_e32 v19, 0
	s_and_saveexec_b64 s[4:5], s[26:27]
.LBB251_595:
	v_lshrrev_b32_e32 v18, 24, v18
	s_movk_i32 s26, 0x80
	v_and_or_b32 v19, v18, s26, v20
.LBB251_596:
	s_or_b64 exec, exec, s[4:5]
.LBB251_597:
	s_or_b64 exec, exec, s[22:23]
	s_mov_b64 s[22:23], exec
	s_xor_b64 s[26:27], exec, -1
.LBB251_598:
	s_or_b64 exec, exec, s[20:21]
	s_and_b64 s[22:23], s[22:23], exec
	s_and_b64 s[20:21], s[26:27], exec
.LBB251_599:
	s_andn2_saveexec_b64 s[24:25], s[24:25]
	s_cbranch_execz .LBB251_609
; %bb.600:
	v_cmp_eq_u16_e64 s[4:5], 44, v5
	s_mov_b64 s[28:29], -1
	s_mov_b64 s[30:31], s[22:23]
                                        ; implicit-def: $vgpr19
	s_and_saveexec_b64 s[26:27], s[4:5]
	s_cbranch_execz .LBB251_608
; %bb.601:
	flat_load_ubyte v18, v[0:1]
	s_movk_i32 s4, 0xff
	v_mov_b32_e32 v19, 0x7f800001
	v_mov_b32_e32 v20, 0x400000
	s_mov_b32 s28, 0x47800000
	s_waitcnt vmcnt(0) lgkmcnt(0)
	v_lshlrev_b32_e32 v21, 23, v18
	v_cmp_ne_u32_e64 s[4:5], s4, v18
	v_cndmask_b32_e64 v19, v19, v21, s[4:5]
	v_cmp_ne_u32_e64 s[4:5], 0, v18
	v_cndmask_b32_e64 v20, v20, v19, s[4:5]
	v_cmp_gt_u32_e64 s[4:5], s28, v20
	v_mov_b32_e32 v19, 0x80
	s_and_saveexec_b64 s[28:29], s[4:5]
	s_cbranch_execz .LBB251_607
; %bb.602:
	s_mov_b32 s4, 0x37ffffff
	v_cmp_lt_u32_e64 s[4:5], s4, v20
	s_mov_b64 s[30:31], 0
                                        ; implicit-def: $vgpr18
	s_and_saveexec_b64 s[38:39], s[4:5]
	s_xor_b64 s[4:5], exec, s[38:39]
	s_cbranch_execz .LBB251_2511
; %bb.603:
	v_bfe_u32 v18, v20, 21, 1
	s_mov_b32 s33, 0x88fffff
	v_add3_u32 v18, v20, v18, s33
	s_mov_b64 s[30:31], exec
	v_lshrrev_b32_e32 v18, 21, v18
                                        ; implicit-def: $vgpr20
	s_andn2_saveexec_b64 s[38:39], s[4:5]
	s_cbranch_execnz .LBB251_2512
.LBB251_604:
	s_or_b64 exec, exec, s[38:39]
	v_mov_b32_e32 v19, 0
	s_and_saveexec_b64 s[4:5], s[30:31]
.LBB251_605:
	v_mov_b32_e32 v19, v18
.LBB251_606:
	s_or_b64 exec, exec, s[4:5]
.LBB251_607:
	s_or_b64 exec, exec, s[28:29]
	s_or_b64 s[30:31], s[22:23], exec
	s_xor_b64 s[28:29], exec, -1
.LBB251_608:
	s_or_b64 exec, exec, s[26:27]
	s_andn2_b64 s[4:5], s[22:23], exec
	s_and_b64 s[22:23], s[30:31], exec
	s_or_b64 s[22:23], s[4:5], s[22:23]
	s_andn2_b64 s[4:5], s[20:21], exec
	s_and_b64 s[20:21], s[28:29], exec
	s_or_b64 s[20:21], s[4:5], s[20:21]
.LBB251_609:
	s_or_b64 exec, exec, s[24:25]
	s_and_b64 s[24:25], s[22:23], exec
	s_and_b64 s[22:23], s[20:21], exec
.LBB251_610:
	s_andn2_saveexec_b64 s[18:19], s[18:19]
	s_cbranch_execz .LBB251_620
; %bb.611:
	v_cmp_eq_u16_e64 s[4:5], 29, v5
	s_mov_b64 s[26:27], -1
	s_mov_b64 s[28:29], s[24:25]
                                        ; implicit-def: $vgpr19
	s_and_saveexec_b64 s[20:21], s[4:5]
	s_cbranch_execz .LBB251_619
; %bb.612:
	flat_load_dwordx2 v[18:19], v[0:1]
	s_mov_b32 s4, 0x47800000
	s_waitcnt vmcnt(0) lgkmcnt(0)
	v_ffbh_u32_e32 v20, v19
	v_min_u32_e32 v20, 32, v20
	v_lshlrev_b64 v[18:19], v20, v[18:19]
	v_min_u32_e32 v18, 1, v18
	v_or_b32_e32 v18, v19, v18
	v_cvt_f32_u32_e32 v18, v18
	v_sub_u32_e32 v19, 32, v20
	v_ldexp_f32 v20, v18, v19
	v_cmp_gt_u32_e64 s[4:5], s4, v20
	v_mov_b32_e32 v19, 0x80
	s_and_saveexec_b64 s[26:27], s[4:5]
	s_cbranch_execz .LBB251_618
; %bb.613:
	s_mov_b32 s4, 0x37ffffff
	v_cmp_lt_u32_e64 s[4:5], s4, v20
	s_mov_b64 s[28:29], 0
                                        ; implicit-def: $vgpr18
	s_and_saveexec_b64 s[30:31], s[4:5]
	s_xor_b64 s[4:5], exec, s[30:31]
	s_cbranch_execz .LBB251_2414
; %bb.614:
	v_bfe_u32 v18, v20, 21, 1
	s_mov_b32 s30, 0x88fffff
	v_add3_u32 v18, v20, v18, s30
	s_mov_b64 s[28:29], exec
	v_lshrrev_b32_e32 v18, 21, v18
                                        ; implicit-def: $vgpr20
	s_andn2_saveexec_b64 s[30:31], s[4:5]
	s_cbranch_execnz .LBB251_2415
.LBB251_615:
	s_or_b64 exec, exec, s[30:31]
	v_mov_b32_e32 v19, 0
	s_and_saveexec_b64 s[4:5], s[28:29]
.LBB251_616:
	v_mov_b32_e32 v19, v18
.LBB251_617:
	s_or_b64 exec, exec, s[4:5]
.LBB251_618:
	s_or_b64 exec, exec, s[26:27]
	s_or_b64 s[28:29], s[24:25], exec
	s_xor_b64 s[26:27], exec, -1
.LBB251_619:
	s_or_b64 exec, exec, s[20:21]
	s_andn2_b64 s[4:5], s[24:25], exec
	s_and_b64 s[20:21], s[28:29], exec
	s_or_b64 s[24:25], s[4:5], s[20:21]
	s_andn2_b64 s[4:5], s[22:23], exec
	s_and_b64 s[20:21], s[26:27], exec
	s_or_b64 s[22:23], s[4:5], s[20:21]
.LBB251_620:
	s_or_b64 exec, exec, s[18:19]
	s_and_b64 s[20:21], s[24:25], exec
	s_and_b64 s[18:19], s[22:23], exec
.LBB251_621:
	s_andn2_saveexec_b64 s[16:17], s[16:17]
	s_cbranch_execz .LBB251_655
; %bb.622:
	v_cmp_lt_i16_e64 s[4:5], 26, v5
                                        ; implicit-def: $vgpr19
	s_and_saveexec_b64 s[22:23], s[4:5]
	s_xor_b64 s[22:23], exec, s[22:23]
	s_cbranch_execz .LBB251_640
; %bb.623:
	v_cmp_lt_i16_e64 s[4:5], 27, v5
                                        ; implicit-def: $vgpr19
	s_and_saveexec_b64 s[24:25], s[4:5]
	s_xor_b64 s[24:25], exec, s[24:25]
	s_cbranch_execz .LBB251_631
; %bb.624:
	flat_load_dword v18, v[0:1]
	s_mov_b32 s4, 0x47800000
	v_mov_b32_e32 v19, 0x80
	s_waitcnt vmcnt(0) lgkmcnt(0)
	v_cvt_f32_u32_e32 v20, v18
	v_cmp_gt_u32_e64 s[4:5], s4, v20
	s_and_saveexec_b64 s[26:27], s[4:5]
	s_cbranch_execz .LBB251_630
; %bb.625:
	s_mov_b32 s4, 0x37ffffff
	v_cmp_lt_u32_e64 s[4:5], s4, v20
	s_mov_b64 s[28:29], 0
                                        ; implicit-def: $vgpr18
	s_and_saveexec_b64 s[30:31], s[4:5]
	s_xor_b64 s[4:5], exec, s[30:31]
	s_cbranch_execz .LBB251_2416
; %bb.626:
	v_bfe_u32 v18, v20, 21, 1
	s_mov_b32 s30, 0x88fffff
	v_add3_u32 v18, v20, v18, s30
	s_mov_b64 s[28:29], exec
	v_lshrrev_b32_e32 v18, 21, v18
                                        ; implicit-def: $vgpr20
	s_andn2_saveexec_b64 s[30:31], s[4:5]
	s_cbranch_execnz .LBB251_2417
.LBB251_627:
	s_or_b64 exec, exec, s[30:31]
	v_mov_b32_e32 v19, 0
	s_and_saveexec_b64 s[4:5], s[28:29]
.LBB251_628:
	v_mov_b32_e32 v19, v18
.LBB251_629:
	s_or_b64 exec, exec, s[4:5]
.LBB251_630:
	s_or_b64 exec, exec, s[26:27]
.LBB251_631:
	s_andn2_saveexec_b64 s[24:25], s[24:25]
	s_cbranch_execz .LBB251_639
; %bb.632:
	flat_load_ushort v18, v[0:1]
	s_mov_b32 s4, 0x47800000
	v_mov_b32_e32 v19, 0x80
	s_waitcnt vmcnt(0) lgkmcnt(0)
	v_cvt_f32_u32_e32 v20, v18
	v_cmp_gt_u32_e64 s[4:5], s4, v20
	s_and_saveexec_b64 s[26:27], s[4:5]
	s_cbranch_execz .LBB251_638
; %bb.633:
	s_mov_b32 s4, 0x37ffffff
	v_cmp_lt_u32_e64 s[4:5], s4, v20
	s_mov_b64 s[28:29], 0
                                        ; implicit-def: $vgpr18
	s_and_saveexec_b64 s[30:31], s[4:5]
	s_xor_b64 s[4:5], exec, s[30:31]
	s_cbranch_execz .LBB251_2418
; %bb.634:
	v_bfe_u32 v18, v20, 21, 1
	s_mov_b32 s30, 0x88fffff
	v_add3_u32 v18, v20, v18, s30
	s_mov_b64 s[28:29], exec
	v_lshrrev_b32_e32 v18, 21, v18
                                        ; implicit-def: $vgpr20
	s_andn2_saveexec_b64 s[30:31], s[4:5]
	s_cbranch_execnz .LBB251_2419
.LBB251_635:
	s_or_b64 exec, exec, s[30:31]
	v_mov_b32_e32 v19, 0
	s_and_saveexec_b64 s[4:5], s[28:29]
.LBB251_636:
	v_mov_b32_e32 v19, v18
.LBB251_637:
	s_or_b64 exec, exec, s[4:5]
.LBB251_638:
	s_or_b64 exec, exec, s[26:27]
.LBB251_639:
	s_or_b64 exec, exec, s[24:25]
.LBB251_640:
	s_andn2_saveexec_b64 s[22:23], s[22:23]
	s_cbranch_execz .LBB251_654
; %bb.641:
	flat_load_ubyte v19, v[0:1]
	s_movk_i32 s4, 0x7f
	s_mov_b64 s[24:25], 0
	s_waitcnt vmcnt(0) lgkmcnt(0)
	v_cmp_lt_i16_e64 s[4:5], s4, v19
	s_and_saveexec_b64 s[26:27], s[4:5]
	s_xor_b64 s[26:27], exec, s[26:27]
	s_cbranch_execz .LBB251_2272
; %bb.642:
	s_movk_i32 s4, 0x80
	v_cmp_eq_u16_e64 s[4:5], s4, v19
	s_mov_b64 s[24:25], -1
	s_and_saveexec_b64 s[28:29], s[4:5]
; %bb.643:
	s_xor_b64 s[24:25], exec, -1
; %bb.644:
	s_or_b64 exec, exec, s[28:29]
	s_and_b64 s[24:25], s[24:25], exec
	s_or_saveexec_b64 s[26:27], s[26:27]
	v_mov_b32_e32 v18, 0x7f800001
	s_xor_b64 exec, exec, s[26:27]
	s_cbranch_execnz .LBB251_2273
.LBB251_645:
	s_or_b64 exec, exec, s[26:27]
	s_and_saveexec_b64 s[26:27], s[24:25]
	s_cbranch_execz .LBB251_647
.LBB251_646:
	v_lshlrev_b32_e32 v18, 24, v19
	v_and_b32_e32 v19, 0xffff, v19
	v_and_b32_e32 v20, 7, v19
	v_ffbh_u32_e32 v22, v20
	v_min_u32_e32 v22, 32, v22
	v_subrev_u32_e32 v23, 28, v22
	v_bfe_u32 v21, v19, 3, 4
	v_lshlrev_b32_e32 v19, v23, v19
	v_sub_u32_e32 v22, 29, v22
	v_and_b32_e32 v19, 7, v19
	v_cmp_eq_u32_e64 s[4:5], 0, v21
	v_cndmask_b32_e64 v21, v21, v22, s[4:5]
	v_cndmask_b32_e64 v19, v20, v19, s[4:5]
	v_mov_b32_e32 v20, 0x3b800000
	v_lshlrev_b32_e32 v19, 20, v19
	v_and_b32_e32 v18, 0x80000000, v18
	v_lshl_add_u32 v20, v21, 23, v20
	v_or3_b32 v18, v18, v20, v19
.LBB251_647:
	s_or_b64 exec, exec, s[26:27]
	v_and_b32_e32 v20, 0x7fffffff, v18
	s_mov_b32 s4, 0x47800000
	v_cmp_gt_u32_e64 s[4:5], s4, v20
	v_mov_b32_e32 v19, 0x80
	s_and_saveexec_b64 s[24:25], s[4:5]
	s_cbranch_execz .LBB251_653
; %bb.648:
	s_mov_b32 s4, 0x37ffffff
	v_cmp_lt_u32_e64 s[4:5], s4, v20
	s_mov_b64 s[26:27], 0
                                        ; implicit-def: $vgpr20
	s_and_saveexec_b64 s[28:29], s[4:5]
	s_xor_b64 s[4:5], exec, s[28:29]
	s_cbranch_execz .LBB251_2345
; %bb.649:
	v_bfe_u32 v19, v18, 21, 1
	s_mov_b32 s28, 0x88fffff
	v_add3_u32 v19, v18, v19, s28
	s_mov_b64 s[26:27], exec
	v_lshrrev_b32_e32 v20, 21, v19
	s_andn2_saveexec_b64 s[28:29], s[4:5]
	s_cbranch_execnz .LBB251_2346
.LBB251_650:
	s_or_b64 exec, exec, s[28:29]
	v_mov_b32_e32 v19, 0
	s_and_saveexec_b64 s[4:5], s[26:27]
.LBB251_651:
	v_lshrrev_b32_e32 v18, 24, v18
	s_movk_i32 s26, 0x80
	v_and_or_b32 v19, v18, s26, v20
.LBB251_652:
	s_or_b64 exec, exec, s[4:5]
.LBB251_653:
	s_or_b64 exec, exec, s[24:25]
.LBB251_654:
	s_or_b64 exec, exec, s[22:23]
	s_or_b64 s[20:21], s[20:21], exec
.LBB251_655:
	s_or_b64 exec, exec, s[16:17]
	s_and_b64 s[16:17], s[20:21], exec
	s_and_b64 s[18:19], s[18:19], exec
	s_andn2_saveexec_b64 s[14:15], s[14:15]
	s_cbranch_execnz .LBB251_2088
.LBB251_656:
	s_or_b64 exec, exec, s[14:15]
	s_mov_b64 s[14:15], s[8:9]
	s_and_saveexec_b64 s[4:5], s[18:19]
	s_cbranch_execnz .LBB251_2125
.LBB251_657:
	s_or_b64 exec, exec, s[4:5]
	s_and_saveexec_b64 s[4:5], s[12:13]
	s_xor_b64 s[12:13], exec, s[4:5]
	s_cbranch_execz .LBB251_665
.LBB251_658:
	flat_load_ubyte v0, v[0:1]
	s_mov_b32 s18, 0x47800000
	s_waitcnt vmcnt(0) lgkmcnt(0)
	v_mov_b32_e32 v19, 0x80
	v_cmp_ne_u16_e64 s[4:5], 0, v0
	v_cndmask_b32_e64 v1, 0, 1.0, s[4:5]
	v_cmp_gt_u32_e64 s[4:5], s18, v1
	s_and_saveexec_b64 s[18:19], s[4:5]
	s_cbranch_execz .LBB251_664
; %bb.659:
	s_mov_b32 s4, 0x37ffffff
	v_cmp_lt_u32_e64 s[4:5], s4, v1
	s_mov_b64 s[20:21], 0
                                        ; implicit-def: $vgpr0
	s_and_saveexec_b64 s[22:23], s[4:5]
	s_xor_b64 s[4:5], exec, s[22:23]
	s_cbranch_execz .LBB251_2219
; %bb.660:
	v_bfe_u32 v0, v1, 21, 1
	s_mov_b32 s22, 0x88fffff
	v_add3_u32 v0, v1, v0, s22
	s_mov_b64 s[20:21], exec
	v_lshrrev_b32_e32 v0, 21, v0
                                        ; implicit-def: $vgpr1
	s_andn2_saveexec_b64 s[22:23], s[4:5]
	s_cbranch_execnz .LBB251_2220
.LBB251_661:
	s_or_b64 exec, exec, s[22:23]
	v_mov_b32_e32 v19, 0
	s_and_saveexec_b64 s[4:5], s[20:21]
.LBB251_662:
	v_mov_b32_e32 v19, v0
.LBB251_663:
	s_or_b64 exec, exec, s[4:5]
.LBB251_664:
	s_or_b64 exec, exec, s[18:19]
	s_or_b64 s[16:17], s[16:17], exec
.LBB251_665:
	s_or_b64 exec, exec, s[12:13]
	s_andn2_b64 s[4:5], s[8:9], exec
	s_and_b64 s[12:13], s[14:15], exec
	s_or_b64 s[12:13], s[4:5], s[12:13]
	s_and_b64 s[16:17], s[16:17], exec
                                        ; implicit-def: $vgpr0_vgpr1
.LBB251_666:
	s_andn2_saveexec_b64 s[6:7], s[6:7]
	s_cbranch_execz .LBB251_774
; %bb.667:
	v_cmp_lt_i16_e64 s[4:5], 4, v5
                                        ; implicit-def: $vgpr19
	s_and_saveexec_b64 s[14:15], s[4:5]
	s_xor_b64 s[14:15], exec, s[14:15]
	s_cbranch_execz .LBB251_725
; %bb.668:
	v_cmp_lt_i16_e64 s[4:5], 7, v5
                                        ; implicit-def: $vgpr19
	s_and_saveexec_b64 s[18:19], s[4:5]
	s_xor_b64 s[18:19], exec, s[18:19]
	;; [unrolled: 6-line block ×4, first 2 shown]
	s_cbranch_execz .LBB251_678
; %bb.671:
	flat_load_dwordx2 v[0:1], v[0:1]
	s_mov_b32 s4, 0x47800000
	s_waitcnt vmcnt(0) lgkmcnt(0)
	v_mov_b32_e32 v19, 0x80
	v_cvt_f32_f64_e32 v0, v[0:1]
	v_and_b32_e32 v1, 0x7fffffff, v0
	v_cmp_gt_u32_e64 s[4:5], s4, v1
	s_and_saveexec_b64 s[24:25], s[4:5]
	s_cbranch_execz .LBB251_677
; %bb.672:
	s_mov_b32 s4, 0x37ffffff
	v_cmp_lt_u32_e64 s[4:5], s4, v1
	s_mov_b64 s[26:27], 0
                                        ; implicit-def: $vgpr1
	s_and_saveexec_b64 s[28:29], s[4:5]
	s_xor_b64 s[4:5], exec, s[28:29]
	s_cbranch_execz .LBB251_2420
; %bb.673:
	v_bfe_u32 v1, v0, 21, 1
	s_mov_b32 s28, 0x88fffff
	v_add3_u32 v1, v0, v1, s28
	s_mov_b64 s[26:27], exec
	v_lshrrev_b32_e32 v1, 21, v1
	s_andn2_saveexec_b64 s[28:29], s[4:5]
	s_cbranch_execnz .LBB251_2421
.LBB251_674:
	s_or_b64 exec, exec, s[28:29]
	v_mov_b32_e32 v19, 0
	s_and_saveexec_b64 s[4:5], s[26:27]
.LBB251_675:
	v_lshrrev_b32_e32 v0, 24, v0
	s_movk_i32 s26, 0x80
	v_and_or_b32 v19, v0, s26, v1
.LBB251_676:
	s_or_b64 exec, exec, s[4:5]
.LBB251_677:
	s_or_b64 exec, exec, s[24:25]
                                        ; implicit-def: $vgpr0_vgpr1
.LBB251_678:
	s_andn2_saveexec_b64 s[22:23], s[22:23]
	s_cbranch_execz .LBB251_686
; %bb.679:
	flat_load_dword v0, v[0:1]
	s_mov_b32 s4, 0x47800000
	s_waitcnt vmcnt(0) lgkmcnt(0)
	v_mov_b32_e32 v19, 0x80
	v_and_b32_e32 v1, 0x7fffffff, v0
	v_cmp_gt_u32_e64 s[4:5], s4, v1
	s_and_saveexec_b64 s[24:25], s[4:5]
	s_cbranch_execz .LBB251_685
; %bb.680:
	s_mov_b32 s4, 0x37ffffff
	v_cmp_lt_u32_e64 s[4:5], s4, v1
	s_mov_b64 s[26:27], 0
                                        ; implicit-def: $vgpr1
	s_and_saveexec_b64 s[28:29], s[4:5]
	s_xor_b64 s[4:5], exec, s[28:29]
	s_cbranch_execz .LBB251_2422
; %bb.681:
	v_bfe_u32 v1, v0, 21, 1
	s_mov_b32 s28, 0x88fffff
	v_add3_u32 v1, v0, v1, s28
	s_mov_b64 s[26:27], exec
	v_lshrrev_b32_e32 v1, 21, v1
	s_andn2_saveexec_b64 s[28:29], s[4:5]
	s_cbranch_execnz .LBB251_2423
.LBB251_682:
	s_or_b64 exec, exec, s[28:29]
	v_mov_b32_e32 v19, 0
	s_and_saveexec_b64 s[4:5], s[26:27]
.LBB251_683:
	v_lshrrev_b32_e32 v0, 24, v0
	s_movk_i32 s26, 0x80
	v_and_or_b32 v19, v0, s26, v1
.LBB251_684:
	s_or_b64 exec, exec, s[4:5]
.LBB251_685:
	s_or_b64 exec, exec, s[24:25]
.LBB251_686:
	s_or_b64 exec, exec, s[22:23]
                                        ; implicit-def: $vgpr0_vgpr1
.LBB251_687:
	s_andn2_saveexec_b64 s[20:21], s[20:21]
	s_cbranch_execz .LBB251_695
; %bb.688:
	flat_load_dword v0, v[0:1]
	s_mov_b32 s4, 0x47800000
	s_waitcnt vmcnt(0) lgkmcnt(0)
	v_mov_b32_e32 v19, 0x80
	v_cvt_f32_f16_e32 v0, v0
	v_and_b32_e32 v1, 0x7fffffff, v0
	v_cmp_gt_u32_e64 s[4:5], s4, v1
	s_and_saveexec_b64 s[22:23], s[4:5]
	s_cbranch_execz .LBB251_694
; %bb.689:
	s_mov_b32 s4, 0x37ffffff
	v_cmp_lt_u32_e64 s[4:5], s4, v1
	s_mov_b64 s[24:25], 0
                                        ; implicit-def: $vgpr1
	s_and_saveexec_b64 s[26:27], s[4:5]
	s_xor_b64 s[4:5], exec, s[26:27]
	s_cbranch_execz .LBB251_2347
; %bb.690:
	v_bfe_u32 v1, v0, 21, 1
	s_mov_b32 s26, 0x88fffff
	v_add3_u32 v1, v0, v1, s26
	s_mov_b64 s[24:25], exec
	v_lshrrev_b32_e32 v1, 21, v1
	s_andn2_saveexec_b64 s[26:27], s[4:5]
	s_cbranch_execnz .LBB251_2348
.LBB251_691:
	s_or_b64 exec, exec, s[26:27]
	v_mov_b32_e32 v19, 0
	s_and_saveexec_b64 s[4:5], s[24:25]
.LBB251_692:
	v_lshrrev_b32_e32 v0, 24, v0
	s_movk_i32 s24, 0x80
	v_and_or_b32 v19, v0, s24, v1
.LBB251_693:
	s_or_b64 exec, exec, s[4:5]
.LBB251_694:
	s_or_b64 exec, exec, s[22:23]
.LBB251_695:
	s_or_b64 exec, exec, s[20:21]
                                        ; implicit-def: $vgpr0_vgpr1
.LBB251_696:
	s_andn2_saveexec_b64 s[18:19], s[18:19]
	s_cbranch_execz .LBB251_724
; %bb.697:
	v_cmp_lt_i16_e64 s[4:5], 5, v5
                                        ; implicit-def: $vgpr19
	s_and_saveexec_b64 s[20:21], s[4:5]
	s_xor_b64 s[20:21], exec, s[20:21]
	s_cbranch_execz .LBB251_715
; %bb.698:
	v_cmp_lt_i16_e64 s[4:5], 6, v5
                                        ; implicit-def: $vgpr19
	s_and_saveexec_b64 s[22:23], s[4:5]
	s_xor_b64 s[22:23], exec, s[22:23]
	s_cbranch_execz .LBB251_706
; %bb.699:
	flat_load_dwordx2 v[0:1], v[0:1]
	s_mov_b32 s4, 0x47800000
	s_waitcnt vmcnt(0) lgkmcnt(0)
	v_mov_b32_e32 v19, 0x80
	v_cvt_f32_f64_e32 v0, v[0:1]
	v_and_b32_e32 v1, 0x7fffffff, v0
	v_cmp_gt_u32_e64 s[4:5], s4, v1
	s_and_saveexec_b64 s[24:25], s[4:5]
	s_cbranch_execz .LBB251_705
; %bb.700:
	s_mov_b32 s4, 0x37ffffff
	v_cmp_lt_u32_e64 s[4:5], s4, v1
	s_mov_b64 s[26:27], 0
                                        ; implicit-def: $vgpr1
	s_and_saveexec_b64 s[28:29], s[4:5]
	s_xor_b64 s[4:5], exec, s[28:29]
	s_cbranch_execz .LBB251_2424
; %bb.701:
	v_bfe_u32 v1, v0, 21, 1
	s_mov_b32 s28, 0x88fffff
	v_add3_u32 v1, v0, v1, s28
	s_mov_b64 s[26:27], exec
	v_lshrrev_b32_e32 v1, 21, v1
	s_andn2_saveexec_b64 s[28:29], s[4:5]
	s_cbranch_execnz .LBB251_2425
.LBB251_702:
	s_or_b64 exec, exec, s[28:29]
	v_mov_b32_e32 v19, 0
	s_and_saveexec_b64 s[4:5], s[26:27]
.LBB251_703:
	v_lshrrev_b32_e32 v0, 24, v0
	s_movk_i32 s26, 0x80
	v_and_or_b32 v19, v0, s26, v1
.LBB251_704:
	s_or_b64 exec, exec, s[4:5]
.LBB251_705:
	s_or_b64 exec, exec, s[24:25]
                                        ; implicit-def: $vgpr0_vgpr1
.LBB251_706:
	s_andn2_saveexec_b64 s[22:23], s[22:23]
	s_cbranch_execz .LBB251_714
; %bb.707:
	flat_load_dword v0, v[0:1]
	s_mov_b32 s4, 0x47800000
	s_waitcnt vmcnt(0) lgkmcnt(0)
	v_mov_b32_e32 v19, 0x80
	v_and_b32_e32 v1, 0x7fffffff, v0
	v_cmp_gt_u32_e64 s[4:5], s4, v1
	s_and_saveexec_b64 s[24:25], s[4:5]
	s_cbranch_execz .LBB251_713
; %bb.708:
	s_mov_b32 s4, 0x37ffffff
	v_cmp_lt_u32_e64 s[4:5], s4, v1
	s_mov_b64 s[26:27], 0
                                        ; implicit-def: $vgpr1
	s_and_saveexec_b64 s[28:29], s[4:5]
	s_xor_b64 s[4:5], exec, s[28:29]
	s_cbranch_execz .LBB251_2426
; %bb.709:
	v_bfe_u32 v1, v0, 21, 1
	s_mov_b32 s28, 0x88fffff
	v_add3_u32 v1, v0, v1, s28
	s_mov_b64 s[26:27], exec
	v_lshrrev_b32_e32 v1, 21, v1
	s_andn2_saveexec_b64 s[28:29], s[4:5]
	s_cbranch_execnz .LBB251_2427
.LBB251_710:
	s_or_b64 exec, exec, s[28:29]
	v_mov_b32_e32 v19, 0
	s_and_saveexec_b64 s[4:5], s[26:27]
.LBB251_711:
	v_lshrrev_b32_e32 v0, 24, v0
	s_movk_i32 s26, 0x80
	v_and_or_b32 v19, v0, s26, v1
.LBB251_712:
	s_or_b64 exec, exec, s[4:5]
.LBB251_713:
	s_or_b64 exec, exec, s[24:25]
.LBB251_714:
	s_or_b64 exec, exec, s[22:23]
                                        ; implicit-def: $vgpr0_vgpr1
.LBB251_715:
	s_andn2_saveexec_b64 s[20:21], s[20:21]
	s_cbranch_execz .LBB251_723
; %bb.716:
	flat_load_ushort v0, v[0:1]
	s_mov_b32 s4, 0x47800000
	s_waitcnt vmcnt(0) lgkmcnt(0)
	v_mov_b32_e32 v19, 0x80
	v_cvt_f32_f16_e32 v0, v0
	v_and_b32_e32 v1, 0x7fffffff, v0
	v_cmp_gt_u32_e64 s[4:5], s4, v1
	s_and_saveexec_b64 s[22:23], s[4:5]
	s_cbranch_execz .LBB251_722
; %bb.717:
	s_mov_b32 s4, 0x37ffffff
	v_cmp_lt_u32_e64 s[4:5], s4, v1
	s_mov_b64 s[24:25], 0
                                        ; implicit-def: $vgpr1
	s_and_saveexec_b64 s[26:27], s[4:5]
	s_xor_b64 s[4:5], exec, s[26:27]
	s_cbranch_execz .LBB251_2349
; %bb.718:
	v_bfe_u32 v1, v0, 21, 1
	s_mov_b32 s26, 0x88fffff
	v_add3_u32 v1, v0, v1, s26
	s_mov_b64 s[24:25], exec
	v_lshrrev_b32_e32 v1, 21, v1
	s_andn2_saveexec_b64 s[26:27], s[4:5]
	s_cbranch_execnz .LBB251_2350
.LBB251_719:
	s_or_b64 exec, exec, s[26:27]
	v_mov_b32_e32 v19, 0
	s_and_saveexec_b64 s[4:5], s[24:25]
.LBB251_720:
	v_lshrrev_b32_e32 v0, 24, v0
	s_movk_i32 s24, 0x80
	v_and_or_b32 v19, v0, s24, v1
.LBB251_721:
	s_or_b64 exec, exec, s[4:5]
.LBB251_722:
	s_or_b64 exec, exec, s[22:23]
.LBB251_723:
	s_or_b64 exec, exec, s[20:21]
.LBB251_724:
	s_or_b64 exec, exec, s[18:19]
                                        ; implicit-def: $vgpr0_vgpr1
.LBB251_725:
	s_andn2_saveexec_b64 s[14:15], s[14:15]
	s_cbranch_execz .LBB251_773
; %bb.726:
	v_cmp_lt_i16_e64 s[4:5], 1, v5
                                        ; implicit-def: $vgpr19
	s_and_saveexec_b64 s[18:19], s[4:5]
	s_xor_b64 s[18:19], exec, s[18:19]
	s_cbranch_execz .LBB251_754
; %bb.727:
	v_cmp_lt_i16_e64 s[4:5], 2, v5
                                        ; implicit-def: $vgpr19
	s_and_saveexec_b64 s[20:21], s[4:5]
	s_xor_b64 s[20:21], exec, s[20:21]
	;; [unrolled: 6-line block ×3, first 2 shown]
	s_cbranch_execz .LBB251_736
; %bb.729:
	flat_load_dwordx2 v[0:1], v[0:1]
	s_mov_b32 s4, 0x47800000
	s_waitcnt vmcnt(0) lgkmcnt(0)
	v_xor_b32_e32 v19, v0, v1
	v_ffbh_i32_e32 v18, v1
	v_ashrrev_i32_e32 v19, 31, v19
	v_add_u32_e32 v18, -1, v18
	v_add_u32_e32 v19, 32, v19
	v_min_u32_e32 v18, v18, v19
	v_lshlrev_b64 v[0:1], v18, v[0:1]
	v_mov_b32_e32 v19, 0x80
	v_min_u32_e32 v0, 1, v0
	v_or_b32_e32 v0, v1, v0
	v_cvt_f32_i32_e32 v0, v0
	v_sub_u32_e32 v1, 32, v18
	v_ldexp_f32 v0, v0, v1
	v_and_b32_e32 v1, 0x7fffffff, v0
	v_cmp_gt_u32_e64 s[4:5], s4, v1
	s_and_saveexec_b64 s[24:25], s[4:5]
	s_cbranch_execz .LBB251_735
; %bb.730:
	s_mov_b32 s4, 0x37ffffff
	v_cmp_lt_u32_e64 s[4:5], s4, v1
	s_mov_b64 s[26:27], 0
                                        ; implicit-def: $vgpr1
	s_and_saveexec_b64 s[28:29], s[4:5]
	s_xor_b64 s[4:5], exec, s[28:29]
	s_cbranch_execz .LBB251_2428
; %bb.731:
	v_bfe_u32 v1, v0, 21, 1
	s_mov_b32 s28, 0x88fffff
	v_add3_u32 v1, v0, v1, s28
	s_mov_b64 s[26:27], exec
	v_lshrrev_b32_e32 v1, 21, v1
	s_andn2_saveexec_b64 s[28:29], s[4:5]
	s_cbranch_execnz .LBB251_2429
.LBB251_732:
	s_or_b64 exec, exec, s[28:29]
	v_mov_b32_e32 v19, 0
	s_and_saveexec_b64 s[4:5], s[26:27]
.LBB251_733:
	v_lshrrev_b32_e32 v0, 24, v0
	s_movk_i32 s26, 0x80
	v_and_or_b32 v19, v0, s26, v1
.LBB251_734:
	s_or_b64 exec, exec, s[4:5]
.LBB251_735:
	s_or_b64 exec, exec, s[24:25]
                                        ; implicit-def: $vgpr0_vgpr1
.LBB251_736:
	s_andn2_saveexec_b64 s[22:23], s[22:23]
	s_cbranch_execz .LBB251_744
; %bb.737:
	flat_load_dword v0, v[0:1]
	s_mov_b32 s4, 0x47800000
	s_waitcnt vmcnt(0) lgkmcnt(0)
	v_mov_b32_e32 v19, 0x80
	v_cvt_f32_i32_e32 v0, v0
	v_and_b32_e32 v1, 0x7fffffff, v0
	v_cmp_gt_u32_e64 s[4:5], s4, v1
	s_and_saveexec_b64 s[24:25], s[4:5]
	s_cbranch_execz .LBB251_743
; %bb.738:
	s_mov_b32 s4, 0x37ffffff
	v_cmp_lt_u32_e64 s[4:5], s4, v1
	s_mov_b64 s[26:27], 0
                                        ; implicit-def: $vgpr1
	s_and_saveexec_b64 s[28:29], s[4:5]
	s_xor_b64 s[4:5], exec, s[28:29]
	s_cbranch_execz .LBB251_2430
; %bb.739:
	v_bfe_u32 v1, v0, 21, 1
	s_mov_b32 s28, 0x88fffff
	v_add3_u32 v1, v0, v1, s28
	s_mov_b64 s[26:27], exec
	v_lshrrev_b32_e32 v1, 21, v1
	s_andn2_saveexec_b64 s[28:29], s[4:5]
	s_cbranch_execnz .LBB251_2431
.LBB251_740:
	s_or_b64 exec, exec, s[28:29]
	v_mov_b32_e32 v19, 0
	s_and_saveexec_b64 s[4:5], s[26:27]
.LBB251_741:
	v_lshrrev_b32_e32 v0, 24, v0
	s_movk_i32 s26, 0x80
	v_and_or_b32 v19, v0, s26, v1
.LBB251_742:
	s_or_b64 exec, exec, s[4:5]
.LBB251_743:
	s_or_b64 exec, exec, s[24:25]
.LBB251_744:
	s_or_b64 exec, exec, s[22:23]
                                        ; implicit-def: $vgpr0_vgpr1
.LBB251_745:
	s_andn2_saveexec_b64 s[20:21], s[20:21]
	s_cbranch_execz .LBB251_753
; %bb.746:
	flat_load_sshort v0, v[0:1]
	s_mov_b32 s4, 0x47800000
	s_waitcnt vmcnt(0) lgkmcnt(0)
	v_mov_b32_e32 v19, 0x80
	v_cvt_f32_i32_e32 v0, v0
	v_and_b32_e32 v1, 0x7fffffff, v0
	v_cmp_gt_u32_e64 s[4:5], s4, v1
	s_and_saveexec_b64 s[22:23], s[4:5]
	s_cbranch_execz .LBB251_752
; %bb.747:
	s_mov_b32 s4, 0x37ffffff
	v_cmp_lt_u32_e64 s[4:5], s4, v1
	s_mov_b64 s[24:25], 0
                                        ; implicit-def: $vgpr1
	s_and_saveexec_b64 s[26:27], s[4:5]
	s_xor_b64 s[4:5], exec, s[26:27]
	s_cbranch_execz .LBB251_2351
; %bb.748:
	v_bfe_u32 v1, v0, 21, 1
	s_mov_b32 s26, 0x88fffff
	v_add3_u32 v1, v0, v1, s26
	s_mov_b64 s[24:25], exec
	v_lshrrev_b32_e32 v1, 21, v1
	s_andn2_saveexec_b64 s[26:27], s[4:5]
	s_cbranch_execnz .LBB251_2352
.LBB251_749:
	s_or_b64 exec, exec, s[26:27]
	v_mov_b32_e32 v19, 0
	s_and_saveexec_b64 s[4:5], s[24:25]
.LBB251_750:
	v_lshrrev_b32_e32 v0, 24, v0
	s_movk_i32 s24, 0x80
	v_and_or_b32 v19, v0, s24, v1
.LBB251_751:
	s_or_b64 exec, exec, s[4:5]
.LBB251_752:
	s_or_b64 exec, exec, s[22:23]
.LBB251_753:
	s_or_b64 exec, exec, s[20:21]
                                        ; implicit-def: $vgpr0_vgpr1
.LBB251_754:
	s_andn2_saveexec_b64 s[18:19], s[18:19]
	s_cbranch_execz .LBB251_772
; %bb.755:
	v_cmp_lt_i16_e64 s[4:5], 0, v5
                                        ; implicit-def: $vgpr19
	s_and_saveexec_b64 s[20:21], s[4:5]
	s_xor_b64 s[20:21], exec, s[20:21]
	s_cbranch_execz .LBB251_763
; %bb.756:
	flat_load_sbyte v0, v[0:1]
	s_mov_b32 s4, 0x47800000
	s_waitcnt vmcnt(0) lgkmcnt(0)
	v_mov_b32_e32 v19, 0x80
	v_cvt_f32_i32_e32 v0, v0
	v_and_b32_e32 v1, 0x7fffffff, v0
	v_cmp_gt_u32_e64 s[4:5], s4, v1
	s_and_saveexec_b64 s[22:23], s[4:5]
	s_cbranch_execz .LBB251_762
; %bb.757:
	s_mov_b32 s4, 0x37ffffff
	v_cmp_lt_u32_e64 s[4:5], s4, v1
	s_mov_b64 s[24:25], 0
                                        ; implicit-def: $vgpr1
	s_and_saveexec_b64 s[26:27], s[4:5]
	s_xor_b64 s[4:5], exec, s[26:27]
	s_cbranch_execz .LBB251_2353
; %bb.758:
	v_bfe_u32 v1, v0, 21, 1
	s_mov_b32 s26, 0x88fffff
	v_add3_u32 v1, v0, v1, s26
	s_mov_b64 s[24:25], exec
	v_lshrrev_b32_e32 v1, 21, v1
	s_andn2_saveexec_b64 s[26:27], s[4:5]
	s_cbranch_execnz .LBB251_2354
.LBB251_759:
	s_or_b64 exec, exec, s[26:27]
	v_mov_b32_e32 v19, 0
	s_and_saveexec_b64 s[4:5], s[24:25]
.LBB251_760:
	v_lshrrev_b32_e32 v0, 24, v0
	s_movk_i32 s24, 0x80
	v_and_or_b32 v19, v0, s24, v1
.LBB251_761:
	s_or_b64 exec, exec, s[4:5]
.LBB251_762:
	s_or_b64 exec, exec, s[22:23]
                                        ; implicit-def: $vgpr0_vgpr1
.LBB251_763:
	s_andn2_saveexec_b64 s[20:21], s[20:21]
	s_cbranch_execz .LBB251_771
; %bb.764:
	flat_load_ubyte v0, v[0:1]
	s_mov_b32 s4, 0x47800000
	s_waitcnt vmcnt(0) lgkmcnt(0)
	v_mov_b32_e32 v19, 0x80
	v_cvt_f32_ubyte0_e32 v1, v0
	v_cmp_gt_u32_e64 s[4:5], s4, v1
	s_and_saveexec_b64 s[22:23], s[4:5]
	s_cbranch_execz .LBB251_770
; %bb.765:
	s_mov_b32 s4, 0x37ffffff
	v_cmp_lt_u32_e64 s[4:5], s4, v1
	s_mov_b64 s[24:25], 0
                                        ; implicit-def: $vgpr0
	s_and_saveexec_b64 s[26:27], s[4:5]
	s_xor_b64 s[4:5], exec, s[26:27]
	s_cbranch_execz .LBB251_2355
; %bb.766:
	v_bfe_u32 v0, v1, 21, 1
	s_mov_b32 s26, 0x88fffff
	v_add3_u32 v0, v1, v0, s26
	s_mov_b64 s[24:25], exec
	v_lshrrev_b32_e32 v0, 21, v0
                                        ; implicit-def: $vgpr1
	s_andn2_saveexec_b64 s[26:27], s[4:5]
	s_cbranch_execnz .LBB251_2356
.LBB251_767:
	s_or_b64 exec, exec, s[26:27]
	v_mov_b32_e32 v19, 0
	s_and_saveexec_b64 s[4:5], s[24:25]
.LBB251_768:
	v_mov_b32_e32 v19, v0
.LBB251_769:
	s_or_b64 exec, exec, s[4:5]
.LBB251_770:
	s_or_b64 exec, exec, s[22:23]
.LBB251_771:
	s_or_b64 exec, exec, s[20:21]
.LBB251_772:
	s_or_b64 exec, exec, s[18:19]
.LBB251_773:
	s_or_b64 exec, exec, s[14:15]
	s_or_b64 s[16:17], s[16:17], exec
.LBB251_774:
	s_or_b64 exec, exec, s[6:7]
	s_mov_b64 s[4:5], 0
	s_mov_b64 s[18:19], 0
                                        ; implicit-def: $sgpr40_sgpr41
                                        ; implicit-def: $vgpr0_vgpr1
                                        ; implicit-def: $vgpr18
	s_and_saveexec_b64 s[14:15], s[16:17]
	s_cbranch_execz .LBB251_1918
; %bb.775:
	v_cmp_ne_u32_e64 s[4:5], 0, v16
                                        ; implicit-def: $sgpr18_sgpr19
	s_and_saveexec_b64 s[6:7], s[4:5]
	s_xor_b64 s[16:17], exec, s[6:7]
	s_cbranch_execz .LBB251_789
; %bb.776:
	s_movk_i32 s6, 0x7f
	s_waitcnt lgkmcnt(0)
	v_cmp_gt_i16_sdwa s[18:19], v17, s6 src0_sel:BYTE_0 src1_sel:DWORD
	s_mov_b64 s[6:7], 0
	s_and_saveexec_b64 s[20:21], s[18:19]
	s_xor_b64 s[18:19], exec, s[20:21]
	s_cbranch_execz .LBB251_2170
; %bb.777:
	s_movk_i32 s6, 0x80
	v_cmp_eq_u16_sdwa s[22:23], v17, s6 src0_sel:BYTE_0 src1_sel:DWORD
	s_mov_b64 s[6:7], -1
	s_and_saveexec_b64 s[20:21], s[22:23]
; %bb.778:
	s_xor_b64 s[6:7], exec, -1
; %bb.779:
	s_or_b64 exec, exec, s[20:21]
	s_and_b64 s[6:7], s[6:7], exec
	s_or_saveexec_b64 s[18:19], s[18:19]
	v_mov_b32_e32 v0, 0x7f800001
	s_xor_b64 exec, exec, s[18:19]
	s_cbranch_execnz .LBB251_2171
.LBB251_780:
	s_or_b64 exec, exec, s[18:19]
	s_and_saveexec_b64 s[18:19], s[6:7]
	s_cbranch_execz .LBB251_782
.LBB251_781:
	v_and_b32_e32 v1, 3, v17
	v_ffbh_u32_e32 v16, v1
	v_min_u32_e32 v16, 32, v16
	v_lshrrev_b16_e32 v0, 2, v17
	v_subrev_u32_e32 v18, 29, v16
	v_and_b32_e32 v0, 31, v0
	v_lshlrev_b32_e32 v18, v18, v17
	v_sub_u32_e32 v16, 30, v16
	v_and_b32_e32 v18, 3, v18
	v_cmp_eq_u32_e64 s[6:7], 0, v0
	v_cndmask_b32_e64 v0, v0, v16, s[6:7]
	v_cndmask_b32_e64 v1, v1, v18, s[6:7]
	v_lshlrev_b32_e32 v16, 24, v17
	v_mov_b32_e32 v17, 0x37800000
	v_lshlrev_b32_e32 v1, 21, v1
	v_and_b32_e32 v16, 0x80000000, v16
	v_lshl_add_u32 v0, v0, 23, v17
	v_or3_b32 v0, v16, v0, v1
.LBB251_782:
	s_or_b64 exec, exec, s[18:19]
	s_movk_i32 s6, 0x7f
	s_waitcnt vmcnt(0)
	v_cmp_gt_i16_sdwa s[18:19], v19, s6 src0_sel:BYTE_0 src1_sel:DWORD
	s_mov_b64 s[6:7], 0
	s_and_saveexec_b64 s[20:21], s[18:19]
	s_xor_b64 s[18:19], exec, s[20:21]
	s_cbranch_execz .LBB251_2172
; %bb.783:
	s_movk_i32 s6, 0x80
	v_cmp_eq_u16_sdwa s[22:23], v19, s6 src0_sel:BYTE_0 src1_sel:DWORD
	s_mov_b64 s[6:7], -1
	s_and_saveexec_b64 s[20:21], s[22:23]
; %bb.784:
	s_xor_b64 s[6:7], exec, -1
; %bb.785:
	s_or_b64 exec, exec, s[20:21]
	s_and_b64 s[6:7], s[6:7], exec
	s_or_saveexec_b64 s[18:19], s[18:19]
	v_mov_b32_e32 v1, 0x7f800001
	s_xor_b64 exec, exec, s[18:19]
	s_cbranch_execnz .LBB251_2173
.LBB251_786:
	s_or_b64 exec, exec, s[18:19]
	s_and_saveexec_b64 s[18:19], s[6:7]
	s_cbranch_execz .LBB251_788
.LBB251_787:
	v_and_b32_e32 v16, 3, v19
	v_ffbh_u32_e32 v17, v16
	v_min_u32_e32 v17, 32, v17
	v_lshrrev_b16_e32 v1, 2, v19
	v_subrev_u32_e32 v18, 29, v17
	v_and_b32_e32 v1, 31, v1
	v_lshlrev_b32_e32 v18, v18, v19
	v_sub_u32_e32 v17, 30, v17
	v_and_b32_e32 v18, 3, v18
	v_cmp_eq_u32_e64 s[6:7], 0, v1
	v_cndmask_b32_e64 v1, v1, v17, s[6:7]
	v_cndmask_b32_e64 v16, v16, v18, s[6:7]
	v_lshlrev_b32_e32 v17, 24, v19
	v_mov_b32_e32 v18, 0x37800000
	v_lshlrev_b32_e32 v16, 21, v16
	v_and_b32_e32 v17, 0x80000000, v17
	v_lshl_add_u32 v1, v1, 23, v18
	v_or3_b32 v1, v17, v1, v16
.LBB251_788:
	s_or_b64 exec, exec, s[18:19]
	v_cmp_neq_f32_e64 s[18:19], v0, v1
                                        ; implicit-def: $vgpr19
                                        ; implicit-def: $vgpr17
.LBB251_789:
	s_andn2_saveexec_b64 s[16:17], s[16:17]
	s_cbranch_execz .LBB251_803
; %bb.790:
	s_movk_i32 s6, 0x7f
	s_waitcnt lgkmcnt(0)
	v_cmp_gt_i16_sdwa s[20:21], v17, s6 src0_sel:BYTE_0 src1_sel:DWORD
	s_mov_b64 s[6:7], 0
	s_and_saveexec_b64 s[22:23], s[20:21]
	s_xor_b64 s[20:21], exec, s[22:23]
	s_cbranch_execz .LBB251_2174
; %bb.791:
	s_movk_i32 s6, 0x80
	v_cmp_eq_u16_sdwa s[24:25], v17, s6 src0_sel:BYTE_0 src1_sel:DWORD
	s_mov_b64 s[6:7], -1
	s_and_saveexec_b64 s[22:23], s[24:25]
; %bb.792:
	s_xor_b64 s[6:7], exec, -1
; %bb.793:
	s_or_b64 exec, exec, s[22:23]
	s_and_b64 s[6:7], s[6:7], exec
	s_or_saveexec_b64 s[20:21], s[20:21]
	v_mov_b32_e32 v0, 0x7f800001
	s_xor_b64 exec, exec, s[20:21]
	s_cbranch_execnz .LBB251_2175
.LBB251_794:
	s_or_b64 exec, exec, s[20:21]
	s_and_saveexec_b64 s[20:21], s[6:7]
	s_cbranch_execz .LBB251_796
.LBB251_795:
	v_and_b32_e32 v1, 3, v17
	v_ffbh_u32_e32 v16, v1
	v_min_u32_e32 v16, 32, v16
	v_lshrrev_b16_e32 v0, 2, v17
	v_subrev_u32_e32 v18, 29, v16
	v_and_b32_e32 v0, 31, v0
	v_lshlrev_b32_e32 v18, v18, v17
	v_sub_u32_e32 v16, 30, v16
	v_and_b32_e32 v18, 3, v18
	v_cmp_eq_u32_e64 s[6:7], 0, v0
	v_cndmask_b32_e64 v0, v0, v16, s[6:7]
	v_cndmask_b32_e64 v1, v1, v18, s[6:7]
	v_lshlrev_b32_e32 v16, 24, v17
	v_mov_b32_e32 v17, 0x37800000
	v_lshlrev_b32_e32 v1, 21, v1
	v_and_b32_e32 v16, 0x80000000, v16
	v_lshl_add_u32 v0, v0, 23, v17
	v_or3_b32 v0, v16, v0, v1
.LBB251_796:
	s_or_b64 exec, exec, s[20:21]
	s_movk_i32 s6, 0x7f
	s_waitcnt vmcnt(0)
	v_cmp_gt_i16_sdwa s[20:21], v19, s6 src0_sel:BYTE_0 src1_sel:DWORD
	s_mov_b64 s[6:7], 0
	s_and_saveexec_b64 s[22:23], s[20:21]
	s_xor_b64 s[20:21], exec, s[22:23]
	s_cbranch_execz .LBB251_2176
; %bb.797:
	s_movk_i32 s6, 0x80
	v_cmp_eq_u16_sdwa s[24:25], v19, s6 src0_sel:BYTE_0 src1_sel:DWORD
	s_mov_b64 s[6:7], -1
	s_and_saveexec_b64 s[22:23], s[24:25]
; %bb.798:
	s_xor_b64 s[6:7], exec, -1
; %bb.799:
	s_or_b64 exec, exec, s[22:23]
	s_and_b64 s[6:7], s[6:7], exec
	s_or_saveexec_b64 s[20:21], s[20:21]
	v_mov_b32_e32 v1, 0x7f800001
	s_xor_b64 exec, exec, s[20:21]
	s_cbranch_execnz .LBB251_2177
.LBB251_800:
	s_or_b64 exec, exec, s[20:21]
	s_and_saveexec_b64 s[20:21], s[6:7]
	s_cbranch_execz .LBB251_802
.LBB251_801:
	v_and_b32_e32 v16, 3, v19
	v_ffbh_u32_e32 v17, v16
	v_min_u32_e32 v17, 32, v17
	v_lshrrev_b16_e32 v1, 2, v19
	v_subrev_u32_e32 v18, 29, v17
	v_and_b32_e32 v1, 31, v1
	v_lshlrev_b32_e32 v18, v18, v19
	v_sub_u32_e32 v17, 30, v17
	v_and_b32_e32 v18, 3, v18
	v_cmp_eq_u32_e64 s[6:7], 0, v1
	v_cndmask_b32_e64 v1, v1, v17, s[6:7]
	v_cndmask_b32_e64 v16, v16, v18, s[6:7]
	v_lshlrev_b32_e32 v17, 24, v19
	v_mov_b32_e32 v18, 0x37800000
	v_lshlrev_b32_e32 v16, 21, v16
	v_and_b32_e32 v17, 0x80000000, v17
	v_lshl_add_u32 v1, v1, 23, v18
	v_or3_b32 v1, v17, v1, v16
.LBB251_802:
	s_or_b64 exec, exec, s[20:21]
	v_cmp_eq_f32_e64 s[6:7], v0, v1
	s_andn2_b64 s[18:19], s[18:19], exec
	s_and_b64 s[6:7], s[6:7], exec
	s_or_b64 s[18:19], s[18:19], s[6:7]
.LBB251_803:
	s_or_b64 exec, exec, s[16:17]
	v_lshlrev_b32_e32 v16, 7, v12
	s_waitcnt lgkmcnt(0)
	v_add_u32_e32 v17, v13, v16
	v_ashrrev_i32_e32 v1, 31, v17
	v_add_co_u32_e64 v0, s[6:7], v10, v17
	v_addc_co_u32_e64 v1, s[6:7], v11, v1, s[6:7]
	v_cmp_lt_i16_e64 s[6:7], 10, v6
	s_mov_b64 s[22:23], 0
	s_mov_b64 s[16:17], s[12:13]
                                        ; implicit-def: $vgpr19
	s_and_saveexec_b64 s[20:21], s[6:7]
	s_xor_b64 s[20:21], exec, s[20:21]
	s_cbranch_execz .LBB251_884
; %bb.804:
	v_cmp_lt_i16_e64 s[6:7], 25, v6
	s_mov_b64 s[16:17], 0
	s_mov_b64 s[26:27], 0
	s_mov_b64 s[24:25], 0
                                        ; implicit-def: $vgpr19
	s_and_saveexec_b64 s[22:23], s[6:7]
	s_xor_b64 s[22:23], exec, s[22:23]
	s_cbranch_execz .LBB251_2178
; %bb.805:
	v_cmp_lt_i16_e64 s[6:7], 28, v6
	s_mov_b64 s[28:29], 0
                                        ; implicit-def: $vgpr19
	s_and_saveexec_b64 s[24:25], s[6:7]
	s_xor_b64 s[24:25], exec, s[24:25]
	s_cbranch_execz .LBB251_839
; %bb.806:
	v_cmp_lt_i16_e64 s[6:7], 43, v6
	s_mov_b64 s[30:31], 0
	s_mov_b64 s[38:39], 0
                                        ; implicit-def: $vgpr19
	s_and_saveexec_b64 s[26:27], s[6:7]
	s_xor_b64 s[26:27], exec, s[26:27]
	s_cbranch_execz .LBB251_828
; %bb.807:
	v_cmp_lt_i16_e64 s[6:7], 45, v6
                                        ; implicit-def: $vgpr19
	s_and_saveexec_b64 s[38:39], s[6:7]
	s_xor_b64 s[38:39], exec, s[38:39]
	s_cbranch_execz .LBB251_817
; %bb.808:
	v_cmp_eq_u16_e64 s[6:7], 46, v6
	s_mov_b64 s[40:41], -1
                                        ; implicit-def: $vgpr19
	s_and_saveexec_b64 s[28:29], s[6:7]
	s_cbranch_execz .LBB251_816
; %bb.809:
	flat_load_dword v12, v[0:1]
	s_mov_b32 s6, 0x47800000
	s_waitcnt vmcnt(0)
	v_mov_b32_e32 v19, 0x80
	s_waitcnt lgkmcnt(0)
	v_lshlrev_b32_e32 v12, 16, v12
	v_and_b32_e32 v13, 0x7fffffff, v12
	v_cmp_gt_u32_e64 s[6:7], s6, v13
	s_and_saveexec_b64 s[30:31], s[6:7]
	s_cbranch_execz .LBB251_815
; %bb.810:
	s_mov_b32 s6, 0x37ffffff
	v_cmp_lt_u32_e64 s[6:7], s6, v13
	s_mov_b64 s[40:41], 0
                                        ; implicit-def: $vgpr13
	s_and_saveexec_b64 s[42:43], s[6:7]
	s_xor_b64 s[6:7], exec, s[42:43]
	s_cbranch_execz .LBB251_2600
; %bb.811:
	v_bfe_u32 v13, v12, 21, 1
	s_mov_b32 s33, 0x88fffff
	v_add3_u32 v13, v12, v13, s33
	s_mov_b64 s[40:41], exec
	v_lshrrev_b32_e32 v13, 21, v13
	s_andn2_saveexec_b64 s[42:43], s[6:7]
	s_cbranch_execnz .LBB251_2601
.LBB251_812:
	s_or_b64 exec, exec, s[42:43]
	v_mov_b32_e32 v19, 0
	s_and_saveexec_b64 s[6:7], s[40:41]
.LBB251_813:
	v_lshrrev_b32_e32 v12, 24, v12
	s_movk_i32 s33, 0x80
	v_and_or_b32 v19, v12, s33, v13
.LBB251_814:
	s_or_b64 exec, exec, s[6:7]
.LBB251_815:
	s_or_b64 exec, exec, s[30:31]
	s_mov_b64 s[30:31], exec
	s_xor_b64 s[40:41], exec, -1
.LBB251_816:
	s_or_b64 exec, exec, s[28:29]
	s_and_b64 s[30:31], s[30:31], exec
	s_and_b64 s[28:29], s[40:41], exec
.LBB251_817:
	s_andn2_saveexec_b64 s[38:39], s[38:39]
	s_cbranch_execz .LBB251_827
; %bb.818:
	v_cmp_eq_u16_e64 s[6:7], 44, v6
	s_mov_b64 s[42:43], -1
	s_mov_b64 s[44:45], s[30:31]
                                        ; implicit-def: $vgpr19
	s_and_saveexec_b64 s[40:41], s[6:7]
	s_cbranch_execz .LBB251_826
; %bb.819:
	flat_load_ubyte v12, v[0:1]
	s_movk_i32 s6, 0xff
	v_mov_b32_e32 v13, 0x7f800001
	v_mov_b32_e32 v18, 0x400000
	s_mov_b32 s33, 0x47800000
	s_waitcnt vmcnt(0) lgkmcnt(0)
	v_lshlrev_b32_e32 v19, 23, v12
	v_cmp_ne_u32_e64 s[6:7], s6, v12
	v_cndmask_b32_e64 v13, v13, v19, s[6:7]
	v_cmp_ne_u32_e64 s[6:7], 0, v12
	v_cndmask_b32_e64 v13, v18, v13, s[6:7]
	v_cmp_gt_u32_e64 s[6:7], s33, v13
	v_mov_b32_e32 v19, 0x80
	s_and_saveexec_b64 s[42:43], s[6:7]
	s_cbranch_execz .LBB251_825
; %bb.820:
	s_mov_b32 s6, 0x37ffffff
	v_cmp_lt_u32_e64 s[6:7], s6, v13
	s_mov_b64 s[44:45], 0
                                        ; implicit-def: $vgpr12
	s_and_saveexec_b64 s[46:47], s[6:7]
	s_xor_b64 s[6:7], exec, s[46:47]
	s_cbranch_execz .LBB251_2602
; %bb.821:
	v_bfe_u32 v12, v13, 21, 1
	s_mov_b32 s33, 0x88fffff
	v_add3_u32 v12, v13, v12, s33
	s_mov_b64 s[44:45], exec
	v_lshrrev_b32_e32 v12, 21, v12
                                        ; implicit-def: $vgpr13
	s_andn2_saveexec_b64 s[46:47], s[6:7]
	s_cbranch_execnz .LBB251_2603
.LBB251_822:
	s_or_b64 exec, exec, s[46:47]
	v_mov_b32_e32 v19, 0
	s_and_saveexec_b64 s[6:7], s[44:45]
.LBB251_823:
	v_mov_b32_e32 v19, v12
.LBB251_824:
	s_or_b64 exec, exec, s[6:7]
.LBB251_825:
	s_or_b64 exec, exec, s[42:43]
	s_or_b64 s[44:45], s[30:31], exec
	s_xor_b64 s[42:43], exec, -1
.LBB251_826:
	s_or_b64 exec, exec, s[40:41]
	s_andn2_b64 s[6:7], s[30:31], exec
	s_and_b64 s[30:31], s[44:45], exec
	s_or_b64 s[30:31], s[6:7], s[30:31]
	s_andn2_b64 s[6:7], s[28:29], exec
	s_and_b64 s[28:29], s[42:43], exec
	s_or_b64 s[28:29], s[6:7], s[28:29]
.LBB251_827:
	s_or_b64 exec, exec, s[38:39]
	s_and_b64 s[38:39], s[30:31], exec
	s_and_b64 s[30:31], s[28:29], exec
.LBB251_828:
	s_andn2_saveexec_b64 s[26:27], s[26:27]
	s_cbranch_execz .LBB251_838
; %bb.829:
	v_cmp_eq_u16_e64 s[6:7], 29, v6
	s_mov_b64 s[40:41], -1
	s_mov_b64 s[42:43], s[38:39]
                                        ; implicit-def: $vgpr19
	s_and_saveexec_b64 s[28:29], s[6:7]
	s_cbranch_execz .LBB251_837
; %bb.830:
	flat_load_dwordx2 v[12:13], v[0:1]
	s_mov_b32 s6, 0x47800000
	s_waitcnt vmcnt(0)
	v_mov_b32_e32 v19, 0x80
	s_waitcnt lgkmcnt(0)
	v_ffbh_u32_e32 v18, v13
	v_min_u32_e32 v18, 32, v18
	v_lshlrev_b64 v[12:13], v18, v[12:13]
	v_min_u32_e32 v12, 1, v12
	v_or_b32_e32 v12, v13, v12
	v_cvt_f32_u32_e32 v12, v12
	v_sub_u32_e32 v13, 32, v18
	v_ldexp_f32 v13, v12, v13
	v_cmp_gt_u32_e64 s[6:7], s6, v13
	s_and_saveexec_b64 s[40:41], s[6:7]
	s_cbranch_execz .LBB251_836
; %bb.831:
	s_mov_b32 s6, 0x37ffffff
	v_cmp_lt_u32_e64 s[6:7], s6, v13
	s_mov_b64 s[42:43], 0
                                        ; implicit-def: $vgpr12
	s_and_saveexec_b64 s[44:45], s[6:7]
	s_xor_b64 s[6:7], exec, s[44:45]
	s_cbranch_execz .LBB251_2513
; %bb.832:
	v_bfe_u32 v12, v13, 21, 1
	s_mov_b32 s33, 0x88fffff
	v_add3_u32 v12, v13, v12, s33
	s_mov_b64 s[42:43], exec
	v_lshrrev_b32_e32 v12, 21, v12
                                        ; implicit-def: $vgpr13
	s_andn2_saveexec_b64 s[44:45], s[6:7]
	s_cbranch_execnz .LBB251_2514
.LBB251_833:
	s_or_b64 exec, exec, s[44:45]
	v_mov_b32_e32 v19, 0
	s_and_saveexec_b64 s[6:7], s[42:43]
.LBB251_834:
	v_mov_b32_e32 v19, v12
.LBB251_835:
	s_or_b64 exec, exec, s[6:7]
.LBB251_836:
	s_or_b64 exec, exec, s[40:41]
	s_or_b64 s[42:43], s[38:39], exec
	s_xor_b64 s[40:41], exec, -1
.LBB251_837:
	s_or_b64 exec, exec, s[28:29]
	s_andn2_b64 s[6:7], s[38:39], exec
	s_and_b64 s[28:29], s[42:43], exec
	s_or_b64 s[38:39], s[6:7], s[28:29]
	s_andn2_b64 s[6:7], s[30:31], exec
	s_and_b64 s[28:29], s[40:41], exec
	s_or_b64 s[30:31], s[6:7], s[28:29]
.LBB251_838:
	s_or_b64 exec, exec, s[26:27]
	s_and_b64 s[28:29], s[38:39], exec
	s_and_b64 s[26:27], s[30:31], exec
.LBB251_839:
	s_andn2_saveexec_b64 s[24:25], s[24:25]
	s_cbranch_execz .LBB251_873
; %bb.840:
	v_cmp_lt_i16_e64 s[6:7], 26, v6
                                        ; implicit-def: $vgpr19
	s_and_saveexec_b64 s[30:31], s[6:7]
	s_xor_b64 s[30:31], exec, s[30:31]
	s_cbranch_execz .LBB251_858
; %bb.841:
	v_cmp_lt_i16_e64 s[6:7], 27, v6
                                        ; implicit-def: $vgpr19
	s_and_saveexec_b64 s[38:39], s[6:7]
	s_xor_b64 s[38:39], exec, s[38:39]
	s_cbranch_execz .LBB251_849
; %bb.842:
	flat_load_dword v12, v[0:1]
	s_mov_b32 s6, 0x47800000
	s_waitcnt vmcnt(0)
	v_mov_b32_e32 v19, 0x80
	s_waitcnt lgkmcnt(0)
	v_cvt_f32_u32_e32 v13, v12
	v_cmp_gt_u32_e64 s[6:7], s6, v13
	s_and_saveexec_b64 s[40:41], s[6:7]
	s_cbranch_execz .LBB251_848
; %bb.843:
	s_mov_b32 s6, 0x37ffffff
	v_cmp_lt_u32_e64 s[6:7], s6, v13
	s_mov_b64 s[42:43], 0
                                        ; implicit-def: $vgpr12
	s_and_saveexec_b64 s[44:45], s[6:7]
	s_xor_b64 s[6:7], exec, s[44:45]
	s_cbranch_execz .LBB251_2515
; %bb.844:
	v_bfe_u32 v12, v13, 21, 1
	s_mov_b32 s33, 0x88fffff
	v_add3_u32 v12, v13, v12, s33
	s_mov_b64 s[42:43], exec
	v_lshrrev_b32_e32 v12, 21, v12
                                        ; implicit-def: $vgpr13
	s_andn2_saveexec_b64 s[44:45], s[6:7]
	s_cbranch_execnz .LBB251_2516
.LBB251_845:
	s_or_b64 exec, exec, s[44:45]
	v_mov_b32_e32 v19, 0
	s_and_saveexec_b64 s[6:7], s[42:43]
.LBB251_846:
	v_mov_b32_e32 v19, v12
.LBB251_847:
	s_or_b64 exec, exec, s[6:7]
.LBB251_848:
	s_or_b64 exec, exec, s[40:41]
.LBB251_849:
	s_andn2_saveexec_b64 s[38:39], s[38:39]
	s_cbranch_execz .LBB251_857
; %bb.850:
	flat_load_ushort v12, v[0:1]
	s_mov_b32 s6, 0x47800000
	s_waitcnt vmcnt(0)
	v_mov_b32_e32 v19, 0x80
	s_waitcnt lgkmcnt(0)
	v_cvt_f32_u32_e32 v13, v12
	v_cmp_gt_u32_e64 s[6:7], s6, v13
	s_and_saveexec_b64 s[40:41], s[6:7]
	s_cbranch_execz .LBB251_856
; %bb.851:
	s_mov_b32 s6, 0x37ffffff
	v_cmp_lt_u32_e64 s[6:7], s6, v13
	s_mov_b64 s[42:43], 0
                                        ; implicit-def: $vgpr12
	s_and_saveexec_b64 s[44:45], s[6:7]
	s_xor_b64 s[6:7], exec, s[44:45]
	s_cbranch_execz .LBB251_2517
; %bb.852:
	v_bfe_u32 v12, v13, 21, 1
	s_mov_b32 s33, 0x88fffff
	v_add3_u32 v12, v13, v12, s33
	s_mov_b64 s[42:43], exec
	v_lshrrev_b32_e32 v12, 21, v12
                                        ; implicit-def: $vgpr13
	s_andn2_saveexec_b64 s[44:45], s[6:7]
	s_cbranch_execnz .LBB251_2518
.LBB251_853:
	s_or_b64 exec, exec, s[44:45]
	v_mov_b32_e32 v19, 0
	s_and_saveexec_b64 s[6:7], s[42:43]
.LBB251_854:
	v_mov_b32_e32 v19, v12
.LBB251_855:
	s_or_b64 exec, exec, s[6:7]
.LBB251_856:
	s_or_b64 exec, exec, s[40:41]
.LBB251_857:
	s_or_b64 exec, exec, s[38:39]
.LBB251_858:
	s_andn2_saveexec_b64 s[30:31], s[30:31]
	s_cbranch_execz .LBB251_872
; %bb.859:
	flat_load_ubyte v13, v[0:1]
	s_movk_i32 s6, 0x7f
	s_mov_b64 s[38:39], 0
	s_waitcnt vmcnt(0) lgkmcnt(0)
	v_cmp_lt_i16_e64 s[6:7], s6, v13
	s_and_saveexec_b64 s[40:41], s[6:7]
	s_xor_b64 s[40:41], exec, s[40:41]
	s_cbranch_execz .LBB251_2357
; %bb.860:
	s_movk_i32 s6, 0x80
	v_cmp_eq_u16_e64 s[6:7], s6, v13
	s_mov_b64 s[38:39], -1
	s_and_saveexec_b64 s[42:43], s[6:7]
; %bb.861:
	s_xor_b64 s[38:39], exec, -1
; %bb.862:
	s_or_b64 exec, exec, s[42:43]
	s_and_b64 s[38:39], s[38:39], exec
	s_or_saveexec_b64 s[40:41], s[40:41]
	v_mov_b32_e32 v12, 0x7f800001
	s_xor_b64 exec, exec, s[40:41]
	s_cbranch_execnz .LBB251_2358
.LBB251_863:
	s_or_b64 exec, exec, s[40:41]
	s_and_saveexec_b64 s[40:41], s[38:39]
	s_cbranch_execz .LBB251_865
.LBB251_864:
	v_lshlrev_b32_e32 v12, 24, v13
	v_and_b32_e32 v13, 0xffff, v13
	v_and_b32_e32 v18, 7, v13
	v_ffbh_u32_e32 v20, v18
	v_min_u32_e32 v20, 32, v20
	v_subrev_u32_e32 v21, 28, v20
	v_bfe_u32 v19, v13, 3, 4
	v_lshlrev_b32_e32 v13, v21, v13
	v_sub_u32_e32 v20, 29, v20
	v_and_b32_e32 v13, 7, v13
	v_cmp_eq_u32_e64 s[6:7], 0, v19
	v_cndmask_b32_e64 v19, v19, v20, s[6:7]
	v_cndmask_b32_e64 v13, v18, v13, s[6:7]
	v_mov_b32_e32 v18, 0x3b800000
	v_lshlrev_b32_e32 v13, 20, v13
	v_and_b32_e32 v12, 0x80000000, v12
	v_lshl_add_u32 v18, v19, 23, v18
	v_or3_b32 v12, v12, v18, v13
.LBB251_865:
	s_or_b64 exec, exec, s[40:41]
	v_and_b32_e32 v13, 0x7fffffff, v12
	s_mov_b32 s6, 0x47800000
	v_cmp_gt_u32_e64 s[6:7], s6, v13
	v_mov_b32_e32 v19, 0x80
	s_and_saveexec_b64 s[38:39], s[6:7]
	s_cbranch_execz .LBB251_871
; %bb.866:
	s_mov_b32 s6, 0x37ffffff
	v_cmp_lt_u32_e64 s[6:7], s6, v13
	s_mov_b64 s[40:41], 0
                                        ; implicit-def: $vgpr13
	s_and_saveexec_b64 s[42:43], s[6:7]
	s_xor_b64 s[6:7], exec, s[42:43]
	s_cbranch_execz .LBB251_2432
; %bb.867:
	v_bfe_u32 v13, v12, 21, 1
	s_mov_b32 s33, 0x88fffff
	v_add3_u32 v13, v12, v13, s33
	s_mov_b64 s[40:41], exec
	v_lshrrev_b32_e32 v13, 21, v13
	s_andn2_saveexec_b64 s[42:43], s[6:7]
	s_cbranch_execnz .LBB251_2433
.LBB251_868:
	s_or_b64 exec, exec, s[42:43]
	v_mov_b32_e32 v19, 0
	s_and_saveexec_b64 s[6:7], s[40:41]
.LBB251_869:
	v_lshrrev_b32_e32 v12, 24, v12
	s_movk_i32 s33, 0x80
	v_and_or_b32 v19, v12, s33, v13
.LBB251_870:
	s_or_b64 exec, exec, s[6:7]
.LBB251_871:
	s_or_b64 exec, exec, s[38:39]
.LBB251_872:
	s_or_b64 exec, exec, s[30:31]
	s_or_b64 s[28:29], s[28:29], exec
.LBB251_873:
	s_or_b64 exec, exec, s[24:25]
	s_and_b64 s[24:25], s[28:29], exec
	s_and_b64 s[26:27], s[26:27], exec
	s_andn2_saveexec_b64 s[22:23], s[22:23]
	s_cbranch_execnz .LBB251_2179
.LBB251_874:
	s_or_b64 exec, exec, s[22:23]
	s_mov_b64 s[22:23], s[12:13]
	s_and_saveexec_b64 s[6:7], s[26:27]
	s_cbranch_execnz .LBB251_2216
.LBB251_875:
	s_or_b64 exec, exec, s[6:7]
	s_and_saveexec_b64 s[6:7], s[16:17]
	s_xor_b64 s[16:17], exec, s[6:7]
	s_cbranch_execz .LBB251_883
.LBB251_876:
	flat_load_ubyte v0, v[0:1]
	s_mov_b32 s26, 0x47800000
	s_waitcnt vmcnt(0) lgkmcnt(0)
	v_mov_b32_e32 v19, 0x80
	v_cmp_ne_u16_e64 s[6:7], 0, v0
	v_cndmask_b32_e64 v1, 0, 1.0, s[6:7]
	v_cmp_gt_u32_e64 s[6:7], s26, v1
	s_and_saveexec_b64 s[26:27], s[6:7]
	s_cbranch_execz .LBB251_882
; %bb.877:
	s_mov_b32 s6, 0x37ffffff
	v_cmp_lt_u32_e64 s[6:7], s6, v1
	s_mov_b64 s[28:29], 0
                                        ; implicit-def: $vgpr0
	s_and_saveexec_b64 s[30:31], s[6:7]
	s_xor_b64 s[6:7], exec, s[30:31]
	s_cbranch_execz .LBB251_2274
; %bb.878:
	v_bfe_u32 v0, v1, 21, 1
	s_mov_b32 s30, 0x88fffff
	v_add3_u32 v0, v1, v0, s30
	s_mov_b64 s[28:29], exec
	v_lshrrev_b32_e32 v0, 21, v0
                                        ; implicit-def: $vgpr1
	s_andn2_saveexec_b64 s[30:31], s[6:7]
	s_cbranch_execnz .LBB251_2275
.LBB251_879:
	s_or_b64 exec, exec, s[30:31]
	v_mov_b32_e32 v19, 0
	s_and_saveexec_b64 s[6:7], s[28:29]
.LBB251_880:
	v_mov_b32_e32 v19, v0
.LBB251_881:
	s_or_b64 exec, exec, s[6:7]
.LBB251_882:
	s_or_b64 exec, exec, s[26:27]
	s_or_b64 s[24:25], s[24:25], exec
.LBB251_883:
	s_or_b64 exec, exec, s[16:17]
	s_andn2_b64 s[6:7], s[12:13], exec
	s_and_b64 s[16:17], s[22:23], exec
	s_or_b64 s[16:17], s[6:7], s[16:17]
	s_and_b64 s[22:23], s[24:25], exec
                                        ; implicit-def: $vgpr0_vgpr1
.LBB251_884:
	s_andn2_saveexec_b64 s[20:21], s[20:21]
	s_cbranch_execz .LBB251_992
; %bb.885:
	v_cmp_lt_i16_e64 s[6:7], 4, v6
                                        ; implicit-def: $vgpr19
	s_and_saveexec_b64 s[24:25], s[6:7]
	s_xor_b64 s[24:25], exec, s[24:25]
	s_cbranch_execz .LBB251_943
; %bb.886:
	v_cmp_lt_i16_e64 s[6:7], 7, v6
                                        ; implicit-def: $vgpr19
	s_and_saveexec_b64 s[26:27], s[6:7]
	s_xor_b64 s[26:27], exec, s[26:27]
	;; [unrolled: 6-line block ×4, first 2 shown]
	s_cbranch_execz .LBB251_896
; %bb.889:
	flat_load_dwordx2 v[0:1], v[0:1]
	s_mov_b32 s6, 0x47800000
	s_waitcnt vmcnt(0) lgkmcnt(0)
	v_mov_b32_e32 v19, 0x80
	v_cvt_f32_f64_e32 v0, v[0:1]
	v_and_b32_e32 v1, 0x7fffffff, v0
	v_cmp_gt_u32_e64 s[6:7], s6, v1
	s_and_saveexec_b64 s[38:39], s[6:7]
	s_cbranch_execz .LBB251_895
; %bb.890:
	s_mov_b32 s6, 0x37ffffff
	v_cmp_lt_u32_e64 s[6:7], s6, v1
	s_mov_b64 s[40:41], 0
                                        ; implicit-def: $vgpr1
	s_and_saveexec_b64 s[42:43], s[6:7]
	s_xor_b64 s[6:7], exec, s[42:43]
	s_cbranch_execz .LBB251_2519
; %bb.891:
	v_bfe_u32 v1, v0, 21, 1
	s_mov_b32 s33, 0x88fffff
	v_add3_u32 v1, v0, v1, s33
	s_mov_b64 s[40:41], exec
	v_lshrrev_b32_e32 v1, 21, v1
	s_andn2_saveexec_b64 s[42:43], s[6:7]
	s_cbranch_execnz .LBB251_2520
.LBB251_892:
	s_or_b64 exec, exec, s[42:43]
	v_mov_b32_e32 v19, 0
	s_and_saveexec_b64 s[6:7], s[40:41]
.LBB251_893:
	v_lshrrev_b32_e32 v0, 24, v0
	s_movk_i32 s33, 0x80
	v_and_or_b32 v19, v0, s33, v1
.LBB251_894:
	s_or_b64 exec, exec, s[6:7]
.LBB251_895:
	s_or_b64 exec, exec, s[38:39]
                                        ; implicit-def: $vgpr0_vgpr1
.LBB251_896:
	s_andn2_saveexec_b64 s[30:31], s[30:31]
	s_cbranch_execz .LBB251_904
; %bb.897:
	flat_load_dword v0, v[0:1]
	s_mov_b32 s6, 0x47800000
	s_waitcnt vmcnt(0) lgkmcnt(0)
	v_mov_b32_e32 v19, 0x80
	v_and_b32_e32 v1, 0x7fffffff, v0
	v_cmp_gt_u32_e64 s[6:7], s6, v1
	s_and_saveexec_b64 s[38:39], s[6:7]
	s_cbranch_execz .LBB251_903
; %bb.898:
	s_mov_b32 s6, 0x37ffffff
	v_cmp_lt_u32_e64 s[6:7], s6, v1
	s_mov_b64 s[40:41], 0
                                        ; implicit-def: $vgpr1
	s_and_saveexec_b64 s[42:43], s[6:7]
	s_xor_b64 s[6:7], exec, s[42:43]
	s_cbranch_execz .LBB251_2521
; %bb.899:
	v_bfe_u32 v1, v0, 21, 1
	s_mov_b32 s33, 0x88fffff
	v_add3_u32 v1, v0, v1, s33
	s_mov_b64 s[40:41], exec
	v_lshrrev_b32_e32 v1, 21, v1
	s_andn2_saveexec_b64 s[42:43], s[6:7]
	s_cbranch_execnz .LBB251_2522
.LBB251_900:
	s_or_b64 exec, exec, s[42:43]
	v_mov_b32_e32 v19, 0
	s_and_saveexec_b64 s[6:7], s[40:41]
.LBB251_901:
	v_lshrrev_b32_e32 v0, 24, v0
	s_movk_i32 s33, 0x80
	v_and_or_b32 v19, v0, s33, v1
.LBB251_902:
	s_or_b64 exec, exec, s[6:7]
.LBB251_903:
	s_or_b64 exec, exec, s[38:39]
.LBB251_904:
	s_or_b64 exec, exec, s[30:31]
                                        ; implicit-def: $vgpr0_vgpr1
.LBB251_905:
	s_andn2_saveexec_b64 s[28:29], s[28:29]
	s_cbranch_execz .LBB251_913
; %bb.906:
	flat_load_dword v0, v[0:1]
	s_mov_b32 s6, 0x47800000
	s_waitcnt vmcnt(0) lgkmcnt(0)
	v_mov_b32_e32 v19, 0x80
	v_cvt_f32_f16_e32 v0, v0
	v_and_b32_e32 v1, 0x7fffffff, v0
	v_cmp_gt_u32_e64 s[6:7], s6, v1
	s_and_saveexec_b64 s[30:31], s[6:7]
	s_cbranch_execz .LBB251_912
; %bb.907:
	s_mov_b32 s6, 0x37ffffff
	v_cmp_lt_u32_e64 s[6:7], s6, v1
	s_mov_b64 s[38:39], 0
                                        ; implicit-def: $vgpr1
	s_and_saveexec_b64 s[40:41], s[6:7]
	s_xor_b64 s[6:7], exec, s[40:41]
	s_cbranch_execz .LBB251_2434
; %bb.908:
	v_bfe_u32 v1, v0, 21, 1
	s_mov_b32 s33, 0x88fffff
	v_add3_u32 v1, v0, v1, s33
	s_mov_b64 s[38:39], exec
	v_lshrrev_b32_e32 v1, 21, v1
	s_andn2_saveexec_b64 s[40:41], s[6:7]
	s_cbranch_execnz .LBB251_2435
.LBB251_909:
	s_or_b64 exec, exec, s[40:41]
	v_mov_b32_e32 v19, 0
	s_and_saveexec_b64 s[6:7], s[38:39]
.LBB251_910:
	v_lshrrev_b32_e32 v0, 24, v0
	s_movk_i32 s33, 0x80
	v_and_or_b32 v19, v0, s33, v1
.LBB251_911:
	s_or_b64 exec, exec, s[6:7]
.LBB251_912:
	s_or_b64 exec, exec, s[30:31]
.LBB251_913:
	s_or_b64 exec, exec, s[28:29]
                                        ; implicit-def: $vgpr0_vgpr1
.LBB251_914:
	s_andn2_saveexec_b64 s[26:27], s[26:27]
	s_cbranch_execz .LBB251_942
; %bb.915:
	v_cmp_lt_i16_e64 s[6:7], 5, v6
                                        ; implicit-def: $vgpr19
	s_and_saveexec_b64 s[28:29], s[6:7]
	s_xor_b64 s[28:29], exec, s[28:29]
	s_cbranch_execz .LBB251_933
; %bb.916:
	v_cmp_lt_i16_e64 s[6:7], 6, v6
                                        ; implicit-def: $vgpr19
	s_and_saveexec_b64 s[30:31], s[6:7]
	s_xor_b64 s[30:31], exec, s[30:31]
	s_cbranch_execz .LBB251_924
; %bb.917:
	flat_load_dwordx2 v[0:1], v[0:1]
	s_mov_b32 s6, 0x47800000
	s_waitcnt vmcnt(0) lgkmcnt(0)
	v_mov_b32_e32 v19, 0x80
	v_cvt_f32_f64_e32 v0, v[0:1]
	v_and_b32_e32 v1, 0x7fffffff, v0
	v_cmp_gt_u32_e64 s[6:7], s6, v1
	s_and_saveexec_b64 s[38:39], s[6:7]
	s_cbranch_execz .LBB251_923
; %bb.918:
	s_mov_b32 s6, 0x37ffffff
	v_cmp_lt_u32_e64 s[6:7], s6, v1
	s_mov_b64 s[40:41], 0
                                        ; implicit-def: $vgpr1
	s_and_saveexec_b64 s[42:43], s[6:7]
	s_xor_b64 s[6:7], exec, s[42:43]
	s_cbranch_execz .LBB251_2523
; %bb.919:
	v_bfe_u32 v1, v0, 21, 1
	s_mov_b32 s33, 0x88fffff
	v_add3_u32 v1, v0, v1, s33
	s_mov_b64 s[40:41], exec
	v_lshrrev_b32_e32 v1, 21, v1
	s_andn2_saveexec_b64 s[42:43], s[6:7]
	s_cbranch_execnz .LBB251_2524
.LBB251_920:
	s_or_b64 exec, exec, s[42:43]
	v_mov_b32_e32 v19, 0
	s_and_saveexec_b64 s[6:7], s[40:41]
.LBB251_921:
	v_lshrrev_b32_e32 v0, 24, v0
	s_movk_i32 s33, 0x80
	v_and_or_b32 v19, v0, s33, v1
.LBB251_922:
	s_or_b64 exec, exec, s[6:7]
.LBB251_923:
	s_or_b64 exec, exec, s[38:39]
                                        ; implicit-def: $vgpr0_vgpr1
.LBB251_924:
	s_andn2_saveexec_b64 s[30:31], s[30:31]
	s_cbranch_execz .LBB251_932
; %bb.925:
	flat_load_dword v0, v[0:1]
	s_mov_b32 s6, 0x47800000
	s_waitcnt vmcnt(0) lgkmcnt(0)
	v_mov_b32_e32 v19, 0x80
	v_and_b32_e32 v1, 0x7fffffff, v0
	v_cmp_gt_u32_e64 s[6:7], s6, v1
	s_and_saveexec_b64 s[38:39], s[6:7]
	s_cbranch_execz .LBB251_931
; %bb.926:
	s_mov_b32 s6, 0x37ffffff
	v_cmp_lt_u32_e64 s[6:7], s6, v1
	s_mov_b64 s[40:41], 0
                                        ; implicit-def: $vgpr1
	s_and_saveexec_b64 s[42:43], s[6:7]
	s_xor_b64 s[6:7], exec, s[42:43]
	s_cbranch_execz .LBB251_2525
; %bb.927:
	v_bfe_u32 v1, v0, 21, 1
	s_mov_b32 s33, 0x88fffff
	v_add3_u32 v1, v0, v1, s33
	s_mov_b64 s[40:41], exec
	v_lshrrev_b32_e32 v1, 21, v1
	s_andn2_saveexec_b64 s[42:43], s[6:7]
	s_cbranch_execnz .LBB251_2526
.LBB251_928:
	s_or_b64 exec, exec, s[42:43]
	v_mov_b32_e32 v19, 0
	s_and_saveexec_b64 s[6:7], s[40:41]
.LBB251_929:
	v_lshrrev_b32_e32 v0, 24, v0
	s_movk_i32 s33, 0x80
	v_and_or_b32 v19, v0, s33, v1
.LBB251_930:
	s_or_b64 exec, exec, s[6:7]
.LBB251_931:
	s_or_b64 exec, exec, s[38:39]
.LBB251_932:
	s_or_b64 exec, exec, s[30:31]
                                        ; implicit-def: $vgpr0_vgpr1
.LBB251_933:
	s_andn2_saveexec_b64 s[28:29], s[28:29]
	s_cbranch_execz .LBB251_941
; %bb.934:
	flat_load_ushort v0, v[0:1]
	s_mov_b32 s6, 0x47800000
	s_waitcnt vmcnt(0) lgkmcnt(0)
	v_mov_b32_e32 v19, 0x80
	v_cvt_f32_f16_e32 v0, v0
	v_and_b32_e32 v1, 0x7fffffff, v0
	v_cmp_gt_u32_e64 s[6:7], s6, v1
	s_and_saveexec_b64 s[30:31], s[6:7]
	s_cbranch_execz .LBB251_940
; %bb.935:
	s_mov_b32 s6, 0x37ffffff
	v_cmp_lt_u32_e64 s[6:7], s6, v1
	s_mov_b64 s[38:39], 0
                                        ; implicit-def: $vgpr1
	s_and_saveexec_b64 s[40:41], s[6:7]
	s_xor_b64 s[6:7], exec, s[40:41]
	s_cbranch_execz .LBB251_2436
; %bb.936:
	v_bfe_u32 v1, v0, 21, 1
	s_mov_b32 s33, 0x88fffff
	v_add3_u32 v1, v0, v1, s33
	s_mov_b64 s[38:39], exec
	v_lshrrev_b32_e32 v1, 21, v1
	s_andn2_saveexec_b64 s[40:41], s[6:7]
	s_cbranch_execnz .LBB251_2437
.LBB251_937:
	s_or_b64 exec, exec, s[40:41]
	v_mov_b32_e32 v19, 0
	s_and_saveexec_b64 s[6:7], s[38:39]
.LBB251_938:
	v_lshrrev_b32_e32 v0, 24, v0
	s_movk_i32 s33, 0x80
	v_and_or_b32 v19, v0, s33, v1
.LBB251_939:
	s_or_b64 exec, exec, s[6:7]
.LBB251_940:
	s_or_b64 exec, exec, s[30:31]
.LBB251_941:
	s_or_b64 exec, exec, s[28:29]
.LBB251_942:
	s_or_b64 exec, exec, s[26:27]
                                        ; implicit-def: $vgpr0_vgpr1
.LBB251_943:
	s_andn2_saveexec_b64 s[24:25], s[24:25]
	s_cbranch_execz .LBB251_991
; %bb.944:
	v_cmp_lt_i16_e64 s[6:7], 1, v6
                                        ; implicit-def: $vgpr19
	s_and_saveexec_b64 s[26:27], s[6:7]
	s_xor_b64 s[26:27], exec, s[26:27]
	s_cbranch_execz .LBB251_972
; %bb.945:
	v_cmp_lt_i16_e64 s[6:7], 2, v6
                                        ; implicit-def: $vgpr19
	s_and_saveexec_b64 s[28:29], s[6:7]
	s_xor_b64 s[28:29], exec, s[28:29]
	;; [unrolled: 6-line block ×3, first 2 shown]
	s_cbranch_execz .LBB251_954
; %bb.947:
	flat_load_dwordx2 v[0:1], v[0:1]
	s_mov_b32 s6, 0x47800000
	s_waitcnt vmcnt(0) lgkmcnt(0)
	v_mov_b32_e32 v19, 0x80
	v_xor_b32_e32 v13, v0, v1
	v_ffbh_i32_e32 v12, v1
	v_ashrrev_i32_e32 v13, 31, v13
	v_add_u32_e32 v12, -1, v12
	v_add_u32_e32 v13, 32, v13
	v_min_u32_e32 v12, v12, v13
	v_lshlrev_b64 v[0:1], v12, v[0:1]
	v_min_u32_e32 v0, 1, v0
	v_or_b32_e32 v0, v1, v0
	v_cvt_f32_i32_e32 v0, v0
	v_sub_u32_e32 v1, 32, v12
	v_ldexp_f32 v0, v0, v1
	v_and_b32_e32 v1, 0x7fffffff, v0
	v_cmp_gt_u32_e64 s[6:7], s6, v1
	s_and_saveexec_b64 s[38:39], s[6:7]
	s_cbranch_execz .LBB251_953
; %bb.948:
	s_mov_b32 s6, 0x37ffffff
	v_cmp_lt_u32_e64 s[6:7], s6, v1
	s_mov_b64 s[40:41], 0
                                        ; implicit-def: $vgpr1
	s_and_saveexec_b64 s[42:43], s[6:7]
	s_xor_b64 s[6:7], exec, s[42:43]
	s_cbranch_execz .LBB251_2527
; %bb.949:
	v_bfe_u32 v1, v0, 21, 1
	s_mov_b32 s33, 0x88fffff
	v_add3_u32 v1, v0, v1, s33
	s_mov_b64 s[40:41], exec
	v_lshrrev_b32_e32 v1, 21, v1
	s_andn2_saveexec_b64 s[42:43], s[6:7]
	s_cbranch_execnz .LBB251_2528
.LBB251_950:
	s_or_b64 exec, exec, s[42:43]
	v_mov_b32_e32 v19, 0
	s_and_saveexec_b64 s[6:7], s[40:41]
.LBB251_951:
	v_lshrrev_b32_e32 v0, 24, v0
	s_movk_i32 s33, 0x80
	v_and_or_b32 v19, v0, s33, v1
.LBB251_952:
	s_or_b64 exec, exec, s[6:7]
.LBB251_953:
	s_or_b64 exec, exec, s[38:39]
                                        ; implicit-def: $vgpr0_vgpr1
.LBB251_954:
	s_andn2_saveexec_b64 s[30:31], s[30:31]
	s_cbranch_execz .LBB251_962
; %bb.955:
	flat_load_dword v0, v[0:1]
	s_mov_b32 s6, 0x47800000
	s_waitcnt vmcnt(0) lgkmcnt(0)
	v_mov_b32_e32 v19, 0x80
	v_cvt_f32_i32_e32 v0, v0
	v_and_b32_e32 v1, 0x7fffffff, v0
	v_cmp_gt_u32_e64 s[6:7], s6, v1
	s_and_saveexec_b64 s[38:39], s[6:7]
	s_cbranch_execz .LBB251_961
; %bb.956:
	s_mov_b32 s6, 0x37ffffff
	v_cmp_lt_u32_e64 s[6:7], s6, v1
	s_mov_b64 s[40:41], 0
                                        ; implicit-def: $vgpr1
	s_and_saveexec_b64 s[42:43], s[6:7]
	s_xor_b64 s[6:7], exec, s[42:43]
	s_cbranch_execz .LBB251_2529
; %bb.957:
	v_bfe_u32 v1, v0, 21, 1
	s_mov_b32 s33, 0x88fffff
	v_add3_u32 v1, v0, v1, s33
	s_mov_b64 s[40:41], exec
	v_lshrrev_b32_e32 v1, 21, v1
	s_andn2_saveexec_b64 s[42:43], s[6:7]
	s_cbranch_execnz .LBB251_2530
.LBB251_958:
	s_or_b64 exec, exec, s[42:43]
	v_mov_b32_e32 v19, 0
	s_and_saveexec_b64 s[6:7], s[40:41]
.LBB251_959:
	v_lshrrev_b32_e32 v0, 24, v0
	s_movk_i32 s33, 0x80
	v_and_or_b32 v19, v0, s33, v1
.LBB251_960:
	s_or_b64 exec, exec, s[6:7]
.LBB251_961:
	s_or_b64 exec, exec, s[38:39]
.LBB251_962:
	s_or_b64 exec, exec, s[30:31]
                                        ; implicit-def: $vgpr0_vgpr1
.LBB251_963:
	s_andn2_saveexec_b64 s[28:29], s[28:29]
	s_cbranch_execz .LBB251_971
; %bb.964:
	flat_load_sshort v0, v[0:1]
	s_mov_b32 s6, 0x47800000
	s_waitcnt vmcnt(0) lgkmcnt(0)
	v_mov_b32_e32 v19, 0x80
	v_cvt_f32_i32_e32 v0, v0
	v_and_b32_e32 v1, 0x7fffffff, v0
	v_cmp_gt_u32_e64 s[6:7], s6, v1
	s_and_saveexec_b64 s[30:31], s[6:7]
	s_cbranch_execz .LBB251_970
; %bb.965:
	s_mov_b32 s6, 0x37ffffff
	v_cmp_lt_u32_e64 s[6:7], s6, v1
	s_mov_b64 s[38:39], 0
                                        ; implicit-def: $vgpr1
	s_and_saveexec_b64 s[40:41], s[6:7]
	s_xor_b64 s[6:7], exec, s[40:41]
	s_cbranch_execz .LBB251_2438
; %bb.966:
	v_bfe_u32 v1, v0, 21, 1
	s_mov_b32 s33, 0x88fffff
	v_add3_u32 v1, v0, v1, s33
	s_mov_b64 s[38:39], exec
	v_lshrrev_b32_e32 v1, 21, v1
	s_andn2_saveexec_b64 s[40:41], s[6:7]
	s_cbranch_execnz .LBB251_2439
.LBB251_967:
	s_or_b64 exec, exec, s[40:41]
	v_mov_b32_e32 v19, 0
	s_and_saveexec_b64 s[6:7], s[38:39]
.LBB251_968:
	v_lshrrev_b32_e32 v0, 24, v0
	s_movk_i32 s33, 0x80
	v_and_or_b32 v19, v0, s33, v1
.LBB251_969:
	s_or_b64 exec, exec, s[6:7]
.LBB251_970:
	s_or_b64 exec, exec, s[30:31]
.LBB251_971:
	s_or_b64 exec, exec, s[28:29]
                                        ; implicit-def: $vgpr0_vgpr1
.LBB251_972:
	s_andn2_saveexec_b64 s[26:27], s[26:27]
	s_cbranch_execz .LBB251_990
; %bb.973:
	v_cmp_lt_i16_e64 s[6:7], 0, v6
                                        ; implicit-def: $vgpr19
	s_and_saveexec_b64 s[28:29], s[6:7]
	s_xor_b64 s[28:29], exec, s[28:29]
	s_cbranch_execz .LBB251_981
; %bb.974:
	flat_load_sbyte v0, v[0:1]
	s_mov_b32 s6, 0x47800000
	s_waitcnt vmcnt(0) lgkmcnt(0)
	v_mov_b32_e32 v19, 0x80
	v_cvt_f32_i32_e32 v0, v0
	v_and_b32_e32 v1, 0x7fffffff, v0
	v_cmp_gt_u32_e64 s[6:7], s6, v1
	s_and_saveexec_b64 s[30:31], s[6:7]
	s_cbranch_execz .LBB251_980
; %bb.975:
	s_mov_b32 s6, 0x37ffffff
	v_cmp_lt_u32_e64 s[6:7], s6, v1
	s_mov_b64 s[38:39], 0
                                        ; implicit-def: $vgpr1
	s_and_saveexec_b64 s[40:41], s[6:7]
	s_xor_b64 s[6:7], exec, s[40:41]
	s_cbranch_execz .LBB251_2440
; %bb.976:
	v_bfe_u32 v1, v0, 21, 1
	s_mov_b32 s33, 0x88fffff
	v_add3_u32 v1, v0, v1, s33
	s_mov_b64 s[38:39], exec
	v_lshrrev_b32_e32 v1, 21, v1
	s_andn2_saveexec_b64 s[40:41], s[6:7]
	s_cbranch_execnz .LBB251_2441
.LBB251_977:
	s_or_b64 exec, exec, s[40:41]
	v_mov_b32_e32 v19, 0
	s_and_saveexec_b64 s[6:7], s[38:39]
.LBB251_978:
	v_lshrrev_b32_e32 v0, 24, v0
	s_movk_i32 s33, 0x80
	v_and_or_b32 v19, v0, s33, v1
.LBB251_979:
	s_or_b64 exec, exec, s[6:7]
.LBB251_980:
	s_or_b64 exec, exec, s[30:31]
                                        ; implicit-def: $vgpr0_vgpr1
.LBB251_981:
	s_andn2_saveexec_b64 s[28:29], s[28:29]
	s_cbranch_execz .LBB251_989
; %bb.982:
	flat_load_ubyte v0, v[0:1]
	s_mov_b32 s6, 0x47800000
	s_waitcnt vmcnt(0) lgkmcnt(0)
	v_mov_b32_e32 v19, 0x80
	v_cvt_f32_ubyte0_e32 v1, v0
	v_cmp_gt_u32_e64 s[6:7], s6, v1
	s_and_saveexec_b64 s[30:31], s[6:7]
	s_cbranch_execz .LBB251_988
; %bb.983:
	s_mov_b32 s6, 0x37ffffff
	v_cmp_lt_u32_e64 s[6:7], s6, v1
	s_mov_b64 s[38:39], 0
                                        ; implicit-def: $vgpr0
	s_and_saveexec_b64 s[40:41], s[6:7]
	s_xor_b64 s[6:7], exec, s[40:41]
	s_cbranch_execz .LBB251_2442
; %bb.984:
	v_bfe_u32 v0, v1, 21, 1
	s_mov_b32 s33, 0x88fffff
	v_add3_u32 v0, v1, v0, s33
	s_mov_b64 s[38:39], exec
	v_lshrrev_b32_e32 v0, 21, v0
                                        ; implicit-def: $vgpr1
	s_andn2_saveexec_b64 s[40:41], s[6:7]
	s_cbranch_execnz .LBB251_2443
.LBB251_985:
	s_or_b64 exec, exec, s[40:41]
	v_mov_b32_e32 v19, 0
	s_and_saveexec_b64 s[6:7], s[38:39]
.LBB251_986:
	v_mov_b32_e32 v19, v0
.LBB251_987:
	s_or_b64 exec, exec, s[6:7]
.LBB251_988:
	s_or_b64 exec, exec, s[30:31]
.LBB251_989:
	s_or_b64 exec, exec, s[28:29]
.LBB251_990:
	s_or_b64 exec, exec, s[26:27]
.LBB251_991:
	s_or_b64 exec, exec, s[24:25]
	s_or_b64 s[22:23], s[22:23], exec
.LBB251_992:
	s_or_b64 exec, exec, s[20:21]
	s_mov_b64 s[6:7], 0
	s_mov_b64 s[24:25], 0
                                        ; implicit-def: $sgpr40_sgpr41
                                        ; implicit-def: $vgpr0_vgpr1
                                        ; implicit-def: $vgpr18
	s_and_saveexec_b64 s[20:21], s[22:23]
	s_cbranch_execz .LBB251_1917
; %bb.993:
	v_lshlrev_b32_e32 v12, 7, v14
	v_add_u32_e32 v13, v15, v12
	v_ashrrev_i32_e32 v1, 31, v13
	v_add_co_u32_e64 v0, s[6:7], v8, v13
	v_addc_co_u32_e64 v1, s[6:7], v9, v1, s[6:7]
	v_cmp_lt_i16_e64 s[6:7], 10, v5
	s_mov_b64 s[26:27], 0
	s_mov_b64 s[22:23], s[16:17]
                                        ; implicit-def: $vgpr14
	s_and_saveexec_b64 s[24:25], s[6:7]
	s_xor_b64 s[24:25], exec, s[24:25]
	s_cbranch_execz .LBB251_1074
; %bb.994:
	v_cmp_lt_i16_e64 s[6:7], 25, v5
	s_mov_b64 s[22:23], 0
	s_mov_b64 s[30:31], 0
	;; [unrolled: 1-line block ×3, first 2 shown]
                                        ; implicit-def: $vgpr14
	s_and_saveexec_b64 s[26:27], s[6:7]
	s_xor_b64 s[26:27], exec, s[26:27]
	s_cbranch_execz .LBB251_2221
; %bb.995:
	v_cmp_lt_i16_e64 s[6:7], 28, v5
	s_mov_b64 s[38:39], 0
                                        ; implicit-def: $vgpr14
	s_and_saveexec_b64 s[28:29], s[6:7]
	s_xor_b64 s[28:29], exec, s[28:29]
	s_cbranch_execz .LBB251_1029
; %bb.996:
	v_cmp_lt_i16_e64 s[6:7], 43, v5
	s_mov_b64 s[40:41], 0
	s_mov_b64 s[42:43], 0
                                        ; implicit-def: $vgpr14
	s_and_saveexec_b64 s[30:31], s[6:7]
	s_xor_b64 s[30:31], exec, s[30:31]
	s_cbranch_execz .LBB251_1018
; %bb.997:
	v_cmp_lt_i16_e64 s[6:7], 45, v5
                                        ; implicit-def: $vgpr14
	s_and_saveexec_b64 s[42:43], s[6:7]
	s_xor_b64 s[42:43], exec, s[42:43]
	s_cbranch_execz .LBB251_1007
; %bb.998:
	v_cmp_eq_u16_e64 s[6:7], 46, v5
	s_mov_b64 s[44:45], -1
                                        ; implicit-def: $vgpr14
	s_and_saveexec_b64 s[38:39], s[6:7]
	s_cbranch_execz .LBB251_1006
; %bb.999:
	flat_load_dword v14, v[0:1]
	s_mov_b32 s6, 0x47800000
	s_waitcnt vmcnt(0) lgkmcnt(0)
	v_lshlrev_b32_e32 v15, 16, v14
	v_and_b32_e32 v18, 0x7fffffff, v15
	v_cmp_gt_u32_e64 s[6:7], s6, v18
	v_mov_b32_e32 v14, 0x80
	s_and_saveexec_b64 s[40:41], s[6:7]
	s_cbranch_execz .LBB251_1005
; %bb.1000:
	s_mov_b32 s6, 0x37ffffff
	v_cmp_lt_u32_e64 s[6:7], s6, v18
	s_mov_b64 s[44:45], 0
                                        ; implicit-def: $vgpr18
	s_and_saveexec_b64 s[46:47], s[6:7]
	s_xor_b64 s[6:7], exec, s[46:47]
	s_cbranch_execz .LBB251_2687
; %bb.1001:
	v_bfe_u32 v14, v15, 21, 1
	s_mov_b32 s33, 0x88fffff
	v_add3_u32 v14, v15, v14, s33
	s_mov_b64 s[44:45], exec
	v_lshrrev_b32_e32 v18, 21, v14
	s_andn2_saveexec_b64 s[46:47], s[6:7]
	s_cbranch_execnz .LBB251_2688
.LBB251_1002:
	s_or_b64 exec, exec, s[46:47]
	v_mov_b32_e32 v14, 0
	s_and_saveexec_b64 s[6:7], s[44:45]
.LBB251_1003:
	v_lshrrev_b32_e32 v14, 24, v15
	s_movk_i32 s33, 0x80
	v_and_or_b32 v14, v14, s33, v18
.LBB251_1004:
	s_or_b64 exec, exec, s[6:7]
.LBB251_1005:
	s_or_b64 exec, exec, s[40:41]
	s_mov_b64 s[40:41], exec
	s_xor_b64 s[44:45], exec, -1
.LBB251_1006:
	s_or_b64 exec, exec, s[38:39]
	s_and_b64 s[40:41], s[40:41], exec
	s_and_b64 s[38:39], s[44:45], exec
.LBB251_1007:
	s_andn2_saveexec_b64 s[42:43], s[42:43]
	s_cbranch_execz .LBB251_1017
; %bb.1008:
	v_cmp_eq_u16_e64 s[6:7], 44, v5
	s_mov_b64 s[46:47], -1
	s_mov_b64 s[48:49], s[40:41]
                                        ; implicit-def: $vgpr14
	s_and_saveexec_b64 s[44:45], s[6:7]
	s_cbranch_execz .LBB251_1016
; %bb.1009:
	flat_load_ubyte v14, v[0:1]
	s_movk_i32 s6, 0xff
	v_mov_b32_e32 v15, 0x7f800001
	v_mov_b32_e32 v18, 0x400000
	s_mov_b32 s33, 0x47800000
	s_waitcnt vmcnt(0) lgkmcnt(0)
	v_lshlrev_b32_e32 v20, 23, v14
	v_cmp_ne_u32_e64 s[6:7], s6, v14
	v_cndmask_b32_e64 v15, v15, v20, s[6:7]
	v_cmp_ne_u32_e64 s[6:7], 0, v14
	v_cndmask_b32_e64 v18, v18, v15, s[6:7]
	v_cmp_gt_u32_e64 s[6:7], s33, v18
	v_mov_b32_e32 v14, 0x80
	s_and_saveexec_b64 s[46:47], s[6:7]
	s_cbranch_execz .LBB251_1015
; %bb.1010:
	s_mov_b32 s6, 0x37ffffff
	v_cmp_lt_u32_e64 s[6:7], s6, v18
	s_mov_b64 s[48:49], 0
                                        ; implicit-def: $vgpr15
	s_and_saveexec_b64 s[50:51], s[6:7]
	s_xor_b64 s[6:7], exec, s[50:51]
	s_cbranch_execz .LBB251_2689
; %bb.1011:
	v_bfe_u32 v14, v18, 21, 1
	s_mov_b32 s33, 0x88fffff
	v_add3_u32 v14, v18, v14, s33
	s_mov_b64 s[48:49], exec
	v_lshrrev_b32_e32 v15, 21, v14
                                        ; implicit-def: $vgpr18
	s_andn2_saveexec_b64 s[50:51], s[6:7]
	s_cbranch_execnz .LBB251_2690
.LBB251_1012:
	s_or_b64 exec, exec, s[50:51]
	v_mov_b32_e32 v14, 0
	s_and_saveexec_b64 s[6:7], s[48:49]
.LBB251_1013:
	v_mov_b32_e32 v14, v15
.LBB251_1014:
	s_or_b64 exec, exec, s[6:7]
.LBB251_1015:
	s_or_b64 exec, exec, s[46:47]
	s_or_b64 s[48:49], s[40:41], exec
	s_xor_b64 s[46:47], exec, -1
.LBB251_1016:
	s_or_b64 exec, exec, s[44:45]
	s_andn2_b64 s[6:7], s[40:41], exec
	s_and_b64 s[40:41], s[48:49], exec
	s_or_b64 s[40:41], s[6:7], s[40:41]
	s_andn2_b64 s[6:7], s[38:39], exec
	s_and_b64 s[38:39], s[46:47], exec
	s_or_b64 s[38:39], s[6:7], s[38:39]
.LBB251_1017:
	s_or_b64 exec, exec, s[42:43]
	s_and_b64 s[42:43], s[40:41], exec
	s_and_b64 s[40:41], s[38:39], exec
.LBB251_1018:
	s_andn2_saveexec_b64 s[30:31], s[30:31]
	s_cbranch_execz .LBB251_1028
; %bb.1019:
	v_cmp_eq_u16_e64 s[6:7], 29, v5
	s_mov_b64 s[44:45], -1
	s_mov_b64 s[46:47], s[42:43]
                                        ; implicit-def: $vgpr14
	s_and_saveexec_b64 s[38:39], s[6:7]
	s_cbranch_execz .LBB251_1027
; %bb.1020:
	flat_load_dwordx2 v[14:15], v[0:1]
	s_mov_b32 s6, 0x47800000
	s_waitcnt vmcnt(0) lgkmcnt(0)
	v_ffbh_u32_e32 v18, v15
	v_min_u32_e32 v18, 32, v18
	v_lshlrev_b64 v[14:15], v18, v[14:15]
	v_min_u32_e32 v14, 1, v14
	v_or_b32_e32 v14, v15, v14
	v_cvt_f32_u32_e32 v14, v14
	v_sub_u32_e32 v15, 32, v18
	v_ldexp_f32 v18, v14, v15
	v_cmp_gt_u32_e64 s[6:7], s6, v18
	v_mov_b32_e32 v14, 0x80
	s_and_saveexec_b64 s[44:45], s[6:7]
	s_cbranch_execz .LBB251_1026
; %bb.1021:
	s_mov_b32 s6, 0x37ffffff
	v_cmp_lt_u32_e64 s[6:7], s6, v18
	s_mov_b64 s[46:47], 0
                                        ; implicit-def: $vgpr15
	s_and_saveexec_b64 s[48:49], s[6:7]
	s_xor_b64 s[6:7], exec, s[48:49]
	s_cbranch_execz .LBB251_2604
; %bb.1022:
	v_bfe_u32 v14, v18, 21, 1
	s_mov_b32 s33, 0x88fffff
	v_add3_u32 v14, v18, v14, s33
	s_mov_b64 s[46:47], exec
	v_lshrrev_b32_e32 v15, 21, v14
                                        ; implicit-def: $vgpr18
	s_andn2_saveexec_b64 s[48:49], s[6:7]
	s_cbranch_execnz .LBB251_2605
.LBB251_1023:
	s_or_b64 exec, exec, s[48:49]
	v_mov_b32_e32 v14, 0
	s_and_saveexec_b64 s[6:7], s[46:47]
.LBB251_1024:
	v_mov_b32_e32 v14, v15
.LBB251_1025:
	s_or_b64 exec, exec, s[6:7]
.LBB251_1026:
	s_or_b64 exec, exec, s[44:45]
	s_or_b64 s[46:47], s[42:43], exec
	s_xor_b64 s[44:45], exec, -1
.LBB251_1027:
	s_or_b64 exec, exec, s[38:39]
	s_andn2_b64 s[6:7], s[42:43], exec
	s_and_b64 s[38:39], s[46:47], exec
	s_or_b64 s[42:43], s[6:7], s[38:39]
	s_andn2_b64 s[6:7], s[40:41], exec
	s_and_b64 s[38:39], s[44:45], exec
	s_or_b64 s[40:41], s[6:7], s[38:39]
.LBB251_1028:
	s_or_b64 exec, exec, s[30:31]
	s_and_b64 s[38:39], s[42:43], exec
	s_and_b64 s[30:31], s[40:41], exec
.LBB251_1029:
	s_andn2_saveexec_b64 s[28:29], s[28:29]
	s_cbranch_execz .LBB251_1063
; %bb.1030:
	v_cmp_lt_i16_e64 s[6:7], 26, v5
                                        ; implicit-def: $vgpr14
	s_and_saveexec_b64 s[40:41], s[6:7]
	s_xor_b64 s[40:41], exec, s[40:41]
	s_cbranch_execz .LBB251_1048
; %bb.1031:
	v_cmp_lt_i16_e64 s[6:7], 27, v5
                                        ; implicit-def: $vgpr14
	s_and_saveexec_b64 s[42:43], s[6:7]
	s_xor_b64 s[42:43], exec, s[42:43]
	s_cbranch_execz .LBB251_1039
; %bb.1032:
	flat_load_dword v14, v[0:1]
	s_mov_b32 s6, 0x47800000
	s_waitcnt vmcnt(0) lgkmcnt(0)
	v_cvt_f32_u32_e32 v18, v14
	v_mov_b32_e32 v14, 0x80
	v_cmp_gt_u32_e64 s[6:7], s6, v18
	s_and_saveexec_b64 s[44:45], s[6:7]
	s_cbranch_execz .LBB251_1038
; %bb.1033:
	s_mov_b32 s6, 0x37ffffff
	v_cmp_lt_u32_e64 s[6:7], s6, v18
	s_mov_b64 s[46:47], 0
                                        ; implicit-def: $vgpr15
	s_and_saveexec_b64 s[48:49], s[6:7]
	s_xor_b64 s[6:7], exec, s[48:49]
	s_cbranch_execz .LBB251_2606
; %bb.1034:
	v_bfe_u32 v14, v18, 21, 1
	s_mov_b32 s33, 0x88fffff
	v_add3_u32 v14, v18, v14, s33
	s_mov_b64 s[46:47], exec
	v_lshrrev_b32_e32 v15, 21, v14
                                        ; implicit-def: $vgpr18
	s_andn2_saveexec_b64 s[48:49], s[6:7]
	s_cbranch_execnz .LBB251_2607
.LBB251_1035:
	s_or_b64 exec, exec, s[48:49]
	v_mov_b32_e32 v14, 0
	s_and_saveexec_b64 s[6:7], s[46:47]
.LBB251_1036:
	v_mov_b32_e32 v14, v15
.LBB251_1037:
	s_or_b64 exec, exec, s[6:7]
.LBB251_1038:
	s_or_b64 exec, exec, s[44:45]
.LBB251_1039:
	s_andn2_saveexec_b64 s[42:43], s[42:43]
	s_cbranch_execz .LBB251_1047
; %bb.1040:
	flat_load_ushort v14, v[0:1]
	s_mov_b32 s6, 0x47800000
	s_waitcnt vmcnt(0) lgkmcnt(0)
	v_cvt_f32_u32_e32 v18, v14
	v_mov_b32_e32 v14, 0x80
	v_cmp_gt_u32_e64 s[6:7], s6, v18
	s_and_saveexec_b64 s[44:45], s[6:7]
	s_cbranch_execz .LBB251_1046
; %bb.1041:
	s_mov_b32 s6, 0x37ffffff
	v_cmp_lt_u32_e64 s[6:7], s6, v18
	s_mov_b64 s[46:47], 0
                                        ; implicit-def: $vgpr15
	s_and_saveexec_b64 s[48:49], s[6:7]
	s_xor_b64 s[6:7], exec, s[48:49]
	s_cbranch_execz .LBB251_2608
; %bb.1042:
	v_bfe_u32 v14, v18, 21, 1
	s_mov_b32 s33, 0x88fffff
	v_add3_u32 v14, v18, v14, s33
	s_mov_b64 s[46:47], exec
	v_lshrrev_b32_e32 v15, 21, v14
                                        ; implicit-def: $vgpr18
	s_andn2_saveexec_b64 s[48:49], s[6:7]
	s_cbranch_execnz .LBB251_2609
.LBB251_1043:
	s_or_b64 exec, exec, s[48:49]
	v_mov_b32_e32 v14, 0
	s_and_saveexec_b64 s[6:7], s[46:47]
.LBB251_1044:
	v_mov_b32_e32 v14, v15
.LBB251_1045:
	s_or_b64 exec, exec, s[6:7]
.LBB251_1046:
	s_or_b64 exec, exec, s[44:45]
.LBB251_1047:
	s_or_b64 exec, exec, s[42:43]
.LBB251_1048:
	s_andn2_saveexec_b64 s[40:41], s[40:41]
	s_cbranch_execz .LBB251_1062
; %bb.1049:
	flat_load_ubyte v14, v[0:1]
	s_movk_i32 s6, 0x7f
	s_mov_b64 s[42:43], 0
	s_waitcnt vmcnt(0) lgkmcnt(0)
	v_cmp_lt_i16_e64 s[6:7], s6, v14
	s_and_saveexec_b64 s[44:45], s[6:7]
	s_xor_b64 s[44:45], exec, s[44:45]
	s_cbranch_execz .LBB251_2444
; %bb.1050:
	s_movk_i32 s6, 0x80
	v_cmp_eq_u16_e64 s[6:7], s6, v14
	s_mov_b64 s[42:43], -1
	s_and_saveexec_b64 s[46:47], s[6:7]
; %bb.1051:
	s_xor_b64 s[42:43], exec, -1
; %bb.1052:
	s_or_b64 exec, exec, s[46:47]
	s_and_b64 s[42:43], s[42:43], exec
	s_or_saveexec_b64 s[44:45], s[44:45]
	v_mov_b32_e32 v15, 0x7f800001
	s_xor_b64 exec, exec, s[44:45]
	s_cbranch_execnz .LBB251_2445
.LBB251_1053:
	s_or_b64 exec, exec, s[44:45]
	s_and_saveexec_b64 s[44:45], s[42:43]
	s_cbranch_execz .LBB251_1055
.LBB251_1054:
	v_lshlrev_b32_e32 v15, 24, v14
	v_and_b32_e32 v14, 0xffff, v14
	v_and_b32_e32 v18, 7, v14
	v_ffbh_u32_e32 v21, v18
	v_min_u32_e32 v21, 32, v21
	v_subrev_u32_e32 v22, 28, v21
	v_bfe_u32 v20, v14, 3, 4
	v_lshlrev_b32_e32 v14, v22, v14
	v_sub_u32_e32 v21, 29, v21
	v_and_b32_e32 v14, 7, v14
	v_cmp_eq_u32_e64 s[6:7], 0, v20
	v_cndmask_b32_e64 v20, v20, v21, s[6:7]
	v_cndmask_b32_e64 v14, v18, v14, s[6:7]
	v_mov_b32_e32 v18, 0x3b800000
	v_lshlrev_b32_e32 v14, 20, v14
	v_and_b32_e32 v15, 0x80000000, v15
	v_lshl_add_u32 v18, v20, 23, v18
	v_or3_b32 v15, v15, v18, v14
.LBB251_1055:
	s_or_b64 exec, exec, s[44:45]
	v_and_b32_e32 v18, 0x7fffffff, v15
	s_mov_b32 s6, 0x47800000
	v_cmp_gt_u32_e64 s[6:7], s6, v18
	v_mov_b32_e32 v14, 0x80
	s_and_saveexec_b64 s[42:43], s[6:7]
	s_cbranch_execz .LBB251_1061
; %bb.1056:
	s_mov_b32 s6, 0x37ffffff
	v_cmp_lt_u32_e64 s[6:7], s6, v18
	s_mov_b64 s[44:45], 0
                                        ; implicit-def: $vgpr18
	s_and_saveexec_b64 s[46:47], s[6:7]
	s_xor_b64 s[6:7], exec, s[46:47]
	s_cbranch_execz .LBB251_2531
; %bb.1057:
	v_bfe_u32 v14, v15, 21, 1
	s_mov_b32 s33, 0x88fffff
	v_add3_u32 v14, v15, v14, s33
	s_mov_b64 s[44:45], exec
	v_lshrrev_b32_e32 v18, 21, v14
	s_andn2_saveexec_b64 s[46:47], s[6:7]
	s_cbranch_execnz .LBB251_2532
.LBB251_1058:
	s_or_b64 exec, exec, s[46:47]
	v_mov_b32_e32 v14, 0
	s_and_saveexec_b64 s[6:7], s[44:45]
.LBB251_1059:
	v_lshrrev_b32_e32 v14, 24, v15
	s_movk_i32 s33, 0x80
	v_and_or_b32 v14, v14, s33, v18
.LBB251_1060:
	s_or_b64 exec, exec, s[6:7]
.LBB251_1061:
	s_or_b64 exec, exec, s[42:43]
.LBB251_1062:
	s_or_b64 exec, exec, s[40:41]
	s_or_b64 s[38:39], s[38:39], exec
.LBB251_1063:
	s_or_b64 exec, exec, s[28:29]
	s_and_b64 s[28:29], s[38:39], exec
	s_and_b64 s[30:31], s[30:31], exec
	s_andn2_saveexec_b64 s[26:27], s[26:27]
	s_cbranch_execnz .LBB251_2222
.LBB251_1064:
	s_or_b64 exec, exec, s[26:27]
	s_mov_b64 s[26:27], s[16:17]
	s_and_saveexec_b64 s[6:7], s[30:31]
	s_cbranch_execnz .LBB251_2259
.LBB251_1065:
	s_or_b64 exec, exec, s[6:7]
	s_and_saveexec_b64 s[6:7], s[22:23]
	s_xor_b64 s[22:23], exec, s[6:7]
	s_cbranch_execz .LBB251_1073
.LBB251_1066:
	flat_load_ubyte v0, v[0:1]
	s_mov_b32 s30, 0x47800000
	s_waitcnt vmcnt(0) lgkmcnt(0)
	v_mov_b32_e32 v14, 0x80
	v_cmp_ne_u16_e64 s[6:7], 0, v0
	v_cndmask_b32_e64 v1, 0, 1.0, s[6:7]
	v_cmp_gt_u32_e64 s[6:7], s30, v1
	s_and_saveexec_b64 s[30:31], s[6:7]
	s_cbranch_execz .LBB251_1072
; %bb.1067:
	s_mov_b32 s6, 0x37ffffff
	v_cmp_lt_u32_e64 s[6:7], s6, v1
	s_mov_b64 s[38:39], 0
                                        ; implicit-def: $vgpr0
	s_and_saveexec_b64 s[40:41], s[6:7]
	s_xor_b64 s[6:7], exec, s[40:41]
	s_cbranch_execz .LBB251_2359
; %bb.1068:
	v_bfe_u32 v0, v1, 21, 1
	s_mov_b32 s33, 0x88fffff
	v_add3_u32 v0, v1, v0, s33
	s_mov_b64 s[38:39], exec
	v_lshrrev_b32_e32 v0, 21, v0
                                        ; implicit-def: $vgpr1
	s_andn2_saveexec_b64 s[40:41], s[6:7]
	s_cbranch_execnz .LBB251_2360
.LBB251_1069:
	s_or_b64 exec, exec, s[40:41]
	v_mov_b32_e32 v14, 0
	s_and_saveexec_b64 s[6:7], s[38:39]
.LBB251_1070:
	v_mov_b32_e32 v14, v0
.LBB251_1071:
	s_or_b64 exec, exec, s[6:7]
.LBB251_1072:
	s_or_b64 exec, exec, s[30:31]
	s_or_b64 s[28:29], s[28:29], exec
.LBB251_1073:
	s_or_b64 exec, exec, s[22:23]
	s_andn2_b64 s[6:7], s[16:17], exec
	s_and_b64 s[22:23], s[26:27], exec
	s_or_b64 s[22:23], s[6:7], s[22:23]
	s_and_b64 s[26:27], s[28:29], exec
                                        ; implicit-def: $vgpr0_vgpr1
.LBB251_1074:
	s_andn2_saveexec_b64 s[24:25], s[24:25]
	s_cbranch_execz .LBB251_1182
; %bb.1075:
	v_cmp_lt_i16_e64 s[6:7], 4, v5
                                        ; implicit-def: $vgpr14
	s_and_saveexec_b64 s[28:29], s[6:7]
	s_xor_b64 s[28:29], exec, s[28:29]
	s_cbranch_execz .LBB251_1133
; %bb.1076:
	v_cmp_lt_i16_e64 s[6:7], 7, v5
                                        ; implicit-def: $vgpr14
	s_and_saveexec_b64 s[30:31], s[6:7]
	s_xor_b64 s[30:31], exec, s[30:31]
	;; [unrolled: 6-line block ×4, first 2 shown]
	s_cbranch_execz .LBB251_1086
; %bb.1079:
	flat_load_dwordx2 v[0:1], v[0:1]
	s_mov_b32 s6, 0x47800000
	s_waitcnt vmcnt(0) lgkmcnt(0)
	v_mov_b32_e32 v14, 0x80
	v_cvt_f32_f64_e32 v0, v[0:1]
	v_and_b32_e32 v1, 0x7fffffff, v0
	v_cmp_gt_u32_e64 s[6:7], s6, v1
	s_and_saveexec_b64 s[42:43], s[6:7]
	s_cbranch_execz .LBB251_1085
; %bb.1080:
	s_mov_b32 s6, 0x37ffffff
	v_cmp_lt_u32_e64 s[6:7], s6, v1
	s_mov_b64 s[44:45], 0
                                        ; implicit-def: $vgpr1
	s_and_saveexec_b64 s[46:47], s[6:7]
	s_xor_b64 s[6:7], exec, s[46:47]
	s_cbranch_execz .LBB251_2610
; %bb.1081:
	v_bfe_u32 v1, v0, 21, 1
	s_mov_b32 s33, 0x88fffff
	v_add3_u32 v1, v0, v1, s33
	s_mov_b64 s[44:45], exec
	v_lshrrev_b32_e32 v1, 21, v1
	s_andn2_saveexec_b64 s[46:47], s[6:7]
	s_cbranch_execnz .LBB251_2611
.LBB251_1082:
	s_or_b64 exec, exec, s[46:47]
	v_mov_b32_e32 v14, 0
	s_and_saveexec_b64 s[6:7], s[44:45]
.LBB251_1083:
	v_lshrrev_b32_e32 v0, 24, v0
	s_movk_i32 s33, 0x80
	v_and_or_b32 v14, v0, s33, v1
.LBB251_1084:
	s_or_b64 exec, exec, s[6:7]
.LBB251_1085:
	s_or_b64 exec, exec, s[42:43]
                                        ; implicit-def: $vgpr0_vgpr1
.LBB251_1086:
	s_andn2_saveexec_b64 s[40:41], s[40:41]
	s_cbranch_execz .LBB251_1094
; %bb.1087:
	flat_load_dword v0, v[0:1]
	s_mov_b32 s6, 0x47800000
	s_waitcnt vmcnt(0) lgkmcnt(0)
	v_mov_b32_e32 v14, 0x80
	v_and_b32_e32 v1, 0x7fffffff, v0
	v_cmp_gt_u32_e64 s[6:7], s6, v1
	s_and_saveexec_b64 s[42:43], s[6:7]
	s_cbranch_execz .LBB251_1093
; %bb.1088:
	s_mov_b32 s6, 0x37ffffff
	v_cmp_lt_u32_e64 s[6:7], s6, v1
	s_mov_b64 s[44:45], 0
                                        ; implicit-def: $vgpr1
	s_and_saveexec_b64 s[46:47], s[6:7]
	s_xor_b64 s[6:7], exec, s[46:47]
	s_cbranch_execz .LBB251_2612
; %bb.1089:
	v_bfe_u32 v1, v0, 21, 1
	s_mov_b32 s33, 0x88fffff
	v_add3_u32 v1, v0, v1, s33
	s_mov_b64 s[44:45], exec
	v_lshrrev_b32_e32 v1, 21, v1
	s_andn2_saveexec_b64 s[46:47], s[6:7]
	s_cbranch_execnz .LBB251_2613
.LBB251_1090:
	s_or_b64 exec, exec, s[46:47]
	v_mov_b32_e32 v14, 0
	s_and_saveexec_b64 s[6:7], s[44:45]
.LBB251_1091:
	v_lshrrev_b32_e32 v0, 24, v0
	s_movk_i32 s33, 0x80
	v_and_or_b32 v14, v0, s33, v1
.LBB251_1092:
	s_or_b64 exec, exec, s[6:7]
.LBB251_1093:
	s_or_b64 exec, exec, s[42:43]
.LBB251_1094:
	s_or_b64 exec, exec, s[40:41]
                                        ; implicit-def: $vgpr0_vgpr1
.LBB251_1095:
	s_andn2_saveexec_b64 s[38:39], s[38:39]
	s_cbranch_execz .LBB251_1103
; %bb.1096:
	flat_load_dword v0, v[0:1]
	s_mov_b32 s6, 0x47800000
	s_waitcnt vmcnt(0) lgkmcnt(0)
	v_mov_b32_e32 v14, 0x80
	v_cvt_f32_f16_e32 v0, v0
	v_and_b32_e32 v1, 0x7fffffff, v0
	v_cmp_gt_u32_e64 s[6:7], s6, v1
	s_and_saveexec_b64 s[40:41], s[6:7]
	s_cbranch_execz .LBB251_1102
; %bb.1097:
	s_mov_b32 s6, 0x37ffffff
	v_cmp_lt_u32_e64 s[6:7], s6, v1
	s_mov_b64 s[42:43], 0
                                        ; implicit-def: $vgpr1
	s_and_saveexec_b64 s[44:45], s[6:7]
	s_xor_b64 s[6:7], exec, s[44:45]
	s_cbranch_execz .LBB251_2533
; %bb.1098:
	v_bfe_u32 v1, v0, 21, 1
	s_mov_b32 s33, 0x88fffff
	v_add3_u32 v1, v0, v1, s33
	s_mov_b64 s[42:43], exec
	v_lshrrev_b32_e32 v1, 21, v1
	s_andn2_saveexec_b64 s[44:45], s[6:7]
	s_cbranch_execnz .LBB251_2534
.LBB251_1099:
	s_or_b64 exec, exec, s[44:45]
	v_mov_b32_e32 v14, 0
	s_and_saveexec_b64 s[6:7], s[42:43]
.LBB251_1100:
	v_lshrrev_b32_e32 v0, 24, v0
	s_movk_i32 s33, 0x80
	v_and_or_b32 v14, v0, s33, v1
.LBB251_1101:
	s_or_b64 exec, exec, s[6:7]
.LBB251_1102:
	s_or_b64 exec, exec, s[40:41]
.LBB251_1103:
	s_or_b64 exec, exec, s[38:39]
                                        ; implicit-def: $vgpr0_vgpr1
.LBB251_1104:
	s_andn2_saveexec_b64 s[30:31], s[30:31]
	s_cbranch_execz .LBB251_1132
; %bb.1105:
	v_cmp_lt_i16_e64 s[6:7], 5, v5
                                        ; implicit-def: $vgpr14
	s_and_saveexec_b64 s[38:39], s[6:7]
	s_xor_b64 s[38:39], exec, s[38:39]
	s_cbranch_execz .LBB251_1123
; %bb.1106:
	v_cmp_lt_i16_e64 s[6:7], 6, v5
                                        ; implicit-def: $vgpr14
	s_and_saveexec_b64 s[40:41], s[6:7]
	s_xor_b64 s[40:41], exec, s[40:41]
	s_cbranch_execz .LBB251_1114
; %bb.1107:
	flat_load_dwordx2 v[0:1], v[0:1]
	s_mov_b32 s6, 0x47800000
	s_waitcnt vmcnt(0) lgkmcnt(0)
	v_mov_b32_e32 v14, 0x80
	v_cvt_f32_f64_e32 v0, v[0:1]
	v_and_b32_e32 v1, 0x7fffffff, v0
	v_cmp_gt_u32_e64 s[6:7], s6, v1
	s_and_saveexec_b64 s[42:43], s[6:7]
	s_cbranch_execz .LBB251_1113
; %bb.1108:
	s_mov_b32 s6, 0x37ffffff
	v_cmp_lt_u32_e64 s[6:7], s6, v1
	s_mov_b64 s[44:45], 0
                                        ; implicit-def: $vgpr1
	s_and_saveexec_b64 s[46:47], s[6:7]
	s_xor_b64 s[6:7], exec, s[46:47]
	s_cbranch_execz .LBB251_2614
; %bb.1109:
	v_bfe_u32 v1, v0, 21, 1
	s_mov_b32 s33, 0x88fffff
	v_add3_u32 v1, v0, v1, s33
	s_mov_b64 s[44:45], exec
	v_lshrrev_b32_e32 v1, 21, v1
	s_andn2_saveexec_b64 s[46:47], s[6:7]
	s_cbranch_execnz .LBB251_2615
.LBB251_1110:
	s_or_b64 exec, exec, s[46:47]
	v_mov_b32_e32 v14, 0
	s_and_saveexec_b64 s[6:7], s[44:45]
.LBB251_1111:
	v_lshrrev_b32_e32 v0, 24, v0
	s_movk_i32 s33, 0x80
	v_and_or_b32 v14, v0, s33, v1
.LBB251_1112:
	s_or_b64 exec, exec, s[6:7]
.LBB251_1113:
	s_or_b64 exec, exec, s[42:43]
                                        ; implicit-def: $vgpr0_vgpr1
.LBB251_1114:
	s_andn2_saveexec_b64 s[40:41], s[40:41]
	s_cbranch_execz .LBB251_1122
; %bb.1115:
	flat_load_dword v0, v[0:1]
	s_mov_b32 s6, 0x47800000
	s_waitcnt vmcnt(0) lgkmcnt(0)
	v_mov_b32_e32 v14, 0x80
	v_and_b32_e32 v1, 0x7fffffff, v0
	v_cmp_gt_u32_e64 s[6:7], s6, v1
	s_and_saveexec_b64 s[42:43], s[6:7]
	s_cbranch_execz .LBB251_1121
; %bb.1116:
	s_mov_b32 s6, 0x37ffffff
	v_cmp_lt_u32_e64 s[6:7], s6, v1
	s_mov_b64 s[44:45], 0
                                        ; implicit-def: $vgpr1
	s_and_saveexec_b64 s[46:47], s[6:7]
	s_xor_b64 s[6:7], exec, s[46:47]
	s_cbranch_execz .LBB251_2616
; %bb.1117:
	v_bfe_u32 v1, v0, 21, 1
	s_mov_b32 s33, 0x88fffff
	v_add3_u32 v1, v0, v1, s33
	s_mov_b64 s[44:45], exec
	v_lshrrev_b32_e32 v1, 21, v1
	s_andn2_saveexec_b64 s[46:47], s[6:7]
	s_cbranch_execnz .LBB251_2617
.LBB251_1118:
	s_or_b64 exec, exec, s[46:47]
	v_mov_b32_e32 v14, 0
	s_and_saveexec_b64 s[6:7], s[44:45]
.LBB251_1119:
	v_lshrrev_b32_e32 v0, 24, v0
	s_movk_i32 s33, 0x80
	v_and_or_b32 v14, v0, s33, v1
.LBB251_1120:
	s_or_b64 exec, exec, s[6:7]
.LBB251_1121:
	s_or_b64 exec, exec, s[42:43]
.LBB251_1122:
	s_or_b64 exec, exec, s[40:41]
                                        ; implicit-def: $vgpr0_vgpr1
.LBB251_1123:
	s_andn2_saveexec_b64 s[38:39], s[38:39]
	s_cbranch_execz .LBB251_1131
; %bb.1124:
	flat_load_ushort v0, v[0:1]
	s_mov_b32 s6, 0x47800000
	s_waitcnt vmcnt(0) lgkmcnt(0)
	v_mov_b32_e32 v14, 0x80
	v_cvt_f32_f16_e32 v0, v0
	v_and_b32_e32 v1, 0x7fffffff, v0
	v_cmp_gt_u32_e64 s[6:7], s6, v1
	s_and_saveexec_b64 s[40:41], s[6:7]
	s_cbranch_execz .LBB251_1130
; %bb.1125:
	s_mov_b32 s6, 0x37ffffff
	v_cmp_lt_u32_e64 s[6:7], s6, v1
	s_mov_b64 s[42:43], 0
                                        ; implicit-def: $vgpr1
	s_and_saveexec_b64 s[44:45], s[6:7]
	s_xor_b64 s[6:7], exec, s[44:45]
	s_cbranch_execz .LBB251_2535
; %bb.1126:
	v_bfe_u32 v1, v0, 21, 1
	s_mov_b32 s33, 0x88fffff
	v_add3_u32 v1, v0, v1, s33
	s_mov_b64 s[42:43], exec
	v_lshrrev_b32_e32 v1, 21, v1
	s_andn2_saveexec_b64 s[44:45], s[6:7]
	s_cbranch_execnz .LBB251_2536
.LBB251_1127:
	s_or_b64 exec, exec, s[44:45]
	v_mov_b32_e32 v14, 0
	s_and_saveexec_b64 s[6:7], s[42:43]
.LBB251_1128:
	v_lshrrev_b32_e32 v0, 24, v0
	s_movk_i32 s33, 0x80
	v_and_or_b32 v14, v0, s33, v1
.LBB251_1129:
	s_or_b64 exec, exec, s[6:7]
.LBB251_1130:
	s_or_b64 exec, exec, s[40:41]
.LBB251_1131:
	s_or_b64 exec, exec, s[38:39]
.LBB251_1132:
	s_or_b64 exec, exec, s[30:31]
                                        ; implicit-def: $vgpr0_vgpr1
.LBB251_1133:
	s_andn2_saveexec_b64 s[28:29], s[28:29]
	s_cbranch_execz .LBB251_1181
; %bb.1134:
	v_cmp_lt_i16_e64 s[6:7], 1, v5
                                        ; implicit-def: $vgpr14
	s_and_saveexec_b64 s[30:31], s[6:7]
	s_xor_b64 s[30:31], exec, s[30:31]
	s_cbranch_execz .LBB251_1162
; %bb.1135:
	v_cmp_lt_i16_e64 s[6:7], 2, v5
                                        ; implicit-def: $vgpr14
	s_and_saveexec_b64 s[38:39], s[6:7]
	s_xor_b64 s[38:39], exec, s[38:39]
	;; [unrolled: 6-line block ×3, first 2 shown]
	s_cbranch_execz .LBB251_1144
; %bb.1137:
	flat_load_dwordx2 v[0:1], v[0:1]
	s_mov_b32 s6, 0x47800000
	s_waitcnt vmcnt(0) lgkmcnt(0)
	v_xor_b32_e32 v15, v0, v1
	v_ffbh_i32_e32 v14, v1
	v_ashrrev_i32_e32 v15, 31, v15
	v_add_u32_e32 v14, -1, v14
	v_add_u32_e32 v15, 32, v15
	v_min_u32_e32 v14, v14, v15
	v_lshlrev_b64 v[0:1], v14, v[0:1]
	v_min_u32_e32 v0, 1, v0
	v_or_b32_e32 v0, v1, v0
	v_cvt_f32_i32_e32 v0, v0
	v_sub_u32_e32 v1, 32, v14
	v_mov_b32_e32 v14, 0x80
	v_ldexp_f32 v0, v0, v1
	v_and_b32_e32 v1, 0x7fffffff, v0
	v_cmp_gt_u32_e64 s[6:7], s6, v1
	s_and_saveexec_b64 s[42:43], s[6:7]
	s_cbranch_execz .LBB251_1143
; %bb.1138:
	s_mov_b32 s6, 0x37ffffff
	v_cmp_lt_u32_e64 s[6:7], s6, v1
	s_mov_b64 s[44:45], 0
                                        ; implicit-def: $vgpr1
	s_and_saveexec_b64 s[46:47], s[6:7]
	s_xor_b64 s[6:7], exec, s[46:47]
	s_cbranch_execz .LBB251_2618
; %bb.1139:
	v_bfe_u32 v1, v0, 21, 1
	s_mov_b32 s33, 0x88fffff
	v_add3_u32 v1, v0, v1, s33
	s_mov_b64 s[44:45], exec
	v_lshrrev_b32_e32 v1, 21, v1
	s_andn2_saveexec_b64 s[46:47], s[6:7]
	s_cbranch_execnz .LBB251_2619
.LBB251_1140:
	s_or_b64 exec, exec, s[46:47]
	v_mov_b32_e32 v14, 0
	s_and_saveexec_b64 s[6:7], s[44:45]
.LBB251_1141:
	v_lshrrev_b32_e32 v0, 24, v0
	s_movk_i32 s33, 0x80
	v_and_or_b32 v14, v0, s33, v1
.LBB251_1142:
	s_or_b64 exec, exec, s[6:7]
.LBB251_1143:
	s_or_b64 exec, exec, s[42:43]
                                        ; implicit-def: $vgpr0_vgpr1
.LBB251_1144:
	s_andn2_saveexec_b64 s[40:41], s[40:41]
	s_cbranch_execz .LBB251_1152
; %bb.1145:
	flat_load_dword v0, v[0:1]
	s_mov_b32 s6, 0x47800000
	s_waitcnt vmcnt(0) lgkmcnt(0)
	v_mov_b32_e32 v14, 0x80
	v_cvt_f32_i32_e32 v0, v0
	v_and_b32_e32 v1, 0x7fffffff, v0
	v_cmp_gt_u32_e64 s[6:7], s6, v1
	s_and_saveexec_b64 s[42:43], s[6:7]
	s_cbranch_execz .LBB251_1151
; %bb.1146:
	s_mov_b32 s6, 0x37ffffff
	v_cmp_lt_u32_e64 s[6:7], s6, v1
	s_mov_b64 s[44:45], 0
                                        ; implicit-def: $vgpr1
	s_and_saveexec_b64 s[46:47], s[6:7]
	s_xor_b64 s[6:7], exec, s[46:47]
	s_cbranch_execz .LBB251_2620
; %bb.1147:
	v_bfe_u32 v1, v0, 21, 1
	s_mov_b32 s33, 0x88fffff
	v_add3_u32 v1, v0, v1, s33
	s_mov_b64 s[44:45], exec
	v_lshrrev_b32_e32 v1, 21, v1
	s_andn2_saveexec_b64 s[46:47], s[6:7]
	s_cbranch_execnz .LBB251_2621
.LBB251_1148:
	s_or_b64 exec, exec, s[46:47]
	v_mov_b32_e32 v14, 0
	s_and_saveexec_b64 s[6:7], s[44:45]
.LBB251_1149:
	v_lshrrev_b32_e32 v0, 24, v0
	s_movk_i32 s33, 0x80
	v_and_or_b32 v14, v0, s33, v1
.LBB251_1150:
	s_or_b64 exec, exec, s[6:7]
.LBB251_1151:
	s_or_b64 exec, exec, s[42:43]
.LBB251_1152:
	s_or_b64 exec, exec, s[40:41]
                                        ; implicit-def: $vgpr0_vgpr1
.LBB251_1153:
	s_andn2_saveexec_b64 s[38:39], s[38:39]
	s_cbranch_execz .LBB251_1161
; %bb.1154:
	flat_load_sshort v0, v[0:1]
	s_mov_b32 s6, 0x47800000
	s_waitcnt vmcnt(0) lgkmcnt(0)
	v_mov_b32_e32 v14, 0x80
	v_cvt_f32_i32_e32 v0, v0
	v_and_b32_e32 v1, 0x7fffffff, v0
	v_cmp_gt_u32_e64 s[6:7], s6, v1
	s_and_saveexec_b64 s[40:41], s[6:7]
	s_cbranch_execz .LBB251_1160
; %bb.1155:
	s_mov_b32 s6, 0x37ffffff
	v_cmp_lt_u32_e64 s[6:7], s6, v1
	s_mov_b64 s[42:43], 0
                                        ; implicit-def: $vgpr1
	s_and_saveexec_b64 s[44:45], s[6:7]
	s_xor_b64 s[6:7], exec, s[44:45]
	s_cbranch_execz .LBB251_2537
; %bb.1156:
	v_bfe_u32 v1, v0, 21, 1
	s_mov_b32 s33, 0x88fffff
	v_add3_u32 v1, v0, v1, s33
	s_mov_b64 s[42:43], exec
	v_lshrrev_b32_e32 v1, 21, v1
	s_andn2_saveexec_b64 s[44:45], s[6:7]
	s_cbranch_execnz .LBB251_2538
.LBB251_1157:
	s_or_b64 exec, exec, s[44:45]
	v_mov_b32_e32 v14, 0
	s_and_saveexec_b64 s[6:7], s[42:43]
.LBB251_1158:
	v_lshrrev_b32_e32 v0, 24, v0
	s_movk_i32 s33, 0x80
	v_and_or_b32 v14, v0, s33, v1
.LBB251_1159:
	s_or_b64 exec, exec, s[6:7]
.LBB251_1160:
	s_or_b64 exec, exec, s[40:41]
.LBB251_1161:
	s_or_b64 exec, exec, s[38:39]
                                        ; implicit-def: $vgpr0_vgpr1
.LBB251_1162:
	s_andn2_saveexec_b64 s[30:31], s[30:31]
	s_cbranch_execz .LBB251_1180
; %bb.1163:
	v_cmp_lt_i16_e64 s[6:7], 0, v5
                                        ; implicit-def: $vgpr14
	s_and_saveexec_b64 s[38:39], s[6:7]
	s_xor_b64 s[38:39], exec, s[38:39]
	s_cbranch_execz .LBB251_1171
; %bb.1164:
	flat_load_sbyte v0, v[0:1]
	s_mov_b32 s6, 0x47800000
	s_waitcnt vmcnt(0) lgkmcnt(0)
	v_mov_b32_e32 v14, 0x80
	v_cvt_f32_i32_e32 v0, v0
	v_and_b32_e32 v1, 0x7fffffff, v0
	v_cmp_gt_u32_e64 s[6:7], s6, v1
	s_and_saveexec_b64 s[40:41], s[6:7]
	s_cbranch_execz .LBB251_1170
; %bb.1165:
	s_mov_b32 s6, 0x37ffffff
	v_cmp_lt_u32_e64 s[6:7], s6, v1
	s_mov_b64 s[42:43], 0
                                        ; implicit-def: $vgpr1
	s_and_saveexec_b64 s[44:45], s[6:7]
	s_xor_b64 s[6:7], exec, s[44:45]
	s_cbranch_execz .LBB251_2539
; %bb.1166:
	v_bfe_u32 v1, v0, 21, 1
	s_mov_b32 s33, 0x88fffff
	v_add3_u32 v1, v0, v1, s33
	s_mov_b64 s[42:43], exec
	v_lshrrev_b32_e32 v1, 21, v1
	s_andn2_saveexec_b64 s[44:45], s[6:7]
	s_cbranch_execnz .LBB251_2540
.LBB251_1167:
	s_or_b64 exec, exec, s[44:45]
	v_mov_b32_e32 v14, 0
	s_and_saveexec_b64 s[6:7], s[42:43]
.LBB251_1168:
	v_lshrrev_b32_e32 v0, 24, v0
	s_movk_i32 s33, 0x80
	v_and_or_b32 v14, v0, s33, v1
.LBB251_1169:
	s_or_b64 exec, exec, s[6:7]
.LBB251_1170:
	s_or_b64 exec, exec, s[40:41]
                                        ; implicit-def: $vgpr0_vgpr1
.LBB251_1171:
	s_andn2_saveexec_b64 s[38:39], s[38:39]
	s_cbranch_execz .LBB251_1179
; %bb.1172:
	flat_load_ubyte v0, v[0:1]
	s_mov_b32 s6, 0x47800000
	s_waitcnt vmcnt(0) lgkmcnt(0)
	v_mov_b32_e32 v14, 0x80
	v_cvt_f32_ubyte0_e32 v1, v0
	v_cmp_gt_u32_e64 s[6:7], s6, v1
	s_and_saveexec_b64 s[40:41], s[6:7]
	s_cbranch_execz .LBB251_1178
; %bb.1173:
	s_mov_b32 s6, 0x37ffffff
	v_cmp_lt_u32_e64 s[6:7], s6, v1
	s_mov_b64 s[42:43], 0
                                        ; implicit-def: $vgpr0
	s_and_saveexec_b64 s[44:45], s[6:7]
	s_xor_b64 s[6:7], exec, s[44:45]
	s_cbranch_execz .LBB251_2541
; %bb.1174:
	v_bfe_u32 v0, v1, 21, 1
	s_mov_b32 s33, 0x88fffff
	v_add3_u32 v0, v1, v0, s33
	s_mov_b64 s[42:43], exec
	v_lshrrev_b32_e32 v0, 21, v0
                                        ; implicit-def: $vgpr1
	s_andn2_saveexec_b64 s[44:45], s[6:7]
	s_cbranch_execnz .LBB251_2542
.LBB251_1175:
	s_or_b64 exec, exec, s[44:45]
	v_mov_b32_e32 v14, 0
	s_and_saveexec_b64 s[6:7], s[42:43]
.LBB251_1176:
	v_mov_b32_e32 v14, v0
.LBB251_1177:
	s_or_b64 exec, exec, s[6:7]
.LBB251_1178:
	s_or_b64 exec, exec, s[40:41]
.LBB251_1179:
	s_or_b64 exec, exec, s[38:39]
.LBB251_1180:
	s_or_b64 exec, exec, s[30:31]
.LBB251_1181:
	s_or_b64 exec, exec, s[28:29]
	s_or_b64 s[26:27], s[26:27], exec
.LBB251_1182:
	s_or_b64 exec, exec, s[24:25]
	s_mov_b64 s[6:7], 0
	s_mov_b64 s[30:31], 0
                                        ; implicit-def: $sgpr40_sgpr41
                                        ; implicit-def: $vgpr0_vgpr1
                                        ; implicit-def: $vgpr18
	s_and_saveexec_b64 s[24:25], s[26:27]
	s_cbranch_execz .LBB251_1916
; %bb.1183:
                                        ; implicit-def: $sgpr26_sgpr27
	s_and_saveexec_b64 s[6:7], s[4:5]
	s_xor_b64 s[28:29], exec, s[6:7]
	s_cbranch_execz .LBB251_1197
; %bb.1184:
	s_movk_i32 s6, 0x7f
	s_waitcnt vmcnt(0) lgkmcnt(0)
	v_cmp_gt_i16_sdwa s[26:27], v19, s6 src0_sel:BYTE_0 src1_sel:DWORD
	s_mov_b64 s[6:7], 0
	s_and_saveexec_b64 s[30:31], s[26:27]
	s_xor_b64 s[26:27], exec, s[30:31]
	s_cbranch_execz .LBB251_2276
; %bb.1185:
	s_movk_i32 s6, 0x80
	v_cmp_eq_u16_sdwa s[38:39], v19, s6 src0_sel:BYTE_0 src1_sel:DWORD
	s_mov_b64 s[6:7], -1
	s_and_saveexec_b64 s[30:31], s[38:39]
; %bb.1186:
	s_xor_b64 s[6:7], exec, -1
; %bb.1187:
	s_or_b64 exec, exec, s[30:31]
	s_and_b64 s[6:7], s[6:7], exec
	s_or_saveexec_b64 s[26:27], s[26:27]
	v_mov_b32_e32 v0, 0x7f800001
	s_xor_b64 exec, exec, s[26:27]
	s_cbranch_execnz .LBB251_2277
.LBB251_1188:
	s_or_b64 exec, exec, s[26:27]
	s_and_saveexec_b64 s[26:27], s[6:7]
	s_cbranch_execz .LBB251_1190
.LBB251_1189:
	v_and_b32_e32 v1, 3, v19
	v_ffbh_u32_e32 v15, v1
	v_min_u32_e32 v15, 32, v15
	v_lshrrev_b16_e32 v0, 2, v19
	v_subrev_u32_e32 v18, 29, v15
	v_and_b32_e32 v0, 31, v0
	v_lshlrev_b32_e32 v18, v18, v19
	v_sub_u32_e32 v15, 30, v15
	v_and_b32_e32 v18, 3, v18
	v_cmp_eq_u32_e64 s[6:7], 0, v0
	v_cndmask_b32_e64 v0, v0, v15, s[6:7]
	v_cndmask_b32_e64 v1, v1, v18, s[6:7]
	v_lshlrev_b32_e32 v15, 24, v19
	v_mov_b32_e32 v18, 0x37800000
	v_lshlrev_b32_e32 v1, 21, v1
	v_and_b32_e32 v15, 0x80000000, v15
	v_lshl_add_u32 v0, v0, 23, v18
	v_or3_b32 v0, v15, v0, v1
.LBB251_1190:
	s_or_b64 exec, exec, s[26:27]
	s_movk_i32 s6, 0x7f
	v_cmp_gt_i16_sdwa s[26:27], v14, s6 src0_sel:BYTE_0 src1_sel:DWORD
	s_mov_b64 s[6:7], 0
	s_and_saveexec_b64 s[30:31], s[26:27]
	s_xor_b64 s[26:27], exec, s[30:31]
	s_cbranch_execz .LBB251_2278
; %bb.1191:
	s_movk_i32 s6, 0x80
	v_cmp_eq_u16_sdwa s[38:39], v14, s6 src0_sel:BYTE_0 src1_sel:DWORD
	s_mov_b64 s[6:7], -1
	s_and_saveexec_b64 s[30:31], s[38:39]
; %bb.1192:
	s_xor_b64 s[6:7], exec, -1
; %bb.1193:
	s_or_b64 exec, exec, s[30:31]
	s_and_b64 s[6:7], s[6:7], exec
	s_or_saveexec_b64 s[26:27], s[26:27]
	v_mov_b32_e32 v1, 0x7f800001
	s_xor_b64 exec, exec, s[26:27]
	s_cbranch_execnz .LBB251_2279
.LBB251_1194:
	s_or_b64 exec, exec, s[26:27]
	s_and_saveexec_b64 s[26:27], s[6:7]
	s_cbranch_execz .LBB251_1196
.LBB251_1195:
	v_and_b32_e32 v15, 3, v14
	v_ffbh_u32_e32 v18, v15
	v_min_u32_e32 v18, 32, v18
	v_lshrrev_b16_e32 v1, 2, v14
	v_subrev_u32_e32 v19, 29, v18
	v_and_b32_e32 v1, 31, v1
	v_lshlrev_b32_e32 v19, v19, v14
	v_sub_u32_e32 v18, 30, v18
	v_and_b32_e32 v19, 3, v19
	v_cmp_eq_u32_e64 s[6:7], 0, v1
	v_cndmask_b32_e64 v1, v1, v18, s[6:7]
	v_cndmask_b32_e64 v15, v15, v19, s[6:7]
	v_lshlrev_b32_e32 v14, 24, v14
	v_mov_b32_e32 v18, 0x37800000
	v_lshlrev_b32_e32 v15, 21, v15
	v_and_b32_e32 v14, 0x80000000, v14
	v_lshl_add_u32 v1, v1, 23, v18
	v_or3_b32 v1, v14, v1, v15
.LBB251_1196:
	s_or_b64 exec, exec, s[26:27]
	v_cmp_neq_f32_e64 s[26:27], v0, v1
                                        ; implicit-def: $vgpr14
                                        ; implicit-def: $vgpr19
.LBB251_1197:
	s_andn2_saveexec_b64 s[28:29], s[28:29]
	s_cbranch_execz .LBB251_1211
; %bb.1198:
	s_movk_i32 s6, 0x7f
	s_waitcnt vmcnt(0) lgkmcnt(0)
	v_cmp_gt_i16_sdwa s[30:31], v19, s6 src0_sel:BYTE_0 src1_sel:DWORD
	s_mov_b64 s[6:7], 0
	s_and_saveexec_b64 s[38:39], s[30:31]
	s_xor_b64 s[30:31], exec, s[38:39]
	s_cbranch_execz .LBB251_2280
; %bb.1199:
	s_movk_i32 s6, 0x80
	v_cmp_eq_u16_sdwa s[40:41], v19, s6 src0_sel:BYTE_0 src1_sel:DWORD
	s_mov_b64 s[6:7], -1
	s_and_saveexec_b64 s[38:39], s[40:41]
; %bb.1200:
	s_xor_b64 s[6:7], exec, -1
; %bb.1201:
	s_or_b64 exec, exec, s[38:39]
	s_and_b64 s[6:7], s[6:7], exec
	s_or_saveexec_b64 s[30:31], s[30:31]
	v_mov_b32_e32 v0, 0x7f800001
	s_xor_b64 exec, exec, s[30:31]
	s_cbranch_execnz .LBB251_2281
.LBB251_1202:
	s_or_b64 exec, exec, s[30:31]
	s_and_saveexec_b64 s[30:31], s[6:7]
	s_cbranch_execz .LBB251_1204
.LBB251_1203:
	v_and_b32_e32 v1, 3, v19
	v_ffbh_u32_e32 v15, v1
	v_min_u32_e32 v15, 32, v15
	v_lshrrev_b16_e32 v0, 2, v19
	v_subrev_u32_e32 v18, 29, v15
	v_and_b32_e32 v0, 31, v0
	v_lshlrev_b32_e32 v18, v18, v19
	v_sub_u32_e32 v15, 30, v15
	v_and_b32_e32 v18, 3, v18
	v_cmp_eq_u32_e64 s[6:7], 0, v0
	v_cndmask_b32_e64 v0, v0, v15, s[6:7]
	v_cndmask_b32_e64 v1, v1, v18, s[6:7]
	v_lshlrev_b32_e32 v15, 24, v19
	v_mov_b32_e32 v18, 0x37800000
	v_lshlrev_b32_e32 v1, 21, v1
	v_and_b32_e32 v15, 0x80000000, v15
	v_lshl_add_u32 v0, v0, 23, v18
	v_or3_b32 v0, v15, v0, v1
.LBB251_1204:
	s_or_b64 exec, exec, s[30:31]
	s_movk_i32 s6, 0x7f
	v_cmp_gt_i16_sdwa s[30:31], v14, s6 src0_sel:BYTE_0 src1_sel:DWORD
	s_mov_b64 s[6:7], 0
	s_and_saveexec_b64 s[38:39], s[30:31]
	s_xor_b64 s[30:31], exec, s[38:39]
	s_cbranch_execz .LBB251_2282
; %bb.1205:
	s_movk_i32 s6, 0x80
	v_cmp_eq_u16_sdwa s[40:41], v14, s6 src0_sel:BYTE_0 src1_sel:DWORD
	s_mov_b64 s[6:7], -1
	s_and_saveexec_b64 s[38:39], s[40:41]
; %bb.1206:
	s_xor_b64 s[6:7], exec, -1
; %bb.1207:
	s_or_b64 exec, exec, s[38:39]
	s_and_b64 s[6:7], s[6:7], exec
	s_or_saveexec_b64 s[30:31], s[30:31]
	v_mov_b32_e32 v1, 0x7f800001
	s_xor_b64 exec, exec, s[30:31]
	s_cbranch_execnz .LBB251_2283
.LBB251_1208:
	s_or_b64 exec, exec, s[30:31]
	s_and_saveexec_b64 s[30:31], s[6:7]
	s_cbranch_execz .LBB251_1210
.LBB251_1209:
	v_and_b32_e32 v15, 3, v14
	v_ffbh_u32_e32 v18, v15
	v_min_u32_e32 v18, 32, v18
	v_lshrrev_b16_e32 v1, 2, v14
	v_subrev_u32_e32 v19, 29, v18
	v_and_b32_e32 v1, 31, v1
	v_lshlrev_b32_e32 v19, v19, v14
	v_sub_u32_e32 v18, 30, v18
	v_and_b32_e32 v19, 3, v19
	v_cmp_eq_u32_e64 s[6:7], 0, v1
	v_cndmask_b32_e64 v1, v1, v18, s[6:7]
	v_cndmask_b32_e64 v15, v15, v19, s[6:7]
	v_lshlrev_b32_e32 v14, 24, v14
	v_mov_b32_e32 v18, 0x37800000
	v_lshlrev_b32_e32 v15, 21, v15
	v_and_b32_e32 v14, 0x80000000, v14
	v_lshl_add_u32 v1, v1, 23, v18
	v_or3_b32 v1, v14, v1, v15
.LBB251_1210:
	s_or_b64 exec, exec, s[30:31]
	v_cmp_eq_f32_e64 s[6:7], v0, v1
	s_andn2_b64 s[26:27], s[26:27], exec
	s_and_b64 s[6:7], s[6:7], exec
	s_or_b64 s[26:27], s[26:27], s[6:7]
.LBB251_1211:
	s_or_b64 exec, exec, s[28:29]
	v_add_u32_e32 v0, v17, v16
	v_ashrrev_i32_e32 v1, 31, v0
	v_add_co_u32_e64 v0, s[6:7], v10, v0
	v_addc_co_u32_e64 v1, s[6:7], v11, v1, s[6:7]
	v_cmp_lt_i16_e64 s[6:7], 10, v6
	s_mov_b64 s[38:39], 0
	s_mov_b64 s[28:29], s[22:23]
                                        ; implicit-def: $vgpr10
	s_and_saveexec_b64 s[30:31], s[6:7]
	s_xor_b64 s[30:31], exec, s[30:31]
	s_cbranch_execz .LBB251_1292
; %bb.1212:
	v_cmp_lt_i16_e64 s[6:7], 25, v6
	s_mov_b64 s[28:29], 0
	s_mov_b64 s[42:43], 0
	;; [unrolled: 1-line block ×3, first 2 shown]
                                        ; implicit-def: $vgpr10
	s_and_saveexec_b64 s[38:39], s[6:7]
	s_xor_b64 s[38:39], exec, s[38:39]
	s_cbranch_execz .LBB251_2284
; %bb.1213:
	v_cmp_lt_i16_e64 s[6:7], 28, v6
	s_mov_b64 s[44:45], 0
                                        ; implicit-def: $vgpr10
	s_and_saveexec_b64 s[40:41], s[6:7]
	s_xor_b64 s[40:41], exec, s[40:41]
	s_cbranch_execz .LBB251_1247
; %bb.1214:
	v_cmp_lt_i16_e64 s[6:7], 43, v6
	s_mov_b64 s[46:47], 0
	s_mov_b64 s[48:49], 0
                                        ; implicit-def: $vgpr10
	s_and_saveexec_b64 s[42:43], s[6:7]
	s_xor_b64 s[42:43], exec, s[42:43]
	s_cbranch_execz .LBB251_1236
; %bb.1215:
	v_cmp_lt_i16_e64 s[6:7], 45, v6
                                        ; implicit-def: $vgpr10
	s_and_saveexec_b64 s[48:49], s[6:7]
	s_xor_b64 s[48:49], exec, s[48:49]
	s_cbranch_execz .LBB251_1225
; %bb.1216:
	v_cmp_eq_u16_e64 s[6:7], 46, v6
	s_mov_b64 s[50:51], -1
                                        ; implicit-def: $vgpr10
	s_and_saveexec_b64 s[44:45], s[6:7]
	s_cbranch_execz .LBB251_1224
; %bb.1217:
	flat_load_dword v6, v[0:1]
	s_mov_b32 s6, 0x47800000
	v_mov_b32_e32 v10, 0x80
	s_waitcnt vmcnt(0) lgkmcnt(0)
	v_lshlrev_b32_e32 v6, 16, v6
	v_and_b32_e32 v11, 0x7fffffff, v6
	v_cmp_gt_u32_e64 s[6:7], s6, v11
	s_and_saveexec_b64 s[46:47], s[6:7]
	s_cbranch_execz .LBB251_1223
; %bb.1218:
	s_mov_b32 s6, 0x37ffffff
	v_cmp_lt_u32_e64 s[6:7], s6, v11
	s_mov_b64 s[50:51], 0
                                        ; implicit-def: $vgpr11
	s_and_saveexec_b64 s[52:53], s[6:7]
	s_xor_b64 s[6:7], exec, s[52:53]
	s_cbranch_execz .LBB251_2770
; %bb.1219:
	v_bfe_u32 v10, v6, 21, 1
	s_mov_b32 s33, 0x88fffff
	v_add3_u32 v10, v6, v10, s33
	s_mov_b64 s[50:51], exec
	v_lshrrev_b32_e32 v11, 21, v10
	s_andn2_saveexec_b64 s[52:53], s[6:7]
	s_cbranch_execnz .LBB251_2771
.LBB251_1220:
	s_or_b64 exec, exec, s[52:53]
	v_mov_b32_e32 v10, 0
	s_and_saveexec_b64 s[6:7], s[50:51]
.LBB251_1221:
	v_lshrrev_b32_e32 v6, 24, v6
	s_movk_i32 s33, 0x80
	v_and_or_b32 v10, v6, s33, v11
.LBB251_1222:
	s_or_b64 exec, exec, s[6:7]
.LBB251_1223:
	s_or_b64 exec, exec, s[46:47]
	s_mov_b64 s[46:47], exec
	s_xor_b64 s[50:51], exec, -1
.LBB251_1224:
	s_or_b64 exec, exec, s[44:45]
	s_and_b64 s[46:47], s[46:47], exec
	s_and_b64 s[44:45], s[50:51], exec
                                        ; implicit-def: $vgpr6
.LBB251_1225:
	s_andn2_saveexec_b64 s[48:49], s[48:49]
	s_cbranch_execz .LBB251_1235
; %bb.1226:
	v_cmp_eq_u16_e64 s[6:7], 44, v6
	s_mov_b64 s[52:53], -1
	s_mov_b64 s[54:55], s[46:47]
                                        ; implicit-def: $vgpr10
	s_and_saveexec_b64 s[50:51], s[6:7]
	s_cbranch_execz .LBB251_1234
; %bb.1227:
	flat_load_ubyte v6, v[0:1]
	s_movk_i32 s6, 0xff
	v_mov_b32_e32 v10, 0x7f800001
	v_mov_b32_e32 v11, 0x400000
	s_mov_b32 s33, 0x47800000
	s_waitcnt vmcnt(0) lgkmcnt(0)
	v_lshlrev_b32_e32 v14, 23, v6
	v_cmp_ne_u32_e64 s[6:7], s6, v6
	v_cndmask_b32_e64 v10, v10, v14, s[6:7]
	v_cmp_ne_u32_e64 s[6:7], 0, v6
	v_cndmask_b32_e64 v11, v11, v10, s[6:7]
	v_cmp_gt_u32_e64 s[6:7], s33, v11
	v_mov_b32_e32 v10, 0x80
	s_and_saveexec_b64 s[52:53], s[6:7]
	s_cbranch_execz .LBB251_1233
; %bb.1228:
	s_mov_b32 s6, 0x37ffffff
	v_cmp_lt_u32_e64 s[6:7], s6, v11
	s_mov_b64 s[54:55], 0
                                        ; implicit-def: $vgpr6
	s_and_saveexec_b64 s[56:57], s[6:7]
	s_xor_b64 s[6:7], exec, s[56:57]
	s_cbranch_execz .LBB251_2772
; %bb.1229:
	v_bfe_u32 v6, v11, 21, 1
	s_mov_b32 s33, 0x88fffff
	v_add3_u32 v6, v11, v6, s33
	s_mov_b64 s[54:55], exec
	v_lshrrev_b32_e32 v6, 21, v6
                                        ; implicit-def: $vgpr11
	s_andn2_saveexec_b64 s[56:57], s[6:7]
	s_cbranch_execnz .LBB251_2773
.LBB251_1230:
	s_or_b64 exec, exec, s[56:57]
	v_mov_b32_e32 v10, 0
	s_and_saveexec_b64 s[6:7], s[54:55]
.LBB251_1231:
	v_mov_b32_e32 v10, v6
.LBB251_1232:
	s_or_b64 exec, exec, s[6:7]
.LBB251_1233:
	s_or_b64 exec, exec, s[52:53]
	s_or_b64 s[54:55], s[46:47], exec
	s_xor_b64 s[52:53], exec, -1
.LBB251_1234:
	s_or_b64 exec, exec, s[50:51]
	s_andn2_b64 s[6:7], s[46:47], exec
	s_and_b64 s[46:47], s[54:55], exec
	s_or_b64 s[46:47], s[6:7], s[46:47]
	s_andn2_b64 s[6:7], s[44:45], exec
	s_and_b64 s[44:45], s[52:53], exec
	s_or_b64 s[44:45], s[6:7], s[44:45]
.LBB251_1235:
	s_or_b64 exec, exec, s[48:49]
	s_and_b64 s[48:49], s[46:47], exec
	s_and_b64 s[46:47], s[44:45], exec
                                        ; implicit-def: $vgpr6
.LBB251_1236:
	s_andn2_saveexec_b64 s[42:43], s[42:43]
	s_cbranch_execz .LBB251_1246
; %bb.1237:
	v_cmp_eq_u16_e64 s[6:7], 29, v6
	s_mov_b64 s[50:51], -1
	s_mov_b64 s[52:53], s[48:49]
                                        ; implicit-def: $vgpr10
	s_and_saveexec_b64 s[44:45], s[6:7]
	s_cbranch_execz .LBB251_1245
; %bb.1238:
	flat_load_dwordx2 v[10:11], v[0:1]
	s_mov_b32 s6, 0x47800000
	s_waitcnt vmcnt(0) lgkmcnt(0)
	v_ffbh_u32_e32 v6, v11
	v_min_u32_e32 v6, 32, v6
	v_lshlrev_b64 v[10:11], v6, v[10:11]
	v_sub_u32_e32 v6, 32, v6
	v_min_u32_e32 v10, 1, v10
	v_or_b32_e32 v10, v11, v10
	v_cvt_f32_u32_e32 v10, v10
	v_ldexp_f32 v11, v10, v6
	v_cmp_gt_u32_e64 s[6:7], s6, v11
	v_mov_b32_e32 v10, 0x80
	s_and_saveexec_b64 s[50:51], s[6:7]
	s_cbranch_execz .LBB251_1244
; %bb.1239:
	s_mov_b32 s6, 0x37ffffff
	v_cmp_lt_u32_e64 s[6:7], s6, v11
	s_mov_b64 s[52:53], 0
                                        ; implicit-def: $vgpr6
	s_and_saveexec_b64 s[54:55], s[6:7]
	s_xor_b64 s[6:7], exec, s[54:55]
	s_cbranch_execz .LBB251_2691
; %bb.1240:
	v_bfe_u32 v6, v11, 21, 1
	s_mov_b32 s33, 0x88fffff
	v_add3_u32 v6, v11, v6, s33
	s_mov_b64 s[52:53], exec
	v_lshrrev_b32_e32 v6, 21, v6
                                        ; implicit-def: $vgpr11
	s_andn2_saveexec_b64 s[54:55], s[6:7]
	s_cbranch_execnz .LBB251_2692
.LBB251_1241:
	s_or_b64 exec, exec, s[54:55]
	v_mov_b32_e32 v10, 0
	s_and_saveexec_b64 s[6:7], s[52:53]
.LBB251_1242:
	v_mov_b32_e32 v10, v6
.LBB251_1243:
	s_or_b64 exec, exec, s[6:7]
.LBB251_1244:
	s_or_b64 exec, exec, s[50:51]
	s_or_b64 s[52:53], s[48:49], exec
	s_xor_b64 s[50:51], exec, -1
.LBB251_1245:
	s_or_b64 exec, exec, s[44:45]
	s_andn2_b64 s[6:7], s[48:49], exec
	s_and_b64 s[44:45], s[52:53], exec
	s_or_b64 s[48:49], s[6:7], s[44:45]
	s_andn2_b64 s[6:7], s[46:47], exec
	s_and_b64 s[44:45], s[50:51], exec
	s_or_b64 s[46:47], s[6:7], s[44:45]
.LBB251_1246:
	s_or_b64 exec, exec, s[42:43]
	s_and_b64 s[44:45], s[48:49], exec
	s_and_b64 s[42:43], s[46:47], exec
                                        ; implicit-def: $vgpr6
.LBB251_1247:
	s_andn2_saveexec_b64 s[40:41], s[40:41]
	s_cbranch_execz .LBB251_1281
; %bb.1248:
	v_cmp_lt_i16_e64 s[6:7], 26, v6
                                        ; implicit-def: $vgpr10
	s_and_saveexec_b64 s[46:47], s[6:7]
	s_xor_b64 s[46:47], exec, s[46:47]
	s_cbranch_execz .LBB251_1266
; %bb.1249:
	v_cmp_lt_i16_e64 s[6:7], 27, v6
                                        ; implicit-def: $vgpr10
	s_and_saveexec_b64 s[48:49], s[6:7]
	s_xor_b64 s[48:49], exec, s[48:49]
	s_cbranch_execz .LBB251_1257
; %bb.1250:
	flat_load_dword v6, v[0:1]
	s_mov_b32 s6, 0x47800000
	v_mov_b32_e32 v10, 0x80
	s_waitcnt vmcnt(0) lgkmcnt(0)
	v_cvt_f32_u32_e32 v11, v6
	v_cmp_gt_u32_e64 s[6:7], s6, v11
	s_and_saveexec_b64 s[50:51], s[6:7]
	s_cbranch_execz .LBB251_1256
; %bb.1251:
	s_mov_b32 s6, 0x37ffffff
	v_cmp_lt_u32_e64 s[6:7], s6, v11
	s_mov_b64 s[52:53], 0
                                        ; implicit-def: $vgpr6
	s_and_saveexec_b64 s[54:55], s[6:7]
	s_xor_b64 s[6:7], exec, s[54:55]
	s_cbranch_execz .LBB251_2693
; %bb.1252:
	v_bfe_u32 v6, v11, 21, 1
	s_mov_b32 s33, 0x88fffff
	v_add3_u32 v6, v11, v6, s33
	s_mov_b64 s[52:53], exec
	v_lshrrev_b32_e32 v6, 21, v6
                                        ; implicit-def: $vgpr11
	s_andn2_saveexec_b64 s[54:55], s[6:7]
	s_cbranch_execnz .LBB251_2694
.LBB251_1253:
	s_or_b64 exec, exec, s[54:55]
	v_mov_b32_e32 v10, 0
	s_and_saveexec_b64 s[6:7], s[52:53]
.LBB251_1254:
	v_mov_b32_e32 v10, v6
.LBB251_1255:
	s_or_b64 exec, exec, s[6:7]
.LBB251_1256:
	s_or_b64 exec, exec, s[50:51]
.LBB251_1257:
	s_andn2_saveexec_b64 s[48:49], s[48:49]
	s_cbranch_execz .LBB251_1265
; %bb.1258:
	flat_load_ushort v6, v[0:1]
	s_mov_b32 s6, 0x47800000
	v_mov_b32_e32 v10, 0x80
	s_waitcnt vmcnt(0) lgkmcnt(0)
	v_cvt_f32_u32_e32 v11, v6
	v_cmp_gt_u32_e64 s[6:7], s6, v11
	s_and_saveexec_b64 s[50:51], s[6:7]
	s_cbranch_execz .LBB251_1264
; %bb.1259:
	s_mov_b32 s6, 0x37ffffff
	v_cmp_lt_u32_e64 s[6:7], s6, v11
	s_mov_b64 s[52:53], 0
                                        ; implicit-def: $vgpr6
	s_and_saveexec_b64 s[54:55], s[6:7]
	s_xor_b64 s[6:7], exec, s[54:55]
	s_cbranch_execz .LBB251_2695
; %bb.1260:
	v_bfe_u32 v6, v11, 21, 1
	s_mov_b32 s33, 0x88fffff
	v_add3_u32 v6, v11, v6, s33
	s_mov_b64 s[52:53], exec
	v_lshrrev_b32_e32 v6, 21, v6
                                        ; implicit-def: $vgpr11
	s_andn2_saveexec_b64 s[54:55], s[6:7]
	s_cbranch_execnz .LBB251_2696
.LBB251_1261:
	s_or_b64 exec, exec, s[54:55]
	v_mov_b32_e32 v10, 0
	s_and_saveexec_b64 s[6:7], s[52:53]
.LBB251_1262:
	v_mov_b32_e32 v10, v6
.LBB251_1263:
	s_or_b64 exec, exec, s[6:7]
.LBB251_1264:
	s_or_b64 exec, exec, s[50:51]
.LBB251_1265:
	s_or_b64 exec, exec, s[48:49]
.LBB251_1266:
	s_andn2_saveexec_b64 s[46:47], s[46:47]
	s_cbranch_execz .LBB251_1280
; %bb.1267:
	flat_load_ubyte v10, v[0:1]
	s_movk_i32 s6, 0x7f
	s_mov_b64 s[48:49], 0
	s_waitcnt vmcnt(0) lgkmcnt(0)
	v_cmp_lt_i16_e64 s[6:7], s6, v10
	s_and_saveexec_b64 s[50:51], s[6:7]
	s_xor_b64 s[50:51], exec, s[50:51]
	s_cbranch_execz .LBB251_2543
; %bb.1268:
	s_movk_i32 s6, 0x80
	v_cmp_eq_u16_e64 s[6:7], s6, v10
	s_mov_b64 s[48:49], -1
	s_and_saveexec_b64 s[52:53], s[6:7]
; %bb.1269:
	s_xor_b64 s[48:49], exec, -1
; %bb.1270:
	s_or_b64 exec, exec, s[52:53]
	s_and_b64 s[48:49], s[48:49], exec
	s_or_saveexec_b64 s[50:51], s[50:51]
	v_mov_b32_e32 v6, 0x7f800001
	s_xor_b64 exec, exec, s[50:51]
	s_cbranch_execnz .LBB251_2544
.LBB251_1271:
	s_or_b64 exec, exec, s[50:51]
	s_and_saveexec_b64 s[50:51], s[48:49]
	s_cbranch_execz .LBB251_1273
.LBB251_1272:
	v_lshlrev_b32_e32 v6, 24, v10
	v_and_b32_e32 v10, 0xffff, v10
	v_and_b32_e32 v11, 7, v10
	v_ffbh_u32_e32 v15, v11
	v_min_u32_e32 v15, 32, v15
	v_subrev_u32_e32 v16, 28, v15
	v_bfe_u32 v14, v10, 3, 4
	v_lshlrev_b32_e32 v10, v16, v10
	v_sub_u32_e32 v15, 29, v15
	v_and_b32_e32 v10, 7, v10
	v_cmp_eq_u32_e64 s[6:7], 0, v14
	v_cndmask_b32_e64 v14, v14, v15, s[6:7]
	v_cndmask_b32_e64 v10, v11, v10, s[6:7]
	v_mov_b32_e32 v11, 0x3b800000
	v_lshlrev_b32_e32 v10, 20, v10
	v_and_b32_e32 v6, 0x80000000, v6
	v_lshl_add_u32 v11, v14, 23, v11
	v_or3_b32 v6, v6, v11, v10
.LBB251_1273:
	s_or_b64 exec, exec, s[50:51]
	v_and_b32_e32 v11, 0x7fffffff, v6
	s_mov_b32 s6, 0x47800000
	v_cmp_gt_u32_e64 s[6:7], s6, v11
	v_mov_b32_e32 v10, 0x80
	s_and_saveexec_b64 s[48:49], s[6:7]
	s_cbranch_execz .LBB251_1279
; %bb.1274:
	s_mov_b32 s6, 0x37ffffff
	v_cmp_lt_u32_e64 s[6:7], s6, v11
	s_mov_b64 s[50:51], 0
                                        ; implicit-def: $vgpr11
	s_and_saveexec_b64 s[52:53], s[6:7]
	s_xor_b64 s[6:7], exec, s[52:53]
	s_cbranch_execz .LBB251_2622
; %bb.1275:
	v_bfe_u32 v10, v6, 21, 1
	s_mov_b32 s33, 0x88fffff
	v_add3_u32 v10, v6, v10, s33
	s_mov_b64 s[50:51], exec
	v_lshrrev_b32_e32 v11, 21, v10
	s_andn2_saveexec_b64 s[52:53], s[6:7]
	s_cbranch_execnz .LBB251_2623
.LBB251_1276:
	s_or_b64 exec, exec, s[52:53]
	v_mov_b32_e32 v10, 0
	s_and_saveexec_b64 s[6:7], s[50:51]
.LBB251_1277:
	v_lshrrev_b32_e32 v6, 24, v6
	s_movk_i32 s33, 0x80
	v_and_or_b32 v10, v6, s33, v11
.LBB251_1278:
	s_or_b64 exec, exec, s[6:7]
.LBB251_1279:
	s_or_b64 exec, exec, s[48:49]
.LBB251_1280:
	s_or_b64 exec, exec, s[46:47]
	s_or_b64 s[44:45], s[44:45], exec
.LBB251_1281:
	s_or_b64 exec, exec, s[40:41]
	s_and_b64 s[40:41], s[44:45], exec
	s_and_b64 s[42:43], s[42:43], exec
                                        ; implicit-def: $vgpr6
	s_andn2_saveexec_b64 s[38:39], s[38:39]
	s_cbranch_execnz .LBB251_2285
.LBB251_1282:
	s_or_b64 exec, exec, s[38:39]
	s_mov_b64 s[38:39], s[22:23]
	s_and_saveexec_b64 s[6:7], s[42:43]
	s_cbranch_execnz .LBB251_2322
.LBB251_1283:
	s_or_b64 exec, exec, s[6:7]
	s_and_saveexec_b64 s[6:7], s[28:29]
	s_xor_b64 s[28:29], exec, s[6:7]
	s_cbranch_execz .LBB251_1291
.LBB251_1284:
	flat_load_ubyte v0, v[0:1]
	s_mov_b32 s33, 0x47800000
	s_waitcnt vmcnt(0) lgkmcnt(0)
	v_mov_b32_e32 v10, 0x80
	v_cmp_ne_u16_e64 s[6:7], 0, v0
	v_cndmask_b32_e64 v1, 0, 1.0, s[6:7]
	v_cmp_gt_u32_e64 s[6:7], s33, v1
	s_and_saveexec_b64 s[42:43], s[6:7]
	s_cbranch_execz .LBB251_1290
; %bb.1285:
	s_mov_b32 s6, 0x37ffffff
	v_cmp_lt_u32_e64 s[6:7], s6, v1
	s_mov_b64 s[44:45], 0
                                        ; implicit-def: $vgpr0
	s_and_saveexec_b64 s[46:47], s[6:7]
	s_xor_b64 s[6:7], exec, s[46:47]
	s_cbranch_execz .LBB251_2446
; %bb.1286:
	v_bfe_u32 v0, v1, 21, 1
	s_mov_b32 s33, 0x88fffff
	v_add3_u32 v0, v1, v0, s33
	s_mov_b64 s[44:45], exec
	v_lshrrev_b32_e32 v0, 21, v0
                                        ; implicit-def: $vgpr1
	s_andn2_saveexec_b64 s[46:47], s[6:7]
	s_cbranch_execnz .LBB251_2447
.LBB251_1287:
	s_or_b64 exec, exec, s[46:47]
	v_mov_b32_e32 v10, 0
	s_and_saveexec_b64 s[6:7], s[44:45]
.LBB251_1288:
	v_mov_b32_e32 v10, v0
.LBB251_1289:
	s_or_b64 exec, exec, s[6:7]
.LBB251_1290:
	s_or_b64 exec, exec, s[42:43]
	s_or_b64 s[40:41], s[40:41], exec
.LBB251_1291:
	s_or_b64 exec, exec, s[28:29]
	s_andn2_b64 s[6:7], s[22:23], exec
	s_and_b64 s[28:29], s[38:39], exec
	s_or_b64 s[28:29], s[6:7], s[28:29]
	s_and_b64 s[38:39], s[40:41], exec
                                        ; implicit-def: $vgpr6
                                        ; implicit-def: $vgpr0_vgpr1
.LBB251_1292:
	s_andn2_saveexec_b64 s[30:31], s[30:31]
	s_cbranch_execz .LBB251_1400
; %bb.1293:
	v_cmp_lt_i16_e64 s[6:7], 4, v6
                                        ; implicit-def: $vgpr10
	s_and_saveexec_b64 s[40:41], s[6:7]
	s_xor_b64 s[40:41], exec, s[40:41]
	s_cbranch_execz .LBB251_1351
; %bb.1294:
	v_cmp_lt_i16_e64 s[6:7], 7, v6
                                        ; implicit-def: $vgpr10
	s_and_saveexec_b64 s[42:43], s[6:7]
	s_xor_b64 s[42:43], exec, s[42:43]
	;; [unrolled: 6-line block ×4, first 2 shown]
	s_cbranch_execz .LBB251_1304
; %bb.1297:
	flat_load_dwordx2 v[0:1], v[0:1]
	s_mov_b32 s6, 0x47800000
	s_waitcnt vmcnt(0) lgkmcnt(0)
	v_mov_b32_e32 v10, 0x80
	v_cvt_f32_f64_e32 v0, v[0:1]
	v_and_b32_e32 v1, 0x7fffffff, v0
	v_cmp_gt_u32_e64 s[6:7], s6, v1
	s_and_saveexec_b64 s[48:49], s[6:7]
	s_cbranch_execz .LBB251_1303
; %bb.1298:
	s_mov_b32 s6, 0x37ffffff
	v_cmp_lt_u32_e64 s[6:7], s6, v1
	s_mov_b64 s[50:51], 0
                                        ; implicit-def: $vgpr1
	s_and_saveexec_b64 s[52:53], s[6:7]
	s_xor_b64 s[6:7], exec, s[52:53]
	s_cbranch_execz .LBB251_2697
; %bb.1299:
	v_bfe_u32 v1, v0, 21, 1
	s_mov_b32 s33, 0x88fffff
	v_add3_u32 v1, v0, v1, s33
	s_mov_b64 s[50:51], exec
	v_lshrrev_b32_e32 v1, 21, v1
	s_andn2_saveexec_b64 s[52:53], s[6:7]
	s_cbranch_execnz .LBB251_2698
.LBB251_1300:
	s_or_b64 exec, exec, s[52:53]
	v_mov_b32_e32 v10, 0
	s_and_saveexec_b64 s[6:7], s[50:51]
.LBB251_1301:
	v_lshrrev_b32_e32 v0, 24, v0
	s_movk_i32 s33, 0x80
	v_and_or_b32 v10, v0, s33, v1
.LBB251_1302:
	s_or_b64 exec, exec, s[6:7]
.LBB251_1303:
	s_or_b64 exec, exec, s[48:49]
                                        ; implicit-def: $vgpr0_vgpr1
.LBB251_1304:
	s_andn2_saveexec_b64 s[46:47], s[46:47]
	s_cbranch_execz .LBB251_1312
; %bb.1305:
	flat_load_dword v0, v[0:1]
	s_mov_b32 s6, 0x47800000
	s_waitcnt vmcnt(0) lgkmcnt(0)
	v_mov_b32_e32 v10, 0x80
	v_and_b32_e32 v1, 0x7fffffff, v0
	v_cmp_gt_u32_e64 s[6:7], s6, v1
	s_and_saveexec_b64 s[48:49], s[6:7]
	s_cbranch_execz .LBB251_1311
; %bb.1306:
	s_mov_b32 s6, 0x37ffffff
	v_cmp_lt_u32_e64 s[6:7], s6, v1
	s_mov_b64 s[50:51], 0
                                        ; implicit-def: $vgpr1
	s_and_saveexec_b64 s[52:53], s[6:7]
	s_xor_b64 s[6:7], exec, s[52:53]
	s_cbranch_execz .LBB251_2699
; %bb.1307:
	v_bfe_u32 v1, v0, 21, 1
	s_mov_b32 s33, 0x88fffff
	v_add3_u32 v1, v0, v1, s33
	s_mov_b64 s[50:51], exec
	v_lshrrev_b32_e32 v1, 21, v1
	s_andn2_saveexec_b64 s[52:53], s[6:7]
	s_cbranch_execnz .LBB251_2700
.LBB251_1308:
	s_or_b64 exec, exec, s[52:53]
	v_mov_b32_e32 v10, 0
	s_and_saveexec_b64 s[6:7], s[50:51]
.LBB251_1309:
	v_lshrrev_b32_e32 v0, 24, v0
	s_movk_i32 s33, 0x80
	v_and_or_b32 v10, v0, s33, v1
.LBB251_1310:
	s_or_b64 exec, exec, s[6:7]
.LBB251_1311:
	s_or_b64 exec, exec, s[48:49]
.LBB251_1312:
	s_or_b64 exec, exec, s[46:47]
                                        ; implicit-def: $vgpr0_vgpr1
.LBB251_1313:
	s_andn2_saveexec_b64 s[44:45], s[44:45]
	s_cbranch_execz .LBB251_1321
; %bb.1314:
	flat_load_dword v0, v[0:1]
	s_mov_b32 s6, 0x47800000
	s_waitcnt vmcnt(0) lgkmcnt(0)
	v_mov_b32_e32 v10, 0x80
	v_cvt_f32_f16_e32 v0, v0
	v_and_b32_e32 v1, 0x7fffffff, v0
	v_cmp_gt_u32_e64 s[6:7], s6, v1
	s_and_saveexec_b64 s[46:47], s[6:7]
	s_cbranch_execz .LBB251_1320
; %bb.1315:
	s_mov_b32 s6, 0x37ffffff
	v_cmp_lt_u32_e64 s[6:7], s6, v1
	s_mov_b64 s[48:49], 0
                                        ; implicit-def: $vgpr1
	s_and_saveexec_b64 s[50:51], s[6:7]
	s_xor_b64 s[6:7], exec, s[50:51]
	s_cbranch_execz .LBB251_2624
; %bb.1316:
	v_bfe_u32 v1, v0, 21, 1
	s_mov_b32 s33, 0x88fffff
	v_add3_u32 v1, v0, v1, s33
	s_mov_b64 s[48:49], exec
	v_lshrrev_b32_e32 v1, 21, v1
	s_andn2_saveexec_b64 s[50:51], s[6:7]
	s_cbranch_execnz .LBB251_2625
.LBB251_1317:
	s_or_b64 exec, exec, s[50:51]
	v_mov_b32_e32 v10, 0
	s_and_saveexec_b64 s[6:7], s[48:49]
.LBB251_1318:
	v_lshrrev_b32_e32 v0, 24, v0
	s_movk_i32 s33, 0x80
	v_and_or_b32 v10, v0, s33, v1
.LBB251_1319:
	s_or_b64 exec, exec, s[6:7]
.LBB251_1320:
	s_or_b64 exec, exec, s[46:47]
.LBB251_1321:
	s_or_b64 exec, exec, s[44:45]
                                        ; implicit-def: $vgpr6
                                        ; implicit-def: $vgpr0_vgpr1
.LBB251_1322:
	s_andn2_saveexec_b64 s[42:43], s[42:43]
	s_cbranch_execz .LBB251_1350
; %bb.1323:
	v_cmp_lt_i16_e64 s[6:7], 5, v6
                                        ; implicit-def: $vgpr10
	s_and_saveexec_b64 s[44:45], s[6:7]
	s_xor_b64 s[44:45], exec, s[44:45]
	s_cbranch_execz .LBB251_1341
; %bb.1324:
	v_cmp_lt_i16_e64 s[6:7], 6, v6
                                        ; implicit-def: $vgpr10
	s_and_saveexec_b64 s[46:47], s[6:7]
	s_xor_b64 s[46:47], exec, s[46:47]
	s_cbranch_execz .LBB251_1332
; %bb.1325:
	flat_load_dwordx2 v[0:1], v[0:1]
	s_mov_b32 s6, 0x47800000
	s_waitcnt vmcnt(0) lgkmcnt(0)
	v_mov_b32_e32 v10, 0x80
	v_cvt_f32_f64_e32 v0, v[0:1]
	v_and_b32_e32 v1, 0x7fffffff, v0
	v_cmp_gt_u32_e64 s[6:7], s6, v1
	s_and_saveexec_b64 s[48:49], s[6:7]
	s_cbranch_execz .LBB251_1331
; %bb.1326:
	s_mov_b32 s6, 0x37ffffff
	v_cmp_lt_u32_e64 s[6:7], s6, v1
	s_mov_b64 s[50:51], 0
                                        ; implicit-def: $vgpr1
	s_and_saveexec_b64 s[52:53], s[6:7]
	s_xor_b64 s[6:7], exec, s[52:53]
	s_cbranch_execz .LBB251_2701
; %bb.1327:
	v_bfe_u32 v1, v0, 21, 1
	s_mov_b32 s33, 0x88fffff
	v_add3_u32 v1, v0, v1, s33
	s_mov_b64 s[50:51], exec
	v_lshrrev_b32_e32 v1, 21, v1
	s_andn2_saveexec_b64 s[52:53], s[6:7]
	s_cbranch_execnz .LBB251_2702
.LBB251_1328:
	s_or_b64 exec, exec, s[52:53]
	v_mov_b32_e32 v10, 0
	s_and_saveexec_b64 s[6:7], s[50:51]
.LBB251_1329:
	v_lshrrev_b32_e32 v0, 24, v0
	s_movk_i32 s33, 0x80
	v_and_or_b32 v10, v0, s33, v1
.LBB251_1330:
	s_or_b64 exec, exec, s[6:7]
.LBB251_1331:
	s_or_b64 exec, exec, s[48:49]
                                        ; implicit-def: $vgpr0_vgpr1
.LBB251_1332:
	s_andn2_saveexec_b64 s[46:47], s[46:47]
	s_cbranch_execz .LBB251_1340
; %bb.1333:
	flat_load_dword v0, v[0:1]
	s_mov_b32 s6, 0x47800000
	s_waitcnt vmcnt(0) lgkmcnt(0)
	v_mov_b32_e32 v10, 0x80
	v_and_b32_e32 v1, 0x7fffffff, v0
	v_cmp_gt_u32_e64 s[6:7], s6, v1
	s_and_saveexec_b64 s[48:49], s[6:7]
	s_cbranch_execz .LBB251_1339
; %bb.1334:
	s_mov_b32 s6, 0x37ffffff
	v_cmp_lt_u32_e64 s[6:7], s6, v1
	s_mov_b64 s[50:51], 0
                                        ; implicit-def: $vgpr1
	s_and_saveexec_b64 s[52:53], s[6:7]
	s_xor_b64 s[6:7], exec, s[52:53]
	s_cbranch_execz .LBB251_2703
; %bb.1335:
	v_bfe_u32 v1, v0, 21, 1
	s_mov_b32 s33, 0x88fffff
	v_add3_u32 v1, v0, v1, s33
	s_mov_b64 s[50:51], exec
	v_lshrrev_b32_e32 v1, 21, v1
	s_andn2_saveexec_b64 s[52:53], s[6:7]
	s_cbranch_execnz .LBB251_2704
.LBB251_1336:
	s_or_b64 exec, exec, s[52:53]
	v_mov_b32_e32 v10, 0
	s_and_saveexec_b64 s[6:7], s[50:51]
.LBB251_1337:
	v_lshrrev_b32_e32 v0, 24, v0
	s_movk_i32 s33, 0x80
	v_and_or_b32 v10, v0, s33, v1
.LBB251_1338:
	s_or_b64 exec, exec, s[6:7]
.LBB251_1339:
	s_or_b64 exec, exec, s[48:49]
.LBB251_1340:
	s_or_b64 exec, exec, s[46:47]
                                        ; implicit-def: $vgpr0_vgpr1
.LBB251_1341:
	s_andn2_saveexec_b64 s[44:45], s[44:45]
	s_cbranch_execz .LBB251_1349
; %bb.1342:
	flat_load_ushort v0, v[0:1]
	s_mov_b32 s6, 0x47800000
	s_waitcnt vmcnt(0) lgkmcnt(0)
	v_mov_b32_e32 v10, 0x80
	v_cvt_f32_f16_e32 v0, v0
	v_and_b32_e32 v1, 0x7fffffff, v0
	v_cmp_gt_u32_e64 s[6:7], s6, v1
	s_and_saveexec_b64 s[46:47], s[6:7]
	s_cbranch_execz .LBB251_1348
; %bb.1343:
	s_mov_b32 s6, 0x37ffffff
	v_cmp_lt_u32_e64 s[6:7], s6, v1
	s_mov_b64 s[48:49], 0
                                        ; implicit-def: $vgpr1
	s_and_saveexec_b64 s[50:51], s[6:7]
	s_xor_b64 s[6:7], exec, s[50:51]
	s_cbranch_execz .LBB251_2626
; %bb.1344:
	v_bfe_u32 v1, v0, 21, 1
	s_mov_b32 s33, 0x88fffff
	v_add3_u32 v1, v0, v1, s33
	s_mov_b64 s[48:49], exec
	v_lshrrev_b32_e32 v1, 21, v1
	s_andn2_saveexec_b64 s[50:51], s[6:7]
	s_cbranch_execnz .LBB251_2627
.LBB251_1345:
	s_or_b64 exec, exec, s[50:51]
	v_mov_b32_e32 v10, 0
	s_and_saveexec_b64 s[6:7], s[48:49]
.LBB251_1346:
	v_lshrrev_b32_e32 v0, 24, v0
	s_movk_i32 s33, 0x80
	v_and_or_b32 v10, v0, s33, v1
.LBB251_1347:
	s_or_b64 exec, exec, s[6:7]
.LBB251_1348:
	s_or_b64 exec, exec, s[46:47]
.LBB251_1349:
	s_or_b64 exec, exec, s[44:45]
.LBB251_1350:
	s_or_b64 exec, exec, s[42:43]
                                        ; implicit-def: $vgpr6
                                        ; implicit-def: $vgpr0_vgpr1
.LBB251_1351:
	s_andn2_saveexec_b64 s[40:41], s[40:41]
	s_cbranch_execz .LBB251_1399
; %bb.1352:
	v_cmp_lt_i16_e64 s[6:7], 1, v6
                                        ; implicit-def: $vgpr10
	s_and_saveexec_b64 s[42:43], s[6:7]
	s_xor_b64 s[42:43], exec, s[42:43]
	s_cbranch_execz .LBB251_1380
; %bb.1353:
	v_cmp_lt_i16_e64 s[6:7], 2, v6
                                        ; implicit-def: $vgpr10
	s_and_saveexec_b64 s[44:45], s[6:7]
	s_xor_b64 s[44:45], exec, s[44:45]
	;; [unrolled: 6-line block ×3, first 2 shown]
	s_cbranch_execz .LBB251_1362
; %bb.1355:
	flat_load_dwordx2 v[0:1], v[0:1]
	s_mov_b32 s6, 0x47800000
	s_waitcnt vmcnt(0) lgkmcnt(0)
	v_xor_b32_e32 v10, v0, v1
	v_ffbh_i32_e32 v6, v1
	v_ashrrev_i32_e32 v10, 31, v10
	v_add_u32_e32 v6, -1, v6
	v_add_u32_e32 v10, 32, v10
	v_min_u32_e32 v6, v6, v10
	v_lshlrev_b64 v[0:1], v6, v[0:1]
	v_mov_b32_e32 v10, 0x80
	v_min_u32_e32 v0, 1, v0
	v_or_b32_e32 v0, v1, v0
	v_cvt_f32_i32_e32 v0, v0
	v_sub_u32_e32 v1, 32, v6
	v_ldexp_f32 v0, v0, v1
	v_and_b32_e32 v1, 0x7fffffff, v0
	v_cmp_gt_u32_e64 s[6:7], s6, v1
	s_and_saveexec_b64 s[48:49], s[6:7]
	s_cbranch_execz .LBB251_1361
; %bb.1356:
	s_mov_b32 s6, 0x37ffffff
	v_cmp_lt_u32_e64 s[6:7], s6, v1
	s_mov_b64 s[50:51], 0
                                        ; implicit-def: $vgpr1
	s_and_saveexec_b64 s[52:53], s[6:7]
	s_xor_b64 s[6:7], exec, s[52:53]
	s_cbranch_execz .LBB251_2705
; %bb.1357:
	v_bfe_u32 v1, v0, 21, 1
	s_mov_b32 s33, 0x88fffff
	v_add3_u32 v1, v0, v1, s33
	s_mov_b64 s[50:51], exec
	v_lshrrev_b32_e32 v1, 21, v1
	s_andn2_saveexec_b64 s[52:53], s[6:7]
	s_cbranch_execnz .LBB251_2706
.LBB251_1358:
	s_or_b64 exec, exec, s[52:53]
	v_mov_b32_e32 v10, 0
	s_and_saveexec_b64 s[6:7], s[50:51]
.LBB251_1359:
	v_lshrrev_b32_e32 v0, 24, v0
	s_movk_i32 s33, 0x80
	v_and_or_b32 v10, v0, s33, v1
.LBB251_1360:
	s_or_b64 exec, exec, s[6:7]
.LBB251_1361:
	s_or_b64 exec, exec, s[48:49]
                                        ; implicit-def: $vgpr0_vgpr1
.LBB251_1362:
	s_andn2_saveexec_b64 s[46:47], s[46:47]
	s_cbranch_execz .LBB251_1370
; %bb.1363:
	flat_load_dword v0, v[0:1]
	s_mov_b32 s6, 0x47800000
	s_waitcnt vmcnt(0) lgkmcnt(0)
	v_mov_b32_e32 v10, 0x80
	v_cvt_f32_i32_e32 v0, v0
	v_and_b32_e32 v1, 0x7fffffff, v0
	v_cmp_gt_u32_e64 s[6:7], s6, v1
	s_and_saveexec_b64 s[48:49], s[6:7]
	s_cbranch_execz .LBB251_1369
; %bb.1364:
	s_mov_b32 s6, 0x37ffffff
	v_cmp_lt_u32_e64 s[6:7], s6, v1
	s_mov_b64 s[50:51], 0
                                        ; implicit-def: $vgpr1
	s_and_saveexec_b64 s[52:53], s[6:7]
	s_xor_b64 s[6:7], exec, s[52:53]
	s_cbranch_execz .LBB251_2707
; %bb.1365:
	v_bfe_u32 v1, v0, 21, 1
	s_mov_b32 s33, 0x88fffff
	v_add3_u32 v1, v0, v1, s33
	s_mov_b64 s[50:51], exec
	v_lshrrev_b32_e32 v1, 21, v1
	s_andn2_saveexec_b64 s[52:53], s[6:7]
	s_cbranch_execnz .LBB251_2708
.LBB251_1366:
	s_or_b64 exec, exec, s[52:53]
	v_mov_b32_e32 v10, 0
	s_and_saveexec_b64 s[6:7], s[50:51]
.LBB251_1367:
	v_lshrrev_b32_e32 v0, 24, v0
	s_movk_i32 s33, 0x80
	v_and_or_b32 v10, v0, s33, v1
.LBB251_1368:
	s_or_b64 exec, exec, s[6:7]
.LBB251_1369:
	s_or_b64 exec, exec, s[48:49]
.LBB251_1370:
	s_or_b64 exec, exec, s[46:47]
                                        ; implicit-def: $vgpr0_vgpr1
.LBB251_1371:
	s_andn2_saveexec_b64 s[44:45], s[44:45]
	s_cbranch_execz .LBB251_1379
; %bb.1372:
	flat_load_sshort v0, v[0:1]
	s_mov_b32 s6, 0x47800000
	s_waitcnt vmcnt(0) lgkmcnt(0)
	v_mov_b32_e32 v10, 0x80
	v_cvt_f32_i32_e32 v0, v0
	v_and_b32_e32 v1, 0x7fffffff, v0
	v_cmp_gt_u32_e64 s[6:7], s6, v1
	s_and_saveexec_b64 s[46:47], s[6:7]
	s_cbranch_execz .LBB251_1378
; %bb.1373:
	s_mov_b32 s6, 0x37ffffff
	v_cmp_lt_u32_e64 s[6:7], s6, v1
	s_mov_b64 s[48:49], 0
                                        ; implicit-def: $vgpr1
	s_and_saveexec_b64 s[50:51], s[6:7]
	s_xor_b64 s[6:7], exec, s[50:51]
	s_cbranch_execz .LBB251_2628
; %bb.1374:
	v_bfe_u32 v1, v0, 21, 1
	s_mov_b32 s33, 0x88fffff
	v_add3_u32 v1, v0, v1, s33
	s_mov_b64 s[48:49], exec
	v_lshrrev_b32_e32 v1, 21, v1
	s_andn2_saveexec_b64 s[50:51], s[6:7]
	s_cbranch_execnz .LBB251_2629
.LBB251_1375:
	s_or_b64 exec, exec, s[50:51]
	v_mov_b32_e32 v10, 0
	s_and_saveexec_b64 s[6:7], s[48:49]
.LBB251_1376:
	v_lshrrev_b32_e32 v0, 24, v0
	s_movk_i32 s33, 0x80
	v_and_or_b32 v10, v0, s33, v1
.LBB251_1377:
	s_or_b64 exec, exec, s[6:7]
.LBB251_1378:
	s_or_b64 exec, exec, s[46:47]
.LBB251_1379:
	s_or_b64 exec, exec, s[44:45]
                                        ; implicit-def: $vgpr6
                                        ; implicit-def: $vgpr0_vgpr1
.LBB251_1380:
	s_andn2_saveexec_b64 s[42:43], s[42:43]
	s_cbranch_execz .LBB251_1398
; %bb.1381:
	v_cmp_lt_i16_e64 s[6:7], 0, v6
                                        ; implicit-def: $vgpr10
	s_and_saveexec_b64 s[44:45], s[6:7]
	s_xor_b64 s[44:45], exec, s[44:45]
	s_cbranch_execz .LBB251_1389
; %bb.1382:
	flat_load_sbyte v0, v[0:1]
	s_mov_b32 s6, 0x47800000
	s_waitcnt vmcnt(0) lgkmcnt(0)
	v_mov_b32_e32 v10, 0x80
	v_cvt_f32_i32_e32 v0, v0
	v_and_b32_e32 v1, 0x7fffffff, v0
	v_cmp_gt_u32_e64 s[6:7], s6, v1
	s_and_saveexec_b64 s[46:47], s[6:7]
	s_cbranch_execz .LBB251_1388
; %bb.1383:
	s_mov_b32 s6, 0x37ffffff
	v_cmp_lt_u32_e64 s[6:7], s6, v1
	s_mov_b64 s[48:49], 0
                                        ; implicit-def: $vgpr1
	s_and_saveexec_b64 s[50:51], s[6:7]
	s_xor_b64 s[6:7], exec, s[50:51]
	s_cbranch_execz .LBB251_2630
; %bb.1384:
	v_bfe_u32 v1, v0, 21, 1
	s_mov_b32 s33, 0x88fffff
	v_add3_u32 v1, v0, v1, s33
	s_mov_b64 s[48:49], exec
	v_lshrrev_b32_e32 v1, 21, v1
	s_andn2_saveexec_b64 s[50:51], s[6:7]
	s_cbranch_execnz .LBB251_2631
.LBB251_1385:
	s_or_b64 exec, exec, s[50:51]
	v_mov_b32_e32 v10, 0
	s_and_saveexec_b64 s[6:7], s[48:49]
.LBB251_1386:
	v_lshrrev_b32_e32 v0, 24, v0
	s_movk_i32 s33, 0x80
	v_and_or_b32 v10, v0, s33, v1
.LBB251_1387:
	s_or_b64 exec, exec, s[6:7]
.LBB251_1388:
	s_or_b64 exec, exec, s[46:47]
                                        ; implicit-def: $vgpr0_vgpr1
.LBB251_1389:
	s_andn2_saveexec_b64 s[44:45], s[44:45]
	s_cbranch_execz .LBB251_1397
; %bb.1390:
	flat_load_ubyte v0, v[0:1]
	s_mov_b32 s6, 0x47800000
	s_waitcnt vmcnt(0) lgkmcnt(0)
	v_mov_b32_e32 v10, 0x80
	v_cvt_f32_ubyte0_e32 v1, v0
	v_cmp_gt_u32_e64 s[6:7], s6, v1
	s_and_saveexec_b64 s[46:47], s[6:7]
	s_cbranch_execz .LBB251_1396
; %bb.1391:
	s_mov_b32 s6, 0x37ffffff
	v_cmp_lt_u32_e64 s[6:7], s6, v1
	s_mov_b64 s[48:49], 0
                                        ; implicit-def: $vgpr0
	s_and_saveexec_b64 s[50:51], s[6:7]
	s_xor_b64 s[6:7], exec, s[50:51]
	s_cbranch_execz .LBB251_2632
; %bb.1392:
	v_bfe_u32 v0, v1, 21, 1
	s_mov_b32 s33, 0x88fffff
	v_add3_u32 v0, v1, v0, s33
	s_mov_b64 s[48:49], exec
	v_lshrrev_b32_e32 v0, 21, v0
                                        ; implicit-def: $vgpr1
	s_andn2_saveexec_b64 s[50:51], s[6:7]
	s_cbranch_execnz .LBB251_2633
.LBB251_1393:
	s_or_b64 exec, exec, s[50:51]
	v_mov_b32_e32 v10, 0
	s_and_saveexec_b64 s[6:7], s[48:49]
.LBB251_1394:
	v_mov_b32_e32 v10, v0
.LBB251_1395:
	s_or_b64 exec, exec, s[6:7]
.LBB251_1396:
	s_or_b64 exec, exec, s[46:47]
.LBB251_1397:
	s_or_b64 exec, exec, s[44:45]
.LBB251_1398:
	s_or_b64 exec, exec, s[42:43]
.LBB251_1399:
	s_or_b64 exec, exec, s[40:41]
	s_or_b64 s[38:39], s[38:39], exec
.LBB251_1400:
	s_or_b64 exec, exec, s[30:31]
	s_mov_b64 s[6:7], 0
	s_mov_b64 s[42:43], 0
                                        ; implicit-def: $sgpr40_sgpr41
                                        ; implicit-def: $vgpr0_vgpr1
                                        ; implicit-def: $vgpr18
	s_and_saveexec_b64 s[30:31], s[38:39]
	s_cbranch_execz .LBB251_1915
; %bb.1401:
	v_add_u32_e32 v0, v13, v12
	v_ashrrev_i32_e32 v1, 31, v0
	v_add_co_u32_e64 v0, s[6:7], v8, v0
	v_addc_co_u32_e64 v1, s[6:7], v9, v1, s[6:7]
	v_cmp_lt_i16_e64 s[6:7], 10, v5
	s_mov_b64 s[44:45], 0
	s_mov_b64 s[38:39], s[28:29]
                                        ; implicit-def: $vgpr6
	s_and_saveexec_b64 s[40:41], s[6:7]
	s_xor_b64 s[40:41], exec, s[40:41]
	s_cbranch_execz .LBB251_1482
; %bb.1402:
	v_cmp_lt_i16_e64 s[6:7], 25, v5
	s_mov_b64 s[38:39], 0
	s_mov_b64 s[46:47], 0
                                        ; implicit-def: $vgpr6
	s_and_saveexec_b64 s[42:43], s[6:7]
	s_xor_b64 s[42:43], exec, s[42:43]
	s_cbranch_execz .LBB251_2361
; %bb.1403:
	v_cmp_lt_i16_e64 s[6:7], 28, v5
	s_mov_b64 s[48:49], 0
                                        ; implicit-def: $vgpr6
	s_and_saveexec_b64 s[44:45], s[6:7]
	s_xor_b64 s[44:45], exec, s[44:45]
	s_cbranch_execz .LBB251_1437
; %bb.1404:
	v_cmp_lt_i16_e64 s[6:7], 43, v5
	s_mov_b64 s[50:51], 0
	s_mov_b64 s[52:53], 0
                                        ; implicit-def: $vgpr6
	s_and_saveexec_b64 s[46:47], s[6:7]
	s_xor_b64 s[46:47], exec, s[46:47]
	s_cbranch_execz .LBB251_1426
; %bb.1405:
	v_cmp_lt_i16_e64 s[6:7], 45, v5
                                        ; implicit-def: $vgpr6
	s_and_saveexec_b64 s[52:53], s[6:7]
	s_xor_b64 s[52:53], exec, s[52:53]
	s_cbranch_execz .LBB251_1415
; %bb.1406:
	v_cmp_eq_u16_e64 s[6:7], 46, v5
	s_mov_b64 s[54:55], -1
                                        ; implicit-def: $vgpr6
	s_and_saveexec_b64 s[48:49], s[6:7]
	s_cbranch_execz .LBB251_1414
; %bb.1407:
	flat_load_dword v5, v[0:1]
	s_mov_b32 s6, 0x47800000
	v_mov_b32_e32 v6, 0x80
	s_waitcnt vmcnt(0) lgkmcnt(0)
	v_lshlrev_b32_e32 v5, 16, v5
	v_and_b32_e32 v8, 0x7fffffff, v5
	v_cmp_gt_u32_e64 s[6:7], s6, v8
	s_and_saveexec_b64 s[50:51], s[6:7]
	s_cbranch_execz .LBB251_1413
; %bb.1408:
	s_mov_b32 s6, 0x37ffffff
	v_cmp_lt_u32_e64 s[6:7], s6, v8
	s_mov_b64 s[54:55], 0
                                        ; implicit-def: $vgpr8
	s_and_saveexec_b64 s[56:57], s[6:7]
	s_xor_b64 s[6:7], exec, s[56:57]
	s_cbranch_execz .LBB251_2798
; %bb.1409:
	v_bfe_u32 v6, v5, 21, 1
	s_mov_b32 s33, 0x88fffff
	v_add3_u32 v6, v5, v6, s33
	s_mov_b64 s[54:55], exec
	v_lshrrev_b32_e32 v8, 21, v6
	s_andn2_saveexec_b64 s[56:57], s[6:7]
	s_cbranch_execnz .LBB251_2799
.LBB251_1410:
	s_or_b64 exec, exec, s[56:57]
	v_mov_b32_e32 v6, 0
	s_and_saveexec_b64 s[6:7], s[54:55]
.LBB251_1411:
	v_lshrrev_b32_e32 v5, 24, v5
	s_movk_i32 s33, 0x80
	v_and_or_b32 v6, v5, s33, v8
.LBB251_1412:
	s_or_b64 exec, exec, s[6:7]
.LBB251_1413:
	s_or_b64 exec, exec, s[50:51]
	s_mov_b64 s[50:51], exec
	s_xor_b64 s[54:55], exec, -1
.LBB251_1414:
	s_or_b64 exec, exec, s[48:49]
	s_and_b64 s[50:51], s[50:51], exec
	s_and_b64 s[48:49], s[54:55], exec
                                        ; implicit-def: $vgpr5
.LBB251_1415:
	s_andn2_saveexec_b64 s[52:53], s[52:53]
	s_cbranch_execz .LBB251_1425
; %bb.1416:
	v_cmp_eq_u16_e64 s[6:7], 44, v5
	s_mov_b64 s[56:57], -1
	s_mov_b64 s[58:59], s[50:51]
                                        ; implicit-def: $vgpr6
	s_and_saveexec_b64 s[54:55], s[6:7]
	s_cbranch_execz .LBB251_1424
; %bb.1417:
	flat_load_ubyte v5, v[0:1]
	s_movk_i32 s6, 0xff
	v_mov_b32_e32 v6, 0x7f800001
	v_mov_b32_e32 v8, 0x400000
	s_mov_b32 s33, 0x47800000
	s_waitcnt vmcnt(0) lgkmcnt(0)
	v_lshlrev_b32_e32 v9, 23, v5
	v_cmp_ne_u32_e64 s[6:7], s6, v5
	v_cndmask_b32_e64 v6, v6, v9, s[6:7]
	v_cmp_ne_u32_e64 s[6:7], 0, v5
	v_cndmask_b32_e64 v8, v8, v6, s[6:7]
	v_cmp_gt_u32_e64 s[6:7], s33, v8
	v_mov_b32_e32 v6, 0x80
	s_and_saveexec_b64 s[56:57], s[6:7]
	s_cbranch_execz .LBB251_1423
; %bb.1418:
	s_mov_b32 s6, 0x37ffffff
	v_cmp_lt_u32_e64 s[6:7], s6, v8
	s_mov_b64 s[58:59], 0
                                        ; implicit-def: $vgpr5
	s_and_saveexec_b64 s[60:61], s[6:7]
	s_xor_b64 s[6:7], exec, s[60:61]
	s_cbranch_execz .LBB251_2800
; %bb.1419:
	v_bfe_u32 v5, v8, 21, 1
	s_mov_b32 s33, 0x88fffff
	v_add3_u32 v5, v8, v5, s33
	s_mov_b64 s[58:59], exec
	v_lshrrev_b32_e32 v5, 21, v5
                                        ; implicit-def: $vgpr8
	s_andn2_saveexec_b64 s[60:61], s[6:7]
	s_cbranch_execnz .LBB251_2801
.LBB251_1420:
	s_or_b64 exec, exec, s[60:61]
	v_mov_b32_e32 v6, 0
	s_and_saveexec_b64 s[6:7], s[58:59]
.LBB251_1421:
	v_mov_b32_e32 v6, v5
.LBB251_1422:
	s_or_b64 exec, exec, s[6:7]
.LBB251_1423:
	s_or_b64 exec, exec, s[56:57]
	s_or_b64 s[58:59], s[50:51], exec
	s_xor_b64 s[56:57], exec, -1
.LBB251_1424:
	s_or_b64 exec, exec, s[54:55]
	s_andn2_b64 s[6:7], s[50:51], exec
	s_and_b64 s[50:51], s[58:59], exec
	s_or_b64 s[50:51], s[6:7], s[50:51]
	s_andn2_b64 s[6:7], s[48:49], exec
	s_and_b64 s[48:49], s[56:57], exec
	s_or_b64 s[48:49], s[6:7], s[48:49]
.LBB251_1425:
	s_or_b64 exec, exec, s[52:53]
	s_and_b64 s[52:53], s[50:51], exec
	s_and_b64 s[50:51], s[48:49], exec
                                        ; implicit-def: $vgpr5
.LBB251_1426:
	s_andn2_saveexec_b64 s[46:47], s[46:47]
	s_cbranch_execz .LBB251_1436
; %bb.1427:
	v_cmp_eq_u16_e64 s[6:7], 29, v5
	s_mov_b64 s[54:55], -1
	s_mov_b64 s[56:57], s[52:53]
                                        ; implicit-def: $vgpr6
	s_and_saveexec_b64 s[48:49], s[6:7]
	s_cbranch_execz .LBB251_1435
; %bb.1428:
	flat_load_dwordx2 v[5:6], v[0:1]
	s_mov_b32 s6, 0x47800000
	s_waitcnt vmcnt(0) lgkmcnt(0)
	v_ffbh_u32_e32 v8, v6
	v_min_u32_e32 v8, 32, v8
	v_lshlrev_b64 v[5:6], v8, v[5:6]
	v_min_u32_e32 v5, 1, v5
	v_or_b32_e32 v5, v6, v5
	v_cvt_f32_u32_e32 v5, v5
	v_sub_u32_e32 v6, 32, v8
	v_ldexp_f32 v8, v5, v6
	v_cmp_gt_u32_e64 s[6:7], s6, v8
	v_mov_b32_e32 v6, 0x80
	s_and_saveexec_b64 s[54:55], s[6:7]
	s_cbranch_execz .LBB251_1434
; %bb.1429:
	s_mov_b32 s6, 0x37ffffff
	v_cmp_lt_u32_e64 s[6:7], s6, v8
	s_mov_b64 s[56:57], 0
                                        ; implicit-def: $vgpr5
	s_and_saveexec_b64 s[58:59], s[6:7]
	s_xor_b64 s[6:7], exec, s[58:59]
	s_cbranch_execz .LBB251_2774
; %bb.1430:
	v_bfe_u32 v5, v8, 21, 1
	s_mov_b32 s33, 0x88fffff
	v_add3_u32 v5, v8, v5, s33
	s_mov_b64 s[56:57], exec
	v_lshrrev_b32_e32 v5, 21, v5
                                        ; implicit-def: $vgpr8
	s_andn2_saveexec_b64 s[58:59], s[6:7]
	s_cbranch_execnz .LBB251_2775
.LBB251_1431:
	s_or_b64 exec, exec, s[58:59]
	v_mov_b32_e32 v6, 0
	s_and_saveexec_b64 s[6:7], s[56:57]
.LBB251_1432:
	v_mov_b32_e32 v6, v5
.LBB251_1433:
	s_or_b64 exec, exec, s[6:7]
.LBB251_1434:
	s_or_b64 exec, exec, s[54:55]
	s_or_b64 s[56:57], s[52:53], exec
	s_xor_b64 s[54:55], exec, -1
.LBB251_1435:
	s_or_b64 exec, exec, s[48:49]
	s_andn2_b64 s[6:7], s[52:53], exec
	s_and_b64 s[48:49], s[56:57], exec
	s_or_b64 s[52:53], s[6:7], s[48:49]
	s_andn2_b64 s[6:7], s[50:51], exec
	s_and_b64 s[48:49], s[54:55], exec
	s_or_b64 s[50:51], s[6:7], s[48:49]
.LBB251_1436:
	s_or_b64 exec, exec, s[46:47]
	s_and_b64 s[48:49], s[52:53], exec
	s_and_b64 s[46:47], s[50:51], exec
                                        ; implicit-def: $vgpr5
.LBB251_1437:
	s_andn2_saveexec_b64 s[44:45], s[44:45]
	s_cbranch_execz .LBB251_1471
; %bb.1438:
	v_cmp_lt_i16_e64 s[6:7], 26, v5
                                        ; implicit-def: $vgpr6
	s_and_saveexec_b64 s[50:51], s[6:7]
	s_xor_b64 s[50:51], exec, s[50:51]
	s_cbranch_execz .LBB251_1456
; %bb.1439:
	v_cmp_lt_i16_e64 s[6:7], 27, v5
                                        ; implicit-def: $vgpr6
	s_and_saveexec_b64 s[52:53], s[6:7]
	s_xor_b64 s[52:53], exec, s[52:53]
	s_cbranch_execz .LBB251_1447
; %bb.1440:
	flat_load_dword v5, v[0:1]
	s_mov_b32 s6, 0x47800000
	v_mov_b32_e32 v6, 0x80
	s_waitcnt vmcnt(0) lgkmcnt(0)
	v_cvt_f32_u32_e32 v8, v5
	v_cmp_gt_u32_e64 s[6:7], s6, v8
	s_and_saveexec_b64 s[54:55], s[6:7]
	s_cbranch_execz .LBB251_1446
; %bb.1441:
	s_mov_b32 s6, 0x37ffffff
	v_cmp_lt_u32_e64 s[6:7], s6, v8
	s_mov_b64 s[56:57], 0
                                        ; implicit-def: $vgpr5
	s_and_saveexec_b64 s[58:59], s[6:7]
	s_xor_b64 s[6:7], exec, s[58:59]
	s_cbranch_execz .LBB251_2776
; %bb.1442:
	v_bfe_u32 v5, v8, 21, 1
	s_mov_b32 s33, 0x88fffff
	v_add3_u32 v5, v8, v5, s33
	s_mov_b64 s[56:57], exec
	v_lshrrev_b32_e32 v5, 21, v5
                                        ; implicit-def: $vgpr8
	s_andn2_saveexec_b64 s[58:59], s[6:7]
	s_cbranch_execnz .LBB251_2777
.LBB251_1443:
	s_or_b64 exec, exec, s[58:59]
	v_mov_b32_e32 v6, 0
	s_and_saveexec_b64 s[6:7], s[56:57]
.LBB251_1444:
	v_mov_b32_e32 v6, v5
.LBB251_1445:
	s_or_b64 exec, exec, s[6:7]
.LBB251_1446:
	s_or_b64 exec, exec, s[54:55]
.LBB251_1447:
	s_andn2_saveexec_b64 s[52:53], s[52:53]
	s_cbranch_execz .LBB251_1455
; %bb.1448:
	flat_load_ushort v5, v[0:1]
	s_mov_b32 s6, 0x47800000
	v_mov_b32_e32 v6, 0x80
	s_waitcnt vmcnt(0) lgkmcnt(0)
	v_cvt_f32_u32_e32 v8, v5
	v_cmp_gt_u32_e64 s[6:7], s6, v8
	s_and_saveexec_b64 s[54:55], s[6:7]
	s_cbranch_execz .LBB251_1454
; %bb.1449:
	s_mov_b32 s6, 0x37ffffff
	v_cmp_lt_u32_e64 s[6:7], s6, v8
	s_mov_b64 s[56:57], 0
                                        ; implicit-def: $vgpr5
	s_and_saveexec_b64 s[58:59], s[6:7]
	s_xor_b64 s[6:7], exec, s[58:59]
	s_cbranch_execz .LBB251_2778
; %bb.1450:
	v_bfe_u32 v5, v8, 21, 1
	s_mov_b32 s33, 0x88fffff
	v_add3_u32 v5, v8, v5, s33
	s_mov_b64 s[56:57], exec
	v_lshrrev_b32_e32 v5, 21, v5
                                        ; implicit-def: $vgpr8
	s_andn2_saveexec_b64 s[58:59], s[6:7]
	s_cbranch_execnz .LBB251_2779
.LBB251_1451:
	s_or_b64 exec, exec, s[58:59]
	v_mov_b32_e32 v6, 0
	s_and_saveexec_b64 s[6:7], s[56:57]
.LBB251_1452:
	v_mov_b32_e32 v6, v5
.LBB251_1453:
	s_or_b64 exec, exec, s[6:7]
.LBB251_1454:
	s_or_b64 exec, exec, s[54:55]
.LBB251_1455:
	s_or_b64 exec, exec, s[52:53]
.LBB251_1456:
	s_andn2_saveexec_b64 s[50:51], s[50:51]
	s_cbranch_execz .LBB251_1470
; %bb.1457:
	flat_load_ubyte v6, v[0:1]
	s_movk_i32 s6, 0x7f
	s_mov_b64 s[52:53], 0
	s_waitcnt vmcnt(0) lgkmcnt(0)
	v_cmp_lt_i16_e64 s[6:7], s6, v6
	s_and_saveexec_b64 s[54:55], s[6:7]
	s_xor_b64 s[54:55], exec, s[54:55]
	s_cbranch_execz .LBB251_2634
; %bb.1458:
	s_movk_i32 s6, 0x80
	v_cmp_eq_u16_e64 s[6:7], s6, v6
	s_mov_b64 s[52:53], -1
	s_and_saveexec_b64 s[56:57], s[6:7]
; %bb.1459:
	s_xor_b64 s[52:53], exec, -1
; %bb.1460:
	s_or_b64 exec, exec, s[56:57]
	s_and_b64 s[52:53], s[52:53], exec
	s_or_saveexec_b64 s[54:55], s[54:55]
	v_mov_b32_e32 v5, 0x7f800001
	s_xor_b64 exec, exec, s[54:55]
	s_cbranch_execnz .LBB251_2635
.LBB251_1461:
	s_or_b64 exec, exec, s[54:55]
	s_and_saveexec_b64 s[54:55], s[52:53]
	s_cbranch_execz .LBB251_1463
.LBB251_1462:
	v_lshlrev_b32_e32 v5, 24, v6
	v_and_b32_e32 v6, 0xffff, v6
	v_and_b32_e32 v8, 7, v6
	v_ffbh_u32_e32 v11, v8
	v_min_u32_e32 v11, 32, v11
	v_subrev_u32_e32 v12, 28, v11
	v_bfe_u32 v9, v6, 3, 4
	v_lshlrev_b32_e32 v6, v12, v6
	v_sub_u32_e32 v11, 29, v11
	v_and_b32_e32 v6, 7, v6
	v_cmp_eq_u32_e64 s[6:7], 0, v9
	v_cndmask_b32_e64 v9, v9, v11, s[6:7]
	v_cndmask_b32_e64 v6, v8, v6, s[6:7]
	v_mov_b32_e32 v8, 0x3b800000
	v_lshlrev_b32_e32 v6, 20, v6
	v_and_b32_e32 v5, 0x80000000, v5
	v_lshl_add_u32 v8, v9, 23, v8
	v_or3_b32 v5, v5, v8, v6
.LBB251_1463:
	s_or_b64 exec, exec, s[54:55]
	v_and_b32_e32 v8, 0x7fffffff, v5
	s_mov_b32 s6, 0x47800000
	v_cmp_gt_u32_e64 s[6:7], s6, v8
	v_mov_b32_e32 v6, 0x80
	s_and_saveexec_b64 s[52:53], s[6:7]
	s_cbranch_execz .LBB251_1469
; %bb.1464:
	s_mov_b32 s6, 0x37ffffff
	v_cmp_lt_u32_e64 s[6:7], s6, v8
	s_mov_b64 s[54:55], 0
                                        ; implicit-def: $vgpr8
	s_and_saveexec_b64 s[56:57], s[6:7]
	s_xor_b64 s[6:7], exec, s[56:57]
	s_cbranch_execz .LBB251_2709
; %bb.1465:
	v_bfe_u32 v6, v5, 21, 1
	s_mov_b32 s33, 0x88fffff
	v_add3_u32 v6, v5, v6, s33
	s_mov_b64 s[54:55], exec
	v_lshrrev_b32_e32 v8, 21, v6
	s_andn2_saveexec_b64 s[56:57], s[6:7]
	s_cbranch_execnz .LBB251_2710
.LBB251_1466:
	s_or_b64 exec, exec, s[56:57]
	v_mov_b32_e32 v6, 0
	s_and_saveexec_b64 s[6:7], s[54:55]
.LBB251_1467:
	v_lshrrev_b32_e32 v5, 24, v5
	s_movk_i32 s33, 0x80
	v_and_or_b32 v6, v5, s33, v8
.LBB251_1468:
	s_or_b64 exec, exec, s[6:7]
.LBB251_1469:
	s_or_b64 exec, exec, s[52:53]
.LBB251_1470:
	s_or_b64 exec, exec, s[50:51]
	s_or_b64 s[48:49], s[48:49], exec
.LBB251_1471:
	s_or_b64 exec, exec, s[44:45]
	s_and_b64 s[44:45], s[48:49], exec
	s_and_b64 s[46:47], s[46:47], exec
                                        ; implicit-def: $vgpr5
	s_andn2_saveexec_b64 s[42:43], s[42:43]
	s_cbranch_execnz .LBB251_2362
.LBB251_1472:
	s_or_b64 exec, exec, s[42:43]
	s_mov_b64 s[42:43], s[28:29]
	s_and_saveexec_b64 s[6:7], s[46:47]
	s_cbranch_execnz .LBB251_2399
.LBB251_1473:
	s_or_b64 exec, exec, s[6:7]
	s_and_saveexec_b64 s[6:7], s[38:39]
	s_xor_b64 s[38:39], exec, s[6:7]
	s_cbranch_execz .LBB251_1481
.LBB251_1474:
	flat_load_ubyte v0, v[0:1]
	s_mov_b32 s33, 0x47800000
	s_waitcnt vmcnt(0) lgkmcnt(0)
	v_mov_b32_e32 v6, 0x80
	v_cmp_ne_u16_e64 s[6:7], 0, v0
	v_cndmask_b32_e64 v1, 0, 1.0, s[6:7]
	v_cmp_gt_u32_e64 s[6:7], s33, v1
	s_and_saveexec_b64 s[46:47], s[6:7]
	s_cbranch_execz .LBB251_1480
; %bb.1475:
	s_mov_b32 s6, 0x37ffffff
	v_cmp_lt_u32_e64 s[6:7], s6, v1
	s_mov_b64 s[48:49], 0
                                        ; implicit-def: $vgpr0
	s_and_saveexec_b64 s[50:51], s[6:7]
	s_xor_b64 s[6:7], exec, s[50:51]
	s_cbranch_execz .LBB251_2545
; %bb.1476:
	v_bfe_u32 v0, v1, 21, 1
	s_mov_b32 s33, 0x88fffff
	v_add3_u32 v0, v1, v0, s33
	s_mov_b64 s[48:49], exec
	v_lshrrev_b32_e32 v0, 21, v0
                                        ; implicit-def: $vgpr1
	s_andn2_saveexec_b64 s[50:51], s[6:7]
	s_cbranch_execnz .LBB251_2546
.LBB251_1477:
	s_or_b64 exec, exec, s[50:51]
	v_mov_b32_e32 v6, 0
	s_and_saveexec_b64 s[6:7], s[48:49]
.LBB251_1478:
	v_mov_b32_e32 v6, v0
.LBB251_1479:
	s_or_b64 exec, exec, s[6:7]
.LBB251_1480:
	s_or_b64 exec, exec, s[46:47]
	s_or_b64 s[44:45], s[44:45], exec
.LBB251_1481:
	s_or_b64 exec, exec, s[38:39]
	s_andn2_b64 s[6:7], s[28:29], exec
	s_and_b64 s[38:39], s[42:43], exec
	s_or_b64 s[38:39], s[6:7], s[38:39]
	s_and_b64 s[44:45], s[44:45], exec
                                        ; implicit-def: $vgpr5
                                        ; implicit-def: $vgpr0_vgpr1
.LBB251_1482:
	s_andn2_saveexec_b64 s[40:41], s[40:41]
	s_cbranch_execz .LBB251_1590
; %bb.1483:
	v_cmp_lt_i16_e64 s[6:7], 4, v5
                                        ; implicit-def: $vgpr6
	s_and_saveexec_b64 s[42:43], s[6:7]
	s_xor_b64 s[42:43], exec, s[42:43]
	s_cbranch_execz .LBB251_1541
; %bb.1484:
	v_cmp_lt_i16_e64 s[6:7], 7, v5
                                        ; implicit-def: $vgpr6
	s_and_saveexec_b64 s[46:47], s[6:7]
	s_xor_b64 s[46:47], exec, s[46:47]
	;; [unrolled: 6-line block ×4, first 2 shown]
	s_cbranch_execz .LBB251_1494
; %bb.1487:
	flat_load_dwordx2 v[0:1], v[0:1]
	s_mov_b32 s6, 0x47800000
	s_waitcnt vmcnt(0) lgkmcnt(0)
	v_mov_b32_e32 v6, 0x80
	v_cvt_f32_f64_e32 v0, v[0:1]
	v_and_b32_e32 v1, 0x7fffffff, v0
	v_cmp_gt_u32_e64 s[6:7], s6, v1
	s_and_saveexec_b64 s[52:53], s[6:7]
	s_cbranch_execz .LBB251_1493
; %bb.1488:
	s_mov_b32 s6, 0x37ffffff
	v_cmp_lt_u32_e64 s[6:7], s6, v1
	s_mov_b64 s[54:55], 0
                                        ; implicit-def: $vgpr1
	s_and_saveexec_b64 s[56:57], s[6:7]
	s_xor_b64 s[6:7], exec, s[56:57]
	s_cbranch_execz .LBB251_2780
; %bb.1489:
	v_bfe_u32 v1, v0, 21, 1
	s_mov_b32 s33, 0x88fffff
	v_add3_u32 v1, v0, v1, s33
	s_mov_b64 s[54:55], exec
	v_lshrrev_b32_e32 v1, 21, v1
	s_andn2_saveexec_b64 s[56:57], s[6:7]
	s_cbranch_execnz .LBB251_2781
.LBB251_1490:
	s_or_b64 exec, exec, s[56:57]
	v_mov_b32_e32 v6, 0
	s_and_saveexec_b64 s[6:7], s[54:55]
.LBB251_1491:
	v_lshrrev_b32_e32 v0, 24, v0
	s_movk_i32 s33, 0x80
	v_and_or_b32 v6, v0, s33, v1
.LBB251_1492:
	s_or_b64 exec, exec, s[6:7]
.LBB251_1493:
	s_or_b64 exec, exec, s[52:53]
                                        ; implicit-def: $vgpr0_vgpr1
.LBB251_1494:
	s_andn2_saveexec_b64 s[50:51], s[50:51]
	s_cbranch_execz .LBB251_1502
; %bb.1495:
	flat_load_dword v0, v[0:1]
	s_mov_b32 s6, 0x47800000
	s_waitcnt vmcnt(0) lgkmcnt(0)
	v_mov_b32_e32 v6, 0x80
	v_and_b32_e32 v1, 0x7fffffff, v0
	v_cmp_gt_u32_e64 s[6:7], s6, v1
	s_and_saveexec_b64 s[52:53], s[6:7]
	s_cbranch_execz .LBB251_1501
; %bb.1496:
	s_mov_b32 s6, 0x37ffffff
	v_cmp_lt_u32_e64 s[6:7], s6, v1
	s_mov_b64 s[54:55], 0
                                        ; implicit-def: $vgpr1
	s_and_saveexec_b64 s[56:57], s[6:7]
	s_xor_b64 s[6:7], exec, s[56:57]
	s_cbranch_execz .LBB251_2782
; %bb.1497:
	v_bfe_u32 v1, v0, 21, 1
	s_mov_b32 s33, 0x88fffff
	v_add3_u32 v1, v0, v1, s33
	s_mov_b64 s[54:55], exec
	v_lshrrev_b32_e32 v1, 21, v1
	s_andn2_saveexec_b64 s[56:57], s[6:7]
	s_cbranch_execnz .LBB251_2783
.LBB251_1498:
	s_or_b64 exec, exec, s[56:57]
	v_mov_b32_e32 v6, 0
	s_and_saveexec_b64 s[6:7], s[54:55]
.LBB251_1499:
	v_lshrrev_b32_e32 v0, 24, v0
	s_movk_i32 s33, 0x80
	v_and_or_b32 v6, v0, s33, v1
.LBB251_1500:
	s_or_b64 exec, exec, s[6:7]
.LBB251_1501:
	s_or_b64 exec, exec, s[52:53]
.LBB251_1502:
	s_or_b64 exec, exec, s[50:51]
                                        ; implicit-def: $vgpr0_vgpr1
.LBB251_1503:
	s_andn2_saveexec_b64 s[48:49], s[48:49]
	s_cbranch_execz .LBB251_1511
; %bb.1504:
	flat_load_dword v0, v[0:1]
	s_mov_b32 s6, 0x47800000
	s_waitcnt vmcnt(0) lgkmcnt(0)
	v_mov_b32_e32 v6, 0x80
	v_cvt_f32_f16_e32 v0, v0
	v_and_b32_e32 v1, 0x7fffffff, v0
	v_cmp_gt_u32_e64 s[6:7], s6, v1
	s_and_saveexec_b64 s[50:51], s[6:7]
	s_cbranch_execz .LBB251_1510
; %bb.1505:
	s_mov_b32 s6, 0x37ffffff
	v_cmp_lt_u32_e64 s[6:7], s6, v1
	s_mov_b64 s[52:53], 0
                                        ; implicit-def: $vgpr1
	s_and_saveexec_b64 s[54:55], s[6:7]
	s_xor_b64 s[6:7], exec, s[54:55]
	s_cbranch_execz .LBB251_2711
; %bb.1506:
	v_bfe_u32 v1, v0, 21, 1
	s_mov_b32 s33, 0x88fffff
	v_add3_u32 v1, v0, v1, s33
	s_mov_b64 s[52:53], exec
	v_lshrrev_b32_e32 v1, 21, v1
	s_andn2_saveexec_b64 s[54:55], s[6:7]
	s_cbranch_execnz .LBB251_2712
.LBB251_1507:
	s_or_b64 exec, exec, s[54:55]
	v_mov_b32_e32 v6, 0
	s_and_saveexec_b64 s[6:7], s[52:53]
.LBB251_1508:
	v_lshrrev_b32_e32 v0, 24, v0
	s_movk_i32 s33, 0x80
	v_and_or_b32 v6, v0, s33, v1
.LBB251_1509:
	s_or_b64 exec, exec, s[6:7]
.LBB251_1510:
	s_or_b64 exec, exec, s[50:51]
.LBB251_1511:
	s_or_b64 exec, exec, s[48:49]
                                        ; implicit-def: $vgpr5
                                        ; implicit-def: $vgpr0_vgpr1
.LBB251_1512:
	s_andn2_saveexec_b64 s[46:47], s[46:47]
	s_cbranch_execz .LBB251_1540
; %bb.1513:
	v_cmp_lt_i16_e64 s[6:7], 5, v5
                                        ; implicit-def: $vgpr6
	s_and_saveexec_b64 s[48:49], s[6:7]
	s_xor_b64 s[48:49], exec, s[48:49]
	s_cbranch_execz .LBB251_1531
; %bb.1514:
	v_cmp_lt_i16_e64 s[6:7], 6, v5
                                        ; implicit-def: $vgpr6
	s_and_saveexec_b64 s[50:51], s[6:7]
	s_xor_b64 s[50:51], exec, s[50:51]
	s_cbranch_execz .LBB251_1522
; %bb.1515:
	flat_load_dwordx2 v[0:1], v[0:1]
	s_mov_b32 s6, 0x47800000
	s_waitcnt vmcnt(0) lgkmcnt(0)
	v_mov_b32_e32 v6, 0x80
	v_cvt_f32_f64_e32 v0, v[0:1]
	v_and_b32_e32 v1, 0x7fffffff, v0
	v_cmp_gt_u32_e64 s[6:7], s6, v1
	s_and_saveexec_b64 s[52:53], s[6:7]
	s_cbranch_execz .LBB251_1521
; %bb.1516:
	s_mov_b32 s6, 0x37ffffff
	v_cmp_lt_u32_e64 s[6:7], s6, v1
	s_mov_b64 s[54:55], 0
                                        ; implicit-def: $vgpr1
	s_and_saveexec_b64 s[56:57], s[6:7]
	s_xor_b64 s[6:7], exec, s[56:57]
	s_cbranch_execz .LBB251_2784
; %bb.1517:
	v_bfe_u32 v1, v0, 21, 1
	s_mov_b32 s33, 0x88fffff
	v_add3_u32 v1, v0, v1, s33
	s_mov_b64 s[54:55], exec
	v_lshrrev_b32_e32 v1, 21, v1
	s_andn2_saveexec_b64 s[56:57], s[6:7]
	s_cbranch_execnz .LBB251_2785
.LBB251_1518:
	s_or_b64 exec, exec, s[56:57]
	v_mov_b32_e32 v6, 0
	s_and_saveexec_b64 s[6:7], s[54:55]
.LBB251_1519:
	v_lshrrev_b32_e32 v0, 24, v0
	s_movk_i32 s33, 0x80
	v_and_or_b32 v6, v0, s33, v1
.LBB251_1520:
	s_or_b64 exec, exec, s[6:7]
.LBB251_1521:
	s_or_b64 exec, exec, s[52:53]
                                        ; implicit-def: $vgpr0_vgpr1
.LBB251_1522:
	s_andn2_saveexec_b64 s[50:51], s[50:51]
	s_cbranch_execz .LBB251_1530
; %bb.1523:
	flat_load_dword v0, v[0:1]
	s_mov_b32 s6, 0x47800000
	s_waitcnt vmcnt(0) lgkmcnt(0)
	v_mov_b32_e32 v6, 0x80
	v_and_b32_e32 v1, 0x7fffffff, v0
	v_cmp_gt_u32_e64 s[6:7], s6, v1
	s_and_saveexec_b64 s[52:53], s[6:7]
	s_cbranch_execz .LBB251_1529
; %bb.1524:
	s_mov_b32 s6, 0x37ffffff
	v_cmp_lt_u32_e64 s[6:7], s6, v1
	s_mov_b64 s[54:55], 0
                                        ; implicit-def: $vgpr1
	s_and_saveexec_b64 s[56:57], s[6:7]
	s_xor_b64 s[6:7], exec, s[56:57]
	s_cbranch_execz .LBB251_2786
; %bb.1525:
	v_bfe_u32 v1, v0, 21, 1
	s_mov_b32 s33, 0x88fffff
	v_add3_u32 v1, v0, v1, s33
	s_mov_b64 s[54:55], exec
	v_lshrrev_b32_e32 v1, 21, v1
	s_andn2_saveexec_b64 s[56:57], s[6:7]
	s_cbranch_execnz .LBB251_2787
.LBB251_1526:
	s_or_b64 exec, exec, s[56:57]
	v_mov_b32_e32 v6, 0
	s_and_saveexec_b64 s[6:7], s[54:55]
.LBB251_1527:
	v_lshrrev_b32_e32 v0, 24, v0
	s_movk_i32 s33, 0x80
	v_and_or_b32 v6, v0, s33, v1
.LBB251_1528:
	s_or_b64 exec, exec, s[6:7]
.LBB251_1529:
	s_or_b64 exec, exec, s[52:53]
.LBB251_1530:
	s_or_b64 exec, exec, s[50:51]
                                        ; implicit-def: $vgpr0_vgpr1
.LBB251_1531:
	s_andn2_saveexec_b64 s[48:49], s[48:49]
	s_cbranch_execz .LBB251_1539
; %bb.1532:
	flat_load_ushort v0, v[0:1]
	s_mov_b32 s6, 0x47800000
	s_waitcnt vmcnt(0) lgkmcnt(0)
	v_mov_b32_e32 v6, 0x80
	v_cvt_f32_f16_e32 v0, v0
	v_and_b32_e32 v1, 0x7fffffff, v0
	v_cmp_gt_u32_e64 s[6:7], s6, v1
	s_and_saveexec_b64 s[50:51], s[6:7]
	s_cbranch_execz .LBB251_1538
; %bb.1533:
	s_mov_b32 s6, 0x37ffffff
	v_cmp_lt_u32_e64 s[6:7], s6, v1
	s_mov_b64 s[52:53], 0
                                        ; implicit-def: $vgpr1
	s_and_saveexec_b64 s[54:55], s[6:7]
	s_xor_b64 s[6:7], exec, s[54:55]
	s_cbranch_execz .LBB251_2713
; %bb.1534:
	v_bfe_u32 v1, v0, 21, 1
	s_mov_b32 s33, 0x88fffff
	v_add3_u32 v1, v0, v1, s33
	s_mov_b64 s[52:53], exec
	v_lshrrev_b32_e32 v1, 21, v1
	s_andn2_saveexec_b64 s[54:55], s[6:7]
	s_cbranch_execnz .LBB251_2714
.LBB251_1535:
	s_or_b64 exec, exec, s[54:55]
	v_mov_b32_e32 v6, 0
	s_and_saveexec_b64 s[6:7], s[52:53]
.LBB251_1536:
	v_lshrrev_b32_e32 v0, 24, v0
	s_movk_i32 s33, 0x80
	v_and_or_b32 v6, v0, s33, v1
.LBB251_1537:
	s_or_b64 exec, exec, s[6:7]
.LBB251_1538:
	s_or_b64 exec, exec, s[50:51]
.LBB251_1539:
	s_or_b64 exec, exec, s[48:49]
.LBB251_1540:
	s_or_b64 exec, exec, s[46:47]
                                        ; implicit-def: $vgpr5
                                        ; implicit-def: $vgpr0_vgpr1
.LBB251_1541:
	s_andn2_saveexec_b64 s[42:43], s[42:43]
	s_cbranch_execz .LBB251_1589
; %bb.1542:
	v_cmp_lt_i16_e64 s[6:7], 1, v5
                                        ; implicit-def: $vgpr6
	s_and_saveexec_b64 s[46:47], s[6:7]
	s_xor_b64 s[46:47], exec, s[46:47]
	s_cbranch_execz .LBB251_1570
; %bb.1543:
	v_cmp_lt_i16_e64 s[6:7], 2, v5
                                        ; implicit-def: $vgpr6
	s_and_saveexec_b64 s[48:49], s[6:7]
	s_xor_b64 s[48:49], exec, s[48:49]
	;; [unrolled: 6-line block ×3, first 2 shown]
	s_cbranch_execz .LBB251_1552
; %bb.1545:
	flat_load_dwordx2 v[0:1], v[0:1]
	s_mov_b32 s6, 0x47800000
	s_waitcnt vmcnt(0) lgkmcnt(0)
	v_xor_b32_e32 v6, v0, v1
	v_ffbh_i32_e32 v5, v1
	v_ashrrev_i32_e32 v6, 31, v6
	v_add_u32_e32 v5, -1, v5
	v_add_u32_e32 v6, 32, v6
	v_min_u32_e32 v5, v5, v6
	v_lshlrev_b64 v[0:1], v5, v[0:1]
	v_mov_b32_e32 v6, 0x80
	v_min_u32_e32 v0, 1, v0
	v_or_b32_e32 v0, v1, v0
	v_cvt_f32_i32_e32 v0, v0
	v_sub_u32_e32 v1, 32, v5
	v_ldexp_f32 v0, v0, v1
	v_and_b32_e32 v1, 0x7fffffff, v0
	v_cmp_gt_u32_e64 s[6:7], s6, v1
	s_and_saveexec_b64 s[52:53], s[6:7]
	s_cbranch_execz .LBB251_1551
; %bb.1546:
	s_mov_b32 s6, 0x37ffffff
	v_cmp_lt_u32_e64 s[6:7], s6, v1
	s_mov_b64 s[54:55], 0
                                        ; implicit-def: $vgpr1
	s_and_saveexec_b64 s[56:57], s[6:7]
	s_xor_b64 s[6:7], exec, s[56:57]
	s_cbranch_execz .LBB251_2788
; %bb.1547:
	v_bfe_u32 v1, v0, 21, 1
	s_mov_b32 s33, 0x88fffff
	v_add3_u32 v1, v0, v1, s33
	s_mov_b64 s[54:55], exec
	v_lshrrev_b32_e32 v1, 21, v1
	s_andn2_saveexec_b64 s[56:57], s[6:7]
	s_cbranch_execnz .LBB251_2789
.LBB251_1548:
	s_or_b64 exec, exec, s[56:57]
	v_mov_b32_e32 v6, 0
	s_and_saveexec_b64 s[6:7], s[54:55]
.LBB251_1549:
	v_lshrrev_b32_e32 v0, 24, v0
	s_movk_i32 s33, 0x80
	v_and_or_b32 v6, v0, s33, v1
.LBB251_1550:
	s_or_b64 exec, exec, s[6:7]
.LBB251_1551:
	s_or_b64 exec, exec, s[52:53]
                                        ; implicit-def: $vgpr0_vgpr1
.LBB251_1552:
	s_andn2_saveexec_b64 s[50:51], s[50:51]
	s_cbranch_execz .LBB251_1560
; %bb.1553:
	flat_load_dword v0, v[0:1]
	s_mov_b32 s6, 0x47800000
	s_waitcnt vmcnt(0) lgkmcnt(0)
	v_mov_b32_e32 v6, 0x80
	v_cvt_f32_i32_e32 v0, v0
	v_and_b32_e32 v1, 0x7fffffff, v0
	v_cmp_gt_u32_e64 s[6:7], s6, v1
	s_and_saveexec_b64 s[52:53], s[6:7]
	s_cbranch_execz .LBB251_1559
; %bb.1554:
	s_mov_b32 s6, 0x37ffffff
	v_cmp_lt_u32_e64 s[6:7], s6, v1
	s_mov_b64 s[54:55], 0
                                        ; implicit-def: $vgpr1
	s_and_saveexec_b64 s[56:57], s[6:7]
	s_xor_b64 s[6:7], exec, s[56:57]
	s_cbranch_execz .LBB251_2790
; %bb.1555:
	v_bfe_u32 v1, v0, 21, 1
	s_mov_b32 s33, 0x88fffff
	v_add3_u32 v1, v0, v1, s33
	s_mov_b64 s[54:55], exec
	v_lshrrev_b32_e32 v1, 21, v1
	s_andn2_saveexec_b64 s[56:57], s[6:7]
	s_cbranch_execnz .LBB251_2791
.LBB251_1556:
	s_or_b64 exec, exec, s[56:57]
	v_mov_b32_e32 v6, 0
	s_and_saveexec_b64 s[6:7], s[54:55]
.LBB251_1557:
	v_lshrrev_b32_e32 v0, 24, v0
	s_movk_i32 s33, 0x80
	v_and_or_b32 v6, v0, s33, v1
.LBB251_1558:
	s_or_b64 exec, exec, s[6:7]
.LBB251_1559:
	s_or_b64 exec, exec, s[52:53]
.LBB251_1560:
	s_or_b64 exec, exec, s[50:51]
                                        ; implicit-def: $vgpr0_vgpr1
.LBB251_1561:
	s_andn2_saveexec_b64 s[48:49], s[48:49]
	s_cbranch_execz .LBB251_1569
; %bb.1562:
	flat_load_sshort v0, v[0:1]
	s_mov_b32 s6, 0x47800000
	s_waitcnt vmcnt(0) lgkmcnt(0)
	v_mov_b32_e32 v6, 0x80
	v_cvt_f32_i32_e32 v0, v0
	v_and_b32_e32 v1, 0x7fffffff, v0
	v_cmp_gt_u32_e64 s[6:7], s6, v1
	s_and_saveexec_b64 s[50:51], s[6:7]
	s_cbranch_execz .LBB251_1568
; %bb.1563:
	s_mov_b32 s6, 0x37ffffff
	v_cmp_lt_u32_e64 s[6:7], s6, v1
	s_mov_b64 s[52:53], 0
                                        ; implicit-def: $vgpr1
	s_and_saveexec_b64 s[54:55], s[6:7]
	s_xor_b64 s[6:7], exec, s[54:55]
	s_cbranch_execz .LBB251_2715
; %bb.1564:
	v_bfe_u32 v1, v0, 21, 1
	s_mov_b32 s33, 0x88fffff
	v_add3_u32 v1, v0, v1, s33
	s_mov_b64 s[52:53], exec
	v_lshrrev_b32_e32 v1, 21, v1
	s_andn2_saveexec_b64 s[54:55], s[6:7]
	s_cbranch_execnz .LBB251_2716
.LBB251_1565:
	s_or_b64 exec, exec, s[54:55]
	v_mov_b32_e32 v6, 0
	s_and_saveexec_b64 s[6:7], s[52:53]
.LBB251_1566:
	v_lshrrev_b32_e32 v0, 24, v0
	s_movk_i32 s33, 0x80
	v_and_or_b32 v6, v0, s33, v1
.LBB251_1567:
	s_or_b64 exec, exec, s[6:7]
.LBB251_1568:
	s_or_b64 exec, exec, s[50:51]
.LBB251_1569:
	s_or_b64 exec, exec, s[48:49]
                                        ; implicit-def: $vgpr5
                                        ; implicit-def: $vgpr0_vgpr1
.LBB251_1570:
	s_andn2_saveexec_b64 s[46:47], s[46:47]
	s_cbranch_execz .LBB251_1588
; %bb.1571:
	v_cmp_lt_i16_e64 s[6:7], 0, v5
                                        ; implicit-def: $vgpr6
	s_and_saveexec_b64 s[48:49], s[6:7]
	s_xor_b64 s[48:49], exec, s[48:49]
	s_cbranch_execz .LBB251_1579
; %bb.1572:
	flat_load_sbyte v0, v[0:1]
	s_mov_b32 s6, 0x47800000
	s_waitcnt vmcnt(0) lgkmcnt(0)
	v_mov_b32_e32 v6, 0x80
	v_cvt_f32_i32_e32 v0, v0
	v_and_b32_e32 v1, 0x7fffffff, v0
	v_cmp_gt_u32_e64 s[6:7], s6, v1
	s_and_saveexec_b64 s[50:51], s[6:7]
	s_cbranch_execz .LBB251_1578
; %bb.1573:
	s_mov_b32 s6, 0x37ffffff
	v_cmp_lt_u32_e64 s[6:7], s6, v1
	s_mov_b64 s[52:53], 0
                                        ; implicit-def: $vgpr1
	s_and_saveexec_b64 s[54:55], s[6:7]
	s_xor_b64 s[6:7], exec, s[54:55]
	s_cbranch_execz .LBB251_2717
; %bb.1574:
	v_bfe_u32 v1, v0, 21, 1
	s_mov_b32 s33, 0x88fffff
	v_add3_u32 v1, v0, v1, s33
	s_mov_b64 s[52:53], exec
	v_lshrrev_b32_e32 v1, 21, v1
	s_andn2_saveexec_b64 s[54:55], s[6:7]
	s_cbranch_execnz .LBB251_2718
.LBB251_1575:
	s_or_b64 exec, exec, s[54:55]
	v_mov_b32_e32 v6, 0
	s_and_saveexec_b64 s[6:7], s[52:53]
.LBB251_1576:
	v_lshrrev_b32_e32 v0, 24, v0
	s_movk_i32 s33, 0x80
	v_and_or_b32 v6, v0, s33, v1
.LBB251_1577:
	s_or_b64 exec, exec, s[6:7]
.LBB251_1578:
	s_or_b64 exec, exec, s[50:51]
                                        ; implicit-def: $vgpr0_vgpr1
.LBB251_1579:
	s_andn2_saveexec_b64 s[48:49], s[48:49]
	s_cbranch_execz .LBB251_1587
; %bb.1580:
	flat_load_ubyte v0, v[0:1]
	s_mov_b32 s6, 0x47800000
	s_waitcnt vmcnt(0) lgkmcnt(0)
	v_mov_b32_e32 v6, 0x80
	v_cvt_f32_ubyte0_e32 v1, v0
	v_cmp_gt_u32_e64 s[6:7], s6, v1
	s_and_saveexec_b64 s[50:51], s[6:7]
	s_cbranch_execz .LBB251_1586
; %bb.1581:
	s_mov_b32 s6, 0x37ffffff
	v_cmp_lt_u32_e64 s[6:7], s6, v1
	s_mov_b64 s[52:53], 0
                                        ; implicit-def: $vgpr0
	s_and_saveexec_b64 s[54:55], s[6:7]
	s_xor_b64 s[6:7], exec, s[54:55]
	s_cbranch_execz .LBB251_2719
; %bb.1582:
	v_bfe_u32 v0, v1, 21, 1
	s_mov_b32 s33, 0x88fffff
	v_add3_u32 v0, v1, v0, s33
	s_mov_b64 s[52:53], exec
	v_lshrrev_b32_e32 v0, 21, v0
                                        ; implicit-def: $vgpr1
	s_andn2_saveexec_b64 s[54:55], s[6:7]
	s_cbranch_execnz .LBB251_2720
.LBB251_1583:
	s_or_b64 exec, exec, s[54:55]
	v_mov_b32_e32 v6, 0
	s_and_saveexec_b64 s[6:7], s[52:53]
.LBB251_1584:
	v_mov_b32_e32 v6, v0
.LBB251_1585:
	s_or_b64 exec, exec, s[6:7]
.LBB251_1586:
	s_or_b64 exec, exec, s[50:51]
.LBB251_1587:
	s_or_b64 exec, exec, s[48:49]
.LBB251_1588:
	s_or_b64 exec, exec, s[46:47]
.LBB251_1589:
	s_or_b64 exec, exec, s[42:43]
	s_or_b64 s[44:45], s[44:45], exec
.LBB251_1590:
	s_or_b64 exec, exec, s[40:41]
	s_mov_b64 s[46:47], 0
	s_mov_b64 s[48:49], 0
                                        ; implicit-def: $sgpr40_sgpr41
                                        ; implicit-def: $vgpr0_vgpr1
                                        ; implicit-def: $vgpr18
	s_and_saveexec_b64 s[42:43], s[44:45]
	s_cbranch_execz .LBB251_1914
; %bb.1591:
                                        ; implicit-def: $sgpr40_sgpr41
	s_and_saveexec_b64 s[6:7], s[4:5]
	s_xor_b64 s[6:7], exec, s[6:7]
	s_cbranch_execz .LBB251_1605
; %bb.1592:
	s_movk_i32 s4, 0x7f
	s_waitcnt vmcnt(0) lgkmcnt(0)
	v_cmp_gt_i16_sdwa s[40:41], v10, s4 src0_sel:BYTE_0 src1_sel:DWORD
	s_mov_b64 s[4:5], 0
	s_and_saveexec_b64 s[44:45], s[40:41]
	s_xor_b64 s[40:41], exec, s[44:45]
	s_cbranch_execz .LBB251_2448
; %bb.1593:
	s_movk_i32 s4, 0x80
	v_cmp_eq_u16_sdwa s[46:47], v10, s4 src0_sel:BYTE_0 src1_sel:DWORD
	s_mov_b64 s[4:5], -1
	s_and_saveexec_b64 s[44:45], s[46:47]
; %bb.1594:
	s_xor_b64 s[4:5], exec, -1
; %bb.1595:
	s_or_b64 exec, exec, s[44:45]
	s_and_b64 s[4:5], s[4:5], exec
	s_or_saveexec_b64 s[40:41], s[40:41]
	v_mov_b32_e32 v0, 0x7f800001
	s_xor_b64 exec, exec, s[40:41]
	s_cbranch_execnz .LBB251_2449
.LBB251_1596:
	s_or_b64 exec, exec, s[40:41]
	s_and_saveexec_b64 s[40:41], s[4:5]
	s_cbranch_execz .LBB251_1598
.LBB251_1597:
	v_and_b32_e32 v1, 3, v10
	v_ffbh_u32_e32 v5, v1
	v_min_u32_e32 v5, 32, v5
	v_lshrrev_b16_e32 v0, 2, v10
	v_subrev_u32_e32 v8, 29, v5
	v_and_b32_e32 v0, 31, v0
	v_lshlrev_b32_e32 v8, v8, v10
	v_sub_u32_e32 v5, 30, v5
	v_and_b32_e32 v8, 3, v8
	v_cmp_eq_u32_e64 s[4:5], 0, v0
	v_cndmask_b32_e64 v0, v0, v5, s[4:5]
	v_cndmask_b32_e64 v1, v1, v8, s[4:5]
	v_lshlrev_b32_e32 v5, 24, v10
	v_mov_b32_e32 v8, 0x37800000
	v_lshlrev_b32_e32 v1, 21, v1
	v_and_b32_e32 v5, 0x80000000, v5
	v_lshl_add_u32 v0, v0, 23, v8
	v_or3_b32 v0, v5, v0, v1
.LBB251_1598:
	s_or_b64 exec, exec, s[40:41]
	s_movk_i32 s4, 0x7f
	v_cmp_gt_i16_sdwa s[40:41], v6, s4 src0_sel:BYTE_0 src1_sel:DWORD
	s_mov_b64 s[4:5], 0
	s_and_saveexec_b64 s[44:45], s[40:41]
	s_xor_b64 s[40:41], exec, s[44:45]
	s_cbranch_execz .LBB251_2450
; %bb.1599:
	s_movk_i32 s4, 0x80
	v_cmp_eq_u16_sdwa s[46:47], v6, s4 src0_sel:BYTE_0 src1_sel:DWORD
	s_mov_b64 s[4:5], -1
	s_and_saveexec_b64 s[44:45], s[46:47]
; %bb.1600:
	s_xor_b64 s[4:5], exec, -1
; %bb.1601:
	s_or_b64 exec, exec, s[44:45]
	s_and_b64 s[4:5], s[4:5], exec
	s_or_saveexec_b64 s[40:41], s[40:41]
	v_mov_b32_e32 v1, 0x7f800001
	s_xor_b64 exec, exec, s[40:41]
	s_cbranch_execnz .LBB251_2451
.LBB251_1602:
	s_or_b64 exec, exec, s[40:41]
	s_and_saveexec_b64 s[40:41], s[4:5]
	s_cbranch_execz .LBB251_1604
.LBB251_1603:
	v_and_b32_e32 v5, 3, v6
	v_ffbh_u32_e32 v8, v5
	v_min_u32_e32 v8, 32, v8
	v_lshrrev_b16_e32 v1, 2, v6
	v_subrev_u32_e32 v9, 29, v8
	v_and_b32_e32 v1, 31, v1
	v_lshlrev_b32_e32 v9, v9, v6
	v_sub_u32_e32 v8, 30, v8
	v_and_b32_e32 v9, 3, v9
	v_cmp_eq_u32_e64 s[4:5], 0, v1
	v_cndmask_b32_e64 v1, v1, v8, s[4:5]
	v_cndmask_b32_e64 v5, v5, v9, s[4:5]
	v_lshlrev_b32_e32 v6, 24, v6
	v_mov_b32_e32 v8, 0x37800000
	v_lshlrev_b32_e32 v5, 21, v5
	v_and_b32_e32 v6, 0x80000000, v6
	v_lshl_add_u32 v1, v1, 23, v8
	v_or3_b32 v1, v6, v1, v5
.LBB251_1604:
	s_or_b64 exec, exec, s[40:41]
	v_cmp_neq_f32_e64 s[40:41], v0, v1
                                        ; implicit-def: $vgpr6
                                        ; implicit-def: $vgpr10
.LBB251_1605:
	s_andn2_saveexec_b64 s[6:7], s[6:7]
	s_cbranch_execz .LBB251_1619
; %bb.1606:
	s_movk_i32 s4, 0x7f
	s_waitcnt vmcnt(0) lgkmcnt(0)
	v_cmp_gt_i16_sdwa s[44:45], v10, s4 src0_sel:BYTE_0 src1_sel:DWORD
	s_mov_b64 s[4:5], 0
	s_and_saveexec_b64 s[46:47], s[44:45]
	s_xor_b64 s[44:45], exec, s[46:47]
	s_cbranch_execz .LBB251_2452
; %bb.1607:
	s_movk_i32 s4, 0x80
	v_cmp_eq_u16_sdwa s[48:49], v10, s4 src0_sel:BYTE_0 src1_sel:DWORD
	s_mov_b64 s[4:5], -1
	s_and_saveexec_b64 s[46:47], s[48:49]
; %bb.1608:
	s_xor_b64 s[4:5], exec, -1
; %bb.1609:
	s_or_b64 exec, exec, s[46:47]
	s_and_b64 s[4:5], s[4:5], exec
	s_or_saveexec_b64 s[44:45], s[44:45]
	v_mov_b32_e32 v0, 0x7f800001
	s_xor_b64 exec, exec, s[44:45]
	s_cbranch_execnz .LBB251_2453
.LBB251_1610:
	s_or_b64 exec, exec, s[44:45]
	s_and_saveexec_b64 s[44:45], s[4:5]
	s_cbranch_execz .LBB251_1612
.LBB251_1611:
	v_and_b32_e32 v1, 3, v10
	v_ffbh_u32_e32 v5, v1
	v_min_u32_e32 v5, 32, v5
	v_lshrrev_b16_e32 v0, 2, v10
	v_subrev_u32_e32 v8, 29, v5
	v_and_b32_e32 v0, 31, v0
	v_lshlrev_b32_e32 v8, v8, v10
	v_sub_u32_e32 v5, 30, v5
	v_and_b32_e32 v8, 3, v8
	v_cmp_eq_u32_e64 s[4:5], 0, v0
	v_cndmask_b32_e64 v0, v0, v5, s[4:5]
	v_cndmask_b32_e64 v1, v1, v8, s[4:5]
	v_lshlrev_b32_e32 v5, 24, v10
	v_mov_b32_e32 v8, 0x37800000
	v_lshlrev_b32_e32 v1, 21, v1
	v_and_b32_e32 v5, 0x80000000, v5
	v_lshl_add_u32 v0, v0, 23, v8
	v_or3_b32 v0, v5, v0, v1
.LBB251_1612:
	s_or_b64 exec, exec, s[44:45]
	s_movk_i32 s4, 0x7f
	v_cmp_gt_i16_sdwa s[44:45], v6, s4 src0_sel:BYTE_0 src1_sel:DWORD
	s_mov_b64 s[4:5], 0
	s_and_saveexec_b64 s[46:47], s[44:45]
	s_xor_b64 s[44:45], exec, s[46:47]
	s_cbranch_execz .LBB251_2454
; %bb.1613:
	s_movk_i32 s4, 0x80
	v_cmp_eq_u16_sdwa s[48:49], v6, s4 src0_sel:BYTE_0 src1_sel:DWORD
	s_mov_b64 s[4:5], -1
	s_and_saveexec_b64 s[46:47], s[48:49]
; %bb.1614:
	s_xor_b64 s[4:5], exec, -1
; %bb.1615:
	s_or_b64 exec, exec, s[46:47]
	s_and_b64 s[4:5], s[4:5], exec
	s_or_saveexec_b64 s[44:45], s[44:45]
	v_mov_b32_e32 v1, 0x7f800001
	s_xor_b64 exec, exec, s[44:45]
	s_cbranch_execnz .LBB251_2455
.LBB251_1616:
	s_or_b64 exec, exec, s[44:45]
	s_and_saveexec_b64 s[44:45], s[4:5]
	s_cbranch_execz .LBB251_1618
.LBB251_1617:
	v_and_b32_e32 v5, 3, v6
	v_ffbh_u32_e32 v8, v5
	v_min_u32_e32 v8, 32, v8
	v_lshrrev_b16_e32 v1, 2, v6
	v_subrev_u32_e32 v9, 29, v8
	v_and_b32_e32 v1, 31, v1
	v_lshlrev_b32_e32 v9, v9, v6
	v_sub_u32_e32 v8, 30, v8
	v_and_b32_e32 v9, 3, v9
	v_cmp_eq_u32_e64 s[4:5], 0, v1
	v_cndmask_b32_e64 v1, v1, v8, s[4:5]
	v_cndmask_b32_e64 v5, v5, v9, s[4:5]
	v_lshlrev_b32_e32 v6, 24, v6
	v_mov_b32_e32 v8, 0x37800000
	v_lshlrev_b32_e32 v5, 21, v5
	v_and_b32_e32 v6, 0x80000000, v6
	v_lshl_add_u32 v1, v1, 23, v8
	v_or3_b32 v1, v6, v1, v5
.LBB251_1618:
	s_or_b64 exec, exec, s[44:45]
	v_cmp_eq_f32_e64 s[4:5], v0, v1
	s_andn2_b64 s[40:41], s[40:41], exec
	s_and_b64 s[4:5], s[4:5], exec
	s_or_b64 s[40:41], s[40:41], s[4:5]
.LBB251_1619:
	s_or_b64 exec, exec, s[6:7]
	buffer_load_ubyte v18, off, s[0:3], 0 offset:40
	v_mul_lo_u32 v5, v4, v7
	s_mov_b64 s[46:47], 0
	s_mov_b64 s[6:7], s[38:39]
	v_ashrrev_i32_e32 v1, 31, v5
	v_add_co_u32_e64 v0, s[4:5], v2, v5
	v_addc_co_u32_e64 v1, s[4:5], v3, v1, s[4:5]
	s_waitcnt vmcnt(0)
	v_cmp_lt_i16_e64 s[4:5], 10, v18
	s_and_saveexec_b64 s[44:45], s[4:5]
	s_xor_b64 s[44:45], exec, s[44:45]
	s_cbranch_execz .LBB251_1660
; %bb.1620:
	v_cmp_lt_i16_e64 s[4:5], 25, v18
	s_mov_b64 s[50:51], 0
	s_mov_b64 s[6:7], 0
	s_and_saveexec_b64 s[48:49], s[4:5]
	s_xor_b64 s[48:49], exec, s[48:49]
	s_cbranch_execz .LBB251_2456
; %bb.1621:
	v_cmp_lt_i16_e64 s[4:5], 28, v18
	s_mov_b64 s[52:53], 0
	s_and_saveexec_b64 s[46:47], s[4:5]
	s_xor_b64 s[46:47], exec, s[46:47]
	s_cbranch_execz .LBB251_1639
; %bb.1622:
	v_cmp_lt_i16_e64 s[4:5], 43, v18
	;; [unrolled: 6-line block ×3, first 2 shown]
	s_mov_b64 s[54:55], 0
	s_and_saveexec_b64 s[6:7], s[4:5]
	s_xor_b64 s[6:7], exec, s[6:7]
	s_cbranch_execz .LBB251_1627
; %bb.1624:
	v_cmp_eq_u16_e64 s[4:5], 46, v18
	s_mov_b64 s[58:59], -1
	s_and_saveexec_b64 s[56:57], s[4:5]
	s_cbranch_execz .LBB251_1626
; %bb.1625:
	s_waitcnt lgkmcnt(0)
	v_cndmask_b32_e64 v6, 0, 1.0, vcc
	v_bfe_u32 v7, v6, 16, 1
	s_movk_i32 s4, 0x7fff
	v_add3_u32 v6, v6, v7, s4
	v_lshrrev_b32_e32 v6, 16, v6
	s_mov_b64 s[54:55], exec
	flat_store_dword v[0:1], v6
	s_xor_b64 s[58:59], exec, -1
.LBB251_1626:
	s_or_b64 exec, exec, s[56:57]
	s_and_b64 s[56:57], s[54:55], exec
	s_and_b64 s[54:55], s[58:59], exec
.LBB251_1627:
	s_andn2_saveexec_b64 s[58:59], s[6:7]
	s_cbranch_execz .LBB251_1633
; %bb.1628:
	v_cmp_eq_u16_e64 s[4:5], 44, v18
	s_mov_b64 s[6:7], -1
	s_mov_b64 s[62:63], s[56:57]
	s_and_saveexec_b64 s[60:61], s[4:5]
	s_cbranch_execz .LBB251_1632
; %bb.1629:
	v_cndmask_b32_e64 v7, 0, 1.0, vcc
	s_waitcnt lgkmcnt(0)
	v_lshrrev_b32_e32 v6, 23, v7
	s_movk_i32 s4, 0xff
	v_cmp_ne_u32_e64 s[4:5], s4, v6
	v_mov_b32_e32 v8, 0xff
	s_and_saveexec_b64 s[62:63], s[4:5]
; %bb.1630:
	s_mov_b32 s6, 0x3fffff
	v_and_b32_e32 v8, 0x400000, v7
	v_and_or_b32 v7, v7, s6, v6
	v_cmp_ne_u32_e64 s[4:5], 0, v8
	v_cmp_ne_u32_e64 s[6:7], 0, v7
	s_and_b64 s[4:5], s[4:5], s[6:7]
	v_cndmask_b32_e64 v7, 0, 1, s[4:5]
	v_add_u32_e32 v8, v6, v7
; %bb.1631:
	s_or_b64 exec, exec, s[62:63]
	s_or_b64 s[62:63], s[56:57], exec
	s_xor_b64 s[6:7], exec, -1
	flat_store_byte v[0:1], v8
.LBB251_1632:
	s_or_b64 exec, exec, s[60:61]
	s_andn2_b64 s[4:5], s[56:57], exec
	s_and_b64 s[56:57], s[62:63], exec
	s_or_b64 s[56:57], s[4:5], s[56:57]
	s_andn2_b64 s[4:5], s[54:55], exec
	s_and_b64 s[6:7], s[6:7], exec
	s_or_b64 s[54:55], s[4:5], s[6:7]
.LBB251_1633:
	s_or_b64 exec, exec, s[58:59]
	s_and_b64 s[56:57], s[56:57], exec
	s_and_b64 s[6:7], s[54:55], exec
.LBB251_1634:
	s_andn2_saveexec_b64 s[52:53], s[52:53]
	s_cbranch_execz .LBB251_1638
; %bb.1635:
	v_cmp_eq_u16_e64 s[4:5], 29, v18
	s_mov_b64 s[54:55], -1
	s_mov_b64 s[60:61], s[56:57]
	s_and_saveexec_b64 s[58:59], s[4:5]
	s_cbranch_execz .LBB251_1637
; %bb.1636:
	s_mov_b32 s4, 0
	s_waitcnt lgkmcnt(0)
	v_cndmask_b32_e64 v6, 0, 1, vcc
	v_mov_b32_e32 v7, s4
	flat_store_dwordx2 v[0:1], v[6:7]
	s_or_b64 s[60:61], s[56:57], exec
	s_xor_b64 s[54:55], exec, -1
.LBB251_1637:
	s_or_b64 exec, exec, s[58:59]
	s_andn2_b64 s[4:5], s[56:57], exec
	s_and_b64 s[56:57], s[60:61], exec
	s_or_b64 s[56:57], s[4:5], s[56:57]
	s_andn2_b64 s[4:5], s[6:7], exec
	s_and_b64 s[6:7], s[54:55], exec
	s_or_b64 s[6:7], s[4:5], s[6:7]
.LBB251_1638:
	s_or_b64 exec, exec, s[52:53]
	s_and_b64 s[52:53], s[56:57], exec
	s_and_b64 s[6:7], s[6:7], exec
.LBB251_1639:
	s_andn2_saveexec_b64 s[46:47], s[46:47]
	s_cbranch_execz .LBB251_1655
; %bb.1640:
	v_cmp_lt_i16_e64 s[4:5], 26, v18
	s_and_saveexec_b64 s[54:55], s[4:5]
	s_xor_b64 s[54:55], exec, s[54:55]
	s_cbranch_execz .LBB251_1646
; %bb.1641:
	v_cmp_lt_i16_e64 s[4:5], 27, v18
	s_and_saveexec_b64 s[56:57], s[4:5]
	s_xor_b64 s[4:5], exec, s[56:57]
	s_cbranch_execz .LBB251_1643
; %bb.1642:
	s_waitcnt lgkmcnt(0)
	v_cndmask_b32_e64 v6, 0, 1, vcc
	flat_store_dword v[0:1], v6
.LBB251_1643:
	s_andn2_saveexec_b64 s[4:5], s[4:5]
	s_cbranch_execz .LBB251_1645
; %bb.1644:
	s_waitcnt lgkmcnt(0)
	v_cndmask_b32_e64 v6, 0, 1, vcc
	flat_store_short v[0:1], v6
.LBB251_1645:
	s_or_b64 exec, exec, s[4:5]
.LBB251_1646:
	s_andn2_saveexec_b64 s[54:55], s[54:55]
	s_cbranch_execz .LBB251_1654
; %bb.1647:
	v_cndmask_b32_e64 v7, 0, 1.0, vcc
	s_mov_b32 s4, 0x43800000
	v_cmp_gt_u32_e64 s[4:5], s4, v7
	v_mov_b32_e32 v8, 0x80
	s_and_saveexec_b64 s[56:57], s[4:5]
	s_cbranch_execz .LBB251_1653
; %bb.1648:
	s_mov_b32 s4, 0x3bffffff
	v_cmp_lt_u32_e64 s[4:5], s4, v7
	s_mov_b64 s[58:59], 0
                                        ; implicit-def: $vgpr6
	s_and_saveexec_b64 s[60:61], s[4:5]
	s_xor_b64 s[4:5], exec, s[60:61]
	s_cbranch_execz .LBB251_2792
; %bb.1649:
	s_waitcnt lgkmcnt(0)
	v_bfe_u32 v6, v7, 20, 1
	s_mov_b32 s33, 0x487ffff
	v_add3_u32 v6, v7, v6, s33
	s_mov_b64 s[58:59], exec
	v_lshrrev_b32_e32 v6, 20, v6
                                        ; implicit-def: $vgpr7
	s_andn2_saveexec_b64 s[60:61], s[4:5]
	s_cbranch_execnz .LBB251_2793
.LBB251_1650:
	s_or_b64 exec, exec, s[60:61]
	v_mov_b32_e32 v8, 0
	s_and_saveexec_b64 s[4:5], s[58:59]
	s_cbranch_execz .LBB251_1652
.LBB251_1651:
	s_waitcnt lgkmcnt(0)
	v_mov_b32_e32 v8, v6
.LBB251_1652:
	s_or_b64 exec, exec, s[4:5]
.LBB251_1653:
	s_or_b64 exec, exec, s[56:57]
	flat_store_byte v[0:1], v8
.LBB251_1654:
	s_or_b64 exec, exec, s[54:55]
	s_or_b64 s[52:53], s[52:53], exec
.LBB251_1655:
	s_or_b64 exec, exec, s[46:47]
	s_and_b64 s[46:47], s[52:53], exec
	s_and_b64 s[6:7], s[6:7], exec
	s_andn2_saveexec_b64 s[48:49], s[48:49]
	s_cbranch_execnz .LBB251_2457
.LBB251_1656:
	s_or_b64 exec, exec, s[48:49]
	s_mov_b64 s[4:5], s[38:39]
	s_and_saveexec_b64 s[48:49], s[6:7]
	s_cbranch_execnz .LBB251_2498
.LBB251_1657:
	s_or_b64 exec, exec, s[48:49]
	s_and_saveexec_b64 s[6:7], s[50:51]
	s_xor_b64 s[6:7], exec, s[6:7]
	s_cbranch_execz .LBB251_1659
.LBB251_1658:
	s_waitcnt lgkmcnt(0)
	v_cndmask_b32_e64 v6, 0, 1, vcc
	flat_store_byte v[0:1], v6
	s_or_b64 s[46:47], s[46:47], exec
.LBB251_1659:
	s_or_b64 exec, exec, s[6:7]
	s_andn2_b64 s[6:7], s[38:39], exec
	s_and_b64 s[4:5], s[4:5], exec
	s_or_b64 s[6:7], s[6:7], s[4:5]
	s_and_b64 s[46:47], s[46:47], exec
                                        ; implicit-def: $vgpr0_vgpr1
.LBB251_1660:
	s_andn2_saveexec_b64 s[44:45], s[44:45]
	s_cbranch_execz .LBB251_1702
; %bb.1661:
	v_cmp_lt_i16_e64 s[4:5], 4, v18
	s_and_saveexec_b64 s[48:49], s[4:5]
	s_xor_b64 s[48:49], exec, s[48:49]
	s_cbranch_execz .LBB251_1683
; %bb.1662:
	v_cmp_lt_i16_e64 s[4:5], 7, v18
	s_and_saveexec_b64 s[50:51], s[4:5]
	s_xor_b64 s[50:51], exec, s[50:51]
	;; [unrolled: 5-line block ×4, first 2 shown]
	s_cbranch_execz .LBB251_1666
; %bb.1665:
	s_waitcnt lgkmcnt(0)
	v_cndmask_b32_e64 v6, 0, 1, vcc
	v_cvt_f64_u32_e32 v[6:7], v6
	v_mov_b32_e32 v8, 0
	v_mov_b32_e32 v9, v8
	flat_store_dwordx4 v[0:1], v[6:9]
                                        ; implicit-def: $vgpr0_vgpr1
.LBB251_1666:
	s_andn2_saveexec_b64 s[4:5], s[4:5]
	s_cbranch_execz .LBB251_1668
; %bb.1667:
	s_waitcnt lgkmcnt(0)
	v_cndmask_b32_e64 v6, 0, 1.0, vcc
	v_mov_b32_e32 v7, 0
	flat_store_dwordx2 v[0:1], v[6:7]
.LBB251_1668:
	s_or_b64 exec, exec, s[4:5]
                                        ; implicit-def: $vgpr0_vgpr1
.LBB251_1669:
	s_andn2_saveexec_b64 s[4:5], s[52:53]
	s_cbranch_execz .LBB251_1671
; %bb.1670:
	s_waitcnt lgkmcnt(0)
	v_cndmask_b32_e64 v6, 0, 1.0, vcc
	v_cvt_f16_f32_e32 v6, v6
	flat_store_dword v[0:1], v6
.LBB251_1671:
	s_or_b64 exec, exec, s[4:5]
                                        ; implicit-def: $vgpr0_vgpr1
.LBB251_1672:
	s_andn2_saveexec_b64 s[50:51], s[50:51]
	s_cbranch_execz .LBB251_1682
; %bb.1673:
	v_cmp_lt_i16_e64 s[4:5], 5, v18
	s_and_saveexec_b64 s[52:53], s[4:5]
	s_xor_b64 s[52:53], exec, s[52:53]
	s_cbranch_execz .LBB251_1679
; %bb.1674:
	v_cmp_lt_i16_e64 s[4:5], 6, v18
	s_and_saveexec_b64 s[54:55], s[4:5]
	s_xor_b64 s[4:5], exec, s[54:55]
	s_cbranch_execz .LBB251_1676
; %bb.1675:
	s_waitcnt lgkmcnt(0)
	v_cndmask_b32_e64 v6, 0, 1, vcc
	v_cvt_f64_u32_e32 v[6:7], v6
	flat_store_dwordx2 v[0:1], v[6:7]
                                        ; implicit-def: $vgpr0_vgpr1
.LBB251_1676:
	s_andn2_saveexec_b64 s[4:5], s[4:5]
	s_cbranch_execz .LBB251_1678
; %bb.1677:
	s_waitcnt lgkmcnt(0)
	v_cndmask_b32_e64 v6, 0, 1.0, vcc
	flat_store_dword v[0:1], v6
.LBB251_1678:
	s_or_b64 exec, exec, s[4:5]
                                        ; implicit-def: $vgpr0_vgpr1
.LBB251_1679:
	s_andn2_saveexec_b64 s[4:5], s[52:53]
	s_cbranch_execz .LBB251_1681
; %bb.1680:
	s_waitcnt lgkmcnt(0)
	v_cndmask_b32_e64 v6, 0, 1.0, vcc
	v_cvt_f16_f32_e32 v6, v6
	flat_store_short v[0:1], v6
.LBB251_1681:
	s_or_b64 exec, exec, s[4:5]
.LBB251_1682:
	s_or_b64 exec, exec, s[50:51]
                                        ; implicit-def: $vgpr0_vgpr1
.LBB251_1683:
	s_andn2_saveexec_b64 s[48:49], s[48:49]
	s_cbranch_execz .LBB251_1701
; %bb.1684:
	v_cmp_lt_i16_e64 s[4:5], 1, v18
	s_and_saveexec_b64 s[50:51], s[4:5]
	s_xor_b64 s[50:51], exec, s[50:51]
	s_cbranch_execz .LBB251_1694
; %bb.1685:
	v_cmp_lt_i16_e64 s[4:5], 2, v18
	s_and_saveexec_b64 s[52:53], s[4:5]
	s_xor_b64 s[52:53], exec, s[52:53]
	;; [unrolled: 5-line block ×3, first 2 shown]
	s_cbranch_execz .LBB251_1688
; %bb.1687:
	s_mov_b32 s33, 0
	s_waitcnt lgkmcnt(0)
	v_cndmask_b32_e64 v6, 0, 1, vcc
	v_mov_b32_e32 v7, s33
	flat_store_dwordx2 v[0:1], v[6:7]
                                        ; implicit-def: $vgpr0_vgpr1
.LBB251_1688:
	s_andn2_saveexec_b64 s[4:5], s[4:5]
	s_cbranch_execz .LBB251_1690
; %bb.1689:
	s_waitcnt lgkmcnt(0)
	v_cndmask_b32_e64 v6, 0, 1, vcc
	flat_store_dword v[0:1], v6
.LBB251_1690:
	s_or_b64 exec, exec, s[4:5]
                                        ; implicit-def: $vgpr0_vgpr1
.LBB251_1691:
	s_andn2_saveexec_b64 s[4:5], s[52:53]
	s_cbranch_execz .LBB251_1693
; %bb.1692:
	s_waitcnt lgkmcnt(0)
	v_cndmask_b32_e64 v6, 0, 1, vcc
	flat_store_short v[0:1], v6
.LBB251_1693:
	s_or_b64 exec, exec, s[4:5]
                                        ; implicit-def: $vgpr0_vgpr1
.LBB251_1694:
	s_andn2_saveexec_b64 s[50:51], s[50:51]
	s_cbranch_execz .LBB251_1700
; %bb.1695:
	v_cmp_lt_i16_e64 s[4:5], 0, v18
	s_waitcnt lgkmcnt(0)
	v_cndmask_b32_e64 v6, 0, 1, vcc
	s_and_saveexec_b64 s[52:53], s[4:5]
	s_xor_b64 s[4:5], exec, s[52:53]
	s_cbranch_execz .LBB251_1697
; %bb.1696:
	flat_store_byte v[0:1], v6
                                        ; implicit-def: $vgpr0_vgpr1
                                        ; implicit-def: $vgpr6
.LBB251_1697:
	s_andn2_saveexec_b64 s[4:5], s[4:5]
	s_cbranch_execz .LBB251_1699
; %bb.1698:
	flat_store_byte v[0:1], v6
.LBB251_1699:
	s_or_b64 exec, exec, s[4:5]
.LBB251_1700:
	s_or_b64 exec, exec, s[50:51]
.LBB251_1701:
	s_or_b64 exec, exec, s[48:49]
	s_or_b64 s[46:47], s[46:47], exec
.LBB251_1702:
	s_or_b64 exec, exec, s[44:45]
	s_mov_b64 s[4:5], 0
	s_mov_b64 s[48:49], 0
                                        ; implicit-def: $vgpr0_vgpr1
	s_and_saveexec_b64 s[44:45], s[46:47]
	s_cbranch_execz .LBB251_1913
; %bb.1703:
	v_lshlrev_b32_e32 v4, 7, v4
	v_add_u32_e32 v5, v5, v4
	v_ashrrev_i32_e32 v1, 31, v5
	v_add_co_u32_e32 v0, vcc, v2, v5
	v_addc_co_u32_e32 v1, vcc, v3, v1, vcc
	v_cmp_lt_i16_e32 vcc, 10, v18
	s_mov_b64 s[46:47], s[6:7]
	s_and_saveexec_b64 s[48:49], vcc
	s_xor_b64 s[48:49], exec, s[48:49]
	s_cbranch_execz .LBB251_1744
; %bb.1704:
	v_cmp_lt_i16_e32 vcc, 25, v18
	s_mov_b64 s[52:53], 0
	s_mov_b64 s[46:47], 0
	s_and_saveexec_b64 s[50:51], vcc
	s_xor_b64 s[50:51], exec, s[50:51]
	s_cbranch_execz .LBB251_2547
; %bb.1705:
	v_cmp_lt_i16_e32 vcc, 28, v18
	s_mov_b64 s[54:55], 0
	s_and_saveexec_b64 s[46:47], vcc
	s_xor_b64 s[46:47], exec, s[46:47]
	s_cbranch_execz .LBB251_1723
; %bb.1706:
	v_cmp_lt_i16_e32 vcc, 43, v18
	s_mov_b64 s[56:57], 0
	s_and_saveexec_b64 s[54:55], vcc
	s_xor_b64 s[54:55], exec, s[54:55]
	s_cbranch_execz .LBB251_1718
; %bb.1707:
	v_cmp_lt_i16_e32 vcc, 45, v18
	s_mov_b64 s[58:59], 0
	s_and_saveexec_b64 s[4:5], vcc
	s_xor_b64 s[4:5], exec, s[4:5]
	s_cbranch_execz .LBB251_1711
; %bb.1708:
	v_cmp_eq_u16_e32 vcc, 46, v18
	s_mov_b64 s[60:61], -1
	s_and_saveexec_b64 s[58:59], vcc
	s_cbranch_execz .LBB251_1710
; %bb.1709:
	s_waitcnt lgkmcnt(0)
	v_cndmask_b32_e64 v6, 0, 1.0, s[18:19]
	v_bfe_u32 v7, v6, 16, 1
	s_movk_i32 s33, 0x7fff
	v_add3_u32 v6, v6, v7, s33
	v_lshrrev_b32_e32 v6, 16, v6
	s_mov_b64 s[56:57], exec
	flat_store_dword v[0:1], v6
	s_xor_b64 s[60:61], exec, -1
.LBB251_1710:
	s_or_b64 exec, exec, s[58:59]
	s_and_b64 s[58:59], s[56:57], exec
	s_and_b64 s[56:57], s[60:61], exec
.LBB251_1711:
	s_andn2_saveexec_b64 s[60:61], s[4:5]
	s_cbranch_execz .LBB251_1717
; %bb.1712:
	v_cmp_eq_u16_e32 vcc, 44, v18
	s_mov_b64 s[4:5], -1
	s_mov_b64 s[64:65], s[58:59]
	s_and_saveexec_b64 s[62:63], vcc
	s_cbranch_execz .LBB251_1716
; %bb.1713:
	v_cndmask_b32_e64 v7, 0, 1.0, s[18:19]
	s_waitcnt lgkmcnt(0)
	v_lshrrev_b32_e32 v6, 23, v7
	s_movk_i32 s4, 0xff
	v_cmp_ne_u32_e32 vcc, s4, v6
	v_mov_b32_e32 v8, 0xff
	s_and_saveexec_b64 s[64:65], vcc
; %bb.1714:
	s_mov_b32 s4, 0x3fffff
	v_and_b32_e32 v8, 0x400000, v7
	v_and_or_b32 v7, v7, s4, v6
	v_cmp_ne_u32_e32 vcc, 0, v8
	v_cmp_ne_u32_e64 s[4:5], 0, v7
	s_and_b64 s[4:5], vcc, s[4:5]
	v_cndmask_b32_e64 v7, 0, 1, s[4:5]
	v_add_u32_e32 v8, v6, v7
; %bb.1715:
	s_or_b64 exec, exec, s[64:65]
	s_or_b64 s[64:65], s[58:59], exec
	s_xor_b64 s[4:5], exec, -1
	flat_store_byte v[0:1], v8
.LBB251_1716:
	s_or_b64 exec, exec, s[62:63]
	s_andn2_b64 s[58:59], s[58:59], exec
	s_and_b64 s[62:63], s[64:65], exec
	s_andn2_b64 s[56:57], s[56:57], exec
	s_and_b64 s[4:5], s[4:5], exec
	s_or_b64 s[58:59], s[58:59], s[62:63]
	s_or_b64 s[56:57], s[56:57], s[4:5]
.LBB251_1717:
	s_or_b64 exec, exec, s[60:61]
	s_and_b64 s[4:5], s[58:59], exec
	s_and_b64 s[56:57], s[56:57], exec
.LBB251_1718:
	s_andn2_saveexec_b64 s[54:55], s[54:55]
	s_cbranch_execz .LBB251_1722
; %bb.1719:
	v_cmp_eq_u16_e32 vcc, 29, v18
	s_mov_b64 s[58:59], -1
	s_mov_b64 s[62:63], s[4:5]
	s_and_saveexec_b64 s[60:61], vcc
	s_cbranch_execz .LBB251_1721
; %bb.1720:
	s_mov_b32 s33, 0
	s_waitcnt lgkmcnt(0)
	v_cndmask_b32_e64 v6, 0, 1, s[18:19]
	v_mov_b32_e32 v7, s33
	flat_store_dwordx2 v[0:1], v[6:7]
	s_or_b64 s[62:63], s[4:5], exec
	s_xor_b64 s[58:59], exec, -1
.LBB251_1721:
	s_or_b64 exec, exec, s[60:61]
	s_andn2_b64 s[4:5], s[4:5], exec
	s_and_b64 s[60:61], s[62:63], exec
	s_andn2_b64 s[56:57], s[56:57], exec
	s_and_b64 s[58:59], s[58:59], exec
	s_or_b64 s[4:5], s[4:5], s[60:61]
	s_or_b64 s[56:57], s[56:57], s[58:59]
.LBB251_1722:
	s_or_b64 exec, exec, s[54:55]
	s_and_b64 s[4:5], s[4:5], exec
	s_and_b64 s[54:55], s[56:57], exec
.LBB251_1723:
	s_andn2_saveexec_b64 s[46:47], s[46:47]
	s_cbranch_execz .LBB251_1739
; %bb.1724:
	v_cmp_lt_i16_e32 vcc, 26, v18
	s_and_saveexec_b64 s[56:57], vcc
	s_xor_b64 s[56:57], exec, s[56:57]
	s_cbranch_execz .LBB251_1730
; %bb.1725:
	v_cmp_lt_i16_e32 vcc, 27, v18
	s_and_saveexec_b64 s[58:59], vcc
	s_xor_b64 s[58:59], exec, s[58:59]
	s_cbranch_execz .LBB251_1727
; %bb.1726:
	s_waitcnt lgkmcnt(0)
	v_cndmask_b32_e64 v6, 0, 1, s[18:19]
	flat_store_dword v[0:1], v6
.LBB251_1727:
	s_andn2_saveexec_b64 s[58:59], s[58:59]
	s_cbranch_execz .LBB251_1729
; %bb.1728:
	s_waitcnt lgkmcnt(0)
	v_cndmask_b32_e64 v6, 0, 1, s[18:19]
	flat_store_short v[0:1], v6
.LBB251_1729:
	s_or_b64 exec, exec, s[58:59]
.LBB251_1730:
	s_andn2_saveexec_b64 s[56:57], s[56:57]
	s_cbranch_execz .LBB251_1738
; %bb.1731:
	v_cndmask_b32_e64 v7, 0, 1.0, s[18:19]
	s_mov_b32 s33, 0x43800000
	v_cmp_gt_u32_e32 vcc, s33, v7
	v_mov_b32_e32 v8, 0x80
	s_and_saveexec_b64 s[58:59], vcc
	s_cbranch_execz .LBB251_1737
; %bb.1732:
	s_mov_b32 s33, 0x3bffffff
	v_cmp_lt_u32_e32 vcc, s33, v7
	s_mov_b64 s[60:61], 0
                                        ; implicit-def: $vgpr6
	s_and_saveexec_b64 s[62:63], vcc
	s_xor_b64 s[62:63], exec, s[62:63]
	s_cbranch_execz .LBB251_2802
; %bb.1733:
	s_waitcnt lgkmcnt(0)
	v_bfe_u32 v6, v7, 20, 1
	s_mov_b32 s33, 0x487ffff
	v_add3_u32 v6, v7, v6, s33
	s_mov_b64 s[60:61], exec
	v_lshrrev_b32_e32 v6, 20, v6
                                        ; implicit-def: $vgpr7
	s_andn2_saveexec_b64 s[62:63], s[62:63]
	s_cbranch_execnz .LBB251_2803
.LBB251_1734:
	s_or_b64 exec, exec, s[62:63]
	v_mov_b32_e32 v8, 0
	s_and_saveexec_b64 s[62:63], s[60:61]
	s_cbranch_execz .LBB251_1736
.LBB251_1735:
	s_waitcnt lgkmcnt(0)
	v_mov_b32_e32 v8, v6
.LBB251_1736:
	s_or_b64 exec, exec, s[62:63]
.LBB251_1737:
	s_or_b64 exec, exec, s[58:59]
	flat_store_byte v[0:1], v8
.LBB251_1738:
	s_or_b64 exec, exec, s[56:57]
	s_or_b64 s[4:5], s[4:5], exec
.LBB251_1739:
	s_or_b64 exec, exec, s[46:47]
	s_and_b64 s[4:5], s[4:5], exec
	s_and_b64 s[46:47], s[54:55], exec
	s_andn2_saveexec_b64 s[50:51], s[50:51]
	s_cbranch_execnz .LBB251_2548
.LBB251_1740:
	s_or_b64 exec, exec, s[50:51]
	s_mov_b64 s[50:51], s[6:7]
	s_and_saveexec_b64 s[54:55], s[46:47]
	s_cbranch_execnz .LBB251_2589
.LBB251_1741:
	s_or_b64 exec, exec, s[54:55]
	s_and_saveexec_b64 s[46:47], s[52:53]
	s_xor_b64 s[46:47], exec, s[46:47]
	s_cbranch_execz .LBB251_1743
.LBB251_1742:
	s_waitcnt lgkmcnt(0)
	v_cndmask_b32_e64 v6, 0, 1, s[18:19]
	flat_store_byte v[0:1], v6
	s_or_b64 s[4:5], s[4:5], exec
.LBB251_1743:
	s_or_b64 exec, exec, s[46:47]
	s_andn2_b64 s[46:47], s[6:7], exec
	s_and_b64 s[50:51], s[50:51], exec
	s_or_b64 s[46:47], s[46:47], s[50:51]
	s_and_b64 s[4:5], s[4:5], exec
                                        ; implicit-def: $vgpr0_vgpr1
.LBB251_1744:
	s_andn2_saveexec_b64 s[48:49], s[48:49]
	s_cbranch_execz .LBB251_1786
; %bb.1745:
	v_cmp_lt_i16_e32 vcc, 4, v18
	s_and_saveexec_b64 s[50:51], vcc
	s_xor_b64 s[50:51], exec, s[50:51]
	s_cbranch_execz .LBB251_1767
; %bb.1746:
	v_cmp_lt_i16_e32 vcc, 7, v18
	s_and_saveexec_b64 s[52:53], vcc
	s_xor_b64 s[52:53], exec, s[52:53]
	;; [unrolled: 5-line block ×4, first 2 shown]
	s_cbranch_execz .LBB251_1750
; %bb.1749:
	s_waitcnt lgkmcnt(0)
	v_cndmask_b32_e64 v6, 0, 1, s[18:19]
	v_cvt_f64_u32_e32 v[6:7], v6
	v_mov_b32_e32 v8, 0
	v_mov_b32_e32 v9, v8
	flat_store_dwordx4 v[0:1], v[6:9]
                                        ; implicit-def: $vgpr0_vgpr1
.LBB251_1750:
	s_andn2_saveexec_b64 s[56:57], s[56:57]
	s_cbranch_execz .LBB251_1752
; %bb.1751:
	s_waitcnt lgkmcnt(0)
	v_cndmask_b32_e64 v6, 0, 1.0, s[18:19]
	v_mov_b32_e32 v7, 0
	flat_store_dwordx2 v[0:1], v[6:7]
.LBB251_1752:
	s_or_b64 exec, exec, s[56:57]
                                        ; implicit-def: $vgpr0_vgpr1
.LBB251_1753:
	s_andn2_saveexec_b64 s[54:55], s[54:55]
	s_cbranch_execz .LBB251_1755
; %bb.1754:
	s_waitcnt lgkmcnt(0)
	v_cndmask_b32_e64 v6, 0, 1.0, s[18:19]
	v_cvt_f16_f32_e32 v6, v6
	flat_store_dword v[0:1], v6
.LBB251_1755:
	s_or_b64 exec, exec, s[54:55]
                                        ; implicit-def: $vgpr0_vgpr1
.LBB251_1756:
	s_andn2_saveexec_b64 s[52:53], s[52:53]
	s_cbranch_execz .LBB251_1766
; %bb.1757:
	v_cmp_lt_i16_e32 vcc, 5, v18
	s_and_saveexec_b64 s[54:55], vcc
	s_xor_b64 s[54:55], exec, s[54:55]
	s_cbranch_execz .LBB251_1763
; %bb.1758:
	v_cmp_lt_i16_e32 vcc, 6, v18
	s_and_saveexec_b64 s[56:57], vcc
	s_xor_b64 s[56:57], exec, s[56:57]
	s_cbranch_execz .LBB251_1760
; %bb.1759:
	s_waitcnt lgkmcnt(0)
	v_cndmask_b32_e64 v6, 0, 1, s[18:19]
	v_cvt_f64_u32_e32 v[6:7], v6
	flat_store_dwordx2 v[0:1], v[6:7]
                                        ; implicit-def: $vgpr0_vgpr1
.LBB251_1760:
	s_andn2_saveexec_b64 s[56:57], s[56:57]
	s_cbranch_execz .LBB251_1762
; %bb.1761:
	s_waitcnt lgkmcnt(0)
	v_cndmask_b32_e64 v6, 0, 1.0, s[18:19]
	flat_store_dword v[0:1], v6
.LBB251_1762:
	s_or_b64 exec, exec, s[56:57]
                                        ; implicit-def: $vgpr0_vgpr1
.LBB251_1763:
	s_andn2_saveexec_b64 s[54:55], s[54:55]
	s_cbranch_execz .LBB251_1765
; %bb.1764:
	s_waitcnt lgkmcnt(0)
	v_cndmask_b32_e64 v6, 0, 1.0, s[18:19]
	v_cvt_f16_f32_e32 v6, v6
	flat_store_short v[0:1], v6
.LBB251_1765:
	s_or_b64 exec, exec, s[54:55]
.LBB251_1766:
	s_or_b64 exec, exec, s[52:53]
                                        ; implicit-def: $vgpr0_vgpr1
.LBB251_1767:
	s_andn2_saveexec_b64 s[50:51], s[50:51]
	s_cbranch_execz .LBB251_1785
; %bb.1768:
	v_cmp_lt_i16_e32 vcc, 1, v18
	s_and_saveexec_b64 s[52:53], vcc
	s_xor_b64 s[52:53], exec, s[52:53]
	s_cbranch_execz .LBB251_1778
; %bb.1769:
	v_cmp_lt_i16_e32 vcc, 2, v18
	s_and_saveexec_b64 s[54:55], vcc
	s_xor_b64 s[54:55], exec, s[54:55]
	;; [unrolled: 5-line block ×3, first 2 shown]
	s_cbranch_execz .LBB251_1772
; %bb.1771:
	s_mov_b32 s33, 0
	s_waitcnt lgkmcnt(0)
	v_cndmask_b32_e64 v6, 0, 1, s[18:19]
	v_mov_b32_e32 v7, s33
	flat_store_dwordx2 v[0:1], v[6:7]
                                        ; implicit-def: $vgpr0_vgpr1
.LBB251_1772:
	s_andn2_saveexec_b64 s[56:57], s[56:57]
	s_cbranch_execz .LBB251_1774
; %bb.1773:
	s_waitcnt lgkmcnt(0)
	v_cndmask_b32_e64 v6, 0, 1, s[18:19]
	flat_store_dword v[0:1], v6
.LBB251_1774:
	s_or_b64 exec, exec, s[56:57]
                                        ; implicit-def: $vgpr0_vgpr1
.LBB251_1775:
	s_andn2_saveexec_b64 s[54:55], s[54:55]
	s_cbranch_execz .LBB251_1777
; %bb.1776:
	s_waitcnt lgkmcnt(0)
	v_cndmask_b32_e64 v6, 0, 1, s[18:19]
	flat_store_short v[0:1], v6
.LBB251_1777:
	s_or_b64 exec, exec, s[54:55]
                                        ; implicit-def: $vgpr0_vgpr1
.LBB251_1778:
	s_andn2_saveexec_b64 s[52:53], s[52:53]
	s_cbranch_execz .LBB251_1784
; %bb.1779:
	v_cmp_lt_i16_e32 vcc, 0, v18
	s_waitcnt lgkmcnt(0)
	v_cndmask_b32_e64 v6, 0, 1, s[18:19]
	s_and_saveexec_b64 s[18:19], vcc
	s_xor_b64 s[18:19], exec, s[18:19]
	s_cbranch_execz .LBB251_1781
; %bb.1780:
	flat_store_byte v[0:1], v6
                                        ; implicit-def: $vgpr0_vgpr1
                                        ; implicit-def: $vgpr6
.LBB251_1781:
	s_andn2_saveexec_b64 s[18:19], s[18:19]
	s_cbranch_execz .LBB251_1783
; %bb.1782:
	flat_store_byte v[0:1], v6
.LBB251_1783:
	s_or_b64 exec, exec, s[18:19]
.LBB251_1784:
	s_or_b64 exec, exec, s[52:53]
.LBB251_1785:
	s_or_b64 exec, exec, s[50:51]
	s_or_b64 s[4:5], s[4:5], exec
.LBB251_1786:
	s_or_b64 exec, exec, s[48:49]
	s_mov_b64 s[50:51], 0
	s_mov_b64 s[52:53], 0
                                        ; implicit-def: $vgpr0_vgpr1
	s_and_saveexec_b64 s[18:19], s[4:5]
	s_cbranch_execz .LBB251_1912
; %bb.1787:
	v_add_u32_e32 v5, v5, v4
	v_ashrrev_i32_e32 v1, 31, v5
	v_add_co_u32_e32 v0, vcc, v2, v5
	v_addc_co_u32_e32 v1, vcc, v3, v1, vcc
	v_cmp_lt_i16_e32 vcc, 10, v18
	s_mov_b64 s[4:5], 0
	s_mov_b64 s[48:49], s[46:47]
	s_and_saveexec_b64 s[50:51], vcc
	s_xor_b64 s[50:51], exec, s[50:51]
	s_cbranch_execz .LBB251_1828
; %bb.1788:
	v_cmp_lt_i16_e32 vcc, 25, v18
	s_mov_b64 s[54:55], 0
	s_mov_b64 s[48:49], 0
	s_and_saveexec_b64 s[52:53], vcc
	s_xor_b64 s[52:53], exec, s[52:53]
	s_cbranch_execz .LBB251_2636
; %bb.1789:
	v_cmp_lt_i16_e32 vcc, 28, v18
	s_mov_b64 s[56:57], 0
	s_and_saveexec_b64 s[48:49], vcc
	s_xor_b64 s[48:49], exec, s[48:49]
	s_cbranch_execz .LBB251_1807
; %bb.1790:
	v_cmp_lt_i16_e32 vcc, 43, v18
	;; [unrolled: 6-line block ×3, first 2 shown]
	s_mov_b64 s[60:61], 0
	s_and_saveexec_b64 s[4:5], vcc
	s_xor_b64 s[4:5], exec, s[4:5]
	s_cbranch_execz .LBB251_1795
; %bb.1792:
	v_cmp_eq_u16_e32 vcc, 46, v18
	s_mov_b64 s[62:63], -1
	s_and_saveexec_b64 s[60:61], vcc
	s_cbranch_execz .LBB251_1794
; %bb.1793:
	s_waitcnt lgkmcnt(0)
	v_cndmask_b32_e64 v6, 0, 1.0, s[26:27]
	v_bfe_u32 v7, v6, 16, 1
	s_movk_i32 s33, 0x7fff
	v_add3_u32 v6, v6, v7, s33
	v_lshrrev_b32_e32 v6, 16, v6
	s_mov_b64 s[58:59], exec
	flat_store_dword v[0:1], v6
	s_xor_b64 s[62:63], exec, -1
.LBB251_1794:
	s_or_b64 exec, exec, s[60:61]
	s_and_b64 s[60:61], s[58:59], exec
	s_and_b64 s[58:59], s[62:63], exec
.LBB251_1795:
	s_andn2_saveexec_b64 s[62:63], s[4:5]
	s_cbranch_execz .LBB251_1801
; %bb.1796:
	v_cmp_eq_u16_e32 vcc, 44, v18
	s_mov_b64 s[4:5], -1
	s_mov_b64 s[66:67], s[60:61]
	s_and_saveexec_b64 s[64:65], vcc
	s_cbranch_execz .LBB251_1800
; %bb.1797:
	v_cndmask_b32_e64 v7, 0, 1.0, s[26:27]
	s_waitcnt lgkmcnt(0)
	v_lshrrev_b32_e32 v6, 23, v7
	s_movk_i32 s4, 0xff
	v_cmp_ne_u32_e32 vcc, s4, v6
	v_mov_b32_e32 v8, 0xff
	s_and_saveexec_b64 s[66:67], vcc
; %bb.1798:
	s_mov_b32 s4, 0x3fffff
	v_and_b32_e32 v8, 0x400000, v7
	v_and_or_b32 v7, v7, s4, v6
	v_cmp_ne_u32_e32 vcc, 0, v8
	v_cmp_ne_u32_e64 s[4:5], 0, v7
	s_and_b64 s[4:5], vcc, s[4:5]
	v_cndmask_b32_e64 v7, 0, 1, s[4:5]
	v_add_u32_e32 v8, v6, v7
; %bb.1799:
	s_or_b64 exec, exec, s[66:67]
	s_or_b64 s[66:67], s[60:61], exec
	s_xor_b64 s[4:5], exec, -1
	flat_store_byte v[0:1], v8
.LBB251_1800:
	s_or_b64 exec, exec, s[64:65]
	s_andn2_b64 s[60:61], s[60:61], exec
	s_and_b64 s[64:65], s[66:67], exec
	s_andn2_b64 s[58:59], s[58:59], exec
	s_and_b64 s[4:5], s[4:5], exec
	s_or_b64 s[60:61], s[60:61], s[64:65]
	s_or_b64 s[58:59], s[58:59], s[4:5]
.LBB251_1801:
	s_or_b64 exec, exec, s[62:63]
	s_and_b64 s[4:5], s[60:61], exec
	s_and_b64 s[58:59], s[58:59], exec
.LBB251_1802:
	s_andn2_saveexec_b64 s[56:57], s[56:57]
	s_cbranch_execz .LBB251_1806
; %bb.1803:
	v_cmp_eq_u16_e32 vcc, 29, v18
	s_mov_b64 s[60:61], -1
	s_mov_b64 s[64:65], s[4:5]
	s_and_saveexec_b64 s[62:63], vcc
	s_cbranch_execz .LBB251_1805
; %bb.1804:
	s_mov_b32 s33, 0
	s_waitcnt lgkmcnt(0)
	v_cndmask_b32_e64 v6, 0, 1, s[26:27]
	v_mov_b32_e32 v7, s33
	flat_store_dwordx2 v[0:1], v[6:7]
	s_or_b64 s[64:65], s[4:5], exec
	s_xor_b64 s[60:61], exec, -1
.LBB251_1805:
	s_or_b64 exec, exec, s[62:63]
	s_andn2_b64 s[4:5], s[4:5], exec
	s_and_b64 s[62:63], s[64:65], exec
	s_andn2_b64 s[58:59], s[58:59], exec
	s_and_b64 s[60:61], s[60:61], exec
	s_or_b64 s[4:5], s[4:5], s[62:63]
	s_or_b64 s[58:59], s[58:59], s[60:61]
.LBB251_1806:
	s_or_b64 exec, exec, s[56:57]
	s_and_b64 s[4:5], s[4:5], exec
	s_and_b64 s[56:57], s[58:59], exec
.LBB251_1807:
	s_andn2_saveexec_b64 s[48:49], s[48:49]
	s_cbranch_execz .LBB251_1823
; %bb.1808:
	v_cmp_lt_i16_e32 vcc, 26, v18
	s_and_saveexec_b64 s[58:59], vcc
	s_xor_b64 s[58:59], exec, s[58:59]
	s_cbranch_execz .LBB251_1814
; %bb.1809:
	v_cmp_lt_i16_e32 vcc, 27, v18
	s_and_saveexec_b64 s[60:61], vcc
	s_xor_b64 s[60:61], exec, s[60:61]
	s_cbranch_execz .LBB251_1811
; %bb.1810:
	s_waitcnt lgkmcnt(0)
	v_cndmask_b32_e64 v6, 0, 1, s[26:27]
	flat_store_dword v[0:1], v6
.LBB251_1811:
	s_andn2_saveexec_b64 s[60:61], s[60:61]
	s_cbranch_execz .LBB251_1813
; %bb.1812:
	s_waitcnt lgkmcnt(0)
	v_cndmask_b32_e64 v6, 0, 1, s[26:27]
	flat_store_short v[0:1], v6
.LBB251_1813:
	s_or_b64 exec, exec, s[60:61]
.LBB251_1814:
	s_andn2_saveexec_b64 s[58:59], s[58:59]
	s_cbranch_execz .LBB251_1822
; %bb.1815:
	v_cndmask_b32_e64 v7, 0, 1.0, s[26:27]
	s_mov_b32 s33, 0x43800000
	v_cmp_gt_u32_e32 vcc, s33, v7
	v_mov_b32_e32 v8, 0x80
	s_and_saveexec_b64 s[60:61], vcc
	s_cbranch_execz .LBB251_1821
; %bb.1816:
	s_mov_b32 s33, 0x3bffffff
	v_cmp_lt_u32_e32 vcc, s33, v7
	s_mov_b64 s[62:63], 0
                                        ; implicit-def: $vgpr6
	s_and_saveexec_b64 s[64:65], vcc
	s_xor_b64 s[64:65], exec, s[64:65]
	s_cbranch_execz .LBB251_2806
; %bb.1817:
	s_waitcnt lgkmcnt(0)
	v_bfe_u32 v6, v7, 20, 1
	s_mov_b32 s33, 0x487ffff
	v_add3_u32 v6, v7, v6, s33
	s_mov_b64 s[62:63], exec
	v_lshrrev_b32_e32 v6, 20, v6
                                        ; implicit-def: $vgpr7
	s_andn2_saveexec_b64 s[64:65], s[64:65]
	s_cbranch_execnz .LBB251_2807
.LBB251_1818:
	s_or_b64 exec, exec, s[64:65]
	v_mov_b32_e32 v8, 0
	s_and_saveexec_b64 s[64:65], s[62:63]
	s_cbranch_execz .LBB251_1820
.LBB251_1819:
	s_waitcnt lgkmcnt(0)
	v_mov_b32_e32 v8, v6
.LBB251_1820:
	s_or_b64 exec, exec, s[64:65]
.LBB251_1821:
	s_or_b64 exec, exec, s[60:61]
	flat_store_byte v[0:1], v8
.LBB251_1822:
	s_or_b64 exec, exec, s[58:59]
	s_or_b64 s[4:5], s[4:5], exec
.LBB251_1823:
	s_or_b64 exec, exec, s[48:49]
	s_and_b64 s[4:5], s[4:5], exec
	s_and_b64 s[48:49], s[56:57], exec
	s_andn2_saveexec_b64 s[52:53], s[52:53]
	s_cbranch_execnz .LBB251_2637
.LBB251_1824:
	s_or_b64 exec, exec, s[52:53]
	s_mov_b64 s[52:53], s[46:47]
	s_and_saveexec_b64 s[56:57], s[48:49]
	s_cbranch_execnz .LBB251_2678
.LBB251_1825:
	s_or_b64 exec, exec, s[56:57]
	s_and_saveexec_b64 s[48:49], s[54:55]
	s_xor_b64 s[48:49], exec, s[48:49]
	s_cbranch_execz .LBB251_1827
.LBB251_1826:
	s_waitcnt lgkmcnt(0)
	v_cndmask_b32_e64 v6, 0, 1, s[26:27]
	flat_store_byte v[0:1], v6
	s_or_b64 s[4:5], s[4:5], exec
.LBB251_1827:
	s_or_b64 exec, exec, s[48:49]
	s_andn2_b64 s[48:49], s[46:47], exec
	s_and_b64 s[52:53], s[52:53], exec
	s_or_b64 s[48:49], s[48:49], s[52:53]
	s_and_b64 s[4:5], s[4:5], exec
                                        ; implicit-def: $vgpr0_vgpr1
.LBB251_1828:
	s_andn2_saveexec_b64 s[50:51], s[50:51]
	s_cbranch_execz .LBB251_1870
; %bb.1829:
	v_cmp_lt_i16_e32 vcc, 4, v18
	s_and_saveexec_b64 s[52:53], vcc
	s_xor_b64 s[52:53], exec, s[52:53]
	s_cbranch_execz .LBB251_1851
; %bb.1830:
	v_cmp_lt_i16_e32 vcc, 7, v18
	s_and_saveexec_b64 s[54:55], vcc
	s_xor_b64 s[54:55], exec, s[54:55]
	;; [unrolled: 5-line block ×4, first 2 shown]
	s_cbranch_execz .LBB251_1834
; %bb.1833:
	s_waitcnt lgkmcnt(0)
	v_cndmask_b32_e64 v6, 0, 1, s[26:27]
	v_cvt_f64_u32_e32 v[6:7], v6
	v_mov_b32_e32 v8, 0
	v_mov_b32_e32 v9, v8
	flat_store_dwordx4 v[0:1], v[6:9]
                                        ; implicit-def: $vgpr0_vgpr1
.LBB251_1834:
	s_andn2_saveexec_b64 s[58:59], s[58:59]
	s_cbranch_execz .LBB251_1836
; %bb.1835:
	s_waitcnt lgkmcnt(0)
	v_cndmask_b32_e64 v6, 0, 1.0, s[26:27]
	v_mov_b32_e32 v7, 0
	flat_store_dwordx2 v[0:1], v[6:7]
.LBB251_1836:
	s_or_b64 exec, exec, s[58:59]
                                        ; implicit-def: $vgpr0_vgpr1
.LBB251_1837:
	s_andn2_saveexec_b64 s[56:57], s[56:57]
	s_cbranch_execz .LBB251_1839
; %bb.1838:
	s_waitcnt lgkmcnt(0)
	v_cndmask_b32_e64 v6, 0, 1.0, s[26:27]
	v_cvt_f16_f32_e32 v6, v6
	flat_store_dword v[0:1], v6
.LBB251_1839:
	s_or_b64 exec, exec, s[56:57]
                                        ; implicit-def: $vgpr0_vgpr1
.LBB251_1840:
	s_andn2_saveexec_b64 s[54:55], s[54:55]
	s_cbranch_execz .LBB251_1850
; %bb.1841:
	v_cmp_lt_i16_e32 vcc, 5, v18
	s_and_saveexec_b64 s[56:57], vcc
	s_xor_b64 s[56:57], exec, s[56:57]
	s_cbranch_execz .LBB251_1847
; %bb.1842:
	v_cmp_lt_i16_e32 vcc, 6, v18
	s_and_saveexec_b64 s[58:59], vcc
	s_xor_b64 s[58:59], exec, s[58:59]
	s_cbranch_execz .LBB251_1844
; %bb.1843:
	s_waitcnt lgkmcnt(0)
	v_cndmask_b32_e64 v6, 0, 1, s[26:27]
	v_cvt_f64_u32_e32 v[6:7], v6
	flat_store_dwordx2 v[0:1], v[6:7]
                                        ; implicit-def: $vgpr0_vgpr1
.LBB251_1844:
	s_andn2_saveexec_b64 s[58:59], s[58:59]
	s_cbranch_execz .LBB251_1846
; %bb.1845:
	s_waitcnt lgkmcnt(0)
	v_cndmask_b32_e64 v6, 0, 1.0, s[26:27]
	flat_store_dword v[0:1], v6
.LBB251_1846:
	s_or_b64 exec, exec, s[58:59]
                                        ; implicit-def: $vgpr0_vgpr1
.LBB251_1847:
	s_andn2_saveexec_b64 s[56:57], s[56:57]
	s_cbranch_execz .LBB251_1849
; %bb.1848:
	s_waitcnt lgkmcnt(0)
	v_cndmask_b32_e64 v6, 0, 1.0, s[26:27]
	v_cvt_f16_f32_e32 v6, v6
	flat_store_short v[0:1], v6
.LBB251_1849:
	s_or_b64 exec, exec, s[56:57]
.LBB251_1850:
	s_or_b64 exec, exec, s[54:55]
                                        ; implicit-def: $vgpr0_vgpr1
.LBB251_1851:
	s_andn2_saveexec_b64 s[52:53], s[52:53]
	s_cbranch_execz .LBB251_1869
; %bb.1852:
	v_cmp_lt_i16_e32 vcc, 1, v18
	s_and_saveexec_b64 s[54:55], vcc
	s_xor_b64 s[54:55], exec, s[54:55]
	s_cbranch_execz .LBB251_1862
; %bb.1853:
	v_cmp_lt_i16_e32 vcc, 2, v18
	s_and_saveexec_b64 s[56:57], vcc
	s_xor_b64 s[56:57], exec, s[56:57]
	;; [unrolled: 5-line block ×3, first 2 shown]
	s_cbranch_execz .LBB251_1856
; %bb.1855:
	s_mov_b32 s33, 0
	s_waitcnt lgkmcnt(0)
	v_cndmask_b32_e64 v6, 0, 1, s[26:27]
	v_mov_b32_e32 v7, s33
	flat_store_dwordx2 v[0:1], v[6:7]
                                        ; implicit-def: $vgpr0_vgpr1
.LBB251_1856:
	s_andn2_saveexec_b64 s[58:59], s[58:59]
	s_cbranch_execz .LBB251_1858
; %bb.1857:
	s_waitcnt lgkmcnt(0)
	v_cndmask_b32_e64 v6, 0, 1, s[26:27]
	flat_store_dword v[0:1], v6
.LBB251_1858:
	s_or_b64 exec, exec, s[58:59]
                                        ; implicit-def: $vgpr0_vgpr1
.LBB251_1859:
	s_andn2_saveexec_b64 s[56:57], s[56:57]
	s_cbranch_execz .LBB251_1861
; %bb.1860:
	s_waitcnt lgkmcnt(0)
	v_cndmask_b32_e64 v6, 0, 1, s[26:27]
	flat_store_short v[0:1], v6
.LBB251_1861:
	s_or_b64 exec, exec, s[56:57]
                                        ; implicit-def: $vgpr0_vgpr1
.LBB251_1862:
	s_andn2_saveexec_b64 s[54:55], s[54:55]
	s_cbranch_execz .LBB251_1868
; %bb.1863:
	v_cmp_lt_i16_e32 vcc, 0, v18
	s_waitcnt lgkmcnt(0)
	v_cndmask_b32_e64 v6, 0, 1, s[26:27]
	s_and_saveexec_b64 s[26:27], vcc
	s_xor_b64 s[26:27], exec, s[26:27]
	s_cbranch_execz .LBB251_1865
; %bb.1864:
	flat_store_byte v[0:1], v6
                                        ; implicit-def: $vgpr0_vgpr1
                                        ; implicit-def: $vgpr6
.LBB251_1865:
	s_andn2_saveexec_b64 s[26:27], s[26:27]
	s_cbranch_execz .LBB251_1867
; %bb.1866:
	flat_store_byte v[0:1], v6
.LBB251_1867:
	s_or_b64 exec, exec, s[26:27]
.LBB251_1868:
	s_or_b64 exec, exec, s[54:55]
.LBB251_1869:
	s_or_b64 exec, exec, s[52:53]
	s_or_b64 s[4:5], s[4:5], exec
.LBB251_1870:
	s_or_b64 exec, exec, s[50:51]
	s_mov_b64 s[50:51], 0
	s_mov_b64 s[52:53], 0
                                        ; implicit-def: $vgpr0_vgpr1
	s_and_saveexec_b64 s[26:27], s[4:5]
	s_cbranch_execz .LBB251_1911
; %bb.1871:
	v_add_u32_e32 v0, v5, v4
	v_ashrrev_i32_e32 v1, 31, v0
	v_add_co_u32_e32 v0, vcc, v2, v0
	v_addc_co_u32_e32 v1, vcc, v3, v1, vcc
	v_cmp_lt_i16_e32 vcc, 10, v18
	s_mov_b64 s[4:5], 0
	s_mov_b64 s[52:53], -1
	s_mov_b64 s[54:55], s[48:49]
	s_and_saveexec_b64 s[50:51], vcc
	s_cbranch_execz .LBB251_1910
; %bb.1872:
	v_cmp_lt_i16_e32 vcc, 25, v18
	s_mov_b64 s[54:55], 0
	s_and_saveexec_b64 s[52:53], vcc
	s_xor_b64 s[52:53], exec, s[52:53]
	s_cbranch_execz .LBB251_2721
; %bb.1873:
	v_cmp_lt_i16_e32 vcc, 28, v18
	s_and_saveexec_b64 s[56:57], vcc
	s_xor_b64 s[56:57], exec, s[56:57]
	s_cbranch_execz .LBB251_1891
; %bb.1874:
	v_cmp_lt_i16_e32 vcc, 43, v18
	;; [unrolled: 5-line block ×3, first 2 shown]
	s_mov_b64 s[60:61], 0
	s_and_saveexec_b64 s[4:5], vcc
	s_xor_b64 s[4:5], exec, s[4:5]
	s_cbranch_execz .LBB251_1879
; %bb.1876:
	v_cmp_eq_u16_e32 vcc, 46, v18
	s_mov_b64 s[62:63], -1
	s_and_saveexec_b64 s[60:61], vcc
	s_cbranch_execz .LBB251_1878
; %bb.1877:
	v_cndmask_b32_e64 v2, 0, 1.0, s[40:41]
	v_bfe_u32 v3, v2, 16, 1
	s_movk_i32 s33, 0x7fff
	v_add3_u32 v2, v2, v3, s33
	v_lshrrev_b32_e32 v2, 16, v2
	flat_store_dword v[0:1], v2
	s_xor_b64 s[62:63], exec, -1
.LBB251_1878:
	s_or_b64 exec, exec, s[60:61]
	s_and_b64 s[60:61], s[62:63], exec
.LBB251_1879:
	s_andn2_saveexec_b64 s[62:63], s[4:5]
	s_cbranch_execz .LBB251_1885
; %bb.1880:
	v_cmp_eq_u16_e32 vcc, 44, v18
	s_mov_b64 s[4:5], -1
	s_and_saveexec_b64 s[64:65], vcc
	s_cbranch_execz .LBB251_1884
; %bb.1881:
	v_cndmask_b32_e64 v3, 0, 1.0, s[40:41]
	v_lshrrev_b32_e32 v2, 23, v3
	s_movk_i32 s4, 0xff
	v_cmp_ne_u32_e32 vcc, s4, v2
	v_mov_b32_e32 v4, 0xff
	s_and_saveexec_b64 s[66:67], vcc
; %bb.1882:
	s_mov_b32 s4, 0x3fffff
	v_and_b32_e32 v4, 0x400000, v3
	v_and_or_b32 v3, v3, s4, v2
	v_cmp_ne_u32_e32 vcc, 0, v4
	v_cmp_ne_u32_e64 s[4:5], 0, v3
	s_and_b64 s[4:5], vcc, s[4:5]
	v_cndmask_b32_e64 v3, 0, 1, s[4:5]
	v_add_u32_e32 v4, v2, v3
; %bb.1883:
	s_or_b64 exec, exec, s[66:67]
	s_xor_b64 s[4:5], exec, -1
	flat_store_byte v[0:1], v4
.LBB251_1884:
	s_or_b64 exec, exec, s[64:65]
	s_andn2_b64 s[60:61], s[60:61], exec
	s_and_b64 s[4:5], s[4:5], exec
	s_or_b64 s[60:61], s[60:61], s[4:5]
.LBB251_1885:
	s_or_b64 exec, exec, s[62:63]
	s_and_b64 s[4:5], s[60:61], exec
.LBB251_1886:
	s_andn2_saveexec_b64 s[58:59], s[58:59]
	s_cbranch_execz .LBB251_1890
; %bb.1887:
	v_cmp_eq_u16_e32 vcc, 29, v18
	s_mov_b64 s[62:63], -1
	s_and_saveexec_b64 s[60:61], vcc
	s_cbranch_execz .LBB251_1889
; %bb.1888:
	s_mov_b32 s33, 0
	v_cndmask_b32_e64 v2, 0, 1, s[40:41]
	v_mov_b32_e32 v3, s33
	flat_store_dwordx2 v[0:1], v[2:3]
	s_xor_b64 s[62:63], exec, -1
.LBB251_1889:
	s_or_b64 exec, exec, s[60:61]
	s_andn2_b64 s[4:5], s[4:5], exec
	s_and_b64 s[60:61], s[62:63], exec
	s_or_b64 s[4:5], s[4:5], s[60:61]
.LBB251_1890:
	s_or_b64 exec, exec, s[58:59]
	s_and_b64 s[4:5], s[4:5], exec
.LBB251_1891:
	s_andn2_saveexec_b64 s[56:57], s[56:57]
	s_cbranch_execz .LBB251_1907
; %bb.1892:
	v_cmp_lt_i16_e32 vcc, 26, v18
	s_and_saveexec_b64 s[58:59], vcc
	s_xor_b64 s[58:59], exec, s[58:59]
	s_cbranch_execz .LBB251_1898
; %bb.1893:
	v_cmp_lt_i16_e32 vcc, 27, v18
	v_cndmask_b32_e64 v2, 0, 1, s[40:41]
	s_and_saveexec_b64 s[60:61], vcc
	s_xor_b64 s[60:61], exec, s[60:61]
	s_cbranch_execz .LBB251_1895
; %bb.1894:
	flat_store_dword v[0:1], v2
                                        ; implicit-def: $vgpr2
.LBB251_1895:
	s_andn2_saveexec_b64 s[60:61], s[60:61]
	s_cbranch_execz .LBB251_1897
; %bb.1896:
	flat_store_short v[0:1], v2
.LBB251_1897:
	s_or_b64 exec, exec, s[60:61]
.LBB251_1898:
	s_andn2_saveexec_b64 s[58:59], s[58:59]
	s_cbranch_execz .LBB251_1906
; %bb.1899:
	v_cndmask_b32_e64 v3, 0, 1.0, s[40:41]
	s_mov_b32 s33, 0x43800000
	v_cmp_gt_u32_e32 vcc, s33, v3
	v_mov_b32_e32 v4, 0x80
	s_and_saveexec_b64 s[60:61], vcc
	s_cbranch_execz .LBB251_1905
; %bb.1900:
	s_mov_b32 s33, 0x3bffffff
	v_cmp_lt_u32_e32 vcc, s33, v3
	s_mov_b64 s[62:63], 0
                                        ; implicit-def: $vgpr2
	s_and_saveexec_b64 s[64:65], vcc
	s_xor_b64 s[64:65], exec, s[64:65]
	s_cbranch_execz .LBB251_2810
; %bb.1901:
	v_bfe_u32 v2, v3, 20, 1
	s_mov_b32 s33, 0x487ffff
	v_add3_u32 v2, v3, v2, s33
	s_mov_b64 s[62:63], exec
	v_lshrrev_b32_e32 v2, 20, v2
                                        ; implicit-def: $vgpr3
	s_andn2_saveexec_b64 s[64:65], s[64:65]
	s_cbranch_execnz .LBB251_2811
.LBB251_1902:
	s_or_b64 exec, exec, s[64:65]
	v_mov_b32_e32 v4, 0
	s_and_saveexec_b64 s[64:65], s[62:63]
.LBB251_1903:
	v_mov_b32_e32 v4, v2
.LBB251_1904:
	s_or_b64 exec, exec, s[64:65]
.LBB251_1905:
	s_or_b64 exec, exec, s[60:61]
	flat_store_byte v[0:1], v4
.LBB251_1906:
	s_or_b64 exec, exec, s[58:59]
.LBB251_1907:
	s_or_b64 exec, exec, s[56:57]
	s_and_b64 s[4:5], s[4:5], exec
	s_andn2_saveexec_b64 s[52:53], s[52:53]
	s_cbranch_execnz .LBB251_2722
.LBB251_1908:
	s_or_b64 exec, exec, s[52:53]
	s_mov_b64 s[56:57], s[48:49]
	s_and_saveexec_b64 s[52:53], s[4:5]
	s_cbranch_execnz .LBB251_2763
.LBB251_1909:
	s_or_b64 exec, exec, s[52:53]
	s_and_b64 s[4:5], s[54:55], exec
	s_andn2_b64 s[54:55], s[48:49], exec
	s_and_b64 s[56:57], s[56:57], exec
	s_xor_b64 s[52:53], exec, -1
	s_or_b64 s[54:55], s[54:55], s[56:57]
.LBB251_1910:
	s_or_b64 exec, exec, s[50:51]
	s_and_b64 s[50:51], s[4:5], exec
	s_andn2_b64 s[4:5], s[48:49], exec
	s_and_b64 s[48:49], s[54:55], exec
	s_and_b64 s[52:53], s[52:53], exec
	s_or_b64 s[48:49], s[4:5], s[48:49]
.LBB251_1911:
	s_or_b64 exec, exec, s[26:27]
	s_andn2_b64 s[4:5], s[46:47], exec
	s_and_b64 s[26:27], s[48:49], exec
	s_and_b64 s[52:53], s[52:53], exec
	;; [unrolled: 1-line block ×3, first 2 shown]
	s_or_b64 s[46:47], s[4:5], s[26:27]
.LBB251_1912:
	s_or_b64 exec, exec, s[18:19]
	s_andn2_b64 s[6:7], s[6:7], exec
	s_and_b64 s[18:19], s[46:47], exec
	s_and_b64 s[48:49], s[52:53], exec
	;; [unrolled: 1-line block ×3, first 2 shown]
	s_or_b64 s[6:7], s[6:7], s[18:19]
.LBB251_1913:
	s_or_b64 exec, exec, s[44:45]
	s_and_b64 s[46:47], s[4:5], exec
	s_andn2_b64 s[4:5], s[38:39], exec
	s_and_b64 s[6:7], s[6:7], exec
	s_and_b64 s[48:49], s[48:49], exec
	s_or_b64 s[38:39], s[4:5], s[6:7]
.LBB251_1914:
	s_or_b64 exec, exec, s[42:43]
	s_andn2_b64 s[4:5], s[28:29], exec
	s_and_b64 s[18:19], s[38:39], exec
	s_and_b64 s[42:43], s[48:49], exec
	s_and_b64 s[6:7], s[46:47], exec
	s_or_b64 s[28:29], s[4:5], s[18:19]
.LBB251_1915:
	s_or_b64 exec, exec, s[30:31]
	s_andn2_b64 s[4:5], s[22:23], exec
	s_and_b64 s[18:19], s[28:29], exec
	s_and_b64 s[30:31], s[42:43], exec
	;; [unrolled: 1-line block ×3, first 2 shown]
	s_or_b64 s[22:23], s[4:5], s[18:19]
.LBB251_1916:
	s_or_b64 exec, exec, s[24:25]
	s_andn2_b64 s[4:5], s[16:17], exec
	s_and_b64 s[16:17], s[22:23], exec
	s_and_b64 s[24:25], s[30:31], exec
	;; [unrolled: 1-line block ×3, first 2 shown]
	s_or_b64 s[16:17], s[4:5], s[16:17]
.LBB251_1917:
	s_or_b64 exec, exec, s[20:21]
	s_and_b64 s[4:5], s[6:7], exec
	s_andn2_b64 s[6:7], s[12:13], exec
	s_and_b64 s[12:13], s[16:17], exec
	s_and_b64 s[18:19], s[24:25], exec
	s_or_b64 s[12:13], s[6:7], s[12:13]
.LBB251_1918:
	s_or_b64 exec, exec, s[14:15]
	s_and_b64 s[6:7], s[4:5], exec
	s_andn2_b64 s[4:5], s[8:9], exec
	s_and_b64 s[8:9], s[12:13], exec
	s_and_b64 s[14:15], s[18:19], exec
	s_or_b64 s[8:9], s[4:5], s[8:9]
.LBB251_1919:
	s_or_b64 exec, exec, s[10:11]
	s_and_b64 s[38:39], s[6:7], exec
	s_andn2_b64 s[6:7], s[34:35], exec
	s_and_b64 s[8:9], s[8:9], exec
	s_and_b64 s[4:5], s[14:15], exec
	s_or_b64 s[34:35], s[6:7], s[8:9]
	s_or_b64 exec, exec, s[36:37]
	s_and_saveexec_b64 s[6:7], s[34:35]
	s_cbranch_execnz .LBB251_1923
.LBB251_1920:
	s_or_b64 exec, exec, s[6:7]
	s_and_saveexec_b64 s[6:7], s[38:39]
	s_xor_b64 s[6:7], exec, s[6:7]
	s_cbranch_execz .LBB251_1924
.LBB251_1921:
	s_waitcnt vmcnt(0)
	v_cndmask_b32_e64 v2, 0, 1, s[40:41]
	flat_store_byte v[0:1], v2
	s_or_b64 exec, exec, s[6:7]
	s_and_saveexec_b64 s[6:7], s[4:5]
	s_cbranch_execz .LBB251_1963
	s_branch .LBB251_1925
.LBB251_1922:
	s_or_b64 exec, exec, s[36:37]
	s_and_saveexec_b64 s[6:7], s[34:35]
	s_cbranch_execz .LBB251_1920
.LBB251_1923:
	; divergent unreachable
	s_or_b64 exec, exec, s[6:7]
	s_and_saveexec_b64 s[6:7], s[38:39]
	s_xor_b64 s[6:7], exec, s[6:7]
	s_cbranch_execnz .LBB251_1921
.LBB251_1924:
	s_or_b64 exec, exec, s[6:7]
	s_and_saveexec_b64 s[6:7], s[4:5]
	s_cbranch_execz .LBB251_1963
.LBB251_1925:
	s_waitcnt vmcnt(0)
	v_cmp_lt_i16_e32 vcc, 4, v18
	s_and_saveexec_b64 s[4:5], vcc
	s_xor_b64 s[4:5], exec, s[4:5]
	s_cbranch_execz .LBB251_1947
; %bb.1926:
	v_cmp_lt_i16_e32 vcc, 7, v18
	s_and_saveexec_b64 s[6:7], vcc
	s_xor_b64 s[6:7], exec, s[6:7]
	s_cbranch_execz .LBB251_1936
; %bb.1927:
	;; [unrolled: 5-line block ×4, first 2 shown]
	v_cndmask_b32_e64 v2, 0, 1, s[40:41]
	v_cvt_f64_u32_e32 v[2:3], v2
	v_mov_b32_e32 v4, 0
	v_mov_b32_e32 v5, v4
	flat_store_dwordx4 v[0:1], v[2:5]
.LBB251_1930:
	s_andn2_saveexec_b64 s[10:11], s[10:11]
	s_cbranch_execz .LBB251_1932
; %bb.1931:
	v_cndmask_b32_e64 v2, 0, 1.0, s[40:41]
	v_mov_b32_e32 v3, 0
	flat_store_dwordx2 v[0:1], v[2:3]
.LBB251_1932:
	s_or_b64 exec, exec, s[10:11]
.LBB251_1933:
	s_andn2_saveexec_b64 s[8:9], s[8:9]
	s_cbranch_execz .LBB251_1935
; %bb.1934:
	v_cndmask_b32_e64 v2, 0, 1.0, s[40:41]
	v_cvt_f16_f32_e32 v2, v2
	flat_store_dword v[0:1], v2
.LBB251_1935:
	s_or_b64 exec, exec, s[8:9]
.LBB251_1936:
	s_andn2_saveexec_b64 s[6:7], s[6:7]
	s_cbranch_execz .LBB251_1946
; %bb.1937:
	v_cmp_lt_i16_e32 vcc, 5, v18
	s_and_saveexec_b64 s[8:9], vcc
	s_xor_b64 s[8:9], exec, s[8:9]
	s_cbranch_execz .LBB251_1943
; %bb.1938:
	v_cmp_lt_i16_e32 vcc, 6, v18
	s_and_saveexec_b64 s[10:11], vcc
	s_xor_b64 s[10:11], exec, s[10:11]
	s_cbranch_execz .LBB251_1940
; %bb.1939:
	v_cndmask_b32_e64 v2, 0, 1, s[40:41]
	v_cvt_f64_u32_e32 v[2:3], v2
	flat_store_dwordx2 v[0:1], v[2:3]
.LBB251_1940:
	s_andn2_saveexec_b64 s[10:11], s[10:11]
	s_cbranch_execz .LBB251_1942
; %bb.1941:
	v_cndmask_b32_e64 v2, 0, 1.0, s[40:41]
	flat_store_dword v[0:1], v2
.LBB251_1942:
	s_or_b64 exec, exec, s[10:11]
.LBB251_1943:
	s_andn2_saveexec_b64 s[8:9], s[8:9]
	s_cbranch_execz .LBB251_1945
; %bb.1944:
	v_cndmask_b32_e64 v2, 0, 1.0, s[40:41]
	v_cvt_f16_f32_e32 v2, v2
	flat_store_short v[0:1], v2
.LBB251_1945:
	s_or_b64 exec, exec, s[8:9]
.LBB251_1946:
	s_or_b64 exec, exec, s[6:7]
.LBB251_1947:
	s_andn2_saveexec_b64 s[4:5], s[4:5]
	s_cbranch_execz .LBB251_1963
; %bb.1948:
	v_cmp_lt_i16_e32 vcc, 1, v18
	s_and_saveexec_b64 s[4:5], vcc
	s_xor_b64 s[4:5], exec, s[4:5]
	s_cbranch_execz .LBB251_1958
; %bb.1949:
	v_cmp_lt_i16_e32 vcc, 2, v18
	s_and_saveexec_b64 s[6:7], vcc
	s_xor_b64 s[6:7], exec, s[6:7]
	;; [unrolled: 5-line block ×3, first 2 shown]
	s_cbranch_execz .LBB251_1952
; %bb.1951:
	s_mov_b32 s10, 0
	v_cndmask_b32_e64 v2, 0, 1, s[40:41]
	v_mov_b32_e32 v3, s10
	flat_store_dwordx2 v[0:1], v[2:3]
                                        ; implicit-def: $vgpr0_vgpr1
.LBB251_1952:
	s_andn2_saveexec_b64 s[8:9], s[8:9]
	s_cbranch_execz .LBB251_1954
; %bb.1953:
	v_cndmask_b32_e64 v2, 0, 1, s[40:41]
	flat_store_dword v[0:1], v2
.LBB251_1954:
	s_or_b64 exec, exec, s[8:9]
                                        ; implicit-def: $vgpr0_vgpr1
.LBB251_1955:
	s_andn2_saveexec_b64 s[6:7], s[6:7]
	s_cbranch_execz .LBB251_1957
; %bb.1956:
	v_cndmask_b32_e64 v2, 0, 1, s[40:41]
	flat_store_short v[0:1], v2
.LBB251_1957:
	s_or_b64 exec, exec, s[6:7]
                                        ; implicit-def: $vgpr0_vgpr1
.LBB251_1958:
	s_andn2_saveexec_b64 s[4:5], s[4:5]
	s_cbranch_execz .LBB251_1963
; %bb.1959:
	v_cmp_lt_i16_e32 vcc, 0, v18
	v_cndmask_b32_e64 v2, 0, 1, s[40:41]
	s_and_saveexec_b64 s[4:5], vcc
	s_xor_b64 s[4:5], exec, s[4:5]
	s_cbranch_execz .LBB251_1961
; %bb.1960:
	flat_store_byte v[0:1], v2
                                        ; implicit-def: $vgpr0_vgpr1
                                        ; implicit-def: $vgpr2
.LBB251_1961:
	s_andn2_saveexec_b64 s[4:5], s[4:5]
	s_cbranch_execz .LBB251_1963
; %bb.1962:
	flat_store_byte v[0:1], v2
	s_endpgm
.LBB251_1963:
	s_endpgm
.LBB251_1964:
	s_andn2_saveexec_b64 s[8:9], s[8:9]
	s_cbranch_execz .LBB251_84
.LBB251_1965:
	v_mov_b32_e32 v2, 4
	v_cmp_gt_i16_sdwa s[10:11], v17, v2 src0_sel:BYTE_0 src1_sel:DWORD
	s_and_saveexec_b64 s[12:13], s[10:11]
	s_xor_b64 s[10:11], exec, s[12:13]
	s_cbranch_execz .LBB251_1987
; %bb.1966:
	v_mov_b32_e32 v2, 7
	v_cmp_gt_i16_sdwa s[12:13], v17, v2 src0_sel:BYTE_0 src1_sel:DWORD
	s_and_saveexec_b64 s[14:15], s[12:13]
	s_xor_b64 s[12:13], exec, s[14:15]
	s_cbranch_execz .LBB251_1976
; %bb.1967:
	;; [unrolled: 6-line block ×4, first 2 shown]
	v_cndmask_b32_e64 v2, 0, 1, vcc
	v_cvt_f64_u32_e32 v[2:3], v2
	v_mov_b32_e32 v4, 0
	v_mov_b32_e32 v5, v4
	flat_store_dwordx4 v[0:1], v[2:5]
                                        ; implicit-def: $vgpr0_vgpr1
.LBB251_1970:
	s_andn2_saveexec_b64 s[16:17], s[16:17]
	s_cbranch_execz .LBB251_1972
; %bb.1971:
	v_cndmask_b32_e64 v2, 0, 1.0, vcc
	v_mov_b32_e32 v3, 0
	flat_store_dwordx2 v[0:1], v[2:3]
.LBB251_1972:
	s_or_b64 exec, exec, s[16:17]
                                        ; implicit-def: $vgpr0_vgpr1
.LBB251_1973:
	s_andn2_saveexec_b64 s[14:15], s[14:15]
	s_cbranch_execz .LBB251_1975
; %bb.1974:
	v_cndmask_b32_e64 v2, 0, 1.0, vcc
	v_cvt_f16_f32_e32 v2, v2
	flat_store_dword v[0:1], v2
.LBB251_1975:
	s_or_b64 exec, exec, s[14:15]
                                        ; implicit-def: $vgpr0_vgpr1
.LBB251_1976:
	s_andn2_saveexec_b64 s[12:13], s[12:13]
	s_cbranch_execz .LBB251_1986
; %bb.1977:
	v_mov_b32_e32 v2, 5
	v_cmp_gt_i16_sdwa s[14:15], v17, v2 src0_sel:BYTE_0 src1_sel:DWORD
	s_and_saveexec_b64 s[16:17], s[14:15]
	s_xor_b64 s[14:15], exec, s[16:17]
	s_cbranch_execz .LBB251_1983
; %bb.1978:
	v_mov_b32_e32 v2, 6
	v_cmp_gt_i16_sdwa s[16:17], v17, v2 src0_sel:BYTE_0 src1_sel:DWORD
	s_and_saveexec_b64 s[18:19], s[16:17]
	s_xor_b64 s[16:17], exec, s[18:19]
	s_cbranch_execz .LBB251_1980
; %bb.1979:
	v_cndmask_b32_e64 v2, 0, 1, vcc
	v_cvt_f64_u32_e32 v[2:3], v2
	flat_store_dwordx2 v[0:1], v[2:3]
                                        ; implicit-def: $vgpr0_vgpr1
.LBB251_1980:
	s_andn2_saveexec_b64 s[16:17], s[16:17]
	s_cbranch_execz .LBB251_1982
; %bb.1981:
	v_cndmask_b32_e64 v2, 0, 1.0, vcc
	flat_store_dword v[0:1], v2
.LBB251_1982:
	s_or_b64 exec, exec, s[16:17]
                                        ; implicit-def: $vgpr0_vgpr1
.LBB251_1983:
	s_andn2_saveexec_b64 s[14:15], s[14:15]
	s_cbranch_execz .LBB251_1985
; %bb.1984:
	v_cndmask_b32_e64 v2, 0, 1.0, vcc
	v_cvt_f16_f32_e32 v2, v2
	flat_store_short v[0:1], v2
.LBB251_1985:
	s_or_b64 exec, exec, s[14:15]
.LBB251_1986:
	s_or_b64 exec, exec, s[12:13]
                                        ; implicit-def: $vgpr0_vgpr1
.LBB251_1987:
	s_andn2_saveexec_b64 s[10:11], s[10:11]
	s_cbranch_execz .LBB251_2005
; %bb.1988:
	v_mov_b32_e32 v2, 1
	v_cmp_gt_i16_sdwa s[12:13], v17, v2 src0_sel:BYTE_0 src1_sel:DWORD
	s_and_saveexec_b64 s[14:15], s[12:13]
	s_xor_b64 s[12:13], exec, s[14:15]
	s_cbranch_execz .LBB251_1998
; %bb.1989:
	v_mov_b32_e32 v2, 2
	v_cmp_gt_i16_sdwa s[14:15], v17, v2 src0_sel:BYTE_0 src1_sel:DWORD
	s_and_saveexec_b64 s[16:17], s[14:15]
	s_xor_b64 s[14:15], exec, s[16:17]
	;; [unrolled: 6-line block ×3, first 2 shown]
	s_cbranch_execz .LBB251_1992
; %bb.1991:
	s_mov_b32 s18, 0
	v_cndmask_b32_e64 v2, 0, 1, vcc
	v_mov_b32_e32 v3, s18
	flat_store_dwordx2 v[0:1], v[2:3]
                                        ; implicit-def: $vgpr0_vgpr1
.LBB251_1992:
	s_andn2_saveexec_b64 s[16:17], s[16:17]
	s_cbranch_execz .LBB251_1994
; %bb.1993:
	v_cndmask_b32_e64 v2, 0, 1, vcc
	flat_store_dword v[0:1], v2
.LBB251_1994:
	s_or_b64 exec, exec, s[16:17]
                                        ; implicit-def: $vgpr0_vgpr1
.LBB251_1995:
	s_andn2_saveexec_b64 s[14:15], s[14:15]
	s_cbranch_execz .LBB251_1997
; %bb.1996:
	v_cndmask_b32_e64 v2, 0, 1, vcc
	flat_store_short v[0:1], v2
.LBB251_1997:
	s_or_b64 exec, exec, s[14:15]
                                        ; implicit-def: $vgpr0_vgpr1
.LBB251_1998:
	s_andn2_saveexec_b64 s[12:13], s[12:13]
	s_cbranch_execz .LBB251_2004
; %bb.1999:
	v_mov_b32_e32 v2, 0
	v_cmp_gt_i16_sdwa s[14:15], v17, v2 src0_sel:BYTE_0 src1_sel:DWORD
	v_cndmask_b32_e64 v2, 0, 1, vcc
	s_and_saveexec_b64 s[16:17], s[14:15]
	s_xor_b64 s[14:15], exec, s[16:17]
	s_cbranch_execz .LBB251_2001
; %bb.2000:
	flat_store_byte v[0:1], v2
                                        ; implicit-def: $vgpr0_vgpr1
                                        ; implicit-def: $vgpr2
.LBB251_2001:
	s_andn2_saveexec_b64 s[14:15], s[14:15]
	s_cbranch_execz .LBB251_2003
; %bb.2002:
	flat_store_byte v[0:1], v2
.LBB251_2003:
	s_or_b64 exec, exec, s[14:15]
.LBB251_2004:
	s_or_b64 exec, exec, s[12:13]
.LBB251_2005:
	s_or_b64 exec, exec, s[10:11]
	s_or_b64 s[6:7], s[6:7], exec
	s_or_b64 exec, exec, s[8:9]
	s_mov_b64 s[8:9], 0
	s_and_saveexec_b64 s[10:11], s[6:7]
	s_cbranch_execnz .LBB251_85
	s_branch .LBB251_86
.LBB251_2006:
	s_andn2_saveexec_b64 s[10:11], s[10:11]
	s_cbranch_execz .LBB251_466
.LBB251_2007:
	v_cmp_lt_i16_e64 s[4:5], 22, v6
	s_mov_b64 s[16:17], s[12:13]
                                        ; implicit-def: $vgpr17
	s_and_saveexec_b64 s[8:9], s[4:5]
	s_xor_b64 s[8:9], exec, s[8:9]
	s_cbranch_execz .LBB251_2029
; %bb.2008:
	v_cmp_lt_i16_e64 s[4:5], 23, v6
                                        ; implicit-def: $vgpr17
	s_and_saveexec_b64 s[16:17], s[4:5]
	s_xor_b64 s[16:17], exec, s[16:17]
	s_cbranch_execz .LBB251_2020
; %bb.2009:
	v_cmp_lt_i16_e64 s[4:5], 24, v6
                                        ; implicit-def: $vgpr17
	s_and_saveexec_b64 s[18:19], s[4:5]
	s_xor_b64 s[4:5], exec, s[18:19]
	s_cbranch_execz .LBB251_2011
; %bb.2010:
	flat_load_ubyte v17, v[0:1]
.LBB251_2011:
	s_andn2_saveexec_b64 s[18:19], s[4:5]
	s_cbranch_execz .LBB251_2019
; %bb.2012:
	flat_load_ubyte v5, v[0:1]
	s_mov_b32 s4, 0x7f800000
	s_brev_b32 s20, 1
	s_mov_b32 s21, 0x47800000
	s_waitcnt vmcnt(0) lgkmcnt(0)
	v_lshlrev_b32_e32 v5, 24, v5
	v_and_b32_e32 v8, 0x7f000000, v5
	v_ffbh_u32_e32 v9, v8
	v_min_u32_e32 v9, 32, v9
	v_sub_u32_e64 v9, v9, 4 clamp
	v_lshlrev_b32_e32 v17, v9, v8
	v_lshlrev_b32_e32 v9, 23, v9
	v_lshrrev_b32_e32 v17, 4, v17
	v_add_u32_e32 v14, 0x1000000, v8
	v_sub_u32_e32 v9, v17, v9
	v_ashrrev_i32_e32 v14, 8, v14
	v_add_u32_e32 v9, 0x3c000000, v9
	v_and_or_b32 v9, v14, s4, v9
	v_cmp_ne_u32_e64 s[4:5], 0, v8
	v_cndmask_b32_e64 v9, 0, v9, s[4:5]
	v_and_or_b32 v5, v5, s20, v9
	v_and_b32_e32 v8, 0x7fffffff, v5
	v_cmp_gt_u32_e64 s[4:5], s21, v8
	v_mov_b32_e32 v17, 0x80
	s_and_saveexec_b64 s[20:21], s[4:5]
	s_cbranch_execz .LBB251_2018
; %bb.2013:
	s_mov_b32 s4, 0x37ffffff
	v_cmp_lt_u32_e64 s[4:5], s4, v8
	s_mov_b64 s[22:23], 0
                                        ; implicit-def: $vgpr8
	s_and_saveexec_b64 s[24:25], s[4:5]
	s_xor_b64 s[4:5], exec, s[24:25]
	s_cbranch_execz .LBB251_2400
; %bb.2014:
	v_bfe_u32 v8, v9, 21, 1
	s_mov_b32 s24, 0x88fffff
	v_add3_u32 v8, v5, v8, s24
	s_mov_b64 s[22:23], exec
	v_lshrrev_b32_e32 v8, 21, v8
	s_andn2_saveexec_b64 s[24:25], s[4:5]
	s_cbranch_execnz .LBB251_2401
.LBB251_2015:
	s_or_b64 exec, exec, s[24:25]
	v_mov_b32_e32 v17, 0
	s_and_saveexec_b64 s[4:5], s[22:23]
.LBB251_2016:
	v_lshrrev_b32_e32 v5, 24, v5
	s_movk_i32 s22, 0x80
	v_and_or_b32 v17, v5, s22, v8
.LBB251_2017:
	s_or_b64 exec, exec, s[4:5]
.LBB251_2018:
	s_or_b64 exec, exec, s[20:21]
.LBB251_2019:
	s_or_b64 exec, exec, s[18:19]
.LBB251_2020:
	s_andn2_saveexec_b64 s[16:17], s[16:17]
	s_cbranch_execz .LBB251_2028
; %bb.2021:
	flat_load_ubyte v5, v[0:1]
	s_movk_i32 s4, 0x7f00
	s_brev_b32 s5, 16
	s_brev_b32 s18, 1
	s_mov_b32 s19, 0x47800000
	s_waitcnt vmcnt(0) lgkmcnt(0)
	v_mov_b32_e32 v17, 0x80
	v_lshlrev_b16_e32 v8, 8, v5
	v_lshlrev_b32_e32 v5, 25, v5
	v_lshrrev_b32_e32 v9, 4, v5
	v_and_or_b32 v14, v8, s4, 0.5
	v_or_b32_e32 v9, 0x70000000, v9
	v_add_f32_e32 v14, -0.5, v14
	v_mul_f32_e32 v9, 0x7800000, v9
	v_cmp_gt_u32_e64 s[4:5], s5, v5
	v_bfe_i32 v8, v8, 0, 16
	v_cndmask_b32_e64 v9, v9, v14, s[4:5]
	v_and_or_b32 v5, v8, s18, v9
	v_and_b32_e32 v8, 0x7fffffff, v5
	v_cmp_gt_u32_e64 s[4:5], s19, v8
	s_and_saveexec_b64 s[18:19], s[4:5]
	s_cbranch_execz .LBB251_2027
; %bb.2022:
	s_mov_b32 s4, 0x37ffffff
	v_cmp_lt_u32_e64 s[4:5], s4, v8
	s_mov_b64 s[20:21], 0
                                        ; implicit-def: $vgpr8
	s_and_saveexec_b64 s[22:23], s[4:5]
	s_xor_b64 s[4:5], exec, s[22:23]
	s_cbranch_execz .LBB251_2323
; %bb.2023:
	v_bfe_u32 v8, v9, 21, 1
	s_mov_b32 s22, 0x88fffff
	v_add3_u32 v8, v5, v8, s22
	s_mov_b64 s[20:21], exec
	v_lshrrev_b32_e32 v8, 21, v8
	s_andn2_saveexec_b64 s[22:23], s[4:5]
	s_cbranch_execnz .LBB251_2324
.LBB251_2024:
	s_or_b64 exec, exec, s[22:23]
	v_mov_b32_e32 v17, 0
	s_and_saveexec_b64 s[4:5], s[20:21]
.LBB251_2025:
	v_lshrrev_b32_e32 v5, 24, v5
	s_movk_i32 s20, 0x80
	v_and_or_b32 v17, v5, s20, v8
.LBB251_2026:
	s_or_b64 exec, exec, s[4:5]
.LBB251_2027:
	s_or_b64 exec, exec, s[18:19]
.LBB251_2028:
	s_or_b64 exec, exec, s[16:17]
	s_or_b64 s[16:17], s[12:13], exec
.LBB251_2029:
	s_or_saveexec_b64 s[8:9], s[8:9]
	s_mov_b64 s[4:5], 0
	s_mov_b64 s[18:19], s[14:15]
	s_xor_b64 exec, exec, s[8:9]
	s_cbranch_execz .LBB251_2043
; %bb.2030:
	v_cmp_lt_i16_e64 s[4:5], 14, v6
	s_mov_b64 s[20:21], s[14:15]
	s_mov_b64 s[22:23], s[16:17]
                                        ; implicit-def: $vgpr17
	s_and_saveexec_b64 s[18:19], s[4:5]
	s_xor_b64 s[18:19], exec, s[18:19]
	s_cbranch_execz .LBB251_2040
; %bb.2031:
	v_cmp_eq_u16_e64 s[4:5], 15, v6
	s_mov_b64 s[24:25], -1
	s_mov_b64 s[22:23], s[16:17]
                                        ; implicit-def: $vgpr17
	s_and_saveexec_b64 s[20:21], s[4:5]
	s_cbranch_execz .LBB251_2039
; %bb.2032:
	flat_load_ushort v5, v[0:1]
	s_mov_b32 s4, 0x47800000
	s_waitcnt vmcnt(0) lgkmcnt(0)
	v_mov_b32_e32 v17, 0x80
	v_lshlrev_b32_e32 v9, 16, v5
	v_and_b32_e32 v8, 0x7fffffff, v9
	v_cmp_gt_u32_e64 s[4:5], s4, v8
	s_and_saveexec_b64 s[22:23], s[4:5]
	s_cbranch_execz .LBB251_2038
; %bb.2033:
	s_mov_b32 s4, 0x37ffffff
	v_cmp_lt_u32_e64 s[4:5], s4, v8
	s_mov_b64 s[24:25], 0
                                        ; implicit-def: $vgpr8
	s_and_saveexec_b64 s[26:27], s[4:5]
	s_xor_b64 s[4:5], exec, s[26:27]
	s_cbranch_execz .LBB251_2402
; %bb.2034:
	v_bfe_u32 v8, v5, 5, 1
	s_mov_b32 s26, 0x88fffff
	v_add3_u32 v8, v9, v8, s26
	s_mov_b64 s[24:25], exec
	v_lshrrev_b32_e32 v8, 21, v8
                                        ; implicit-def: $vgpr9
	s_andn2_saveexec_b64 s[26:27], s[4:5]
	s_cbranch_execnz .LBB251_2403
.LBB251_2035:
	s_or_b64 exec, exec, s[26:27]
	v_mov_b32_e32 v17, 0
	s_and_saveexec_b64 s[4:5], s[24:25]
.LBB251_2036:
	v_lshrrev_b32_e32 v5, 8, v5
	s_movk_i32 s24, 0x80
	v_and_or_b32 v17, v5, s24, v8
.LBB251_2037:
	s_or_b64 exec, exec, s[4:5]
.LBB251_2038:
	s_or_b64 exec, exec, s[22:23]
	s_or_b64 s[22:23], s[16:17], exec
	s_xor_b64 s[24:25], exec, -1
.LBB251_2039:
	s_or_b64 exec, exec, s[20:21]
	s_andn2_b64 s[4:5], s[16:17], exec
	s_and_b64 s[20:21], s[22:23], exec
	s_or_b64 s[22:23], s[4:5], s[20:21]
	s_andn2_b64 s[4:5], s[14:15], exec
	s_and_b64 s[20:21], s[24:25], exec
	s_or_b64 s[20:21], s[4:5], s[20:21]
.LBB251_2040:
	s_or_saveexec_b64 s[18:19], s[18:19]
	s_mov_b64 s[24:25], 0
	s_xor_b64 exec, exec, s[18:19]
; %bb.2041:
	v_cmp_ne_u16_e64 s[4:5], 11, v6
	s_andn2_b64 s[20:21], s[20:21], exec
	s_and_b64 s[4:5], s[4:5], exec
	s_mov_b64 s[24:25], exec
	s_or_b64 s[20:21], s[20:21], s[4:5]
; %bb.2042:
	s_or_b64 exec, exec, s[18:19]
	s_andn2_b64 s[4:5], s[16:17], exec
	s_and_b64 s[16:17], s[22:23], exec
	s_andn2_b64 s[18:19], s[14:15], exec
	s_and_b64 s[20:21], s[20:21], exec
	s_or_b64 s[16:17], s[4:5], s[16:17]
	s_and_b64 s[4:5], s[24:25], exec
	s_or_b64 s[18:19], s[18:19], s[20:21]
.LBB251_2043:
	s_or_b64 exec, exec, s[8:9]
	s_andn2_b64 s[8:9], s[12:13], exec
	s_and_b64 s[12:13], s[16:17], exec
	s_or_b64 s[12:13], s[8:9], s[12:13]
	s_and_b64 s[8:9], s[4:5], exec
	s_andn2_b64 s[4:5], s[14:15], exec
	s_and_b64 s[14:15], s[18:19], exec
	s_or_b64 s[14:15], s[4:5], s[14:15]
	s_or_b64 exec, exec, s[10:11]
	s_mov_b64 s[10:11], s[34:35]
	s_and_saveexec_b64 s[4:5], s[14:15]
	s_cbranch_execz .LBB251_467
.LBB251_2044:
	s_trap 2
	s_or_b64 s[10:11], s[34:35], exec
	s_andn2_b64 s[8:9], s[8:9], exec
	s_or_b64 exec, exec, s[4:5]
	s_and_saveexec_b64 s[4:5], s[8:9]
	s_xor_b64 s[8:9], exec, s[4:5]
	s_cbranch_execnz .LBB251_468
	s_branch .LBB251_475
.LBB251_2045:
	s_andn2_saveexec_b64 s[8:9], s[8:9]
	s_cbranch_execz .LBB251_171
.LBB251_2046:
	v_mov_b32_e32 v2, 4
	v_cmp_gt_i16_sdwa s[10:11], v17, v2 src0_sel:BYTE_0 src1_sel:DWORD
	s_and_saveexec_b64 s[12:13], s[10:11]
	s_xor_b64 s[10:11], exec, s[12:13]
	s_cbranch_execz .LBB251_2068
; %bb.2047:
	v_mov_b32_e32 v2, 7
	v_cmp_gt_i16_sdwa s[12:13], v17, v2 src0_sel:BYTE_0 src1_sel:DWORD
	s_and_saveexec_b64 s[14:15], s[12:13]
	s_xor_b64 s[12:13], exec, s[14:15]
	s_cbranch_execz .LBB251_2057
; %bb.2048:
	;; [unrolled: 6-line block ×4, first 2 shown]
	v_cndmask_b32_e64 v2, 0, 1, vcc
	v_cvt_f64_u32_e32 v[2:3], v2
	v_mov_b32_e32 v4, 0
	v_mov_b32_e32 v5, v4
	flat_store_dwordx4 v[0:1], v[2:5]
                                        ; implicit-def: $vgpr0_vgpr1
.LBB251_2051:
	s_andn2_saveexec_b64 s[16:17], s[16:17]
	s_cbranch_execz .LBB251_2053
; %bb.2052:
	v_cndmask_b32_e64 v2, 0, 1.0, vcc
	v_mov_b32_e32 v3, 0
	flat_store_dwordx2 v[0:1], v[2:3]
.LBB251_2053:
	s_or_b64 exec, exec, s[16:17]
                                        ; implicit-def: $vgpr0_vgpr1
.LBB251_2054:
	s_andn2_saveexec_b64 s[14:15], s[14:15]
	s_cbranch_execz .LBB251_2056
; %bb.2055:
	v_cndmask_b32_e64 v2, 0, 1.0, vcc
	v_cvt_f16_f32_e32 v2, v2
	flat_store_dword v[0:1], v2
.LBB251_2056:
	s_or_b64 exec, exec, s[14:15]
                                        ; implicit-def: $vgpr0_vgpr1
.LBB251_2057:
	s_andn2_saveexec_b64 s[12:13], s[12:13]
	s_cbranch_execz .LBB251_2067
; %bb.2058:
	v_mov_b32_e32 v2, 5
	v_cmp_gt_i16_sdwa s[14:15], v17, v2 src0_sel:BYTE_0 src1_sel:DWORD
	s_and_saveexec_b64 s[16:17], s[14:15]
	s_xor_b64 s[14:15], exec, s[16:17]
	s_cbranch_execz .LBB251_2064
; %bb.2059:
	v_mov_b32_e32 v2, 6
	v_cmp_gt_i16_sdwa s[16:17], v17, v2 src0_sel:BYTE_0 src1_sel:DWORD
	s_and_saveexec_b64 s[18:19], s[16:17]
	s_xor_b64 s[16:17], exec, s[18:19]
	s_cbranch_execz .LBB251_2061
; %bb.2060:
	v_cndmask_b32_e64 v2, 0, 1, vcc
	v_cvt_f64_u32_e32 v[2:3], v2
	flat_store_dwordx2 v[0:1], v[2:3]
                                        ; implicit-def: $vgpr0_vgpr1
.LBB251_2061:
	s_andn2_saveexec_b64 s[16:17], s[16:17]
	s_cbranch_execz .LBB251_2063
; %bb.2062:
	v_cndmask_b32_e64 v2, 0, 1.0, vcc
	flat_store_dword v[0:1], v2
.LBB251_2063:
	s_or_b64 exec, exec, s[16:17]
                                        ; implicit-def: $vgpr0_vgpr1
.LBB251_2064:
	s_andn2_saveexec_b64 s[14:15], s[14:15]
	s_cbranch_execz .LBB251_2066
; %bb.2065:
	v_cndmask_b32_e64 v2, 0, 1.0, vcc
	v_cvt_f16_f32_e32 v2, v2
	flat_store_short v[0:1], v2
.LBB251_2066:
	s_or_b64 exec, exec, s[14:15]
.LBB251_2067:
	s_or_b64 exec, exec, s[12:13]
                                        ; implicit-def: $vgpr0_vgpr1
.LBB251_2068:
	s_andn2_saveexec_b64 s[10:11], s[10:11]
	s_cbranch_execz .LBB251_2086
; %bb.2069:
	v_mov_b32_e32 v2, 1
	v_cmp_gt_i16_sdwa s[12:13], v17, v2 src0_sel:BYTE_0 src1_sel:DWORD
	s_and_saveexec_b64 s[14:15], s[12:13]
	s_xor_b64 s[12:13], exec, s[14:15]
	s_cbranch_execz .LBB251_2079
; %bb.2070:
	v_mov_b32_e32 v2, 2
	v_cmp_gt_i16_sdwa s[14:15], v17, v2 src0_sel:BYTE_0 src1_sel:DWORD
	s_and_saveexec_b64 s[16:17], s[14:15]
	s_xor_b64 s[14:15], exec, s[16:17]
	;; [unrolled: 6-line block ×3, first 2 shown]
	s_cbranch_execz .LBB251_2073
; %bb.2072:
	s_mov_b32 s18, 0
	v_cndmask_b32_e64 v2, 0, 1, vcc
	v_mov_b32_e32 v3, s18
	flat_store_dwordx2 v[0:1], v[2:3]
                                        ; implicit-def: $vgpr0_vgpr1
.LBB251_2073:
	s_andn2_saveexec_b64 s[16:17], s[16:17]
	s_cbranch_execz .LBB251_2075
; %bb.2074:
	v_cndmask_b32_e64 v2, 0, 1, vcc
	flat_store_dword v[0:1], v2
.LBB251_2075:
	s_or_b64 exec, exec, s[16:17]
                                        ; implicit-def: $vgpr0_vgpr1
.LBB251_2076:
	s_andn2_saveexec_b64 s[14:15], s[14:15]
	s_cbranch_execz .LBB251_2078
; %bb.2077:
	v_cndmask_b32_e64 v2, 0, 1, vcc
	flat_store_short v[0:1], v2
.LBB251_2078:
	s_or_b64 exec, exec, s[14:15]
                                        ; implicit-def: $vgpr0_vgpr1
.LBB251_2079:
	s_andn2_saveexec_b64 s[12:13], s[12:13]
	s_cbranch_execz .LBB251_2085
; %bb.2080:
	v_mov_b32_e32 v2, 0
	v_cmp_gt_i16_sdwa s[14:15], v17, v2 src0_sel:BYTE_0 src1_sel:DWORD
	v_cndmask_b32_e64 v2, 0, 1, vcc
	s_and_saveexec_b64 s[16:17], s[14:15]
	s_xor_b64 s[14:15], exec, s[16:17]
	s_cbranch_execz .LBB251_2082
; %bb.2081:
	flat_store_byte v[0:1], v2
                                        ; implicit-def: $vgpr0_vgpr1
                                        ; implicit-def: $vgpr2
.LBB251_2082:
	s_andn2_saveexec_b64 s[14:15], s[14:15]
	s_cbranch_execz .LBB251_2084
; %bb.2083:
	flat_store_byte v[0:1], v2
.LBB251_2084:
	s_or_b64 exec, exec, s[14:15]
.LBB251_2085:
	s_or_b64 exec, exec, s[12:13]
.LBB251_2086:
	s_or_b64 exec, exec, s[10:11]
	s_or_b64 s[6:7], s[6:7], exec
	s_or_b64 exec, exec, s[8:9]
	s_mov_b64 s[8:9], 0
	s_and_saveexec_b64 s[10:11], s[6:7]
	s_cbranch_execnz .LBB251_172
	s_branch .LBB251_173
.LBB251_2087:
	s_andn2_saveexec_b64 s[14:15], s[14:15]
	s_cbranch_execz .LBB251_656
.LBB251_2088:
	v_cmp_lt_i16_e64 s[4:5], 22, v5
	s_mov_b64 s[20:21], s[16:17]
                                        ; implicit-def: $vgpr19
	s_and_saveexec_b64 s[12:13], s[4:5]
	s_xor_b64 s[12:13], exec, s[12:13]
	s_cbranch_execz .LBB251_2110
; %bb.2089:
	v_cmp_lt_i16_e64 s[4:5], 23, v5
                                        ; implicit-def: $vgpr19
	s_and_saveexec_b64 s[20:21], s[4:5]
	s_xor_b64 s[20:21], exec, s[20:21]
	s_cbranch_execz .LBB251_2101
; %bb.2090:
	v_cmp_lt_i16_e64 s[4:5], 24, v5
                                        ; implicit-def: $vgpr19
	s_and_saveexec_b64 s[22:23], s[4:5]
	s_xor_b64 s[4:5], exec, s[22:23]
	s_cbranch_execz .LBB251_2092
; %bb.2091:
	flat_load_ubyte v19, v[0:1]
.LBB251_2092:
	s_andn2_saveexec_b64 s[22:23], s[4:5]
	s_cbranch_execz .LBB251_2100
; %bb.2093:
	flat_load_ubyte v18, v[0:1]
	s_mov_b32 s4, 0x7f800000
	s_brev_b32 s24, 1
	s_mov_b32 s25, 0x47800000
	s_waitcnt vmcnt(0) lgkmcnt(0)
	v_lshlrev_b32_e32 v18, 24, v18
	v_and_b32_e32 v19, 0x7f000000, v18
	v_ffbh_u32_e32 v20, v19
	v_min_u32_e32 v20, 32, v20
	v_sub_u32_e64 v20, v20, 4 clamp
	v_lshlrev_b32_e32 v22, v20, v19
	v_lshlrev_b32_e32 v20, 23, v20
	v_lshrrev_b32_e32 v22, 4, v22
	v_add_u32_e32 v21, 0x1000000, v19
	v_sub_u32_e32 v20, v22, v20
	v_ashrrev_i32_e32 v21, 8, v21
	v_add_u32_e32 v20, 0x3c000000, v20
	v_and_or_b32 v20, v21, s4, v20
	v_cmp_ne_u32_e64 s[4:5], 0, v19
	v_cndmask_b32_e64 v21, 0, v20, s[4:5]
	v_and_or_b32 v18, v18, s24, v21
	v_and_b32_e32 v20, 0x7fffffff, v18
	v_cmp_gt_u32_e64 s[4:5], s25, v20
	v_mov_b32_e32 v19, 0x80
	s_and_saveexec_b64 s[24:25], s[4:5]
	s_cbranch_execz .LBB251_2099
; %bb.2094:
	s_mov_b32 s4, 0x37ffffff
	v_cmp_lt_u32_e64 s[4:5], s4, v20
	s_mov_b64 s[26:27], 0
                                        ; implicit-def: $vgpr20
	s_and_saveexec_b64 s[28:29], s[4:5]
	s_xor_b64 s[4:5], exec, s[28:29]
	s_cbranch_execz .LBB251_2499
; %bb.2095:
	v_bfe_u32 v19, v21, 21, 1
	s_mov_b32 s28, 0x88fffff
	v_add3_u32 v19, v18, v19, s28
	s_mov_b64 s[26:27], exec
	v_lshrrev_b32_e32 v20, 21, v19
	s_andn2_saveexec_b64 s[28:29], s[4:5]
	s_cbranch_execnz .LBB251_2500
.LBB251_2096:
	s_or_b64 exec, exec, s[28:29]
	v_mov_b32_e32 v19, 0
	s_and_saveexec_b64 s[4:5], s[26:27]
.LBB251_2097:
	v_lshrrev_b32_e32 v18, 24, v18
	s_movk_i32 s26, 0x80
	v_and_or_b32 v19, v18, s26, v20
.LBB251_2098:
	s_or_b64 exec, exec, s[4:5]
.LBB251_2099:
	s_or_b64 exec, exec, s[24:25]
.LBB251_2100:
	s_or_b64 exec, exec, s[22:23]
.LBB251_2101:
	s_andn2_saveexec_b64 s[20:21], s[20:21]
	s_cbranch_execz .LBB251_2109
; %bb.2102:
	flat_load_ubyte v18, v[0:1]
	s_movk_i32 s4, 0x7f00
	s_brev_b32 s5, 16
	s_brev_b32 s22, 1
	s_mov_b32 s23, 0x47800000
	s_waitcnt vmcnt(0) lgkmcnt(0)
	v_lshlrev_b16_e32 v19, 8, v18
	v_lshlrev_b32_e32 v18, 25, v18
	v_lshrrev_b32_e32 v20, 4, v18
	v_and_or_b32 v21, v19, s4, 0.5
	v_or_b32_e32 v20, 0x70000000, v20
	v_add_f32_e32 v21, -0.5, v21
	v_mul_f32_e32 v20, 0x7800000, v20
	v_cmp_gt_u32_e64 s[4:5], s5, v18
	v_bfe_i32 v19, v19, 0, 16
	v_cndmask_b32_e64 v21, v20, v21, s[4:5]
	v_and_or_b32 v18, v19, s22, v21
	v_and_b32_e32 v20, 0x7fffffff, v18
	v_cmp_gt_u32_e64 s[4:5], s23, v20
	v_mov_b32_e32 v19, 0x80
	s_and_saveexec_b64 s[22:23], s[4:5]
	s_cbranch_execz .LBB251_2108
; %bb.2103:
	s_mov_b32 s4, 0x37ffffff
	v_cmp_lt_u32_e64 s[4:5], s4, v20
	s_mov_b64 s[24:25], 0
                                        ; implicit-def: $vgpr20
	s_and_saveexec_b64 s[26:27], s[4:5]
	s_xor_b64 s[4:5], exec, s[26:27]
	s_cbranch_execz .LBB251_2404
; %bb.2104:
	v_bfe_u32 v19, v21, 21, 1
	s_mov_b32 s26, 0x88fffff
	v_add3_u32 v19, v18, v19, s26
	s_mov_b64 s[24:25], exec
	v_lshrrev_b32_e32 v20, 21, v19
	s_andn2_saveexec_b64 s[26:27], s[4:5]
	s_cbranch_execnz .LBB251_2405
.LBB251_2105:
	s_or_b64 exec, exec, s[26:27]
	v_mov_b32_e32 v19, 0
	s_and_saveexec_b64 s[4:5], s[24:25]
.LBB251_2106:
	v_lshrrev_b32_e32 v18, 24, v18
	s_movk_i32 s24, 0x80
	v_and_or_b32 v19, v18, s24, v20
.LBB251_2107:
	s_or_b64 exec, exec, s[4:5]
.LBB251_2108:
	s_or_b64 exec, exec, s[22:23]
.LBB251_2109:
	s_or_b64 exec, exec, s[20:21]
	s_or_b64 s[20:21], s[16:17], exec
.LBB251_2110:
	s_or_saveexec_b64 s[12:13], s[12:13]
	s_mov_b64 s[4:5], 0
	s_mov_b64 s[22:23], s[18:19]
	s_xor_b64 exec, exec, s[12:13]
	s_cbranch_execz .LBB251_2124
; %bb.2111:
	v_cmp_lt_i16_e64 s[4:5], 14, v5
	s_mov_b64 s[24:25], s[18:19]
	s_mov_b64 s[26:27], s[20:21]
                                        ; implicit-def: $vgpr19
	s_and_saveexec_b64 s[22:23], s[4:5]
	s_xor_b64 s[22:23], exec, s[22:23]
	s_cbranch_execz .LBB251_2121
; %bb.2112:
	v_cmp_eq_u16_e64 s[4:5], 15, v5
	s_mov_b64 s[28:29], -1
	s_mov_b64 s[26:27], s[20:21]
                                        ; implicit-def: $vgpr19
	s_and_saveexec_b64 s[24:25], s[4:5]
	s_cbranch_execz .LBB251_2120
; %bb.2113:
	flat_load_ushort v18, v[0:1]
	s_mov_b32 s4, 0x47800000
	s_waitcnt vmcnt(0) lgkmcnt(0)
	v_mov_b32_e32 v19, 0x80
	v_lshlrev_b32_e32 v21, 16, v18
	v_and_b32_e32 v20, 0x7fffffff, v21
	v_cmp_gt_u32_e64 s[4:5], s4, v20
	s_and_saveexec_b64 s[26:27], s[4:5]
	s_cbranch_execz .LBB251_2119
; %bb.2114:
	s_mov_b32 s4, 0x37ffffff
	v_cmp_lt_u32_e64 s[4:5], s4, v20
	s_mov_b64 s[28:29], 0
                                        ; implicit-def: $vgpr20
	s_and_saveexec_b64 s[30:31], s[4:5]
	s_xor_b64 s[4:5], exec, s[30:31]
	s_cbranch_execz .LBB251_2501
; %bb.2115:
	v_bfe_u32 v19, v18, 5, 1
	s_mov_b32 s30, 0x88fffff
	v_add3_u32 v19, v21, v19, s30
	s_mov_b64 s[28:29], exec
	v_lshrrev_b32_e32 v20, 21, v19
                                        ; implicit-def: $vgpr21
	s_andn2_saveexec_b64 s[30:31], s[4:5]
	s_cbranch_execnz .LBB251_2502
.LBB251_2116:
	s_or_b64 exec, exec, s[30:31]
	v_mov_b32_e32 v19, 0
	s_and_saveexec_b64 s[4:5], s[28:29]
.LBB251_2117:
	v_lshrrev_b32_e32 v18, 8, v18
	s_movk_i32 s28, 0x80
	v_and_or_b32 v19, v18, s28, v20
.LBB251_2118:
	s_or_b64 exec, exec, s[4:5]
.LBB251_2119:
	s_or_b64 exec, exec, s[26:27]
	s_or_b64 s[26:27], s[20:21], exec
	s_xor_b64 s[28:29], exec, -1
.LBB251_2120:
	s_or_b64 exec, exec, s[24:25]
	s_andn2_b64 s[4:5], s[20:21], exec
	s_and_b64 s[24:25], s[26:27], exec
	s_or_b64 s[26:27], s[4:5], s[24:25]
	s_andn2_b64 s[4:5], s[18:19], exec
	s_and_b64 s[24:25], s[28:29], exec
	s_or_b64 s[24:25], s[4:5], s[24:25]
.LBB251_2121:
	s_or_saveexec_b64 s[22:23], s[22:23]
	s_mov_b64 s[28:29], 0
	s_xor_b64 exec, exec, s[22:23]
; %bb.2122:
	v_cmp_ne_u16_e64 s[4:5], 11, v5
	s_andn2_b64 s[24:25], s[24:25], exec
	s_and_b64 s[4:5], s[4:5], exec
	s_mov_b64 s[28:29], exec
	s_or_b64 s[24:25], s[24:25], s[4:5]
; %bb.2123:
	s_or_b64 exec, exec, s[22:23]
	s_andn2_b64 s[4:5], s[20:21], exec
	s_and_b64 s[20:21], s[26:27], exec
	s_andn2_b64 s[22:23], s[18:19], exec
	s_and_b64 s[24:25], s[24:25], exec
	s_or_b64 s[20:21], s[4:5], s[20:21]
	s_and_b64 s[4:5], s[28:29], exec
	s_or_b64 s[22:23], s[22:23], s[24:25]
.LBB251_2124:
	s_or_b64 exec, exec, s[12:13]
	s_andn2_b64 s[12:13], s[16:17], exec
	s_and_b64 s[16:17], s[20:21], exec
	s_or_b64 s[16:17], s[12:13], s[16:17]
	s_and_b64 s[12:13], s[4:5], exec
	s_andn2_b64 s[4:5], s[18:19], exec
	s_and_b64 s[18:19], s[22:23], exec
	s_or_b64 s[18:19], s[4:5], s[18:19]
	s_or_b64 exec, exec, s[14:15]
	s_mov_b64 s[14:15], s[8:9]
	s_and_saveexec_b64 s[4:5], s[18:19]
	s_cbranch_execz .LBB251_657
.LBB251_2125:
	s_trap 2
	s_or_b64 s[14:15], s[8:9], exec
	s_andn2_b64 s[12:13], s[12:13], exec
	s_or_b64 exec, exec, s[4:5]
	s_and_saveexec_b64 s[4:5], s[12:13]
	s_xor_b64 s[12:13], exec, s[4:5]
	s_cbranch_execnz .LBB251_658
	s_branch .LBB251_665
.LBB251_2126:
	s_andn2_saveexec_b64 s[8:9], s[8:9]
	s_cbranch_execz .LBB251_258
.LBB251_2127:
	v_mov_b32_e32 v2, 4
	v_cmp_gt_i16_sdwa s[10:11], v17, v2 src0_sel:BYTE_0 src1_sel:DWORD
	s_and_saveexec_b64 s[12:13], s[10:11]
	s_xor_b64 s[10:11], exec, s[12:13]
	s_cbranch_execz .LBB251_2149
; %bb.2128:
	v_mov_b32_e32 v2, 7
	v_cmp_gt_i16_sdwa s[12:13], v17, v2 src0_sel:BYTE_0 src1_sel:DWORD
	s_and_saveexec_b64 s[14:15], s[12:13]
	s_xor_b64 s[12:13], exec, s[14:15]
	s_cbranch_execz .LBB251_2138
; %bb.2129:
	;; [unrolled: 6-line block ×4, first 2 shown]
	v_cndmask_b32_e64 v2, 0, 1, vcc
	v_cvt_f64_u32_e32 v[2:3], v2
	v_mov_b32_e32 v4, 0
	v_mov_b32_e32 v5, v4
	flat_store_dwordx4 v[0:1], v[2:5]
                                        ; implicit-def: $vgpr0_vgpr1
.LBB251_2132:
	s_andn2_saveexec_b64 s[16:17], s[16:17]
	s_cbranch_execz .LBB251_2134
; %bb.2133:
	v_cndmask_b32_e64 v2, 0, 1.0, vcc
	v_mov_b32_e32 v3, 0
	flat_store_dwordx2 v[0:1], v[2:3]
.LBB251_2134:
	s_or_b64 exec, exec, s[16:17]
                                        ; implicit-def: $vgpr0_vgpr1
.LBB251_2135:
	s_andn2_saveexec_b64 s[14:15], s[14:15]
	s_cbranch_execz .LBB251_2137
; %bb.2136:
	v_cndmask_b32_e64 v2, 0, 1.0, vcc
	v_cvt_f16_f32_e32 v2, v2
	flat_store_dword v[0:1], v2
.LBB251_2137:
	s_or_b64 exec, exec, s[14:15]
                                        ; implicit-def: $vgpr0_vgpr1
.LBB251_2138:
	s_andn2_saveexec_b64 s[12:13], s[12:13]
	s_cbranch_execz .LBB251_2148
; %bb.2139:
	v_mov_b32_e32 v2, 5
	v_cmp_gt_i16_sdwa s[14:15], v17, v2 src0_sel:BYTE_0 src1_sel:DWORD
	s_and_saveexec_b64 s[16:17], s[14:15]
	s_xor_b64 s[14:15], exec, s[16:17]
	s_cbranch_execz .LBB251_2145
; %bb.2140:
	v_mov_b32_e32 v2, 6
	v_cmp_gt_i16_sdwa s[16:17], v17, v2 src0_sel:BYTE_0 src1_sel:DWORD
	s_and_saveexec_b64 s[18:19], s[16:17]
	s_xor_b64 s[16:17], exec, s[18:19]
	s_cbranch_execz .LBB251_2142
; %bb.2141:
	v_cndmask_b32_e64 v2, 0, 1, vcc
	v_cvt_f64_u32_e32 v[2:3], v2
	flat_store_dwordx2 v[0:1], v[2:3]
                                        ; implicit-def: $vgpr0_vgpr1
.LBB251_2142:
	s_andn2_saveexec_b64 s[16:17], s[16:17]
	s_cbranch_execz .LBB251_2144
; %bb.2143:
	v_cndmask_b32_e64 v2, 0, 1.0, vcc
	flat_store_dword v[0:1], v2
.LBB251_2144:
	s_or_b64 exec, exec, s[16:17]
                                        ; implicit-def: $vgpr0_vgpr1
.LBB251_2145:
	s_andn2_saveexec_b64 s[14:15], s[14:15]
	s_cbranch_execz .LBB251_2147
; %bb.2146:
	v_cndmask_b32_e64 v2, 0, 1.0, vcc
	v_cvt_f16_f32_e32 v2, v2
	flat_store_short v[0:1], v2
.LBB251_2147:
	s_or_b64 exec, exec, s[14:15]
.LBB251_2148:
	s_or_b64 exec, exec, s[12:13]
                                        ; implicit-def: $vgpr0_vgpr1
.LBB251_2149:
	s_andn2_saveexec_b64 s[10:11], s[10:11]
	s_cbranch_execz .LBB251_2167
; %bb.2150:
	v_mov_b32_e32 v2, 1
	v_cmp_gt_i16_sdwa s[12:13], v17, v2 src0_sel:BYTE_0 src1_sel:DWORD
	s_and_saveexec_b64 s[14:15], s[12:13]
	s_xor_b64 s[12:13], exec, s[14:15]
	s_cbranch_execz .LBB251_2160
; %bb.2151:
	v_mov_b32_e32 v2, 2
	v_cmp_gt_i16_sdwa s[14:15], v17, v2 src0_sel:BYTE_0 src1_sel:DWORD
	s_and_saveexec_b64 s[16:17], s[14:15]
	s_xor_b64 s[14:15], exec, s[16:17]
	;; [unrolled: 6-line block ×3, first 2 shown]
	s_cbranch_execz .LBB251_2154
; %bb.2153:
	s_mov_b32 s18, 0
	v_cndmask_b32_e64 v2, 0, 1, vcc
	v_mov_b32_e32 v3, s18
	flat_store_dwordx2 v[0:1], v[2:3]
                                        ; implicit-def: $vgpr0_vgpr1
.LBB251_2154:
	s_andn2_saveexec_b64 s[16:17], s[16:17]
	s_cbranch_execz .LBB251_2156
; %bb.2155:
	v_cndmask_b32_e64 v2, 0, 1, vcc
	flat_store_dword v[0:1], v2
.LBB251_2156:
	s_or_b64 exec, exec, s[16:17]
                                        ; implicit-def: $vgpr0_vgpr1
.LBB251_2157:
	s_andn2_saveexec_b64 s[14:15], s[14:15]
	s_cbranch_execz .LBB251_2159
; %bb.2158:
	v_cndmask_b32_e64 v2, 0, 1, vcc
	flat_store_short v[0:1], v2
.LBB251_2159:
	s_or_b64 exec, exec, s[14:15]
                                        ; implicit-def: $vgpr0_vgpr1
.LBB251_2160:
	s_andn2_saveexec_b64 s[12:13], s[12:13]
	s_cbranch_execz .LBB251_2166
; %bb.2161:
	v_mov_b32_e32 v2, 0
	v_cmp_gt_i16_sdwa s[14:15], v17, v2 src0_sel:BYTE_0 src1_sel:DWORD
	v_cndmask_b32_e64 v2, 0, 1, vcc
	s_and_saveexec_b64 s[16:17], s[14:15]
	s_xor_b64 s[14:15], exec, s[16:17]
	s_cbranch_execz .LBB251_2163
; %bb.2162:
	flat_store_byte v[0:1], v2
                                        ; implicit-def: $vgpr0_vgpr1
                                        ; implicit-def: $vgpr2
.LBB251_2163:
	s_andn2_saveexec_b64 s[14:15], s[14:15]
	s_cbranch_execz .LBB251_2165
; %bb.2164:
	flat_store_byte v[0:1], v2
.LBB251_2165:
	s_or_b64 exec, exec, s[14:15]
.LBB251_2166:
	s_or_b64 exec, exec, s[12:13]
.LBB251_2167:
	s_or_b64 exec, exec, s[10:11]
	s_or_b64 s[6:7], s[6:7], exec
	s_or_b64 exec, exec, s[8:9]
	s_mov_b64 s[8:9], 0
	s_and_saveexec_b64 s[10:11], s[6:7]
	s_cbranch_execnz .LBB251_259
	s_branch .LBB251_260
.LBB251_2168:
	s_andn2_saveexec_b64 s[18:19], s[4:5]
	s_cbranch_execz .LBB251_471
.LBB251_2169:
	v_add_f32_e32 v0, 0x42800000, v1
	v_and_b32_e32 v0, 0xff, v0
	v_cmp_ne_u32_e64 s[4:5], 0, v0
	s_andn2_b64 s[16:17], s[16:17], exec
	s_and_b64 s[4:5], s[4:5], exec
	s_or_b64 s[16:17], s[16:17], s[4:5]
	s_or_b64 exec, exec, s[18:19]
	v_mov_b32_e32 v17, 0
	s_and_saveexec_b64 s[4:5], s[16:17]
	s_cbranch_execnz .LBB251_472
	s_branch .LBB251_473
.LBB251_2170:
	s_or_saveexec_b64 s[18:19], s[18:19]
	v_mov_b32_e32 v0, 0x7f800001
	s_xor_b64 exec, exec, s[18:19]
	s_cbranch_execz .LBB251_780
.LBB251_2171:
	v_mov_b32_e32 v0, 0
	v_cmp_ne_u16_sdwa s[20:21], v17, v0 src0_sel:BYTE_0 src1_sel:DWORD
	s_andn2_b64 s[6:7], s[6:7], exec
	s_and_b64 s[20:21], s[20:21], exec
	s_or_b64 s[6:7], s[6:7], s[20:21]
	s_or_b64 exec, exec, s[18:19]
	s_and_saveexec_b64 s[18:19], s[6:7]
	s_cbranch_execnz .LBB251_781
	s_branch .LBB251_782
.LBB251_2172:
	s_or_saveexec_b64 s[18:19], s[18:19]
	v_mov_b32_e32 v1, 0x7f800001
	s_xor_b64 exec, exec, s[18:19]
	s_cbranch_execz .LBB251_786
.LBB251_2173:
	v_mov_b32_e32 v1, 0
	v_cmp_ne_u16_sdwa s[20:21], v19, v1 src0_sel:BYTE_0 src1_sel:DWORD
	s_andn2_b64 s[6:7], s[6:7], exec
	s_and_b64 s[20:21], s[20:21], exec
	s_or_b64 s[6:7], s[6:7], s[20:21]
	s_or_b64 exec, exec, s[18:19]
	s_and_saveexec_b64 s[18:19], s[6:7]
	s_cbranch_execnz .LBB251_787
	s_branch .LBB251_788
.LBB251_2174:
	s_or_saveexec_b64 s[20:21], s[20:21]
	v_mov_b32_e32 v0, 0x7f800001
	s_xor_b64 exec, exec, s[20:21]
	s_cbranch_execz .LBB251_794
.LBB251_2175:
	v_mov_b32_e32 v0, 0
	v_cmp_ne_u16_sdwa s[22:23], v17, v0 src0_sel:BYTE_0 src1_sel:DWORD
	s_andn2_b64 s[6:7], s[6:7], exec
	s_and_b64 s[22:23], s[22:23], exec
	s_or_b64 s[6:7], s[6:7], s[22:23]
	s_or_b64 exec, exec, s[20:21]
	s_and_saveexec_b64 s[20:21], s[6:7]
	s_cbranch_execnz .LBB251_795
	s_branch .LBB251_796
.LBB251_2176:
	s_or_saveexec_b64 s[20:21], s[20:21]
	v_mov_b32_e32 v1, 0x7f800001
	s_xor_b64 exec, exec, s[20:21]
	s_cbranch_execz .LBB251_800
.LBB251_2177:
	v_mov_b32_e32 v1, 0
	v_cmp_ne_u16_sdwa s[22:23], v19, v1 src0_sel:BYTE_0 src1_sel:DWORD
	s_andn2_b64 s[6:7], s[6:7], exec
	s_and_b64 s[22:23], s[22:23], exec
	s_or_b64 s[6:7], s[6:7], s[22:23]
	s_or_b64 exec, exec, s[20:21]
	s_and_saveexec_b64 s[20:21], s[6:7]
	s_cbranch_execnz .LBB251_801
	s_branch .LBB251_802
.LBB251_2178:
	s_andn2_saveexec_b64 s[22:23], s[22:23]
	s_cbranch_execz .LBB251_874
.LBB251_2179:
	v_cmp_lt_i16_e64 s[6:7], 22, v6
	s_mov_b64 s[28:29], s[24:25]
                                        ; implicit-def: $vgpr19
	s_and_saveexec_b64 s[16:17], s[6:7]
	s_xor_b64 s[16:17], exec, s[16:17]
	s_cbranch_execz .LBB251_2201
; %bb.2180:
	v_cmp_lt_i16_e64 s[6:7], 23, v6
                                        ; implicit-def: $vgpr19
	s_and_saveexec_b64 s[28:29], s[6:7]
	s_xor_b64 s[28:29], exec, s[28:29]
	s_cbranch_execz .LBB251_2192
; %bb.2181:
	v_cmp_lt_i16_e64 s[6:7], 24, v6
                                        ; implicit-def: $vgpr19
	s_and_saveexec_b64 s[30:31], s[6:7]
	s_xor_b64 s[6:7], exec, s[30:31]
	s_cbranch_execz .LBB251_2183
; %bb.2182:
	s_waitcnt vmcnt(0)
	flat_load_ubyte v19, v[0:1]
.LBB251_2183:
	s_andn2_saveexec_b64 s[30:31], s[6:7]
	s_cbranch_execz .LBB251_2191
; %bb.2184:
	flat_load_ubyte v12, v[0:1]
	s_mov_b32 s6, 0x7f800000
	s_brev_b32 s33, 1
	s_mov_b32 s38, 0x47800000
	s_waitcnt vmcnt(0) lgkmcnt(0)
	v_lshlrev_b32_e32 v12, 24, v12
	v_and_b32_e32 v13, 0x7f000000, v12
	v_ffbh_u32_e32 v18, v13
	v_min_u32_e32 v18, 32, v18
	v_sub_u32_e64 v18, v18, 4 clamp
	v_lshlrev_b32_e32 v20, v18, v13
	v_lshlrev_b32_e32 v18, 23, v18
	v_lshrrev_b32_e32 v20, 4, v20
	v_add_u32_e32 v19, 0x1000000, v13
	v_sub_u32_e32 v18, v20, v18
	v_ashrrev_i32_e32 v19, 8, v19
	v_add_u32_e32 v18, 0x3c000000, v18
	v_and_or_b32 v18, v19, s6, v18
	v_cmp_ne_u32_e64 s[6:7], 0, v13
	v_cndmask_b32_e64 v18, 0, v18, s[6:7]
	v_and_or_b32 v12, v12, s33, v18
	v_and_b32_e32 v13, 0x7fffffff, v12
	v_cmp_gt_u32_e64 s[6:7], s38, v13
	v_mov_b32_e32 v19, 0x80
	s_and_saveexec_b64 s[38:39], s[6:7]
	s_cbranch_execz .LBB251_2190
; %bb.2185:
	s_mov_b32 s6, 0x37ffffff
	v_cmp_lt_u32_e64 s[6:7], s6, v13
	s_mov_b64 s[40:41], 0
                                        ; implicit-def: $vgpr13
	s_and_saveexec_b64 s[42:43], s[6:7]
	s_xor_b64 s[6:7], exec, s[42:43]
	s_cbranch_execz .LBB251_2590
; %bb.2186:
	v_bfe_u32 v13, v18, 21, 1
	s_mov_b32 s33, 0x88fffff
	v_add3_u32 v13, v12, v13, s33
	s_mov_b64 s[40:41], exec
	v_lshrrev_b32_e32 v13, 21, v13
	s_andn2_saveexec_b64 s[42:43], s[6:7]
	s_cbranch_execnz .LBB251_2591
.LBB251_2187:
	s_or_b64 exec, exec, s[42:43]
	v_mov_b32_e32 v19, 0
	s_and_saveexec_b64 s[6:7], s[40:41]
.LBB251_2188:
	v_lshrrev_b32_e32 v12, 24, v12
	s_movk_i32 s33, 0x80
	v_and_or_b32 v19, v12, s33, v13
.LBB251_2189:
	s_or_b64 exec, exec, s[6:7]
.LBB251_2190:
	s_or_b64 exec, exec, s[38:39]
.LBB251_2191:
	s_or_b64 exec, exec, s[30:31]
.LBB251_2192:
	s_andn2_saveexec_b64 s[28:29], s[28:29]
	s_cbranch_execz .LBB251_2200
; %bb.2193:
	flat_load_ubyte v12, v[0:1]
	s_movk_i32 s6, 0x7f00
	s_brev_b32 s7, 16
	s_brev_b32 s30, 1
	s_mov_b32 s31, 0x47800000
	s_waitcnt vmcnt(0) lgkmcnt(0)
	v_lshlrev_b16_e32 v13, 8, v12
	v_lshlrev_b32_e32 v12, 25, v12
	v_lshrrev_b32_e32 v18, 4, v12
	v_and_or_b32 v19, v13, s6, 0.5
	v_or_b32_e32 v18, 0x70000000, v18
	v_add_f32_e32 v19, -0.5, v19
	v_mul_f32_e32 v18, 0x7800000, v18
	v_cmp_gt_u32_e64 s[6:7], s7, v12
	v_bfe_i32 v13, v13, 0, 16
	v_cndmask_b32_e64 v18, v18, v19, s[6:7]
	v_and_or_b32 v12, v13, s30, v18
	v_and_b32_e32 v13, 0x7fffffff, v12
	v_cmp_gt_u32_e64 s[6:7], s31, v13
	v_mov_b32_e32 v19, 0x80
	s_and_saveexec_b64 s[30:31], s[6:7]
	s_cbranch_execz .LBB251_2199
; %bb.2194:
	s_mov_b32 s6, 0x37ffffff
	v_cmp_lt_u32_e64 s[6:7], s6, v13
	s_mov_b64 s[38:39], 0
                                        ; implicit-def: $vgpr13
	s_and_saveexec_b64 s[40:41], s[6:7]
	s_xor_b64 s[6:7], exec, s[40:41]
	s_cbranch_execz .LBB251_2503
; %bb.2195:
	v_bfe_u32 v13, v18, 21, 1
	s_mov_b32 s33, 0x88fffff
	v_add3_u32 v13, v12, v13, s33
	s_mov_b64 s[38:39], exec
	v_lshrrev_b32_e32 v13, 21, v13
	s_andn2_saveexec_b64 s[40:41], s[6:7]
	s_cbranch_execnz .LBB251_2504
.LBB251_2196:
	s_or_b64 exec, exec, s[40:41]
	v_mov_b32_e32 v19, 0
	s_and_saveexec_b64 s[6:7], s[38:39]
.LBB251_2197:
	v_lshrrev_b32_e32 v12, 24, v12
	s_movk_i32 s33, 0x80
	v_and_or_b32 v19, v12, s33, v13
.LBB251_2198:
	s_or_b64 exec, exec, s[6:7]
.LBB251_2199:
	s_or_b64 exec, exec, s[30:31]
.LBB251_2200:
	s_or_b64 exec, exec, s[28:29]
	s_or_b64 s[28:29], s[24:25], exec
.LBB251_2201:
	s_or_saveexec_b64 s[16:17], s[16:17]
	s_mov_b64 s[6:7], 0
	s_mov_b64 s[30:31], s[26:27]
	s_xor_b64 exec, exec, s[16:17]
	s_cbranch_execz .LBB251_2215
; %bb.2202:
	v_cmp_lt_i16_e64 s[6:7], 14, v6
	s_mov_b64 s[38:39], s[26:27]
	s_mov_b64 s[40:41], s[28:29]
                                        ; implicit-def: $vgpr19
	s_and_saveexec_b64 s[30:31], s[6:7]
	s_xor_b64 s[30:31], exec, s[30:31]
	s_cbranch_execz .LBB251_2212
; %bb.2203:
	v_cmp_eq_u16_e64 s[6:7], 15, v6
	s_mov_b64 s[42:43], -1
	s_mov_b64 s[40:41], s[28:29]
                                        ; implicit-def: $vgpr19
	s_and_saveexec_b64 s[38:39], s[6:7]
	s_cbranch_execz .LBB251_2211
; %bb.2204:
	flat_load_ushort v12, v[0:1]
	s_mov_b32 s6, 0x47800000
	s_waitcnt vmcnt(0) lgkmcnt(0)
	v_mov_b32_e32 v19, 0x80
	v_lshlrev_b32_e32 v18, 16, v12
	v_and_b32_e32 v13, 0x7fffffff, v18
	v_cmp_gt_u32_e64 s[6:7], s6, v13
	s_and_saveexec_b64 s[40:41], s[6:7]
	s_cbranch_execz .LBB251_2210
; %bb.2205:
	s_mov_b32 s6, 0x37ffffff
	v_cmp_lt_u32_e64 s[6:7], s6, v13
	s_mov_b64 s[42:43], 0
                                        ; implicit-def: $vgpr13
	s_and_saveexec_b64 s[44:45], s[6:7]
	s_xor_b64 s[6:7], exec, s[44:45]
	s_cbranch_execz .LBB251_2592
; %bb.2206:
	v_bfe_u32 v13, v12, 5, 1
	s_mov_b32 s33, 0x88fffff
	v_add3_u32 v13, v18, v13, s33
	s_mov_b64 s[42:43], exec
	v_lshrrev_b32_e32 v13, 21, v13
                                        ; implicit-def: $vgpr18
	s_andn2_saveexec_b64 s[44:45], s[6:7]
	s_cbranch_execnz .LBB251_2593
.LBB251_2207:
	s_or_b64 exec, exec, s[44:45]
	v_mov_b32_e32 v19, 0
	s_and_saveexec_b64 s[6:7], s[42:43]
.LBB251_2208:
	v_lshrrev_b32_e32 v12, 8, v12
	s_movk_i32 s33, 0x80
	v_and_or_b32 v19, v12, s33, v13
.LBB251_2209:
	s_or_b64 exec, exec, s[6:7]
.LBB251_2210:
	s_or_b64 exec, exec, s[40:41]
	s_or_b64 s[40:41], s[28:29], exec
	s_xor_b64 s[42:43], exec, -1
.LBB251_2211:
	s_or_b64 exec, exec, s[38:39]
	s_andn2_b64 s[6:7], s[28:29], exec
	s_and_b64 s[38:39], s[40:41], exec
	s_or_b64 s[40:41], s[6:7], s[38:39]
	s_andn2_b64 s[6:7], s[26:27], exec
	s_and_b64 s[38:39], s[42:43], exec
	s_or_b64 s[38:39], s[6:7], s[38:39]
.LBB251_2212:
	s_or_saveexec_b64 s[30:31], s[30:31]
	s_mov_b64 s[42:43], 0
	s_xor_b64 exec, exec, s[30:31]
; %bb.2213:
	v_cmp_ne_u16_e64 s[6:7], 11, v6
	s_andn2_b64 s[38:39], s[38:39], exec
	s_and_b64 s[6:7], s[6:7], exec
	s_mov_b64 s[42:43], exec
	s_or_b64 s[38:39], s[38:39], s[6:7]
; %bb.2214:
	s_or_b64 exec, exec, s[30:31]
	s_andn2_b64 s[6:7], s[28:29], exec
	s_and_b64 s[28:29], s[40:41], exec
	s_andn2_b64 s[30:31], s[26:27], exec
	s_and_b64 s[38:39], s[38:39], exec
	s_or_b64 s[28:29], s[6:7], s[28:29]
	s_and_b64 s[6:7], s[42:43], exec
	s_or_b64 s[30:31], s[30:31], s[38:39]
.LBB251_2215:
	s_or_b64 exec, exec, s[16:17]
	s_andn2_b64 s[16:17], s[24:25], exec
	s_and_b64 s[24:25], s[28:29], exec
	s_or_b64 s[24:25], s[16:17], s[24:25]
	s_and_b64 s[16:17], s[6:7], exec
	s_andn2_b64 s[6:7], s[26:27], exec
	s_and_b64 s[26:27], s[30:31], exec
	s_or_b64 s[26:27], s[6:7], s[26:27]
	s_or_b64 exec, exec, s[22:23]
	s_mov_b64 s[22:23], s[12:13]
	s_and_saveexec_b64 s[6:7], s[26:27]
	s_cbranch_execz .LBB251_875
.LBB251_2216:
	s_trap 2
	s_or_b64 s[22:23], s[12:13], exec
	s_andn2_b64 s[16:17], s[16:17], exec
	s_or_b64 exec, exec, s[6:7]
	s_and_saveexec_b64 s[6:7], s[16:17]
	s_xor_b64 s[16:17], exec, s[6:7]
	s_cbranch_execnz .LBB251_876
	s_branch .LBB251_883
.LBB251_2217:
	s_or_saveexec_b64 s[22:23], s[22:23]
	v_mov_b32_e32 v5, 0x7f800001
	s_xor_b64 exec, exec, s[22:23]
	s_cbranch_execz .LBB251_455
.LBB251_2218:
	v_cmp_ne_u16_e64 s[4:5], 0, v8
	s_andn2_b64 s[20:21], s[20:21], exec
	s_and_b64 s[4:5], s[4:5], exec
	v_mov_b32_e32 v5, 0
	s_or_b64 s[20:21], s[20:21], s[4:5]
	s_or_b64 exec, exec, s[22:23]
	s_and_saveexec_b64 s[22:23], s[20:21]
	s_cbranch_execnz .LBB251_456
	s_branch .LBB251_457
.LBB251_2219:
	s_andn2_saveexec_b64 s[22:23], s[4:5]
	s_cbranch_execz .LBB251_661
.LBB251_2220:
	v_add_f32_e32 v0, 0x42800000, v1
	v_and_b32_e32 v0, 0xff, v0
	v_cmp_ne_u32_e64 s[4:5], 0, v0
	s_andn2_b64 s[20:21], s[20:21], exec
	s_and_b64 s[4:5], s[4:5], exec
	s_or_b64 s[20:21], s[20:21], s[4:5]
	s_or_b64 exec, exec, s[22:23]
	v_mov_b32_e32 v19, 0
	s_and_saveexec_b64 s[4:5], s[20:21]
	s_cbranch_execnz .LBB251_662
	s_branch .LBB251_663
.LBB251_2221:
	s_andn2_saveexec_b64 s[26:27], s[26:27]
	s_cbranch_execz .LBB251_1064
.LBB251_2222:
	v_cmp_lt_i16_e64 s[6:7], 22, v5
	s_mov_b64 s[38:39], s[28:29]
                                        ; implicit-def: $vgpr14
	s_and_saveexec_b64 s[22:23], s[6:7]
	s_xor_b64 s[22:23], exec, s[22:23]
	s_cbranch_execz .LBB251_2244
; %bb.2223:
	v_cmp_lt_i16_e64 s[6:7], 23, v5
                                        ; implicit-def: $vgpr14
	s_and_saveexec_b64 s[38:39], s[6:7]
	s_xor_b64 s[38:39], exec, s[38:39]
	s_cbranch_execz .LBB251_2235
; %bb.2224:
	v_cmp_lt_i16_e64 s[6:7], 24, v5
                                        ; implicit-def: $vgpr14
	s_and_saveexec_b64 s[40:41], s[6:7]
	s_xor_b64 s[6:7], exec, s[40:41]
	s_cbranch_execz .LBB251_2226
; %bb.2225:
	flat_load_ubyte v14, v[0:1]
.LBB251_2226:
	s_andn2_saveexec_b64 s[40:41], s[6:7]
	s_cbranch_execz .LBB251_2234
; %bb.2227:
	s_waitcnt vmcnt(0) lgkmcnt(0)
	flat_load_ubyte v14, v[0:1]
	s_mov_b32 s6, 0x7f800000
	s_brev_b32 s33, 1
	s_mov_b32 s42, 0x47800000
	s_waitcnt vmcnt(0) lgkmcnt(0)
	v_lshlrev_b32_e32 v14, 24, v14
	v_and_b32_e32 v15, 0x7f000000, v14
	v_ffbh_u32_e32 v18, v15
	v_min_u32_e32 v18, 32, v18
	v_sub_u32_e64 v18, v18, 4 clamp
	v_lshlrev_b32_e32 v21, v18, v15
	v_lshlrev_b32_e32 v18, 23, v18
	v_lshrrev_b32_e32 v21, 4, v21
	v_add_u32_e32 v20, 0x1000000, v15
	v_sub_u32_e32 v18, v21, v18
	v_ashrrev_i32_e32 v20, 8, v20
	v_add_u32_e32 v18, 0x3c000000, v18
	v_and_or_b32 v18, v20, s6, v18
	v_cmp_ne_u32_e64 s[6:7], 0, v15
	v_cndmask_b32_e64 v20, 0, v18, s[6:7]
	v_and_or_b32 v15, v14, s33, v20
	v_and_b32_e32 v18, 0x7fffffff, v15
	v_cmp_gt_u32_e64 s[6:7], s42, v18
	v_mov_b32_e32 v14, 0x80
	s_and_saveexec_b64 s[42:43], s[6:7]
	s_cbranch_execz .LBB251_2233
; %bb.2228:
	s_mov_b32 s6, 0x37ffffff
	v_cmp_lt_u32_e64 s[6:7], s6, v18
	s_mov_b64 s[44:45], 0
                                        ; implicit-def: $vgpr18
	s_and_saveexec_b64 s[46:47], s[6:7]
	s_xor_b64 s[6:7], exec, s[46:47]
	s_cbranch_execz .LBB251_2679
; %bb.2229:
	v_bfe_u32 v14, v20, 21, 1
	s_mov_b32 s33, 0x88fffff
	v_add3_u32 v14, v15, v14, s33
	s_mov_b64 s[44:45], exec
	v_lshrrev_b32_e32 v18, 21, v14
	s_andn2_saveexec_b64 s[46:47], s[6:7]
	s_cbranch_execnz .LBB251_2680
.LBB251_2230:
	s_or_b64 exec, exec, s[46:47]
	v_mov_b32_e32 v14, 0
	s_and_saveexec_b64 s[6:7], s[44:45]
.LBB251_2231:
	v_lshrrev_b32_e32 v14, 24, v15
	s_movk_i32 s33, 0x80
	v_and_or_b32 v14, v14, s33, v18
.LBB251_2232:
	s_or_b64 exec, exec, s[6:7]
.LBB251_2233:
	s_or_b64 exec, exec, s[42:43]
.LBB251_2234:
	s_or_b64 exec, exec, s[40:41]
.LBB251_2235:
	s_andn2_saveexec_b64 s[38:39], s[38:39]
	s_cbranch_execz .LBB251_2243
; %bb.2236:
	s_waitcnt vmcnt(0) lgkmcnt(0)
	flat_load_ubyte v14, v[0:1]
	s_movk_i32 s6, 0x7f00
	s_brev_b32 s7, 16
	s_brev_b32 s33, 1
	s_mov_b32 s40, 0x47800000
	s_waitcnt vmcnt(0) lgkmcnt(0)
	v_lshlrev_b16_e32 v15, 8, v14
	v_lshlrev_b32_e32 v14, 25, v14
	v_lshrrev_b32_e32 v18, 4, v14
	v_and_or_b32 v20, v15, s6, 0.5
	v_or_b32_e32 v18, 0x70000000, v18
	v_add_f32_e32 v20, -0.5, v20
	v_mul_f32_e32 v18, 0x7800000, v18
	v_cmp_gt_u32_e64 s[6:7], s7, v14
	v_bfe_i32 v15, v15, 0, 16
	v_cndmask_b32_e64 v20, v18, v20, s[6:7]
	v_and_or_b32 v15, v15, s33, v20
	v_and_b32_e32 v18, 0x7fffffff, v15
	v_cmp_gt_u32_e64 s[6:7], s40, v18
	v_mov_b32_e32 v14, 0x80
	s_and_saveexec_b64 s[40:41], s[6:7]
	s_cbranch_execz .LBB251_2242
; %bb.2237:
	s_mov_b32 s6, 0x37ffffff
	v_cmp_lt_u32_e64 s[6:7], s6, v18
	s_mov_b64 s[42:43], 0
                                        ; implicit-def: $vgpr18
	s_and_saveexec_b64 s[44:45], s[6:7]
	s_xor_b64 s[6:7], exec, s[44:45]
	s_cbranch_execz .LBB251_2594
; %bb.2238:
	v_bfe_u32 v14, v20, 21, 1
	s_mov_b32 s33, 0x88fffff
	v_add3_u32 v14, v15, v14, s33
	s_mov_b64 s[42:43], exec
	v_lshrrev_b32_e32 v18, 21, v14
	s_andn2_saveexec_b64 s[44:45], s[6:7]
	s_cbranch_execnz .LBB251_2595
.LBB251_2239:
	s_or_b64 exec, exec, s[44:45]
	v_mov_b32_e32 v14, 0
	s_and_saveexec_b64 s[6:7], s[42:43]
.LBB251_2240:
	v_lshrrev_b32_e32 v14, 24, v15
	s_movk_i32 s33, 0x80
	v_and_or_b32 v14, v14, s33, v18
.LBB251_2241:
	s_or_b64 exec, exec, s[6:7]
.LBB251_2242:
	s_or_b64 exec, exec, s[40:41]
.LBB251_2243:
	s_or_b64 exec, exec, s[38:39]
	s_or_b64 s[38:39], s[28:29], exec
.LBB251_2244:
	s_or_saveexec_b64 s[22:23], s[22:23]
	s_mov_b64 s[6:7], 0
	s_mov_b64 s[40:41], s[30:31]
	s_xor_b64 exec, exec, s[22:23]
	s_cbranch_execz .LBB251_2258
; %bb.2245:
	v_cmp_lt_i16_e64 s[6:7], 14, v5
	s_mov_b64 s[42:43], s[30:31]
	s_mov_b64 s[44:45], s[38:39]
                                        ; implicit-def: $vgpr14
	s_and_saveexec_b64 s[40:41], s[6:7]
	s_xor_b64 s[40:41], exec, s[40:41]
	s_cbranch_execz .LBB251_2255
; %bb.2246:
	v_cmp_eq_u16_e64 s[6:7], 15, v5
	s_mov_b64 s[46:47], -1
	s_mov_b64 s[44:45], s[38:39]
                                        ; implicit-def: $vgpr14
	s_and_saveexec_b64 s[42:43], s[6:7]
	s_cbranch_execz .LBB251_2254
; %bb.2247:
	flat_load_ushort v15, v[0:1]
	s_mov_b32 s6, 0x47800000
	s_waitcnt vmcnt(0) lgkmcnt(0)
	v_mov_b32_e32 v14, 0x80
	v_lshlrev_b32_e32 v20, 16, v15
	v_and_b32_e32 v18, 0x7fffffff, v20
	v_cmp_gt_u32_e64 s[6:7], s6, v18
	s_and_saveexec_b64 s[44:45], s[6:7]
	s_cbranch_execz .LBB251_2253
; %bb.2248:
	s_mov_b32 s6, 0x37ffffff
	v_cmp_lt_u32_e64 s[6:7], s6, v18
	s_mov_b64 s[46:47], 0
                                        ; implicit-def: $vgpr18
	s_and_saveexec_b64 s[48:49], s[6:7]
	s_xor_b64 s[6:7], exec, s[48:49]
	s_cbranch_execz .LBB251_2681
; %bb.2249:
	v_bfe_u32 v14, v15, 5, 1
	s_mov_b32 s33, 0x88fffff
	v_add3_u32 v14, v20, v14, s33
	s_mov_b64 s[46:47], exec
	v_lshrrev_b32_e32 v18, 21, v14
                                        ; implicit-def: $vgpr20
	s_andn2_saveexec_b64 s[48:49], s[6:7]
	s_cbranch_execnz .LBB251_2682
.LBB251_2250:
	s_or_b64 exec, exec, s[48:49]
	v_mov_b32_e32 v14, 0
	s_and_saveexec_b64 s[6:7], s[46:47]
.LBB251_2251:
	v_lshrrev_b32_e32 v14, 8, v15
	s_movk_i32 s33, 0x80
	v_and_or_b32 v14, v14, s33, v18
.LBB251_2252:
	s_or_b64 exec, exec, s[6:7]
.LBB251_2253:
	s_or_b64 exec, exec, s[44:45]
	s_or_b64 s[44:45], s[38:39], exec
	s_xor_b64 s[46:47], exec, -1
.LBB251_2254:
	s_or_b64 exec, exec, s[42:43]
	s_andn2_b64 s[6:7], s[38:39], exec
	s_and_b64 s[42:43], s[44:45], exec
	s_or_b64 s[44:45], s[6:7], s[42:43]
	s_andn2_b64 s[6:7], s[30:31], exec
	s_and_b64 s[42:43], s[46:47], exec
	s_or_b64 s[42:43], s[6:7], s[42:43]
.LBB251_2255:
	s_or_saveexec_b64 s[40:41], s[40:41]
	s_mov_b64 s[46:47], 0
	s_xor_b64 exec, exec, s[40:41]
; %bb.2256:
	v_cmp_ne_u16_e64 s[6:7], 11, v5
	s_andn2_b64 s[42:43], s[42:43], exec
	s_and_b64 s[6:7], s[6:7], exec
	s_mov_b64 s[46:47], exec
	s_or_b64 s[42:43], s[42:43], s[6:7]
; %bb.2257:
	s_or_b64 exec, exec, s[40:41]
	s_andn2_b64 s[6:7], s[38:39], exec
	s_and_b64 s[38:39], s[44:45], exec
	s_andn2_b64 s[40:41], s[30:31], exec
	s_and_b64 s[42:43], s[42:43], exec
	s_or_b64 s[38:39], s[6:7], s[38:39]
	s_and_b64 s[6:7], s[46:47], exec
	s_or_b64 s[40:41], s[40:41], s[42:43]
.LBB251_2258:
	s_or_b64 exec, exec, s[22:23]
	s_andn2_b64 s[22:23], s[28:29], exec
	s_and_b64 s[28:29], s[38:39], exec
	s_or_b64 s[28:29], s[22:23], s[28:29]
	s_and_b64 s[22:23], s[6:7], exec
	s_andn2_b64 s[6:7], s[30:31], exec
	s_and_b64 s[30:31], s[40:41], exec
	s_or_b64 s[30:31], s[6:7], s[30:31]
	s_or_b64 exec, exec, s[26:27]
	s_mov_b64 s[26:27], s[16:17]
	s_and_saveexec_b64 s[6:7], s[30:31]
	s_cbranch_execz .LBB251_1065
.LBB251_2259:
	s_trap 2
	s_or_b64 s[26:27], s[16:17], exec
	s_andn2_b64 s[22:23], s[22:23], exec
	s_or_b64 exec, exec, s[6:7]
	s_and_saveexec_b64 s[6:7], s[22:23]
	s_xor_b64 s[22:23], exec, s[6:7]
	s_cbranch_execnz .LBB251_1066
	s_branch .LBB251_1073
.LBB251_2260:
	s_andn2_saveexec_b64 s[24:25], s[4:5]
	s_cbranch_execz .LBB251_460
.LBB251_2261:
	s_mov_b32 s4, 0x42800000
	v_add_f32_e64 v8, |v5|, s4
	v_and_b32_e32 v8, 0xff, v8
	v_cmp_ne_u32_e64 s[4:5], 0, v8
	s_andn2_b64 s[22:23], s[22:23], exec
	s_and_b64 s[4:5], s[4:5], exec
	s_or_b64 s[22:23], s[22:23], s[4:5]
	s_or_b64 exec, exec, s[24:25]
	v_mov_b32_e32 v17, 0
	s_and_saveexec_b64 s[4:5], s[22:23]
	s_cbranch_execnz .LBB251_461
	s_branch .LBB251_462
.LBB251_2262:
	s_andn2_saveexec_b64 s[22:23], s[4:5]
	s_cbranch_execz .LBB251_501
.LBB251_2263:
	s_mov_b32 s4, 0x42800000
	v_add_f32_e64 v1, |v0|, s4
	v_and_b32_e32 v1, 0xff, v1
	v_cmp_ne_u32_e64 s[4:5], 0, v1
	s_andn2_b64 s[20:21], s[20:21], exec
	s_and_b64 s[4:5], s[4:5], exec
	s_or_b64 s[20:21], s[20:21], s[4:5]
	s_or_b64 exec, exec, s[22:23]
	v_mov_b32_e32 v17, 0
	s_and_saveexec_b64 s[4:5], s[20:21]
	s_cbranch_execnz .LBB251_502
	s_branch .LBB251_503
.LBB251_2264:
	s_andn2_saveexec_b64 s[22:23], s[4:5]
	s_cbranch_execz .LBB251_529
.LBB251_2265:
	s_mov_b32 s4, 0x42800000
	v_add_f32_e64 v1, |v0|, s4
	v_and_b32_e32 v1, 0xff, v1
	v_cmp_ne_u32_e64 s[4:5], 0, v1
	s_andn2_b64 s[20:21], s[20:21], exec
	s_and_b64 s[4:5], s[4:5], exec
	s_or_b64 s[20:21], s[20:21], s[4:5]
	s_or_b64 exec, exec, s[22:23]
	v_mov_b32_e32 v17, 0
	s_and_saveexec_b64 s[4:5], s[20:21]
	s_cbranch_execnz .LBB251_530
	s_branch .LBB251_531
.LBB251_2266:
	s_andn2_saveexec_b64 s[22:23], s[4:5]
	s_cbranch_execz .LBB251_559
.LBB251_2267:
	s_mov_b32 s4, 0x42800000
	v_add_f32_e64 v1, |v0|, s4
	v_and_b32_e32 v1, 0xff, v1
	v_cmp_ne_u32_e64 s[4:5], 0, v1
	s_andn2_b64 s[20:21], s[20:21], exec
	s_and_b64 s[4:5], s[4:5], exec
	s_or_b64 s[20:21], s[20:21], s[4:5]
	s_or_b64 exec, exec, s[22:23]
	v_mov_b32_e32 v17, 0
	s_and_saveexec_b64 s[4:5], s[20:21]
	s_cbranch_execnz .LBB251_560
	s_branch .LBB251_561
.LBB251_2268:
	s_andn2_saveexec_b64 s[22:23], s[4:5]
	s_cbranch_execz .LBB251_569
.LBB251_2269:
	s_mov_b32 s4, 0x42800000
	v_add_f32_e64 v1, |v0|, s4
	v_and_b32_e32 v1, 0xff, v1
	v_cmp_ne_u32_e64 s[4:5], 0, v1
	s_andn2_b64 s[20:21], s[20:21], exec
	s_and_b64 s[4:5], s[4:5], exec
	s_or_b64 s[20:21], s[20:21], s[4:5]
	s_or_b64 exec, exec, s[22:23]
	v_mov_b32_e32 v17, 0
	s_and_saveexec_b64 s[4:5], s[20:21]
	s_cbranch_execnz .LBB251_570
	s_branch .LBB251_571
.LBB251_2270:
	s_andn2_saveexec_b64 s[22:23], s[4:5]
	s_cbranch_execz .LBB251_577
.LBB251_2271:
	v_add_f32_e32 v0, 0x42800000, v1
	v_and_b32_e32 v0, 0xff, v0
	v_cmp_ne_u32_e64 s[4:5], 0, v0
	s_andn2_b64 s[20:21], s[20:21], exec
	s_and_b64 s[4:5], s[4:5], exec
	s_or_b64 s[20:21], s[20:21], s[4:5]
	s_or_b64 exec, exec, s[22:23]
	v_mov_b32_e32 v17, 0
	s_and_saveexec_b64 s[4:5], s[20:21]
	s_cbranch_execnz .LBB251_578
	s_branch .LBB251_579
.LBB251_2272:
	s_or_saveexec_b64 s[26:27], s[26:27]
	v_mov_b32_e32 v18, 0x7f800001
	s_xor_b64 exec, exec, s[26:27]
	s_cbranch_execz .LBB251_645
.LBB251_2273:
	v_cmp_ne_u16_e64 s[4:5], 0, v19
	s_andn2_b64 s[24:25], s[24:25], exec
	s_and_b64 s[4:5], s[4:5], exec
	v_mov_b32_e32 v18, 0
	s_or_b64 s[24:25], s[24:25], s[4:5]
	s_or_b64 exec, exec, s[26:27]
	s_and_saveexec_b64 s[26:27], s[24:25]
	s_cbranch_execnz .LBB251_646
	s_branch .LBB251_647
.LBB251_2274:
	s_andn2_saveexec_b64 s[30:31], s[6:7]
	s_cbranch_execz .LBB251_879
.LBB251_2275:
	v_add_f32_e32 v0, 0x42800000, v1
	v_and_b32_e32 v0, 0xff, v0
	v_cmp_ne_u32_e64 s[6:7], 0, v0
	s_andn2_b64 s[28:29], s[28:29], exec
	s_and_b64 s[6:7], s[6:7], exec
	s_or_b64 s[28:29], s[28:29], s[6:7]
	s_or_b64 exec, exec, s[30:31]
	v_mov_b32_e32 v19, 0
	s_and_saveexec_b64 s[6:7], s[28:29]
	s_cbranch_execnz .LBB251_880
	s_branch .LBB251_881
.LBB251_2276:
	s_or_saveexec_b64 s[26:27], s[26:27]
	v_mov_b32_e32 v0, 0x7f800001
	s_xor_b64 exec, exec, s[26:27]
	s_cbranch_execz .LBB251_1188
.LBB251_2277:
	v_mov_b32_e32 v0, 0
	v_cmp_ne_u16_sdwa s[30:31], v19, v0 src0_sel:BYTE_0 src1_sel:DWORD
	s_andn2_b64 s[6:7], s[6:7], exec
	s_and_b64 s[30:31], s[30:31], exec
	s_or_b64 s[6:7], s[6:7], s[30:31]
	s_or_b64 exec, exec, s[26:27]
	s_and_saveexec_b64 s[26:27], s[6:7]
	s_cbranch_execnz .LBB251_1189
	s_branch .LBB251_1190
.LBB251_2278:
	s_or_saveexec_b64 s[26:27], s[26:27]
	v_mov_b32_e32 v1, 0x7f800001
	s_xor_b64 exec, exec, s[26:27]
	s_cbranch_execz .LBB251_1194
.LBB251_2279:
	v_mov_b32_e32 v1, 0
	v_cmp_ne_u16_sdwa s[30:31], v14, v1 src0_sel:BYTE_0 src1_sel:DWORD
	s_andn2_b64 s[6:7], s[6:7], exec
	s_and_b64 s[30:31], s[30:31], exec
	s_or_b64 s[6:7], s[6:7], s[30:31]
	s_or_b64 exec, exec, s[26:27]
	s_and_saveexec_b64 s[26:27], s[6:7]
	s_cbranch_execnz .LBB251_1195
	s_branch .LBB251_1196
.LBB251_2280:
	s_or_saveexec_b64 s[30:31], s[30:31]
	v_mov_b32_e32 v0, 0x7f800001
	s_xor_b64 exec, exec, s[30:31]
	s_cbranch_execz .LBB251_1202
.LBB251_2281:
	v_mov_b32_e32 v0, 0
	v_cmp_ne_u16_sdwa s[38:39], v19, v0 src0_sel:BYTE_0 src1_sel:DWORD
	s_andn2_b64 s[6:7], s[6:7], exec
	s_and_b64 s[38:39], s[38:39], exec
	s_or_b64 s[6:7], s[6:7], s[38:39]
	s_or_b64 exec, exec, s[30:31]
	s_and_saveexec_b64 s[30:31], s[6:7]
	s_cbranch_execnz .LBB251_1203
	s_branch .LBB251_1204
.LBB251_2282:
	s_or_saveexec_b64 s[30:31], s[30:31]
	v_mov_b32_e32 v1, 0x7f800001
	s_xor_b64 exec, exec, s[30:31]
	s_cbranch_execz .LBB251_1208
.LBB251_2283:
	v_mov_b32_e32 v1, 0
	v_cmp_ne_u16_sdwa s[38:39], v14, v1 src0_sel:BYTE_0 src1_sel:DWORD
	s_andn2_b64 s[6:7], s[6:7], exec
	s_and_b64 s[38:39], s[38:39], exec
	s_or_b64 s[6:7], s[6:7], s[38:39]
	s_or_b64 exec, exec, s[30:31]
	s_and_saveexec_b64 s[30:31], s[6:7]
	s_cbranch_execnz .LBB251_1209
	s_branch .LBB251_1210
.LBB251_2284:
	s_andn2_saveexec_b64 s[38:39], s[38:39]
	s_cbranch_execz .LBB251_1282
.LBB251_2285:
	v_cmp_lt_i16_e64 s[6:7], 22, v6
	s_mov_b64 s[44:45], s[40:41]
                                        ; implicit-def: $vgpr10
	s_and_saveexec_b64 s[28:29], s[6:7]
	s_xor_b64 s[28:29], exec, s[28:29]
	s_cbranch_execz .LBB251_2307
; %bb.2286:
	v_cmp_lt_i16_e64 s[6:7], 23, v6
                                        ; implicit-def: $vgpr10
	s_and_saveexec_b64 s[44:45], s[6:7]
	s_xor_b64 s[44:45], exec, s[44:45]
	s_cbranch_execz .LBB251_2298
; %bb.2287:
	v_cmp_lt_i16_e64 s[6:7], 24, v6
                                        ; implicit-def: $vgpr10
	s_and_saveexec_b64 s[46:47], s[6:7]
	s_xor_b64 s[6:7], exec, s[46:47]
	s_cbranch_execz .LBB251_2289
; %bb.2288:
	flat_load_ubyte v10, v[0:1]
.LBB251_2289:
	s_andn2_saveexec_b64 s[46:47], s[6:7]
	s_cbranch_execz .LBB251_2297
; %bb.2290:
	flat_load_ubyte v6, v[0:1]
	s_mov_b32 s6, 0x7f800000
	s_brev_b32 s33, 1
	s_mov_b32 s48, 0x47800000
	s_waitcnt vmcnt(0) lgkmcnt(0)
	v_lshlrev_b32_e32 v6, 24, v6
	v_and_b32_e32 v10, 0x7f000000, v6
	v_ffbh_u32_e32 v11, v10
	v_min_u32_e32 v11, 32, v11
	v_sub_u32_e64 v11, v11, 4 clamp
	v_lshlrev_b32_e32 v15, v11, v10
	v_lshlrev_b32_e32 v11, 23, v11
	v_lshrrev_b32_e32 v15, 4, v15
	v_add_u32_e32 v14, 0x1000000, v10
	v_sub_u32_e32 v11, v15, v11
	v_ashrrev_i32_e32 v14, 8, v14
	v_add_u32_e32 v11, 0x3c000000, v11
	v_and_or_b32 v11, v14, s6, v11
	v_cmp_ne_u32_e64 s[6:7], 0, v10
	v_cndmask_b32_e64 v14, 0, v11, s[6:7]
	v_and_or_b32 v6, v6, s33, v14
	v_and_b32_e32 v11, 0x7fffffff, v6
	v_cmp_gt_u32_e64 s[6:7], s48, v11
	v_mov_b32_e32 v10, 0x80
	s_and_saveexec_b64 s[48:49], s[6:7]
	s_cbranch_execz .LBB251_2296
; %bb.2291:
	s_mov_b32 s6, 0x37ffffff
	v_cmp_lt_u32_e64 s[6:7], s6, v11
	s_mov_b64 s[50:51], 0
                                        ; implicit-def: $vgpr11
	s_and_saveexec_b64 s[52:53], s[6:7]
	s_xor_b64 s[6:7], exec, s[52:53]
	s_cbranch_execz .LBB251_2764
; %bb.2292:
	v_bfe_u32 v10, v14, 21, 1
	s_mov_b32 s33, 0x88fffff
	v_add3_u32 v10, v6, v10, s33
	s_mov_b64 s[50:51], exec
	v_lshrrev_b32_e32 v11, 21, v10
	s_andn2_saveexec_b64 s[52:53], s[6:7]
	s_cbranch_execnz .LBB251_2765
.LBB251_2293:
	s_or_b64 exec, exec, s[52:53]
	v_mov_b32_e32 v10, 0
	s_and_saveexec_b64 s[6:7], s[50:51]
.LBB251_2294:
	v_lshrrev_b32_e32 v6, 24, v6
	s_movk_i32 s33, 0x80
	v_and_or_b32 v10, v6, s33, v11
.LBB251_2295:
	s_or_b64 exec, exec, s[6:7]
.LBB251_2296:
	s_or_b64 exec, exec, s[48:49]
.LBB251_2297:
	s_or_b64 exec, exec, s[46:47]
.LBB251_2298:
	s_andn2_saveexec_b64 s[44:45], s[44:45]
	s_cbranch_execz .LBB251_2306
; %bb.2299:
	flat_load_ubyte v6, v[0:1]
	s_movk_i32 s6, 0x7f00
	s_brev_b32 s7, 16
	s_brev_b32 s33, 1
	s_mov_b32 s46, 0x47800000
	s_waitcnt vmcnt(0) lgkmcnt(0)
	v_lshlrev_b16_e32 v10, 8, v6
	v_lshlrev_b32_e32 v6, 25, v6
	v_lshrrev_b32_e32 v11, 4, v6
	v_and_or_b32 v14, v10, s6, 0.5
	v_or_b32_e32 v11, 0x70000000, v11
	v_add_f32_e32 v14, -0.5, v14
	v_mul_f32_e32 v11, 0x7800000, v11
	v_cmp_gt_u32_e64 s[6:7], s7, v6
	v_bfe_i32 v10, v10, 0, 16
	v_cndmask_b32_e64 v14, v11, v14, s[6:7]
	v_and_or_b32 v6, v10, s33, v14
	v_and_b32_e32 v11, 0x7fffffff, v6
	v_cmp_gt_u32_e64 s[6:7], s46, v11
	v_mov_b32_e32 v10, 0x80
	s_and_saveexec_b64 s[46:47], s[6:7]
	s_cbranch_execz .LBB251_2305
; %bb.2300:
	s_mov_b32 s6, 0x37ffffff
	v_cmp_lt_u32_e64 s[6:7], s6, v11
	s_mov_b64 s[48:49], 0
                                        ; implicit-def: $vgpr11
	s_and_saveexec_b64 s[50:51], s[6:7]
	s_xor_b64 s[6:7], exec, s[50:51]
	s_cbranch_execz .LBB251_2683
; %bb.2301:
	v_bfe_u32 v10, v14, 21, 1
	s_mov_b32 s33, 0x88fffff
	v_add3_u32 v10, v6, v10, s33
	s_mov_b64 s[48:49], exec
	v_lshrrev_b32_e32 v11, 21, v10
	s_andn2_saveexec_b64 s[50:51], s[6:7]
	s_cbranch_execnz .LBB251_2684
.LBB251_2302:
	s_or_b64 exec, exec, s[50:51]
	v_mov_b32_e32 v10, 0
	s_and_saveexec_b64 s[6:7], s[48:49]
.LBB251_2303:
	v_lshrrev_b32_e32 v6, 24, v6
	s_movk_i32 s33, 0x80
	v_and_or_b32 v10, v6, s33, v11
.LBB251_2304:
	s_or_b64 exec, exec, s[6:7]
.LBB251_2305:
	s_or_b64 exec, exec, s[46:47]
.LBB251_2306:
	s_or_b64 exec, exec, s[44:45]
	s_or_b64 s[44:45], s[40:41], exec
                                        ; implicit-def: $vgpr6
.LBB251_2307:
	s_or_saveexec_b64 s[28:29], s[28:29]
	s_mov_b64 s[6:7], 0
	s_mov_b64 s[46:47], s[42:43]
	s_xor_b64 exec, exec, s[28:29]
	s_cbranch_execz .LBB251_2321
; %bb.2308:
	v_cmp_lt_i16_e64 s[6:7], 14, v6
	s_mov_b64 s[48:49], s[42:43]
	s_mov_b64 s[50:51], s[44:45]
                                        ; implicit-def: $vgpr10
	s_and_saveexec_b64 s[46:47], s[6:7]
	s_xor_b64 s[46:47], exec, s[46:47]
	s_cbranch_execz .LBB251_2318
; %bb.2309:
	v_cmp_eq_u16_e64 s[6:7], 15, v6
	s_mov_b64 s[52:53], -1
	s_mov_b64 s[50:51], s[44:45]
                                        ; implicit-def: $vgpr10
	s_and_saveexec_b64 s[48:49], s[6:7]
	s_cbranch_execz .LBB251_2317
; %bb.2310:
	flat_load_ushort v6, v[0:1]
	s_mov_b32 s6, 0x47800000
	s_waitcnt vmcnt(0) lgkmcnt(0)
	v_mov_b32_e32 v10, 0x80
	v_lshlrev_b32_e32 v14, 16, v6
	v_and_b32_e32 v11, 0x7fffffff, v14
	v_cmp_gt_u32_e64 s[6:7], s6, v11
	s_and_saveexec_b64 s[50:51], s[6:7]
	s_cbranch_execz .LBB251_2316
; %bb.2311:
	s_mov_b32 s6, 0x37ffffff
	v_cmp_lt_u32_e64 s[6:7], s6, v11
	s_mov_b64 s[52:53], 0
                                        ; implicit-def: $vgpr11
	s_and_saveexec_b64 s[54:55], s[6:7]
	s_xor_b64 s[6:7], exec, s[54:55]
	s_cbranch_execz .LBB251_2766
; %bb.2312:
	v_bfe_u32 v10, v6, 5, 1
	s_mov_b32 s33, 0x88fffff
	v_add3_u32 v10, v14, v10, s33
	s_mov_b64 s[52:53], exec
	v_lshrrev_b32_e32 v11, 21, v10
                                        ; implicit-def: $vgpr14
	s_andn2_saveexec_b64 s[54:55], s[6:7]
	s_cbranch_execnz .LBB251_2767
.LBB251_2313:
	s_or_b64 exec, exec, s[54:55]
	v_mov_b32_e32 v10, 0
	s_and_saveexec_b64 s[6:7], s[52:53]
.LBB251_2314:
	v_lshrrev_b32_e32 v6, 8, v6
	s_movk_i32 s33, 0x80
	v_and_or_b32 v10, v6, s33, v11
.LBB251_2315:
	s_or_b64 exec, exec, s[6:7]
.LBB251_2316:
	s_or_b64 exec, exec, s[50:51]
	s_or_b64 s[50:51], s[44:45], exec
	s_xor_b64 s[52:53], exec, -1
.LBB251_2317:
	s_or_b64 exec, exec, s[48:49]
	s_andn2_b64 s[6:7], s[44:45], exec
	s_and_b64 s[48:49], s[50:51], exec
	s_or_b64 s[50:51], s[6:7], s[48:49]
	s_andn2_b64 s[6:7], s[42:43], exec
	s_and_b64 s[48:49], s[52:53], exec
	s_or_b64 s[48:49], s[6:7], s[48:49]
                                        ; implicit-def: $vgpr6
.LBB251_2318:
	s_or_saveexec_b64 s[46:47], s[46:47]
	s_mov_b64 s[52:53], 0
	s_xor_b64 exec, exec, s[46:47]
; %bb.2319:
	v_cmp_ne_u16_e64 s[6:7], 11, v6
	s_andn2_b64 s[48:49], s[48:49], exec
	s_and_b64 s[6:7], s[6:7], exec
	s_mov_b64 s[52:53], exec
	s_or_b64 s[48:49], s[48:49], s[6:7]
; %bb.2320:
	s_or_b64 exec, exec, s[46:47]
	s_andn2_b64 s[6:7], s[44:45], exec
	s_and_b64 s[44:45], s[50:51], exec
	s_andn2_b64 s[46:47], s[42:43], exec
	s_and_b64 s[48:49], s[48:49], exec
	s_or_b64 s[44:45], s[6:7], s[44:45]
	s_and_b64 s[6:7], s[52:53], exec
	s_or_b64 s[46:47], s[46:47], s[48:49]
.LBB251_2321:
	s_or_b64 exec, exec, s[28:29]
	s_andn2_b64 s[28:29], s[40:41], exec
	s_and_b64 s[40:41], s[44:45], exec
	s_or_b64 s[40:41], s[28:29], s[40:41]
	s_and_b64 s[28:29], s[6:7], exec
	s_andn2_b64 s[6:7], s[42:43], exec
	s_and_b64 s[42:43], s[46:47], exec
	s_or_b64 s[42:43], s[6:7], s[42:43]
	s_or_b64 exec, exec, s[38:39]
	s_mov_b64 s[38:39], s[22:23]
	s_and_saveexec_b64 s[6:7], s[42:43]
	s_cbranch_execz .LBB251_1283
.LBB251_2322:
	s_trap 2
	s_or_b64 s[38:39], s[22:23], exec
	s_andn2_b64 s[28:29], s[28:29], exec
	s_or_b64 exec, exec, s[6:7]
	s_and_saveexec_b64 s[6:7], s[28:29]
	s_xor_b64 s[28:29], exec, s[6:7]
	s_cbranch_execnz .LBB251_1284
	s_branch .LBB251_1291
.LBB251_2323:
	s_andn2_saveexec_b64 s[22:23], s[4:5]
	s_cbranch_execz .LBB251_2024
.LBB251_2324:
	s_mov_b32 s4, 0x42800000
	v_add_f32_e64 v8, |v5|, s4
	v_and_b32_e32 v8, 0xff, v8
	v_cmp_ne_u32_e64 s[4:5], 0, v8
	s_andn2_b64 s[20:21], s[20:21], exec
	s_and_b64 s[4:5], s[4:5], exec
	s_or_b64 s[20:21], s[20:21], s[4:5]
	s_or_b64 exec, exec, s[22:23]
	v_mov_b32_e32 v17, 0
	s_and_saveexec_b64 s[4:5], s[20:21]
	s_cbranch_execnz .LBB251_2025
	s_branch .LBB251_2026
.LBB251_2325:
	s_andn2_saveexec_b64 s[22:23], s[4:5]
	s_cbranch_execz .LBB251_33
.LBB251_2326:
	v_add_f32_e32 v2, 0x46000000, v3
	v_and_b32_e32 v2, 0xff, v2
	v_cmp_ne_u32_e64 s[4:5], 0, v2
	s_andn2_b64 s[20:21], s[20:21], exec
	s_and_b64 s[4:5], s[4:5], exec
	s_or_b64 s[20:21], s[20:21], s[4:5]
	s_or_b64 exec, exec, s[22:23]
	v_mov_b32_e32 v4, 0
	s_and_saveexec_b64 s[4:5], s[20:21]
	s_cbranch_execnz .LBB251_34
	s_branch .LBB251_35
.LBB251_2327:
	s_andn2_saveexec_b64 s[26:27], s[4:5]
	s_cbranch_execz .LBB251_425
.LBB251_2328:
	v_add_f32_e32 v5, 0x42800000, v8
	v_and_b32_e32 v5, 0xff, v5
	v_cmp_ne_u32_e64 s[4:5], 0, v5
	s_andn2_b64 s[24:25], s[24:25], exec
	s_and_b64 s[4:5], s[4:5], exec
	s_or_b64 s[24:25], s[24:25], s[4:5]
	s_or_b64 exec, exec, s[26:27]
	v_mov_b32_e32 v17, 0
	s_and_saveexec_b64 s[4:5], s[24:25]
	s_cbranch_execnz .LBB251_426
	s_branch .LBB251_427
.LBB251_2329:
	s_andn2_saveexec_b64 s[26:27], s[4:5]
	s_cbranch_execz .LBB251_437
.LBB251_2330:
	v_add_f32_e32 v5, 0x42800000, v8
	v_and_b32_e32 v5, 0xff, v5
	v_cmp_ne_u32_e64 s[4:5], 0, v5
	s_andn2_b64 s[24:25], s[24:25], exec
	s_and_b64 s[4:5], s[4:5], exec
	s_or_b64 s[24:25], s[24:25], s[4:5]
	s_or_b64 exec, exec, s[26:27]
	v_mov_b32_e32 v17, 0
	s_and_saveexec_b64 s[4:5], s[24:25]
	s_cbranch_execnz .LBB251_438
	s_branch .LBB251_439
.LBB251_2331:
	s_andn2_saveexec_b64 s[26:27], s[4:5]
	s_cbranch_execz .LBB251_445
.LBB251_2332:
	v_add_f32_e32 v5, 0x42800000, v8
	v_and_b32_e32 v5, 0xff, v5
	v_cmp_ne_u32_e64 s[4:5], 0, v5
	s_andn2_b64 s[24:25], s[24:25], exec
	s_and_b64 s[4:5], s[4:5], exec
	s_or_b64 s[24:25], s[24:25], s[4:5]
	s_or_b64 exec, exec, s[26:27]
	v_mov_b32_e32 v17, 0
	s_and_saveexec_b64 s[4:5], s[24:25]
	s_cbranch_execnz .LBB251_446
	s_branch .LBB251_447
.LBB251_2333:
	s_andn2_saveexec_b64 s[24:25], s[4:5]
	s_cbranch_execz .LBB251_484
.LBB251_2334:
	s_mov_b32 s4, 0x42800000
	v_add_f32_e64 v1, |v0|, s4
	v_and_b32_e32 v1, 0xff, v1
	v_cmp_ne_u32_e64 s[4:5], 0, v1
	s_andn2_b64 s[22:23], s[22:23], exec
	s_and_b64 s[4:5], s[4:5], exec
	s_or_b64 s[22:23], s[22:23], s[4:5]
	s_or_b64 exec, exec, s[24:25]
	v_mov_b32_e32 v17, 0
	s_and_saveexec_b64 s[4:5], s[22:23]
	s_cbranch_execnz .LBB251_485
	s_branch .LBB251_486
.LBB251_2335:
	s_andn2_saveexec_b64 s[24:25], s[4:5]
	s_cbranch_execz .LBB251_492
.LBB251_2336:
	s_mov_b32 s4, 0x42800000
	v_add_f32_e64 v1, |v0|, s4
	v_and_b32_e32 v1, 0xff, v1
	v_cmp_ne_u32_e64 s[4:5], 0, v1
	s_andn2_b64 s[22:23], s[22:23], exec
	s_and_b64 s[4:5], s[4:5], exec
	s_or_b64 s[22:23], s[22:23], s[4:5]
	s_or_b64 exec, exec, s[24:25]
	v_mov_b32_e32 v17, 0
	s_and_saveexec_b64 s[4:5], s[22:23]
	s_cbranch_execnz .LBB251_493
	s_branch .LBB251_494
.LBB251_2337:
	s_andn2_saveexec_b64 s[24:25], s[4:5]
	s_cbranch_execz .LBB251_512
.LBB251_2338:
	s_mov_b32 s4, 0x42800000
	v_add_f32_e64 v1, |v0|, s4
	v_and_b32_e32 v1, 0xff, v1
	v_cmp_ne_u32_e64 s[4:5], 0, v1
	s_andn2_b64 s[22:23], s[22:23], exec
	s_and_b64 s[4:5], s[4:5], exec
	s_or_b64 s[22:23], s[22:23], s[4:5]
	s_or_b64 exec, exec, s[24:25]
	v_mov_b32_e32 v17, 0
	s_and_saveexec_b64 s[4:5], s[22:23]
	s_cbranch_execnz .LBB251_513
	s_branch .LBB251_514
.LBB251_2339:
	s_andn2_saveexec_b64 s[24:25], s[4:5]
	s_cbranch_execz .LBB251_520
.LBB251_2340:
	s_mov_b32 s4, 0x42800000
	v_add_f32_e64 v1, |v0|, s4
	v_and_b32_e32 v1, 0xff, v1
	v_cmp_ne_u32_e64 s[4:5], 0, v1
	s_andn2_b64 s[22:23], s[22:23], exec
	s_and_b64 s[4:5], s[4:5], exec
	s_or_b64 s[22:23], s[22:23], s[4:5]
	s_or_b64 exec, exec, s[24:25]
	v_mov_b32_e32 v17, 0
	s_and_saveexec_b64 s[4:5], s[22:23]
	s_cbranch_execnz .LBB251_521
	s_branch .LBB251_522
.LBB251_2341:
	s_andn2_saveexec_b64 s[24:25], s[4:5]
	s_cbranch_execz .LBB251_542
.LBB251_2342:
	s_mov_b32 s4, 0x42800000
	v_add_f32_e64 v1, |v0|, s4
	v_and_b32_e32 v1, 0xff, v1
	v_cmp_ne_u32_e64 s[4:5], 0, v1
	s_andn2_b64 s[22:23], s[22:23], exec
	s_and_b64 s[4:5], s[4:5], exec
	s_or_b64 s[22:23], s[22:23], s[4:5]
	s_or_b64 exec, exec, s[24:25]
	v_mov_b32_e32 v17, 0
	s_and_saveexec_b64 s[4:5], s[22:23]
	s_cbranch_execnz .LBB251_543
	s_branch .LBB251_544
.LBB251_2343:
	s_andn2_saveexec_b64 s[24:25], s[4:5]
	s_cbranch_execz .LBB251_550
.LBB251_2344:
	s_mov_b32 s4, 0x42800000
	v_add_f32_e64 v1, |v0|, s4
	v_and_b32_e32 v1, 0xff, v1
	v_cmp_ne_u32_e64 s[4:5], 0, v1
	s_andn2_b64 s[22:23], s[22:23], exec
	s_and_b64 s[4:5], s[4:5], exec
	s_or_b64 s[22:23], s[22:23], s[4:5]
	s_or_b64 exec, exec, s[24:25]
	v_mov_b32_e32 v17, 0
	s_and_saveexec_b64 s[4:5], s[22:23]
	s_cbranch_execnz .LBB251_551
	s_branch .LBB251_552
.LBB251_2345:
	s_andn2_saveexec_b64 s[28:29], s[4:5]
	s_cbranch_execz .LBB251_650
.LBB251_2346:
	s_mov_b32 s4, 0x42800000
	v_add_f32_e64 v19, |v18|, s4
	v_and_b32_e32 v20, 0xff, v19
	v_cmp_ne_u32_e64 s[4:5], 0, v20
	s_andn2_b64 s[26:27], s[26:27], exec
	s_and_b64 s[4:5], s[4:5], exec
	s_or_b64 s[26:27], s[26:27], s[4:5]
	s_or_b64 exec, exec, s[28:29]
	v_mov_b32_e32 v19, 0
	s_and_saveexec_b64 s[4:5], s[26:27]
	s_cbranch_execnz .LBB251_651
	s_branch .LBB251_652
.LBB251_2347:
	s_andn2_saveexec_b64 s[26:27], s[4:5]
	s_cbranch_execz .LBB251_691
.LBB251_2348:
	s_mov_b32 s4, 0x42800000
	v_add_f32_e64 v1, |v0|, s4
	v_and_b32_e32 v1, 0xff, v1
	v_cmp_ne_u32_e64 s[4:5], 0, v1
	s_andn2_b64 s[24:25], s[24:25], exec
	s_and_b64 s[4:5], s[4:5], exec
	s_or_b64 s[24:25], s[24:25], s[4:5]
	s_or_b64 exec, exec, s[26:27]
	v_mov_b32_e32 v19, 0
	s_and_saveexec_b64 s[4:5], s[24:25]
	s_cbranch_execnz .LBB251_692
	s_branch .LBB251_693
.LBB251_2349:
	s_andn2_saveexec_b64 s[26:27], s[4:5]
	s_cbranch_execz .LBB251_719
.LBB251_2350:
	s_mov_b32 s4, 0x42800000
	v_add_f32_e64 v1, |v0|, s4
	v_and_b32_e32 v1, 0xff, v1
	v_cmp_ne_u32_e64 s[4:5], 0, v1
	s_andn2_b64 s[24:25], s[24:25], exec
	s_and_b64 s[4:5], s[4:5], exec
	s_or_b64 s[24:25], s[24:25], s[4:5]
	s_or_b64 exec, exec, s[26:27]
	v_mov_b32_e32 v19, 0
	s_and_saveexec_b64 s[4:5], s[24:25]
	s_cbranch_execnz .LBB251_720
	s_branch .LBB251_721
.LBB251_2351:
	s_andn2_saveexec_b64 s[26:27], s[4:5]
	s_cbranch_execz .LBB251_749
.LBB251_2352:
	s_mov_b32 s4, 0x42800000
	v_add_f32_e64 v1, |v0|, s4
	v_and_b32_e32 v1, 0xff, v1
	v_cmp_ne_u32_e64 s[4:5], 0, v1
	s_andn2_b64 s[24:25], s[24:25], exec
	s_and_b64 s[4:5], s[4:5], exec
	s_or_b64 s[24:25], s[24:25], s[4:5]
	s_or_b64 exec, exec, s[26:27]
	v_mov_b32_e32 v19, 0
	s_and_saveexec_b64 s[4:5], s[24:25]
	s_cbranch_execnz .LBB251_750
	s_branch .LBB251_751
.LBB251_2353:
	s_andn2_saveexec_b64 s[26:27], s[4:5]
	s_cbranch_execz .LBB251_759
.LBB251_2354:
	s_mov_b32 s4, 0x42800000
	v_add_f32_e64 v1, |v0|, s4
	v_and_b32_e32 v1, 0xff, v1
	v_cmp_ne_u32_e64 s[4:5], 0, v1
	s_andn2_b64 s[24:25], s[24:25], exec
	s_and_b64 s[4:5], s[4:5], exec
	s_or_b64 s[24:25], s[24:25], s[4:5]
	s_or_b64 exec, exec, s[26:27]
	v_mov_b32_e32 v19, 0
	s_and_saveexec_b64 s[4:5], s[24:25]
	s_cbranch_execnz .LBB251_760
	s_branch .LBB251_761
.LBB251_2355:
	s_andn2_saveexec_b64 s[26:27], s[4:5]
	s_cbranch_execz .LBB251_767
.LBB251_2356:
	v_add_f32_e32 v0, 0x42800000, v1
	v_and_b32_e32 v0, 0xff, v0
	v_cmp_ne_u32_e64 s[4:5], 0, v0
	s_andn2_b64 s[24:25], s[24:25], exec
	s_and_b64 s[4:5], s[4:5], exec
	s_or_b64 s[24:25], s[24:25], s[4:5]
	s_or_b64 exec, exec, s[26:27]
	v_mov_b32_e32 v19, 0
	s_and_saveexec_b64 s[4:5], s[24:25]
	s_cbranch_execnz .LBB251_768
	s_branch .LBB251_769
.LBB251_2357:
	s_or_saveexec_b64 s[40:41], s[40:41]
	v_mov_b32_e32 v12, 0x7f800001
	s_xor_b64 exec, exec, s[40:41]
	s_cbranch_execz .LBB251_863
.LBB251_2358:
	v_cmp_ne_u16_e64 s[6:7], 0, v13
	s_andn2_b64 s[38:39], s[38:39], exec
	s_and_b64 s[6:7], s[6:7], exec
	v_mov_b32_e32 v12, 0
	s_or_b64 s[38:39], s[38:39], s[6:7]
	s_or_b64 exec, exec, s[40:41]
	s_and_saveexec_b64 s[40:41], s[38:39]
	s_cbranch_execnz .LBB251_864
	s_branch .LBB251_865
.LBB251_2359:
	s_andn2_saveexec_b64 s[40:41], s[6:7]
	s_cbranch_execz .LBB251_1069
.LBB251_2360:
	v_add_f32_e32 v0, 0x42800000, v1
	v_and_b32_e32 v0, 0xff, v0
	v_cmp_ne_u32_e64 s[6:7], 0, v0
	s_andn2_b64 s[38:39], s[38:39], exec
	s_and_b64 s[6:7], s[6:7], exec
	s_or_b64 s[38:39], s[38:39], s[6:7]
	s_or_b64 exec, exec, s[40:41]
	v_mov_b32_e32 v14, 0
	s_and_saveexec_b64 s[6:7], s[38:39]
	s_cbranch_execnz .LBB251_1070
	s_branch .LBB251_1071
.LBB251_2361:
	s_andn2_saveexec_b64 s[42:43], s[42:43]
	s_cbranch_execz .LBB251_1472
.LBB251_2362:
	v_cmp_lt_i16_e64 s[6:7], 22, v5
	s_mov_b64 s[48:49], s[44:45]
                                        ; implicit-def: $vgpr6
	s_and_saveexec_b64 s[38:39], s[6:7]
	s_xor_b64 s[38:39], exec, s[38:39]
	s_cbranch_execz .LBB251_2384
; %bb.2363:
	v_cmp_lt_i16_e64 s[6:7], 23, v5
                                        ; implicit-def: $vgpr6
	s_and_saveexec_b64 s[48:49], s[6:7]
	s_xor_b64 s[48:49], exec, s[48:49]
	s_cbranch_execz .LBB251_2375
; %bb.2364:
	v_cmp_lt_i16_e64 s[6:7], 24, v5
                                        ; implicit-def: $vgpr6
	s_and_saveexec_b64 s[50:51], s[6:7]
	s_xor_b64 s[6:7], exec, s[50:51]
	s_cbranch_execz .LBB251_2366
; %bb.2365:
	flat_load_ubyte v6, v[0:1]
.LBB251_2366:
	s_andn2_saveexec_b64 s[50:51], s[6:7]
	s_cbranch_execz .LBB251_2374
; %bb.2367:
	flat_load_ubyte v5, v[0:1]
	s_mov_b32 s6, 0x7f800000
	s_brev_b32 s33, 1
	s_mov_b32 s52, 0x47800000
	s_waitcnt vmcnt(0) lgkmcnt(0)
	v_lshlrev_b32_e32 v5, 24, v5
	v_and_b32_e32 v6, 0x7f000000, v5
	v_ffbh_u32_e32 v8, v6
	v_min_u32_e32 v8, 32, v8
	v_sub_u32_e64 v8, v8, 4 clamp
	v_lshlrev_b32_e32 v11, v8, v6
	v_lshlrev_b32_e32 v8, 23, v8
	v_lshrrev_b32_e32 v11, 4, v11
	v_add_u32_e32 v9, 0x1000000, v6
	v_sub_u32_e32 v8, v11, v8
	v_ashrrev_i32_e32 v9, 8, v9
	v_add_u32_e32 v8, 0x3c000000, v8
	v_and_or_b32 v8, v9, s6, v8
	v_cmp_ne_u32_e64 s[6:7], 0, v6
	v_cndmask_b32_e64 v9, 0, v8, s[6:7]
	v_and_or_b32 v5, v5, s33, v9
	v_and_b32_e32 v8, 0x7fffffff, v5
	v_cmp_gt_u32_e64 s[6:7], s52, v8
	v_mov_b32_e32 v6, 0x80
	s_and_saveexec_b64 s[52:53], s[6:7]
	s_cbranch_execz .LBB251_2373
; %bb.2368:
	s_mov_b32 s6, 0x37ffffff
	v_cmp_lt_u32_e64 s[6:7], s6, v8
	s_mov_b64 s[54:55], 0
                                        ; implicit-def: $vgpr8
	s_and_saveexec_b64 s[56:57], s[6:7]
	s_xor_b64 s[6:7], exec, s[56:57]
	s_cbranch_execz .LBB251_2794
; %bb.2369:
	v_bfe_u32 v6, v9, 21, 1
	s_mov_b32 s33, 0x88fffff
	v_add3_u32 v6, v5, v6, s33
	s_mov_b64 s[54:55], exec
	v_lshrrev_b32_e32 v8, 21, v6
	s_andn2_saveexec_b64 s[56:57], s[6:7]
	s_cbranch_execnz .LBB251_2795
.LBB251_2370:
	s_or_b64 exec, exec, s[56:57]
	v_mov_b32_e32 v6, 0
	s_and_saveexec_b64 s[6:7], s[54:55]
.LBB251_2371:
	v_lshrrev_b32_e32 v5, 24, v5
	s_movk_i32 s33, 0x80
	v_and_or_b32 v6, v5, s33, v8
.LBB251_2372:
	s_or_b64 exec, exec, s[6:7]
.LBB251_2373:
	s_or_b64 exec, exec, s[52:53]
.LBB251_2374:
	s_or_b64 exec, exec, s[50:51]
.LBB251_2375:
	s_andn2_saveexec_b64 s[48:49], s[48:49]
	s_cbranch_execz .LBB251_2383
; %bb.2376:
	flat_load_ubyte v5, v[0:1]
	s_movk_i32 s6, 0x7f00
	s_brev_b32 s7, 16
	s_brev_b32 s33, 1
	s_mov_b32 s50, 0x47800000
	s_waitcnt vmcnt(0) lgkmcnt(0)
	v_lshlrev_b16_e32 v6, 8, v5
	v_lshlrev_b32_e32 v5, 25, v5
	v_lshrrev_b32_e32 v8, 4, v5
	v_and_or_b32 v9, v6, s6, 0.5
	v_or_b32_e32 v8, 0x70000000, v8
	v_add_f32_e32 v9, -0.5, v9
	v_mul_f32_e32 v8, 0x7800000, v8
	v_cmp_gt_u32_e64 s[6:7], s7, v5
	v_bfe_i32 v6, v6, 0, 16
	v_cndmask_b32_e64 v9, v8, v9, s[6:7]
	v_and_or_b32 v5, v6, s33, v9
	v_and_b32_e32 v8, 0x7fffffff, v5
	v_cmp_gt_u32_e64 s[6:7], s50, v8
	v_mov_b32_e32 v6, 0x80
	s_and_saveexec_b64 s[50:51], s[6:7]
	s_cbranch_execz .LBB251_2382
; %bb.2377:
	s_mov_b32 s6, 0x37ffffff
	v_cmp_lt_u32_e64 s[6:7], s6, v8
	s_mov_b64 s[52:53], 0
                                        ; implicit-def: $vgpr8
	s_and_saveexec_b64 s[54:55], s[6:7]
	s_xor_b64 s[6:7], exec, s[54:55]
	s_cbranch_execz .LBB251_2768
; %bb.2378:
	v_bfe_u32 v6, v9, 21, 1
	s_mov_b32 s33, 0x88fffff
	v_add3_u32 v6, v5, v6, s33
	s_mov_b64 s[52:53], exec
	v_lshrrev_b32_e32 v8, 21, v6
	s_andn2_saveexec_b64 s[54:55], s[6:7]
	s_cbranch_execnz .LBB251_2769
.LBB251_2379:
	s_or_b64 exec, exec, s[54:55]
	v_mov_b32_e32 v6, 0
	s_and_saveexec_b64 s[6:7], s[52:53]
.LBB251_2380:
	v_lshrrev_b32_e32 v5, 24, v5
	s_movk_i32 s33, 0x80
	v_and_or_b32 v6, v5, s33, v8
.LBB251_2381:
	s_or_b64 exec, exec, s[6:7]
.LBB251_2382:
	s_or_b64 exec, exec, s[50:51]
.LBB251_2383:
	s_or_b64 exec, exec, s[48:49]
	s_or_b64 s[48:49], s[44:45], exec
                                        ; implicit-def: $vgpr5
.LBB251_2384:
	s_or_saveexec_b64 s[38:39], s[38:39]
	s_mov_b64 s[6:7], 0
	s_mov_b64 s[50:51], s[46:47]
	s_xor_b64 exec, exec, s[38:39]
	s_cbranch_execz .LBB251_2398
; %bb.2385:
	v_cmp_lt_i16_e64 s[6:7], 14, v5
	s_mov_b64 s[52:53], s[46:47]
	s_mov_b64 s[54:55], s[48:49]
                                        ; implicit-def: $vgpr6
	s_and_saveexec_b64 s[50:51], s[6:7]
	s_xor_b64 s[50:51], exec, s[50:51]
	s_cbranch_execz .LBB251_2395
; %bb.2386:
	v_cmp_eq_u16_e64 s[6:7], 15, v5
	s_mov_b64 s[56:57], -1
	s_mov_b64 s[54:55], s[48:49]
                                        ; implicit-def: $vgpr6
	s_and_saveexec_b64 s[52:53], s[6:7]
	s_cbranch_execz .LBB251_2394
; %bb.2387:
	flat_load_ushort v5, v[0:1]
	s_mov_b32 s6, 0x47800000
	s_waitcnt vmcnt(0) lgkmcnt(0)
	v_mov_b32_e32 v6, 0x80
	v_lshlrev_b32_e32 v9, 16, v5
	v_and_b32_e32 v8, 0x7fffffff, v9
	v_cmp_gt_u32_e64 s[6:7], s6, v8
	s_and_saveexec_b64 s[54:55], s[6:7]
	s_cbranch_execz .LBB251_2393
; %bb.2388:
	s_mov_b32 s6, 0x37ffffff
	v_cmp_lt_u32_e64 s[6:7], s6, v8
	s_mov_b64 s[56:57], 0
                                        ; implicit-def: $vgpr8
	s_and_saveexec_b64 s[58:59], s[6:7]
	s_xor_b64 s[6:7], exec, s[58:59]
	s_cbranch_execz .LBB251_2796
; %bb.2389:
	v_bfe_u32 v6, v5, 5, 1
	s_mov_b32 s33, 0x88fffff
	v_add3_u32 v6, v9, v6, s33
	s_mov_b64 s[56:57], exec
	v_lshrrev_b32_e32 v8, 21, v6
                                        ; implicit-def: $vgpr9
	s_andn2_saveexec_b64 s[58:59], s[6:7]
	s_cbranch_execnz .LBB251_2797
.LBB251_2390:
	s_or_b64 exec, exec, s[58:59]
	v_mov_b32_e32 v6, 0
	s_and_saveexec_b64 s[6:7], s[56:57]
.LBB251_2391:
	v_lshrrev_b32_e32 v5, 8, v5
	s_movk_i32 s33, 0x80
	v_and_or_b32 v6, v5, s33, v8
.LBB251_2392:
	s_or_b64 exec, exec, s[6:7]
.LBB251_2393:
	s_or_b64 exec, exec, s[54:55]
	s_or_b64 s[54:55], s[48:49], exec
	s_xor_b64 s[56:57], exec, -1
.LBB251_2394:
	s_or_b64 exec, exec, s[52:53]
	s_andn2_b64 s[6:7], s[48:49], exec
	s_and_b64 s[52:53], s[54:55], exec
	s_or_b64 s[54:55], s[6:7], s[52:53]
	s_andn2_b64 s[6:7], s[46:47], exec
	s_and_b64 s[52:53], s[56:57], exec
	s_or_b64 s[52:53], s[6:7], s[52:53]
                                        ; implicit-def: $vgpr5
.LBB251_2395:
	s_or_saveexec_b64 s[50:51], s[50:51]
	s_mov_b64 s[56:57], 0
	s_xor_b64 exec, exec, s[50:51]
; %bb.2396:
	v_cmp_ne_u16_e64 s[6:7], 11, v5
	s_andn2_b64 s[52:53], s[52:53], exec
	s_and_b64 s[6:7], s[6:7], exec
	s_mov_b64 s[56:57], exec
	s_or_b64 s[52:53], s[52:53], s[6:7]
; %bb.2397:
	s_or_b64 exec, exec, s[50:51]
	s_andn2_b64 s[6:7], s[48:49], exec
	s_and_b64 s[48:49], s[54:55], exec
	s_andn2_b64 s[50:51], s[46:47], exec
	s_and_b64 s[52:53], s[52:53], exec
	s_or_b64 s[48:49], s[6:7], s[48:49]
	s_and_b64 s[6:7], s[56:57], exec
	s_or_b64 s[50:51], s[50:51], s[52:53]
.LBB251_2398:
	s_or_b64 exec, exec, s[38:39]
	s_andn2_b64 s[38:39], s[44:45], exec
	s_and_b64 s[44:45], s[48:49], exec
	s_or_b64 s[44:45], s[38:39], s[44:45]
	s_and_b64 s[38:39], s[6:7], exec
	s_andn2_b64 s[6:7], s[46:47], exec
	s_and_b64 s[46:47], s[50:51], exec
	s_or_b64 s[46:47], s[6:7], s[46:47]
	s_or_b64 exec, exec, s[42:43]
	s_mov_b64 s[42:43], s[28:29]
	s_and_saveexec_b64 s[6:7], s[46:47]
	s_cbranch_execz .LBB251_1473
.LBB251_2399:
	s_trap 2
	s_or_b64 s[42:43], s[28:29], exec
	s_andn2_b64 s[38:39], s[38:39], exec
	s_or_b64 exec, exec, s[6:7]
	s_and_saveexec_b64 s[6:7], s[38:39]
	s_xor_b64 s[38:39], exec, s[6:7]
	s_cbranch_execnz .LBB251_1474
	s_branch .LBB251_1481
.LBB251_2400:
	s_andn2_saveexec_b64 s[24:25], s[4:5]
	s_cbranch_execz .LBB251_2015
.LBB251_2401:
	s_mov_b32 s4, 0x42800000
	v_add_f32_e64 v8, |v5|, s4
	v_and_b32_e32 v8, 0xff, v8
	v_cmp_ne_u32_e64 s[4:5], 0, v8
	s_andn2_b64 s[22:23], s[22:23], exec
	s_and_b64 s[4:5], s[4:5], exec
	s_or_b64 s[22:23], s[22:23], s[4:5]
	s_or_b64 exec, exec, s[24:25]
	v_mov_b32_e32 v17, 0
	s_and_saveexec_b64 s[4:5], s[22:23]
	s_cbranch_execnz .LBB251_2016
	s_branch .LBB251_2017
.LBB251_2402:
	s_andn2_saveexec_b64 s[26:27], s[4:5]
	s_cbranch_execz .LBB251_2035
.LBB251_2403:
	s_mov_b32 s4, 0x42800000
	v_add_f32_e64 v8, |v9|, s4
	v_and_b32_e32 v8, 0xff, v8
	v_cmp_ne_u32_e64 s[4:5], 0, v8
	s_andn2_b64 s[24:25], s[24:25], exec
	s_and_b64 s[4:5], s[4:5], exec
	s_or_b64 s[24:25], s[24:25], s[4:5]
	s_or_b64 exec, exec, s[26:27]
	v_mov_b32_e32 v17, 0
	s_and_saveexec_b64 s[4:5], s[24:25]
	s_cbranch_execnz .LBB251_2036
	s_branch .LBB251_2037
.LBB251_2404:
	s_andn2_saveexec_b64 s[26:27], s[4:5]
	s_cbranch_execz .LBB251_2105
.LBB251_2405:
	s_mov_b32 s4, 0x42800000
	v_add_f32_e64 v19, |v18|, s4
	v_and_b32_e32 v20, 0xff, v19
	v_cmp_ne_u32_e64 s[4:5], 0, v20
	s_andn2_b64 s[24:25], s[24:25], exec
	s_and_b64 s[4:5], s[4:5], exec
	s_or_b64 s[24:25], s[24:25], s[4:5]
	s_or_b64 exec, exec, s[26:27]
	v_mov_b32_e32 v19, 0
	s_and_saveexec_b64 s[4:5], s[24:25]
	s_cbranch_execnz .LBB251_2106
	s_branch .LBB251_2107
.LBB251_2406:
	s_andn2_saveexec_b64 s[24:25], s[4:5]
	s_cbranch_execz .LBB251_46
.LBB251_2407:
	v_add_f32_e32 v2, 0x42800000, v3
	v_and_b32_e32 v2, 0xff, v2
	v_cmp_ne_u32_e64 s[4:5], 0, v2
	s_andn2_b64 s[22:23], s[22:23], exec
	s_and_b64 s[4:5], s[4:5], exec
	s_or_b64 s[22:23], s[22:23], s[4:5]
	s_or_b64 exec, exec, s[24:25]
	v_mov_b32_e32 v4, 0
	s_and_saveexec_b64 s[4:5], s[22:23]
	s_cbranch_execnz .LBB251_47
	s_branch .LBB251_48
.LBB251_2408:
	s_andn2_saveexec_b64 s[22:23], s[4:5]
	s_cbranch_execz .LBB251_120
.LBB251_2409:
	v_add_f32_e32 v2, 0x46000000, v3
	v_and_b32_e32 v2, 0xff, v2
	v_cmp_ne_u32_e64 s[4:5], 0, v2
	s_andn2_b64 s[20:21], s[20:21], exec
	s_and_b64 s[4:5], s[4:5], exec
	s_or_b64 s[20:21], s[20:21], s[4:5]
	s_or_b64 exec, exec, s[22:23]
	v_mov_b32_e32 v4, 0
	s_and_saveexec_b64 s[4:5], s[20:21]
	s_cbranch_execnz .LBB251_121
	s_branch .LBB251_122
.LBB251_2410:
	s_andn2_saveexec_b64 s[24:25], s[4:5]
	s_cbranch_execz .LBB251_404
.LBB251_2411:
	s_mov_b32 s4, 0x42800000
	v_add_f32_e64 v8, |v5|, s4
	v_and_b32_e32 v8, 0xff, v8
	v_cmp_ne_u32_e64 s[4:5], 0, v8
	s_andn2_b64 s[22:23], s[22:23], exec
	s_and_b64 s[4:5], s[4:5], exec
	s_or_b64 s[22:23], s[22:23], s[4:5]
	s_or_b64 exec, exec, s[24:25]
	v_mov_b32_e32 v17, 0
	s_and_saveexec_b64 s[4:5], s[22:23]
	s_cbranch_execnz .LBB251_405
	s_branch .LBB251_406
.LBB251_2412:
	s_andn2_saveexec_b64 s[28:29], s[4:5]
	s_cbranch_execz .LBB251_414
.LBB251_2413:
	v_add_f32_e32 v5, 0x42800000, v8
	v_and_b32_e32 v5, 0xff, v5
	v_cmp_ne_u32_e64 s[4:5], 0, v5
	s_andn2_b64 s[26:27], s[26:27], exec
	s_and_b64 s[4:5], s[4:5], exec
	s_or_b64 s[26:27], s[26:27], s[4:5]
	s_or_b64 exec, exec, s[28:29]
	v_mov_b32_e32 v17, 0
	s_and_saveexec_b64 s[4:5], s[26:27]
	s_cbranch_execnz .LBB251_415
	s_branch .LBB251_416
.LBB251_2414:
	s_andn2_saveexec_b64 s[30:31], s[4:5]
	s_cbranch_execz .LBB251_615
.LBB251_2415:
	v_add_f32_e32 v18, 0x42800000, v20
	v_and_b32_e32 v18, 0xff, v18
	v_cmp_ne_u32_e64 s[4:5], 0, v18
	s_andn2_b64 s[28:29], s[28:29], exec
	s_and_b64 s[4:5], s[4:5], exec
	s_or_b64 s[28:29], s[28:29], s[4:5]
	s_or_b64 exec, exec, s[30:31]
	v_mov_b32_e32 v19, 0
	s_and_saveexec_b64 s[4:5], s[28:29]
	s_cbranch_execnz .LBB251_616
	s_branch .LBB251_617
.LBB251_2416:
	s_andn2_saveexec_b64 s[30:31], s[4:5]
	s_cbranch_execz .LBB251_627
.LBB251_2417:
	v_add_f32_e32 v18, 0x42800000, v20
	v_and_b32_e32 v18, 0xff, v18
	v_cmp_ne_u32_e64 s[4:5], 0, v18
	s_andn2_b64 s[28:29], s[28:29], exec
	s_and_b64 s[4:5], s[4:5], exec
	s_or_b64 s[28:29], s[28:29], s[4:5]
	s_or_b64 exec, exec, s[30:31]
	v_mov_b32_e32 v19, 0
	s_and_saveexec_b64 s[4:5], s[28:29]
	s_cbranch_execnz .LBB251_628
	s_branch .LBB251_629
.LBB251_2418:
	s_andn2_saveexec_b64 s[30:31], s[4:5]
	s_cbranch_execz .LBB251_635
.LBB251_2419:
	v_add_f32_e32 v18, 0x42800000, v20
	v_and_b32_e32 v18, 0xff, v18
	v_cmp_ne_u32_e64 s[4:5], 0, v18
	s_andn2_b64 s[28:29], s[28:29], exec
	s_and_b64 s[4:5], s[4:5], exec
	s_or_b64 s[28:29], s[28:29], s[4:5]
	s_or_b64 exec, exec, s[30:31]
	v_mov_b32_e32 v19, 0
	s_and_saveexec_b64 s[4:5], s[28:29]
	s_cbranch_execnz .LBB251_636
	s_branch .LBB251_637
.LBB251_2420:
	s_andn2_saveexec_b64 s[28:29], s[4:5]
	s_cbranch_execz .LBB251_674
.LBB251_2421:
	s_mov_b32 s4, 0x42800000
	v_add_f32_e64 v1, |v0|, s4
	v_and_b32_e32 v1, 0xff, v1
	v_cmp_ne_u32_e64 s[4:5], 0, v1
	s_andn2_b64 s[26:27], s[26:27], exec
	s_and_b64 s[4:5], s[4:5], exec
	s_or_b64 s[26:27], s[26:27], s[4:5]
	s_or_b64 exec, exec, s[28:29]
	v_mov_b32_e32 v19, 0
	s_and_saveexec_b64 s[4:5], s[26:27]
	s_cbranch_execnz .LBB251_675
	s_branch .LBB251_676
.LBB251_2422:
	s_andn2_saveexec_b64 s[28:29], s[4:5]
	s_cbranch_execz .LBB251_682
.LBB251_2423:
	s_mov_b32 s4, 0x42800000
	v_add_f32_e64 v1, |v0|, s4
	v_and_b32_e32 v1, 0xff, v1
	v_cmp_ne_u32_e64 s[4:5], 0, v1
	s_andn2_b64 s[26:27], s[26:27], exec
	s_and_b64 s[4:5], s[4:5], exec
	s_or_b64 s[26:27], s[26:27], s[4:5]
	s_or_b64 exec, exec, s[28:29]
	v_mov_b32_e32 v19, 0
	s_and_saveexec_b64 s[4:5], s[26:27]
	s_cbranch_execnz .LBB251_683
	s_branch .LBB251_684
.LBB251_2424:
	s_andn2_saveexec_b64 s[28:29], s[4:5]
	s_cbranch_execz .LBB251_702
.LBB251_2425:
	s_mov_b32 s4, 0x42800000
	v_add_f32_e64 v1, |v0|, s4
	v_and_b32_e32 v1, 0xff, v1
	v_cmp_ne_u32_e64 s[4:5], 0, v1
	s_andn2_b64 s[26:27], s[26:27], exec
	s_and_b64 s[4:5], s[4:5], exec
	s_or_b64 s[26:27], s[26:27], s[4:5]
	s_or_b64 exec, exec, s[28:29]
	v_mov_b32_e32 v19, 0
	s_and_saveexec_b64 s[4:5], s[26:27]
	s_cbranch_execnz .LBB251_703
	s_branch .LBB251_704
.LBB251_2426:
	s_andn2_saveexec_b64 s[28:29], s[4:5]
	s_cbranch_execz .LBB251_710
.LBB251_2427:
	s_mov_b32 s4, 0x42800000
	v_add_f32_e64 v1, |v0|, s4
	v_and_b32_e32 v1, 0xff, v1
	v_cmp_ne_u32_e64 s[4:5], 0, v1
	s_andn2_b64 s[26:27], s[26:27], exec
	s_and_b64 s[4:5], s[4:5], exec
	s_or_b64 s[26:27], s[26:27], s[4:5]
	s_or_b64 exec, exec, s[28:29]
	v_mov_b32_e32 v19, 0
	s_and_saveexec_b64 s[4:5], s[26:27]
	s_cbranch_execnz .LBB251_711
	s_branch .LBB251_712
.LBB251_2428:
	s_andn2_saveexec_b64 s[28:29], s[4:5]
	s_cbranch_execz .LBB251_732
.LBB251_2429:
	s_mov_b32 s4, 0x42800000
	v_add_f32_e64 v1, |v0|, s4
	v_and_b32_e32 v1, 0xff, v1
	v_cmp_ne_u32_e64 s[4:5], 0, v1
	s_andn2_b64 s[26:27], s[26:27], exec
	s_and_b64 s[4:5], s[4:5], exec
	s_or_b64 s[26:27], s[26:27], s[4:5]
	s_or_b64 exec, exec, s[28:29]
	v_mov_b32_e32 v19, 0
	s_and_saveexec_b64 s[4:5], s[26:27]
	s_cbranch_execnz .LBB251_733
	s_branch .LBB251_734
.LBB251_2430:
	s_andn2_saveexec_b64 s[28:29], s[4:5]
	s_cbranch_execz .LBB251_740
.LBB251_2431:
	s_mov_b32 s4, 0x42800000
	v_add_f32_e64 v1, |v0|, s4
	v_and_b32_e32 v1, 0xff, v1
	v_cmp_ne_u32_e64 s[4:5], 0, v1
	s_andn2_b64 s[26:27], s[26:27], exec
	s_and_b64 s[4:5], s[4:5], exec
	s_or_b64 s[26:27], s[26:27], s[4:5]
	s_or_b64 exec, exec, s[28:29]
	v_mov_b32_e32 v19, 0
	s_and_saveexec_b64 s[4:5], s[26:27]
	s_cbranch_execnz .LBB251_741
	s_branch .LBB251_742
.LBB251_2432:
	s_andn2_saveexec_b64 s[42:43], s[6:7]
	s_cbranch_execz .LBB251_868
.LBB251_2433:
	s_mov_b32 s6, 0x42800000
	v_add_f32_e64 v13, |v12|, s6
	v_and_b32_e32 v13, 0xff, v13
	v_cmp_ne_u32_e64 s[6:7], 0, v13
	s_andn2_b64 s[40:41], s[40:41], exec
	s_and_b64 s[6:7], s[6:7], exec
	s_or_b64 s[40:41], s[40:41], s[6:7]
	s_or_b64 exec, exec, s[42:43]
	v_mov_b32_e32 v19, 0
	s_and_saveexec_b64 s[6:7], s[40:41]
	s_cbranch_execnz .LBB251_869
	s_branch .LBB251_870
.LBB251_2434:
	s_andn2_saveexec_b64 s[40:41], s[6:7]
	s_cbranch_execz .LBB251_909
.LBB251_2435:
	s_mov_b32 s6, 0x42800000
	v_add_f32_e64 v1, |v0|, s6
	v_and_b32_e32 v1, 0xff, v1
	v_cmp_ne_u32_e64 s[6:7], 0, v1
	s_andn2_b64 s[38:39], s[38:39], exec
	s_and_b64 s[6:7], s[6:7], exec
	s_or_b64 s[38:39], s[38:39], s[6:7]
	s_or_b64 exec, exec, s[40:41]
	v_mov_b32_e32 v19, 0
	s_and_saveexec_b64 s[6:7], s[38:39]
	s_cbranch_execnz .LBB251_910
	s_branch .LBB251_911
.LBB251_2436:
	s_andn2_saveexec_b64 s[40:41], s[6:7]
	s_cbranch_execz .LBB251_937
.LBB251_2437:
	s_mov_b32 s6, 0x42800000
	v_add_f32_e64 v1, |v0|, s6
	v_and_b32_e32 v1, 0xff, v1
	v_cmp_ne_u32_e64 s[6:7], 0, v1
	s_andn2_b64 s[38:39], s[38:39], exec
	s_and_b64 s[6:7], s[6:7], exec
	s_or_b64 s[38:39], s[38:39], s[6:7]
	s_or_b64 exec, exec, s[40:41]
	v_mov_b32_e32 v19, 0
	s_and_saveexec_b64 s[6:7], s[38:39]
	s_cbranch_execnz .LBB251_938
	s_branch .LBB251_939
.LBB251_2438:
	s_andn2_saveexec_b64 s[40:41], s[6:7]
	s_cbranch_execz .LBB251_967
.LBB251_2439:
	s_mov_b32 s6, 0x42800000
	v_add_f32_e64 v1, |v0|, s6
	v_and_b32_e32 v1, 0xff, v1
	v_cmp_ne_u32_e64 s[6:7], 0, v1
	s_andn2_b64 s[38:39], s[38:39], exec
	s_and_b64 s[6:7], s[6:7], exec
	s_or_b64 s[38:39], s[38:39], s[6:7]
	s_or_b64 exec, exec, s[40:41]
	v_mov_b32_e32 v19, 0
	s_and_saveexec_b64 s[6:7], s[38:39]
	s_cbranch_execnz .LBB251_968
	s_branch .LBB251_969
.LBB251_2440:
	s_andn2_saveexec_b64 s[40:41], s[6:7]
	s_cbranch_execz .LBB251_977
.LBB251_2441:
	s_mov_b32 s6, 0x42800000
	v_add_f32_e64 v1, |v0|, s6
	v_and_b32_e32 v1, 0xff, v1
	v_cmp_ne_u32_e64 s[6:7], 0, v1
	s_andn2_b64 s[38:39], s[38:39], exec
	s_and_b64 s[6:7], s[6:7], exec
	s_or_b64 s[38:39], s[38:39], s[6:7]
	s_or_b64 exec, exec, s[40:41]
	v_mov_b32_e32 v19, 0
	s_and_saveexec_b64 s[6:7], s[38:39]
	s_cbranch_execnz .LBB251_978
	s_branch .LBB251_979
.LBB251_2442:
	s_andn2_saveexec_b64 s[40:41], s[6:7]
	s_cbranch_execz .LBB251_985
.LBB251_2443:
	v_add_f32_e32 v0, 0x42800000, v1
	v_and_b32_e32 v0, 0xff, v0
	v_cmp_ne_u32_e64 s[6:7], 0, v0
	s_andn2_b64 s[38:39], s[38:39], exec
	s_and_b64 s[6:7], s[6:7], exec
	s_or_b64 s[38:39], s[38:39], s[6:7]
	s_or_b64 exec, exec, s[40:41]
	v_mov_b32_e32 v19, 0
	s_and_saveexec_b64 s[6:7], s[38:39]
	s_cbranch_execnz .LBB251_986
	s_branch .LBB251_987
.LBB251_2444:
	s_or_saveexec_b64 s[44:45], s[44:45]
	v_mov_b32_e32 v15, 0x7f800001
	s_xor_b64 exec, exec, s[44:45]
	s_cbranch_execz .LBB251_1053
.LBB251_2445:
	v_cmp_ne_u16_e64 s[6:7], 0, v14
	s_andn2_b64 s[42:43], s[42:43], exec
	s_and_b64 s[6:7], s[6:7], exec
	v_mov_b32_e32 v15, 0
	s_or_b64 s[42:43], s[42:43], s[6:7]
	s_or_b64 exec, exec, s[44:45]
	s_and_saveexec_b64 s[44:45], s[42:43]
	s_cbranch_execnz .LBB251_1054
	s_branch .LBB251_1055
.LBB251_2446:
	s_andn2_saveexec_b64 s[46:47], s[6:7]
	s_cbranch_execz .LBB251_1287
.LBB251_2447:
	v_add_f32_e32 v0, 0x42800000, v1
	v_and_b32_e32 v0, 0xff, v0
	v_cmp_ne_u32_e64 s[6:7], 0, v0
	s_andn2_b64 s[44:45], s[44:45], exec
	s_and_b64 s[6:7], s[6:7], exec
	s_or_b64 s[44:45], s[44:45], s[6:7]
	s_or_b64 exec, exec, s[46:47]
	v_mov_b32_e32 v10, 0
	s_and_saveexec_b64 s[6:7], s[44:45]
	s_cbranch_execnz .LBB251_1288
	s_branch .LBB251_1289
.LBB251_2448:
	s_or_saveexec_b64 s[40:41], s[40:41]
	v_mov_b32_e32 v0, 0x7f800001
	s_xor_b64 exec, exec, s[40:41]
	s_cbranch_execz .LBB251_1596
.LBB251_2449:
	v_mov_b32_e32 v0, 0
	v_cmp_ne_u16_sdwa s[44:45], v10, v0 src0_sel:BYTE_0 src1_sel:DWORD
	s_andn2_b64 s[4:5], s[4:5], exec
	s_and_b64 s[44:45], s[44:45], exec
	s_or_b64 s[4:5], s[4:5], s[44:45]
	s_or_b64 exec, exec, s[40:41]
	s_and_saveexec_b64 s[40:41], s[4:5]
	s_cbranch_execnz .LBB251_1597
	s_branch .LBB251_1598
.LBB251_2450:
	s_or_saveexec_b64 s[40:41], s[40:41]
	v_mov_b32_e32 v1, 0x7f800001
	s_xor_b64 exec, exec, s[40:41]
	s_cbranch_execz .LBB251_1602
.LBB251_2451:
	v_mov_b32_e32 v1, 0
	v_cmp_ne_u16_sdwa s[44:45], v6, v1 src0_sel:BYTE_0 src1_sel:DWORD
	s_andn2_b64 s[4:5], s[4:5], exec
	s_and_b64 s[44:45], s[44:45], exec
	s_or_b64 s[4:5], s[4:5], s[44:45]
	s_or_b64 exec, exec, s[40:41]
	s_and_saveexec_b64 s[40:41], s[4:5]
	s_cbranch_execnz .LBB251_1603
	s_branch .LBB251_1604
.LBB251_2452:
	s_or_saveexec_b64 s[44:45], s[44:45]
	v_mov_b32_e32 v0, 0x7f800001
	s_xor_b64 exec, exec, s[44:45]
	s_cbranch_execz .LBB251_1610
.LBB251_2453:
	v_mov_b32_e32 v0, 0
	v_cmp_ne_u16_sdwa s[46:47], v10, v0 src0_sel:BYTE_0 src1_sel:DWORD
	s_andn2_b64 s[4:5], s[4:5], exec
	s_and_b64 s[46:47], s[46:47], exec
	s_or_b64 s[4:5], s[4:5], s[46:47]
	s_or_b64 exec, exec, s[44:45]
	s_and_saveexec_b64 s[44:45], s[4:5]
	s_cbranch_execnz .LBB251_1611
	s_branch .LBB251_1612
.LBB251_2454:
	s_or_saveexec_b64 s[44:45], s[44:45]
	v_mov_b32_e32 v1, 0x7f800001
	s_xor_b64 exec, exec, s[44:45]
	s_cbranch_execz .LBB251_1616
.LBB251_2455:
	v_mov_b32_e32 v1, 0
	v_cmp_ne_u16_sdwa s[46:47], v6, v1 src0_sel:BYTE_0 src1_sel:DWORD
	s_andn2_b64 s[4:5], s[4:5], exec
	s_and_b64 s[46:47], s[46:47], exec
	s_or_b64 s[4:5], s[4:5], s[46:47]
	s_or_b64 exec, exec, s[44:45]
	s_and_saveexec_b64 s[44:45], s[4:5]
	s_cbranch_execnz .LBB251_1617
	s_branch .LBB251_1618
.LBB251_2456:
	s_andn2_saveexec_b64 s[48:49], s[48:49]
	s_cbranch_execz .LBB251_1656
.LBB251_2457:
	v_cmp_lt_i16_e64 s[4:5], 22, v18
	s_mov_b64 s[52:53], s[46:47]
	s_and_saveexec_b64 s[50:51], s[4:5]
	s_xor_b64 s[50:51], exec, s[50:51]
	s_cbranch_execz .LBB251_2489
; %bb.2458:
	v_cmp_lt_i16_e64 s[4:5], 23, v18
	s_and_saveexec_b64 s[52:53], s[4:5]
	s_xor_b64 s[52:53], exec, s[52:53]
	s_cbranch_execz .LBB251_2478
; %bb.2459:
	v_cmp_lt_i16_e64 s[4:5], 24, v18
	s_and_saveexec_b64 s[54:55], s[4:5]
	s_xor_b64 s[54:55], exec, s[54:55]
	s_cbranch_execz .LBB251_2467
; %bb.2460:
	v_cndmask_b32_e64 v7, 0, 1.0, vcc
	s_mov_b32 s4, 0x47800000
	v_cmp_gt_u32_e64 s[4:5], s4, v7
	v_mov_b32_e32 v8, 0x80
	s_and_saveexec_b64 s[56:57], s[4:5]
	s_cbranch_execz .LBB251_2466
; %bb.2461:
	s_mov_b32 s4, 0x37ffffff
	v_cmp_lt_u32_e64 s[4:5], s4, v7
	s_mov_b64 s[58:59], 0
                                        ; implicit-def: $vgpr6
	s_and_saveexec_b64 s[60:61], s[4:5]
	s_xor_b64 s[4:5], exec, s[60:61]
	s_cbranch_execz .LBB251_2804
; %bb.2462:
	s_waitcnt lgkmcnt(0)
	v_bfe_u32 v6, v7, 21, 1
	s_mov_b32 s33, 0x88fffff
	v_add3_u32 v6, v7, v6, s33
	s_mov_b64 s[58:59], exec
	v_lshrrev_b32_e32 v6, 21, v6
                                        ; implicit-def: $vgpr7
	s_andn2_saveexec_b64 s[60:61], s[4:5]
	s_cbranch_execnz .LBB251_2805
.LBB251_2463:
	s_or_b64 exec, exec, s[60:61]
	v_mov_b32_e32 v8, 0
	s_and_saveexec_b64 s[4:5], s[58:59]
	s_cbranch_execz .LBB251_2465
.LBB251_2464:
	s_waitcnt lgkmcnt(0)
	v_mov_b32_e32 v8, v6
.LBB251_2465:
	s_or_b64 exec, exec, s[4:5]
.LBB251_2466:
	s_or_b64 exec, exec, s[56:57]
	flat_store_byte v[0:1], v8
.LBB251_2467:
	s_andn2_saveexec_b64 s[54:55], s[54:55]
	s_cbranch_execz .LBB251_2477
; %bb.2468:
	s_waitcnt lgkmcnt(0)
	v_cndmask_b32_e64 v6, 0, 1.0, vcc
	s_mov_b32 s4, 0x43f00000
	v_cmp_gt_u32_e64 s[4:5], s4, v6
                                        ; implicit-def: $vgpr7
	s_and_saveexec_b64 s[56:57], s[4:5]
	s_xor_b64 s[56:57], exec, s[56:57]
	s_cbranch_execz .LBB251_2474
; %bb.2469:
	s_mov_b32 s4, 0x3c7fffff
	v_cmp_lt_u32_e64 s[4:5], s4, v6
                                        ; implicit-def: $vgpr7
	s_and_saveexec_b64 s[58:59], s[4:5]
	s_xor_b64 s[58:59], exec, s[58:59]
; %bb.2470:
	v_bfe_u32 v7, v6, 20, 1
	s_mov_b32 s4, 0x407ffff
	v_add3_u32 v6, v6, v7, s4
	v_lshrrev_b32_e32 v7, 20, v6
	v_and_b32_e32 v6, 0xff00000, v6
	s_mov_b32 s4, 0x7f00000
	v_mov_b32_e32 v8, 0x7e
	v_cmp_ne_u32_e64 s[4:5], s4, v6
	v_cndmask_b32_e64 v7, v8, v7, s[4:5]
                                        ; implicit-def: $vgpr6
; %bb.2471:
	s_andn2_saveexec_b64 s[4:5], s[58:59]
; %bb.2472:
	v_add_f32_e32 v7, 0x46800000, v6
; %bb.2473:
	s_or_b64 exec, exec, s[4:5]
                                        ; implicit-def: $vgpr6
.LBB251_2474:
	s_andn2_saveexec_b64 s[56:57], s[56:57]
; %bb.2475:
	s_mov_b32 s4, 0x7f800000
	v_mov_b32_e32 v7, 0x7e
	v_mov_b32_e32 v8, 0x7f
	v_cmp_lt_u32_e64 s[4:5], s4, v6
	v_cndmask_b32_e64 v7, v7, v8, s[4:5]
; %bb.2476:
	s_or_b64 exec, exec, s[56:57]
	flat_store_byte v[0:1], v7
.LBB251_2477:
	s_or_b64 exec, exec, s[54:55]
.LBB251_2478:
	s_andn2_saveexec_b64 s[52:53], s[52:53]
	s_cbranch_execz .LBB251_2488
; %bb.2479:
	s_waitcnt lgkmcnt(0)
	v_cndmask_b32_e64 v6, 0, 1.0, vcc
	s_mov_b32 s4, 0x47800000
	v_cmp_gt_u32_e64 s[4:5], s4, v6
                                        ; implicit-def: $vgpr7
	s_and_saveexec_b64 s[54:55], s[4:5]
	s_xor_b64 s[54:55], exec, s[54:55]
	s_cbranch_execz .LBB251_2485
; %bb.2480:
	s_mov_b32 s4, 0x387fffff
	v_cmp_lt_u32_e64 s[4:5], s4, v6
                                        ; implicit-def: $vgpr7
	s_and_saveexec_b64 s[56:57], s[4:5]
	s_xor_b64 s[4:5], exec, s[56:57]
; %bb.2481:
	v_bfe_u32 v7, v6, 21, 1
	s_mov_b32 s33, 0x80fffff
	v_add3_u32 v6, v6, v7, s33
	v_lshrrev_b32_e32 v7, 21, v6
                                        ; implicit-def: $vgpr6
; %bb.2482:
	s_andn2_saveexec_b64 s[4:5], s[4:5]
; %bb.2483:
	v_add_f32_e32 v7, 0x43000000, v6
; %bb.2484:
	s_or_b64 exec, exec, s[4:5]
                                        ; implicit-def: $vgpr6
.LBB251_2485:
	s_andn2_saveexec_b64 s[54:55], s[54:55]
; %bb.2486:
	s_mov_b32 s4, 0x7f800000
	v_mov_b32_e32 v7, 0x7c
	v_mov_b32_e32 v8, 0x7f
	v_cmp_lt_u32_e64 s[4:5], s4, v6
	v_cndmask_b32_e64 v7, v7, v8, s[4:5]
; %bb.2487:
	s_or_b64 exec, exec, s[54:55]
	flat_store_byte v[0:1], v7
.LBB251_2488:
	s_or_b64 exec, exec, s[52:53]
	s_or_b64 s[52:53], s[46:47], exec
.LBB251_2489:
	s_or_saveexec_b64 s[50:51], s[50:51]
	s_mov_b64 s[4:5], 0
	s_mov_b64 s[54:55], s[6:7]
	s_xor_b64 exec, exec, s[50:51]
	s_cbranch_execz .LBB251_2497
; %bb.2490:
	v_cmp_lt_i16_e64 s[4:5], 14, v18
	s_mov_b64 s[54:55], s[6:7]
	s_mov_b64 s[56:57], s[52:53]
	s_and_saveexec_b64 s[58:59], s[4:5]
	s_xor_b64 s[58:59], exec, s[58:59]
	s_cbranch_execz .LBB251_2494
; %bb.2491:
	v_cmp_eq_u16_e64 s[4:5], 15, v18
	s_mov_b64 s[54:55], -1
	s_mov_b64 s[60:61], s[52:53]
	s_and_saveexec_b64 s[56:57], s[4:5]
	s_cbranch_execz .LBB251_2493
; %bb.2492:
	s_waitcnt lgkmcnt(0)
	v_cndmask_b32_e64 v6, 0, 1.0, vcc
	v_bfe_u32 v7, v6, 16, 1
	s_movk_i32 s4, 0x7fff
	v_add3_u32 v6, v6, v7, s4
	flat_store_short_d16_hi v[0:1], v6
	s_or_b64 s[60:61], s[52:53], exec
	s_xor_b64 s[54:55], exec, -1
.LBB251_2493:
	s_or_b64 exec, exec, s[56:57]
	s_andn2_b64 s[4:5], s[52:53], exec
	s_and_b64 s[56:57], s[60:61], exec
	s_or_b64 s[56:57], s[4:5], s[56:57]
	s_andn2_b64 s[4:5], s[6:7], exec
	s_and_b64 s[54:55], s[54:55], exec
	s_or_b64 s[54:55], s[4:5], s[54:55]
.LBB251_2494:
	s_or_saveexec_b64 s[58:59], s[58:59]
	s_mov_b64 s[60:61], 0
	s_xor_b64 exec, exec, s[58:59]
; %bb.2495:
	v_cmp_ne_u16_e64 s[4:5], 11, v18
	s_andn2_b64 s[54:55], s[54:55], exec
	s_and_b64 s[4:5], s[4:5], exec
	s_mov_b64 s[60:61], exec
	s_or_b64 s[54:55], s[54:55], s[4:5]
; %bb.2496:
	s_or_b64 exec, exec, s[58:59]
	s_andn2_b64 s[4:5], s[52:53], exec
	s_and_b64 s[52:53], s[56:57], exec
	s_andn2_b64 s[56:57], s[6:7], exec
	s_and_b64 s[54:55], s[54:55], exec
	s_or_b64 s[52:53], s[4:5], s[52:53]
	s_and_b64 s[4:5], s[60:61], exec
	s_or_b64 s[54:55], s[56:57], s[54:55]
.LBB251_2497:
	s_or_b64 exec, exec, s[50:51]
	s_andn2_b64 s[46:47], s[46:47], exec
	s_and_b64 s[50:51], s[52:53], exec
	s_or_b64 s[46:47], s[46:47], s[50:51]
	s_and_b64 s[50:51], s[4:5], exec
	s_andn2_b64 s[4:5], s[6:7], exec
	s_and_b64 s[6:7], s[54:55], exec
	s_or_b64 s[6:7], s[4:5], s[6:7]
	s_or_b64 exec, exec, s[48:49]
	s_mov_b64 s[4:5], s[38:39]
	s_and_saveexec_b64 s[48:49], s[6:7]
	s_cbranch_execz .LBB251_1657
.LBB251_2498:
	s_trap 2
	s_or_b64 s[4:5], s[38:39], exec
	s_andn2_b64 s[50:51], s[50:51], exec
	s_or_b64 exec, exec, s[48:49]
	s_and_saveexec_b64 s[6:7], s[50:51]
	s_xor_b64 s[6:7], exec, s[6:7]
	s_cbranch_execnz .LBB251_1658
	s_branch .LBB251_1659
.LBB251_2499:
	s_andn2_saveexec_b64 s[28:29], s[4:5]
	s_cbranch_execz .LBB251_2096
.LBB251_2500:
	s_mov_b32 s4, 0x42800000
	v_add_f32_e64 v19, |v18|, s4
	v_and_b32_e32 v20, 0xff, v19
	v_cmp_ne_u32_e64 s[4:5], 0, v20
	s_andn2_b64 s[26:27], s[26:27], exec
	s_and_b64 s[4:5], s[4:5], exec
	s_or_b64 s[26:27], s[26:27], s[4:5]
	s_or_b64 exec, exec, s[28:29]
	v_mov_b32_e32 v19, 0
	s_and_saveexec_b64 s[4:5], s[26:27]
	s_cbranch_execnz .LBB251_2097
	s_branch .LBB251_2098
.LBB251_2501:
	s_andn2_saveexec_b64 s[30:31], s[4:5]
	s_cbranch_execz .LBB251_2116
.LBB251_2502:
	s_mov_b32 s4, 0x42800000
	v_add_f32_e64 v19, |v21|, s4
	v_and_b32_e32 v20, 0xff, v19
	v_cmp_ne_u32_e64 s[4:5], 0, v20
	s_andn2_b64 s[28:29], s[28:29], exec
	s_and_b64 s[4:5], s[4:5], exec
	s_or_b64 s[28:29], s[28:29], s[4:5]
	s_or_b64 exec, exec, s[30:31]
	v_mov_b32_e32 v19, 0
	s_and_saveexec_b64 s[4:5], s[28:29]
	s_cbranch_execnz .LBB251_2117
	s_branch .LBB251_2118
.LBB251_2503:
	s_andn2_saveexec_b64 s[40:41], s[6:7]
	s_cbranch_execz .LBB251_2196
.LBB251_2504:
	s_mov_b32 s6, 0x42800000
	v_add_f32_e64 v13, |v12|, s6
	v_and_b32_e32 v13, 0xff, v13
	v_cmp_ne_u32_e64 s[6:7], 0, v13
	s_andn2_b64 s[38:39], s[38:39], exec
	s_and_b64 s[6:7], s[6:7], exec
	s_or_b64 s[38:39], s[38:39], s[6:7]
	s_or_b64 exec, exec, s[40:41]
	v_mov_b32_e32 v19, 0
	s_and_saveexec_b64 s[6:7], s[38:39]
	s_cbranch_execnz .LBB251_2197
	s_branch .LBB251_2198
.LBB251_2505:
	s_andn2_saveexec_b64 s[24:25], s[4:5]
	s_cbranch_execz .LBB251_133
.LBB251_2506:
	v_add_f32_e32 v2, 0x42800000, v3
	v_and_b32_e32 v2, 0xff, v2
	v_cmp_ne_u32_e64 s[4:5], 0, v2
	s_andn2_b64 s[22:23], s[22:23], exec
	s_and_b64 s[4:5], s[4:5], exec
	s_or_b64 s[22:23], s[22:23], s[4:5]
	s_or_b64 exec, exec, s[24:25]
	v_mov_b32_e32 v4, 0
	s_and_saveexec_b64 s[4:5], s[22:23]
	s_cbranch_execnz .LBB251_134
	s_branch .LBB251_135
.LBB251_2507:
	s_andn2_saveexec_b64 s[22:23], s[4:5]
	s_cbranch_execz .LBB251_207
.LBB251_2508:
	v_add_f32_e32 v2, 0x46000000, v3
	v_and_b32_e32 v2, 0xff, v2
	v_cmp_ne_u32_e64 s[4:5], 0, v2
	s_andn2_b64 s[20:21], s[20:21], exec
	s_and_b64 s[4:5], s[4:5], exec
	s_or_b64 s[20:21], s[20:21], s[4:5]
	s_or_b64 exec, exec, s[22:23]
	v_mov_b32_e32 v4, 0
	s_and_saveexec_b64 s[4:5], s[20:21]
	s_cbranch_execnz .LBB251_208
	s_branch .LBB251_209
.LBB251_2509:
	s_andn2_saveexec_b64 s[28:29], s[4:5]
	s_cbranch_execz .LBB251_594
.LBB251_2510:
	s_mov_b32 s4, 0x42800000
	v_add_f32_e64 v19, |v18|, s4
	v_and_b32_e32 v20, 0xff, v19
	v_cmp_ne_u32_e64 s[4:5], 0, v20
	s_andn2_b64 s[26:27], s[26:27], exec
	s_and_b64 s[4:5], s[4:5], exec
	s_or_b64 s[26:27], s[26:27], s[4:5]
	s_or_b64 exec, exec, s[28:29]
	v_mov_b32_e32 v19, 0
	s_and_saveexec_b64 s[4:5], s[26:27]
	s_cbranch_execnz .LBB251_595
	s_branch .LBB251_596
.LBB251_2511:
	s_andn2_saveexec_b64 s[38:39], s[4:5]
	s_cbranch_execz .LBB251_604
.LBB251_2512:
	v_add_f32_e32 v18, 0x42800000, v20
	v_and_b32_e32 v18, 0xff, v18
	v_cmp_ne_u32_e64 s[4:5], 0, v18
	s_andn2_b64 s[30:31], s[30:31], exec
	s_and_b64 s[4:5], s[4:5], exec
	s_or_b64 s[30:31], s[30:31], s[4:5]
	s_or_b64 exec, exec, s[38:39]
	v_mov_b32_e32 v19, 0
	s_and_saveexec_b64 s[4:5], s[30:31]
	s_cbranch_execnz .LBB251_605
	s_branch .LBB251_606
.LBB251_2513:
	s_andn2_saveexec_b64 s[44:45], s[6:7]
	s_cbranch_execz .LBB251_833
.LBB251_2514:
	v_add_f32_e32 v12, 0x42800000, v13
	v_and_b32_e32 v12, 0xff, v12
	v_cmp_ne_u32_e64 s[6:7], 0, v12
	s_andn2_b64 s[42:43], s[42:43], exec
	s_and_b64 s[6:7], s[6:7], exec
	s_or_b64 s[42:43], s[42:43], s[6:7]
	s_or_b64 exec, exec, s[44:45]
	v_mov_b32_e32 v19, 0
	s_and_saveexec_b64 s[6:7], s[42:43]
	s_cbranch_execnz .LBB251_834
	s_branch .LBB251_835
.LBB251_2515:
	s_andn2_saveexec_b64 s[44:45], s[6:7]
	s_cbranch_execz .LBB251_845
.LBB251_2516:
	v_add_f32_e32 v12, 0x42800000, v13
	v_and_b32_e32 v12, 0xff, v12
	v_cmp_ne_u32_e64 s[6:7], 0, v12
	s_andn2_b64 s[42:43], s[42:43], exec
	s_and_b64 s[6:7], s[6:7], exec
	s_or_b64 s[42:43], s[42:43], s[6:7]
	s_or_b64 exec, exec, s[44:45]
	v_mov_b32_e32 v19, 0
	s_and_saveexec_b64 s[6:7], s[42:43]
	s_cbranch_execnz .LBB251_846
	s_branch .LBB251_847
.LBB251_2517:
	s_andn2_saveexec_b64 s[44:45], s[6:7]
	s_cbranch_execz .LBB251_853
.LBB251_2518:
	v_add_f32_e32 v12, 0x42800000, v13
	v_and_b32_e32 v12, 0xff, v12
	v_cmp_ne_u32_e64 s[6:7], 0, v12
	s_andn2_b64 s[42:43], s[42:43], exec
	s_and_b64 s[6:7], s[6:7], exec
	s_or_b64 s[42:43], s[42:43], s[6:7]
	s_or_b64 exec, exec, s[44:45]
	v_mov_b32_e32 v19, 0
	s_and_saveexec_b64 s[6:7], s[42:43]
	s_cbranch_execnz .LBB251_854
	s_branch .LBB251_855
.LBB251_2519:
	s_andn2_saveexec_b64 s[42:43], s[6:7]
	s_cbranch_execz .LBB251_892
.LBB251_2520:
	s_mov_b32 s6, 0x42800000
	v_add_f32_e64 v1, |v0|, s6
	v_and_b32_e32 v1, 0xff, v1
	v_cmp_ne_u32_e64 s[6:7], 0, v1
	s_andn2_b64 s[40:41], s[40:41], exec
	s_and_b64 s[6:7], s[6:7], exec
	s_or_b64 s[40:41], s[40:41], s[6:7]
	s_or_b64 exec, exec, s[42:43]
	v_mov_b32_e32 v19, 0
	s_and_saveexec_b64 s[6:7], s[40:41]
	s_cbranch_execnz .LBB251_893
	s_branch .LBB251_894
.LBB251_2521:
	s_andn2_saveexec_b64 s[42:43], s[6:7]
	s_cbranch_execz .LBB251_900
.LBB251_2522:
	s_mov_b32 s6, 0x42800000
	v_add_f32_e64 v1, |v0|, s6
	v_and_b32_e32 v1, 0xff, v1
	v_cmp_ne_u32_e64 s[6:7], 0, v1
	s_andn2_b64 s[40:41], s[40:41], exec
	s_and_b64 s[6:7], s[6:7], exec
	s_or_b64 s[40:41], s[40:41], s[6:7]
	s_or_b64 exec, exec, s[42:43]
	v_mov_b32_e32 v19, 0
	s_and_saveexec_b64 s[6:7], s[40:41]
	s_cbranch_execnz .LBB251_901
	s_branch .LBB251_902
.LBB251_2523:
	s_andn2_saveexec_b64 s[42:43], s[6:7]
	s_cbranch_execz .LBB251_920
.LBB251_2524:
	s_mov_b32 s6, 0x42800000
	v_add_f32_e64 v1, |v0|, s6
	v_and_b32_e32 v1, 0xff, v1
	v_cmp_ne_u32_e64 s[6:7], 0, v1
	s_andn2_b64 s[40:41], s[40:41], exec
	s_and_b64 s[6:7], s[6:7], exec
	s_or_b64 s[40:41], s[40:41], s[6:7]
	s_or_b64 exec, exec, s[42:43]
	v_mov_b32_e32 v19, 0
	s_and_saveexec_b64 s[6:7], s[40:41]
	s_cbranch_execnz .LBB251_921
	s_branch .LBB251_922
.LBB251_2525:
	s_andn2_saveexec_b64 s[42:43], s[6:7]
	s_cbranch_execz .LBB251_928
.LBB251_2526:
	s_mov_b32 s6, 0x42800000
	v_add_f32_e64 v1, |v0|, s6
	v_and_b32_e32 v1, 0xff, v1
	v_cmp_ne_u32_e64 s[6:7], 0, v1
	s_andn2_b64 s[40:41], s[40:41], exec
	s_and_b64 s[6:7], s[6:7], exec
	s_or_b64 s[40:41], s[40:41], s[6:7]
	s_or_b64 exec, exec, s[42:43]
	v_mov_b32_e32 v19, 0
	s_and_saveexec_b64 s[6:7], s[40:41]
	s_cbranch_execnz .LBB251_929
	s_branch .LBB251_930
.LBB251_2527:
	s_andn2_saveexec_b64 s[42:43], s[6:7]
	s_cbranch_execz .LBB251_950
.LBB251_2528:
	s_mov_b32 s6, 0x42800000
	v_add_f32_e64 v1, |v0|, s6
	v_and_b32_e32 v1, 0xff, v1
	v_cmp_ne_u32_e64 s[6:7], 0, v1
	s_andn2_b64 s[40:41], s[40:41], exec
	s_and_b64 s[6:7], s[6:7], exec
	s_or_b64 s[40:41], s[40:41], s[6:7]
	s_or_b64 exec, exec, s[42:43]
	v_mov_b32_e32 v19, 0
	s_and_saveexec_b64 s[6:7], s[40:41]
	s_cbranch_execnz .LBB251_951
	s_branch .LBB251_952
.LBB251_2529:
	s_andn2_saveexec_b64 s[42:43], s[6:7]
	s_cbranch_execz .LBB251_958
.LBB251_2530:
	s_mov_b32 s6, 0x42800000
	v_add_f32_e64 v1, |v0|, s6
	v_and_b32_e32 v1, 0xff, v1
	v_cmp_ne_u32_e64 s[6:7], 0, v1
	s_andn2_b64 s[40:41], s[40:41], exec
	s_and_b64 s[6:7], s[6:7], exec
	s_or_b64 s[40:41], s[40:41], s[6:7]
	s_or_b64 exec, exec, s[42:43]
	v_mov_b32_e32 v19, 0
	s_and_saveexec_b64 s[6:7], s[40:41]
	s_cbranch_execnz .LBB251_959
	s_branch .LBB251_960
.LBB251_2531:
	s_andn2_saveexec_b64 s[46:47], s[6:7]
	s_cbranch_execz .LBB251_1058
.LBB251_2532:
	s_mov_b32 s6, 0x42800000
	v_add_f32_e64 v14, |v15|, s6
	v_and_b32_e32 v18, 0xff, v14
	v_cmp_ne_u32_e64 s[6:7], 0, v18
	s_andn2_b64 s[44:45], s[44:45], exec
	s_and_b64 s[6:7], s[6:7], exec
	s_or_b64 s[44:45], s[44:45], s[6:7]
	s_or_b64 exec, exec, s[46:47]
	v_mov_b32_e32 v14, 0
	s_and_saveexec_b64 s[6:7], s[44:45]
	s_cbranch_execnz .LBB251_1059
	s_branch .LBB251_1060
.LBB251_2533:
	s_andn2_saveexec_b64 s[44:45], s[6:7]
	s_cbranch_execz .LBB251_1099
.LBB251_2534:
	s_mov_b32 s6, 0x42800000
	v_add_f32_e64 v1, |v0|, s6
	v_and_b32_e32 v1, 0xff, v1
	v_cmp_ne_u32_e64 s[6:7], 0, v1
	s_andn2_b64 s[42:43], s[42:43], exec
	s_and_b64 s[6:7], s[6:7], exec
	s_or_b64 s[42:43], s[42:43], s[6:7]
	s_or_b64 exec, exec, s[44:45]
	v_mov_b32_e32 v14, 0
	s_and_saveexec_b64 s[6:7], s[42:43]
	s_cbranch_execnz .LBB251_1100
	s_branch .LBB251_1101
.LBB251_2535:
	s_andn2_saveexec_b64 s[44:45], s[6:7]
	s_cbranch_execz .LBB251_1127
.LBB251_2536:
	s_mov_b32 s6, 0x42800000
	v_add_f32_e64 v1, |v0|, s6
	v_and_b32_e32 v1, 0xff, v1
	v_cmp_ne_u32_e64 s[6:7], 0, v1
	s_andn2_b64 s[42:43], s[42:43], exec
	s_and_b64 s[6:7], s[6:7], exec
	s_or_b64 s[42:43], s[42:43], s[6:7]
	s_or_b64 exec, exec, s[44:45]
	v_mov_b32_e32 v14, 0
	s_and_saveexec_b64 s[6:7], s[42:43]
	s_cbranch_execnz .LBB251_1128
	s_branch .LBB251_1129
.LBB251_2537:
	s_andn2_saveexec_b64 s[44:45], s[6:7]
	s_cbranch_execz .LBB251_1157
.LBB251_2538:
	s_mov_b32 s6, 0x42800000
	v_add_f32_e64 v1, |v0|, s6
	v_and_b32_e32 v1, 0xff, v1
	v_cmp_ne_u32_e64 s[6:7], 0, v1
	s_andn2_b64 s[42:43], s[42:43], exec
	s_and_b64 s[6:7], s[6:7], exec
	s_or_b64 s[42:43], s[42:43], s[6:7]
	s_or_b64 exec, exec, s[44:45]
	v_mov_b32_e32 v14, 0
	s_and_saveexec_b64 s[6:7], s[42:43]
	s_cbranch_execnz .LBB251_1158
	s_branch .LBB251_1159
.LBB251_2539:
	s_andn2_saveexec_b64 s[44:45], s[6:7]
	s_cbranch_execz .LBB251_1167
.LBB251_2540:
	s_mov_b32 s6, 0x42800000
	v_add_f32_e64 v1, |v0|, s6
	v_and_b32_e32 v1, 0xff, v1
	v_cmp_ne_u32_e64 s[6:7], 0, v1
	s_andn2_b64 s[42:43], s[42:43], exec
	s_and_b64 s[6:7], s[6:7], exec
	s_or_b64 s[42:43], s[42:43], s[6:7]
	s_or_b64 exec, exec, s[44:45]
	v_mov_b32_e32 v14, 0
	s_and_saveexec_b64 s[6:7], s[42:43]
	s_cbranch_execnz .LBB251_1168
	s_branch .LBB251_1169
.LBB251_2541:
	s_andn2_saveexec_b64 s[44:45], s[6:7]
	s_cbranch_execz .LBB251_1175
.LBB251_2542:
	v_add_f32_e32 v0, 0x42800000, v1
	v_and_b32_e32 v0, 0xff, v0
	v_cmp_ne_u32_e64 s[6:7], 0, v0
	s_andn2_b64 s[42:43], s[42:43], exec
	s_and_b64 s[6:7], s[6:7], exec
	s_or_b64 s[42:43], s[42:43], s[6:7]
	s_or_b64 exec, exec, s[44:45]
	v_mov_b32_e32 v14, 0
	s_and_saveexec_b64 s[6:7], s[42:43]
	s_cbranch_execnz .LBB251_1176
	s_branch .LBB251_1177
.LBB251_2543:
	s_or_saveexec_b64 s[50:51], s[50:51]
	v_mov_b32_e32 v6, 0x7f800001
	s_xor_b64 exec, exec, s[50:51]
	s_cbranch_execz .LBB251_1271
.LBB251_2544:
	v_cmp_ne_u16_e64 s[6:7], 0, v10
	s_andn2_b64 s[48:49], s[48:49], exec
	s_and_b64 s[6:7], s[6:7], exec
	v_mov_b32_e32 v6, 0
	s_or_b64 s[48:49], s[48:49], s[6:7]
	s_or_b64 exec, exec, s[50:51]
	s_and_saveexec_b64 s[50:51], s[48:49]
	s_cbranch_execnz .LBB251_1272
	s_branch .LBB251_1273
.LBB251_2545:
	s_andn2_saveexec_b64 s[50:51], s[6:7]
	s_cbranch_execz .LBB251_1477
.LBB251_2546:
	v_add_f32_e32 v0, 0x42800000, v1
	v_and_b32_e32 v0, 0xff, v0
	v_cmp_ne_u32_e64 s[6:7], 0, v0
	s_andn2_b64 s[48:49], s[48:49], exec
	s_and_b64 s[6:7], s[6:7], exec
	s_or_b64 s[48:49], s[48:49], s[6:7]
	s_or_b64 exec, exec, s[50:51]
	v_mov_b32_e32 v6, 0
	s_and_saveexec_b64 s[6:7], s[48:49]
	s_cbranch_execnz .LBB251_1478
	s_branch .LBB251_1479
.LBB251_2547:
	s_andn2_saveexec_b64 s[50:51], s[50:51]
	s_cbranch_execz .LBB251_1740
.LBB251_2548:
	v_cmp_lt_i16_e32 vcc, 22, v18
	s_mov_b64 s[54:55], s[4:5]
	s_and_saveexec_b64 s[52:53], vcc
	s_xor_b64 s[52:53], exec, s[52:53]
	s_cbranch_execz .LBB251_2580
; %bb.2549:
	v_cmp_lt_i16_e32 vcc, 23, v18
	s_and_saveexec_b64 s[54:55], vcc
	s_xor_b64 s[54:55], exec, s[54:55]
	s_cbranch_execz .LBB251_2569
; %bb.2550:
	v_cmp_lt_i16_e32 vcc, 24, v18
	s_and_saveexec_b64 s[56:57], vcc
	s_xor_b64 s[56:57], exec, s[56:57]
	s_cbranch_execz .LBB251_2558
; %bb.2551:
	v_cndmask_b32_e64 v7, 0, 1.0, s[18:19]
	s_mov_b32 s33, 0x47800000
	v_cmp_gt_u32_e32 vcc, s33, v7
	v_mov_b32_e32 v8, 0x80
	s_and_saveexec_b64 s[58:59], vcc
	s_cbranch_execz .LBB251_2557
; %bb.2552:
	s_mov_b32 s33, 0x37ffffff
	v_cmp_lt_u32_e32 vcc, s33, v7
	s_mov_b64 s[60:61], 0
                                        ; implicit-def: $vgpr6
	s_and_saveexec_b64 s[62:63], vcc
	s_xor_b64 s[62:63], exec, s[62:63]
	s_cbranch_execz .LBB251_2808
; %bb.2553:
	s_waitcnt lgkmcnt(0)
	v_bfe_u32 v6, v7, 21, 1
	s_mov_b32 s33, 0x88fffff
	v_add3_u32 v6, v7, v6, s33
	s_mov_b64 s[60:61], exec
	v_lshrrev_b32_e32 v6, 21, v6
                                        ; implicit-def: $vgpr7
	s_andn2_saveexec_b64 s[62:63], s[62:63]
	s_cbranch_execnz .LBB251_2809
.LBB251_2554:
	s_or_b64 exec, exec, s[62:63]
	v_mov_b32_e32 v8, 0
	s_and_saveexec_b64 s[62:63], s[60:61]
	s_cbranch_execz .LBB251_2556
.LBB251_2555:
	s_waitcnt lgkmcnt(0)
	v_mov_b32_e32 v8, v6
.LBB251_2556:
	s_or_b64 exec, exec, s[62:63]
.LBB251_2557:
	s_or_b64 exec, exec, s[58:59]
	flat_store_byte v[0:1], v8
.LBB251_2558:
	s_andn2_saveexec_b64 s[56:57], s[56:57]
	s_cbranch_execz .LBB251_2568
; %bb.2559:
	s_waitcnt lgkmcnt(0)
	v_cndmask_b32_e64 v6, 0, 1.0, s[18:19]
	s_mov_b32 s33, 0x43f00000
	v_cmp_gt_u32_e32 vcc, s33, v6
                                        ; implicit-def: $vgpr7
	s_and_saveexec_b64 s[58:59], vcc
	s_xor_b64 s[58:59], exec, s[58:59]
	s_cbranch_execz .LBB251_2565
; %bb.2560:
	s_mov_b32 s33, 0x3c7fffff
	v_cmp_lt_u32_e32 vcc, s33, v6
                                        ; implicit-def: $vgpr7
	s_and_saveexec_b64 s[60:61], vcc
	s_xor_b64 s[60:61], exec, s[60:61]
; %bb.2561:
	v_bfe_u32 v7, v6, 20, 1
	s_mov_b32 s33, 0x407ffff
	v_add3_u32 v6, v6, v7, s33
	v_lshrrev_b32_e32 v7, 20, v6
	v_and_b32_e32 v6, 0xff00000, v6
	s_mov_b32 s33, 0x7f00000
	v_mov_b32_e32 v8, 0x7e
	v_cmp_ne_u32_e32 vcc, s33, v6
	v_cndmask_b32_e32 v7, v8, v7, vcc
                                        ; implicit-def: $vgpr6
; %bb.2562:
	s_andn2_saveexec_b64 s[60:61], s[60:61]
; %bb.2563:
	v_add_f32_e32 v7, 0x46800000, v6
; %bb.2564:
	s_or_b64 exec, exec, s[60:61]
                                        ; implicit-def: $vgpr6
.LBB251_2565:
	s_andn2_saveexec_b64 s[58:59], s[58:59]
; %bb.2566:
	s_mov_b32 s33, 0x7f800000
	v_mov_b32_e32 v7, 0x7e
	v_mov_b32_e32 v8, 0x7f
	v_cmp_lt_u32_e32 vcc, s33, v6
	v_cndmask_b32_e32 v7, v7, v8, vcc
; %bb.2567:
	s_or_b64 exec, exec, s[58:59]
	flat_store_byte v[0:1], v7
.LBB251_2568:
	s_or_b64 exec, exec, s[56:57]
.LBB251_2569:
	s_andn2_saveexec_b64 s[54:55], s[54:55]
	s_cbranch_execz .LBB251_2579
; %bb.2570:
	s_waitcnt lgkmcnt(0)
	v_cndmask_b32_e64 v6, 0, 1.0, s[18:19]
	s_mov_b32 s33, 0x47800000
	v_cmp_gt_u32_e32 vcc, s33, v6
                                        ; implicit-def: $vgpr7
	s_and_saveexec_b64 s[56:57], vcc
	s_xor_b64 s[56:57], exec, s[56:57]
	s_cbranch_execz .LBB251_2576
; %bb.2571:
	s_mov_b32 s33, 0x387fffff
	v_cmp_lt_u32_e32 vcc, s33, v6
                                        ; implicit-def: $vgpr7
	s_and_saveexec_b64 s[58:59], vcc
	s_xor_b64 s[58:59], exec, s[58:59]
; %bb.2572:
	v_bfe_u32 v7, v6, 21, 1
	s_mov_b32 s33, 0x80fffff
	v_add3_u32 v6, v6, v7, s33
	v_lshrrev_b32_e32 v7, 21, v6
                                        ; implicit-def: $vgpr6
; %bb.2573:
	s_andn2_saveexec_b64 s[58:59], s[58:59]
; %bb.2574:
	v_add_f32_e32 v7, 0x43000000, v6
; %bb.2575:
	s_or_b64 exec, exec, s[58:59]
                                        ; implicit-def: $vgpr6
.LBB251_2576:
	s_andn2_saveexec_b64 s[56:57], s[56:57]
; %bb.2577:
	s_mov_b32 s33, 0x7f800000
	v_mov_b32_e32 v7, 0x7c
	v_mov_b32_e32 v8, 0x7f
	v_cmp_lt_u32_e32 vcc, s33, v6
	v_cndmask_b32_e32 v7, v7, v8, vcc
; %bb.2578:
	s_or_b64 exec, exec, s[56:57]
	flat_store_byte v[0:1], v7
.LBB251_2579:
	s_or_b64 exec, exec, s[54:55]
	s_or_b64 s[54:55], s[4:5], exec
.LBB251_2580:
	s_or_saveexec_b64 s[52:53], s[52:53]
	s_mov_b64 s[58:59], 0
	s_mov_b64 s[56:57], s[46:47]
	s_xor_b64 exec, exec, s[52:53]
	s_cbranch_execz .LBB251_2588
; %bb.2581:
	v_cmp_lt_i16_e32 vcc, 14, v18
	s_mov_b64 s[56:57], s[46:47]
	s_mov_b64 s[58:59], s[54:55]
	s_and_saveexec_b64 s[60:61], vcc
	s_xor_b64 s[60:61], exec, s[60:61]
	s_cbranch_execz .LBB251_2585
; %bb.2582:
	v_cmp_eq_u16_e32 vcc, 15, v18
	s_mov_b64 s[56:57], -1
	s_mov_b64 s[62:63], s[54:55]
	s_and_saveexec_b64 s[58:59], vcc
	s_cbranch_execz .LBB251_2584
; %bb.2583:
	s_waitcnt lgkmcnt(0)
	v_cndmask_b32_e64 v6, 0, 1.0, s[18:19]
	v_bfe_u32 v7, v6, 16, 1
	s_movk_i32 s33, 0x7fff
	v_add3_u32 v6, v6, v7, s33
	flat_store_short_d16_hi v[0:1], v6
	s_or_b64 s[62:63], s[54:55], exec
	s_xor_b64 s[56:57], exec, -1
.LBB251_2584:
	s_or_b64 exec, exec, s[58:59]
	s_andn2_b64 s[58:59], s[54:55], exec
	s_and_b64 s[62:63], s[62:63], exec
	s_or_b64 s[58:59], s[58:59], s[62:63]
	s_andn2_b64 s[62:63], s[46:47], exec
	s_and_b64 s[56:57], s[56:57], exec
	s_or_b64 s[56:57], s[62:63], s[56:57]
.LBB251_2585:
	s_or_saveexec_b64 s[60:61], s[60:61]
	s_mov_b64 s[62:63], 0
	s_xor_b64 exec, exec, s[60:61]
; %bb.2586:
	v_cmp_ne_u16_e32 vcc, 11, v18
	s_andn2_b64 s[56:57], s[56:57], exec
	s_and_b64 s[64:65], vcc, exec
	s_mov_b64 s[62:63], exec
	s_or_b64 s[56:57], s[56:57], s[64:65]
; %bb.2587:
	s_or_b64 exec, exec, s[60:61]
	s_andn2_b64 s[54:55], s[54:55], exec
	s_and_b64 s[58:59], s[58:59], exec
	s_andn2_b64 s[60:61], s[46:47], exec
	s_and_b64 s[56:57], s[56:57], exec
	s_or_b64 s[54:55], s[54:55], s[58:59]
	s_and_b64 s[58:59], s[62:63], exec
	s_or_b64 s[56:57], s[60:61], s[56:57]
.LBB251_2588:
	s_or_b64 exec, exec, s[52:53]
	s_andn2_b64 s[4:5], s[4:5], exec
	s_and_b64 s[52:53], s[54:55], exec
	s_andn2_b64 s[46:47], s[46:47], exec
	s_and_b64 s[54:55], s[56:57], exec
	s_or_b64 s[4:5], s[4:5], s[52:53]
	s_and_b64 s[52:53], s[58:59], exec
	s_or_b64 s[46:47], s[46:47], s[54:55]
	s_or_b64 exec, exec, s[50:51]
	s_mov_b64 s[50:51], s[6:7]
	s_and_saveexec_b64 s[54:55], s[46:47]
	s_cbranch_execz .LBB251_1741
.LBB251_2589:
	s_trap 2
	s_or_b64 s[50:51], s[6:7], exec
	s_andn2_b64 s[52:53], s[52:53], exec
	s_or_b64 exec, exec, s[54:55]
	s_and_saveexec_b64 s[46:47], s[52:53]
	s_xor_b64 s[46:47], exec, s[46:47]
	s_cbranch_execnz .LBB251_1742
	s_branch .LBB251_1743
.LBB251_2590:
	s_andn2_saveexec_b64 s[42:43], s[6:7]
	s_cbranch_execz .LBB251_2187
.LBB251_2591:
	s_mov_b32 s6, 0x42800000
	v_add_f32_e64 v13, |v12|, s6
	v_and_b32_e32 v13, 0xff, v13
	v_cmp_ne_u32_e64 s[6:7], 0, v13
	s_andn2_b64 s[40:41], s[40:41], exec
	s_and_b64 s[6:7], s[6:7], exec
	s_or_b64 s[40:41], s[40:41], s[6:7]
	s_or_b64 exec, exec, s[42:43]
	v_mov_b32_e32 v19, 0
	s_and_saveexec_b64 s[6:7], s[40:41]
	s_cbranch_execnz .LBB251_2188
	s_branch .LBB251_2189
.LBB251_2592:
	s_andn2_saveexec_b64 s[44:45], s[6:7]
	s_cbranch_execz .LBB251_2207
.LBB251_2593:
	s_mov_b32 s6, 0x42800000
	v_add_f32_e64 v13, |v18|, s6
	v_and_b32_e32 v13, 0xff, v13
	v_cmp_ne_u32_e64 s[6:7], 0, v13
	s_andn2_b64 s[42:43], s[42:43], exec
	s_and_b64 s[6:7], s[6:7], exec
	s_or_b64 s[42:43], s[42:43], s[6:7]
	s_or_b64 exec, exec, s[44:45]
	v_mov_b32_e32 v19, 0
	s_and_saveexec_b64 s[6:7], s[42:43]
	s_cbranch_execnz .LBB251_2208
	s_branch .LBB251_2209
.LBB251_2594:
	s_andn2_saveexec_b64 s[44:45], s[6:7]
	s_cbranch_execz .LBB251_2239
.LBB251_2595:
	s_mov_b32 s6, 0x42800000
	v_add_f32_e64 v14, |v15|, s6
	v_and_b32_e32 v18, 0xff, v14
	v_cmp_ne_u32_e64 s[6:7], 0, v18
	s_andn2_b64 s[42:43], s[42:43], exec
	s_and_b64 s[6:7], s[6:7], exec
	s_or_b64 s[42:43], s[42:43], s[6:7]
	s_or_b64 exec, exec, s[44:45]
	v_mov_b32_e32 v14, 0
	s_and_saveexec_b64 s[6:7], s[42:43]
	s_cbranch_execnz .LBB251_2240
	s_branch .LBB251_2241
.LBB251_2596:
	s_andn2_saveexec_b64 s[24:25], s[4:5]
	s_cbranch_execz .LBB251_220
.LBB251_2597:
	v_add_f32_e32 v2, 0x42800000, v3
	v_and_b32_e32 v2, 0xff, v2
	v_cmp_ne_u32_e64 s[4:5], 0, v2
	s_andn2_b64 s[22:23], s[22:23], exec
	s_and_b64 s[4:5], s[4:5], exec
	s_or_b64 s[22:23], s[22:23], s[4:5]
	s_or_b64 exec, exec, s[24:25]
	v_mov_b32_e32 v4, 0
	s_and_saveexec_b64 s[4:5], s[22:23]
	s_cbranch_execnz .LBB251_221
	s_branch .LBB251_222
.LBB251_2598:
	s_andn2_saveexec_b64 s[20:21], s[20:21]
	s_cbranch_execz .LBB251_294
.LBB251_2599:
	v_add_f32_e32 v3, 0x46000000, v4
	v_and_b32_e32 v3, 0xff, v3
	v_cmp_ne_u32_e32 vcc, 0, v3
	s_andn2_b64 s[18:19], s[18:19], exec
	s_and_b64 s[22:23], vcc, exec
	s_or_b64 s[18:19], s[18:19], s[22:23]
	s_or_b64 exec, exec, s[20:21]
	v_mov_b32_e32 v5, 0
	s_and_saveexec_b64 s[20:21], s[18:19]
	s_cbranch_execnz .LBB251_295
	s_branch .LBB251_296
.LBB251_2600:
	s_andn2_saveexec_b64 s[42:43], s[6:7]
	s_cbranch_execz .LBB251_812
.LBB251_2601:
	s_mov_b32 s6, 0x42800000
	v_add_f32_e64 v13, |v12|, s6
	v_and_b32_e32 v13, 0xff, v13
	v_cmp_ne_u32_e64 s[6:7], 0, v13
	s_andn2_b64 s[40:41], s[40:41], exec
	s_and_b64 s[6:7], s[6:7], exec
	s_or_b64 s[40:41], s[40:41], s[6:7]
	s_or_b64 exec, exec, s[42:43]
	v_mov_b32_e32 v19, 0
	s_and_saveexec_b64 s[6:7], s[40:41]
	s_cbranch_execnz .LBB251_813
	s_branch .LBB251_814
.LBB251_2602:
	s_andn2_saveexec_b64 s[46:47], s[6:7]
	s_cbranch_execz .LBB251_822
.LBB251_2603:
	v_add_f32_e32 v12, 0x42800000, v13
	v_and_b32_e32 v12, 0xff, v12
	v_cmp_ne_u32_e64 s[6:7], 0, v12
	s_andn2_b64 s[44:45], s[44:45], exec
	s_and_b64 s[6:7], s[6:7], exec
	s_or_b64 s[44:45], s[44:45], s[6:7]
	s_or_b64 exec, exec, s[46:47]
	v_mov_b32_e32 v19, 0
	s_and_saveexec_b64 s[6:7], s[44:45]
	s_cbranch_execnz .LBB251_823
	s_branch .LBB251_824
.LBB251_2604:
	s_andn2_saveexec_b64 s[48:49], s[6:7]
	s_cbranch_execz .LBB251_1023
.LBB251_2605:
	v_add_f32_e32 v14, 0x42800000, v18
	v_and_b32_e32 v15, 0xff, v14
	v_cmp_ne_u32_e64 s[6:7], 0, v15
	s_andn2_b64 s[46:47], s[46:47], exec
	s_and_b64 s[6:7], s[6:7], exec
	s_or_b64 s[46:47], s[46:47], s[6:7]
	s_or_b64 exec, exec, s[48:49]
	v_mov_b32_e32 v14, 0
	s_and_saveexec_b64 s[6:7], s[46:47]
	s_cbranch_execnz .LBB251_1024
	s_branch .LBB251_1025
.LBB251_2606:
	s_andn2_saveexec_b64 s[48:49], s[6:7]
	s_cbranch_execz .LBB251_1035
.LBB251_2607:
	v_add_f32_e32 v14, 0x42800000, v18
	v_and_b32_e32 v15, 0xff, v14
	v_cmp_ne_u32_e64 s[6:7], 0, v15
	s_andn2_b64 s[46:47], s[46:47], exec
	s_and_b64 s[6:7], s[6:7], exec
	s_or_b64 s[46:47], s[46:47], s[6:7]
	s_or_b64 exec, exec, s[48:49]
	v_mov_b32_e32 v14, 0
	s_and_saveexec_b64 s[6:7], s[46:47]
	s_cbranch_execnz .LBB251_1036
	s_branch .LBB251_1037
.LBB251_2608:
	s_andn2_saveexec_b64 s[48:49], s[6:7]
	s_cbranch_execz .LBB251_1043
.LBB251_2609:
	v_add_f32_e32 v14, 0x42800000, v18
	v_and_b32_e32 v15, 0xff, v14
	v_cmp_ne_u32_e64 s[6:7], 0, v15
	s_andn2_b64 s[46:47], s[46:47], exec
	s_and_b64 s[6:7], s[6:7], exec
	s_or_b64 s[46:47], s[46:47], s[6:7]
	s_or_b64 exec, exec, s[48:49]
	v_mov_b32_e32 v14, 0
	s_and_saveexec_b64 s[6:7], s[46:47]
	s_cbranch_execnz .LBB251_1044
	s_branch .LBB251_1045
.LBB251_2610:
	s_andn2_saveexec_b64 s[46:47], s[6:7]
	s_cbranch_execz .LBB251_1082
.LBB251_2611:
	s_mov_b32 s6, 0x42800000
	v_add_f32_e64 v1, |v0|, s6
	v_and_b32_e32 v1, 0xff, v1
	v_cmp_ne_u32_e64 s[6:7], 0, v1
	s_andn2_b64 s[44:45], s[44:45], exec
	s_and_b64 s[6:7], s[6:7], exec
	s_or_b64 s[44:45], s[44:45], s[6:7]
	s_or_b64 exec, exec, s[46:47]
	v_mov_b32_e32 v14, 0
	s_and_saveexec_b64 s[6:7], s[44:45]
	s_cbranch_execnz .LBB251_1083
	s_branch .LBB251_1084
.LBB251_2612:
	s_andn2_saveexec_b64 s[46:47], s[6:7]
	s_cbranch_execz .LBB251_1090
.LBB251_2613:
	s_mov_b32 s6, 0x42800000
	v_add_f32_e64 v1, |v0|, s6
	v_and_b32_e32 v1, 0xff, v1
	v_cmp_ne_u32_e64 s[6:7], 0, v1
	s_andn2_b64 s[44:45], s[44:45], exec
	s_and_b64 s[6:7], s[6:7], exec
	s_or_b64 s[44:45], s[44:45], s[6:7]
	s_or_b64 exec, exec, s[46:47]
	v_mov_b32_e32 v14, 0
	s_and_saveexec_b64 s[6:7], s[44:45]
	s_cbranch_execnz .LBB251_1091
	s_branch .LBB251_1092
.LBB251_2614:
	s_andn2_saveexec_b64 s[46:47], s[6:7]
	s_cbranch_execz .LBB251_1110
.LBB251_2615:
	s_mov_b32 s6, 0x42800000
	v_add_f32_e64 v1, |v0|, s6
	v_and_b32_e32 v1, 0xff, v1
	v_cmp_ne_u32_e64 s[6:7], 0, v1
	s_andn2_b64 s[44:45], s[44:45], exec
	s_and_b64 s[6:7], s[6:7], exec
	s_or_b64 s[44:45], s[44:45], s[6:7]
	s_or_b64 exec, exec, s[46:47]
	v_mov_b32_e32 v14, 0
	s_and_saveexec_b64 s[6:7], s[44:45]
	s_cbranch_execnz .LBB251_1111
	s_branch .LBB251_1112
.LBB251_2616:
	s_andn2_saveexec_b64 s[46:47], s[6:7]
	s_cbranch_execz .LBB251_1118
.LBB251_2617:
	s_mov_b32 s6, 0x42800000
	v_add_f32_e64 v1, |v0|, s6
	v_and_b32_e32 v1, 0xff, v1
	v_cmp_ne_u32_e64 s[6:7], 0, v1
	s_andn2_b64 s[44:45], s[44:45], exec
	s_and_b64 s[6:7], s[6:7], exec
	s_or_b64 s[44:45], s[44:45], s[6:7]
	s_or_b64 exec, exec, s[46:47]
	v_mov_b32_e32 v14, 0
	s_and_saveexec_b64 s[6:7], s[44:45]
	s_cbranch_execnz .LBB251_1119
	s_branch .LBB251_1120
.LBB251_2618:
	s_andn2_saveexec_b64 s[46:47], s[6:7]
	s_cbranch_execz .LBB251_1140
.LBB251_2619:
	s_mov_b32 s6, 0x42800000
	v_add_f32_e64 v1, |v0|, s6
	v_and_b32_e32 v1, 0xff, v1
	v_cmp_ne_u32_e64 s[6:7], 0, v1
	s_andn2_b64 s[44:45], s[44:45], exec
	s_and_b64 s[6:7], s[6:7], exec
	s_or_b64 s[44:45], s[44:45], s[6:7]
	s_or_b64 exec, exec, s[46:47]
	v_mov_b32_e32 v14, 0
	s_and_saveexec_b64 s[6:7], s[44:45]
	s_cbranch_execnz .LBB251_1141
	s_branch .LBB251_1142
.LBB251_2620:
	s_andn2_saveexec_b64 s[46:47], s[6:7]
	s_cbranch_execz .LBB251_1148
.LBB251_2621:
	s_mov_b32 s6, 0x42800000
	v_add_f32_e64 v1, |v0|, s6
	v_and_b32_e32 v1, 0xff, v1
	v_cmp_ne_u32_e64 s[6:7], 0, v1
	s_andn2_b64 s[44:45], s[44:45], exec
	s_and_b64 s[6:7], s[6:7], exec
	s_or_b64 s[44:45], s[44:45], s[6:7]
	s_or_b64 exec, exec, s[46:47]
	v_mov_b32_e32 v14, 0
	s_and_saveexec_b64 s[6:7], s[44:45]
	s_cbranch_execnz .LBB251_1149
	s_branch .LBB251_1150
.LBB251_2622:
	s_andn2_saveexec_b64 s[52:53], s[6:7]
	s_cbranch_execz .LBB251_1276
.LBB251_2623:
	s_mov_b32 s6, 0x42800000
	v_add_f32_e64 v10, |v6|, s6
	v_and_b32_e32 v11, 0xff, v10
	v_cmp_ne_u32_e64 s[6:7], 0, v11
	s_andn2_b64 s[50:51], s[50:51], exec
	s_and_b64 s[6:7], s[6:7], exec
	s_or_b64 s[50:51], s[50:51], s[6:7]
	s_or_b64 exec, exec, s[52:53]
	v_mov_b32_e32 v10, 0
	s_and_saveexec_b64 s[6:7], s[50:51]
	s_cbranch_execnz .LBB251_1277
	s_branch .LBB251_1278
.LBB251_2624:
	s_andn2_saveexec_b64 s[50:51], s[6:7]
	s_cbranch_execz .LBB251_1317
.LBB251_2625:
	s_mov_b32 s6, 0x42800000
	v_add_f32_e64 v1, |v0|, s6
	v_and_b32_e32 v1, 0xff, v1
	v_cmp_ne_u32_e64 s[6:7], 0, v1
	s_andn2_b64 s[48:49], s[48:49], exec
	s_and_b64 s[6:7], s[6:7], exec
	s_or_b64 s[48:49], s[48:49], s[6:7]
	s_or_b64 exec, exec, s[50:51]
	v_mov_b32_e32 v10, 0
	s_and_saveexec_b64 s[6:7], s[48:49]
	s_cbranch_execnz .LBB251_1318
	s_branch .LBB251_1319
.LBB251_2626:
	s_andn2_saveexec_b64 s[50:51], s[6:7]
	s_cbranch_execz .LBB251_1345
.LBB251_2627:
	s_mov_b32 s6, 0x42800000
	v_add_f32_e64 v1, |v0|, s6
	v_and_b32_e32 v1, 0xff, v1
	v_cmp_ne_u32_e64 s[6:7], 0, v1
	s_andn2_b64 s[48:49], s[48:49], exec
	s_and_b64 s[6:7], s[6:7], exec
	s_or_b64 s[48:49], s[48:49], s[6:7]
	s_or_b64 exec, exec, s[50:51]
	v_mov_b32_e32 v10, 0
	s_and_saveexec_b64 s[6:7], s[48:49]
	s_cbranch_execnz .LBB251_1346
	s_branch .LBB251_1347
.LBB251_2628:
	s_andn2_saveexec_b64 s[50:51], s[6:7]
	s_cbranch_execz .LBB251_1375
.LBB251_2629:
	s_mov_b32 s6, 0x42800000
	v_add_f32_e64 v1, |v0|, s6
	v_and_b32_e32 v1, 0xff, v1
	v_cmp_ne_u32_e64 s[6:7], 0, v1
	s_andn2_b64 s[48:49], s[48:49], exec
	s_and_b64 s[6:7], s[6:7], exec
	s_or_b64 s[48:49], s[48:49], s[6:7]
	s_or_b64 exec, exec, s[50:51]
	v_mov_b32_e32 v10, 0
	s_and_saveexec_b64 s[6:7], s[48:49]
	s_cbranch_execnz .LBB251_1376
	s_branch .LBB251_1377
.LBB251_2630:
	s_andn2_saveexec_b64 s[50:51], s[6:7]
	s_cbranch_execz .LBB251_1385
.LBB251_2631:
	s_mov_b32 s6, 0x42800000
	v_add_f32_e64 v1, |v0|, s6
	v_and_b32_e32 v1, 0xff, v1
	v_cmp_ne_u32_e64 s[6:7], 0, v1
	s_andn2_b64 s[48:49], s[48:49], exec
	s_and_b64 s[6:7], s[6:7], exec
	s_or_b64 s[48:49], s[48:49], s[6:7]
	s_or_b64 exec, exec, s[50:51]
	v_mov_b32_e32 v10, 0
	s_and_saveexec_b64 s[6:7], s[48:49]
	s_cbranch_execnz .LBB251_1386
	s_branch .LBB251_1387
.LBB251_2632:
	s_andn2_saveexec_b64 s[50:51], s[6:7]
	s_cbranch_execz .LBB251_1393
.LBB251_2633:
	v_add_f32_e32 v0, 0x42800000, v1
	v_and_b32_e32 v0, 0xff, v0
	v_cmp_ne_u32_e64 s[6:7], 0, v0
	s_andn2_b64 s[48:49], s[48:49], exec
	s_and_b64 s[6:7], s[6:7], exec
	s_or_b64 s[48:49], s[48:49], s[6:7]
	s_or_b64 exec, exec, s[50:51]
	v_mov_b32_e32 v10, 0
	s_and_saveexec_b64 s[6:7], s[48:49]
	s_cbranch_execnz .LBB251_1394
	s_branch .LBB251_1395
.LBB251_2634:
	s_or_saveexec_b64 s[54:55], s[54:55]
	v_mov_b32_e32 v5, 0x7f800001
	s_xor_b64 exec, exec, s[54:55]
	s_cbranch_execz .LBB251_1461
.LBB251_2635:
	v_cmp_ne_u16_e64 s[6:7], 0, v6
	s_andn2_b64 s[52:53], s[52:53], exec
	s_and_b64 s[6:7], s[6:7], exec
	v_mov_b32_e32 v5, 0
	s_or_b64 s[52:53], s[52:53], s[6:7]
	s_or_b64 exec, exec, s[54:55]
	s_and_saveexec_b64 s[54:55], s[52:53]
	s_cbranch_execnz .LBB251_1462
	s_branch .LBB251_1463
.LBB251_2636:
	s_andn2_saveexec_b64 s[52:53], s[52:53]
	s_cbranch_execz .LBB251_1824
.LBB251_2637:
	v_cmp_lt_i16_e32 vcc, 22, v18
	s_mov_b64 s[56:57], s[4:5]
	s_and_saveexec_b64 s[54:55], vcc
	s_xor_b64 s[54:55], exec, s[54:55]
	s_cbranch_execz .LBB251_2669
; %bb.2638:
	v_cmp_lt_i16_e32 vcc, 23, v18
	s_and_saveexec_b64 s[56:57], vcc
	s_xor_b64 s[56:57], exec, s[56:57]
	s_cbranch_execz .LBB251_2658
; %bb.2639:
	v_cmp_lt_i16_e32 vcc, 24, v18
	s_and_saveexec_b64 s[58:59], vcc
	s_xor_b64 s[58:59], exec, s[58:59]
	s_cbranch_execz .LBB251_2647
; %bb.2640:
	v_cndmask_b32_e64 v7, 0, 1.0, s[26:27]
	s_mov_b32 s33, 0x47800000
	v_cmp_gt_u32_e32 vcc, s33, v7
	v_mov_b32_e32 v8, 0x80
	s_and_saveexec_b64 s[60:61], vcc
	s_cbranch_execz .LBB251_2646
; %bb.2641:
	s_mov_b32 s33, 0x37ffffff
	v_cmp_lt_u32_e32 vcc, s33, v7
	s_mov_b64 s[62:63], 0
                                        ; implicit-def: $vgpr6
	s_and_saveexec_b64 s[64:65], vcc
	s_xor_b64 s[64:65], exec, s[64:65]
	s_cbranch_execz .LBB251_2812
; %bb.2642:
	s_waitcnt lgkmcnt(0)
	v_bfe_u32 v6, v7, 21, 1
	s_mov_b32 s33, 0x88fffff
	v_add3_u32 v6, v7, v6, s33
	s_mov_b64 s[62:63], exec
	v_lshrrev_b32_e32 v6, 21, v6
                                        ; implicit-def: $vgpr7
	s_andn2_saveexec_b64 s[64:65], s[64:65]
	s_cbranch_execnz .LBB251_2813
.LBB251_2643:
	s_or_b64 exec, exec, s[64:65]
	v_mov_b32_e32 v8, 0
	s_and_saveexec_b64 s[64:65], s[62:63]
	s_cbranch_execz .LBB251_2645
.LBB251_2644:
	s_waitcnt lgkmcnt(0)
	v_mov_b32_e32 v8, v6
.LBB251_2645:
	s_or_b64 exec, exec, s[64:65]
.LBB251_2646:
	s_or_b64 exec, exec, s[60:61]
	flat_store_byte v[0:1], v8
.LBB251_2647:
	s_andn2_saveexec_b64 s[58:59], s[58:59]
	s_cbranch_execz .LBB251_2657
; %bb.2648:
	s_waitcnt lgkmcnt(0)
	v_cndmask_b32_e64 v6, 0, 1.0, s[26:27]
	s_mov_b32 s33, 0x43f00000
	v_cmp_gt_u32_e32 vcc, s33, v6
                                        ; implicit-def: $vgpr7
	s_and_saveexec_b64 s[60:61], vcc
	s_xor_b64 s[60:61], exec, s[60:61]
	s_cbranch_execz .LBB251_2654
; %bb.2649:
	s_mov_b32 s33, 0x3c7fffff
	v_cmp_lt_u32_e32 vcc, s33, v6
                                        ; implicit-def: $vgpr7
	s_and_saveexec_b64 s[62:63], vcc
	s_xor_b64 s[62:63], exec, s[62:63]
; %bb.2650:
	v_bfe_u32 v7, v6, 20, 1
	s_mov_b32 s33, 0x407ffff
	v_add3_u32 v6, v6, v7, s33
	v_lshrrev_b32_e32 v7, 20, v6
	v_and_b32_e32 v6, 0xff00000, v6
	s_mov_b32 s33, 0x7f00000
	v_mov_b32_e32 v8, 0x7e
	v_cmp_ne_u32_e32 vcc, s33, v6
	v_cndmask_b32_e32 v7, v8, v7, vcc
                                        ; implicit-def: $vgpr6
; %bb.2651:
	s_andn2_saveexec_b64 s[62:63], s[62:63]
; %bb.2652:
	v_add_f32_e32 v7, 0x46800000, v6
; %bb.2653:
	s_or_b64 exec, exec, s[62:63]
                                        ; implicit-def: $vgpr6
.LBB251_2654:
	s_andn2_saveexec_b64 s[60:61], s[60:61]
; %bb.2655:
	s_mov_b32 s33, 0x7f800000
	v_mov_b32_e32 v7, 0x7e
	v_mov_b32_e32 v8, 0x7f
	v_cmp_lt_u32_e32 vcc, s33, v6
	v_cndmask_b32_e32 v7, v7, v8, vcc
; %bb.2656:
	s_or_b64 exec, exec, s[60:61]
	flat_store_byte v[0:1], v7
.LBB251_2657:
	s_or_b64 exec, exec, s[58:59]
.LBB251_2658:
	s_andn2_saveexec_b64 s[56:57], s[56:57]
	s_cbranch_execz .LBB251_2668
; %bb.2659:
	s_waitcnt lgkmcnt(0)
	v_cndmask_b32_e64 v6, 0, 1.0, s[26:27]
	s_mov_b32 s33, 0x47800000
	v_cmp_gt_u32_e32 vcc, s33, v6
                                        ; implicit-def: $vgpr7
	s_and_saveexec_b64 s[58:59], vcc
	s_xor_b64 s[58:59], exec, s[58:59]
	s_cbranch_execz .LBB251_2665
; %bb.2660:
	s_mov_b32 s33, 0x387fffff
	v_cmp_lt_u32_e32 vcc, s33, v6
                                        ; implicit-def: $vgpr7
	s_and_saveexec_b64 s[60:61], vcc
	s_xor_b64 s[60:61], exec, s[60:61]
; %bb.2661:
	v_bfe_u32 v7, v6, 21, 1
	s_mov_b32 s33, 0x80fffff
	v_add3_u32 v6, v6, v7, s33
	v_lshrrev_b32_e32 v7, 21, v6
                                        ; implicit-def: $vgpr6
; %bb.2662:
	s_andn2_saveexec_b64 s[60:61], s[60:61]
; %bb.2663:
	v_add_f32_e32 v7, 0x43000000, v6
; %bb.2664:
	s_or_b64 exec, exec, s[60:61]
                                        ; implicit-def: $vgpr6
.LBB251_2665:
	s_andn2_saveexec_b64 s[58:59], s[58:59]
; %bb.2666:
	s_mov_b32 s33, 0x7f800000
	v_mov_b32_e32 v7, 0x7c
	v_mov_b32_e32 v8, 0x7f
	v_cmp_lt_u32_e32 vcc, s33, v6
	v_cndmask_b32_e32 v7, v7, v8, vcc
; %bb.2667:
	s_or_b64 exec, exec, s[58:59]
	flat_store_byte v[0:1], v7
.LBB251_2668:
	s_or_b64 exec, exec, s[56:57]
	s_or_b64 s[56:57], s[4:5], exec
.LBB251_2669:
	s_or_saveexec_b64 s[54:55], s[54:55]
	s_mov_b64 s[60:61], 0
	s_mov_b64 s[58:59], s[48:49]
	s_xor_b64 exec, exec, s[54:55]
	s_cbranch_execz .LBB251_2677
; %bb.2670:
	v_cmp_lt_i16_e32 vcc, 14, v18
	s_mov_b64 s[58:59], s[48:49]
	s_mov_b64 s[60:61], s[56:57]
	s_and_saveexec_b64 s[62:63], vcc
	s_xor_b64 s[62:63], exec, s[62:63]
	s_cbranch_execz .LBB251_2674
; %bb.2671:
	v_cmp_eq_u16_e32 vcc, 15, v18
	s_mov_b64 s[58:59], -1
	s_mov_b64 s[64:65], s[56:57]
	s_and_saveexec_b64 s[60:61], vcc
	s_cbranch_execz .LBB251_2673
; %bb.2672:
	s_waitcnt lgkmcnt(0)
	v_cndmask_b32_e64 v6, 0, 1.0, s[26:27]
	v_bfe_u32 v7, v6, 16, 1
	s_movk_i32 s33, 0x7fff
	v_add3_u32 v6, v6, v7, s33
	flat_store_short_d16_hi v[0:1], v6
	s_or_b64 s[64:65], s[56:57], exec
	s_xor_b64 s[58:59], exec, -1
.LBB251_2673:
	s_or_b64 exec, exec, s[60:61]
	s_andn2_b64 s[60:61], s[56:57], exec
	s_and_b64 s[64:65], s[64:65], exec
	s_or_b64 s[60:61], s[60:61], s[64:65]
	s_andn2_b64 s[64:65], s[48:49], exec
	s_and_b64 s[58:59], s[58:59], exec
	s_or_b64 s[58:59], s[64:65], s[58:59]
.LBB251_2674:
	s_or_saveexec_b64 s[62:63], s[62:63]
	s_mov_b64 s[64:65], 0
	s_xor_b64 exec, exec, s[62:63]
; %bb.2675:
	v_cmp_ne_u16_e32 vcc, 11, v18
	s_andn2_b64 s[58:59], s[58:59], exec
	s_and_b64 s[66:67], vcc, exec
	s_mov_b64 s[64:65], exec
	s_or_b64 s[58:59], s[58:59], s[66:67]
; %bb.2676:
	s_or_b64 exec, exec, s[62:63]
	s_andn2_b64 s[56:57], s[56:57], exec
	s_and_b64 s[60:61], s[60:61], exec
	s_andn2_b64 s[62:63], s[48:49], exec
	s_and_b64 s[58:59], s[58:59], exec
	s_or_b64 s[56:57], s[56:57], s[60:61]
	s_and_b64 s[60:61], s[64:65], exec
	s_or_b64 s[58:59], s[62:63], s[58:59]
.LBB251_2677:
	s_or_b64 exec, exec, s[54:55]
	s_andn2_b64 s[4:5], s[4:5], exec
	s_and_b64 s[54:55], s[56:57], exec
	s_andn2_b64 s[48:49], s[48:49], exec
	s_and_b64 s[56:57], s[58:59], exec
	s_or_b64 s[4:5], s[4:5], s[54:55]
	s_and_b64 s[54:55], s[60:61], exec
	s_or_b64 s[48:49], s[48:49], s[56:57]
	s_or_b64 exec, exec, s[52:53]
	s_mov_b64 s[52:53], s[46:47]
	s_and_saveexec_b64 s[56:57], s[48:49]
	s_cbranch_execz .LBB251_1825
.LBB251_2678:
	s_trap 2
	s_or_b64 s[52:53], s[46:47], exec
	s_andn2_b64 s[54:55], s[54:55], exec
	s_or_b64 exec, exec, s[56:57]
	s_and_saveexec_b64 s[48:49], s[54:55]
	s_xor_b64 s[48:49], exec, s[48:49]
	s_cbranch_execnz .LBB251_1826
	s_branch .LBB251_1827
.LBB251_2679:
	s_andn2_saveexec_b64 s[46:47], s[6:7]
	s_cbranch_execz .LBB251_2230
.LBB251_2680:
	s_mov_b32 s6, 0x42800000
	v_add_f32_e64 v14, |v15|, s6
	v_and_b32_e32 v18, 0xff, v14
	v_cmp_ne_u32_e64 s[6:7], 0, v18
	s_andn2_b64 s[44:45], s[44:45], exec
	s_and_b64 s[6:7], s[6:7], exec
	s_or_b64 s[44:45], s[44:45], s[6:7]
	s_or_b64 exec, exec, s[46:47]
	v_mov_b32_e32 v14, 0
	s_and_saveexec_b64 s[6:7], s[44:45]
	s_cbranch_execnz .LBB251_2231
	s_branch .LBB251_2232
.LBB251_2681:
	s_andn2_saveexec_b64 s[48:49], s[6:7]
	s_cbranch_execz .LBB251_2250
.LBB251_2682:
	s_mov_b32 s6, 0x42800000
	v_add_f32_e64 v14, |v20|, s6
	v_and_b32_e32 v18, 0xff, v14
	v_cmp_ne_u32_e64 s[6:7], 0, v18
	s_andn2_b64 s[46:47], s[46:47], exec
	s_and_b64 s[6:7], s[6:7], exec
	s_or_b64 s[46:47], s[46:47], s[6:7]
	s_or_b64 exec, exec, s[48:49]
	v_mov_b32_e32 v14, 0
	s_and_saveexec_b64 s[6:7], s[46:47]
	s_cbranch_execnz .LBB251_2251
	s_branch .LBB251_2252
.LBB251_2683:
	s_andn2_saveexec_b64 s[50:51], s[6:7]
	s_cbranch_execz .LBB251_2302
.LBB251_2684:
	s_mov_b32 s6, 0x42800000
	v_add_f32_e64 v10, |v6|, s6
	v_and_b32_e32 v11, 0xff, v10
	v_cmp_ne_u32_e64 s[6:7], 0, v11
	s_andn2_b64 s[48:49], s[48:49], exec
	s_and_b64 s[6:7], s[6:7], exec
	s_or_b64 s[48:49], s[48:49], s[6:7]
	s_or_b64 exec, exec, s[50:51]
	v_mov_b32_e32 v10, 0
	s_and_saveexec_b64 s[6:7], s[48:49]
	s_cbranch_execnz .LBB251_2303
	s_branch .LBB251_2304
.LBB251_2685:
	s_andn2_saveexec_b64 s[22:23], s[22:23]
	s_cbranch_execz .LBB251_307
.LBB251_2686:
	v_add_f32_e32 v3, 0x42800000, v4
	v_and_b32_e32 v3, 0xff, v3
	v_cmp_ne_u32_e32 vcc, 0, v3
	s_andn2_b64 s[20:21], s[20:21], exec
	s_and_b64 s[24:25], vcc, exec
	s_or_b64 s[20:21], s[20:21], s[24:25]
	s_or_b64 exec, exec, s[22:23]
	v_mov_b32_e32 v5, 0
	s_and_saveexec_b64 s[22:23], s[20:21]
	s_cbranch_execnz .LBB251_308
	s_branch .LBB251_309
.LBB251_2687:
	s_andn2_saveexec_b64 s[46:47], s[6:7]
	s_cbranch_execz .LBB251_1002
.LBB251_2688:
	s_mov_b32 s6, 0x42800000
	v_add_f32_e64 v14, |v15|, s6
	v_and_b32_e32 v18, 0xff, v14
	v_cmp_ne_u32_e64 s[6:7], 0, v18
	s_andn2_b64 s[44:45], s[44:45], exec
	s_and_b64 s[6:7], s[6:7], exec
	s_or_b64 s[44:45], s[44:45], s[6:7]
	s_or_b64 exec, exec, s[46:47]
	v_mov_b32_e32 v14, 0
	s_and_saveexec_b64 s[6:7], s[44:45]
	s_cbranch_execnz .LBB251_1003
	s_branch .LBB251_1004
.LBB251_2689:
	s_andn2_saveexec_b64 s[50:51], s[6:7]
	s_cbranch_execz .LBB251_1012
.LBB251_2690:
	v_add_f32_e32 v14, 0x42800000, v18
	v_and_b32_e32 v15, 0xff, v14
	v_cmp_ne_u32_e64 s[6:7], 0, v15
	s_andn2_b64 s[48:49], s[48:49], exec
	s_and_b64 s[6:7], s[6:7], exec
	s_or_b64 s[48:49], s[48:49], s[6:7]
	s_or_b64 exec, exec, s[50:51]
	v_mov_b32_e32 v14, 0
	s_and_saveexec_b64 s[6:7], s[48:49]
	s_cbranch_execnz .LBB251_1013
	s_branch .LBB251_1014
.LBB251_2691:
	s_andn2_saveexec_b64 s[54:55], s[6:7]
	s_cbranch_execz .LBB251_1241
.LBB251_2692:
	v_add_f32_e32 v6, 0x42800000, v11
	v_and_b32_e32 v6, 0xff, v6
	v_cmp_ne_u32_e64 s[6:7], 0, v6
	s_andn2_b64 s[52:53], s[52:53], exec
	s_and_b64 s[6:7], s[6:7], exec
	s_or_b64 s[52:53], s[52:53], s[6:7]
	s_or_b64 exec, exec, s[54:55]
	v_mov_b32_e32 v10, 0
	s_and_saveexec_b64 s[6:7], s[52:53]
	s_cbranch_execnz .LBB251_1242
	s_branch .LBB251_1243
.LBB251_2693:
	s_andn2_saveexec_b64 s[54:55], s[6:7]
	s_cbranch_execz .LBB251_1253
.LBB251_2694:
	v_add_f32_e32 v6, 0x42800000, v11
	v_and_b32_e32 v6, 0xff, v6
	v_cmp_ne_u32_e64 s[6:7], 0, v6
	s_andn2_b64 s[52:53], s[52:53], exec
	s_and_b64 s[6:7], s[6:7], exec
	s_or_b64 s[52:53], s[52:53], s[6:7]
	s_or_b64 exec, exec, s[54:55]
	v_mov_b32_e32 v10, 0
	s_and_saveexec_b64 s[6:7], s[52:53]
	s_cbranch_execnz .LBB251_1254
	s_branch .LBB251_1255
.LBB251_2695:
	s_andn2_saveexec_b64 s[54:55], s[6:7]
	s_cbranch_execz .LBB251_1261
.LBB251_2696:
	v_add_f32_e32 v6, 0x42800000, v11
	v_and_b32_e32 v6, 0xff, v6
	v_cmp_ne_u32_e64 s[6:7], 0, v6
	s_andn2_b64 s[52:53], s[52:53], exec
	s_and_b64 s[6:7], s[6:7], exec
	s_or_b64 s[52:53], s[52:53], s[6:7]
	s_or_b64 exec, exec, s[54:55]
	v_mov_b32_e32 v10, 0
	s_and_saveexec_b64 s[6:7], s[52:53]
	s_cbranch_execnz .LBB251_1262
	s_branch .LBB251_1263
.LBB251_2697:
	s_andn2_saveexec_b64 s[52:53], s[6:7]
	s_cbranch_execz .LBB251_1300
.LBB251_2698:
	s_mov_b32 s6, 0x42800000
	v_add_f32_e64 v1, |v0|, s6
	v_and_b32_e32 v1, 0xff, v1
	v_cmp_ne_u32_e64 s[6:7], 0, v1
	s_andn2_b64 s[50:51], s[50:51], exec
	s_and_b64 s[6:7], s[6:7], exec
	s_or_b64 s[50:51], s[50:51], s[6:7]
	s_or_b64 exec, exec, s[52:53]
	v_mov_b32_e32 v10, 0
	s_and_saveexec_b64 s[6:7], s[50:51]
	s_cbranch_execnz .LBB251_1301
	s_branch .LBB251_1302
.LBB251_2699:
	s_andn2_saveexec_b64 s[52:53], s[6:7]
	s_cbranch_execz .LBB251_1308
.LBB251_2700:
	s_mov_b32 s6, 0x42800000
	v_add_f32_e64 v1, |v0|, s6
	v_and_b32_e32 v1, 0xff, v1
	v_cmp_ne_u32_e64 s[6:7], 0, v1
	s_andn2_b64 s[50:51], s[50:51], exec
	s_and_b64 s[6:7], s[6:7], exec
	s_or_b64 s[50:51], s[50:51], s[6:7]
	s_or_b64 exec, exec, s[52:53]
	v_mov_b32_e32 v10, 0
	s_and_saveexec_b64 s[6:7], s[50:51]
	s_cbranch_execnz .LBB251_1309
	s_branch .LBB251_1310
.LBB251_2701:
	s_andn2_saveexec_b64 s[52:53], s[6:7]
	s_cbranch_execz .LBB251_1328
.LBB251_2702:
	s_mov_b32 s6, 0x42800000
	v_add_f32_e64 v1, |v0|, s6
	v_and_b32_e32 v1, 0xff, v1
	v_cmp_ne_u32_e64 s[6:7], 0, v1
	s_andn2_b64 s[50:51], s[50:51], exec
	s_and_b64 s[6:7], s[6:7], exec
	s_or_b64 s[50:51], s[50:51], s[6:7]
	s_or_b64 exec, exec, s[52:53]
	v_mov_b32_e32 v10, 0
	s_and_saveexec_b64 s[6:7], s[50:51]
	s_cbranch_execnz .LBB251_1329
	s_branch .LBB251_1330
.LBB251_2703:
	s_andn2_saveexec_b64 s[52:53], s[6:7]
	s_cbranch_execz .LBB251_1336
.LBB251_2704:
	s_mov_b32 s6, 0x42800000
	v_add_f32_e64 v1, |v0|, s6
	v_and_b32_e32 v1, 0xff, v1
	v_cmp_ne_u32_e64 s[6:7], 0, v1
	s_andn2_b64 s[50:51], s[50:51], exec
	s_and_b64 s[6:7], s[6:7], exec
	s_or_b64 s[50:51], s[50:51], s[6:7]
	s_or_b64 exec, exec, s[52:53]
	v_mov_b32_e32 v10, 0
	s_and_saveexec_b64 s[6:7], s[50:51]
	s_cbranch_execnz .LBB251_1337
	s_branch .LBB251_1338
.LBB251_2705:
	s_andn2_saveexec_b64 s[52:53], s[6:7]
	s_cbranch_execz .LBB251_1358
.LBB251_2706:
	s_mov_b32 s6, 0x42800000
	v_add_f32_e64 v1, |v0|, s6
	v_and_b32_e32 v1, 0xff, v1
	v_cmp_ne_u32_e64 s[6:7], 0, v1
	s_andn2_b64 s[50:51], s[50:51], exec
	s_and_b64 s[6:7], s[6:7], exec
	s_or_b64 s[50:51], s[50:51], s[6:7]
	s_or_b64 exec, exec, s[52:53]
	v_mov_b32_e32 v10, 0
	s_and_saveexec_b64 s[6:7], s[50:51]
	s_cbranch_execnz .LBB251_1359
	s_branch .LBB251_1360
.LBB251_2707:
	s_andn2_saveexec_b64 s[52:53], s[6:7]
	s_cbranch_execz .LBB251_1366
.LBB251_2708:
	s_mov_b32 s6, 0x42800000
	v_add_f32_e64 v1, |v0|, s6
	v_and_b32_e32 v1, 0xff, v1
	v_cmp_ne_u32_e64 s[6:7], 0, v1
	s_andn2_b64 s[50:51], s[50:51], exec
	s_and_b64 s[6:7], s[6:7], exec
	s_or_b64 s[50:51], s[50:51], s[6:7]
	s_or_b64 exec, exec, s[52:53]
	v_mov_b32_e32 v10, 0
	s_and_saveexec_b64 s[6:7], s[50:51]
	s_cbranch_execnz .LBB251_1367
	s_branch .LBB251_1368
.LBB251_2709:
	s_andn2_saveexec_b64 s[56:57], s[6:7]
	s_cbranch_execz .LBB251_1466
.LBB251_2710:
	s_mov_b32 s6, 0x42800000
	v_add_f32_e64 v6, |v5|, s6
	v_and_b32_e32 v8, 0xff, v6
	v_cmp_ne_u32_e64 s[6:7], 0, v8
	s_andn2_b64 s[54:55], s[54:55], exec
	s_and_b64 s[6:7], s[6:7], exec
	s_or_b64 s[54:55], s[54:55], s[6:7]
	s_or_b64 exec, exec, s[56:57]
	v_mov_b32_e32 v6, 0
	s_and_saveexec_b64 s[6:7], s[54:55]
	s_cbranch_execnz .LBB251_1467
	s_branch .LBB251_1468
.LBB251_2711:
	s_andn2_saveexec_b64 s[54:55], s[6:7]
	s_cbranch_execz .LBB251_1507
.LBB251_2712:
	s_mov_b32 s6, 0x42800000
	v_add_f32_e64 v1, |v0|, s6
	v_and_b32_e32 v1, 0xff, v1
	v_cmp_ne_u32_e64 s[6:7], 0, v1
	s_andn2_b64 s[52:53], s[52:53], exec
	s_and_b64 s[6:7], s[6:7], exec
	s_or_b64 s[52:53], s[52:53], s[6:7]
	s_or_b64 exec, exec, s[54:55]
	v_mov_b32_e32 v6, 0
	s_and_saveexec_b64 s[6:7], s[52:53]
	s_cbranch_execnz .LBB251_1508
	s_branch .LBB251_1509
.LBB251_2713:
	s_andn2_saveexec_b64 s[54:55], s[6:7]
	s_cbranch_execz .LBB251_1535
.LBB251_2714:
	s_mov_b32 s6, 0x42800000
	v_add_f32_e64 v1, |v0|, s6
	v_and_b32_e32 v1, 0xff, v1
	v_cmp_ne_u32_e64 s[6:7], 0, v1
	s_andn2_b64 s[52:53], s[52:53], exec
	s_and_b64 s[6:7], s[6:7], exec
	s_or_b64 s[52:53], s[52:53], s[6:7]
	s_or_b64 exec, exec, s[54:55]
	v_mov_b32_e32 v6, 0
	s_and_saveexec_b64 s[6:7], s[52:53]
	s_cbranch_execnz .LBB251_1536
	s_branch .LBB251_1537
.LBB251_2715:
	s_andn2_saveexec_b64 s[54:55], s[6:7]
	s_cbranch_execz .LBB251_1565
.LBB251_2716:
	s_mov_b32 s6, 0x42800000
	v_add_f32_e64 v1, |v0|, s6
	v_and_b32_e32 v1, 0xff, v1
	v_cmp_ne_u32_e64 s[6:7], 0, v1
	s_andn2_b64 s[52:53], s[52:53], exec
	s_and_b64 s[6:7], s[6:7], exec
	s_or_b64 s[52:53], s[52:53], s[6:7]
	s_or_b64 exec, exec, s[54:55]
	v_mov_b32_e32 v6, 0
	s_and_saveexec_b64 s[6:7], s[52:53]
	s_cbranch_execnz .LBB251_1566
	s_branch .LBB251_1567
.LBB251_2717:
	s_andn2_saveexec_b64 s[54:55], s[6:7]
	s_cbranch_execz .LBB251_1575
.LBB251_2718:
	s_mov_b32 s6, 0x42800000
	v_add_f32_e64 v1, |v0|, s6
	v_and_b32_e32 v1, 0xff, v1
	v_cmp_ne_u32_e64 s[6:7], 0, v1
	s_andn2_b64 s[52:53], s[52:53], exec
	s_and_b64 s[6:7], s[6:7], exec
	s_or_b64 s[52:53], s[52:53], s[6:7]
	s_or_b64 exec, exec, s[54:55]
	v_mov_b32_e32 v6, 0
	s_and_saveexec_b64 s[6:7], s[52:53]
	s_cbranch_execnz .LBB251_1576
	s_branch .LBB251_1577
.LBB251_2719:
	s_andn2_saveexec_b64 s[54:55], s[6:7]
	s_cbranch_execz .LBB251_1583
.LBB251_2720:
	v_add_f32_e32 v0, 0x42800000, v1
	v_and_b32_e32 v0, 0xff, v0
	v_cmp_ne_u32_e64 s[6:7], 0, v0
	s_andn2_b64 s[52:53], s[52:53], exec
	s_and_b64 s[6:7], s[6:7], exec
	s_or_b64 s[52:53], s[52:53], s[6:7]
	s_or_b64 exec, exec, s[54:55]
	v_mov_b32_e32 v6, 0
	s_and_saveexec_b64 s[6:7], s[52:53]
	s_cbranch_execnz .LBB251_1584
	s_branch .LBB251_1585
.LBB251_2721:
	s_andn2_saveexec_b64 s[52:53], s[52:53]
	s_cbranch_execz .LBB251_1908
.LBB251_2722:
	v_cmp_lt_i16_e32 vcc, 22, v18
	s_and_saveexec_b64 s[54:55], vcc
	s_xor_b64 s[54:55], exec, s[54:55]
	s_cbranch_execz .LBB251_2754
; %bb.2723:
	v_cmp_lt_i16_e32 vcc, 23, v18
	s_and_saveexec_b64 s[56:57], vcc
	s_xor_b64 s[56:57], exec, s[56:57]
	s_cbranch_execz .LBB251_2743
; %bb.2724:
	;; [unrolled: 5-line block ×3, first 2 shown]
	v_cndmask_b32_e64 v3, 0, 1.0, s[40:41]
	s_mov_b32 s33, 0x47800000
	v_cmp_gt_u32_e32 vcc, s33, v3
	v_mov_b32_e32 v4, 0x80
	s_and_saveexec_b64 s[60:61], vcc
	s_cbranch_execz .LBB251_2731
; %bb.2726:
	s_mov_b32 s33, 0x37ffffff
	v_cmp_lt_u32_e32 vcc, s33, v3
	s_mov_b64 s[62:63], 0
                                        ; implicit-def: $vgpr2
	s_and_saveexec_b64 s[64:65], vcc
	s_xor_b64 s[64:65], exec, s[64:65]
	s_cbranch_execz .LBB251_2814
; %bb.2727:
	v_bfe_u32 v2, v3, 21, 1
	s_mov_b32 s33, 0x88fffff
	v_add3_u32 v2, v3, v2, s33
	s_mov_b64 s[62:63], exec
	v_lshrrev_b32_e32 v2, 21, v2
                                        ; implicit-def: $vgpr3
	s_andn2_saveexec_b64 s[64:65], s[64:65]
	s_cbranch_execnz .LBB251_2815
.LBB251_2728:
	s_or_b64 exec, exec, s[64:65]
	v_mov_b32_e32 v4, 0
	s_and_saveexec_b64 s[64:65], s[62:63]
.LBB251_2729:
	v_mov_b32_e32 v4, v2
.LBB251_2730:
	s_or_b64 exec, exec, s[64:65]
.LBB251_2731:
	s_or_b64 exec, exec, s[60:61]
	flat_store_byte v[0:1], v4
.LBB251_2732:
	s_andn2_saveexec_b64 s[58:59], s[58:59]
	s_cbranch_execz .LBB251_2742
; %bb.2733:
	v_cndmask_b32_e64 v2, 0, 1.0, s[40:41]
	s_mov_b32 s33, 0x43f00000
	v_cmp_gt_u32_e32 vcc, s33, v2
                                        ; implicit-def: $vgpr3
	s_and_saveexec_b64 s[60:61], vcc
	s_xor_b64 s[60:61], exec, s[60:61]
	s_cbranch_execz .LBB251_2739
; %bb.2734:
	s_mov_b32 s33, 0x3c7fffff
	v_cmp_lt_u32_e32 vcc, s33, v2
                                        ; implicit-def: $vgpr3
	s_and_saveexec_b64 s[62:63], vcc
	s_xor_b64 s[62:63], exec, s[62:63]
; %bb.2735:
	v_bfe_u32 v3, v2, 20, 1
	s_mov_b32 s33, 0x407ffff
	v_add3_u32 v2, v2, v3, s33
	v_lshrrev_b32_e32 v3, 20, v2
	v_and_b32_e32 v2, 0xff00000, v2
	s_mov_b32 s33, 0x7f00000
	v_mov_b32_e32 v4, 0x7e
	v_cmp_ne_u32_e32 vcc, s33, v2
	v_cndmask_b32_e32 v3, v4, v3, vcc
                                        ; implicit-def: $vgpr2
; %bb.2736:
	s_andn2_saveexec_b64 s[62:63], s[62:63]
; %bb.2737:
	v_add_f32_e32 v3, 0x46800000, v2
; %bb.2738:
	s_or_b64 exec, exec, s[62:63]
                                        ; implicit-def: $vgpr2
.LBB251_2739:
	s_andn2_saveexec_b64 s[60:61], s[60:61]
; %bb.2740:
	s_mov_b32 s33, 0x7f800000
	v_mov_b32_e32 v3, 0x7e
	v_mov_b32_e32 v4, 0x7f
	v_cmp_lt_u32_e32 vcc, s33, v2
	v_cndmask_b32_e32 v3, v3, v4, vcc
; %bb.2741:
	s_or_b64 exec, exec, s[60:61]
	flat_store_byte v[0:1], v3
.LBB251_2742:
	s_or_b64 exec, exec, s[58:59]
.LBB251_2743:
	s_andn2_saveexec_b64 s[56:57], s[56:57]
	s_cbranch_execz .LBB251_2753
; %bb.2744:
	v_cndmask_b32_e64 v2, 0, 1.0, s[40:41]
	s_mov_b32 s33, 0x47800000
	v_cmp_gt_u32_e32 vcc, s33, v2
                                        ; implicit-def: $vgpr3
	s_and_saveexec_b64 s[58:59], vcc
	s_xor_b64 s[58:59], exec, s[58:59]
	s_cbranch_execz .LBB251_2750
; %bb.2745:
	s_mov_b32 s33, 0x387fffff
	v_cmp_lt_u32_e32 vcc, s33, v2
                                        ; implicit-def: $vgpr3
	s_and_saveexec_b64 s[60:61], vcc
	s_xor_b64 s[60:61], exec, s[60:61]
; %bb.2746:
	v_bfe_u32 v3, v2, 21, 1
	s_mov_b32 s33, 0x80fffff
	v_add3_u32 v2, v2, v3, s33
	v_lshrrev_b32_e32 v3, 21, v2
                                        ; implicit-def: $vgpr2
; %bb.2747:
	s_andn2_saveexec_b64 s[60:61], s[60:61]
; %bb.2748:
	v_add_f32_e32 v3, 0x43000000, v2
; %bb.2749:
	s_or_b64 exec, exec, s[60:61]
                                        ; implicit-def: $vgpr2
.LBB251_2750:
	s_andn2_saveexec_b64 s[58:59], s[58:59]
; %bb.2751:
	s_mov_b32 s33, 0x7f800000
	v_mov_b32_e32 v3, 0x7c
	v_mov_b32_e32 v4, 0x7f
	v_cmp_lt_u32_e32 vcc, s33, v2
	v_cndmask_b32_e32 v3, v3, v4, vcc
; %bb.2752:
	s_or_b64 exec, exec, s[58:59]
	flat_store_byte v[0:1], v3
.LBB251_2753:
	s_or_b64 exec, exec, s[56:57]
.LBB251_2754:
	s_or_saveexec_b64 s[54:55], s[54:55]
	s_mov_b64 s[58:59], 0
	s_mov_b64 s[56:57], s[4:5]
	s_xor_b64 exec, exec, s[54:55]
	s_cbranch_execz .LBB251_2762
; %bb.2755:
	v_cmp_lt_i16_e32 vcc, 14, v18
	s_mov_b64 s[56:57], s[4:5]
	s_and_saveexec_b64 s[58:59], vcc
	s_xor_b64 s[58:59], exec, s[58:59]
	s_cbranch_execz .LBB251_2759
; %bb.2756:
	v_cmp_eq_u16_e32 vcc, 15, v18
	s_mov_b64 s[60:61], -1
	s_and_saveexec_b64 s[56:57], vcc
	s_cbranch_execz .LBB251_2758
; %bb.2757:
	v_cndmask_b32_e64 v2, 0, 1.0, s[40:41]
	v_bfe_u32 v3, v2, 16, 1
	s_movk_i32 s33, 0x7fff
	v_add3_u32 v2, v2, v3, s33
	flat_store_short_d16_hi v[0:1], v2
	s_xor_b64 s[60:61], exec, -1
.LBB251_2758:
	s_or_b64 exec, exec, s[56:57]
	s_andn2_b64 s[56:57], s[4:5], exec
	s_and_b64 s[60:61], s[60:61], exec
	s_or_b64 s[56:57], s[56:57], s[60:61]
.LBB251_2759:
	s_or_saveexec_b64 s[58:59], s[58:59]
	s_mov_b64 s[60:61], 0
	s_xor_b64 exec, exec, s[58:59]
; %bb.2760:
	v_cmp_ne_u16_e32 vcc, 11, v18
	s_andn2_b64 s[56:57], s[56:57], exec
	s_and_b64 s[62:63], vcc, exec
	s_mov_b64 s[60:61], exec
	s_or_b64 s[56:57], s[56:57], s[62:63]
; %bb.2761:
	s_or_b64 exec, exec, s[58:59]
	s_and_b64 s[58:59], s[60:61], exec
	s_andn2_b64 s[60:61], s[4:5], exec
	s_and_b64 s[56:57], s[56:57], exec
	s_or_b64 s[56:57], s[60:61], s[56:57]
.LBB251_2762:
	s_or_b64 exec, exec, s[54:55]
	s_andn2_b64 s[4:5], s[4:5], exec
	s_and_b64 s[56:57], s[56:57], exec
	s_and_b64 s[54:55], s[58:59], exec
	s_or_b64 s[4:5], s[4:5], s[56:57]
	s_or_b64 exec, exec, s[52:53]
	s_mov_b64 s[56:57], s[48:49]
	s_and_saveexec_b64 s[52:53], s[4:5]
	s_cbranch_execz .LBB251_1909
.LBB251_2763:
	s_andn2_b64 s[54:55], s[54:55], exec
	s_or_b64 s[56:57], s[48:49], exec
	s_trap 2
	s_branch .LBB251_1909
.LBB251_2764:
	s_andn2_saveexec_b64 s[52:53], s[6:7]
	s_cbranch_execz .LBB251_2293
.LBB251_2765:
	s_mov_b32 s6, 0x42800000
	v_add_f32_e64 v10, |v6|, s6
	v_and_b32_e32 v11, 0xff, v10
	v_cmp_ne_u32_e64 s[6:7], 0, v11
	s_andn2_b64 s[50:51], s[50:51], exec
	s_and_b64 s[6:7], s[6:7], exec
	s_or_b64 s[50:51], s[50:51], s[6:7]
	s_or_b64 exec, exec, s[52:53]
	v_mov_b32_e32 v10, 0
	s_and_saveexec_b64 s[6:7], s[50:51]
	s_cbranch_execnz .LBB251_2294
	s_branch .LBB251_2295
.LBB251_2766:
	s_andn2_saveexec_b64 s[54:55], s[6:7]
	s_cbranch_execz .LBB251_2313
.LBB251_2767:
	s_mov_b32 s6, 0x42800000
	v_add_f32_e64 v10, |v14|, s6
	v_and_b32_e32 v11, 0xff, v10
	v_cmp_ne_u32_e64 s[6:7], 0, v11
	s_andn2_b64 s[52:53], s[52:53], exec
	s_and_b64 s[6:7], s[6:7], exec
	s_or_b64 s[52:53], s[52:53], s[6:7]
	s_or_b64 exec, exec, s[54:55]
	v_mov_b32_e32 v10, 0
	s_and_saveexec_b64 s[6:7], s[52:53]
	s_cbranch_execnz .LBB251_2314
	s_branch .LBB251_2315
.LBB251_2768:
	s_andn2_saveexec_b64 s[54:55], s[6:7]
	s_cbranch_execz .LBB251_2379
.LBB251_2769:
	s_mov_b32 s6, 0x42800000
	v_add_f32_e64 v6, |v5|, s6
	v_and_b32_e32 v8, 0xff, v6
	v_cmp_ne_u32_e64 s[6:7], 0, v8
	s_andn2_b64 s[52:53], s[52:53], exec
	s_and_b64 s[6:7], s[6:7], exec
	s_or_b64 s[52:53], s[52:53], s[6:7]
	s_or_b64 exec, exec, s[54:55]
	v_mov_b32_e32 v6, 0
	s_and_saveexec_b64 s[6:7], s[52:53]
	s_cbranch_execnz .LBB251_2380
	s_branch .LBB251_2381
.LBB251_2770:
	s_andn2_saveexec_b64 s[52:53], s[6:7]
	s_cbranch_execz .LBB251_1220
.LBB251_2771:
	s_mov_b32 s6, 0x42800000
	v_add_f32_e64 v10, |v6|, s6
	v_and_b32_e32 v11, 0xff, v10
	v_cmp_ne_u32_e64 s[6:7], 0, v11
	s_andn2_b64 s[50:51], s[50:51], exec
	s_and_b64 s[6:7], s[6:7], exec
	s_or_b64 s[50:51], s[50:51], s[6:7]
	s_or_b64 exec, exec, s[52:53]
	v_mov_b32_e32 v10, 0
	s_and_saveexec_b64 s[6:7], s[50:51]
	s_cbranch_execnz .LBB251_1221
	s_branch .LBB251_1222
.LBB251_2772:
	s_andn2_saveexec_b64 s[56:57], s[6:7]
	s_cbranch_execz .LBB251_1230
.LBB251_2773:
	v_add_f32_e32 v6, 0x42800000, v11
	v_and_b32_e32 v6, 0xff, v6
	v_cmp_ne_u32_e64 s[6:7], 0, v6
	s_andn2_b64 s[54:55], s[54:55], exec
	s_and_b64 s[6:7], s[6:7], exec
	s_or_b64 s[54:55], s[54:55], s[6:7]
	s_or_b64 exec, exec, s[56:57]
	v_mov_b32_e32 v10, 0
	s_and_saveexec_b64 s[6:7], s[54:55]
	s_cbranch_execnz .LBB251_1231
	s_branch .LBB251_1232
.LBB251_2774:
	s_andn2_saveexec_b64 s[58:59], s[6:7]
	s_cbranch_execz .LBB251_1431
.LBB251_2775:
	v_add_f32_e32 v5, 0x42800000, v8
	v_and_b32_e32 v5, 0xff, v5
	v_cmp_ne_u32_e64 s[6:7], 0, v5
	s_andn2_b64 s[56:57], s[56:57], exec
	s_and_b64 s[6:7], s[6:7], exec
	s_or_b64 s[56:57], s[56:57], s[6:7]
	s_or_b64 exec, exec, s[58:59]
	v_mov_b32_e32 v6, 0
	s_and_saveexec_b64 s[6:7], s[56:57]
	s_cbranch_execnz .LBB251_1432
	s_branch .LBB251_1433
.LBB251_2776:
	s_andn2_saveexec_b64 s[58:59], s[6:7]
	s_cbranch_execz .LBB251_1443
.LBB251_2777:
	v_add_f32_e32 v5, 0x42800000, v8
	v_and_b32_e32 v5, 0xff, v5
	v_cmp_ne_u32_e64 s[6:7], 0, v5
	s_andn2_b64 s[56:57], s[56:57], exec
	s_and_b64 s[6:7], s[6:7], exec
	s_or_b64 s[56:57], s[56:57], s[6:7]
	s_or_b64 exec, exec, s[58:59]
	v_mov_b32_e32 v6, 0
	s_and_saveexec_b64 s[6:7], s[56:57]
	s_cbranch_execnz .LBB251_1444
	s_branch .LBB251_1445
.LBB251_2778:
	s_andn2_saveexec_b64 s[58:59], s[6:7]
	s_cbranch_execz .LBB251_1451
.LBB251_2779:
	v_add_f32_e32 v5, 0x42800000, v8
	v_and_b32_e32 v5, 0xff, v5
	v_cmp_ne_u32_e64 s[6:7], 0, v5
	s_andn2_b64 s[56:57], s[56:57], exec
	s_and_b64 s[6:7], s[6:7], exec
	s_or_b64 s[56:57], s[56:57], s[6:7]
	s_or_b64 exec, exec, s[58:59]
	v_mov_b32_e32 v6, 0
	s_and_saveexec_b64 s[6:7], s[56:57]
	s_cbranch_execnz .LBB251_1452
	s_branch .LBB251_1453
.LBB251_2780:
	s_andn2_saveexec_b64 s[56:57], s[6:7]
	s_cbranch_execz .LBB251_1490
.LBB251_2781:
	s_mov_b32 s6, 0x42800000
	v_add_f32_e64 v1, |v0|, s6
	v_and_b32_e32 v1, 0xff, v1
	v_cmp_ne_u32_e64 s[6:7], 0, v1
	s_andn2_b64 s[54:55], s[54:55], exec
	s_and_b64 s[6:7], s[6:7], exec
	s_or_b64 s[54:55], s[54:55], s[6:7]
	s_or_b64 exec, exec, s[56:57]
	v_mov_b32_e32 v6, 0
	s_and_saveexec_b64 s[6:7], s[54:55]
	s_cbranch_execnz .LBB251_1491
	s_branch .LBB251_1492
.LBB251_2782:
	s_andn2_saveexec_b64 s[56:57], s[6:7]
	s_cbranch_execz .LBB251_1498
.LBB251_2783:
	s_mov_b32 s6, 0x42800000
	v_add_f32_e64 v1, |v0|, s6
	v_and_b32_e32 v1, 0xff, v1
	v_cmp_ne_u32_e64 s[6:7], 0, v1
	s_andn2_b64 s[54:55], s[54:55], exec
	s_and_b64 s[6:7], s[6:7], exec
	s_or_b64 s[54:55], s[54:55], s[6:7]
	s_or_b64 exec, exec, s[56:57]
	v_mov_b32_e32 v6, 0
	s_and_saveexec_b64 s[6:7], s[54:55]
	s_cbranch_execnz .LBB251_1499
	s_branch .LBB251_1500
.LBB251_2784:
	s_andn2_saveexec_b64 s[56:57], s[6:7]
	s_cbranch_execz .LBB251_1518
.LBB251_2785:
	s_mov_b32 s6, 0x42800000
	v_add_f32_e64 v1, |v0|, s6
	v_and_b32_e32 v1, 0xff, v1
	v_cmp_ne_u32_e64 s[6:7], 0, v1
	s_andn2_b64 s[54:55], s[54:55], exec
	s_and_b64 s[6:7], s[6:7], exec
	s_or_b64 s[54:55], s[54:55], s[6:7]
	s_or_b64 exec, exec, s[56:57]
	v_mov_b32_e32 v6, 0
	s_and_saveexec_b64 s[6:7], s[54:55]
	s_cbranch_execnz .LBB251_1519
	s_branch .LBB251_1520
.LBB251_2786:
	s_andn2_saveexec_b64 s[56:57], s[6:7]
	s_cbranch_execz .LBB251_1526
.LBB251_2787:
	s_mov_b32 s6, 0x42800000
	v_add_f32_e64 v1, |v0|, s6
	v_and_b32_e32 v1, 0xff, v1
	v_cmp_ne_u32_e64 s[6:7], 0, v1
	s_andn2_b64 s[54:55], s[54:55], exec
	s_and_b64 s[6:7], s[6:7], exec
	s_or_b64 s[54:55], s[54:55], s[6:7]
	s_or_b64 exec, exec, s[56:57]
	v_mov_b32_e32 v6, 0
	s_and_saveexec_b64 s[6:7], s[54:55]
	s_cbranch_execnz .LBB251_1527
	s_branch .LBB251_1528
.LBB251_2788:
	s_andn2_saveexec_b64 s[56:57], s[6:7]
	s_cbranch_execz .LBB251_1548
.LBB251_2789:
	s_mov_b32 s6, 0x42800000
	v_add_f32_e64 v1, |v0|, s6
	v_and_b32_e32 v1, 0xff, v1
	v_cmp_ne_u32_e64 s[6:7], 0, v1
	s_andn2_b64 s[54:55], s[54:55], exec
	s_and_b64 s[6:7], s[6:7], exec
	s_or_b64 s[54:55], s[54:55], s[6:7]
	s_or_b64 exec, exec, s[56:57]
	v_mov_b32_e32 v6, 0
	s_and_saveexec_b64 s[6:7], s[54:55]
	s_cbranch_execnz .LBB251_1549
	s_branch .LBB251_1550
.LBB251_2790:
	s_andn2_saveexec_b64 s[56:57], s[6:7]
	s_cbranch_execz .LBB251_1556
.LBB251_2791:
	s_mov_b32 s6, 0x42800000
	v_add_f32_e64 v1, |v0|, s6
	v_and_b32_e32 v1, 0xff, v1
	v_cmp_ne_u32_e64 s[6:7], 0, v1
	s_andn2_b64 s[54:55], s[54:55], exec
	s_and_b64 s[6:7], s[6:7], exec
	s_or_b64 s[54:55], s[54:55], s[6:7]
	s_or_b64 exec, exec, s[56:57]
	v_mov_b32_e32 v6, 0
	s_and_saveexec_b64 s[6:7], s[54:55]
	s_cbranch_execnz .LBB251_1557
	s_branch .LBB251_1558
.LBB251_2792:
	s_andn2_saveexec_b64 s[60:61], s[4:5]
	s_cbranch_execz .LBB251_1650
.LBB251_2793:
	s_waitcnt lgkmcnt(0)
	v_add_f32_e32 v6, 0x46000000, v7
	v_and_b32_e32 v6, 0xff, v6
	v_cmp_ne_u32_e64 s[4:5], 0, v6
	s_andn2_b64 s[58:59], s[58:59], exec
	s_and_b64 s[4:5], s[4:5], exec
	s_or_b64 s[58:59], s[58:59], s[4:5]
	s_or_b64 exec, exec, s[60:61]
	v_mov_b32_e32 v8, 0
	s_and_saveexec_b64 s[4:5], s[58:59]
	s_cbranch_execnz .LBB251_1651
	s_branch .LBB251_1652
.LBB251_2794:
	s_andn2_saveexec_b64 s[56:57], s[6:7]
	s_cbranch_execz .LBB251_2370
.LBB251_2795:
	s_mov_b32 s6, 0x42800000
	v_add_f32_e64 v6, |v5|, s6
	v_and_b32_e32 v8, 0xff, v6
	v_cmp_ne_u32_e64 s[6:7], 0, v8
	s_andn2_b64 s[54:55], s[54:55], exec
	s_and_b64 s[6:7], s[6:7], exec
	s_or_b64 s[54:55], s[54:55], s[6:7]
	s_or_b64 exec, exec, s[56:57]
	v_mov_b32_e32 v6, 0
	s_and_saveexec_b64 s[6:7], s[54:55]
	s_cbranch_execnz .LBB251_2371
	s_branch .LBB251_2372
.LBB251_2796:
	s_andn2_saveexec_b64 s[58:59], s[6:7]
	s_cbranch_execz .LBB251_2390
.LBB251_2797:
	s_mov_b32 s6, 0x42800000
	v_add_f32_e64 v6, |v9|, s6
	v_and_b32_e32 v8, 0xff, v6
	v_cmp_ne_u32_e64 s[6:7], 0, v8
	s_andn2_b64 s[56:57], s[56:57], exec
	s_and_b64 s[6:7], s[6:7], exec
	s_or_b64 s[56:57], s[56:57], s[6:7]
	s_or_b64 exec, exec, s[58:59]
	v_mov_b32_e32 v6, 0
	s_and_saveexec_b64 s[6:7], s[56:57]
	s_cbranch_execnz .LBB251_2391
	s_branch .LBB251_2392
.LBB251_2798:
	s_andn2_saveexec_b64 s[56:57], s[6:7]
	s_cbranch_execz .LBB251_1410
.LBB251_2799:
	s_mov_b32 s6, 0x42800000
	v_add_f32_e64 v6, |v5|, s6
	v_and_b32_e32 v8, 0xff, v6
	v_cmp_ne_u32_e64 s[6:7], 0, v8
	s_andn2_b64 s[54:55], s[54:55], exec
	s_and_b64 s[6:7], s[6:7], exec
	s_or_b64 s[54:55], s[54:55], s[6:7]
	s_or_b64 exec, exec, s[56:57]
	v_mov_b32_e32 v6, 0
	s_and_saveexec_b64 s[6:7], s[54:55]
	s_cbranch_execnz .LBB251_1411
	s_branch .LBB251_1412
.LBB251_2800:
	s_andn2_saveexec_b64 s[60:61], s[6:7]
	s_cbranch_execz .LBB251_1420
.LBB251_2801:
	v_add_f32_e32 v5, 0x42800000, v8
	v_and_b32_e32 v5, 0xff, v5
	v_cmp_ne_u32_e64 s[6:7], 0, v5
	s_andn2_b64 s[58:59], s[58:59], exec
	s_and_b64 s[6:7], s[6:7], exec
	s_or_b64 s[58:59], s[58:59], s[6:7]
	s_or_b64 exec, exec, s[60:61]
	v_mov_b32_e32 v6, 0
	s_and_saveexec_b64 s[6:7], s[58:59]
	s_cbranch_execnz .LBB251_1421
	s_branch .LBB251_1422
.LBB251_2802:
	s_andn2_saveexec_b64 s[62:63], s[62:63]
	s_cbranch_execz .LBB251_1734
.LBB251_2803:
	s_waitcnt lgkmcnt(0)
	v_add_f32_e32 v6, 0x46000000, v7
	v_and_b32_e32 v6, 0xff, v6
	v_cmp_ne_u32_e32 vcc, 0, v6
	s_andn2_b64 s[60:61], s[60:61], exec
	s_and_b64 s[64:65], vcc, exec
	s_or_b64 s[60:61], s[60:61], s[64:65]
	s_or_b64 exec, exec, s[62:63]
	v_mov_b32_e32 v8, 0
	s_and_saveexec_b64 s[62:63], s[60:61]
	s_cbranch_execnz .LBB251_1735
	s_branch .LBB251_1736
.LBB251_2804:
	s_andn2_saveexec_b64 s[60:61], s[4:5]
	s_cbranch_execz .LBB251_2463
.LBB251_2805:
	s_waitcnt lgkmcnt(0)
	v_add_f32_e32 v6, 0x42800000, v7
	v_and_b32_e32 v6, 0xff, v6
	v_cmp_ne_u32_e64 s[4:5], 0, v6
	s_andn2_b64 s[58:59], s[58:59], exec
	s_and_b64 s[4:5], s[4:5], exec
	s_or_b64 s[58:59], s[58:59], s[4:5]
	s_or_b64 exec, exec, s[60:61]
	v_mov_b32_e32 v8, 0
	s_and_saveexec_b64 s[4:5], s[58:59]
	s_cbranch_execnz .LBB251_2464
	s_branch .LBB251_2465
.LBB251_2806:
	s_andn2_saveexec_b64 s[64:65], s[64:65]
	s_cbranch_execz .LBB251_1818
.LBB251_2807:
	s_waitcnt lgkmcnt(0)
	v_add_f32_e32 v6, 0x46000000, v7
	v_and_b32_e32 v6, 0xff, v6
	v_cmp_ne_u32_e32 vcc, 0, v6
	s_andn2_b64 s[62:63], s[62:63], exec
	s_and_b64 s[66:67], vcc, exec
	s_or_b64 s[62:63], s[62:63], s[66:67]
	s_or_b64 exec, exec, s[64:65]
	v_mov_b32_e32 v8, 0
	s_and_saveexec_b64 s[64:65], s[62:63]
	s_cbranch_execnz .LBB251_1819
	s_branch .LBB251_1820
.LBB251_2808:
	s_andn2_saveexec_b64 s[62:63], s[62:63]
	s_cbranch_execz .LBB251_2554
.LBB251_2809:
	s_waitcnt lgkmcnt(0)
	v_add_f32_e32 v6, 0x42800000, v7
	v_and_b32_e32 v6, 0xff, v6
	v_cmp_ne_u32_e32 vcc, 0, v6
	s_andn2_b64 s[60:61], s[60:61], exec
	s_and_b64 s[64:65], vcc, exec
	s_or_b64 s[60:61], s[60:61], s[64:65]
	s_or_b64 exec, exec, s[62:63]
	v_mov_b32_e32 v8, 0
	s_and_saveexec_b64 s[62:63], s[60:61]
	s_cbranch_execnz .LBB251_2555
	s_branch .LBB251_2556
.LBB251_2810:
	s_andn2_saveexec_b64 s[64:65], s[64:65]
	s_cbranch_execz .LBB251_1902
.LBB251_2811:
	v_add_f32_e32 v2, 0x46000000, v3
	v_and_b32_e32 v2, 0xff, v2
	v_cmp_ne_u32_e32 vcc, 0, v2
	s_andn2_b64 s[62:63], s[62:63], exec
	s_and_b64 s[66:67], vcc, exec
	s_or_b64 s[62:63], s[62:63], s[66:67]
	s_or_b64 exec, exec, s[64:65]
	v_mov_b32_e32 v4, 0
	s_and_saveexec_b64 s[64:65], s[62:63]
	s_cbranch_execnz .LBB251_1903
	s_branch .LBB251_1904
.LBB251_2812:
	s_andn2_saveexec_b64 s[64:65], s[64:65]
	s_cbranch_execz .LBB251_2643
.LBB251_2813:
	s_waitcnt lgkmcnt(0)
	v_add_f32_e32 v6, 0x42800000, v7
	v_and_b32_e32 v6, 0xff, v6
	v_cmp_ne_u32_e32 vcc, 0, v6
	s_andn2_b64 s[62:63], s[62:63], exec
	s_and_b64 s[66:67], vcc, exec
	s_or_b64 s[62:63], s[62:63], s[66:67]
	s_or_b64 exec, exec, s[64:65]
	v_mov_b32_e32 v8, 0
	s_and_saveexec_b64 s[64:65], s[62:63]
	s_cbranch_execnz .LBB251_2644
	s_branch .LBB251_2645
.LBB251_2814:
	s_andn2_saveexec_b64 s[64:65], s[64:65]
	s_cbranch_execz .LBB251_2728
.LBB251_2815:
	v_add_f32_e32 v2, 0x42800000, v3
	v_and_b32_e32 v2, 0xff, v2
	v_cmp_ne_u32_e32 vcc, 0, v2
	s_andn2_b64 s[62:63], s[62:63], exec
	s_and_b64 s[66:67], vcc, exec
	s_or_b64 s[62:63], s[62:63], s[66:67]
	s_or_b64 exec, exec, s[64:65]
	v_mov_b32_e32 v4, 0
	s_and_saveexec_b64 s[64:65], s[62:63]
	s_cbranch_execnz .LBB251_2729
	s_branch .LBB251_2730
	.section	.rodata,"a",@progbits
	.p2align	6, 0x0
	.amdhsa_kernel _ZN2at6native32elementwise_kernel_manual_unrollILi128ELi4EZNS0_15gpu_kernel_implINS0_13BinaryFunctorIN3c1015Float8_e5m2fnuzES5_bNS0_12_GLOBAL__N_116CompareEqFunctorIS5_EEEEEEvRNS_18TensorIteratorBaseERKT_EUlibE_EEviT1_
		.amdhsa_group_segment_fixed_size 0
		.amdhsa_private_segment_fixed_size 64
		.amdhsa_kernarg_size 56
		.amdhsa_user_sgpr_count 8
		.amdhsa_user_sgpr_private_segment_buffer 1
		.amdhsa_user_sgpr_dispatch_ptr 0
		.amdhsa_user_sgpr_queue_ptr 0
		.amdhsa_user_sgpr_kernarg_segment_ptr 1
		.amdhsa_user_sgpr_dispatch_id 0
		.amdhsa_user_sgpr_flat_scratch_init 1
		.amdhsa_user_sgpr_private_segment_size 0
		.amdhsa_uses_dynamic_stack 0
		.amdhsa_system_sgpr_private_segment_wavefront_offset 1
		.amdhsa_system_sgpr_workgroup_id_x 1
		.amdhsa_system_sgpr_workgroup_id_y 0
		.amdhsa_system_sgpr_workgroup_id_z 0
		.amdhsa_system_sgpr_workgroup_info 0
		.amdhsa_system_vgpr_workitem_id 0
		.amdhsa_next_free_vgpr 24
		.amdhsa_next_free_sgpr 68
		.amdhsa_reserve_vcc 1
		.amdhsa_reserve_flat_scratch 1
		.amdhsa_float_round_mode_32 0
		.amdhsa_float_round_mode_16_64 0
		.amdhsa_float_denorm_mode_32 3
		.amdhsa_float_denorm_mode_16_64 3
		.amdhsa_dx10_clamp 1
		.amdhsa_ieee_mode 1
		.amdhsa_fp16_overflow 0
		.amdhsa_exception_fp_ieee_invalid_op 0
		.amdhsa_exception_fp_denorm_src 0
		.amdhsa_exception_fp_ieee_div_zero 0
		.amdhsa_exception_fp_ieee_overflow 0
		.amdhsa_exception_fp_ieee_underflow 0
		.amdhsa_exception_fp_ieee_inexact 0
		.amdhsa_exception_int_div_zero 0
	.end_amdhsa_kernel
	.section	.text._ZN2at6native32elementwise_kernel_manual_unrollILi128ELi4EZNS0_15gpu_kernel_implINS0_13BinaryFunctorIN3c1015Float8_e5m2fnuzES5_bNS0_12_GLOBAL__N_116CompareEqFunctorIS5_EEEEEEvRNS_18TensorIteratorBaseERKT_EUlibE_EEviT1_,"axG",@progbits,_ZN2at6native32elementwise_kernel_manual_unrollILi128ELi4EZNS0_15gpu_kernel_implINS0_13BinaryFunctorIN3c1015Float8_e5m2fnuzES5_bNS0_12_GLOBAL__N_116CompareEqFunctorIS5_EEEEEEvRNS_18TensorIteratorBaseERKT_EUlibE_EEviT1_,comdat
.Lfunc_end251:
	.size	_ZN2at6native32elementwise_kernel_manual_unrollILi128ELi4EZNS0_15gpu_kernel_implINS0_13BinaryFunctorIN3c1015Float8_e5m2fnuzES5_bNS0_12_GLOBAL__N_116CompareEqFunctorIS5_EEEEEEvRNS_18TensorIteratorBaseERKT_EUlibE_EEviT1_, .Lfunc_end251-_ZN2at6native32elementwise_kernel_manual_unrollILi128ELi4EZNS0_15gpu_kernel_implINS0_13BinaryFunctorIN3c1015Float8_e5m2fnuzES5_bNS0_12_GLOBAL__N_116CompareEqFunctorIS5_EEEEEEvRNS_18TensorIteratorBaseERKT_EUlibE_EEviT1_
                                        ; -- End function
	.set _ZN2at6native32elementwise_kernel_manual_unrollILi128ELi4EZNS0_15gpu_kernel_implINS0_13BinaryFunctorIN3c1015Float8_e5m2fnuzES5_bNS0_12_GLOBAL__N_116CompareEqFunctorIS5_EEEEEEvRNS_18TensorIteratorBaseERKT_EUlibE_EEviT1_.num_vgpr, max(24, .L_ZN2at6native6invokeINS0_13BinaryFunctorIN3c1015Float8_e5m2fnuzES4_bNS0_12_GLOBAL__N_116CompareEqFunctorIS4_EEEEi15function_traitsIS8_EEENT1_11result_typeERKT_PrKPcPKT0_PKNS3_10ScalarTypeEi.num_vgpr)
	.set _ZN2at6native32elementwise_kernel_manual_unrollILi128ELi4EZNS0_15gpu_kernel_implINS0_13BinaryFunctorIN3c1015Float8_e5m2fnuzES5_bNS0_12_GLOBAL__N_116CompareEqFunctorIS5_EEEEEEvRNS_18TensorIteratorBaseERKT_EUlibE_EEviT1_.num_agpr, max(0, .L_ZN2at6native6invokeINS0_13BinaryFunctorIN3c1015Float8_e5m2fnuzES4_bNS0_12_GLOBAL__N_116CompareEqFunctorIS4_EEEEi15function_traitsIS8_EEENT1_11result_typeERKT_PrKPcPKT0_PKNS3_10ScalarTypeEi.num_agpr)
	.set _ZN2at6native32elementwise_kernel_manual_unrollILi128ELi4EZNS0_15gpu_kernel_implINS0_13BinaryFunctorIN3c1015Float8_e5m2fnuzES5_bNS0_12_GLOBAL__N_116CompareEqFunctorIS5_EEEEEEvRNS_18TensorIteratorBaseERKT_EUlibE_EEviT1_.numbered_sgpr, max(68, .L_ZN2at6native6invokeINS0_13BinaryFunctorIN3c1015Float8_e5m2fnuzES4_bNS0_12_GLOBAL__N_116CompareEqFunctorIS4_EEEEi15function_traitsIS8_EEENT1_11result_typeERKT_PrKPcPKT0_PKNS3_10ScalarTypeEi.numbered_sgpr)
	.set _ZN2at6native32elementwise_kernel_manual_unrollILi128ELi4EZNS0_15gpu_kernel_implINS0_13BinaryFunctorIN3c1015Float8_e5m2fnuzES5_bNS0_12_GLOBAL__N_116CompareEqFunctorIS5_EEEEEEvRNS_18TensorIteratorBaseERKT_EUlibE_EEviT1_.num_named_barrier, max(0, .L_ZN2at6native6invokeINS0_13BinaryFunctorIN3c1015Float8_e5m2fnuzES4_bNS0_12_GLOBAL__N_116CompareEqFunctorIS4_EEEEi15function_traitsIS8_EEENT1_11result_typeERKT_PrKPcPKT0_PKNS3_10ScalarTypeEi.num_named_barrier)
	.set _ZN2at6native32elementwise_kernel_manual_unrollILi128ELi4EZNS0_15gpu_kernel_implINS0_13BinaryFunctorIN3c1015Float8_e5m2fnuzES5_bNS0_12_GLOBAL__N_116CompareEqFunctorIS5_EEEEEEvRNS_18TensorIteratorBaseERKT_EUlibE_EEviT1_.private_seg_size, 64+max(.L_ZN2at6native6invokeINS0_13BinaryFunctorIN3c1015Float8_e5m2fnuzES4_bNS0_12_GLOBAL__N_116CompareEqFunctorIS4_EEEEi15function_traitsIS8_EEENT1_11result_typeERKT_PrKPcPKT0_PKNS3_10ScalarTypeEi.private_seg_size)
	.set _ZN2at6native32elementwise_kernel_manual_unrollILi128ELi4EZNS0_15gpu_kernel_implINS0_13BinaryFunctorIN3c1015Float8_e5m2fnuzES5_bNS0_12_GLOBAL__N_116CompareEqFunctorIS5_EEEEEEvRNS_18TensorIteratorBaseERKT_EUlibE_EEviT1_.uses_vcc, or(1, .L_ZN2at6native6invokeINS0_13BinaryFunctorIN3c1015Float8_e5m2fnuzES4_bNS0_12_GLOBAL__N_116CompareEqFunctorIS4_EEEEi15function_traitsIS8_EEENT1_11result_typeERKT_PrKPcPKT0_PKNS3_10ScalarTypeEi.uses_vcc)
	.set _ZN2at6native32elementwise_kernel_manual_unrollILi128ELi4EZNS0_15gpu_kernel_implINS0_13BinaryFunctorIN3c1015Float8_e5m2fnuzES5_bNS0_12_GLOBAL__N_116CompareEqFunctorIS5_EEEEEEvRNS_18TensorIteratorBaseERKT_EUlibE_EEviT1_.uses_flat_scratch, or(1, .L_ZN2at6native6invokeINS0_13BinaryFunctorIN3c1015Float8_e5m2fnuzES4_bNS0_12_GLOBAL__N_116CompareEqFunctorIS4_EEEEi15function_traitsIS8_EEENT1_11result_typeERKT_PrKPcPKT0_PKNS3_10ScalarTypeEi.uses_flat_scratch)
	.set _ZN2at6native32elementwise_kernel_manual_unrollILi128ELi4EZNS0_15gpu_kernel_implINS0_13BinaryFunctorIN3c1015Float8_e5m2fnuzES5_bNS0_12_GLOBAL__N_116CompareEqFunctorIS5_EEEEEEvRNS_18TensorIteratorBaseERKT_EUlibE_EEviT1_.has_dyn_sized_stack, or(0, .L_ZN2at6native6invokeINS0_13BinaryFunctorIN3c1015Float8_e5m2fnuzES4_bNS0_12_GLOBAL__N_116CompareEqFunctorIS4_EEEEi15function_traitsIS8_EEENT1_11result_typeERKT_PrKPcPKT0_PKNS3_10ScalarTypeEi.has_dyn_sized_stack)
	.set _ZN2at6native32elementwise_kernel_manual_unrollILi128ELi4EZNS0_15gpu_kernel_implINS0_13BinaryFunctorIN3c1015Float8_e5m2fnuzES5_bNS0_12_GLOBAL__N_116CompareEqFunctorIS5_EEEEEEvRNS_18TensorIteratorBaseERKT_EUlibE_EEviT1_.has_recursion, or(0, .L_ZN2at6native6invokeINS0_13BinaryFunctorIN3c1015Float8_e5m2fnuzES4_bNS0_12_GLOBAL__N_116CompareEqFunctorIS4_EEEEi15function_traitsIS8_EEENT1_11result_typeERKT_PrKPcPKT0_PKNS3_10ScalarTypeEi.has_recursion)
	.set _ZN2at6native32elementwise_kernel_manual_unrollILi128ELi4EZNS0_15gpu_kernel_implINS0_13BinaryFunctorIN3c1015Float8_e5m2fnuzES5_bNS0_12_GLOBAL__N_116CompareEqFunctorIS5_EEEEEEvRNS_18TensorIteratorBaseERKT_EUlibE_EEviT1_.has_indirect_call, or(0, .L_ZN2at6native6invokeINS0_13BinaryFunctorIN3c1015Float8_e5m2fnuzES4_bNS0_12_GLOBAL__N_116CompareEqFunctorIS4_EEEEi15function_traitsIS8_EEENT1_11result_typeERKT_PrKPcPKT0_PKNS3_10ScalarTypeEi.has_indirect_call)
	.section	.AMDGPU.csdata,"",@progbits
; Kernel info:
; codeLenInByte = 63456
; TotalNumSgprs: 74
; NumVgprs: 24
; ScratchSize: 64
; MemoryBound: 0
; FloatMode: 240
; IeeeMode: 1
; LDSByteSize: 0 bytes/workgroup (compile time only)
; SGPRBlocks: 9
; VGPRBlocks: 5
; NumSGPRsForWavesPerEU: 74
; NumVGPRsForWavesPerEU: 24
; Occupancy: 10
; WaveLimiterHint : 1
; COMPUTE_PGM_RSRC2:SCRATCH_EN: 1
; COMPUTE_PGM_RSRC2:USER_SGPR: 8
; COMPUTE_PGM_RSRC2:TRAP_HANDLER: 0
; COMPUTE_PGM_RSRC2:TGID_X_EN: 1
; COMPUTE_PGM_RSRC2:TGID_Y_EN: 0
; COMPUTE_PGM_RSRC2:TGID_Z_EN: 0
; COMPUTE_PGM_RSRC2:TIDIG_COMP_CNT: 0
	.text
	.p2align	2                               ; -- Begin function _ZNK16OffsetCalculatorILi3EjLb0EE3getEj
	.type	_ZNK16OffsetCalculatorILi3EjLb0EE3getEj,@function
_ZNK16OffsetCalculatorILi3EjLb0EE3getEj: ; @_ZNK16OffsetCalculatorILi3EjLb0EE3getEj
; %bb.0:
	s_waitcnt vmcnt(0) expcnt(0) lgkmcnt(0)
	v_mov_b32_e32 v6, v1
	v_mov_b32_e32 v5, v0
	flat_load_dword v1, v[5:6]
	v_mov_b32_e32 v3, v2
                                        ; implicit-def: $vgpr0
                                        ; implicit-def: $vgpr4
                                        ; implicit-def: $vgpr2
	s_waitcnt vmcnt(0) lgkmcnt(0)
	v_add_u32_e32 v7, -1, v1
	v_cmp_lt_u32_e32 vcc, 1, v7
	s_and_saveexec_b64 s[4:5], vcc
	s_xor_b64 s[4:5], exec, s[4:5]
	s_cbranch_execnz .LBB252_3
; %bb.1:
	s_andn2_saveexec_b64 s[4:5], s[4:5]
	s_cbranch_execnz .LBB252_10
.LBB252_2:
	s_or_b64 exec, exec, s[4:5]
	v_mov_b32_e32 v1, v4
	s_setpc_b64 s[30:31]
.LBB252_3:
	v_mov_b32_e32 v0, 0
	v_cmp_ne_u32_e32 vcc, 0, v1
	v_mov_b32_e32 v4, 0
	v_mov_b32_e32 v2, 0
	s_and_saveexec_b64 s[6:7], vcc
	s_cbranch_execz .LBB252_9
; %bb.4:
	v_min_u32_e32 v1, 15, v7
	v_add_u32_e32 v0, 1, v1
	v_add_co_u32_e32 v5, vcc, 0xffffffe8, v5
	v_and_b32_e32 v7, 30, v0
	v_addc_co_u32_e32 v6, vcc, -1, v6, vcc
	v_mov_b32_e32 v2, 0
	s_mov_b64 s[8:9], 0
	v_mov_b32_e32 v4, 0
	v_mov_b32_e32 v0, 0
.LBB252_5:                              ; =>This Inner Loop Header: Depth=1
	flat_load_dwordx4 v[8:11], v[5:6] offset:28
	flat_load_dwordx2 v[12:13], v[5:6] offset:44
	v_add_u32_e32 v7, -2, v7
	s_waitcnt vmcnt(0) lgkmcnt(0)
	v_mul_hi_u32 v9, v9, v3
	v_add_u32_e32 v9, v3, v9
	v_lshrrev_b32_e32 v10, v10, v9
	v_mul_lo_u32 v8, v10, v8
	v_mul_hi_u32 v9, v12, v10
	v_sub_u32_e32 v16, v3, v8
	v_add_u32_e32 v3, v10, v9
	v_lshrrev_b32_e32 v3, v13, v3
	flat_load_dwordx4 v[12:15], v[5:6] offset:220
	flat_load_dwordx2 v[8:9], v[5:6] offset:236
	v_mul_lo_u32 v11, v3, v11
	v_add_co_u32_e32 v5, vcc, 24, v5
	v_addc_co_u32_e32 v6, vcc, 0, v6, vcc
	v_sub_u32_e32 v10, v10, v11
	v_cmp_eq_u32_e32 vcc, 0, v7
	s_or_b64 s[8:9], vcc, s[8:9]
	s_waitcnt vmcnt(0) lgkmcnt(0)
	v_mul_lo_u32 v12, v12, v16
	v_mul_lo_u32 v11, v13, v16
	;; [unrolled: 1-line block ×6, first 2 shown]
	v_add3_u32 v0, v0, v12, v14
	v_add3_u32 v4, v4, v11, v8
	;; [unrolled: 1-line block ×3, first 2 shown]
	s_andn2_b64 exec, exec, s[8:9]
	s_cbranch_execnz .LBB252_5
; %bb.6:
	s_or_b64 exec, exec, s[8:9]
	v_and_b32_e32 v1, 1, v1
	v_cmp_eq_u32_e32 vcc, 0, v1
	s_and_saveexec_b64 s[8:9], vcc
	s_cbranch_execz .LBB252_8
; %bb.7:
	flat_load_dwordx3 v[7:9], v[5:6] offset:28
	flat_load_dwordx3 v[10:12], v[5:6] offset:220
	s_waitcnt vmcnt(0) lgkmcnt(0)
	v_mul_hi_u32 v1, v8, v3
	v_add_u32_e32 v1, v3, v1
	v_lshrrev_b32_e32 v1, v9, v1
	v_mul_lo_u32 v1, v1, v7
	v_sub_u32_e32 v3, v3, v1
	v_mad_u64_u32 v[0:1], s[10:11], v10, v3, v[0:1]
	v_mad_u64_u32 v[4:5], s[10:11], v11, v3, v[4:5]
	;; [unrolled: 1-line block ×3, first 2 shown]
.LBB252_8:
	s_or_b64 exec, exec, s[8:9]
.LBB252_9:
	s_or_b64 exec, exec, s[6:7]
                                        ; implicit-def: $vgpr5_vgpr6
                                        ; implicit-def: $vgpr3
                                        ; implicit-def: $vgpr1
	s_andn2_saveexec_b64 s[4:5], s[4:5]
	s_cbranch_execz .LBB252_2
.LBB252_10:
	flat_load_dwordx3 v[8:10], v[5:6] offset:4
	flat_load_dwordx3 v[11:13], v[5:6] offset:196
	v_cmp_lt_u32_e32 vcc, 1, v1
	s_waitcnt vmcnt(0) lgkmcnt(0)
	v_mul_hi_u32 v0, v9, v3
	v_add_u32_e32 v0, v3, v0
	v_lshrrev_b32_e32 v7, v10, v0
	v_mul_lo_u32 v0, v7, v8
	v_sub_u32_e32 v2, v3, v0
	v_mul_lo_u32 v0, v11, v2
	v_mul_lo_u32 v4, v12, v2
	v_mul_lo_u32 v2, v13, v2
	s_and_saveexec_b64 s[6:7], vcc
	s_cbranch_execz .LBB252_12
; %bb.11:
	flat_load_dwordx3 v[8:10], v[5:6] offset:16
	flat_load_dwordx3 v[11:13], v[5:6] offset:208
	s_waitcnt vmcnt(0) lgkmcnt(0)
	v_mul_hi_u32 v1, v9, v7
	v_add_u32_e32 v1, v7, v1
	v_lshrrev_b32_e32 v1, v10, v1
	v_mul_lo_u32 v1, v1, v8
	v_sub_u32_e32 v3, v7, v1
	v_mad_u64_u32 v[0:1], s[8:9], v11, v3, v[0:1]
	v_mad_u64_u32 v[4:5], s[8:9], v12, v3, v[4:5]
	;; [unrolled: 1-line block ×3, first 2 shown]
.LBB252_12:
	s_or_b64 exec, exec, s[6:7]
	s_or_b64 exec, exec, s[4:5]
	v_mov_b32_e32 v1, v4
	s_setpc_b64 s[30:31]
.Lfunc_end252:
	.size	_ZNK16OffsetCalculatorILi3EjLb0EE3getEj, .Lfunc_end252-_ZNK16OffsetCalculatorILi3EjLb0EE3getEj
                                        ; -- End function
	.set .L_ZNK16OffsetCalculatorILi3EjLb0EE3getEj.num_vgpr, 17
	.set .L_ZNK16OffsetCalculatorILi3EjLb0EE3getEj.num_agpr, 0
	.set .L_ZNK16OffsetCalculatorILi3EjLb0EE3getEj.numbered_sgpr, 32
	.set .L_ZNK16OffsetCalculatorILi3EjLb0EE3getEj.num_named_barrier, 0
	.set .L_ZNK16OffsetCalculatorILi3EjLb0EE3getEj.private_seg_size, 0
	.set .L_ZNK16OffsetCalculatorILi3EjLb0EE3getEj.uses_vcc, 1
	.set .L_ZNK16OffsetCalculatorILi3EjLb0EE3getEj.uses_flat_scratch, 0
	.set .L_ZNK16OffsetCalculatorILi3EjLb0EE3getEj.has_dyn_sized_stack, 0
	.set .L_ZNK16OffsetCalculatorILi3EjLb0EE3getEj.has_recursion, 0
	.set .L_ZNK16OffsetCalculatorILi3EjLb0EE3getEj.has_indirect_call, 0
	.section	.AMDGPU.csdata,"",@progbits
; Function info:
; codeLenInByte = 608
; TotalNumSgprs: 36
; NumVgprs: 17
; ScratchSize: 0
; MemoryBound: 0
	.text
	.p2align	2                               ; -- Begin function _ZN2at6native6invokeINS0_13BinaryFunctorIN3c1015Float8_e5m2fnuzES4_bNS0_12_GLOBAL__N_116CompareEqFunctorIS4_EEEEj15function_traitsIS8_EEENT1_11result_typeERKT_PrKPcPKT0_PKNS3_10ScalarTypeEi
	.type	_ZN2at6native6invokeINS0_13BinaryFunctorIN3c1015Float8_e5m2fnuzES4_bNS0_12_GLOBAL__N_116CompareEqFunctorIS4_EEEEj15function_traitsIS8_EEENT1_11result_typeERKT_PrKPcPKT0_PKNS3_10ScalarTypeEi,@function
_ZN2at6native6invokeINS0_13BinaryFunctorIN3c1015Float8_e5m2fnuzES4_bNS0_12_GLOBAL__N_116CompareEqFunctorIS4_EEEEj15function_traitsIS8_EEENT1_11result_typeERKT_PrKPcPKT0_PKNS3_10ScalarTypeEi: ; @_ZN2at6native6invokeINS0_13BinaryFunctorIN3c1015Float8_e5m2fnuzES4_bNS0_12_GLOBAL__N_116CompareEqFunctorIS4_EEEEj15function_traitsIS8_EEENT1_11result_typeERKT_PrKPcPKT0_PKNS3_10ScalarTypeEi
; %bb.0:
	s_waitcnt vmcnt(0) expcnt(0) lgkmcnt(0)
	flat_load_dwordx2 v[7:8], v[1:2]
	flat_load_dword v9, v[3:4]
	flat_load_ubyte v10, v[5:6]
	s_mov_b64 s[10:11], 0
	s_mov_b64 s[4:5], 0
	s_waitcnt vmcnt(0) lgkmcnt(0)
	v_add_co_u32_e32 v7, vcc, v7, v9
	v_addc_co_u32_e32 v8, vcc, 0, v8, vcc
	v_cmp_lt_i16_e32 vcc, 10, v10
                                        ; implicit-def: $vgpr9
	s_and_saveexec_b64 s[6:7], vcc
	s_xor_b64 s[6:7], exec, s[6:7]
	s_cbranch_execz .LBB253_13
; %bb.1:
	v_cmp_lt_i16_e32 vcc, 25, v10
	s_mov_b64 s[12:13], 0
                                        ; implicit-def: $vgpr9
	s_and_saveexec_b64 s[8:9], vcc
	s_xor_b64 s[8:9], exec, s[8:9]
	s_cbranch_execnz .LBB253_268
; %bb.2:
	s_andn2_saveexec_b64 s[8:9], s[8:9]
	s_cbranch_execnz .LBB253_335
.LBB253_3:
	s_or_b64 exec, exec, s[8:9]
	s_mov_b64 s[8:9], 0
	s_and_saveexec_b64 s[14:15], s[12:13]
	s_cbranch_execnz .LBB253_372
.LBB253_4:
	s_or_b64 exec, exec, s[14:15]
	s_and_saveexec_b64 s[12:13], s[4:5]
	s_xor_b64 s[4:5], exec, s[12:13]
	s_cbranch_execz .LBB253_12
.LBB253_5:
	flat_load_ubyte v7, v[7:8]
	s_mov_b32 s12, 0x47800000
	s_waitcnt vmcnt(0) lgkmcnt(0)
	v_mov_b32_e32 v9, 0x80
	v_cmp_ne_u16_e32 vcc, 0, v7
	v_cndmask_b32_e64 v8, 0, 1.0, vcc
	v_cmp_gt_u32_e32 vcc, s12, v8
	s_and_saveexec_b64 s[12:13], vcc
	s_cbranch_execz .LBB253_11
; %bb.6:
	s_mov_b32 s14, 0x37ffffff
	v_cmp_lt_u32_e32 vcc, s14, v8
	s_mov_b64 s[14:15], 0
                                        ; implicit-def: $vgpr7
	s_and_saveexec_b64 s[16:17], vcc
	s_xor_b64 s[16:17], exec, s[16:17]
	s_cbranch_execnz .LBB253_496
; %bb.7:
	s_andn2_saveexec_b64 s[16:17], s[16:17]
	s_cbranch_execnz .LBB253_497
.LBB253_8:
	s_or_b64 exec, exec, s[16:17]
	v_mov_b32_e32 v9, 0
	s_and_saveexec_b64 s[16:17], s[14:15]
.LBB253_9:
	v_mov_b32_e32 v9, v7
.LBB253_10:
	s_or_b64 exec, exec, s[16:17]
.LBB253_11:
	s_or_b64 exec, exec, s[12:13]
	s_or_b64 s[10:11], s[10:11], exec
.LBB253_12:
	s_or_b64 exec, exec, s[4:5]
	s_and_b64 s[4:5], s[8:9], exec
	s_and_b64 s[10:11], s[10:11], exec
                                        ; implicit-def: $vgpr10
                                        ; implicit-def: $vgpr7_vgpr8
.LBB253_13:
	s_andn2_saveexec_b64 s[6:7], s[6:7]
	s_cbranch_execz .LBB253_121
; %bb.14:
	v_cmp_lt_i16_e32 vcc, 4, v10
                                        ; implicit-def: $vgpr9
	s_and_saveexec_b64 s[8:9], vcc
	s_xor_b64 s[8:9], exec, s[8:9]
	s_cbranch_execz .LBB253_72
; %bb.15:
	v_cmp_lt_i16_e32 vcc, 7, v10
                                        ; implicit-def: $vgpr9
	s_and_saveexec_b64 s[12:13], vcc
	s_xor_b64 s[12:13], exec, s[12:13]
	;; [unrolled: 6-line block ×4, first 2 shown]
	s_cbranch_execz .LBB253_25
; %bb.18:
	flat_load_dwordx2 v[7:8], v[7:8]
	s_mov_b32 s18, 0x47800000
	s_waitcnt vmcnt(0) lgkmcnt(0)
	v_mov_b32_e32 v9, 0x80
	v_cvt_f32_f64_e32 v7, v[7:8]
	v_and_b32_e32 v8, 0x7fffffff, v7
	v_cmp_gt_u32_e32 vcc, s18, v8
	s_and_saveexec_b64 s[18:19], vcc
	s_cbranch_execz .LBB253_24
; %bb.19:
	s_mov_b32 s20, 0x37ffffff
	v_cmp_lt_u32_e32 vcc, s20, v8
	s_mov_b64 s[20:21], 0
                                        ; implicit-def: $vgpr8
	s_and_saveexec_b64 s[22:23], vcc
	s_xor_b64 s[22:23], exec, s[22:23]
	s_cbranch_execnz .LBB253_530
; %bb.20:
	s_andn2_saveexec_b64 s[22:23], s[22:23]
	s_cbranch_execnz .LBB253_531
.LBB253_21:
	s_or_b64 exec, exec, s[22:23]
	v_mov_b32_e32 v9, 0
	s_and_saveexec_b64 s[22:23], s[20:21]
.LBB253_22:
	v_lshrrev_b32_e32 v7, 24, v7
	s_movk_i32 s20, 0x80
	v_and_or_b32 v9, v7, s20, v8
.LBB253_23:
	s_or_b64 exec, exec, s[22:23]
.LBB253_24:
	s_or_b64 exec, exec, s[18:19]
                                        ; implicit-def: $vgpr7_vgpr8
.LBB253_25:
	s_andn2_saveexec_b64 s[16:17], s[16:17]
	s_cbranch_execz .LBB253_33
; %bb.26:
	flat_load_dword v7, v[7:8]
	s_mov_b32 s18, 0x47800000
	s_waitcnt vmcnt(0) lgkmcnt(0)
	v_mov_b32_e32 v9, 0x80
	v_and_b32_e32 v8, 0x7fffffff, v7
	v_cmp_gt_u32_e32 vcc, s18, v8
	s_and_saveexec_b64 s[18:19], vcc
	s_cbranch_execz .LBB253_32
; %bb.27:
	s_mov_b32 s20, 0x37ffffff
	v_cmp_lt_u32_e32 vcc, s20, v8
	s_mov_b64 s[20:21], 0
                                        ; implicit-def: $vgpr8
	s_and_saveexec_b64 s[22:23], vcc
	s_xor_b64 s[22:23], exec, s[22:23]
	s_cbranch_execnz .LBB253_532
; %bb.28:
	s_andn2_saveexec_b64 s[22:23], s[22:23]
	s_cbranch_execnz .LBB253_533
.LBB253_29:
	s_or_b64 exec, exec, s[22:23]
	v_mov_b32_e32 v9, 0
	s_and_saveexec_b64 s[22:23], s[20:21]
.LBB253_30:
	v_lshrrev_b32_e32 v7, 24, v7
	s_movk_i32 s20, 0x80
	v_and_or_b32 v9, v7, s20, v8
.LBB253_31:
	s_or_b64 exec, exec, s[22:23]
.LBB253_32:
	s_or_b64 exec, exec, s[18:19]
.LBB253_33:
	s_or_b64 exec, exec, s[16:17]
                                        ; implicit-def: $vgpr7_vgpr8
.LBB253_34:
	s_andn2_saveexec_b64 s[14:15], s[14:15]
	s_cbranch_execz .LBB253_42
; %bb.35:
	flat_load_dword v7, v[7:8]
	s_mov_b32 s16, 0x47800000
	s_waitcnt vmcnt(0) lgkmcnt(0)
	v_mov_b32_e32 v9, 0x80
	v_cvt_f32_f16_e32 v7, v7
	v_and_b32_e32 v8, 0x7fffffff, v7
	v_cmp_gt_u32_e32 vcc, s16, v8
	s_and_saveexec_b64 s[16:17], vcc
	s_cbranch_execz .LBB253_41
; %bb.36:
	s_mov_b32 s18, 0x37ffffff
	v_cmp_lt_u32_e32 vcc, s18, v8
	s_mov_b64 s[18:19], 0
                                        ; implicit-def: $vgpr8
	s_and_saveexec_b64 s[20:21], vcc
	s_xor_b64 s[20:21], exec, s[20:21]
	s_cbranch_execnz .LBB253_502
; %bb.37:
	s_andn2_saveexec_b64 s[20:21], s[20:21]
	s_cbranch_execnz .LBB253_503
.LBB253_38:
	s_or_b64 exec, exec, s[20:21]
	v_mov_b32_e32 v9, 0
	s_and_saveexec_b64 s[20:21], s[18:19]
.LBB253_39:
	v_lshrrev_b32_e32 v7, 24, v7
	s_movk_i32 s18, 0x80
	v_and_or_b32 v9, v7, s18, v8
.LBB253_40:
	s_or_b64 exec, exec, s[20:21]
.LBB253_41:
	s_or_b64 exec, exec, s[16:17]
.LBB253_42:
	s_or_b64 exec, exec, s[14:15]
                                        ; implicit-def: $vgpr10
                                        ; implicit-def: $vgpr7_vgpr8
.LBB253_43:
	s_andn2_saveexec_b64 s[12:13], s[12:13]
	s_cbranch_execz .LBB253_71
; %bb.44:
	v_cmp_lt_i16_e32 vcc, 5, v10
                                        ; implicit-def: $vgpr9
	s_and_saveexec_b64 s[14:15], vcc
	s_xor_b64 s[14:15], exec, s[14:15]
	s_cbranch_execz .LBB253_62
; %bb.45:
	v_cmp_lt_i16_e32 vcc, 6, v10
                                        ; implicit-def: $vgpr9
	s_and_saveexec_b64 s[16:17], vcc
	s_xor_b64 s[16:17], exec, s[16:17]
	s_cbranch_execz .LBB253_53
; %bb.46:
	flat_load_dwordx2 v[7:8], v[7:8]
	s_mov_b32 s18, 0x47800000
	s_waitcnt vmcnt(0) lgkmcnt(0)
	v_mov_b32_e32 v9, 0x80
	v_cvt_f32_f64_e32 v7, v[7:8]
	v_and_b32_e32 v8, 0x7fffffff, v7
	v_cmp_gt_u32_e32 vcc, s18, v8
	s_and_saveexec_b64 s[18:19], vcc
	s_cbranch_execz .LBB253_52
; %bb.47:
	s_mov_b32 s20, 0x37ffffff
	v_cmp_lt_u32_e32 vcc, s20, v8
	s_mov_b64 s[20:21], 0
                                        ; implicit-def: $vgpr8
	s_and_saveexec_b64 s[22:23], vcc
	s_xor_b64 s[22:23], exec, s[22:23]
	s_cbranch_execnz .LBB253_534
; %bb.48:
	s_andn2_saveexec_b64 s[22:23], s[22:23]
	s_cbranch_execnz .LBB253_535
.LBB253_49:
	s_or_b64 exec, exec, s[22:23]
	v_mov_b32_e32 v9, 0
	s_and_saveexec_b64 s[22:23], s[20:21]
.LBB253_50:
	v_lshrrev_b32_e32 v7, 24, v7
	s_movk_i32 s20, 0x80
	v_and_or_b32 v9, v7, s20, v8
.LBB253_51:
	s_or_b64 exec, exec, s[22:23]
.LBB253_52:
	s_or_b64 exec, exec, s[18:19]
                                        ; implicit-def: $vgpr7_vgpr8
.LBB253_53:
	s_andn2_saveexec_b64 s[16:17], s[16:17]
	s_cbranch_execz .LBB253_61
; %bb.54:
	flat_load_dword v7, v[7:8]
	s_mov_b32 s18, 0x47800000
	s_waitcnt vmcnt(0) lgkmcnt(0)
	v_mov_b32_e32 v9, 0x80
	v_and_b32_e32 v8, 0x7fffffff, v7
	v_cmp_gt_u32_e32 vcc, s18, v8
	s_and_saveexec_b64 s[18:19], vcc
	s_cbranch_execz .LBB253_60
; %bb.55:
	s_mov_b32 s20, 0x37ffffff
	v_cmp_lt_u32_e32 vcc, s20, v8
	s_mov_b64 s[20:21], 0
                                        ; implicit-def: $vgpr8
	s_and_saveexec_b64 s[22:23], vcc
	s_xor_b64 s[22:23], exec, s[22:23]
	s_cbranch_execnz .LBB253_536
; %bb.56:
	s_andn2_saveexec_b64 s[22:23], s[22:23]
	s_cbranch_execnz .LBB253_537
.LBB253_57:
	s_or_b64 exec, exec, s[22:23]
	v_mov_b32_e32 v9, 0
	s_and_saveexec_b64 s[22:23], s[20:21]
.LBB253_58:
	v_lshrrev_b32_e32 v7, 24, v7
	s_movk_i32 s20, 0x80
	v_and_or_b32 v9, v7, s20, v8
.LBB253_59:
	s_or_b64 exec, exec, s[22:23]
.LBB253_60:
	s_or_b64 exec, exec, s[18:19]
.LBB253_61:
	s_or_b64 exec, exec, s[16:17]
                                        ; implicit-def: $vgpr7_vgpr8
.LBB253_62:
	s_andn2_saveexec_b64 s[14:15], s[14:15]
	s_cbranch_execz .LBB253_70
; %bb.63:
	flat_load_ushort v7, v[7:8]
	s_mov_b32 s16, 0x47800000
	s_waitcnt vmcnt(0) lgkmcnt(0)
	v_mov_b32_e32 v9, 0x80
	v_cvt_f32_f16_e32 v7, v7
	v_and_b32_e32 v8, 0x7fffffff, v7
	v_cmp_gt_u32_e32 vcc, s16, v8
	s_and_saveexec_b64 s[16:17], vcc
	s_cbranch_execz .LBB253_69
; %bb.64:
	s_mov_b32 s18, 0x37ffffff
	v_cmp_lt_u32_e32 vcc, s18, v8
	s_mov_b64 s[18:19], 0
                                        ; implicit-def: $vgpr8
	s_and_saveexec_b64 s[20:21], vcc
	s_xor_b64 s[20:21], exec, s[20:21]
	s_cbranch_execnz .LBB253_504
; %bb.65:
	s_andn2_saveexec_b64 s[20:21], s[20:21]
	s_cbranch_execnz .LBB253_505
.LBB253_66:
	s_or_b64 exec, exec, s[20:21]
	v_mov_b32_e32 v9, 0
	s_and_saveexec_b64 s[20:21], s[18:19]
.LBB253_67:
	v_lshrrev_b32_e32 v7, 24, v7
	s_movk_i32 s18, 0x80
	v_and_or_b32 v9, v7, s18, v8
.LBB253_68:
	s_or_b64 exec, exec, s[20:21]
.LBB253_69:
	s_or_b64 exec, exec, s[16:17]
.LBB253_70:
	s_or_b64 exec, exec, s[14:15]
.LBB253_71:
	s_or_b64 exec, exec, s[12:13]
                                        ; implicit-def: $vgpr10
                                        ; implicit-def: $vgpr7_vgpr8
.LBB253_72:
	s_andn2_saveexec_b64 s[8:9], s[8:9]
	s_cbranch_execz .LBB253_120
; %bb.73:
	v_cmp_lt_i16_e32 vcc, 1, v10
                                        ; implicit-def: $vgpr9
	s_and_saveexec_b64 s[12:13], vcc
	s_xor_b64 s[12:13], exec, s[12:13]
	s_cbranch_execz .LBB253_101
; %bb.74:
	v_cmp_lt_i16_e32 vcc, 2, v10
                                        ; implicit-def: $vgpr9
	s_and_saveexec_b64 s[14:15], vcc
	s_xor_b64 s[14:15], exec, s[14:15]
	;; [unrolled: 6-line block ×3, first 2 shown]
	s_cbranch_execz .LBB253_83
; %bb.76:
	flat_load_dwordx2 v[7:8], v[7:8]
	s_mov_b32 s18, 0x47800000
	s_waitcnt vmcnt(0) lgkmcnt(0)
	v_xor_b32_e32 v10, v7, v8
	v_ffbh_i32_e32 v9, v8
	v_ashrrev_i32_e32 v10, 31, v10
	v_add_u32_e32 v9, -1, v9
	v_add_u32_e32 v10, 32, v10
	v_min_u32_e32 v9, v9, v10
	v_lshlrev_b64 v[7:8], v9, v[7:8]
	v_min_u32_e32 v7, 1, v7
	v_or_b32_e32 v7, v8, v7
	v_cvt_f32_i32_e32 v7, v7
	v_sub_u32_e32 v8, 32, v9
	v_mov_b32_e32 v9, 0x80
	v_ldexp_f32 v7, v7, v8
	v_and_b32_e32 v8, 0x7fffffff, v7
	v_cmp_gt_u32_e32 vcc, s18, v8
	s_and_saveexec_b64 s[18:19], vcc
	s_cbranch_execz .LBB253_82
; %bb.77:
	s_mov_b32 s20, 0x37ffffff
	v_cmp_lt_u32_e32 vcc, s20, v8
	s_mov_b64 s[20:21], 0
                                        ; implicit-def: $vgpr8
	s_and_saveexec_b64 s[22:23], vcc
	s_xor_b64 s[22:23], exec, s[22:23]
	s_cbranch_execnz .LBB253_538
; %bb.78:
	s_andn2_saveexec_b64 s[22:23], s[22:23]
	s_cbranch_execnz .LBB253_539
.LBB253_79:
	s_or_b64 exec, exec, s[22:23]
	v_mov_b32_e32 v9, 0
	s_and_saveexec_b64 s[22:23], s[20:21]
.LBB253_80:
	v_lshrrev_b32_e32 v7, 24, v7
	s_movk_i32 s20, 0x80
	v_and_or_b32 v9, v7, s20, v8
.LBB253_81:
	s_or_b64 exec, exec, s[22:23]
.LBB253_82:
	s_or_b64 exec, exec, s[18:19]
                                        ; implicit-def: $vgpr7_vgpr8
.LBB253_83:
	s_andn2_saveexec_b64 s[16:17], s[16:17]
	s_cbranch_execz .LBB253_91
; %bb.84:
	flat_load_dword v7, v[7:8]
	s_mov_b32 s18, 0x47800000
	s_waitcnt vmcnt(0) lgkmcnt(0)
	v_mov_b32_e32 v9, 0x80
	v_cvt_f32_i32_e32 v7, v7
	v_and_b32_e32 v8, 0x7fffffff, v7
	v_cmp_gt_u32_e32 vcc, s18, v8
	s_and_saveexec_b64 s[18:19], vcc
	s_cbranch_execz .LBB253_90
; %bb.85:
	s_mov_b32 s20, 0x37ffffff
	v_cmp_lt_u32_e32 vcc, s20, v8
	s_mov_b64 s[20:21], 0
                                        ; implicit-def: $vgpr8
	s_and_saveexec_b64 s[22:23], vcc
	s_xor_b64 s[22:23], exec, s[22:23]
	s_cbranch_execnz .LBB253_540
; %bb.86:
	s_andn2_saveexec_b64 s[22:23], s[22:23]
	s_cbranch_execnz .LBB253_541
.LBB253_87:
	s_or_b64 exec, exec, s[22:23]
	v_mov_b32_e32 v9, 0
	s_and_saveexec_b64 s[22:23], s[20:21]
.LBB253_88:
	v_lshrrev_b32_e32 v7, 24, v7
	s_movk_i32 s20, 0x80
	v_and_or_b32 v9, v7, s20, v8
.LBB253_89:
	s_or_b64 exec, exec, s[22:23]
.LBB253_90:
	s_or_b64 exec, exec, s[18:19]
.LBB253_91:
	s_or_b64 exec, exec, s[16:17]
                                        ; implicit-def: $vgpr7_vgpr8
.LBB253_92:
	s_andn2_saveexec_b64 s[14:15], s[14:15]
	s_cbranch_execz .LBB253_100
; %bb.93:
	flat_load_sshort v7, v[7:8]
	s_mov_b32 s16, 0x47800000
	s_waitcnt vmcnt(0) lgkmcnt(0)
	v_mov_b32_e32 v9, 0x80
	v_cvt_f32_i32_e32 v7, v7
	v_and_b32_e32 v8, 0x7fffffff, v7
	v_cmp_gt_u32_e32 vcc, s16, v8
	s_and_saveexec_b64 s[16:17], vcc
	s_cbranch_execz .LBB253_99
; %bb.94:
	s_mov_b32 s18, 0x37ffffff
	v_cmp_lt_u32_e32 vcc, s18, v8
	s_mov_b64 s[18:19], 0
                                        ; implicit-def: $vgpr8
	s_and_saveexec_b64 s[20:21], vcc
	s_xor_b64 s[20:21], exec, s[20:21]
	s_cbranch_execnz .LBB253_506
; %bb.95:
	s_andn2_saveexec_b64 s[20:21], s[20:21]
	s_cbranch_execnz .LBB253_507
.LBB253_96:
	s_or_b64 exec, exec, s[20:21]
	v_mov_b32_e32 v9, 0
	s_and_saveexec_b64 s[20:21], s[18:19]
.LBB253_97:
	v_lshrrev_b32_e32 v7, 24, v7
	s_movk_i32 s18, 0x80
	v_and_or_b32 v9, v7, s18, v8
.LBB253_98:
	s_or_b64 exec, exec, s[20:21]
.LBB253_99:
	s_or_b64 exec, exec, s[16:17]
.LBB253_100:
	s_or_b64 exec, exec, s[14:15]
                                        ; implicit-def: $vgpr10
                                        ; implicit-def: $vgpr7_vgpr8
.LBB253_101:
	s_andn2_saveexec_b64 s[12:13], s[12:13]
	s_cbranch_execz .LBB253_119
; %bb.102:
	v_cmp_lt_i16_e32 vcc, 0, v10
                                        ; implicit-def: $vgpr9
	s_and_saveexec_b64 s[14:15], vcc
	s_xor_b64 s[14:15], exec, s[14:15]
	s_cbranch_execz .LBB253_110
; %bb.103:
	flat_load_sbyte v7, v[7:8]
	s_mov_b32 s16, 0x47800000
	s_waitcnt vmcnt(0) lgkmcnt(0)
	v_mov_b32_e32 v9, 0x80
	v_cvt_f32_i32_e32 v7, v7
	v_and_b32_e32 v8, 0x7fffffff, v7
	v_cmp_gt_u32_e32 vcc, s16, v8
	s_and_saveexec_b64 s[16:17], vcc
	s_cbranch_execz .LBB253_109
; %bb.104:
	s_mov_b32 s18, 0x37ffffff
	v_cmp_lt_u32_e32 vcc, s18, v8
	s_mov_b64 s[18:19], 0
                                        ; implicit-def: $vgpr8
	s_and_saveexec_b64 s[20:21], vcc
	s_xor_b64 s[20:21], exec, s[20:21]
	s_cbranch_execnz .LBB253_508
; %bb.105:
	s_andn2_saveexec_b64 s[20:21], s[20:21]
	s_cbranch_execnz .LBB253_509
.LBB253_106:
	s_or_b64 exec, exec, s[20:21]
	v_mov_b32_e32 v9, 0
	s_and_saveexec_b64 s[20:21], s[18:19]
.LBB253_107:
	v_lshrrev_b32_e32 v7, 24, v7
	s_movk_i32 s18, 0x80
	v_and_or_b32 v9, v7, s18, v8
.LBB253_108:
	s_or_b64 exec, exec, s[20:21]
.LBB253_109:
	s_or_b64 exec, exec, s[16:17]
                                        ; implicit-def: $vgpr7_vgpr8
.LBB253_110:
	s_andn2_saveexec_b64 s[14:15], s[14:15]
	s_cbranch_execz .LBB253_118
; %bb.111:
	flat_load_ubyte v7, v[7:8]
	s_mov_b32 s16, 0x47800000
	s_waitcnt vmcnt(0) lgkmcnt(0)
	v_mov_b32_e32 v9, 0x80
	v_cvt_f32_ubyte0_e32 v8, v7
	v_cmp_gt_u32_e32 vcc, s16, v8
	s_and_saveexec_b64 s[16:17], vcc
	s_cbranch_execz .LBB253_117
; %bb.112:
	s_mov_b32 s18, 0x37ffffff
	v_cmp_lt_u32_e32 vcc, s18, v8
	s_mov_b64 s[18:19], 0
                                        ; implicit-def: $vgpr7
	s_and_saveexec_b64 s[20:21], vcc
	s_xor_b64 s[20:21], exec, s[20:21]
	s_cbranch_execnz .LBB253_510
; %bb.113:
	s_andn2_saveexec_b64 s[20:21], s[20:21]
	s_cbranch_execnz .LBB253_511
.LBB253_114:
	s_or_b64 exec, exec, s[20:21]
	v_mov_b32_e32 v9, 0
	s_and_saveexec_b64 s[20:21], s[18:19]
.LBB253_115:
	v_mov_b32_e32 v9, v7
.LBB253_116:
	s_or_b64 exec, exec, s[20:21]
.LBB253_117:
	s_or_b64 exec, exec, s[16:17]
.LBB253_118:
	s_or_b64 exec, exec, s[14:15]
.LBB253_119:
	s_or_b64 exec, exec, s[12:13]
.LBB253_120:
	s_or_b64 exec, exec, s[8:9]
	s_or_b64 s[10:11], s[10:11], exec
.LBB253_121:
	s_or_b64 exec, exec, s[6:7]
	s_mov_b64 s[14:15], 0
	s_mov_b64 s[12:13], 0
	;; [unrolled: 1-line block ×3, first 2 shown]
                                        ; implicit-def: $vgpr10
                                        ; implicit-def: $vgpr7_vgpr8
                                        ; implicit-def: $vgpr11
	s_and_saveexec_b64 s[6:7], s[10:11]
	s_cbranch_execnz .LBB253_127
; %bb.122:
	s_or_b64 exec, exec, s[6:7]
	s_and_saveexec_b64 s[6:7], s[4:5]
	s_cbranch_execnz .LBB253_133
.LBB253_123:
	s_or_b64 exec, exec, s[6:7]
	s_and_saveexec_b64 s[4:5], s[14:15]
	s_xor_b64 s[4:5], exec, s[4:5]
	s_cbranch_execnz .LBB253_134
.LBB253_124:
	s_or_b64 exec, exec, s[4:5]
	s_and_saveexec_b64 s[4:5], s[12:13]
	s_cbranch_execnz .LBB253_141
.LBB253_125:
	s_or_b64 exec, exec, s[4:5]
                                        ; implicit-def: $sgpr6_sgpr7
	s_and_saveexec_b64 s[4:5], s[8:9]
	s_cbranch_execnz .LBB253_248
.LBB253_126:
	s_or_b64 exec, exec, s[4:5]
	v_cndmask_b32_e64 v0, 0, 1, s[6:7]
	s_waitcnt vmcnt(0) lgkmcnt(0)
	s_setpc_b64 s[30:31]
.LBB253_127:
	flat_load_dwordx2 v[7:8], v[1:2] offset:8
	flat_load_dword v11, v[3:4] offset:4
	flat_load_ubyte v10, v[5:6] offset:1
	s_mov_b64 s[12:13], -1
	s_mov_b64 s[10:11], 0
	s_mov_b64 s[16:17], s[4:5]
	s_waitcnt vmcnt(0) lgkmcnt(0)
	v_add_co_u32_e32 v7, vcc, v7, v11
	v_addc_co_u32_e32 v8, vcc, 0, v8, vcc
	v_cmp_lt_i16_e32 vcc, 10, v10
                                        ; implicit-def: $vgpr11
	s_and_saveexec_b64 s[8:9], vcc
	s_cbranch_execz .LBB253_132
; %bb.128:
	v_cmp_lt_i16_e32 vcc, 25, v10
	s_mov_b64 s[16:17], 0
                                        ; implicit-def: $vgpr11
	s_and_saveexec_b64 s[12:13], vcc
	s_xor_b64 s[12:13], exec, s[12:13]
	s_cbranch_execnz .LBB253_373
; %bb.129:
	s_andn2_saveexec_b64 s[12:13], s[12:13]
	s_cbranch_execnz .LBB253_440
.LBB253_130:
	s_or_b64 exec, exec, s[12:13]
	s_mov_b64 s[18:19], s[4:5]
	s_and_saveexec_b64 s[12:13], s[16:17]
	s_cbranch_execnz .LBB253_477
.LBB253_131:
	s_or_b64 exec, exec, s[12:13]
	s_andn2_b64 s[16:17], s[4:5], exec
	s_and_b64 s[18:19], s[18:19], exec
	s_and_b64 s[14:15], s[14:15], exec
	s_xor_b64 s[12:13], exec, -1
	s_and_b64 s[10:11], s[10:11], exec
	s_or_b64 s[16:17], s[16:17], s[18:19]
.LBB253_132:
	s_or_b64 exec, exec, s[8:9]
	s_and_b64 s[8:9], s[14:15], exec
	s_and_b64 s[14:15], s[10:11], exec
	s_andn2_b64 s[4:5], s[4:5], exec
	s_and_b64 s[10:11], s[16:17], exec
	s_and_b64 s[12:13], s[12:13], exec
	s_or_b64 s[4:5], s[4:5], s[10:11]
	s_or_b64 exec, exec, s[6:7]
	s_and_saveexec_b64 s[6:7], s[4:5]
	s_cbranch_execz .LBB253_123
.LBB253_133:
	; divergent unreachable
	s_or_b64 exec, exec, s[6:7]
	s_and_saveexec_b64 s[4:5], s[14:15]
	s_xor_b64 s[4:5], exec, s[4:5]
	s_cbranch_execz .LBB253_124
.LBB253_134:
	flat_load_ubyte v1, v[7:8]
	s_mov_b32 s6, 0x47800000
	s_waitcnt vmcnt(0) lgkmcnt(0)
	v_mov_b32_e32 v11, 0x80
	v_cmp_ne_u16_e32 vcc, 0, v1
	v_cndmask_b32_e64 v2, 0, 1.0, vcc
	v_cmp_gt_u32_e32 vcc, s6, v2
	s_and_saveexec_b64 s[6:7], vcc
	s_cbranch_execz .LBB253_140
; %bb.135:
	s_mov_b32 s10, 0x37ffffff
	v_cmp_lt_u32_e32 vcc, s10, v2
	s_mov_b64 s[10:11], 0
                                        ; implicit-def: $vgpr1
	s_and_saveexec_b64 s[14:15], vcc
	s_xor_b64 s[14:15], exec, s[14:15]
	s_cbranch_execnz .LBB253_478
; %bb.136:
	s_andn2_saveexec_b64 s[14:15], s[14:15]
	s_cbranch_execnz .LBB253_479
.LBB253_137:
	s_or_b64 exec, exec, s[14:15]
	v_mov_b32_e32 v11, 0
	s_and_saveexec_b64 s[14:15], s[10:11]
.LBB253_138:
	v_mov_b32_e32 v11, v1
.LBB253_139:
	s_or_b64 exec, exec, s[14:15]
.LBB253_140:
	s_or_b64 exec, exec, s[6:7]
	s_or_b64 s[8:9], s[8:9], exec
	s_or_b64 exec, exec, s[4:5]
	s_and_saveexec_b64 s[4:5], s[12:13]
	s_cbranch_execz .LBB253_125
.LBB253_141:
	v_cmp_lt_i16_e32 vcc, 4, v10
                                        ; implicit-def: $vgpr11
	s_and_saveexec_b64 s[6:7], vcc
	s_xor_b64 s[6:7], exec, s[6:7]
	s_cbranch_execz .LBB253_199
; %bb.142:
	v_cmp_lt_i16_e32 vcc, 7, v10
                                        ; implicit-def: $vgpr11
	s_and_saveexec_b64 s[10:11], vcc
	s_xor_b64 s[10:11], exec, s[10:11]
	s_cbranch_execz .LBB253_170
; %bb.143:
	;; [unrolled: 6-line block ×4, first 2 shown]
	flat_load_dwordx2 v[1:2], v[7:8]
	s_mov_b32 s16, 0x47800000
	s_waitcnt vmcnt(0) lgkmcnt(0)
	v_mov_b32_e32 v11, 0x80
	v_cvt_f32_f64_e32 v1, v[1:2]
	v_and_b32_e32 v2, 0x7fffffff, v1
	v_cmp_gt_u32_e32 vcc, s16, v2
	s_and_saveexec_b64 s[16:17], vcc
	s_cbranch_execz .LBB253_151
; %bb.146:
	s_mov_b32 s18, 0x37ffffff
	v_cmp_lt_u32_e32 vcc, s18, v2
	s_mov_b64 s[18:19], 0
                                        ; implicit-def: $vgpr2
	s_and_saveexec_b64 s[20:21], vcc
	s_xor_b64 s[20:21], exec, s[20:21]
	s_cbranch_execnz .LBB253_542
; %bb.147:
	s_andn2_saveexec_b64 s[20:21], s[20:21]
	s_cbranch_execnz .LBB253_543
.LBB253_148:
	s_or_b64 exec, exec, s[20:21]
	v_mov_b32_e32 v11, 0
	s_and_saveexec_b64 s[20:21], s[18:19]
.LBB253_149:
	v_lshrrev_b32_e32 v1, 24, v1
	s_movk_i32 s18, 0x80
	v_and_or_b32 v11, v1, s18, v2
.LBB253_150:
	s_or_b64 exec, exec, s[20:21]
.LBB253_151:
	s_or_b64 exec, exec, s[16:17]
                                        ; implicit-def: $vgpr7_vgpr8
.LBB253_152:
	s_andn2_saveexec_b64 s[14:15], s[14:15]
	s_cbranch_execz .LBB253_160
; %bb.153:
	flat_load_dword v1, v[7:8]
	s_mov_b32 s16, 0x47800000
	s_waitcnt vmcnt(0) lgkmcnt(0)
	v_mov_b32_e32 v11, 0x80
	v_and_b32_e32 v2, 0x7fffffff, v1
	v_cmp_gt_u32_e32 vcc, s16, v2
	s_and_saveexec_b64 s[16:17], vcc
	s_cbranch_execz .LBB253_159
; %bb.154:
	s_mov_b32 s18, 0x37ffffff
	v_cmp_lt_u32_e32 vcc, s18, v2
	s_mov_b64 s[18:19], 0
                                        ; implicit-def: $vgpr2
	s_and_saveexec_b64 s[20:21], vcc
	s_xor_b64 s[20:21], exec, s[20:21]
	s_cbranch_execnz .LBB253_544
; %bb.155:
	s_andn2_saveexec_b64 s[20:21], s[20:21]
	s_cbranch_execnz .LBB253_545
.LBB253_156:
	s_or_b64 exec, exec, s[20:21]
	v_mov_b32_e32 v11, 0
	s_and_saveexec_b64 s[20:21], s[18:19]
.LBB253_157:
	v_lshrrev_b32_e32 v1, 24, v1
	s_movk_i32 s18, 0x80
	v_and_or_b32 v11, v1, s18, v2
.LBB253_158:
	s_or_b64 exec, exec, s[20:21]
.LBB253_159:
	s_or_b64 exec, exec, s[16:17]
.LBB253_160:
	s_or_b64 exec, exec, s[14:15]
                                        ; implicit-def: $vgpr7_vgpr8
.LBB253_161:
	s_andn2_saveexec_b64 s[12:13], s[12:13]
	s_cbranch_execz .LBB253_169
; %bb.162:
	flat_load_dword v1, v[7:8]
	s_mov_b32 s14, 0x47800000
	s_waitcnt vmcnt(0) lgkmcnt(0)
	v_mov_b32_e32 v11, 0x80
	v_cvt_f32_f16_e32 v1, v1
	v_and_b32_e32 v2, 0x7fffffff, v1
	v_cmp_gt_u32_e32 vcc, s14, v2
	s_and_saveexec_b64 s[14:15], vcc
	s_cbranch_execz .LBB253_168
; %bb.163:
	s_mov_b32 s16, 0x37ffffff
	v_cmp_lt_u32_e32 vcc, s16, v2
	s_mov_b64 s[16:17], 0
                                        ; implicit-def: $vgpr2
	s_and_saveexec_b64 s[18:19], vcc
	s_xor_b64 s[18:19], exec, s[18:19]
	s_cbranch_execnz .LBB253_512
; %bb.164:
	s_andn2_saveexec_b64 s[18:19], s[18:19]
	s_cbranch_execnz .LBB253_513
.LBB253_165:
	s_or_b64 exec, exec, s[18:19]
	v_mov_b32_e32 v11, 0
	s_and_saveexec_b64 s[18:19], s[16:17]
.LBB253_166:
	v_lshrrev_b32_e32 v1, 24, v1
	s_movk_i32 s16, 0x80
	v_and_or_b32 v11, v1, s16, v2
.LBB253_167:
	s_or_b64 exec, exec, s[18:19]
.LBB253_168:
	s_or_b64 exec, exec, s[14:15]
.LBB253_169:
	s_or_b64 exec, exec, s[12:13]
                                        ; implicit-def: $vgpr7_vgpr8
.LBB253_170:
	s_andn2_saveexec_b64 s[10:11], s[10:11]
	s_cbranch_execz .LBB253_198
; %bb.171:
	v_cmp_lt_i16_e32 vcc, 5, v10
                                        ; implicit-def: $vgpr11
	s_and_saveexec_b64 s[12:13], vcc
	s_xor_b64 s[12:13], exec, s[12:13]
	s_cbranch_execz .LBB253_189
; %bb.172:
	v_cmp_lt_i16_e32 vcc, 6, v10
                                        ; implicit-def: $vgpr11
	s_and_saveexec_b64 s[14:15], vcc
	s_xor_b64 s[14:15], exec, s[14:15]
	s_cbranch_execz .LBB253_180
; %bb.173:
	flat_load_dwordx2 v[1:2], v[7:8]
	s_mov_b32 s16, 0x47800000
	s_waitcnt vmcnt(0) lgkmcnt(0)
	v_mov_b32_e32 v11, 0x80
	v_cvt_f32_f64_e32 v1, v[1:2]
	v_and_b32_e32 v2, 0x7fffffff, v1
	v_cmp_gt_u32_e32 vcc, s16, v2
	s_and_saveexec_b64 s[16:17], vcc
	s_cbranch_execz .LBB253_179
; %bb.174:
	s_mov_b32 s18, 0x37ffffff
	v_cmp_lt_u32_e32 vcc, s18, v2
	s_mov_b64 s[18:19], 0
                                        ; implicit-def: $vgpr2
	s_and_saveexec_b64 s[20:21], vcc
	s_xor_b64 s[20:21], exec, s[20:21]
	s_cbranch_execnz .LBB253_546
; %bb.175:
	s_andn2_saveexec_b64 s[20:21], s[20:21]
	s_cbranch_execnz .LBB253_547
.LBB253_176:
	s_or_b64 exec, exec, s[20:21]
	v_mov_b32_e32 v11, 0
	s_and_saveexec_b64 s[20:21], s[18:19]
.LBB253_177:
	v_lshrrev_b32_e32 v1, 24, v1
	s_movk_i32 s18, 0x80
	v_and_or_b32 v11, v1, s18, v2
.LBB253_178:
	s_or_b64 exec, exec, s[20:21]
.LBB253_179:
	s_or_b64 exec, exec, s[16:17]
                                        ; implicit-def: $vgpr7_vgpr8
.LBB253_180:
	s_andn2_saveexec_b64 s[14:15], s[14:15]
	s_cbranch_execz .LBB253_188
; %bb.181:
	flat_load_dword v1, v[7:8]
	s_mov_b32 s16, 0x47800000
	s_waitcnt vmcnt(0) lgkmcnt(0)
	v_mov_b32_e32 v11, 0x80
	v_and_b32_e32 v2, 0x7fffffff, v1
	v_cmp_gt_u32_e32 vcc, s16, v2
	s_and_saveexec_b64 s[16:17], vcc
	s_cbranch_execz .LBB253_187
; %bb.182:
	s_mov_b32 s18, 0x37ffffff
	v_cmp_lt_u32_e32 vcc, s18, v2
	s_mov_b64 s[18:19], 0
                                        ; implicit-def: $vgpr2
	s_and_saveexec_b64 s[20:21], vcc
	s_xor_b64 s[20:21], exec, s[20:21]
	s_cbranch_execnz .LBB253_548
; %bb.183:
	s_andn2_saveexec_b64 s[20:21], s[20:21]
	s_cbranch_execnz .LBB253_549
.LBB253_184:
	s_or_b64 exec, exec, s[20:21]
	v_mov_b32_e32 v11, 0
	s_and_saveexec_b64 s[20:21], s[18:19]
.LBB253_185:
	v_lshrrev_b32_e32 v1, 24, v1
	s_movk_i32 s18, 0x80
	v_and_or_b32 v11, v1, s18, v2
.LBB253_186:
	s_or_b64 exec, exec, s[20:21]
.LBB253_187:
	s_or_b64 exec, exec, s[16:17]
.LBB253_188:
	s_or_b64 exec, exec, s[14:15]
                                        ; implicit-def: $vgpr7_vgpr8
.LBB253_189:
	s_andn2_saveexec_b64 s[12:13], s[12:13]
	s_cbranch_execz .LBB253_197
; %bb.190:
	flat_load_ushort v1, v[7:8]
	s_mov_b32 s14, 0x47800000
	s_waitcnt vmcnt(0) lgkmcnt(0)
	v_mov_b32_e32 v11, 0x80
	v_cvt_f32_f16_e32 v1, v1
	v_and_b32_e32 v2, 0x7fffffff, v1
	v_cmp_gt_u32_e32 vcc, s14, v2
	s_and_saveexec_b64 s[14:15], vcc
	s_cbranch_execz .LBB253_196
; %bb.191:
	s_mov_b32 s16, 0x37ffffff
	v_cmp_lt_u32_e32 vcc, s16, v2
	s_mov_b64 s[16:17], 0
                                        ; implicit-def: $vgpr2
	s_and_saveexec_b64 s[18:19], vcc
	s_xor_b64 s[18:19], exec, s[18:19]
	s_cbranch_execnz .LBB253_514
; %bb.192:
	s_andn2_saveexec_b64 s[18:19], s[18:19]
	s_cbranch_execnz .LBB253_515
.LBB253_193:
	s_or_b64 exec, exec, s[18:19]
	v_mov_b32_e32 v11, 0
	s_and_saveexec_b64 s[18:19], s[16:17]
.LBB253_194:
	v_lshrrev_b32_e32 v1, 24, v1
	s_movk_i32 s16, 0x80
	v_and_or_b32 v11, v1, s16, v2
.LBB253_195:
	s_or_b64 exec, exec, s[18:19]
.LBB253_196:
	s_or_b64 exec, exec, s[14:15]
.LBB253_197:
	s_or_b64 exec, exec, s[12:13]
.LBB253_198:
	s_or_b64 exec, exec, s[10:11]
                                        ; implicit-def: $vgpr7_vgpr8
.LBB253_199:
	s_andn2_saveexec_b64 s[6:7], s[6:7]
	s_cbranch_execz .LBB253_247
; %bb.200:
	v_cmp_lt_i16_e32 vcc, 1, v10
                                        ; implicit-def: $vgpr11
	s_and_saveexec_b64 s[10:11], vcc
	s_xor_b64 s[10:11], exec, s[10:11]
	s_cbranch_execz .LBB253_228
; %bb.201:
	v_cmp_lt_i16_e32 vcc, 2, v10
                                        ; implicit-def: $vgpr11
	s_and_saveexec_b64 s[12:13], vcc
	s_xor_b64 s[12:13], exec, s[12:13]
	;; [unrolled: 6-line block ×3, first 2 shown]
	s_cbranch_execz .LBB253_210
; %bb.203:
	flat_load_dwordx2 v[1:2], v[7:8]
	s_mov_b32 s16, 0x47800000
	s_waitcnt vmcnt(0) lgkmcnt(0)
	v_mov_b32_e32 v11, 0x80
	v_xor_b32_e32 v4, v1, v2
	v_ffbh_i32_e32 v3, v2
	v_ashrrev_i32_e32 v4, 31, v4
	v_add_u32_e32 v3, -1, v3
	v_add_u32_e32 v4, 32, v4
	v_min_u32_e32 v3, v3, v4
	v_lshlrev_b64 v[1:2], v3, v[1:2]
	v_min_u32_e32 v1, 1, v1
	v_or_b32_e32 v1, v2, v1
	v_cvt_f32_i32_e32 v1, v1
	v_sub_u32_e32 v2, 32, v3
	v_ldexp_f32 v1, v1, v2
	v_and_b32_e32 v2, 0x7fffffff, v1
	v_cmp_gt_u32_e32 vcc, s16, v2
	s_and_saveexec_b64 s[16:17], vcc
	s_cbranch_execz .LBB253_209
; %bb.204:
	s_mov_b32 s18, 0x37ffffff
	v_cmp_lt_u32_e32 vcc, s18, v2
	s_mov_b64 s[18:19], 0
                                        ; implicit-def: $vgpr2
	s_and_saveexec_b64 s[20:21], vcc
	s_xor_b64 s[20:21], exec, s[20:21]
	s_cbranch_execnz .LBB253_550
; %bb.205:
	s_andn2_saveexec_b64 s[20:21], s[20:21]
	s_cbranch_execnz .LBB253_551
.LBB253_206:
	s_or_b64 exec, exec, s[20:21]
	v_mov_b32_e32 v11, 0
	s_and_saveexec_b64 s[20:21], s[18:19]
.LBB253_207:
	v_lshrrev_b32_e32 v1, 24, v1
	s_movk_i32 s18, 0x80
	v_and_or_b32 v11, v1, s18, v2
.LBB253_208:
	s_or_b64 exec, exec, s[20:21]
.LBB253_209:
	s_or_b64 exec, exec, s[16:17]
                                        ; implicit-def: $vgpr7_vgpr8
.LBB253_210:
	s_andn2_saveexec_b64 s[14:15], s[14:15]
	s_cbranch_execz .LBB253_218
; %bb.211:
	flat_load_dword v1, v[7:8]
	s_mov_b32 s16, 0x47800000
	s_waitcnt vmcnt(0) lgkmcnt(0)
	v_mov_b32_e32 v11, 0x80
	v_cvt_f32_i32_e32 v1, v1
	v_and_b32_e32 v2, 0x7fffffff, v1
	v_cmp_gt_u32_e32 vcc, s16, v2
	s_and_saveexec_b64 s[16:17], vcc
	s_cbranch_execz .LBB253_217
; %bb.212:
	s_mov_b32 s18, 0x37ffffff
	v_cmp_lt_u32_e32 vcc, s18, v2
	s_mov_b64 s[18:19], 0
                                        ; implicit-def: $vgpr2
	s_and_saveexec_b64 s[20:21], vcc
	s_xor_b64 s[20:21], exec, s[20:21]
	s_cbranch_execnz .LBB253_552
; %bb.213:
	s_andn2_saveexec_b64 s[20:21], s[20:21]
	s_cbranch_execnz .LBB253_553
.LBB253_214:
	s_or_b64 exec, exec, s[20:21]
	v_mov_b32_e32 v11, 0
	s_and_saveexec_b64 s[20:21], s[18:19]
.LBB253_215:
	v_lshrrev_b32_e32 v1, 24, v1
	s_movk_i32 s18, 0x80
	v_and_or_b32 v11, v1, s18, v2
.LBB253_216:
	s_or_b64 exec, exec, s[20:21]
.LBB253_217:
	s_or_b64 exec, exec, s[16:17]
.LBB253_218:
	s_or_b64 exec, exec, s[14:15]
                                        ; implicit-def: $vgpr7_vgpr8
.LBB253_219:
	s_andn2_saveexec_b64 s[12:13], s[12:13]
	s_cbranch_execz .LBB253_227
; %bb.220:
	flat_load_sshort v1, v[7:8]
	s_mov_b32 s14, 0x47800000
	s_waitcnt vmcnt(0) lgkmcnt(0)
	v_mov_b32_e32 v11, 0x80
	v_cvt_f32_i32_e32 v1, v1
	v_and_b32_e32 v2, 0x7fffffff, v1
	v_cmp_gt_u32_e32 vcc, s14, v2
	s_and_saveexec_b64 s[14:15], vcc
	s_cbranch_execz .LBB253_226
; %bb.221:
	s_mov_b32 s16, 0x37ffffff
	v_cmp_lt_u32_e32 vcc, s16, v2
	s_mov_b64 s[16:17], 0
                                        ; implicit-def: $vgpr2
	s_and_saveexec_b64 s[18:19], vcc
	s_xor_b64 s[18:19], exec, s[18:19]
	s_cbranch_execnz .LBB253_516
; %bb.222:
	s_andn2_saveexec_b64 s[18:19], s[18:19]
	s_cbranch_execnz .LBB253_517
.LBB253_223:
	s_or_b64 exec, exec, s[18:19]
	v_mov_b32_e32 v11, 0
	s_and_saveexec_b64 s[18:19], s[16:17]
.LBB253_224:
	v_lshrrev_b32_e32 v1, 24, v1
	s_movk_i32 s16, 0x80
	v_and_or_b32 v11, v1, s16, v2
.LBB253_225:
	s_or_b64 exec, exec, s[18:19]
.LBB253_226:
	s_or_b64 exec, exec, s[14:15]
.LBB253_227:
	s_or_b64 exec, exec, s[12:13]
                                        ; implicit-def: $vgpr7_vgpr8
.LBB253_228:
	s_andn2_saveexec_b64 s[10:11], s[10:11]
	s_cbranch_execz .LBB253_246
; %bb.229:
	v_cmp_lt_i16_e32 vcc, 0, v10
                                        ; implicit-def: $vgpr11
	s_and_saveexec_b64 s[12:13], vcc
	s_xor_b64 s[12:13], exec, s[12:13]
	s_cbranch_execz .LBB253_237
; %bb.230:
	flat_load_sbyte v1, v[7:8]
	s_mov_b32 s14, 0x47800000
	s_waitcnt vmcnt(0) lgkmcnt(0)
	v_mov_b32_e32 v11, 0x80
	v_cvt_f32_i32_e32 v1, v1
	v_and_b32_e32 v2, 0x7fffffff, v1
	v_cmp_gt_u32_e32 vcc, s14, v2
	s_and_saveexec_b64 s[14:15], vcc
	s_cbranch_execz .LBB253_236
; %bb.231:
	s_mov_b32 s16, 0x37ffffff
	v_cmp_lt_u32_e32 vcc, s16, v2
	s_mov_b64 s[16:17], 0
                                        ; implicit-def: $vgpr2
	s_and_saveexec_b64 s[18:19], vcc
	s_xor_b64 s[18:19], exec, s[18:19]
	s_cbranch_execnz .LBB253_518
; %bb.232:
	s_andn2_saveexec_b64 s[18:19], s[18:19]
	s_cbranch_execnz .LBB253_519
.LBB253_233:
	s_or_b64 exec, exec, s[18:19]
	v_mov_b32_e32 v11, 0
	s_and_saveexec_b64 s[18:19], s[16:17]
.LBB253_234:
	v_lshrrev_b32_e32 v1, 24, v1
	s_movk_i32 s16, 0x80
	v_and_or_b32 v11, v1, s16, v2
.LBB253_235:
	s_or_b64 exec, exec, s[18:19]
.LBB253_236:
	s_or_b64 exec, exec, s[14:15]
                                        ; implicit-def: $vgpr7_vgpr8
.LBB253_237:
	s_andn2_saveexec_b64 s[12:13], s[12:13]
	s_cbranch_execz .LBB253_245
; %bb.238:
	flat_load_ubyte v1, v[7:8]
	s_mov_b32 s14, 0x47800000
	s_waitcnt vmcnt(0) lgkmcnt(0)
	v_mov_b32_e32 v11, 0x80
	v_cvt_f32_ubyte0_e32 v2, v1
	v_cmp_gt_u32_e32 vcc, s14, v2
	s_and_saveexec_b64 s[14:15], vcc
	s_cbranch_execz .LBB253_244
; %bb.239:
	s_mov_b32 s16, 0x37ffffff
	v_cmp_lt_u32_e32 vcc, s16, v2
	s_mov_b64 s[16:17], 0
                                        ; implicit-def: $vgpr1
	s_and_saveexec_b64 s[18:19], vcc
	s_xor_b64 s[18:19], exec, s[18:19]
	s_cbranch_execnz .LBB253_520
; %bb.240:
	s_andn2_saveexec_b64 s[18:19], s[18:19]
	s_cbranch_execnz .LBB253_521
.LBB253_241:
	s_or_b64 exec, exec, s[18:19]
	v_mov_b32_e32 v11, 0
	s_and_saveexec_b64 s[18:19], s[16:17]
.LBB253_242:
	v_mov_b32_e32 v11, v1
.LBB253_243:
	s_or_b64 exec, exec, s[18:19]
.LBB253_244:
	s_or_b64 exec, exec, s[14:15]
.LBB253_245:
	s_or_b64 exec, exec, s[12:13]
.LBB253_246:
	s_or_b64 exec, exec, s[10:11]
.LBB253_247:
	s_or_b64 exec, exec, s[6:7]
	s_or_b64 s[8:9], s[8:9], exec
	s_or_b64 exec, exec, s[4:5]
                                        ; implicit-def: $sgpr6_sgpr7
	s_and_saveexec_b64 s[4:5], s[8:9]
	s_cbranch_execz .LBB253_126
.LBB253_248:
	v_cmp_ne_u32_e32 vcc, 0, v0
                                        ; implicit-def: $sgpr6_sgpr7
	s_and_saveexec_b64 s[8:9], vcc
	s_xor_b64 s[8:9], exec, s[8:9]
	s_cbranch_execz .LBB253_258
; %bb.249:
	s_movk_i32 s6, 0x7f
	s_waitcnt vmcnt(0) lgkmcnt(0)
	v_cmp_gt_i16_sdwa s[10:11], v9, s6 src0_sel:BYTE_0 src1_sel:DWORD
	s_mov_b64 s[6:7], 0
	s_and_saveexec_b64 s[12:13], s[10:11]
	s_xor_b64 s[10:11], exec, s[12:13]
	s_cbranch_execnz .LBB253_480
; %bb.250:
	s_or_saveexec_b64 s[10:11], s[10:11]
	v_mov_b32_e32 v0, 0x7f800001
	s_xor_b64 exec, exec, s[10:11]
	s_cbranch_execnz .LBB253_483
.LBB253_251:
	s_or_b64 exec, exec, s[10:11]
	s_and_saveexec_b64 s[10:11], s[6:7]
	s_cbranch_execz .LBB253_253
.LBB253_252:
	v_and_b32_e32 v1, 3, v9
	v_ffbh_u32_e32 v2, v1
	v_min_u32_e32 v2, 32, v2
	v_lshrrev_b16_e32 v0, 2, v9
	v_subrev_u32_e32 v3, 29, v2
	v_and_b32_e32 v0, 31, v0
	v_lshlrev_b32_e32 v3, v3, v9
	v_sub_u32_e32 v2, 30, v2
	v_and_b32_e32 v3, 3, v3
	v_cmp_eq_u32_e32 vcc, 0, v0
	v_cndmask_b32_e32 v0, v0, v2, vcc
	v_cndmask_b32_e32 v1, v1, v3, vcc
	v_lshlrev_b32_e32 v2, 24, v9
	v_mov_b32_e32 v3, 0x37800000
	v_lshlrev_b32_e32 v1, 21, v1
	v_and_b32_e32 v2, 0x80000000, v2
	v_lshl_add_u32 v0, v0, 23, v3
	v_or3_b32 v0, v2, v0, v1
.LBB253_253:
	s_or_b64 exec, exec, s[10:11]
	s_movk_i32 s6, 0x7f
	v_cmp_gt_i16_sdwa s[10:11], v11, s6 src0_sel:BYTE_0 src1_sel:DWORD
	s_mov_b64 s[6:7], 0
	s_and_saveexec_b64 s[12:13], s[10:11]
	s_xor_b64 s[10:11], exec, s[12:13]
	s_cbranch_execnz .LBB253_484
; %bb.254:
	s_or_saveexec_b64 s[10:11], s[10:11]
	v_mov_b32_e32 v1, 0x7f800001
	s_xor_b64 exec, exec, s[10:11]
	s_cbranch_execnz .LBB253_487
.LBB253_255:
	s_or_b64 exec, exec, s[10:11]
	s_and_saveexec_b64 s[10:11], s[6:7]
	s_cbranch_execz .LBB253_257
.LBB253_256:
	v_and_b32_e32 v2, 3, v11
	v_ffbh_u32_e32 v3, v2
	v_min_u32_e32 v3, 32, v3
	v_lshrrev_b16_e32 v1, 2, v11
	v_subrev_u32_e32 v4, 29, v3
	v_and_b32_e32 v1, 31, v1
	v_lshlrev_b32_e32 v4, v4, v11
	v_sub_u32_e32 v3, 30, v3
	v_and_b32_e32 v4, 3, v4
	v_cmp_eq_u32_e32 vcc, 0, v1
	v_cndmask_b32_e32 v1, v1, v3, vcc
	v_cndmask_b32_e32 v2, v2, v4, vcc
	v_lshlrev_b32_e32 v3, 24, v11
	v_mov_b32_e32 v4, 0x37800000
	v_lshlrev_b32_e32 v2, 21, v2
	v_and_b32_e32 v3, 0x80000000, v3
	v_lshl_add_u32 v1, v1, 23, v4
	v_or3_b32 v1, v3, v1, v2
.LBB253_257:
	s_or_b64 exec, exec, s[10:11]
	v_cmp_neq_f32_e64 s[6:7], v0, v1
                                        ; implicit-def: $vgpr11
                                        ; implicit-def: $vgpr9
.LBB253_258:
	s_andn2_saveexec_b64 s[8:9], s[8:9]
	s_cbranch_execz .LBB253_126
; %bb.259:
	s_movk_i32 s8, 0x7f
	s_waitcnt vmcnt(0) lgkmcnt(0)
	v_cmp_gt_i16_sdwa s[10:11], v9, s8 src0_sel:BYTE_0 src1_sel:DWORD
	s_mov_b64 s[8:9], 0
	s_and_saveexec_b64 s[12:13], s[10:11]
	s_xor_b64 s[10:11], exec, s[12:13]
	s_cbranch_execnz .LBB253_488
; %bb.260:
	s_or_saveexec_b64 s[10:11], s[10:11]
	v_mov_b32_e32 v0, 0x7f800001
	s_xor_b64 exec, exec, s[10:11]
	s_cbranch_execnz .LBB253_491
.LBB253_261:
	s_or_b64 exec, exec, s[10:11]
	s_and_saveexec_b64 s[10:11], s[8:9]
	s_cbranch_execz .LBB253_263
.LBB253_262:
	v_and_b32_e32 v1, 3, v9
	v_ffbh_u32_e32 v2, v1
	v_min_u32_e32 v2, 32, v2
	v_lshrrev_b16_e32 v0, 2, v9
	v_subrev_u32_e32 v3, 29, v2
	v_and_b32_e32 v0, 31, v0
	v_lshlrev_b32_e32 v3, v3, v9
	v_sub_u32_e32 v2, 30, v2
	v_and_b32_e32 v3, 3, v3
	v_cmp_eq_u32_e32 vcc, 0, v0
	v_cndmask_b32_e32 v0, v0, v2, vcc
	v_cndmask_b32_e32 v1, v1, v3, vcc
	v_lshlrev_b32_e32 v2, 24, v9
	v_mov_b32_e32 v3, 0x37800000
	v_lshlrev_b32_e32 v1, 21, v1
	v_and_b32_e32 v2, 0x80000000, v2
	v_lshl_add_u32 v0, v0, 23, v3
	v_or3_b32 v0, v2, v0, v1
.LBB253_263:
	s_or_b64 exec, exec, s[10:11]
	s_movk_i32 s8, 0x7f
	v_cmp_gt_i16_sdwa s[10:11], v11, s8 src0_sel:BYTE_0 src1_sel:DWORD
	s_mov_b64 s[8:9], 0
	s_and_saveexec_b64 s[12:13], s[10:11]
	s_xor_b64 s[10:11], exec, s[12:13]
	s_cbranch_execnz .LBB253_492
; %bb.264:
	s_or_saveexec_b64 s[10:11], s[10:11]
	v_mov_b32_e32 v1, 0x7f800001
	s_xor_b64 exec, exec, s[10:11]
	s_cbranch_execnz .LBB253_495
.LBB253_265:
	s_or_b64 exec, exec, s[10:11]
	s_and_saveexec_b64 s[10:11], s[8:9]
	s_cbranch_execz .LBB253_267
.LBB253_266:
	v_and_b32_e32 v2, 3, v11
	v_ffbh_u32_e32 v3, v2
	v_min_u32_e32 v3, 32, v3
	v_lshrrev_b16_e32 v1, 2, v11
	v_subrev_u32_e32 v4, 29, v3
	v_and_b32_e32 v1, 31, v1
	v_lshlrev_b32_e32 v4, v4, v11
	v_sub_u32_e32 v3, 30, v3
	v_and_b32_e32 v4, 3, v4
	v_cmp_eq_u32_e32 vcc, 0, v1
	v_cndmask_b32_e32 v1, v1, v3, vcc
	v_cndmask_b32_e32 v2, v2, v4, vcc
	v_lshlrev_b32_e32 v3, 24, v11
	v_mov_b32_e32 v4, 0x37800000
	v_lshlrev_b32_e32 v2, 21, v2
	v_and_b32_e32 v3, 0x80000000, v3
	v_lshl_add_u32 v1, v1, 23, v4
	v_or3_b32 v1, v3, v1, v2
.LBB253_267:
	s_or_b64 exec, exec, s[10:11]
	v_cmp_eq_f32_e32 vcc, v0, v1
	s_andn2_b64 s[6:7], s[6:7], exec
	s_and_b64 s[8:9], vcc, exec
	s_or_b64 s[6:7], s[6:7], s[8:9]
	s_or_b64 exec, exec, s[4:5]
	v_cndmask_b32_e64 v0, 0, 1, s[6:7]
	s_setpc_b64 s[30:31]
.LBB253_268:
	v_cmp_lt_i16_e32 vcc, 28, v10
	s_mov_b64 s[14:15], 0
                                        ; implicit-def: $vgpr9
	s_and_saveexec_b64 s[10:11], vcc
	s_xor_b64 s[10:11], exec, s[10:11]
	s_cbranch_execz .LBB253_302
; %bb.269:
	v_cmp_lt_i16_e32 vcc, 43, v10
	s_mov_b64 s[16:17], 0
	s_mov_b64 s[18:19], 0
                                        ; implicit-def: $vgpr9
	s_and_saveexec_b64 s[12:13], vcc
	s_xor_b64 s[12:13], exec, s[12:13]
	s_cbranch_execz .LBB253_291
; %bb.270:
	v_cmp_lt_i16_e32 vcc, 45, v10
                                        ; implicit-def: $vgpr9
	s_and_saveexec_b64 s[18:19], vcc
	s_xor_b64 s[18:19], exec, s[18:19]
	s_cbranch_execz .LBB253_280
; %bb.271:
	v_cmp_eq_u16_e32 vcc, 46, v10
	s_mov_b64 s[20:21], -1
                                        ; implicit-def: $vgpr9
	s_and_saveexec_b64 s[14:15], vcc
	s_cbranch_execz .LBB253_279
; %bb.272:
	flat_load_dword v9, v[7:8]
	s_mov_b32 s16, 0x47800000
	s_waitcnt vmcnt(0) lgkmcnt(0)
	v_lshlrev_b32_e32 v10, 16, v9
	v_and_b32_e32 v11, 0x7fffffff, v10
	v_cmp_gt_u32_e32 vcc, s16, v11
	v_mov_b32_e32 v9, 0x80
	s_and_saveexec_b64 s[16:17], vcc
	s_cbranch_execz .LBB253_278
; %bb.273:
	s_mov_b32 s20, 0x37ffffff
	v_cmp_lt_u32_e32 vcc, s20, v11
	s_mov_b64 s[20:21], 0
                                        ; implicit-def: $vgpr11
	s_and_saveexec_b64 s[22:23], vcc
	s_xor_b64 s[22:23], exec, s[22:23]
	s_cbranch_execnz .LBB253_568
; %bb.274:
	s_andn2_saveexec_b64 s[22:23], s[22:23]
	s_cbranch_execnz .LBB253_569
.LBB253_275:
	s_or_b64 exec, exec, s[22:23]
	v_mov_b32_e32 v9, 0
	s_and_saveexec_b64 s[22:23], s[20:21]
.LBB253_276:
	v_lshrrev_b32_e32 v9, 24, v10
	s_movk_i32 s20, 0x80
	v_and_or_b32 v9, v9, s20, v11
.LBB253_277:
	s_or_b64 exec, exec, s[22:23]
.LBB253_278:
	s_or_b64 exec, exec, s[16:17]
	s_mov_b64 s[16:17], exec
	s_xor_b64 s[20:21], exec, -1
.LBB253_279:
	s_or_b64 exec, exec, s[14:15]
	s_and_b64 s[16:17], s[16:17], exec
	s_and_b64 s[14:15], s[20:21], exec
                                        ; implicit-def: $vgpr10
.LBB253_280:
	s_andn2_saveexec_b64 s[18:19], s[18:19]
	s_cbranch_execz .LBB253_290
; %bb.281:
	v_cmp_eq_u16_e32 vcc, 44, v10
	s_mov_b64 s[22:23], -1
	s_mov_b64 s[24:25], s[16:17]
                                        ; implicit-def: $vgpr9
	s_and_saveexec_b64 s[20:21], vcc
	s_cbranch_execz .LBB253_289
; %bb.282:
	flat_load_ubyte v9, v[7:8]
	s_movk_i32 s22, 0xff
	v_mov_b32_e32 v10, 0x7f800001
	v_mov_b32_e32 v11, 0x400000
	s_mov_b32 s23, 0x47800000
	s_waitcnt vmcnt(0) lgkmcnt(0)
	v_lshlrev_b32_e32 v12, 23, v9
	v_cmp_ne_u32_e32 vcc, s22, v9
	v_cndmask_b32_e32 v10, v10, v12, vcc
	v_cmp_ne_u32_e32 vcc, 0, v9
	v_cndmask_b32_e32 v11, v11, v10, vcc
	v_cmp_gt_u32_e32 vcc, s23, v11
	v_mov_b32_e32 v9, 0x80
	s_and_saveexec_b64 s[22:23], vcc
	s_cbranch_execz .LBB253_288
; %bb.283:
	s_mov_b32 s24, 0x37ffffff
	v_cmp_lt_u32_e32 vcc, s24, v11
	s_mov_b64 s[24:25], 0
                                        ; implicit-def: $vgpr10
	s_and_saveexec_b64 s[26:27], vcc
	s_xor_b64 s[26:27], exec, s[26:27]
	s_cbranch_execnz .LBB253_570
; %bb.284:
	s_andn2_saveexec_b64 s[26:27], s[26:27]
	s_cbranch_execnz .LBB253_571
.LBB253_285:
	s_or_b64 exec, exec, s[26:27]
	v_mov_b32_e32 v9, 0
	s_and_saveexec_b64 s[26:27], s[24:25]
.LBB253_286:
	v_mov_b32_e32 v9, v10
.LBB253_287:
	s_or_b64 exec, exec, s[26:27]
.LBB253_288:
	s_or_b64 exec, exec, s[22:23]
	s_or_b64 s[24:25], s[16:17], exec
	s_xor_b64 s[22:23], exec, -1
.LBB253_289:
	s_or_b64 exec, exec, s[20:21]
	s_andn2_b64 s[16:17], s[16:17], exec
	s_and_b64 s[20:21], s[24:25], exec
	s_or_b64 s[16:17], s[16:17], s[20:21]
	s_andn2_b64 s[14:15], s[14:15], exec
	s_and_b64 s[20:21], s[22:23], exec
	s_or_b64 s[14:15], s[14:15], s[20:21]
.LBB253_290:
	s_or_b64 exec, exec, s[18:19]
	s_and_b64 s[18:19], s[16:17], exec
	s_and_b64 s[16:17], s[14:15], exec
                                        ; implicit-def: $vgpr10
.LBB253_291:
	s_andn2_saveexec_b64 s[12:13], s[12:13]
	s_cbranch_execz .LBB253_301
; %bb.292:
	v_cmp_eq_u16_e32 vcc, 29, v10
	s_mov_b64 s[20:21], -1
	s_mov_b64 s[22:23], s[18:19]
                                        ; implicit-def: $vgpr9
	s_and_saveexec_b64 s[14:15], vcc
	s_cbranch_execz .LBB253_300
; %bb.293:
	flat_load_dwordx2 v[9:10], v[7:8]
	s_mov_b32 s20, 0x47800000
	s_waitcnt vmcnt(0) lgkmcnt(0)
	v_ffbh_u32_e32 v11, v10
	v_min_u32_e32 v11, 32, v11
	v_lshlrev_b64 v[9:10], v11, v[9:10]
	v_min_u32_e32 v9, 1, v9
	v_or_b32_e32 v9, v10, v9
	v_cvt_f32_u32_e32 v9, v9
	v_sub_u32_e32 v10, 32, v11
	v_ldexp_f32 v11, v9, v10
	v_cmp_gt_u32_e32 vcc, s20, v11
	v_mov_b32_e32 v9, 0x80
	s_and_saveexec_b64 s[20:21], vcc
	s_cbranch_execz .LBB253_299
; %bb.294:
	s_mov_b32 s22, 0x37ffffff
	v_cmp_lt_u32_e32 vcc, s22, v11
	s_mov_b64 s[22:23], 0
                                        ; implicit-def: $vgpr10
	s_and_saveexec_b64 s[24:25], vcc
	s_xor_b64 s[24:25], exec, s[24:25]
	s_cbranch_execnz .LBB253_554
; %bb.295:
	s_andn2_saveexec_b64 s[24:25], s[24:25]
	s_cbranch_execnz .LBB253_555
.LBB253_296:
	s_or_b64 exec, exec, s[24:25]
	v_mov_b32_e32 v9, 0
	s_and_saveexec_b64 s[24:25], s[22:23]
.LBB253_297:
	v_mov_b32_e32 v9, v10
.LBB253_298:
	s_or_b64 exec, exec, s[24:25]
.LBB253_299:
	s_or_b64 exec, exec, s[20:21]
	s_or_b64 s[22:23], s[18:19], exec
	s_xor_b64 s[20:21], exec, -1
.LBB253_300:
	s_or_b64 exec, exec, s[14:15]
	s_andn2_b64 s[14:15], s[18:19], exec
	s_and_b64 s[18:19], s[22:23], exec
	s_or_b64 s[18:19], s[14:15], s[18:19]
	s_andn2_b64 s[14:15], s[16:17], exec
	s_and_b64 s[16:17], s[20:21], exec
	s_or_b64 s[16:17], s[14:15], s[16:17]
.LBB253_301:
	s_or_b64 exec, exec, s[12:13]
	s_and_b64 s[14:15], s[18:19], exec
	s_and_b64 s[12:13], s[16:17], exec
                                        ; implicit-def: $vgpr10
.LBB253_302:
	s_andn2_saveexec_b64 s[10:11], s[10:11]
	s_cbranch_execz .LBB253_334
; %bb.303:
	v_cmp_lt_i16_e32 vcc, 26, v10
                                        ; implicit-def: $vgpr9
	s_and_saveexec_b64 s[16:17], vcc
	s_xor_b64 s[16:17], exec, s[16:17]
	s_cbranch_execz .LBB253_321
; %bb.304:
	v_cmp_lt_i16_e32 vcc, 27, v10
                                        ; implicit-def: $vgpr9
	s_and_saveexec_b64 s[18:19], vcc
	s_xor_b64 s[18:19], exec, s[18:19]
	s_cbranch_execz .LBB253_312
; %bb.305:
	flat_load_dword v9, v[7:8]
	s_mov_b32 s20, 0x47800000
	s_waitcnt vmcnt(0) lgkmcnt(0)
	v_cvt_f32_u32_e32 v11, v9
	v_mov_b32_e32 v9, 0x80
	v_cmp_gt_u32_e32 vcc, s20, v11
	s_and_saveexec_b64 s[20:21], vcc
	s_cbranch_execz .LBB253_311
; %bb.306:
	s_mov_b32 s22, 0x37ffffff
	v_cmp_lt_u32_e32 vcc, s22, v11
	s_mov_b64 s[22:23], 0
                                        ; implicit-def: $vgpr10
	s_and_saveexec_b64 s[24:25], vcc
	s_xor_b64 s[24:25], exec, s[24:25]
	s_cbranch_execnz .LBB253_556
; %bb.307:
	s_andn2_saveexec_b64 s[24:25], s[24:25]
	s_cbranch_execnz .LBB253_557
.LBB253_308:
	s_or_b64 exec, exec, s[24:25]
	v_mov_b32_e32 v9, 0
	s_and_saveexec_b64 s[24:25], s[22:23]
.LBB253_309:
	v_mov_b32_e32 v9, v10
.LBB253_310:
	s_or_b64 exec, exec, s[24:25]
.LBB253_311:
	s_or_b64 exec, exec, s[20:21]
.LBB253_312:
	s_andn2_saveexec_b64 s[18:19], s[18:19]
	s_cbranch_execz .LBB253_320
; %bb.313:
	flat_load_ushort v9, v[7:8]
	s_mov_b32 s20, 0x47800000
	s_waitcnt vmcnt(0) lgkmcnt(0)
	v_cvt_f32_u32_e32 v11, v9
	v_mov_b32_e32 v9, 0x80
	v_cmp_gt_u32_e32 vcc, s20, v11
	s_and_saveexec_b64 s[20:21], vcc
	s_cbranch_execz .LBB253_319
; %bb.314:
	s_mov_b32 s22, 0x37ffffff
	v_cmp_lt_u32_e32 vcc, s22, v11
	s_mov_b64 s[22:23], 0
                                        ; implicit-def: $vgpr10
	s_and_saveexec_b64 s[24:25], vcc
	s_xor_b64 s[24:25], exec, s[24:25]
	s_cbranch_execnz .LBB253_558
; %bb.315:
	s_andn2_saveexec_b64 s[24:25], s[24:25]
	s_cbranch_execnz .LBB253_559
.LBB253_316:
	s_or_b64 exec, exec, s[24:25]
	v_mov_b32_e32 v9, 0
	s_and_saveexec_b64 s[24:25], s[22:23]
.LBB253_317:
	v_mov_b32_e32 v9, v10
.LBB253_318:
	s_or_b64 exec, exec, s[24:25]
.LBB253_319:
	s_or_b64 exec, exec, s[20:21]
.LBB253_320:
	s_or_b64 exec, exec, s[18:19]
.LBB253_321:
	s_andn2_saveexec_b64 s[16:17], s[16:17]
	s_cbranch_execz .LBB253_333
; %bb.322:
	flat_load_ubyte v9, v[7:8]
	s_movk_i32 s18, 0x7f
	s_waitcnt vmcnt(0) lgkmcnt(0)
	v_cmp_lt_i16_e32 vcc, s18, v9
	s_mov_b64 s[18:19], 0
	s_and_saveexec_b64 s[20:21], vcc
	s_xor_b64 s[20:21], exec, s[20:21]
	s_cbranch_execnz .LBB253_498
; %bb.323:
	s_or_saveexec_b64 s[20:21], s[20:21]
	v_mov_b32_e32 v10, 0x7f800001
	s_xor_b64 exec, exec, s[20:21]
	s_cbranch_execnz .LBB253_501
.LBB253_324:
	s_or_b64 exec, exec, s[20:21]
	s_and_saveexec_b64 s[20:21], s[18:19]
	s_cbranch_execz .LBB253_326
.LBB253_325:
	v_lshlrev_b32_e32 v10, 24, v9
	v_and_b32_e32 v9, 0xffff, v9
	v_and_b32_e32 v11, 7, v9
	v_ffbh_u32_e32 v13, v11
	v_min_u32_e32 v13, 32, v13
	v_subrev_u32_e32 v14, 28, v13
	v_bfe_u32 v12, v9, 3, 4
	v_lshlrev_b32_e32 v9, v14, v9
	v_sub_u32_e32 v13, 29, v13
	v_and_b32_e32 v9, 7, v9
	v_cmp_eq_u32_e32 vcc, 0, v12
	v_cndmask_b32_e32 v12, v12, v13, vcc
	v_cndmask_b32_e32 v9, v11, v9, vcc
	v_mov_b32_e32 v11, 0x3b800000
	v_lshlrev_b32_e32 v9, 20, v9
	v_and_b32_e32 v10, 0x80000000, v10
	v_lshl_add_u32 v11, v12, 23, v11
	v_or3_b32 v10, v10, v11, v9
.LBB253_326:
	s_or_b64 exec, exec, s[20:21]
	v_and_b32_e32 v11, 0x7fffffff, v10
	s_mov_b32 s18, 0x47800000
	v_cmp_gt_u32_e32 vcc, s18, v11
	v_mov_b32_e32 v9, 0x80
	s_and_saveexec_b64 s[18:19], vcc
	s_cbranch_execz .LBB253_332
; %bb.327:
	s_mov_b32 s20, 0x37ffffff
	v_cmp_lt_u32_e32 vcc, s20, v11
	s_mov_b64 s[20:21], 0
                                        ; implicit-def: $vgpr11
	s_and_saveexec_b64 s[22:23], vcc
	s_xor_b64 s[22:23], exec, s[22:23]
	s_cbranch_execnz .LBB253_522
; %bb.328:
	s_andn2_saveexec_b64 s[22:23], s[22:23]
	s_cbranch_execnz .LBB253_523
.LBB253_329:
	s_or_b64 exec, exec, s[22:23]
	v_mov_b32_e32 v9, 0
	s_and_saveexec_b64 s[22:23], s[20:21]
.LBB253_330:
	v_lshrrev_b32_e32 v9, 24, v10
	s_movk_i32 s20, 0x80
	v_and_or_b32 v9, v9, s20, v11
.LBB253_331:
	s_or_b64 exec, exec, s[22:23]
.LBB253_332:
	s_or_b64 exec, exec, s[18:19]
.LBB253_333:
	s_or_b64 exec, exec, s[16:17]
	s_or_b64 s[14:15], s[14:15], exec
.LBB253_334:
	s_or_b64 exec, exec, s[10:11]
	s_and_b64 s[10:11], s[14:15], exec
	s_and_b64 s[12:13], s[12:13], exec
                                        ; implicit-def: $vgpr10
	s_andn2_saveexec_b64 s[8:9], s[8:9]
	s_cbranch_execz .LBB253_3
.LBB253_335:
	v_cmp_lt_i16_e32 vcc, 22, v10
	s_mov_b64 s[14:15], s[10:11]
                                        ; implicit-def: $vgpr9
	s_and_saveexec_b64 s[4:5], vcc
	s_xor_b64 s[4:5], exec, s[4:5]
	s_cbranch_execz .LBB253_357
; %bb.336:
	v_cmp_lt_i16_e32 vcc, 23, v10
                                        ; implicit-def: $vgpr9
	s_and_saveexec_b64 s[14:15], vcc
	s_xor_b64 s[14:15], exec, s[14:15]
	s_cbranch_execz .LBB253_348
; %bb.337:
	v_cmp_lt_i16_e32 vcc, 24, v10
                                        ; implicit-def: $vgpr9
	s_and_saveexec_b64 s[16:17], vcc
	s_xor_b64 s[16:17], exec, s[16:17]
	s_cbranch_execz .LBB253_339
; %bb.338:
	flat_load_ubyte v9, v[7:8]
.LBB253_339:
	s_andn2_saveexec_b64 s[16:17], s[16:17]
	s_cbranch_execz .LBB253_347
; %bb.340:
	s_waitcnt vmcnt(0) lgkmcnt(0)
	flat_load_ubyte v9, v[7:8]
	s_mov_b32 s18, 0x7f800000
	s_brev_b32 s19, 1
	s_mov_b32 s20, 0x47800000
	s_waitcnt vmcnt(0) lgkmcnt(0)
	v_lshlrev_b32_e32 v9, 24, v9
	v_and_b32_e32 v10, 0x7f000000, v9
	v_ffbh_u32_e32 v11, v10
	v_min_u32_e32 v11, 32, v11
	v_sub_u32_e64 v11, v11, 4 clamp
	v_lshlrev_b32_e32 v13, v11, v10
	v_lshlrev_b32_e32 v11, 23, v11
	v_lshrrev_b32_e32 v13, 4, v13
	v_add_u32_e32 v12, 0x1000000, v10
	v_sub_u32_e32 v11, v13, v11
	v_ashrrev_i32_e32 v12, 8, v12
	v_add_u32_e32 v11, 0x3c000000, v11
	v_and_or_b32 v11, v12, s18, v11
	v_cmp_ne_u32_e32 vcc, 0, v10
	v_cndmask_b32_e32 v12, 0, v11, vcc
	v_and_or_b32 v10, v9, s19, v12
	v_and_b32_e32 v11, 0x7fffffff, v10
	v_cmp_gt_u32_e32 vcc, s20, v11
	v_mov_b32_e32 v9, 0x80
	s_and_saveexec_b64 s[18:19], vcc
	s_cbranch_execz .LBB253_346
; %bb.341:
	s_mov_b32 s20, 0x37ffffff
	v_cmp_lt_u32_e32 vcc, s20, v11
	s_mov_b64 s[20:21], 0
                                        ; implicit-def: $vgpr11
	s_and_saveexec_b64 s[22:23], vcc
	s_xor_b64 s[22:23], exec, s[22:23]
	s_cbranch_execnz .LBB253_560
; %bb.342:
	s_andn2_saveexec_b64 s[22:23], s[22:23]
	s_cbranch_execnz .LBB253_561
.LBB253_343:
	s_or_b64 exec, exec, s[22:23]
	v_mov_b32_e32 v9, 0
	s_and_saveexec_b64 s[22:23], s[20:21]
.LBB253_344:
	v_lshrrev_b32_e32 v9, 24, v10
	s_movk_i32 s20, 0x80
	v_and_or_b32 v9, v9, s20, v11
.LBB253_345:
	s_or_b64 exec, exec, s[22:23]
.LBB253_346:
	s_or_b64 exec, exec, s[18:19]
.LBB253_347:
	s_or_b64 exec, exec, s[16:17]
.LBB253_348:
	s_andn2_saveexec_b64 s[14:15], s[14:15]
	s_cbranch_execz .LBB253_356
; %bb.349:
	s_waitcnt vmcnt(0) lgkmcnt(0)
	flat_load_ubyte v9, v[7:8]
	s_movk_i32 s16, 0x7f00
	s_brev_b32 s17, 16
	s_brev_b32 s18, 1
	s_mov_b32 s19, 0x47800000
	s_waitcnt vmcnt(0) lgkmcnt(0)
	v_lshlrev_b16_e32 v10, 8, v9
	v_lshlrev_b32_e32 v9, 25, v9
	v_lshrrev_b32_e32 v11, 4, v9
	v_and_or_b32 v12, v10, s16, 0.5
	v_or_b32_e32 v11, 0x70000000, v11
	v_add_f32_e32 v12, -0.5, v12
	v_mul_f32_e32 v11, 0x7800000, v11
	v_cmp_gt_u32_e32 vcc, s17, v9
	v_bfe_i32 v10, v10, 0, 16
	v_cndmask_b32_e32 v12, v11, v12, vcc
	v_and_or_b32 v10, v10, s18, v12
	v_and_b32_e32 v11, 0x7fffffff, v10
	v_cmp_gt_u32_e32 vcc, s19, v11
	v_mov_b32_e32 v9, 0x80
	s_and_saveexec_b64 s[16:17], vcc
	s_cbranch_execz .LBB253_355
; %bb.350:
	s_mov_b32 s18, 0x37ffffff
	v_cmp_lt_u32_e32 vcc, s18, v11
	s_mov_b64 s[18:19], 0
                                        ; implicit-def: $vgpr11
	s_and_saveexec_b64 s[20:21], vcc
	s_xor_b64 s[20:21], exec, s[20:21]
	s_cbranch_execnz .LBB253_524
; %bb.351:
	s_andn2_saveexec_b64 s[20:21], s[20:21]
	s_cbranch_execnz .LBB253_525
.LBB253_352:
	s_or_b64 exec, exec, s[20:21]
	v_mov_b32_e32 v9, 0
	s_and_saveexec_b64 s[20:21], s[18:19]
.LBB253_353:
	v_lshrrev_b32_e32 v9, 24, v10
	s_movk_i32 s18, 0x80
	v_and_or_b32 v9, v9, s18, v11
.LBB253_354:
	s_or_b64 exec, exec, s[20:21]
.LBB253_355:
	s_or_b64 exec, exec, s[16:17]
.LBB253_356:
	s_or_b64 exec, exec, s[14:15]
	s_or_b64 s[14:15], s[10:11], exec
                                        ; implicit-def: $vgpr10
.LBB253_357:
	s_or_saveexec_b64 s[4:5], s[4:5]
	s_mov_b64 s[16:17], 0
	s_mov_b64 s[18:19], s[12:13]
	s_xor_b64 exec, exec, s[4:5]
	s_cbranch_execz .LBB253_371
; %bb.358:
	v_cmp_lt_i16_e32 vcc, 14, v10
	s_mov_b64 s[18:19], s[12:13]
	s_mov_b64 s[20:21], s[14:15]
                                        ; implicit-def: $vgpr9
	s_and_saveexec_b64 s[16:17], vcc
	s_xor_b64 s[16:17], exec, s[16:17]
	s_cbranch_execz .LBB253_368
; %bb.359:
	v_cmp_eq_u16_e32 vcc, 15, v10
	s_mov_b64 s[22:23], -1
	s_mov_b64 s[20:21], s[14:15]
                                        ; implicit-def: $vgpr9
	s_and_saveexec_b64 s[18:19], vcc
	s_cbranch_execz .LBB253_367
; %bb.360:
	flat_load_ushort v10, v[7:8]
	s_mov_b32 s20, 0x47800000
	s_waitcnt vmcnt(0) lgkmcnt(0)
	v_mov_b32_e32 v9, 0x80
	v_lshlrev_b32_e32 v12, 16, v10
	v_and_b32_e32 v11, 0x7fffffff, v12
	v_cmp_gt_u32_e32 vcc, s20, v11
	s_and_saveexec_b64 s[20:21], vcc
	s_cbranch_execz .LBB253_366
; %bb.361:
	s_mov_b32 s22, 0x37ffffff
	v_cmp_lt_u32_e32 vcc, s22, v11
	s_mov_b64 s[22:23], 0
                                        ; implicit-def: $vgpr11
	s_and_saveexec_b64 s[24:25], vcc
	s_xor_b64 s[24:25], exec, s[24:25]
	s_cbranch_execnz .LBB253_562
; %bb.362:
	s_andn2_saveexec_b64 s[24:25], s[24:25]
	s_cbranch_execnz .LBB253_563
.LBB253_363:
	s_or_b64 exec, exec, s[24:25]
	v_mov_b32_e32 v9, 0
	s_and_saveexec_b64 s[24:25], s[22:23]
.LBB253_364:
	v_lshrrev_b32_e32 v9, 8, v10
	s_movk_i32 s22, 0x80
	v_and_or_b32 v9, v9, s22, v11
.LBB253_365:
	s_or_b64 exec, exec, s[24:25]
.LBB253_366:
	s_or_b64 exec, exec, s[20:21]
	s_or_b64 s[20:21], s[14:15], exec
	s_xor_b64 s[22:23], exec, -1
.LBB253_367:
	s_or_b64 exec, exec, s[18:19]
	s_andn2_b64 s[18:19], s[14:15], exec
	s_and_b64 s[20:21], s[20:21], exec
	s_or_b64 s[20:21], s[18:19], s[20:21]
	s_andn2_b64 s[18:19], s[12:13], exec
	s_and_b64 s[22:23], s[22:23], exec
	s_or_b64 s[18:19], s[18:19], s[22:23]
                                        ; implicit-def: $vgpr10
.LBB253_368:
	s_or_saveexec_b64 s[16:17], s[16:17]
	s_mov_b64 s[22:23], 0
	s_xor_b64 exec, exec, s[16:17]
; %bb.369:
	v_cmp_ne_u16_e32 vcc, 11, v10
	s_andn2_b64 s[18:19], s[18:19], exec
	s_and_b64 s[24:25], vcc, exec
	s_mov_b64 s[22:23], exec
	s_or_b64 s[18:19], s[18:19], s[24:25]
; %bb.370:
	s_or_b64 exec, exec, s[16:17]
	s_andn2_b64 s[14:15], s[14:15], exec
	s_and_b64 s[16:17], s[20:21], exec
	s_andn2_b64 s[20:21], s[12:13], exec
	s_and_b64 s[18:19], s[18:19], exec
	s_or_b64 s[14:15], s[14:15], s[16:17]
	s_and_b64 s[16:17], s[22:23], exec
	s_or_b64 s[18:19], s[20:21], s[18:19]
.LBB253_371:
	s_or_b64 exec, exec, s[4:5]
	s_andn2_b64 s[4:5], s[10:11], exec
	s_and_b64 s[10:11], s[14:15], exec
	s_andn2_b64 s[12:13], s[12:13], exec
	s_and_b64 s[14:15], s[18:19], exec
	s_or_b64 s[10:11], s[4:5], s[10:11]
	s_and_b64 s[4:5], s[16:17], exec
	s_or_b64 s[12:13], s[12:13], s[14:15]
	s_or_b64 exec, exec, s[8:9]
	s_mov_b64 s[8:9], 0
	s_and_saveexec_b64 s[14:15], s[12:13]
	s_cbranch_execz .LBB253_4
.LBB253_372:
	s_mov_b64 s[8:9], exec
	s_trap 2
	s_andn2_b64 s[4:5], s[4:5], exec
	s_or_b64 exec, exec, s[14:15]
	s_and_saveexec_b64 s[12:13], s[4:5]
	s_xor_b64 s[4:5], exec, s[12:13]
	s_cbranch_execnz .LBB253_5
	s_branch .LBB253_12
.LBB253_373:
	v_cmp_lt_i16_e32 vcc, 28, v10
	s_mov_b64 s[18:19], 0
                                        ; implicit-def: $vgpr11
	s_and_saveexec_b64 s[14:15], vcc
	s_xor_b64 s[14:15], exec, s[14:15]
	s_cbranch_execz .LBB253_407
; %bb.374:
	v_cmp_lt_i16_e32 vcc, 43, v10
	s_mov_b64 s[20:21], 0
	s_mov_b64 s[22:23], 0
                                        ; implicit-def: $vgpr11
	s_and_saveexec_b64 s[16:17], vcc
	s_xor_b64 s[16:17], exec, s[16:17]
	s_cbranch_execz .LBB253_396
; %bb.375:
	v_cmp_lt_i16_e32 vcc, 45, v10
                                        ; implicit-def: $vgpr11
	s_and_saveexec_b64 s[22:23], vcc
	s_xor_b64 s[22:23], exec, s[22:23]
	s_cbranch_execz .LBB253_385
; %bb.376:
	v_cmp_eq_u16_e32 vcc, 46, v10
	s_mov_b64 s[24:25], -1
                                        ; implicit-def: $vgpr11
	s_and_saveexec_b64 s[18:19], vcc
	s_cbranch_execz .LBB253_384
; %bb.377:
	flat_load_dword v1, v[7:8]
	s_mov_b32 s20, 0x47800000
	v_mov_b32_e32 v11, 0x80
	s_waitcnt vmcnt(0) lgkmcnt(0)
	v_lshlrev_b32_e32 v1, 16, v1
	v_and_b32_e32 v2, 0x7fffffff, v1
	v_cmp_gt_u32_e32 vcc, s20, v2
	s_and_saveexec_b64 s[20:21], vcc
	s_cbranch_execz .LBB253_383
; %bb.378:
	s_mov_b32 s24, 0x37ffffff
	v_cmp_lt_u32_e32 vcc, s24, v2
	s_mov_b64 s[24:25], 0
                                        ; implicit-def: $vgpr2
	s_and_saveexec_b64 s[26:27], vcc
	s_xor_b64 s[26:27], exec, s[26:27]
	s_cbranch_execnz .LBB253_582
; %bb.379:
	s_andn2_saveexec_b64 s[26:27], s[26:27]
	s_cbranch_execnz .LBB253_583
.LBB253_380:
	s_or_b64 exec, exec, s[26:27]
	v_mov_b32_e32 v11, 0
	s_and_saveexec_b64 s[26:27], s[24:25]
.LBB253_381:
	v_lshrrev_b32_e32 v1, 24, v1
	s_movk_i32 s24, 0x80
	v_and_or_b32 v11, v1, s24, v2
.LBB253_382:
	s_or_b64 exec, exec, s[26:27]
.LBB253_383:
	s_or_b64 exec, exec, s[20:21]
	s_mov_b64 s[20:21], exec
	s_xor_b64 s[24:25], exec, -1
.LBB253_384:
	s_or_b64 exec, exec, s[18:19]
	s_and_b64 s[20:21], s[20:21], exec
	s_and_b64 s[18:19], s[24:25], exec
.LBB253_385:
	s_andn2_saveexec_b64 s[22:23], s[22:23]
	s_cbranch_execz .LBB253_395
; %bb.386:
	v_cmp_eq_u16_e32 vcc, 44, v10
	s_mov_b64 s[26:27], -1
	s_mov_b64 s[28:29], s[20:21]
                                        ; implicit-def: $vgpr11
	s_and_saveexec_b64 s[24:25], vcc
	s_cbranch_execz .LBB253_394
; %bb.387:
	flat_load_ubyte v1, v[7:8]
	s_movk_i32 s26, 0xff
	v_mov_b32_e32 v2, 0x7f800001
	v_mov_b32_e32 v3, 0x400000
	s_mov_b32 s27, 0x47800000
	v_mov_b32_e32 v11, 0x80
	s_waitcnt vmcnt(0) lgkmcnt(0)
	v_lshlrev_b32_e32 v4, 23, v1
	v_cmp_ne_u32_e32 vcc, s26, v1
	v_cndmask_b32_e32 v2, v2, v4, vcc
	v_cmp_ne_u32_e32 vcc, 0, v1
	v_cndmask_b32_e32 v2, v3, v2, vcc
	v_cmp_gt_u32_e32 vcc, s27, v2
	s_and_saveexec_b64 s[26:27], vcc
	s_cbranch_execz .LBB253_393
; %bb.388:
	s_mov_b32 s28, 0x37ffffff
	v_cmp_lt_u32_e32 vcc, s28, v2
	s_mov_b64 s[28:29], 0
                                        ; implicit-def: $vgpr1
	s_and_saveexec_b64 s[40:41], vcc
	s_xor_b64 s[40:41], exec, s[40:41]
	s_cbranch_execnz .LBB253_584
; %bb.389:
	s_andn2_saveexec_b64 s[40:41], s[40:41]
	s_cbranch_execnz .LBB253_585
.LBB253_390:
	s_or_b64 exec, exec, s[40:41]
	v_mov_b32_e32 v11, 0
	s_and_saveexec_b64 s[40:41], s[28:29]
.LBB253_391:
	v_mov_b32_e32 v11, v1
.LBB253_392:
	s_or_b64 exec, exec, s[40:41]
.LBB253_393:
	s_or_b64 exec, exec, s[26:27]
	s_or_b64 s[28:29], s[20:21], exec
	s_xor_b64 s[26:27], exec, -1
.LBB253_394:
	s_or_b64 exec, exec, s[24:25]
	s_andn2_b64 s[20:21], s[20:21], exec
	s_and_b64 s[24:25], s[28:29], exec
	s_or_b64 s[20:21], s[20:21], s[24:25]
	s_andn2_b64 s[18:19], s[18:19], exec
	s_and_b64 s[24:25], s[26:27], exec
	s_or_b64 s[18:19], s[18:19], s[24:25]
.LBB253_395:
	s_or_b64 exec, exec, s[22:23]
	s_and_b64 s[22:23], s[20:21], exec
	s_and_b64 s[20:21], s[18:19], exec
.LBB253_396:
	s_andn2_saveexec_b64 s[16:17], s[16:17]
	s_cbranch_execz .LBB253_406
; %bb.397:
	v_cmp_eq_u16_e32 vcc, 29, v10
	s_mov_b64 s[24:25], -1
	s_mov_b64 s[26:27], s[22:23]
                                        ; implicit-def: $vgpr11
	s_and_saveexec_b64 s[18:19], vcc
	s_cbranch_execz .LBB253_405
; %bb.398:
	flat_load_dwordx2 v[1:2], v[7:8]
	s_mov_b32 s24, 0x47800000
	v_mov_b32_e32 v11, 0x80
	s_waitcnt vmcnt(0) lgkmcnt(0)
	v_ffbh_u32_e32 v3, v2
	v_min_u32_e32 v3, 32, v3
	v_lshlrev_b64 v[1:2], v3, v[1:2]
	v_min_u32_e32 v1, 1, v1
	v_or_b32_e32 v1, v2, v1
	v_cvt_f32_u32_e32 v1, v1
	v_sub_u32_e32 v2, 32, v3
	v_ldexp_f32 v2, v1, v2
	v_cmp_gt_u32_e32 vcc, s24, v2
	s_and_saveexec_b64 s[24:25], vcc
	s_cbranch_execz .LBB253_404
; %bb.399:
	s_mov_b32 s26, 0x37ffffff
	v_cmp_lt_u32_e32 vcc, s26, v2
	s_mov_b64 s[26:27], 0
                                        ; implicit-def: $vgpr1
	s_and_saveexec_b64 s[28:29], vcc
	s_xor_b64 s[28:29], exec, s[28:29]
	s_cbranch_execnz .LBB253_572
; %bb.400:
	s_andn2_saveexec_b64 s[28:29], s[28:29]
	s_cbranch_execnz .LBB253_573
.LBB253_401:
	s_or_b64 exec, exec, s[28:29]
	v_mov_b32_e32 v11, 0
	s_and_saveexec_b64 s[28:29], s[26:27]
.LBB253_402:
	v_mov_b32_e32 v11, v1
.LBB253_403:
	s_or_b64 exec, exec, s[28:29]
.LBB253_404:
	s_or_b64 exec, exec, s[24:25]
	s_or_b64 s[26:27], s[22:23], exec
	s_xor_b64 s[24:25], exec, -1
.LBB253_405:
	s_or_b64 exec, exec, s[18:19]
	s_andn2_b64 s[18:19], s[22:23], exec
	s_and_b64 s[22:23], s[26:27], exec
	s_or_b64 s[22:23], s[18:19], s[22:23]
	s_andn2_b64 s[18:19], s[20:21], exec
	s_and_b64 s[20:21], s[24:25], exec
	s_or_b64 s[20:21], s[18:19], s[20:21]
.LBB253_406:
	s_or_b64 exec, exec, s[16:17]
	s_and_b64 s[18:19], s[22:23], exec
	s_and_b64 s[16:17], s[20:21], exec
.LBB253_407:
	s_andn2_saveexec_b64 s[14:15], s[14:15]
	s_cbranch_execz .LBB253_439
; %bb.408:
	v_cmp_lt_i16_e32 vcc, 26, v10
                                        ; implicit-def: $vgpr11
	s_and_saveexec_b64 s[20:21], vcc
	s_xor_b64 s[20:21], exec, s[20:21]
	s_cbranch_execz .LBB253_426
; %bb.409:
	v_cmp_lt_i16_e32 vcc, 27, v10
                                        ; implicit-def: $vgpr11
	s_and_saveexec_b64 s[22:23], vcc
	s_xor_b64 s[22:23], exec, s[22:23]
	s_cbranch_execz .LBB253_417
; %bb.410:
	flat_load_dword v1, v[7:8]
	s_mov_b32 s24, 0x47800000
	v_mov_b32_e32 v11, 0x80
	s_waitcnt vmcnt(0) lgkmcnt(0)
	v_cvt_f32_u32_e32 v2, v1
	v_cmp_gt_u32_e32 vcc, s24, v2
	s_and_saveexec_b64 s[24:25], vcc
	s_cbranch_execz .LBB253_416
; %bb.411:
	s_mov_b32 s26, 0x37ffffff
	v_cmp_lt_u32_e32 vcc, s26, v2
	s_mov_b64 s[26:27], 0
                                        ; implicit-def: $vgpr1
	s_and_saveexec_b64 s[28:29], vcc
	s_xor_b64 s[28:29], exec, s[28:29]
	s_cbranch_execnz .LBB253_574
; %bb.412:
	s_andn2_saveexec_b64 s[28:29], s[28:29]
	s_cbranch_execnz .LBB253_575
.LBB253_413:
	s_or_b64 exec, exec, s[28:29]
	v_mov_b32_e32 v11, 0
	s_and_saveexec_b64 s[28:29], s[26:27]
.LBB253_414:
	v_mov_b32_e32 v11, v1
.LBB253_415:
	s_or_b64 exec, exec, s[28:29]
.LBB253_416:
	s_or_b64 exec, exec, s[24:25]
.LBB253_417:
	s_andn2_saveexec_b64 s[22:23], s[22:23]
	s_cbranch_execz .LBB253_425
; %bb.418:
	flat_load_ushort v1, v[7:8]
	s_mov_b32 s24, 0x47800000
	v_mov_b32_e32 v11, 0x80
	s_waitcnt vmcnt(0) lgkmcnt(0)
	v_cvt_f32_u32_e32 v2, v1
	v_cmp_gt_u32_e32 vcc, s24, v2
	s_and_saveexec_b64 s[24:25], vcc
	s_cbranch_execz .LBB253_424
; %bb.419:
	s_mov_b32 s26, 0x37ffffff
	v_cmp_lt_u32_e32 vcc, s26, v2
	s_mov_b64 s[26:27], 0
                                        ; implicit-def: $vgpr1
	s_and_saveexec_b64 s[28:29], vcc
	s_xor_b64 s[28:29], exec, s[28:29]
	s_cbranch_execnz .LBB253_576
; %bb.420:
	s_andn2_saveexec_b64 s[28:29], s[28:29]
	s_cbranch_execnz .LBB253_577
.LBB253_421:
	s_or_b64 exec, exec, s[28:29]
	v_mov_b32_e32 v11, 0
	s_and_saveexec_b64 s[28:29], s[26:27]
.LBB253_422:
	v_mov_b32_e32 v11, v1
.LBB253_423:
	s_or_b64 exec, exec, s[28:29]
.LBB253_424:
	s_or_b64 exec, exec, s[24:25]
.LBB253_425:
	s_or_b64 exec, exec, s[22:23]
.LBB253_426:
	s_andn2_saveexec_b64 s[20:21], s[20:21]
	s_cbranch_execz .LBB253_438
; %bb.427:
	flat_load_ubyte v2, v[7:8]
	s_movk_i32 s22, 0x7f
	s_waitcnt vmcnt(0) lgkmcnt(0)
	v_cmp_lt_i16_e32 vcc, s22, v2
	s_mov_b64 s[22:23], 0
	s_and_saveexec_b64 s[24:25], vcc
	s_xor_b64 s[24:25], exec, s[24:25]
	s_cbranch_execnz .LBB253_526
; %bb.428:
	s_or_saveexec_b64 s[24:25], s[24:25]
	v_mov_b32_e32 v1, 0x7f800001
	s_xor_b64 exec, exec, s[24:25]
	s_cbranch_execnz .LBB253_529
.LBB253_429:
	s_or_b64 exec, exec, s[24:25]
	s_and_saveexec_b64 s[24:25], s[22:23]
	s_cbranch_execz .LBB253_431
.LBB253_430:
	v_lshlrev_b32_e32 v1, 24, v2
	v_and_b32_e32 v2, 0xffff, v2
	v_and_b32_e32 v3, 7, v2
	v_ffbh_u32_e32 v5, v3
	v_min_u32_e32 v5, 32, v5
	v_subrev_u32_e32 v6, 28, v5
	v_bfe_u32 v4, v2, 3, 4
	v_lshlrev_b32_e32 v2, v6, v2
	v_sub_u32_e32 v5, 29, v5
	v_and_b32_e32 v2, 7, v2
	v_cmp_eq_u32_e32 vcc, 0, v4
	v_cndmask_b32_e32 v4, v4, v5, vcc
	v_cndmask_b32_e32 v2, v3, v2, vcc
	v_mov_b32_e32 v3, 0x3b800000
	v_lshlrev_b32_e32 v2, 20, v2
	v_and_b32_e32 v1, 0x80000000, v1
	v_lshl_add_u32 v3, v4, 23, v3
	v_or3_b32 v1, v1, v3, v2
.LBB253_431:
	s_or_b64 exec, exec, s[24:25]
	v_and_b32_e32 v2, 0x7fffffff, v1
	s_mov_b32 s22, 0x47800000
	v_cmp_gt_u32_e32 vcc, s22, v2
	v_mov_b32_e32 v11, 0x80
	s_and_saveexec_b64 s[22:23], vcc
	s_cbranch_execz .LBB253_437
; %bb.432:
	s_mov_b32 s24, 0x37ffffff
	v_cmp_lt_u32_e32 vcc, s24, v2
	s_mov_b64 s[24:25], 0
                                        ; implicit-def: $vgpr2
	s_and_saveexec_b64 s[26:27], vcc
	s_xor_b64 s[26:27], exec, s[26:27]
	s_cbranch_execnz .LBB253_564
; %bb.433:
	s_andn2_saveexec_b64 s[26:27], s[26:27]
	s_cbranch_execnz .LBB253_565
.LBB253_434:
	s_or_b64 exec, exec, s[26:27]
	v_mov_b32_e32 v11, 0
	s_and_saveexec_b64 s[26:27], s[24:25]
.LBB253_435:
	v_lshrrev_b32_e32 v1, 24, v1
	s_movk_i32 s24, 0x80
	v_and_or_b32 v11, v1, s24, v2
.LBB253_436:
	s_or_b64 exec, exec, s[26:27]
.LBB253_437:
	s_or_b64 exec, exec, s[22:23]
.LBB253_438:
	s_or_b64 exec, exec, s[20:21]
	s_or_b64 s[18:19], s[18:19], exec
.LBB253_439:
	s_or_b64 exec, exec, s[14:15]
	s_and_b64 s[14:15], s[18:19], exec
	s_and_b64 s[16:17], s[16:17], exec
	s_andn2_saveexec_b64 s[12:13], s[12:13]
	s_cbranch_execz .LBB253_130
.LBB253_440:
	v_cmp_lt_i16_e32 vcc, 22, v10
	s_mov_b64 s[18:19], s[14:15]
                                        ; implicit-def: $vgpr11
	s_and_saveexec_b64 s[10:11], vcc
	s_xor_b64 s[10:11], exec, s[10:11]
	s_cbranch_execz .LBB253_462
; %bb.441:
	v_cmp_lt_i16_e32 vcc, 23, v10
                                        ; implicit-def: $vgpr11
	s_and_saveexec_b64 s[18:19], vcc
	s_xor_b64 s[18:19], exec, s[18:19]
	s_cbranch_execz .LBB253_453
; %bb.442:
	v_cmp_lt_i16_e32 vcc, 24, v10
                                        ; implicit-def: $vgpr11
	s_and_saveexec_b64 s[20:21], vcc
	s_xor_b64 s[20:21], exec, s[20:21]
	s_cbranch_execz .LBB253_444
; %bb.443:
	flat_load_ubyte v11, v[7:8]
.LBB253_444:
	s_andn2_saveexec_b64 s[20:21], s[20:21]
	s_cbranch_execz .LBB253_452
; %bb.445:
	flat_load_ubyte v1, v[7:8]
	s_mov_b32 s22, 0x7f800000
	s_brev_b32 s23, 1
	s_mov_b32 s24, 0x47800000
	s_waitcnt vmcnt(0) lgkmcnt(0)
	v_mov_b32_e32 v11, 0x80
	v_lshlrev_b32_e32 v1, 24, v1
	v_and_b32_e32 v2, 0x7f000000, v1
	v_ffbh_u32_e32 v3, v2
	v_min_u32_e32 v3, 32, v3
	v_sub_u32_e64 v3, v3, 4 clamp
	v_lshlrev_b32_e32 v5, v3, v2
	v_lshlrev_b32_e32 v3, 23, v3
	v_lshrrev_b32_e32 v5, 4, v5
	v_add_u32_e32 v4, 0x1000000, v2
	v_sub_u32_e32 v3, v5, v3
	v_ashrrev_i32_e32 v4, 8, v4
	v_add_u32_e32 v3, 0x3c000000, v3
	v_and_or_b32 v3, v4, s22, v3
	v_cmp_ne_u32_e32 vcc, 0, v2
	v_cndmask_b32_e32 v3, 0, v3, vcc
	v_and_or_b32 v1, v1, s23, v3
	v_and_b32_e32 v2, 0x7fffffff, v1
	v_cmp_gt_u32_e32 vcc, s24, v2
	s_and_saveexec_b64 s[22:23], vcc
	s_cbranch_execz .LBB253_451
; %bb.446:
	s_mov_b32 s24, 0x37ffffff
	v_cmp_lt_u32_e32 vcc, s24, v2
	s_mov_b64 s[24:25], 0
                                        ; implicit-def: $vgpr2
	s_and_saveexec_b64 s[26:27], vcc
	s_xor_b64 s[26:27], exec, s[26:27]
	s_cbranch_execnz .LBB253_578
; %bb.447:
	s_andn2_saveexec_b64 s[26:27], s[26:27]
	s_cbranch_execnz .LBB253_579
.LBB253_448:
	s_or_b64 exec, exec, s[26:27]
	v_mov_b32_e32 v11, 0
	s_and_saveexec_b64 s[26:27], s[24:25]
.LBB253_449:
	v_lshrrev_b32_e32 v1, 24, v1
	s_movk_i32 s24, 0x80
	v_and_or_b32 v11, v1, s24, v2
.LBB253_450:
	s_or_b64 exec, exec, s[26:27]
.LBB253_451:
	s_or_b64 exec, exec, s[22:23]
.LBB253_452:
	s_or_b64 exec, exec, s[20:21]
.LBB253_453:
	s_andn2_saveexec_b64 s[18:19], s[18:19]
	s_cbranch_execz .LBB253_461
; %bb.454:
	flat_load_ubyte v1, v[7:8]
	s_movk_i32 s20, 0x7f00
	s_brev_b32 s21, 16
	s_brev_b32 s22, 1
	s_mov_b32 s23, 0x47800000
	s_waitcnt vmcnt(0) lgkmcnt(0)
	v_mov_b32_e32 v11, 0x80
	v_lshlrev_b16_e32 v2, 8, v1
	v_lshlrev_b32_e32 v1, 25, v1
	v_lshrrev_b32_e32 v3, 4, v1
	v_and_or_b32 v4, v2, s20, 0.5
	v_or_b32_e32 v3, 0x70000000, v3
	v_add_f32_e32 v4, -0.5, v4
	v_mul_f32_e32 v3, 0x7800000, v3
	v_cmp_gt_u32_e32 vcc, s21, v1
	v_bfe_i32 v2, v2, 0, 16
	v_cndmask_b32_e32 v3, v3, v4, vcc
	v_and_or_b32 v1, v2, s22, v3
	v_and_b32_e32 v2, 0x7fffffff, v1
	v_cmp_gt_u32_e32 vcc, s23, v2
	s_and_saveexec_b64 s[20:21], vcc
	s_cbranch_execz .LBB253_460
; %bb.455:
	s_mov_b32 s22, 0x37ffffff
	v_cmp_lt_u32_e32 vcc, s22, v2
	s_mov_b64 s[22:23], 0
                                        ; implicit-def: $vgpr2
	s_and_saveexec_b64 s[24:25], vcc
	s_xor_b64 s[24:25], exec, s[24:25]
	s_cbranch_execnz .LBB253_566
; %bb.456:
	s_andn2_saveexec_b64 s[24:25], s[24:25]
	s_cbranch_execnz .LBB253_567
.LBB253_457:
	s_or_b64 exec, exec, s[24:25]
	v_mov_b32_e32 v11, 0
	s_and_saveexec_b64 s[24:25], s[22:23]
.LBB253_458:
	v_lshrrev_b32_e32 v1, 24, v1
	s_movk_i32 s22, 0x80
	v_and_or_b32 v11, v1, s22, v2
.LBB253_459:
	s_or_b64 exec, exec, s[24:25]
.LBB253_460:
	s_or_b64 exec, exec, s[20:21]
.LBB253_461:
	s_or_b64 exec, exec, s[18:19]
	s_or_b64 s[18:19], s[14:15], exec
.LBB253_462:
	s_or_saveexec_b64 s[10:11], s[10:11]
	s_mov_b64 s[20:21], 0
	s_mov_b64 s[22:23], s[16:17]
	s_xor_b64 exec, exec, s[10:11]
	s_cbranch_execz .LBB253_476
; %bb.463:
	v_cmp_lt_i16_e32 vcc, 14, v10
	s_mov_b64 s[22:23], s[16:17]
	s_mov_b64 s[24:25], s[18:19]
                                        ; implicit-def: $vgpr11
	s_and_saveexec_b64 s[20:21], vcc
	s_xor_b64 s[20:21], exec, s[20:21]
	s_cbranch_execz .LBB253_473
; %bb.464:
	v_cmp_eq_u16_e32 vcc, 15, v10
	s_mov_b64 s[26:27], -1
	s_mov_b64 s[24:25], s[18:19]
                                        ; implicit-def: $vgpr11
	s_and_saveexec_b64 s[22:23], vcc
	s_cbranch_execz .LBB253_472
; %bb.465:
	flat_load_ushort v1, v[7:8]
	s_mov_b32 s24, 0x47800000
	s_waitcnt vmcnt(0) lgkmcnt(0)
	v_mov_b32_e32 v11, 0x80
	v_lshlrev_b32_e32 v3, 16, v1
	v_and_b32_e32 v2, 0x7fffffff, v3
	v_cmp_gt_u32_e32 vcc, s24, v2
	s_and_saveexec_b64 s[24:25], vcc
	s_cbranch_execz .LBB253_471
; %bb.466:
	s_mov_b32 s26, 0x37ffffff
	v_cmp_lt_u32_e32 vcc, s26, v2
	s_mov_b64 s[26:27], 0
                                        ; implicit-def: $vgpr2
	s_and_saveexec_b64 s[28:29], vcc
	s_xor_b64 s[28:29], exec, s[28:29]
	s_cbranch_execnz .LBB253_580
; %bb.467:
	s_andn2_saveexec_b64 s[28:29], s[28:29]
	s_cbranch_execnz .LBB253_581
.LBB253_468:
	s_or_b64 exec, exec, s[28:29]
	v_mov_b32_e32 v11, 0
	s_and_saveexec_b64 s[28:29], s[26:27]
.LBB253_469:
	v_lshrrev_b32_e32 v1, 8, v1
	s_movk_i32 s26, 0x80
	v_and_or_b32 v11, v1, s26, v2
.LBB253_470:
	s_or_b64 exec, exec, s[28:29]
.LBB253_471:
	s_or_b64 exec, exec, s[24:25]
	s_or_b64 s[24:25], s[18:19], exec
	s_xor_b64 s[26:27], exec, -1
.LBB253_472:
	s_or_b64 exec, exec, s[22:23]
	s_andn2_b64 s[22:23], s[18:19], exec
	s_and_b64 s[24:25], s[24:25], exec
	s_or_b64 s[24:25], s[22:23], s[24:25]
	s_andn2_b64 s[22:23], s[16:17], exec
	s_and_b64 s[26:27], s[26:27], exec
	s_or_b64 s[22:23], s[22:23], s[26:27]
.LBB253_473:
	s_or_saveexec_b64 s[20:21], s[20:21]
	s_mov_b64 s[26:27], 0
	s_xor_b64 exec, exec, s[20:21]
; %bb.474:
	v_cmp_ne_u16_e32 vcc, 11, v10
	s_andn2_b64 s[22:23], s[22:23], exec
	s_and_b64 s[28:29], vcc, exec
	s_mov_b64 s[26:27], exec
	s_or_b64 s[22:23], s[22:23], s[28:29]
; %bb.475:
	s_or_b64 exec, exec, s[20:21]
	s_andn2_b64 s[18:19], s[18:19], exec
	s_and_b64 s[20:21], s[24:25], exec
	s_andn2_b64 s[24:25], s[16:17], exec
	s_and_b64 s[22:23], s[22:23], exec
	s_or_b64 s[18:19], s[18:19], s[20:21]
	s_and_b64 s[20:21], s[26:27], exec
	s_or_b64 s[22:23], s[24:25], s[22:23]
.LBB253_476:
	s_or_b64 exec, exec, s[10:11]
	s_andn2_b64 s[10:11], s[14:15], exec
	s_and_b64 s[14:15], s[18:19], exec
	s_andn2_b64 s[16:17], s[16:17], exec
	s_and_b64 s[18:19], s[22:23], exec
	s_or_b64 s[14:15], s[10:11], s[14:15]
	s_and_b64 s[10:11], s[20:21], exec
	s_or_b64 s[16:17], s[16:17], s[18:19]
	s_or_b64 exec, exec, s[12:13]
	s_mov_b64 s[18:19], s[4:5]
	s_and_saveexec_b64 s[12:13], s[16:17]
	s_cbranch_execz .LBB253_131
.LBB253_477:
	s_andn2_b64 s[10:11], s[10:11], exec
	s_or_b64 s[18:19], s[4:5], exec
	s_trap 2
	s_branch .LBB253_131
.LBB253_478:
	v_bfe_u32 v1, v2, 21, 1
	s_mov_b32 s16, 0x88fffff
	v_add3_u32 v1, v2, v1, s16
	s_mov_b64 s[10:11], exec
	v_lshrrev_b32_e32 v1, 21, v1
                                        ; implicit-def: $vgpr2
	s_andn2_saveexec_b64 s[14:15], s[14:15]
	s_cbranch_execz .LBB253_137
.LBB253_479:
	v_add_f32_e32 v1, 0x42800000, v2
	v_and_b32_e32 v1, 0xff, v1
	v_cmp_ne_u32_e32 vcc, 0, v1
	s_andn2_b64 s[10:11], s[10:11], exec
	s_and_b64 s[16:17], vcc, exec
	s_or_b64 s[10:11], s[10:11], s[16:17]
	s_or_b64 exec, exec, s[14:15]
	v_mov_b32_e32 v11, 0
	s_and_saveexec_b64 s[14:15], s[10:11]
	s_cbranch_execnz .LBB253_138
	s_branch .LBB253_139
.LBB253_480:
	s_movk_i32 s6, 0x80
	v_cmp_eq_u16_sdwa s[14:15], v9, s6 src0_sel:BYTE_0 src1_sel:DWORD
	s_mov_b64 s[6:7], -1
	s_and_saveexec_b64 s[12:13], s[14:15]
; %bb.481:
	s_xor_b64 s[6:7], exec, -1
; %bb.482:
	s_or_b64 exec, exec, s[12:13]
	s_and_b64 s[6:7], s[6:7], exec
	s_or_saveexec_b64 s[10:11], s[10:11]
	v_mov_b32_e32 v0, 0x7f800001
	s_xor_b64 exec, exec, s[10:11]
	s_cbranch_execz .LBB253_251
.LBB253_483:
	v_mov_b32_e32 v0, 0
	v_cmp_ne_u16_sdwa s[12:13], v9, v0 src0_sel:BYTE_0 src1_sel:DWORD
	s_andn2_b64 s[6:7], s[6:7], exec
	s_and_b64 s[12:13], s[12:13], exec
	s_or_b64 s[6:7], s[6:7], s[12:13]
	s_or_b64 exec, exec, s[10:11]
	s_and_saveexec_b64 s[10:11], s[6:7]
	s_cbranch_execnz .LBB253_252
	s_branch .LBB253_253
.LBB253_484:
	s_movk_i32 s6, 0x80
	v_cmp_eq_u16_sdwa s[14:15], v11, s6 src0_sel:BYTE_0 src1_sel:DWORD
	s_mov_b64 s[6:7], -1
	s_and_saveexec_b64 s[12:13], s[14:15]
; %bb.485:
	s_xor_b64 s[6:7], exec, -1
; %bb.486:
	s_or_b64 exec, exec, s[12:13]
	s_and_b64 s[6:7], s[6:7], exec
	s_or_saveexec_b64 s[10:11], s[10:11]
	v_mov_b32_e32 v1, 0x7f800001
	s_xor_b64 exec, exec, s[10:11]
	s_cbranch_execz .LBB253_255
.LBB253_487:
	v_mov_b32_e32 v1, 0
	v_cmp_ne_u16_sdwa s[12:13], v11, v1 src0_sel:BYTE_0 src1_sel:DWORD
	s_andn2_b64 s[6:7], s[6:7], exec
	s_and_b64 s[12:13], s[12:13], exec
	s_or_b64 s[6:7], s[6:7], s[12:13]
	s_or_b64 exec, exec, s[10:11]
	s_and_saveexec_b64 s[10:11], s[6:7]
	s_cbranch_execnz .LBB253_256
	s_branch .LBB253_257
.LBB253_488:
	s_movk_i32 s8, 0x80
	v_cmp_eq_u16_sdwa s[14:15], v9, s8 src0_sel:BYTE_0 src1_sel:DWORD
	s_mov_b64 s[8:9], -1
	s_and_saveexec_b64 s[12:13], s[14:15]
; %bb.489:
	s_xor_b64 s[8:9], exec, -1
; %bb.490:
	s_or_b64 exec, exec, s[12:13]
	s_and_b64 s[8:9], s[8:9], exec
	s_or_saveexec_b64 s[10:11], s[10:11]
	v_mov_b32_e32 v0, 0x7f800001
	s_xor_b64 exec, exec, s[10:11]
	s_cbranch_execz .LBB253_261
.LBB253_491:
	v_mov_b32_e32 v0, 0
	v_cmp_ne_u16_sdwa s[12:13], v9, v0 src0_sel:BYTE_0 src1_sel:DWORD
	s_andn2_b64 s[8:9], s[8:9], exec
	s_and_b64 s[12:13], s[12:13], exec
	s_or_b64 s[8:9], s[8:9], s[12:13]
	s_or_b64 exec, exec, s[10:11]
	s_and_saveexec_b64 s[10:11], s[8:9]
	s_cbranch_execnz .LBB253_262
	s_branch .LBB253_263
.LBB253_492:
	s_movk_i32 s8, 0x80
	v_cmp_eq_u16_sdwa s[14:15], v11, s8 src0_sel:BYTE_0 src1_sel:DWORD
	s_mov_b64 s[8:9], -1
	s_and_saveexec_b64 s[12:13], s[14:15]
; %bb.493:
	s_xor_b64 s[8:9], exec, -1
; %bb.494:
	s_or_b64 exec, exec, s[12:13]
	s_and_b64 s[8:9], s[8:9], exec
	s_or_saveexec_b64 s[10:11], s[10:11]
	v_mov_b32_e32 v1, 0x7f800001
	s_xor_b64 exec, exec, s[10:11]
	s_cbranch_execz .LBB253_265
.LBB253_495:
	v_mov_b32_e32 v1, 0
	v_cmp_ne_u16_sdwa s[12:13], v11, v1 src0_sel:BYTE_0 src1_sel:DWORD
	s_andn2_b64 s[8:9], s[8:9], exec
	s_and_b64 s[12:13], s[12:13], exec
	s_or_b64 s[8:9], s[8:9], s[12:13]
	s_or_b64 exec, exec, s[10:11]
	s_and_saveexec_b64 s[10:11], s[8:9]
	s_cbranch_execnz .LBB253_266
	s_branch .LBB253_267
.LBB253_496:
	v_bfe_u32 v7, v8, 21, 1
	s_mov_b32 s18, 0x88fffff
	v_add3_u32 v7, v8, v7, s18
	s_mov_b64 s[14:15], exec
	v_lshrrev_b32_e32 v7, 21, v7
                                        ; implicit-def: $vgpr8
	s_andn2_saveexec_b64 s[16:17], s[16:17]
	s_cbranch_execz .LBB253_8
.LBB253_497:
	v_add_f32_e32 v7, 0x42800000, v8
	v_and_b32_e32 v7, 0xff, v7
	v_cmp_ne_u32_e32 vcc, 0, v7
	s_andn2_b64 s[14:15], s[14:15], exec
	s_and_b64 s[18:19], vcc, exec
	s_or_b64 s[14:15], s[14:15], s[18:19]
	s_or_b64 exec, exec, s[16:17]
	v_mov_b32_e32 v9, 0
	s_and_saveexec_b64 s[16:17], s[14:15]
	s_cbranch_execnz .LBB253_9
	s_branch .LBB253_10
.LBB253_498:
	s_movk_i32 s18, 0x80
	v_cmp_eq_u16_e32 vcc, s18, v9
	s_mov_b64 s[18:19], -1
	s_and_saveexec_b64 s[22:23], vcc
; %bb.499:
	s_xor_b64 s[18:19], exec, -1
; %bb.500:
	s_or_b64 exec, exec, s[22:23]
	s_and_b64 s[18:19], s[18:19], exec
	s_or_saveexec_b64 s[20:21], s[20:21]
	v_mov_b32_e32 v10, 0x7f800001
	s_xor_b64 exec, exec, s[20:21]
	s_cbranch_execz .LBB253_324
.LBB253_501:
	v_cmp_ne_u16_e32 vcc, 0, v9
	s_andn2_b64 s[18:19], s[18:19], exec
	s_and_b64 s[22:23], vcc, exec
	v_mov_b32_e32 v10, 0
	s_or_b64 s[18:19], s[18:19], s[22:23]
	s_or_b64 exec, exec, s[20:21]
	s_and_saveexec_b64 s[20:21], s[18:19]
	s_cbranch_execnz .LBB253_325
	s_branch .LBB253_326
.LBB253_502:
	v_bfe_u32 v8, v7, 21, 1
	s_mov_b32 s22, 0x88fffff
	v_add3_u32 v8, v7, v8, s22
	s_mov_b64 s[18:19], exec
	v_lshrrev_b32_e32 v8, 21, v8
	s_andn2_saveexec_b64 s[20:21], s[20:21]
	s_cbranch_execz .LBB253_38
.LBB253_503:
	s_mov_b32 s22, 0x42800000
	v_add_f32_e64 v8, |v7|, s22
	v_and_b32_e32 v8, 0xff, v8
	v_cmp_ne_u32_e32 vcc, 0, v8
	s_andn2_b64 s[18:19], s[18:19], exec
	s_and_b64 s[22:23], vcc, exec
	s_or_b64 s[18:19], s[18:19], s[22:23]
	s_or_b64 exec, exec, s[20:21]
	v_mov_b32_e32 v9, 0
	s_and_saveexec_b64 s[20:21], s[18:19]
	s_cbranch_execnz .LBB253_39
	s_branch .LBB253_40
.LBB253_504:
	v_bfe_u32 v8, v7, 21, 1
	s_mov_b32 s22, 0x88fffff
	v_add3_u32 v8, v7, v8, s22
	s_mov_b64 s[18:19], exec
	v_lshrrev_b32_e32 v8, 21, v8
	s_andn2_saveexec_b64 s[20:21], s[20:21]
	s_cbranch_execz .LBB253_66
.LBB253_505:
	s_mov_b32 s22, 0x42800000
	v_add_f32_e64 v8, |v7|, s22
	v_and_b32_e32 v8, 0xff, v8
	v_cmp_ne_u32_e32 vcc, 0, v8
	s_andn2_b64 s[18:19], s[18:19], exec
	s_and_b64 s[22:23], vcc, exec
	s_or_b64 s[18:19], s[18:19], s[22:23]
	s_or_b64 exec, exec, s[20:21]
	v_mov_b32_e32 v9, 0
	s_and_saveexec_b64 s[20:21], s[18:19]
	s_cbranch_execnz .LBB253_67
	s_branch .LBB253_68
.LBB253_506:
	v_bfe_u32 v8, v7, 21, 1
	s_mov_b32 s22, 0x88fffff
	v_add3_u32 v8, v7, v8, s22
	s_mov_b64 s[18:19], exec
	v_lshrrev_b32_e32 v8, 21, v8
	s_andn2_saveexec_b64 s[20:21], s[20:21]
	s_cbranch_execz .LBB253_96
.LBB253_507:
	s_mov_b32 s22, 0x42800000
	v_add_f32_e64 v8, |v7|, s22
	v_and_b32_e32 v8, 0xff, v8
	v_cmp_ne_u32_e32 vcc, 0, v8
	s_andn2_b64 s[18:19], s[18:19], exec
	s_and_b64 s[22:23], vcc, exec
	s_or_b64 s[18:19], s[18:19], s[22:23]
	s_or_b64 exec, exec, s[20:21]
	v_mov_b32_e32 v9, 0
	s_and_saveexec_b64 s[20:21], s[18:19]
	s_cbranch_execnz .LBB253_97
	s_branch .LBB253_98
.LBB253_508:
	v_bfe_u32 v8, v7, 21, 1
	s_mov_b32 s22, 0x88fffff
	v_add3_u32 v8, v7, v8, s22
	s_mov_b64 s[18:19], exec
	v_lshrrev_b32_e32 v8, 21, v8
	s_andn2_saveexec_b64 s[20:21], s[20:21]
	s_cbranch_execz .LBB253_106
.LBB253_509:
	s_mov_b32 s22, 0x42800000
	v_add_f32_e64 v8, |v7|, s22
	v_and_b32_e32 v8, 0xff, v8
	v_cmp_ne_u32_e32 vcc, 0, v8
	s_andn2_b64 s[18:19], s[18:19], exec
	s_and_b64 s[22:23], vcc, exec
	s_or_b64 s[18:19], s[18:19], s[22:23]
	s_or_b64 exec, exec, s[20:21]
	v_mov_b32_e32 v9, 0
	s_and_saveexec_b64 s[20:21], s[18:19]
	s_cbranch_execnz .LBB253_107
	s_branch .LBB253_108
.LBB253_510:
	v_bfe_u32 v7, v8, 21, 1
	s_mov_b32 s22, 0x88fffff
	v_add3_u32 v7, v8, v7, s22
	s_mov_b64 s[18:19], exec
	v_lshrrev_b32_e32 v7, 21, v7
                                        ; implicit-def: $vgpr8
	s_andn2_saveexec_b64 s[20:21], s[20:21]
	s_cbranch_execz .LBB253_114
.LBB253_511:
	v_add_f32_e32 v7, 0x42800000, v8
	v_and_b32_e32 v7, 0xff, v7
	v_cmp_ne_u32_e32 vcc, 0, v7
	s_andn2_b64 s[18:19], s[18:19], exec
	s_and_b64 s[22:23], vcc, exec
	s_or_b64 s[18:19], s[18:19], s[22:23]
	s_or_b64 exec, exec, s[20:21]
	v_mov_b32_e32 v9, 0
	s_and_saveexec_b64 s[20:21], s[18:19]
	s_cbranch_execnz .LBB253_115
	s_branch .LBB253_116
.LBB253_512:
	v_bfe_u32 v2, v1, 21, 1
	s_mov_b32 s20, 0x88fffff
	v_add3_u32 v2, v1, v2, s20
	s_mov_b64 s[16:17], exec
	v_lshrrev_b32_e32 v2, 21, v2
	s_andn2_saveexec_b64 s[18:19], s[18:19]
	s_cbranch_execz .LBB253_165
.LBB253_513:
	s_mov_b32 s20, 0x42800000
	v_add_f32_e64 v2, |v1|, s20
	v_and_b32_e32 v2, 0xff, v2
	v_cmp_ne_u32_e32 vcc, 0, v2
	s_andn2_b64 s[16:17], s[16:17], exec
	s_and_b64 s[20:21], vcc, exec
	s_or_b64 s[16:17], s[16:17], s[20:21]
	s_or_b64 exec, exec, s[18:19]
	v_mov_b32_e32 v11, 0
	s_and_saveexec_b64 s[18:19], s[16:17]
	s_cbranch_execnz .LBB253_166
	s_branch .LBB253_167
.LBB253_514:
	v_bfe_u32 v2, v1, 21, 1
	s_mov_b32 s20, 0x88fffff
	v_add3_u32 v2, v1, v2, s20
	s_mov_b64 s[16:17], exec
	v_lshrrev_b32_e32 v2, 21, v2
	s_andn2_saveexec_b64 s[18:19], s[18:19]
	s_cbranch_execz .LBB253_193
.LBB253_515:
	s_mov_b32 s20, 0x42800000
	v_add_f32_e64 v2, |v1|, s20
	v_and_b32_e32 v2, 0xff, v2
	v_cmp_ne_u32_e32 vcc, 0, v2
	s_andn2_b64 s[16:17], s[16:17], exec
	s_and_b64 s[20:21], vcc, exec
	s_or_b64 s[16:17], s[16:17], s[20:21]
	s_or_b64 exec, exec, s[18:19]
	v_mov_b32_e32 v11, 0
	s_and_saveexec_b64 s[18:19], s[16:17]
	s_cbranch_execnz .LBB253_194
	s_branch .LBB253_195
.LBB253_516:
	v_bfe_u32 v2, v1, 21, 1
	s_mov_b32 s20, 0x88fffff
	v_add3_u32 v2, v1, v2, s20
	s_mov_b64 s[16:17], exec
	v_lshrrev_b32_e32 v2, 21, v2
	s_andn2_saveexec_b64 s[18:19], s[18:19]
	s_cbranch_execz .LBB253_223
.LBB253_517:
	s_mov_b32 s20, 0x42800000
	v_add_f32_e64 v2, |v1|, s20
	v_and_b32_e32 v2, 0xff, v2
	v_cmp_ne_u32_e32 vcc, 0, v2
	s_andn2_b64 s[16:17], s[16:17], exec
	s_and_b64 s[20:21], vcc, exec
	s_or_b64 s[16:17], s[16:17], s[20:21]
	s_or_b64 exec, exec, s[18:19]
	v_mov_b32_e32 v11, 0
	s_and_saveexec_b64 s[18:19], s[16:17]
	s_cbranch_execnz .LBB253_224
	s_branch .LBB253_225
.LBB253_518:
	v_bfe_u32 v2, v1, 21, 1
	s_mov_b32 s20, 0x88fffff
	v_add3_u32 v2, v1, v2, s20
	s_mov_b64 s[16:17], exec
	v_lshrrev_b32_e32 v2, 21, v2
	s_andn2_saveexec_b64 s[18:19], s[18:19]
	s_cbranch_execz .LBB253_233
.LBB253_519:
	s_mov_b32 s20, 0x42800000
	v_add_f32_e64 v2, |v1|, s20
	v_and_b32_e32 v2, 0xff, v2
	v_cmp_ne_u32_e32 vcc, 0, v2
	s_andn2_b64 s[16:17], s[16:17], exec
	s_and_b64 s[20:21], vcc, exec
	s_or_b64 s[16:17], s[16:17], s[20:21]
	s_or_b64 exec, exec, s[18:19]
	v_mov_b32_e32 v11, 0
	s_and_saveexec_b64 s[18:19], s[16:17]
	s_cbranch_execnz .LBB253_234
	s_branch .LBB253_235
.LBB253_520:
	v_bfe_u32 v1, v2, 21, 1
	s_mov_b32 s20, 0x88fffff
	v_add3_u32 v1, v2, v1, s20
	s_mov_b64 s[16:17], exec
	v_lshrrev_b32_e32 v1, 21, v1
                                        ; implicit-def: $vgpr2
	s_andn2_saveexec_b64 s[18:19], s[18:19]
	s_cbranch_execz .LBB253_241
.LBB253_521:
	v_add_f32_e32 v1, 0x42800000, v2
	v_and_b32_e32 v1, 0xff, v1
	v_cmp_ne_u32_e32 vcc, 0, v1
	s_andn2_b64 s[16:17], s[16:17], exec
	s_and_b64 s[20:21], vcc, exec
	s_or_b64 s[16:17], s[16:17], s[20:21]
	s_or_b64 exec, exec, s[18:19]
	v_mov_b32_e32 v11, 0
	s_and_saveexec_b64 s[18:19], s[16:17]
	s_cbranch_execnz .LBB253_242
	s_branch .LBB253_243
.LBB253_522:
	v_bfe_u32 v9, v10, 21, 1
	s_mov_b32 s24, 0x88fffff
	v_add3_u32 v9, v10, v9, s24
	s_mov_b64 s[20:21], exec
	v_lshrrev_b32_e32 v11, 21, v9
	s_andn2_saveexec_b64 s[22:23], s[22:23]
	s_cbranch_execz .LBB253_329
.LBB253_523:
	s_mov_b32 s24, 0x42800000
	v_add_f32_e64 v9, |v10|, s24
	v_and_b32_e32 v11, 0xff, v9
	v_cmp_ne_u32_e32 vcc, 0, v11
	s_andn2_b64 s[20:21], s[20:21], exec
	s_and_b64 s[24:25], vcc, exec
	s_or_b64 s[20:21], s[20:21], s[24:25]
	s_or_b64 exec, exec, s[22:23]
	v_mov_b32_e32 v9, 0
	s_and_saveexec_b64 s[22:23], s[20:21]
	s_cbranch_execnz .LBB253_330
	s_branch .LBB253_331
.LBB253_524:
	v_bfe_u32 v9, v12, 21, 1
	s_mov_b32 s22, 0x88fffff
	v_add3_u32 v9, v10, v9, s22
	s_mov_b64 s[18:19], exec
	v_lshrrev_b32_e32 v11, 21, v9
	s_andn2_saveexec_b64 s[20:21], s[20:21]
	s_cbranch_execz .LBB253_352
.LBB253_525:
	s_mov_b32 s22, 0x42800000
	v_add_f32_e64 v9, |v10|, s22
	v_and_b32_e32 v11, 0xff, v9
	v_cmp_ne_u32_e32 vcc, 0, v11
	s_andn2_b64 s[18:19], s[18:19], exec
	s_and_b64 s[22:23], vcc, exec
	s_or_b64 s[18:19], s[18:19], s[22:23]
	s_or_b64 exec, exec, s[20:21]
	v_mov_b32_e32 v9, 0
	s_and_saveexec_b64 s[20:21], s[18:19]
	s_cbranch_execnz .LBB253_353
	s_branch .LBB253_354
.LBB253_526:
	s_movk_i32 s22, 0x80
	v_cmp_eq_u16_e32 vcc, s22, v2
	s_mov_b64 s[22:23], -1
	s_and_saveexec_b64 s[26:27], vcc
; %bb.527:
	s_xor_b64 s[22:23], exec, -1
; %bb.528:
	s_or_b64 exec, exec, s[26:27]
	s_and_b64 s[22:23], s[22:23], exec
	s_or_saveexec_b64 s[24:25], s[24:25]
	v_mov_b32_e32 v1, 0x7f800001
	s_xor_b64 exec, exec, s[24:25]
	s_cbranch_execz .LBB253_429
.LBB253_529:
	v_cmp_ne_u16_e32 vcc, 0, v2
	s_andn2_b64 s[22:23], s[22:23], exec
	s_and_b64 s[26:27], vcc, exec
	v_mov_b32_e32 v1, 0
	s_or_b64 s[22:23], s[22:23], s[26:27]
	s_or_b64 exec, exec, s[24:25]
	s_and_saveexec_b64 s[24:25], s[22:23]
	s_cbranch_execnz .LBB253_430
	s_branch .LBB253_431
.LBB253_530:
	v_bfe_u32 v8, v7, 21, 1
	s_mov_b32 s24, 0x88fffff
	v_add3_u32 v8, v7, v8, s24
	s_mov_b64 s[20:21], exec
	v_lshrrev_b32_e32 v8, 21, v8
	s_andn2_saveexec_b64 s[22:23], s[22:23]
	s_cbranch_execz .LBB253_21
.LBB253_531:
	s_mov_b32 s24, 0x42800000
	v_add_f32_e64 v8, |v7|, s24
	v_and_b32_e32 v8, 0xff, v8
	v_cmp_ne_u32_e32 vcc, 0, v8
	s_andn2_b64 s[20:21], s[20:21], exec
	s_and_b64 s[24:25], vcc, exec
	s_or_b64 s[20:21], s[20:21], s[24:25]
	s_or_b64 exec, exec, s[22:23]
	v_mov_b32_e32 v9, 0
	s_and_saveexec_b64 s[22:23], s[20:21]
	s_cbranch_execnz .LBB253_22
	s_branch .LBB253_23
.LBB253_532:
	v_bfe_u32 v8, v7, 21, 1
	s_mov_b32 s24, 0x88fffff
	v_add3_u32 v8, v7, v8, s24
	s_mov_b64 s[20:21], exec
	v_lshrrev_b32_e32 v8, 21, v8
	s_andn2_saveexec_b64 s[22:23], s[22:23]
	s_cbranch_execz .LBB253_29
.LBB253_533:
	s_mov_b32 s24, 0x42800000
	v_add_f32_e64 v8, |v7|, s24
	v_and_b32_e32 v8, 0xff, v8
	v_cmp_ne_u32_e32 vcc, 0, v8
	s_andn2_b64 s[20:21], s[20:21], exec
	s_and_b64 s[24:25], vcc, exec
	s_or_b64 s[20:21], s[20:21], s[24:25]
	s_or_b64 exec, exec, s[22:23]
	v_mov_b32_e32 v9, 0
	s_and_saveexec_b64 s[22:23], s[20:21]
	s_cbranch_execnz .LBB253_30
	s_branch .LBB253_31
.LBB253_534:
	v_bfe_u32 v8, v7, 21, 1
	s_mov_b32 s24, 0x88fffff
	v_add3_u32 v8, v7, v8, s24
	s_mov_b64 s[20:21], exec
	v_lshrrev_b32_e32 v8, 21, v8
	s_andn2_saveexec_b64 s[22:23], s[22:23]
	s_cbranch_execz .LBB253_49
.LBB253_535:
	s_mov_b32 s24, 0x42800000
	v_add_f32_e64 v8, |v7|, s24
	v_and_b32_e32 v8, 0xff, v8
	v_cmp_ne_u32_e32 vcc, 0, v8
	s_andn2_b64 s[20:21], s[20:21], exec
	s_and_b64 s[24:25], vcc, exec
	s_or_b64 s[20:21], s[20:21], s[24:25]
	s_or_b64 exec, exec, s[22:23]
	v_mov_b32_e32 v9, 0
	s_and_saveexec_b64 s[22:23], s[20:21]
	s_cbranch_execnz .LBB253_50
	s_branch .LBB253_51
.LBB253_536:
	v_bfe_u32 v8, v7, 21, 1
	s_mov_b32 s24, 0x88fffff
	v_add3_u32 v8, v7, v8, s24
	s_mov_b64 s[20:21], exec
	v_lshrrev_b32_e32 v8, 21, v8
	s_andn2_saveexec_b64 s[22:23], s[22:23]
	s_cbranch_execz .LBB253_57
.LBB253_537:
	s_mov_b32 s24, 0x42800000
	v_add_f32_e64 v8, |v7|, s24
	v_and_b32_e32 v8, 0xff, v8
	v_cmp_ne_u32_e32 vcc, 0, v8
	s_andn2_b64 s[20:21], s[20:21], exec
	s_and_b64 s[24:25], vcc, exec
	s_or_b64 s[20:21], s[20:21], s[24:25]
	s_or_b64 exec, exec, s[22:23]
	v_mov_b32_e32 v9, 0
	s_and_saveexec_b64 s[22:23], s[20:21]
	s_cbranch_execnz .LBB253_58
	s_branch .LBB253_59
.LBB253_538:
	v_bfe_u32 v8, v7, 21, 1
	s_mov_b32 s24, 0x88fffff
	v_add3_u32 v8, v7, v8, s24
	s_mov_b64 s[20:21], exec
	v_lshrrev_b32_e32 v8, 21, v8
	s_andn2_saveexec_b64 s[22:23], s[22:23]
	s_cbranch_execz .LBB253_79
.LBB253_539:
	s_mov_b32 s24, 0x42800000
	v_add_f32_e64 v8, |v7|, s24
	v_and_b32_e32 v8, 0xff, v8
	v_cmp_ne_u32_e32 vcc, 0, v8
	s_andn2_b64 s[20:21], s[20:21], exec
	s_and_b64 s[24:25], vcc, exec
	s_or_b64 s[20:21], s[20:21], s[24:25]
	s_or_b64 exec, exec, s[22:23]
	v_mov_b32_e32 v9, 0
	s_and_saveexec_b64 s[22:23], s[20:21]
	s_cbranch_execnz .LBB253_80
	s_branch .LBB253_81
.LBB253_540:
	v_bfe_u32 v8, v7, 21, 1
	s_mov_b32 s24, 0x88fffff
	v_add3_u32 v8, v7, v8, s24
	s_mov_b64 s[20:21], exec
	v_lshrrev_b32_e32 v8, 21, v8
	s_andn2_saveexec_b64 s[22:23], s[22:23]
	s_cbranch_execz .LBB253_87
.LBB253_541:
	s_mov_b32 s24, 0x42800000
	v_add_f32_e64 v8, |v7|, s24
	v_and_b32_e32 v8, 0xff, v8
	v_cmp_ne_u32_e32 vcc, 0, v8
	s_andn2_b64 s[20:21], s[20:21], exec
	s_and_b64 s[24:25], vcc, exec
	s_or_b64 s[20:21], s[20:21], s[24:25]
	s_or_b64 exec, exec, s[22:23]
	v_mov_b32_e32 v9, 0
	s_and_saveexec_b64 s[22:23], s[20:21]
	s_cbranch_execnz .LBB253_88
	s_branch .LBB253_89
.LBB253_542:
	v_bfe_u32 v2, v1, 21, 1
	s_mov_b32 s22, 0x88fffff
	v_add3_u32 v2, v1, v2, s22
	s_mov_b64 s[18:19], exec
	v_lshrrev_b32_e32 v2, 21, v2
	s_andn2_saveexec_b64 s[20:21], s[20:21]
	s_cbranch_execz .LBB253_148
.LBB253_543:
	s_mov_b32 s22, 0x42800000
	v_add_f32_e64 v2, |v1|, s22
	v_and_b32_e32 v2, 0xff, v2
	v_cmp_ne_u32_e32 vcc, 0, v2
	s_andn2_b64 s[18:19], s[18:19], exec
	s_and_b64 s[22:23], vcc, exec
	s_or_b64 s[18:19], s[18:19], s[22:23]
	s_or_b64 exec, exec, s[20:21]
	v_mov_b32_e32 v11, 0
	s_and_saveexec_b64 s[20:21], s[18:19]
	s_cbranch_execnz .LBB253_149
	s_branch .LBB253_150
.LBB253_544:
	v_bfe_u32 v2, v1, 21, 1
	s_mov_b32 s22, 0x88fffff
	v_add3_u32 v2, v1, v2, s22
	s_mov_b64 s[18:19], exec
	v_lshrrev_b32_e32 v2, 21, v2
	s_andn2_saveexec_b64 s[20:21], s[20:21]
	s_cbranch_execz .LBB253_156
.LBB253_545:
	s_mov_b32 s22, 0x42800000
	v_add_f32_e64 v2, |v1|, s22
	v_and_b32_e32 v2, 0xff, v2
	v_cmp_ne_u32_e32 vcc, 0, v2
	s_andn2_b64 s[18:19], s[18:19], exec
	s_and_b64 s[22:23], vcc, exec
	s_or_b64 s[18:19], s[18:19], s[22:23]
	s_or_b64 exec, exec, s[20:21]
	v_mov_b32_e32 v11, 0
	s_and_saveexec_b64 s[20:21], s[18:19]
	s_cbranch_execnz .LBB253_157
	s_branch .LBB253_158
.LBB253_546:
	v_bfe_u32 v2, v1, 21, 1
	s_mov_b32 s22, 0x88fffff
	v_add3_u32 v2, v1, v2, s22
	s_mov_b64 s[18:19], exec
	v_lshrrev_b32_e32 v2, 21, v2
	s_andn2_saveexec_b64 s[20:21], s[20:21]
	s_cbranch_execz .LBB253_176
.LBB253_547:
	s_mov_b32 s22, 0x42800000
	v_add_f32_e64 v2, |v1|, s22
	v_and_b32_e32 v2, 0xff, v2
	v_cmp_ne_u32_e32 vcc, 0, v2
	s_andn2_b64 s[18:19], s[18:19], exec
	s_and_b64 s[22:23], vcc, exec
	s_or_b64 s[18:19], s[18:19], s[22:23]
	s_or_b64 exec, exec, s[20:21]
	v_mov_b32_e32 v11, 0
	s_and_saveexec_b64 s[20:21], s[18:19]
	s_cbranch_execnz .LBB253_177
	s_branch .LBB253_178
.LBB253_548:
	v_bfe_u32 v2, v1, 21, 1
	s_mov_b32 s22, 0x88fffff
	v_add3_u32 v2, v1, v2, s22
	s_mov_b64 s[18:19], exec
	v_lshrrev_b32_e32 v2, 21, v2
	s_andn2_saveexec_b64 s[20:21], s[20:21]
	s_cbranch_execz .LBB253_184
.LBB253_549:
	s_mov_b32 s22, 0x42800000
	v_add_f32_e64 v2, |v1|, s22
	v_and_b32_e32 v2, 0xff, v2
	v_cmp_ne_u32_e32 vcc, 0, v2
	s_andn2_b64 s[18:19], s[18:19], exec
	s_and_b64 s[22:23], vcc, exec
	s_or_b64 s[18:19], s[18:19], s[22:23]
	s_or_b64 exec, exec, s[20:21]
	v_mov_b32_e32 v11, 0
	s_and_saveexec_b64 s[20:21], s[18:19]
	s_cbranch_execnz .LBB253_185
	s_branch .LBB253_186
.LBB253_550:
	v_bfe_u32 v2, v1, 21, 1
	s_mov_b32 s22, 0x88fffff
	v_add3_u32 v2, v1, v2, s22
	s_mov_b64 s[18:19], exec
	v_lshrrev_b32_e32 v2, 21, v2
	s_andn2_saveexec_b64 s[20:21], s[20:21]
	s_cbranch_execz .LBB253_206
.LBB253_551:
	s_mov_b32 s22, 0x42800000
	v_add_f32_e64 v2, |v1|, s22
	v_and_b32_e32 v2, 0xff, v2
	v_cmp_ne_u32_e32 vcc, 0, v2
	s_andn2_b64 s[18:19], s[18:19], exec
	s_and_b64 s[22:23], vcc, exec
	s_or_b64 s[18:19], s[18:19], s[22:23]
	s_or_b64 exec, exec, s[20:21]
	v_mov_b32_e32 v11, 0
	s_and_saveexec_b64 s[20:21], s[18:19]
	s_cbranch_execnz .LBB253_207
	s_branch .LBB253_208
.LBB253_552:
	v_bfe_u32 v2, v1, 21, 1
	s_mov_b32 s22, 0x88fffff
	v_add3_u32 v2, v1, v2, s22
	s_mov_b64 s[18:19], exec
	v_lshrrev_b32_e32 v2, 21, v2
	s_andn2_saveexec_b64 s[20:21], s[20:21]
	s_cbranch_execz .LBB253_214
.LBB253_553:
	s_mov_b32 s22, 0x42800000
	v_add_f32_e64 v2, |v1|, s22
	v_and_b32_e32 v2, 0xff, v2
	v_cmp_ne_u32_e32 vcc, 0, v2
	s_andn2_b64 s[18:19], s[18:19], exec
	s_and_b64 s[22:23], vcc, exec
	s_or_b64 s[18:19], s[18:19], s[22:23]
	s_or_b64 exec, exec, s[20:21]
	v_mov_b32_e32 v11, 0
	s_and_saveexec_b64 s[20:21], s[18:19]
	s_cbranch_execnz .LBB253_215
	s_branch .LBB253_216
.LBB253_554:
	v_bfe_u32 v9, v11, 21, 1
	s_mov_b32 s26, 0x88fffff
	v_add3_u32 v9, v11, v9, s26
	s_mov_b64 s[22:23], exec
	v_lshrrev_b32_e32 v10, 21, v9
                                        ; implicit-def: $vgpr11
	s_andn2_saveexec_b64 s[24:25], s[24:25]
	s_cbranch_execz .LBB253_296
.LBB253_555:
	v_add_f32_e32 v9, 0x42800000, v11
	v_and_b32_e32 v10, 0xff, v9
	v_cmp_ne_u32_e32 vcc, 0, v10
	s_andn2_b64 s[22:23], s[22:23], exec
	s_and_b64 s[26:27], vcc, exec
	s_or_b64 s[22:23], s[22:23], s[26:27]
	s_or_b64 exec, exec, s[24:25]
	v_mov_b32_e32 v9, 0
	s_and_saveexec_b64 s[24:25], s[22:23]
	s_cbranch_execnz .LBB253_297
	s_branch .LBB253_298
.LBB253_556:
	v_bfe_u32 v9, v11, 21, 1
	s_mov_b32 s26, 0x88fffff
	v_add3_u32 v9, v11, v9, s26
	s_mov_b64 s[22:23], exec
	v_lshrrev_b32_e32 v10, 21, v9
                                        ; implicit-def: $vgpr11
	s_andn2_saveexec_b64 s[24:25], s[24:25]
	s_cbranch_execz .LBB253_308
.LBB253_557:
	v_add_f32_e32 v9, 0x42800000, v11
	v_and_b32_e32 v10, 0xff, v9
	v_cmp_ne_u32_e32 vcc, 0, v10
	s_andn2_b64 s[22:23], s[22:23], exec
	s_and_b64 s[26:27], vcc, exec
	s_or_b64 s[22:23], s[22:23], s[26:27]
	s_or_b64 exec, exec, s[24:25]
	v_mov_b32_e32 v9, 0
	s_and_saveexec_b64 s[24:25], s[22:23]
	s_cbranch_execnz .LBB253_309
	s_branch .LBB253_310
.LBB253_558:
	v_bfe_u32 v9, v11, 21, 1
	s_mov_b32 s26, 0x88fffff
	v_add3_u32 v9, v11, v9, s26
	s_mov_b64 s[22:23], exec
	v_lshrrev_b32_e32 v10, 21, v9
                                        ; implicit-def: $vgpr11
	s_andn2_saveexec_b64 s[24:25], s[24:25]
	s_cbranch_execz .LBB253_316
.LBB253_559:
	v_add_f32_e32 v9, 0x42800000, v11
	v_and_b32_e32 v10, 0xff, v9
	v_cmp_ne_u32_e32 vcc, 0, v10
	s_andn2_b64 s[22:23], s[22:23], exec
	s_and_b64 s[26:27], vcc, exec
	s_or_b64 s[22:23], s[22:23], s[26:27]
	s_or_b64 exec, exec, s[24:25]
	v_mov_b32_e32 v9, 0
	s_and_saveexec_b64 s[24:25], s[22:23]
	s_cbranch_execnz .LBB253_317
	s_branch .LBB253_318
.LBB253_560:
	v_bfe_u32 v9, v12, 21, 1
	s_mov_b32 s24, 0x88fffff
	v_add3_u32 v9, v10, v9, s24
	s_mov_b64 s[20:21], exec
	v_lshrrev_b32_e32 v11, 21, v9
	s_andn2_saveexec_b64 s[22:23], s[22:23]
	s_cbranch_execz .LBB253_343
.LBB253_561:
	s_mov_b32 s24, 0x42800000
	v_add_f32_e64 v9, |v10|, s24
	v_and_b32_e32 v11, 0xff, v9
	v_cmp_ne_u32_e32 vcc, 0, v11
	s_andn2_b64 s[20:21], s[20:21], exec
	s_and_b64 s[24:25], vcc, exec
	s_or_b64 s[20:21], s[20:21], s[24:25]
	s_or_b64 exec, exec, s[22:23]
	v_mov_b32_e32 v9, 0
	s_and_saveexec_b64 s[22:23], s[20:21]
	s_cbranch_execnz .LBB253_344
	s_branch .LBB253_345
.LBB253_562:
	v_bfe_u32 v9, v10, 5, 1
	s_mov_b32 s26, 0x88fffff
	v_add3_u32 v9, v12, v9, s26
	s_mov_b64 s[22:23], exec
	v_lshrrev_b32_e32 v11, 21, v9
                                        ; implicit-def: $vgpr12
	s_andn2_saveexec_b64 s[24:25], s[24:25]
	s_cbranch_execz .LBB253_363
.LBB253_563:
	s_mov_b32 s26, 0x42800000
	v_add_f32_e64 v9, |v12|, s26
	v_and_b32_e32 v11, 0xff, v9
	v_cmp_ne_u32_e32 vcc, 0, v11
	s_andn2_b64 s[22:23], s[22:23], exec
	s_and_b64 s[26:27], vcc, exec
	s_or_b64 s[22:23], s[22:23], s[26:27]
	s_or_b64 exec, exec, s[24:25]
	v_mov_b32_e32 v9, 0
	s_and_saveexec_b64 s[24:25], s[22:23]
	s_cbranch_execnz .LBB253_364
	s_branch .LBB253_365
.LBB253_564:
	v_bfe_u32 v2, v1, 21, 1
	s_mov_b32 s28, 0x88fffff
	v_add3_u32 v2, v1, v2, s28
	s_mov_b64 s[24:25], exec
	v_lshrrev_b32_e32 v2, 21, v2
	s_andn2_saveexec_b64 s[26:27], s[26:27]
	s_cbranch_execz .LBB253_434
.LBB253_565:
	s_mov_b32 s28, 0x42800000
	v_add_f32_e64 v2, |v1|, s28
	v_and_b32_e32 v2, 0xff, v2
	v_cmp_ne_u32_e32 vcc, 0, v2
	s_andn2_b64 s[24:25], s[24:25], exec
	s_and_b64 s[28:29], vcc, exec
	s_or_b64 s[24:25], s[24:25], s[28:29]
	s_or_b64 exec, exec, s[26:27]
	v_mov_b32_e32 v11, 0
	s_and_saveexec_b64 s[26:27], s[24:25]
	s_cbranch_execnz .LBB253_435
	s_branch .LBB253_436
.LBB253_566:
	v_bfe_u32 v2, v3, 21, 1
	s_mov_b32 s26, 0x88fffff
	v_add3_u32 v2, v1, v2, s26
	s_mov_b64 s[22:23], exec
	v_lshrrev_b32_e32 v2, 21, v2
	s_andn2_saveexec_b64 s[24:25], s[24:25]
	s_cbranch_execz .LBB253_457
.LBB253_567:
	s_mov_b32 s26, 0x42800000
	v_add_f32_e64 v2, |v1|, s26
	v_and_b32_e32 v2, 0xff, v2
	v_cmp_ne_u32_e32 vcc, 0, v2
	s_andn2_b64 s[22:23], s[22:23], exec
	s_and_b64 s[26:27], vcc, exec
	s_or_b64 s[22:23], s[22:23], s[26:27]
	s_or_b64 exec, exec, s[24:25]
	v_mov_b32_e32 v11, 0
	s_and_saveexec_b64 s[24:25], s[22:23]
	s_cbranch_execnz .LBB253_458
	s_branch .LBB253_459
.LBB253_568:
	v_bfe_u32 v9, v10, 21, 1
	s_mov_b32 s24, 0x88fffff
	v_add3_u32 v9, v10, v9, s24
	s_mov_b64 s[20:21], exec
	v_lshrrev_b32_e32 v11, 21, v9
	s_andn2_saveexec_b64 s[22:23], s[22:23]
	s_cbranch_execz .LBB253_275
.LBB253_569:
	s_mov_b32 s24, 0x42800000
	v_add_f32_e64 v9, |v10|, s24
	v_and_b32_e32 v11, 0xff, v9
	v_cmp_ne_u32_e32 vcc, 0, v11
	s_andn2_b64 s[20:21], s[20:21], exec
	s_and_b64 s[24:25], vcc, exec
	s_or_b64 s[20:21], s[20:21], s[24:25]
	s_or_b64 exec, exec, s[22:23]
	v_mov_b32_e32 v9, 0
	s_and_saveexec_b64 s[22:23], s[20:21]
	s_cbranch_execnz .LBB253_276
	s_branch .LBB253_277
.LBB253_570:
	v_bfe_u32 v9, v11, 21, 1
	s_mov_b32 s28, 0x88fffff
	v_add3_u32 v9, v11, v9, s28
	s_mov_b64 s[24:25], exec
	v_lshrrev_b32_e32 v10, 21, v9
                                        ; implicit-def: $vgpr11
	s_andn2_saveexec_b64 s[26:27], s[26:27]
	s_cbranch_execz .LBB253_285
.LBB253_571:
	v_add_f32_e32 v9, 0x42800000, v11
	v_and_b32_e32 v10, 0xff, v9
	v_cmp_ne_u32_e32 vcc, 0, v10
	s_andn2_b64 s[24:25], s[24:25], exec
	s_and_b64 s[28:29], vcc, exec
	s_or_b64 s[24:25], s[24:25], s[28:29]
	s_or_b64 exec, exec, s[26:27]
	v_mov_b32_e32 v9, 0
	s_and_saveexec_b64 s[26:27], s[24:25]
	s_cbranch_execnz .LBB253_286
	s_branch .LBB253_287
.LBB253_572:
	v_bfe_u32 v1, v2, 21, 1
	s_mov_b32 s40, 0x88fffff
	v_add3_u32 v1, v2, v1, s40
	s_mov_b64 s[26:27], exec
	v_lshrrev_b32_e32 v1, 21, v1
                                        ; implicit-def: $vgpr2
	s_andn2_saveexec_b64 s[28:29], s[28:29]
	s_cbranch_execz .LBB253_401
.LBB253_573:
	v_add_f32_e32 v1, 0x42800000, v2
	v_and_b32_e32 v1, 0xff, v1
	v_cmp_ne_u32_e32 vcc, 0, v1
	s_andn2_b64 s[26:27], s[26:27], exec
	s_and_b64 s[40:41], vcc, exec
	s_or_b64 s[26:27], s[26:27], s[40:41]
	s_or_b64 exec, exec, s[28:29]
	v_mov_b32_e32 v11, 0
	s_and_saveexec_b64 s[28:29], s[26:27]
	s_cbranch_execnz .LBB253_402
	s_branch .LBB253_403
.LBB253_574:
	v_bfe_u32 v1, v2, 21, 1
	s_mov_b32 s40, 0x88fffff
	v_add3_u32 v1, v2, v1, s40
	s_mov_b64 s[26:27], exec
	v_lshrrev_b32_e32 v1, 21, v1
                                        ; implicit-def: $vgpr2
	s_andn2_saveexec_b64 s[28:29], s[28:29]
	s_cbranch_execz .LBB253_413
.LBB253_575:
	v_add_f32_e32 v1, 0x42800000, v2
	v_and_b32_e32 v1, 0xff, v1
	v_cmp_ne_u32_e32 vcc, 0, v1
	s_andn2_b64 s[26:27], s[26:27], exec
	s_and_b64 s[40:41], vcc, exec
	s_or_b64 s[26:27], s[26:27], s[40:41]
	s_or_b64 exec, exec, s[28:29]
	v_mov_b32_e32 v11, 0
	s_and_saveexec_b64 s[28:29], s[26:27]
	s_cbranch_execnz .LBB253_414
	s_branch .LBB253_415
.LBB253_576:
	v_bfe_u32 v1, v2, 21, 1
	s_mov_b32 s40, 0x88fffff
	v_add3_u32 v1, v2, v1, s40
	s_mov_b64 s[26:27], exec
	v_lshrrev_b32_e32 v1, 21, v1
                                        ; implicit-def: $vgpr2
	s_andn2_saveexec_b64 s[28:29], s[28:29]
	s_cbranch_execz .LBB253_421
.LBB253_577:
	v_add_f32_e32 v1, 0x42800000, v2
	v_and_b32_e32 v1, 0xff, v1
	v_cmp_ne_u32_e32 vcc, 0, v1
	s_andn2_b64 s[26:27], s[26:27], exec
	s_and_b64 s[40:41], vcc, exec
	s_or_b64 s[26:27], s[26:27], s[40:41]
	s_or_b64 exec, exec, s[28:29]
	v_mov_b32_e32 v11, 0
	s_and_saveexec_b64 s[28:29], s[26:27]
	s_cbranch_execnz .LBB253_422
	s_branch .LBB253_423
.LBB253_578:
	v_bfe_u32 v2, v3, 21, 1
	s_mov_b32 s28, 0x88fffff
	v_add3_u32 v2, v1, v2, s28
	s_mov_b64 s[24:25], exec
	v_lshrrev_b32_e32 v2, 21, v2
	s_andn2_saveexec_b64 s[26:27], s[26:27]
	s_cbranch_execz .LBB253_448
.LBB253_579:
	s_mov_b32 s28, 0x42800000
	v_add_f32_e64 v2, |v1|, s28
	v_and_b32_e32 v2, 0xff, v2
	v_cmp_ne_u32_e32 vcc, 0, v2
	s_andn2_b64 s[24:25], s[24:25], exec
	s_and_b64 s[28:29], vcc, exec
	s_or_b64 s[24:25], s[24:25], s[28:29]
	s_or_b64 exec, exec, s[26:27]
	v_mov_b32_e32 v11, 0
	s_and_saveexec_b64 s[26:27], s[24:25]
	s_cbranch_execnz .LBB253_449
	s_branch .LBB253_450
.LBB253_580:
	v_bfe_u32 v2, v1, 5, 1
	s_mov_b32 s40, 0x88fffff
	v_add3_u32 v2, v3, v2, s40
	s_mov_b64 s[26:27], exec
	v_lshrrev_b32_e32 v2, 21, v2
                                        ; implicit-def: $vgpr3
	s_andn2_saveexec_b64 s[28:29], s[28:29]
	s_cbranch_execz .LBB253_468
.LBB253_581:
	s_mov_b32 s40, 0x42800000
	v_add_f32_e64 v2, |v3|, s40
	v_and_b32_e32 v2, 0xff, v2
	v_cmp_ne_u32_e32 vcc, 0, v2
	s_andn2_b64 s[26:27], s[26:27], exec
	s_and_b64 s[40:41], vcc, exec
	s_or_b64 s[26:27], s[26:27], s[40:41]
	s_or_b64 exec, exec, s[28:29]
	v_mov_b32_e32 v11, 0
	s_and_saveexec_b64 s[28:29], s[26:27]
	s_cbranch_execnz .LBB253_469
	s_branch .LBB253_470
.LBB253_582:
	v_bfe_u32 v2, v1, 21, 1
	s_mov_b32 s28, 0x88fffff
	v_add3_u32 v2, v1, v2, s28
	s_mov_b64 s[24:25], exec
	v_lshrrev_b32_e32 v2, 21, v2
	s_andn2_saveexec_b64 s[26:27], s[26:27]
	s_cbranch_execz .LBB253_380
.LBB253_583:
	s_mov_b32 s28, 0x42800000
	v_add_f32_e64 v2, |v1|, s28
	v_and_b32_e32 v2, 0xff, v2
	v_cmp_ne_u32_e32 vcc, 0, v2
	s_andn2_b64 s[24:25], s[24:25], exec
	s_and_b64 s[28:29], vcc, exec
	s_or_b64 s[24:25], s[24:25], s[28:29]
	s_or_b64 exec, exec, s[26:27]
	v_mov_b32_e32 v11, 0
	s_and_saveexec_b64 s[26:27], s[24:25]
	s_cbranch_execnz .LBB253_381
	s_branch .LBB253_382
.LBB253_584:
	v_bfe_u32 v1, v2, 21, 1
	s_mov_b32 s42, 0x88fffff
	v_add3_u32 v1, v2, v1, s42
	s_mov_b64 s[28:29], exec
	v_lshrrev_b32_e32 v1, 21, v1
                                        ; implicit-def: $vgpr2
	s_andn2_saveexec_b64 s[40:41], s[40:41]
	s_cbranch_execz .LBB253_390
.LBB253_585:
	v_add_f32_e32 v1, 0x42800000, v2
	v_and_b32_e32 v1, 0xff, v1
	v_cmp_ne_u32_e32 vcc, 0, v1
	s_andn2_b64 s[28:29], s[28:29], exec
	s_and_b64 s[42:43], vcc, exec
	s_or_b64 s[28:29], s[28:29], s[42:43]
	s_or_b64 exec, exec, s[40:41]
	v_mov_b32_e32 v11, 0
	s_and_saveexec_b64 s[40:41], s[28:29]
	s_cbranch_execnz .LBB253_391
	s_branch .LBB253_392
.Lfunc_end253:
	.size	_ZN2at6native6invokeINS0_13BinaryFunctorIN3c1015Float8_e5m2fnuzES4_bNS0_12_GLOBAL__N_116CompareEqFunctorIS4_EEEEj15function_traitsIS8_EEENT1_11result_typeERKT_PrKPcPKT0_PKNS3_10ScalarTypeEi, .Lfunc_end253-_ZN2at6native6invokeINS0_13BinaryFunctorIN3c1015Float8_e5m2fnuzES4_bNS0_12_GLOBAL__N_116CompareEqFunctorIS4_EEEEj15function_traitsIS8_EEENT1_11result_typeERKT_PrKPcPKT0_PKNS3_10ScalarTypeEi
                                        ; -- End function
	.set .L_ZN2at6native6invokeINS0_13BinaryFunctorIN3c1015Float8_e5m2fnuzES4_bNS0_12_GLOBAL__N_116CompareEqFunctorIS4_EEEEj15function_traitsIS8_EEENT1_11result_typeERKT_PrKPcPKT0_PKNS3_10ScalarTypeEi.num_vgpr, 15
	.set .L_ZN2at6native6invokeINS0_13BinaryFunctorIN3c1015Float8_e5m2fnuzES4_bNS0_12_GLOBAL__N_116CompareEqFunctorIS4_EEEEj15function_traitsIS8_EEENT1_11result_typeERKT_PrKPcPKT0_PKNS3_10ScalarTypeEi.num_agpr, 0
	.set .L_ZN2at6native6invokeINS0_13BinaryFunctorIN3c1015Float8_e5m2fnuzES4_bNS0_12_GLOBAL__N_116CompareEqFunctorIS4_EEEEj15function_traitsIS8_EEENT1_11result_typeERKT_PrKPcPKT0_PKNS3_10ScalarTypeEi.numbered_sgpr, 44
	.set .L_ZN2at6native6invokeINS0_13BinaryFunctorIN3c1015Float8_e5m2fnuzES4_bNS0_12_GLOBAL__N_116CompareEqFunctorIS4_EEEEj15function_traitsIS8_EEENT1_11result_typeERKT_PrKPcPKT0_PKNS3_10ScalarTypeEi.num_named_barrier, 0
	.set .L_ZN2at6native6invokeINS0_13BinaryFunctorIN3c1015Float8_e5m2fnuzES4_bNS0_12_GLOBAL__N_116CompareEqFunctorIS4_EEEEj15function_traitsIS8_EEENT1_11result_typeERKT_PrKPcPKT0_PKNS3_10ScalarTypeEi.private_seg_size, 0
	.set .L_ZN2at6native6invokeINS0_13BinaryFunctorIN3c1015Float8_e5m2fnuzES4_bNS0_12_GLOBAL__N_116CompareEqFunctorIS4_EEEEj15function_traitsIS8_EEENT1_11result_typeERKT_PrKPcPKT0_PKNS3_10ScalarTypeEi.uses_vcc, 1
	.set .L_ZN2at6native6invokeINS0_13BinaryFunctorIN3c1015Float8_e5m2fnuzES4_bNS0_12_GLOBAL__N_116CompareEqFunctorIS4_EEEEj15function_traitsIS8_EEENT1_11result_typeERKT_PrKPcPKT0_PKNS3_10ScalarTypeEi.uses_flat_scratch, 0
	.set .L_ZN2at6native6invokeINS0_13BinaryFunctorIN3c1015Float8_e5m2fnuzES4_bNS0_12_GLOBAL__N_116CompareEqFunctorIS4_EEEEj15function_traitsIS8_EEENT1_11result_typeERKT_PrKPcPKT0_PKNS3_10ScalarTypeEi.has_dyn_sized_stack, 0
	.set .L_ZN2at6native6invokeINS0_13BinaryFunctorIN3c1015Float8_e5m2fnuzES4_bNS0_12_GLOBAL__N_116CompareEqFunctorIS4_EEEEj15function_traitsIS8_EEENT1_11result_typeERKT_PrKPcPKT0_PKNS3_10ScalarTypeEi.has_recursion, 0
	.set .L_ZN2at6native6invokeINS0_13BinaryFunctorIN3c1015Float8_e5m2fnuzES4_bNS0_12_GLOBAL__N_116CompareEqFunctorIS4_EEEEj15function_traitsIS8_EEENT1_11result_typeERKT_PrKPcPKT0_PKNS3_10ScalarTypeEi.has_indirect_call, 0
	.section	.AMDGPU.csdata,"",@progbits
; Function info:
; codeLenInByte = 13532
; TotalNumSgprs: 48
; NumVgprs: 15
; ScratchSize: 0
; MemoryBound: 0
	.section	.text._ZN2at6native32elementwise_kernel_manual_unrollILi128ELi4EZNS0_15gpu_kernel_implINS0_13BinaryFunctorIN3c1015Float8_e5m2fnuzES5_bNS0_12_GLOBAL__N_116CompareEqFunctorIS5_EEEEEEvRNS_18TensorIteratorBaseERKT_EUlibE0_EEviT1_,"axG",@progbits,_ZN2at6native32elementwise_kernel_manual_unrollILi128ELi4EZNS0_15gpu_kernel_implINS0_13BinaryFunctorIN3c1015Float8_e5m2fnuzES5_bNS0_12_GLOBAL__N_116CompareEqFunctorIS5_EEEEEEvRNS_18TensorIteratorBaseERKT_EUlibE0_EEviT1_,comdat
	.globl	_ZN2at6native32elementwise_kernel_manual_unrollILi128ELi4EZNS0_15gpu_kernel_implINS0_13BinaryFunctorIN3c1015Float8_e5m2fnuzES5_bNS0_12_GLOBAL__N_116CompareEqFunctorIS5_EEEEEEvRNS_18TensorIteratorBaseERKT_EUlibE0_EEviT1_ ; -- Begin function _ZN2at6native32elementwise_kernel_manual_unrollILi128ELi4EZNS0_15gpu_kernel_implINS0_13BinaryFunctorIN3c1015Float8_e5m2fnuzES5_bNS0_12_GLOBAL__N_116CompareEqFunctorIS5_EEEEEEvRNS_18TensorIteratorBaseERKT_EUlibE0_EEviT1_
	.p2align	8
	.type	_ZN2at6native32elementwise_kernel_manual_unrollILi128ELi4EZNS0_15gpu_kernel_implINS0_13BinaryFunctorIN3c1015Float8_e5m2fnuzES5_bNS0_12_GLOBAL__N_116CompareEqFunctorIS5_EEEEEEvRNS_18TensorIteratorBaseERKT_EUlibE0_EEviT1_,@function
_ZN2at6native32elementwise_kernel_manual_unrollILi128ELi4EZNS0_15gpu_kernel_implINS0_13BinaryFunctorIN3c1015Float8_e5m2fnuzES5_bNS0_12_GLOBAL__N_116CompareEqFunctorIS5_EEEEEEvRNS_18TensorIteratorBaseERKT_EUlibE0_EEviT1_: ; @_ZN2at6native32elementwise_kernel_manual_unrollILi128ELi4EZNS0_15gpu_kernel_implINS0_13BinaryFunctorIN3c1015Float8_e5m2fnuzES5_bNS0_12_GLOBAL__N_116CompareEqFunctorIS5_EEEEEEvRNS_18TensorIteratorBaseERKT_EUlibE0_EEviT1_
; %bb.0:
	s_add_u32 flat_scratch_lo, s6, s9
	s_addc_u32 flat_scratch_hi, s7, 0
	s_load_dwordx8 s[12:19], s[4:5], 0xa8
	s_load_dword s33, s[4:5], 0x0
	s_load_dwordx8 s[36:43], s[4:5], 0x8
	s_load_dwordx8 s[20:27], s[4:5], 0x28
	s_add_u32 s0, s0, s9
	s_load_dwordx8 s[44:51], s[4:5], 0xc8
	s_addc_u32 s1, s1, 0
	s_waitcnt lgkmcnt(0)
	v_mov_b32_e32 v1, s19
	buffer_store_dword v1, off, s[0:3], 0 offset:204
	v_mov_b32_e32 v1, s18
	buffer_store_dword v1, off, s[0:3], 0 offset:200
	;; [unrolled: 2-line block ×7, first 2 shown]
	v_mov_b32_e32 v1, s44
	s_load_dwordx8 s[52:59], s[4:5], 0xe8
	buffer_store_dword v1, off, s[0:3], 0 offset:208
	v_mov_b32_e32 v1, s51
	buffer_store_dword v1, off, s[0:3], 0 offset:236
	v_mov_b32_e32 v1, s50
	buffer_store_dword v1, off, s[0:3], 0 offset:232
	v_mov_b32_e32 v1, s49
	buffer_store_dword v1, off, s[0:3], 0 offset:228
	v_mov_b32_e32 v1, s48
	buffer_store_dword v1, off, s[0:3], 0 offset:224
	s_waitcnt lgkmcnt(0)
	v_mov_b32_e32 v1, s55
	buffer_store_dword v1, off, s[0:3], 0 offset:252
	v_mov_b32_e32 v1, s54
	buffer_store_dword v1, off, s[0:3], 0 offset:248
	v_mov_b32_e32 v1, s53
	buffer_store_dword v1, off, s[0:3], 0 offset:244
	v_mov_b32_e32 v1, s52
	s_load_dwordx8 s[44:51], s[4:5], 0x108
	buffer_store_dword v1, off, s[0:3], 0 offset:240
	v_mov_b32_e32 v1, s59
	buffer_store_dword v1, off, s[0:3], 0 offset:268
	v_mov_b32_e32 v1, s58
	buffer_store_dword v1, off, s[0:3], 0 offset:264
	v_mov_b32_e32 v1, s57
	buffer_store_dword v1, off, s[0:3], 0 offset:260
	v_mov_b32_e32 v1, s56
	buffer_store_dword v1, off, s[0:3], 0 offset:256
	s_waitcnt lgkmcnt(0)
	v_mov_b32_e32 v1, s47
	buffer_store_dword v1, off, s[0:3], 0 offset:284
	v_mov_b32_e32 v1, s46
	buffer_store_dword v1, off, s[0:3], 0 offset:280
	v_mov_b32_e32 v1, s45
	buffer_store_dword v1, off, s[0:3], 0 offset:276
	;; [unrolled: 18-line block ×6, first 2 shown]
	v_mov_b32_e32 v1, s44
	s_load_dwordx4 s[16:19], s[4:5], 0x1a0
	buffer_store_dword v1, off, s[0:3], 0 offset:400
	v_mov_b32_e32 v1, s51
	buffer_store_dword v1, off, s[0:3], 0 offset:428
	v_mov_b32_e32 v1, s50
	;; [unrolled: 2-line block ×4, first 2 shown]
	buffer_store_dword v1, off, s[0:3], 0 offset:416
	s_waitcnt lgkmcnt(0)
	v_mov_b32_e32 v1, s19
	buffer_store_dword v1, off, s[0:3], 0 offset:436
	v_mov_b32_e32 v1, s18
	buffer_store_dword v1, off, s[0:3], 0 offset:432
	;; [unrolled: 2-line block ×15, first 2 shown]
	v_mov_b32_e32 v1, s20
	s_load_dwordx8 s[16:23], s[4:5], 0x48
	buffer_store_dword v1, off, s[0:3], 0 offset:48
	v_mov_b32_e32 v1, s27
	buffer_store_dword v1, off, s[0:3], 0 offset:76
	v_mov_b32_e32 v1, s26
	buffer_store_dword v1, off, s[0:3], 0 offset:72
	v_mov_b32_e32 v1, s25
	buffer_store_dword v1, off, s[0:3], 0 offset:68
	v_mov_b32_e32 v1, s24
	buffer_store_dword v1, off, s[0:3], 0 offset:64
	s_waitcnt lgkmcnt(0)
	v_mov_b32_e32 v1, s19
	buffer_store_dword v1, off, s[0:3], 0 offset:92
	v_mov_b32_e32 v1, s18
	buffer_store_dword v1, off, s[0:3], 0 offset:88
	v_mov_b32_e32 v1, s17
	buffer_store_dword v1, off, s[0:3], 0 offset:84
	v_mov_b32_e32 v1, s16
	s_load_dwordx8 s[24:31], s[4:5], 0x68
	buffer_store_dword v1, off, s[0:3], 0 offset:80
	v_mov_b32_e32 v1, s23
	buffer_store_dword v1, off, s[0:3], 0 offset:108
	v_mov_b32_e32 v1, s22
	buffer_store_dword v1, off, s[0:3], 0 offset:104
	v_mov_b32_e32 v1, s21
	buffer_store_dword v1, off, s[0:3], 0 offset:100
	v_mov_b32_e32 v1, s20
	buffer_store_dword v1, off, s[0:3], 0 offset:96
	s_waitcnt lgkmcnt(0)
	v_mov_b32_e32 v1, s27
	buffer_store_dword v1, off, s[0:3], 0 offset:124
	v_mov_b32_e32 v1, s26
	buffer_store_dword v1, off, s[0:3], 0 offset:120
	v_mov_b32_e32 v1, s25
	buffer_store_dword v1, off, s[0:3], 0 offset:116
	;; [unrolled: 18-line block ×3, first 2 shown]
	v_mov_b32_e32 v1, s16
	buffer_store_dword v1, off, s[0:3], 0 offset:144
	v_mov_b32_e32 v1, s23
	buffer_store_dword v1, off, s[0:3], 0 offset:172
	;; [unrolled: 2-line block ×8, first 2 shown]
	v_mov_b32_e32 v1, s12
	v_lshl_or_b32 v17, s8, 9, v0
	buffer_store_dword v1, off, s[0:3], 0 offset:176
	v_or_b32_e32 v1, 0x180, v17
	v_cmp_le_i32_e32 vcc, s33, v1
	s_mov_b64 s[34:35], 0
	s_mov_b64 s[6:7], 0
	s_movk_i32 s32, 0x7000
	s_and_saveexec_b64 s[4:5], vcc
	s_xor_b64 s[36:37], exec, s[4:5]
	s_cbranch_execz .LBB254_139
; %bb.1:
	s_mov_b64 s[38:39], src_private_base
	s_movk_i32 s4, 0x190
	s_add_u32 s38, 16, s4
	s_addc_u32 s54, s39, 0
	s_add_u32 s55, 0, 4
	s_addc_u32 s56, s39, 0
	s_movk_i32 s4, 0x1a5
	s_add_u32 s57, 16, s4
	s_addc_u32 s58, s39, 0
	s_mov_b32 s59, 4
	s_mov_b64 s[44:45], 0
	v_mov_b32_e32 v20, 0
	s_movk_i32 s60, 0x7fff
	s_movk_i32 s61, 0xff
	s_mov_b32 s62, 0x3fffff
	s_mov_b32 s63, 0
	s_mov_b32 s64, 0x43800000
	s_mov_b32 s65, 0x3bffffff
	s_mov_b32 s66, 0x487ffff
	s_mov_b32 s67, 0x47800000
	s_mov_b32 s68, 0x37ffffff
	s_mov_b32 s69, 0x88fffff
	s_mov_b32 s70, 0x43f00000
	s_mov_b32 s71, 0x3c7fffff
	s_mov_b32 s72, 0x407ffff
	s_mov_b32 s73, 0x7f00000
	s_mov_b32 s74, 0x7f800000
	s_mov_b32 s75, 0x387fffff
	s_mov_b32 s76, 0x80fffff
	v_mov_b32_e32 v22, 0x7e
	v_mov_b32_e32 v23, 0x7f
	;; [unrolled: 1-line block ×3, first 2 shown]
                                        ; implicit-def: $sgpr46_sgpr47
                                        ; implicit-def: $sgpr48_sgpr49
	s_branch .LBB254_3
.LBB254_2:                              ;   in Loop: Header=BB254_3 Depth=1
	s_or_b64 exec, exec, s[6:7]
	s_and_b64 s[4:5], exec, s[50:51]
	s_or_b64 s[44:45], s[4:5], s[44:45]
	s_andn2_b64 s[4:5], s[46:47], exec
	s_and_b64 s[6:7], s[48:49], exec
	s_or_b64 s[46:47], s[4:5], s[6:7]
	s_andn2_b64 exec, exec, s[44:45]
	s_cbranch_execz .LBB254_137
.LBB254_3:                              ; =>This Inner Loop Header: Depth=1
	v_cmp_gt_i32_e32 vcc, s33, v17
	s_mov_b64 s[50:51], -1
	s_mov_b64 s[4:5], -1
	s_and_saveexec_b64 s[52:53], vcc
	s_cbranch_execz .LBB254_89
; %bb.4:                                ;   in Loop: Header=BB254_3 Depth=1
	s_getpc_b64 s[4:5]
	s_add_u32 s4, s4, _ZNK16OffsetCalculatorILi3EjLb0EE3getEj@rel32@lo+4
	s_addc_u32 s5, s5, _ZNK16OffsetCalculatorILi3EjLb0EE3getEj@rel32@hi+12
	v_mov_b32_e32 v0, 16
	v_mov_b32_e32 v1, s39
	;; [unrolled: 1-line block ×3, first 2 shown]
	s_swappc_b64 s[30:31], s[4:5]
	v_mov_b32_e32 v15, v0
	buffer_load_dword v0, off, s[0:3], 0 offset:432
	s_getpc_b64 s[4:5]
	s_add_u32 s4, s4, _ZN2at6native6invokeINS0_13BinaryFunctorIN3c1015Float8_e5m2fnuzES4_bNS0_12_GLOBAL__N_116CompareEqFunctorIS4_EEEEj15function_traitsIS8_EEENT1_11result_typeERKT_PrKPcPKT0_PKNS3_10ScalarTypeEi@rel32@lo+4
	s_addc_u32 s5, s5, _ZN2at6native6invokeINS0_13BinaryFunctorIN3c1015Float8_e5m2fnuzES4_bNS0_12_GLOBAL__N_116CompareEqFunctorIS4_EEEEj15function_traitsIS8_EEENT1_11result_typeERKT_PrKPcPKT0_PKNS3_10ScalarTypeEi@rel32@hi+12
	buffer_store_dword v15, off, s[0:3], 0
	buffer_store_dword v1, off, s[0:3], 0 offset:4
	buffer_store_dword v2, off, s[0:3], 0 offset:8
	v_mov_b32_e32 v1, s38
	v_mov_b32_e32 v2, s54
	;; [unrolled: 1-line block ×6, first 2 shown]
	s_swappc_b64 s[30:31], s[4:5]
	v_and_b32_e32 v0, 1, v0
	v_cmp_eq_u32_e32 vcc, 1, v0
	buffer_load_dword v0, off, s[0:3], 0 offset:408
	buffer_load_dword v1, off, s[0:3], 0 offset:412
	buffer_load_ubyte v2, off, s[0:3], 0 offset:436
	s_mov_b64 s[6:7], 0
	s_waitcnt vmcnt(2)
	v_add_co_u32_e64 v0, s[4:5], v0, v15
	s_waitcnt vmcnt(1)
	v_addc_co_u32_e64 v1, s[4:5], 0, v1, s[4:5]
	s_waitcnt vmcnt(0)
	v_cmp_lt_i16_e64 s[4:5], 10, v2
	s_and_saveexec_b64 s[8:9], s[4:5]
	s_xor_b64 s[8:9], exec, s[8:9]
	s_cbranch_execz .LBB254_91
; %bb.5:                                ;   in Loop: Header=BB254_3 Depth=1
	v_cmp_lt_i16_e64 s[4:5], 25, v2
	s_and_saveexec_b64 s[10:11], s[4:5]
	s_xor_b64 s[10:11], exec, s[10:11]
	s_cbranch_execz .LBB254_41
; %bb.6:                                ;   in Loop: Header=BB254_3 Depth=1
	v_cmp_lt_i16_e64 s[4:5], 28, v2
	s_and_saveexec_b64 s[12:13], s[4:5]
	s_xor_b64 s[12:13], exec, s[12:13]
	s_cbranch_execz .LBB254_24
; %bb.7:                                ;   in Loop: Header=BB254_3 Depth=1
	v_cmp_lt_i16_e64 s[4:5], 43, v2
	s_and_saveexec_b64 s[14:15], s[4:5]
	s_xor_b64 s[14:15], exec, s[14:15]
	s_cbranch_execz .LBB254_19
; %bb.8:                                ;   in Loop: Header=BB254_3 Depth=1
	v_cmp_lt_i16_e64 s[4:5], 45, v2
	s_mov_b64 s[16:17], 0
	s_and_saveexec_b64 s[6:7], s[4:5]
	s_xor_b64 s[6:7], exec, s[6:7]
	s_cbranch_execz .LBB254_12
; %bb.9:                                ;   in Loop: Header=BB254_3 Depth=1
	v_cmp_eq_u16_e64 s[4:5], 46, v2
	s_and_saveexec_b64 s[18:19], s[4:5]
	s_cbranch_execz .LBB254_11
; %bb.10:                               ;   in Loop: Header=BB254_3 Depth=1
	v_cndmask_b32_e64 v2, 0, 1.0, vcc
	v_bfe_u32 v3, v2, 16, 1
	v_add3_u32 v2, v2, v3, s60
	v_lshrrev_b32_e32 v2, 16, v2
	s_mov_b64 s[16:17], exec
	flat_store_dword v[0:1], v2
.LBB254_11:                             ;   in Loop: Header=BB254_3 Depth=1
	s_or_b64 exec, exec, s[18:19]
	s_and_b64 s[16:17], s[16:17], exec
                                        ; implicit-def: $vgpr2
                                        ; implicit-def: $vgpr0_vgpr1
.LBB254_12:                             ;   in Loop: Header=BB254_3 Depth=1
	s_andn2_saveexec_b64 s[18:19], s[6:7]
	s_cbranch_execz .LBB254_18
; %bb.13:                               ;   in Loop: Header=BB254_3 Depth=1
	v_cmp_eq_u16_e64 s[4:5], 44, v2
	s_mov_b64 s[6:7], s[16:17]
	s_and_saveexec_b64 s[20:21], s[4:5]
	s_cbranch_execz .LBB254_17
; %bb.14:                               ;   in Loop: Header=BB254_3 Depth=1
	v_cndmask_b32_e64 v4, 0, 1.0, vcc
	v_lshrrev_b32_e32 v2, 23, v4
	v_cmp_ne_u32_e64 s[4:5], s61, v2
	v_mov_b32_e32 v3, 0xff
	s_and_saveexec_b64 s[22:23], s[4:5]
; %bb.15:                               ;   in Loop: Header=BB254_3 Depth=1
	v_and_b32_e32 v3, 0x400000, v4
	v_cmp_ne_u32_e64 s[4:5], 0, v3
	v_and_or_b32 v3, v4, s62, v2
	v_cmp_ne_u32_e64 s[6:7], 0, v3
	s_and_b64 s[4:5], s[4:5], s[6:7]
	v_cndmask_b32_e64 v3, 0, 1, s[4:5]
	v_add_u32_e32 v3, v2, v3
; %bb.16:                               ;   in Loop: Header=BB254_3 Depth=1
	s_or_b64 exec, exec, s[22:23]
	s_or_b64 s[6:7], s[16:17], exec
	flat_store_byte v[0:1], v3
.LBB254_17:                             ;   in Loop: Header=BB254_3 Depth=1
	s_or_b64 exec, exec, s[20:21]
	s_andn2_b64 s[4:5], s[16:17], exec
	s_and_b64 s[6:7], s[6:7], exec
	s_or_b64 s[16:17], s[4:5], s[6:7]
.LBB254_18:                             ;   in Loop: Header=BB254_3 Depth=1
	s_or_b64 exec, exec, s[18:19]
	s_and_b64 s[6:7], s[16:17], exec
                                        ; implicit-def: $vgpr2
                                        ; implicit-def: $vgpr0_vgpr1
.LBB254_19:                             ;   in Loop: Header=BB254_3 Depth=1
	s_andn2_saveexec_b64 s[14:15], s[14:15]
	s_cbranch_execz .LBB254_23
; %bb.20:                               ;   in Loop: Header=BB254_3 Depth=1
	v_cmp_eq_u16_e64 s[4:5], 29, v2
	s_mov_b64 s[18:19], s[6:7]
	s_and_saveexec_b64 s[16:17], s[4:5]
	s_cbranch_execz .LBB254_22
; %bb.21:                               ;   in Loop: Header=BB254_3 Depth=1
	v_cndmask_b32_e64 v2, 0, 1, vcc
	v_mov_b32_e32 v3, s63
	flat_store_dwordx2 v[0:1], v[2:3]
	s_or_b64 s[18:19], s[6:7], exec
.LBB254_22:                             ;   in Loop: Header=BB254_3 Depth=1
	s_or_b64 exec, exec, s[16:17]
	s_andn2_b64 s[4:5], s[6:7], exec
	s_and_b64 s[6:7], s[18:19], exec
	s_or_b64 s[6:7], s[4:5], s[6:7]
.LBB254_23:                             ;   in Loop: Header=BB254_3 Depth=1
	s_or_b64 exec, exec, s[14:15]
	s_and_b64 s[6:7], s[6:7], exec
                                        ; implicit-def: $vgpr0_vgpr1
                                        ; implicit-def: $vgpr2
.LBB254_24:                             ;   in Loop: Header=BB254_3 Depth=1
	s_andn2_saveexec_b64 s[12:13], s[12:13]
	s_cbranch_execz .LBB254_40
; %bb.25:                               ;   in Loop: Header=BB254_3 Depth=1
	v_cmp_lt_i16_e64 s[4:5], 26, v2
	s_and_saveexec_b64 s[14:15], s[4:5]
	s_xor_b64 s[14:15], exec, s[14:15]
	s_cbranch_execz .LBB254_31
; %bb.26:                               ;   in Loop: Header=BB254_3 Depth=1
	v_cmp_lt_i16_e64 s[4:5], 27, v2
	s_and_saveexec_b64 s[16:17], s[4:5]
	s_xor_b64 s[4:5], exec, s[16:17]
	s_cbranch_execz .LBB254_28
; %bb.27:                               ;   in Loop: Header=BB254_3 Depth=1
	v_cndmask_b32_e64 v2, 0, 1, vcc
	flat_store_dword v[0:1], v2
                                        ; implicit-def: $vgpr0_vgpr1
.LBB254_28:                             ;   in Loop: Header=BB254_3 Depth=1
	s_andn2_saveexec_b64 s[4:5], s[4:5]
	s_cbranch_execz .LBB254_30
; %bb.29:                               ;   in Loop: Header=BB254_3 Depth=1
	v_cndmask_b32_e64 v2, 0, 1, vcc
	flat_store_short v[0:1], v2
.LBB254_30:                             ;   in Loop: Header=BB254_3 Depth=1
	s_or_b64 exec, exec, s[4:5]
                                        ; implicit-def: $vgpr0_vgpr1
.LBB254_31:                             ;   in Loop: Header=BB254_3 Depth=1
	s_andn2_saveexec_b64 s[14:15], s[14:15]
	s_cbranch_execz .LBB254_39
; %bb.32:                               ;   in Loop: Header=BB254_3 Depth=1
	v_cndmask_b32_e64 v3, 0, 1.0, vcc
	v_cmp_gt_u32_e64 s[4:5], s64, v3
	v_mov_b32_e32 v4, 0x80
	s_and_saveexec_b64 s[16:17], s[4:5]
	s_cbranch_execz .LBB254_38
; %bb.33:                               ;   in Loop: Header=BB254_3 Depth=1
	v_cmp_lt_u32_e64 s[4:5], s65, v3
	s_mov_b64 s[18:19], 0
                                        ; implicit-def: $vgpr2
	s_and_saveexec_b64 s[20:21], s[4:5]
	s_xor_b64 s[4:5], exec, s[20:21]
	s_cbranch_execz .LBB254_133
; %bb.34:                               ;   in Loop: Header=BB254_3 Depth=1
	v_bfe_u32 v2, v3, 20, 1
	v_add3_u32 v2, v3, v2, s66
	s_mov_b64 s[18:19], exec
	v_lshrrev_b32_e32 v2, 20, v2
                                        ; implicit-def: $vgpr3
	s_andn2_saveexec_b64 s[20:21], s[4:5]
	s_cbranch_execnz .LBB254_134
.LBB254_35:                             ;   in Loop: Header=BB254_3 Depth=1
	s_or_b64 exec, exec, s[20:21]
	v_mov_b32_e32 v4, 0
	s_and_saveexec_b64 s[4:5], s[18:19]
.LBB254_36:                             ;   in Loop: Header=BB254_3 Depth=1
	v_mov_b32_e32 v4, v2
.LBB254_37:                             ;   in Loop: Header=BB254_3 Depth=1
	s_or_b64 exec, exec, s[4:5]
.LBB254_38:                             ;   in Loop: Header=BB254_3 Depth=1
	s_or_b64 exec, exec, s[16:17]
	flat_store_byte v[0:1], v4
.LBB254_39:                             ;   in Loop: Header=BB254_3 Depth=1
	s_or_b64 exec, exec, s[14:15]
	s_or_b64 s[6:7], s[6:7], exec
.LBB254_40:                             ;   in Loop: Header=BB254_3 Depth=1
	s_or_b64 exec, exec, s[12:13]
	s_and_b64 s[6:7], s[6:7], exec
                                        ; implicit-def: $vgpr2
                                        ; implicit-def: $vgpr0_vgpr1
.LBB254_41:                             ;   in Loop: Header=BB254_3 Depth=1
	s_andn2_saveexec_b64 s[10:11], s[10:11]
	s_cbranch_execz .LBB254_85
; %bb.42:                               ;   in Loop: Header=BB254_3 Depth=1
	v_cmp_lt_i16_e64 s[4:5], 22, v2
	s_mov_b64 s[14:15], s[6:7]
	s_and_saveexec_b64 s[12:13], s[4:5]
	s_xor_b64 s[12:13], exec, s[12:13]
	s_cbranch_execz .LBB254_74
; %bb.43:                               ;   in Loop: Header=BB254_3 Depth=1
	v_cmp_lt_i16_e64 s[4:5], 23, v2
	s_and_saveexec_b64 s[14:15], s[4:5]
	s_xor_b64 s[14:15], exec, s[14:15]
	s_cbranch_execz .LBB254_63
; %bb.44:                               ;   in Loop: Header=BB254_3 Depth=1
	v_cmp_lt_i16_e64 s[4:5], 24, v2
	s_and_saveexec_b64 s[16:17], s[4:5]
	s_xor_b64 s[16:17], exec, s[16:17]
	s_cbranch_execz .LBB254_52
; %bb.45:                               ;   in Loop: Header=BB254_3 Depth=1
	v_cndmask_b32_e64 v3, 0, 1.0, vcc
	v_cmp_gt_u32_e64 s[4:5], s67, v3
	v_mov_b32_e32 v4, 0x80
	s_and_saveexec_b64 s[18:19], s[4:5]
	s_cbranch_execz .LBB254_51
; %bb.46:                               ;   in Loop: Header=BB254_3 Depth=1
	v_cmp_lt_u32_e64 s[4:5], s68, v3
	s_mov_b64 s[20:21], 0
                                        ; implicit-def: $vgpr2
	s_and_saveexec_b64 s[22:23], s[4:5]
	s_xor_b64 s[4:5], exec, s[22:23]
	s_cbranch_execz .LBB254_135
; %bb.47:                               ;   in Loop: Header=BB254_3 Depth=1
	v_bfe_u32 v2, v3, 21, 1
	v_add3_u32 v2, v3, v2, s69
	s_mov_b64 s[20:21], exec
	v_lshrrev_b32_e32 v2, 21, v2
                                        ; implicit-def: $vgpr3
	s_andn2_saveexec_b64 s[22:23], s[4:5]
	s_cbranch_execnz .LBB254_136
.LBB254_48:                             ;   in Loop: Header=BB254_3 Depth=1
	s_or_b64 exec, exec, s[22:23]
	v_mov_b32_e32 v4, 0
	s_and_saveexec_b64 s[4:5], s[20:21]
.LBB254_49:                             ;   in Loop: Header=BB254_3 Depth=1
	v_mov_b32_e32 v4, v2
.LBB254_50:                             ;   in Loop: Header=BB254_3 Depth=1
	s_or_b64 exec, exec, s[4:5]
.LBB254_51:                             ;   in Loop: Header=BB254_3 Depth=1
	s_or_b64 exec, exec, s[18:19]
	flat_store_byte v[0:1], v4
                                        ; implicit-def: $vgpr0_vgpr1
.LBB254_52:                             ;   in Loop: Header=BB254_3 Depth=1
	s_andn2_saveexec_b64 s[16:17], s[16:17]
	s_cbranch_execz .LBB254_62
; %bb.53:                               ;   in Loop: Header=BB254_3 Depth=1
	v_cndmask_b32_e64 v3, 0, 1.0, vcc
	v_cmp_gt_u32_e64 s[4:5], s70, v3
                                        ; implicit-def: $vgpr2
	s_and_saveexec_b64 s[18:19], s[4:5]
	s_xor_b64 s[18:19], exec, s[18:19]
	s_cbranch_execz .LBB254_59
; %bb.54:                               ;   in Loop: Header=BB254_3 Depth=1
	v_cmp_lt_u32_e64 s[4:5], s71, v3
                                        ; implicit-def: $vgpr2
	s_and_saveexec_b64 s[20:21], s[4:5]
	s_xor_b64 s[20:21], exec, s[20:21]
; %bb.55:                               ;   in Loop: Header=BB254_3 Depth=1
	v_bfe_u32 v2, v3, 20, 1
	v_add3_u32 v2, v3, v2, s72
	v_lshrrev_b32_e32 v3, 20, v2
	v_and_b32_e32 v2, 0xff00000, v2
	v_cmp_ne_u32_e64 s[4:5], s73, v2
	v_cndmask_b32_e64 v2, v22, v3, s[4:5]
                                        ; implicit-def: $vgpr3
; %bb.56:                               ;   in Loop: Header=BB254_3 Depth=1
	s_andn2_saveexec_b64 s[4:5], s[20:21]
; %bb.57:                               ;   in Loop: Header=BB254_3 Depth=1
	v_add_f32_e32 v2, 0x46800000, v3
; %bb.58:                               ;   in Loop: Header=BB254_3 Depth=1
	s_or_b64 exec, exec, s[4:5]
                                        ; implicit-def: $vgpr3
.LBB254_59:                             ;   in Loop: Header=BB254_3 Depth=1
	s_andn2_saveexec_b64 s[18:19], s[18:19]
; %bb.60:                               ;   in Loop: Header=BB254_3 Depth=1
	v_cmp_lt_u32_e64 s[4:5], s74, v3
	v_cndmask_b32_e64 v2, v22, v23, s[4:5]
; %bb.61:                               ;   in Loop: Header=BB254_3 Depth=1
	s_or_b64 exec, exec, s[18:19]
	flat_store_byte v[0:1], v2
.LBB254_62:                             ;   in Loop: Header=BB254_3 Depth=1
	s_or_b64 exec, exec, s[16:17]
                                        ; implicit-def: $vgpr0_vgpr1
.LBB254_63:                             ;   in Loop: Header=BB254_3 Depth=1
	s_andn2_saveexec_b64 s[14:15], s[14:15]
	s_cbranch_execz .LBB254_73
; %bb.64:                               ;   in Loop: Header=BB254_3 Depth=1
	v_cndmask_b32_e64 v3, 0, 1.0, vcc
	v_cmp_gt_u32_e64 s[4:5], s67, v3
                                        ; implicit-def: $vgpr2
	s_and_saveexec_b64 s[16:17], s[4:5]
	s_xor_b64 s[16:17], exec, s[16:17]
	s_cbranch_execz .LBB254_70
; %bb.65:                               ;   in Loop: Header=BB254_3 Depth=1
	v_cmp_lt_u32_e64 s[4:5], s75, v3
                                        ; implicit-def: $vgpr2
	s_and_saveexec_b64 s[18:19], s[4:5]
	s_xor_b64 s[4:5], exec, s[18:19]
; %bb.66:                               ;   in Loop: Header=BB254_3 Depth=1
	v_bfe_u32 v2, v3, 21, 1
	v_add3_u32 v2, v3, v2, s76
	v_lshrrev_b32_e32 v2, 21, v2
                                        ; implicit-def: $vgpr3
; %bb.67:                               ;   in Loop: Header=BB254_3 Depth=1
	s_andn2_saveexec_b64 s[4:5], s[4:5]
; %bb.68:                               ;   in Loop: Header=BB254_3 Depth=1
	v_add_f32_e32 v2, 0x43000000, v3
; %bb.69:                               ;   in Loop: Header=BB254_3 Depth=1
	s_or_b64 exec, exec, s[4:5]
                                        ; implicit-def: $vgpr3
.LBB254_70:                             ;   in Loop: Header=BB254_3 Depth=1
	s_andn2_saveexec_b64 s[16:17], s[16:17]
; %bb.71:                               ;   in Loop: Header=BB254_3 Depth=1
	v_cmp_lt_u32_e64 s[4:5], s74, v3
	v_cndmask_b32_e64 v2, v24, v23, s[4:5]
; %bb.72:                               ;   in Loop: Header=BB254_3 Depth=1
	s_or_b64 exec, exec, s[16:17]
	flat_store_byte v[0:1], v2
.LBB254_73:                             ;   in Loop: Header=BB254_3 Depth=1
	s_or_b64 exec, exec, s[14:15]
	s_or_b64 s[14:15], s[6:7], exec
                                        ; implicit-def: $vgpr2
                                        ; implicit-def: $vgpr0_vgpr1
.LBB254_74:                             ;   in Loop: Header=BB254_3 Depth=1
	s_andn2_saveexec_b64 s[12:13], s[12:13]
	s_cbranch_execz .LBB254_84
; %bb.75:                               ;   in Loop: Header=BB254_3 Depth=1
	v_cmp_lt_i16_e64 s[4:5], 14, v2
	s_mov_b64 s[16:17], s[14:15]
	s_and_saveexec_b64 s[18:19], s[4:5]
	s_xor_b64 s[18:19], exec, s[18:19]
	s_cbranch_execz .LBB254_79
; %bb.76:                               ;   in Loop: Header=BB254_3 Depth=1
	v_cmp_eq_u16_e64 s[4:5], 15, v2
	s_mov_b64 s[20:21], s[14:15]
	s_and_saveexec_b64 s[16:17], s[4:5]
	s_cbranch_execz .LBB254_78
; %bb.77:                               ;   in Loop: Header=BB254_3 Depth=1
	v_cndmask_b32_e64 v2, 0, 1.0, vcc
	v_bfe_u32 v3, v2, 16, 1
	v_add3_u32 v2, v2, v3, s60
	flat_store_short_d16_hi v[0:1], v2
	s_or_b64 s[20:21], s[14:15], exec
.LBB254_78:                             ;   in Loop: Header=BB254_3 Depth=1
	s_or_b64 exec, exec, s[16:17]
	s_andn2_b64 s[4:5], s[14:15], exec
	s_and_b64 s[16:17], s[20:21], exec
	s_or_b64 s[16:17], s[4:5], s[16:17]
                                        ; implicit-def: $vgpr2
                                        ; implicit-def: $vgpr0_vgpr1
.LBB254_79:                             ;   in Loop: Header=BB254_3 Depth=1
	s_andn2_saveexec_b64 s[18:19], s[18:19]
	s_cbranch_execz .LBB254_83
; %bb.80:                               ;   in Loop: Header=BB254_3 Depth=1
	v_cmp_eq_u16_e64 s[4:5], 11, v2
	s_mov_b64 s[20:21], s[16:17]
	s_and_saveexec_b64 s[22:23], s[4:5]
	s_cbranch_execz .LBB254_82
; %bb.81:                               ;   in Loop: Header=BB254_3 Depth=1
	v_cndmask_b32_e64 v2, 0, 1, vcc
	flat_store_byte v[0:1], v2
	s_or_b64 s[20:21], s[16:17], exec
.LBB254_82:                             ;   in Loop: Header=BB254_3 Depth=1
	s_or_b64 exec, exec, s[22:23]
	s_andn2_b64 s[4:5], s[16:17], exec
	s_and_b64 s[16:17], s[20:21], exec
	s_or_b64 s[16:17], s[4:5], s[16:17]
.LBB254_83:                             ;   in Loop: Header=BB254_3 Depth=1
	s_or_b64 exec, exec, s[18:19]
	s_andn2_b64 s[4:5], s[14:15], exec
	s_and_b64 s[14:15], s[16:17], exec
	s_or_b64 s[14:15], s[4:5], s[14:15]
.LBB254_84:                             ;   in Loop: Header=BB254_3 Depth=1
	s_or_b64 exec, exec, s[12:13]
	s_andn2_b64 s[4:5], s[6:7], exec
	s_and_b64 s[6:7], s[14:15], exec
	s_or_b64 s[6:7], s[4:5], s[6:7]
.LBB254_85:                             ;   in Loop: Header=BB254_3 Depth=1
	s_or_b64 exec, exec, s[10:11]
	s_and_b64 s[6:7], s[6:7], exec
                                        ; implicit-def: $vgpr2
                                        ; implicit-def: $vgpr0_vgpr1
	s_andn2_saveexec_b64 s[8:9], s[8:9]
	s_cbranch_execnz .LBB254_92
.LBB254_86:                             ;   in Loop: Header=BB254_3 Depth=1
	s_or_b64 exec, exec, s[8:9]
	s_mov_b64 s[4:5], 0
	s_and_saveexec_b64 s[8:9], s[6:7]
.LBB254_87:                             ;   in Loop: Header=BB254_3 Depth=1
	s_mov_b64 s[4:5], exec
	v_add_u32_e32 v17, 0x80, v17
.LBB254_88:                             ;   in Loop: Header=BB254_3 Depth=1
	s_or_b64 exec, exec, s[8:9]
	s_orn2_b64 s[4:5], s[4:5], exec
.LBB254_89:                             ;   in Loop: Header=BB254_3 Depth=1
	s_or_b64 exec, exec, s[52:53]
	s_or_b64 s[48:49], s[48:49], exec
	s_and_saveexec_b64 s[6:7], s[4:5]
	s_cbranch_execz .LBB254_2
; %bb.90:                               ;   in Loop: Header=BB254_3 Depth=1
	s_add_i32 s59, s59, -1
	s_cmp_eq_u32 s59, 0
	s_cselect_b64 s[4:5], -1, 0
	s_andn2_b64 s[48:49], s[48:49], exec
	s_orn2_b64 s[50:51], s[4:5], exec
	s_branch .LBB254_2
.LBB254_91:                             ;   in Loop: Header=BB254_3 Depth=1
	s_andn2_saveexec_b64 s[8:9], s[8:9]
	s_cbranch_execz .LBB254_86
.LBB254_92:                             ;   in Loop: Header=BB254_3 Depth=1
	v_cmp_lt_i16_e64 s[4:5], 4, v2
	s_and_saveexec_b64 s[10:11], s[4:5]
	s_xor_b64 s[10:11], exec, s[10:11]
	s_cbranch_execz .LBB254_114
; %bb.93:                               ;   in Loop: Header=BB254_3 Depth=1
	v_cmp_lt_i16_e64 s[4:5], 7, v2
	s_and_saveexec_b64 s[12:13], s[4:5]
	s_xor_b64 s[12:13], exec, s[12:13]
	s_cbranch_execz .LBB254_103
; %bb.94:                               ;   in Loop: Header=BB254_3 Depth=1
	;; [unrolled: 5-line block ×4, first 2 shown]
	v_cndmask_b32_e64 v2, 0, 1, vcc
	v_cvt_f64_u32_e32 v[18:19], v2
	v_mov_b32_e32 v21, v20
	flat_store_dwordx4 v[0:1], v[18:21]
                                        ; implicit-def: $vgpr0_vgpr1
.LBB254_97:                             ;   in Loop: Header=BB254_3 Depth=1
	s_andn2_saveexec_b64 s[4:5], s[4:5]
	s_cbranch_execz .LBB254_99
; %bb.98:                               ;   in Loop: Header=BB254_3 Depth=1
	v_cndmask_b32_e64 v19, 0, 1.0, vcc
	flat_store_dwordx2 v[0:1], v[19:20]
.LBB254_99:                             ;   in Loop: Header=BB254_3 Depth=1
	s_or_b64 exec, exec, s[4:5]
                                        ; implicit-def: $vgpr0_vgpr1
.LBB254_100:                            ;   in Loop: Header=BB254_3 Depth=1
	s_andn2_saveexec_b64 s[4:5], s[14:15]
	s_cbranch_execz .LBB254_102
; %bb.101:                              ;   in Loop: Header=BB254_3 Depth=1
	v_cndmask_b32_e64 v2, 0, 1.0, vcc
	v_cvt_f16_f32_e32 v2, v2
	flat_store_dword v[0:1], v2
.LBB254_102:                            ;   in Loop: Header=BB254_3 Depth=1
	s_or_b64 exec, exec, s[4:5]
                                        ; implicit-def: $vgpr0_vgpr1
                                        ; implicit-def: $vgpr2
.LBB254_103:                            ;   in Loop: Header=BB254_3 Depth=1
	s_andn2_saveexec_b64 s[12:13], s[12:13]
	s_cbranch_execz .LBB254_113
; %bb.104:                              ;   in Loop: Header=BB254_3 Depth=1
	v_cmp_lt_i16_e64 s[4:5], 5, v2
	s_and_saveexec_b64 s[14:15], s[4:5]
	s_xor_b64 s[14:15], exec, s[14:15]
	s_cbranch_execz .LBB254_110
; %bb.105:                              ;   in Loop: Header=BB254_3 Depth=1
	v_cmp_lt_i16_e64 s[4:5], 6, v2
	s_and_saveexec_b64 s[16:17], s[4:5]
	s_xor_b64 s[4:5], exec, s[16:17]
	s_cbranch_execz .LBB254_107
; %bb.106:                              ;   in Loop: Header=BB254_3 Depth=1
	v_cndmask_b32_e64 v2, 0, 1, vcc
	v_cvt_f64_u32_e32 v[2:3], v2
	flat_store_dwordx2 v[0:1], v[2:3]
                                        ; implicit-def: $vgpr0_vgpr1
.LBB254_107:                            ;   in Loop: Header=BB254_3 Depth=1
	s_andn2_saveexec_b64 s[4:5], s[4:5]
	s_cbranch_execz .LBB254_109
; %bb.108:                              ;   in Loop: Header=BB254_3 Depth=1
	v_cndmask_b32_e64 v2, 0, 1.0, vcc
	flat_store_dword v[0:1], v2
.LBB254_109:                            ;   in Loop: Header=BB254_3 Depth=1
	s_or_b64 exec, exec, s[4:5]
                                        ; implicit-def: $vgpr0_vgpr1
.LBB254_110:                            ;   in Loop: Header=BB254_3 Depth=1
	s_andn2_saveexec_b64 s[4:5], s[14:15]
	s_cbranch_execz .LBB254_112
; %bb.111:                              ;   in Loop: Header=BB254_3 Depth=1
	v_cndmask_b32_e64 v2, 0, 1.0, vcc
	v_cvt_f16_f32_e32 v2, v2
	flat_store_short v[0:1], v2
.LBB254_112:                            ;   in Loop: Header=BB254_3 Depth=1
	s_or_b64 exec, exec, s[4:5]
.LBB254_113:                            ;   in Loop: Header=BB254_3 Depth=1
	s_or_b64 exec, exec, s[12:13]
                                        ; implicit-def: $vgpr2
                                        ; implicit-def: $vgpr0_vgpr1
.LBB254_114:                            ;   in Loop: Header=BB254_3 Depth=1
	s_andn2_saveexec_b64 s[10:11], s[10:11]
	s_cbranch_execz .LBB254_132
; %bb.115:                              ;   in Loop: Header=BB254_3 Depth=1
	v_cmp_lt_i16_e64 s[4:5], 1, v2
	s_and_saveexec_b64 s[12:13], s[4:5]
	s_xor_b64 s[12:13], exec, s[12:13]
	s_cbranch_execz .LBB254_125
; %bb.116:                              ;   in Loop: Header=BB254_3 Depth=1
	v_cmp_lt_i16_e64 s[4:5], 2, v2
	s_and_saveexec_b64 s[14:15], s[4:5]
	s_xor_b64 s[14:15], exec, s[14:15]
	;; [unrolled: 5-line block ×3, first 2 shown]
	s_cbranch_execz .LBB254_119
; %bb.118:                              ;   in Loop: Header=BB254_3 Depth=1
	v_cndmask_b32_e64 v2, 0, 1, vcc
	v_mov_b32_e32 v3, s63
	flat_store_dwordx2 v[0:1], v[2:3]
                                        ; implicit-def: $vgpr0_vgpr1
.LBB254_119:                            ;   in Loop: Header=BB254_3 Depth=1
	s_andn2_saveexec_b64 s[4:5], s[4:5]
	s_cbranch_execz .LBB254_121
; %bb.120:                              ;   in Loop: Header=BB254_3 Depth=1
	v_cndmask_b32_e64 v2, 0, 1, vcc
	flat_store_dword v[0:1], v2
.LBB254_121:                            ;   in Loop: Header=BB254_3 Depth=1
	s_or_b64 exec, exec, s[4:5]
                                        ; implicit-def: $vgpr0_vgpr1
.LBB254_122:                            ;   in Loop: Header=BB254_3 Depth=1
	s_andn2_saveexec_b64 s[4:5], s[14:15]
	s_cbranch_execz .LBB254_124
; %bb.123:                              ;   in Loop: Header=BB254_3 Depth=1
	v_cndmask_b32_e64 v2, 0, 1, vcc
	flat_store_short v[0:1], v2
.LBB254_124:                            ;   in Loop: Header=BB254_3 Depth=1
	s_or_b64 exec, exec, s[4:5]
                                        ; implicit-def: $vgpr0_vgpr1
                                        ; implicit-def: $vgpr2
.LBB254_125:                            ;   in Loop: Header=BB254_3 Depth=1
	s_andn2_saveexec_b64 s[12:13], s[12:13]
	s_cbranch_execz .LBB254_131
; %bb.126:                              ;   in Loop: Header=BB254_3 Depth=1
	v_cmp_lt_i16_e64 s[4:5], 0, v2
	v_cndmask_b32_e64 v2, 0, 1, vcc
	s_and_saveexec_b64 s[14:15], s[4:5]
	s_xor_b64 s[4:5], exec, s[14:15]
	s_cbranch_execz .LBB254_128
; %bb.127:                              ;   in Loop: Header=BB254_3 Depth=1
	flat_store_byte v[0:1], v2
                                        ; implicit-def: $vgpr0_vgpr1
                                        ; implicit-def: $vgpr2
.LBB254_128:                            ;   in Loop: Header=BB254_3 Depth=1
	s_andn2_saveexec_b64 s[4:5], s[4:5]
	s_cbranch_execz .LBB254_130
; %bb.129:                              ;   in Loop: Header=BB254_3 Depth=1
	flat_store_byte v[0:1], v2
.LBB254_130:                            ;   in Loop: Header=BB254_3 Depth=1
	s_or_b64 exec, exec, s[4:5]
.LBB254_131:                            ;   in Loop: Header=BB254_3 Depth=1
	s_or_b64 exec, exec, s[12:13]
.LBB254_132:                            ;   in Loop: Header=BB254_3 Depth=1
	s_or_b64 exec, exec, s[10:11]
	s_or_b64 s[6:7], s[6:7], exec
	s_or_b64 exec, exec, s[8:9]
	s_mov_b64 s[4:5], 0
	s_and_saveexec_b64 s[8:9], s[6:7]
	s_cbranch_execnz .LBB254_87
	s_branch .LBB254_88
.LBB254_133:                            ;   in Loop: Header=BB254_3 Depth=1
	s_andn2_saveexec_b64 s[20:21], s[4:5]
	s_cbranch_execz .LBB254_35
.LBB254_134:                            ;   in Loop: Header=BB254_3 Depth=1
	v_add_f32_e32 v2, 0x46000000, v3
	v_and_b32_e32 v2, 0xff, v2
	v_cmp_ne_u32_e64 s[4:5], 0, v2
	s_andn2_b64 s[18:19], s[18:19], exec
	s_and_b64 s[4:5], s[4:5], exec
	s_or_b64 s[18:19], s[18:19], s[4:5]
	s_or_b64 exec, exec, s[20:21]
	v_mov_b32_e32 v4, 0
	s_and_saveexec_b64 s[4:5], s[18:19]
	s_cbranch_execnz .LBB254_36
	s_branch .LBB254_37
.LBB254_135:                            ;   in Loop: Header=BB254_3 Depth=1
	s_andn2_saveexec_b64 s[22:23], s[4:5]
	s_cbranch_execz .LBB254_48
.LBB254_136:                            ;   in Loop: Header=BB254_3 Depth=1
	v_add_f32_e32 v2, 0x42800000, v3
	v_and_b32_e32 v2, 0xff, v2
	v_cmp_ne_u32_e64 s[4:5], 0, v2
	s_andn2_b64 s[20:21], s[20:21], exec
	s_and_b64 s[4:5], s[4:5], exec
	s_or_b64 s[20:21], s[20:21], s[4:5]
	s_or_b64 exec, exec, s[22:23]
	v_mov_b32_e32 v4, 0
	s_and_saveexec_b64 s[4:5], s[20:21]
	s_cbranch_execnz .LBB254_49
	s_branch .LBB254_50
.LBB254_137:
	s_or_b64 exec, exec, s[44:45]
	s_mov_b64 s[4:5], 0
	s_and_saveexec_b64 s[6:7], s[46:47]
	s_xor_b64 s[6:7], exec, s[6:7]
	s_cbranch_execnz .LBB254_2337
.LBB254_138:
	s_or_b64 exec, exec, s[6:7]
	s_and_b64 s[6:7], s[4:5], exec
                                        ; implicit-def: $vgpr1
                                        ; implicit-def: $vgpr17
.LBB254_139:
	s_or_saveexec_b64 s[8:9], s[36:37]
	s_mov_b64 s[4:5], 0
                                        ; implicit-def: $sgpr48_sgpr49
                                        ; implicit-def: $vgpr21_vgpr22
                                        ; implicit-def: $vgpr16
	s_xor_b64 exec, exec, s[8:9]
	s_cbranch_execz .LBB254_180
; %bb.140:
	buffer_load_dword v8, off, s[0:3], 0 offset:16
                                        ; implicit-def: $vgpr6
                                        ; implicit-def: $vgpr22
                                        ; implicit-def: $vgpr20
	s_waitcnt vmcnt(0)
	v_add_u32_e32 v10, -1, v8
	v_cmp_lt_u32_e32 vcc, 1, v10
	s_and_saveexec_b64 s[4:5], vcc
	s_xor_b64 s[10:11], exec, s[4:5]
	s_cbranch_execz .LBB254_148
; %bb.141:
	v_mov_b32_e32 v6, 0
	v_cmp_ne_u32_e64 s[4:5], 0, v8
	v_mov_b32_e32 v22, 0
	v_mov_b32_e32 v20, 0
	s_and_saveexec_b64 s[12:13], s[4:5]
	s_cbranch_execz .LBB254_147
; %bb.142:
	v_min_u32_e32 v2, 15, v10
	v_add_u32_e32 v0, 1, v2
	v_and_b32_e32 v3, 30, v0
	s_sub_i32 s16, 16, 24
	v_mov_b32_e32 v20, 0
	s_mov_b64 s[14:15], 0
	v_mov_b32_e32 v22, 0
	v_mov_b32_e32 v6, 0
	;; [unrolled: 1-line block ×3, first 2 shown]
.LBB254_143:                            ; =>This Inner Loop Header: Depth=1
	v_mov_b32_e32 v4, s16
	buffer_load_dword v5, v4, s[0:3], 0 offen offset:32
	buffer_load_dword v7, v4, s[0:3], 0 offen offset:36
	;; [unrolled: 1-line block ×12, first 2 shown]
	v_add_u32_e32 v3, -2, v3
	s_add_i32 s16, s16, 24
	v_cmp_eq_u32_e64 s[4:5], 0, v3
	v_mov_b32_e32 v4, s16
	s_or_b64 s[14:15], s[4:5], s[14:15]
	s_waitcnt vmcnt(0)
	v_mul_hi_u32 v5, v5, v0
	v_add_u32_e32 v5, v0, v5
	v_lshrrev_b32_e32 v5, v7, v5
	v_mul_hi_u32 v9, v9, v5
	v_mul_lo_u32 v7, v5, v15
	v_sub_u32_e32 v7, v0, v7
	v_add_u32_e32 v0, v5, v9
	v_lshrrev_b32_e32 v0, v11, v0
	v_mul_lo_u32 v11, v0, v14
	v_mul_lo_u32 v9, v7, v12
	;; [unrolled: 1-line block ×4, first 2 shown]
	v_sub_u32_e32 v5, v5, v11
	v_mul_lo_u32 v11, v5, v18
	v_mul_lo_u32 v13, v5, v19
	;; [unrolled: 1-line block ×3, first 2 shown]
	v_add3_u32 v6, v9, v6, v11
	v_add3_u32 v22, v12, v22, v13
	v_add3_u32 v20, v7, v20, v5
	s_andn2_b64 exec, exec, s[14:15]
	s_cbranch_execnz .LBB254_143
; %bb.144:
	s_or_b64 exec, exec, s[14:15]
	v_and_b32_e32 v2, 1, v2
	v_cmp_eq_u32_e64 s[4:5], 0, v2
	s_and_saveexec_b64 s[14:15], s[4:5]
	s_cbranch_execz .LBB254_146
; %bb.145:
	buffer_load_dword v2, v4, s[0:3], 0 offen offset:32
	buffer_load_dword v3, v4, s[0:3], 0 offen offset:36
	;; [unrolled: 1-line block ×6, first 2 shown]
	s_waitcnt vmcnt(0)
	v_mul_hi_u32 v2, v2, v0
	v_add_u32_e32 v2, v0, v2
	v_lshrrev_b32_e32 v2, v3, v2
	v_mul_lo_u32 v2, v2, v5
	v_sub_u32_e32 v0, v0, v2
	v_mad_u64_u32 v[6:7], s[4:5], v0, v7, v[6:7]
	v_mad_u64_u32 v[22:23], s[4:5], v0, v9, v[22:23]
	;; [unrolled: 1-line block ×3, first 2 shown]
.LBB254_146:
	s_or_b64 exec, exec, s[14:15]
.LBB254_147:
	s_or_b64 exec, exec, s[12:13]
.LBB254_148:
	s_andn2_saveexec_b64 s[10:11], s[10:11]
	s_cbranch_execz .LBB254_152
; %bb.149:
	buffer_load_dword v0, off, s[0:3], 0 offset:24
	buffer_load_dword v2, off, s[0:3], 0 offset:28
	;; [unrolled: 1-line block ×6, first 2 shown]
	v_cmp_lt_u32_e64 s[4:5], 1, v8
	s_waitcnt vmcnt(0)
	v_mul_hi_u32 v0, v0, v17
	v_add_u32_e32 v0, v17, v0
	v_lshrrev_b32_e32 v0, v2, v0
	v_mul_lo_u32 v2, v0, v3
	v_sub_u32_e32 v2, v17, v2
	v_mul_lo_u32 v6, v2, v4
	v_mul_lo_u32 v22, v2, v5
	;; [unrolled: 1-line block ×3, first 2 shown]
	s_and_saveexec_b64 s[12:13], s[4:5]
	s_cbranch_execz .LBB254_151
; %bb.150:
	buffer_load_dword v2, off, s[0:3], 0 offset:36
	buffer_load_dword v3, off, s[0:3], 0 offset:40
	;; [unrolled: 1-line block ×6, first 2 shown]
	s_waitcnt vmcnt(0)
	v_mul_hi_u32 v2, v2, v0
	v_add_u32_e32 v2, v0, v2
	v_lshrrev_b32_e32 v2, v3, v2
	v_mul_lo_u32 v2, v2, v4
	v_sub_u32_e32 v0, v0, v2
	v_mad_u64_u32 v[6:7], s[4:5], v0, v5, v[6:7]
	v_mad_u64_u32 v[22:23], s[4:5], v0, v9, v[22:23]
	;; [unrolled: 1-line block ×3, first 2 shown]
.LBB254_151:
	s_or_b64 exec, exec, s[12:13]
.LBB254_152:
	s_or_b64 exec, exec, s[10:11]
	v_add_u32_e32 v0, 0x80, v17
                                        ; implicit-def: $vgpr4
                                        ; implicit-def: $vgpr18
                                        ; implicit-def: $vgpr15
	s_and_saveexec_b64 s[4:5], vcc
	s_xor_b64 s[10:11], exec, s[4:5]
	s_cbranch_execz .LBB254_160
; %bb.153:
	v_mov_b32_e32 v4, 0
	v_cmp_ne_u32_e64 s[4:5], 0, v8
	v_mov_b32_e32 v18, 0
	v_mov_b32_e32 v15, 0
	s_and_saveexec_b64 s[12:13], s[4:5]
	s_cbranch_execz .LBB254_159
; %bb.154:
	v_min_u32_e32 v2, 15, v10
	v_add_u32_e32 v3, 1, v2
	v_and_b32_e32 v3, 30, v3
	s_sub_i32 s16, 16, 24
	v_mov_b32_e32 v15, 0
	s_mov_b64 s[14:15], 0
	v_mov_b32_e32 v18, 0
	v_mov_b32_e32 v4, 0
.LBB254_155:                            ; =>This Inner Loop Header: Depth=1
	v_mov_b32_e32 v5, s16
	buffer_load_dword v7, v5, s[0:3], 0 offen offset:32
	buffer_load_dword v9, v5, s[0:3], 0 offen offset:36
	;; [unrolled: 1-line block ×12, first 2 shown]
	v_add_u32_e32 v3, -2, v3
	s_add_i32 s16, s16, 24
	v_cmp_eq_u32_e64 s[4:5], 0, v3
	v_mov_b32_e32 v5, s16
	s_or_b64 s[14:15], s[4:5], s[14:15]
	s_waitcnt vmcnt(0)
	v_mul_hi_u32 v7, v7, v0
	v_add_u32_e32 v7, v0, v7
	v_lshrrev_b32_e32 v7, v9, v7
	v_mul_hi_u32 v11, v11, v7
	v_mul_lo_u32 v9, v7, v19
	v_sub_u32_e32 v9, v0, v9
	v_add_u32_e32 v0, v7, v11
	v_lshrrev_b32_e32 v0, v12, v0
	v_mul_lo_u32 v12, v0, v16
	v_mul_lo_u32 v11, v9, v13
	;; [unrolled: 1-line block ×4, first 2 shown]
	v_sub_u32_e32 v7, v7, v12
	v_mul_lo_u32 v12, v7, v23
	v_mul_lo_u32 v14, v7, v24
	;; [unrolled: 1-line block ×3, first 2 shown]
	v_add3_u32 v4, v11, v4, v12
	v_add3_u32 v18, v13, v18, v14
	;; [unrolled: 1-line block ×3, first 2 shown]
	s_andn2_b64 exec, exec, s[14:15]
	s_cbranch_execnz .LBB254_155
; %bb.156:
	s_or_b64 exec, exec, s[14:15]
	v_and_b32_e32 v2, 1, v2
	v_cmp_eq_u32_e64 s[4:5], 0, v2
	s_and_saveexec_b64 s[14:15], s[4:5]
	s_cbranch_execz .LBB254_158
; %bb.157:
	buffer_load_dword v2, v5, s[0:3], 0 offen offset:32
	buffer_load_dword v3, v5, s[0:3], 0 offen offset:36
	;; [unrolled: 1-line block ×6, first 2 shown]
	s_waitcnt vmcnt(0)
	v_mul_hi_u32 v2, v2, v0
	v_add_u32_e32 v2, v0, v2
	v_lshrrev_b32_e32 v2, v3, v2
	v_mul_lo_u32 v2, v2, v7
	v_sub_u32_e32 v0, v0, v2
	v_mad_u64_u32 v[4:5], s[4:5], v0, v9, v[4:5]
	v_mad_u64_u32 v[18:19], s[4:5], v0, v11, v[18:19]
	;; [unrolled: 1-line block ×3, first 2 shown]
.LBB254_158:
	s_or_b64 exec, exec, s[14:15]
.LBB254_159:
	s_or_b64 exec, exec, s[12:13]
                                        ; implicit-def: $vgpr0
.LBB254_160:
	s_andn2_saveexec_b64 s[10:11], s[10:11]
	s_cbranch_execz .LBB254_164
; %bb.161:
	buffer_load_dword v2, off, s[0:3], 0 offset:24
	buffer_load_dword v3, off, s[0:3], 0 offset:28
	;; [unrolled: 1-line block ×6, first 2 shown]
	v_cmp_lt_u32_e64 s[4:5], 1, v8
	s_waitcnt vmcnt(0)
	v_mul_hi_u32 v2, v2, v0
	v_add_u32_e32 v2, v0, v2
	v_lshrrev_b32_e32 v2, v3, v2
	v_mul_lo_u32 v3, v2, v4
	v_sub_u32_e32 v0, v0, v3
	v_mul_lo_u32 v4, v0, v5
	v_mul_lo_u32 v18, v0, v7
	;; [unrolled: 1-line block ×3, first 2 shown]
	s_and_saveexec_b64 s[12:13], s[4:5]
	s_cbranch_execz .LBB254_163
; %bb.162:
	buffer_load_dword v0, off, s[0:3], 0 offset:36
	buffer_load_dword v3, off, s[0:3], 0 offset:40
	;; [unrolled: 1-line block ×6, first 2 shown]
	s_waitcnt vmcnt(0)
	v_mul_hi_u32 v0, v0, v2
	v_add_u32_e32 v0, v2, v0
	v_lshrrev_b32_e32 v0, v3, v0
	v_mul_lo_u32 v0, v0, v5
	v_sub_u32_e32 v0, v2, v0
	v_mad_u64_u32 v[4:5], s[4:5], v0, v7, v[4:5]
	v_mad_u64_u32 v[18:19], s[4:5], v0, v9, v[18:19]
	;; [unrolled: 1-line block ×3, first 2 shown]
.LBB254_163:
	s_or_b64 exec, exec, s[12:13]
.LBB254_164:
	s_or_b64 exec, exec, s[10:11]
	v_add_u32_e32 v0, 0x100, v17
                                        ; implicit-def: $vgpr2
                                        ; implicit-def: $vgpr13
                                        ; implicit-def: $vgpr11
	s_and_saveexec_b64 s[4:5], vcc
	s_xor_b64 s[10:11], exec, s[4:5]
	s_cbranch_execz .LBB254_183
; %bb.165:
	v_mov_b32_e32 v2, 0
	v_cmp_ne_u32_e64 s[4:5], 0, v8
	v_mov_b32_e32 v13, 0
	v_mov_b32_e32 v11, 0
	s_and_saveexec_b64 s[12:13], s[4:5]
	s_cbranch_execz .LBB254_171
; %bb.166:
	v_min_u32_e32 v3, 15, v10
	v_add_u32_e32 v2, 1, v3
	v_and_b32_e32 v5, 30, v2
	s_sub_i32 s16, 16, 24
	v_mov_b32_e32 v11, 0
	s_mov_b64 s[14:15], 0
	v_mov_b32_e32 v13, 0
	v_mov_b32_e32 v2, 0
.LBB254_167:                            ; =>This Inner Loop Header: Depth=1
	v_mov_b32_e32 v7, s16
	buffer_load_dword v9, v7, s[0:3], 0 offen offset:32
	buffer_load_dword v12, v7, s[0:3], 0 offen offset:36
	;; [unrolled: 1-line block ×12, first 2 shown]
	v_add_u32_e32 v5, -2, v5
	s_add_i32 s16, s16, 24
	v_cmp_eq_u32_e64 s[4:5], 0, v5
	v_mov_b32_e32 v7, s16
	s_or_b64 s[14:15], s[4:5], s[14:15]
	s_waitcnt vmcnt(0)
	v_mul_hi_u32 v9, v9, v0
	v_add_u32_e32 v9, v0, v9
	v_lshrrev_b32_e32 v9, v12, v9
	v_mul_hi_u32 v14, v14, v9
	v_mul_lo_u32 v12, v9, v23
	v_sub_u32_e32 v12, v0, v12
	v_add_u32_e32 v0, v9, v14
	v_lshrrev_b32_e32 v0, v16, v0
	v_mul_lo_u32 v14, v12, v17
	v_mul_lo_u32 v17, v0, v21
	;; [unrolled: 1-line block ×4, first 2 shown]
	v_sub_u32_e32 v9, v9, v17
	v_mul_lo_u32 v17, v9, v25
	v_mul_lo_u32 v19, v9, v26
	;; [unrolled: 1-line block ×3, first 2 shown]
	v_add3_u32 v2, v14, v2, v17
	v_add3_u32 v13, v16, v13, v19
	;; [unrolled: 1-line block ×3, first 2 shown]
	s_andn2_b64 exec, exec, s[14:15]
	s_cbranch_execnz .LBB254_167
; %bb.168:
	s_or_b64 exec, exec, s[14:15]
	v_and_b32_e32 v3, 1, v3
	v_cmp_eq_u32_e64 s[4:5], 0, v3
	s_and_saveexec_b64 s[14:15], s[4:5]
	s_cbranch_execz .LBB254_170
; %bb.169:
	buffer_load_dword v3, v7, s[0:3], 0 offen offset:32
	buffer_load_dword v5, v7, s[0:3], 0 offen offset:36
	;; [unrolled: 1-line block ×6, first 2 shown]
	s_waitcnt vmcnt(0)
	v_mul_hi_u32 v3, v3, v0
	v_add_u32_e32 v3, v0, v3
	v_lshrrev_b32_e32 v3, v5, v3
	v_mul_lo_u32 v3, v3, v9
	v_sub_u32_e32 v0, v0, v3
	v_mad_u64_u32 v[2:3], s[4:5], v0, v12, v[2:3]
	v_mad_u64_u32 v[13:14], s[4:5], v0, v14, v[13:14]
	;; [unrolled: 1-line block ×3, first 2 shown]
.LBB254_170:
	s_or_b64 exec, exec, s[14:15]
.LBB254_171:
	s_or_b64 exec, exec, s[12:13]
                                        ; implicit-def: $vgpr0
	s_andn2_saveexec_b64 s[10:11], s[10:11]
	s_cbranch_execnz .LBB254_184
.LBB254_172:
	s_or_b64 exec, exec, s[10:11]
                                        ; implicit-def: $vgpr0
                                        ; implicit-def: $vgpr9
                                        ; implicit-def: $vgpr7
	s_and_saveexec_b64 s[4:5], vcc
	s_xor_b64 s[4:5], exec, s[4:5]
	s_cbranch_execz .LBB254_187
.LBB254_173:
	v_mov_b32_e32 v0, 0
	v_cmp_ne_u32_e32 vcc, 0, v8
	v_mov_b32_e32 v9, 0
	v_mov_b32_e32 v7, 0
	s_and_saveexec_b64 s[10:11], vcc
	s_cbranch_execz .LBB254_179
; %bb.174:
	v_min_u32_e32 v3, 15, v10
	v_add_u32_e32 v0, 1, v3
	v_and_b32_e32 v5, 30, v0
	s_sub_i32 s14, 16, 24
	v_mov_b32_e32 v7, 0
	s_mov_b64 s[12:13], 0
	v_mov_b32_e32 v9, 0
	v_mov_b32_e32 v0, 0
.LBB254_175:                            ; =>This Inner Loop Header: Depth=1
	v_mov_b32_e32 v8, s14
	buffer_load_dword v10, v8, s[0:3], 0 offen offset:32
	buffer_load_dword v12, v8, s[0:3], 0 offen offset:36
	;; [unrolled: 1-line block ×12, first 2 shown]
	v_add_u32_e32 v5, -2, v5
	s_add_i32 s14, s14, 24
	v_cmp_eq_u32_e32 vcc, 0, v5
	v_mov_b32_e32 v8, s14
	s_or_b64 s[12:13], vcc, s[12:13]
	s_waitcnt vmcnt(0)
	v_mul_hi_u32 v10, v10, v1
	v_add_u32_e32 v10, v1, v10
	v_lshrrev_b32_e32 v10, v12, v10
	v_mul_hi_u32 v14, v14, v10
	v_mul_lo_u32 v12, v10, v23
	v_sub_u32_e32 v12, v1, v12
	v_add_u32_e32 v1, v10, v14
	v_lshrrev_b32_e32 v1, v16, v1
	v_mul_lo_u32 v14, v12, v17
	v_mul_lo_u32 v17, v1, v21
	;; [unrolled: 1-line block ×4, first 2 shown]
	v_sub_u32_e32 v10, v10, v17
	v_mul_lo_u32 v17, v10, v25
	v_mul_lo_u32 v19, v10, v26
	;; [unrolled: 1-line block ×3, first 2 shown]
	v_add3_u32 v0, v14, v0, v17
	v_add3_u32 v9, v16, v9, v19
	;; [unrolled: 1-line block ×3, first 2 shown]
	s_andn2_b64 exec, exec, s[12:13]
	s_cbranch_execnz .LBB254_175
; %bb.176:
	s_or_b64 exec, exec, s[12:13]
	v_and_b32_e32 v3, 1, v3
	v_cmp_eq_u32_e32 vcc, 0, v3
	s_and_saveexec_b64 s[12:13], vcc
	s_cbranch_execz .LBB254_178
; %bb.177:
	buffer_load_dword v3, v8, s[0:3], 0 offen offset:32
	buffer_load_dword v5, v8, s[0:3], 0 offen offset:36
	buffer_load_dword v10, v8, s[0:3], 0 offen offset:28
	buffer_load_dword v12, v8, s[0:3], 0 offen offset:220
	buffer_load_dword v14, v8, s[0:3], 0 offen offset:224
	buffer_load_dword v16, v8, s[0:3], 0 offen offset:228
	s_waitcnt vmcnt(0)
	v_mul_hi_u32 v3, v3, v1
	v_add_u32_e32 v3, v1, v3
	v_lshrrev_b32_e32 v3, v5, v3
	v_mul_lo_u32 v3, v3, v10
	v_sub_u32_e32 v3, v1, v3
	v_mad_u64_u32 v[0:1], s[14:15], v3, v12, v[0:1]
	v_mad_u64_u32 v[9:10], s[14:15], v3, v14, v[9:10]
	v_mad_u64_u32 v[7:8], s[14:15], v3, v16, v[7:8]
.LBB254_178:
	s_or_b64 exec, exec, s[12:13]
.LBB254_179:
	s_or_b64 exec, exec, s[10:11]
                                        ; implicit-def: $vgpr1
                                        ; implicit-def: $vgpr8
	s_andn2_saveexec_b64 s[4:5], s[4:5]
	s_cbranch_execz .LBB254_191
	s_branch .LBB254_188
.LBB254_180:
	s_or_b64 exec, exec, s[8:9]
	s_and_saveexec_b64 s[8:9], s[6:7]
	s_cbranch_execz .LBB254_2126
.LBB254_181:
	; divergent unreachable
	s_or_b64 exec, exec, s[8:9]
	s_and_saveexec_b64 s[6:7], s[34:35]
	s_xor_b64 s[6:7], exec, s[6:7]
	s_cbranch_execnz .LBB254_2127
.LBB254_182:
	s_or_b64 exec, exec, s[6:7]
	s_and_saveexec_b64 s[6:7], s[4:5]
	s_cbranch_execnz .LBB254_2128
	s_branch .LBB254_2166
.LBB254_183:
	s_andn2_saveexec_b64 s[10:11], s[10:11]
	s_cbranch_execz .LBB254_172
.LBB254_184:
	buffer_load_dword v2, off, s[0:3], 0 offset:24
	buffer_load_dword v3, off, s[0:3], 0 offset:28
	;; [unrolled: 1-line block ×6, first 2 shown]
	v_cmp_lt_u32_e64 s[4:5], 1, v8
	s_waitcnt vmcnt(0)
	v_mul_hi_u32 v2, v2, v0
	v_add_u32_e32 v2, v0, v2
	v_lshrrev_b32_e32 v3, v3, v2
	v_mul_lo_u32 v2, v3, v5
	v_sub_u32_e32 v0, v0, v2
	v_mul_lo_u32 v2, v0, v7
	v_mul_lo_u32 v13, v0, v9
	;; [unrolled: 1-line block ×3, first 2 shown]
	s_and_saveexec_b64 s[12:13], s[4:5]
	s_cbranch_execz .LBB254_186
; %bb.185:
	buffer_load_dword v0, off, s[0:3], 0 offset:36
	buffer_load_dword v5, off, s[0:3], 0 offset:40
	;; [unrolled: 1-line block ×6, first 2 shown]
	s_waitcnt vmcnt(0)
	v_mul_hi_u32 v0, v0, v3
	v_add_u32_e32 v0, v3, v0
	v_lshrrev_b32_e32 v0, v5, v0
	v_mul_lo_u32 v0, v0, v7
	v_sub_u32_e32 v0, v3, v0
	v_mad_u64_u32 v[2:3], s[4:5], v0, v9, v[2:3]
	v_mad_u64_u32 v[13:14], s[4:5], v0, v12, v[13:14]
	;; [unrolled: 1-line block ×3, first 2 shown]
.LBB254_186:
	s_or_b64 exec, exec, s[12:13]
	s_or_b64 exec, exec, s[10:11]
                                        ; implicit-def: $vgpr0
                                        ; implicit-def: $vgpr9
                                        ; implicit-def: $vgpr7
	s_and_saveexec_b64 s[4:5], vcc
	s_xor_b64 s[4:5], exec, s[4:5]
	s_cbranch_execnz .LBB254_173
.LBB254_187:
	s_andn2_saveexec_b64 s[4:5], s[4:5]
	s_cbranch_execz .LBB254_191
.LBB254_188:
	buffer_load_dword v0, off, s[0:3], 0 offset:24
	buffer_load_dword v3, off, s[0:3], 0 offset:28
	;; [unrolled: 1-line block ×6, first 2 shown]
	v_cmp_lt_u32_e32 vcc, 1, v8
	s_waitcnt vmcnt(0)
	v_mul_hi_u32 v0, v0, v1
	v_add_u32_e32 v0, v1, v0
	v_lshrrev_b32_e32 v3, v3, v0
	v_mul_lo_u32 v0, v3, v5
	v_sub_u32_e32 v1, v1, v0
	v_mul_lo_u32 v0, v1, v7
	v_mul_lo_u32 v9, v1, v9
	;; [unrolled: 1-line block ×3, first 2 shown]
	s_and_saveexec_b64 s[10:11], vcc
	s_cbranch_execz .LBB254_190
; %bb.189:
	buffer_load_dword v1, off, s[0:3], 0 offset:36
	buffer_load_dword v5, off, s[0:3], 0 offset:40
	;; [unrolled: 1-line block ×6, first 2 shown]
	s_waitcnt vmcnt(0)
	v_mul_hi_u32 v1, v1, v3
	v_add_u32_e32 v1, v3, v1
	v_lshrrev_b32_e32 v1, v5, v1
	v_mul_lo_u32 v1, v1, v8
	v_sub_u32_e32 v3, v3, v1
	v_mad_u64_u32 v[0:1], s[12:13], v3, v10, v[0:1]
	v_mad_u64_u32 v[9:10], s[12:13], v3, v12, v[9:10]
	;; [unrolled: 1-line block ×3, first 2 shown]
.LBB254_190:
	s_or_b64 exec, exec, s[10:11]
.LBB254_191:
	s_or_b64 exec, exec, s[4:5]
	buffer_load_dword v8, off, s[0:3], 0 offset:416
	buffer_load_dword v19, off, s[0:3], 0 offset:408
	;; [unrolled: 1-line block ×3, first 2 shown]
	buffer_load_ubyte v3, off, s[0:3], 0 offset:437
	buffer_load_dword v23, off, s[0:3], 0 offset:412
	buffer_load_dword v10, off, s[0:3], 0 offset:432
	s_mov_b64 s[14:15], 0
	s_mov_b64 s[10:11], s[6:7]
                                        ; implicit-def: $vgpr12
	s_waitcnt vmcnt(0)
	v_add_co_u32_e32 v16, vcc, v8, v22
	v_addc_co_u32_e32 v17, vcc, 0, v25, vcc
	v_cmp_lt_i16_e32 vcc, 10, v3
	s_and_saveexec_b64 s[4:5], vcc
	s_xor_b64 s[4:5], exec, s[4:5]
	s_cbranch_execz .LBB254_272
; %bb.192:
	v_cmp_lt_i16_e32 vcc, 25, v3
	s_mov_b64 s[10:11], 0
	s_mov_b64 s[16:17], 0
                                        ; implicit-def: $vgpr12
	s_and_saveexec_b64 s[12:13], vcc
	s_xor_b64 s[12:13], exec, s[12:13]
	s_cbranch_execz .LBB254_2167
; %bb.193:
	v_cmp_lt_i16_e32 vcc, 28, v3
	s_mov_b64 s[18:19], 0
                                        ; implicit-def: $vgpr12
	s_and_saveexec_b64 s[14:15], vcc
	s_xor_b64 s[14:15], exec, s[14:15]
	s_cbranch_execz .LBB254_227
; %bb.194:
	v_cmp_lt_i16_e32 vcc, 43, v3
	s_mov_b64 s[20:21], 0
	s_mov_b64 s[22:23], 0
                                        ; implicit-def: $vgpr12
	s_and_saveexec_b64 s[16:17], vcc
	s_xor_b64 s[16:17], exec, s[16:17]
	s_cbranch_execz .LBB254_216
; %bb.195:
	v_cmp_lt_i16_e32 vcc, 45, v3
                                        ; implicit-def: $vgpr12
	s_and_saveexec_b64 s[22:23], vcc
	s_xor_b64 s[22:23], exec, s[22:23]
	s_cbranch_execz .LBB254_205
; %bb.196:
	v_cmp_eq_u16_e32 vcc, 46, v3
	s_mov_b64 s[24:25], -1
                                        ; implicit-def: $vgpr12
	s_and_saveexec_b64 s[18:19], vcc
	s_cbranch_execz .LBB254_204
; %bb.197:
	flat_load_dword v1, v[16:17]
	s_mov_b32 s20, 0x47800000
	v_mov_b32_e32 v12, 0x80
	s_waitcnt vmcnt(0) lgkmcnt(0)
	v_lshlrev_b32_e32 v1, 16, v1
	v_and_b32_e32 v5, 0x7fffffff, v1
	v_cmp_gt_u32_e32 vcc, s20, v5
	s_and_saveexec_b64 s[20:21], vcc
	s_cbranch_execz .LBB254_203
; %bb.198:
	s_mov_b32 s24, 0x37ffffff
	v_cmp_lt_u32_e32 vcc, s24, v5
	s_mov_b64 s[24:25], 0
                                        ; implicit-def: $vgpr5
	s_and_saveexec_b64 s[26:27], vcc
	s_xor_b64 s[26:27], exec, s[26:27]
	s_cbranch_execz .LBB254_2482
; %bb.199:
	v_bfe_u32 v5, v1, 21, 1
	s_mov_b32 s28, 0x88fffff
	v_add3_u32 v5, v1, v5, s28
	s_mov_b64 s[24:25], exec
	v_lshrrev_b32_e32 v5, 21, v5
	s_andn2_saveexec_b64 s[26:27], s[26:27]
	s_cbranch_execnz .LBB254_2483
.LBB254_200:
	s_or_b64 exec, exec, s[26:27]
	v_mov_b32_e32 v12, 0
	s_and_saveexec_b64 s[26:27], s[24:25]
.LBB254_201:
	v_lshrrev_b32_e32 v1, 24, v1
	s_movk_i32 s24, 0x80
	v_and_or_b32 v12, v1, s24, v5
.LBB254_202:
	s_or_b64 exec, exec, s[26:27]
.LBB254_203:
	s_or_b64 exec, exec, s[20:21]
	s_mov_b64 s[20:21], exec
	s_xor_b64 s[24:25], exec, -1
.LBB254_204:
	s_or_b64 exec, exec, s[18:19]
	s_and_b64 s[20:21], s[20:21], exec
	s_and_b64 s[18:19], s[24:25], exec
.LBB254_205:
	s_andn2_saveexec_b64 s[22:23], s[22:23]
	s_cbranch_execz .LBB254_215
; %bb.206:
	v_cmp_eq_u16_e32 vcc, 44, v3
	s_mov_b64 s[26:27], -1
	s_mov_b64 s[28:29], s[20:21]
                                        ; implicit-def: $vgpr12
	s_and_saveexec_b64 s[24:25], vcc
	s_cbranch_execz .LBB254_214
; %bb.207:
	flat_load_ubyte v1, v[16:17]
	s_movk_i32 s26, 0xff
	v_mov_b32_e32 v5, 0x7f800001
	v_mov_b32_e32 v12, 0x400000
	s_mov_b32 s27, 0x47800000
	s_waitcnt vmcnt(0) lgkmcnt(0)
	v_lshlrev_b32_e32 v14, 23, v1
	v_cmp_ne_u32_e32 vcc, s26, v1
	v_cndmask_b32_e32 v5, v5, v14, vcc
	v_cmp_ne_u32_e32 vcc, 0, v1
	v_cndmask_b32_e32 v5, v12, v5, vcc
	v_cmp_gt_u32_e32 vcc, s27, v5
	v_mov_b32_e32 v12, 0x80
	s_and_saveexec_b64 s[26:27], vcc
	s_cbranch_execz .LBB254_213
; %bb.208:
	s_mov_b32 s28, 0x37ffffff
	v_cmp_lt_u32_e32 vcc, s28, v5
	s_mov_b64 s[28:29], 0
                                        ; implicit-def: $vgpr1
	s_and_saveexec_b64 s[30:31], vcc
	s_xor_b64 s[30:31], exec, s[30:31]
	s_cbranch_execz .LBB254_2484
; %bb.209:
	v_bfe_u32 v1, v5, 21, 1
	s_mov_b32 s33, 0x88fffff
	v_add3_u32 v1, v5, v1, s33
	s_mov_b64 s[28:29], exec
	v_lshrrev_b32_e32 v1, 21, v1
                                        ; implicit-def: $vgpr5
	s_andn2_saveexec_b64 s[30:31], s[30:31]
	s_cbranch_execnz .LBB254_2485
.LBB254_210:
	s_or_b64 exec, exec, s[30:31]
	v_mov_b32_e32 v12, 0
	s_and_saveexec_b64 s[30:31], s[28:29]
.LBB254_211:
	v_mov_b32_e32 v12, v1
.LBB254_212:
	s_or_b64 exec, exec, s[30:31]
.LBB254_213:
	s_or_b64 exec, exec, s[26:27]
	s_or_b64 s[28:29], s[20:21], exec
	s_xor_b64 s[26:27], exec, -1
.LBB254_214:
	s_or_b64 exec, exec, s[24:25]
	s_andn2_b64 s[20:21], s[20:21], exec
	s_and_b64 s[24:25], s[28:29], exec
	s_or_b64 s[20:21], s[20:21], s[24:25]
	s_andn2_b64 s[18:19], s[18:19], exec
	s_and_b64 s[24:25], s[26:27], exec
	s_or_b64 s[18:19], s[18:19], s[24:25]
.LBB254_215:
	s_or_b64 exec, exec, s[22:23]
	s_and_b64 s[22:23], s[20:21], exec
	s_and_b64 s[20:21], s[18:19], exec
.LBB254_216:
	s_andn2_saveexec_b64 s[16:17], s[16:17]
	s_cbranch_execz .LBB254_226
; %bb.217:
	v_cmp_eq_u16_e32 vcc, 29, v3
	s_mov_b64 s[24:25], -1
	s_mov_b64 s[26:27], s[22:23]
                                        ; implicit-def: $vgpr12
	s_and_saveexec_b64 s[18:19], vcc
	s_cbranch_execz .LBB254_225
; %bb.218:
	flat_load_dwordx2 v[21:22], v[16:17]
	s_mov_b32 s24, 0x47800000
	v_mov_b32_e32 v12, 0x80
	s_waitcnt vmcnt(0) lgkmcnt(0)
	v_ffbh_u32_e32 v1, v22
	v_min_u32_e32 v1, 32, v1
	v_lshlrev_b64 v[21:22], v1, v[21:22]
	v_sub_u32_e32 v1, 32, v1
	v_min_u32_e32 v5, 1, v21
	v_or_b32_e32 v5, v22, v5
	v_cvt_f32_u32_e32 v5, v5
	v_ldexp_f32 v5, v5, v1
	v_cmp_gt_u32_e32 vcc, s24, v5
	s_and_saveexec_b64 s[24:25], vcc
	s_cbranch_execz .LBB254_224
; %bb.219:
	s_mov_b32 s26, 0x37ffffff
	v_cmp_lt_u32_e32 vcc, s26, v5
	s_mov_b64 s[26:27], 0
                                        ; implicit-def: $vgpr1
	s_and_saveexec_b64 s[28:29], vcc
	s_xor_b64 s[28:29], exec, s[28:29]
	s_cbranch_execz .LBB254_2403
; %bb.220:
	v_bfe_u32 v1, v5, 21, 1
	s_mov_b32 s30, 0x88fffff
	v_add3_u32 v1, v5, v1, s30
	s_mov_b64 s[26:27], exec
	v_lshrrev_b32_e32 v1, 21, v1
                                        ; implicit-def: $vgpr5
	s_andn2_saveexec_b64 s[28:29], s[28:29]
	s_cbranch_execnz .LBB254_2404
.LBB254_221:
	s_or_b64 exec, exec, s[28:29]
	v_mov_b32_e32 v12, 0
	s_and_saveexec_b64 s[28:29], s[26:27]
.LBB254_222:
	v_mov_b32_e32 v12, v1
.LBB254_223:
	s_or_b64 exec, exec, s[28:29]
.LBB254_224:
	s_or_b64 exec, exec, s[24:25]
	s_or_b64 s[26:27], s[22:23], exec
	s_xor_b64 s[24:25], exec, -1
.LBB254_225:
	s_or_b64 exec, exec, s[18:19]
	s_andn2_b64 s[18:19], s[22:23], exec
	s_and_b64 s[22:23], s[26:27], exec
	s_or_b64 s[22:23], s[18:19], s[22:23]
	s_andn2_b64 s[18:19], s[20:21], exec
	s_and_b64 s[20:21], s[24:25], exec
	s_or_b64 s[20:21], s[18:19], s[20:21]
.LBB254_226:
	s_or_b64 exec, exec, s[16:17]
	s_and_b64 s[18:19], s[22:23], exec
	s_and_b64 s[16:17], s[20:21], exec
.LBB254_227:
	s_andn2_saveexec_b64 s[14:15], s[14:15]
	s_cbranch_execz .LBB254_261
; %bb.228:
	v_cmp_lt_i16_e32 vcc, 26, v3
                                        ; implicit-def: $vgpr12
	s_and_saveexec_b64 s[20:21], vcc
	s_xor_b64 s[20:21], exec, s[20:21]
	s_cbranch_execz .LBB254_246
; %bb.229:
	v_cmp_lt_i16_e32 vcc, 27, v3
                                        ; implicit-def: $vgpr12
	s_and_saveexec_b64 s[22:23], vcc
	s_xor_b64 s[22:23], exec, s[22:23]
	s_cbranch_execz .LBB254_237
; %bb.230:
	flat_load_dword v1, v[16:17]
	s_mov_b32 s24, 0x47800000
	v_mov_b32_e32 v12, 0x80
	s_waitcnt vmcnt(0) lgkmcnt(0)
	v_cvt_f32_u32_e32 v5, v1
	v_cmp_gt_u32_e32 vcc, s24, v5
	s_and_saveexec_b64 s[24:25], vcc
	s_cbranch_execz .LBB254_236
; %bb.231:
	s_mov_b32 s26, 0x37ffffff
	v_cmp_lt_u32_e32 vcc, s26, v5
	s_mov_b64 s[26:27], 0
                                        ; implicit-def: $vgpr1
	s_and_saveexec_b64 s[28:29], vcc
	s_xor_b64 s[28:29], exec, s[28:29]
	s_cbranch_execz .LBB254_2405
; %bb.232:
	v_bfe_u32 v1, v5, 21, 1
	s_mov_b32 s30, 0x88fffff
	v_add3_u32 v1, v5, v1, s30
	s_mov_b64 s[26:27], exec
	v_lshrrev_b32_e32 v1, 21, v1
                                        ; implicit-def: $vgpr5
	s_andn2_saveexec_b64 s[28:29], s[28:29]
	s_cbranch_execnz .LBB254_2406
.LBB254_233:
	s_or_b64 exec, exec, s[28:29]
	v_mov_b32_e32 v12, 0
	s_and_saveexec_b64 s[28:29], s[26:27]
.LBB254_234:
	v_mov_b32_e32 v12, v1
.LBB254_235:
	s_or_b64 exec, exec, s[28:29]
.LBB254_236:
	s_or_b64 exec, exec, s[24:25]
.LBB254_237:
	s_andn2_saveexec_b64 s[22:23], s[22:23]
	s_cbranch_execz .LBB254_245
; %bb.238:
	flat_load_ushort v1, v[16:17]
	s_mov_b32 s24, 0x47800000
	v_mov_b32_e32 v12, 0x80
	s_waitcnt vmcnt(0) lgkmcnt(0)
	v_cvt_f32_u32_e32 v5, v1
	v_cmp_gt_u32_e32 vcc, s24, v5
	s_and_saveexec_b64 s[24:25], vcc
	s_cbranch_execz .LBB254_244
; %bb.239:
	s_mov_b32 s26, 0x37ffffff
	v_cmp_lt_u32_e32 vcc, s26, v5
	s_mov_b64 s[26:27], 0
                                        ; implicit-def: $vgpr1
	s_and_saveexec_b64 s[28:29], vcc
	s_xor_b64 s[28:29], exec, s[28:29]
	s_cbranch_execz .LBB254_2407
; %bb.240:
	v_bfe_u32 v1, v5, 21, 1
	s_mov_b32 s30, 0x88fffff
	v_add3_u32 v1, v5, v1, s30
	s_mov_b64 s[26:27], exec
	v_lshrrev_b32_e32 v1, 21, v1
                                        ; implicit-def: $vgpr5
	s_andn2_saveexec_b64 s[28:29], s[28:29]
	s_cbranch_execnz .LBB254_2408
.LBB254_241:
	s_or_b64 exec, exec, s[28:29]
	v_mov_b32_e32 v12, 0
	s_and_saveexec_b64 s[28:29], s[26:27]
.LBB254_242:
	v_mov_b32_e32 v12, v1
.LBB254_243:
	s_or_b64 exec, exec, s[28:29]
.LBB254_244:
	s_or_b64 exec, exec, s[24:25]
.LBB254_245:
	s_or_b64 exec, exec, s[22:23]
.LBB254_246:
	s_andn2_saveexec_b64 s[20:21], s[20:21]
	s_cbranch_execz .LBB254_260
; %bb.247:
	flat_load_ubyte v5, v[16:17]
	s_movk_i32 s22, 0x7f
	s_waitcnt vmcnt(0) lgkmcnt(0)
	v_cmp_lt_i16_e32 vcc, s22, v5
	s_mov_b64 s[22:23], 0
	s_and_saveexec_b64 s[24:25], vcc
	s_xor_b64 s[24:25], exec, s[24:25]
	s_cbranch_execz .LBB254_2294
; %bb.248:
	s_movk_i32 s22, 0x80
	v_cmp_eq_u16_e32 vcc, s22, v5
	s_mov_b64 s[22:23], -1
	s_and_saveexec_b64 s[26:27], vcc
; %bb.249:
	s_xor_b64 s[22:23], exec, -1
; %bb.250:
	s_or_b64 exec, exec, s[26:27]
	s_and_b64 s[22:23], s[22:23], exec
	s_or_saveexec_b64 s[24:25], s[24:25]
	v_mov_b32_e32 v1, 0x7f800001
	s_xor_b64 exec, exec, s[24:25]
	s_cbranch_execnz .LBB254_2295
.LBB254_251:
	s_or_b64 exec, exec, s[24:25]
	s_and_saveexec_b64 s[24:25], s[22:23]
	s_cbranch_execz .LBB254_253
.LBB254_252:
	v_lshlrev_b32_e32 v1, 24, v5
	v_and_b32_e32 v5, 0xffff, v5
	v_and_b32_e32 v12, 7, v5
	v_ffbh_u32_e32 v21, v12
	v_min_u32_e32 v21, 32, v21
	v_subrev_u32_e32 v22, 28, v21
	v_bfe_u32 v14, v5, 3, 4
	v_lshlrev_b32_e32 v5, v22, v5
	v_sub_u32_e32 v21, 29, v21
	v_and_b32_e32 v5, 7, v5
	v_cmp_eq_u32_e32 vcc, 0, v14
	v_cndmask_b32_e32 v14, v14, v21, vcc
	v_cndmask_b32_e32 v5, v12, v5, vcc
	v_mov_b32_e32 v12, 0x3b800000
	v_lshlrev_b32_e32 v5, 20, v5
	v_and_b32_e32 v1, 0x80000000, v1
	v_lshl_add_u32 v12, v14, 23, v12
	v_or3_b32 v1, v1, v12, v5
.LBB254_253:
	s_or_b64 exec, exec, s[24:25]
	v_and_b32_e32 v5, 0x7fffffff, v1
	s_mov_b32 s22, 0x47800000
	v_cmp_gt_u32_e32 vcc, s22, v5
	v_mov_b32_e32 v12, 0x80
	s_and_saveexec_b64 s[22:23], vcc
	s_cbranch_execz .LBB254_259
; %bb.254:
	s_mov_b32 s24, 0x37ffffff
	v_cmp_lt_u32_e32 vcc, s24, v5
	s_mov_b64 s[24:25], 0
                                        ; implicit-def: $vgpr5
	s_and_saveexec_b64 s[26:27], vcc
	s_xor_b64 s[26:27], exec, s[26:27]
	s_cbranch_execz .LBB254_2338
; %bb.255:
	v_bfe_u32 v5, v1, 21, 1
	s_mov_b32 s28, 0x88fffff
	v_add3_u32 v5, v1, v5, s28
	s_mov_b64 s[24:25], exec
	v_lshrrev_b32_e32 v5, 21, v5
	s_andn2_saveexec_b64 s[26:27], s[26:27]
	s_cbranch_execnz .LBB254_2339
.LBB254_256:
	s_or_b64 exec, exec, s[26:27]
	v_mov_b32_e32 v12, 0
	s_and_saveexec_b64 s[26:27], s[24:25]
.LBB254_257:
	v_lshrrev_b32_e32 v1, 24, v1
	s_movk_i32 s24, 0x80
	v_and_or_b32 v12, v1, s24, v5
.LBB254_258:
	s_or_b64 exec, exec, s[26:27]
.LBB254_259:
	s_or_b64 exec, exec, s[22:23]
.LBB254_260:
	s_or_b64 exec, exec, s[20:21]
	s_or_b64 s[18:19], s[18:19], exec
.LBB254_261:
	s_or_b64 exec, exec, s[14:15]
	s_and_b64 s[14:15], s[18:19], exec
	s_and_b64 s[16:17], s[16:17], exec
	s_andn2_saveexec_b64 s[12:13], s[12:13]
	s_cbranch_execnz .LBB254_2168
.LBB254_262:
	s_or_b64 exec, exec, s[12:13]
	s_mov_b64 s[12:13], s[6:7]
	s_and_saveexec_b64 s[18:19], s[16:17]
	s_cbranch_execnz .LBB254_2205
.LBB254_263:
	s_or_b64 exec, exec, s[18:19]
	s_and_saveexec_b64 s[16:17], s[10:11]
	s_xor_b64 s[10:11], exec, s[16:17]
	s_cbranch_execz .LBB254_271
.LBB254_264:
	flat_load_ubyte v1, v[16:17]
	s_mov_b32 s16, 0x47800000
	s_waitcnt vmcnt(0) lgkmcnt(0)
	v_mov_b32_e32 v12, 0x80
	v_cmp_ne_u16_e32 vcc, 0, v1
	v_cndmask_b32_e64 v5, 0, 1.0, vcc
	v_cmp_gt_u32_e32 vcc, s16, v5
	s_and_saveexec_b64 s[16:17], vcc
	s_cbranch_execz .LBB254_270
; %bb.265:
	s_mov_b32 s18, 0x37ffffff
	v_cmp_lt_u32_e32 vcc, s18, v5
	s_mov_b64 s[18:19], 0
                                        ; implicit-def: $vgpr1
	s_and_saveexec_b64 s[20:21], vcc
	s_xor_b64 s[20:21], exec, s[20:21]
	s_cbranch_execz .LBB254_2245
; %bb.266:
	v_bfe_u32 v1, v5, 21, 1
	s_mov_b32 s22, 0x88fffff
	v_add3_u32 v1, v5, v1, s22
	s_mov_b64 s[18:19], exec
	v_lshrrev_b32_e32 v1, 21, v1
                                        ; implicit-def: $vgpr5
	s_andn2_saveexec_b64 s[20:21], s[20:21]
	s_cbranch_execnz .LBB254_2246
.LBB254_267:
	s_or_b64 exec, exec, s[20:21]
	v_mov_b32_e32 v12, 0
	s_and_saveexec_b64 s[20:21], s[18:19]
.LBB254_268:
	v_mov_b32_e32 v12, v1
.LBB254_269:
	s_or_b64 exec, exec, s[20:21]
.LBB254_270:
	s_or_b64 exec, exec, s[16:17]
	s_or_b64 s[14:15], s[14:15], exec
.LBB254_271:
	s_or_b64 exec, exec, s[10:11]
	s_andn2_b64 s[10:11], s[6:7], exec
	s_and_b64 s[12:13], s[12:13], exec
	s_or_b64 s[10:11], s[10:11], s[12:13]
	s_and_b64 s[14:15], s[14:15], exec
                                        ; implicit-def: $vgpr16_vgpr17
.LBB254_272:
	s_andn2_saveexec_b64 s[4:5], s[4:5]
	s_cbranch_execz .LBB254_380
; %bb.273:
	v_cmp_lt_i16_e32 vcc, 4, v3
                                        ; implicit-def: $vgpr12
	s_and_saveexec_b64 s[12:13], vcc
	s_xor_b64 s[12:13], exec, s[12:13]
	s_cbranch_execz .LBB254_331
; %bb.274:
	v_cmp_lt_i16_e32 vcc, 7, v3
                                        ; implicit-def: $vgpr12
	s_and_saveexec_b64 s[16:17], vcc
	s_xor_b64 s[16:17], exec, s[16:17]
	;; [unrolled: 6-line block ×4, first 2 shown]
	s_cbranch_execz .LBB254_284
; %bb.277:
	flat_load_dwordx2 v[16:17], v[16:17]
	s_mov_b32 s22, 0x47800000
	s_waitcnt vmcnt(0) lgkmcnt(0)
	v_mov_b32_e32 v12, 0x80
	v_cvt_f32_f64_e32 v1, v[16:17]
	v_and_b32_e32 v5, 0x7fffffff, v1
	v_cmp_gt_u32_e32 vcc, s22, v5
	s_and_saveexec_b64 s[22:23], vcc
	s_cbranch_execz .LBB254_283
; %bb.278:
	s_mov_b32 s24, 0x37ffffff
	v_cmp_lt_u32_e32 vcc, s24, v5
	s_mov_b64 s[24:25], 0
                                        ; implicit-def: $vgpr5
	s_and_saveexec_b64 s[26:27], vcc
	s_xor_b64 s[26:27], exec, s[26:27]
	s_cbranch_execz .LBB254_2409
; %bb.279:
	v_bfe_u32 v5, v1, 21, 1
	s_mov_b32 s28, 0x88fffff
	v_add3_u32 v5, v1, v5, s28
	s_mov_b64 s[24:25], exec
	v_lshrrev_b32_e32 v5, 21, v5
	s_andn2_saveexec_b64 s[26:27], s[26:27]
	s_cbranch_execnz .LBB254_2410
.LBB254_280:
	s_or_b64 exec, exec, s[26:27]
	v_mov_b32_e32 v12, 0
	s_and_saveexec_b64 s[26:27], s[24:25]
.LBB254_281:
	v_lshrrev_b32_e32 v1, 24, v1
	s_movk_i32 s24, 0x80
	v_and_or_b32 v12, v1, s24, v5
.LBB254_282:
	s_or_b64 exec, exec, s[26:27]
.LBB254_283:
	s_or_b64 exec, exec, s[22:23]
                                        ; implicit-def: $vgpr16_vgpr17
.LBB254_284:
	s_andn2_saveexec_b64 s[20:21], s[20:21]
	s_cbranch_execz .LBB254_292
; %bb.285:
	flat_load_dword v1, v[16:17]
	s_mov_b32 s22, 0x47800000
	s_waitcnt vmcnt(0) lgkmcnt(0)
	v_mov_b32_e32 v12, 0x80
	v_and_b32_e32 v5, 0x7fffffff, v1
	v_cmp_gt_u32_e32 vcc, s22, v5
	s_and_saveexec_b64 s[22:23], vcc
	s_cbranch_execz .LBB254_291
; %bb.286:
	s_mov_b32 s24, 0x37ffffff
	v_cmp_lt_u32_e32 vcc, s24, v5
	s_mov_b64 s[24:25], 0
                                        ; implicit-def: $vgpr5
	s_and_saveexec_b64 s[26:27], vcc
	s_xor_b64 s[26:27], exec, s[26:27]
	s_cbranch_execz .LBB254_2411
; %bb.287:
	v_bfe_u32 v5, v1, 21, 1
	s_mov_b32 s28, 0x88fffff
	v_add3_u32 v5, v1, v5, s28
	s_mov_b64 s[24:25], exec
	v_lshrrev_b32_e32 v5, 21, v5
	s_andn2_saveexec_b64 s[26:27], s[26:27]
	s_cbranch_execnz .LBB254_2412
.LBB254_288:
	s_or_b64 exec, exec, s[26:27]
	v_mov_b32_e32 v12, 0
	s_and_saveexec_b64 s[26:27], s[24:25]
.LBB254_289:
	v_lshrrev_b32_e32 v1, 24, v1
	s_movk_i32 s24, 0x80
	v_and_or_b32 v12, v1, s24, v5
.LBB254_290:
	s_or_b64 exec, exec, s[26:27]
.LBB254_291:
	s_or_b64 exec, exec, s[22:23]
.LBB254_292:
	s_or_b64 exec, exec, s[20:21]
                                        ; implicit-def: $vgpr16_vgpr17
.LBB254_293:
	s_andn2_saveexec_b64 s[18:19], s[18:19]
	s_cbranch_execz .LBB254_301
; %bb.294:
	flat_load_dword v1, v[16:17]
	s_mov_b32 s20, 0x47800000
	s_waitcnt vmcnt(0) lgkmcnt(0)
	v_mov_b32_e32 v12, 0x80
	v_cvt_f32_f16_e32 v1, v1
	v_and_b32_e32 v5, 0x7fffffff, v1
	v_cmp_gt_u32_e32 vcc, s20, v5
	s_and_saveexec_b64 s[20:21], vcc
	s_cbranch_execz .LBB254_300
; %bb.295:
	s_mov_b32 s22, 0x37ffffff
	v_cmp_lt_u32_e32 vcc, s22, v5
	s_mov_b64 s[22:23], 0
                                        ; implicit-def: $vgpr5
	s_and_saveexec_b64 s[24:25], vcc
	s_xor_b64 s[24:25], exec, s[24:25]
	s_cbranch_execz .LBB254_2340
; %bb.296:
	v_bfe_u32 v5, v1, 21, 1
	s_mov_b32 s26, 0x88fffff
	v_add3_u32 v5, v1, v5, s26
	s_mov_b64 s[22:23], exec
	v_lshrrev_b32_e32 v5, 21, v5
	s_andn2_saveexec_b64 s[24:25], s[24:25]
	s_cbranch_execnz .LBB254_2341
.LBB254_297:
	s_or_b64 exec, exec, s[24:25]
	v_mov_b32_e32 v12, 0
	s_and_saveexec_b64 s[24:25], s[22:23]
.LBB254_298:
	v_lshrrev_b32_e32 v1, 24, v1
	s_movk_i32 s22, 0x80
	v_and_or_b32 v12, v1, s22, v5
.LBB254_299:
	s_or_b64 exec, exec, s[24:25]
.LBB254_300:
	s_or_b64 exec, exec, s[20:21]
.LBB254_301:
	s_or_b64 exec, exec, s[18:19]
                                        ; implicit-def: $vgpr16_vgpr17
.LBB254_302:
	s_andn2_saveexec_b64 s[16:17], s[16:17]
	s_cbranch_execz .LBB254_330
; %bb.303:
	v_cmp_lt_i16_e32 vcc, 5, v3
                                        ; implicit-def: $vgpr12
	s_and_saveexec_b64 s[18:19], vcc
	s_xor_b64 s[18:19], exec, s[18:19]
	s_cbranch_execz .LBB254_321
; %bb.304:
	v_cmp_lt_i16_e32 vcc, 6, v3
                                        ; implicit-def: $vgpr12
	s_and_saveexec_b64 s[20:21], vcc
	s_xor_b64 s[20:21], exec, s[20:21]
	s_cbranch_execz .LBB254_312
; %bb.305:
	flat_load_dwordx2 v[16:17], v[16:17]
	s_mov_b32 s22, 0x47800000
	s_waitcnt vmcnt(0) lgkmcnt(0)
	v_mov_b32_e32 v12, 0x80
	v_cvt_f32_f64_e32 v1, v[16:17]
	v_and_b32_e32 v5, 0x7fffffff, v1
	v_cmp_gt_u32_e32 vcc, s22, v5
	s_and_saveexec_b64 s[22:23], vcc
	s_cbranch_execz .LBB254_311
; %bb.306:
	s_mov_b32 s24, 0x37ffffff
	v_cmp_lt_u32_e32 vcc, s24, v5
	s_mov_b64 s[24:25], 0
                                        ; implicit-def: $vgpr5
	s_and_saveexec_b64 s[26:27], vcc
	s_xor_b64 s[26:27], exec, s[26:27]
	s_cbranch_execz .LBB254_2413
; %bb.307:
	v_bfe_u32 v5, v1, 21, 1
	s_mov_b32 s28, 0x88fffff
	v_add3_u32 v5, v1, v5, s28
	s_mov_b64 s[24:25], exec
	v_lshrrev_b32_e32 v5, 21, v5
	s_andn2_saveexec_b64 s[26:27], s[26:27]
	s_cbranch_execnz .LBB254_2414
.LBB254_308:
	s_or_b64 exec, exec, s[26:27]
	v_mov_b32_e32 v12, 0
	s_and_saveexec_b64 s[26:27], s[24:25]
.LBB254_309:
	v_lshrrev_b32_e32 v1, 24, v1
	s_movk_i32 s24, 0x80
	v_and_or_b32 v12, v1, s24, v5
.LBB254_310:
	s_or_b64 exec, exec, s[26:27]
.LBB254_311:
	s_or_b64 exec, exec, s[22:23]
                                        ; implicit-def: $vgpr16_vgpr17
.LBB254_312:
	s_andn2_saveexec_b64 s[20:21], s[20:21]
	s_cbranch_execz .LBB254_320
; %bb.313:
	flat_load_dword v1, v[16:17]
	s_mov_b32 s22, 0x47800000
	s_waitcnt vmcnt(0) lgkmcnt(0)
	v_mov_b32_e32 v12, 0x80
	v_and_b32_e32 v5, 0x7fffffff, v1
	v_cmp_gt_u32_e32 vcc, s22, v5
	s_and_saveexec_b64 s[22:23], vcc
	s_cbranch_execz .LBB254_319
; %bb.314:
	s_mov_b32 s24, 0x37ffffff
	v_cmp_lt_u32_e32 vcc, s24, v5
	s_mov_b64 s[24:25], 0
                                        ; implicit-def: $vgpr5
	s_and_saveexec_b64 s[26:27], vcc
	s_xor_b64 s[26:27], exec, s[26:27]
	s_cbranch_execz .LBB254_2415
; %bb.315:
	v_bfe_u32 v5, v1, 21, 1
	s_mov_b32 s28, 0x88fffff
	v_add3_u32 v5, v1, v5, s28
	s_mov_b64 s[24:25], exec
	v_lshrrev_b32_e32 v5, 21, v5
	s_andn2_saveexec_b64 s[26:27], s[26:27]
	s_cbranch_execnz .LBB254_2416
.LBB254_316:
	s_or_b64 exec, exec, s[26:27]
	v_mov_b32_e32 v12, 0
	s_and_saveexec_b64 s[26:27], s[24:25]
.LBB254_317:
	v_lshrrev_b32_e32 v1, 24, v1
	s_movk_i32 s24, 0x80
	v_and_or_b32 v12, v1, s24, v5
.LBB254_318:
	s_or_b64 exec, exec, s[26:27]
.LBB254_319:
	s_or_b64 exec, exec, s[22:23]
.LBB254_320:
	s_or_b64 exec, exec, s[20:21]
                                        ; implicit-def: $vgpr16_vgpr17
.LBB254_321:
	s_andn2_saveexec_b64 s[18:19], s[18:19]
	s_cbranch_execz .LBB254_329
; %bb.322:
	flat_load_ushort v1, v[16:17]
	s_mov_b32 s20, 0x47800000
	s_waitcnt vmcnt(0) lgkmcnt(0)
	v_mov_b32_e32 v12, 0x80
	v_cvt_f32_f16_e32 v1, v1
	v_and_b32_e32 v5, 0x7fffffff, v1
	v_cmp_gt_u32_e32 vcc, s20, v5
	s_and_saveexec_b64 s[20:21], vcc
	s_cbranch_execz .LBB254_328
; %bb.323:
	s_mov_b32 s22, 0x37ffffff
	v_cmp_lt_u32_e32 vcc, s22, v5
	s_mov_b64 s[22:23], 0
                                        ; implicit-def: $vgpr5
	s_and_saveexec_b64 s[24:25], vcc
	s_xor_b64 s[24:25], exec, s[24:25]
	s_cbranch_execz .LBB254_2342
; %bb.324:
	v_bfe_u32 v5, v1, 21, 1
	s_mov_b32 s26, 0x88fffff
	v_add3_u32 v5, v1, v5, s26
	s_mov_b64 s[22:23], exec
	v_lshrrev_b32_e32 v5, 21, v5
	s_andn2_saveexec_b64 s[24:25], s[24:25]
	s_cbranch_execnz .LBB254_2343
.LBB254_325:
	s_or_b64 exec, exec, s[24:25]
	v_mov_b32_e32 v12, 0
	s_and_saveexec_b64 s[24:25], s[22:23]
.LBB254_326:
	v_lshrrev_b32_e32 v1, 24, v1
	s_movk_i32 s22, 0x80
	v_and_or_b32 v12, v1, s22, v5
.LBB254_327:
	s_or_b64 exec, exec, s[24:25]
.LBB254_328:
	s_or_b64 exec, exec, s[20:21]
.LBB254_329:
	s_or_b64 exec, exec, s[18:19]
.LBB254_330:
	s_or_b64 exec, exec, s[16:17]
                                        ; implicit-def: $vgpr16_vgpr17
.LBB254_331:
	s_andn2_saveexec_b64 s[12:13], s[12:13]
	s_cbranch_execz .LBB254_379
; %bb.332:
	v_cmp_lt_i16_e32 vcc, 1, v3
                                        ; implicit-def: $vgpr12
	s_and_saveexec_b64 s[16:17], vcc
	s_xor_b64 s[16:17], exec, s[16:17]
	s_cbranch_execz .LBB254_360
; %bb.333:
	v_cmp_lt_i16_e32 vcc, 2, v3
                                        ; implicit-def: $vgpr12
	s_and_saveexec_b64 s[18:19], vcc
	s_xor_b64 s[18:19], exec, s[18:19]
	;; [unrolled: 6-line block ×3, first 2 shown]
	s_cbranch_execz .LBB254_342
; %bb.335:
	flat_load_dwordx2 v[16:17], v[16:17]
	s_mov_b32 s22, 0x47800000
	s_waitcnt vmcnt(0) lgkmcnt(0)
	v_mov_b32_e32 v12, 0x80
	v_xor_b32_e32 v5, v16, v17
	v_ffbh_i32_e32 v1, v17
	v_ashrrev_i32_e32 v5, 31, v5
	v_add_u32_e32 v1, -1, v1
	v_add_u32_e32 v5, 32, v5
	v_min_u32_e32 v1, v1, v5
	v_lshlrev_b64 v[16:17], v1, v[16:17]
	v_sub_u32_e32 v1, 32, v1
	v_min_u32_e32 v5, 1, v16
	v_or_b32_e32 v5, v17, v5
	v_cvt_f32_i32_e32 v5, v5
	v_ldexp_f32 v1, v5, v1
	v_and_b32_e32 v5, 0x7fffffff, v1
	v_cmp_gt_u32_e32 vcc, s22, v5
	s_and_saveexec_b64 s[22:23], vcc
	s_cbranch_execz .LBB254_341
; %bb.336:
	s_mov_b32 s24, 0x37ffffff
	v_cmp_lt_u32_e32 vcc, s24, v5
	s_mov_b64 s[24:25], 0
                                        ; implicit-def: $vgpr5
	s_and_saveexec_b64 s[26:27], vcc
	s_xor_b64 s[26:27], exec, s[26:27]
	s_cbranch_execz .LBB254_2417
; %bb.337:
	v_bfe_u32 v5, v1, 21, 1
	s_mov_b32 s28, 0x88fffff
	v_add3_u32 v5, v1, v5, s28
	s_mov_b64 s[24:25], exec
	v_lshrrev_b32_e32 v5, 21, v5
	s_andn2_saveexec_b64 s[26:27], s[26:27]
	s_cbranch_execnz .LBB254_2418
.LBB254_338:
	s_or_b64 exec, exec, s[26:27]
	v_mov_b32_e32 v12, 0
	s_and_saveexec_b64 s[26:27], s[24:25]
.LBB254_339:
	v_lshrrev_b32_e32 v1, 24, v1
	s_movk_i32 s24, 0x80
	v_and_or_b32 v12, v1, s24, v5
.LBB254_340:
	s_or_b64 exec, exec, s[26:27]
.LBB254_341:
	s_or_b64 exec, exec, s[22:23]
                                        ; implicit-def: $vgpr16_vgpr17
.LBB254_342:
	s_andn2_saveexec_b64 s[20:21], s[20:21]
	s_cbranch_execz .LBB254_350
; %bb.343:
	flat_load_dword v1, v[16:17]
	s_mov_b32 s22, 0x47800000
	s_waitcnt vmcnt(0) lgkmcnt(0)
	v_mov_b32_e32 v12, 0x80
	v_cvt_f32_i32_e32 v1, v1
	v_and_b32_e32 v5, 0x7fffffff, v1
	v_cmp_gt_u32_e32 vcc, s22, v5
	s_and_saveexec_b64 s[22:23], vcc
	s_cbranch_execz .LBB254_349
; %bb.344:
	s_mov_b32 s24, 0x37ffffff
	v_cmp_lt_u32_e32 vcc, s24, v5
	s_mov_b64 s[24:25], 0
                                        ; implicit-def: $vgpr5
	s_and_saveexec_b64 s[26:27], vcc
	s_xor_b64 s[26:27], exec, s[26:27]
	s_cbranch_execz .LBB254_2419
; %bb.345:
	v_bfe_u32 v5, v1, 21, 1
	s_mov_b32 s28, 0x88fffff
	v_add3_u32 v5, v1, v5, s28
	s_mov_b64 s[24:25], exec
	v_lshrrev_b32_e32 v5, 21, v5
	s_andn2_saveexec_b64 s[26:27], s[26:27]
	s_cbranch_execnz .LBB254_2420
.LBB254_346:
	s_or_b64 exec, exec, s[26:27]
	v_mov_b32_e32 v12, 0
	s_and_saveexec_b64 s[26:27], s[24:25]
.LBB254_347:
	v_lshrrev_b32_e32 v1, 24, v1
	s_movk_i32 s24, 0x80
	v_and_or_b32 v12, v1, s24, v5
.LBB254_348:
	s_or_b64 exec, exec, s[26:27]
.LBB254_349:
	s_or_b64 exec, exec, s[22:23]
.LBB254_350:
	s_or_b64 exec, exec, s[20:21]
                                        ; implicit-def: $vgpr16_vgpr17
.LBB254_351:
	s_andn2_saveexec_b64 s[18:19], s[18:19]
	s_cbranch_execz .LBB254_359
; %bb.352:
	flat_load_sshort v1, v[16:17]
	s_mov_b32 s20, 0x47800000
	s_waitcnt vmcnt(0) lgkmcnt(0)
	v_mov_b32_e32 v12, 0x80
	v_cvt_f32_i32_e32 v1, v1
	v_and_b32_e32 v5, 0x7fffffff, v1
	v_cmp_gt_u32_e32 vcc, s20, v5
	s_and_saveexec_b64 s[20:21], vcc
	s_cbranch_execz .LBB254_358
; %bb.353:
	s_mov_b32 s22, 0x37ffffff
	v_cmp_lt_u32_e32 vcc, s22, v5
	s_mov_b64 s[22:23], 0
                                        ; implicit-def: $vgpr5
	s_and_saveexec_b64 s[24:25], vcc
	s_xor_b64 s[24:25], exec, s[24:25]
	s_cbranch_execz .LBB254_2344
; %bb.354:
	v_bfe_u32 v5, v1, 21, 1
	s_mov_b32 s26, 0x88fffff
	v_add3_u32 v5, v1, v5, s26
	s_mov_b64 s[22:23], exec
	v_lshrrev_b32_e32 v5, 21, v5
	s_andn2_saveexec_b64 s[24:25], s[24:25]
	s_cbranch_execnz .LBB254_2345
.LBB254_355:
	s_or_b64 exec, exec, s[24:25]
	v_mov_b32_e32 v12, 0
	s_and_saveexec_b64 s[24:25], s[22:23]
.LBB254_356:
	v_lshrrev_b32_e32 v1, 24, v1
	s_movk_i32 s22, 0x80
	v_and_or_b32 v12, v1, s22, v5
.LBB254_357:
	s_or_b64 exec, exec, s[24:25]
.LBB254_358:
	s_or_b64 exec, exec, s[20:21]
.LBB254_359:
	s_or_b64 exec, exec, s[18:19]
                                        ; implicit-def: $vgpr16_vgpr17
.LBB254_360:
	s_andn2_saveexec_b64 s[16:17], s[16:17]
	s_cbranch_execz .LBB254_378
; %bb.361:
	v_cmp_lt_i16_e32 vcc, 0, v3
                                        ; implicit-def: $vgpr12
	s_and_saveexec_b64 s[18:19], vcc
	s_xor_b64 s[18:19], exec, s[18:19]
	s_cbranch_execz .LBB254_369
; %bb.362:
	flat_load_sbyte v1, v[16:17]
	s_mov_b32 s20, 0x47800000
	s_waitcnt vmcnt(0) lgkmcnt(0)
	v_mov_b32_e32 v12, 0x80
	v_cvt_f32_i32_e32 v1, v1
	v_and_b32_e32 v5, 0x7fffffff, v1
	v_cmp_gt_u32_e32 vcc, s20, v5
	s_and_saveexec_b64 s[20:21], vcc
	s_cbranch_execz .LBB254_368
; %bb.363:
	s_mov_b32 s22, 0x37ffffff
	v_cmp_lt_u32_e32 vcc, s22, v5
	s_mov_b64 s[22:23], 0
                                        ; implicit-def: $vgpr5
	s_and_saveexec_b64 s[24:25], vcc
	s_xor_b64 s[24:25], exec, s[24:25]
	s_cbranch_execz .LBB254_2346
; %bb.364:
	v_bfe_u32 v5, v1, 21, 1
	s_mov_b32 s26, 0x88fffff
	v_add3_u32 v5, v1, v5, s26
	s_mov_b64 s[22:23], exec
	v_lshrrev_b32_e32 v5, 21, v5
	s_andn2_saveexec_b64 s[24:25], s[24:25]
	s_cbranch_execnz .LBB254_2347
.LBB254_365:
	s_or_b64 exec, exec, s[24:25]
	v_mov_b32_e32 v12, 0
	s_and_saveexec_b64 s[24:25], s[22:23]
.LBB254_366:
	v_lshrrev_b32_e32 v1, 24, v1
	s_movk_i32 s22, 0x80
	v_and_or_b32 v12, v1, s22, v5
.LBB254_367:
	s_or_b64 exec, exec, s[24:25]
.LBB254_368:
	s_or_b64 exec, exec, s[20:21]
                                        ; implicit-def: $vgpr16_vgpr17
.LBB254_369:
	s_andn2_saveexec_b64 s[18:19], s[18:19]
	s_cbranch_execz .LBB254_377
; %bb.370:
	flat_load_ubyte v1, v[16:17]
	s_mov_b32 s20, 0x47800000
	s_waitcnt vmcnt(0) lgkmcnt(0)
	v_mov_b32_e32 v12, 0x80
	v_cvt_f32_ubyte0_e32 v5, v1
	v_cmp_gt_u32_e32 vcc, s20, v5
	s_and_saveexec_b64 s[20:21], vcc
	s_cbranch_execz .LBB254_376
; %bb.371:
	s_mov_b32 s22, 0x37ffffff
	v_cmp_lt_u32_e32 vcc, s22, v5
	s_mov_b64 s[22:23], 0
                                        ; implicit-def: $vgpr1
	s_and_saveexec_b64 s[24:25], vcc
	s_xor_b64 s[24:25], exec, s[24:25]
	s_cbranch_execz .LBB254_2348
; %bb.372:
	v_bfe_u32 v1, v5, 21, 1
	s_mov_b32 s26, 0x88fffff
	v_add3_u32 v1, v5, v1, s26
	s_mov_b64 s[22:23], exec
	v_lshrrev_b32_e32 v1, 21, v1
                                        ; implicit-def: $vgpr5
	s_andn2_saveexec_b64 s[24:25], s[24:25]
	s_cbranch_execnz .LBB254_2349
.LBB254_373:
	s_or_b64 exec, exec, s[24:25]
	v_mov_b32_e32 v12, 0
	s_and_saveexec_b64 s[24:25], s[22:23]
.LBB254_374:
	v_mov_b32_e32 v12, v1
.LBB254_375:
	s_or_b64 exec, exec, s[24:25]
.LBB254_376:
	s_or_b64 exec, exec, s[20:21]
.LBB254_377:
	s_or_b64 exec, exec, s[18:19]
.LBB254_378:
	s_or_b64 exec, exec, s[16:17]
.LBB254_379:
	s_or_b64 exec, exec, s[12:13]
	s_or_b64 s[14:15], s[14:15], exec
.LBB254_380:
	s_or_b64 exec, exec, s[4:5]
	s_mov_b64 s[16:17], 0
	s_mov_b64 s[18:19], 0
                                        ; implicit-def: $sgpr48_sgpr49
                                        ; implicit-def: $vgpr21_vgpr22
                                        ; implicit-def: $vgpr16
	s_and_saveexec_b64 s[12:13], s[14:15]
	s_cbranch_execz .LBB254_2125
; %bb.381:
	buffer_load_dword v5, off, s[0:3], 0 offset:424
	buffer_load_dword v24, off, s[0:3], 0 offset:428
	buffer_load_ubyte v1, off, s[0:3], 0 offset:438
	s_mov_b64 s[14:15], s[10:11]
                                        ; implicit-def: $vgpr14
	s_waitcnt vmcnt(0)
	v_add_co_u32_e32 v16, vcc, v5, v20
	v_addc_co_u32_e32 v17, vcc, 0, v24, vcc
	v_cmp_lt_i16_e32 vcc, 10, v1
	s_and_saveexec_b64 s[4:5], vcc
	s_xor_b64 s[4:5], exec, s[4:5]
	s_cbranch_execz .LBB254_462
; %bb.382:
	v_cmp_lt_i16_e32 vcc, 25, v1
	s_mov_b64 s[14:15], 0
	s_mov_b64 s[20:21], 0
                                        ; implicit-def: $vgpr14
	s_and_saveexec_b64 s[16:17], vcc
	s_xor_b64 s[16:17], exec, s[16:17]
	s_cbranch_execz .LBB254_2206
; %bb.383:
	v_cmp_lt_i16_e32 vcc, 28, v1
	s_mov_b64 s[22:23], 0
                                        ; implicit-def: $vgpr14
	s_and_saveexec_b64 s[18:19], vcc
	s_xor_b64 s[18:19], exec, s[18:19]
	s_cbranch_execz .LBB254_417
; %bb.384:
	v_cmp_lt_i16_e32 vcc, 43, v1
	s_mov_b64 s[24:25], 0
	s_mov_b64 s[26:27], 0
                                        ; implicit-def: $vgpr14
	s_and_saveexec_b64 s[20:21], vcc
	s_xor_b64 s[20:21], exec, s[20:21]
	s_cbranch_execz .LBB254_406
; %bb.385:
	v_cmp_lt_i16_e32 vcc, 45, v1
                                        ; implicit-def: $vgpr14
	s_and_saveexec_b64 s[26:27], vcc
	s_xor_b64 s[26:27], exec, s[26:27]
	s_cbranch_execz .LBB254_395
; %bb.386:
	v_cmp_eq_u16_e32 vcc, 46, v1
	s_mov_b64 s[28:29], -1
                                        ; implicit-def: $vgpr14
	s_and_saveexec_b64 s[22:23], vcc
	s_cbranch_execz .LBB254_394
; %bb.387:
	flat_load_dword v14, v[16:17]
	s_mov_b32 s24, 0x47800000
	s_waitcnt vmcnt(0) lgkmcnt(0)
	v_lshlrev_b32_e32 v20, 16, v14
	v_and_b32_e32 v21, 0x7fffffff, v20
	v_cmp_gt_u32_e32 vcc, s24, v21
	v_mov_b32_e32 v14, 0x80
	s_and_saveexec_b64 s[24:25], vcc
	s_cbranch_execz .LBB254_393
; %bb.388:
	s_mov_b32 s28, 0x37ffffff
	v_cmp_lt_u32_e32 vcc, s28, v21
	s_mov_b64 s[28:29], 0
                                        ; implicit-def: $vgpr21
	s_and_saveexec_b64 s[30:31], vcc
	s_xor_b64 s[30:31], exec, s[30:31]
	s_cbranch_execz .LBB254_2573
; %bb.389:
	v_bfe_u32 v14, v20, 21, 1
	s_mov_b32 s33, 0x88fffff
	v_add3_u32 v14, v20, v14, s33
	s_mov_b64 s[28:29], exec
	v_lshrrev_b32_e32 v21, 21, v14
	s_andn2_saveexec_b64 s[30:31], s[30:31]
	s_cbranch_execnz .LBB254_2574
.LBB254_390:
	s_or_b64 exec, exec, s[30:31]
	v_mov_b32_e32 v14, 0
	s_and_saveexec_b64 s[30:31], s[28:29]
.LBB254_391:
	v_lshrrev_b32_e32 v14, 24, v20
	s_movk_i32 s28, 0x80
	v_and_or_b32 v14, v14, s28, v21
.LBB254_392:
	s_or_b64 exec, exec, s[30:31]
.LBB254_393:
	s_or_b64 exec, exec, s[24:25]
	s_mov_b64 s[24:25], exec
	s_xor_b64 s[28:29], exec, -1
.LBB254_394:
	s_or_b64 exec, exec, s[22:23]
	s_and_b64 s[24:25], s[24:25], exec
	s_and_b64 s[22:23], s[28:29], exec
.LBB254_395:
	s_andn2_saveexec_b64 s[26:27], s[26:27]
	s_cbranch_execz .LBB254_405
; %bb.396:
	v_cmp_eq_u16_e32 vcc, 44, v1
	s_mov_b64 s[30:31], -1
	s_mov_b64 s[34:35], s[24:25]
                                        ; implicit-def: $vgpr14
	s_and_saveexec_b64 s[28:29], vcc
	s_cbranch_execz .LBB254_404
; %bb.397:
	flat_load_ubyte v14, v[16:17]
	s_movk_i32 s30, 0xff
	v_mov_b32_e32 v20, 0x7f800001
	v_mov_b32_e32 v21, 0x400000
	s_mov_b32 s31, 0x47800000
	s_waitcnt vmcnt(0) lgkmcnt(0)
	v_lshlrev_b32_e32 v22, 23, v14
	v_cmp_ne_u32_e32 vcc, s30, v14
	v_cndmask_b32_e32 v20, v20, v22, vcc
	v_cmp_ne_u32_e32 vcc, 0, v14
	v_cndmask_b32_e32 v21, v21, v20, vcc
	v_cmp_gt_u32_e32 vcc, s31, v21
	v_mov_b32_e32 v14, 0x80
	s_and_saveexec_b64 s[30:31], vcc
	s_cbranch_execz .LBB254_403
; %bb.398:
	s_mov_b32 s33, 0x37ffffff
	v_cmp_lt_u32_e32 vcc, s33, v21
	s_mov_b64 s[34:35], 0
                                        ; implicit-def: $vgpr20
	s_and_saveexec_b64 s[36:37], vcc
	s_xor_b64 s[36:37], exec, s[36:37]
	s_cbranch_execz .LBB254_2575
; %bb.399:
	v_bfe_u32 v14, v21, 21, 1
	s_mov_b32 s33, 0x88fffff
	v_add3_u32 v14, v21, v14, s33
	s_mov_b64 s[34:35], exec
	v_lshrrev_b32_e32 v20, 21, v14
                                        ; implicit-def: $vgpr21
	s_andn2_saveexec_b64 s[36:37], s[36:37]
	s_cbranch_execnz .LBB254_2576
.LBB254_400:
	s_or_b64 exec, exec, s[36:37]
	v_mov_b32_e32 v14, 0
	s_and_saveexec_b64 s[36:37], s[34:35]
.LBB254_401:
	v_mov_b32_e32 v14, v20
.LBB254_402:
	s_or_b64 exec, exec, s[36:37]
.LBB254_403:
	s_or_b64 exec, exec, s[30:31]
	s_or_b64 s[34:35], s[24:25], exec
	s_xor_b64 s[30:31], exec, -1
.LBB254_404:
	s_or_b64 exec, exec, s[28:29]
	s_andn2_b64 s[24:25], s[24:25], exec
	s_and_b64 s[28:29], s[34:35], exec
	s_or_b64 s[24:25], s[24:25], s[28:29]
	s_andn2_b64 s[22:23], s[22:23], exec
	s_and_b64 s[28:29], s[30:31], exec
	s_or_b64 s[22:23], s[22:23], s[28:29]
.LBB254_405:
	s_or_b64 exec, exec, s[26:27]
	s_and_b64 s[26:27], s[24:25], exec
	s_and_b64 s[24:25], s[22:23], exec
.LBB254_406:
	s_andn2_saveexec_b64 s[20:21], s[20:21]
	s_cbranch_execz .LBB254_416
; %bb.407:
	v_cmp_eq_u16_e32 vcc, 29, v1
	s_mov_b64 s[28:29], -1
	s_mov_b64 s[30:31], s[26:27]
                                        ; implicit-def: $vgpr14
	s_and_saveexec_b64 s[22:23], vcc
	s_cbranch_execz .LBB254_415
; %bb.408:
	flat_load_dwordx2 v[20:21], v[16:17]
	s_mov_b32 s28, 0x47800000
	s_waitcnt vmcnt(0) lgkmcnt(0)
	v_ffbh_u32_e32 v14, v21
	v_min_u32_e32 v14, 32, v14
	v_lshlrev_b64 v[20:21], v14, v[20:21]
	v_sub_u32_e32 v14, 32, v14
	v_min_u32_e32 v20, 1, v20
	v_or_b32_e32 v20, v21, v20
	v_cvt_f32_u32_e32 v20, v20
	v_ldexp_f32 v21, v20, v14
	v_cmp_gt_u32_e32 vcc, s28, v21
	v_mov_b32_e32 v14, 0x80
	s_and_saveexec_b64 s[28:29], vcc
	s_cbranch_execz .LBB254_414
; %bb.409:
	s_mov_b32 s30, 0x37ffffff
	v_cmp_lt_u32_e32 vcc, s30, v21
	s_mov_b64 s[30:31], 0
                                        ; implicit-def: $vgpr20
	s_and_saveexec_b64 s[34:35], vcc
	s_xor_b64 s[34:35], exec, s[34:35]
	s_cbranch_execz .LBB254_2486
; %bb.410:
	v_bfe_u32 v14, v21, 21, 1
	s_mov_b32 s33, 0x88fffff
	v_add3_u32 v14, v21, v14, s33
	s_mov_b64 s[30:31], exec
	v_lshrrev_b32_e32 v20, 21, v14
                                        ; implicit-def: $vgpr21
	s_andn2_saveexec_b64 s[34:35], s[34:35]
	s_cbranch_execnz .LBB254_2487
.LBB254_411:
	s_or_b64 exec, exec, s[34:35]
	v_mov_b32_e32 v14, 0
	s_and_saveexec_b64 s[34:35], s[30:31]
.LBB254_412:
	v_mov_b32_e32 v14, v20
.LBB254_413:
	s_or_b64 exec, exec, s[34:35]
.LBB254_414:
	s_or_b64 exec, exec, s[28:29]
	s_or_b64 s[30:31], s[26:27], exec
	s_xor_b64 s[28:29], exec, -1
.LBB254_415:
	s_or_b64 exec, exec, s[22:23]
	s_andn2_b64 s[22:23], s[26:27], exec
	s_and_b64 s[26:27], s[30:31], exec
	s_or_b64 s[26:27], s[22:23], s[26:27]
	s_andn2_b64 s[22:23], s[24:25], exec
	s_and_b64 s[24:25], s[28:29], exec
	s_or_b64 s[24:25], s[22:23], s[24:25]
.LBB254_416:
	s_or_b64 exec, exec, s[20:21]
	s_and_b64 s[22:23], s[26:27], exec
	s_and_b64 s[20:21], s[24:25], exec
.LBB254_417:
	s_andn2_saveexec_b64 s[18:19], s[18:19]
	s_cbranch_execz .LBB254_451
; %bb.418:
	v_cmp_lt_i16_e32 vcc, 26, v1
                                        ; implicit-def: $vgpr14
	s_and_saveexec_b64 s[24:25], vcc
	s_xor_b64 s[24:25], exec, s[24:25]
	s_cbranch_execz .LBB254_436
; %bb.419:
	v_cmp_lt_i16_e32 vcc, 27, v1
                                        ; implicit-def: $vgpr14
	s_and_saveexec_b64 s[26:27], vcc
	s_xor_b64 s[26:27], exec, s[26:27]
	s_cbranch_execz .LBB254_427
; %bb.420:
	flat_load_dword v14, v[16:17]
	s_mov_b32 s28, 0x47800000
	s_waitcnt vmcnt(0) lgkmcnt(0)
	v_cvt_f32_u32_e32 v21, v14
	v_mov_b32_e32 v14, 0x80
	v_cmp_gt_u32_e32 vcc, s28, v21
	s_and_saveexec_b64 s[28:29], vcc
	s_cbranch_execz .LBB254_426
; %bb.421:
	s_mov_b32 s30, 0x37ffffff
	v_cmp_lt_u32_e32 vcc, s30, v21
	s_mov_b64 s[30:31], 0
                                        ; implicit-def: $vgpr20
	s_and_saveexec_b64 s[34:35], vcc
	s_xor_b64 s[34:35], exec, s[34:35]
	s_cbranch_execz .LBB254_2488
; %bb.422:
	v_bfe_u32 v14, v21, 21, 1
	s_mov_b32 s33, 0x88fffff
	v_add3_u32 v14, v21, v14, s33
	s_mov_b64 s[30:31], exec
	v_lshrrev_b32_e32 v20, 21, v14
                                        ; implicit-def: $vgpr21
	s_andn2_saveexec_b64 s[34:35], s[34:35]
	s_cbranch_execnz .LBB254_2489
.LBB254_423:
	s_or_b64 exec, exec, s[34:35]
	v_mov_b32_e32 v14, 0
	s_and_saveexec_b64 s[34:35], s[30:31]
.LBB254_424:
	v_mov_b32_e32 v14, v20
.LBB254_425:
	s_or_b64 exec, exec, s[34:35]
.LBB254_426:
	s_or_b64 exec, exec, s[28:29]
.LBB254_427:
	s_andn2_saveexec_b64 s[26:27], s[26:27]
	s_cbranch_execz .LBB254_435
; %bb.428:
	flat_load_ushort v14, v[16:17]
	s_mov_b32 s28, 0x47800000
	s_waitcnt vmcnt(0) lgkmcnt(0)
	v_cvt_f32_u32_e32 v21, v14
	v_mov_b32_e32 v14, 0x80
	v_cmp_gt_u32_e32 vcc, s28, v21
	s_and_saveexec_b64 s[28:29], vcc
	s_cbranch_execz .LBB254_434
; %bb.429:
	s_mov_b32 s30, 0x37ffffff
	v_cmp_lt_u32_e32 vcc, s30, v21
	s_mov_b64 s[30:31], 0
                                        ; implicit-def: $vgpr20
	s_and_saveexec_b64 s[34:35], vcc
	s_xor_b64 s[34:35], exec, s[34:35]
	s_cbranch_execz .LBB254_2490
; %bb.430:
	v_bfe_u32 v14, v21, 21, 1
	s_mov_b32 s33, 0x88fffff
	v_add3_u32 v14, v21, v14, s33
	s_mov_b64 s[30:31], exec
	v_lshrrev_b32_e32 v20, 21, v14
                                        ; implicit-def: $vgpr21
	s_andn2_saveexec_b64 s[34:35], s[34:35]
	s_cbranch_execnz .LBB254_2491
.LBB254_431:
	s_or_b64 exec, exec, s[34:35]
	v_mov_b32_e32 v14, 0
	s_and_saveexec_b64 s[34:35], s[30:31]
.LBB254_432:
	v_mov_b32_e32 v14, v20
.LBB254_433:
	s_or_b64 exec, exec, s[34:35]
.LBB254_434:
	s_or_b64 exec, exec, s[28:29]
.LBB254_435:
	s_or_b64 exec, exec, s[26:27]
.LBB254_436:
	s_andn2_saveexec_b64 s[24:25], s[24:25]
	s_cbranch_execz .LBB254_450
; %bb.437:
	flat_load_ubyte v14, v[16:17]
	s_movk_i32 s26, 0x7f
	s_waitcnt vmcnt(0) lgkmcnt(0)
	v_cmp_lt_i16_e32 vcc, s26, v14
	s_mov_b64 s[26:27], 0
	s_and_saveexec_b64 s[28:29], vcc
	s_xor_b64 s[28:29], exec, s[28:29]
	s_cbranch_execz .LBB254_2350
; %bb.438:
	s_movk_i32 s26, 0x80
	v_cmp_eq_u16_e32 vcc, s26, v14
	s_mov_b64 s[26:27], -1
	s_and_saveexec_b64 s[30:31], vcc
; %bb.439:
	s_xor_b64 s[26:27], exec, -1
; %bb.440:
	s_or_b64 exec, exec, s[30:31]
	s_and_b64 s[26:27], s[26:27], exec
	s_or_saveexec_b64 s[28:29], s[28:29]
	v_mov_b32_e32 v20, 0x7f800001
	s_xor_b64 exec, exec, s[28:29]
	s_cbranch_execnz .LBB254_2351
.LBB254_441:
	s_or_b64 exec, exec, s[28:29]
	s_and_saveexec_b64 s[28:29], s[26:27]
	s_cbranch_execz .LBB254_443
.LBB254_442:
	v_lshlrev_b32_e32 v20, 24, v14
	v_and_b32_e32 v14, 0xffff, v14
	v_and_b32_e32 v21, 7, v14
	v_ffbh_u32_e32 v26, v21
	v_min_u32_e32 v26, 32, v26
	v_subrev_u32_e32 v27, 28, v26
	v_bfe_u32 v22, v14, 3, 4
	v_lshlrev_b32_e32 v14, v27, v14
	v_sub_u32_e32 v26, 29, v26
	v_and_b32_e32 v14, 7, v14
	v_cmp_eq_u32_e32 vcc, 0, v22
	v_cndmask_b32_e32 v22, v22, v26, vcc
	v_cndmask_b32_e32 v14, v21, v14, vcc
	v_mov_b32_e32 v21, 0x3b800000
	v_lshlrev_b32_e32 v14, 20, v14
	v_and_b32_e32 v20, 0x80000000, v20
	v_lshl_add_u32 v21, v22, 23, v21
	v_or3_b32 v20, v20, v21, v14
.LBB254_443:
	s_or_b64 exec, exec, s[28:29]
	v_and_b32_e32 v21, 0x7fffffff, v20
	s_mov_b32 s26, 0x47800000
	v_cmp_gt_u32_e32 vcc, s26, v21
	v_mov_b32_e32 v14, 0x80
	s_and_saveexec_b64 s[26:27], vcc
	s_cbranch_execz .LBB254_449
; %bb.444:
	s_mov_b32 s28, 0x37ffffff
	v_cmp_lt_u32_e32 vcc, s28, v21
	s_mov_b64 s[28:29], 0
                                        ; implicit-def: $vgpr21
	s_and_saveexec_b64 s[30:31], vcc
	s_xor_b64 s[30:31], exec, s[30:31]
	s_cbranch_execz .LBB254_2421
; %bb.445:
	v_bfe_u32 v14, v20, 21, 1
	s_mov_b32 s33, 0x88fffff
	v_add3_u32 v14, v20, v14, s33
	s_mov_b64 s[28:29], exec
	v_lshrrev_b32_e32 v21, 21, v14
	s_andn2_saveexec_b64 s[30:31], s[30:31]
	s_cbranch_execnz .LBB254_2422
.LBB254_446:
	s_or_b64 exec, exec, s[30:31]
	v_mov_b32_e32 v14, 0
	s_and_saveexec_b64 s[30:31], s[28:29]
.LBB254_447:
	v_lshrrev_b32_e32 v14, 24, v20
	s_movk_i32 s28, 0x80
	v_and_or_b32 v14, v14, s28, v21
.LBB254_448:
	s_or_b64 exec, exec, s[30:31]
.LBB254_449:
	s_or_b64 exec, exec, s[26:27]
.LBB254_450:
	s_or_b64 exec, exec, s[24:25]
	s_or_b64 s[22:23], s[22:23], exec
.LBB254_451:
	s_or_b64 exec, exec, s[18:19]
	s_and_b64 s[18:19], s[22:23], exec
	s_and_b64 s[20:21], s[20:21], exec
	s_andn2_saveexec_b64 s[16:17], s[16:17]
	s_cbranch_execnz .LBB254_2207
.LBB254_452:
	s_or_b64 exec, exec, s[16:17]
	s_mov_b64 s[16:17], s[10:11]
	s_and_saveexec_b64 s[22:23], s[20:21]
	s_cbranch_execnz .LBB254_2244
.LBB254_453:
	s_or_b64 exec, exec, s[22:23]
	s_and_saveexec_b64 s[20:21], s[14:15]
	s_xor_b64 s[14:15], exec, s[20:21]
	s_cbranch_execz .LBB254_461
.LBB254_454:
	s_waitcnt vmcnt(0) lgkmcnt(0)
	flat_load_ubyte v14, v[16:17]
	s_mov_b32 s20, 0x47800000
	s_waitcnt vmcnt(0) lgkmcnt(0)
	v_cmp_ne_u16_e32 vcc, 0, v14
	v_cndmask_b32_e64 v17, 0, 1.0, vcc
	v_cmp_gt_u32_e32 vcc, s20, v17
	v_mov_b32_e32 v14, 0x80
	s_and_saveexec_b64 s[20:21], vcc
	s_cbranch_execz .LBB254_460
; %bb.455:
	s_mov_b32 s22, 0x37ffffff
	v_cmp_lt_u32_e32 vcc, s22, v17
	s_mov_b64 s[22:23], 0
                                        ; implicit-def: $vgpr16
	s_and_saveexec_b64 s[24:25], vcc
	s_xor_b64 s[24:25], exec, s[24:25]
	s_cbranch_execz .LBB254_2296
; %bb.456:
	v_bfe_u32 v14, v17, 21, 1
	s_mov_b32 s26, 0x88fffff
	v_add3_u32 v14, v17, v14, s26
	s_mov_b64 s[22:23], exec
	v_lshrrev_b32_e32 v16, 21, v14
                                        ; implicit-def: $vgpr17
	s_andn2_saveexec_b64 s[24:25], s[24:25]
	s_cbranch_execnz .LBB254_2297
.LBB254_457:
	s_or_b64 exec, exec, s[24:25]
	v_mov_b32_e32 v14, 0
	s_and_saveexec_b64 s[24:25], s[22:23]
.LBB254_458:
	v_mov_b32_e32 v14, v16
.LBB254_459:
	s_or_b64 exec, exec, s[24:25]
.LBB254_460:
	s_or_b64 exec, exec, s[20:21]
	s_or_b64 s[18:19], s[18:19], exec
.LBB254_461:
	s_or_b64 exec, exec, s[14:15]
	s_andn2_b64 s[14:15], s[10:11], exec
	s_and_b64 s[16:17], s[16:17], exec
	s_or_b64 s[14:15], s[14:15], s[16:17]
	s_and_b64 s[18:19], s[18:19], exec
                                        ; implicit-def: $vgpr16_vgpr17
.LBB254_462:
	s_andn2_saveexec_b64 s[4:5], s[4:5]
	s_cbranch_execz .LBB254_570
; %bb.463:
	v_cmp_lt_i16_e32 vcc, 4, v1
                                        ; implicit-def: $vgpr14
	s_and_saveexec_b64 s[16:17], vcc
	s_xor_b64 s[16:17], exec, s[16:17]
	s_cbranch_execz .LBB254_521
; %bb.464:
	v_cmp_lt_i16_e32 vcc, 7, v1
                                        ; implicit-def: $vgpr14
	s_and_saveexec_b64 s[20:21], vcc
	s_xor_b64 s[20:21], exec, s[20:21]
	s_cbranch_execz .LBB254_492
; %bb.465:
	v_cmp_lt_i16_e32 vcc, 8, v1
                                        ; implicit-def: $vgpr14
	s_and_saveexec_b64 s[22:23], vcc
	s_xor_b64 s[22:23], exec, s[22:23]
	s_cbranch_execz .LBB254_483
; %bb.466:
	v_cmp_lt_i16_e32 vcc, 9, v1
                                        ; implicit-def: $vgpr14
	s_and_saveexec_b64 s[24:25], vcc
	s_xor_b64 s[24:25], exec, s[24:25]
	s_cbranch_execz .LBB254_474
; %bb.467:
	flat_load_dwordx2 v[16:17], v[16:17]
	s_mov_b32 s26, 0x47800000
	s_waitcnt vmcnt(0) lgkmcnt(0)
	v_mov_b32_e32 v14, 0x80
	v_cvt_f32_f64_e32 v16, v[16:17]
	v_and_b32_e32 v17, 0x7fffffff, v16
	v_cmp_gt_u32_e32 vcc, s26, v17
	s_and_saveexec_b64 s[26:27], vcc
	s_cbranch_execz .LBB254_473
; %bb.468:
	s_mov_b32 s28, 0x37ffffff
	v_cmp_lt_u32_e32 vcc, s28, v17
	s_mov_b64 s[28:29], 0
                                        ; implicit-def: $vgpr17
	s_and_saveexec_b64 s[30:31], vcc
	s_xor_b64 s[30:31], exec, s[30:31]
	s_cbranch_execz .LBB254_2492
; %bb.469:
	v_bfe_u32 v14, v16, 21, 1
	s_mov_b32 s33, 0x88fffff
	v_add3_u32 v14, v16, v14, s33
	s_mov_b64 s[28:29], exec
	v_lshrrev_b32_e32 v17, 21, v14
	s_andn2_saveexec_b64 s[30:31], s[30:31]
	s_cbranch_execnz .LBB254_2493
.LBB254_470:
	s_or_b64 exec, exec, s[30:31]
	v_mov_b32_e32 v14, 0
	s_and_saveexec_b64 s[30:31], s[28:29]
.LBB254_471:
	v_lshrrev_b32_e32 v14, 24, v16
	s_movk_i32 s28, 0x80
	v_and_or_b32 v14, v14, s28, v17
.LBB254_472:
	s_or_b64 exec, exec, s[30:31]
.LBB254_473:
	s_or_b64 exec, exec, s[26:27]
                                        ; implicit-def: $vgpr16_vgpr17
.LBB254_474:
	s_andn2_saveexec_b64 s[24:25], s[24:25]
	s_cbranch_execz .LBB254_482
; %bb.475:
	flat_load_dword v16, v[16:17]
	s_mov_b32 s26, 0x47800000
	s_waitcnt vmcnt(0) lgkmcnt(0)
	v_mov_b32_e32 v14, 0x80
	v_and_b32_e32 v17, 0x7fffffff, v16
	v_cmp_gt_u32_e32 vcc, s26, v17
	s_and_saveexec_b64 s[26:27], vcc
	s_cbranch_execz .LBB254_481
; %bb.476:
	s_mov_b32 s28, 0x37ffffff
	v_cmp_lt_u32_e32 vcc, s28, v17
	s_mov_b64 s[28:29], 0
                                        ; implicit-def: $vgpr17
	s_and_saveexec_b64 s[30:31], vcc
	s_xor_b64 s[30:31], exec, s[30:31]
	s_cbranch_execz .LBB254_2494
; %bb.477:
	v_bfe_u32 v14, v16, 21, 1
	s_mov_b32 s33, 0x88fffff
	v_add3_u32 v14, v16, v14, s33
	s_mov_b64 s[28:29], exec
	v_lshrrev_b32_e32 v17, 21, v14
	s_andn2_saveexec_b64 s[30:31], s[30:31]
	s_cbranch_execnz .LBB254_2495
.LBB254_478:
	s_or_b64 exec, exec, s[30:31]
	v_mov_b32_e32 v14, 0
	s_and_saveexec_b64 s[30:31], s[28:29]
.LBB254_479:
	v_lshrrev_b32_e32 v14, 24, v16
	s_movk_i32 s28, 0x80
	v_and_or_b32 v14, v14, s28, v17
.LBB254_480:
	s_or_b64 exec, exec, s[30:31]
.LBB254_481:
	s_or_b64 exec, exec, s[26:27]
.LBB254_482:
	s_or_b64 exec, exec, s[24:25]
                                        ; implicit-def: $vgpr16_vgpr17
.LBB254_483:
	s_andn2_saveexec_b64 s[22:23], s[22:23]
	s_cbranch_execz .LBB254_491
; %bb.484:
	s_waitcnt vmcnt(0) lgkmcnt(0)
	flat_load_dword v14, v[16:17]
	s_mov_b32 s24, 0x47800000
	s_waitcnt vmcnt(0) lgkmcnt(0)
	v_cvt_f32_f16_e32 v16, v14
	v_mov_b32_e32 v14, 0x80
	v_and_b32_e32 v17, 0x7fffffff, v16
	v_cmp_gt_u32_e32 vcc, s24, v17
	s_and_saveexec_b64 s[24:25], vcc
	s_cbranch_execz .LBB254_490
; %bb.485:
	s_mov_b32 s26, 0x37ffffff
	v_cmp_lt_u32_e32 vcc, s26, v17
	s_mov_b64 s[26:27], 0
                                        ; implicit-def: $vgpr17
	s_and_saveexec_b64 s[28:29], vcc
	s_xor_b64 s[28:29], exec, s[28:29]
	s_cbranch_execz .LBB254_2423
; %bb.486:
	v_bfe_u32 v14, v16, 21, 1
	s_mov_b32 s30, 0x88fffff
	v_add3_u32 v14, v16, v14, s30
	s_mov_b64 s[26:27], exec
	v_lshrrev_b32_e32 v17, 21, v14
	s_andn2_saveexec_b64 s[28:29], s[28:29]
	s_cbranch_execnz .LBB254_2424
.LBB254_487:
	s_or_b64 exec, exec, s[28:29]
	v_mov_b32_e32 v14, 0
	s_and_saveexec_b64 s[28:29], s[26:27]
.LBB254_488:
	v_lshrrev_b32_e32 v14, 24, v16
	s_movk_i32 s26, 0x80
	v_and_or_b32 v14, v14, s26, v17
.LBB254_489:
	s_or_b64 exec, exec, s[28:29]
.LBB254_490:
	s_or_b64 exec, exec, s[24:25]
.LBB254_491:
	s_or_b64 exec, exec, s[22:23]
                                        ; implicit-def: $vgpr16_vgpr17
.LBB254_492:
	s_andn2_saveexec_b64 s[20:21], s[20:21]
	s_cbranch_execz .LBB254_520
; %bb.493:
	v_cmp_lt_i16_e32 vcc, 5, v1
                                        ; implicit-def: $vgpr14
	s_and_saveexec_b64 s[22:23], vcc
	s_xor_b64 s[22:23], exec, s[22:23]
	s_cbranch_execz .LBB254_511
; %bb.494:
	v_cmp_lt_i16_e32 vcc, 6, v1
                                        ; implicit-def: $vgpr14
	s_and_saveexec_b64 s[24:25], vcc
	s_xor_b64 s[24:25], exec, s[24:25]
	s_cbranch_execz .LBB254_502
; %bb.495:
	flat_load_dwordx2 v[16:17], v[16:17]
	s_mov_b32 s26, 0x47800000
	s_waitcnt vmcnt(0) lgkmcnt(0)
	v_mov_b32_e32 v14, 0x80
	v_cvt_f32_f64_e32 v16, v[16:17]
	v_and_b32_e32 v17, 0x7fffffff, v16
	v_cmp_gt_u32_e32 vcc, s26, v17
	s_and_saveexec_b64 s[26:27], vcc
	s_cbranch_execz .LBB254_501
; %bb.496:
	s_mov_b32 s28, 0x37ffffff
	v_cmp_lt_u32_e32 vcc, s28, v17
	s_mov_b64 s[28:29], 0
                                        ; implicit-def: $vgpr17
	s_and_saveexec_b64 s[30:31], vcc
	s_xor_b64 s[30:31], exec, s[30:31]
	s_cbranch_execz .LBB254_2496
; %bb.497:
	v_bfe_u32 v14, v16, 21, 1
	s_mov_b32 s33, 0x88fffff
	v_add3_u32 v14, v16, v14, s33
	s_mov_b64 s[28:29], exec
	v_lshrrev_b32_e32 v17, 21, v14
	s_andn2_saveexec_b64 s[30:31], s[30:31]
	s_cbranch_execnz .LBB254_2497
.LBB254_498:
	s_or_b64 exec, exec, s[30:31]
	v_mov_b32_e32 v14, 0
	s_and_saveexec_b64 s[30:31], s[28:29]
.LBB254_499:
	v_lshrrev_b32_e32 v14, 24, v16
	s_movk_i32 s28, 0x80
	v_and_or_b32 v14, v14, s28, v17
.LBB254_500:
	s_or_b64 exec, exec, s[30:31]
.LBB254_501:
	s_or_b64 exec, exec, s[26:27]
                                        ; implicit-def: $vgpr16_vgpr17
.LBB254_502:
	s_andn2_saveexec_b64 s[24:25], s[24:25]
	s_cbranch_execz .LBB254_510
; %bb.503:
	flat_load_dword v16, v[16:17]
	s_mov_b32 s26, 0x47800000
	s_waitcnt vmcnt(0) lgkmcnt(0)
	v_mov_b32_e32 v14, 0x80
	v_and_b32_e32 v17, 0x7fffffff, v16
	v_cmp_gt_u32_e32 vcc, s26, v17
	s_and_saveexec_b64 s[26:27], vcc
	s_cbranch_execz .LBB254_509
; %bb.504:
	s_mov_b32 s28, 0x37ffffff
	v_cmp_lt_u32_e32 vcc, s28, v17
	s_mov_b64 s[28:29], 0
                                        ; implicit-def: $vgpr17
	s_and_saveexec_b64 s[30:31], vcc
	s_xor_b64 s[30:31], exec, s[30:31]
	s_cbranch_execz .LBB254_2498
; %bb.505:
	v_bfe_u32 v14, v16, 21, 1
	s_mov_b32 s33, 0x88fffff
	v_add3_u32 v14, v16, v14, s33
	s_mov_b64 s[28:29], exec
	v_lshrrev_b32_e32 v17, 21, v14
	s_andn2_saveexec_b64 s[30:31], s[30:31]
	s_cbranch_execnz .LBB254_2499
.LBB254_506:
	s_or_b64 exec, exec, s[30:31]
	v_mov_b32_e32 v14, 0
	s_and_saveexec_b64 s[30:31], s[28:29]
.LBB254_507:
	v_lshrrev_b32_e32 v14, 24, v16
	s_movk_i32 s28, 0x80
	v_and_or_b32 v14, v14, s28, v17
.LBB254_508:
	s_or_b64 exec, exec, s[30:31]
.LBB254_509:
	s_or_b64 exec, exec, s[26:27]
.LBB254_510:
	s_or_b64 exec, exec, s[24:25]
                                        ; implicit-def: $vgpr16_vgpr17
.LBB254_511:
	s_andn2_saveexec_b64 s[22:23], s[22:23]
	s_cbranch_execz .LBB254_519
; %bb.512:
	s_waitcnt vmcnt(0) lgkmcnt(0)
	flat_load_ushort v14, v[16:17]
	s_mov_b32 s24, 0x47800000
	s_waitcnt vmcnt(0) lgkmcnt(0)
	v_cvt_f32_f16_e32 v16, v14
	v_mov_b32_e32 v14, 0x80
	v_and_b32_e32 v17, 0x7fffffff, v16
	v_cmp_gt_u32_e32 vcc, s24, v17
	s_and_saveexec_b64 s[24:25], vcc
	s_cbranch_execz .LBB254_518
; %bb.513:
	s_mov_b32 s26, 0x37ffffff
	v_cmp_lt_u32_e32 vcc, s26, v17
	s_mov_b64 s[26:27], 0
                                        ; implicit-def: $vgpr17
	s_and_saveexec_b64 s[28:29], vcc
	s_xor_b64 s[28:29], exec, s[28:29]
	s_cbranch_execz .LBB254_2425
; %bb.514:
	v_bfe_u32 v14, v16, 21, 1
	s_mov_b32 s30, 0x88fffff
	v_add3_u32 v14, v16, v14, s30
	s_mov_b64 s[26:27], exec
	v_lshrrev_b32_e32 v17, 21, v14
	s_andn2_saveexec_b64 s[28:29], s[28:29]
	s_cbranch_execnz .LBB254_2426
.LBB254_515:
	s_or_b64 exec, exec, s[28:29]
	v_mov_b32_e32 v14, 0
	s_and_saveexec_b64 s[28:29], s[26:27]
.LBB254_516:
	v_lshrrev_b32_e32 v14, 24, v16
	s_movk_i32 s26, 0x80
	v_and_or_b32 v14, v14, s26, v17
.LBB254_517:
	s_or_b64 exec, exec, s[28:29]
.LBB254_518:
	s_or_b64 exec, exec, s[24:25]
.LBB254_519:
	s_or_b64 exec, exec, s[22:23]
.LBB254_520:
	s_or_b64 exec, exec, s[20:21]
                                        ; implicit-def: $vgpr16_vgpr17
.LBB254_521:
	s_andn2_saveexec_b64 s[16:17], s[16:17]
	s_cbranch_execz .LBB254_569
; %bb.522:
	v_cmp_lt_i16_e32 vcc, 1, v1
                                        ; implicit-def: $vgpr14
	s_and_saveexec_b64 s[20:21], vcc
	s_xor_b64 s[20:21], exec, s[20:21]
	s_cbranch_execz .LBB254_550
; %bb.523:
	v_cmp_lt_i16_e32 vcc, 2, v1
                                        ; implicit-def: $vgpr14
	s_and_saveexec_b64 s[22:23], vcc
	s_xor_b64 s[22:23], exec, s[22:23]
	;; [unrolled: 6-line block ×3, first 2 shown]
	s_cbranch_execz .LBB254_532
; %bb.525:
	flat_load_dwordx2 v[16:17], v[16:17]
	s_mov_b32 s26, 0x47800000
	s_waitcnt vmcnt(0) lgkmcnt(0)
	v_xor_b32_e32 v20, v16, v17
	v_ffbh_i32_e32 v14, v17
	v_ashrrev_i32_e32 v20, 31, v20
	v_add_u32_e32 v14, -1, v14
	v_add_u32_e32 v20, 32, v20
	v_min_u32_e32 v14, v14, v20
	v_lshlrev_b64 v[16:17], v14, v[16:17]
	v_sub_u32_e32 v14, 32, v14
	v_min_u32_e32 v16, 1, v16
	v_or_b32_e32 v16, v17, v16
	v_cvt_f32_i32_e32 v16, v16
	v_ldexp_f32 v16, v16, v14
	v_and_b32_e32 v17, 0x7fffffff, v16
	v_cmp_gt_u32_e32 vcc, s26, v17
	v_mov_b32_e32 v14, 0x80
	s_and_saveexec_b64 s[26:27], vcc
	s_cbranch_execz .LBB254_531
; %bb.526:
	s_mov_b32 s28, 0x37ffffff
	v_cmp_lt_u32_e32 vcc, s28, v17
	s_mov_b64 s[28:29], 0
                                        ; implicit-def: $vgpr17
	s_and_saveexec_b64 s[30:31], vcc
	s_xor_b64 s[30:31], exec, s[30:31]
	s_cbranch_execz .LBB254_2500
; %bb.527:
	v_bfe_u32 v14, v16, 21, 1
	s_mov_b32 s33, 0x88fffff
	v_add3_u32 v14, v16, v14, s33
	s_mov_b64 s[28:29], exec
	v_lshrrev_b32_e32 v17, 21, v14
	s_andn2_saveexec_b64 s[30:31], s[30:31]
	s_cbranch_execnz .LBB254_2501
.LBB254_528:
	s_or_b64 exec, exec, s[30:31]
	v_mov_b32_e32 v14, 0
	s_and_saveexec_b64 s[30:31], s[28:29]
.LBB254_529:
	v_lshrrev_b32_e32 v14, 24, v16
	s_movk_i32 s28, 0x80
	v_and_or_b32 v14, v14, s28, v17
.LBB254_530:
	s_or_b64 exec, exec, s[30:31]
.LBB254_531:
	s_or_b64 exec, exec, s[26:27]
                                        ; implicit-def: $vgpr16_vgpr17
.LBB254_532:
	s_andn2_saveexec_b64 s[24:25], s[24:25]
	s_cbranch_execz .LBB254_540
; %bb.533:
	s_waitcnt vmcnt(0) lgkmcnt(0)
	flat_load_dword v14, v[16:17]
	s_mov_b32 s26, 0x47800000
	s_waitcnt vmcnt(0) lgkmcnt(0)
	v_cvt_f32_i32_e32 v16, v14
	v_mov_b32_e32 v14, 0x80
	v_and_b32_e32 v17, 0x7fffffff, v16
	v_cmp_gt_u32_e32 vcc, s26, v17
	s_and_saveexec_b64 s[26:27], vcc
	s_cbranch_execz .LBB254_539
; %bb.534:
	s_mov_b32 s28, 0x37ffffff
	v_cmp_lt_u32_e32 vcc, s28, v17
	s_mov_b64 s[28:29], 0
                                        ; implicit-def: $vgpr17
	s_and_saveexec_b64 s[30:31], vcc
	s_xor_b64 s[30:31], exec, s[30:31]
	s_cbranch_execz .LBB254_2502
; %bb.535:
	v_bfe_u32 v14, v16, 21, 1
	s_mov_b32 s33, 0x88fffff
	v_add3_u32 v14, v16, v14, s33
	s_mov_b64 s[28:29], exec
	v_lshrrev_b32_e32 v17, 21, v14
	s_andn2_saveexec_b64 s[30:31], s[30:31]
	s_cbranch_execnz .LBB254_2503
.LBB254_536:
	s_or_b64 exec, exec, s[30:31]
	v_mov_b32_e32 v14, 0
	s_and_saveexec_b64 s[30:31], s[28:29]
.LBB254_537:
	v_lshrrev_b32_e32 v14, 24, v16
	s_movk_i32 s28, 0x80
	v_and_or_b32 v14, v14, s28, v17
.LBB254_538:
	s_or_b64 exec, exec, s[30:31]
.LBB254_539:
	s_or_b64 exec, exec, s[26:27]
.LBB254_540:
	s_or_b64 exec, exec, s[24:25]
                                        ; implicit-def: $vgpr16_vgpr17
.LBB254_541:
	s_andn2_saveexec_b64 s[22:23], s[22:23]
	s_cbranch_execz .LBB254_549
; %bb.542:
	s_waitcnt vmcnt(0) lgkmcnt(0)
	flat_load_sshort v14, v[16:17]
	s_mov_b32 s24, 0x47800000
	s_waitcnt vmcnt(0) lgkmcnt(0)
	v_cvt_f32_i32_e32 v16, v14
	v_mov_b32_e32 v14, 0x80
	v_and_b32_e32 v17, 0x7fffffff, v16
	v_cmp_gt_u32_e32 vcc, s24, v17
	s_and_saveexec_b64 s[24:25], vcc
	s_cbranch_execz .LBB254_548
; %bb.543:
	s_mov_b32 s26, 0x37ffffff
	v_cmp_lt_u32_e32 vcc, s26, v17
	s_mov_b64 s[26:27], 0
                                        ; implicit-def: $vgpr17
	s_and_saveexec_b64 s[28:29], vcc
	s_xor_b64 s[28:29], exec, s[28:29]
	s_cbranch_execz .LBB254_2427
; %bb.544:
	v_bfe_u32 v14, v16, 21, 1
	s_mov_b32 s30, 0x88fffff
	v_add3_u32 v14, v16, v14, s30
	s_mov_b64 s[26:27], exec
	v_lshrrev_b32_e32 v17, 21, v14
	s_andn2_saveexec_b64 s[28:29], s[28:29]
	s_cbranch_execnz .LBB254_2428
.LBB254_545:
	s_or_b64 exec, exec, s[28:29]
	v_mov_b32_e32 v14, 0
	s_and_saveexec_b64 s[28:29], s[26:27]
.LBB254_546:
	v_lshrrev_b32_e32 v14, 24, v16
	s_movk_i32 s26, 0x80
	v_and_or_b32 v14, v14, s26, v17
.LBB254_547:
	s_or_b64 exec, exec, s[28:29]
.LBB254_548:
	s_or_b64 exec, exec, s[24:25]
.LBB254_549:
	s_or_b64 exec, exec, s[22:23]
                                        ; implicit-def: $vgpr16_vgpr17
.LBB254_550:
	s_andn2_saveexec_b64 s[20:21], s[20:21]
	s_cbranch_execz .LBB254_568
; %bb.551:
	v_cmp_lt_i16_e32 vcc, 0, v1
                                        ; implicit-def: $vgpr14
	s_and_saveexec_b64 s[22:23], vcc
	s_xor_b64 s[22:23], exec, s[22:23]
	s_cbranch_execz .LBB254_559
; %bb.552:
	s_waitcnt vmcnt(0) lgkmcnt(0)
	flat_load_sbyte v14, v[16:17]
	s_mov_b32 s24, 0x47800000
	s_waitcnt vmcnt(0) lgkmcnt(0)
	v_cvt_f32_i32_e32 v16, v14
	v_mov_b32_e32 v14, 0x80
	v_and_b32_e32 v17, 0x7fffffff, v16
	v_cmp_gt_u32_e32 vcc, s24, v17
	s_and_saveexec_b64 s[24:25], vcc
	s_cbranch_execz .LBB254_558
; %bb.553:
	s_mov_b32 s26, 0x37ffffff
	v_cmp_lt_u32_e32 vcc, s26, v17
	s_mov_b64 s[26:27], 0
                                        ; implicit-def: $vgpr17
	s_and_saveexec_b64 s[28:29], vcc
	s_xor_b64 s[28:29], exec, s[28:29]
	s_cbranch_execz .LBB254_2429
; %bb.554:
	v_bfe_u32 v14, v16, 21, 1
	s_mov_b32 s30, 0x88fffff
	v_add3_u32 v14, v16, v14, s30
	s_mov_b64 s[26:27], exec
	v_lshrrev_b32_e32 v17, 21, v14
	s_andn2_saveexec_b64 s[28:29], s[28:29]
	s_cbranch_execnz .LBB254_2430
.LBB254_555:
	s_or_b64 exec, exec, s[28:29]
	v_mov_b32_e32 v14, 0
	s_and_saveexec_b64 s[28:29], s[26:27]
.LBB254_556:
	v_lshrrev_b32_e32 v14, 24, v16
	s_movk_i32 s26, 0x80
	v_and_or_b32 v14, v14, s26, v17
.LBB254_557:
	s_or_b64 exec, exec, s[28:29]
.LBB254_558:
	s_or_b64 exec, exec, s[24:25]
                                        ; implicit-def: $vgpr16_vgpr17
.LBB254_559:
	s_andn2_saveexec_b64 s[22:23], s[22:23]
	s_cbranch_execz .LBB254_567
; %bb.560:
	s_waitcnt vmcnt(0) lgkmcnt(0)
	flat_load_ubyte v14, v[16:17]
	s_mov_b32 s24, 0x47800000
	s_waitcnt vmcnt(0) lgkmcnt(0)
	v_cvt_f32_ubyte0_e32 v17, v14
	v_cmp_gt_u32_e32 vcc, s24, v17
	v_mov_b32_e32 v14, 0x80
	s_and_saveexec_b64 s[24:25], vcc
	s_cbranch_execz .LBB254_566
; %bb.561:
	s_mov_b32 s26, 0x37ffffff
	v_cmp_lt_u32_e32 vcc, s26, v17
	s_mov_b64 s[26:27], 0
                                        ; implicit-def: $vgpr16
	s_and_saveexec_b64 s[28:29], vcc
	s_xor_b64 s[28:29], exec, s[28:29]
	s_cbranch_execz .LBB254_2431
; %bb.562:
	v_bfe_u32 v14, v17, 21, 1
	s_mov_b32 s30, 0x88fffff
	v_add3_u32 v14, v17, v14, s30
	s_mov_b64 s[26:27], exec
	v_lshrrev_b32_e32 v16, 21, v14
                                        ; implicit-def: $vgpr17
	s_andn2_saveexec_b64 s[28:29], s[28:29]
	s_cbranch_execnz .LBB254_2432
.LBB254_563:
	s_or_b64 exec, exec, s[28:29]
	v_mov_b32_e32 v14, 0
	s_and_saveexec_b64 s[28:29], s[26:27]
.LBB254_564:
	v_mov_b32_e32 v14, v16
.LBB254_565:
	s_or_b64 exec, exec, s[28:29]
.LBB254_566:
	s_or_b64 exec, exec, s[24:25]
.LBB254_567:
	s_or_b64 exec, exec, s[22:23]
.LBB254_568:
	s_or_b64 exec, exec, s[20:21]
.LBB254_569:
	s_or_b64 exec, exec, s[16:17]
	s_or_b64 s[18:19], s[18:19], exec
.LBB254_570:
	s_or_b64 exec, exec, s[4:5]
	s_mov_b64 s[4:5], 0
	s_mov_b64 s[20:21], 0
                                        ; implicit-def: $sgpr48_sgpr49
                                        ; implicit-def: $vgpr21_vgpr22
                                        ; implicit-def: $vgpr16
	s_and_saveexec_b64 s[16:17], s[18:19]
	s_cbranch_execz .LBB254_2124
; %bb.571:
	v_cmp_ne_u32_e32 vcc, 0, v10
                                        ; implicit-def: $sgpr22_sgpr23
	s_and_saveexec_b64 s[4:5], vcc
	s_xor_b64 s[18:19], exec, s[4:5]
	s_cbranch_execz .LBB254_585
; %bb.572:
	s_movk_i32 s4, 0x7f
	s_waitcnt lgkmcnt(0)
	v_cmp_gt_i16_sdwa s[20:21], v12, s4 src0_sel:BYTE_0 src1_sel:DWORD
	s_mov_b64 s[4:5], 0
	s_and_saveexec_b64 s[22:23], s[20:21]
	s_xor_b64 s[20:21], exec, s[22:23]
	s_cbranch_execz .LBB254_2247
; %bb.573:
	s_movk_i32 s4, 0x80
	v_cmp_eq_u16_sdwa s[24:25], v12, s4 src0_sel:BYTE_0 src1_sel:DWORD
	s_mov_b64 s[4:5], -1
	s_and_saveexec_b64 s[22:23], s[24:25]
; %bb.574:
	s_xor_b64 s[4:5], exec, -1
; %bb.575:
	s_or_b64 exec, exec, s[22:23]
	s_and_b64 s[4:5], s[4:5], exec
	s_or_saveexec_b64 s[20:21], s[20:21]
	v_mov_b32_e32 v10, 0x7f800001
	s_xor_b64 exec, exec, s[20:21]
	s_cbranch_execnz .LBB254_2248
.LBB254_576:
	s_or_b64 exec, exec, s[20:21]
	s_and_saveexec_b64 s[20:21], s[4:5]
	s_cbranch_execz .LBB254_578
.LBB254_577:
	v_and_b32_e32 v16, 3, v12
	v_ffbh_u32_e32 v17, v16
	v_min_u32_e32 v17, 32, v17
	v_lshrrev_b16_e32 v10, 2, v12
	v_subrev_u32_e32 v20, 29, v17
	v_and_b32_e32 v10, 31, v10
	v_lshlrev_b32_e32 v20, v20, v12
	v_sub_u32_e32 v17, 30, v17
	v_and_b32_e32 v20, 3, v20
	v_cmp_eq_u32_e64 s[4:5], 0, v10
	v_cndmask_b32_e64 v10, v10, v17, s[4:5]
	v_cndmask_b32_e64 v16, v16, v20, s[4:5]
	v_lshlrev_b32_e32 v12, 24, v12
	v_mov_b32_e32 v17, 0x37800000
	v_lshlrev_b32_e32 v16, 21, v16
	v_and_b32_e32 v12, 0x80000000, v12
	v_lshl_add_u32 v10, v10, 23, v17
	v_or3_b32 v10, v12, v10, v16
.LBB254_578:
	s_or_b64 exec, exec, s[20:21]
	s_movk_i32 s4, 0x7f
	s_waitcnt vmcnt(0)
	v_cmp_gt_i16_sdwa s[20:21], v14, s4 src0_sel:BYTE_0 src1_sel:DWORD
	s_mov_b64 s[4:5], 0
	s_and_saveexec_b64 s[22:23], s[20:21]
	s_xor_b64 s[20:21], exec, s[22:23]
	s_cbranch_execz .LBB254_2249
; %bb.579:
	s_movk_i32 s4, 0x80
	v_cmp_eq_u16_sdwa s[24:25], v14, s4 src0_sel:BYTE_0 src1_sel:DWORD
	s_mov_b64 s[4:5], -1
	s_and_saveexec_b64 s[22:23], s[24:25]
; %bb.580:
	s_xor_b64 s[4:5], exec, -1
; %bb.581:
	s_or_b64 exec, exec, s[22:23]
	s_and_b64 s[4:5], s[4:5], exec
	s_or_saveexec_b64 s[20:21], s[20:21]
	v_mov_b32_e32 v12, 0x7f800001
	s_xor_b64 exec, exec, s[20:21]
	s_cbranch_execnz .LBB254_2250
.LBB254_582:
	s_or_b64 exec, exec, s[20:21]
	s_and_saveexec_b64 s[20:21], s[4:5]
	s_cbranch_execz .LBB254_584
.LBB254_583:
	v_and_b32_e32 v16, 3, v14
	v_ffbh_u32_e32 v17, v16
	v_min_u32_e32 v17, 32, v17
	v_lshrrev_b16_e32 v12, 2, v14
	v_subrev_u32_e32 v20, 29, v17
	v_and_b32_e32 v12, 31, v12
	v_lshlrev_b32_e32 v20, v20, v14
	v_sub_u32_e32 v17, 30, v17
	v_and_b32_e32 v20, 3, v20
	v_cmp_eq_u32_e64 s[4:5], 0, v12
	v_cndmask_b32_e64 v12, v12, v17, s[4:5]
	v_cndmask_b32_e64 v16, v16, v20, s[4:5]
	v_lshlrev_b32_e32 v14, 24, v14
	v_mov_b32_e32 v17, 0x37800000
	v_lshlrev_b32_e32 v16, 21, v16
	v_and_b32_e32 v14, 0x80000000, v14
	v_lshl_add_u32 v12, v12, 23, v17
	v_or3_b32 v12, v14, v12, v16
.LBB254_584:
	s_or_b64 exec, exec, s[20:21]
	v_cmp_neq_f32_e64 s[22:23], v10, v12
                                        ; implicit-def: $vgpr14
                                        ; implicit-def: $vgpr12
.LBB254_585:
	s_andn2_saveexec_b64 s[18:19], s[18:19]
	s_cbranch_execz .LBB254_599
; %bb.586:
	s_movk_i32 s4, 0x7f
	s_waitcnt lgkmcnt(0)
	v_cmp_gt_i16_sdwa s[20:21], v12, s4 src0_sel:BYTE_0 src1_sel:DWORD
	s_mov_b64 s[4:5], 0
	s_and_saveexec_b64 s[24:25], s[20:21]
	s_xor_b64 s[20:21], exec, s[24:25]
	s_cbranch_execz .LBB254_2251
; %bb.587:
	s_movk_i32 s4, 0x80
	v_cmp_eq_u16_sdwa s[26:27], v12, s4 src0_sel:BYTE_0 src1_sel:DWORD
	s_mov_b64 s[4:5], -1
	s_and_saveexec_b64 s[24:25], s[26:27]
; %bb.588:
	s_xor_b64 s[4:5], exec, -1
; %bb.589:
	s_or_b64 exec, exec, s[24:25]
	s_and_b64 s[4:5], s[4:5], exec
	s_or_saveexec_b64 s[20:21], s[20:21]
	v_mov_b32_e32 v10, 0x7f800001
	s_xor_b64 exec, exec, s[20:21]
	s_cbranch_execnz .LBB254_2252
.LBB254_590:
	s_or_b64 exec, exec, s[20:21]
	s_and_saveexec_b64 s[20:21], s[4:5]
	s_cbranch_execz .LBB254_592
.LBB254_591:
	v_and_b32_e32 v16, 3, v12
	v_ffbh_u32_e32 v17, v16
	v_min_u32_e32 v17, 32, v17
	v_lshrrev_b16_e32 v10, 2, v12
	v_subrev_u32_e32 v20, 29, v17
	v_and_b32_e32 v10, 31, v10
	v_lshlrev_b32_e32 v20, v20, v12
	v_sub_u32_e32 v17, 30, v17
	v_and_b32_e32 v20, 3, v20
	v_cmp_eq_u32_e64 s[4:5], 0, v10
	v_cndmask_b32_e64 v10, v10, v17, s[4:5]
	v_cndmask_b32_e64 v16, v16, v20, s[4:5]
	v_lshlrev_b32_e32 v12, 24, v12
	v_mov_b32_e32 v17, 0x37800000
	v_lshlrev_b32_e32 v16, 21, v16
	v_and_b32_e32 v12, 0x80000000, v12
	v_lshl_add_u32 v10, v10, 23, v17
	v_or3_b32 v10, v12, v10, v16
.LBB254_592:
	s_or_b64 exec, exec, s[20:21]
	s_movk_i32 s4, 0x7f
	s_waitcnt vmcnt(0)
	v_cmp_gt_i16_sdwa s[20:21], v14, s4 src0_sel:BYTE_0 src1_sel:DWORD
	s_mov_b64 s[4:5], 0
	s_and_saveexec_b64 s[24:25], s[20:21]
	s_xor_b64 s[20:21], exec, s[24:25]
	s_cbranch_execz .LBB254_2253
; %bb.593:
	s_movk_i32 s4, 0x80
	v_cmp_eq_u16_sdwa s[26:27], v14, s4 src0_sel:BYTE_0 src1_sel:DWORD
	s_mov_b64 s[4:5], -1
	s_and_saveexec_b64 s[24:25], s[26:27]
; %bb.594:
	s_xor_b64 s[4:5], exec, -1
; %bb.595:
	s_or_b64 exec, exec, s[24:25]
	s_and_b64 s[4:5], s[4:5], exec
	s_or_saveexec_b64 s[20:21], s[20:21]
	v_mov_b32_e32 v12, 0x7f800001
	s_xor_b64 exec, exec, s[20:21]
	s_cbranch_execnz .LBB254_2254
.LBB254_596:
	s_or_b64 exec, exec, s[20:21]
	s_and_saveexec_b64 s[20:21], s[4:5]
	s_cbranch_execz .LBB254_598
.LBB254_597:
	v_and_b32_e32 v16, 3, v14
	v_ffbh_u32_e32 v17, v16
	v_min_u32_e32 v17, 32, v17
	v_lshrrev_b16_e32 v12, 2, v14
	v_subrev_u32_e32 v20, 29, v17
	v_and_b32_e32 v12, 31, v12
	v_lshlrev_b32_e32 v20, v20, v14
	v_sub_u32_e32 v17, 30, v17
	v_and_b32_e32 v20, 3, v20
	v_cmp_eq_u32_e64 s[4:5], 0, v12
	v_cndmask_b32_e64 v12, v12, v17, s[4:5]
	v_cndmask_b32_e64 v16, v16, v20, s[4:5]
	v_lshlrev_b32_e32 v14, 24, v14
	v_mov_b32_e32 v17, 0x37800000
	v_lshlrev_b32_e32 v16, 21, v16
	v_and_b32_e32 v14, 0x80000000, v14
	v_lshl_add_u32 v12, v12, 23, v17
	v_or3_b32 v12, v14, v12, v16
.LBB254_598:
	s_or_b64 exec, exec, s[20:21]
	v_cmp_eq_f32_e64 s[4:5], v10, v12
	s_andn2_b64 s[20:21], s[22:23], exec
	s_and_b64 s[4:5], s[4:5], exec
	s_or_b64 s[22:23], s[20:21], s[4:5]
.LBB254_599:
	s_or_b64 exec, exec, s[18:19]
	v_add_co_u32_e64 v16, s[4:5], v8, v18
	v_addc_co_u32_e64 v17, s[4:5], 0, v25, s[4:5]
	v_cmp_lt_i16_e64 s[4:5], 10, v3
	s_mov_b64 s[24:25], 0
	s_mov_b64 s[18:19], s[14:15]
                                        ; implicit-def: $vgpr10
	s_and_saveexec_b64 s[20:21], s[4:5]
	s_xor_b64 s[20:21], exec, s[20:21]
	s_cbranch_execz .LBB254_680
; %bb.600:
	v_cmp_lt_i16_e64 s[4:5], 25, v3
	s_mov_b64 s[18:19], 0
	s_mov_b64 s[28:29], 0
	;; [unrolled: 1-line block ×3, first 2 shown]
                                        ; implicit-def: $vgpr10
	s_and_saveexec_b64 s[24:25], s[4:5]
	s_xor_b64 s[24:25], exec, s[24:25]
	s_cbranch_execz .LBB254_2255
; %bb.601:
	v_cmp_lt_i16_e64 s[4:5], 28, v3
	s_mov_b64 s[30:31], 0
                                        ; implicit-def: $vgpr10
	s_and_saveexec_b64 s[26:27], s[4:5]
	s_xor_b64 s[26:27], exec, s[26:27]
	s_cbranch_execz .LBB254_635
; %bb.602:
	v_cmp_lt_i16_e64 s[4:5], 43, v3
	s_mov_b64 s[34:35], 0
	s_mov_b64 s[36:37], 0
                                        ; implicit-def: $vgpr10
	s_and_saveexec_b64 s[28:29], s[4:5]
	s_xor_b64 s[28:29], exec, s[28:29]
	s_cbranch_execz .LBB254_624
; %bb.603:
	v_cmp_lt_i16_e64 s[4:5], 45, v3
                                        ; implicit-def: $vgpr10
	s_and_saveexec_b64 s[36:37], s[4:5]
	s_xor_b64 s[36:37], exec, s[36:37]
	s_cbranch_execz .LBB254_613
; %bb.604:
	v_cmp_eq_u16_e64 s[4:5], 46, v3
	s_mov_b64 s[38:39], -1
                                        ; implicit-def: $vgpr10
	s_and_saveexec_b64 s[30:31], s[4:5]
	s_cbranch_execz .LBB254_612
; %bb.605:
	flat_load_dword v10, v[16:17]
	s_mov_b32 s4, 0x47800000
	s_waitcnt vmcnt(0) lgkmcnt(0)
	v_lshlrev_b32_e32 v12, 16, v10
	v_and_b32_e32 v14, 0x7fffffff, v12
	v_cmp_gt_u32_e64 s[4:5], s4, v14
	v_mov_b32_e32 v10, 0x80
	s_and_saveexec_b64 s[34:35], s[4:5]
	s_cbranch_execz .LBB254_611
; %bb.606:
	s_mov_b32 s4, 0x37ffffff
	v_cmp_lt_u32_e64 s[4:5], s4, v14
	s_mov_b64 s[38:39], 0
                                        ; implicit-def: $vgpr14
	s_and_saveexec_b64 s[40:41], s[4:5]
	s_xor_b64 s[4:5], exec, s[40:41]
	s_cbranch_execz .LBB254_2656
; %bb.607:
	v_bfe_u32 v10, v12, 21, 1
	s_mov_b32 s33, 0x88fffff
	v_add3_u32 v10, v12, v10, s33
	s_mov_b64 s[38:39], exec
	v_lshrrev_b32_e32 v14, 21, v10
	s_andn2_saveexec_b64 s[40:41], s[4:5]
	s_cbranch_execnz .LBB254_2657
.LBB254_608:
	s_or_b64 exec, exec, s[40:41]
	v_mov_b32_e32 v10, 0
	s_and_saveexec_b64 s[4:5], s[38:39]
.LBB254_609:
	v_lshrrev_b32_e32 v10, 24, v12
	s_movk_i32 s33, 0x80
	v_and_or_b32 v10, v10, s33, v14
.LBB254_610:
	s_or_b64 exec, exec, s[4:5]
.LBB254_611:
	s_or_b64 exec, exec, s[34:35]
	s_mov_b64 s[34:35], exec
	s_xor_b64 s[38:39], exec, -1
.LBB254_612:
	s_or_b64 exec, exec, s[30:31]
	s_and_b64 s[34:35], s[34:35], exec
	s_and_b64 s[30:31], s[38:39], exec
.LBB254_613:
	s_andn2_saveexec_b64 s[36:37], s[36:37]
	s_cbranch_execz .LBB254_623
; %bb.614:
	v_cmp_eq_u16_e64 s[4:5], 44, v3
	s_mov_b64 s[40:41], -1
	s_mov_b64 s[42:43], s[34:35]
                                        ; implicit-def: $vgpr10
	s_and_saveexec_b64 s[38:39], s[4:5]
	s_cbranch_execz .LBB254_622
; %bb.615:
	flat_load_ubyte v10, v[16:17]
	s_movk_i32 s4, 0xff
	s_waitcnt lgkmcnt(0)
	v_mov_b32_e32 v12, 0x7f800001
	s_waitcnt vmcnt(0)
	v_mov_b32_e32 v14, 0x400000
	s_mov_b32 s33, 0x47800000
	v_lshlrev_b32_e32 v18, 23, v10
	v_cmp_ne_u32_e64 s[4:5], s4, v10
	v_cndmask_b32_e64 v12, v12, v18, s[4:5]
	v_cmp_ne_u32_e64 s[4:5], 0, v10
	v_cndmask_b32_e64 v14, v14, v12, s[4:5]
	v_cmp_gt_u32_e64 s[4:5], s33, v14
	v_mov_b32_e32 v10, 0x80
	s_and_saveexec_b64 s[40:41], s[4:5]
	s_cbranch_execz .LBB254_621
; %bb.616:
	s_mov_b32 s4, 0x37ffffff
	v_cmp_lt_u32_e64 s[4:5], s4, v14
	s_mov_b64 s[42:43], 0
                                        ; implicit-def: $vgpr12
	s_and_saveexec_b64 s[44:45], s[4:5]
	s_xor_b64 s[4:5], exec, s[44:45]
	s_cbranch_execz .LBB254_2658
; %bb.617:
	v_bfe_u32 v10, v14, 21, 1
	s_mov_b32 s33, 0x88fffff
	v_add3_u32 v10, v14, v10, s33
	s_mov_b64 s[42:43], exec
	v_lshrrev_b32_e32 v12, 21, v10
                                        ; implicit-def: $vgpr14
	s_andn2_saveexec_b64 s[44:45], s[4:5]
	s_cbranch_execnz .LBB254_2659
.LBB254_618:
	s_or_b64 exec, exec, s[44:45]
	v_mov_b32_e32 v10, 0
	s_and_saveexec_b64 s[4:5], s[42:43]
.LBB254_619:
	v_mov_b32_e32 v10, v12
.LBB254_620:
	s_or_b64 exec, exec, s[4:5]
.LBB254_621:
	s_or_b64 exec, exec, s[40:41]
	s_or_b64 s[42:43], s[34:35], exec
	s_xor_b64 s[40:41], exec, -1
.LBB254_622:
	s_or_b64 exec, exec, s[38:39]
	s_andn2_b64 s[4:5], s[34:35], exec
	s_and_b64 s[34:35], s[42:43], exec
	s_or_b64 s[34:35], s[4:5], s[34:35]
	s_andn2_b64 s[4:5], s[30:31], exec
	s_and_b64 s[30:31], s[40:41], exec
	s_or_b64 s[30:31], s[4:5], s[30:31]
.LBB254_623:
	s_or_b64 exec, exec, s[36:37]
	s_and_b64 s[36:37], s[34:35], exec
	s_and_b64 s[34:35], s[30:31], exec
.LBB254_624:
	s_andn2_saveexec_b64 s[28:29], s[28:29]
	s_cbranch_execz .LBB254_634
; %bb.625:
	v_cmp_eq_u16_e64 s[4:5], 29, v3
	s_mov_b64 s[38:39], -1
	s_mov_b64 s[40:41], s[36:37]
                                        ; implicit-def: $vgpr10
	s_and_saveexec_b64 s[30:31], s[4:5]
	s_cbranch_execz .LBB254_633
; %bb.626:
	flat_load_dwordx2 v[20:21], v[16:17]
	s_mov_b32 s4, 0x47800000
	s_waitcnt vmcnt(0) lgkmcnt(0)
	v_ffbh_u32_e32 v10, v21
	v_min_u32_e32 v10, 32, v10
	v_lshlrev_b64 v[20:21], v10, v[20:21]
	v_sub_u32_e32 v10, 32, v10
	v_min_u32_e32 v12, 1, v20
	v_or_b32_e32 v12, v21, v12
	v_cvt_f32_u32_e32 v12, v12
	v_ldexp_f32 v14, v12, v10
	v_cmp_gt_u32_e64 s[4:5], s4, v14
	v_mov_b32_e32 v10, 0x80
	s_and_saveexec_b64 s[38:39], s[4:5]
	s_cbranch_execz .LBB254_632
; %bb.627:
	s_mov_b32 s4, 0x37ffffff
	v_cmp_lt_u32_e64 s[4:5], s4, v14
	s_mov_b64 s[40:41], 0
                                        ; implicit-def: $vgpr12
	s_and_saveexec_b64 s[42:43], s[4:5]
	s_xor_b64 s[4:5], exec, s[42:43]
	s_cbranch_execz .LBB254_2577
; %bb.628:
	v_bfe_u32 v10, v14, 21, 1
	s_mov_b32 s33, 0x88fffff
	v_add3_u32 v10, v14, v10, s33
	s_mov_b64 s[40:41], exec
	v_lshrrev_b32_e32 v12, 21, v10
                                        ; implicit-def: $vgpr14
	s_andn2_saveexec_b64 s[42:43], s[4:5]
	s_cbranch_execnz .LBB254_2578
.LBB254_629:
	s_or_b64 exec, exec, s[42:43]
	v_mov_b32_e32 v10, 0
	s_and_saveexec_b64 s[4:5], s[40:41]
.LBB254_630:
	v_mov_b32_e32 v10, v12
.LBB254_631:
	s_or_b64 exec, exec, s[4:5]
.LBB254_632:
	s_or_b64 exec, exec, s[38:39]
	s_or_b64 s[40:41], s[36:37], exec
	s_xor_b64 s[38:39], exec, -1
.LBB254_633:
	s_or_b64 exec, exec, s[30:31]
	s_andn2_b64 s[4:5], s[36:37], exec
	s_and_b64 s[30:31], s[40:41], exec
	s_or_b64 s[36:37], s[4:5], s[30:31]
	s_andn2_b64 s[4:5], s[34:35], exec
	s_and_b64 s[30:31], s[38:39], exec
	s_or_b64 s[34:35], s[4:5], s[30:31]
.LBB254_634:
	s_or_b64 exec, exec, s[28:29]
	s_and_b64 s[30:31], s[36:37], exec
	s_and_b64 s[28:29], s[34:35], exec
.LBB254_635:
	s_andn2_saveexec_b64 s[26:27], s[26:27]
	s_cbranch_execz .LBB254_669
; %bb.636:
	v_cmp_lt_i16_e64 s[4:5], 26, v3
                                        ; implicit-def: $vgpr10
	s_and_saveexec_b64 s[34:35], s[4:5]
	s_xor_b64 s[34:35], exec, s[34:35]
	s_cbranch_execz .LBB254_654
; %bb.637:
	v_cmp_lt_i16_e64 s[4:5], 27, v3
                                        ; implicit-def: $vgpr10
	s_and_saveexec_b64 s[36:37], s[4:5]
	s_xor_b64 s[36:37], exec, s[36:37]
	s_cbranch_execz .LBB254_645
; %bb.638:
	flat_load_dword v10, v[16:17]
	s_mov_b32 s4, 0x47800000
	s_waitcnt vmcnt(0) lgkmcnt(0)
	v_cvt_f32_u32_e32 v14, v10
	v_mov_b32_e32 v10, 0x80
	v_cmp_gt_u32_e64 s[4:5], s4, v14
	s_and_saveexec_b64 s[38:39], s[4:5]
	s_cbranch_execz .LBB254_644
; %bb.639:
	s_mov_b32 s4, 0x37ffffff
	v_cmp_lt_u32_e64 s[4:5], s4, v14
	s_mov_b64 s[40:41], 0
                                        ; implicit-def: $vgpr12
	s_and_saveexec_b64 s[42:43], s[4:5]
	s_xor_b64 s[4:5], exec, s[42:43]
	s_cbranch_execz .LBB254_2579
; %bb.640:
	v_bfe_u32 v10, v14, 21, 1
	s_mov_b32 s33, 0x88fffff
	v_add3_u32 v10, v14, v10, s33
	s_mov_b64 s[40:41], exec
	v_lshrrev_b32_e32 v12, 21, v10
                                        ; implicit-def: $vgpr14
	s_andn2_saveexec_b64 s[42:43], s[4:5]
	s_cbranch_execnz .LBB254_2580
.LBB254_641:
	s_or_b64 exec, exec, s[42:43]
	v_mov_b32_e32 v10, 0
	s_and_saveexec_b64 s[4:5], s[40:41]
.LBB254_642:
	v_mov_b32_e32 v10, v12
.LBB254_643:
	s_or_b64 exec, exec, s[4:5]
.LBB254_644:
	s_or_b64 exec, exec, s[38:39]
.LBB254_645:
	s_andn2_saveexec_b64 s[36:37], s[36:37]
	s_cbranch_execz .LBB254_653
; %bb.646:
	flat_load_ushort v10, v[16:17]
	s_mov_b32 s4, 0x47800000
	s_waitcnt vmcnt(0) lgkmcnt(0)
	v_cvt_f32_u32_e32 v14, v10
	v_mov_b32_e32 v10, 0x80
	v_cmp_gt_u32_e64 s[4:5], s4, v14
	s_and_saveexec_b64 s[38:39], s[4:5]
	s_cbranch_execz .LBB254_652
; %bb.647:
	s_mov_b32 s4, 0x37ffffff
	v_cmp_lt_u32_e64 s[4:5], s4, v14
	s_mov_b64 s[40:41], 0
                                        ; implicit-def: $vgpr12
	s_and_saveexec_b64 s[42:43], s[4:5]
	s_xor_b64 s[4:5], exec, s[42:43]
	s_cbranch_execz .LBB254_2581
; %bb.648:
	v_bfe_u32 v10, v14, 21, 1
	s_mov_b32 s33, 0x88fffff
	v_add3_u32 v10, v14, v10, s33
	s_mov_b64 s[40:41], exec
	v_lshrrev_b32_e32 v12, 21, v10
                                        ; implicit-def: $vgpr14
	s_andn2_saveexec_b64 s[42:43], s[4:5]
	s_cbranch_execnz .LBB254_2582
.LBB254_649:
	s_or_b64 exec, exec, s[42:43]
	v_mov_b32_e32 v10, 0
	s_and_saveexec_b64 s[4:5], s[40:41]
.LBB254_650:
	v_mov_b32_e32 v10, v12
.LBB254_651:
	s_or_b64 exec, exec, s[4:5]
.LBB254_652:
	s_or_b64 exec, exec, s[38:39]
.LBB254_653:
	s_or_b64 exec, exec, s[36:37]
.LBB254_654:
	s_andn2_saveexec_b64 s[34:35], s[34:35]
	s_cbranch_execz .LBB254_668
; %bb.655:
	flat_load_ubyte v10, v[16:17]
	s_movk_i32 s4, 0x7f
	s_mov_b64 s[36:37], 0
	s_waitcnt vmcnt(0) lgkmcnt(0)
	v_cmp_lt_i16_e64 s[4:5], s4, v10
	s_and_saveexec_b64 s[38:39], s[4:5]
	s_xor_b64 s[38:39], exec, s[38:39]
	s_cbranch_execz .LBB254_2433
; %bb.656:
	s_movk_i32 s4, 0x80
	v_cmp_eq_u16_e64 s[4:5], s4, v10
	s_mov_b64 s[36:37], -1
	s_and_saveexec_b64 s[40:41], s[4:5]
; %bb.657:
	s_xor_b64 s[36:37], exec, -1
; %bb.658:
	s_or_b64 exec, exec, s[40:41]
	s_and_b64 s[36:37], s[36:37], exec
	s_or_saveexec_b64 s[38:39], s[38:39]
	v_mov_b32_e32 v12, 0x7f800001
	s_xor_b64 exec, exec, s[38:39]
	s_cbranch_execnz .LBB254_2434
.LBB254_659:
	s_or_b64 exec, exec, s[38:39]
	s_and_saveexec_b64 s[38:39], s[36:37]
	s_cbranch_execz .LBB254_661
.LBB254_660:
	v_lshlrev_b32_e32 v12, 24, v10
	v_and_b32_e32 v10, 0xffff, v10
	v_and_b32_e32 v14, 7, v10
	v_ffbh_u32_e32 v20, v14
	v_min_u32_e32 v20, 32, v20
	v_subrev_u32_e32 v21, 28, v20
	v_bfe_u32 v18, v10, 3, 4
	v_lshlrev_b32_e32 v10, v21, v10
	v_sub_u32_e32 v20, 29, v20
	v_and_b32_e32 v10, 7, v10
	v_cmp_eq_u32_e64 s[4:5], 0, v18
	v_cndmask_b32_e64 v18, v18, v20, s[4:5]
	v_cndmask_b32_e64 v10, v14, v10, s[4:5]
	v_mov_b32_e32 v14, 0x3b800000
	v_lshlrev_b32_e32 v10, 20, v10
	v_and_b32_e32 v12, 0x80000000, v12
	v_lshl_add_u32 v14, v18, 23, v14
	v_or3_b32 v12, v12, v14, v10
.LBB254_661:
	s_or_b64 exec, exec, s[38:39]
	v_and_b32_e32 v14, 0x7fffffff, v12
	s_mov_b32 s4, 0x47800000
	v_cmp_gt_u32_e64 s[4:5], s4, v14
	v_mov_b32_e32 v10, 0x80
	s_and_saveexec_b64 s[36:37], s[4:5]
	s_cbranch_execz .LBB254_667
; %bb.662:
	s_mov_b32 s4, 0x37ffffff
	v_cmp_lt_u32_e64 s[4:5], s4, v14
	s_mov_b64 s[38:39], 0
                                        ; implicit-def: $vgpr14
	s_and_saveexec_b64 s[40:41], s[4:5]
	s_xor_b64 s[4:5], exec, s[40:41]
	s_cbranch_execz .LBB254_2504
; %bb.663:
	v_bfe_u32 v10, v12, 21, 1
	s_mov_b32 s33, 0x88fffff
	v_add3_u32 v10, v12, v10, s33
	s_mov_b64 s[38:39], exec
	v_lshrrev_b32_e32 v14, 21, v10
	s_andn2_saveexec_b64 s[40:41], s[4:5]
	s_cbranch_execnz .LBB254_2505
.LBB254_664:
	s_or_b64 exec, exec, s[40:41]
	v_mov_b32_e32 v10, 0
	s_and_saveexec_b64 s[4:5], s[38:39]
.LBB254_665:
	v_lshrrev_b32_e32 v10, 24, v12
	s_movk_i32 s33, 0x80
	v_and_or_b32 v10, v10, s33, v14
.LBB254_666:
	s_or_b64 exec, exec, s[4:5]
.LBB254_667:
	s_or_b64 exec, exec, s[36:37]
.LBB254_668:
	s_or_b64 exec, exec, s[34:35]
	s_or_b64 s[30:31], s[30:31], exec
.LBB254_669:
	s_or_b64 exec, exec, s[26:27]
	s_and_b64 s[26:27], s[30:31], exec
	s_and_b64 s[28:29], s[28:29], exec
	s_andn2_saveexec_b64 s[24:25], s[24:25]
	s_cbranch_execnz .LBB254_2256
.LBB254_670:
	s_or_b64 exec, exec, s[24:25]
	s_mov_b64 s[24:25], s[14:15]
	s_and_saveexec_b64 s[4:5], s[28:29]
	s_cbranch_execnz .LBB254_2293
.LBB254_671:
	s_or_b64 exec, exec, s[4:5]
	s_and_saveexec_b64 s[4:5], s[18:19]
	s_xor_b64 s[18:19], exec, s[4:5]
	s_cbranch_execz .LBB254_679
.LBB254_672:
	s_waitcnt vmcnt(0) lgkmcnt(0)
	flat_load_ubyte v10, v[16:17]
	s_mov_b32 s28, 0x47800000
	s_waitcnt vmcnt(0) lgkmcnt(0)
	v_cmp_ne_u16_e64 s[4:5], 0, v10
	v_cndmask_b32_e64 v14, 0, 1.0, s[4:5]
	v_cmp_gt_u32_e64 s[4:5], s28, v14
	v_mov_b32_e32 v10, 0x80
	s_and_saveexec_b64 s[28:29], s[4:5]
	s_cbranch_execz .LBB254_678
; %bb.673:
	s_mov_b32 s4, 0x37ffffff
	v_cmp_lt_u32_e64 s[4:5], s4, v14
	s_mov_b64 s[30:31], 0
                                        ; implicit-def: $vgpr12
	s_and_saveexec_b64 s[34:35], s[4:5]
	s_xor_b64 s[4:5], exec, s[34:35]
	s_cbranch_execz .LBB254_2352
; %bb.674:
	v_bfe_u32 v10, v14, 21, 1
	s_mov_b32 s33, 0x88fffff
	v_add3_u32 v10, v14, v10, s33
	s_mov_b64 s[30:31], exec
	v_lshrrev_b32_e32 v12, 21, v10
                                        ; implicit-def: $vgpr14
	s_andn2_saveexec_b64 s[34:35], s[4:5]
	s_cbranch_execnz .LBB254_2353
.LBB254_675:
	s_or_b64 exec, exec, s[34:35]
	v_mov_b32_e32 v10, 0
	s_and_saveexec_b64 s[4:5], s[30:31]
.LBB254_676:
	v_mov_b32_e32 v10, v12
.LBB254_677:
	s_or_b64 exec, exec, s[4:5]
.LBB254_678:
	s_or_b64 exec, exec, s[28:29]
	s_or_b64 s[26:27], s[26:27], exec
.LBB254_679:
	s_or_b64 exec, exec, s[18:19]
	s_andn2_b64 s[4:5], s[14:15], exec
	s_and_b64 s[18:19], s[24:25], exec
	s_or_b64 s[18:19], s[4:5], s[18:19]
	s_and_b64 s[24:25], s[26:27], exec
                                        ; implicit-def: $vgpr16_vgpr17
.LBB254_680:
	s_andn2_saveexec_b64 s[20:21], s[20:21]
	s_cbranch_execz .LBB254_788
; %bb.681:
	v_cmp_lt_i16_e64 s[4:5], 4, v3
                                        ; implicit-def: $vgpr10
	s_and_saveexec_b64 s[26:27], s[4:5]
	s_xor_b64 s[26:27], exec, s[26:27]
	s_cbranch_execz .LBB254_739
; %bb.682:
	v_cmp_lt_i16_e64 s[4:5], 7, v3
                                        ; implicit-def: $vgpr10
	s_and_saveexec_b64 s[28:29], s[4:5]
	s_xor_b64 s[28:29], exec, s[28:29]
	s_cbranch_execz .LBB254_710
; %bb.683:
	v_cmp_lt_i16_e64 s[4:5], 8, v3
                                        ; implicit-def: $vgpr10
	s_and_saveexec_b64 s[30:31], s[4:5]
	s_xor_b64 s[30:31], exec, s[30:31]
	s_cbranch_execz .LBB254_701
; %bb.684:
	v_cmp_lt_i16_e64 s[4:5], 9, v3
                                        ; implicit-def: $vgpr10
	s_and_saveexec_b64 s[34:35], s[4:5]
	s_xor_b64 s[34:35], exec, s[34:35]
	s_cbranch_execz .LBB254_692
; %bb.685:
	flat_load_dwordx2 v[16:17], v[16:17]
	s_mov_b32 s4, 0x47800000
	s_waitcnt vmcnt(0) lgkmcnt(0)
	v_mov_b32_e32 v10, 0x80
	v_cvt_f32_f64_e32 v12, v[16:17]
	v_and_b32_e32 v14, 0x7fffffff, v12
	v_cmp_gt_u32_e64 s[4:5], s4, v14
	s_and_saveexec_b64 s[36:37], s[4:5]
	s_cbranch_execz .LBB254_691
; %bb.686:
	s_mov_b32 s4, 0x37ffffff
	v_cmp_lt_u32_e64 s[4:5], s4, v14
	s_mov_b64 s[38:39], 0
                                        ; implicit-def: $vgpr14
	s_and_saveexec_b64 s[40:41], s[4:5]
	s_xor_b64 s[4:5], exec, s[40:41]
	s_cbranch_execz .LBB254_2583
; %bb.687:
	v_bfe_u32 v10, v12, 21, 1
	s_mov_b32 s33, 0x88fffff
	v_add3_u32 v10, v12, v10, s33
	s_mov_b64 s[38:39], exec
	v_lshrrev_b32_e32 v14, 21, v10
	s_andn2_saveexec_b64 s[40:41], s[4:5]
	s_cbranch_execnz .LBB254_2584
.LBB254_688:
	s_or_b64 exec, exec, s[40:41]
	v_mov_b32_e32 v10, 0
	s_and_saveexec_b64 s[4:5], s[38:39]
.LBB254_689:
	v_lshrrev_b32_e32 v10, 24, v12
	s_movk_i32 s33, 0x80
	v_and_or_b32 v10, v10, s33, v14
.LBB254_690:
	s_or_b64 exec, exec, s[4:5]
.LBB254_691:
	s_or_b64 exec, exec, s[36:37]
                                        ; implicit-def: $vgpr16_vgpr17
.LBB254_692:
	s_andn2_saveexec_b64 s[34:35], s[34:35]
	s_cbranch_execz .LBB254_700
; %bb.693:
	s_waitcnt lgkmcnt(0)
	flat_load_dword v12, v[16:17]
	s_mov_b32 s4, 0x47800000
	s_waitcnt vmcnt(0)
	v_mov_b32_e32 v10, 0x80
	s_waitcnt lgkmcnt(0)
	v_and_b32_e32 v14, 0x7fffffff, v12
	v_cmp_gt_u32_e64 s[4:5], s4, v14
	s_and_saveexec_b64 s[36:37], s[4:5]
	s_cbranch_execz .LBB254_699
; %bb.694:
	s_mov_b32 s4, 0x37ffffff
	v_cmp_lt_u32_e64 s[4:5], s4, v14
	s_mov_b64 s[38:39], 0
                                        ; implicit-def: $vgpr14
	s_and_saveexec_b64 s[40:41], s[4:5]
	s_xor_b64 s[4:5], exec, s[40:41]
	s_cbranch_execz .LBB254_2585
; %bb.695:
	v_bfe_u32 v10, v12, 21, 1
	s_mov_b32 s33, 0x88fffff
	v_add3_u32 v10, v12, v10, s33
	s_mov_b64 s[38:39], exec
	v_lshrrev_b32_e32 v14, 21, v10
	s_andn2_saveexec_b64 s[40:41], s[4:5]
	s_cbranch_execnz .LBB254_2586
.LBB254_696:
	s_or_b64 exec, exec, s[40:41]
	v_mov_b32_e32 v10, 0
	s_and_saveexec_b64 s[4:5], s[38:39]
.LBB254_697:
	v_lshrrev_b32_e32 v10, 24, v12
	s_movk_i32 s33, 0x80
	v_and_or_b32 v10, v10, s33, v14
.LBB254_698:
	s_or_b64 exec, exec, s[4:5]
.LBB254_699:
	s_or_b64 exec, exec, s[36:37]
.LBB254_700:
	s_or_b64 exec, exec, s[34:35]
                                        ; implicit-def: $vgpr16_vgpr17
.LBB254_701:
	s_andn2_saveexec_b64 s[30:31], s[30:31]
	s_cbranch_execz .LBB254_709
; %bb.702:
	s_waitcnt vmcnt(0) lgkmcnt(0)
	flat_load_dword v10, v[16:17]
	s_mov_b32 s4, 0x47800000
	s_waitcnt vmcnt(0) lgkmcnt(0)
	v_cvt_f32_f16_e32 v12, v10
	v_mov_b32_e32 v10, 0x80
	v_and_b32_e32 v14, 0x7fffffff, v12
	v_cmp_gt_u32_e64 s[4:5], s4, v14
	s_and_saveexec_b64 s[34:35], s[4:5]
	s_cbranch_execz .LBB254_708
; %bb.703:
	s_mov_b32 s4, 0x37ffffff
	v_cmp_lt_u32_e64 s[4:5], s4, v14
	s_mov_b64 s[36:37], 0
                                        ; implicit-def: $vgpr14
	s_and_saveexec_b64 s[38:39], s[4:5]
	s_xor_b64 s[4:5], exec, s[38:39]
	s_cbranch_execz .LBB254_2506
; %bb.704:
	v_bfe_u32 v10, v12, 21, 1
	s_mov_b32 s33, 0x88fffff
	v_add3_u32 v10, v12, v10, s33
	s_mov_b64 s[36:37], exec
	v_lshrrev_b32_e32 v14, 21, v10
	s_andn2_saveexec_b64 s[38:39], s[4:5]
	s_cbranch_execnz .LBB254_2507
.LBB254_705:
	s_or_b64 exec, exec, s[38:39]
	v_mov_b32_e32 v10, 0
	s_and_saveexec_b64 s[4:5], s[36:37]
.LBB254_706:
	v_lshrrev_b32_e32 v10, 24, v12
	s_movk_i32 s33, 0x80
	v_and_or_b32 v10, v10, s33, v14
.LBB254_707:
	s_or_b64 exec, exec, s[4:5]
.LBB254_708:
	s_or_b64 exec, exec, s[34:35]
.LBB254_709:
	s_or_b64 exec, exec, s[30:31]
                                        ; implicit-def: $vgpr16_vgpr17
.LBB254_710:
	s_andn2_saveexec_b64 s[28:29], s[28:29]
	s_cbranch_execz .LBB254_738
; %bb.711:
	v_cmp_lt_i16_e64 s[4:5], 5, v3
                                        ; implicit-def: $vgpr10
	s_and_saveexec_b64 s[30:31], s[4:5]
	s_xor_b64 s[30:31], exec, s[30:31]
	s_cbranch_execz .LBB254_729
; %bb.712:
	v_cmp_lt_i16_e64 s[4:5], 6, v3
                                        ; implicit-def: $vgpr10
	s_and_saveexec_b64 s[34:35], s[4:5]
	s_xor_b64 s[34:35], exec, s[34:35]
	s_cbranch_execz .LBB254_720
; %bb.713:
	flat_load_dwordx2 v[16:17], v[16:17]
	s_mov_b32 s4, 0x47800000
	s_waitcnt vmcnt(0) lgkmcnt(0)
	v_mov_b32_e32 v10, 0x80
	v_cvt_f32_f64_e32 v12, v[16:17]
	v_and_b32_e32 v14, 0x7fffffff, v12
	v_cmp_gt_u32_e64 s[4:5], s4, v14
	s_and_saveexec_b64 s[36:37], s[4:5]
	s_cbranch_execz .LBB254_719
; %bb.714:
	s_mov_b32 s4, 0x37ffffff
	v_cmp_lt_u32_e64 s[4:5], s4, v14
	s_mov_b64 s[38:39], 0
                                        ; implicit-def: $vgpr14
	s_and_saveexec_b64 s[40:41], s[4:5]
	s_xor_b64 s[4:5], exec, s[40:41]
	s_cbranch_execz .LBB254_2587
; %bb.715:
	v_bfe_u32 v10, v12, 21, 1
	s_mov_b32 s33, 0x88fffff
	v_add3_u32 v10, v12, v10, s33
	s_mov_b64 s[38:39], exec
	v_lshrrev_b32_e32 v14, 21, v10
	s_andn2_saveexec_b64 s[40:41], s[4:5]
	s_cbranch_execnz .LBB254_2588
.LBB254_716:
	s_or_b64 exec, exec, s[40:41]
	v_mov_b32_e32 v10, 0
	s_and_saveexec_b64 s[4:5], s[38:39]
.LBB254_717:
	v_lshrrev_b32_e32 v10, 24, v12
	s_movk_i32 s33, 0x80
	v_and_or_b32 v10, v10, s33, v14
.LBB254_718:
	s_or_b64 exec, exec, s[4:5]
.LBB254_719:
	s_or_b64 exec, exec, s[36:37]
                                        ; implicit-def: $vgpr16_vgpr17
.LBB254_720:
	s_andn2_saveexec_b64 s[34:35], s[34:35]
	s_cbranch_execz .LBB254_728
; %bb.721:
	s_waitcnt lgkmcnt(0)
	flat_load_dword v12, v[16:17]
	s_mov_b32 s4, 0x47800000
	s_waitcnt vmcnt(0)
	v_mov_b32_e32 v10, 0x80
	s_waitcnt lgkmcnt(0)
	v_and_b32_e32 v14, 0x7fffffff, v12
	v_cmp_gt_u32_e64 s[4:5], s4, v14
	s_and_saveexec_b64 s[36:37], s[4:5]
	s_cbranch_execz .LBB254_727
; %bb.722:
	s_mov_b32 s4, 0x37ffffff
	v_cmp_lt_u32_e64 s[4:5], s4, v14
	s_mov_b64 s[38:39], 0
                                        ; implicit-def: $vgpr14
	s_and_saveexec_b64 s[40:41], s[4:5]
	s_xor_b64 s[4:5], exec, s[40:41]
	s_cbranch_execz .LBB254_2589
; %bb.723:
	v_bfe_u32 v10, v12, 21, 1
	s_mov_b32 s33, 0x88fffff
	v_add3_u32 v10, v12, v10, s33
	s_mov_b64 s[38:39], exec
	v_lshrrev_b32_e32 v14, 21, v10
	s_andn2_saveexec_b64 s[40:41], s[4:5]
	s_cbranch_execnz .LBB254_2590
.LBB254_724:
	s_or_b64 exec, exec, s[40:41]
	v_mov_b32_e32 v10, 0
	s_and_saveexec_b64 s[4:5], s[38:39]
.LBB254_725:
	v_lshrrev_b32_e32 v10, 24, v12
	s_movk_i32 s33, 0x80
	v_and_or_b32 v10, v10, s33, v14
.LBB254_726:
	s_or_b64 exec, exec, s[4:5]
.LBB254_727:
	s_or_b64 exec, exec, s[36:37]
.LBB254_728:
	s_or_b64 exec, exec, s[34:35]
                                        ; implicit-def: $vgpr16_vgpr17
.LBB254_729:
	s_andn2_saveexec_b64 s[30:31], s[30:31]
	s_cbranch_execz .LBB254_737
; %bb.730:
	s_waitcnt vmcnt(0) lgkmcnt(0)
	flat_load_ushort v10, v[16:17]
	s_mov_b32 s4, 0x47800000
	s_waitcnt vmcnt(0) lgkmcnt(0)
	v_cvt_f32_f16_e32 v12, v10
	v_mov_b32_e32 v10, 0x80
	v_and_b32_e32 v14, 0x7fffffff, v12
	v_cmp_gt_u32_e64 s[4:5], s4, v14
	s_and_saveexec_b64 s[34:35], s[4:5]
	s_cbranch_execz .LBB254_736
; %bb.731:
	s_mov_b32 s4, 0x37ffffff
	v_cmp_lt_u32_e64 s[4:5], s4, v14
	s_mov_b64 s[36:37], 0
                                        ; implicit-def: $vgpr14
	s_and_saveexec_b64 s[38:39], s[4:5]
	s_xor_b64 s[4:5], exec, s[38:39]
	s_cbranch_execz .LBB254_2508
; %bb.732:
	v_bfe_u32 v10, v12, 21, 1
	s_mov_b32 s33, 0x88fffff
	v_add3_u32 v10, v12, v10, s33
	s_mov_b64 s[36:37], exec
	v_lshrrev_b32_e32 v14, 21, v10
	s_andn2_saveexec_b64 s[38:39], s[4:5]
	s_cbranch_execnz .LBB254_2509
.LBB254_733:
	s_or_b64 exec, exec, s[38:39]
	v_mov_b32_e32 v10, 0
	s_and_saveexec_b64 s[4:5], s[36:37]
.LBB254_734:
	v_lshrrev_b32_e32 v10, 24, v12
	s_movk_i32 s33, 0x80
	v_and_or_b32 v10, v10, s33, v14
.LBB254_735:
	s_or_b64 exec, exec, s[4:5]
.LBB254_736:
	s_or_b64 exec, exec, s[34:35]
.LBB254_737:
	s_or_b64 exec, exec, s[30:31]
.LBB254_738:
	s_or_b64 exec, exec, s[28:29]
                                        ; implicit-def: $vgpr16_vgpr17
.LBB254_739:
	s_andn2_saveexec_b64 s[26:27], s[26:27]
	s_cbranch_execz .LBB254_787
; %bb.740:
	v_cmp_lt_i16_e64 s[4:5], 1, v3
                                        ; implicit-def: $vgpr10
	s_and_saveexec_b64 s[28:29], s[4:5]
	s_xor_b64 s[28:29], exec, s[28:29]
	s_cbranch_execz .LBB254_768
; %bb.741:
	v_cmp_lt_i16_e64 s[4:5], 2, v3
                                        ; implicit-def: $vgpr10
	s_and_saveexec_b64 s[30:31], s[4:5]
	s_xor_b64 s[30:31], exec, s[30:31]
	;; [unrolled: 6-line block ×3, first 2 shown]
	s_cbranch_execz .LBB254_750
; %bb.743:
	flat_load_dwordx2 v[16:17], v[16:17]
	s_mov_b32 s4, 0x47800000
	s_waitcnt vmcnt(0) lgkmcnt(0)
	v_xor_b32_e32 v12, v16, v17
	v_ffbh_i32_e32 v10, v17
	v_ashrrev_i32_e32 v12, 31, v12
	v_add_u32_e32 v10, -1, v10
	v_add_u32_e32 v12, 32, v12
	v_min_u32_e32 v10, v10, v12
	v_lshlrev_b64 v[16:17], v10, v[16:17]
	v_sub_u32_e32 v10, 32, v10
	v_min_u32_e32 v12, 1, v16
	v_or_b32_e32 v12, v17, v12
	v_cvt_f32_i32_e32 v12, v12
	v_ldexp_f32 v12, v12, v10
	v_and_b32_e32 v14, 0x7fffffff, v12
	v_cmp_gt_u32_e64 s[4:5], s4, v14
	v_mov_b32_e32 v10, 0x80
	s_and_saveexec_b64 s[36:37], s[4:5]
	s_cbranch_execz .LBB254_749
; %bb.744:
	s_mov_b32 s4, 0x37ffffff
	v_cmp_lt_u32_e64 s[4:5], s4, v14
	s_mov_b64 s[38:39], 0
                                        ; implicit-def: $vgpr14
	s_and_saveexec_b64 s[40:41], s[4:5]
	s_xor_b64 s[4:5], exec, s[40:41]
	s_cbranch_execz .LBB254_2591
; %bb.745:
	v_bfe_u32 v10, v12, 21, 1
	s_mov_b32 s33, 0x88fffff
	v_add3_u32 v10, v12, v10, s33
	s_mov_b64 s[38:39], exec
	v_lshrrev_b32_e32 v14, 21, v10
	s_andn2_saveexec_b64 s[40:41], s[4:5]
	s_cbranch_execnz .LBB254_2592
.LBB254_746:
	s_or_b64 exec, exec, s[40:41]
	v_mov_b32_e32 v10, 0
	s_and_saveexec_b64 s[4:5], s[38:39]
.LBB254_747:
	v_lshrrev_b32_e32 v10, 24, v12
	s_movk_i32 s33, 0x80
	v_and_or_b32 v10, v10, s33, v14
.LBB254_748:
	s_or_b64 exec, exec, s[4:5]
.LBB254_749:
	s_or_b64 exec, exec, s[36:37]
                                        ; implicit-def: $vgpr16_vgpr17
.LBB254_750:
	s_andn2_saveexec_b64 s[34:35], s[34:35]
	s_cbranch_execz .LBB254_758
; %bb.751:
	s_waitcnt vmcnt(0) lgkmcnt(0)
	flat_load_dword v10, v[16:17]
	s_mov_b32 s4, 0x47800000
	s_waitcnt vmcnt(0) lgkmcnt(0)
	v_cvt_f32_i32_e32 v12, v10
	v_mov_b32_e32 v10, 0x80
	v_and_b32_e32 v14, 0x7fffffff, v12
	v_cmp_gt_u32_e64 s[4:5], s4, v14
	s_and_saveexec_b64 s[36:37], s[4:5]
	s_cbranch_execz .LBB254_757
; %bb.752:
	s_mov_b32 s4, 0x37ffffff
	v_cmp_lt_u32_e64 s[4:5], s4, v14
	s_mov_b64 s[38:39], 0
                                        ; implicit-def: $vgpr14
	s_and_saveexec_b64 s[40:41], s[4:5]
	s_xor_b64 s[4:5], exec, s[40:41]
	s_cbranch_execz .LBB254_2593
; %bb.753:
	v_bfe_u32 v10, v12, 21, 1
	s_mov_b32 s33, 0x88fffff
	v_add3_u32 v10, v12, v10, s33
	s_mov_b64 s[38:39], exec
	v_lshrrev_b32_e32 v14, 21, v10
	s_andn2_saveexec_b64 s[40:41], s[4:5]
	s_cbranch_execnz .LBB254_2594
.LBB254_754:
	s_or_b64 exec, exec, s[40:41]
	v_mov_b32_e32 v10, 0
	s_and_saveexec_b64 s[4:5], s[38:39]
.LBB254_755:
	v_lshrrev_b32_e32 v10, 24, v12
	s_movk_i32 s33, 0x80
	v_and_or_b32 v10, v10, s33, v14
.LBB254_756:
	s_or_b64 exec, exec, s[4:5]
.LBB254_757:
	s_or_b64 exec, exec, s[36:37]
.LBB254_758:
	s_or_b64 exec, exec, s[34:35]
                                        ; implicit-def: $vgpr16_vgpr17
.LBB254_759:
	s_andn2_saveexec_b64 s[30:31], s[30:31]
	s_cbranch_execz .LBB254_767
; %bb.760:
	s_waitcnt vmcnt(0) lgkmcnt(0)
	flat_load_sshort v10, v[16:17]
	s_mov_b32 s4, 0x47800000
	s_waitcnt vmcnt(0) lgkmcnt(0)
	v_cvt_f32_i32_e32 v12, v10
	v_mov_b32_e32 v10, 0x80
	v_and_b32_e32 v14, 0x7fffffff, v12
	v_cmp_gt_u32_e64 s[4:5], s4, v14
	s_and_saveexec_b64 s[34:35], s[4:5]
	s_cbranch_execz .LBB254_766
; %bb.761:
	s_mov_b32 s4, 0x37ffffff
	v_cmp_lt_u32_e64 s[4:5], s4, v14
	s_mov_b64 s[36:37], 0
                                        ; implicit-def: $vgpr14
	s_and_saveexec_b64 s[38:39], s[4:5]
	s_xor_b64 s[4:5], exec, s[38:39]
	s_cbranch_execz .LBB254_2510
; %bb.762:
	v_bfe_u32 v10, v12, 21, 1
	s_mov_b32 s33, 0x88fffff
	v_add3_u32 v10, v12, v10, s33
	s_mov_b64 s[36:37], exec
	v_lshrrev_b32_e32 v14, 21, v10
	s_andn2_saveexec_b64 s[38:39], s[4:5]
	s_cbranch_execnz .LBB254_2511
.LBB254_763:
	s_or_b64 exec, exec, s[38:39]
	v_mov_b32_e32 v10, 0
	s_and_saveexec_b64 s[4:5], s[36:37]
.LBB254_764:
	v_lshrrev_b32_e32 v10, 24, v12
	s_movk_i32 s33, 0x80
	v_and_or_b32 v10, v10, s33, v14
.LBB254_765:
	s_or_b64 exec, exec, s[4:5]
.LBB254_766:
	s_or_b64 exec, exec, s[34:35]
.LBB254_767:
	s_or_b64 exec, exec, s[30:31]
                                        ; implicit-def: $vgpr16_vgpr17
.LBB254_768:
	s_andn2_saveexec_b64 s[28:29], s[28:29]
	s_cbranch_execz .LBB254_786
; %bb.769:
	v_cmp_lt_i16_e64 s[4:5], 0, v3
                                        ; implicit-def: $vgpr10
	s_and_saveexec_b64 s[30:31], s[4:5]
	s_xor_b64 s[30:31], exec, s[30:31]
	s_cbranch_execz .LBB254_777
; %bb.770:
	s_waitcnt vmcnt(0) lgkmcnt(0)
	flat_load_sbyte v10, v[16:17]
	s_mov_b32 s4, 0x47800000
	s_waitcnt vmcnt(0) lgkmcnt(0)
	v_cvt_f32_i32_e32 v12, v10
	v_mov_b32_e32 v10, 0x80
	v_and_b32_e32 v14, 0x7fffffff, v12
	v_cmp_gt_u32_e64 s[4:5], s4, v14
	s_and_saveexec_b64 s[34:35], s[4:5]
	s_cbranch_execz .LBB254_776
; %bb.771:
	s_mov_b32 s4, 0x37ffffff
	v_cmp_lt_u32_e64 s[4:5], s4, v14
	s_mov_b64 s[36:37], 0
                                        ; implicit-def: $vgpr14
	s_and_saveexec_b64 s[38:39], s[4:5]
	s_xor_b64 s[4:5], exec, s[38:39]
	s_cbranch_execz .LBB254_2512
; %bb.772:
	v_bfe_u32 v10, v12, 21, 1
	s_mov_b32 s33, 0x88fffff
	v_add3_u32 v10, v12, v10, s33
	s_mov_b64 s[36:37], exec
	v_lshrrev_b32_e32 v14, 21, v10
	s_andn2_saveexec_b64 s[38:39], s[4:5]
	s_cbranch_execnz .LBB254_2513
.LBB254_773:
	s_or_b64 exec, exec, s[38:39]
	v_mov_b32_e32 v10, 0
	s_and_saveexec_b64 s[4:5], s[36:37]
.LBB254_774:
	v_lshrrev_b32_e32 v10, 24, v12
	s_movk_i32 s33, 0x80
	v_and_or_b32 v10, v10, s33, v14
.LBB254_775:
	s_or_b64 exec, exec, s[4:5]
.LBB254_776:
	s_or_b64 exec, exec, s[34:35]
                                        ; implicit-def: $vgpr16_vgpr17
.LBB254_777:
	s_andn2_saveexec_b64 s[30:31], s[30:31]
	s_cbranch_execz .LBB254_785
; %bb.778:
	s_waitcnt vmcnt(0) lgkmcnt(0)
	flat_load_ubyte v10, v[16:17]
	s_mov_b32 s4, 0x47800000
	s_waitcnt vmcnt(0) lgkmcnt(0)
	v_cvt_f32_ubyte0_e32 v14, v10
	v_cmp_gt_u32_e64 s[4:5], s4, v14
	v_mov_b32_e32 v10, 0x80
	s_and_saveexec_b64 s[34:35], s[4:5]
	s_cbranch_execz .LBB254_784
; %bb.779:
	s_mov_b32 s4, 0x37ffffff
	v_cmp_lt_u32_e64 s[4:5], s4, v14
	s_mov_b64 s[36:37], 0
                                        ; implicit-def: $vgpr12
	s_and_saveexec_b64 s[38:39], s[4:5]
	s_xor_b64 s[4:5], exec, s[38:39]
	s_cbranch_execz .LBB254_2514
; %bb.780:
	v_bfe_u32 v10, v14, 21, 1
	s_mov_b32 s33, 0x88fffff
	v_add3_u32 v10, v14, v10, s33
	s_mov_b64 s[36:37], exec
	v_lshrrev_b32_e32 v12, 21, v10
                                        ; implicit-def: $vgpr14
	s_andn2_saveexec_b64 s[38:39], s[4:5]
	s_cbranch_execnz .LBB254_2515
.LBB254_781:
	s_or_b64 exec, exec, s[38:39]
	v_mov_b32_e32 v10, 0
	s_and_saveexec_b64 s[4:5], s[36:37]
.LBB254_782:
	v_mov_b32_e32 v10, v12
.LBB254_783:
	s_or_b64 exec, exec, s[4:5]
.LBB254_784:
	s_or_b64 exec, exec, s[34:35]
.LBB254_785:
	s_or_b64 exec, exec, s[30:31]
.LBB254_786:
	s_or_b64 exec, exec, s[28:29]
.LBB254_787:
	s_or_b64 exec, exec, s[26:27]
	s_or_b64 s[24:25], s[24:25], exec
.LBB254_788:
	s_or_b64 exec, exec, s[20:21]
	s_mov_b64 s[4:5], 0
	s_mov_b64 s[26:27], 0
                                        ; implicit-def: $sgpr48_sgpr49
                                        ; implicit-def: $vgpr21_vgpr22
                                        ; implicit-def: $vgpr16
	s_and_saveexec_b64 s[20:21], s[24:25]
	s_cbranch_execz .LBB254_2123
; %bb.789:
	s_waitcnt vmcnt(0) lgkmcnt(0)
	v_add_co_u32_e64 v14, s[4:5], v5, v15
	v_addc_co_u32_e64 v15, s[4:5], 0, v24, s[4:5]
	v_cmp_lt_i16_e64 s[4:5], 10, v1
	s_mov_b64 s[28:29], 0
	s_mov_b64 s[24:25], s[18:19]
                                        ; implicit-def: $vgpr12
	s_and_saveexec_b64 s[26:27], s[4:5]
	s_xor_b64 s[26:27], exec, s[26:27]
	s_cbranch_execz .LBB254_870
; %bb.790:
	v_cmp_lt_i16_e64 s[4:5], 25, v1
	s_mov_b64 s[24:25], 0
	s_mov_b64 s[34:35], 0
	;; [unrolled: 1-line block ×3, first 2 shown]
                                        ; implicit-def: $vgpr12
	s_and_saveexec_b64 s[28:29], s[4:5]
	s_xor_b64 s[28:29], exec, s[28:29]
	s_cbranch_execz .LBB254_2298
; %bb.791:
	v_cmp_lt_i16_e64 s[4:5], 28, v1
	s_mov_b64 s[36:37], 0
                                        ; implicit-def: $vgpr12
	s_and_saveexec_b64 s[30:31], s[4:5]
	s_xor_b64 s[30:31], exec, s[30:31]
	s_cbranch_execz .LBB254_825
; %bb.792:
	v_cmp_lt_i16_e64 s[4:5], 43, v1
	s_mov_b64 s[38:39], 0
	s_mov_b64 s[40:41], 0
                                        ; implicit-def: $vgpr12
	s_and_saveexec_b64 s[34:35], s[4:5]
	s_xor_b64 s[34:35], exec, s[34:35]
	s_cbranch_execz .LBB254_814
; %bb.793:
	v_cmp_lt_i16_e64 s[4:5], 45, v1
                                        ; implicit-def: $vgpr12
	s_and_saveexec_b64 s[40:41], s[4:5]
	s_xor_b64 s[40:41], exec, s[40:41]
	s_cbranch_execz .LBB254_803
; %bb.794:
	v_cmp_eq_u16_e64 s[4:5], 46, v1
	s_mov_b64 s[42:43], -1
                                        ; implicit-def: $vgpr12
	s_and_saveexec_b64 s[36:37], s[4:5]
	s_cbranch_execz .LBB254_802
; %bb.795:
	flat_load_dword v12, v[14:15]
	s_mov_b32 s4, 0x47800000
	s_waitcnt vmcnt(0) lgkmcnt(0)
	v_lshlrev_b32_e32 v16, 16, v12
	v_and_b32_e32 v17, 0x7fffffff, v16
	v_cmp_gt_u32_e64 s[4:5], s4, v17
	v_mov_b32_e32 v12, 0x80
	s_and_saveexec_b64 s[38:39], s[4:5]
	s_cbranch_execz .LBB254_801
; %bb.796:
	s_mov_b32 s4, 0x37ffffff
	v_cmp_lt_u32_e64 s[4:5], s4, v17
	s_mov_b64 s[42:43], 0
                                        ; implicit-def: $vgpr17
	s_and_saveexec_b64 s[44:45], s[4:5]
	s_xor_b64 s[4:5], exec, s[44:45]
	s_cbranch_execz .LBB254_2751
; %bb.797:
	v_bfe_u32 v12, v16, 21, 1
	s_mov_b32 s33, 0x88fffff
	v_add3_u32 v12, v16, v12, s33
	s_mov_b64 s[42:43], exec
	v_lshrrev_b32_e32 v17, 21, v12
	s_andn2_saveexec_b64 s[44:45], s[4:5]
	s_cbranch_execnz .LBB254_2752
.LBB254_798:
	s_or_b64 exec, exec, s[44:45]
	v_mov_b32_e32 v12, 0
	s_and_saveexec_b64 s[4:5], s[42:43]
.LBB254_799:
	v_lshrrev_b32_e32 v12, 24, v16
	s_movk_i32 s33, 0x80
	v_and_or_b32 v12, v12, s33, v17
.LBB254_800:
	s_or_b64 exec, exec, s[4:5]
.LBB254_801:
	s_or_b64 exec, exec, s[38:39]
	s_mov_b64 s[38:39], exec
	s_xor_b64 s[42:43], exec, -1
.LBB254_802:
	s_or_b64 exec, exec, s[36:37]
	s_and_b64 s[38:39], s[38:39], exec
	s_and_b64 s[36:37], s[42:43], exec
.LBB254_803:
	s_andn2_saveexec_b64 s[40:41], s[40:41]
	s_cbranch_execz .LBB254_813
; %bb.804:
	v_cmp_eq_u16_e64 s[4:5], 44, v1
	s_mov_b64 s[44:45], -1
	s_mov_b64 s[46:47], s[38:39]
                                        ; implicit-def: $vgpr12
	s_and_saveexec_b64 s[42:43], s[4:5]
	s_cbranch_execz .LBB254_812
; %bb.805:
	flat_load_ubyte v12, v[14:15]
	s_movk_i32 s4, 0xff
	v_mov_b32_e32 v16, 0x7f800001
	v_mov_b32_e32 v17, 0x400000
	s_mov_b32 s33, 0x47800000
	s_waitcnt vmcnt(0) lgkmcnt(0)
	v_lshlrev_b32_e32 v18, 23, v12
	v_cmp_ne_u32_e64 s[4:5], s4, v12
	v_cndmask_b32_e64 v16, v16, v18, s[4:5]
	v_cmp_ne_u32_e64 s[4:5], 0, v12
	v_cndmask_b32_e64 v17, v17, v16, s[4:5]
	v_cmp_gt_u32_e64 s[4:5], s33, v17
	v_mov_b32_e32 v12, 0x80
	s_and_saveexec_b64 s[44:45], s[4:5]
	s_cbranch_execz .LBB254_811
; %bb.806:
	s_mov_b32 s4, 0x37ffffff
	v_cmp_lt_u32_e64 s[4:5], s4, v17
	s_mov_b64 s[46:47], 0
                                        ; implicit-def: $vgpr16
	s_and_saveexec_b64 s[48:49], s[4:5]
	s_xor_b64 s[4:5], exec, s[48:49]
	s_cbranch_execz .LBB254_2753
; %bb.807:
	v_bfe_u32 v12, v17, 21, 1
	s_mov_b32 s33, 0x88fffff
	v_add3_u32 v12, v17, v12, s33
	s_mov_b64 s[46:47], exec
	v_lshrrev_b32_e32 v16, 21, v12
                                        ; implicit-def: $vgpr17
	s_andn2_saveexec_b64 s[48:49], s[4:5]
	s_cbranch_execnz .LBB254_2754
.LBB254_808:
	s_or_b64 exec, exec, s[48:49]
	v_mov_b32_e32 v12, 0
	s_and_saveexec_b64 s[4:5], s[46:47]
.LBB254_809:
	v_mov_b32_e32 v12, v16
.LBB254_810:
	s_or_b64 exec, exec, s[4:5]
.LBB254_811:
	s_or_b64 exec, exec, s[44:45]
	s_or_b64 s[46:47], s[38:39], exec
	s_xor_b64 s[44:45], exec, -1
.LBB254_812:
	s_or_b64 exec, exec, s[42:43]
	s_andn2_b64 s[4:5], s[38:39], exec
	s_and_b64 s[38:39], s[46:47], exec
	s_or_b64 s[38:39], s[4:5], s[38:39]
	s_andn2_b64 s[4:5], s[36:37], exec
	s_and_b64 s[36:37], s[44:45], exec
	s_or_b64 s[36:37], s[4:5], s[36:37]
.LBB254_813:
	s_or_b64 exec, exec, s[40:41]
	s_and_b64 s[40:41], s[38:39], exec
	s_and_b64 s[38:39], s[36:37], exec
.LBB254_814:
	s_andn2_saveexec_b64 s[34:35], s[34:35]
	s_cbranch_execz .LBB254_824
; %bb.815:
	v_cmp_eq_u16_e64 s[4:5], 29, v1
	s_mov_b64 s[42:43], -1
	s_mov_b64 s[44:45], s[40:41]
                                        ; implicit-def: $vgpr12
	s_and_saveexec_b64 s[36:37], s[4:5]
	s_cbranch_execz .LBB254_823
; %bb.816:
	flat_load_dwordx2 v[16:17], v[14:15]
	s_mov_b32 s4, 0x47800000
	s_waitcnt vmcnt(0) lgkmcnt(0)
	v_ffbh_u32_e32 v12, v17
	v_min_u32_e32 v12, 32, v12
	v_lshlrev_b64 v[16:17], v12, v[16:17]
	v_sub_u32_e32 v12, 32, v12
	v_min_u32_e32 v16, 1, v16
	v_or_b32_e32 v16, v17, v16
	v_cvt_f32_u32_e32 v16, v16
	v_ldexp_f32 v17, v16, v12
	v_cmp_gt_u32_e64 s[4:5], s4, v17
	v_mov_b32_e32 v12, 0x80
	s_and_saveexec_b64 s[42:43], s[4:5]
	s_cbranch_execz .LBB254_822
; %bb.817:
	s_mov_b32 s4, 0x37ffffff
	v_cmp_lt_u32_e64 s[4:5], s4, v17
	s_mov_b64 s[44:45], 0
                                        ; implicit-def: $vgpr16
	s_and_saveexec_b64 s[46:47], s[4:5]
	s_xor_b64 s[4:5], exec, s[46:47]
	s_cbranch_execz .LBB254_2660
; %bb.818:
	v_bfe_u32 v12, v17, 21, 1
	s_mov_b32 s33, 0x88fffff
	v_add3_u32 v12, v17, v12, s33
	s_mov_b64 s[44:45], exec
	v_lshrrev_b32_e32 v16, 21, v12
                                        ; implicit-def: $vgpr17
	s_andn2_saveexec_b64 s[46:47], s[4:5]
	s_cbranch_execnz .LBB254_2661
.LBB254_819:
	s_or_b64 exec, exec, s[46:47]
	v_mov_b32_e32 v12, 0
	s_and_saveexec_b64 s[4:5], s[44:45]
.LBB254_820:
	v_mov_b32_e32 v12, v16
.LBB254_821:
	s_or_b64 exec, exec, s[4:5]
.LBB254_822:
	s_or_b64 exec, exec, s[42:43]
	s_or_b64 s[44:45], s[40:41], exec
	s_xor_b64 s[42:43], exec, -1
.LBB254_823:
	s_or_b64 exec, exec, s[36:37]
	s_andn2_b64 s[4:5], s[40:41], exec
	s_and_b64 s[36:37], s[44:45], exec
	s_or_b64 s[40:41], s[4:5], s[36:37]
	s_andn2_b64 s[4:5], s[38:39], exec
	s_and_b64 s[36:37], s[42:43], exec
	s_or_b64 s[38:39], s[4:5], s[36:37]
.LBB254_824:
	s_or_b64 exec, exec, s[34:35]
	s_and_b64 s[36:37], s[40:41], exec
	s_and_b64 s[34:35], s[38:39], exec
.LBB254_825:
	s_andn2_saveexec_b64 s[30:31], s[30:31]
	s_cbranch_execz .LBB254_859
; %bb.826:
	v_cmp_lt_i16_e64 s[4:5], 26, v1
                                        ; implicit-def: $vgpr12
	s_and_saveexec_b64 s[38:39], s[4:5]
	s_xor_b64 s[38:39], exec, s[38:39]
	s_cbranch_execz .LBB254_844
; %bb.827:
	v_cmp_lt_i16_e64 s[4:5], 27, v1
                                        ; implicit-def: $vgpr12
	s_and_saveexec_b64 s[40:41], s[4:5]
	s_xor_b64 s[40:41], exec, s[40:41]
	s_cbranch_execz .LBB254_835
; %bb.828:
	flat_load_dword v12, v[14:15]
	s_mov_b32 s4, 0x47800000
	s_waitcnt vmcnt(0) lgkmcnt(0)
	v_cvt_f32_u32_e32 v17, v12
	v_mov_b32_e32 v12, 0x80
	v_cmp_gt_u32_e64 s[4:5], s4, v17
	s_and_saveexec_b64 s[42:43], s[4:5]
	s_cbranch_execz .LBB254_834
; %bb.829:
	s_mov_b32 s4, 0x37ffffff
	v_cmp_lt_u32_e64 s[4:5], s4, v17
	s_mov_b64 s[44:45], 0
                                        ; implicit-def: $vgpr16
	s_and_saveexec_b64 s[46:47], s[4:5]
	s_xor_b64 s[4:5], exec, s[46:47]
	s_cbranch_execz .LBB254_2662
; %bb.830:
	v_bfe_u32 v12, v17, 21, 1
	s_mov_b32 s33, 0x88fffff
	v_add3_u32 v12, v17, v12, s33
	s_mov_b64 s[44:45], exec
	v_lshrrev_b32_e32 v16, 21, v12
                                        ; implicit-def: $vgpr17
	s_andn2_saveexec_b64 s[46:47], s[4:5]
	s_cbranch_execnz .LBB254_2663
.LBB254_831:
	s_or_b64 exec, exec, s[46:47]
	v_mov_b32_e32 v12, 0
	s_and_saveexec_b64 s[4:5], s[44:45]
.LBB254_832:
	v_mov_b32_e32 v12, v16
.LBB254_833:
	s_or_b64 exec, exec, s[4:5]
.LBB254_834:
	s_or_b64 exec, exec, s[42:43]
.LBB254_835:
	s_andn2_saveexec_b64 s[40:41], s[40:41]
	s_cbranch_execz .LBB254_843
; %bb.836:
	flat_load_ushort v12, v[14:15]
	s_mov_b32 s4, 0x47800000
	s_waitcnt vmcnt(0) lgkmcnt(0)
	v_cvt_f32_u32_e32 v17, v12
	v_mov_b32_e32 v12, 0x80
	v_cmp_gt_u32_e64 s[4:5], s4, v17
	s_and_saveexec_b64 s[42:43], s[4:5]
	s_cbranch_execz .LBB254_842
; %bb.837:
	s_mov_b32 s4, 0x37ffffff
	v_cmp_lt_u32_e64 s[4:5], s4, v17
	s_mov_b64 s[44:45], 0
                                        ; implicit-def: $vgpr16
	s_and_saveexec_b64 s[46:47], s[4:5]
	s_xor_b64 s[4:5], exec, s[46:47]
	s_cbranch_execz .LBB254_2664
; %bb.838:
	v_bfe_u32 v12, v17, 21, 1
	s_mov_b32 s33, 0x88fffff
	v_add3_u32 v12, v17, v12, s33
	s_mov_b64 s[44:45], exec
	v_lshrrev_b32_e32 v16, 21, v12
                                        ; implicit-def: $vgpr17
	s_andn2_saveexec_b64 s[46:47], s[4:5]
	s_cbranch_execnz .LBB254_2665
.LBB254_839:
	s_or_b64 exec, exec, s[46:47]
	v_mov_b32_e32 v12, 0
	s_and_saveexec_b64 s[4:5], s[44:45]
.LBB254_840:
	v_mov_b32_e32 v12, v16
.LBB254_841:
	s_or_b64 exec, exec, s[4:5]
.LBB254_842:
	s_or_b64 exec, exec, s[42:43]
.LBB254_843:
	s_or_b64 exec, exec, s[40:41]
.LBB254_844:
	s_andn2_saveexec_b64 s[38:39], s[38:39]
	s_cbranch_execz .LBB254_858
; %bb.845:
	flat_load_ubyte v12, v[14:15]
	s_movk_i32 s4, 0x7f
	s_mov_b64 s[40:41], 0
	s_waitcnt vmcnt(0) lgkmcnt(0)
	v_cmp_lt_i16_e64 s[4:5], s4, v12
	s_and_saveexec_b64 s[42:43], s[4:5]
	s_xor_b64 s[42:43], exec, s[42:43]
	s_cbranch_execz .LBB254_2516
; %bb.846:
	s_movk_i32 s4, 0x80
	v_cmp_eq_u16_e64 s[4:5], s4, v12
	s_mov_b64 s[40:41], -1
	s_and_saveexec_b64 s[44:45], s[4:5]
; %bb.847:
	s_xor_b64 s[40:41], exec, -1
; %bb.848:
	s_or_b64 exec, exec, s[44:45]
	s_and_b64 s[40:41], s[40:41], exec
	s_or_saveexec_b64 s[42:43], s[42:43]
	v_mov_b32_e32 v16, 0x7f800001
	s_xor_b64 exec, exec, s[42:43]
	s_cbranch_execnz .LBB254_2517
.LBB254_849:
	s_or_b64 exec, exec, s[42:43]
	s_and_saveexec_b64 s[42:43], s[40:41]
	s_cbranch_execz .LBB254_851
.LBB254_850:
	v_lshlrev_b32_e32 v16, 24, v12
	v_and_b32_e32 v12, 0xffff, v12
	v_and_b32_e32 v17, 7, v12
	v_ffbh_u32_e32 v20, v17
	v_min_u32_e32 v20, 32, v20
	v_subrev_u32_e32 v21, 28, v20
	v_bfe_u32 v18, v12, 3, 4
	v_lshlrev_b32_e32 v12, v21, v12
	v_sub_u32_e32 v20, 29, v20
	v_and_b32_e32 v12, 7, v12
	v_cmp_eq_u32_e64 s[4:5], 0, v18
	v_cndmask_b32_e64 v18, v18, v20, s[4:5]
	v_cndmask_b32_e64 v12, v17, v12, s[4:5]
	v_mov_b32_e32 v17, 0x3b800000
	v_lshlrev_b32_e32 v12, 20, v12
	v_and_b32_e32 v16, 0x80000000, v16
	v_lshl_add_u32 v17, v18, 23, v17
	v_or3_b32 v16, v16, v17, v12
.LBB254_851:
	s_or_b64 exec, exec, s[42:43]
	v_and_b32_e32 v17, 0x7fffffff, v16
	s_mov_b32 s4, 0x47800000
	v_cmp_gt_u32_e64 s[4:5], s4, v17
	v_mov_b32_e32 v12, 0x80
	s_and_saveexec_b64 s[40:41], s[4:5]
	s_cbranch_execz .LBB254_857
; %bb.852:
	s_mov_b32 s4, 0x37ffffff
	v_cmp_lt_u32_e64 s[4:5], s4, v17
	s_mov_b64 s[42:43], 0
                                        ; implicit-def: $vgpr17
	s_and_saveexec_b64 s[44:45], s[4:5]
	s_xor_b64 s[4:5], exec, s[44:45]
	s_cbranch_execz .LBB254_2595
; %bb.853:
	v_bfe_u32 v12, v16, 21, 1
	s_mov_b32 s33, 0x88fffff
	v_add3_u32 v12, v16, v12, s33
	s_mov_b64 s[42:43], exec
	v_lshrrev_b32_e32 v17, 21, v12
	s_andn2_saveexec_b64 s[44:45], s[4:5]
	s_cbranch_execnz .LBB254_2596
.LBB254_854:
	s_or_b64 exec, exec, s[44:45]
	v_mov_b32_e32 v12, 0
	s_and_saveexec_b64 s[4:5], s[42:43]
.LBB254_855:
	v_lshrrev_b32_e32 v12, 24, v16
	s_movk_i32 s33, 0x80
	v_and_or_b32 v12, v12, s33, v17
.LBB254_856:
	s_or_b64 exec, exec, s[4:5]
.LBB254_857:
	s_or_b64 exec, exec, s[40:41]
.LBB254_858:
	s_or_b64 exec, exec, s[38:39]
	s_or_b64 s[36:37], s[36:37], exec
.LBB254_859:
	s_or_b64 exec, exec, s[30:31]
	s_and_b64 s[30:31], s[36:37], exec
	s_and_b64 s[34:35], s[34:35], exec
	s_andn2_saveexec_b64 s[28:29], s[28:29]
	s_cbranch_execnz .LBB254_2299
.LBB254_860:
	s_or_b64 exec, exec, s[28:29]
	s_mov_b64 s[28:29], s[18:19]
	s_and_saveexec_b64 s[4:5], s[34:35]
	s_cbranch_execnz .LBB254_2336
.LBB254_861:
	s_or_b64 exec, exec, s[4:5]
	s_and_saveexec_b64 s[4:5], s[24:25]
	s_xor_b64 s[24:25], exec, s[4:5]
	s_cbranch_execz .LBB254_869
.LBB254_862:
	s_waitcnt vmcnt(0) lgkmcnt(0)
	flat_load_ubyte v12, v[14:15]
	s_mov_b32 s33, 0x47800000
	s_waitcnt vmcnt(0) lgkmcnt(0)
	v_cmp_ne_u16_e64 s[4:5], 0, v12
	v_cndmask_b32_e64 v15, 0, 1.0, s[4:5]
	v_cmp_gt_u32_e64 s[4:5], s33, v15
	v_mov_b32_e32 v12, 0x80
	s_and_saveexec_b64 s[34:35], s[4:5]
	s_cbranch_execz .LBB254_868
; %bb.863:
	s_mov_b32 s4, 0x37ffffff
	v_cmp_lt_u32_e64 s[4:5], s4, v15
	s_mov_b64 s[36:37], 0
                                        ; implicit-def: $vgpr14
	s_and_saveexec_b64 s[38:39], s[4:5]
	s_xor_b64 s[4:5], exec, s[38:39]
	s_cbranch_execz .LBB254_2435
; %bb.864:
	v_bfe_u32 v12, v15, 21, 1
	s_mov_b32 s33, 0x88fffff
	v_add3_u32 v12, v15, v12, s33
	s_mov_b64 s[36:37], exec
	v_lshrrev_b32_e32 v14, 21, v12
                                        ; implicit-def: $vgpr15
	s_andn2_saveexec_b64 s[38:39], s[4:5]
	s_cbranch_execnz .LBB254_2436
.LBB254_865:
	s_or_b64 exec, exec, s[38:39]
	v_mov_b32_e32 v12, 0
	s_and_saveexec_b64 s[4:5], s[36:37]
.LBB254_866:
	v_mov_b32_e32 v12, v14
.LBB254_867:
	s_or_b64 exec, exec, s[4:5]
.LBB254_868:
	s_or_b64 exec, exec, s[34:35]
	s_or_b64 s[30:31], s[30:31], exec
.LBB254_869:
	s_or_b64 exec, exec, s[24:25]
	s_andn2_b64 s[4:5], s[18:19], exec
	s_and_b64 s[24:25], s[28:29], exec
	s_or_b64 s[24:25], s[4:5], s[24:25]
	s_and_b64 s[28:29], s[30:31], exec
                                        ; implicit-def: $vgpr14_vgpr15
.LBB254_870:
	s_andn2_saveexec_b64 s[26:27], s[26:27]
	s_cbranch_execz .LBB254_978
; %bb.871:
	v_cmp_lt_i16_e64 s[4:5], 4, v1
                                        ; implicit-def: $vgpr12
	s_and_saveexec_b64 s[30:31], s[4:5]
	s_xor_b64 s[30:31], exec, s[30:31]
	s_cbranch_execz .LBB254_929
; %bb.872:
	v_cmp_lt_i16_e64 s[4:5], 7, v1
                                        ; implicit-def: $vgpr12
	s_and_saveexec_b64 s[34:35], s[4:5]
	s_xor_b64 s[34:35], exec, s[34:35]
	;; [unrolled: 6-line block ×4, first 2 shown]
	s_cbranch_execz .LBB254_882
; %bb.875:
	flat_load_dwordx2 v[14:15], v[14:15]
	s_mov_b32 s4, 0x47800000
	s_waitcnt vmcnt(0) lgkmcnt(0)
	v_mov_b32_e32 v12, 0x80
	v_cvt_f32_f64_e32 v14, v[14:15]
	v_and_b32_e32 v15, 0x7fffffff, v14
	v_cmp_gt_u32_e64 s[4:5], s4, v15
	s_and_saveexec_b64 s[40:41], s[4:5]
	s_cbranch_execz .LBB254_881
; %bb.876:
	s_mov_b32 s4, 0x37ffffff
	v_cmp_lt_u32_e64 s[4:5], s4, v15
	s_mov_b64 s[42:43], 0
                                        ; implicit-def: $vgpr15
	s_and_saveexec_b64 s[44:45], s[4:5]
	s_xor_b64 s[4:5], exec, s[44:45]
	s_cbranch_execz .LBB254_2666
; %bb.877:
	v_bfe_u32 v12, v14, 21, 1
	s_mov_b32 s33, 0x88fffff
	v_add3_u32 v12, v14, v12, s33
	s_mov_b64 s[42:43], exec
	v_lshrrev_b32_e32 v15, 21, v12
	s_andn2_saveexec_b64 s[44:45], s[4:5]
	s_cbranch_execnz .LBB254_2667
.LBB254_878:
	s_or_b64 exec, exec, s[44:45]
	v_mov_b32_e32 v12, 0
	s_and_saveexec_b64 s[4:5], s[42:43]
.LBB254_879:
	v_lshrrev_b32_e32 v12, 24, v14
	s_movk_i32 s33, 0x80
	v_and_or_b32 v12, v12, s33, v15
.LBB254_880:
	s_or_b64 exec, exec, s[4:5]
.LBB254_881:
	s_or_b64 exec, exec, s[40:41]
                                        ; implicit-def: $vgpr14_vgpr15
.LBB254_882:
	s_andn2_saveexec_b64 s[38:39], s[38:39]
	s_cbranch_execz .LBB254_890
; %bb.883:
	flat_load_dword v14, v[14:15]
	s_mov_b32 s4, 0x47800000
	s_waitcnt vmcnt(0) lgkmcnt(0)
	v_mov_b32_e32 v12, 0x80
	v_and_b32_e32 v15, 0x7fffffff, v14
	v_cmp_gt_u32_e64 s[4:5], s4, v15
	s_and_saveexec_b64 s[40:41], s[4:5]
	s_cbranch_execz .LBB254_889
; %bb.884:
	s_mov_b32 s4, 0x37ffffff
	v_cmp_lt_u32_e64 s[4:5], s4, v15
	s_mov_b64 s[42:43], 0
                                        ; implicit-def: $vgpr15
	s_and_saveexec_b64 s[44:45], s[4:5]
	s_xor_b64 s[4:5], exec, s[44:45]
	s_cbranch_execz .LBB254_2668
; %bb.885:
	v_bfe_u32 v12, v14, 21, 1
	s_mov_b32 s33, 0x88fffff
	v_add3_u32 v12, v14, v12, s33
	s_mov_b64 s[42:43], exec
	v_lshrrev_b32_e32 v15, 21, v12
	s_andn2_saveexec_b64 s[44:45], s[4:5]
	s_cbranch_execnz .LBB254_2669
.LBB254_886:
	s_or_b64 exec, exec, s[44:45]
	v_mov_b32_e32 v12, 0
	s_and_saveexec_b64 s[4:5], s[42:43]
.LBB254_887:
	v_lshrrev_b32_e32 v12, 24, v14
	s_movk_i32 s33, 0x80
	v_and_or_b32 v12, v12, s33, v15
.LBB254_888:
	s_or_b64 exec, exec, s[4:5]
.LBB254_889:
	s_or_b64 exec, exec, s[40:41]
.LBB254_890:
	s_or_b64 exec, exec, s[38:39]
                                        ; implicit-def: $vgpr14_vgpr15
.LBB254_891:
	s_andn2_saveexec_b64 s[36:37], s[36:37]
	s_cbranch_execz .LBB254_899
; %bb.892:
	s_waitcnt vmcnt(0) lgkmcnt(0)
	flat_load_dword v12, v[14:15]
	s_mov_b32 s4, 0x47800000
	s_waitcnt vmcnt(0) lgkmcnt(0)
	v_cvt_f32_f16_e32 v14, v12
	v_mov_b32_e32 v12, 0x80
	v_and_b32_e32 v15, 0x7fffffff, v14
	v_cmp_gt_u32_e64 s[4:5], s4, v15
	s_and_saveexec_b64 s[38:39], s[4:5]
	s_cbranch_execz .LBB254_898
; %bb.893:
	s_mov_b32 s4, 0x37ffffff
	v_cmp_lt_u32_e64 s[4:5], s4, v15
	s_mov_b64 s[40:41], 0
                                        ; implicit-def: $vgpr15
	s_and_saveexec_b64 s[42:43], s[4:5]
	s_xor_b64 s[4:5], exec, s[42:43]
	s_cbranch_execz .LBB254_2597
; %bb.894:
	v_bfe_u32 v12, v14, 21, 1
	s_mov_b32 s33, 0x88fffff
	v_add3_u32 v12, v14, v12, s33
	s_mov_b64 s[40:41], exec
	v_lshrrev_b32_e32 v15, 21, v12
	s_andn2_saveexec_b64 s[42:43], s[4:5]
	s_cbranch_execnz .LBB254_2598
.LBB254_895:
	s_or_b64 exec, exec, s[42:43]
	v_mov_b32_e32 v12, 0
	s_and_saveexec_b64 s[4:5], s[40:41]
.LBB254_896:
	v_lshrrev_b32_e32 v12, 24, v14
	s_movk_i32 s33, 0x80
	v_and_or_b32 v12, v12, s33, v15
.LBB254_897:
	s_or_b64 exec, exec, s[4:5]
.LBB254_898:
	s_or_b64 exec, exec, s[38:39]
.LBB254_899:
	s_or_b64 exec, exec, s[36:37]
                                        ; implicit-def: $vgpr14_vgpr15
.LBB254_900:
	s_andn2_saveexec_b64 s[34:35], s[34:35]
	s_cbranch_execz .LBB254_928
; %bb.901:
	v_cmp_lt_i16_e64 s[4:5], 5, v1
                                        ; implicit-def: $vgpr12
	s_and_saveexec_b64 s[36:37], s[4:5]
	s_xor_b64 s[36:37], exec, s[36:37]
	s_cbranch_execz .LBB254_919
; %bb.902:
	v_cmp_lt_i16_e64 s[4:5], 6, v1
                                        ; implicit-def: $vgpr12
	s_and_saveexec_b64 s[38:39], s[4:5]
	s_xor_b64 s[38:39], exec, s[38:39]
	s_cbranch_execz .LBB254_910
; %bb.903:
	flat_load_dwordx2 v[14:15], v[14:15]
	s_mov_b32 s4, 0x47800000
	s_waitcnt vmcnt(0) lgkmcnt(0)
	v_mov_b32_e32 v12, 0x80
	v_cvt_f32_f64_e32 v14, v[14:15]
	v_and_b32_e32 v15, 0x7fffffff, v14
	v_cmp_gt_u32_e64 s[4:5], s4, v15
	s_and_saveexec_b64 s[40:41], s[4:5]
	s_cbranch_execz .LBB254_909
; %bb.904:
	s_mov_b32 s4, 0x37ffffff
	v_cmp_lt_u32_e64 s[4:5], s4, v15
	s_mov_b64 s[42:43], 0
                                        ; implicit-def: $vgpr15
	s_and_saveexec_b64 s[44:45], s[4:5]
	s_xor_b64 s[4:5], exec, s[44:45]
	s_cbranch_execz .LBB254_2670
; %bb.905:
	v_bfe_u32 v12, v14, 21, 1
	s_mov_b32 s33, 0x88fffff
	v_add3_u32 v12, v14, v12, s33
	s_mov_b64 s[42:43], exec
	v_lshrrev_b32_e32 v15, 21, v12
	s_andn2_saveexec_b64 s[44:45], s[4:5]
	s_cbranch_execnz .LBB254_2671
.LBB254_906:
	s_or_b64 exec, exec, s[44:45]
	v_mov_b32_e32 v12, 0
	s_and_saveexec_b64 s[4:5], s[42:43]
.LBB254_907:
	v_lshrrev_b32_e32 v12, 24, v14
	s_movk_i32 s33, 0x80
	v_and_or_b32 v12, v12, s33, v15
.LBB254_908:
	s_or_b64 exec, exec, s[4:5]
.LBB254_909:
	s_or_b64 exec, exec, s[40:41]
                                        ; implicit-def: $vgpr14_vgpr15
.LBB254_910:
	s_andn2_saveexec_b64 s[38:39], s[38:39]
	s_cbranch_execz .LBB254_918
; %bb.911:
	flat_load_dword v14, v[14:15]
	s_mov_b32 s4, 0x47800000
	s_waitcnt vmcnt(0) lgkmcnt(0)
	v_mov_b32_e32 v12, 0x80
	v_and_b32_e32 v15, 0x7fffffff, v14
	v_cmp_gt_u32_e64 s[4:5], s4, v15
	s_and_saveexec_b64 s[40:41], s[4:5]
	s_cbranch_execz .LBB254_917
; %bb.912:
	s_mov_b32 s4, 0x37ffffff
	v_cmp_lt_u32_e64 s[4:5], s4, v15
	s_mov_b64 s[42:43], 0
                                        ; implicit-def: $vgpr15
	s_and_saveexec_b64 s[44:45], s[4:5]
	s_xor_b64 s[4:5], exec, s[44:45]
	s_cbranch_execz .LBB254_2672
; %bb.913:
	v_bfe_u32 v12, v14, 21, 1
	s_mov_b32 s33, 0x88fffff
	v_add3_u32 v12, v14, v12, s33
	s_mov_b64 s[42:43], exec
	v_lshrrev_b32_e32 v15, 21, v12
	s_andn2_saveexec_b64 s[44:45], s[4:5]
	s_cbranch_execnz .LBB254_2673
.LBB254_914:
	s_or_b64 exec, exec, s[44:45]
	v_mov_b32_e32 v12, 0
	s_and_saveexec_b64 s[4:5], s[42:43]
.LBB254_915:
	v_lshrrev_b32_e32 v12, 24, v14
	s_movk_i32 s33, 0x80
	v_and_or_b32 v12, v12, s33, v15
.LBB254_916:
	s_or_b64 exec, exec, s[4:5]
.LBB254_917:
	s_or_b64 exec, exec, s[40:41]
.LBB254_918:
	s_or_b64 exec, exec, s[38:39]
                                        ; implicit-def: $vgpr14_vgpr15
.LBB254_919:
	s_andn2_saveexec_b64 s[36:37], s[36:37]
	s_cbranch_execz .LBB254_927
; %bb.920:
	s_waitcnt vmcnt(0) lgkmcnt(0)
	flat_load_ushort v12, v[14:15]
	s_mov_b32 s4, 0x47800000
	s_waitcnt vmcnt(0) lgkmcnt(0)
	v_cvt_f32_f16_e32 v14, v12
	v_mov_b32_e32 v12, 0x80
	v_and_b32_e32 v15, 0x7fffffff, v14
	v_cmp_gt_u32_e64 s[4:5], s4, v15
	s_and_saveexec_b64 s[38:39], s[4:5]
	s_cbranch_execz .LBB254_926
; %bb.921:
	s_mov_b32 s4, 0x37ffffff
	v_cmp_lt_u32_e64 s[4:5], s4, v15
	s_mov_b64 s[40:41], 0
                                        ; implicit-def: $vgpr15
	s_and_saveexec_b64 s[42:43], s[4:5]
	s_xor_b64 s[4:5], exec, s[42:43]
	s_cbranch_execz .LBB254_2599
; %bb.922:
	v_bfe_u32 v12, v14, 21, 1
	s_mov_b32 s33, 0x88fffff
	v_add3_u32 v12, v14, v12, s33
	s_mov_b64 s[40:41], exec
	v_lshrrev_b32_e32 v15, 21, v12
	s_andn2_saveexec_b64 s[42:43], s[4:5]
	s_cbranch_execnz .LBB254_2600
.LBB254_923:
	s_or_b64 exec, exec, s[42:43]
	v_mov_b32_e32 v12, 0
	s_and_saveexec_b64 s[4:5], s[40:41]
.LBB254_924:
	v_lshrrev_b32_e32 v12, 24, v14
	s_movk_i32 s33, 0x80
	v_and_or_b32 v12, v12, s33, v15
.LBB254_925:
	s_or_b64 exec, exec, s[4:5]
.LBB254_926:
	s_or_b64 exec, exec, s[38:39]
.LBB254_927:
	s_or_b64 exec, exec, s[36:37]
.LBB254_928:
	s_or_b64 exec, exec, s[34:35]
                                        ; implicit-def: $vgpr14_vgpr15
.LBB254_929:
	s_andn2_saveexec_b64 s[30:31], s[30:31]
	s_cbranch_execz .LBB254_977
; %bb.930:
	v_cmp_lt_i16_e64 s[4:5], 1, v1
                                        ; implicit-def: $vgpr12
	s_and_saveexec_b64 s[34:35], s[4:5]
	s_xor_b64 s[34:35], exec, s[34:35]
	s_cbranch_execz .LBB254_958
; %bb.931:
	v_cmp_lt_i16_e64 s[4:5], 2, v1
                                        ; implicit-def: $vgpr12
	s_and_saveexec_b64 s[36:37], s[4:5]
	s_xor_b64 s[36:37], exec, s[36:37]
	;; [unrolled: 6-line block ×3, first 2 shown]
	s_cbranch_execz .LBB254_940
; %bb.933:
	flat_load_dwordx2 v[14:15], v[14:15]
	s_mov_b32 s4, 0x47800000
	s_waitcnt vmcnt(0) lgkmcnt(0)
	v_xor_b32_e32 v16, v14, v15
	v_ffbh_i32_e32 v12, v15
	v_ashrrev_i32_e32 v16, 31, v16
	v_add_u32_e32 v12, -1, v12
	v_add_u32_e32 v16, 32, v16
	v_min_u32_e32 v12, v12, v16
	v_lshlrev_b64 v[14:15], v12, v[14:15]
	v_sub_u32_e32 v12, 32, v12
	v_min_u32_e32 v14, 1, v14
	v_or_b32_e32 v14, v15, v14
	v_cvt_f32_i32_e32 v14, v14
	v_ldexp_f32 v14, v14, v12
	v_and_b32_e32 v15, 0x7fffffff, v14
	v_cmp_gt_u32_e64 s[4:5], s4, v15
	v_mov_b32_e32 v12, 0x80
	s_and_saveexec_b64 s[40:41], s[4:5]
	s_cbranch_execz .LBB254_939
; %bb.934:
	s_mov_b32 s4, 0x37ffffff
	v_cmp_lt_u32_e64 s[4:5], s4, v15
	s_mov_b64 s[42:43], 0
                                        ; implicit-def: $vgpr15
	s_and_saveexec_b64 s[44:45], s[4:5]
	s_xor_b64 s[4:5], exec, s[44:45]
	s_cbranch_execz .LBB254_2674
; %bb.935:
	v_bfe_u32 v12, v14, 21, 1
	s_mov_b32 s33, 0x88fffff
	v_add3_u32 v12, v14, v12, s33
	s_mov_b64 s[42:43], exec
	v_lshrrev_b32_e32 v15, 21, v12
	s_andn2_saveexec_b64 s[44:45], s[4:5]
	s_cbranch_execnz .LBB254_2675
.LBB254_936:
	s_or_b64 exec, exec, s[44:45]
	v_mov_b32_e32 v12, 0
	s_and_saveexec_b64 s[4:5], s[42:43]
.LBB254_937:
	v_lshrrev_b32_e32 v12, 24, v14
	s_movk_i32 s33, 0x80
	v_and_or_b32 v12, v12, s33, v15
.LBB254_938:
	s_or_b64 exec, exec, s[4:5]
.LBB254_939:
	s_or_b64 exec, exec, s[40:41]
                                        ; implicit-def: $vgpr14_vgpr15
.LBB254_940:
	s_andn2_saveexec_b64 s[38:39], s[38:39]
	s_cbranch_execz .LBB254_948
; %bb.941:
	s_waitcnt vmcnt(0) lgkmcnt(0)
	flat_load_dword v12, v[14:15]
	s_mov_b32 s4, 0x47800000
	s_waitcnt vmcnt(0) lgkmcnt(0)
	v_cvt_f32_i32_e32 v14, v12
	v_mov_b32_e32 v12, 0x80
	v_and_b32_e32 v15, 0x7fffffff, v14
	v_cmp_gt_u32_e64 s[4:5], s4, v15
	s_and_saveexec_b64 s[40:41], s[4:5]
	s_cbranch_execz .LBB254_947
; %bb.942:
	s_mov_b32 s4, 0x37ffffff
	v_cmp_lt_u32_e64 s[4:5], s4, v15
	s_mov_b64 s[42:43], 0
                                        ; implicit-def: $vgpr15
	s_and_saveexec_b64 s[44:45], s[4:5]
	s_xor_b64 s[4:5], exec, s[44:45]
	s_cbranch_execz .LBB254_2676
; %bb.943:
	v_bfe_u32 v12, v14, 21, 1
	s_mov_b32 s33, 0x88fffff
	v_add3_u32 v12, v14, v12, s33
	s_mov_b64 s[42:43], exec
	v_lshrrev_b32_e32 v15, 21, v12
	s_andn2_saveexec_b64 s[44:45], s[4:5]
	s_cbranch_execnz .LBB254_2677
.LBB254_944:
	s_or_b64 exec, exec, s[44:45]
	v_mov_b32_e32 v12, 0
	s_and_saveexec_b64 s[4:5], s[42:43]
.LBB254_945:
	v_lshrrev_b32_e32 v12, 24, v14
	s_movk_i32 s33, 0x80
	v_and_or_b32 v12, v12, s33, v15
.LBB254_946:
	s_or_b64 exec, exec, s[4:5]
.LBB254_947:
	s_or_b64 exec, exec, s[40:41]
.LBB254_948:
	s_or_b64 exec, exec, s[38:39]
                                        ; implicit-def: $vgpr14_vgpr15
.LBB254_949:
	s_andn2_saveexec_b64 s[36:37], s[36:37]
	s_cbranch_execz .LBB254_957
; %bb.950:
	s_waitcnt vmcnt(0) lgkmcnt(0)
	flat_load_sshort v12, v[14:15]
	s_mov_b32 s4, 0x47800000
	s_waitcnt vmcnt(0) lgkmcnt(0)
	v_cvt_f32_i32_e32 v14, v12
	v_mov_b32_e32 v12, 0x80
	v_and_b32_e32 v15, 0x7fffffff, v14
	v_cmp_gt_u32_e64 s[4:5], s4, v15
	s_and_saveexec_b64 s[38:39], s[4:5]
	s_cbranch_execz .LBB254_956
; %bb.951:
	s_mov_b32 s4, 0x37ffffff
	v_cmp_lt_u32_e64 s[4:5], s4, v15
	s_mov_b64 s[40:41], 0
                                        ; implicit-def: $vgpr15
	s_and_saveexec_b64 s[42:43], s[4:5]
	s_xor_b64 s[4:5], exec, s[42:43]
	s_cbranch_execz .LBB254_2601
; %bb.952:
	v_bfe_u32 v12, v14, 21, 1
	s_mov_b32 s33, 0x88fffff
	v_add3_u32 v12, v14, v12, s33
	s_mov_b64 s[40:41], exec
	v_lshrrev_b32_e32 v15, 21, v12
	s_andn2_saveexec_b64 s[42:43], s[4:5]
	s_cbranch_execnz .LBB254_2602
.LBB254_953:
	s_or_b64 exec, exec, s[42:43]
	v_mov_b32_e32 v12, 0
	s_and_saveexec_b64 s[4:5], s[40:41]
.LBB254_954:
	v_lshrrev_b32_e32 v12, 24, v14
	s_movk_i32 s33, 0x80
	v_and_or_b32 v12, v12, s33, v15
.LBB254_955:
	s_or_b64 exec, exec, s[4:5]
.LBB254_956:
	s_or_b64 exec, exec, s[38:39]
.LBB254_957:
	s_or_b64 exec, exec, s[36:37]
                                        ; implicit-def: $vgpr14_vgpr15
.LBB254_958:
	s_andn2_saveexec_b64 s[34:35], s[34:35]
	s_cbranch_execz .LBB254_976
; %bb.959:
	v_cmp_lt_i16_e64 s[4:5], 0, v1
                                        ; implicit-def: $vgpr12
	s_and_saveexec_b64 s[36:37], s[4:5]
	s_xor_b64 s[36:37], exec, s[36:37]
	s_cbranch_execz .LBB254_967
; %bb.960:
	s_waitcnt vmcnt(0) lgkmcnt(0)
	flat_load_sbyte v12, v[14:15]
	s_mov_b32 s4, 0x47800000
	s_waitcnt vmcnt(0) lgkmcnt(0)
	v_cvt_f32_i32_e32 v14, v12
	v_mov_b32_e32 v12, 0x80
	v_and_b32_e32 v15, 0x7fffffff, v14
	v_cmp_gt_u32_e64 s[4:5], s4, v15
	s_and_saveexec_b64 s[38:39], s[4:5]
	s_cbranch_execz .LBB254_966
; %bb.961:
	s_mov_b32 s4, 0x37ffffff
	v_cmp_lt_u32_e64 s[4:5], s4, v15
	s_mov_b64 s[40:41], 0
                                        ; implicit-def: $vgpr15
	s_and_saveexec_b64 s[42:43], s[4:5]
	s_xor_b64 s[4:5], exec, s[42:43]
	s_cbranch_execz .LBB254_2603
; %bb.962:
	v_bfe_u32 v12, v14, 21, 1
	s_mov_b32 s33, 0x88fffff
	v_add3_u32 v12, v14, v12, s33
	s_mov_b64 s[40:41], exec
	v_lshrrev_b32_e32 v15, 21, v12
	s_andn2_saveexec_b64 s[42:43], s[4:5]
	s_cbranch_execnz .LBB254_2604
.LBB254_963:
	s_or_b64 exec, exec, s[42:43]
	v_mov_b32_e32 v12, 0
	s_and_saveexec_b64 s[4:5], s[40:41]
.LBB254_964:
	v_lshrrev_b32_e32 v12, 24, v14
	s_movk_i32 s33, 0x80
	v_and_or_b32 v12, v12, s33, v15
.LBB254_965:
	s_or_b64 exec, exec, s[4:5]
.LBB254_966:
	s_or_b64 exec, exec, s[38:39]
                                        ; implicit-def: $vgpr14_vgpr15
.LBB254_967:
	s_andn2_saveexec_b64 s[36:37], s[36:37]
	s_cbranch_execz .LBB254_975
; %bb.968:
	s_waitcnt vmcnt(0) lgkmcnt(0)
	flat_load_ubyte v12, v[14:15]
	s_mov_b32 s4, 0x47800000
	s_waitcnt vmcnt(0) lgkmcnt(0)
	v_cvt_f32_ubyte0_e32 v15, v12
	v_cmp_gt_u32_e64 s[4:5], s4, v15
	v_mov_b32_e32 v12, 0x80
	s_and_saveexec_b64 s[38:39], s[4:5]
	s_cbranch_execz .LBB254_974
; %bb.969:
	s_mov_b32 s4, 0x37ffffff
	v_cmp_lt_u32_e64 s[4:5], s4, v15
	s_mov_b64 s[40:41], 0
                                        ; implicit-def: $vgpr14
	s_and_saveexec_b64 s[42:43], s[4:5]
	s_xor_b64 s[4:5], exec, s[42:43]
	s_cbranch_execz .LBB254_2605
; %bb.970:
	v_bfe_u32 v12, v15, 21, 1
	s_mov_b32 s33, 0x88fffff
	v_add3_u32 v12, v15, v12, s33
	s_mov_b64 s[40:41], exec
	v_lshrrev_b32_e32 v14, 21, v12
                                        ; implicit-def: $vgpr15
	s_andn2_saveexec_b64 s[42:43], s[4:5]
	s_cbranch_execnz .LBB254_2606
.LBB254_971:
	s_or_b64 exec, exec, s[42:43]
	v_mov_b32_e32 v12, 0
	s_and_saveexec_b64 s[4:5], s[40:41]
.LBB254_972:
	v_mov_b32_e32 v12, v14
.LBB254_973:
	s_or_b64 exec, exec, s[4:5]
.LBB254_974:
	s_or_b64 exec, exec, s[38:39]
.LBB254_975:
	s_or_b64 exec, exec, s[36:37]
.LBB254_976:
	s_or_b64 exec, exec, s[34:35]
.LBB254_977:
	s_or_b64 exec, exec, s[30:31]
	s_or_b64 s[28:29], s[28:29], exec
.LBB254_978:
	s_or_b64 exec, exec, s[26:27]
	s_mov_b64 s[4:5], 0
	s_mov_b64 s[30:31], 0
                                        ; implicit-def: $sgpr48_sgpr49
                                        ; implicit-def: $vgpr21_vgpr22
                                        ; implicit-def: $vgpr16
	s_and_saveexec_b64 s[26:27], s[28:29]
	s_cbranch_execz .LBB254_2122
; %bb.979:
                                        ; implicit-def: $sgpr30_sgpr31
	s_and_saveexec_b64 s[4:5], vcc
	s_xor_b64 s[28:29], exec, s[4:5]
	s_cbranch_execz .LBB254_993
; %bb.980:
	s_movk_i32 s4, 0x7f
	v_cmp_gt_i16_sdwa s[30:31], v10, s4 src0_sel:BYTE_0 src1_sel:DWORD
	s_mov_b64 s[4:5], 0
	s_and_saveexec_b64 s[34:35], s[30:31]
	s_xor_b64 s[30:31], exec, s[34:35]
	s_cbranch_execz .LBB254_2354
; %bb.981:
	s_movk_i32 s4, 0x80
	v_cmp_eq_u16_sdwa s[36:37], v10, s4 src0_sel:BYTE_0 src1_sel:DWORD
	s_mov_b64 s[4:5], -1
	s_and_saveexec_b64 s[34:35], s[36:37]
; %bb.982:
	s_xor_b64 s[4:5], exec, -1
; %bb.983:
	s_or_b64 exec, exec, s[34:35]
	s_and_b64 s[4:5], s[4:5], exec
	s_or_saveexec_b64 s[30:31], s[30:31]
	v_mov_b32_e32 v14, 0x7f800001
	s_xor_b64 exec, exec, s[30:31]
	s_cbranch_execnz .LBB254_2355
.LBB254_984:
	s_or_b64 exec, exec, s[30:31]
	s_and_saveexec_b64 s[30:31], s[4:5]
	s_cbranch_execz .LBB254_986
.LBB254_985:
	v_and_b32_e32 v15, 3, v10
	v_ffbh_u32_e32 v16, v15
	v_min_u32_e32 v16, 32, v16
	v_lshrrev_b16_e32 v14, 2, v10
	v_subrev_u32_e32 v17, 29, v16
	v_and_b32_e32 v14, 31, v14
	v_lshlrev_b32_e32 v17, v17, v10
	v_sub_u32_e32 v16, 30, v16
	v_and_b32_e32 v17, 3, v17
	v_cmp_eq_u32_e64 s[4:5], 0, v14
	v_cndmask_b32_e64 v14, v14, v16, s[4:5]
	v_cndmask_b32_e64 v15, v15, v17, s[4:5]
	v_lshlrev_b32_e32 v10, 24, v10
	v_mov_b32_e32 v16, 0x37800000
	v_lshlrev_b32_e32 v15, 21, v15
	v_and_b32_e32 v10, 0x80000000, v10
	v_lshl_add_u32 v14, v14, 23, v16
	v_or3_b32 v14, v10, v14, v15
.LBB254_986:
	s_or_b64 exec, exec, s[30:31]
	s_movk_i32 s4, 0x7f
	s_waitcnt vmcnt(0) lgkmcnt(0)
	v_cmp_gt_i16_sdwa s[30:31], v12, s4 src0_sel:BYTE_0 src1_sel:DWORD
	s_mov_b64 s[4:5], 0
	s_and_saveexec_b64 s[34:35], s[30:31]
	s_xor_b64 s[30:31], exec, s[34:35]
	s_cbranch_execz .LBB254_2356
; %bb.987:
	s_movk_i32 s4, 0x80
	v_cmp_eq_u16_sdwa s[36:37], v12, s4 src0_sel:BYTE_0 src1_sel:DWORD
	s_mov_b64 s[4:5], -1
	s_and_saveexec_b64 s[34:35], s[36:37]
; %bb.988:
	s_xor_b64 s[4:5], exec, -1
; %bb.989:
	s_or_b64 exec, exec, s[34:35]
	s_and_b64 s[4:5], s[4:5], exec
	s_or_saveexec_b64 s[30:31], s[30:31]
	v_mov_b32_e32 v10, 0x7f800001
	s_xor_b64 exec, exec, s[30:31]
	s_cbranch_execnz .LBB254_2357
.LBB254_990:
	s_or_b64 exec, exec, s[30:31]
	s_and_saveexec_b64 s[30:31], s[4:5]
	s_cbranch_execz .LBB254_992
.LBB254_991:
	v_and_b32_e32 v15, 3, v12
	v_ffbh_u32_e32 v16, v15
	v_min_u32_e32 v16, 32, v16
	v_lshrrev_b16_e32 v10, 2, v12
	v_subrev_u32_e32 v17, 29, v16
	v_and_b32_e32 v10, 31, v10
	v_lshlrev_b32_e32 v17, v17, v12
	v_sub_u32_e32 v16, 30, v16
	v_and_b32_e32 v17, 3, v17
	v_cmp_eq_u32_e64 s[4:5], 0, v10
	v_cndmask_b32_e64 v10, v10, v16, s[4:5]
	v_cndmask_b32_e64 v15, v15, v17, s[4:5]
	v_lshlrev_b32_e32 v12, 24, v12
	v_mov_b32_e32 v16, 0x37800000
	v_lshlrev_b32_e32 v15, 21, v15
	v_and_b32_e32 v12, 0x80000000, v12
	v_lshl_add_u32 v10, v10, 23, v16
	v_or3_b32 v10, v12, v10, v15
.LBB254_992:
	s_or_b64 exec, exec, s[30:31]
	v_cmp_neq_f32_e64 s[30:31], v14, v10
                                        ; implicit-def: $vgpr12
                                        ; implicit-def: $vgpr10
.LBB254_993:
	s_andn2_saveexec_b64 s[28:29], s[28:29]
	s_cbranch_execz .LBB254_1007
; %bb.994:
	s_movk_i32 s4, 0x7f
	v_cmp_gt_i16_sdwa s[34:35], v10, s4 src0_sel:BYTE_0 src1_sel:DWORD
	s_mov_b64 s[4:5], 0
	s_and_saveexec_b64 s[36:37], s[34:35]
	s_xor_b64 s[34:35], exec, s[36:37]
	s_cbranch_execz .LBB254_2358
; %bb.995:
	s_movk_i32 s4, 0x80
	v_cmp_eq_u16_sdwa s[38:39], v10, s4 src0_sel:BYTE_0 src1_sel:DWORD
	s_mov_b64 s[4:5], -1
	s_and_saveexec_b64 s[36:37], s[38:39]
; %bb.996:
	s_xor_b64 s[4:5], exec, -1
; %bb.997:
	s_or_b64 exec, exec, s[36:37]
	s_and_b64 s[4:5], s[4:5], exec
	s_or_saveexec_b64 s[34:35], s[34:35]
	v_mov_b32_e32 v14, 0x7f800001
	s_xor_b64 exec, exec, s[34:35]
	s_cbranch_execnz .LBB254_2359
.LBB254_998:
	s_or_b64 exec, exec, s[34:35]
	s_and_saveexec_b64 s[34:35], s[4:5]
	s_cbranch_execz .LBB254_1000
.LBB254_999:
	v_and_b32_e32 v15, 3, v10
	v_ffbh_u32_e32 v16, v15
	v_min_u32_e32 v16, 32, v16
	v_lshrrev_b16_e32 v14, 2, v10
	v_subrev_u32_e32 v17, 29, v16
	v_and_b32_e32 v14, 31, v14
	v_lshlrev_b32_e32 v17, v17, v10
	v_sub_u32_e32 v16, 30, v16
	v_and_b32_e32 v17, 3, v17
	v_cmp_eq_u32_e64 s[4:5], 0, v14
	v_cndmask_b32_e64 v14, v14, v16, s[4:5]
	v_cndmask_b32_e64 v15, v15, v17, s[4:5]
	v_lshlrev_b32_e32 v10, 24, v10
	v_mov_b32_e32 v16, 0x37800000
	v_lshlrev_b32_e32 v15, 21, v15
	v_and_b32_e32 v10, 0x80000000, v10
	v_lshl_add_u32 v14, v14, 23, v16
	v_or3_b32 v14, v10, v14, v15
.LBB254_1000:
	s_or_b64 exec, exec, s[34:35]
	s_movk_i32 s4, 0x7f
	s_waitcnt vmcnt(0) lgkmcnt(0)
	v_cmp_gt_i16_sdwa s[34:35], v12, s4 src0_sel:BYTE_0 src1_sel:DWORD
	s_mov_b64 s[4:5], 0
	s_and_saveexec_b64 s[36:37], s[34:35]
	s_xor_b64 s[34:35], exec, s[36:37]
	s_cbranch_execz .LBB254_2360
; %bb.1001:
	s_movk_i32 s4, 0x80
	v_cmp_eq_u16_sdwa s[38:39], v12, s4 src0_sel:BYTE_0 src1_sel:DWORD
	s_mov_b64 s[4:5], -1
	s_and_saveexec_b64 s[36:37], s[38:39]
; %bb.1002:
	s_xor_b64 s[4:5], exec, -1
; %bb.1003:
	s_or_b64 exec, exec, s[36:37]
	s_and_b64 s[4:5], s[4:5], exec
	s_or_saveexec_b64 s[34:35], s[34:35]
	v_mov_b32_e32 v10, 0x7f800001
	s_xor_b64 exec, exec, s[34:35]
	s_cbranch_execnz .LBB254_2361
.LBB254_1004:
	s_or_b64 exec, exec, s[34:35]
	s_and_saveexec_b64 s[34:35], s[4:5]
	s_cbranch_execz .LBB254_1006
.LBB254_1005:
	v_and_b32_e32 v15, 3, v12
	v_ffbh_u32_e32 v16, v15
	v_min_u32_e32 v16, 32, v16
	v_lshrrev_b16_e32 v10, 2, v12
	v_subrev_u32_e32 v17, 29, v16
	v_and_b32_e32 v10, 31, v10
	v_lshlrev_b32_e32 v17, v17, v12
	v_sub_u32_e32 v16, 30, v16
	v_and_b32_e32 v17, 3, v17
	v_cmp_eq_u32_e64 s[4:5], 0, v10
	v_cndmask_b32_e64 v10, v10, v16, s[4:5]
	v_cndmask_b32_e64 v15, v15, v17, s[4:5]
	v_lshlrev_b32_e32 v12, 24, v12
	v_mov_b32_e32 v16, 0x37800000
	v_lshlrev_b32_e32 v15, 21, v15
	v_and_b32_e32 v12, 0x80000000, v12
	v_lshl_add_u32 v10, v10, 23, v16
	v_or3_b32 v10, v12, v10, v15
.LBB254_1006:
	s_or_b64 exec, exec, s[34:35]
	v_cmp_eq_f32_e64 s[4:5], v14, v10
	s_andn2_b64 s[30:31], s[30:31], exec
	s_and_b64 s[4:5], s[4:5], exec
	s_or_b64 s[30:31], s[30:31], s[4:5]
.LBB254_1007:
	s_or_b64 exec, exec, s[28:29]
	s_waitcnt vmcnt(0) lgkmcnt(0)
	v_add_co_u32_e64 v12, s[4:5], v8, v13
	v_addc_co_u32_e64 v13, s[4:5], 0, v25, s[4:5]
	v_cmp_lt_i16_e64 s[4:5], 10, v3
	s_mov_b64 s[36:37], 0
	s_mov_b64 s[28:29], s[24:25]
                                        ; implicit-def: $vgpr14
	s_and_saveexec_b64 s[34:35], s[4:5]
	s_xor_b64 s[34:35], exec, s[34:35]
	s_cbranch_execz .LBB254_1088
; %bb.1008:
	v_cmp_lt_i16_e64 s[4:5], 25, v3
	s_mov_b64 s[28:29], 0
	s_mov_b64 s[40:41], 0
	;; [unrolled: 1-line block ×3, first 2 shown]
                                        ; implicit-def: $vgpr14
	s_and_saveexec_b64 s[36:37], s[4:5]
	s_xor_b64 s[36:37], exec, s[36:37]
	s_cbranch_execz .LBB254_2362
; %bb.1009:
	v_cmp_lt_i16_e64 s[4:5], 28, v3
	s_mov_b64 s[42:43], 0
                                        ; implicit-def: $vgpr14
	s_and_saveexec_b64 s[38:39], s[4:5]
	s_xor_b64 s[38:39], exec, s[38:39]
	s_cbranch_execz .LBB254_1043
; %bb.1010:
	v_cmp_lt_i16_e64 s[4:5], 43, v3
	s_mov_b64 s[44:45], 0
	s_mov_b64 s[46:47], 0
                                        ; implicit-def: $vgpr14
	s_and_saveexec_b64 s[40:41], s[4:5]
	s_xor_b64 s[40:41], exec, s[40:41]
	s_cbranch_execz .LBB254_1032
; %bb.1011:
	v_cmp_lt_i16_e64 s[4:5], 45, v3
                                        ; implicit-def: $vgpr14
	s_and_saveexec_b64 s[46:47], s[4:5]
	s_xor_b64 s[46:47], exec, s[46:47]
	s_cbranch_execz .LBB254_1021
; %bb.1012:
	v_cmp_eq_u16_e64 s[4:5], 46, v3
	s_mov_b64 s[48:49], -1
                                        ; implicit-def: $vgpr14
	s_and_saveexec_b64 s[42:43], s[4:5]
	s_cbranch_execz .LBB254_1020
; %bb.1013:
	flat_load_dword v10, v[12:13]
	s_mov_b32 s4, 0x47800000
	v_mov_b32_e32 v14, 0x80
	s_waitcnt vmcnt(0) lgkmcnt(0)
	v_lshlrev_b32_e32 v10, 16, v10
	v_and_b32_e32 v15, 0x7fffffff, v10
	v_cmp_gt_u32_e64 s[4:5], s4, v15
	s_and_saveexec_b64 s[44:45], s[4:5]
	s_cbranch_execz .LBB254_1019
; %bb.1014:
	s_mov_b32 s4, 0x37ffffff
	v_cmp_lt_u32_e64 s[4:5], s4, v15
	s_mov_b64 s[48:49], 0
                                        ; implicit-def: $vgpr15
	s_and_saveexec_b64 s[50:51], s[4:5]
	s_xor_b64 s[4:5], exec, s[50:51]
	s_cbranch_execz .LBB254_2838
; %bb.1015:
	v_bfe_u32 v14, v10, 21, 1
	s_mov_b32 s33, 0x88fffff
	v_add3_u32 v14, v10, v14, s33
	s_mov_b64 s[48:49], exec
	v_lshrrev_b32_e32 v15, 21, v14
	s_andn2_saveexec_b64 s[50:51], s[4:5]
	s_cbranch_execnz .LBB254_2839
.LBB254_1016:
	s_or_b64 exec, exec, s[50:51]
	v_mov_b32_e32 v14, 0
	s_and_saveexec_b64 s[4:5], s[48:49]
.LBB254_1017:
	v_lshrrev_b32_e32 v10, 24, v10
	s_movk_i32 s33, 0x80
	v_and_or_b32 v14, v10, s33, v15
.LBB254_1018:
	s_or_b64 exec, exec, s[4:5]
.LBB254_1019:
	s_or_b64 exec, exec, s[44:45]
	s_mov_b64 s[44:45], exec
	s_xor_b64 s[48:49], exec, -1
.LBB254_1020:
	s_or_b64 exec, exec, s[42:43]
	s_and_b64 s[44:45], s[44:45], exec
	s_and_b64 s[42:43], s[48:49], exec
.LBB254_1021:
	s_andn2_saveexec_b64 s[46:47], s[46:47]
	s_cbranch_execz .LBB254_1031
; %bb.1022:
	v_cmp_eq_u16_e64 s[4:5], 44, v3
	s_mov_b64 s[50:51], -1
	s_mov_b64 s[52:53], s[44:45]
                                        ; implicit-def: $vgpr14
	s_and_saveexec_b64 s[48:49], s[4:5]
	s_cbranch_execz .LBB254_1030
; %bb.1023:
	flat_load_ubyte v10, v[12:13]
	s_movk_i32 s4, 0xff
	v_mov_b32_e32 v14, 0x7f800001
	v_mov_b32_e32 v15, 0x400000
	s_mov_b32 s33, 0x47800000
	s_waitcnt vmcnt(0) lgkmcnt(0)
	v_lshlrev_b32_e32 v16, 23, v10
	v_cmp_ne_u32_e64 s[4:5], s4, v10
	v_cndmask_b32_e64 v14, v14, v16, s[4:5]
	v_cmp_ne_u32_e64 s[4:5], 0, v10
	v_cndmask_b32_e64 v15, v15, v14, s[4:5]
	v_cmp_gt_u32_e64 s[4:5], s33, v15
	v_mov_b32_e32 v14, 0x80
	s_and_saveexec_b64 s[50:51], s[4:5]
	s_cbranch_execz .LBB254_1029
; %bb.1024:
	s_mov_b32 s4, 0x37ffffff
	v_cmp_lt_u32_e64 s[4:5], s4, v15
	s_mov_b64 s[52:53], 0
                                        ; implicit-def: $vgpr10
	s_and_saveexec_b64 s[54:55], s[4:5]
	s_xor_b64 s[4:5], exec, s[54:55]
	s_cbranch_execz .LBB254_2840
; %bb.1025:
	v_bfe_u32 v10, v15, 21, 1
	s_mov_b32 s33, 0x88fffff
	v_add3_u32 v10, v15, v10, s33
	s_mov_b64 s[52:53], exec
	v_lshrrev_b32_e32 v10, 21, v10
                                        ; implicit-def: $vgpr15
	s_andn2_saveexec_b64 s[54:55], s[4:5]
	s_cbranch_execnz .LBB254_2841
.LBB254_1026:
	s_or_b64 exec, exec, s[54:55]
	v_mov_b32_e32 v14, 0
	s_and_saveexec_b64 s[4:5], s[52:53]
.LBB254_1027:
	v_mov_b32_e32 v14, v10
.LBB254_1028:
	s_or_b64 exec, exec, s[4:5]
.LBB254_1029:
	s_or_b64 exec, exec, s[50:51]
	s_or_b64 s[52:53], s[44:45], exec
	s_xor_b64 s[50:51], exec, -1
.LBB254_1030:
	s_or_b64 exec, exec, s[48:49]
	s_andn2_b64 s[4:5], s[44:45], exec
	s_and_b64 s[44:45], s[52:53], exec
	s_or_b64 s[44:45], s[4:5], s[44:45]
	s_andn2_b64 s[4:5], s[42:43], exec
	s_and_b64 s[42:43], s[50:51], exec
	s_or_b64 s[42:43], s[4:5], s[42:43]
.LBB254_1031:
	s_or_b64 exec, exec, s[46:47]
	s_and_b64 s[46:47], s[44:45], exec
	s_and_b64 s[44:45], s[42:43], exec
.LBB254_1032:
	s_andn2_saveexec_b64 s[40:41], s[40:41]
	s_cbranch_execz .LBB254_1042
; %bb.1033:
	v_cmp_eq_u16_e64 s[4:5], 29, v3
	s_mov_b64 s[48:49], -1
	s_mov_b64 s[50:51], s[46:47]
                                        ; implicit-def: $vgpr14
	s_and_saveexec_b64 s[42:43], s[4:5]
	s_cbranch_execz .LBB254_1041
; %bb.1034:
	flat_load_dwordx2 v[14:15], v[12:13]
	s_mov_b32 s4, 0x47800000
	s_waitcnt vmcnt(0) lgkmcnt(0)
	v_ffbh_u32_e32 v10, v15
	v_min_u32_e32 v10, 32, v10
	v_lshlrev_b64 v[14:15], v10, v[14:15]
	v_sub_u32_e32 v10, 32, v10
	v_min_u32_e32 v14, 1, v14
	v_or_b32_e32 v14, v15, v14
	v_cvt_f32_u32_e32 v14, v14
	v_ldexp_f32 v15, v14, v10
	v_cmp_gt_u32_e64 s[4:5], s4, v15
	v_mov_b32_e32 v14, 0x80
	s_and_saveexec_b64 s[48:49], s[4:5]
	s_cbranch_execz .LBB254_1040
; %bb.1035:
	s_mov_b32 s4, 0x37ffffff
	v_cmp_lt_u32_e64 s[4:5], s4, v15
	s_mov_b64 s[50:51], 0
                                        ; implicit-def: $vgpr10
	s_and_saveexec_b64 s[52:53], s[4:5]
	s_xor_b64 s[4:5], exec, s[52:53]
	s_cbranch_execz .LBB254_2755
; %bb.1036:
	v_bfe_u32 v10, v15, 21, 1
	s_mov_b32 s33, 0x88fffff
	v_add3_u32 v10, v15, v10, s33
	s_mov_b64 s[50:51], exec
	v_lshrrev_b32_e32 v10, 21, v10
                                        ; implicit-def: $vgpr15
	s_andn2_saveexec_b64 s[52:53], s[4:5]
	s_cbranch_execnz .LBB254_2756
.LBB254_1037:
	s_or_b64 exec, exec, s[52:53]
	v_mov_b32_e32 v14, 0
	s_and_saveexec_b64 s[4:5], s[50:51]
.LBB254_1038:
	v_mov_b32_e32 v14, v10
.LBB254_1039:
	s_or_b64 exec, exec, s[4:5]
.LBB254_1040:
	s_or_b64 exec, exec, s[48:49]
	s_or_b64 s[50:51], s[46:47], exec
	s_xor_b64 s[48:49], exec, -1
.LBB254_1041:
	s_or_b64 exec, exec, s[42:43]
	s_andn2_b64 s[4:5], s[46:47], exec
	s_and_b64 s[42:43], s[50:51], exec
	s_or_b64 s[46:47], s[4:5], s[42:43]
	s_andn2_b64 s[4:5], s[44:45], exec
	s_and_b64 s[42:43], s[48:49], exec
	s_or_b64 s[44:45], s[4:5], s[42:43]
.LBB254_1042:
	s_or_b64 exec, exec, s[40:41]
	s_and_b64 s[42:43], s[46:47], exec
	s_and_b64 s[40:41], s[44:45], exec
.LBB254_1043:
	s_andn2_saveexec_b64 s[38:39], s[38:39]
	s_cbranch_execz .LBB254_1077
; %bb.1044:
	v_cmp_lt_i16_e64 s[4:5], 26, v3
                                        ; implicit-def: $vgpr14
	s_and_saveexec_b64 s[44:45], s[4:5]
	s_xor_b64 s[44:45], exec, s[44:45]
	s_cbranch_execz .LBB254_1062
; %bb.1045:
	v_cmp_lt_i16_e64 s[4:5], 27, v3
                                        ; implicit-def: $vgpr14
	s_and_saveexec_b64 s[46:47], s[4:5]
	s_xor_b64 s[46:47], exec, s[46:47]
	s_cbranch_execz .LBB254_1053
; %bb.1046:
	flat_load_dword v10, v[12:13]
	s_mov_b32 s4, 0x47800000
	v_mov_b32_e32 v14, 0x80
	s_waitcnt vmcnt(0) lgkmcnt(0)
	v_cvt_f32_u32_e32 v15, v10
	v_cmp_gt_u32_e64 s[4:5], s4, v15
	s_and_saveexec_b64 s[48:49], s[4:5]
	s_cbranch_execz .LBB254_1052
; %bb.1047:
	s_mov_b32 s4, 0x37ffffff
	v_cmp_lt_u32_e64 s[4:5], s4, v15
	s_mov_b64 s[50:51], 0
                                        ; implicit-def: $vgpr10
	s_and_saveexec_b64 s[52:53], s[4:5]
	s_xor_b64 s[4:5], exec, s[52:53]
	s_cbranch_execz .LBB254_2757
; %bb.1048:
	v_bfe_u32 v10, v15, 21, 1
	s_mov_b32 s33, 0x88fffff
	v_add3_u32 v10, v15, v10, s33
	s_mov_b64 s[50:51], exec
	v_lshrrev_b32_e32 v10, 21, v10
                                        ; implicit-def: $vgpr15
	s_andn2_saveexec_b64 s[52:53], s[4:5]
	s_cbranch_execnz .LBB254_2758
.LBB254_1049:
	s_or_b64 exec, exec, s[52:53]
	v_mov_b32_e32 v14, 0
	s_and_saveexec_b64 s[4:5], s[50:51]
.LBB254_1050:
	v_mov_b32_e32 v14, v10
.LBB254_1051:
	s_or_b64 exec, exec, s[4:5]
.LBB254_1052:
	s_or_b64 exec, exec, s[48:49]
.LBB254_1053:
	s_andn2_saveexec_b64 s[46:47], s[46:47]
	s_cbranch_execz .LBB254_1061
; %bb.1054:
	flat_load_ushort v10, v[12:13]
	s_mov_b32 s4, 0x47800000
	v_mov_b32_e32 v14, 0x80
	s_waitcnt vmcnt(0) lgkmcnt(0)
	v_cvt_f32_u32_e32 v15, v10
	v_cmp_gt_u32_e64 s[4:5], s4, v15
	s_and_saveexec_b64 s[48:49], s[4:5]
	s_cbranch_execz .LBB254_1060
; %bb.1055:
	s_mov_b32 s4, 0x37ffffff
	v_cmp_lt_u32_e64 s[4:5], s4, v15
	s_mov_b64 s[50:51], 0
                                        ; implicit-def: $vgpr10
	s_and_saveexec_b64 s[52:53], s[4:5]
	s_xor_b64 s[4:5], exec, s[52:53]
	s_cbranch_execz .LBB254_2759
; %bb.1056:
	v_bfe_u32 v10, v15, 21, 1
	s_mov_b32 s33, 0x88fffff
	v_add3_u32 v10, v15, v10, s33
	s_mov_b64 s[50:51], exec
	v_lshrrev_b32_e32 v10, 21, v10
                                        ; implicit-def: $vgpr15
	s_andn2_saveexec_b64 s[52:53], s[4:5]
	s_cbranch_execnz .LBB254_2760
.LBB254_1057:
	s_or_b64 exec, exec, s[52:53]
	v_mov_b32_e32 v14, 0
	s_and_saveexec_b64 s[4:5], s[50:51]
.LBB254_1058:
	v_mov_b32_e32 v14, v10
.LBB254_1059:
	s_or_b64 exec, exec, s[4:5]
.LBB254_1060:
	s_or_b64 exec, exec, s[48:49]
.LBB254_1061:
	s_or_b64 exec, exec, s[46:47]
.LBB254_1062:
	s_andn2_saveexec_b64 s[44:45], s[44:45]
	s_cbranch_execz .LBB254_1076
; %bb.1063:
	flat_load_ubyte v14, v[12:13]
	s_movk_i32 s4, 0x7f
	s_mov_b64 s[46:47], 0
	s_waitcnt vmcnt(0) lgkmcnt(0)
	v_cmp_lt_i16_e64 s[4:5], s4, v14
	s_and_saveexec_b64 s[48:49], s[4:5]
	s_xor_b64 s[48:49], exec, s[48:49]
	s_cbranch_execz .LBB254_2607
; %bb.1064:
	s_movk_i32 s4, 0x80
	v_cmp_eq_u16_e64 s[4:5], s4, v14
	s_mov_b64 s[46:47], -1
	s_and_saveexec_b64 s[50:51], s[4:5]
; %bb.1065:
	s_xor_b64 s[46:47], exec, -1
; %bb.1066:
	s_or_b64 exec, exec, s[50:51]
	s_and_b64 s[46:47], s[46:47], exec
	s_or_saveexec_b64 s[48:49], s[48:49]
	v_mov_b32_e32 v10, 0x7f800001
	s_xor_b64 exec, exec, s[48:49]
	s_cbranch_execnz .LBB254_2608
.LBB254_1067:
	s_or_b64 exec, exec, s[48:49]
	s_and_saveexec_b64 s[48:49], s[46:47]
	s_cbranch_execz .LBB254_1069
.LBB254_1068:
	v_lshlrev_b32_e32 v10, 24, v14
	v_and_b32_e32 v14, 0xffff, v14
	v_and_b32_e32 v15, 7, v14
	v_ffbh_u32_e32 v17, v15
	v_min_u32_e32 v17, 32, v17
	v_subrev_u32_e32 v18, 28, v17
	v_bfe_u32 v16, v14, 3, 4
	v_lshlrev_b32_e32 v14, v18, v14
	v_sub_u32_e32 v17, 29, v17
	v_and_b32_e32 v14, 7, v14
	v_cmp_eq_u32_e64 s[4:5], 0, v16
	v_cndmask_b32_e64 v16, v16, v17, s[4:5]
	v_cndmask_b32_e64 v14, v15, v14, s[4:5]
	v_mov_b32_e32 v15, 0x3b800000
	v_lshlrev_b32_e32 v14, 20, v14
	v_and_b32_e32 v10, 0x80000000, v10
	v_lshl_add_u32 v15, v16, 23, v15
	v_or3_b32 v10, v10, v15, v14
.LBB254_1069:
	s_or_b64 exec, exec, s[48:49]
	v_and_b32_e32 v15, 0x7fffffff, v10
	s_mov_b32 s4, 0x47800000
	v_cmp_gt_u32_e64 s[4:5], s4, v15
	v_mov_b32_e32 v14, 0x80
	s_and_saveexec_b64 s[46:47], s[4:5]
	s_cbranch_execz .LBB254_1075
; %bb.1070:
	s_mov_b32 s4, 0x37ffffff
	v_cmp_lt_u32_e64 s[4:5], s4, v15
	s_mov_b64 s[48:49], 0
                                        ; implicit-def: $vgpr15
	s_and_saveexec_b64 s[50:51], s[4:5]
	s_xor_b64 s[4:5], exec, s[50:51]
	s_cbranch_execz .LBB254_2678
; %bb.1071:
	v_bfe_u32 v14, v10, 21, 1
	s_mov_b32 s33, 0x88fffff
	v_add3_u32 v14, v10, v14, s33
	s_mov_b64 s[48:49], exec
	v_lshrrev_b32_e32 v15, 21, v14
	s_andn2_saveexec_b64 s[50:51], s[4:5]
	s_cbranch_execnz .LBB254_2679
.LBB254_1072:
	s_or_b64 exec, exec, s[50:51]
	v_mov_b32_e32 v14, 0
	s_and_saveexec_b64 s[4:5], s[48:49]
.LBB254_1073:
	v_lshrrev_b32_e32 v10, 24, v10
	s_movk_i32 s33, 0x80
	v_and_or_b32 v14, v10, s33, v15
.LBB254_1074:
	s_or_b64 exec, exec, s[4:5]
.LBB254_1075:
	s_or_b64 exec, exec, s[46:47]
.LBB254_1076:
	s_or_b64 exec, exec, s[44:45]
	s_or_b64 s[42:43], s[42:43], exec
.LBB254_1077:
	s_or_b64 exec, exec, s[38:39]
	s_and_b64 s[38:39], s[42:43], exec
	s_and_b64 s[40:41], s[40:41], exec
	s_andn2_saveexec_b64 s[36:37], s[36:37]
	s_cbranch_execnz .LBB254_2363
.LBB254_1078:
	s_or_b64 exec, exec, s[36:37]
	s_mov_b64 s[36:37], s[24:25]
	s_and_saveexec_b64 s[4:5], s[40:41]
	s_cbranch_execnz .LBB254_2400
.LBB254_1079:
	s_or_b64 exec, exec, s[4:5]
	s_and_saveexec_b64 s[4:5], s[28:29]
	s_xor_b64 s[28:29], exec, s[4:5]
	s_cbranch_execz .LBB254_1087
.LBB254_1080:
	flat_load_ubyte v10, v[12:13]
	s_mov_b32 s33, 0x47800000
	s_waitcnt vmcnt(0) lgkmcnt(0)
	v_mov_b32_e32 v14, 0x80
	v_cmp_ne_u16_e64 s[4:5], 0, v10
	v_cndmask_b32_e64 v12, 0, 1.0, s[4:5]
	v_cmp_gt_u32_e64 s[4:5], s33, v12
	s_and_saveexec_b64 s[40:41], s[4:5]
	s_cbranch_execz .LBB254_1086
; %bb.1081:
	s_mov_b32 s4, 0x37ffffff
	v_cmp_lt_u32_e64 s[4:5], s4, v12
	s_mov_b64 s[42:43], 0
                                        ; implicit-def: $vgpr10
	s_and_saveexec_b64 s[44:45], s[4:5]
	s_xor_b64 s[4:5], exec, s[44:45]
	s_cbranch_execz .LBB254_2518
; %bb.1082:
	v_bfe_u32 v10, v12, 21, 1
	s_mov_b32 s33, 0x88fffff
	v_add3_u32 v10, v12, v10, s33
	s_mov_b64 s[42:43], exec
	v_lshrrev_b32_e32 v10, 21, v10
                                        ; implicit-def: $vgpr12
	s_andn2_saveexec_b64 s[44:45], s[4:5]
	s_cbranch_execnz .LBB254_2519
.LBB254_1083:
	s_or_b64 exec, exec, s[44:45]
	v_mov_b32_e32 v14, 0
	s_and_saveexec_b64 s[4:5], s[42:43]
.LBB254_1084:
	v_mov_b32_e32 v14, v10
.LBB254_1085:
	s_or_b64 exec, exec, s[4:5]
.LBB254_1086:
	s_or_b64 exec, exec, s[40:41]
	s_or_b64 s[38:39], s[38:39], exec
.LBB254_1087:
	s_or_b64 exec, exec, s[28:29]
	s_andn2_b64 s[4:5], s[24:25], exec
	s_and_b64 s[28:29], s[36:37], exec
	s_or_b64 s[28:29], s[4:5], s[28:29]
	s_and_b64 s[36:37], s[38:39], exec
                                        ; implicit-def: $vgpr12_vgpr13
.LBB254_1088:
	s_andn2_saveexec_b64 s[34:35], s[34:35]
	s_cbranch_execz .LBB254_1196
; %bb.1089:
	v_cmp_lt_i16_e64 s[4:5], 4, v3
                                        ; implicit-def: $vgpr14
	s_and_saveexec_b64 s[38:39], s[4:5]
	s_xor_b64 s[38:39], exec, s[38:39]
	s_cbranch_execz .LBB254_1147
; %bb.1090:
	v_cmp_lt_i16_e64 s[4:5], 7, v3
                                        ; implicit-def: $vgpr14
	s_and_saveexec_b64 s[40:41], s[4:5]
	s_xor_b64 s[40:41], exec, s[40:41]
	;; [unrolled: 6-line block ×4, first 2 shown]
	s_cbranch_execz .LBB254_1100
; %bb.1093:
	flat_load_dwordx2 v[12:13], v[12:13]
	s_mov_b32 s4, 0x47800000
	s_waitcnt vmcnt(0) lgkmcnt(0)
	v_mov_b32_e32 v14, 0x80
	v_cvt_f32_f64_e32 v10, v[12:13]
	v_and_b32_e32 v12, 0x7fffffff, v10
	v_cmp_gt_u32_e64 s[4:5], s4, v12
	s_and_saveexec_b64 s[46:47], s[4:5]
	s_cbranch_execz .LBB254_1099
; %bb.1094:
	s_mov_b32 s4, 0x37ffffff
	v_cmp_lt_u32_e64 s[4:5], s4, v12
	s_mov_b64 s[48:49], 0
                                        ; implicit-def: $vgpr12
	s_and_saveexec_b64 s[50:51], s[4:5]
	s_xor_b64 s[4:5], exec, s[50:51]
	s_cbranch_execz .LBB254_2761
; %bb.1095:
	v_bfe_u32 v12, v10, 21, 1
	s_mov_b32 s33, 0x88fffff
	v_add3_u32 v12, v10, v12, s33
	s_mov_b64 s[48:49], exec
	v_lshrrev_b32_e32 v12, 21, v12
	s_andn2_saveexec_b64 s[50:51], s[4:5]
	s_cbranch_execnz .LBB254_2762
.LBB254_1096:
	s_or_b64 exec, exec, s[50:51]
	v_mov_b32_e32 v14, 0
	s_and_saveexec_b64 s[4:5], s[48:49]
.LBB254_1097:
	v_lshrrev_b32_e32 v10, 24, v10
	s_movk_i32 s33, 0x80
	v_and_or_b32 v14, v10, s33, v12
.LBB254_1098:
	s_or_b64 exec, exec, s[4:5]
.LBB254_1099:
	s_or_b64 exec, exec, s[46:47]
                                        ; implicit-def: $vgpr12_vgpr13
.LBB254_1100:
	s_andn2_saveexec_b64 s[44:45], s[44:45]
	s_cbranch_execz .LBB254_1108
; %bb.1101:
	flat_load_dword v10, v[12:13]
	s_mov_b32 s4, 0x47800000
	s_waitcnt vmcnt(0) lgkmcnt(0)
	v_mov_b32_e32 v14, 0x80
	v_and_b32_e32 v12, 0x7fffffff, v10
	v_cmp_gt_u32_e64 s[4:5], s4, v12
	s_and_saveexec_b64 s[46:47], s[4:5]
	s_cbranch_execz .LBB254_1107
; %bb.1102:
	s_mov_b32 s4, 0x37ffffff
	v_cmp_lt_u32_e64 s[4:5], s4, v12
	s_mov_b64 s[48:49], 0
                                        ; implicit-def: $vgpr12
	s_and_saveexec_b64 s[50:51], s[4:5]
	s_xor_b64 s[4:5], exec, s[50:51]
	s_cbranch_execz .LBB254_2763
; %bb.1103:
	v_bfe_u32 v12, v10, 21, 1
	s_mov_b32 s33, 0x88fffff
	v_add3_u32 v12, v10, v12, s33
	s_mov_b64 s[48:49], exec
	v_lshrrev_b32_e32 v12, 21, v12
	s_andn2_saveexec_b64 s[50:51], s[4:5]
	s_cbranch_execnz .LBB254_2764
.LBB254_1104:
	s_or_b64 exec, exec, s[50:51]
	v_mov_b32_e32 v14, 0
	s_and_saveexec_b64 s[4:5], s[48:49]
.LBB254_1105:
	v_lshrrev_b32_e32 v10, 24, v10
	s_movk_i32 s33, 0x80
	v_and_or_b32 v14, v10, s33, v12
.LBB254_1106:
	s_or_b64 exec, exec, s[4:5]
.LBB254_1107:
	s_or_b64 exec, exec, s[46:47]
.LBB254_1108:
	s_or_b64 exec, exec, s[44:45]
                                        ; implicit-def: $vgpr12_vgpr13
.LBB254_1109:
	s_andn2_saveexec_b64 s[42:43], s[42:43]
	s_cbranch_execz .LBB254_1117
; %bb.1110:
	flat_load_dword v10, v[12:13]
	s_mov_b32 s4, 0x47800000
	s_waitcnt vmcnt(0) lgkmcnt(0)
	v_mov_b32_e32 v14, 0x80
	v_cvt_f32_f16_e32 v10, v10
	v_and_b32_e32 v12, 0x7fffffff, v10
	v_cmp_gt_u32_e64 s[4:5], s4, v12
	s_and_saveexec_b64 s[44:45], s[4:5]
	s_cbranch_execz .LBB254_1116
; %bb.1111:
	s_mov_b32 s4, 0x37ffffff
	v_cmp_lt_u32_e64 s[4:5], s4, v12
	s_mov_b64 s[46:47], 0
                                        ; implicit-def: $vgpr12
	s_and_saveexec_b64 s[48:49], s[4:5]
	s_xor_b64 s[4:5], exec, s[48:49]
	s_cbranch_execz .LBB254_2680
; %bb.1112:
	v_bfe_u32 v12, v10, 21, 1
	s_mov_b32 s33, 0x88fffff
	v_add3_u32 v12, v10, v12, s33
	s_mov_b64 s[46:47], exec
	v_lshrrev_b32_e32 v12, 21, v12
	s_andn2_saveexec_b64 s[48:49], s[4:5]
	s_cbranch_execnz .LBB254_2681
.LBB254_1113:
	s_or_b64 exec, exec, s[48:49]
	v_mov_b32_e32 v14, 0
	s_and_saveexec_b64 s[4:5], s[46:47]
.LBB254_1114:
	v_lshrrev_b32_e32 v10, 24, v10
	s_movk_i32 s33, 0x80
	v_and_or_b32 v14, v10, s33, v12
.LBB254_1115:
	s_or_b64 exec, exec, s[4:5]
.LBB254_1116:
	s_or_b64 exec, exec, s[44:45]
.LBB254_1117:
	s_or_b64 exec, exec, s[42:43]
                                        ; implicit-def: $vgpr12_vgpr13
.LBB254_1118:
	s_andn2_saveexec_b64 s[40:41], s[40:41]
	s_cbranch_execz .LBB254_1146
; %bb.1119:
	v_cmp_lt_i16_e64 s[4:5], 5, v3
                                        ; implicit-def: $vgpr14
	s_and_saveexec_b64 s[42:43], s[4:5]
	s_xor_b64 s[42:43], exec, s[42:43]
	s_cbranch_execz .LBB254_1137
; %bb.1120:
	v_cmp_lt_i16_e64 s[4:5], 6, v3
                                        ; implicit-def: $vgpr14
	s_and_saveexec_b64 s[44:45], s[4:5]
	s_xor_b64 s[44:45], exec, s[44:45]
	s_cbranch_execz .LBB254_1128
; %bb.1121:
	flat_load_dwordx2 v[12:13], v[12:13]
	s_mov_b32 s4, 0x47800000
	s_waitcnt vmcnt(0) lgkmcnt(0)
	v_mov_b32_e32 v14, 0x80
	v_cvt_f32_f64_e32 v10, v[12:13]
	v_and_b32_e32 v12, 0x7fffffff, v10
	v_cmp_gt_u32_e64 s[4:5], s4, v12
	s_and_saveexec_b64 s[46:47], s[4:5]
	s_cbranch_execz .LBB254_1127
; %bb.1122:
	s_mov_b32 s4, 0x37ffffff
	v_cmp_lt_u32_e64 s[4:5], s4, v12
	s_mov_b64 s[48:49], 0
                                        ; implicit-def: $vgpr12
	s_and_saveexec_b64 s[50:51], s[4:5]
	s_xor_b64 s[4:5], exec, s[50:51]
	s_cbranch_execz .LBB254_2765
; %bb.1123:
	v_bfe_u32 v12, v10, 21, 1
	s_mov_b32 s33, 0x88fffff
	v_add3_u32 v12, v10, v12, s33
	s_mov_b64 s[48:49], exec
	v_lshrrev_b32_e32 v12, 21, v12
	s_andn2_saveexec_b64 s[50:51], s[4:5]
	s_cbranch_execnz .LBB254_2766
.LBB254_1124:
	s_or_b64 exec, exec, s[50:51]
	v_mov_b32_e32 v14, 0
	s_and_saveexec_b64 s[4:5], s[48:49]
.LBB254_1125:
	v_lshrrev_b32_e32 v10, 24, v10
	s_movk_i32 s33, 0x80
	v_and_or_b32 v14, v10, s33, v12
.LBB254_1126:
	s_or_b64 exec, exec, s[4:5]
.LBB254_1127:
	s_or_b64 exec, exec, s[46:47]
                                        ; implicit-def: $vgpr12_vgpr13
.LBB254_1128:
	s_andn2_saveexec_b64 s[44:45], s[44:45]
	s_cbranch_execz .LBB254_1136
; %bb.1129:
	flat_load_dword v10, v[12:13]
	s_mov_b32 s4, 0x47800000
	s_waitcnt vmcnt(0) lgkmcnt(0)
	v_mov_b32_e32 v14, 0x80
	v_and_b32_e32 v12, 0x7fffffff, v10
	v_cmp_gt_u32_e64 s[4:5], s4, v12
	s_and_saveexec_b64 s[46:47], s[4:5]
	s_cbranch_execz .LBB254_1135
; %bb.1130:
	s_mov_b32 s4, 0x37ffffff
	v_cmp_lt_u32_e64 s[4:5], s4, v12
	s_mov_b64 s[48:49], 0
                                        ; implicit-def: $vgpr12
	s_and_saveexec_b64 s[50:51], s[4:5]
	s_xor_b64 s[4:5], exec, s[50:51]
	s_cbranch_execz .LBB254_2767
; %bb.1131:
	v_bfe_u32 v12, v10, 21, 1
	s_mov_b32 s33, 0x88fffff
	v_add3_u32 v12, v10, v12, s33
	s_mov_b64 s[48:49], exec
	v_lshrrev_b32_e32 v12, 21, v12
	s_andn2_saveexec_b64 s[50:51], s[4:5]
	s_cbranch_execnz .LBB254_2768
.LBB254_1132:
	s_or_b64 exec, exec, s[50:51]
	v_mov_b32_e32 v14, 0
	s_and_saveexec_b64 s[4:5], s[48:49]
.LBB254_1133:
	v_lshrrev_b32_e32 v10, 24, v10
	s_movk_i32 s33, 0x80
	v_and_or_b32 v14, v10, s33, v12
.LBB254_1134:
	s_or_b64 exec, exec, s[4:5]
.LBB254_1135:
	s_or_b64 exec, exec, s[46:47]
.LBB254_1136:
	s_or_b64 exec, exec, s[44:45]
                                        ; implicit-def: $vgpr12_vgpr13
.LBB254_1137:
	s_andn2_saveexec_b64 s[42:43], s[42:43]
	s_cbranch_execz .LBB254_1145
; %bb.1138:
	flat_load_ushort v10, v[12:13]
	s_mov_b32 s4, 0x47800000
	s_waitcnt vmcnt(0) lgkmcnt(0)
	v_mov_b32_e32 v14, 0x80
	v_cvt_f32_f16_e32 v10, v10
	v_and_b32_e32 v12, 0x7fffffff, v10
	v_cmp_gt_u32_e64 s[4:5], s4, v12
	s_and_saveexec_b64 s[44:45], s[4:5]
	s_cbranch_execz .LBB254_1144
; %bb.1139:
	s_mov_b32 s4, 0x37ffffff
	v_cmp_lt_u32_e64 s[4:5], s4, v12
	s_mov_b64 s[46:47], 0
                                        ; implicit-def: $vgpr12
	s_and_saveexec_b64 s[48:49], s[4:5]
	s_xor_b64 s[4:5], exec, s[48:49]
	s_cbranch_execz .LBB254_2682
; %bb.1140:
	v_bfe_u32 v12, v10, 21, 1
	s_mov_b32 s33, 0x88fffff
	v_add3_u32 v12, v10, v12, s33
	s_mov_b64 s[46:47], exec
	v_lshrrev_b32_e32 v12, 21, v12
	s_andn2_saveexec_b64 s[48:49], s[4:5]
	s_cbranch_execnz .LBB254_2683
.LBB254_1141:
	s_or_b64 exec, exec, s[48:49]
	v_mov_b32_e32 v14, 0
	s_and_saveexec_b64 s[4:5], s[46:47]
.LBB254_1142:
	v_lshrrev_b32_e32 v10, 24, v10
	s_movk_i32 s33, 0x80
	v_and_or_b32 v14, v10, s33, v12
.LBB254_1143:
	s_or_b64 exec, exec, s[4:5]
.LBB254_1144:
	s_or_b64 exec, exec, s[44:45]
.LBB254_1145:
	s_or_b64 exec, exec, s[42:43]
.LBB254_1146:
	s_or_b64 exec, exec, s[40:41]
                                        ; implicit-def: $vgpr12_vgpr13
.LBB254_1147:
	s_andn2_saveexec_b64 s[38:39], s[38:39]
	s_cbranch_execz .LBB254_1195
; %bb.1148:
	v_cmp_lt_i16_e64 s[4:5], 1, v3
                                        ; implicit-def: $vgpr14
	s_and_saveexec_b64 s[40:41], s[4:5]
	s_xor_b64 s[40:41], exec, s[40:41]
	s_cbranch_execz .LBB254_1176
; %bb.1149:
	v_cmp_lt_i16_e64 s[4:5], 2, v3
                                        ; implicit-def: $vgpr14
	s_and_saveexec_b64 s[42:43], s[4:5]
	s_xor_b64 s[42:43], exec, s[42:43]
	;; [unrolled: 6-line block ×3, first 2 shown]
	s_cbranch_execz .LBB254_1158
; %bb.1151:
	flat_load_dwordx2 v[12:13], v[12:13]
	s_mov_b32 s4, 0x47800000
	s_waitcnt vmcnt(0) lgkmcnt(0)
	v_xor_b32_e32 v14, v12, v13
	v_ffbh_i32_e32 v10, v13
	v_ashrrev_i32_e32 v14, 31, v14
	v_add_u32_e32 v10, -1, v10
	v_add_u32_e32 v14, 32, v14
	v_min_u32_e32 v10, v10, v14
	v_lshlrev_b64 v[12:13], v10, v[12:13]
	v_sub_u32_e32 v10, 32, v10
	v_min_u32_e32 v12, 1, v12
	v_or_b32_e32 v12, v13, v12
	v_cvt_f32_i32_e32 v12, v12
	v_mov_b32_e32 v14, 0x80
	v_ldexp_f32 v10, v12, v10
	v_and_b32_e32 v12, 0x7fffffff, v10
	v_cmp_gt_u32_e64 s[4:5], s4, v12
	s_and_saveexec_b64 s[46:47], s[4:5]
	s_cbranch_execz .LBB254_1157
; %bb.1152:
	s_mov_b32 s4, 0x37ffffff
	v_cmp_lt_u32_e64 s[4:5], s4, v12
	s_mov_b64 s[48:49], 0
                                        ; implicit-def: $vgpr12
	s_and_saveexec_b64 s[50:51], s[4:5]
	s_xor_b64 s[4:5], exec, s[50:51]
	s_cbranch_execz .LBB254_2769
; %bb.1153:
	v_bfe_u32 v12, v10, 21, 1
	s_mov_b32 s33, 0x88fffff
	v_add3_u32 v12, v10, v12, s33
	s_mov_b64 s[48:49], exec
	v_lshrrev_b32_e32 v12, 21, v12
	s_andn2_saveexec_b64 s[50:51], s[4:5]
	s_cbranch_execnz .LBB254_2770
.LBB254_1154:
	s_or_b64 exec, exec, s[50:51]
	v_mov_b32_e32 v14, 0
	s_and_saveexec_b64 s[4:5], s[48:49]
.LBB254_1155:
	v_lshrrev_b32_e32 v10, 24, v10
	s_movk_i32 s33, 0x80
	v_and_or_b32 v14, v10, s33, v12
.LBB254_1156:
	s_or_b64 exec, exec, s[4:5]
.LBB254_1157:
	s_or_b64 exec, exec, s[46:47]
                                        ; implicit-def: $vgpr12_vgpr13
.LBB254_1158:
	s_andn2_saveexec_b64 s[44:45], s[44:45]
	s_cbranch_execz .LBB254_1166
; %bb.1159:
	flat_load_dword v10, v[12:13]
	s_mov_b32 s4, 0x47800000
	s_waitcnt vmcnt(0) lgkmcnt(0)
	v_mov_b32_e32 v14, 0x80
	v_cvt_f32_i32_e32 v10, v10
	v_and_b32_e32 v12, 0x7fffffff, v10
	v_cmp_gt_u32_e64 s[4:5], s4, v12
	s_and_saveexec_b64 s[46:47], s[4:5]
	s_cbranch_execz .LBB254_1165
; %bb.1160:
	s_mov_b32 s4, 0x37ffffff
	v_cmp_lt_u32_e64 s[4:5], s4, v12
	s_mov_b64 s[48:49], 0
                                        ; implicit-def: $vgpr12
	s_and_saveexec_b64 s[50:51], s[4:5]
	s_xor_b64 s[4:5], exec, s[50:51]
	s_cbranch_execz .LBB254_2771
; %bb.1161:
	v_bfe_u32 v12, v10, 21, 1
	s_mov_b32 s33, 0x88fffff
	v_add3_u32 v12, v10, v12, s33
	s_mov_b64 s[48:49], exec
	v_lshrrev_b32_e32 v12, 21, v12
	s_andn2_saveexec_b64 s[50:51], s[4:5]
	s_cbranch_execnz .LBB254_2772
.LBB254_1162:
	s_or_b64 exec, exec, s[50:51]
	v_mov_b32_e32 v14, 0
	s_and_saveexec_b64 s[4:5], s[48:49]
.LBB254_1163:
	v_lshrrev_b32_e32 v10, 24, v10
	s_movk_i32 s33, 0x80
	v_and_or_b32 v14, v10, s33, v12
.LBB254_1164:
	s_or_b64 exec, exec, s[4:5]
.LBB254_1165:
	s_or_b64 exec, exec, s[46:47]
.LBB254_1166:
	s_or_b64 exec, exec, s[44:45]
                                        ; implicit-def: $vgpr12_vgpr13
.LBB254_1167:
	s_andn2_saveexec_b64 s[42:43], s[42:43]
	s_cbranch_execz .LBB254_1175
; %bb.1168:
	flat_load_sshort v10, v[12:13]
	s_mov_b32 s4, 0x47800000
	s_waitcnt vmcnt(0) lgkmcnt(0)
	v_mov_b32_e32 v14, 0x80
	v_cvt_f32_i32_e32 v10, v10
	v_and_b32_e32 v12, 0x7fffffff, v10
	v_cmp_gt_u32_e64 s[4:5], s4, v12
	s_and_saveexec_b64 s[44:45], s[4:5]
	s_cbranch_execz .LBB254_1174
; %bb.1169:
	s_mov_b32 s4, 0x37ffffff
	v_cmp_lt_u32_e64 s[4:5], s4, v12
	s_mov_b64 s[46:47], 0
                                        ; implicit-def: $vgpr12
	s_and_saveexec_b64 s[48:49], s[4:5]
	s_xor_b64 s[4:5], exec, s[48:49]
	s_cbranch_execz .LBB254_2684
; %bb.1170:
	v_bfe_u32 v12, v10, 21, 1
	s_mov_b32 s33, 0x88fffff
	v_add3_u32 v12, v10, v12, s33
	s_mov_b64 s[46:47], exec
	v_lshrrev_b32_e32 v12, 21, v12
	s_andn2_saveexec_b64 s[48:49], s[4:5]
	s_cbranch_execnz .LBB254_2685
.LBB254_1171:
	s_or_b64 exec, exec, s[48:49]
	v_mov_b32_e32 v14, 0
	s_and_saveexec_b64 s[4:5], s[46:47]
.LBB254_1172:
	v_lshrrev_b32_e32 v10, 24, v10
	s_movk_i32 s33, 0x80
	v_and_or_b32 v14, v10, s33, v12
.LBB254_1173:
	s_or_b64 exec, exec, s[4:5]
.LBB254_1174:
	s_or_b64 exec, exec, s[44:45]
.LBB254_1175:
	s_or_b64 exec, exec, s[42:43]
                                        ; implicit-def: $vgpr12_vgpr13
.LBB254_1176:
	s_andn2_saveexec_b64 s[40:41], s[40:41]
	s_cbranch_execz .LBB254_1194
; %bb.1177:
	v_cmp_lt_i16_e64 s[4:5], 0, v3
                                        ; implicit-def: $vgpr14
	s_and_saveexec_b64 s[42:43], s[4:5]
	s_xor_b64 s[42:43], exec, s[42:43]
	s_cbranch_execz .LBB254_1185
; %bb.1178:
	flat_load_sbyte v10, v[12:13]
	s_mov_b32 s4, 0x47800000
	s_waitcnt vmcnt(0) lgkmcnt(0)
	v_mov_b32_e32 v14, 0x80
	v_cvt_f32_i32_e32 v10, v10
	v_and_b32_e32 v12, 0x7fffffff, v10
	v_cmp_gt_u32_e64 s[4:5], s4, v12
	s_and_saveexec_b64 s[44:45], s[4:5]
	s_cbranch_execz .LBB254_1184
; %bb.1179:
	s_mov_b32 s4, 0x37ffffff
	v_cmp_lt_u32_e64 s[4:5], s4, v12
	s_mov_b64 s[46:47], 0
                                        ; implicit-def: $vgpr12
	s_and_saveexec_b64 s[48:49], s[4:5]
	s_xor_b64 s[4:5], exec, s[48:49]
	s_cbranch_execz .LBB254_2686
; %bb.1180:
	v_bfe_u32 v12, v10, 21, 1
	s_mov_b32 s33, 0x88fffff
	v_add3_u32 v12, v10, v12, s33
	s_mov_b64 s[46:47], exec
	v_lshrrev_b32_e32 v12, 21, v12
	s_andn2_saveexec_b64 s[48:49], s[4:5]
	s_cbranch_execnz .LBB254_2687
.LBB254_1181:
	s_or_b64 exec, exec, s[48:49]
	v_mov_b32_e32 v14, 0
	s_and_saveexec_b64 s[4:5], s[46:47]
.LBB254_1182:
	v_lshrrev_b32_e32 v10, 24, v10
	s_movk_i32 s33, 0x80
	v_and_or_b32 v14, v10, s33, v12
.LBB254_1183:
	s_or_b64 exec, exec, s[4:5]
.LBB254_1184:
	s_or_b64 exec, exec, s[44:45]
                                        ; implicit-def: $vgpr12_vgpr13
.LBB254_1185:
	s_andn2_saveexec_b64 s[42:43], s[42:43]
	s_cbranch_execz .LBB254_1193
; %bb.1186:
	flat_load_ubyte v10, v[12:13]
	s_mov_b32 s4, 0x47800000
	s_waitcnt vmcnt(0) lgkmcnt(0)
	v_mov_b32_e32 v14, 0x80
	v_cvt_f32_ubyte0_e32 v12, v10
	v_cmp_gt_u32_e64 s[4:5], s4, v12
	s_and_saveexec_b64 s[44:45], s[4:5]
	s_cbranch_execz .LBB254_1192
; %bb.1187:
	s_mov_b32 s4, 0x37ffffff
	v_cmp_lt_u32_e64 s[4:5], s4, v12
	s_mov_b64 s[46:47], 0
                                        ; implicit-def: $vgpr10
	s_and_saveexec_b64 s[48:49], s[4:5]
	s_xor_b64 s[4:5], exec, s[48:49]
	s_cbranch_execz .LBB254_2688
; %bb.1188:
	v_bfe_u32 v10, v12, 21, 1
	s_mov_b32 s33, 0x88fffff
	v_add3_u32 v10, v12, v10, s33
	s_mov_b64 s[46:47], exec
	v_lshrrev_b32_e32 v10, 21, v10
                                        ; implicit-def: $vgpr12
	s_andn2_saveexec_b64 s[48:49], s[4:5]
	s_cbranch_execnz .LBB254_2689
.LBB254_1189:
	s_or_b64 exec, exec, s[48:49]
	v_mov_b32_e32 v14, 0
	s_and_saveexec_b64 s[4:5], s[46:47]
.LBB254_1190:
	v_mov_b32_e32 v14, v10
.LBB254_1191:
	s_or_b64 exec, exec, s[4:5]
.LBB254_1192:
	s_or_b64 exec, exec, s[44:45]
.LBB254_1193:
	s_or_b64 exec, exec, s[42:43]
.LBB254_1194:
	s_or_b64 exec, exec, s[40:41]
.LBB254_1195:
	s_or_b64 exec, exec, s[38:39]
	s_or_b64 s[36:37], s[36:37], exec
.LBB254_1196:
	s_or_b64 exec, exec, s[34:35]
	s_mov_b64 s[4:5], 0
	s_mov_b64 s[38:39], 0
                                        ; implicit-def: $sgpr48_sgpr49
                                        ; implicit-def: $vgpr21_vgpr22
                                        ; implicit-def: $vgpr16
	s_and_saveexec_b64 s[34:35], s[36:37]
	s_cbranch_execz .LBB254_2121
; %bb.1197:
	v_add_co_u32_e64 v10, s[4:5], v5, v11
	v_addc_co_u32_e64 v11, s[4:5], 0, v24, s[4:5]
	v_cmp_lt_i16_e64 s[4:5], 10, v1
	s_mov_b64 s[40:41], 0
	s_mov_b64 s[36:37], s[28:29]
                                        ; implicit-def: $vgpr12
	s_and_saveexec_b64 s[38:39], s[4:5]
	s_xor_b64 s[38:39], exec, s[38:39]
	s_cbranch_execz .LBB254_1278
; %bb.1198:
	v_cmp_lt_i16_e64 s[4:5], 25, v1
	s_mov_b64 s[36:37], 0
	s_mov_b64 s[44:45], 0
	;; [unrolled: 1-line block ×3, first 2 shown]
                                        ; implicit-def: $vgpr12
	s_and_saveexec_b64 s[40:41], s[4:5]
	s_xor_b64 s[40:41], exec, s[40:41]
	s_cbranch_execz .LBB254_2437
; %bb.1199:
	v_cmp_lt_i16_e64 s[4:5], 28, v1
	s_mov_b64 s[46:47], 0
                                        ; implicit-def: $vgpr12
	s_and_saveexec_b64 s[42:43], s[4:5]
	s_xor_b64 s[42:43], exec, s[42:43]
	s_cbranch_execz .LBB254_1233
; %bb.1200:
	v_cmp_lt_i16_e64 s[4:5], 43, v1
	s_mov_b64 s[48:49], 0
	s_mov_b64 s[50:51], 0
                                        ; implicit-def: $vgpr12
	s_and_saveexec_b64 s[44:45], s[4:5]
	s_xor_b64 s[44:45], exec, s[44:45]
	s_cbranch_execz .LBB254_1222
; %bb.1201:
	v_cmp_lt_i16_e64 s[4:5], 45, v1
                                        ; implicit-def: $vgpr12
	s_and_saveexec_b64 s[50:51], s[4:5]
	s_xor_b64 s[50:51], exec, s[50:51]
	s_cbranch_execz .LBB254_1211
; %bb.1202:
	v_cmp_eq_u16_e64 s[4:5], 46, v1
	s_mov_b64 s[52:53], -1
                                        ; implicit-def: $vgpr12
	s_and_saveexec_b64 s[46:47], s[4:5]
	s_cbranch_execz .LBB254_1210
; %bb.1203:
	flat_load_dword v12, v[10:11]
	s_mov_b32 s4, 0x47800000
	s_waitcnt vmcnt(0) lgkmcnt(0)
	v_lshlrev_b32_e32 v13, 16, v12
	v_and_b32_e32 v15, 0x7fffffff, v13
	v_cmp_gt_u32_e64 s[4:5], s4, v15
	v_mov_b32_e32 v12, 0x80
	s_and_saveexec_b64 s[48:49], s[4:5]
	s_cbranch_execz .LBB254_1209
; %bb.1204:
	s_mov_b32 s4, 0x37ffffff
	v_cmp_lt_u32_e64 s[4:5], s4, v15
	s_mov_b64 s[52:53], 0
                                        ; implicit-def: $vgpr15
	s_and_saveexec_b64 s[54:55], s[4:5]
	s_xor_b64 s[4:5], exec, s[54:55]
	s_cbranch_execz .LBB254_2923
; %bb.1205:
	v_bfe_u32 v12, v13, 21, 1
	s_mov_b32 s33, 0x88fffff
	v_add3_u32 v12, v13, v12, s33
	s_mov_b64 s[52:53], exec
	v_lshrrev_b32_e32 v15, 21, v12
	s_andn2_saveexec_b64 s[54:55], s[4:5]
	s_cbranch_execnz .LBB254_2924
.LBB254_1206:
	s_or_b64 exec, exec, s[54:55]
	v_mov_b32_e32 v12, 0
	s_and_saveexec_b64 s[4:5], s[52:53]
.LBB254_1207:
	v_lshrrev_b32_e32 v12, 24, v13
	s_movk_i32 s33, 0x80
	v_and_or_b32 v12, v12, s33, v15
.LBB254_1208:
	s_or_b64 exec, exec, s[4:5]
.LBB254_1209:
	s_or_b64 exec, exec, s[48:49]
	s_mov_b64 s[48:49], exec
	s_xor_b64 s[52:53], exec, -1
.LBB254_1210:
	s_or_b64 exec, exec, s[46:47]
	s_and_b64 s[48:49], s[48:49], exec
	s_and_b64 s[46:47], s[52:53], exec
.LBB254_1211:
	s_andn2_saveexec_b64 s[50:51], s[50:51]
	s_cbranch_execz .LBB254_1221
; %bb.1212:
	v_cmp_eq_u16_e64 s[4:5], 44, v1
	s_mov_b64 s[54:55], -1
	s_mov_b64 s[56:57], s[48:49]
                                        ; implicit-def: $vgpr12
	s_and_saveexec_b64 s[52:53], s[4:5]
	s_cbranch_execz .LBB254_1220
; %bb.1213:
	flat_load_ubyte v12, v[10:11]
	s_movk_i32 s4, 0xff
	v_mov_b32_e32 v13, 0x7f800001
	v_mov_b32_e32 v15, 0x400000
	s_mov_b32 s33, 0x47800000
	s_waitcnt vmcnt(0) lgkmcnt(0)
	v_lshlrev_b32_e32 v16, 23, v12
	v_cmp_ne_u32_e64 s[4:5], s4, v12
	v_cndmask_b32_e64 v13, v13, v16, s[4:5]
	v_cmp_ne_u32_e64 s[4:5], 0, v12
	v_cndmask_b32_e64 v15, v15, v13, s[4:5]
	v_cmp_gt_u32_e64 s[4:5], s33, v15
	v_mov_b32_e32 v12, 0x80
	s_and_saveexec_b64 s[54:55], s[4:5]
	s_cbranch_execz .LBB254_1219
; %bb.1214:
	s_mov_b32 s4, 0x37ffffff
	v_cmp_lt_u32_e64 s[4:5], s4, v15
	s_mov_b64 s[56:57], 0
                                        ; implicit-def: $vgpr13
	s_and_saveexec_b64 s[58:59], s[4:5]
	s_xor_b64 s[4:5], exec, s[58:59]
	s_cbranch_execz .LBB254_2925
; %bb.1215:
	v_bfe_u32 v12, v15, 21, 1
	s_mov_b32 s33, 0x88fffff
	v_add3_u32 v12, v15, v12, s33
	s_mov_b64 s[56:57], exec
	v_lshrrev_b32_e32 v13, 21, v12
                                        ; implicit-def: $vgpr15
	s_andn2_saveexec_b64 s[58:59], s[4:5]
	s_cbranch_execnz .LBB254_2926
.LBB254_1216:
	s_or_b64 exec, exec, s[58:59]
	v_mov_b32_e32 v12, 0
	s_and_saveexec_b64 s[4:5], s[56:57]
.LBB254_1217:
	v_mov_b32_e32 v12, v13
.LBB254_1218:
	s_or_b64 exec, exec, s[4:5]
.LBB254_1219:
	s_or_b64 exec, exec, s[54:55]
	s_or_b64 s[56:57], s[48:49], exec
	s_xor_b64 s[54:55], exec, -1
.LBB254_1220:
	s_or_b64 exec, exec, s[52:53]
	s_andn2_b64 s[4:5], s[48:49], exec
	s_and_b64 s[48:49], s[56:57], exec
	s_or_b64 s[48:49], s[4:5], s[48:49]
	s_andn2_b64 s[4:5], s[46:47], exec
	s_and_b64 s[46:47], s[54:55], exec
	s_or_b64 s[46:47], s[4:5], s[46:47]
.LBB254_1221:
	s_or_b64 exec, exec, s[50:51]
	s_and_b64 s[50:51], s[48:49], exec
	s_and_b64 s[48:49], s[46:47], exec
.LBB254_1222:
	s_andn2_saveexec_b64 s[44:45], s[44:45]
	s_cbranch_execz .LBB254_1232
; %bb.1223:
	v_cmp_eq_u16_e64 s[4:5], 29, v1
	s_mov_b64 s[52:53], -1
	s_mov_b64 s[54:55], s[50:51]
                                        ; implicit-def: $vgpr12
	s_and_saveexec_b64 s[46:47], s[4:5]
	s_cbranch_execz .LBB254_1231
; %bb.1224:
	flat_load_dwordx2 v[12:13], v[10:11]
	s_mov_b32 s4, 0x47800000
	s_waitcnt vmcnt(0) lgkmcnt(0)
	v_ffbh_u32_e32 v15, v13
	v_min_u32_e32 v15, 32, v15
	v_lshlrev_b64 v[12:13], v15, v[12:13]
	v_min_u32_e32 v12, 1, v12
	v_or_b32_e32 v12, v13, v12
	v_cvt_f32_u32_e32 v12, v12
	v_sub_u32_e32 v13, 32, v15
	v_ldexp_f32 v15, v12, v13
	v_cmp_gt_u32_e64 s[4:5], s4, v15
	v_mov_b32_e32 v12, 0x80
	s_and_saveexec_b64 s[52:53], s[4:5]
	s_cbranch_execz .LBB254_1230
; %bb.1225:
	s_mov_b32 s4, 0x37ffffff
	v_cmp_lt_u32_e64 s[4:5], s4, v15
	s_mov_b64 s[54:55], 0
                                        ; implicit-def: $vgpr13
	s_and_saveexec_b64 s[56:57], s[4:5]
	s_xor_b64 s[4:5], exec, s[56:57]
	s_cbranch_execz .LBB254_2842
; %bb.1226:
	v_bfe_u32 v12, v15, 21, 1
	s_mov_b32 s33, 0x88fffff
	v_add3_u32 v12, v15, v12, s33
	s_mov_b64 s[54:55], exec
	v_lshrrev_b32_e32 v13, 21, v12
                                        ; implicit-def: $vgpr15
	s_andn2_saveexec_b64 s[56:57], s[4:5]
	s_cbranch_execnz .LBB254_2843
.LBB254_1227:
	s_or_b64 exec, exec, s[56:57]
	v_mov_b32_e32 v12, 0
	s_and_saveexec_b64 s[4:5], s[54:55]
.LBB254_1228:
	v_mov_b32_e32 v12, v13
.LBB254_1229:
	s_or_b64 exec, exec, s[4:5]
.LBB254_1230:
	s_or_b64 exec, exec, s[52:53]
	s_or_b64 s[54:55], s[50:51], exec
	s_xor_b64 s[52:53], exec, -1
.LBB254_1231:
	s_or_b64 exec, exec, s[46:47]
	s_andn2_b64 s[4:5], s[50:51], exec
	s_and_b64 s[46:47], s[54:55], exec
	s_or_b64 s[50:51], s[4:5], s[46:47]
	s_andn2_b64 s[4:5], s[48:49], exec
	s_and_b64 s[46:47], s[52:53], exec
	s_or_b64 s[48:49], s[4:5], s[46:47]
.LBB254_1232:
	s_or_b64 exec, exec, s[44:45]
	s_and_b64 s[46:47], s[50:51], exec
	s_and_b64 s[44:45], s[48:49], exec
.LBB254_1233:
	s_andn2_saveexec_b64 s[42:43], s[42:43]
	s_cbranch_execz .LBB254_1267
; %bb.1234:
	v_cmp_lt_i16_e64 s[4:5], 26, v1
                                        ; implicit-def: $vgpr12
	s_and_saveexec_b64 s[48:49], s[4:5]
	s_xor_b64 s[48:49], exec, s[48:49]
	s_cbranch_execz .LBB254_1252
; %bb.1235:
	v_cmp_lt_i16_e64 s[4:5], 27, v1
                                        ; implicit-def: $vgpr12
	s_and_saveexec_b64 s[50:51], s[4:5]
	s_xor_b64 s[50:51], exec, s[50:51]
	s_cbranch_execz .LBB254_1243
; %bb.1236:
	flat_load_dword v12, v[10:11]
	s_mov_b32 s4, 0x47800000
	s_waitcnt vmcnt(0) lgkmcnt(0)
	v_cvt_f32_u32_e32 v15, v12
	v_mov_b32_e32 v12, 0x80
	v_cmp_gt_u32_e64 s[4:5], s4, v15
	s_and_saveexec_b64 s[52:53], s[4:5]
	s_cbranch_execz .LBB254_1242
; %bb.1237:
	s_mov_b32 s4, 0x37ffffff
	v_cmp_lt_u32_e64 s[4:5], s4, v15
	s_mov_b64 s[54:55], 0
                                        ; implicit-def: $vgpr13
	s_and_saveexec_b64 s[56:57], s[4:5]
	s_xor_b64 s[4:5], exec, s[56:57]
	s_cbranch_execz .LBB254_2844
; %bb.1238:
	v_bfe_u32 v12, v15, 21, 1
	s_mov_b32 s33, 0x88fffff
	v_add3_u32 v12, v15, v12, s33
	s_mov_b64 s[54:55], exec
	v_lshrrev_b32_e32 v13, 21, v12
                                        ; implicit-def: $vgpr15
	s_andn2_saveexec_b64 s[56:57], s[4:5]
	s_cbranch_execnz .LBB254_2845
.LBB254_1239:
	s_or_b64 exec, exec, s[56:57]
	v_mov_b32_e32 v12, 0
	s_and_saveexec_b64 s[4:5], s[54:55]
.LBB254_1240:
	v_mov_b32_e32 v12, v13
.LBB254_1241:
	s_or_b64 exec, exec, s[4:5]
.LBB254_1242:
	s_or_b64 exec, exec, s[52:53]
.LBB254_1243:
	s_andn2_saveexec_b64 s[50:51], s[50:51]
	s_cbranch_execz .LBB254_1251
; %bb.1244:
	flat_load_ushort v12, v[10:11]
	s_mov_b32 s4, 0x47800000
	s_waitcnt vmcnt(0) lgkmcnt(0)
	v_cvt_f32_u32_e32 v15, v12
	v_mov_b32_e32 v12, 0x80
	v_cmp_gt_u32_e64 s[4:5], s4, v15
	s_and_saveexec_b64 s[52:53], s[4:5]
	s_cbranch_execz .LBB254_1250
; %bb.1245:
	s_mov_b32 s4, 0x37ffffff
	v_cmp_lt_u32_e64 s[4:5], s4, v15
	s_mov_b64 s[54:55], 0
                                        ; implicit-def: $vgpr13
	s_and_saveexec_b64 s[56:57], s[4:5]
	s_xor_b64 s[4:5], exec, s[56:57]
	s_cbranch_execz .LBB254_2846
; %bb.1246:
	v_bfe_u32 v12, v15, 21, 1
	s_mov_b32 s33, 0x88fffff
	v_add3_u32 v12, v15, v12, s33
	s_mov_b64 s[54:55], exec
	v_lshrrev_b32_e32 v13, 21, v12
                                        ; implicit-def: $vgpr15
	s_andn2_saveexec_b64 s[56:57], s[4:5]
	s_cbranch_execnz .LBB254_2847
.LBB254_1247:
	s_or_b64 exec, exec, s[56:57]
	v_mov_b32_e32 v12, 0
	s_and_saveexec_b64 s[4:5], s[54:55]
.LBB254_1248:
	v_mov_b32_e32 v12, v13
.LBB254_1249:
	s_or_b64 exec, exec, s[4:5]
.LBB254_1250:
	s_or_b64 exec, exec, s[52:53]
.LBB254_1251:
	s_or_b64 exec, exec, s[50:51]
.LBB254_1252:
	s_andn2_saveexec_b64 s[48:49], s[48:49]
	s_cbranch_execz .LBB254_1266
; %bb.1253:
	flat_load_ubyte v12, v[10:11]
	s_movk_i32 s4, 0x7f
	s_mov_b64 s[50:51], 0
	s_waitcnt vmcnt(0) lgkmcnt(0)
	v_cmp_lt_i16_e64 s[4:5], s4, v12
	s_and_saveexec_b64 s[52:53], s[4:5]
	s_xor_b64 s[52:53], exec, s[52:53]
	s_cbranch_execz .LBB254_2690
; %bb.1254:
	s_movk_i32 s4, 0x80
	v_cmp_eq_u16_e64 s[4:5], s4, v12
	s_mov_b64 s[50:51], -1
	s_and_saveexec_b64 s[54:55], s[4:5]
; %bb.1255:
	s_xor_b64 s[50:51], exec, -1
; %bb.1256:
	s_or_b64 exec, exec, s[54:55]
	s_and_b64 s[50:51], s[50:51], exec
	s_or_saveexec_b64 s[52:53], s[52:53]
	v_mov_b32_e32 v13, 0x7f800001
	s_xor_b64 exec, exec, s[52:53]
	s_cbranch_execnz .LBB254_2691
.LBB254_1257:
	s_or_b64 exec, exec, s[52:53]
	s_and_saveexec_b64 s[52:53], s[50:51]
	s_cbranch_execz .LBB254_1259
.LBB254_1258:
	v_lshlrev_b32_e32 v13, 24, v12
	v_and_b32_e32 v12, 0xffff, v12
	v_and_b32_e32 v15, 7, v12
	v_ffbh_u32_e32 v17, v15
	v_min_u32_e32 v17, 32, v17
	v_subrev_u32_e32 v18, 28, v17
	v_bfe_u32 v16, v12, 3, 4
	v_lshlrev_b32_e32 v12, v18, v12
	v_sub_u32_e32 v17, 29, v17
	v_and_b32_e32 v12, 7, v12
	v_cmp_eq_u32_e64 s[4:5], 0, v16
	v_cndmask_b32_e64 v16, v16, v17, s[4:5]
	v_cndmask_b32_e64 v12, v15, v12, s[4:5]
	v_mov_b32_e32 v15, 0x3b800000
	v_lshlrev_b32_e32 v12, 20, v12
	v_and_b32_e32 v13, 0x80000000, v13
	v_lshl_add_u32 v15, v16, 23, v15
	v_or3_b32 v13, v13, v15, v12
.LBB254_1259:
	s_or_b64 exec, exec, s[52:53]
	v_and_b32_e32 v15, 0x7fffffff, v13
	s_mov_b32 s4, 0x47800000
	v_cmp_gt_u32_e64 s[4:5], s4, v15
	v_mov_b32_e32 v12, 0x80
	s_and_saveexec_b64 s[50:51], s[4:5]
	s_cbranch_execz .LBB254_1265
; %bb.1260:
	s_mov_b32 s4, 0x37ffffff
	v_cmp_lt_u32_e64 s[4:5], s4, v15
	s_mov_b64 s[52:53], 0
                                        ; implicit-def: $vgpr15
	s_and_saveexec_b64 s[54:55], s[4:5]
	s_xor_b64 s[4:5], exec, s[54:55]
	s_cbranch_execz .LBB254_2773
; %bb.1261:
	v_bfe_u32 v12, v13, 21, 1
	s_mov_b32 s33, 0x88fffff
	v_add3_u32 v12, v13, v12, s33
	s_mov_b64 s[52:53], exec
	v_lshrrev_b32_e32 v15, 21, v12
	s_andn2_saveexec_b64 s[54:55], s[4:5]
	s_cbranch_execnz .LBB254_2774
.LBB254_1262:
	s_or_b64 exec, exec, s[54:55]
	v_mov_b32_e32 v12, 0
	s_and_saveexec_b64 s[4:5], s[52:53]
.LBB254_1263:
	v_lshrrev_b32_e32 v12, 24, v13
	s_movk_i32 s33, 0x80
	v_and_or_b32 v12, v12, s33, v15
.LBB254_1264:
	s_or_b64 exec, exec, s[4:5]
.LBB254_1265:
	s_or_b64 exec, exec, s[50:51]
.LBB254_1266:
	s_or_b64 exec, exec, s[48:49]
	s_or_b64 s[46:47], s[46:47], exec
.LBB254_1267:
	s_or_b64 exec, exec, s[42:43]
	s_and_b64 s[42:43], s[46:47], exec
	s_and_b64 s[44:45], s[44:45], exec
	s_andn2_saveexec_b64 s[40:41], s[40:41]
	s_cbranch_execnz .LBB254_2438
.LBB254_1268:
	s_or_b64 exec, exec, s[40:41]
	s_mov_b64 s[40:41], s[28:29]
	s_and_saveexec_b64 s[4:5], s[44:45]
	s_cbranch_execnz .LBB254_2475
.LBB254_1269:
	s_or_b64 exec, exec, s[4:5]
	s_and_saveexec_b64 s[4:5], s[36:37]
	s_xor_b64 s[36:37], exec, s[4:5]
	s_cbranch_execz .LBB254_1277
.LBB254_1270:
	flat_load_ubyte v10, v[10:11]
	s_mov_b32 s33, 0x47800000
	s_waitcnt vmcnt(0) lgkmcnt(0)
	v_mov_b32_e32 v12, 0x80
	v_cmp_ne_u16_e64 s[4:5], 0, v10
	v_cndmask_b32_e64 v11, 0, 1.0, s[4:5]
	v_cmp_gt_u32_e64 s[4:5], s33, v11
	s_and_saveexec_b64 s[44:45], s[4:5]
	s_cbranch_execz .LBB254_1276
; %bb.1271:
	s_mov_b32 s4, 0x37ffffff
	v_cmp_lt_u32_e64 s[4:5], s4, v11
	s_mov_b64 s[46:47], 0
                                        ; implicit-def: $vgpr10
	s_and_saveexec_b64 s[48:49], s[4:5]
	s_xor_b64 s[4:5], exec, s[48:49]
	s_cbranch_execz .LBB254_2609
; %bb.1272:
	v_bfe_u32 v10, v11, 21, 1
	s_mov_b32 s33, 0x88fffff
	v_add3_u32 v10, v11, v10, s33
	s_mov_b64 s[46:47], exec
	v_lshrrev_b32_e32 v10, 21, v10
                                        ; implicit-def: $vgpr11
	s_andn2_saveexec_b64 s[48:49], s[4:5]
	s_cbranch_execnz .LBB254_2610
.LBB254_1273:
	s_or_b64 exec, exec, s[48:49]
	v_mov_b32_e32 v12, 0
	s_and_saveexec_b64 s[4:5], s[46:47]
.LBB254_1274:
	v_mov_b32_e32 v12, v10
.LBB254_1275:
	s_or_b64 exec, exec, s[4:5]
.LBB254_1276:
	s_or_b64 exec, exec, s[44:45]
	s_or_b64 s[42:43], s[42:43], exec
.LBB254_1277:
	s_or_b64 exec, exec, s[36:37]
	s_andn2_b64 s[4:5], s[28:29], exec
	s_and_b64 s[36:37], s[40:41], exec
	s_or_b64 s[36:37], s[4:5], s[36:37]
	s_and_b64 s[40:41], s[42:43], exec
                                        ; implicit-def: $vgpr10_vgpr11
.LBB254_1278:
	s_andn2_saveexec_b64 s[38:39], s[38:39]
	s_cbranch_execz .LBB254_1386
; %bb.1279:
	v_cmp_lt_i16_e64 s[4:5], 4, v1
                                        ; implicit-def: $vgpr12
	s_and_saveexec_b64 s[42:43], s[4:5]
	s_xor_b64 s[42:43], exec, s[42:43]
	s_cbranch_execz .LBB254_1337
; %bb.1280:
	v_cmp_lt_i16_e64 s[4:5], 7, v1
                                        ; implicit-def: $vgpr12
	s_and_saveexec_b64 s[44:45], s[4:5]
	s_xor_b64 s[44:45], exec, s[44:45]
	;; [unrolled: 6-line block ×4, first 2 shown]
	s_cbranch_execz .LBB254_1290
; %bb.1283:
	flat_load_dwordx2 v[10:11], v[10:11]
	s_mov_b32 s4, 0x47800000
	s_waitcnt vmcnt(0) lgkmcnt(0)
	v_mov_b32_e32 v12, 0x80
	v_cvt_f32_f64_e32 v10, v[10:11]
	v_and_b32_e32 v11, 0x7fffffff, v10
	v_cmp_gt_u32_e64 s[4:5], s4, v11
	s_and_saveexec_b64 s[50:51], s[4:5]
	s_cbranch_execz .LBB254_1289
; %bb.1284:
	s_mov_b32 s4, 0x37ffffff
	v_cmp_lt_u32_e64 s[4:5], s4, v11
	s_mov_b64 s[52:53], 0
                                        ; implicit-def: $vgpr11
	s_and_saveexec_b64 s[54:55], s[4:5]
	s_xor_b64 s[4:5], exec, s[54:55]
	s_cbranch_execz .LBB254_2848
; %bb.1285:
	v_bfe_u32 v11, v10, 21, 1
	s_mov_b32 s33, 0x88fffff
	v_add3_u32 v11, v10, v11, s33
	s_mov_b64 s[52:53], exec
	v_lshrrev_b32_e32 v11, 21, v11
	s_andn2_saveexec_b64 s[54:55], s[4:5]
	s_cbranch_execnz .LBB254_2849
.LBB254_1286:
	s_or_b64 exec, exec, s[54:55]
	v_mov_b32_e32 v12, 0
	s_and_saveexec_b64 s[4:5], s[52:53]
.LBB254_1287:
	v_lshrrev_b32_e32 v10, 24, v10
	s_movk_i32 s33, 0x80
	v_and_or_b32 v12, v10, s33, v11
.LBB254_1288:
	s_or_b64 exec, exec, s[4:5]
.LBB254_1289:
	s_or_b64 exec, exec, s[50:51]
                                        ; implicit-def: $vgpr10_vgpr11
.LBB254_1290:
	s_andn2_saveexec_b64 s[48:49], s[48:49]
	s_cbranch_execz .LBB254_1298
; %bb.1291:
	flat_load_dword v10, v[10:11]
	s_mov_b32 s4, 0x47800000
	s_waitcnt vmcnt(0) lgkmcnt(0)
	v_mov_b32_e32 v12, 0x80
	v_and_b32_e32 v11, 0x7fffffff, v10
	v_cmp_gt_u32_e64 s[4:5], s4, v11
	s_and_saveexec_b64 s[50:51], s[4:5]
	s_cbranch_execz .LBB254_1297
; %bb.1292:
	s_mov_b32 s4, 0x37ffffff
	v_cmp_lt_u32_e64 s[4:5], s4, v11
	s_mov_b64 s[52:53], 0
                                        ; implicit-def: $vgpr11
	s_and_saveexec_b64 s[54:55], s[4:5]
	s_xor_b64 s[4:5], exec, s[54:55]
	s_cbranch_execz .LBB254_2850
; %bb.1293:
	v_bfe_u32 v11, v10, 21, 1
	s_mov_b32 s33, 0x88fffff
	v_add3_u32 v11, v10, v11, s33
	s_mov_b64 s[52:53], exec
	v_lshrrev_b32_e32 v11, 21, v11
	s_andn2_saveexec_b64 s[54:55], s[4:5]
	s_cbranch_execnz .LBB254_2851
.LBB254_1294:
	s_or_b64 exec, exec, s[54:55]
	v_mov_b32_e32 v12, 0
	s_and_saveexec_b64 s[4:5], s[52:53]
.LBB254_1295:
	v_lshrrev_b32_e32 v10, 24, v10
	s_movk_i32 s33, 0x80
	v_and_or_b32 v12, v10, s33, v11
.LBB254_1296:
	s_or_b64 exec, exec, s[4:5]
.LBB254_1297:
	s_or_b64 exec, exec, s[50:51]
.LBB254_1298:
	s_or_b64 exec, exec, s[48:49]
                                        ; implicit-def: $vgpr10_vgpr11
.LBB254_1299:
	s_andn2_saveexec_b64 s[46:47], s[46:47]
	s_cbranch_execz .LBB254_1307
; %bb.1300:
	flat_load_dword v10, v[10:11]
	s_mov_b32 s4, 0x47800000
	s_waitcnt vmcnt(0) lgkmcnt(0)
	v_mov_b32_e32 v12, 0x80
	v_cvt_f32_f16_e32 v10, v10
	v_and_b32_e32 v11, 0x7fffffff, v10
	v_cmp_gt_u32_e64 s[4:5], s4, v11
	s_and_saveexec_b64 s[48:49], s[4:5]
	s_cbranch_execz .LBB254_1306
; %bb.1301:
	s_mov_b32 s4, 0x37ffffff
	v_cmp_lt_u32_e64 s[4:5], s4, v11
	s_mov_b64 s[50:51], 0
                                        ; implicit-def: $vgpr11
	s_and_saveexec_b64 s[52:53], s[4:5]
	s_xor_b64 s[4:5], exec, s[52:53]
	s_cbranch_execz .LBB254_2775
; %bb.1302:
	v_bfe_u32 v11, v10, 21, 1
	s_mov_b32 s33, 0x88fffff
	v_add3_u32 v11, v10, v11, s33
	s_mov_b64 s[50:51], exec
	v_lshrrev_b32_e32 v11, 21, v11
	s_andn2_saveexec_b64 s[52:53], s[4:5]
	s_cbranch_execnz .LBB254_2776
.LBB254_1303:
	s_or_b64 exec, exec, s[52:53]
	v_mov_b32_e32 v12, 0
	s_and_saveexec_b64 s[4:5], s[50:51]
.LBB254_1304:
	v_lshrrev_b32_e32 v10, 24, v10
	s_movk_i32 s33, 0x80
	v_and_or_b32 v12, v10, s33, v11
.LBB254_1305:
	s_or_b64 exec, exec, s[4:5]
.LBB254_1306:
	s_or_b64 exec, exec, s[48:49]
.LBB254_1307:
	s_or_b64 exec, exec, s[46:47]
                                        ; implicit-def: $vgpr10_vgpr11
.LBB254_1308:
	s_andn2_saveexec_b64 s[44:45], s[44:45]
	s_cbranch_execz .LBB254_1336
; %bb.1309:
	v_cmp_lt_i16_e64 s[4:5], 5, v1
                                        ; implicit-def: $vgpr12
	s_and_saveexec_b64 s[46:47], s[4:5]
	s_xor_b64 s[46:47], exec, s[46:47]
	s_cbranch_execz .LBB254_1327
; %bb.1310:
	v_cmp_lt_i16_e64 s[4:5], 6, v1
                                        ; implicit-def: $vgpr12
	s_and_saveexec_b64 s[48:49], s[4:5]
	s_xor_b64 s[48:49], exec, s[48:49]
	s_cbranch_execz .LBB254_1318
; %bb.1311:
	flat_load_dwordx2 v[10:11], v[10:11]
	s_mov_b32 s4, 0x47800000
	s_waitcnt vmcnt(0) lgkmcnt(0)
	v_mov_b32_e32 v12, 0x80
	v_cvt_f32_f64_e32 v10, v[10:11]
	v_and_b32_e32 v11, 0x7fffffff, v10
	v_cmp_gt_u32_e64 s[4:5], s4, v11
	s_and_saveexec_b64 s[50:51], s[4:5]
	s_cbranch_execz .LBB254_1317
; %bb.1312:
	s_mov_b32 s4, 0x37ffffff
	v_cmp_lt_u32_e64 s[4:5], s4, v11
	s_mov_b64 s[52:53], 0
                                        ; implicit-def: $vgpr11
	s_and_saveexec_b64 s[54:55], s[4:5]
	s_xor_b64 s[4:5], exec, s[54:55]
	s_cbranch_execz .LBB254_2852
; %bb.1313:
	v_bfe_u32 v11, v10, 21, 1
	s_mov_b32 s33, 0x88fffff
	v_add3_u32 v11, v10, v11, s33
	s_mov_b64 s[52:53], exec
	v_lshrrev_b32_e32 v11, 21, v11
	s_andn2_saveexec_b64 s[54:55], s[4:5]
	s_cbranch_execnz .LBB254_2853
.LBB254_1314:
	s_or_b64 exec, exec, s[54:55]
	v_mov_b32_e32 v12, 0
	s_and_saveexec_b64 s[4:5], s[52:53]
.LBB254_1315:
	v_lshrrev_b32_e32 v10, 24, v10
	s_movk_i32 s33, 0x80
	v_and_or_b32 v12, v10, s33, v11
.LBB254_1316:
	s_or_b64 exec, exec, s[4:5]
.LBB254_1317:
	s_or_b64 exec, exec, s[50:51]
                                        ; implicit-def: $vgpr10_vgpr11
.LBB254_1318:
	s_andn2_saveexec_b64 s[48:49], s[48:49]
	s_cbranch_execz .LBB254_1326
; %bb.1319:
	flat_load_dword v10, v[10:11]
	s_mov_b32 s4, 0x47800000
	s_waitcnt vmcnt(0) lgkmcnt(0)
	v_mov_b32_e32 v12, 0x80
	v_and_b32_e32 v11, 0x7fffffff, v10
	v_cmp_gt_u32_e64 s[4:5], s4, v11
	s_and_saveexec_b64 s[50:51], s[4:5]
	s_cbranch_execz .LBB254_1325
; %bb.1320:
	s_mov_b32 s4, 0x37ffffff
	v_cmp_lt_u32_e64 s[4:5], s4, v11
	s_mov_b64 s[52:53], 0
                                        ; implicit-def: $vgpr11
	s_and_saveexec_b64 s[54:55], s[4:5]
	s_xor_b64 s[4:5], exec, s[54:55]
	s_cbranch_execz .LBB254_2854
; %bb.1321:
	v_bfe_u32 v11, v10, 21, 1
	s_mov_b32 s33, 0x88fffff
	v_add3_u32 v11, v10, v11, s33
	s_mov_b64 s[52:53], exec
	v_lshrrev_b32_e32 v11, 21, v11
	s_andn2_saveexec_b64 s[54:55], s[4:5]
	s_cbranch_execnz .LBB254_2855
.LBB254_1322:
	s_or_b64 exec, exec, s[54:55]
	v_mov_b32_e32 v12, 0
	s_and_saveexec_b64 s[4:5], s[52:53]
.LBB254_1323:
	v_lshrrev_b32_e32 v10, 24, v10
	s_movk_i32 s33, 0x80
	v_and_or_b32 v12, v10, s33, v11
.LBB254_1324:
	s_or_b64 exec, exec, s[4:5]
.LBB254_1325:
	s_or_b64 exec, exec, s[50:51]
.LBB254_1326:
	s_or_b64 exec, exec, s[48:49]
                                        ; implicit-def: $vgpr10_vgpr11
.LBB254_1327:
	s_andn2_saveexec_b64 s[46:47], s[46:47]
	s_cbranch_execz .LBB254_1335
; %bb.1328:
	flat_load_ushort v10, v[10:11]
	s_mov_b32 s4, 0x47800000
	s_waitcnt vmcnt(0) lgkmcnt(0)
	v_mov_b32_e32 v12, 0x80
	v_cvt_f32_f16_e32 v10, v10
	v_and_b32_e32 v11, 0x7fffffff, v10
	v_cmp_gt_u32_e64 s[4:5], s4, v11
	s_and_saveexec_b64 s[48:49], s[4:5]
	s_cbranch_execz .LBB254_1334
; %bb.1329:
	s_mov_b32 s4, 0x37ffffff
	v_cmp_lt_u32_e64 s[4:5], s4, v11
	s_mov_b64 s[50:51], 0
                                        ; implicit-def: $vgpr11
	s_and_saveexec_b64 s[52:53], s[4:5]
	s_xor_b64 s[4:5], exec, s[52:53]
	s_cbranch_execz .LBB254_2777
; %bb.1330:
	v_bfe_u32 v11, v10, 21, 1
	s_mov_b32 s33, 0x88fffff
	v_add3_u32 v11, v10, v11, s33
	s_mov_b64 s[50:51], exec
	v_lshrrev_b32_e32 v11, 21, v11
	s_andn2_saveexec_b64 s[52:53], s[4:5]
	s_cbranch_execnz .LBB254_2778
.LBB254_1331:
	s_or_b64 exec, exec, s[52:53]
	v_mov_b32_e32 v12, 0
	s_and_saveexec_b64 s[4:5], s[50:51]
.LBB254_1332:
	v_lshrrev_b32_e32 v10, 24, v10
	s_movk_i32 s33, 0x80
	v_and_or_b32 v12, v10, s33, v11
.LBB254_1333:
	s_or_b64 exec, exec, s[4:5]
.LBB254_1334:
	s_or_b64 exec, exec, s[48:49]
.LBB254_1335:
	s_or_b64 exec, exec, s[46:47]
.LBB254_1336:
	s_or_b64 exec, exec, s[44:45]
                                        ; implicit-def: $vgpr10_vgpr11
.LBB254_1337:
	s_andn2_saveexec_b64 s[42:43], s[42:43]
	s_cbranch_execz .LBB254_1385
; %bb.1338:
	v_cmp_lt_i16_e64 s[4:5], 1, v1
                                        ; implicit-def: $vgpr12
	s_and_saveexec_b64 s[44:45], s[4:5]
	s_xor_b64 s[44:45], exec, s[44:45]
	s_cbranch_execz .LBB254_1366
; %bb.1339:
	v_cmp_lt_i16_e64 s[4:5], 2, v1
                                        ; implicit-def: $vgpr12
	s_and_saveexec_b64 s[46:47], s[4:5]
	s_xor_b64 s[46:47], exec, s[46:47]
	;; [unrolled: 6-line block ×3, first 2 shown]
	s_cbranch_execz .LBB254_1348
; %bb.1341:
	flat_load_dwordx2 v[10:11], v[10:11]
	s_mov_b32 s4, 0x47800000
	s_waitcnt vmcnt(0) lgkmcnt(0)
	v_xor_b32_e32 v13, v10, v11
	v_ffbh_i32_e32 v12, v11
	v_ashrrev_i32_e32 v13, 31, v13
	v_add_u32_e32 v12, -1, v12
	v_add_u32_e32 v13, 32, v13
	v_min_u32_e32 v12, v12, v13
	v_lshlrev_b64 v[10:11], v12, v[10:11]
	v_min_u32_e32 v10, 1, v10
	v_or_b32_e32 v10, v11, v10
	v_cvt_f32_i32_e32 v10, v10
	v_sub_u32_e32 v11, 32, v12
	v_mov_b32_e32 v12, 0x80
	v_ldexp_f32 v10, v10, v11
	v_and_b32_e32 v11, 0x7fffffff, v10
	v_cmp_gt_u32_e64 s[4:5], s4, v11
	s_and_saveexec_b64 s[50:51], s[4:5]
	s_cbranch_execz .LBB254_1347
; %bb.1342:
	s_mov_b32 s4, 0x37ffffff
	v_cmp_lt_u32_e64 s[4:5], s4, v11
	s_mov_b64 s[52:53], 0
                                        ; implicit-def: $vgpr11
	s_and_saveexec_b64 s[54:55], s[4:5]
	s_xor_b64 s[4:5], exec, s[54:55]
	s_cbranch_execz .LBB254_2856
; %bb.1343:
	v_bfe_u32 v11, v10, 21, 1
	s_mov_b32 s33, 0x88fffff
	v_add3_u32 v11, v10, v11, s33
	s_mov_b64 s[52:53], exec
	v_lshrrev_b32_e32 v11, 21, v11
	s_andn2_saveexec_b64 s[54:55], s[4:5]
	s_cbranch_execnz .LBB254_2857
.LBB254_1344:
	s_or_b64 exec, exec, s[54:55]
	v_mov_b32_e32 v12, 0
	s_and_saveexec_b64 s[4:5], s[52:53]
.LBB254_1345:
	v_lshrrev_b32_e32 v10, 24, v10
	s_movk_i32 s33, 0x80
	v_and_or_b32 v12, v10, s33, v11
.LBB254_1346:
	s_or_b64 exec, exec, s[4:5]
.LBB254_1347:
	s_or_b64 exec, exec, s[50:51]
                                        ; implicit-def: $vgpr10_vgpr11
.LBB254_1348:
	s_andn2_saveexec_b64 s[48:49], s[48:49]
	s_cbranch_execz .LBB254_1356
; %bb.1349:
	flat_load_dword v10, v[10:11]
	s_mov_b32 s4, 0x47800000
	s_waitcnt vmcnt(0) lgkmcnt(0)
	v_mov_b32_e32 v12, 0x80
	v_cvt_f32_i32_e32 v10, v10
	v_and_b32_e32 v11, 0x7fffffff, v10
	v_cmp_gt_u32_e64 s[4:5], s4, v11
	s_and_saveexec_b64 s[50:51], s[4:5]
	s_cbranch_execz .LBB254_1355
; %bb.1350:
	s_mov_b32 s4, 0x37ffffff
	v_cmp_lt_u32_e64 s[4:5], s4, v11
	s_mov_b64 s[52:53], 0
                                        ; implicit-def: $vgpr11
	s_and_saveexec_b64 s[54:55], s[4:5]
	s_xor_b64 s[4:5], exec, s[54:55]
	s_cbranch_execz .LBB254_2858
; %bb.1351:
	v_bfe_u32 v11, v10, 21, 1
	s_mov_b32 s33, 0x88fffff
	v_add3_u32 v11, v10, v11, s33
	s_mov_b64 s[52:53], exec
	v_lshrrev_b32_e32 v11, 21, v11
	s_andn2_saveexec_b64 s[54:55], s[4:5]
	s_cbranch_execnz .LBB254_2859
.LBB254_1352:
	s_or_b64 exec, exec, s[54:55]
	v_mov_b32_e32 v12, 0
	s_and_saveexec_b64 s[4:5], s[52:53]
.LBB254_1353:
	v_lshrrev_b32_e32 v10, 24, v10
	s_movk_i32 s33, 0x80
	v_and_or_b32 v12, v10, s33, v11
.LBB254_1354:
	s_or_b64 exec, exec, s[4:5]
.LBB254_1355:
	s_or_b64 exec, exec, s[50:51]
.LBB254_1356:
	s_or_b64 exec, exec, s[48:49]
                                        ; implicit-def: $vgpr10_vgpr11
.LBB254_1357:
	s_andn2_saveexec_b64 s[46:47], s[46:47]
	s_cbranch_execz .LBB254_1365
; %bb.1358:
	flat_load_sshort v10, v[10:11]
	s_mov_b32 s4, 0x47800000
	s_waitcnt vmcnt(0) lgkmcnt(0)
	v_mov_b32_e32 v12, 0x80
	v_cvt_f32_i32_e32 v10, v10
	v_and_b32_e32 v11, 0x7fffffff, v10
	v_cmp_gt_u32_e64 s[4:5], s4, v11
	s_and_saveexec_b64 s[48:49], s[4:5]
	s_cbranch_execz .LBB254_1364
; %bb.1359:
	s_mov_b32 s4, 0x37ffffff
	v_cmp_lt_u32_e64 s[4:5], s4, v11
	s_mov_b64 s[50:51], 0
                                        ; implicit-def: $vgpr11
	s_and_saveexec_b64 s[52:53], s[4:5]
	s_xor_b64 s[4:5], exec, s[52:53]
	s_cbranch_execz .LBB254_2779
; %bb.1360:
	v_bfe_u32 v11, v10, 21, 1
	s_mov_b32 s33, 0x88fffff
	v_add3_u32 v11, v10, v11, s33
	s_mov_b64 s[50:51], exec
	v_lshrrev_b32_e32 v11, 21, v11
	s_andn2_saveexec_b64 s[52:53], s[4:5]
	s_cbranch_execnz .LBB254_2780
.LBB254_1361:
	s_or_b64 exec, exec, s[52:53]
	v_mov_b32_e32 v12, 0
	s_and_saveexec_b64 s[4:5], s[50:51]
.LBB254_1362:
	v_lshrrev_b32_e32 v10, 24, v10
	s_movk_i32 s33, 0x80
	v_and_or_b32 v12, v10, s33, v11
.LBB254_1363:
	s_or_b64 exec, exec, s[4:5]
.LBB254_1364:
	s_or_b64 exec, exec, s[48:49]
.LBB254_1365:
	s_or_b64 exec, exec, s[46:47]
                                        ; implicit-def: $vgpr10_vgpr11
.LBB254_1366:
	s_andn2_saveexec_b64 s[44:45], s[44:45]
	s_cbranch_execz .LBB254_1384
; %bb.1367:
	v_cmp_lt_i16_e64 s[4:5], 0, v1
                                        ; implicit-def: $vgpr12
	s_and_saveexec_b64 s[46:47], s[4:5]
	s_xor_b64 s[46:47], exec, s[46:47]
	s_cbranch_execz .LBB254_1375
; %bb.1368:
	flat_load_sbyte v10, v[10:11]
	s_mov_b32 s4, 0x47800000
	s_waitcnt vmcnt(0) lgkmcnt(0)
	v_mov_b32_e32 v12, 0x80
	v_cvt_f32_i32_e32 v10, v10
	v_and_b32_e32 v11, 0x7fffffff, v10
	v_cmp_gt_u32_e64 s[4:5], s4, v11
	s_and_saveexec_b64 s[48:49], s[4:5]
	s_cbranch_execz .LBB254_1374
; %bb.1369:
	s_mov_b32 s4, 0x37ffffff
	v_cmp_lt_u32_e64 s[4:5], s4, v11
	s_mov_b64 s[50:51], 0
                                        ; implicit-def: $vgpr11
	s_and_saveexec_b64 s[52:53], s[4:5]
	s_xor_b64 s[4:5], exec, s[52:53]
	s_cbranch_execz .LBB254_2781
; %bb.1370:
	v_bfe_u32 v11, v10, 21, 1
	s_mov_b32 s33, 0x88fffff
	v_add3_u32 v11, v10, v11, s33
	s_mov_b64 s[50:51], exec
	v_lshrrev_b32_e32 v11, 21, v11
	s_andn2_saveexec_b64 s[52:53], s[4:5]
	s_cbranch_execnz .LBB254_2782
.LBB254_1371:
	s_or_b64 exec, exec, s[52:53]
	v_mov_b32_e32 v12, 0
	s_and_saveexec_b64 s[4:5], s[50:51]
.LBB254_1372:
	v_lshrrev_b32_e32 v10, 24, v10
	s_movk_i32 s33, 0x80
	v_and_or_b32 v12, v10, s33, v11
.LBB254_1373:
	s_or_b64 exec, exec, s[4:5]
.LBB254_1374:
	s_or_b64 exec, exec, s[48:49]
                                        ; implicit-def: $vgpr10_vgpr11
.LBB254_1375:
	s_andn2_saveexec_b64 s[46:47], s[46:47]
	s_cbranch_execz .LBB254_1383
; %bb.1376:
	flat_load_ubyte v10, v[10:11]
	s_mov_b32 s4, 0x47800000
	s_waitcnt vmcnt(0) lgkmcnt(0)
	v_mov_b32_e32 v12, 0x80
	v_cvt_f32_ubyte0_e32 v11, v10
	v_cmp_gt_u32_e64 s[4:5], s4, v11
	s_and_saveexec_b64 s[48:49], s[4:5]
	s_cbranch_execz .LBB254_1382
; %bb.1377:
	s_mov_b32 s4, 0x37ffffff
	v_cmp_lt_u32_e64 s[4:5], s4, v11
	s_mov_b64 s[50:51], 0
                                        ; implicit-def: $vgpr10
	s_and_saveexec_b64 s[52:53], s[4:5]
	s_xor_b64 s[4:5], exec, s[52:53]
	s_cbranch_execz .LBB254_2783
; %bb.1378:
	v_bfe_u32 v10, v11, 21, 1
	s_mov_b32 s33, 0x88fffff
	v_add3_u32 v10, v11, v10, s33
	s_mov_b64 s[50:51], exec
	v_lshrrev_b32_e32 v10, 21, v10
                                        ; implicit-def: $vgpr11
	s_andn2_saveexec_b64 s[52:53], s[4:5]
	s_cbranch_execnz .LBB254_2784
.LBB254_1379:
	s_or_b64 exec, exec, s[52:53]
	v_mov_b32_e32 v12, 0
	s_and_saveexec_b64 s[4:5], s[50:51]
.LBB254_1380:
	v_mov_b32_e32 v12, v10
.LBB254_1381:
	s_or_b64 exec, exec, s[4:5]
.LBB254_1382:
	s_or_b64 exec, exec, s[48:49]
.LBB254_1383:
	s_or_b64 exec, exec, s[46:47]
.LBB254_1384:
	s_or_b64 exec, exec, s[44:45]
.LBB254_1385:
	s_or_b64 exec, exec, s[42:43]
	s_or_b64 s[40:41], s[40:41], exec
.LBB254_1386:
	s_or_b64 exec, exec, s[38:39]
	s_mov_b64 s[4:5], 0
	s_mov_b64 s[44:45], 0
                                        ; implicit-def: $sgpr48_sgpr49
                                        ; implicit-def: $vgpr21_vgpr22
                                        ; implicit-def: $vgpr16
	s_and_saveexec_b64 s[38:39], s[40:41]
	s_cbranch_execz .LBB254_2120
; %bb.1387:
                                        ; implicit-def: $sgpr40_sgpr41
	s_and_saveexec_b64 s[4:5], vcc
	s_xor_b64 s[42:43], exec, s[4:5]
	s_cbranch_execz .LBB254_1401
; %bb.1388:
	s_movk_i32 s4, 0x7f
	s_waitcnt vmcnt(0) lgkmcnt(0)
	v_cmp_gt_i16_sdwa s[40:41], v14, s4 src0_sel:BYTE_0 src1_sel:DWORD
	s_mov_b64 s[4:5], 0
	s_and_saveexec_b64 s[44:45], s[40:41]
	s_xor_b64 s[40:41], exec, s[44:45]
	s_cbranch_execz .LBB254_2520
; %bb.1389:
	s_movk_i32 s4, 0x80
	v_cmp_eq_u16_sdwa s[46:47], v14, s4 src0_sel:BYTE_0 src1_sel:DWORD
	s_mov_b64 s[4:5], -1
	s_and_saveexec_b64 s[44:45], s[46:47]
; %bb.1390:
	s_xor_b64 s[4:5], exec, -1
; %bb.1391:
	s_or_b64 exec, exec, s[44:45]
	s_and_b64 s[4:5], s[4:5], exec
	s_or_saveexec_b64 s[40:41], s[40:41]
	v_mov_b32_e32 v10, 0x7f800001
	s_xor_b64 exec, exec, s[40:41]
	s_cbranch_execnz .LBB254_2521
.LBB254_1392:
	s_or_b64 exec, exec, s[40:41]
	s_and_saveexec_b64 s[40:41], s[4:5]
	s_cbranch_execz .LBB254_1394
.LBB254_1393:
	v_and_b32_e32 v11, 3, v14
	v_ffbh_u32_e32 v13, v11
	v_min_u32_e32 v13, 32, v13
	v_lshrrev_b16_e32 v10, 2, v14
	v_subrev_u32_e32 v15, 29, v13
	v_and_b32_e32 v10, 31, v10
	v_lshlrev_b32_e32 v15, v15, v14
	v_sub_u32_e32 v13, 30, v13
	v_and_b32_e32 v15, 3, v15
	v_cmp_eq_u32_e64 s[4:5], 0, v10
	v_cndmask_b32_e64 v10, v10, v13, s[4:5]
	v_cndmask_b32_e64 v11, v11, v15, s[4:5]
	v_lshlrev_b32_e32 v13, 24, v14
	v_mov_b32_e32 v14, 0x37800000
	v_lshlrev_b32_e32 v11, 21, v11
	v_and_b32_e32 v13, 0x80000000, v13
	v_lshl_add_u32 v10, v10, 23, v14
	v_or3_b32 v10, v13, v10, v11
.LBB254_1394:
	s_or_b64 exec, exec, s[40:41]
	s_movk_i32 s4, 0x7f
	v_cmp_gt_i16_sdwa s[40:41], v12, s4 src0_sel:BYTE_0 src1_sel:DWORD
	s_mov_b64 s[4:5], 0
	s_and_saveexec_b64 s[44:45], s[40:41]
	s_xor_b64 s[40:41], exec, s[44:45]
	s_cbranch_execz .LBB254_2522
; %bb.1395:
	s_movk_i32 s4, 0x80
	v_cmp_eq_u16_sdwa s[46:47], v12, s4 src0_sel:BYTE_0 src1_sel:DWORD
	s_mov_b64 s[4:5], -1
	s_and_saveexec_b64 s[44:45], s[46:47]
; %bb.1396:
	s_xor_b64 s[4:5], exec, -1
; %bb.1397:
	s_or_b64 exec, exec, s[44:45]
	s_and_b64 s[4:5], s[4:5], exec
	s_or_saveexec_b64 s[40:41], s[40:41]
	v_mov_b32_e32 v11, 0x7f800001
	s_xor_b64 exec, exec, s[40:41]
	s_cbranch_execnz .LBB254_2523
.LBB254_1398:
	s_or_b64 exec, exec, s[40:41]
	s_and_saveexec_b64 s[40:41], s[4:5]
	s_cbranch_execz .LBB254_1400
.LBB254_1399:
	v_and_b32_e32 v13, 3, v12
	v_ffbh_u32_e32 v14, v13
	v_min_u32_e32 v14, 32, v14
	v_lshrrev_b16_e32 v11, 2, v12
	v_subrev_u32_e32 v15, 29, v14
	v_and_b32_e32 v11, 31, v11
	v_lshlrev_b32_e32 v15, v15, v12
	v_sub_u32_e32 v14, 30, v14
	v_and_b32_e32 v15, 3, v15
	v_cmp_eq_u32_e64 s[4:5], 0, v11
	v_cndmask_b32_e64 v11, v11, v14, s[4:5]
	v_cndmask_b32_e64 v13, v13, v15, s[4:5]
	v_lshlrev_b32_e32 v12, 24, v12
	v_mov_b32_e32 v14, 0x37800000
	v_lshlrev_b32_e32 v13, 21, v13
	v_and_b32_e32 v12, 0x80000000, v12
	v_lshl_add_u32 v11, v11, 23, v14
	v_or3_b32 v11, v12, v11, v13
.LBB254_1400:
	s_or_b64 exec, exec, s[40:41]
	v_cmp_neq_f32_e64 s[40:41], v10, v11
                                        ; implicit-def: $vgpr12
                                        ; implicit-def: $vgpr14
.LBB254_1401:
	s_andn2_saveexec_b64 s[42:43], s[42:43]
	s_cbranch_execz .LBB254_1415
; %bb.1402:
	s_movk_i32 s4, 0x7f
	s_waitcnt vmcnt(0) lgkmcnt(0)
	v_cmp_gt_i16_sdwa s[44:45], v14, s4 src0_sel:BYTE_0 src1_sel:DWORD
	s_mov_b64 s[4:5], 0
	s_and_saveexec_b64 s[46:47], s[44:45]
	s_xor_b64 s[44:45], exec, s[46:47]
	s_cbranch_execz .LBB254_2524
; %bb.1403:
	s_movk_i32 s4, 0x80
	v_cmp_eq_u16_sdwa s[48:49], v14, s4 src0_sel:BYTE_0 src1_sel:DWORD
	s_mov_b64 s[4:5], -1
	s_and_saveexec_b64 s[46:47], s[48:49]
; %bb.1404:
	s_xor_b64 s[4:5], exec, -1
; %bb.1405:
	s_or_b64 exec, exec, s[46:47]
	s_and_b64 s[4:5], s[4:5], exec
	s_or_saveexec_b64 s[44:45], s[44:45]
	v_mov_b32_e32 v10, 0x7f800001
	s_xor_b64 exec, exec, s[44:45]
	s_cbranch_execnz .LBB254_2525
.LBB254_1406:
	s_or_b64 exec, exec, s[44:45]
	s_and_saveexec_b64 s[44:45], s[4:5]
	s_cbranch_execz .LBB254_1408
.LBB254_1407:
	v_and_b32_e32 v11, 3, v14
	v_ffbh_u32_e32 v13, v11
	v_min_u32_e32 v13, 32, v13
	v_lshrrev_b16_e32 v10, 2, v14
	v_subrev_u32_e32 v15, 29, v13
	v_and_b32_e32 v10, 31, v10
	v_lshlrev_b32_e32 v15, v15, v14
	v_sub_u32_e32 v13, 30, v13
	v_and_b32_e32 v15, 3, v15
	v_cmp_eq_u32_e64 s[4:5], 0, v10
	v_cndmask_b32_e64 v10, v10, v13, s[4:5]
	v_cndmask_b32_e64 v11, v11, v15, s[4:5]
	v_lshlrev_b32_e32 v13, 24, v14
	v_mov_b32_e32 v14, 0x37800000
	v_lshlrev_b32_e32 v11, 21, v11
	v_and_b32_e32 v13, 0x80000000, v13
	v_lshl_add_u32 v10, v10, 23, v14
	v_or3_b32 v10, v13, v10, v11
.LBB254_1408:
	s_or_b64 exec, exec, s[44:45]
	s_movk_i32 s4, 0x7f
	v_cmp_gt_i16_sdwa s[44:45], v12, s4 src0_sel:BYTE_0 src1_sel:DWORD
	s_mov_b64 s[4:5], 0
	s_and_saveexec_b64 s[46:47], s[44:45]
	s_xor_b64 s[44:45], exec, s[46:47]
	s_cbranch_execz .LBB254_2526
; %bb.1409:
	s_movk_i32 s4, 0x80
	v_cmp_eq_u16_sdwa s[48:49], v12, s4 src0_sel:BYTE_0 src1_sel:DWORD
	s_mov_b64 s[4:5], -1
	s_and_saveexec_b64 s[46:47], s[48:49]
; %bb.1410:
	s_xor_b64 s[4:5], exec, -1
; %bb.1411:
	s_or_b64 exec, exec, s[46:47]
	s_and_b64 s[4:5], s[4:5], exec
	s_or_saveexec_b64 s[44:45], s[44:45]
	v_mov_b32_e32 v11, 0x7f800001
	s_xor_b64 exec, exec, s[44:45]
	s_cbranch_execnz .LBB254_2527
.LBB254_1412:
	s_or_b64 exec, exec, s[44:45]
	s_and_saveexec_b64 s[44:45], s[4:5]
	s_cbranch_execz .LBB254_1414
.LBB254_1413:
	v_and_b32_e32 v13, 3, v12
	v_ffbh_u32_e32 v14, v13
	v_min_u32_e32 v14, 32, v14
	v_lshrrev_b16_e32 v11, 2, v12
	v_subrev_u32_e32 v15, 29, v14
	v_and_b32_e32 v11, 31, v11
	v_lshlrev_b32_e32 v15, v15, v12
	v_sub_u32_e32 v14, 30, v14
	v_and_b32_e32 v15, 3, v15
	v_cmp_eq_u32_e64 s[4:5], 0, v11
	v_cndmask_b32_e64 v11, v11, v14, s[4:5]
	v_cndmask_b32_e64 v13, v13, v15, s[4:5]
	v_lshlrev_b32_e32 v12, 24, v12
	v_mov_b32_e32 v14, 0x37800000
	v_lshlrev_b32_e32 v13, 21, v13
	v_and_b32_e32 v12, 0x80000000, v12
	v_lshl_add_u32 v11, v11, 23, v14
	v_or3_b32 v11, v12, v11, v13
.LBB254_1414:
	s_or_b64 exec, exec, s[44:45]
	v_cmp_eq_f32_e64 s[4:5], v10, v11
	s_andn2_b64 s[40:41], s[40:41], exec
	s_and_b64 s[4:5], s[4:5], exec
	s_or_b64 s[40:41], s[40:41], s[4:5]
.LBB254_1415:
	s_or_b64 exec, exec, s[42:43]
	v_add_co_u32_e64 v8, s[4:5], v8, v9
	v_addc_co_u32_e64 v9, s[4:5], 0, v25, s[4:5]
	v_cmp_lt_i16_e64 s[4:5], 10, v3
	s_mov_b64 s[46:47], 0
	s_mov_b64 s[42:43], s[36:37]
                                        ; implicit-def: $vgpr10
	s_and_saveexec_b64 s[44:45], s[4:5]
	s_xor_b64 s[44:45], exec, s[44:45]
	s_cbranch_execz .LBB254_1496
; %bb.1416:
	v_cmp_lt_i16_e64 s[4:5], 25, v3
	s_mov_b64 s[42:43], 0
	s_mov_b64 s[50:51], 0
	;; [unrolled: 1-line block ×3, first 2 shown]
                                        ; implicit-def: $vgpr10
	s_and_saveexec_b64 s[46:47], s[4:5]
	s_xor_b64 s[46:47], exec, s[46:47]
	s_cbranch_execz .LBB254_2528
; %bb.1417:
	v_cmp_lt_i16_e64 s[4:5], 28, v3
	s_mov_b64 s[52:53], 0
                                        ; implicit-def: $vgpr10
	s_and_saveexec_b64 s[48:49], s[4:5]
	s_xor_b64 s[48:49], exec, s[48:49]
	s_cbranch_execz .LBB254_1451
; %bb.1418:
	v_cmp_lt_i16_e64 s[4:5], 43, v3
	s_mov_b64 s[54:55], 0
	s_mov_b64 s[56:57], 0
                                        ; implicit-def: $vgpr10
	s_and_saveexec_b64 s[50:51], s[4:5]
	s_xor_b64 s[50:51], exec, s[50:51]
	s_cbranch_execz .LBB254_1440
; %bb.1419:
	v_cmp_lt_i16_e64 s[4:5], 45, v3
                                        ; implicit-def: $vgpr10
	s_and_saveexec_b64 s[56:57], s[4:5]
	s_xor_b64 s[56:57], exec, s[56:57]
	s_cbranch_execz .LBB254_1429
; %bb.1420:
	v_cmp_eq_u16_e64 s[4:5], 46, v3
	s_mov_b64 s[58:59], -1
                                        ; implicit-def: $vgpr10
	s_and_saveexec_b64 s[52:53], s[4:5]
	s_cbranch_execz .LBB254_1428
; %bb.1421:
	flat_load_dword v3, v[8:9]
	s_mov_b32 s4, 0x47800000
	v_mov_b32_e32 v10, 0x80
	s_waitcnt vmcnt(0) lgkmcnt(0)
	v_lshlrev_b32_e32 v3, 16, v3
	v_and_b32_e32 v11, 0x7fffffff, v3
	v_cmp_gt_u32_e64 s[4:5], s4, v11
	s_and_saveexec_b64 s[54:55], s[4:5]
	s_cbranch_execz .LBB254_1427
; %bb.1422:
	s_mov_b32 s4, 0x37ffffff
	v_cmp_lt_u32_e64 s[4:5], s4, v11
	s_mov_b64 s[58:59], 0
                                        ; implicit-def: $vgpr11
	s_and_saveexec_b64 s[60:61], s[4:5]
	s_xor_b64 s[4:5], exec, s[60:61]
	s_cbranch_execz .LBB254_3006
; %bb.1423:
	v_bfe_u32 v10, v3, 21, 1
	s_mov_b32 s33, 0x88fffff
	v_add3_u32 v10, v3, v10, s33
	s_mov_b64 s[58:59], exec
	v_lshrrev_b32_e32 v11, 21, v10
	s_andn2_saveexec_b64 s[60:61], s[4:5]
	s_cbranch_execnz .LBB254_3007
.LBB254_1424:
	s_or_b64 exec, exec, s[60:61]
	v_mov_b32_e32 v10, 0
	s_and_saveexec_b64 s[4:5], s[58:59]
.LBB254_1425:
	v_lshrrev_b32_e32 v3, 24, v3
	s_movk_i32 s33, 0x80
	v_and_or_b32 v10, v3, s33, v11
.LBB254_1426:
	s_or_b64 exec, exec, s[4:5]
.LBB254_1427:
	s_or_b64 exec, exec, s[54:55]
	s_mov_b64 s[54:55], exec
	s_xor_b64 s[58:59], exec, -1
.LBB254_1428:
	s_or_b64 exec, exec, s[52:53]
	s_and_b64 s[54:55], s[54:55], exec
	s_and_b64 s[52:53], s[58:59], exec
                                        ; implicit-def: $vgpr3
.LBB254_1429:
	s_andn2_saveexec_b64 s[56:57], s[56:57]
	s_cbranch_execz .LBB254_1439
; %bb.1430:
	v_cmp_eq_u16_e64 s[4:5], 44, v3
	s_mov_b64 s[60:61], -1
	s_mov_b64 s[62:63], s[54:55]
                                        ; implicit-def: $vgpr10
	s_and_saveexec_b64 s[58:59], s[4:5]
	s_cbranch_execz .LBB254_1438
; %bb.1431:
	flat_load_ubyte v3, v[8:9]
	s_movk_i32 s4, 0xff
	v_mov_b32_e32 v10, 0x7f800001
	v_mov_b32_e32 v11, 0x400000
	s_mov_b32 s33, 0x47800000
	s_waitcnt vmcnt(0) lgkmcnt(0)
	v_lshlrev_b32_e32 v12, 23, v3
	v_cmp_ne_u32_e64 s[4:5], s4, v3
	v_cndmask_b32_e64 v10, v10, v12, s[4:5]
	v_cmp_ne_u32_e64 s[4:5], 0, v3
	v_cndmask_b32_e64 v11, v11, v10, s[4:5]
	v_cmp_gt_u32_e64 s[4:5], s33, v11
	v_mov_b32_e32 v10, 0x80
	s_and_saveexec_b64 s[60:61], s[4:5]
	s_cbranch_execz .LBB254_1437
; %bb.1432:
	s_mov_b32 s4, 0x37ffffff
	v_cmp_lt_u32_e64 s[4:5], s4, v11
	s_mov_b64 s[62:63], 0
                                        ; implicit-def: $vgpr3
	s_and_saveexec_b64 s[64:65], s[4:5]
	s_xor_b64 s[4:5], exec, s[64:65]
	s_cbranch_execz .LBB254_3008
; %bb.1433:
	v_bfe_u32 v3, v11, 21, 1
	s_mov_b32 s33, 0x88fffff
	v_add3_u32 v3, v11, v3, s33
	s_mov_b64 s[62:63], exec
	v_lshrrev_b32_e32 v3, 21, v3
                                        ; implicit-def: $vgpr11
	s_andn2_saveexec_b64 s[64:65], s[4:5]
	s_cbranch_execnz .LBB254_3009
.LBB254_1434:
	s_or_b64 exec, exec, s[64:65]
	v_mov_b32_e32 v10, 0
	s_and_saveexec_b64 s[4:5], s[62:63]
.LBB254_1435:
	v_mov_b32_e32 v10, v3
.LBB254_1436:
	s_or_b64 exec, exec, s[4:5]
.LBB254_1437:
	s_or_b64 exec, exec, s[60:61]
	s_or_b64 s[62:63], s[54:55], exec
	s_xor_b64 s[60:61], exec, -1
.LBB254_1438:
	s_or_b64 exec, exec, s[58:59]
	s_andn2_b64 s[4:5], s[54:55], exec
	s_and_b64 s[54:55], s[62:63], exec
	s_or_b64 s[54:55], s[4:5], s[54:55]
	s_andn2_b64 s[4:5], s[52:53], exec
	s_and_b64 s[52:53], s[60:61], exec
	s_or_b64 s[52:53], s[4:5], s[52:53]
.LBB254_1439:
	s_or_b64 exec, exec, s[56:57]
	s_and_b64 s[56:57], s[54:55], exec
	s_and_b64 s[54:55], s[52:53], exec
                                        ; implicit-def: $vgpr3
.LBB254_1440:
	s_andn2_saveexec_b64 s[50:51], s[50:51]
	s_cbranch_execz .LBB254_1450
; %bb.1441:
	v_cmp_eq_u16_e64 s[4:5], 29, v3
	s_mov_b64 s[58:59], -1
	s_mov_b64 s[60:61], s[56:57]
                                        ; implicit-def: $vgpr10
	s_and_saveexec_b64 s[52:53], s[4:5]
	s_cbranch_execz .LBB254_1449
; %bb.1442:
	flat_load_dwordx2 v[10:11], v[8:9]
	s_mov_b32 s4, 0x47800000
	s_waitcnt vmcnt(0) lgkmcnt(0)
	v_ffbh_u32_e32 v3, v11
	v_min_u32_e32 v3, 32, v3
	v_lshlrev_b64 v[10:11], v3, v[10:11]
	v_sub_u32_e32 v3, 32, v3
	v_min_u32_e32 v10, 1, v10
	v_or_b32_e32 v10, v11, v10
	v_cvt_f32_u32_e32 v10, v10
	v_ldexp_f32 v11, v10, v3
	v_cmp_gt_u32_e64 s[4:5], s4, v11
	v_mov_b32_e32 v10, 0x80
	s_and_saveexec_b64 s[58:59], s[4:5]
	s_cbranch_execz .LBB254_1448
; %bb.1443:
	s_mov_b32 s4, 0x37ffffff
	v_cmp_lt_u32_e64 s[4:5], s4, v11
	s_mov_b64 s[60:61], 0
                                        ; implicit-def: $vgpr3
	s_and_saveexec_b64 s[62:63], s[4:5]
	s_xor_b64 s[4:5], exec, s[62:63]
	s_cbranch_execz .LBB254_2927
; %bb.1444:
	v_bfe_u32 v3, v11, 21, 1
	s_mov_b32 s33, 0x88fffff
	v_add3_u32 v3, v11, v3, s33
	s_mov_b64 s[60:61], exec
	v_lshrrev_b32_e32 v3, 21, v3
                                        ; implicit-def: $vgpr11
	s_andn2_saveexec_b64 s[62:63], s[4:5]
	s_cbranch_execnz .LBB254_2928
.LBB254_1445:
	s_or_b64 exec, exec, s[62:63]
	v_mov_b32_e32 v10, 0
	s_and_saveexec_b64 s[4:5], s[60:61]
.LBB254_1446:
	v_mov_b32_e32 v10, v3
.LBB254_1447:
	s_or_b64 exec, exec, s[4:5]
.LBB254_1448:
	s_or_b64 exec, exec, s[58:59]
	s_or_b64 s[60:61], s[56:57], exec
	s_xor_b64 s[58:59], exec, -1
.LBB254_1449:
	s_or_b64 exec, exec, s[52:53]
	s_andn2_b64 s[4:5], s[56:57], exec
	s_and_b64 s[52:53], s[60:61], exec
	s_or_b64 s[56:57], s[4:5], s[52:53]
	s_andn2_b64 s[4:5], s[54:55], exec
	s_and_b64 s[52:53], s[58:59], exec
	s_or_b64 s[54:55], s[4:5], s[52:53]
.LBB254_1450:
	s_or_b64 exec, exec, s[50:51]
	s_and_b64 s[52:53], s[56:57], exec
	s_and_b64 s[50:51], s[54:55], exec
                                        ; implicit-def: $vgpr3
.LBB254_1451:
	s_andn2_saveexec_b64 s[48:49], s[48:49]
	s_cbranch_execz .LBB254_1485
; %bb.1452:
	v_cmp_lt_i16_e64 s[4:5], 26, v3
                                        ; implicit-def: $vgpr10
	s_and_saveexec_b64 s[54:55], s[4:5]
	s_xor_b64 s[54:55], exec, s[54:55]
	s_cbranch_execz .LBB254_1470
; %bb.1453:
	v_cmp_lt_i16_e64 s[4:5], 27, v3
                                        ; implicit-def: $vgpr10
	s_and_saveexec_b64 s[56:57], s[4:5]
	s_xor_b64 s[56:57], exec, s[56:57]
	s_cbranch_execz .LBB254_1461
; %bb.1454:
	flat_load_dword v3, v[8:9]
	s_mov_b32 s4, 0x47800000
	v_mov_b32_e32 v10, 0x80
	s_waitcnt vmcnt(0) lgkmcnt(0)
	v_cvt_f32_u32_e32 v11, v3
	v_cmp_gt_u32_e64 s[4:5], s4, v11
	s_and_saveexec_b64 s[58:59], s[4:5]
	s_cbranch_execz .LBB254_1460
; %bb.1455:
	s_mov_b32 s4, 0x37ffffff
	v_cmp_lt_u32_e64 s[4:5], s4, v11
	s_mov_b64 s[60:61], 0
                                        ; implicit-def: $vgpr3
	s_and_saveexec_b64 s[62:63], s[4:5]
	s_xor_b64 s[4:5], exec, s[62:63]
	s_cbranch_execz .LBB254_2929
; %bb.1456:
	v_bfe_u32 v3, v11, 21, 1
	s_mov_b32 s33, 0x88fffff
	v_add3_u32 v3, v11, v3, s33
	s_mov_b64 s[60:61], exec
	v_lshrrev_b32_e32 v3, 21, v3
                                        ; implicit-def: $vgpr11
	s_andn2_saveexec_b64 s[62:63], s[4:5]
	s_cbranch_execnz .LBB254_2930
.LBB254_1457:
	s_or_b64 exec, exec, s[62:63]
	v_mov_b32_e32 v10, 0
	s_and_saveexec_b64 s[4:5], s[60:61]
.LBB254_1458:
	v_mov_b32_e32 v10, v3
.LBB254_1459:
	s_or_b64 exec, exec, s[4:5]
.LBB254_1460:
	s_or_b64 exec, exec, s[58:59]
.LBB254_1461:
	s_andn2_saveexec_b64 s[56:57], s[56:57]
	s_cbranch_execz .LBB254_1469
; %bb.1462:
	flat_load_ushort v3, v[8:9]
	s_mov_b32 s4, 0x47800000
	v_mov_b32_e32 v10, 0x80
	s_waitcnt vmcnt(0) lgkmcnt(0)
	v_cvt_f32_u32_e32 v11, v3
	v_cmp_gt_u32_e64 s[4:5], s4, v11
	s_and_saveexec_b64 s[58:59], s[4:5]
	s_cbranch_execz .LBB254_1468
; %bb.1463:
	s_mov_b32 s4, 0x37ffffff
	v_cmp_lt_u32_e64 s[4:5], s4, v11
	s_mov_b64 s[60:61], 0
                                        ; implicit-def: $vgpr3
	s_and_saveexec_b64 s[62:63], s[4:5]
	s_xor_b64 s[4:5], exec, s[62:63]
	s_cbranch_execz .LBB254_2931
; %bb.1464:
	v_bfe_u32 v3, v11, 21, 1
	s_mov_b32 s33, 0x88fffff
	v_add3_u32 v3, v11, v3, s33
	s_mov_b64 s[60:61], exec
	v_lshrrev_b32_e32 v3, 21, v3
                                        ; implicit-def: $vgpr11
	s_andn2_saveexec_b64 s[62:63], s[4:5]
	s_cbranch_execnz .LBB254_2932
.LBB254_1465:
	s_or_b64 exec, exec, s[62:63]
	v_mov_b32_e32 v10, 0
	s_and_saveexec_b64 s[4:5], s[60:61]
.LBB254_1466:
	v_mov_b32_e32 v10, v3
.LBB254_1467:
	s_or_b64 exec, exec, s[4:5]
.LBB254_1468:
	s_or_b64 exec, exec, s[58:59]
.LBB254_1469:
	s_or_b64 exec, exec, s[56:57]
.LBB254_1470:
	s_andn2_saveexec_b64 s[54:55], s[54:55]
	s_cbranch_execz .LBB254_1484
; %bb.1471:
	flat_load_ubyte v10, v[8:9]
	s_movk_i32 s4, 0x7f
	s_mov_b64 s[56:57], 0
	s_waitcnt vmcnt(0) lgkmcnt(0)
	v_cmp_lt_i16_e64 s[4:5], s4, v10
	s_and_saveexec_b64 s[58:59], s[4:5]
	s_xor_b64 s[58:59], exec, s[58:59]
	s_cbranch_execz .LBB254_2785
; %bb.1472:
	s_movk_i32 s4, 0x80
	v_cmp_eq_u16_e64 s[4:5], s4, v10
	s_mov_b64 s[56:57], -1
	s_and_saveexec_b64 s[60:61], s[4:5]
; %bb.1473:
	s_xor_b64 s[56:57], exec, -1
; %bb.1474:
	s_or_b64 exec, exec, s[60:61]
	s_and_b64 s[56:57], s[56:57], exec
	s_or_saveexec_b64 s[58:59], s[58:59]
	v_mov_b32_e32 v3, 0x7f800001
	s_xor_b64 exec, exec, s[58:59]
	s_cbranch_execnz .LBB254_2786
.LBB254_1475:
	s_or_b64 exec, exec, s[58:59]
	s_and_saveexec_b64 s[58:59], s[56:57]
	s_cbranch_execz .LBB254_1477
.LBB254_1476:
	v_lshlrev_b32_e32 v3, 24, v10
	v_and_b32_e32 v10, 0xffff, v10
	v_and_b32_e32 v11, 7, v10
	v_ffbh_u32_e32 v13, v11
	v_min_u32_e32 v13, 32, v13
	v_subrev_u32_e32 v14, 28, v13
	v_bfe_u32 v12, v10, 3, 4
	v_lshlrev_b32_e32 v10, v14, v10
	v_sub_u32_e32 v13, 29, v13
	v_and_b32_e32 v10, 7, v10
	v_cmp_eq_u32_e64 s[4:5], 0, v12
	v_cndmask_b32_e64 v12, v12, v13, s[4:5]
	v_cndmask_b32_e64 v10, v11, v10, s[4:5]
	v_mov_b32_e32 v11, 0x3b800000
	v_lshlrev_b32_e32 v10, 20, v10
	v_and_b32_e32 v3, 0x80000000, v3
	v_lshl_add_u32 v11, v12, 23, v11
	v_or3_b32 v3, v3, v11, v10
.LBB254_1477:
	s_or_b64 exec, exec, s[58:59]
	v_and_b32_e32 v11, 0x7fffffff, v3
	s_mov_b32 s4, 0x47800000
	v_cmp_gt_u32_e64 s[4:5], s4, v11
	v_mov_b32_e32 v10, 0x80
	s_and_saveexec_b64 s[56:57], s[4:5]
	s_cbranch_execz .LBB254_1483
; %bb.1478:
	s_mov_b32 s4, 0x37ffffff
	v_cmp_lt_u32_e64 s[4:5], s4, v11
	s_mov_b64 s[58:59], 0
                                        ; implicit-def: $vgpr11
	s_and_saveexec_b64 s[60:61], s[4:5]
	s_xor_b64 s[4:5], exec, s[60:61]
	s_cbranch_execz .LBB254_2860
; %bb.1479:
	v_bfe_u32 v10, v3, 21, 1
	s_mov_b32 s33, 0x88fffff
	v_add3_u32 v10, v3, v10, s33
	s_mov_b64 s[58:59], exec
	v_lshrrev_b32_e32 v11, 21, v10
	s_andn2_saveexec_b64 s[60:61], s[4:5]
	s_cbranch_execnz .LBB254_2861
.LBB254_1480:
	s_or_b64 exec, exec, s[60:61]
	v_mov_b32_e32 v10, 0
	s_and_saveexec_b64 s[4:5], s[58:59]
.LBB254_1481:
	v_lshrrev_b32_e32 v3, 24, v3
	s_movk_i32 s33, 0x80
	v_and_or_b32 v10, v3, s33, v11
.LBB254_1482:
	s_or_b64 exec, exec, s[4:5]
.LBB254_1483:
	s_or_b64 exec, exec, s[56:57]
.LBB254_1484:
	s_or_b64 exec, exec, s[54:55]
	s_or_b64 s[52:53], s[52:53], exec
.LBB254_1485:
	s_or_b64 exec, exec, s[48:49]
	s_and_b64 s[48:49], s[52:53], exec
	s_and_b64 s[50:51], s[50:51], exec
                                        ; implicit-def: $vgpr3
	s_andn2_saveexec_b64 s[46:47], s[46:47]
	s_cbranch_execnz .LBB254_2529
.LBB254_1486:
	s_or_b64 exec, exec, s[46:47]
	s_mov_b64 s[46:47], s[36:37]
	s_and_saveexec_b64 s[4:5], s[50:51]
	s_cbranch_execnz .LBB254_2566
.LBB254_1487:
	s_or_b64 exec, exec, s[4:5]
	s_and_saveexec_b64 s[4:5], s[42:43]
	s_xor_b64 s[42:43], exec, s[4:5]
	s_cbranch_execz .LBB254_1495
.LBB254_1488:
	flat_load_ubyte v3, v[8:9]
	s_mov_b32 s33, 0x47800000
	s_waitcnt vmcnt(0) lgkmcnt(0)
	v_mov_b32_e32 v10, 0x80
	v_cmp_ne_u16_e64 s[4:5], 0, v3
	v_cndmask_b32_e64 v8, 0, 1.0, s[4:5]
	v_cmp_gt_u32_e64 s[4:5], s33, v8
	s_and_saveexec_b64 s[50:51], s[4:5]
	s_cbranch_execz .LBB254_1494
; %bb.1489:
	s_mov_b32 s4, 0x37ffffff
	v_cmp_lt_u32_e64 s[4:5], s4, v8
	s_mov_b64 s[52:53], 0
                                        ; implicit-def: $vgpr3
	s_and_saveexec_b64 s[54:55], s[4:5]
	s_xor_b64 s[4:5], exec, s[54:55]
	s_cbranch_execz .LBB254_2692
; %bb.1490:
	v_bfe_u32 v3, v8, 21, 1
	s_mov_b32 s33, 0x88fffff
	v_add3_u32 v3, v8, v3, s33
	s_mov_b64 s[52:53], exec
	v_lshrrev_b32_e32 v3, 21, v3
                                        ; implicit-def: $vgpr8
	s_andn2_saveexec_b64 s[54:55], s[4:5]
	s_cbranch_execnz .LBB254_2693
.LBB254_1491:
	s_or_b64 exec, exec, s[54:55]
	v_mov_b32_e32 v10, 0
	s_and_saveexec_b64 s[4:5], s[52:53]
.LBB254_1492:
	v_mov_b32_e32 v10, v3
.LBB254_1493:
	s_or_b64 exec, exec, s[4:5]
.LBB254_1494:
	s_or_b64 exec, exec, s[50:51]
	s_or_b64 s[48:49], s[48:49], exec
.LBB254_1495:
	s_or_b64 exec, exec, s[42:43]
	s_andn2_b64 s[4:5], s[36:37], exec
	s_and_b64 s[42:43], s[46:47], exec
	s_or_b64 s[42:43], s[4:5], s[42:43]
	s_and_b64 s[46:47], s[48:49], exec
                                        ; implicit-def: $vgpr3
                                        ; implicit-def: $vgpr8_vgpr9
.LBB254_1496:
	s_andn2_saveexec_b64 s[44:45], s[44:45]
	s_cbranch_execz .LBB254_1604
; %bb.1497:
	v_cmp_lt_i16_e64 s[4:5], 4, v3
                                        ; implicit-def: $vgpr10
	s_and_saveexec_b64 s[48:49], s[4:5]
	s_xor_b64 s[48:49], exec, s[48:49]
	s_cbranch_execz .LBB254_1555
; %bb.1498:
	v_cmp_lt_i16_e64 s[4:5], 7, v3
                                        ; implicit-def: $vgpr10
	s_and_saveexec_b64 s[50:51], s[4:5]
	s_xor_b64 s[50:51], exec, s[50:51]
	;; [unrolled: 6-line block ×4, first 2 shown]
	s_cbranch_execz .LBB254_1508
; %bb.1501:
	flat_load_dwordx2 v[8:9], v[8:9]
	s_mov_b32 s4, 0x47800000
	s_waitcnt vmcnt(0) lgkmcnt(0)
	v_mov_b32_e32 v10, 0x80
	v_cvt_f32_f64_e32 v3, v[8:9]
	v_and_b32_e32 v8, 0x7fffffff, v3
	v_cmp_gt_u32_e64 s[4:5], s4, v8
	s_and_saveexec_b64 s[56:57], s[4:5]
	s_cbranch_execz .LBB254_1507
; %bb.1502:
	s_mov_b32 s4, 0x37ffffff
	v_cmp_lt_u32_e64 s[4:5], s4, v8
	s_mov_b64 s[58:59], 0
                                        ; implicit-def: $vgpr8
	s_and_saveexec_b64 s[60:61], s[4:5]
	s_xor_b64 s[4:5], exec, s[60:61]
	s_cbranch_execz .LBB254_2933
; %bb.1503:
	v_bfe_u32 v8, v3, 21, 1
	s_mov_b32 s33, 0x88fffff
	v_add3_u32 v8, v3, v8, s33
	s_mov_b64 s[58:59], exec
	v_lshrrev_b32_e32 v8, 21, v8
	s_andn2_saveexec_b64 s[60:61], s[4:5]
	s_cbranch_execnz .LBB254_2934
.LBB254_1504:
	s_or_b64 exec, exec, s[60:61]
	v_mov_b32_e32 v10, 0
	s_and_saveexec_b64 s[4:5], s[58:59]
.LBB254_1505:
	v_lshrrev_b32_e32 v3, 24, v3
	s_movk_i32 s33, 0x80
	v_and_or_b32 v10, v3, s33, v8
.LBB254_1506:
	s_or_b64 exec, exec, s[4:5]
.LBB254_1507:
	s_or_b64 exec, exec, s[56:57]
                                        ; implicit-def: $vgpr8_vgpr9
.LBB254_1508:
	s_andn2_saveexec_b64 s[54:55], s[54:55]
	s_cbranch_execz .LBB254_1516
; %bb.1509:
	flat_load_dword v3, v[8:9]
	s_mov_b32 s4, 0x47800000
	s_waitcnt vmcnt(0) lgkmcnt(0)
	v_mov_b32_e32 v10, 0x80
	v_and_b32_e32 v8, 0x7fffffff, v3
	v_cmp_gt_u32_e64 s[4:5], s4, v8
	s_and_saveexec_b64 s[56:57], s[4:5]
	s_cbranch_execz .LBB254_1515
; %bb.1510:
	s_mov_b32 s4, 0x37ffffff
	v_cmp_lt_u32_e64 s[4:5], s4, v8
	s_mov_b64 s[58:59], 0
                                        ; implicit-def: $vgpr8
	s_and_saveexec_b64 s[60:61], s[4:5]
	s_xor_b64 s[4:5], exec, s[60:61]
	s_cbranch_execz .LBB254_2935
; %bb.1511:
	v_bfe_u32 v8, v3, 21, 1
	s_mov_b32 s33, 0x88fffff
	v_add3_u32 v8, v3, v8, s33
	s_mov_b64 s[58:59], exec
	v_lshrrev_b32_e32 v8, 21, v8
	s_andn2_saveexec_b64 s[60:61], s[4:5]
	s_cbranch_execnz .LBB254_2936
.LBB254_1512:
	s_or_b64 exec, exec, s[60:61]
	v_mov_b32_e32 v10, 0
	s_and_saveexec_b64 s[4:5], s[58:59]
.LBB254_1513:
	v_lshrrev_b32_e32 v3, 24, v3
	s_movk_i32 s33, 0x80
	v_and_or_b32 v10, v3, s33, v8
.LBB254_1514:
	s_or_b64 exec, exec, s[4:5]
.LBB254_1515:
	s_or_b64 exec, exec, s[56:57]
.LBB254_1516:
	s_or_b64 exec, exec, s[54:55]
                                        ; implicit-def: $vgpr8_vgpr9
.LBB254_1517:
	s_andn2_saveexec_b64 s[52:53], s[52:53]
	s_cbranch_execz .LBB254_1525
; %bb.1518:
	flat_load_dword v3, v[8:9]
	s_mov_b32 s4, 0x47800000
	s_waitcnt vmcnt(0) lgkmcnt(0)
	v_mov_b32_e32 v10, 0x80
	v_cvt_f32_f16_e32 v3, v3
	v_and_b32_e32 v8, 0x7fffffff, v3
	v_cmp_gt_u32_e64 s[4:5], s4, v8
	s_and_saveexec_b64 s[54:55], s[4:5]
	s_cbranch_execz .LBB254_1524
; %bb.1519:
	s_mov_b32 s4, 0x37ffffff
	v_cmp_lt_u32_e64 s[4:5], s4, v8
	s_mov_b64 s[56:57], 0
                                        ; implicit-def: $vgpr8
	s_and_saveexec_b64 s[58:59], s[4:5]
	s_xor_b64 s[4:5], exec, s[58:59]
	s_cbranch_execz .LBB254_2862
; %bb.1520:
	v_bfe_u32 v8, v3, 21, 1
	s_mov_b32 s33, 0x88fffff
	v_add3_u32 v8, v3, v8, s33
	s_mov_b64 s[56:57], exec
	v_lshrrev_b32_e32 v8, 21, v8
	s_andn2_saveexec_b64 s[58:59], s[4:5]
	s_cbranch_execnz .LBB254_2863
.LBB254_1521:
	s_or_b64 exec, exec, s[58:59]
	v_mov_b32_e32 v10, 0
	s_and_saveexec_b64 s[4:5], s[56:57]
.LBB254_1522:
	v_lshrrev_b32_e32 v3, 24, v3
	s_movk_i32 s33, 0x80
	v_and_or_b32 v10, v3, s33, v8
.LBB254_1523:
	s_or_b64 exec, exec, s[4:5]
.LBB254_1524:
	s_or_b64 exec, exec, s[54:55]
.LBB254_1525:
	s_or_b64 exec, exec, s[52:53]
                                        ; implicit-def: $vgpr3
                                        ; implicit-def: $vgpr8_vgpr9
.LBB254_1526:
	s_andn2_saveexec_b64 s[50:51], s[50:51]
	s_cbranch_execz .LBB254_1554
; %bb.1527:
	v_cmp_lt_i16_e64 s[4:5], 5, v3
                                        ; implicit-def: $vgpr10
	s_and_saveexec_b64 s[52:53], s[4:5]
	s_xor_b64 s[52:53], exec, s[52:53]
	s_cbranch_execz .LBB254_1545
; %bb.1528:
	v_cmp_lt_i16_e64 s[4:5], 6, v3
                                        ; implicit-def: $vgpr10
	s_and_saveexec_b64 s[54:55], s[4:5]
	s_xor_b64 s[54:55], exec, s[54:55]
	s_cbranch_execz .LBB254_1536
; %bb.1529:
	flat_load_dwordx2 v[8:9], v[8:9]
	s_mov_b32 s4, 0x47800000
	s_waitcnt vmcnt(0) lgkmcnt(0)
	v_mov_b32_e32 v10, 0x80
	v_cvt_f32_f64_e32 v3, v[8:9]
	v_and_b32_e32 v8, 0x7fffffff, v3
	v_cmp_gt_u32_e64 s[4:5], s4, v8
	s_and_saveexec_b64 s[56:57], s[4:5]
	s_cbranch_execz .LBB254_1535
; %bb.1530:
	s_mov_b32 s4, 0x37ffffff
	v_cmp_lt_u32_e64 s[4:5], s4, v8
	s_mov_b64 s[58:59], 0
                                        ; implicit-def: $vgpr8
	s_and_saveexec_b64 s[60:61], s[4:5]
	s_xor_b64 s[4:5], exec, s[60:61]
	s_cbranch_execz .LBB254_2937
; %bb.1531:
	v_bfe_u32 v8, v3, 21, 1
	s_mov_b32 s33, 0x88fffff
	v_add3_u32 v8, v3, v8, s33
	s_mov_b64 s[58:59], exec
	v_lshrrev_b32_e32 v8, 21, v8
	s_andn2_saveexec_b64 s[60:61], s[4:5]
	s_cbranch_execnz .LBB254_2938
.LBB254_1532:
	s_or_b64 exec, exec, s[60:61]
	v_mov_b32_e32 v10, 0
	s_and_saveexec_b64 s[4:5], s[58:59]
.LBB254_1533:
	v_lshrrev_b32_e32 v3, 24, v3
	s_movk_i32 s33, 0x80
	v_and_or_b32 v10, v3, s33, v8
.LBB254_1534:
	s_or_b64 exec, exec, s[4:5]
.LBB254_1535:
	s_or_b64 exec, exec, s[56:57]
                                        ; implicit-def: $vgpr8_vgpr9
.LBB254_1536:
	s_andn2_saveexec_b64 s[54:55], s[54:55]
	s_cbranch_execz .LBB254_1544
; %bb.1537:
	flat_load_dword v3, v[8:9]
	s_mov_b32 s4, 0x47800000
	s_waitcnt vmcnt(0) lgkmcnt(0)
	v_mov_b32_e32 v10, 0x80
	v_and_b32_e32 v8, 0x7fffffff, v3
	v_cmp_gt_u32_e64 s[4:5], s4, v8
	s_and_saveexec_b64 s[56:57], s[4:5]
	s_cbranch_execz .LBB254_1543
; %bb.1538:
	s_mov_b32 s4, 0x37ffffff
	v_cmp_lt_u32_e64 s[4:5], s4, v8
	s_mov_b64 s[58:59], 0
                                        ; implicit-def: $vgpr8
	s_and_saveexec_b64 s[60:61], s[4:5]
	s_xor_b64 s[4:5], exec, s[60:61]
	s_cbranch_execz .LBB254_2939
; %bb.1539:
	v_bfe_u32 v8, v3, 21, 1
	s_mov_b32 s33, 0x88fffff
	v_add3_u32 v8, v3, v8, s33
	s_mov_b64 s[58:59], exec
	v_lshrrev_b32_e32 v8, 21, v8
	s_andn2_saveexec_b64 s[60:61], s[4:5]
	s_cbranch_execnz .LBB254_2940
.LBB254_1540:
	s_or_b64 exec, exec, s[60:61]
	v_mov_b32_e32 v10, 0
	s_and_saveexec_b64 s[4:5], s[58:59]
.LBB254_1541:
	v_lshrrev_b32_e32 v3, 24, v3
	s_movk_i32 s33, 0x80
	v_and_or_b32 v10, v3, s33, v8
.LBB254_1542:
	s_or_b64 exec, exec, s[4:5]
.LBB254_1543:
	s_or_b64 exec, exec, s[56:57]
.LBB254_1544:
	s_or_b64 exec, exec, s[54:55]
                                        ; implicit-def: $vgpr8_vgpr9
.LBB254_1545:
	s_andn2_saveexec_b64 s[52:53], s[52:53]
	s_cbranch_execz .LBB254_1553
; %bb.1546:
	flat_load_ushort v3, v[8:9]
	s_mov_b32 s4, 0x47800000
	s_waitcnt vmcnt(0) lgkmcnt(0)
	v_mov_b32_e32 v10, 0x80
	v_cvt_f32_f16_e32 v3, v3
	v_and_b32_e32 v8, 0x7fffffff, v3
	v_cmp_gt_u32_e64 s[4:5], s4, v8
	s_and_saveexec_b64 s[54:55], s[4:5]
	s_cbranch_execz .LBB254_1552
; %bb.1547:
	s_mov_b32 s4, 0x37ffffff
	v_cmp_lt_u32_e64 s[4:5], s4, v8
	s_mov_b64 s[56:57], 0
                                        ; implicit-def: $vgpr8
	s_and_saveexec_b64 s[58:59], s[4:5]
	s_xor_b64 s[4:5], exec, s[58:59]
	s_cbranch_execz .LBB254_2864
; %bb.1548:
	v_bfe_u32 v8, v3, 21, 1
	s_mov_b32 s33, 0x88fffff
	v_add3_u32 v8, v3, v8, s33
	s_mov_b64 s[56:57], exec
	v_lshrrev_b32_e32 v8, 21, v8
	s_andn2_saveexec_b64 s[58:59], s[4:5]
	s_cbranch_execnz .LBB254_2865
.LBB254_1549:
	s_or_b64 exec, exec, s[58:59]
	v_mov_b32_e32 v10, 0
	s_and_saveexec_b64 s[4:5], s[56:57]
.LBB254_1550:
	v_lshrrev_b32_e32 v3, 24, v3
	s_movk_i32 s33, 0x80
	v_and_or_b32 v10, v3, s33, v8
.LBB254_1551:
	s_or_b64 exec, exec, s[4:5]
.LBB254_1552:
	s_or_b64 exec, exec, s[54:55]
.LBB254_1553:
	s_or_b64 exec, exec, s[52:53]
.LBB254_1554:
	s_or_b64 exec, exec, s[50:51]
                                        ; implicit-def: $vgpr3
                                        ; implicit-def: $vgpr8_vgpr9
.LBB254_1555:
	s_andn2_saveexec_b64 s[48:49], s[48:49]
	s_cbranch_execz .LBB254_1603
; %bb.1556:
	v_cmp_lt_i16_e64 s[4:5], 1, v3
                                        ; implicit-def: $vgpr10
	s_and_saveexec_b64 s[50:51], s[4:5]
	s_xor_b64 s[50:51], exec, s[50:51]
	s_cbranch_execz .LBB254_1584
; %bb.1557:
	v_cmp_lt_i16_e64 s[4:5], 2, v3
                                        ; implicit-def: $vgpr10
	s_and_saveexec_b64 s[52:53], s[4:5]
	s_xor_b64 s[52:53], exec, s[52:53]
	;; [unrolled: 6-line block ×3, first 2 shown]
	s_cbranch_execz .LBB254_1566
; %bb.1559:
	flat_load_dwordx2 v[8:9], v[8:9]
	s_mov_b32 s4, 0x47800000
	s_waitcnt vmcnt(0) lgkmcnt(0)
	v_xor_b32_e32 v10, v8, v9
	v_ffbh_i32_e32 v3, v9
	v_ashrrev_i32_e32 v10, 31, v10
	v_add_u32_e32 v3, -1, v3
	v_add_u32_e32 v10, 32, v10
	v_min_u32_e32 v3, v3, v10
	v_lshlrev_b64 v[8:9], v3, v[8:9]
	v_sub_u32_e32 v3, 32, v3
	v_min_u32_e32 v8, 1, v8
	v_or_b32_e32 v8, v9, v8
	v_cvt_f32_i32_e32 v8, v8
	v_mov_b32_e32 v10, 0x80
	v_ldexp_f32 v3, v8, v3
	v_and_b32_e32 v8, 0x7fffffff, v3
	v_cmp_gt_u32_e64 s[4:5], s4, v8
	s_and_saveexec_b64 s[56:57], s[4:5]
	s_cbranch_execz .LBB254_1565
; %bb.1560:
	s_mov_b32 s4, 0x37ffffff
	v_cmp_lt_u32_e64 s[4:5], s4, v8
	s_mov_b64 s[58:59], 0
                                        ; implicit-def: $vgpr8
	s_and_saveexec_b64 s[60:61], s[4:5]
	s_xor_b64 s[4:5], exec, s[60:61]
	s_cbranch_execz .LBB254_2941
; %bb.1561:
	v_bfe_u32 v8, v3, 21, 1
	s_mov_b32 s33, 0x88fffff
	v_add3_u32 v8, v3, v8, s33
	s_mov_b64 s[58:59], exec
	v_lshrrev_b32_e32 v8, 21, v8
	s_andn2_saveexec_b64 s[60:61], s[4:5]
	s_cbranch_execnz .LBB254_2942
.LBB254_1562:
	s_or_b64 exec, exec, s[60:61]
	v_mov_b32_e32 v10, 0
	s_and_saveexec_b64 s[4:5], s[58:59]
.LBB254_1563:
	v_lshrrev_b32_e32 v3, 24, v3
	s_movk_i32 s33, 0x80
	v_and_or_b32 v10, v3, s33, v8
.LBB254_1564:
	s_or_b64 exec, exec, s[4:5]
.LBB254_1565:
	s_or_b64 exec, exec, s[56:57]
                                        ; implicit-def: $vgpr8_vgpr9
.LBB254_1566:
	s_andn2_saveexec_b64 s[54:55], s[54:55]
	s_cbranch_execz .LBB254_1574
; %bb.1567:
	flat_load_dword v3, v[8:9]
	s_mov_b32 s4, 0x47800000
	s_waitcnt vmcnt(0) lgkmcnt(0)
	v_mov_b32_e32 v10, 0x80
	v_cvt_f32_i32_e32 v3, v3
	v_and_b32_e32 v8, 0x7fffffff, v3
	v_cmp_gt_u32_e64 s[4:5], s4, v8
	s_and_saveexec_b64 s[56:57], s[4:5]
	s_cbranch_execz .LBB254_1573
; %bb.1568:
	s_mov_b32 s4, 0x37ffffff
	v_cmp_lt_u32_e64 s[4:5], s4, v8
	s_mov_b64 s[58:59], 0
                                        ; implicit-def: $vgpr8
	s_and_saveexec_b64 s[60:61], s[4:5]
	s_xor_b64 s[4:5], exec, s[60:61]
	s_cbranch_execz .LBB254_2943
; %bb.1569:
	v_bfe_u32 v8, v3, 21, 1
	s_mov_b32 s33, 0x88fffff
	v_add3_u32 v8, v3, v8, s33
	s_mov_b64 s[58:59], exec
	v_lshrrev_b32_e32 v8, 21, v8
	s_andn2_saveexec_b64 s[60:61], s[4:5]
	s_cbranch_execnz .LBB254_2944
.LBB254_1570:
	s_or_b64 exec, exec, s[60:61]
	v_mov_b32_e32 v10, 0
	s_and_saveexec_b64 s[4:5], s[58:59]
.LBB254_1571:
	v_lshrrev_b32_e32 v3, 24, v3
	s_movk_i32 s33, 0x80
	v_and_or_b32 v10, v3, s33, v8
.LBB254_1572:
	s_or_b64 exec, exec, s[4:5]
.LBB254_1573:
	s_or_b64 exec, exec, s[56:57]
.LBB254_1574:
	s_or_b64 exec, exec, s[54:55]
                                        ; implicit-def: $vgpr8_vgpr9
.LBB254_1575:
	s_andn2_saveexec_b64 s[52:53], s[52:53]
	s_cbranch_execz .LBB254_1583
; %bb.1576:
	flat_load_sshort v3, v[8:9]
	s_mov_b32 s4, 0x47800000
	s_waitcnt vmcnt(0) lgkmcnt(0)
	v_mov_b32_e32 v10, 0x80
	v_cvt_f32_i32_e32 v3, v3
	v_and_b32_e32 v8, 0x7fffffff, v3
	v_cmp_gt_u32_e64 s[4:5], s4, v8
	s_and_saveexec_b64 s[54:55], s[4:5]
	s_cbranch_execz .LBB254_1582
; %bb.1577:
	s_mov_b32 s4, 0x37ffffff
	v_cmp_lt_u32_e64 s[4:5], s4, v8
	s_mov_b64 s[56:57], 0
                                        ; implicit-def: $vgpr8
	s_and_saveexec_b64 s[58:59], s[4:5]
	s_xor_b64 s[4:5], exec, s[58:59]
	s_cbranch_execz .LBB254_2866
; %bb.1578:
	v_bfe_u32 v8, v3, 21, 1
	s_mov_b32 s33, 0x88fffff
	v_add3_u32 v8, v3, v8, s33
	s_mov_b64 s[56:57], exec
	v_lshrrev_b32_e32 v8, 21, v8
	s_andn2_saveexec_b64 s[58:59], s[4:5]
	s_cbranch_execnz .LBB254_2867
.LBB254_1579:
	s_or_b64 exec, exec, s[58:59]
	v_mov_b32_e32 v10, 0
	s_and_saveexec_b64 s[4:5], s[56:57]
.LBB254_1580:
	v_lshrrev_b32_e32 v3, 24, v3
	s_movk_i32 s33, 0x80
	v_and_or_b32 v10, v3, s33, v8
.LBB254_1581:
	s_or_b64 exec, exec, s[4:5]
.LBB254_1582:
	s_or_b64 exec, exec, s[54:55]
.LBB254_1583:
	s_or_b64 exec, exec, s[52:53]
                                        ; implicit-def: $vgpr3
                                        ; implicit-def: $vgpr8_vgpr9
.LBB254_1584:
	s_andn2_saveexec_b64 s[50:51], s[50:51]
	s_cbranch_execz .LBB254_1602
; %bb.1585:
	v_cmp_lt_i16_e64 s[4:5], 0, v3
                                        ; implicit-def: $vgpr10
	s_and_saveexec_b64 s[52:53], s[4:5]
	s_xor_b64 s[52:53], exec, s[52:53]
	s_cbranch_execz .LBB254_1593
; %bb.1586:
	flat_load_sbyte v3, v[8:9]
	s_mov_b32 s4, 0x47800000
	s_waitcnt vmcnt(0) lgkmcnt(0)
	v_mov_b32_e32 v10, 0x80
	v_cvt_f32_i32_e32 v3, v3
	v_and_b32_e32 v8, 0x7fffffff, v3
	v_cmp_gt_u32_e64 s[4:5], s4, v8
	s_and_saveexec_b64 s[54:55], s[4:5]
	s_cbranch_execz .LBB254_1592
; %bb.1587:
	s_mov_b32 s4, 0x37ffffff
	v_cmp_lt_u32_e64 s[4:5], s4, v8
	s_mov_b64 s[56:57], 0
                                        ; implicit-def: $vgpr8
	s_and_saveexec_b64 s[58:59], s[4:5]
	s_xor_b64 s[4:5], exec, s[58:59]
	s_cbranch_execz .LBB254_2868
; %bb.1588:
	v_bfe_u32 v8, v3, 21, 1
	s_mov_b32 s33, 0x88fffff
	v_add3_u32 v8, v3, v8, s33
	s_mov_b64 s[56:57], exec
	v_lshrrev_b32_e32 v8, 21, v8
	s_andn2_saveexec_b64 s[58:59], s[4:5]
	s_cbranch_execnz .LBB254_2869
.LBB254_1589:
	s_or_b64 exec, exec, s[58:59]
	v_mov_b32_e32 v10, 0
	s_and_saveexec_b64 s[4:5], s[56:57]
.LBB254_1590:
	v_lshrrev_b32_e32 v3, 24, v3
	s_movk_i32 s33, 0x80
	v_and_or_b32 v10, v3, s33, v8
.LBB254_1591:
	s_or_b64 exec, exec, s[4:5]
.LBB254_1592:
	s_or_b64 exec, exec, s[54:55]
                                        ; implicit-def: $vgpr8_vgpr9
.LBB254_1593:
	s_andn2_saveexec_b64 s[52:53], s[52:53]
	s_cbranch_execz .LBB254_1601
; %bb.1594:
	flat_load_ubyte v3, v[8:9]
	s_mov_b32 s4, 0x47800000
	s_waitcnt vmcnt(0) lgkmcnt(0)
	v_mov_b32_e32 v10, 0x80
	v_cvt_f32_ubyte0_e32 v8, v3
	v_cmp_gt_u32_e64 s[4:5], s4, v8
	s_and_saveexec_b64 s[54:55], s[4:5]
	s_cbranch_execz .LBB254_1600
; %bb.1595:
	s_mov_b32 s4, 0x37ffffff
	v_cmp_lt_u32_e64 s[4:5], s4, v8
	s_mov_b64 s[56:57], 0
                                        ; implicit-def: $vgpr3
	s_and_saveexec_b64 s[58:59], s[4:5]
	s_xor_b64 s[4:5], exec, s[58:59]
	s_cbranch_execz .LBB254_2870
; %bb.1596:
	v_bfe_u32 v3, v8, 21, 1
	s_mov_b32 s33, 0x88fffff
	v_add3_u32 v3, v8, v3, s33
	s_mov_b64 s[56:57], exec
	v_lshrrev_b32_e32 v3, 21, v3
                                        ; implicit-def: $vgpr8
	s_andn2_saveexec_b64 s[58:59], s[4:5]
	s_cbranch_execnz .LBB254_2871
.LBB254_1597:
	s_or_b64 exec, exec, s[58:59]
	v_mov_b32_e32 v10, 0
	s_and_saveexec_b64 s[4:5], s[56:57]
.LBB254_1598:
	v_mov_b32_e32 v10, v3
.LBB254_1599:
	s_or_b64 exec, exec, s[4:5]
.LBB254_1600:
	s_or_b64 exec, exec, s[54:55]
.LBB254_1601:
	s_or_b64 exec, exec, s[52:53]
.LBB254_1602:
	s_or_b64 exec, exec, s[50:51]
.LBB254_1603:
	s_or_b64 exec, exec, s[48:49]
	s_or_b64 s[46:47], s[46:47], exec
.LBB254_1604:
	s_or_b64 exec, exec, s[44:45]
	s_mov_b64 s[4:5], 0
	s_mov_b64 s[50:51], 0
                                        ; implicit-def: $sgpr48_sgpr49
                                        ; implicit-def: $vgpr21_vgpr22
                                        ; implicit-def: $vgpr16
	s_and_saveexec_b64 s[44:45], s[46:47]
	s_cbranch_execz .LBB254_2119
; %bb.1605:
	v_add_co_u32_e64 v7, s[4:5], v5, v7
	v_addc_co_u32_e64 v8, s[4:5], 0, v24, s[4:5]
	v_cmp_lt_i16_e64 s[4:5], 10, v1
	s_mov_b64 s[52:53], 0
	s_mov_b64 s[46:47], s[42:43]
                                        ; implicit-def: $vgpr3
	s_and_saveexec_b64 s[48:49], s[4:5]
	s_xor_b64 s[48:49], exec, s[48:49]
	s_cbranch_execz .LBB254_1686
; %bb.1606:
	v_cmp_lt_i16_e64 s[4:5], 25, v1
	s_mov_b64 s[46:47], 0
	s_mov_b64 s[54:55], 0
                                        ; implicit-def: $vgpr3
	s_and_saveexec_b64 s[50:51], s[4:5]
	s_xor_b64 s[50:51], exec, s[50:51]
	s_cbranch_execz .LBB254_2611
; %bb.1607:
	v_cmp_lt_i16_e64 s[4:5], 28, v1
	s_mov_b64 s[56:57], 0
                                        ; implicit-def: $vgpr3
	s_and_saveexec_b64 s[52:53], s[4:5]
	s_xor_b64 s[52:53], exec, s[52:53]
	s_cbranch_execz .LBB254_1641
; %bb.1608:
	v_cmp_lt_i16_e64 s[4:5], 43, v1
	s_mov_b64 s[58:59], 0
	s_mov_b64 s[60:61], 0
                                        ; implicit-def: $vgpr3
	s_and_saveexec_b64 s[54:55], s[4:5]
	s_xor_b64 s[54:55], exec, s[54:55]
	s_cbranch_execz .LBB254_1630
; %bb.1609:
	v_cmp_lt_i16_e64 s[4:5], 45, v1
                                        ; implicit-def: $vgpr3
	s_and_saveexec_b64 s[60:61], s[4:5]
	s_xor_b64 s[60:61], exec, s[60:61]
	s_cbranch_execz .LBB254_1619
; %bb.1610:
	v_cmp_eq_u16_e64 s[4:5], 46, v1
	s_mov_b64 s[62:63], -1
                                        ; implicit-def: $vgpr3
	s_and_saveexec_b64 s[56:57], s[4:5]
	s_cbranch_execz .LBB254_1618
; %bb.1611:
	flat_load_dword v1, v[7:8]
	s_mov_b32 s4, 0x47800000
	v_mov_b32_e32 v3, 0x80
	s_waitcnt vmcnt(0) lgkmcnt(0)
	v_lshlrev_b32_e32 v1, 16, v1
	v_and_b32_e32 v5, 0x7fffffff, v1
	v_cmp_gt_u32_e64 s[4:5], s4, v5
	s_and_saveexec_b64 s[58:59], s[4:5]
	s_cbranch_execz .LBB254_1617
; %bb.1612:
	s_mov_b32 s4, 0x37ffffff
	v_cmp_lt_u32_e64 s[4:5], s4, v5
	s_mov_b64 s[62:63], 0
                                        ; implicit-def: $vgpr5
	s_and_saveexec_b64 s[64:65], s[4:5]
	s_xor_b64 s[4:5], exec, s[64:65]
	s_cbranch_execz .LBB254_3034
; %bb.1613:
	v_bfe_u32 v3, v1, 21, 1
	s_mov_b32 s33, 0x88fffff
	v_add3_u32 v3, v1, v3, s33
	s_mov_b64 s[62:63], exec
	v_lshrrev_b32_e32 v5, 21, v3
	s_andn2_saveexec_b64 s[64:65], s[4:5]
	s_cbranch_execnz .LBB254_3035
.LBB254_1614:
	s_or_b64 exec, exec, s[64:65]
	v_mov_b32_e32 v3, 0
	s_and_saveexec_b64 s[4:5], s[62:63]
.LBB254_1615:
	v_lshrrev_b32_e32 v1, 24, v1
	s_movk_i32 s33, 0x80
	v_and_or_b32 v3, v1, s33, v5
.LBB254_1616:
	s_or_b64 exec, exec, s[4:5]
.LBB254_1617:
	s_or_b64 exec, exec, s[58:59]
	s_mov_b64 s[58:59], exec
	s_xor_b64 s[62:63], exec, -1
.LBB254_1618:
	s_or_b64 exec, exec, s[56:57]
	s_and_b64 s[58:59], s[58:59], exec
	s_and_b64 s[56:57], s[62:63], exec
                                        ; implicit-def: $vgpr1
.LBB254_1619:
	s_andn2_saveexec_b64 s[60:61], s[60:61]
	s_cbranch_execz .LBB254_1629
; %bb.1620:
	v_cmp_eq_u16_e64 s[4:5], 44, v1
	s_mov_b64 s[64:65], -1
	s_mov_b64 s[66:67], s[58:59]
                                        ; implicit-def: $vgpr3
	s_and_saveexec_b64 s[62:63], s[4:5]
	s_cbranch_execz .LBB254_1628
; %bb.1621:
	flat_load_ubyte v1, v[7:8]
	s_movk_i32 s4, 0xff
	v_mov_b32_e32 v3, 0x7f800001
	v_mov_b32_e32 v5, 0x400000
	s_mov_b32 s33, 0x47800000
	s_waitcnt vmcnt(0) lgkmcnt(0)
	v_lshlrev_b32_e32 v9, 23, v1
	v_cmp_ne_u32_e64 s[4:5], s4, v1
	v_cndmask_b32_e64 v3, v3, v9, s[4:5]
	v_cmp_ne_u32_e64 s[4:5], 0, v1
	v_cndmask_b32_e64 v5, v5, v3, s[4:5]
	v_cmp_gt_u32_e64 s[4:5], s33, v5
	v_mov_b32_e32 v3, 0x80
	s_and_saveexec_b64 s[64:65], s[4:5]
	s_cbranch_execz .LBB254_1627
; %bb.1622:
	s_mov_b32 s4, 0x37ffffff
	v_cmp_lt_u32_e64 s[4:5], s4, v5
	s_mov_b64 s[66:67], 0
                                        ; implicit-def: $vgpr1
	s_and_saveexec_b64 s[68:69], s[4:5]
	s_xor_b64 s[4:5], exec, s[68:69]
	s_cbranch_execz .LBB254_3036
; %bb.1623:
	v_bfe_u32 v1, v5, 21, 1
	s_mov_b32 s33, 0x88fffff
	v_add3_u32 v1, v5, v1, s33
	s_mov_b64 s[66:67], exec
	v_lshrrev_b32_e32 v1, 21, v1
                                        ; implicit-def: $vgpr5
	s_andn2_saveexec_b64 s[68:69], s[4:5]
	s_cbranch_execnz .LBB254_3037
.LBB254_1624:
	s_or_b64 exec, exec, s[68:69]
	v_mov_b32_e32 v3, 0
	s_and_saveexec_b64 s[4:5], s[66:67]
.LBB254_1625:
	v_mov_b32_e32 v3, v1
.LBB254_1626:
	s_or_b64 exec, exec, s[4:5]
.LBB254_1627:
	s_or_b64 exec, exec, s[64:65]
	s_or_b64 s[66:67], s[58:59], exec
	s_xor_b64 s[64:65], exec, -1
.LBB254_1628:
	s_or_b64 exec, exec, s[62:63]
	s_andn2_b64 s[4:5], s[58:59], exec
	s_and_b64 s[58:59], s[66:67], exec
	s_or_b64 s[58:59], s[4:5], s[58:59]
	s_andn2_b64 s[4:5], s[56:57], exec
	s_and_b64 s[56:57], s[64:65], exec
	s_or_b64 s[56:57], s[4:5], s[56:57]
.LBB254_1629:
	s_or_b64 exec, exec, s[60:61]
	s_and_b64 s[60:61], s[58:59], exec
	s_and_b64 s[58:59], s[56:57], exec
                                        ; implicit-def: $vgpr1
.LBB254_1630:
	s_andn2_saveexec_b64 s[54:55], s[54:55]
	s_cbranch_execz .LBB254_1640
; %bb.1631:
	v_cmp_eq_u16_e64 s[4:5], 29, v1
	s_mov_b64 s[62:63], -1
	s_mov_b64 s[64:65], s[60:61]
                                        ; implicit-def: $vgpr3
	s_and_saveexec_b64 s[56:57], s[4:5]
	s_cbranch_execz .LBB254_1639
; %bb.1632:
	s_waitcnt vmcnt(0) lgkmcnt(0)
	flat_load_dwordx2 v[11:12], v[7:8]
	s_mov_b32 s4, 0x47800000
	s_waitcnt vmcnt(0) lgkmcnt(0)
	v_ffbh_u32_e32 v1, v12
	v_min_u32_e32 v1, 32, v1
	v_lshlrev_b64 v[11:12], v1, v[11:12]
	v_sub_u32_e32 v1, 32, v1
	v_min_u32_e32 v3, 1, v11
	v_or_b32_e32 v3, v12, v3
	v_cvt_f32_u32_e32 v3, v3
	v_ldexp_f32 v5, v3, v1
	v_cmp_gt_u32_e64 s[4:5], s4, v5
	v_mov_b32_e32 v3, 0x80
	s_and_saveexec_b64 s[62:63], s[4:5]
	s_cbranch_execz .LBB254_1638
; %bb.1633:
	s_mov_b32 s4, 0x37ffffff
	v_cmp_lt_u32_e64 s[4:5], s4, v5
	s_mov_b64 s[64:65], 0
                                        ; implicit-def: $vgpr1
	s_and_saveexec_b64 s[66:67], s[4:5]
	s_xor_b64 s[4:5], exec, s[66:67]
	s_cbranch_execz .LBB254_3010
; %bb.1634:
	v_bfe_u32 v1, v5, 21, 1
	s_mov_b32 s33, 0x88fffff
	v_add3_u32 v1, v5, v1, s33
	s_mov_b64 s[64:65], exec
	v_lshrrev_b32_e32 v1, 21, v1
                                        ; implicit-def: $vgpr5
	s_andn2_saveexec_b64 s[66:67], s[4:5]
	s_cbranch_execnz .LBB254_3011
.LBB254_1635:
	s_or_b64 exec, exec, s[66:67]
	v_mov_b32_e32 v3, 0
	s_and_saveexec_b64 s[4:5], s[64:65]
.LBB254_1636:
	v_mov_b32_e32 v3, v1
.LBB254_1637:
	s_or_b64 exec, exec, s[4:5]
.LBB254_1638:
	s_or_b64 exec, exec, s[62:63]
	s_or_b64 s[64:65], s[60:61], exec
	s_xor_b64 s[62:63], exec, -1
.LBB254_1639:
	s_or_b64 exec, exec, s[56:57]
	s_andn2_b64 s[4:5], s[60:61], exec
	s_and_b64 s[56:57], s[64:65], exec
	s_or_b64 s[60:61], s[4:5], s[56:57]
	s_andn2_b64 s[4:5], s[58:59], exec
	s_and_b64 s[56:57], s[62:63], exec
	s_or_b64 s[58:59], s[4:5], s[56:57]
.LBB254_1640:
	s_or_b64 exec, exec, s[54:55]
	s_and_b64 s[56:57], s[60:61], exec
	s_and_b64 s[54:55], s[58:59], exec
                                        ; implicit-def: $vgpr1
.LBB254_1641:
	s_andn2_saveexec_b64 s[52:53], s[52:53]
	s_cbranch_execz .LBB254_1675
; %bb.1642:
	v_cmp_lt_i16_e64 s[4:5], 26, v1
                                        ; implicit-def: $vgpr3
	s_and_saveexec_b64 s[58:59], s[4:5]
	s_xor_b64 s[58:59], exec, s[58:59]
	s_cbranch_execz .LBB254_1660
; %bb.1643:
	v_cmp_lt_i16_e64 s[4:5], 27, v1
                                        ; implicit-def: $vgpr3
	s_and_saveexec_b64 s[60:61], s[4:5]
	s_xor_b64 s[60:61], exec, s[60:61]
	s_cbranch_execz .LBB254_1651
; %bb.1644:
	flat_load_dword v1, v[7:8]
	s_mov_b32 s4, 0x47800000
	v_mov_b32_e32 v3, 0x80
	s_waitcnt vmcnt(0) lgkmcnt(0)
	v_cvt_f32_u32_e32 v5, v1
	v_cmp_gt_u32_e64 s[4:5], s4, v5
	s_and_saveexec_b64 s[62:63], s[4:5]
	s_cbranch_execz .LBB254_1650
; %bb.1645:
	s_mov_b32 s4, 0x37ffffff
	v_cmp_lt_u32_e64 s[4:5], s4, v5
	s_mov_b64 s[64:65], 0
                                        ; implicit-def: $vgpr1
	s_and_saveexec_b64 s[66:67], s[4:5]
	s_xor_b64 s[4:5], exec, s[66:67]
	s_cbranch_execz .LBB254_3012
; %bb.1646:
	v_bfe_u32 v1, v5, 21, 1
	s_mov_b32 s33, 0x88fffff
	v_add3_u32 v1, v5, v1, s33
	s_mov_b64 s[64:65], exec
	v_lshrrev_b32_e32 v1, 21, v1
                                        ; implicit-def: $vgpr5
	s_andn2_saveexec_b64 s[66:67], s[4:5]
	s_cbranch_execnz .LBB254_3013
.LBB254_1647:
	s_or_b64 exec, exec, s[66:67]
	v_mov_b32_e32 v3, 0
	s_and_saveexec_b64 s[4:5], s[64:65]
.LBB254_1648:
	v_mov_b32_e32 v3, v1
.LBB254_1649:
	s_or_b64 exec, exec, s[4:5]
.LBB254_1650:
	s_or_b64 exec, exec, s[62:63]
.LBB254_1651:
	s_andn2_saveexec_b64 s[60:61], s[60:61]
	s_cbranch_execz .LBB254_1659
; %bb.1652:
	flat_load_ushort v1, v[7:8]
	s_mov_b32 s4, 0x47800000
	v_mov_b32_e32 v3, 0x80
	s_waitcnt vmcnt(0) lgkmcnt(0)
	v_cvt_f32_u32_e32 v5, v1
	v_cmp_gt_u32_e64 s[4:5], s4, v5
	s_and_saveexec_b64 s[62:63], s[4:5]
	s_cbranch_execz .LBB254_1658
; %bb.1653:
	s_mov_b32 s4, 0x37ffffff
	v_cmp_lt_u32_e64 s[4:5], s4, v5
	s_mov_b64 s[64:65], 0
                                        ; implicit-def: $vgpr1
	s_and_saveexec_b64 s[66:67], s[4:5]
	s_xor_b64 s[4:5], exec, s[66:67]
	s_cbranch_execz .LBB254_3014
; %bb.1654:
	v_bfe_u32 v1, v5, 21, 1
	s_mov_b32 s33, 0x88fffff
	v_add3_u32 v1, v5, v1, s33
	s_mov_b64 s[64:65], exec
	v_lshrrev_b32_e32 v1, 21, v1
                                        ; implicit-def: $vgpr5
	s_andn2_saveexec_b64 s[66:67], s[4:5]
	s_cbranch_execnz .LBB254_3015
.LBB254_1655:
	s_or_b64 exec, exec, s[66:67]
	v_mov_b32_e32 v3, 0
	s_and_saveexec_b64 s[4:5], s[64:65]
.LBB254_1656:
	v_mov_b32_e32 v3, v1
.LBB254_1657:
	s_or_b64 exec, exec, s[4:5]
.LBB254_1658:
	s_or_b64 exec, exec, s[62:63]
.LBB254_1659:
	s_or_b64 exec, exec, s[60:61]
.LBB254_1660:
	s_andn2_saveexec_b64 s[58:59], s[58:59]
	s_cbranch_execz .LBB254_1674
; %bb.1661:
	flat_load_ubyte v3, v[7:8]
	s_movk_i32 s4, 0x7f
	s_mov_b64 s[60:61], 0
	s_waitcnt vmcnt(0) lgkmcnt(0)
	v_cmp_lt_i16_e64 s[4:5], s4, v3
	s_and_saveexec_b64 s[62:63], s[4:5]
	s_xor_b64 s[62:63], exec, s[62:63]
	s_cbranch_execz .LBB254_2872
; %bb.1662:
	s_movk_i32 s4, 0x80
	v_cmp_eq_u16_e64 s[4:5], s4, v3
	s_mov_b64 s[60:61], -1
	s_and_saveexec_b64 s[64:65], s[4:5]
; %bb.1663:
	s_xor_b64 s[60:61], exec, -1
; %bb.1664:
	s_or_b64 exec, exec, s[64:65]
	s_and_b64 s[60:61], s[60:61], exec
	s_or_saveexec_b64 s[62:63], s[62:63]
	v_mov_b32_e32 v1, 0x7f800001
	s_xor_b64 exec, exec, s[62:63]
	s_cbranch_execnz .LBB254_2873
.LBB254_1665:
	s_or_b64 exec, exec, s[62:63]
	s_and_saveexec_b64 s[62:63], s[60:61]
	s_cbranch_execz .LBB254_1667
.LBB254_1666:
	v_lshlrev_b32_e32 v1, 24, v3
	v_and_b32_e32 v3, 0xffff, v3
	v_and_b32_e32 v5, 7, v3
	v_ffbh_u32_e32 v11, v5
	v_min_u32_e32 v11, 32, v11
	v_subrev_u32_e32 v12, 28, v11
	v_bfe_u32 v9, v3, 3, 4
	v_lshlrev_b32_e32 v3, v12, v3
	v_sub_u32_e32 v11, 29, v11
	v_and_b32_e32 v3, 7, v3
	v_cmp_eq_u32_e64 s[4:5], 0, v9
	v_cndmask_b32_e64 v9, v9, v11, s[4:5]
	v_cndmask_b32_e64 v3, v5, v3, s[4:5]
	v_mov_b32_e32 v5, 0x3b800000
	v_lshlrev_b32_e32 v3, 20, v3
	v_and_b32_e32 v1, 0x80000000, v1
	v_lshl_add_u32 v5, v9, 23, v5
	v_or3_b32 v1, v1, v5, v3
.LBB254_1667:
	s_or_b64 exec, exec, s[62:63]
	v_and_b32_e32 v5, 0x7fffffff, v1
	s_mov_b32 s4, 0x47800000
	v_cmp_gt_u32_e64 s[4:5], s4, v5
	v_mov_b32_e32 v3, 0x80
	s_and_saveexec_b64 s[60:61], s[4:5]
	s_cbranch_execz .LBB254_1673
; %bb.1668:
	s_mov_b32 s4, 0x37ffffff
	v_cmp_lt_u32_e64 s[4:5], s4, v5
	s_mov_b64 s[62:63], 0
                                        ; implicit-def: $vgpr5
	s_and_saveexec_b64 s[64:65], s[4:5]
	s_xor_b64 s[4:5], exec, s[64:65]
	s_cbranch_execz .LBB254_2945
; %bb.1669:
	v_bfe_u32 v3, v1, 21, 1
	s_mov_b32 s33, 0x88fffff
	v_add3_u32 v3, v1, v3, s33
	s_mov_b64 s[62:63], exec
	v_lshrrev_b32_e32 v5, 21, v3
	s_andn2_saveexec_b64 s[64:65], s[4:5]
	s_cbranch_execnz .LBB254_2946
.LBB254_1670:
	s_or_b64 exec, exec, s[64:65]
	v_mov_b32_e32 v3, 0
	s_and_saveexec_b64 s[4:5], s[62:63]
.LBB254_1671:
	v_lshrrev_b32_e32 v1, 24, v1
	s_movk_i32 s33, 0x80
	v_and_or_b32 v3, v1, s33, v5
.LBB254_1672:
	s_or_b64 exec, exec, s[4:5]
.LBB254_1673:
	s_or_b64 exec, exec, s[60:61]
.LBB254_1674:
	s_or_b64 exec, exec, s[58:59]
	s_or_b64 s[56:57], s[56:57], exec
.LBB254_1675:
	s_or_b64 exec, exec, s[52:53]
	s_and_b64 s[52:53], s[56:57], exec
	s_and_b64 s[54:55], s[54:55], exec
                                        ; implicit-def: $vgpr1
	s_andn2_saveexec_b64 s[50:51], s[50:51]
	s_cbranch_execnz .LBB254_2612
.LBB254_1676:
	s_or_b64 exec, exec, s[50:51]
	s_mov_b64 s[50:51], s[42:43]
	s_and_saveexec_b64 s[4:5], s[54:55]
	s_cbranch_execnz .LBB254_2649
.LBB254_1677:
	s_or_b64 exec, exec, s[4:5]
	s_and_saveexec_b64 s[4:5], s[46:47]
	s_xor_b64 s[46:47], exec, s[4:5]
	s_cbranch_execz .LBB254_1685
.LBB254_1678:
	flat_load_ubyte v1, v[7:8]
	s_mov_b32 s33, 0x47800000
	s_waitcnt vmcnt(0) lgkmcnt(0)
	v_mov_b32_e32 v3, 0x80
	v_cmp_ne_u16_e64 s[4:5], 0, v1
	v_cndmask_b32_e64 v5, 0, 1.0, s[4:5]
	v_cmp_gt_u32_e64 s[4:5], s33, v5
	s_and_saveexec_b64 s[54:55], s[4:5]
	s_cbranch_execz .LBB254_1684
; %bb.1679:
	s_mov_b32 s4, 0x37ffffff
	v_cmp_lt_u32_e64 s[4:5], s4, v5
	s_mov_b64 s[56:57], 0
                                        ; implicit-def: $vgpr1
	s_and_saveexec_b64 s[58:59], s[4:5]
	s_xor_b64 s[4:5], exec, s[58:59]
	s_cbranch_execz .LBB254_2787
; %bb.1680:
	v_bfe_u32 v1, v5, 21, 1
	s_mov_b32 s33, 0x88fffff
	v_add3_u32 v1, v5, v1, s33
	s_mov_b64 s[56:57], exec
	v_lshrrev_b32_e32 v1, 21, v1
                                        ; implicit-def: $vgpr5
	s_andn2_saveexec_b64 s[58:59], s[4:5]
	s_cbranch_execnz .LBB254_2788
.LBB254_1681:
	s_or_b64 exec, exec, s[58:59]
	v_mov_b32_e32 v3, 0
	s_and_saveexec_b64 s[4:5], s[56:57]
.LBB254_1682:
	v_mov_b32_e32 v3, v1
.LBB254_1683:
	s_or_b64 exec, exec, s[4:5]
.LBB254_1684:
	s_or_b64 exec, exec, s[54:55]
	s_or_b64 s[52:53], s[52:53], exec
.LBB254_1685:
	s_or_b64 exec, exec, s[46:47]
	s_andn2_b64 s[4:5], s[42:43], exec
	s_and_b64 s[46:47], s[50:51], exec
	s_or_b64 s[46:47], s[4:5], s[46:47]
	s_and_b64 s[52:53], s[52:53], exec
                                        ; implicit-def: $vgpr1
                                        ; implicit-def: $vgpr7_vgpr8
.LBB254_1686:
	s_andn2_saveexec_b64 s[48:49], s[48:49]
	s_cbranch_execz .LBB254_1794
; %bb.1687:
	v_cmp_lt_i16_e64 s[4:5], 4, v1
                                        ; implicit-def: $vgpr3
	s_and_saveexec_b64 s[50:51], s[4:5]
	s_xor_b64 s[50:51], exec, s[50:51]
	s_cbranch_execz .LBB254_1745
; %bb.1688:
	v_cmp_lt_i16_e64 s[4:5], 7, v1
                                        ; implicit-def: $vgpr3
	s_and_saveexec_b64 s[54:55], s[4:5]
	s_xor_b64 s[54:55], exec, s[54:55]
	;; [unrolled: 6-line block ×4, first 2 shown]
	s_cbranch_execz .LBB254_1698
; %bb.1691:
	flat_load_dwordx2 v[7:8], v[7:8]
	s_mov_b32 s4, 0x47800000
	s_waitcnt vmcnt(0) lgkmcnt(0)
	v_mov_b32_e32 v3, 0x80
	v_cvt_f32_f64_e32 v1, v[7:8]
	v_and_b32_e32 v5, 0x7fffffff, v1
	v_cmp_gt_u32_e64 s[4:5], s4, v5
	s_and_saveexec_b64 s[60:61], s[4:5]
	s_cbranch_execz .LBB254_1697
; %bb.1692:
	s_mov_b32 s4, 0x37ffffff
	v_cmp_lt_u32_e64 s[4:5], s4, v5
	s_mov_b64 s[62:63], 0
                                        ; implicit-def: $vgpr5
	s_and_saveexec_b64 s[64:65], s[4:5]
	s_xor_b64 s[4:5], exec, s[64:65]
	s_cbranch_execz .LBB254_3016
; %bb.1693:
	v_bfe_u32 v3, v1, 21, 1
	s_mov_b32 s33, 0x88fffff
	v_add3_u32 v3, v1, v3, s33
	s_mov_b64 s[62:63], exec
	v_lshrrev_b32_e32 v5, 21, v3
	s_andn2_saveexec_b64 s[64:65], s[4:5]
	s_cbranch_execnz .LBB254_3017
.LBB254_1694:
	s_or_b64 exec, exec, s[64:65]
	v_mov_b32_e32 v3, 0
	s_and_saveexec_b64 s[4:5], s[62:63]
.LBB254_1695:
	v_lshrrev_b32_e32 v1, 24, v1
	s_movk_i32 s33, 0x80
	v_and_or_b32 v3, v1, s33, v5
.LBB254_1696:
	s_or_b64 exec, exec, s[4:5]
.LBB254_1697:
	s_or_b64 exec, exec, s[60:61]
                                        ; implicit-def: $vgpr7_vgpr8
.LBB254_1698:
	s_andn2_saveexec_b64 s[58:59], s[58:59]
	s_cbranch_execz .LBB254_1706
; %bb.1699:
	flat_load_dword v1, v[7:8]
	s_mov_b32 s4, 0x47800000
	s_waitcnt vmcnt(0) lgkmcnt(0)
	v_mov_b32_e32 v3, 0x80
	v_and_b32_e32 v5, 0x7fffffff, v1
	v_cmp_gt_u32_e64 s[4:5], s4, v5
	s_and_saveexec_b64 s[60:61], s[4:5]
	s_cbranch_execz .LBB254_1705
; %bb.1700:
	s_mov_b32 s4, 0x37ffffff
	v_cmp_lt_u32_e64 s[4:5], s4, v5
	s_mov_b64 s[62:63], 0
                                        ; implicit-def: $vgpr5
	s_and_saveexec_b64 s[64:65], s[4:5]
	s_xor_b64 s[4:5], exec, s[64:65]
	s_cbranch_execz .LBB254_3018
; %bb.1701:
	v_bfe_u32 v3, v1, 21, 1
	s_mov_b32 s33, 0x88fffff
	v_add3_u32 v3, v1, v3, s33
	s_mov_b64 s[62:63], exec
	v_lshrrev_b32_e32 v5, 21, v3
	s_andn2_saveexec_b64 s[64:65], s[4:5]
	s_cbranch_execnz .LBB254_3019
.LBB254_1702:
	s_or_b64 exec, exec, s[64:65]
	v_mov_b32_e32 v3, 0
	s_and_saveexec_b64 s[4:5], s[62:63]
.LBB254_1703:
	v_lshrrev_b32_e32 v1, 24, v1
	s_movk_i32 s33, 0x80
	v_and_or_b32 v3, v1, s33, v5
.LBB254_1704:
	s_or_b64 exec, exec, s[4:5]
.LBB254_1705:
	s_or_b64 exec, exec, s[60:61]
.LBB254_1706:
	s_or_b64 exec, exec, s[58:59]
                                        ; implicit-def: $vgpr7_vgpr8
.LBB254_1707:
	s_andn2_saveexec_b64 s[56:57], s[56:57]
	s_cbranch_execz .LBB254_1715
; %bb.1708:
	flat_load_dword v1, v[7:8]
	s_mov_b32 s4, 0x47800000
	s_waitcnt vmcnt(0) lgkmcnt(0)
	v_mov_b32_e32 v3, 0x80
	v_cvt_f32_f16_e32 v1, v1
	v_and_b32_e32 v5, 0x7fffffff, v1
	v_cmp_gt_u32_e64 s[4:5], s4, v5
	s_and_saveexec_b64 s[58:59], s[4:5]
	s_cbranch_execz .LBB254_1714
; %bb.1709:
	s_mov_b32 s4, 0x37ffffff
	v_cmp_lt_u32_e64 s[4:5], s4, v5
	s_mov_b64 s[60:61], 0
                                        ; implicit-def: $vgpr5
	s_and_saveexec_b64 s[62:63], s[4:5]
	s_xor_b64 s[4:5], exec, s[62:63]
	s_cbranch_execz .LBB254_2947
; %bb.1710:
	v_bfe_u32 v3, v1, 21, 1
	s_mov_b32 s33, 0x88fffff
	v_add3_u32 v3, v1, v3, s33
	s_mov_b64 s[60:61], exec
	v_lshrrev_b32_e32 v5, 21, v3
	s_andn2_saveexec_b64 s[62:63], s[4:5]
	s_cbranch_execnz .LBB254_2948
.LBB254_1711:
	s_or_b64 exec, exec, s[62:63]
	v_mov_b32_e32 v3, 0
	s_and_saveexec_b64 s[4:5], s[60:61]
.LBB254_1712:
	v_lshrrev_b32_e32 v1, 24, v1
	s_movk_i32 s33, 0x80
	v_and_or_b32 v3, v1, s33, v5
.LBB254_1713:
	s_or_b64 exec, exec, s[4:5]
.LBB254_1714:
	s_or_b64 exec, exec, s[58:59]
.LBB254_1715:
	s_or_b64 exec, exec, s[56:57]
                                        ; implicit-def: $vgpr1
                                        ; implicit-def: $vgpr7_vgpr8
.LBB254_1716:
	s_andn2_saveexec_b64 s[54:55], s[54:55]
	s_cbranch_execz .LBB254_1744
; %bb.1717:
	v_cmp_lt_i16_e64 s[4:5], 5, v1
                                        ; implicit-def: $vgpr3
	s_and_saveexec_b64 s[56:57], s[4:5]
	s_xor_b64 s[56:57], exec, s[56:57]
	s_cbranch_execz .LBB254_1735
; %bb.1718:
	v_cmp_lt_i16_e64 s[4:5], 6, v1
                                        ; implicit-def: $vgpr3
	s_and_saveexec_b64 s[58:59], s[4:5]
	s_xor_b64 s[58:59], exec, s[58:59]
	s_cbranch_execz .LBB254_1726
; %bb.1719:
	flat_load_dwordx2 v[7:8], v[7:8]
	s_mov_b32 s4, 0x47800000
	s_waitcnt vmcnt(0) lgkmcnt(0)
	v_mov_b32_e32 v3, 0x80
	v_cvt_f32_f64_e32 v1, v[7:8]
	v_and_b32_e32 v5, 0x7fffffff, v1
	v_cmp_gt_u32_e64 s[4:5], s4, v5
	s_and_saveexec_b64 s[60:61], s[4:5]
	s_cbranch_execz .LBB254_1725
; %bb.1720:
	s_mov_b32 s4, 0x37ffffff
	v_cmp_lt_u32_e64 s[4:5], s4, v5
	s_mov_b64 s[62:63], 0
                                        ; implicit-def: $vgpr5
	s_and_saveexec_b64 s[64:65], s[4:5]
	s_xor_b64 s[4:5], exec, s[64:65]
	s_cbranch_execz .LBB254_3020
; %bb.1721:
	v_bfe_u32 v3, v1, 21, 1
	s_mov_b32 s33, 0x88fffff
	v_add3_u32 v3, v1, v3, s33
	s_mov_b64 s[62:63], exec
	v_lshrrev_b32_e32 v5, 21, v3
	s_andn2_saveexec_b64 s[64:65], s[4:5]
	s_cbranch_execnz .LBB254_3021
.LBB254_1722:
	s_or_b64 exec, exec, s[64:65]
	v_mov_b32_e32 v3, 0
	s_and_saveexec_b64 s[4:5], s[62:63]
.LBB254_1723:
	v_lshrrev_b32_e32 v1, 24, v1
	s_movk_i32 s33, 0x80
	v_and_or_b32 v3, v1, s33, v5
.LBB254_1724:
	s_or_b64 exec, exec, s[4:5]
.LBB254_1725:
	s_or_b64 exec, exec, s[60:61]
                                        ; implicit-def: $vgpr7_vgpr8
.LBB254_1726:
	s_andn2_saveexec_b64 s[58:59], s[58:59]
	s_cbranch_execz .LBB254_1734
; %bb.1727:
	flat_load_dword v1, v[7:8]
	s_mov_b32 s4, 0x47800000
	s_waitcnt vmcnt(0) lgkmcnt(0)
	v_mov_b32_e32 v3, 0x80
	v_and_b32_e32 v5, 0x7fffffff, v1
	v_cmp_gt_u32_e64 s[4:5], s4, v5
	s_and_saveexec_b64 s[60:61], s[4:5]
	s_cbranch_execz .LBB254_1733
; %bb.1728:
	s_mov_b32 s4, 0x37ffffff
	v_cmp_lt_u32_e64 s[4:5], s4, v5
	s_mov_b64 s[62:63], 0
                                        ; implicit-def: $vgpr5
	s_and_saveexec_b64 s[64:65], s[4:5]
	s_xor_b64 s[4:5], exec, s[64:65]
	s_cbranch_execz .LBB254_3022
; %bb.1729:
	v_bfe_u32 v3, v1, 21, 1
	s_mov_b32 s33, 0x88fffff
	v_add3_u32 v3, v1, v3, s33
	s_mov_b64 s[62:63], exec
	v_lshrrev_b32_e32 v5, 21, v3
	s_andn2_saveexec_b64 s[64:65], s[4:5]
	s_cbranch_execnz .LBB254_3023
.LBB254_1730:
	s_or_b64 exec, exec, s[64:65]
	v_mov_b32_e32 v3, 0
	s_and_saveexec_b64 s[4:5], s[62:63]
.LBB254_1731:
	v_lshrrev_b32_e32 v1, 24, v1
	s_movk_i32 s33, 0x80
	v_and_or_b32 v3, v1, s33, v5
.LBB254_1732:
	s_or_b64 exec, exec, s[4:5]
.LBB254_1733:
	s_or_b64 exec, exec, s[60:61]
.LBB254_1734:
	s_or_b64 exec, exec, s[58:59]
                                        ; implicit-def: $vgpr7_vgpr8
.LBB254_1735:
	s_andn2_saveexec_b64 s[56:57], s[56:57]
	s_cbranch_execz .LBB254_1743
; %bb.1736:
	flat_load_ushort v1, v[7:8]
	s_mov_b32 s4, 0x47800000
	s_waitcnt vmcnt(0) lgkmcnt(0)
	v_mov_b32_e32 v3, 0x80
	v_cvt_f32_f16_e32 v1, v1
	v_and_b32_e32 v5, 0x7fffffff, v1
	v_cmp_gt_u32_e64 s[4:5], s4, v5
	s_and_saveexec_b64 s[58:59], s[4:5]
	s_cbranch_execz .LBB254_1742
; %bb.1737:
	s_mov_b32 s4, 0x37ffffff
	v_cmp_lt_u32_e64 s[4:5], s4, v5
	s_mov_b64 s[60:61], 0
                                        ; implicit-def: $vgpr5
	s_and_saveexec_b64 s[62:63], s[4:5]
	s_xor_b64 s[4:5], exec, s[62:63]
	s_cbranch_execz .LBB254_2949
; %bb.1738:
	v_bfe_u32 v3, v1, 21, 1
	s_mov_b32 s33, 0x88fffff
	v_add3_u32 v3, v1, v3, s33
	s_mov_b64 s[60:61], exec
	v_lshrrev_b32_e32 v5, 21, v3
	s_andn2_saveexec_b64 s[62:63], s[4:5]
	s_cbranch_execnz .LBB254_2950
.LBB254_1739:
	s_or_b64 exec, exec, s[62:63]
	v_mov_b32_e32 v3, 0
	s_and_saveexec_b64 s[4:5], s[60:61]
.LBB254_1740:
	v_lshrrev_b32_e32 v1, 24, v1
	s_movk_i32 s33, 0x80
	v_and_or_b32 v3, v1, s33, v5
.LBB254_1741:
	s_or_b64 exec, exec, s[4:5]
.LBB254_1742:
	s_or_b64 exec, exec, s[58:59]
.LBB254_1743:
	s_or_b64 exec, exec, s[56:57]
.LBB254_1744:
	s_or_b64 exec, exec, s[54:55]
                                        ; implicit-def: $vgpr1
                                        ; implicit-def: $vgpr7_vgpr8
.LBB254_1745:
	s_andn2_saveexec_b64 s[50:51], s[50:51]
	s_cbranch_execz .LBB254_1793
; %bb.1746:
	v_cmp_lt_i16_e64 s[4:5], 1, v1
                                        ; implicit-def: $vgpr3
	s_and_saveexec_b64 s[54:55], s[4:5]
	s_xor_b64 s[54:55], exec, s[54:55]
	s_cbranch_execz .LBB254_1774
; %bb.1747:
	v_cmp_lt_i16_e64 s[4:5], 2, v1
                                        ; implicit-def: $vgpr3
	s_and_saveexec_b64 s[56:57], s[4:5]
	s_xor_b64 s[56:57], exec, s[56:57]
	;; [unrolled: 6-line block ×3, first 2 shown]
	s_cbranch_execz .LBB254_1756
; %bb.1749:
	flat_load_dwordx2 v[7:8], v[7:8]
	s_mov_b32 s4, 0x47800000
	s_waitcnt vmcnt(0) lgkmcnt(0)
	v_xor_b32_e32 v3, v7, v8
	v_ffbh_i32_e32 v1, v8
	v_ashrrev_i32_e32 v3, 31, v3
	v_add_u32_e32 v1, -1, v1
	v_add_u32_e32 v3, 32, v3
	v_min_u32_e32 v1, v1, v3
	v_lshlrev_b64 v[7:8], v1, v[7:8]
	v_sub_u32_e32 v1, 32, v1
	v_min_u32_e32 v3, 1, v7
	v_or_b32_e32 v3, v8, v3
	v_cvt_f32_i32_e32 v3, v3
	v_ldexp_f32 v1, v3, v1
	v_and_b32_e32 v5, 0x7fffffff, v1
	v_cmp_gt_u32_e64 s[4:5], s4, v5
	v_mov_b32_e32 v3, 0x80
	s_and_saveexec_b64 s[60:61], s[4:5]
	s_cbranch_execz .LBB254_1755
; %bb.1750:
	s_mov_b32 s4, 0x37ffffff
	v_cmp_lt_u32_e64 s[4:5], s4, v5
	s_mov_b64 s[62:63], 0
                                        ; implicit-def: $vgpr5
	s_and_saveexec_b64 s[64:65], s[4:5]
	s_xor_b64 s[4:5], exec, s[64:65]
	s_cbranch_execz .LBB254_3024
; %bb.1751:
	v_bfe_u32 v3, v1, 21, 1
	s_mov_b32 s33, 0x88fffff
	v_add3_u32 v3, v1, v3, s33
	s_mov_b64 s[62:63], exec
	v_lshrrev_b32_e32 v5, 21, v3
	s_andn2_saveexec_b64 s[64:65], s[4:5]
	s_cbranch_execnz .LBB254_3025
.LBB254_1752:
	s_or_b64 exec, exec, s[64:65]
	v_mov_b32_e32 v3, 0
	s_and_saveexec_b64 s[4:5], s[62:63]
.LBB254_1753:
	v_lshrrev_b32_e32 v1, 24, v1
	s_movk_i32 s33, 0x80
	v_and_or_b32 v3, v1, s33, v5
.LBB254_1754:
	s_or_b64 exec, exec, s[4:5]
.LBB254_1755:
	s_or_b64 exec, exec, s[60:61]
                                        ; implicit-def: $vgpr7_vgpr8
.LBB254_1756:
	s_andn2_saveexec_b64 s[58:59], s[58:59]
	s_cbranch_execz .LBB254_1764
; %bb.1757:
	flat_load_dword v1, v[7:8]
	s_mov_b32 s4, 0x47800000
	s_waitcnt vmcnt(0) lgkmcnt(0)
	v_mov_b32_e32 v3, 0x80
	v_cvt_f32_i32_e32 v1, v1
	v_and_b32_e32 v5, 0x7fffffff, v1
	v_cmp_gt_u32_e64 s[4:5], s4, v5
	s_and_saveexec_b64 s[60:61], s[4:5]
	s_cbranch_execz .LBB254_1763
; %bb.1758:
	s_mov_b32 s4, 0x37ffffff
	v_cmp_lt_u32_e64 s[4:5], s4, v5
	s_mov_b64 s[62:63], 0
                                        ; implicit-def: $vgpr5
	s_and_saveexec_b64 s[64:65], s[4:5]
	s_xor_b64 s[4:5], exec, s[64:65]
	s_cbranch_execz .LBB254_3026
; %bb.1759:
	v_bfe_u32 v3, v1, 21, 1
	s_mov_b32 s33, 0x88fffff
	v_add3_u32 v3, v1, v3, s33
	s_mov_b64 s[62:63], exec
	v_lshrrev_b32_e32 v5, 21, v3
	s_andn2_saveexec_b64 s[64:65], s[4:5]
	s_cbranch_execnz .LBB254_3027
.LBB254_1760:
	s_or_b64 exec, exec, s[64:65]
	v_mov_b32_e32 v3, 0
	s_and_saveexec_b64 s[4:5], s[62:63]
.LBB254_1761:
	v_lshrrev_b32_e32 v1, 24, v1
	s_movk_i32 s33, 0x80
	v_and_or_b32 v3, v1, s33, v5
.LBB254_1762:
	s_or_b64 exec, exec, s[4:5]
.LBB254_1763:
	s_or_b64 exec, exec, s[60:61]
.LBB254_1764:
	s_or_b64 exec, exec, s[58:59]
                                        ; implicit-def: $vgpr7_vgpr8
.LBB254_1765:
	s_andn2_saveexec_b64 s[56:57], s[56:57]
	s_cbranch_execz .LBB254_1773
; %bb.1766:
	flat_load_sshort v1, v[7:8]
	s_mov_b32 s4, 0x47800000
	s_waitcnt vmcnt(0) lgkmcnt(0)
	v_mov_b32_e32 v3, 0x80
	v_cvt_f32_i32_e32 v1, v1
	v_and_b32_e32 v5, 0x7fffffff, v1
	v_cmp_gt_u32_e64 s[4:5], s4, v5
	s_and_saveexec_b64 s[58:59], s[4:5]
	s_cbranch_execz .LBB254_1772
; %bb.1767:
	s_mov_b32 s4, 0x37ffffff
	v_cmp_lt_u32_e64 s[4:5], s4, v5
	s_mov_b64 s[60:61], 0
                                        ; implicit-def: $vgpr5
	s_and_saveexec_b64 s[62:63], s[4:5]
	s_xor_b64 s[4:5], exec, s[62:63]
	s_cbranch_execz .LBB254_2951
; %bb.1768:
	v_bfe_u32 v3, v1, 21, 1
	s_mov_b32 s33, 0x88fffff
	v_add3_u32 v3, v1, v3, s33
	s_mov_b64 s[60:61], exec
	v_lshrrev_b32_e32 v5, 21, v3
	s_andn2_saveexec_b64 s[62:63], s[4:5]
	s_cbranch_execnz .LBB254_2952
.LBB254_1769:
	s_or_b64 exec, exec, s[62:63]
	v_mov_b32_e32 v3, 0
	s_and_saveexec_b64 s[4:5], s[60:61]
.LBB254_1770:
	v_lshrrev_b32_e32 v1, 24, v1
	s_movk_i32 s33, 0x80
	v_and_or_b32 v3, v1, s33, v5
.LBB254_1771:
	s_or_b64 exec, exec, s[4:5]
.LBB254_1772:
	s_or_b64 exec, exec, s[58:59]
.LBB254_1773:
	s_or_b64 exec, exec, s[56:57]
                                        ; implicit-def: $vgpr1
                                        ; implicit-def: $vgpr7_vgpr8
.LBB254_1774:
	s_andn2_saveexec_b64 s[54:55], s[54:55]
	s_cbranch_execz .LBB254_1792
; %bb.1775:
	v_cmp_lt_i16_e64 s[4:5], 0, v1
                                        ; implicit-def: $vgpr3
	s_and_saveexec_b64 s[56:57], s[4:5]
	s_xor_b64 s[56:57], exec, s[56:57]
	s_cbranch_execz .LBB254_1783
; %bb.1776:
	flat_load_sbyte v1, v[7:8]
	s_mov_b32 s4, 0x47800000
	s_waitcnt vmcnt(0) lgkmcnt(0)
	v_mov_b32_e32 v3, 0x80
	v_cvt_f32_i32_e32 v1, v1
	v_and_b32_e32 v5, 0x7fffffff, v1
	v_cmp_gt_u32_e64 s[4:5], s4, v5
	s_and_saveexec_b64 s[58:59], s[4:5]
	s_cbranch_execz .LBB254_1782
; %bb.1777:
	s_mov_b32 s4, 0x37ffffff
	v_cmp_lt_u32_e64 s[4:5], s4, v5
	s_mov_b64 s[60:61], 0
                                        ; implicit-def: $vgpr5
	s_and_saveexec_b64 s[62:63], s[4:5]
	s_xor_b64 s[4:5], exec, s[62:63]
	s_cbranch_execz .LBB254_2953
; %bb.1778:
	v_bfe_u32 v3, v1, 21, 1
	s_mov_b32 s33, 0x88fffff
	v_add3_u32 v3, v1, v3, s33
	s_mov_b64 s[60:61], exec
	v_lshrrev_b32_e32 v5, 21, v3
	s_andn2_saveexec_b64 s[62:63], s[4:5]
	s_cbranch_execnz .LBB254_2954
.LBB254_1779:
	s_or_b64 exec, exec, s[62:63]
	v_mov_b32_e32 v3, 0
	s_and_saveexec_b64 s[4:5], s[60:61]
.LBB254_1780:
	v_lshrrev_b32_e32 v1, 24, v1
	s_movk_i32 s33, 0x80
	v_and_or_b32 v3, v1, s33, v5
.LBB254_1781:
	s_or_b64 exec, exec, s[4:5]
.LBB254_1782:
	s_or_b64 exec, exec, s[58:59]
                                        ; implicit-def: $vgpr7_vgpr8
.LBB254_1783:
	s_andn2_saveexec_b64 s[56:57], s[56:57]
	s_cbranch_execz .LBB254_1791
; %bb.1784:
	flat_load_ubyte v1, v[7:8]
	s_mov_b32 s4, 0x47800000
	s_waitcnt vmcnt(0) lgkmcnt(0)
	v_mov_b32_e32 v3, 0x80
	v_cvt_f32_ubyte0_e32 v5, v1
	v_cmp_gt_u32_e64 s[4:5], s4, v5
	s_and_saveexec_b64 s[58:59], s[4:5]
	s_cbranch_execz .LBB254_1790
; %bb.1785:
	s_mov_b32 s4, 0x37ffffff
	v_cmp_lt_u32_e64 s[4:5], s4, v5
	s_mov_b64 s[60:61], 0
                                        ; implicit-def: $vgpr1
	s_and_saveexec_b64 s[62:63], s[4:5]
	s_xor_b64 s[4:5], exec, s[62:63]
	s_cbranch_execz .LBB254_2955
; %bb.1786:
	v_bfe_u32 v1, v5, 21, 1
	s_mov_b32 s33, 0x88fffff
	v_add3_u32 v1, v5, v1, s33
	s_mov_b64 s[60:61], exec
	v_lshrrev_b32_e32 v1, 21, v1
                                        ; implicit-def: $vgpr5
	s_andn2_saveexec_b64 s[62:63], s[4:5]
	s_cbranch_execnz .LBB254_2956
.LBB254_1787:
	s_or_b64 exec, exec, s[62:63]
	v_mov_b32_e32 v3, 0
	s_and_saveexec_b64 s[4:5], s[60:61]
.LBB254_1788:
	v_mov_b32_e32 v3, v1
.LBB254_1789:
	s_or_b64 exec, exec, s[4:5]
.LBB254_1790:
	s_or_b64 exec, exec, s[58:59]
.LBB254_1791:
	s_or_b64 exec, exec, s[56:57]
.LBB254_1792:
	s_or_b64 exec, exec, s[54:55]
.LBB254_1793:
	s_or_b64 exec, exec, s[50:51]
	s_or_b64 s[52:53], s[52:53], exec
.LBB254_1794:
	s_or_b64 exec, exec, s[48:49]
	s_mov_b64 s[4:5], 0
	s_mov_b64 s[54:55], 0
                                        ; implicit-def: $sgpr48_sgpr49
                                        ; implicit-def: $vgpr21_vgpr22
                                        ; implicit-def: $vgpr16
	s_and_saveexec_b64 s[50:51], s[52:53]
	s_cbranch_execz .LBB254_2118
; %bb.1795:
                                        ; implicit-def: $sgpr48_sgpr49
	s_and_saveexec_b64 s[4:5], vcc
	s_xor_b64 s[4:5], exec, s[4:5]
	s_cbranch_execz .LBB254_1809
; %bb.1796:
	s_movk_i32 s33, 0x7f
	s_waitcnt vmcnt(0) lgkmcnt(0)
	v_cmp_gt_i16_sdwa s[52:53], v10, s33 src0_sel:BYTE_0 src1_sel:DWORD
	s_mov_b64 s[48:49], 0
	s_and_saveexec_b64 s[54:55], s[52:53]
	s_xor_b64 s[52:53], exec, s[54:55]
	s_cbranch_execz .LBB254_2694
; %bb.1797:
	s_movk_i32 s33, 0x80
	v_cmp_eq_u16_sdwa s[56:57], v10, s33 src0_sel:BYTE_0 src1_sel:DWORD
	s_mov_b64 s[48:49], -1
	s_and_saveexec_b64 s[54:55], s[56:57]
; %bb.1798:
	s_xor_b64 s[48:49], exec, -1
; %bb.1799:
	s_or_b64 exec, exec, s[54:55]
	s_and_b64 s[48:49], s[48:49], exec
	s_or_saveexec_b64 s[52:53], s[52:53]
	v_mov_b32_e32 v1, 0x7f800001
	s_xor_b64 exec, exec, s[52:53]
	s_cbranch_execnz .LBB254_2695
.LBB254_1800:
	s_or_b64 exec, exec, s[52:53]
	s_and_saveexec_b64 s[52:53], s[48:49]
	s_cbranch_execz .LBB254_1802
.LBB254_1801:
	v_and_b32_e32 v5, 3, v10
	v_ffbh_u32_e32 v7, v5
	v_min_u32_e32 v7, 32, v7
	v_lshrrev_b16_e32 v1, 2, v10
	v_subrev_u32_e32 v8, 29, v7
	v_and_b32_e32 v1, 31, v1
	v_lshlrev_b32_e32 v8, v8, v10
	v_sub_u32_e32 v7, 30, v7
	v_and_b32_e32 v8, 3, v8
	v_cmp_eq_u32_e32 vcc, 0, v1
	v_cndmask_b32_e32 v1, v1, v7, vcc
	v_cndmask_b32_e32 v5, v5, v8, vcc
	v_lshlrev_b32_e32 v7, 24, v10
	v_mov_b32_e32 v8, 0x37800000
	v_lshlrev_b32_e32 v5, 21, v5
	v_and_b32_e32 v7, 0x80000000, v7
	v_lshl_add_u32 v1, v1, 23, v8
	v_or3_b32 v1, v7, v1, v5
.LBB254_1802:
	s_or_b64 exec, exec, s[52:53]
	s_movk_i32 s33, 0x7f
	v_cmp_gt_i16_sdwa s[52:53], v3, s33 src0_sel:BYTE_0 src1_sel:DWORD
	s_mov_b64 s[48:49], 0
	s_and_saveexec_b64 s[54:55], s[52:53]
	s_xor_b64 s[52:53], exec, s[54:55]
	s_cbranch_execz .LBB254_2696
; %bb.1803:
	s_movk_i32 s33, 0x80
	v_cmp_eq_u16_sdwa s[56:57], v3, s33 src0_sel:BYTE_0 src1_sel:DWORD
	s_mov_b64 s[48:49], -1
	s_and_saveexec_b64 s[54:55], s[56:57]
; %bb.1804:
	s_xor_b64 s[48:49], exec, -1
; %bb.1805:
	s_or_b64 exec, exec, s[54:55]
	s_and_b64 s[48:49], s[48:49], exec
	s_or_saveexec_b64 s[52:53], s[52:53]
	v_mov_b32_e32 v5, 0x7f800001
	s_xor_b64 exec, exec, s[52:53]
	s_cbranch_execnz .LBB254_2697
.LBB254_1806:
	s_or_b64 exec, exec, s[52:53]
	s_and_saveexec_b64 s[52:53], s[48:49]
	s_cbranch_execz .LBB254_1808
.LBB254_1807:
	v_and_b32_e32 v7, 3, v3
	v_ffbh_u32_e32 v8, v7
	v_min_u32_e32 v8, 32, v8
	v_lshrrev_b16_e32 v5, 2, v3
	v_subrev_u32_e32 v9, 29, v8
	v_and_b32_e32 v5, 31, v5
	v_lshlrev_b32_e32 v9, v9, v3
	v_sub_u32_e32 v8, 30, v8
	v_and_b32_e32 v9, 3, v9
	v_cmp_eq_u32_e32 vcc, 0, v5
	v_cndmask_b32_e32 v5, v5, v8, vcc
	v_cndmask_b32_e32 v7, v7, v9, vcc
	v_lshlrev_b32_e32 v3, 24, v3
	v_mov_b32_e32 v8, 0x37800000
	v_lshlrev_b32_e32 v7, 21, v7
	v_and_b32_e32 v3, 0x80000000, v3
	v_lshl_add_u32 v5, v5, 23, v8
	v_or3_b32 v5, v3, v5, v7
.LBB254_1808:
	s_or_b64 exec, exec, s[52:53]
	v_cmp_neq_f32_e64 s[48:49], v1, v5
                                        ; implicit-def: $vgpr3
                                        ; implicit-def: $vgpr10
.LBB254_1809:
	s_andn2_saveexec_b64 s[4:5], s[4:5]
	s_cbranch_execz .LBB254_1823
; %bb.1810:
	s_movk_i32 s33, 0x7f
	s_waitcnt vmcnt(0) lgkmcnt(0)
	v_cmp_gt_i16_sdwa s[54:55], v10, s33 src0_sel:BYTE_0 src1_sel:DWORD
	s_mov_b64 s[52:53], 0
	s_and_saveexec_b64 s[56:57], s[54:55]
	s_xor_b64 s[54:55], exec, s[56:57]
	s_cbranch_execz .LBB254_2698
; %bb.1811:
	s_movk_i32 s33, 0x80
	v_cmp_eq_u16_sdwa s[58:59], v10, s33 src0_sel:BYTE_0 src1_sel:DWORD
	s_mov_b64 s[52:53], -1
	s_and_saveexec_b64 s[56:57], s[58:59]
; %bb.1812:
	s_xor_b64 s[52:53], exec, -1
; %bb.1813:
	s_or_b64 exec, exec, s[56:57]
	s_and_b64 s[52:53], s[52:53], exec
	s_or_saveexec_b64 s[54:55], s[54:55]
	v_mov_b32_e32 v1, 0x7f800001
	s_xor_b64 exec, exec, s[54:55]
	s_cbranch_execnz .LBB254_2699
.LBB254_1814:
	s_or_b64 exec, exec, s[54:55]
	s_and_saveexec_b64 s[54:55], s[52:53]
	s_cbranch_execz .LBB254_1816
.LBB254_1815:
	v_and_b32_e32 v5, 3, v10
	v_ffbh_u32_e32 v7, v5
	v_min_u32_e32 v7, 32, v7
	v_lshrrev_b16_e32 v1, 2, v10
	v_subrev_u32_e32 v8, 29, v7
	v_and_b32_e32 v1, 31, v1
	v_lshlrev_b32_e32 v8, v8, v10
	v_sub_u32_e32 v7, 30, v7
	v_and_b32_e32 v8, 3, v8
	v_cmp_eq_u32_e32 vcc, 0, v1
	v_cndmask_b32_e32 v1, v1, v7, vcc
	v_cndmask_b32_e32 v5, v5, v8, vcc
	v_lshlrev_b32_e32 v7, 24, v10
	v_mov_b32_e32 v8, 0x37800000
	v_lshlrev_b32_e32 v5, 21, v5
	v_and_b32_e32 v7, 0x80000000, v7
	v_lshl_add_u32 v1, v1, 23, v8
	v_or3_b32 v1, v7, v1, v5
.LBB254_1816:
	s_or_b64 exec, exec, s[54:55]
	s_movk_i32 s33, 0x7f
	v_cmp_gt_i16_sdwa s[54:55], v3, s33 src0_sel:BYTE_0 src1_sel:DWORD
	s_mov_b64 s[52:53], 0
	s_and_saveexec_b64 s[56:57], s[54:55]
	s_xor_b64 s[54:55], exec, s[56:57]
	s_cbranch_execz .LBB254_2700
; %bb.1817:
	s_movk_i32 s33, 0x80
	v_cmp_eq_u16_sdwa s[58:59], v3, s33 src0_sel:BYTE_0 src1_sel:DWORD
	s_mov_b64 s[52:53], -1
	s_and_saveexec_b64 s[56:57], s[58:59]
; %bb.1818:
	s_xor_b64 s[52:53], exec, -1
; %bb.1819:
	s_or_b64 exec, exec, s[56:57]
	s_and_b64 s[52:53], s[52:53], exec
	s_or_saveexec_b64 s[54:55], s[54:55]
	v_mov_b32_e32 v5, 0x7f800001
	s_xor_b64 exec, exec, s[54:55]
	s_cbranch_execnz .LBB254_2701
.LBB254_1820:
	s_or_b64 exec, exec, s[54:55]
	s_and_saveexec_b64 s[54:55], s[52:53]
	s_cbranch_execz .LBB254_1822
.LBB254_1821:
	v_and_b32_e32 v7, 3, v3
	v_ffbh_u32_e32 v8, v7
	v_min_u32_e32 v8, 32, v8
	v_lshrrev_b16_e32 v5, 2, v3
	v_subrev_u32_e32 v9, 29, v8
	v_and_b32_e32 v5, 31, v5
	v_lshlrev_b32_e32 v9, v9, v3
	v_sub_u32_e32 v8, 30, v8
	v_and_b32_e32 v9, 3, v9
	v_cmp_eq_u32_e32 vcc, 0, v5
	v_cndmask_b32_e32 v5, v5, v8, vcc
	v_cndmask_b32_e32 v7, v7, v9, vcc
	v_lshlrev_b32_e32 v3, 24, v3
	v_mov_b32_e32 v8, 0x37800000
	v_lshlrev_b32_e32 v7, 21, v7
	v_and_b32_e32 v3, 0x80000000, v3
	v_lshl_add_u32 v5, v5, 23, v8
	v_or3_b32 v5, v3, v5, v7
.LBB254_1822:
	s_or_b64 exec, exec, s[54:55]
	v_cmp_eq_f32_e32 vcc, v1, v5
	s_andn2_b64 s[48:49], s[48:49], exec
	s_and_b64 s[52:53], vcc, exec
	s_or_b64 s[48:49], s[48:49], s[52:53]
.LBB254_1823:
	s_or_b64 exec, exec, s[4:5]
	buffer_load_ubyte v1, off, s[0:3], 0 offset:436
	v_add_co_u32_e32 v5, vcc, v19, v6
	v_addc_co_u32_e32 v6, vcc, 0, v23, vcc
	s_mov_b64 s[4:5], 0
	s_mov_b64 s[52:53], s[46:47]
	s_waitcnt vmcnt(0)
	v_cmp_lt_i16_e32 vcc, 10, v1
	s_and_saveexec_b64 s[54:55], vcc
	s_xor_b64 s[54:55], exec, s[54:55]
	s_cbranch_execz .LBB254_1864
; %bb.1824:
	v_cmp_lt_i16_e32 vcc, 25, v1
	s_mov_b64 s[56:57], 0
	s_mov_b64 s[52:53], 0
	s_and_saveexec_b64 s[58:59], vcc
	s_xor_b64 s[58:59], exec, s[58:59]
	s_cbranch_execz .LBB254_2702
; %bb.1825:
	v_cmp_lt_i16_e32 vcc, 28, v1
	s_mov_b64 s[60:61], 0
	s_and_saveexec_b64 s[52:53], vcc
	s_xor_b64 s[52:53], exec, s[52:53]
	s_cbranch_execz .LBB254_1843
; %bb.1826:
	v_cmp_lt_i16_e32 vcc, 43, v1
	;; [unrolled: 6-line block ×3, first 2 shown]
	s_mov_b64 s[64:65], 0
	s_and_saveexec_b64 s[4:5], vcc
	s_xor_b64 s[4:5], exec, s[4:5]
	s_cbranch_execz .LBB254_1831
; %bb.1828:
	v_cmp_eq_u16_e32 vcc, 46, v1
	s_mov_b64 s[66:67], -1
	s_and_saveexec_b64 s[64:65], vcc
	s_cbranch_execz .LBB254_1830
; %bb.1829:
	v_cndmask_b32_e64 v1, 0, 1.0, s[22:23]
	s_waitcnt lgkmcnt(0)
	v_bfe_u32 v3, v1, 16, 1
	s_movk_i32 s33, 0x7fff
	v_add3_u32 v1, v1, v3, s33
	v_lshrrev_b32_e32 v1, 16, v1
	s_mov_b64 s[62:63], exec
	flat_store_dword v[5:6], v1
	s_xor_b64 s[66:67], exec, -1
.LBB254_1830:
	s_or_b64 exec, exec, s[64:65]
	s_and_b64 s[64:65], s[62:63], exec
	s_and_b64 s[62:63], s[66:67], exec
                                        ; implicit-def: $vgpr1
.LBB254_1831:
	s_andn2_saveexec_b64 s[66:67], s[4:5]
	s_cbranch_execz .LBB254_1837
; %bb.1832:
	v_cmp_eq_u16_e32 vcc, 44, v1
	s_mov_b64 s[4:5], -1
	s_mov_b64 s[70:71], s[64:65]
	s_and_saveexec_b64 s[68:69], vcc
	s_cbranch_execz .LBB254_1836
; %bb.1833:
	s_waitcnt lgkmcnt(0)
	v_cndmask_b32_e64 v3, 0, 1.0, s[22:23]
	v_lshrrev_b32_e32 v1, 23, v3
	s_movk_i32 s4, 0xff
	v_cmp_ne_u32_e32 vcc, s4, v1
	v_mov_b32_e32 v7, 0xff
	s_and_saveexec_b64 s[70:71], vcc
; %bb.1834:
	s_mov_b32 s4, 0x3fffff
	v_and_b32_e32 v7, 0x400000, v3
	v_and_or_b32 v3, v3, s4, v1
	v_cmp_ne_u32_e32 vcc, 0, v7
	v_cmp_ne_u32_e64 s[4:5], 0, v3
	s_and_b64 s[4:5], vcc, s[4:5]
	v_cndmask_b32_e64 v3, 0, 1, s[4:5]
	v_add_u32_e32 v7, v1, v3
; %bb.1835:
	s_or_b64 exec, exec, s[70:71]
	s_or_b64 s[70:71], s[64:65], exec
	s_xor_b64 s[4:5], exec, -1
	flat_store_byte v[5:6], v7
.LBB254_1836:
	s_or_b64 exec, exec, s[68:69]
	s_andn2_b64 s[64:65], s[64:65], exec
	s_and_b64 s[68:69], s[70:71], exec
	s_andn2_b64 s[62:63], s[62:63], exec
	s_and_b64 s[4:5], s[4:5], exec
	s_or_b64 s[64:65], s[64:65], s[68:69]
	s_or_b64 s[62:63], s[62:63], s[4:5]
.LBB254_1837:
	s_or_b64 exec, exec, s[66:67]
	s_and_b64 s[4:5], s[64:65], exec
	s_and_b64 s[62:63], s[62:63], exec
                                        ; implicit-def: $vgpr1
.LBB254_1838:
	s_andn2_saveexec_b64 s[60:61], s[60:61]
	s_cbranch_execz .LBB254_1842
; %bb.1839:
	v_cmp_eq_u16_e32 vcc, 29, v1
	s_mov_b64 s[64:65], -1
	s_mov_b64 s[68:69], s[4:5]
	s_and_saveexec_b64 s[66:67], vcc
	s_cbranch_execz .LBB254_1841
; %bb.1840:
	s_mov_b32 s33, 0
	v_cndmask_b32_e64 v7, 0, 1, s[22:23]
	v_mov_b32_e32 v8, s33
	flat_store_dwordx2 v[5:6], v[7:8]
	s_or_b64 s[68:69], s[4:5], exec
	s_xor_b64 s[64:65], exec, -1
.LBB254_1841:
	s_or_b64 exec, exec, s[66:67]
	s_andn2_b64 s[4:5], s[4:5], exec
	s_and_b64 s[66:67], s[68:69], exec
	s_andn2_b64 s[62:63], s[62:63], exec
	s_and_b64 s[64:65], s[64:65], exec
	s_or_b64 s[4:5], s[4:5], s[66:67]
	s_or_b64 s[62:63], s[62:63], s[64:65]
.LBB254_1842:
	s_or_b64 exec, exec, s[60:61]
	s_and_b64 s[4:5], s[4:5], exec
	s_and_b64 s[60:61], s[62:63], exec
                                        ; implicit-def: $vgpr1
.LBB254_1843:
	s_andn2_saveexec_b64 s[52:53], s[52:53]
	s_cbranch_execz .LBB254_1859
; %bb.1844:
	v_cmp_lt_i16_e32 vcc, 26, v1
	s_and_saveexec_b64 s[62:63], vcc
	s_xor_b64 s[62:63], exec, s[62:63]
	s_cbranch_execz .LBB254_1850
; %bb.1845:
	v_cmp_lt_i16_e32 vcc, 27, v1
	s_and_saveexec_b64 s[64:65], vcc
	s_xor_b64 s[64:65], exec, s[64:65]
	s_cbranch_execz .LBB254_1847
; %bb.1846:
	v_cndmask_b32_e64 v1, 0, 1, s[22:23]
	flat_store_dword v[5:6], v1
.LBB254_1847:
	s_andn2_saveexec_b64 s[64:65], s[64:65]
	s_cbranch_execz .LBB254_1849
; %bb.1848:
	v_cndmask_b32_e64 v1, 0, 1, s[22:23]
	flat_store_short v[5:6], v1
.LBB254_1849:
	s_or_b64 exec, exec, s[64:65]
.LBB254_1850:
	s_andn2_saveexec_b64 s[62:63], s[62:63]
	s_cbranch_execz .LBB254_1858
; %bb.1851:
	s_waitcnt lgkmcnt(0)
	v_cndmask_b32_e64 v3, 0, 1.0, s[22:23]
	s_mov_b32 s33, 0x43800000
	v_cmp_gt_u32_e32 vcc, s33, v3
	v_mov_b32_e32 v7, 0x80
	s_and_saveexec_b64 s[64:65], vcc
	s_cbranch_execz .LBB254_1857
; %bb.1852:
	s_mov_b32 s33, 0x3bffffff
	v_cmp_lt_u32_e32 vcc, s33, v3
	s_mov_b64 s[66:67], 0
                                        ; implicit-def: $vgpr1
	s_and_saveexec_b64 s[68:69], vcc
	s_xor_b64 s[68:69], exec, s[68:69]
	s_cbranch_execz .LBB254_3028
; %bb.1853:
	v_bfe_u32 v1, v3, 20, 1
	s_mov_b32 s33, 0x487ffff
	v_add3_u32 v1, v3, v1, s33
	s_mov_b64 s[66:67], exec
	v_lshrrev_b32_e32 v1, 20, v1
                                        ; implicit-def: $vgpr3
	s_andn2_saveexec_b64 s[68:69], s[68:69]
	s_cbranch_execnz .LBB254_3029
.LBB254_1854:
	s_or_b64 exec, exec, s[68:69]
	v_mov_b32_e32 v7, 0
	s_and_saveexec_b64 s[68:69], s[66:67]
.LBB254_1855:
	v_mov_b32_e32 v7, v1
.LBB254_1856:
	s_or_b64 exec, exec, s[68:69]
.LBB254_1857:
	s_or_b64 exec, exec, s[64:65]
	flat_store_byte v[5:6], v7
.LBB254_1858:
	s_or_b64 exec, exec, s[62:63]
	s_or_b64 s[4:5], s[4:5], exec
.LBB254_1859:
	s_or_b64 exec, exec, s[52:53]
	s_and_b64 s[4:5], s[4:5], exec
	s_and_b64 s[52:53], s[60:61], exec
                                        ; implicit-def: $vgpr1
	s_andn2_saveexec_b64 s[58:59], s[58:59]
	s_cbranch_execnz .LBB254_2703
.LBB254_1860:
	s_or_b64 exec, exec, s[58:59]
	s_mov_b64 s[58:59], s[46:47]
	s_and_saveexec_b64 s[60:61], s[52:53]
	s_cbranch_execnz .LBB254_2744
.LBB254_1861:
	s_or_b64 exec, exec, s[60:61]
	s_and_saveexec_b64 s[52:53], s[56:57]
	s_xor_b64 s[52:53], exec, s[52:53]
	s_cbranch_execz .LBB254_1863
.LBB254_1862:
	v_cndmask_b32_e64 v1, 0, 1, s[22:23]
	flat_store_byte v[5:6], v1
	s_or_b64 s[4:5], s[4:5], exec
.LBB254_1863:
	s_or_b64 exec, exec, s[52:53]
	s_andn2_b64 s[52:53], s[46:47], exec
	s_and_b64 s[56:57], s[58:59], exec
	s_or_b64 s[52:53], s[52:53], s[56:57]
	s_and_b64 s[4:5], s[4:5], exec
                                        ; implicit-def: $vgpr1
                                        ; implicit-def: $vgpr5_vgpr6
.LBB254_1864:
	s_andn2_saveexec_b64 s[54:55], s[54:55]
	s_cbranch_execz .LBB254_1906
; %bb.1865:
	v_cmp_lt_i16_e32 vcc, 4, v1
	s_and_saveexec_b64 s[56:57], vcc
	s_xor_b64 s[56:57], exec, s[56:57]
	s_cbranch_execz .LBB254_1887
; %bb.1866:
	v_cmp_lt_i16_e32 vcc, 7, v1
	s_and_saveexec_b64 s[58:59], vcc
	s_xor_b64 s[58:59], exec, s[58:59]
	s_cbranch_execz .LBB254_1876
; %bb.1867:
	v_cmp_lt_i16_e32 vcc, 8, v1
	s_and_saveexec_b64 s[60:61], vcc
	s_xor_b64 s[60:61], exec, s[60:61]
	s_cbranch_execz .LBB254_1873
; %bb.1868:
	v_cmp_lt_i16_e32 vcc, 9, v1
	s_and_saveexec_b64 s[62:63], vcc
	s_xor_b64 s[62:63], exec, s[62:63]
	s_cbranch_execz .LBB254_1870
; %bb.1869:
	v_cndmask_b32_e64 v1, 0, 1, s[22:23]
	v_cvt_f64_u32_e32 v[7:8], v1
	v_mov_b32_e32 v9, 0
	s_waitcnt lgkmcnt(0)
	v_mov_b32_e32 v10, v9
	flat_store_dwordx4 v[5:6], v[7:10]
                                        ; implicit-def: $vgpr5_vgpr6
.LBB254_1870:
	s_andn2_saveexec_b64 s[62:63], s[62:63]
	s_cbranch_execz .LBB254_1872
; %bb.1871:
	v_cndmask_b32_e64 v7, 0, 1.0, s[22:23]
	v_mov_b32_e32 v8, 0
	flat_store_dwordx2 v[5:6], v[7:8]
.LBB254_1872:
	s_or_b64 exec, exec, s[62:63]
                                        ; implicit-def: $vgpr5_vgpr6
.LBB254_1873:
	s_andn2_saveexec_b64 s[60:61], s[60:61]
	s_cbranch_execz .LBB254_1875
; %bb.1874:
	v_cndmask_b32_e64 v1, 0, 1.0, s[22:23]
	v_cvt_f16_f32_e32 v1, v1
	flat_store_dword v[5:6], v1
.LBB254_1875:
	s_or_b64 exec, exec, s[60:61]
                                        ; implicit-def: $vgpr5_vgpr6
                                        ; implicit-def: $vgpr1
.LBB254_1876:
	s_andn2_saveexec_b64 s[58:59], s[58:59]
	s_cbranch_execz .LBB254_1886
; %bb.1877:
	v_cmp_lt_i16_e32 vcc, 5, v1
	s_and_saveexec_b64 s[60:61], vcc
	s_xor_b64 s[60:61], exec, s[60:61]
	s_cbranch_execz .LBB254_1883
; %bb.1878:
	v_cmp_lt_i16_e32 vcc, 6, v1
	s_and_saveexec_b64 s[62:63], vcc
	s_xor_b64 s[62:63], exec, s[62:63]
	s_cbranch_execz .LBB254_1880
; %bb.1879:
	v_cndmask_b32_e64 v1, 0, 1, s[22:23]
	v_cvt_f64_u32_e32 v[7:8], v1
	flat_store_dwordx2 v[5:6], v[7:8]
                                        ; implicit-def: $vgpr5_vgpr6
.LBB254_1880:
	s_andn2_saveexec_b64 s[62:63], s[62:63]
	s_cbranch_execz .LBB254_1882
; %bb.1881:
	v_cndmask_b32_e64 v1, 0, 1.0, s[22:23]
	flat_store_dword v[5:6], v1
.LBB254_1882:
	s_or_b64 exec, exec, s[62:63]
                                        ; implicit-def: $vgpr5_vgpr6
.LBB254_1883:
	s_andn2_saveexec_b64 s[60:61], s[60:61]
	s_cbranch_execz .LBB254_1885
; %bb.1884:
	v_cndmask_b32_e64 v1, 0, 1.0, s[22:23]
	v_cvt_f16_f32_e32 v1, v1
	flat_store_short v[5:6], v1
.LBB254_1885:
	s_or_b64 exec, exec, s[60:61]
.LBB254_1886:
	s_or_b64 exec, exec, s[58:59]
                                        ; implicit-def: $vgpr1
                                        ; implicit-def: $vgpr5_vgpr6
.LBB254_1887:
	s_andn2_saveexec_b64 s[56:57], s[56:57]
	s_cbranch_execz .LBB254_1905
; %bb.1888:
	v_cmp_lt_i16_e32 vcc, 1, v1
	s_and_saveexec_b64 s[58:59], vcc
	s_xor_b64 s[58:59], exec, s[58:59]
	s_cbranch_execz .LBB254_1898
; %bb.1889:
	v_cmp_lt_i16_e32 vcc, 2, v1
	s_and_saveexec_b64 s[60:61], vcc
	s_xor_b64 s[60:61], exec, s[60:61]
	;; [unrolled: 5-line block ×3, first 2 shown]
	s_cbranch_execz .LBB254_1892
; %bb.1891:
	s_mov_b32 s33, 0
	v_cndmask_b32_e64 v7, 0, 1, s[22:23]
	v_mov_b32_e32 v8, s33
	flat_store_dwordx2 v[5:6], v[7:8]
                                        ; implicit-def: $vgpr5_vgpr6
.LBB254_1892:
	s_andn2_saveexec_b64 s[62:63], s[62:63]
	s_cbranch_execz .LBB254_1894
; %bb.1893:
	v_cndmask_b32_e64 v1, 0, 1, s[22:23]
	flat_store_dword v[5:6], v1
.LBB254_1894:
	s_or_b64 exec, exec, s[62:63]
                                        ; implicit-def: $vgpr5_vgpr6
.LBB254_1895:
	s_andn2_saveexec_b64 s[60:61], s[60:61]
	s_cbranch_execz .LBB254_1897
; %bb.1896:
	v_cndmask_b32_e64 v1, 0, 1, s[22:23]
	flat_store_short v[5:6], v1
.LBB254_1897:
	s_or_b64 exec, exec, s[60:61]
                                        ; implicit-def: $vgpr5_vgpr6
                                        ; implicit-def: $vgpr1
.LBB254_1898:
	s_andn2_saveexec_b64 s[58:59], s[58:59]
	s_cbranch_execz .LBB254_1904
; %bb.1899:
	v_cmp_lt_i16_e32 vcc, 0, v1
	v_cndmask_b32_e64 v1, 0, 1, s[22:23]
	s_and_saveexec_b64 s[22:23], vcc
	s_xor_b64 s[22:23], exec, s[22:23]
	s_cbranch_execz .LBB254_1901
; %bb.1900:
	flat_store_byte v[5:6], v1
                                        ; implicit-def: $vgpr5_vgpr6
                                        ; implicit-def: $vgpr1
.LBB254_1901:
	s_andn2_saveexec_b64 s[22:23], s[22:23]
	s_cbranch_execz .LBB254_1903
; %bb.1902:
	flat_store_byte v[5:6], v1
.LBB254_1903:
	s_or_b64 exec, exec, s[22:23]
.LBB254_1904:
	s_or_b64 exec, exec, s[58:59]
.LBB254_1905:
	s_or_b64 exec, exec, s[56:57]
	s_or_b64 s[4:5], s[4:5], exec
.LBB254_1906:
	s_or_b64 exec, exec, s[54:55]
	s_mov_b64 s[56:57], 0
	s_mov_b64 s[60:61], 0
                                        ; implicit-def: $vgpr21_vgpr22
                                        ; implicit-def: $vgpr16
	s_and_saveexec_b64 s[22:23], s[4:5]
	s_cbranch_execz .LBB254_2117
; %bb.1907:
	buffer_load_ubyte v1, off, s[0:3], 0 offset:436
	s_waitcnt lgkmcnt(0)
	v_add_co_u32_e32 v3, vcc, v19, v4
	v_addc_co_u32_e32 v4, vcc, 0, v23, vcc
	s_mov_b64 s[4:5], 0
	s_mov_b64 s[54:55], s[52:53]
	s_waitcnt vmcnt(0)
	v_cmp_lt_i16_e32 vcc, 10, v1
	s_and_saveexec_b64 s[56:57], vcc
	s_xor_b64 s[56:57], exec, s[56:57]
	s_cbranch_execz .LBB254_1948
; %bb.1908:
	v_cmp_lt_i16_e32 vcc, 25, v1
	s_mov_b64 s[58:59], 0
	s_mov_b64 s[54:55], 0
	s_and_saveexec_b64 s[60:61], vcc
	s_xor_b64 s[60:61], exec, s[60:61]
	s_cbranch_execz .LBB254_2789
; %bb.1909:
	v_cmp_lt_i16_e32 vcc, 28, v1
	s_mov_b64 s[62:63], 0
	s_and_saveexec_b64 s[54:55], vcc
	s_xor_b64 s[54:55], exec, s[54:55]
	s_cbranch_execz .LBB254_1927
; %bb.1910:
	v_cmp_lt_i16_e32 vcc, 43, v1
	;; [unrolled: 6-line block ×3, first 2 shown]
	s_mov_b64 s[66:67], 0
	s_and_saveexec_b64 s[4:5], vcc
	s_xor_b64 s[4:5], exec, s[4:5]
	s_cbranch_execz .LBB254_1915
; %bb.1912:
	v_cmp_eq_u16_e32 vcc, 46, v1
	s_mov_b64 s[68:69], -1
	s_and_saveexec_b64 s[66:67], vcc
	s_cbranch_execz .LBB254_1914
; %bb.1913:
	v_cndmask_b32_e64 v1, 0, 1.0, s[30:31]
	v_bfe_u32 v5, v1, 16, 1
	s_movk_i32 s33, 0x7fff
	v_add3_u32 v1, v1, v5, s33
	v_lshrrev_b32_e32 v1, 16, v1
	s_mov_b64 s[64:65], exec
	flat_store_dword v[3:4], v1
	s_xor_b64 s[68:69], exec, -1
.LBB254_1914:
	s_or_b64 exec, exec, s[66:67]
	s_and_b64 s[66:67], s[64:65], exec
	s_and_b64 s[64:65], s[68:69], exec
                                        ; implicit-def: $vgpr1
.LBB254_1915:
	s_andn2_saveexec_b64 s[68:69], s[4:5]
	s_cbranch_execz .LBB254_1921
; %bb.1916:
	v_cmp_eq_u16_e32 vcc, 44, v1
	s_mov_b64 s[4:5], -1
	s_mov_b64 s[72:73], s[66:67]
	s_and_saveexec_b64 s[70:71], vcc
	s_cbranch_execz .LBB254_1920
; %bb.1917:
	v_cndmask_b32_e64 v5, 0, 1.0, s[30:31]
	v_lshrrev_b32_e32 v1, 23, v5
	s_movk_i32 s4, 0xff
	v_cmp_ne_u32_e32 vcc, s4, v1
	v_mov_b32_e32 v6, 0xff
	s_and_saveexec_b64 s[72:73], vcc
; %bb.1918:
	s_mov_b32 s4, 0x3fffff
	v_and_b32_e32 v6, 0x400000, v5
	v_and_or_b32 v5, v5, s4, v1
	v_cmp_ne_u32_e32 vcc, 0, v6
	v_cmp_ne_u32_e64 s[4:5], 0, v5
	s_and_b64 s[4:5], vcc, s[4:5]
	v_cndmask_b32_e64 v5, 0, 1, s[4:5]
	v_add_u32_e32 v6, v1, v5
; %bb.1919:
	s_or_b64 exec, exec, s[72:73]
	s_or_b64 s[72:73], s[66:67], exec
	s_xor_b64 s[4:5], exec, -1
	flat_store_byte v[3:4], v6
.LBB254_1920:
	s_or_b64 exec, exec, s[70:71]
	s_andn2_b64 s[66:67], s[66:67], exec
	s_and_b64 s[70:71], s[72:73], exec
	s_andn2_b64 s[64:65], s[64:65], exec
	s_and_b64 s[4:5], s[4:5], exec
	s_or_b64 s[66:67], s[66:67], s[70:71]
	s_or_b64 s[64:65], s[64:65], s[4:5]
.LBB254_1921:
	s_or_b64 exec, exec, s[68:69]
	s_and_b64 s[4:5], s[66:67], exec
	s_and_b64 s[64:65], s[64:65], exec
                                        ; implicit-def: $vgpr1
.LBB254_1922:
	s_andn2_saveexec_b64 s[62:63], s[62:63]
	s_cbranch_execz .LBB254_1926
; %bb.1923:
	v_cmp_eq_u16_e32 vcc, 29, v1
	s_mov_b64 s[66:67], -1
	s_mov_b64 s[70:71], s[4:5]
	s_and_saveexec_b64 s[68:69], vcc
	s_cbranch_execz .LBB254_1925
; %bb.1924:
	s_mov_b32 s33, 0
	v_cndmask_b32_e64 v5, 0, 1, s[30:31]
	v_mov_b32_e32 v6, s33
	flat_store_dwordx2 v[3:4], v[5:6]
	s_or_b64 s[70:71], s[4:5], exec
	s_xor_b64 s[66:67], exec, -1
.LBB254_1925:
	s_or_b64 exec, exec, s[68:69]
	s_andn2_b64 s[4:5], s[4:5], exec
	s_and_b64 s[68:69], s[70:71], exec
	s_andn2_b64 s[64:65], s[64:65], exec
	s_and_b64 s[66:67], s[66:67], exec
	s_or_b64 s[4:5], s[4:5], s[68:69]
	s_or_b64 s[64:65], s[64:65], s[66:67]
.LBB254_1926:
	s_or_b64 exec, exec, s[62:63]
	s_and_b64 s[4:5], s[4:5], exec
	s_and_b64 s[62:63], s[64:65], exec
                                        ; implicit-def: $vgpr1
.LBB254_1927:
	s_andn2_saveexec_b64 s[54:55], s[54:55]
	s_cbranch_execz .LBB254_1943
; %bb.1928:
	v_cmp_lt_i16_e32 vcc, 26, v1
	s_and_saveexec_b64 s[64:65], vcc
	s_xor_b64 s[64:65], exec, s[64:65]
	s_cbranch_execz .LBB254_1934
; %bb.1929:
	v_cmp_lt_i16_e32 vcc, 27, v1
	s_and_saveexec_b64 s[66:67], vcc
	s_xor_b64 s[66:67], exec, s[66:67]
	s_cbranch_execz .LBB254_1931
; %bb.1930:
	v_cndmask_b32_e64 v1, 0, 1, s[30:31]
	flat_store_dword v[3:4], v1
.LBB254_1931:
	s_andn2_saveexec_b64 s[66:67], s[66:67]
	s_cbranch_execz .LBB254_1933
; %bb.1932:
	v_cndmask_b32_e64 v1, 0, 1, s[30:31]
	flat_store_short v[3:4], v1
.LBB254_1933:
	s_or_b64 exec, exec, s[66:67]
.LBB254_1934:
	s_andn2_saveexec_b64 s[64:65], s[64:65]
	s_cbranch_execz .LBB254_1942
; %bb.1935:
	v_cndmask_b32_e64 v5, 0, 1.0, s[30:31]
	s_mov_b32 s33, 0x43800000
	v_cmp_gt_u32_e32 vcc, s33, v5
	v_mov_b32_e32 v6, 0x80
	s_and_saveexec_b64 s[66:67], vcc
	s_cbranch_execz .LBB254_1941
; %bb.1936:
	s_mov_b32 s33, 0x3bffffff
	v_cmp_lt_u32_e32 vcc, s33, v5
	s_mov_b64 s[68:69], 0
                                        ; implicit-def: $vgpr1
	s_and_saveexec_b64 s[70:71], vcc
	s_xor_b64 s[70:71], exec, s[70:71]
	s_cbranch_execz .LBB254_3038
; %bb.1937:
	v_bfe_u32 v1, v5, 20, 1
	s_mov_b32 s33, 0x487ffff
	v_add3_u32 v1, v5, v1, s33
	s_mov_b64 s[68:69], exec
	v_lshrrev_b32_e32 v1, 20, v1
                                        ; implicit-def: $vgpr5
	s_andn2_saveexec_b64 s[70:71], s[70:71]
	s_cbranch_execnz .LBB254_3039
.LBB254_1938:
	s_or_b64 exec, exec, s[70:71]
	v_mov_b32_e32 v6, 0
	s_and_saveexec_b64 s[70:71], s[68:69]
.LBB254_1939:
	v_mov_b32_e32 v6, v1
.LBB254_1940:
	s_or_b64 exec, exec, s[70:71]
.LBB254_1941:
	s_or_b64 exec, exec, s[66:67]
	flat_store_byte v[3:4], v6
.LBB254_1942:
	s_or_b64 exec, exec, s[64:65]
	s_or_b64 s[4:5], s[4:5], exec
.LBB254_1943:
	s_or_b64 exec, exec, s[54:55]
	s_and_b64 s[4:5], s[4:5], exec
	s_and_b64 s[54:55], s[62:63], exec
                                        ; implicit-def: $vgpr1
	s_andn2_saveexec_b64 s[60:61], s[60:61]
	s_cbranch_execnz .LBB254_2790
.LBB254_1944:
	s_or_b64 exec, exec, s[60:61]
	s_mov_b64 s[60:61], s[52:53]
	s_and_saveexec_b64 s[62:63], s[54:55]
	s_cbranch_execnz .LBB254_2831
.LBB254_1945:
	s_or_b64 exec, exec, s[62:63]
	s_and_saveexec_b64 s[54:55], s[58:59]
	s_xor_b64 s[54:55], exec, s[54:55]
	s_cbranch_execz .LBB254_1947
.LBB254_1946:
	v_cndmask_b32_e64 v1, 0, 1, s[30:31]
	flat_store_byte v[3:4], v1
	s_or_b64 s[4:5], s[4:5], exec
.LBB254_1947:
	s_or_b64 exec, exec, s[54:55]
	s_andn2_b64 s[54:55], s[52:53], exec
	s_and_b64 s[58:59], s[60:61], exec
	s_or_b64 s[54:55], s[54:55], s[58:59]
	s_and_b64 s[4:5], s[4:5], exec
                                        ; implicit-def: $vgpr1
                                        ; implicit-def: $vgpr3_vgpr4
.LBB254_1948:
	s_andn2_saveexec_b64 s[56:57], s[56:57]
	s_cbranch_execz .LBB254_1990
; %bb.1949:
	v_cmp_lt_i16_e32 vcc, 4, v1
	s_and_saveexec_b64 s[58:59], vcc
	s_xor_b64 s[58:59], exec, s[58:59]
	s_cbranch_execz .LBB254_1971
; %bb.1950:
	v_cmp_lt_i16_e32 vcc, 7, v1
	s_and_saveexec_b64 s[60:61], vcc
	s_xor_b64 s[60:61], exec, s[60:61]
	;; [unrolled: 5-line block ×4, first 2 shown]
	s_cbranch_execz .LBB254_1954
; %bb.1953:
	v_cndmask_b32_e64 v1, 0, 1, s[30:31]
	v_cvt_f64_u32_e32 v[5:6], v1
	v_mov_b32_e32 v7, 0
	v_mov_b32_e32 v8, v7
	flat_store_dwordx4 v[3:4], v[5:8]
                                        ; implicit-def: $vgpr3_vgpr4
.LBB254_1954:
	s_andn2_saveexec_b64 s[64:65], s[64:65]
	s_cbranch_execz .LBB254_1956
; %bb.1955:
	v_cndmask_b32_e64 v5, 0, 1.0, s[30:31]
	v_mov_b32_e32 v6, 0
	flat_store_dwordx2 v[3:4], v[5:6]
.LBB254_1956:
	s_or_b64 exec, exec, s[64:65]
                                        ; implicit-def: $vgpr3_vgpr4
.LBB254_1957:
	s_andn2_saveexec_b64 s[62:63], s[62:63]
	s_cbranch_execz .LBB254_1959
; %bb.1958:
	v_cndmask_b32_e64 v1, 0, 1.0, s[30:31]
	v_cvt_f16_f32_e32 v1, v1
	flat_store_dword v[3:4], v1
.LBB254_1959:
	s_or_b64 exec, exec, s[62:63]
                                        ; implicit-def: $vgpr3_vgpr4
                                        ; implicit-def: $vgpr1
.LBB254_1960:
	s_andn2_saveexec_b64 s[60:61], s[60:61]
	s_cbranch_execz .LBB254_1970
; %bb.1961:
	v_cmp_lt_i16_e32 vcc, 5, v1
	s_and_saveexec_b64 s[62:63], vcc
	s_xor_b64 s[62:63], exec, s[62:63]
	s_cbranch_execz .LBB254_1967
; %bb.1962:
	v_cmp_lt_i16_e32 vcc, 6, v1
	s_and_saveexec_b64 s[64:65], vcc
	s_xor_b64 s[64:65], exec, s[64:65]
	s_cbranch_execz .LBB254_1964
; %bb.1963:
	v_cndmask_b32_e64 v1, 0, 1, s[30:31]
	v_cvt_f64_u32_e32 v[5:6], v1
	flat_store_dwordx2 v[3:4], v[5:6]
                                        ; implicit-def: $vgpr3_vgpr4
.LBB254_1964:
	s_andn2_saveexec_b64 s[64:65], s[64:65]
	s_cbranch_execz .LBB254_1966
; %bb.1965:
	v_cndmask_b32_e64 v1, 0, 1.0, s[30:31]
	flat_store_dword v[3:4], v1
.LBB254_1966:
	s_or_b64 exec, exec, s[64:65]
                                        ; implicit-def: $vgpr3_vgpr4
.LBB254_1967:
	s_andn2_saveexec_b64 s[62:63], s[62:63]
	s_cbranch_execz .LBB254_1969
; %bb.1968:
	v_cndmask_b32_e64 v1, 0, 1.0, s[30:31]
	v_cvt_f16_f32_e32 v1, v1
	flat_store_short v[3:4], v1
.LBB254_1969:
	s_or_b64 exec, exec, s[62:63]
.LBB254_1970:
	s_or_b64 exec, exec, s[60:61]
                                        ; implicit-def: $vgpr1
                                        ; implicit-def: $vgpr3_vgpr4
.LBB254_1971:
	s_andn2_saveexec_b64 s[58:59], s[58:59]
	s_cbranch_execz .LBB254_1989
; %bb.1972:
	v_cmp_lt_i16_e32 vcc, 1, v1
	s_and_saveexec_b64 s[60:61], vcc
	s_xor_b64 s[60:61], exec, s[60:61]
	s_cbranch_execz .LBB254_1982
; %bb.1973:
	v_cmp_lt_i16_e32 vcc, 2, v1
	s_and_saveexec_b64 s[62:63], vcc
	s_xor_b64 s[62:63], exec, s[62:63]
	;; [unrolled: 5-line block ×3, first 2 shown]
	s_cbranch_execz .LBB254_1976
; %bb.1975:
	s_mov_b32 s33, 0
	v_cndmask_b32_e64 v5, 0, 1, s[30:31]
	v_mov_b32_e32 v6, s33
	flat_store_dwordx2 v[3:4], v[5:6]
                                        ; implicit-def: $vgpr3_vgpr4
.LBB254_1976:
	s_andn2_saveexec_b64 s[64:65], s[64:65]
	s_cbranch_execz .LBB254_1978
; %bb.1977:
	v_cndmask_b32_e64 v1, 0, 1, s[30:31]
	flat_store_dword v[3:4], v1
.LBB254_1978:
	s_or_b64 exec, exec, s[64:65]
                                        ; implicit-def: $vgpr3_vgpr4
.LBB254_1979:
	s_andn2_saveexec_b64 s[62:63], s[62:63]
	s_cbranch_execz .LBB254_1981
; %bb.1980:
	v_cndmask_b32_e64 v1, 0, 1, s[30:31]
	flat_store_short v[3:4], v1
.LBB254_1981:
	s_or_b64 exec, exec, s[62:63]
                                        ; implicit-def: $vgpr3_vgpr4
                                        ; implicit-def: $vgpr1
.LBB254_1982:
	s_andn2_saveexec_b64 s[60:61], s[60:61]
	s_cbranch_execz .LBB254_1988
; %bb.1983:
	v_cmp_lt_i16_e32 vcc, 0, v1
	v_cndmask_b32_e64 v1, 0, 1, s[30:31]
	s_and_saveexec_b64 s[30:31], vcc
	s_xor_b64 s[30:31], exec, s[30:31]
	s_cbranch_execz .LBB254_1985
; %bb.1984:
	flat_store_byte v[3:4], v1
                                        ; implicit-def: $vgpr3_vgpr4
                                        ; implicit-def: $vgpr1
.LBB254_1985:
	s_andn2_saveexec_b64 s[30:31], s[30:31]
	s_cbranch_execz .LBB254_1987
; %bb.1986:
	flat_store_byte v[3:4], v1
.LBB254_1987:
	s_or_b64 exec, exec, s[30:31]
.LBB254_1988:
	s_or_b64 exec, exec, s[60:61]
.LBB254_1989:
	s_or_b64 exec, exec, s[58:59]
	s_or_b64 s[4:5], s[4:5], exec
.LBB254_1990:
	s_or_b64 exec, exec, s[56:57]
	s_mov_b64 s[58:59], 0
	s_mov_b64 s[60:61], 0
                                        ; implicit-def: $vgpr21_vgpr22
                                        ; implicit-def: $vgpr16
	s_and_saveexec_b64 s[30:31], s[4:5]
	s_cbranch_execz .LBB254_2116
; %bb.1991:
	buffer_load_ubyte v3, off, s[0:3], 0 offset:436
	v_add_co_u32_e32 v1, vcc, v19, v2
	v_addc_co_u32_e32 v2, vcc, 0, v23, vcc
	s_mov_b64 s[4:5], 0
	s_mov_b64 s[56:57], s[54:55]
	s_waitcnt vmcnt(0)
	v_cmp_lt_i16_e32 vcc, 10, v3
	s_and_saveexec_b64 s[58:59], vcc
	s_xor_b64 s[58:59], exec, s[58:59]
	s_cbranch_execz .LBB254_2032
; %bb.1992:
	v_cmp_lt_i16_e32 vcc, 25, v3
	s_mov_b64 s[56:57], 0
	s_and_saveexec_b64 s[62:63], vcc
	s_xor_b64 s[62:63], exec, s[62:63]
	s_cbranch_execz .LBB254_2874
; %bb.1993:
	v_cmp_lt_i16_e32 vcc, 28, v3
	s_mov_b64 s[64:65], 0
	s_and_saveexec_b64 s[56:57], vcc
	s_xor_b64 s[56:57], exec, s[56:57]
	s_cbranch_execz .LBB254_2011
; %bb.1994:
	v_cmp_lt_i16_e32 vcc, 43, v3
	s_mov_b64 s[66:67], 0
	s_and_saveexec_b64 s[64:65], vcc
	s_xor_b64 s[64:65], exec, s[64:65]
	s_cbranch_execz .LBB254_2006
; %bb.1995:
	v_cmp_lt_i16_e32 vcc, 45, v3
	s_mov_b64 s[68:69], 0
	s_and_saveexec_b64 s[4:5], vcc
	s_xor_b64 s[4:5], exec, s[4:5]
	s_cbranch_execz .LBB254_1999
; %bb.1996:
	v_cmp_eq_u16_e32 vcc, 46, v3
	s_mov_b64 s[70:71], -1
	s_and_saveexec_b64 s[68:69], vcc
	s_cbranch_execz .LBB254_1998
; %bb.1997:
	v_cndmask_b32_e64 v3, 0, 1.0, s[40:41]
	v_bfe_u32 v4, v3, 16, 1
	s_movk_i32 s33, 0x7fff
	v_add3_u32 v3, v3, v4, s33
	v_lshrrev_b32_e32 v3, 16, v3
	s_mov_b64 s[66:67], exec
	flat_store_dword v[1:2], v3
	s_xor_b64 s[70:71], exec, -1
.LBB254_1998:
	s_or_b64 exec, exec, s[68:69]
	s_and_b64 s[68:69], s[66:67], exec
	s_and_b64 s[66:67], s[70:71], exec
                                        ; implicit-def: $vgpr3
.LBB254_1999:
	s_andn2_saveexec_b64 s[70:71], s[4:5]
	s_cbranch_execz .LBB254_2005
; %bb.2000:
	v_cmp_eq_u16_e32 vcc, 44, v3
	s_mov_b64 s[4:5], -1
	s_mov_b64 s[74:75], s[68:69]
	s_and_saveexec_b64 s[72:73], vcc
	s_cbranch_execz .LBB254_2004
; %bb.2001:
	v_cndmask_b32_e64 v4, 0, 1.0, s[40:41]
	v_lshrrev_b32_e32 v3, 23, v4
	s_movk_i32 s4, 0xff
	v_cmp_ne_u32_e32 vcc, s4, v3
	v_mov_b32_e32 v5, 0xff
	s_and_saveexec_b64 s[74:75], vcc
; %bb.2002:
	s_mov_b32 s4, 0x3fffff
	v_and_b32_e32 v5, 0x400000, v4
	v_and_or_b32 v4, v4, s4, v3
	v_cmp_ne_u32_e32 vcc, 0, v5
	v_cmp_ne_u32_e64 s[4:5], 0, v4
	s_and_b64 s[4:5], vcc, s[4:5]
	v_cndmask_b32_e64 v4, 0, 1, s[4:5]
	v_add_u32_e32 v5, v3, v4
; %bb.2003:
	s_or_b64 exec, exec, s[74:75]
	s_or_b64 s[74:75], s[68:69], exec
	s_xor_b64 s[4:5], exec, -1
	flat_store_byte v[1:2], v5
.LBB254_2004:
	s_or_b64 exec, exec, s[72:73]
	s_andn2_b64 s[68:69], s[68:69], exec
	s_and_b64 s[72:73], s[74:75], exec
	s_andn2_b64 s[66:67], s[66:67], exec
	s_and_b64 s[4:5], s[4:5], exec
	s_or_b64 s[68:69], s[68:69], s[72:73]
	s_or_b64 s[66:67], s[66:67], s[4:5]
.LBB254_2005:
	s_or_b64 exec, exec, s[70:71]
	s_and_b64 s[4:5], s[68:69], exec
	s_and_b64 s[66:67], s[66:67], exec
                                        ; implicit-def: $vgpr3
.LBB254_2006:
	s_andn2_saveexec_b64 s[64:65], s[64:65]
	s_cbranch_execz .LBB254_2010
; %bb.2007:
	v_cmp_eq_u16_e32 vcc, 29, v3
	s_mov_b64 s[68:69], -1
	s_mov_b64 s[72:73], s[4:5]
	s_and_saveexec_b64 s[70:71], vcc
	s_cbranch_execz .LBB254_2009
; %bb.2008:
	s_mov_b32 s33, 0
	v_cndmask_b32_e64 v3, 0, 1, s[40:41]
	v_mov_b32_e32 v4, s33
	flat_store_dwordx2 v[1:2], v[3:4]
	s_or_b64 s[72:73], s[4:5], exec
	s_xor_b64 s[68:69], exec, -1
.LBB254_2009:
	s_or_b64 exec, exec, s[70:71]
	s_andn2_b64 s[4:5], s[4:5], exec
	s_and_b64 s[70:71], s[72:73], exec
	s_andn2_b64 s[66:67], s[66:67], exec
	s_and_b64 s[68:69], s[68:69], exec
	s_or_b64 s[4:5], s[4:5], s[70:71]
	s_or_b64 s[66:67], s[66:67], s[68:69]
.LBB254_2010:
	s_or_b64 exec, exec, s[64:65]
	s_and_b64 s[4:5], s[4:5], exec
	s_and_b64 s[64:65], s[66:67], exec
                                        ; implicit-def: $vgpr3
.LBB254_2011:
	s_andn2_saveexec_b64 s[56:57], s[56:57]
	s_cbranch_execz .LBB254_2027
; %bb.2012:
	v_cmp_lt_i16_e32 vcc, 26, v3
	s_and_saveexec_b64 s[66:67], vcc
	s_xor_b64 s[66:67], exec, s[66:67]
	s_cbranch_execz .LBB254_2018
; %bb.2013:
	v_cmp_lt_i16_e32 vcc, 27, v3
	s_and_saveexec_b64 s[68:69], vcc
	s_xor_b64 s[68:69], exec, s[68:69]
	s_cbranch_execz .LBB254_2015
; %bb.2014:
	v_cndmask_b32_e64 v3, 0, 1, s[40:41]
	flat_store_dword v[1:2], v3
.LBB254_2015:
	s_andn2_saveexec_b64 s[68:69], s[68:69]
	s_cbranch_execz .LBB254_2017
; %bb.2016:
	v_cndmask_b32_e64 v3, 0, 1, s[40:41]
	flat_store_short v[1:2], v3
.LBB254_2017:
	s_or_b64 exec, exec, s[68:69]
.LBB254_2018:
	s_andn2_saveexec_b64 s[66:67], s[66:67]
	s_cbranch_execz .LBB254_2026
; %bb.2019:
	v_cndmask_b32_e64 v4, 0, 1.0, s[40:41]
	s_mov_b32 s33, 0x43800000
	v_cmp_gt_u32_e32 vcc, s33, v4
	v_mov_b32_e32 v5, 0x80
	s_and_saveexec_b64 s[68:69], vcc
	s_cbranch_execz .LBB254_2025
; %bb.2020:
	s_mov_b32 s33, 0x3bffffff
	v_cmp_lt_u32_e32 vcc, s33, v4
	s_mov_b64 s[70:71], 0
                                        ; implicit-def: $vgpr3
	s_and_saveexec_b64 s[72:73], vcc
	s_xor_b64 s[72:73], exec, s[72:73]
	s_cbranch_execz .LBB254_3042
; %bb.2021:
	v_bfe_u32 v3, v4, 20, 1
	s_mov_b32 s33, 0x487ffff
	v_add3_u32 v3, v4, v3, s33
	s_mov_b64 s[70:71], exec
	v_lshrrev_b32_e32 v3, 20, v3
                                        ; implicit-def: $vgpr4
	s_andn2_saveexec_b64 s[72:73], s[72:73]
	s_cbranch_execnz .LBB254_3043
.LBB254_2022:
	s_or_b64 exec, exec, s[72:73]
	v_mov_b32_e32 v5, 0
	s_and_saveexec_b64 s[72:73], s[70:71]
.LBB254_2023:
	v_mov_b32_e32 v5, v3
.LBB254_2024:
	s_or_b64 exec, exec, s[72:73]
.LBB254_2025:
	s_or_b64 exec, exec, s[68:69]
	flat_store_byte v[1:2], v5
.LBB254_2026:
	s_or_b64 exec, exec, s[66:67]
	s_or_b64 s[4:5], s[4:5], exec
.LBB254_2027:
	s_or_b64 exec, exec, s[56:57]
	s_and_b64 s[4:5], s[4:5], exec
	s_and_b64 s[56:57], s[64:65], exec
                                        ; implicit-def: $vgpr3
	s_andn2_saveexec_b64 s[62:63], s[62:63]
	s_cbranch_execnz .LBB254_2875
.LBB254_2028:
	s_or_b64 exec, exec, s[62:63]
	s_mov_b64 s[62:63], s[54:55]
	s_and_saveexec_b64 s[64:65], s[56:57]
	s_cbranch_execnz .LBB254_2916
.LBB254_2029:
	s_or_b64 exec, exec, s[64:65]
	s_and_saveexec_b64 s[56:57], s[60:61]
	s_xor_b64 s[56:57], exec, s[56:57]
	s_cbranch_execz .LBB254_2031
.LBB254_2030:
	v_cndmask_b32_e64 v3, 0, 1, s[40:41]
	flat_store_byte v[1:2], v3
	s_or_b64 s[4:5], s[4:5], exec
.LBB254_2031:
	s_or_b64 exec, exec, s[56:57]
	s_andn2_b64 s[56:57], s[54:55], exec
	s_and_b64 s[60:61], s[62:63], exec
	s_or_b64 s[56:57], s[56:57], s[60:61]
	s_and_b64 s[4:5], s[4:5], exec
                                        ; implicit-def: $vgpr3
                                        ; implicit-def: $vgpr1_vgpr2
.LBB254_2032:
	s_andn2_saveexec_b64 s[58:59], s[58:59]
	s_cbranch_execz .LBB254_2074
; %bb.2033:
	v_cmp_lt_i16_e32 vcc, 4, v3
	s_and_saveexec_b64 s[60:61], vcc
	s_xor_b64 s[60:61], exec, s[60:61]
	s_cbranch_execz .LBB254_2055
; %bb.2034:
	v_cmp_lt_i16_e32 vcc, 7, v3
	s_and_saveexec_b64 s[62:63], vcc
	s_xor_b64 s[62:63], exec, s[62:63]
	;; [unrolled: 5-line block ×4, first 2 shown]
	s_cbranch_execz .LBB254_2038
; %bb.2037:
	v_cndmask_b32_e64 v3, 0, 1, s[40:41]
	v_cvt_f64_u32_e32 v[3:4], v3
	v_mov_b32_e32 v5, 0
	v_mov_b32_e32 v6, v5
	flat_store_dwordx4 v[1:2], v[3:6]
                                        ; implicit-def: $vgpr1_vgpr2
.LBB254_2038:
	s_andn2_saveexec_b64 s[66:67], s[66:67]
	s_cbranch_execz .LBB254_2040
; %bb.2039:
	v_cndmask_b32_e64 v3, 0, 1.0, s[40:41]
	v_mov_b32_e32 v4, 0
	flat_store_dwordx2 v[1:2], v[3:4]
.LBB254_2040:
	s_or_b64 exec, exec, s[66:67]
                                        ; implicit-def: $vgpr1_vgpr2
.LBB254_2041:
	s_andn2_saveexec_b64 s[64:65], s[64:65]
	s_cbranch_execz .LBB254_2043
; %bb.2042:
	v_cndmask_b32_e64 v3, 0, 1.0, s[40:41]
	v_cvt_f16_f32_e32 v3, v3
	flat_store_dword v[1:2], v3
.LBB254_2043:
	s_or_b64 exec, exec, s[64:65]
                                        ; implicit-def: $vgpr1_vgpr2
                                        ; implicit-def: $vgpr3
.LBB254_2044:
	s_andn2_saveexec_b64 s[62:63], s[62:63]
	s_cbranch_execz .LBB254_2054
; %bb.2045:
	v_cmp_lt_i16_e32 vcc, 5, v3
	s_and_saveexec_b64 s[64:65], vcc
	s_xor_b64 s[64:65], exec, s[64:65]
	s_cbranch_execz .LBB254_2051
; %bb.2046:
	v_cmp_lt_i16_e32 vcc, 6, v3
	s_and_saveexec_b64 s[66:67], vcc
	s_xor_b64 s[66:67], exec, s[66:67]
	s_cbranch_execz .LBB254_2048
; %bb.2047:
	v_cndmask_b32_e64 v3, 0, 1, s[40:41]
	v_cvt_f64_u32_e32 v[3:4], v3
	flat_store_dwordx2 v[1:2], v[3:4]
                                        ; implicit-def: $vgpr1_vgpr2
.LBB254_2048:
	s_andn2_saveexec_b64 s[66:67], s[66:67]
	s_cbranch_execz .LBB254_2050
; %bb.2049:
	v_cndmask_b32_e64 v3, 0, 1.0, s[40:41]
	flat_store_dword v[1:2], v3
.LBB254_2050:
	s_or_b64 exec, exec, s[66:67]
                                        ; implicit-def: $vgpr1_vgpr2
.LBB254_2051:
	s_andn2_saveexec_b64 s[64:65], s[64:65]
	s_cbranch_execz .LBB254_2053
; %bb.2052:
	v_cndmask_b32_e64 v3, 0, 1.0, s[40:41]
	v_cvt_f16_f32_e32 v3, v3
	flat_store_short v[1:2], v3
.LBB254_2053:
	s_or_b64 exec, exec, s[64:65]
.LBB254_2054:
	s_or_b64 exec, exec, s[62:63]
                                        ; implicit-def: $vgpr3
                                        ; implicit-def: $vgpr1_vgpr2
.LBB254_2055:
	s_andn2_saveexec_b64 s[60:61], s[60:61]
	s_cbranch_execz .LBB254_2073
; %bb.2056:
	v_cmp_lt_i16_e32 vcc, 1, v3
	s_and_saveexec_b64 s[62:63], vcc
	s_xor_b64 s[62:63], exec, s[62:63]
	s_cbranch_execz .LBB254_2066
; %bb.2057:
	v_cmp_lt_i16_e32 vcc, 2, v3
	s_and_saveexec_b64 s[64:65], vcc
	s_xor_b64 s[64:65], exec, s[64:65]
	s_cbranch_execz .LBB254_2063
; %bb.2058:
	v_cmp_lt_i16_e32 vcc, 3, v3
	s_and_saveexec_b64 s[66:67], vcc
	s_xor_b64 s[66:67], exec, s[66:67]
	s_cbranch_execz .LBB254_2060
; %bb.2059:
	s_mov_b32 s33, 0
	v_cndmask_b32_e64 v3, 0, 1, s[40:41]
	v_mov_b32_e32 v4, s33
	flat_store_dwordx2 v[1:2], v[3:4]
                                        ; implicit-def: $vgpr1_vgpr2
.LBB254_2060:
	s_andn2_saveexec_b64 s[66:67], s[66:67]
	s_cbranch_execz .LBB254_2062
; %bb.2061:
	v_cndmask_b32_e64 v3, 0, 1, s[40:41]
	flat_store_dword v[1:2], v3
.LBB254_2062:
	s_or_b64 exec, exec, s[66:67]
                                        ; implicit-def: $vgpr1_vgpr2
.LBB254_2063:
	s_andn2_saveexec_b64 s[64:65], s[64:65]
	s_cbranch_execz .LBB254_2065
; %bb.2064:
	v_cndmask_b32_e64 v3, 0, 1, s[40:41]
	flat_store_short v[1:2], v3
.LBB254_2065:
	s_or_b64 exec, exec, s[64:65]
                                        ; implicit-def: $vgpr1_vgpr2
                                        ; implicit-def: $vgpr3
.LBB254_2066:
	s_andn2_saveexec_b64 s[62:63], s[62:63]
	s_cbranch_execz .LBB254_2072
; %bb.2067:
	v_cmp_lt_i16_e32 vcc, 0, v3
	v_cndmask_b32_e64 v3, 0, 1, s[40:41]
	s_and_saveexec_b64 s[40:41], vcc
	s_xor_b64 s[40:41], exec, s[40:41]
	s_cbranch_execz .LBB254_2069
; %bb.2068:
	flat_store_byte v[1:2], v3
                                        ; implicit-def: $vgpr1_vgpr2
                                        ; implicit-def: $vgpr3
.LBB254_2069:
	s_andn2_saveexec_b64 s[40:41], s[40:41]
	s_cbranch_execz .LBB254_2071
; %bb.2070:
	flat_store_byte v[1:2], v3
.LBB254_2071:
	s_or_b64 exec, exec, s[40:41]
.LBB254_2072:
	s_or_b64 exec, exec, s[62:63]
.LBB254_2073:
	s_or_b64 exec, exec, s[60:61]
	s_or_b64 s[4:5], s[4:5], exec
.LBB254_2074:
	s_or_b64 exec, exec, s[58:59]
	s_mov_b64 s[58:59], 0
	s_mov_b64 s[60:61], 0
                                        ; implicit-def: $vgpr21_vgpr22
                                        ; implicit-def: $vgpr16
	s_and_saveexec_b64 s[40:41], s[4:5]
	s_cbranch_execz .LBB254_2115
; %bb.2075:
	buffer_load_ubyte v16, off, s[0:3], 0 offset:436
	v_add_co_u32_e32 v21, vcc, v19, v0
	v_addc_co_u32_e32 v22, vcc, 0, v23, vcc
	s_mov_b64 s[4:5], 0
	s_mov_b64 s[60:61], -1
	s_mov_b64 s[62:63], s[56:57]
	s_waitcnt vmcnt(0)
	v_cmp_lt_i16_e32 vcc, 10, v16
	s_and_saveexec_b64 s[58:59], vcc
	s_cbranch_execz .LBB254_2114
; %bb.2076:
	v_cmp_lt_i16_e32 vcc, 25, v16
	s_mov_b64 s[62:63], 0
	s_and_saveexec_b64 s[60:61], vcc
	s_xor_b64 s[60:61], exec, s[60:61]
	s_cbranch_execz .LBB254_2957
; %bb.2077:
	v_cmp_lt_i16_e32 vcc, 28, v16
	s_and_saveexec_b64 s[64:65], vcc
	s_xor_b64 s[64:65], exec, s[64:65]
	s_cbranch_execz .LBB254_2095
; %bb.2078:
	v_cmp_lt_i16_e32 vcc, 43, v16
	;; [unrolled: 5-line block ×3, first 2 shown]
	s_mov_b64 s[68:69], 0
	s_and_saveexec_b64 s[4:5], vcc
	s_xor_b64 s[4:5], exec, s[4:5]
	s_cbranch_execz .LBB254_2083
; %bb.2080:
	v_cmp_eq_u16_e32 vcc, 46, v16
	s_mov_b64 s[70:71], -1
	s_and_saveexec_b64 s[68:69], vcc
	s_cbranch_execz .LBB254_2082
; %bb.2081:
	v_cndmask_b32_e64 v0, 0, 1.0, s[48:49]
	v_bfe_u32 v1, v0, 16, 1
	s_movk_i32 s33, 0x7fff
	v_add3_u32 v0, v0, v1, s33
	v_lshrrev_b32_e32 v0, 16, v0
	flat_store_dword v[21:22], v0
	s_xor_b64 s[70:71], exec, -1
.LBB254_2082:
	s_or_b64 exec, exec, s[68:69]
	s_and_b64 s[68:69], s[70:71], exec
.LBB254_2083:
	s_andn2_saveexec_b64 s[70:71], s[4:5]
	s_cbranch_execz .LBB254_2089
; %bb.2084:
	v_cmp_eq_u16_e32 vcc, 44, v16
	s_mov_b64 s[4:5], -1
	s_and_saveexec_b64 s[72:73], vcc
	s_cbranch_execz .LBB254_2088
; %bb.2085:
	v_cndmask_b32_e64 v1, 0, 1.0, s[48:49]
	v_lshrrev_b32_e32 v0, 23, v1
	s_movk_i32 s4, 0xff
	v_cmp_ne_u32_e32 vcc, s4, v0
	v_mov_b32_e32 v2, 0xff
	s_and_saveexec_b64 s[74:75], vcc
; %bb.2086:
	s_mov_b32 s4, 0x3fffff
	v_and_b32_e32 v2, 0x400000, v1
	v_and_or_b32 v1, v1, s4, v0
	v_cmp_ne_u32_e32 vcc, 0, v2
	v_cmp_ne_u32_e64 s[4:5], 0, v1
	s_and_b64 s[4:5], vcc, s[4:5]
	v_cndmask_b32_e64 v1, 0, 1, s[4:5]
	v_add_u32_e32 v2, v0, v1
; %bb.2087:
	s_or_b64 exec, exec, s[74:75]
	s_xor_b64 s[4:5], exec, -1
	flat_store_byte v[21:22], v2
.LBB254_2088:
	s_or_b64 exec, exec, s[72:73]
	s_andn2_b64 s[68:69], s[68:69], exec
	s_and_b64 s[4:5], s[4:5], exec
	s_or_b64 s[68:69], s[68:69], s[4:5]
.LBB254_2089:
	s_or_b64 exec, exec, s[70:71]
	s_and_b64 s[4:5], s[68:69], exec
.LBB254_2090:
	s_andn2_saveexec_b64 s[66:67], s[66:67]
	s_cbranch_execz .LBB254_2094
; %bb.2091:
	v_cmp_eq_u16_e32 vcc, 29, v16
	s_mov_b64 s[70:71], -1
	s_and_saveexec_b64 s[68:69], vcc
	s_cbranch_execz .LBB254_2093
; %bb.2092:
	s_mov_b32 s33, 0
	v_cndmask_b32_e64 v0, 0, 1, s[48:49]
	v_mov_b32_e32 v1, s33
	flat_store_dwordx2 v[21:22], v[0:1]
	s_xor_b64 s[70:71], exec, -1
.LBB254_2093:
	s_or_b64 exec, exec, s[68:69]
	s_andn2_b64 s[4:5], s[4:5], exec
	s_and_b64 s[68:69], s[70:71], exec
	s_or_b64 s[4:5], s[4:5], s[68:69]
.LBB254_2094:
	s_or_b64 exec, exec, s[66:67]
	s_and_b64 s[4:5], s[4:5], exec
.LBB254_2095:
	s_andn2_saveexec_b64 s[64:65], s[64:65]
	s_cbranch_execz .LBB254_2111
; %bb.2096:
	v_cmp_lt_i16_e32 vcc, 26, v16
	s_and_saveexec_b64 s[66:67], vcc
	s_xor_b64 s[66:67], exec, s[66:67]
	s_cbranch_execz .LBB254_2102
; %bb.2097:
	v_cmp_lt_i16_e32 vcc, 27, v16
	v_cndmask_b32_e64 v0, 0, 1, s[48:49]
	s_and_saveexec_b64 s[68:69], vcc
	s_xor_b64 s[68:69], exec, s[68:69]
	s_cbranch_execz .LBB254_2099
; %bb.2098:
	flat_store_dword v[21:22], v0
                                        ; implicit-def: $vgpr0
.LBB254_2099:
	s_andn2_saveexec_b64 s[68:69], s[68:69]
	s_cbranch_execz .LBB254_2101
; %bb.2100:
	flat_store_short v[21:22], v0
.LBB254_2101:
	s_or_b64 exec, exec, s[68:69]
.LBB254_2102:
	s_andn2_saveexec_b64 s[66:67], s[66:67]
	s_cbranch_execz .LBB254_2110
; %bb.2103:
	v_cndmask_b32_e64 v1, 0, 1.0, s[48:49]
	s_mov_b32 s33, 0x43800000
	v_cmp_gt_u32_e32 vcc, s33, v1
	v_mov_b32_e32 v2, 0x80
	s_and_saveexec_b64 s[68:69], vcc
	s_cbranch_execz .LBB254_2109
; %bb.2104:
	s_mov_b32 s33, 0x3bffffff
	v_cmp_lt_u32_e32 vcc, s33, v1
	s_mov_b64 s[70:71], 0
                                        ; implicit-def: $vgpr0
	s_and_saveexec_b64 s[72:73], vcc
	s_xor_b64 s[72:73], exec, s[72:73]
	s_cbranch_execz .LBB254_3046
; %bb.2105:
	v_bfe_u32 v0, v1, 20, 1
	s_mov_b32 s33, 0x487ffff
	v_add3_u32 v0, v1, v0, s33
	s_mov_b64 s[70:71], exec
	v_lshrrev_b32_e32 v0, 20, v0
                                        ; implicit-def: $vgpr1
	s_andn2_saveexec_b64 s[72:73], s[72:73]
	s_cbranch_execnz .LBB254_3047
.LBB254_2106:
	s_or_b64 exec, exec, s[72:73]
	v_mov_b32_e32 v2, 0
	s_and_saveexec_b64 s[72:73], s[70:71]
.LBB254_2107:
	v_mov_b32_e32 v2, v0
.LBB254_2108:
	s_or_b64 exec, exec, s[72:73]
.LBB254_2109:
	s_or_b64 exec, exec, s[68:69]
	flat_store_byte v[21:22], v2
.LBB254_2110:
	s_or_b64 exec, exec, s[66:67]
.LBB254_2111:
	s_or_b64 exec, exec, s[64:65]
	s_and_b64 s[4:5], s[4:5], exec
	s_andn2_saveexec_b64 s[60:61], s[60:61]
	s_cbranch_execnz .LBB254_2958
.LBB254_2112:
	s_or_b64 exec, exec, s[60:61]
	s_mov_b64 s[64:65], s[56:57]
	s_and_saveexec_b64 s[60:61], s[4:5]
	s_cbranch_execnz .LBB254_2999
.LBB254_2113:
	s_or_b64 exec, exec, s[60:61]
	s_and_b64 s[4:5], s[62:63], exec
	s_andn2_b64 s[62:63], s[56:57], exec
	s_and_b64 s[64:65], s[64:65], exec
	s_xor_b64 s[60:61], exec, -1
	s_or_b64 s[62:63], s[62:63], s[64:65]
.LBB254_2114:
	s_or_b64 exec, exec, s[58:59]
	s_and_b64 s[58:59], s[4:5], exec
	s_andn2_b64 s[4:5], s[56:57], exec
	s_and_b64 s[56:57], s[62:63], exec
	s_and_b64 s[60:61], s[60:61], exec
	s_or_b64 s[56:57], s[4:5], s[56:57]
.LBB254_2115:
	s_or_b64 exec, exec, s[40:41]
	s_andn2_b64 s[4:5], s[54:55], exec
	s_and_b64 s[40:41], s[56:57], exec
	s_and_b64 s[60:61], s[60:61], exec
	;; [unrolled: 1-line block ×3, first 2 shown]
	s_or_b64 s[54:55], s[4:5], s[40:41]
.LBB254_2116:
	s_or_b64 exec, exec, s[30:31]
	s_andn2_b64 s[4:5], s[52:53], exec
	s_and_b64 s[30:31], s[54:55], exec
	s_and_b64 s[60:61], s[60:61], exec
	;; [unrolled: 1-line block ×3, first 2 shown]
	s_or_b64 s[52:53], s[4:5], s[30:31]
.LBB254_2117:
	s_or_b64 exec, exec, s[22:23]
	s_andn2_b64 s[22:23], s[46:47], exec
	s_and_b64 s[30:31], s[52:53], exec
	s_and_b64 s[54:55], s[60:61], exec
	;; [unrolled: 1-line block ×3, first 2 shown]
	s_or_b64 s[46:47], s[22:23], s[30:31]
.LBB254_2118:
	s_or_b64 exec, exec, s[50:51]
	s_andn2_b64 s[22:23], s[42:43], exec
	s_and_b64 s[30:31], s[46:47], exec
	s_and_b64 s[50:51], s[54:55], exec
	;; [unrolled: 1-line block ×3, first 2 shown]
	s_or_b64 s[42:43], s[22:23], s[30:31]
.LBB254_2119:
	s_or_b64 exec, exec, s[44:45]
	s_andn2_b64 s[22:23], s[36:37], exec
	s_and_b64 s[30:31], s[42:43], exec
	s_and_b64 s[44:45], s[50:51], exec
	;; [unrolled: 1-line block ×3, first 2 shown]
	s_or_b64 s[36:37], s[22:23], s[30:31]
.LBB254_2120:
	s_or_b64 exec, exec, s[38:39]
	s_andn2_b64 s[22:23], s[28:29], exec
	s_and_b64 s[28:29], s[36:37], exec
	s_and_b64 s[38:39], s[44:45], exec
	;; [unrolled: 1-line block ×3, first 2 shown]
	s_or_b64 s[28:29], s[22:23], s[28:29]
.LBB254_2121:
	s_or_b64 exec, exec, s[34:35]
	s_andn2_b64 s[22:23], s[24:25], exec
	s_and_b64 s[24:25], s[28:29], exec
	s_and_b64 s[30:31], s[38:39], exec
	;; [unrolled: 1-line block ×3, first 2 shown]
	s_or_b64 s[24:25], s[22:23], s[24:25]
.LBB254_2122:
	s_or_b64 exec, exec, s[26:27]
	s_andn2_b64 s[18:19], s[18:19], exec
	s_and_b64 s[22:23], s[24:25], exec
	s_and_b64 s[26:27], s[30:31], exec
	;; [unrolled: 1-line block ×3, first 2 shown]
	s_or_b64 s[18:19], s[18:19], s[22:23]
.LBB254_2123:
	s_or_b64 exec, exec, s[20:21]
	s_andn2_b64 s[14:15], s[14:15], exec
	s_and_b64 s[18:19], s[18:19], exec
	s_and_b64 s[20:21], s[26:27], exec
	;; [unrolled: 1-line block ×3, first 2 shown]
	s_or_b64 s[14:15], s[14:15], s[18:19]
.LBB254_2124:
	s_or_b64 exec, exec, s[16:17]
	s_and_b64 s[16:17], s[4:5], exec
	s_andn2_b64 s[4:5], s[10:11], exec
	s_and_b64 s[10:11], s[14:15], exec
	s_and_b64 s[18:19], s[20:21], exec
	s_or_b64 s[10:11], s[4:5], s[10:11]
.LBB254_2125:
	s_or_b64 exec, exec, s[12:13]
	s_andn2_b64 s[6:7], s[6:7], exec
	s_and_b64 s[10:11], s[10:11], exec
	s_and_b64 s[4:5], s[18:19], exec
	;; [unrolled: 1-line block ×3, first 2 shown]
	s_or_b64 s[6:7], s[6:7], s[10:11]
	s_or_b64 exec, exec, s[8:9]
	s_and_saveexec_b64 s[8:9], s[6:7]
	s_cbranch_execnz .LBB254_181
.LBB254_2126:
	s_or_b64 exec, exec, s[8:9]
	s_and_saveexec_b64 s[6:7], s[34:35]
	s_xor_b64 s[6:7], exec, s[6:7]
	s_cbranch_execz .LBB254_182
.LBB254_2127:
	v_cndmask_b32_e64 v0, 0, 1, s[48:49]
	flat_store_byte v[21:22], v0
	s_or_b64 exec, exec, s[6:7]
	s_and_saveexec_b64 s[6:7], s[4:5]
	s_cbranch_execz .LBB254_2166
.LBB254_2128:
	v_cmp_lt_i16_e32 vcc, 4, v16
	s_and_saveexec_b64 s[4:5], vcc
	s_xor_b64 s[4:5], exec, s[4:5]
	s_cbranch_execz .LBB254_2150
; %bb.2129:
	v_cmp_lt_i16_e32 vcc, 7, v16
	s_mov_b64 s[6:7], s[48:49]
	s_and_saveexec_b64 s[8:9], vcc
	s_xor_b64 s[8:9], exec, s[8:9]
	s_cbranch_execz .LBB254_2139
; %bb.2130:
	v_cmp_lt_i16_e32 vcc, 8, v16
	s_mov_b64 s[10:11], s[48:49]
	s_and_saveexec_b64 s[6:7], vcc
	s_xor_b64 s[6:7], exec, s[6:7]
	s_cbranch_execz .LBB254_2136
; %bb.2131:
	v_cmp_lt_i16_e32 vcc, 9, v16
	s_and_saveexec_b64 s[10:11], vcc
	s_xor_b64 s[10:11], exec, s[10:11]
	s_cbranch_execz .LBB254_2133
; %bb.2132:
	v_cndmask_b32_e64 v0, 0, 1, s[48:49]
	v_cvt_f64_u32_e32 v[0:1], v0
	v_mov_b32_e32 v2, 0
	s_waitcnt vmcnt(0) lgkmcnt(0)
	v_mov_b32_e32 v3, v2
	flat_store_dwordx4 v[21:22], v[0:3]
.LBB254_2133:
	s_andn2_saveexec_b64 s[10:11], s[10:11]
	s_cbranch_execz .LBB254_2135
; %bb.2134:
	v_cndmask_b32_e64 v0, 0, 1.0, s[48:49]
	v_mov_b32_e32 v1, 0
	flat_store_dwordx2 v[21:22], v[0:1]
.LBB254_2135:
	s_or_b64 exec, exec, s[10:11]
	s_andn2_b64 s[10:11], s[48:49], exec
	s_and_b64 s[12:13], s[48:49], exec
	s_or_b64 s[10:11], s[10:11], s[12:13]
.LBB254_2136:
	s_andn2_saveexec_b64 s[6:7], s[6:7]
	s_cbranch_execz .LBB254_2138
; %bb.2137:
	v_cndmask_b32_e64 v0, 0, 1.0, s[10:11]
	v_cvt_f16_f32_e32 v0, v0
	flat_store_dword v[21:22], v0
.LBB254_2138:
	s_or_b64 exec, exec, s[6:7]
	s_andn2_b64 s[6:7], s[48:49], exec
	s_and_b64 s[10:11], s[10:11], exec
	s_or_b64 s[6:7], s[6:7], s[10:11]
.LBB254_2139:
	s_andn2_saveexec_b64 s[8:9], s[8:9]
	s_cbranch_execz .LBB254_2149
; %bb.2140:
	v_cmp_lt_i16_e32 vcc, 5, v16
	s_mov_b64 s[12:13], s[6:7]
	s_and_saveexec_b64 s[10:11], vcc
	s_xor_b64 s[10:11], exec, s[10:11]
	s_cbranch_execz .LBB254_2146
; %bb.2141:
	v_cmp_lt_i16_e32 vcc, 6, v16
	s_and_saveexec_b64 s[12:13], vcc
	s_xor_b64 s[12:13], exec, s[12:13]
	s_cbranch_execz .LBB254_2143
; %bb.2142:
	v_cndmask_b32_e64 v0, 0, 1, s[6:7]
	v_cvt_f64_u32_e32 v[0:1], v0
	flat_store_dwordx2 v[21:22], v[0:1]
.LBB254_2143:
	s_andn2_saveexec_b64 s[12:13], s[12:13]
	s_cbranch_execz .LBB254_2145
; %bb.2144:
	v_cndmask_b32_e64 v0, 0, 1.0, s[6:7]
	flat_store_dword v[21:22], v0
.LBB254_2145:
	s_or_b64 exec, exec, s[12:13]
	s_andn2_b64 s[12:13], s[6:7], exec
	s_and_b64 s[14:15], s[6:7], exec
	s_or_b64 s[12:13], s[12:13], s[14:15]
.LBB254_2146:
	s_andn2_saveexec_b64 s[10:11], s[10:11]
	s_cbranch_execz .LBB254_2148
; %bb.2147:
	v_cndmask_b32_e64 v0, 0, 1.0, s[12:13]
	v_cvt_f16_f32_e32 v0, v0
	flat_store_short v[21:22], v0
.LBB254_2148:
	s_or_b64 exec, exec, s[10:11]
	s_andn2_b64 s[6:7], s[6:7], exec
	s_and_b64 s[10:11], s[12:13], exec
	s_or_b64 s[6:7], s[6:7], s[10:11]
.LBB254_2149:
	s_or_b64 exec, exec, s[8:9]
	s_andn2_b64 s[8:9], s[48:49], exec
	s_and_b64 s[6:7], s[6:7], exec
	s_or_b64 s[48:49], s[8:9], s[6:7]
.LBB254_2150:
	s_andn2_saveexec_b64 s[4:5], s[4:5]
	s_cbranch_execz .LBB254_2166
; %bb.2151:
	v_cmp_lt_i16_e32 vcc, 1, v16
	s_and_saveexec_b64 s[4:5], vcc
	s_xor_b64 s[4:5], exec, s[4:5]
	s_cbranch_execz .LBB254_2161
; %bb.2152:
	v_cmp_lt_i16_e32 vcc, 2, v16
	s_mov_b64 s[8:9], s[48:49]
	s_and_saveexec_b64 s[6:7], vcc
	s_xor_b64 s[6:7], exec, s[6:7]
	s_cbranch_execz .LBB254_2158
; %bb.2153:
	v_cmp_lt_i16_e32 vcc, 3, v16
	v_cndmask_b32_e64 v0, 0, 1, s[48:49]
	s_and_saveexec_b64 s[8:9], vcc
	s_xor_b64 s[8:9], exec, s[8:9]
	s_cbranch_execz .LBB254_2155
; %bb.2154:
	s_mov_b32 s10, 0
	v_mov_b32_e32 v1, s10
	flat_store_dwordx2 v[21:22], v[0:1]
                                        ; implicit-def: $vgpr21_vgpr22
                                        ; implicit-def: $vgpr0
.LBB254_2155:
	s_andn2_saveexec_b64 s[8:9], s[8:9]
	s_cbranch_execz .LBB254_2157
; %bb.2156:
	flat_store_dword v[21:22], v0
.LBB254_2157:
	s_or_b64 exec, exec, s[8:9]
	s_andn2_b64 s[8:9], s[48:49], exec
	s_and_b64 s[10:11], s[48:49], exec
	s_or_b64 s[8:9], s[8:9], s[10:11]
                                        ; implicit-def: $vgpr21_vgpr22
.LBB254_2158:
	s_andn2_saveexec_b64 s[6:7], s[6:7]
	s_cbranch_execz .LBB254_2160
; %bb.2159:
	v_cndmask_b32_e64 v0, 0, 1, s[8:9]
	flat_store_short v[21:22], v0
.LBB254_2160:
	s_or_b64 exec, exec, s[6:7]
	s_andn2_b64 s[6:7], s[48:49], exec
	s_and_b64 s[8:9], s[8:9], exec
	s_or_b64 s[48:49], s[6:7], s[8:9]
                                        ; implicit-def: $vgpr21_vgpr22
.LBB254_2161:
	s_andn2_saveexec_b64 s[4:5], s[4:5]
	s_cbranch_execz .LBB254_2166
; %bb.2162:
	v_cmp_lt_i16_e32 vcc, 0, v16
	v_cndmask_b32_e64 v0, 0, 1, s[48:49]
	s_and_saveexec_b64 s[4:5], vcc
	s_xor_b64 s[4:5], exec, s[4:5]
	s_cbranch_execz .LBB254_2164
; %bb.2163:
	flat_store_byte v[21:22], v0
                                        ; implicit-def: $vgpr21_vgpr22
                                        ; implicit-def: $vgpr0
.LBB254_2164:
	s_andn2_saveexec_b64 s[4:5], s[4:5]
	s_cbranch_execz .LBB254_2166
; %bb.2165:
	flat_store_byte v[21:22], v0
	s_endpgm
.LBB254_2166:
	s_endpgm
.LBB254_2167:
	s_andn2_saveexec_b64 s[12:13], s[12:13]
	s_cbranch_execz .LBB254_262
.LBB254_2168:
	v_cmp_lt_i16_e32 vcc, 22, v3
	s_mov_b64 s[18:19], s[14:15]
                                        ; implicit-def: $vgpr12
	s_and_saveexec_b64 s[10:11], vcc
	s_xor_b64 s[10:11], exec, s[10:11]
	s_cbranch_execz .LBB254_2190
; %bb.2169:
	v_cmp_lt_i16_e32 vcc, 23, v3
                                        ; implicit-def: $vgpr12
	s_and_saveexec_b64 s[18:19], vcc
	s_xor_b64 s[18:19], exec, s[18:19]
	s_cbranch_execz .LBB254_2181
; %bb.2170:
	v_cmp_lt_i16_e32 vcc, 24, v3
                                        ; implicit-def: $vgpr12
	s_and_saveexec_b64 s[20:21], vcc
	s_xor_b64 s[20:21], exec, s[20:21]
	s_cbranch_execz .LBB254_2172
; %bb.2171:
	flat_load_ubyte v12, v[16:17]
.LBB254_2172:
	s_andn2_saveexec_b64 s[20:21], s[20:21]
	s_cbranch_execz .LBB254_2180
; %bb.2173:
	flat_load_ubyte v1, v[16:17]
	s_mov_b32 s22, 0x7f800000
	s_brev_b32 s23, 1
	s_mov_b32 s24, 0x47800000
	s_waitcnt vmcnt(0) lgkmcnt(0)
	v_lshlrev_b32_e32 v1, 24, v1
	v_and_b32_e32 v5, 0x7f000000, v1
	v_ffbh_u32_e32 v12, v5
	v_min_u32_e32 v12, 32, v12
	v_sub_u32_e64 v12, v12, 4 clamp
	v_lshlrev_b32_e32 v21, v12, v5
	v_lshlrev_b32_e32 v12, 23, v12
	v_lshrrev_b32_e32 v21, 4, v21
	v_add_u32_e32 v14, 0x1000000, v5
	v_sub_u32_e32 v12, v21, v12
	v_ashrrev_i32_e32 v14, 8, v14
	v_add_u32_e32 v12, 0x3c000000, v12
	v_and_or_b32 v12, v14, s22, v12
	v_cmp_ne_u32_e32 vcc, 0, v5
	v_cndmask_b32_e32 v14, 0, v12, vcc
	v_and_or_b32 v1, v1, s23, v14
	v_and_b32_e32 v5, 0x7fffffff, v1
	v_cmp_gt_u32_e32 vcc, s24, v5
	v_mov_b32_e32 v12, 0x80
	s_and_saveexec_b64 s[22:23], vcc
	s_cbranch_execz .LBB254_2179
; %bb.2174:
	s_mov_b32 s24, 0x37ffffff
	v_cmp_lt_u32_e32 vcc, s24, v5
	s_mov_b64 s[24:25], 0
                                        ; implicit-def: $vgpr5
	s_and_saveexec_b64 s[26:27], vcc
	s_xor_b64 s[26:27], exec, s[26:27]
	s_cbranch_execz .LBB254_2476
; %bb.2175:
	v_bfe_u32 v5, v14, 21, 1
	s_mov_b32 s28, 0x88fffff
	v_add3_u32 v5, v1, v5, s28
	s_mov_b64 s[24:25], exec
	v_lshrrev_b32_e32 v5, 21, v5
	s_andn2_saveexec_b64 s[26:27], s[26:27]
	s_cbranch_execnz .LBB254_2477
.LBB254_2176:
	s_or_b64 exec, exec, s[26:27]
	v_mov_b32_e32 v12, 0
	s_and_saveexec_b64 s[26:27], s[24:25]
.LBB254_2177:
	v_lshrrev_b32_e32 v1, 24, v1
	s_movk_i32 s24, 0x80
	v_and_or_b32 v12, v1, s24, v5
.LBB254_2178:
	s_or_b64 exec, exec, s[26:27]
.LBB254_2179:
	s_or_b64 exec, exec, s[22:23]
.LBB254_2180:
	s_or_b64 exec, exec, s[20:21]
.LBB254_2181:
	s_andn2_saveexec_b64 s[18:19], s[18:19]
	s_cbranch_execz .LBB254_2189
; %bb.2182:
	flat_load_ubyte v1, v[16:17]
	s_movk_i32 s20, 0x7f00
	s_brev_b32 s21, 16
	s_brev_b32 s22, 1
	s_mov_b32 s23, 0x47800000
	s_waitcnt vmcnt(0) lgkmcnt(0)
	v_lshlrev_b16_e32 v5, 8, v1
	v_lshlrev_b32_e32 v1, 25, v1
	v_lshrrev_b32_e32 v12, 4, v1
	v_and_or_b32 v14, v5, s20, 0.5
	v_or_b32_e32 v12, 0x70000000, v12
	v_add_f32_e32 v14, -0.5, v14
	v_mul_f32_e32 v12, 0x7800000, v12
	v_cmp_gt_u32_e32 vcc, s21, v1
	v_bfe_i32 v5, v5, 0, 16
	v_cndmask_b32_e32 v14, v12, v14, vcc
	v_and_or_b32 v1, v5, s22, v14
	v_and_b32_e32 v5, 0x7fffffff, v1
	v_cmp_gt_u32_e32 vcc, s23, v5
	v_mov_b32_e32 v12, 0x80
	s_and_saveexec_b64 s[20:21], vcc
	s_cbranch_execz .LBB254_2188
; %bb.2183:
	s_mov_b32 s22, 0x37ffffff
	v_cmp_lt_u32_e32 vcc, s22, v5
	s_mov_b64 s[22:23], 0
                                        ; implicit-def: $vgpr5
	s_and_saveexec_b64 s[24:25], vcc
	s_xor_b64 s[24:25], exec, s[24:25]
	s_cbranch_execz .LBB254_2401
; %bb.2184:
	v_bfe_u32 v5, v14, 21, 1
	s_mov_b32 s26, 0x88fffff
	v_add3_u32 v5, v1, v5, s26
	s_mov_b64 s[22:23], exec
	v_lshrrev_b32_e32 v5, 21, v5
	s_andn2_saveexec_b64 s[24:25], s[24:25]
	s_cbranch_execnz .LBB254_2402
.LBB254_2185:
	s_or_b64 exec, exec, s[24:25]
	v_mov_b32_e32 v12, 0
	s_and_saveexec_b64 s[24:25], s[22:23]
.LBB254_2186:
	v_lshrrev_b32_e32 v1, 24, v1
	s_movk_i32 s22, 0x80
	v_and_or_b32 v12, v1, s22, v5
.LBB254_2187:
	s_or_b64 exec, exec, s[24:25]
.LBB254_2188:
	s_or_b64 exec, exec, s[20:21]
.LBB254_2189:
	s_or_b64 exec, exec, s[18:19]
	s_or_b64 s[18:19], s[14:15], exec
.LBB254_2190:
	s_or_saveexec_b64 s[10:11], s[10:11]
	s_mov_b64 s[20:21], 0
	s_mov_b64 s[22:23], s[16:17]
	s_xor_b64 exec, exec, s[10:11]
	s_cbranch_execz .LBB254_2204
; %bb.2191:
	v_cmp_lt_i16_e32 vcc, 14, v3
	s_mov_b64 s[22:23], s[16:17]
	s_mov_b64 s[24:25], s[18:19]
                                        ; implicit-def: $vgpr12
	s_and_saveexec_b64 s[20:21], vcc
	s_xor_b64 s[20:21], exec, s[20:21]
	s_cbranch_execz .LBB254_2201
; %bb.2192:
	v_cmp_eq_u16_e32 vcc, 15, v3
	s_mov_b64 s[26:27], -1
	s_mov_b64 s[24:25], s[18:19]
                                        ; implicit-def: $vgpr12
	s_and_saveexec_b64 s[22:23], vcc
	s_cbranch_execz .LBB254_2200
; %bb.2193:
	flat_load_ushort v1, v[16:17]
	s_mov_b32 s24, 0x47800000
	s_waitcnt vmcnt(0) lgkmcnt(0)
	v_mov_b32_e32 v12, 0x80
	v_lshlrev_b32_e32 v14, 16, v1
	v_and_b32_e32 v5, 0x7fffffff, v14
	v_cmp_gt_u32_e32 vcc, s24, v5
	s_and_saveexec_b64 s[24:25], vcc
	s_cbranch_execz .LBB254_2199
; %bb.2194:
	s_mov_b32 s26, 0x37ffffff
	v_cmp_lt_u32_e32 vcc, s26, v5
	s_mov_b64 s[26:27], 0
                                        ; implicit-def: $vgpr5
	s_and_saveexec_b64 s[28:29], vcc
	s_xor_b64 s[28:29], exec, s[28:29]
	s_cbranch_execz .LBB254_2478
; %bb.2195:
	v_bfe_u32 v5, v1, 5, 1
	s_mov_b32 s30, 0x88fffff
	v_add3_u32 v5, v14, v5, s30
	s_mov_b64 s[26:27], exec
	v_lshrrev_b32_e32 v5, 21, v5
                                        ; implicit-def: $vgpr14
	s_andn2_saveexec_b64 s[28:29], s[28:29]
	s_cbranch_execnz .LBB254_2479
.LBB254_2196:
	s_or_b64 exec, exec, s[28:29]
	v_mov_b32_e32 v12, 0
	s_and_saveexec_b64 s[28:29], s[26:27]
.LBB254_2197:
	v_lshrrev_b32_e32 v1, 8, v1
	s_movk_i32 s26, 0x80
	v_and_or_b32 v12, v1, s26, v5
.LBB254_2198:
	s_or_b64 exec, exec, s[28:29]
.LBB254_2199:
	s_or_b64 exec, exec, s[24:25]
	s_or_b64 s[24:25], s[18:19], exec
	s_xor_b64 s[26:27], exec, -1
.LBB254_2200:
	s_or_b64 exec, exec, s[22:23]
	s_andn2_b64 s[22:23], s[18:19], exec
	s_and_b64 s[24:25], s[24:25], exec
	s_or_b64 s[24:25], s[22:23], s[24:25]
	s_andn2_b64 s[22:23], s[16:17], exec
	s_and_b64 s[26:27], s[26:27], exec
	s_or_b64 s[22:23], s[22:23], s[26:27]
.LBB254_2201:
	s_or_saveexec_b64 s[20:21], s[20:21]
	s_mov_b64 s[26:27], 0
	s_xor_b64 exec, exec, s[20:21]
; %bb.2202:
	v_cmp_ne_u16_e32 vcc, 11, v3
	s_andn2_b64 s[22:23], s[22:23], exec
	s_and_b64 s[28:29], vcc, exec
	s_mov_b64 s[26:27], exec
	s_or_b64 s[22:23], s[22:23], s[28:29]
; %bb.2203:
	s_or_b64 exec, exec, s[20:21]
	s_andn2_b64 s[18:19], s[18:19], exec
	s_and_b64 s[20:21], s[24:25], exec
	s_andn2_b64 s[24:25], s[16:17], exec
	s_and_b64 s[22:23], s[22:23], exec
	s_or_b64 s[18:19], s[18:19], s[20:21]
	s_and_b64 s[20:21], s[26:27], exec
	s_or_b64 s[22:23], s[24:25], s[22:23]
.LBB254_2204:
	s_or_b64 exec, exec, s[10:11]
	s_andn2_b64 s[10:11], s[14:15], exec
	s_and_b64 s[14:15], s[18:19], exec
	s_andn2_b64 s[16:17], s[16:17], exec
	s_and_b64 s[18:19], s[22:23], exec
	s_or_b64 s[14:15], s[10:11], s[14:15]
	s_and_b64 s[10:11], s[20:21], exec
	s_or_b64 s[16:17], s[16:17], s[18:19]
	s_or_b64 exec, exec, s[12:13]
	s_mov_b64 s[12:13], s[6:7]
	s_and_saveexec_b64 s[18:19], s[16:17]
	s_cbranch_execz .LBB254_263
.LBB254_2205:
	s_trap 2
	s_or_b64 s[12:13], s[6:7], exec
	s_andn2_b64 s[10:11], s[10:11], exec
	s_or_b64 exec, exec, s[18:19]
	s_and_saveexec_b64 s[16:17], s[10:11]
	s_xor_b64 s[10:11], exec, s[16:17]
	s_cbranch_execnz .LBB254_264
	s_branch .LBB254_271
.LBB254_2206:
	s_andn2_saveexec_b64 s[16:17], s[16:17]
	s_cbranch_execz .LBB254_452
.LBB254_2207:
	v_cmp_lt_i16_e32 vcc, 22, v1
	s_mov_b64 s[22:23], s[18:19]
                                        ; implicit-def: $vgpr14
	s_and_saveexec_b64 s[14:15], vcc
	s_xor_b64 s[14:15], exec, s[14:15]
	s_cbranch_execz .LBB254_2229
; %bb.2208:
	v_cmp_lt_i16_e32 vcc, 23, v1
                                        ; implicit-def: $vgpr14
	s_and_saveexec_b64 s[22:23], vcc
	s_xor_b64 s[22:23], exec, s[22:23]
	s_cbranch_execz .LBB254_2220
; %bb.2209:
	v_cmp_lt_i16_e32 vcc, 24, v1
                                        ; implicit-def: $vgpr14
	s_and_saveexec_b64 s[24:25], vcc
	s_xor_b64 s[24:25], exec, s[24:25]
	s_cbranch_execz .LBB254_2211
; %bb.2210:
	flat_load_ubyte v14, v[16:17]
.LBB254_2211:
	s_andn2_saveexec_b64 s[24:25], s[24:25]
	s_cbranch_execz .LBB254_2219
; %bb.2212:
	s_waitcnt vmcnt(0) lgkmcnt(0)
	flat_load_ubyte v14, v[16:17]
	s_mov_b32 s26, 0x7f800000
	s_brev_b32 s27, 1
	s_mov_b32 s28, 0x47800000
	s_waitcnt vmcnt(0) lgkmcnt(0)
	v_lshlrev_b32_e32 v14, 24, v14
	v_and_b32_e32 v20, 0x7f000000, v14
	v_ffbh_u32_e32 v21, v20
	v_min_u32_e32 v21, 32, v21
	v_sub_u32_e64 v21, v21, 4 clamp
	v_lshlrev_b32_e32 v26, v21, v20
	v_lshlrev_b32_e32 v21, 23, v21
	v_lshrrev_b32_e32 v26, 4, v26
	v_add_u32_e32 v22, 0x1000000, v20
	v_sub_u32_e32 v21, v26, v21
	v_ashrrev_i32_e32 v22, 8, v22
	v_add_u32_e32 v21, 0x3c000000, v21
	v_and_or_b32 v21, v22, s26, v21
	v_cmp_ne_u32_e32 vcc, 0, v20
	v_cndmask_b32_e32 v22, 0, v21, vcc
	v_and_or_b32 v20, v14, s27, v22
	v_and_b32_e32 v21, 0x7fffffff, v20
	v_cmp_gt_u32_e32 vcc, s28, v21
	v_mov_b32_e32 v14, 0x80
	s_and_saveexec_b64 s[26:27], vcc
	s_cbranch_execz .LBB254_2218
; %bb.2213:
	s_mov_b32 s28, 0x37ffffff
	v_cmp_lt_u32_e32 vcc, s28, v21
	s_mov_b64 s[28:29], 0
                                        ; implicit-def: $vgpr21
	s_and_saveexec_b64 s[30:31], vcc
	s_xor_b64 s[30:31], exec, s[30:31]
	s_cbranch_execz .LBB254_2567
; %bb.2214:
	v_bfe_u32 v14, v22, 21, 1
	s_mov_b32 s33, 0x88fffff
	v_add3_u32 v14, v20, v14, s33
	s_mov_b64 s[28:29], exec
	v_lshrrev_b32_e32 v21, 21, v14
	s_andn2_saveexec_b64 s[30:31], s[30:31]
	s_cbranch_execnz .LBB254_2568
.LBB254_2215:
	s_or_b64 exec, exec, s[30:31]
	v_mov_b32_e32 v14, 0
	s_and_saveexec_b64 s[30:31], s[28:29]
.LBB254_2216:
	v_lshrrev_b32_e32 v14, 24, v20
	s_movk_i32 s28, 0x80
	v_and_or_b32 v14, v14, s28, v21
.LBB254_2217:
	s_or_b64 exec, exec, s[30:31]
.LBB254_2218:
	s_or_b64 exec, exec, s[26:27]
.LBB254_2219:
	s_or_b64 exec, exec, s[24:25]
.LBB254_2220:
	s_andn2_saveexec_b64 s[22:23], s[22:23]
	s_cbranch_execz .LBB254_2228
; %bb.2221:
	s_waitcnt vmcnt(0) lgkmcnt(0)
	flat_load_ubyte v14, v[16:17]
	s_movk_i32 s24, 0x7f00
	s_brev_b32 s25, 16
	s_brev_b32 s26, 1
	s_mov_b32 s27, 0x47800000
	s_waitcnt vmcnt(0) lgkmcnt(0)
	v_lshlrev_b16_e32 v20, 8, v14
	v_lshlrev_b32_e32 v14, 25, v14
	v_lshrrev_b32_e32 v21, 4, v14
	v_and_or_b32 v22, v20, s24, 0.5
	v_or_b32_e32 v21, 0x70000000, v21
	v_add_f32_e32 v22, -0.5, v22
	v_mul_f32_e32 v21, 0x7800000, v21
	v_cmp_gt_u32_e32 vcc, s25, v14
	v_bfe_i32 v20, v20, 0, 16
	v_cndmask_b32_e32 v22, v21, v22, vcc
	v_and_or_b32 v20, v20, s26, v22
	v_and_b32_e32 v21, 0x7fffffff, v20
	v_cmp_gt_u32_e32 vcc, s27, v21
	v_mov_b32_e32 v14, 0x80
	s_and_saveexec_b64 s[24:25], vcc
	s_cbranch_execz .LBB254_2227
; %bb.2222:
	s_mov_b32 s26, 0x37ffffff
	v_cmp_lt_u32_e32 vcc, s26, v21
	s_mov_b64 s[26:27], 0
                                        ; implicit-def: $vgpr21
	s_and_saveexec_b64 s[28:29], vcc
	s_xor_b64 s[28:29], exec, s[28:29]
	s_cbranch_execz .LBB254_2480
; %bb.2223:
	v_bfe_u32 v14, v22, 21, 1
	s_mov_b32 s30, 0x88fffff
	v_add3_u32 v14, v20, v14, s30
	s_mov_b64 s[26:27], exec
	v_lshrrev_b32_e32 v21, 21, v14
	s_andn2_saveexec_b64 s[28:29], s[28:29]
	s_cbranch_execnz .LBB254_2481
.LBB254_2224:
	s_or_b64 exec, exec, s[28:29]
	v_mov_b32_e32 v14, 0
	s_and_saveexec_b64 s[28:29], s[26:27]
.LBB254_2225:
	v_lshrrev_b32_e32 v14, 24, v20
	s_movk_i32 s26, 0x80
	v_and_or_b32 v14, v14, s26, v21
.LBB254_2226:
	s_or_b64 exec, exec, s[28:29]
.LBB254_2227:
	s_or_b64 exec, exec, s[24:25]
.LBB254_2228:
	s_or_b64 exec, exec, s[22:23]
	s_or_b64 s[22:23], s[18:19], exec
.LBB254_2229:
	s_or_saveexec_b64 s[14:15], s[14:15]
	s_mov_b64 s[24:25], 0
	s_mov_b64 s[26:27], s[20:21]
	s_xor_b64 exec, exec, s[14:15]
	s_cbranch_execz .LBB254_2243
; %bb.2230:
	v_cmp_lt_i16_e32 vcc, 14, v1
	s_mov_b64 s[26:27], s[20:21]
	s_mov_b64 s[28:29], s[22:23]
                                        ; implicit-def: $vgpr14
	s_and_saveexec_b64 s[24:25], vcc
	s_xor_b64 s[24:25], exec, s[24:25]
	s_cbranch_execz .LBB254_2240
; %bb.2231:
	v_cmp_eq_u16_e32 vcc, 15, v1
	s_mov_b64 s[30:31], -1
	s_mov_b64 s[28:29], s[22:23]
                                        ; implicit-def: $vgpr14
	s_and_saveexec_b64 s[26:27], vcc
	s_cbranch_execz .LBB254_2239
; %bb.2232:
	flat_load_ushort v20, v[16:17]
	s_mov_b32 s28, 0x47800000
	s_waitcnt vmcnt(0) lgkmcnt(0)
	v_mov_b32_e32 v14, 0x80
	v_lshlrev_b32_e32 v22, 16, v20
	v_and_b32_e32 v21, 0x7fffffff, v22
	v_cmp_gt_u32_e32 vcc, s28, v21
	s_and_saveexec_b64 s[28:29], vcc
	s_cbranch_execz .LBB254_2238
; %bb.2233:
	s_mov_b32 s30, 0x37ffffff
	v_cmp_lt_u32_e32 vcc, s30, v21
	s_mov_b64 s[30:31], 0
                                        ; implicit-def: $vgpr21
	s_and_saveexec_b64 s[34:35], vcc
	s_xor_b64 s[34:35], exec, s[34:35]
	s_cbranch_execz .LBB254_2569
; %bb.2234:
	v_bfe_u32 v14, v20, 5, 1
	s_mov_b32 s33, 0x88fffff
	v_add3_u32 v14, v22, v14, s33
	s_mov_b64 s[30:31], exec
	v_lshrrev_b32_e32 v21, 21, v14
                                        ; implicit-def: $vgpr22
	s_andn2_saveexec_b64 s[34:35], s[34:35]
	s_cbranch_execnz .LBB254_2570
.LBB254_2235:
	s_or_b64 exec, exec, s[34:35]
	v_mov_b32_e32 v14, 0
	s_and_saveexec_b64 s[34:35], s[30:31]
.LBB254_2236:
	v_lshrrev_b32_e32 v14, 8, v20
	s_movk_i32 s30, 0x80
	v_and_or_b32 v14, v14, s30, v21
.LBB254_2237:
	s_or_b64 exec, exec, s[34:35]
.LBB254_2238:
	s_or_b64 exec, exec, s[28:29]
	s_or_b64 s[28:29], s[22:23], exec
	s_xor_b64 s[30:31], exec, -1
.LBB254_2239:
	s_or_b64 exec, exec, s[26:27]
	s_andn2_b64 s[26:27], s[22:23], exec
	s_and_b64 s[28:29], s[28:29], exec
	s_or_b64 s[28:29], s[26:27], s[28:29]
	s_andn2_b64 s[26:27], s[20:21], exec
	s_and_b64 s[30:31], s[30:31], exec
	s_or_b64 s[26:27], s[26:27], s[30:31]
.LBB254_2240:
	s_or_saveexec_b64 s[24:25], s[24:25]
	s_mov_b64 s[30:31], 0
	s_xor_b64 exec, exec, s[24:25]
; %bb.2241:
	v_cmp_ne_u16_e32 vcc, 11, v1
	s_andn2_b64 s[26:27], s[26:27], exec
	s_and_b64 s[34:35], vcc, exec
	s_mov_b64 s[30:31], exec
	s_or_b64 s[26:27], s[26:27], s[34:35]
; %bb.2242:
	s_or_b64 exec, exec, s[24:25]
	s_andn2_b64 s[22:23], s[22:23], exec
	s_and_b64 s[24:25], s[28:29], exec
	s_andn2_b64 s[28:29], s[20:21], exec
	s_and_b64 s[26:27], s[26:27], exec
	s_or_b64 s[22:23], s[22:23], s[24:25]
	s_and_b64 s[24:25], s[30:31], exec
	s_or_b64 s[26:27], s[28:29], s[26:27]
.LBB254_2243:
	s_or_b64 exec, exec, s[14:15]
	s_andn2_b64 s[14:15], s[18:19], exec
	s_and_b64 s[18:19], s[22:23], exec
	s_andn2_b64 s[20:21], s[20:21], exec
	s_and_b64 s[22:23], s[26:27], exec
	s_or_b64 s[18:19], s[14:15], s[18:19]
	s_and_b64 s[14:15], s[24:25], exec
	s_or_b64 s[20:21], s[20:21], s[22:23]
	s_or_b64 exec, exec, s[16:17]
	s_mov_b64 s[16:17], s[10:11]
	s_and_saveexec_b64 s[22:23], s[20:21]
	s_cbranch_execz .LBB254_453
.LBB254_2244:
	s_trap 2
	s_or_b64 s[16:17], s[10:11], exec
	s_andn2_b64 s[14:15], s[14:15], exec
	s_or_b64 exec, exec, s[22:23]
	s_and_saveexec_b64 s[20:21], s[14:15]
	s_xor_b64 s[14:15], exec, s[20:21]
	s_cbranch_execnz .LBB254_454
	s_branch .LBB254_461
.LBB254_2245:
	s_andn2_saveexec_b64 s[20:21], s[20:21]
	s_cbranch_execz .LBB254_267
.LBB254_2246:
	v_add_f32_e32 v1, 0x42800000, v5
	v_and_b32_e32 v1, 0xff, v1
	v_cmp_ne_u32_e32 vcc, 0, v1
	s_andn2_b64 s[18:19], s[18:19], exec
	s_and_b64 s[22:23], vcc, exec
	s_or_b64 s[18:19], s[18:19], s[22:23]
	s_or_b64 exec, exec, s[20:21]
	v_mov_b32_e32 v12, 0
	s_and_saveexec_b64 s[20:21], s[18:19]
	s_cbranch_execnz .LBB254_268
	s_branch .LBB254_269
.LBB254_2247:
	s_or_saveexec_b64 s[20:21], s[20:21]
	v_mov_b32_e32 v10, 0x7f800001
	s_xor_b64 exec, exec, s[20:21]
	s_cbranch_execz .LBB254_576
.LBB254_2248:
	v_mov_b32_e32 v10, 0
	v_cmp_ne_u16_sdwa s[22:23], v12, v10 src0_sel:BYTE_0 src1_sel:DWORD
	s_andn2_b64 s[4:5], s[4:5], exec
	s_and_b64 s[22:23], s[22:23], exec
	s_or_b64 s[4:5], s[4:5], s[22:23]
	s_or_b64 exec, exec, s[20:21]
	s_and_saveexec_b64 s[20:21], s[4:5]
	s_cbranch_execnz .LBB254_577
	s_branch .LBB254_578
.LBB254_2249:
	s_or_saveexec_b64 s[20:21], s[20:21]
	v_mov_b32_e32 v12, 0x7f800001
	s_xor_b64 exec, exec, s[20:21]
	s_cbranch_execz .LBB254_582
.LBB254_2250:
	v_mov_b32_e32 v12, 0
	v_cmp_ne_u16_sdwa s[22:23], v14, v12 src0_sel:BYTE_0 src1_sel:DWORD
	s_andn2_b64 s[4:5], s[4:5], exec
	s_and_b64 s[22:23], s[22:23], exec
	s_or_b64 s[4:5], s[4:5], s[22:23]
	s_or_b64 exec, exec, s[20:21]
	s_and_saveexec_b64 s[20:21], s[4:5]
	s_cbranch_execnz .LBB254_583
	s_branch .LBB254_584
.LBB254_2251:
	s_or_saveexec_b64 s[20:21], s[20:21]
	v_mov_b32_e32 v10, 0x7f800001
	s_xor_b64 exec, exec, s[20:21]
	s_cbranch_execz .LBB254_590
.LBB254_2252:
	v_mov_b32_e32 v10, 0
	v_cmp_ne_u16_sdwa s[24:25], v12, v10 src0_sel:BYTE_0 src1_sel:DWORD
	s_andn2_b64 s[4:5], s[4:5], exec
	s_and_b64 s[24:25], s[24:25], exec
	s_or_b64 s[4:5], s[4:5], s[24:25]
	s_or_b64 exec, exec, s[20:21]
	s_and_saveexec_b64 s[20:21], s[4:5]
	s_cbranch_execnz .LBB254_591
	s_branch .LBB254_592
.LBB254_2253:
	s_or_saveexec_b64 s[20:21], s[20:21]
	v_mov_b32_e32 v12, 0x7f800001
	s_xor_b64 exec, exec, s[20:21]
	s_cbranch_execz .LBB254_596
.LBB254_2254:
	v_mov_b32_e32 v12, 0
	v_cmp_ne_u16_sdwa s[24:25], v14, v12 src0_sel:BYTE_0 src1_sel:DWORD
	s_andn2_b64 s[4:5], s[4:5], exec
	s_and_b64 s[24:25], s[24:25], exec
	s_or_b64 s[4:5], s[4:5], s[24:25]
	s_or_b64 exec, exec, s[20:21]
	s_and_saveexec_b64 s[20:21], s[4:5]
	s_cbranch_execnz .LBB254_597
	s_branch .LBB254_598
.LBB254_2255:
	s_andn2_saveexec_b64 s[24:25], s[24:25]
	s_cbranch_execz .LBB254_670
.LBB254_2256:
	v_cmp_lt_i16_e64 s[4:5], 22, v3
	s_mov_b64 s[30:31], s[26:27]
                                        ; implicit-def: $vgpr10
	s_and_saveexec_b64 s[18:19], s[4:5]
	s_xor_b64 s[18:19], exec, s[18:19]
	s_cbranch_execz .LBB254_2278
; %bb.2257:
	v_cmp_lt_i16_e64 s[4:5], 23, v3
                                        ; implicit-def: $vgpr10
	s_and_saveexec_b64 s[30:31], s[4:5]
	s_xor_b64 s[30:31], exec, s[30:31]
	s_cbranch_execz .LBB254_2269
; %bb.2258:
	v_cmp_lt_i16_e64 s[4:5], 24, v3
                                        ; implicit-def: $vgpr10
	s_and_saveexec_b64 s[34:35], s[4:5]
	s_xor_b64 s[4:5], exec, s[34:35]
	s_cbranch_execz .LBB254_2260
; %bb.2259:
	flat_load_ubyte v10, v[16:17]
.LBB254_2260:
	s_andn2_saveexec_b64 s[34:35], s[4:5]
	s_cbranch_execz .LBB254_2268
; %bb.2261:
	s_waitcnt vmcnt(0) lgkmcnt(0)
	flat_load_ubyte v10, v[16:17]
	s_mov_b32 s4, 0x7f800000
	s_brev_b32 s33, 1
	s_mov_b32 s36, 0x47800000
	s_waitcnt vmcnt(0) lgkmcnt(0)
	v_lshlrev_b32_e32 v10, 24, v10
	v_and_b32_e32 v12, 0x7f000000, v10
	v_ffbh_u32_e32 v14, v12
	v_min_u32_e32 v14, 32, v14
	v_sub_u32_e64 v14, v14, 4 clamp
	v_lshlrev_b32_e32 v20, v14, v12
	v_lshlrev_b32_e32 v14, 23, v14
	v_lshrrev_b32_e32 v20, 4, v20
	v_add_u32_e32 v18, 0x1000000, v12
	v_sub_u32_e32 v14, v20, v14
	v_ashrrev_i32_e32 v18, 8, v18
	v_add_u32_e32 v14, 0x3c000000, v14
	v_and_or_b32 v14, v18, s4, v14
	v_cmp_ne_u32_e64 s[4:5], 0, v12
	v_cndmask_b32_e64 v18, 0, v14, s[4:5]
	v_and_or_b32 v12, v10, s33, v18
	v_and_b32_e32 v14, 0x7fffffff, v12
	v_cmp_gt_u32_e64 s[4:5], s36, v14
	v_mov_b32_e32 v10, 0x80
	s_and_saveexec_b64 s[36:37], s[4:5]
	s_cbranch_execz .LBB254_2267
; %bb.2262:
	s_mov_b32 s4, 0x37ffffff
	v_cmp_lt_u32_e64 s[4:5], s4, v14
	s_mov_b64 s[38:39], 0
                                        ; implicit-def: $vgpr14
	s_and_saveexec_b64 s[40:41], s[4:5]
	s_xor_b64 s[4:5], exec, s[40:41]
	s_cbranch_execz .LBB254_2650
; %bb.2263:
	v_bfe_u32 v10, v18, 21, 1
	s_mov_b32 s33, 0x88fffff
	v_add3_u32 v10, v12, v10, s33
	s_mov_b64 s[38:39], exec
	v_lshrrev_b32_e32 v14, 21, v10
	s_andn2_saveexec_b64 s[40:41], s[4:5]
	s_cbranch_execnz .LBB254_2651
.LBB254_2264:
	s_or_b64 exec, exec, s[40:41]
	v_mov_b32_e32 v10, 0
	s_and_saveexec_b64 s[4:5], s[38:39]
.LBB254_2265:
	v_lshrrev_b32_e32 v10, 24, v12
	s_movk_i32 s33, 0x80
	v_and_or_b32 v10, v10, s33, v14
.LBB254_2266:
	s_or_b64 exec, exec, s[4:5]
.LBB254_2267:
	s_or_b64 exec, exec, s[36:37]
.LBB254_2268:
	s_or_b64 exec, exec, s[34:35]
.LBB254_2269:
	s_andn2_saveexec_b64 s[30:31], s[30:31]
	s_cbranch_execz .LBB254_2277
; %bb.2270:
	s_waitcnt vmcnt(0) lgkmcnt(0)
	flat_load_ubyte v10, v[16:17]
	s_movk_i32 s4, 0x7f00
	s_brev_b32 s5, 16
	s_brev_b32 s33, 1
	s_mov_b32 s34, 0x47800000
	s_waitcnt vmcnt(0) lgkmcnt(0)
	v_lshlrev_b16_e32 v12, 8, v10
	v_lshlrev_b32_e32 v10, 25, v10
	v_lshrrev_b32_e32 v14, 4, v10
	v_and_or_b32 v18, v12, s4, 0.5
	v_or_b32_e32 v14, 0x70000000, v14
	v_add_f32_e32 v18, -0.5, v18
	v_mul_f32_e32 v14, 0x7800000, v14
	v_cmp_gt_u32_e64 s[4:5], s5, v10
	v_bfe_i32 v12, v12, 0, 16
	v_cndmask_b32_e64 v18, v14, v18, s[4:5]
	v_and_or_b32 v12, v12, s33, v18
	v_and_b32_e32 v14, 0x7fffffff, v12
	v_cmp_gt_u32_e64 s[4:5], s34, v14
	v_mov_b32_e32 v10, 0x80
	s_and_saveexec_b64 s[34:35], s[4:5]
	s_cbranch_execz .LBB254_2276
; %bb.2271:
	s_mov_b32 s4, 0x37ffffff
	v_cmp_lt_u32_e64 s[4:5], s4, v14
	s_mov_b64 s[36:37], 0
                                        ; implicit-def: $vgpr14
	s_and_saveexec_b64 s[38:39], s[4:5]
	s_xor_b64 s[4:5], exec, s[38:39]
	s_cbranch_execz .LBB254_2571
; %bb.2272:
	v_bfe_u32 v10, v18, 21, 1
	s_mov_b32 s33, 0x88fffff
	v_add3_u32 v10, v12, v10, s33
	s_mov_b64 s[36:37], exec
	v_lshrrev_b32_e32 v14, 21, v10
	s_andn2_saveexec_b64 s[38:39], s[4:5]
	s_cbranch_execnz .LBB254_2572
.LBB254_2273:
	s_or_b64 exec, exec, s[38:39]
	v_mov_b32_e32 v10, 0
	s_and_saveexec_b64 s[4:5], s[36:37]
.LBB254_2274:
	v_lshrrev_b32_e32 v10, 24, v12
	s_movk_i32 s33, 0x80
	v_and_or_b32 v10, v10, s33, v14
.LBB254_2275:
	s_or_b64 exec, exec, s[4:5]
.LBB254_2276:
	s_or_b64 exec, exec, s[34:35]
.LBB254_2277:
	s_or_b64 exec, exec, s[30:31]
	s_or_b64 s[30:31], s[26:27], exec
.LBB254_2278:
	s_or_saveexec_b64 s[18:19], s[18:19]
	s_mov_b64 s[4:5], 0
	s_mov_b64 s[34:35], s[28:29]
	s_xor_b64 exec, exec, s[18:19]
	s_cbranch_execz .LBB254_2292
; %bb.2279:
	v_cmp_lt_i16_e64 s[4:5], 14, v3
	s_mov_b64 s[36:37], s[28:29]
	s_mov_b64 s[38:39], s[30:31]
                                        ; implicit-def: $vgpr10
	s_and_saveexec_b64 s[34:35], s[4:5]
	s_xor_b64 s[34:35], exec, s[34:35]
	s_cbranch_execz .LBB254_2289
; %bb.2280:
	v_cmp_eq_u16_e64 s[4:5], 15, v3
	s_mov_b64 s[40:41], -1
	s_mov_b64 s[38:39], s[30:31]
                                        ; implicit-def: $vgpr10
	s_and_saveexec_b64 s[36:37], s[4:5]
	s_cbranch_execz .LBB254_2288
; %bb.2281:
	s_waitcnt lgkmcnt(0)
	flat_load_ushort v12, v[16:17]
	s_mov_b32 s4, 0x47800000
	s_waitcnt vmcnt(0)
	v_mov_b32_e32 v10, 0x80
	s_waitcnt lgkmcnt(0)
	v_lshlrev_b32_e32 v18, 16, v12
	v_and_b32_e32 v14, 0x7fffffff, v18
	v_cmp_gt_u32_e64 s[4:5], s4, v14
	s_and_saveexec_b64 s[38:39], s[4:5]
	s_cbranch_execz .LBB254_2287
; %bb.2282:
	s_mov_b32 s4, 0x37ffffff
	v_cmp_lt_u32_e64 s[4:5], s4, v14
	s_mov_b64 s[40:41], 0
                                        ; implicit-def: $vgpr14
	s_and_saveexec_b64 s[42:43], s[4:5]
	s_xor_b64 s[4:5], exec, s[42:43]
	s_cbranch_execz .LBB254_2652
; %bb.2283:
	v_bfe_u32 v10, v12, 5, 1
	s_mov_b32 s33, 0x88fffff
	v_add3_u32 v10, v18, v10, s33
	s_mov_b64 s[40:41], exec
	v_lshrrev_b32_e32 v14, 21, v10
                                        ; implicit-def: $vgpr18
	s_andn2_saveexec_b64 s[42:43], s[4:5]
	s_cbranch_execnz .LBB254_2653
.LBB254_2284:
	s_or_b64 exec, exec, s[42:43]
	v_mov_b32_e32 v10, 0
	s_and_saveexec_b64 s[4:5], s[40:41]
.LBB254_2285:
	v_lshrrev_b32_e32 v10, 8, v12
	s_movk_i32 s33, 0x80
	v_and_or_b32 v10, v10, s33, v14
.LBB254_2286:
	s_or_b64 exec, exec, s[4:5]
.LBB254_2287:
	s_or_b64 exec, exec, s[38:39]
	s_or_b64 s[38:39], s[30:31], exec
	s_xor_b64 s[40:41], exec, -1
.LBB254_2288:
	s_or_b64 exec, exec, s[36:37]
	s_andn2_b64 s[4:5], s[30:31], exec
	s_and_b64 s[36:37], s[38:39], exec
	s_or_b64 s[38:39], s[4:5], s[36:37]
	s_andn2_b64 s[4:5], s[28:29], exec
	s_and_b64 s[36:37], s[40:41], exec
	s_or_b64 s[36:37], s[4:5], s[36:37]
.LBB254_2289:
	s_or_saveexec_b64 s[34:35], s[34:35]
	s_mov_b64 s[40:41], 0
	s_xor_b64 exec, exec, s[34:35]
; %bb.2290:
	v_cmp_ne_u16_e64 s[4:5], 11, v3
	s_andn2_b64 s[36:37], s[36:37], exec
	s_and_b64 s[4:5], s[4:5], exec
	s_mov_b64 s[40:41], exec
	s_or_b64 s[36:37], s[36:37], s[4:5]
; %bb.2291:
	s_or_b64 exec, exec, s[34:35]
	s_andn2_b64 s[4:5], s[30:31], exec
	s_and_b64 s[30:31], s[38:39], exec
	s_andn2_b64 s[34:35], s[28:29], exec
	s_and_b64 s[36:37], s[36:37], exec
	s_or_b64 s[30:31], s[4:5], s[30:31]
	s_and_b64 s[4:5], s[40:41], exec
	s_or_b64 s[34:35], s[34:35], s[36:37]
.LBB254_2292:
	s_or_b64 exec, exec, s[18:19]
	s_andn2_b64 s[18:19], s[26:27], exec
	s_and_b64 s[26:27], s[30:31], exec
	s_or_b64 s[26:27], s[18:19], s[26:27]
	s_and_b64 s[18:19], s[4:5], exec
	s_andn2_b64 s[4:5], s[28:29], exec
	s_and_b64 s[28:29], s[34:35], exec
	s_or_b64 s[28:29], s[4:5], s[28:29]
	s_or_b64 exec, exec, s[24:25]
	s_mov_b64 s[24:25], s[14:15]
	s_and_saveexec_b64 s[4:5], s[28:29]
	s_cbranch_execz .LBB254_671
.LBB254_2293:
	s_trap 2
	s_or_b64 s[24:25], s[14:15], exec
	s_andn2_b64 s[18:19], s[18:19], exec
	s_or_b64 exec, exec, s[4:5]
	s_and_saveexec_b64 s[4:5], s[18:19]
	s_xor_b64 s[18:19], exec, s[4:5]
	s_cbranch_execnz .LBB254_672
	s_branch .LBB254_679
.LBB254_2294:
	s_or_saveexec_b64 s[24:25], s[24:25]
	v_mov_b32_e32 v1, 0x7f800001
	s_xor_b64 exec, exec, s[24:25]
	s_cbranch_execz .LBB254_251
.LBB254_2295:
	v_cmp_ne_u16_e32 vcc, 0, v5
	s_andn2_b64 s[22:23], s[22:23], exec
	s_and_b64 s[26:27], vcc, exec
	v_mov_b32_e32 v1, 0
	s_or_b64 s[22:23], s[22:23], s[26:27]
	s_or_b64 exec, exec, s[24:25]
	s_and_saveexec_b64 s[24:25], s[22:23]
	s_cbranch_execnz .LBB254_252
	s_branch .LBB254_253
.LBB254_2296:
	s_andn2_saveexec_b64 s[24:25], s[24:25]
	s_cbranch_execz .LBB254_457
.LBB254_2297:
	v_add_f32_e32 v14, 0x42800000, v17
	v_and_b32_e32 v16, 0xff, v14
	v_cmp_ne_u32_e32 vcc, 0, v16
	s_andn2_b64 s[22:23], s[22:23], exec
	s_and_b64 s[26:27], vcc, exec
	s_or_b64 s[22:23], s[22:23], s[26:27]
	s_or_b64 exec, exec, s[24:25]
	v_mov_b32_e32 v14, 0
	s_and_saveexec_b64 s[24:25], s[22:23]
	s_cbranch_execnz .LBB254_458
	s_branch .LBB254_459
.LBB254_2298:
	s_andn2_saveexec_b64 s[28:29], s[28:29]
	s_cbranch_execz .LBB254_860
.LBB254_2299:
	v_cmp_lt_i16_e64 s[4:5], 22, v1
	s_mov_b64 s[36:37], s[30:31]
                                        ; implicit-def: $vgpr12
	s_and_saveexec_b64 s[24:25], s[4:5]
	s_xor_b64 s[24:25], exec, s[24:25]
	s_cbranch_execz .LBB254_2321
; %bb.2300:
	v_cmp_lt_i16_e64 s[4:5], 23, v1
                                        ; implicit-def: $vgpr12
	s_and_saveexec_b64 s[36:37], s[4:5]
	s_xor_b64 s[36:37], exec, s[36:37]
	s_cbranch_execz .LBB254_2312
; %bb.2301:
	v_cmp_lt_i16_e64 s[4:5], 24, v1
                                        ; implicit-def: $vgpr12
	s_and_saveexec_b64 s[38:39], s[4:5]
	s_xor_b64 s[4:5], exec, s[38:39]
	s_cbranch_execz .LBB254_2303
; %bb.2302:
	flat_load_ubyte v12, v[14:15]
.LBB254_2303:
	s_andn2_saveexec_b64 s[38:39], s[4:5]
	s_cbranch_execz .LBB254_2311
; %bb.2304:
	s_waitcnt vmcnt(0) lgkmcnt(0)
	flat_load_ubyte v12, v[14:15]
	s_mov_b32 s4, 0x7f800000
	s_brev_b32 s33, 1
	s_mov_b32 s40, 0x47800000
	s_waitcnt vmcnt(0) lgkmcnt(0)
	v_lshlrev_b32_e32 v12, 24, v12
	v_and_b32_e32 v16, 0x7f000000, v12
	v_ffbh_u32_e32 v17, v16
	v_min_u32_e32 v17, 32, v17
	v_sub_u32_e64 v17, v17, 4 clamp
	v_lshlrev_b32_e32 v20, v17, v16
	v_lshlrev_b32_e32 v17, 23, v17
	v_lshrrev_b32_e32 v20, 4, v20
	v_add_u32_e32 v18, 0x1000000, v16
	v_sub_u32_e32 v17, v20, v17
	v_ashrrev_i32_e32 v18, 8, v18
	v_add_u32_e32 v17, 0x3c000000, v17
	v_and_or_b32 v17, v18, s4, v17
	v_cmp_ne_u32_e64 s[4:5], 0, v16
	v_cndmask_b32_e64 v18, 0, v17, s[4:5]
	v_and_or_b32 v16, v12, s33, v18
	v_and_b32_e32 v17, 0x7fffffff, v16
	v_cmp_gt_u32_e64 s[4:5], s40, v17
	v_mov_b32_e32 v12, 0x80
	s_and_saveexec_b64 s[40:41], s[4:5]
	s_cbranch_execz .LBB254_2310
; %bb.2305:
	s_mov_b32 s4, 0x37ffffff
	v_cmp_lt_u32_e64 s[4:5], s4, v17
	s_mov_b64 s[42:43], 0
                                        ; implicit-def: $vgpr17
	s_and_saveexec_b64 s[44:45], s[4:5]
	s_xor_b64 s[4:5], exec, s[44:45]
	s_cbranch_execz .LBB254_2745
; %bb.2306:
	v_bfe_u32 v12, v18, 21, 1
	s_mov_b32 s33, 0x88fffff
	v_add3_u32 v12, v16, v12, s33
	s_mov_b64 s[42:43], exec
	v_lshrrev_b32_e32 v17, 21, v12
	s_andn2_saveexec_b64 s[44:45], s[4:5]
	s_cbranch_execnz .LBB254_2746
.LBB254_2307:
	s_or_b64 exec, exec, s[44:45]
	v_mov_b32_e32 v12, 0
	s_and_saveexec_b64 s[4:5], s[42:43]
.LBB254_2308:
	v_lshrrev_b32_e32 v12, 24, v16
	s_movk_i32 s33, 0x80
	v_and_or_b32 v12, v12, s33, v17
.LBB254_2309:
	s_or_b64 exec, exec, s[4:5]
.LBB254_2310:
	s_or_b64 exec, exec, s[40:41]
.LBB254_2311:
	s_or_b64 exec, exec, s[38:39]
.LBB254_2312:
	s_andn2_saveexec_b64 s[36:37], s[36:37]
	s_cbranch_execz .LBB254_2320
; %bb.2313:
	s_waitcnt vmcnt(0) lgkmcnt(0)
	flat_load_ubyte v12, v[14:15]
	s_movk_i32 s4, 0x7f00
	s_brev_b32 s5, 16
	s_brev_b32 s33, 1
	s_mov_b32 s38, 0x47800000
	s_waitcnt vmcnt(0) lgkmcnt(0)
	v_lshlrev_b16_e32 v16, 8, v12
	v_lshlrev_b32_e32 v12, 25, v12
	v_lshrrev_b32_e32 v17, 4, v12
	v_and_or_b32 v18, v16, s4, 0.5
	v_or_b32_e32 v17, 0x70000000, v17
	v_add_f32_e32 v18, -0.5, v18
	v_mul_f32_e32 v17, 0x7800000, v17
	v_cmp_gt_u32_e64 s[4:5], s5, v12
	v_bfe_i32 v16, v16, 0, 16
	v_cndmask_b32_e64 v18, v17, v18, s[4:5]
	v_and_or_b32 v16, v16, s33, v18
	v_and_b32_e32 v17, 0x7fffffff, v16
	v_cmp_gt_u32_e64 s[4:5], s38, v17
	v_mov_b32_e32 v12, 0x80
	s_and_saveexec_b64 s[38:39], s[4:5]
	s_cbranch_execz .LBB254_2319
; %bb.2314:
	s_mov_b32 s4, 0x37ffffff
	v_cmp_lt_u32_e64 s[4:5], s4, v17
	s_mov_b64 s[40:41], 0
                                        ; implicit-def: $vgpr17
	s_and_saveexec_b64 s[42:43], s[4:5]
	s_xor_b64 s[4:5], exec, s[42:43]
	s_cbranch_execz .LBB254_2654
; %bb.2315:
	v_bfe_u32 v12, v18, 21, 1
	s_mov_b32 s33, 0x88fffff
	v_add3_u32 v12, v16, v12, s33
	s_mov_b64 s[40:41], exec
	v_lshrrev_b32_e32 v17, 21, v12
	s_andn2_saveexec_b64 s[42:43], s[4:5]
	s_cbranch_execnz .LBB254_2655
.LBB254_2316:
	s_or_b64 exec, exec, s[42:43]
	v_mov_b32_e32 v12, 0
	s_and_saveexec_b64 s[4:5], s[40:41]
.LBB254_2317:
	v_lshrrev_b32_e32 v12, 24, v16
	s_movk_i32 s33, 0x80
	v_and_or_b32 v12, v12, s33, v17
.LBB254_2318:
	s_or_b64 exec, exec, s[4:5]
.LBB254_2319:
	s_or_b64 exec, exec, s[38:39]
.LBB254_2320:
	s_or_b64 exec, exec, s[36:37]
	s_or_b64 s[36:37], s[30:31], exec
.LBB254_2321:
	s_or_saveexec_b64 s[24:25], s[24:25]
	s_mov_b64 s[4:5], 0
	s_mov_b64 s[38:39], s[34:35]
	s_xor_b64 exec, exec, s[24:25]
	s_cbranch_execz .LBB254_2335
; %bb.2322:
	v_cmp_lt_i16_e64 s[4:5], 14, v1
	s_mov_b64 s[40:41], s[34:35]
	s_mov_b64 s[42:43], s[36:37]
                                        ; implicit-def: $vgpr12
	s_and_saveexec_b64 s[38:39], s[4:5]
	s_xor_b64 s[38:39], exec, s[38:39]
	s_cbranch_execz .LBB254_2332
; %bb.2323:
	v_cmp_eq_u16_e64 s[4:5], 15, v1
	s_mov_b64 s[44:45], -1
	s_mov_b64 s[42:43], s[36:37]
                                        ; implicit-def: $vgpr12
	s_and_saveexec_b64 s[40:41], s[4:5]
	s_cbranch_execz .LBB254_2331
; %bb.2324:
	flat_load_ushort v16, v[14:15]
	s_mov_b32 s4, 0x47800000
	s_waitcnt vmcnt(0) lgkmcnt(0)
	v_mov_b32_e32 v12, 0x80
	v_lshlrev_b32_e32 v18, 16, v16
	v_and_b32_e32 v17, 0x7fffffff, v18
	v_cmp_gt_u32_e64 s[4:5], s4, v17
	s_and_saveexec_b64 s[42:43], s[4:5]
	s_cbranch_execz .LBB254_2330
; %bb.2325:
	s_mov_b32 s4, 0x37ffffff
	v_cmp_lt_u32_e64 s[4:5], s4, v17
	s_mov_b64 s[44:45], 0
                                        ; implicit-def: $vgpr17
	s_and_saveexec_b64 s[46:47], s[4:5]
	s_xor_b64 s[4:5], exec, s[46:47]
	s_cbranch_execz .LBB254_2747
; %bb.2326:
	v_bfe_u32 v12, v16, 5, 1
	s_mov_b32 s33, 0x88fffff
	v_add3_u32 v12, v18, v12, s33
	s_mov_b64 s[44:45], exec
	v_lshrrev_b32_e32 v17, 21, v12
                                        ; implicit-def: $vgpr18
	s_andn2_saveexec_b64 s[46:47], s[4:5]
	s_cbranch_execnz .LBB254_2748
.LBB254_2327:
	s_or_b64 exec, exec, s[46:47]
	v_mov_b32_e32 v12, 0
	s_and_saveexec_b64 s[4:5], s[44:45]
.LBB254_2328:
	v_lshrrev_b32_e32 v12, 8, v16
	s_movk_i32 s33, 0x80
	v_and_or_b32 v12, v12, s33, v17
.LBB254_2329:
	s_or_b64 exec, exec, s[4:5]
.LBB254_2330:
	s_or_b64 exec, exec, s[42:43]
	s_or_b64 s[42:43], s[36:37], exec
	s_xor_b64 s[44:45], exec, -1
.LBB254_2331:
	s_or_b64 exec, exec, s[40:41]
	s_andn2_b64 s[4:5], s[36:37], exec
	s_and_b64 s[40:41], s[42:43], exec
	s_or_b64 s[42:43], s[4:5], s[40:41]
	s_andn2_b64 s[4:5], s[34:35], exec
	s_and_b64 s[40:41], s[44:45], exec
	s_or_b64 s[40:41], s[4:5], s[40:41]
.LBB254_2332:
	s_or_saveexec_b64 s[38:39], s[38:39]
	s_mov_b64 s[44:45], 0
	s_xor_b64 exec, exec, s[38:39]
; %bb.2333:
	v_cmp_ne_u16_e64 s[4:5], 11, v1
	s_andn2_b64 s[40:41], s[40:41], exec
	s_and_b64 s[4:5], s[4:5], exec
	s_mov_b64 s[44:45], exec
	s_or_b64 s[40:41], s[40:41], s[4:5]
; %bb.2334:
	s_or_b64 exec, exec, s[38:39]
	s_andn2_b64 s[4:5], s[36:37], exec
	s_and_b64 s[36:37], s[42:43], exec
	s_andn2_b64 s[38:39], s[34:35], exec
	s_and_b64 s[40:41], s[40:41], exec
	s_or_b64 s[36:37], s[4:5], s[36:37]
	s_and_b64 s[4:5], s[44:45], exec
	s_or_b64 s[38:39], s[38:39], s[40:41]
.LBB254_2335:
	s_or_b64 exec, exec, s[24:25]
	s_andn2_b64 s[24:25], s[30:31], exec
	s_and_b64 s[30:31], s[36:37], exec
	s_or_b64 s[30:31], s[24:25], s[30:31]
	s_and_b64 s[24:25], s[4:5], exec
	s_andn2_b64 s[4:5], s[34:35], exec
	s_and_b64 s[34:35], s[38:39], exec
	s_or_b64 s[34:35], s[4:5], s[34:35]
	s_or_b64 exec, exec, s[28:29]
	s_mov_b64 s[28:29], s[18:19]
	s_and_saveexec_b64 s[4:5], s[34:35]
	s_cbranch_execz .LBB254_861
.LBB254_2336:
	s_trap 2
	s_or_b64 s[28:29], s[18:19], exec
	s_andn2_b64 s[24:25], s[24:25], exec
	s_or_b64 exec, exec, s[4:5]
	s_and_saveexec_b64 s[4:5], s[24:25]
	s_xor_b64 s[24:25], exec, s[4:5]
	s_cbranch_execnz .LBB254_862
	s_branch .LBB254_869
.LBB254_2337:
	s_mov_b64 s[4:5], exec
	s_trap 2
	s_branch .LBB254_138
.LBB254_2338:
	s_andn2_saveexec_b64 s[26:27], s[26:27]
	s_cbranch_execz .LBB254_256
.LBB254_2339:
	s_mov_b32 s28, 0x42800000
	v_add_f32_e64 v5, |v1|, s28
	v_and_b32_e32 v5, 0xff, v5
	v_cmp_ne_u32_e32 vcc, 0, v5
	s_andn2_b64 s[24:25], s[24:25], exec
	s_and_b64 s[28:29], vcc, exec
	s_or_b64 s[24:25], s[24:25], s[28:29]
	s_or_b64 exec, exec, s[26:27]
	v_mov_b32_e32 v12, 0
	s_and_saveexec_b64 s[26:27], s[24:25]
	s_cbranch_execnz .LBB254_257
	s_branch .LBB254_258
.LBB254_2340:
	s_andn2_saveexec_b64 s[24:25], s[24:25]
	s_cbranch_execz .LBB254_297
.LBB254_2341:
	s_mov_b32 s26, 0x42800000
	v_add_f32_e64 v5, |v1|, s26
	v_and_b32_e32 v5, 0xff, v5
	v_cmp_ne_u32_e32 vcc, 0, v5
	s_andn2_b64 s[22:23], s[22:23], exec
	s_and_b64 s[26:27], vcc, exec
	s_or_b64 s[22:23], s[22:23], s[26:27]
	s_or_b64 exec, exec, s[24:25]
	v_mov_b32_e32 v12, 0
	s_and_saveexec_b64 s[24:25], s[22:23]
	s_cbranch_execnz .LBB254_298
	s_branch .LBB254_299
.LBB254_2342:
	s_andn2_saveexec_b64 s[24:25], s[24:25]
	s_cbranch_execz .LBB254_325
.LBB254_2343:
	s_mov_b32 s26, 0x42800000
	v_add_f32_e64 v5, |v1|, s26
	v_and_b32_e32 v5, 0xff, v5
	v_cmp_ne_u32_e32 vcc, 0, v5
	s_andn2_b64 s[22:23], s[22:23], exec
	s_and_b64 s[26:27], vcc, exec
	s_or_b64 s[22:23], s[22:23], s[26:27]
	s_or_b64 exec, exec, s[24:25]
	v_mov_b32_e32 v12, 0
	s_and_saveexec_b64 s[24:25], s[22:23]
	s_cbranch_execnz .LBB254_326
	s_branch .LBB254_327
.LBB254_2344:
	s_andn2_saveexec_b64 s[24:25], s[24:25]
	s_cbranch_execz .LBB254_355
.LBB254_2345:
	s_mov_b32 s26, 0x42800000
	v_add_f32_e64 v5, |v1|, s26
	v_and_b32_e32 v5, 0xff, v5
	v_cmp_ne_u32_e32 vcc, 0, v5
	s_andn2_b64 s[22:23], s[22:23], exec
	s_and_b64 s[26:27], vcc, exec
	s_or_b64 s[22:23], s[22:23], s[26:27]
	s_or_b64 exec, exec, s[24:25]
	v_mov_b32_e32 v12, 0
	s_and_saveexec_b64 s[24:25], s[22:23]
	s_cbranch_execnz .LBB254_356
	s_branch .LBB254_357
.LBB254_2346:
	s_andn2_saveexec_b64 s[24:25], s[24:25]
	s_cbranch_execz .LBB254_365
.LBB254_2347:
	s_mov_b32 s26, 0x42800000
	v_add_f32_e64 v5, |v1|, s26
	v_and_b32_e32 v5, 0xff, v5
	v_cmp_ne_u32_e32 vcc, 0, v5
	s_andn2_b64 s[22:23], s[22:23], exec
	s_and_b64 s[26:27], vcc, exec
	s_or_b64 s[22:23], s[22:23], s[26:27]
	s_or_b64 exec, exec, s[24:25]
	v_mov_b32_e32 v12, 0
	s_and_saveexec_b64 s[24:25], s[22:23]
	s_cbranch_execnz .LBB254_366
	s_branch .LBB254_367
.LBB254_2348:
	s_andn2_saveexec_b64 s[24:25], s[24:25]
	s_cbranch_execz .LBB254_373
.LBB254_2349:
	v_add_f32_e32 v1, 0x42800000, v5
	v_and_b32_e32 v1, 0xff, v1
	v_cmp_ne_u32_e32 vcc, 0, v1
	s_andn2_b64 s[22:23], s[22:23], exec
	s_and_b64 s[26:27], vcc, exec
	s_or_b64 s[22:23], s[22:23], s[26:27]
	s_or_b64 exec, exec, s[24:25]
	v_mov_b32_e32 v12, 0
	s_and_saveexec_b64 s[24:25], s[22:23]
	s_cbranch_execnz .LBB254_374
	s_branch .LBB254_375
.LBB254_2350:
	s_or_saveexec_b64 s[28:29], s[28:29]
	v_mov_b32_e32 v20, 0x7f800001
	s_xor_b64 exec, exec, s[28:29]
	s_cbranch_execz .LBB254_441
.LBB254_2351:
	v_cmp_ne_u16_e32 vcc, 0, v14
	s_andn2_b64 s[26:27], s[26:27], exec
	s_and_b64 s[30:31], vcc, exec
	v_mov_b32_e32 v20, 0
	s_or_b64 s[26:27], s[26:27], s[30:31]
	s_or_b64 exec, exec, s[28:29]
	s_and_saveexec_b64 s[28:29], s[26:27]
	s_cbranch_execnz .LBB254_442
	s_branch .LBB254_443
.LBB254_2352:
	s_andn2_saveexec_b64 s[34:35], s[4:5]
	s_cbranch_execz .LBB254_675
.LBB254_2353:
	v_add_f32_e32 v10, 0x42800000, v14
	v_and_b32_e32 v12, 0xff, v10
	v_cmp_ne_u32_e64 s[4:5], 0, v12
	s_andn2_b64 s[30:31], s[30:31], exec
	s_and_b64 s[4:5], s[4:5], exec
	s_or_b64 s[30:31], s[30:31], s[4:5]
	s_or_b64 exec, exec, s[34:35]
	v_mov_b32_e32 v10, 0
	s_and_saveexec_b64 s[4:5], s[30:31]
	s_cbranch_execnz .LBB254_676
	s_branch .LBB254_677
.LBB254_2354:
	s_or_saveexec_b64 s[30:31], s[30:31]
	v_mov_b32_e32 v14, 0x7f800001
	s_xor_b64 exec, exec, s[30:31]
	s_cbranch_execz .LBB254_984
.LBB254_2355:
	v_mov_b32_e32 v14, 0
	v_cmp_ne_u16_sdwa s[34:35], v10, v14 src0_sel:BYTE_0 src1_sel:DWORD
	s_andn2_b64 s[4:5], s[4:5], exec
	s_and_b64 s[34:35], s[34:35], exec
	s_or_b64 s[4:5], s[4:5], s[34:35]
	s_or_b64 exec, exec, s[30:31]
	s_and_saveexec_b64 s[30:31], s[4:5]
	s_cbranch_execnz .LBB254_985
	s_branch .LBB254_986
.LBB254_2356:
	s_or_saveexec_b64 s[30:31], s[30:31]
	v_mov_b32_e32 v10, 0x7f800001
	s_xor_b64 exec, exec, s[30:31]
	s_cbranch_execz .LBB254_990
.LBB254_2357:
	v_mov_b32_e32 v10, 0
	v_cmp_ne_u16_sdwa s[34:35], v12, v10 src0_sel:BYTE_0 src1_sel:DWORD
	s_andn2_b64 s[4:5], s[4:5], exec
	s_and_b64 s[34:35], s[34:35], exec
	s_or_b64 s[4:5], s[4:5], s[34:35]
	s_or_b64 exec, exec, s[30:31]
	s_and_saveexec_b64 s[30:31], s[4:5]
	s_cbranch_execnz .LBB254_991
	s_branch .LBB254_992
.LBB254_2358:
	s_or_saveexec_b64 s[34:35], s[34:35]
	v_mov_b32_e32 v14, 0x7f800001
	s_xor_b64 exec, exec, s[34:35]
	s_cbranch_execz .LBB254_998
.LBB254_2359:
	v_mov_b32_e32 v14, 0
	v_cmp_ne_u16_sdwa s[36:37], v10, v14 src0_sel:BYTE_0 src1_sel:DWORD
	s_andn2_b64 s[4:5], s[4:5], exec
	s_and_b64 s[36:37], s[36:37], exec
	s_or_b64 s[4:5], s[4:5], s[36:37]
	s_or_b64 exec, exec, s[34:35]
	s_and_saveexec_b64 s[34:35], s[4:5]
	s_cbranch_execnz .LBB254_999
	s_branch .LBB254_1000
.LBB254_2360:
	s_or_saveexec_b64 s[34:35], s[34:35]
	v_mov_b32_e32 v10, 0x7f800001
	s_xor_b64 exec, exec, s[34:35]
	s_cbranch_execz .LBB254_1004
.LBB254_2361:
	v_mov_b32_e32 v10, 0
	v_cmp_ne_u16_sdwa s[36:37], v12, v10 src0_sel:BYTE_0 src1_sel:DWORD
	s_andn2_b64 s[4:5], s[4:5], exec
	s_and_b64 s[36:37], s[36:37], exec
	s_or_b64 s[4:5], s[4:5], s[36:37]
	s_or_b64 exec, exec, s[34:35]
	s_and_saveexec_b64 s[34:35], s[4:5]
	s_cbranch_execnz .LBB254_1005
	s_branch .LBB254_1006
.LBB254_2362:
	s_andn2_saveexec_b64 s[36:37], s[36:37]
	s_cbranch_execz .LBB254_1078
.LBB254_2363:
	v_cmp_lt_i16_e64 s[4:5], 22, v3
	s_mov_b64 s[42:43], s[38:39]
                                        ; implicit-def: $vgpr14
	s_and_saveexec_b64 s[28:29], s[4:5]
	s_xor_b64 s[28:29], exec, s[28:29]
	s_cbranch_execz .LBB254_2385
; %bb.2364:
	v_cmp_lt_i16_e64 s[4:5], 23, v3
                                        ; implicit-def: $vgpr14
	s_and_saveexec_b64 s[42:43], s[4:5]
	s_xor_b64 s[42:43], exec, s[42:43]
	s_cbranch_execz .LBB254_2376
; %bb.2365:
	v_cmp_lt_i16_e64 s[4:5], 24, v3
                                        ; implicit-def: $vgpr14
	s_and_saveexec_b64 s[44:45], s[4:5]
	s_xor_b64 s[4:5], exec, s[44:45]
	s_cbranch_execz .LBB254_2367
; %bb.2366:
	flat_load_ubyte v14, v[12:13]
.LBB254_2367:
	s_andn2_saveexec_b64 s[44:45], s[4:5]
	s_cbranch_execz .LBB254_2375
; %bb.2368:
	flat_load_ubyte v10, v[12:13]
	s_mov_b32 s4, 0x7f800000
	s_brev_b32 s33, 1
	s_mov_b32 s46, 0x47800000
	s_waitcnt vmcnt(0) lgkmcnt(0)
	v_lshlrev_b32_e32 v10, 24, v10
	v_and_b32_e32 v14, 0x7f000000, v10
	v_ffbh_u32_e32 v15, v14
	v_min_u32_e32 v15, 32, v15
	v_sub_u32_e64 v15, v15, 4 clamp
	v_lshlrev_b32_e32 v17, v15, v14
	v_lshlrev_b32_e32 v15, 23, v15
	v_lshrrev_b32_e32 v17, 4, v17
	v_add_u32_e32 v16, 0x1000000, v14
	v_sub_u32_e32 v15, v17, v15
	v_ashrrev_i32_e32 v16, 8, v16
	v_add_u32_e32 v15, 0x3c000000, v15
	v_and_or_b32 v15, v16, s4, v15
	v_cmp_ne_u32_e64 s[4:5], 0, v14
	v_cndmask_b32_e64 v16, 0, v15, s[4:5]
	v_and_or_b32 v10, v10, s33, v16
	v_and_b32_e32 v15, 0x7fffffff, v10
	v_cmp_gt_u32_e64 s[4:5], s46, v15
	v_mov_b32_e32 v14, 0x80
	s_and_saveexec_b64 s[46:47], s[4:5]
	s_cbranch_execz .LBB254_2374
; %bb.2369:
	s_mov_b32 s4, 0x37ffffff
	v_cmp_lt_u32_e64 s[4:5], s4, v15
	s_mov_b64 s[48:49], 0
                                        ; implicit-def: $vgpr15
	s_and_saveexec_b64 s[50:51], s[4:5]
	s_xor_b64 s[4:5], exec, s[50:51]
	s_cbranch_execz .LBB254_2832
; %bb.2370:
	v_bfe_u32 v14, v16, 21, 1
	s_mov_b32 s33, 0x88fffff
	v_add3_u32 v14, v10, v14, s33
	s_mov_b64 s[48:49], exec
	v_lshrrev_b32_e32 v15, 21, v14
	s_andn2_saveexec_b64 s[50:51], s[4:5]
	s_cbranch_execnz .LBB254_2833
.LBB254_2371:
	s_or_b64 exec, exec, s[50:51]
	v_mov_b32_e32 v14, 0
	s_and_saveexec_b64 s[4:5], s[48:49]
.LBB254_2372:
	v_lshrrev_b32_e32 v10, 24, v10
	s_movk_i32 s33, 0x80
	v_and_or_b32 v14, v10, s33, v15
.LBB254_2373:
	s_or_b64 exec, exec, s[4:5]
.LBB254_2374:
	s_or_b64 exec, exec, s[46:47]
.LBB254_2375:
	s_or_b64 exec, exec, s[44:45]
.LBB254_2376:
	s_andn2_saveexec_b64 s[42:43], s[42:43]
	s_cbranch_execz .LBB254_2384
; %bb.2377:
	flat_load_ubyte v10, v[12:13]
	s_movk_i32 s4, 0x7f00
	s_brev_b32 s5, 16
	s_brev_b32 s33, 1
	s_mov_b32 s44, 0x47800000
	s_waitcnt vmcnt(0) lgkmcnt(0)
	v_lshlrev_b16_e32 v14, 8, v10
	v_lshlrev_b32_e32 v10, 25, v10
	v_lshrrev_b32_e32 v15, 4, v10
	v_and_or_b32 v16, v14, s4, 0.5
	v_or_b32_e32 v15, 0x70000000, v15
	v_add_f32_e32 v16, -0.5, v16
	v_mul_f32_e32 v15, 0x7800000, v15
	v_cmp_gt_u32_e64 s[4:5], s5, v10
	v_bfe_i32 v14, v14, 0, 16
	v_cndmask_b32_e64 v16, v15, v16, s[4:5]
	v_and_or_b32 v10, v14, s33, v16
	v_and_b32_e32 v15, 0x7fffffff, v10
	v_cmp_gt_u32_e64 s[4:5], s44, v15
	v_mov_b32_e32 v14, 0x80
	s_and_saveexec_b64 s[44:45], s[4:5]
	s_cbranch_execz .LBB254_2383
; %bb.2378:
	s_mov_b32 s4, 0x37ffffff
	v_cmp_lt_u32_e64 s[4:5], s4, v15
	s_mov_b64 s[46:47], 0
                                        ; implicit-def: $vgpr15
	s_and_saveexec_b64 s[48:49], s[4:5]
	s_xor_b64 s[4:5], exec, s[48:49]
	s_cbranch_execz .LBB254_2749
; %bb.2379:
	v_bfe_u32 v14, v16, 21, 1
	s_mov_b32 s33, 0x88fffff
	v_add3_u32 v14, v10, v14, s33
	s_mov_b64 s[46:47], exec
	v_lshrrev_b32_e32 v15, 21, v14
	s_andn2_saveexec_b64 s[48:49], s[4:5]
	s_cbranch_execnz .LBB254_2750
.LBB254_2380:
	s_or_b64 exec, exec, s[48:49]
	v_mov_b32_e32 v14, 0
	s_and_saveexec_b64 s[4:5], s[46:47]
.LBB254_2381:
	v_lshrrev_b32_e32 v10, 24, v10
	s_movk_i32 s33, 0x80
	v_and_or_b32 v14, v10, s33, v15
.LBB254_2382:
	s_or_b64 exec, exec, s[4:5]
.LBB254_2383:
	s_or_b64 exec, exec, s[44:45]
.LBB254_2384:
	s_or_b64 exec, exec, s[42:43]
	s_or_b64 s[42:43], s[38:39], exec
.LBB254_2385:
	s_or_saveexec_b64 s[28:29], s[28:29]
	s_mov_b64 s[4:5], 0
	s_mov_b64 s[44:45], s[40:41]
	s_xor_b64 exec, exec, s[28:29]
	s_cbranch_execz .LBB254_2399
; %bb.2386:
	v_cmp_lt_i16_e64 s[4:5], 14, v3
	s_mov_b64 s[46:47], s[40:41]
	s_mov_b64 s[48:49], s[42:43]
                                        ; implicit-def: $vgpr14
	s_and_saveexec_b64 s[44:45], s[4:5]
	s_xor_b64 s[44:45], exec, s[44:45]
	s_cbranch_execz .LBB254_2396
; %bb.2387:
	v_cmp_eq_u16_e64 s[4:5], 15, v3
	s_mov_b64 s[50:51], -1
	s_mov_b64 s[48:49], s[42:43]
                                        ; implicit-def: $vgpr14
	s_and_saveexec_b64 s[46:47], s[4:5]
	s_cbranch_execz .LBB254_2395
; %bb.2388:
	flat_load_ushort v10, v[12:13]
	s_mov_b32 s4, 0x47800000
	s_waitcnt vmcnt(0) lgkmcnt(0)
	v_mov_b32_e32 v14, 0x80
	v_lshlrev_b32_e32 v16, 16, v10
	v_and_b32_e32 v15, 0x7fffffff, v16
	v_cmp_gt_u32_e64 s[4:5], s4, v15
	s_and_saveexec_b64 s[48:49], s[4:5]
	s_cbranch_execz .LBB254_2394
; %bb.2389:
	s_mov_b32 s4, 0x37ffffff
	v_cmp_lt_u32_e64 s[4:5], s4, v15
	s_mov_b64 s[50:51], 0
                                        ; implicit-def: $vgpr15
	s_and_saveexec_b64 s[52:53], s[4:5]
	s_xor_b64 s[4:5], exec, s[52:53]
	s_cbranch_execz .LBB254_2834
; %bb.2390:
	v_bfe_u32 v14, v10, 5, 1
	s_mov_b32 s33, 0x88fffff
	v_add3_u32 v14, v16, v14, s33
	s_mov_b64 s[50:51], exec
	v_lshrrev_b32_e32 v15, 21, v14
                                        ; implicit-def: $vgpr16
	s_andn2_saveexec_b64 s[52:53], s[4:5]
	s_cbranch_execnz .LBB254_2835
.LBB254_2391:
	s_or_b64 exec, exec, s[52:53]
	v_mov_b32_e32 v14, 0
	s_and_saveexec_b64 s[4:5], s[50:51]
.LBB254_2392:
	v_lshrrev_b32_e32 v10, 8, v10
	s_movk_i32 s33, 0x80
	v_and_or_b32 v14, v10, s33, v15
.LBB254_2393:
	s_or_b64 exec, exec, s[4:5]
.LBB254_2394:
	s_or_b64 exec, exec, s[48:49]
	s_or_b64 s[48:49], s[42:43], exec
	s_xor_b64 s[50:51], exec, -1
.LBB254_2395:
	s_or_b64 exec, exec, s[46:47]
	s_andn2_b64 s[4:5], s[42:43], exec
	s_and_b64 s[46:47], s[48:49], exec
	s_or_b64 s[48:49], s[4:5], s[46:47]
	s_andn2_b64 s[4:5], s[40:41], exec
	s_and_b64 s[46:47], s[50:51], exec
	s_or_b64 s[46:47], s[4:5], s[46:47]
.LBB254_2396:
	s_or_saveexec_b64 s[44:45], s[44:45]
	s_mov_b64 s[50:51], 0
	s_xor_b64 exec, exec, s[44:45]
; %bb.2397:
	v_cmp_ne_u16_e64 s[4:5], 11, v3
	s_andn2_b64 s[46:47], s[46:47], exec
	s_and_b64 s[4:5], s[4:5], exec
	s_mov_b64 s[50:51], exec
	s_or_b64 s[46:47], s[46:47], s[4:5]
; %bb.2398:
	s_or_b64 exec, exec, s[44:45]
	s_andn2_b64 s[4:5], s[42:43], exec
	s_and_b64 s[42:43], s[48:49], exec
	s_andn2_b64 s[44:45], s[40:41], exec
	s_and_b64 s[46:47], s[46:47], exec
	s_or_b64 s[42:43], s[4:5], s[42:43]
	s_and_b64 s[4:5], s[50:51], exec
	s_or_b64 s[44:45], s[44:45], s[46:47]
.LBB254_2399:
	s_or_b64 exec, exec, s[28:29]
	s_andn2_b64 s[28:29], s[38:39], exec
	s_and_b64 s[38:39], s[42:43], exec
	s_or_b64 s[38:39], s[28:29], s[38:39]
	s_and_b64 s[28:29], s[4:5], exec
	s_andn2_b64 s[4:5], s[40:41], exec
	s_and_b64 s[40:41], s[44:45], exec
	s_or_b64 s[40:41], s[4:5], s[40:41]
	s_or_b64 exec, exec, s[36:37]
	s_mov_b64 s[36:37], s[24:25]
	s_and_saveexec_b64 s[4:5], s[40:41]
	s_cbranch_execz .LBB254_1079
.LBB254_2400:
	s_trap 2
	s_or_b64 s[36:37], s[24:25], exec
	s_andn2_b64 s[28:29], s[28:29], exec
	s_or_b64 exec, exec, s[4:5]
	s_and_saveexec_b64 s[4:5], s[28:29]
	s_xor_b64 s[28:29], exec, s[4:5]
	s_cbranch_execnz .LBB254_1080
	s_branch .LBB254_1087
.LBB254_2401:
	s_andn2_saveexec_b64 s[24:25], s[24:25]
	s_cbranch_execz .LBB254_2185
.LBB254_2402:
	s_mov_b32 s26, 0x42800000
	v_add_f32_e64 v5, |v1|, s26
	v_and_b32_e32 v5, 0xff, v5
	v_cmp_ne_u32_e32 vcc, 0, v5
	s_andn2_b64 s[22:23], s[22:23], exec
	s_and_b64 s[26:27], vcc, exec
	s_or_b64 s[22:23], s[22:23], s[26:27]
	s_or_b64 exec, exec, s[24:25]
	v_mov_b32_e32 v12, 0
	s_and_saveexec_b64 s[24:25], s[22:23]
	s_cbranch_execnz .LBB254_2186
	s_branch .LBB254_2187
.LBB254_2403:
	s_andn2_saveexec_b64 s[28:29], s[28:29]
	s_cbranch_execz .LBB254_221
.LBB254_2404:
	v_add_f32_e32 v1, 0x42800000, v5
	v_and_b32_e32 v1, 0xff, v1
	v_cmp_ne_u32_e32 vcc, 0, v1
	s_andn2_b64 s[26:27], s[26:27], exec
	s_and_b64 s[30:31], vcc, exec
	s_or_b64 s[26:27], s[26:27], s[30:31]
	s_or_b64 exec, exec, s[28:29]
	v_mov_b32_e32 v12, 0
	s_and_saveexec_b64 s[28:29], s[26:27]
	s_cbranch_execnz .LBB254_222
	s_branch .LBB254_223
.LBB254_2405:
	s_andn2_saveexec_b64 s[28:29], s[28:29]
	s_cbranch_execz .LBB254_233
.LBB254_2406:
	v_add_f32_e32 v1, 0x42800000, v5
	v_and_b32_e32 v1, 0xff, v1
	v_cmp_ne_u32_e32 vcc, 0, v1
	s_andn2_b64 s[26:27], s[26:27], exec
	s_and_b64 s[30:31], vcc, exec
	s_or_b64 s[26:27], s[26:27], s[30:31]
	s_or_b64 exec, exec, s[28:29]
	v_mov_b32_e32 v12, 0
	s_and_saveexec_b64 s[28:29], s[26:27]
	s_cbranch_execnz .LBB254_234
	s_branch .LBB254_235
.LBB254_2407:
	s_andn2_saveexec_b64 s[28:29], s[28:29]
	s_cbranch_execz .LBB254_241
.LBB254_2408:
	v_add_f32_e32 v1, 0x42800000, v5
	v_and_b32_e32 v1, 0xff, v1
	v_cmp_ne_u32_e32 vcc, 0, v1
	s_andn2_b64 s[26:27], s[26:27], exec
	s_and_b64 s[30:31], vcc, exec
	s_or_b64 s[26:27], s[26:27], s[30:31]
	s_or_b64 exec, exec, s[28:29]
	v_mov_b32_e32 v12, 0
	s_and_saveexec_b64 s[28:29], s[26:27]
	s_cbranch_execnz .LBB254_242
	s_branch .LBB254_243
.LBB254_2409:
	s_andn2_saveexec_b64 s[26:27], s[26:27]
	s_cbranch_execz .LBB254_280
.LBB254_2410:
	s_mov_b32 s28, 0x42800000
	v_add_f32_e64 v5, |v1|, s28
	v_and_b32_e32 v5, 0xff, v5
	v_cmp_ne_u32_e32 vcc, 0, v5
	s_andn2_b64 s[24:25], s[24:25], exec
	s_and_b64 s[28:29], vcc, exec
	s_or_b64 s[24:25], s[24:25], s[28:29]
	s_or_b64 exec, exec, s[26:27]
	v_mov_b32_e32 v12, 0
	s_and_saveexec_b64 s[26:27], s[24:25]
	s_cbranch_execnz .LBB254_281
	s_branch .LBB254_282
.LBB254_2411:
	s_andn2_saveexec_b64 s[26:27], s[26:27]
	s_cbranch_execz .LBB254_288
.LBB254_2412:
	s_mov_b32 s28, 0x42800000
	v_add_f32_e64 v5, |v1|, s28
	v_and_b32_e32 v5, 0xff, v5
	v_cmp_ne_u32_e32 vcc, 0, v5
	s_andn2_b64 s[24:25], s[24:25], exec
	s_and_b64 s[28:29], vcc, exec
	s_or_b64 s[24:25], s[24:25], s[28:29]
	s_or_b64 exec, exec, s[26:27]
	v_mov_b32_e32 v12, 0
	s_and_saveexec_b64 s[26:27], s[24:25]
	s_cbranch_execnz .LBB254_289
	s_branch .LBB254_290
.LBB254_2413:
	s_andn2_saveexec_b64 s[26:27], s[26:27]
	s_cbranch_execz .LBB254_308
.LBB254_2414:
	s_mov_b32 s28, 0x42800000
	v_add_f32_e64 v5, |v1|, s28
	v_and_b32_e32 v5, 0xff, v5
	v_cmp_ne_u32_e32 vcc, 0, v5
	s_andn2_b64 s[24:25], s[24:25], exec
	s_and_b64 s[28:29], vcc, exec
	s_or_b64 s[24:25], s[24:25], s[28:29]
	s_or_b64 exec, exec, s[26:27]
	v_mov_b32_e32 v12, 0
	s_and_saveexec_b64 s[26:27], s[24:25]
	s_cbranch_execnz .LBB254_309
	s_branch .LBB254_310
.LBB254_2415:
	s_andn2_saveexec_b64 s[26:27], s[26:27]
	s_cbranch_execz .LBB254_316
.LBB254_2416:
	s_mov_b32 s28, 0x42800000
	v_add_f32_e64 v5, |v1|, s28
	v_and_b32_e32 v5, 0xff, v5
	v_cmp_ne_u32_e32 vcc, 0, v5
	s_andn2_b64 s[24:25], s[24:25], exec
	s_and_b64 s[28:29], vcc, exec
	s_or_b64 s[24:25], s[24:25], s[28:29]
	s_or_b64 exec, exec, s[26:27]
	v_mov_b32_e32 v12, 0
	s_and_saveexec_b64 s[26:27], s[24:25]
	s_cbranch_execnz .LBB254_317
	s_branch .LBB254_318
.LBB254_2417:
	s_andn2_saveexec_b64 s[26:27], s[26:27]
	s_cbranch_execz .LBB254_338
.LBB254_2418:
	s_mov_b32 s28, 0x42800000
	v_add_f32_e64 v5, |v1|, s28
	v_and_b32_e32 v5, 0xff, v5
	v_cmp_ne_u32_e32 vcc, 0, v5
	s_andn2_b64 s[24:25], s[24:25], exec
	s_and_b64 s[28:29], vcc, exec
	s_or_b64 s[24:25], s[24:25], s[28:29]
	s_or_b64 exec, exec, s[26:27]
	v_mov_b32_e32 v12, 0
	s_and_saveexec_b64 s[26:27], s[24:25]
	s_cbranch_execnz .LBB254_339
	s_branch .LBB254_340
.LBB254_2419:
	s_andn2_saveexec_b64 s[26:27], s[26:27]
	s_cbranch_execz .LBB254_346
.LBB254_2420:
	s_mov_b32 s28, 0x42800000
	v_add_f32_e64 v5, |v1|, s28
	v_and_b32_e32 v5, 0xff, v5
	v_cmp_ne_u32_e32 vcc, 0, v5
	s_andn2_b64 s[24:25], s[24:25], exec
	s_and_b64 s[28:29], vcc, exec
	s_or_b64 s[24:25], s[24:25], s[28:29]
	s_or_b64 exec, exec, s[26:27]
	v_mov_b32_e32 v12, 0
	s_and_saveexec_b64 s[26:27], s[24:25]
	s_cbranch_execnz .LBB254_347
	s_branch .LBB254_348
.LBB254_2421:
	s_andn2_saveexec_b64 s[30:31], s[30:31]
	s_cbranch_execz .LBB254_446
.LBB254_2422:
	s_mov_b32 s33, 0x42800000
	v_add_f32_e64 v14, |v20|, s33
	v_and_b32_e32 v21, 0xff, v14
	v_cmp_ne_u32_e32 vcc, 0, v21
	s_andn2_b64 s[28:29], s[28:29], exec
	s_and_b64 s[34:35], vcc, exec
	s_or_b64 s[28:29], s[28:29], s[34:35]
	s_or_b64 exec, exec, s[30:31]
	v_mov_b32_e32 v14, 0
	s_and_saveexec_b64 s[30:31], s[28:29]
	s_cbranch_execnz .LBB254_447
	s_branch .LBB254_448
.LBB254_2423:
	s_andn2_saveexec_b64 s[28:29], s[28:29]
	s_cbranch_execz .LBB254_487
.LBB254_2424:
	s_mov_b32 s30, 0x42800000
	v_add_f32_e64 v14, |v16|, s30
	v_and_b32_e32 v17, 0xff, v14
	v_cmp_ne_u32_e32 vcc, 0, v17
	s_andn2_b64 s[26:27], s[26:27], exec
	s_and_b64 s[30:31], vcc, exec
	s_or_b64 s[26:27], s[26:27], s[30:31]
	s_or_b64 exec, exec, s[28:29]
	v_mov_b32_e32 v14, 0
	s_and_saveexec_b64 s[28:29], s[26:27]
	s_cbranch_execnz .LBB254_488
	s_branch .LBB254_489
.LBB254_2425:
	s_andn2_saveexec_b64 s[28:29], s[28:29]
	s_cbranch_execz .LBB254_515
.LBB254_2426:
	s_mov_b32 s30, 0x42800000
	v_add_f32_e64 v14, |v16|, s30
	v_and_b32_e32 v17, 0xff, v14
	v_cmp_ne_u32_e32 vcc, 0, v17
	s_andn2_b64 s[26:27], s[26:27], exec
	s_and_b64 s[30:31], vcc, exec
	s_or_b64 s[26:27], s[26:27], s[30:31]
	s_or_b64 exec, exec, s[28:29]
	v_mov_b32_e32 v14, 0
	s_and_saveexec_b64 s[28:29], s[26:27]
	s_cbranch_execnz .LBB254_516
	s_branch .LBB254_517
.LBB254_2427:
	s_andn2_saveexec_b64 s[28:29], s[28:29]
	s_cbranch_execz .LBB254_545
.LBB254_2428:
	s_mov_b32 s30, 0x42800000
	v_add_f32_e64 v14, |v16|, s30
	v_and_b32_e32 v17, 0xff, v14
	v_cmp_ne_u32_e32 vcc, 0, v17
	s_andn2_b64 s[26:27], s[26:27], exec
	s_and_b64 s[30:31], vcc, exec
	s_or_b64 s[26:27], s[26:27], s[30:31]
	s_or_b64 exec, exec, s[28:29]
	v_mov_b32_e32 v14, 0
	s_and_saveexec_b64 s[28:29], s[26:27]
	s_cbranch_execnz .LBB254_546
	s_branch .LBB254_547
.LBB254_2429:
	s_andn2_saveexec_b64 s[28:29], s[28:29]
	s_cbranch_execz .LBB254_555
.LBB254_2430:
	s_mov_b32 s30, 0x42800000
	v_add_f32_e64 v14, |v16|, s30
	v_and_b32_e32 v17, 0xff, v14
	v_cmp_ne_u32_e32 vcc, 0, v17
	s_andn2_b64 s[26:27], s[26:27], exec
	s_and_b64 s[30:31], vcc, exec
	s_or_b64 s[26:27], s[26:27], s[30:31]
	s_or_b64 exec, exec, s[28:29]
	v_mov_b32_e32 v14, 0
	s_and_saveexec_b64 s[28:29], s[26:27]
	s_cbranch_execnz .LBB254_556
	s_branch .LBB254_557
.LBB254_2431:
	s_andn2_saveexec_b64 s[28:29], s[28:29]
	s_cbranch_execz .LBB254_563
.LBB254_2432:
	v_add_f32_e32 v14, 0x42800000, v17
	v_and_b32_e32 v16, 0xff, v14
	v_cmp_ne_u32_e32 vcc, 0, v16
	s_andn2_b64 s[26:27], s[26:27], exec
	s_and_b64 s[30:31], vcc, exec
	s_or_b64 s[26:27], s[26:27], s[30:31]
	s_or_b64 exec, exec, s[28:29]
	v_mov_b32_e32 v14, 0
	s_and_saveexec_b64 s[28:29], s[26:27]
	s_cbranch_execnz .LBB254_564
	s_branch .LBB254_565
.LBB254_2433:
	s_or_saveexec_b64 s[38:39], s[38:39]
	v_mov_b32_e32 v12, 0x7f800001
	s_xor_b64 exec, exec, s[38:39]
	s_cbranch_execz .LBB254_659
.LBB254_2434:
	v_cmp_ne_u16_e64 s[4:5], 0, v10
	s_andn2_b64 s[36:37], s[36:37], exec
	s_and_b64 s[4:5], s[4:5], exec
	v_mov_b32_e32 v12, 0
	s_or_b64 s[36:37], s[36:37], s[4:5]
	s_or_b64 exec, exec, s[38:39]
	s_and_saveexec_b64 s[38:39], s[36:37]
	s_cbranch_execnz .LBB254_660
	s_branch .LBB254_661
.LBB254_2435:
	s_andn2_saveexec_b64 s[38:39], s[4:5]
	s_cbranch_execz .LBB254_865
.LBB254_2436:
	v_add_f32_e32 v12, 0x42800000, v15
	v_and_b32_e32 v14, 0xff, v12
	v_cmp_ne_u32_e64 s[4:5], 0, v14
	s_andn2_b64 s[36:37], s[36:37], exec
	s_and_b64 s[4:5], s[4:5], exec
	s_or_b64 s[36:37], s[36:37], s[4:5]
	s_or_b64 exec, exec, s[38:39]
	v_mov_b32_e32 v12, 0
	s_and_saveexec_b64 s[4:5], s[36:37]
	s_cbranch_execnz .LBB254_866
	s_branch .LBB254_867
.LBB254_2437:
	s_andn2_saveexec_b64 s[40:41], s[40:41]
	s_cbranch_execz .LBB254_1268
.LBB254_2438:
	v_cmp_lt_i16_e64 s[4:5], 22, v1
	s_mov_b64 s[46:47], s[42:43]
                                        ; implicit-def: $vgpr12
	s_and_saveexec_b64 s[36:37], s[4:5]
	s_xor_b64 s[36:37], exec, s[36:37]
	s_cbranch_execz .LBB254_2460
; %bb.2439:
	v_cmp_lt_i16_e64 s[4:5], 23, v1
                                        ; implicit-def: $vgpr12
	s_and_saveexec_b64 s[46:47], s[4:5]
	s_xor_b64 s[46:47], exec, s[46:47]
	s_cbranch_execz .LBB254_2451
; %bb.2440:
	v_cmp_lt_i16_e64 s[4:5], 24, v1
                                        ; implicit-def: $vgpr12
	s_and_saveexec_b64 s[48:49], s[4:5]
	s_xor_b64 s[4:5], exec, s[48:49]
	s_cbranch_execz .LBB254_2442
; %bb.2441:
	flat_load_ubyte v12, v[10:11]
.LBB254_2442:
	s_andn2_saveexec_b64 s[48:49], s[4:5]
	s_cbranch_execz .LBB254_2450
; %bb.2443:
	s_waitcnt vmcnt(0) lgkmcnt(0)
	flat_load_ubyte v12, v[10:11]
	s_mov_b32 s4, 0x7f800000
	s_brev_b32 s33, 1
	s_mov_b32 s50, 0x47800000
	s_waitcnt vmcnt(0) lgkmcnt(0)
	v_lshlrev_b32_e32 v12, 24, v12
	v_and_b32_e32 v13, 0x7f000000, v12
	v_ffbh_u32_e32 v15, v13
	v_min_u32_e32 v15, 32, v15
	v_sub_u32_e64 v15, v15, 4 clamp
	v_lshlrev_b32_e32 v17, v15, v13
	v_lshlrev_b32_e32 v15, 23, v15
	v_lshrrev_b32_e32 v17, 4, v17
	v_add_u32_e32 v16, 0x1000000, v13
	v_sub_u32_e32 v15, v17, v15
	v_ashrrev_i32_e32 v16, 8, v16
	v_add_u32_e32 v15, 0x3c000000, v15
	v_and_or_b32 v15, v16, s4, v15
	v_cmp_ne_u32_e64 s[4:5], 0, v13
	v_cndmask_b32_e64 v16, 0, v15, s[4:5]
	v_and_or_b32 v13, v12, s33, v16
	v_and_b32_e32 v15, 0x7fffffff, v13
	v_cmp_gt_u32_e64 s[4:5], s50, v15
	v_mov_b32_e32 v12, 0x80
	s_and_saveexec_b64 s[50:51], s[4:5]
	s_cbranch_execz .LBB254_2449
; %bb.2444:
	s_mov_b32 s4, 0x37ffffff
	v_cmp_lt_u32_e64 s[4:5], s4, v15
	s_mov_b64 s[52:53], 0
                                        ; implicit-def: $vgpr15
	s_and_saveexec_b64 s[54:55], s[4:5]
	s_xor_b64 s[4:5], exec, s[54:55]
	s_cbranch_execz .LBB254_2917
; %bb.2445:
	v_bfe_u32 v12, v16, 21, 1
	s_mov_b32 s33, 0x88fffff
	v_add3_u32 v12, v13, v12, s33
	s_mov_b64 s[52:53], exec
	v_lshrrev_b32_e32 v15, 21, v12
	s_andn2_saveexec_b64 s[54:55], s[4:5]
	s_cbranch_execnz .LBB254_2918
.LBB254_2446:
	s_or_b64 exec, exec, s[54:55]
	v_mov_b32_e32 v12, 0
	s_and_saveexec_b64 s[4:5], s[52:53]
.LBB254_2447:
	v_lshrrev_b32_e32 v12, 24, v13
	s_movk_i32 s33, 0x80
	v_and_or_b32 v12, v12, s33, v15
.LBB254_2448:
	s_or_b64 exec, exec, s[4:5]
.LBB254_2449:
	s_or_b64 exec, exec, s[50:51]
.LBB254_2450:
	s_or_b64 exec, exec, s[48:49]
.LBB254_2451:
	s_andn2_saveexec_b64 s[46:47], s[46:47]
	s_cbranch_execz .LBB254_2459
; %bb.2452:
	s_waitcnt vmcnt(0) lgkmcnt(0)
	flat_load_ubyte v12, v[10:11]
	s_movk_i32 s4, 0x7f00
	s_brev_b32 s5, 16
	s_brev_b32 s33, 1
	s_mov_b32 s48, 0x47800000
	s_waitcnt vmcnt(0) lgkmcnt(0)
	v_lshlrev_b16_e32 v13, 8, v12
	v_lshlrev_b32_e32 v12, 25, v12
	v_lshrrev_b32_e32 v15, 4, v12
	v_and_or_b32 v16, v13, s4, 0.5
	v_or_b32_e32 v15, 0x70000000, v15
	v_add_f32_e32 v16, -0.5, v16
	v_mul_f32_e32 v15, 0x7800000, v15
	v_cmp_gt_u32_e64 s[4:5], s5, v12
	v_bfe_i32 v13, v13, 0, 16
	v_cndmask_b32_e64 v16, v15, v16, s[4:5]
	v_and_or_b32 v13, v13, s33, v16
	v_and_b32_e32 v15, 0x7fffffff, v13
	v_cmp_gt_u32_e64 s[4:5], s48, v15
	v_mov_b32_e32 v12, 0x80
	s_and_saveexec_b64 s[48:49], s[4:5]
	s_cbranch_execz .LBB254_2458
; %bb.2453:
	s_mov_b32 s4, 0x37ffffff
	v_cmp_lt_u32_e64 s[4:5], s4, v15
	s_mov_b64 s[50:51], 0
                                        ; implicit-def: $vgpr15
	s_and_saveexec_b64 s[52:53], s[4:5]
	s_xor_b64 s[4:5], exec, s[52:53]
	s_cbranch_execz .LBB254_2836
; %bb.2454:
	v_bfe_u32 v12, v16, 21, 1
	s_mov_b32 s33, 0x88fffff
	v_add3_u32 v12, v13, v12, s33
	s_mov_b64 s[50:51], exec
	v_lshrrev_b32_e32 v15, 21, v12
	s_andn2_saveexec_b64 s[52:53], s[4:5]
	s_cbranch_execnz .LBB254_2837
.LBB254_2455:
	s_or_b64 exec, exec, s[52:53]
	v_mov_b32_e32 v12, 0
	s_and_saveexec_b64 s[4:5], s[50:51]
.LBB254_2456:
	v_lshrrev_b32_e32 v12, 24, v13
	s_movk_i32 s33, 0x80
	v_and_or_b32 v12, v12, s33, v15
.LBB254_2457:
	s_or_b64 exec, exec, s[4:5]
.LBB254_2458:
	s_or_b64 exec, exec, s[48:49]
.LBB254_2459:
	s_or_b64 exec, exec, s[46:47]
	s_or_b64 s[46:47], s[42:43], exec
.LBB254_2460:
	s_or_saveexec_b64 s[36:37], s[36:37]
	s_mov_b64 s[4:5], 0
	s_mov_b64 s[48:49], s[44:45]
	s_xor_b64 exec, exec, s[36:37]
	s_cbranch_execz .LBB254_2474
; %bb.2461:
	v_cmp_lt_i16_e64 s[4:5], 14, v1
	s_mov_b64 s[50:51], s[44:45]
	s_mov_b64 s[52:53], s[46:47]
                                        ; implicit-def: $vgpr12
	s_and_saveexec_b64 s[48:49], s[4:5]
	s_xor_b64 s[48:49], exec, s[48:49]
	s_cbranch_execz .LBB254_2471
; %bb.2462:
	v_cmp_eq_u16_e64 s[4:5], 15, v1
	s_mov_b64 s[54:55], -1
	s_mov_b64 s[52:53], s[46:47]
                                        ; implicit-def: $vgpr12
	s_and_saveexec_b64 s[50:51], s[4:5]
	s_cbranch_execz .LBB254_2470
; %bb.2463:
	flat_load_ushort v13, v[10:11]
	s_mov_b32 s4, 0x47800000
	s_waitcnt vmcnt(0) lgkmcnt(0)
	v_mov_b32_e32 v12, 0x80
	v_lshlrev_b32_e32 v16, 16, v13
	v_and_b32_e32 v15, 0x7fffffff, v16
	v_cmp_gt_u32_e64 s[4:5], s4, v15
	s_and_saveexec_b64 s[52:53], s[4:5]
	s_cbranch_execz .LBB254_2469
; %bb.2464:
	s_mov_b32 s4, 0x37ffffff
	v_cmp_lt_u32_e64 s[4:5], s4, v15
	s_mov_b64 s[54:55], 0
                                        ; implicit-def: $vgpr15
	s_and_saveexec_b64 s[56:57], s[4:5]
	s_xor_b64 s[4:5], exec, s[56:57]
	s_cbranch_execz .LBB254_2919
; %bb.2465:
	v_bfe_u32 v12, v13, 5, 1
	s_mov_b32 s33, 0x88fffff
	v_add3_u32 v12, v16, v12, s33
	s_mov_b64 s[54:55], exec
	v_lshrrev_b32_e32 v15, 21, v12
                                        ; implicit-def: $vgpr16
	s_andn2_saveexec_b64 s[56:57], s[4:5]
	s_cbranch_execnz .LBB254_2920
.LBB254_2466:
	s_or_b64 exec, exec, s[56:57]
	v_mov_b32_e32 v12, 0
	s_and_saveexec_b64 s[4:5], s[54:55]
.LBB254_2467:
	v_lshrrev_b32_e32 v12, 8, v13
	s_movk_i32 s33, 0x80
	v_and_or_b32 v12, v12, s33, v15
.LBB254_2468:
	s_or_b64 exec, exec, s[4:5]
.LBB254_2469:
	s_or_b64 exec, exec, s[52:53]
	s_or_b64 s[52:53], s[46:47], exec
	s_xor_b64 s[54:55], exec, -1
.LBB254_2470:
	s_or_b64 exec, exec, s[50:51]
	s_andn2_b64 s[4:5], s[46:47], exec
	s_and_b64 s[50:51], s[52:53], exec
	s_or_b64 s[52:53], s[4:5], s[50:51]
	s_andn2_b64 s[4:5], s[44:45], exec
	s_and_b64 s[50:51], s[54:55], exec
	s_or_b64 s[50:51], s[4:5], s[50:51]
.LBB254_2471:
	s_or_saveexec_b64 s[48:49], s[48:49]
	s_mov_b64 s[54:55], 0
	s_xor_b64 exec, exec, s[48:49]
; %bb.2472:
	v_cmp_ne_u16_e64 s[4:5], 11, v1
	s_andn2_b64 s[50:51], s[50:51], exec
	s_and_b64 s[4:5], s[4:5], exec
	s_mov_b64 s[54:55], exec
	s_or_b64 s[50:51], s[50:51], s[4:5]
; %bb.2473:
	s_or_b64 exec, exec, s[48:49]
	s_andn2_b64 s[4:5], s[46:47], exec
	s_and_b64 s[46:47], s[52:53], exec
	s_andn2_b64 s[48:49], s[44:45], exec
	s_and_b64 s[50:51], s[50:51], exec
	s_or_b64 s[46:47], s[4:5], s[46:47]
	s_and_b64 s[4:5], s[54:55], exec
	s_or_b64 s[48:49], s[48:49], s[50:51]
.LBB254_2474:
	s_or_b64 exec, exec, s[36:37]
	s_andn2_b64 s[36:37], s[42:43], exec
	s_and_b64 s[42:43], s[46:47], exec
	s_or_b64 s[42:43], s[36:37], s[42:43]
	s_and_b64 s[36:37], s[4:5], exec
	s_andn2_b64 s[4:5], s[44:45], exec
	s_and_b64 s[44:45], s[48:49], exec
	s_or_b64 s[44:45], s[4:5], s[44:45]
	s_or_b64 exec, exec, s[40:41]
	s_mov_b64 s[40:41], s[28:29]
	s_and_saveexec_b64 s[4:5], s[44:45]
	s_cbranch_execz .LBB254_1269
.LBB254_2475:
	s_trap 2
	s_or_b64 s[40:41], s[28:29], exec
	s_andn2_b64 s[36:37], s[36:37], exec
	s_or_b64 exec, exec, s[4:5]
	s_and_saveexec_b64 s[4:5], s[36:37]
	s_xor_b64 s[36:37], exec, s[4:5]
	s_cbranch_execnz .LBB254_1270
	s_branch .LBB254_1277
.LBB254_2476:
	s_andn2_saveexec_b64 s[26:27], s[26:27]
	s_cbranch_execz .LBB254_2176
.LBB254_2477:
	s_mov_b32 s28, 0x42800000
	v_add_f32_e64 v5, |v1|, s28
	v_and_b32_e32 v5, 0xff, v5
	v_cmp_ne_u32_e32 vcc, 0, v5
	s_andn2_b64 s[24:25], s[24:25], exec
	s_and_b64 s[28:29], vcc, exec
	s_or_b64 s[24:25], s[24:25], s[28:29]
	s_or_b64 exec, exec, s[26:27]
	v_mov_b32_e32 v12, 0
	s_and_saveexec_b64 s[26:27], s[24:25]
	s_cbranch_execnz .LBB254_2177
	s_branch .LBB254_2178
.LBB254_2478:
	s_andn2_saveexec_b64 s[28:29], s[28:29]
	s_cbranch_execz .LBB254_2196
.LBB254_2479:
	s_mov_b32 s30, 0x42800000
	v_add_f32_e64 v5, |v14|, s30
	v_and_b32_e32 v5, 0xff, v5
	v_cmp_ne_u32_e32 vcc, 0, v5
	s_andn2_b64 s[26:27], s[26:27], exec
	s_and_b64 s[30:31], vcc, exec
	s_or_b64 s[26:27], s[26:27], s[30:31]
	s_or_b64 exec, exec, s[28:29]
	v_mov_b32_e32 v12, 0
	s_and_saveexec_b64 s[28:29], s[26:27]
	s_cbranch_execnz .LBB254_2197
	s_branch .LBB254_2198
.LBB254_2480:
	s_andn2_saveexec_b64 s[28:29], s[28:29]
	s_cbranch_execz .LBB254_2224
.LBB254_2481:
	s_mov_b32 s30, 0x42800000
	v_add_f32_e64 v14, |v20|, s30
	v_and_b32_e32 v21, 0xff, v14
	v_cmp_ne_u32_e32 vcc, 0, v21
	s_andn2_b64 s[26:27], s[26:27], exec
	s_and_b64 s[30:31], vcc, exec
	s_or_b64 s[26:27], s[26:27], s[30:31]
	s_or_b64 exec, exec, s[28:29]
	v_mov_b32_e32 v14, 0
	s_and_saveexec_b64 s[28:29], s[26:27]
	s_cbranch_execnz .LBB254_2225
	s_branch .LBB254_2226
.LBB254_2482:
	s_andn2_saveexec_b64 s[26:27], s[26:27]
	s_cbranch_execz .LBB254_200
.LBB254_2483:
	s_mov_b32 s28, 0x42800000
	v_add_f32_e64 v5, |v1|, s28
	v_and_b32_e32 v5, 0xff, v5
	v_cmp_ne_u32_e32 vcc, 0, v5
	s_andn2_b64 s[24:25], s[24:25], exec
	s_and_b64 s[28:29], vcc, exec
	s_or_b64 s[24:25], s[24:25], s[28:29]
	s_or_b64 exec, exec, s[26:27]
	v_mov_b32_e32 v12, 0
	s_and_saveexec_b64 s[26:27], s[24:25]
	s_cbranch_execnz .LBB254_201
	s_branch .LBB254_202
.LBB254_2484:
	s_andn2_saveexec_b64 s[30:31], s[30:31]
	s_cbranch_execz .LBB254_210
.LBB254_2485:
	v_add_f32_e32 v1, 0x42800000, v5
	v_and_b32_e32 v1, 0xff, v1
	v_cmp_ne_u32_e32 vcc, 0, v1
	s_andn2_b64 s[28:29], s[28:29], exec
	s_and_b64 s[34:35], vcc, exec
	s_or_b64 s[28:29], s[28:29], s[34:35]
	s_or_b64 exec, exec, s[30:31]
	v_mov_b32_e32 v12, 0
	s_and_saveexec_b64 s[30:31], s[28:29]
	s_cbranch_execnz .LBB254_211
	s_branch .LBB254_212
.LBB254_2486:
	s_andn2_saveexec_b64 s[34:35], s[34:35]
	s_cbranch_execz .LBB254_411
.LBB254_2487:
	v_add_f32_e32 v14, 0x42800000, v21
	v_and_b32_e32 v20, 0xff, v14
	v_cmp_ne_u32_e32 vcc, 0, v20
	s_andn2_b64 s[30:31], s[30:31], exec
	s_and_b64 s[36:37], vcc, exec
	s_or_b64 s[30:31], s[30:31], s[36:37]
	s_or_b64 exec, exec, s[34:35]
	v_mov_b32_e32 v14, 0
	s_and_saveexec_b64 s[34:35], s[30:31]
	s_cbranch_execnz .LBB254_412
	s_branch .LBB254_413
.LBB254_2488:
	s_andn2_saveexec_b64 s[34:35], s[34:35]
	s_cbranch_execz .LBB254_423
.LBB254_2489:
	v_add_f32_e32 v14, 0x42800000, v21
	v_and_b32_e32 v20, 0xff, v14
	v_cmp_ne_u32_e32 vcc, 0, v20
	s_andn2_b64 s[30:31], s[30:31], exec
	s_and_b64 s[36:37], vcc, exec
	s_or_b64 s[30:31], s[30:31], s[36:37]
	s_or_b64 exec, exec, s[34:35]
	v_mov_b32_e32 v14, 0
	s_and_saveexec_b64 s[34:35], s[30:31]
	s_cbranch_execnz .LBB254_424
	s_branch .LBB254_425
.LBB254_2490:
	s_andn2_saveexec_b64 s[34:35], s[34:35]
	s_cbranch_execz .LBB254_431
.LBB254_2491:
	v_add_f32_e32 v14, 0x42800000, v21
	v_and_b32_e32 v20, 0xff, v14
	v_cmp_ne_u32_e32 vcc, 0, v20
	s_andn2_b64 s[30:31], s[30:31], exec
	s_and_b64 s[36:37], vcc, exec
	s_or_b64 s[30:31], s[30:31], s[36:37]
	s_or_b64 exec, exec, s[34:35]
	v_mov_b32_e32 v14, 0
	s_and_saveexec_b64 s[34:35], s[30:31]
	s_cbranch_execnz .LBB254_432
	s_branch .LBB254_433
.LBB254_2492:
	s_andn2_saveexec_b64 s[30:31], s[30:31]
	s_cbranch_execz .LBB254_470
.LBB254_2493:
	s_mov_b32 s33, 0x42800000
	v_add_f32_e64 v14, |v16|, s33
	v_and_b32_e32 v17, 0xff, v14
	v_cmp_ne_u32_e32 vcc, 0, v17
	s_andn2_b64 s[28:29], s[28:29], exec
	s_and_b64 s[34:35], vcc, exec
	s_or_b64 s[28:29], s[28:29], s[34:35]
	s_or_b64 exec, exec, s[30:31]
	v_mov_b32_e32 v14, 0
	s_and_saveexec_b64 s[30:31], s[28:29]
	s_cbranch_execnz .LBB254_471
	s_branch .LBB254_472
.LBB254_2494:
	s_andn2_saveexec_b64 s[30:31], s[30:31]
	s_cbranch_execz .LBB254_478
.LBB254_2495:
	s_mov_b32 s33, 0x42800000
	v_add_f32_e64 v14, |v16|, s33
	v_and_b32_e32 v17, 0xff, v14
	v_cmp_ne_u32_e32 vcc, 0, v17
	s_andn2_b64 s[28:29], s[28:29], exec
	s_and_b64 s[34:35], vcc, exec
	s_or_b64 s[28:29], s[28:29], s[34:35]
	s_or_b64 exec, exec, s[30:31]
	v_mov_b32_e32 v14, 0
	s_and_saveexec_b64 s[30:31], s[28:29]
	s_cbranch_execnz .LBB254_479
	s_branch .LBB254_480
.LBB254_2496:
	s_andn2_saveexec_b64 s[30:31], s[30:31]
	s_cbranch_execz .LBB254_498
.LBB254_2497:
	s_mov_b32 s33, 0x42800000
	v_add_f32_e64 v14, |v16|, s33
	v_and_b32_e32 v17, 0xff, v14
	v_cmp_ne_u32_e32 vcc, 0, v17
	s_andn2_b64 s[28:29], s[28:29], exec
	s_and_b64 s[34:35], vcc, exec
	s_or_b64 s[28:29], s[28:29], s[34:35]
	s_or_b64 exec, exec, s[30:31]
	v_mov_b32_e32 v14, 0
	s_and_saveexec_b64 s[30:31], s[28:29]
	s_cbranch_execnz .LBB254_499
	s_branch .LBB254_500
.LBB254_2498:
	s_andn2_saveexec_b64 s[30:31], s[30:31]
	s_cbranch_execz .LBB254_506
.LBB254_2499:
	s_mov_b32 s33, 0x42800000
	v_add_f32_e64 v14, |v16|, s33
	v_and_b32_e32 v17, 0xff, v14
	v_cmp_ne_u32_e32 vcc, 0, v17
	s_andn2_b64 s[28:29], s[28:29], exec
	s_and_b64 s[34:35], vcc, exec
	s_or_b64 s[28:29], s[28:29], s[34:35]
	s_or_b64 exec, exec, s[30:31]
	v_mov_b32_e32 v14, 0
	s_and_saveexec_b64 s[30:31], s[28:29]
	s_cbranch_execnz .LBB254_507
	s_branch .LBB254_508
.LBB254_2500:
	s_andn2_saveexec_b64 s[30:31], s[30:31]
	s_cbranch_execz .LBB254_528
.LBB254_2501:
	s_mov_b32 s33, 0x42800000
	v_add_f32_e64 v14, |v16|, s33
	v_and_b32_e32 v17, 0xff, v14
	v_cmp_ne_u32_e32 vcc, 0, v17
	s_andn2_b64 s[28:29], s[28:29], exec
	s_and_b64 s[34:35], vcc, exec
	s_or_b64 s[28:29], s[28:29], s[34:35]
	s_or_b64 exec, exec, s[30:31]
	v_mov_b32_e32 v14, 0
	s_and_saveexec_b64 s[30:31], s[28:29]
	s_cbranch_execnz .LBB254_529
	s_branch .LBB254_530
.LBB254_2502:
	s_andn2_saveexec_b64 s[30:31], s[30:31]
	s_cbranch_execz .LBB254_536
.LBB254_2503:
	s_mov_b32 s33, 0x42800000
	v_add_f32_e64 v14, |v16|, s33
	v_and_b32_e32 v17, 0xff, v14
	v_cmp_ne_u32_e32 vcc, 0, v17
	s_andn2_b64 s[28:29], s[28:29], exec
	s_and_b64 s[34:35], vcc, exec
	s_or_b64 s[28:29], s[28:29], s[34:35]
	s_or_b64 exec, exec, s[30:31]
	v_mov_b32_e32 v14, 0
	s_and_saveexec_b64 s[30:31], s[28:29]
	s_cbranch_execnz .LBB254_537
	s_branch .LBB254_538
.LBB254_2504:
	s_andn2_saveexec_b64 s[40:41], s[4:5]
	s_cbranch_execz .LBB254_664
.LBB254_2505:
	s_mov_b32 s4, 0x42800000
	v_add_f32_e64 v10, |v12|, s4
	v_and_b32_e32 v14, 0xff, v10
	v_cmp_ne_u32_e64 s[4:5], 0, v14
	s_andn2_b64 s[38:39], s[38:39], exec
	s_and_b64 s[4:5], s[4:5], exec
	s_or_b64 s[38:39], s[38:39], s[4:5]
	s_or_b64 exec, exec, s[40:41]
	v_mov_b32_e32 v10, 0
	s_and_saveexec_b64 s[4:5], s[38:39]
	s_cbranch_execnz .LBB254_665
	s_branch .LBB254_666
.LBB254_2506:
	s_andn2_saveexec_b64 s[38:39], s[4:5]
	s_cbranch_execz .LBB254_705
.LBB254_2507:
	s_mov_b32 s4, 0x42800000
	v_add_f32_e64 v10, |v12|, s4
	v_and_b32_e32 v14, 0xff, v10
	v_cmp_ne_u32_e64 s[4:5], 0, v14
	s_andn2_b64 s[36:37], s[36:37], exec
	s_and_b64 s[4:5], s[4:5], exec
	s_or_b64 s[36:37], s[36:37], s[4:5]
	s_or_b64 exec, exec, s[38:39]
	v_mov_b32_e32 v10, 0
	s_and_saveexec_b64 s[4:5], s[36:37]
	s_cbranch_execnz .LBB254_706
	s_branch .LBB254_707
.LBB254_2508:
	s_andn2_saveexec_b64 s[38:39], s[4:5]
	s_cbranch_execz .LBB254_733
.LBB254_2509:
	s_mov_b32 s4, 0x42800000
	v_add_f32_e64 v10, |v12|, s4
	v_and_b32_e32 v14, 0xff, v10
	v_cmp_ne_u32_e64 s[4:5], 0, v14
	s_andn2_b64 s[36:37], s[36:37], exec
	s_and_b64 s[4:5], s[4:5], exec
	s_or_b64 s[36:37], s[36:37], s[4:5]
	s_or_b64 exec, exec, s[38:39]
	v_mov_b32_e32 v10, 0
	s_and_saveexec_b64 s[4:5], s[36:37]
	s_cbranch_execnz .LBB254_734
	s_branch .LBB254_735
.LBB254_2510:
	s_andn2_saveexec_b64 s[38:39], s[4:5]
	s_cbranch_execz .LBB254_763
.LBB254_2511:
	s_mov_b32 s4, 0x42800000
	v_add_f32_e64 v10, |v12|, s4
	v_and_b32_e32 v14, 0xff, v10
	v_cmp_ne_u32_e64 s[4:5], 0, v14
	s_andn2_b64 s[36:37], s[36:37], exec
	s_and_b64 s[4:5], s[4:5], exec
	s_or_b64 s[36:37], s[36:37], s[4:5]
	s_or_b64 exec, exec, s[38:39]
	v_mov_b32_e32 v10, 0
	s_and_saveexec_b64 s[4:5], s[36:37]
	s_cbranch_execnz .LBB254_764
	s_branch .LBB254_765
.LBB254_2512:
	s_andn2_saveexec_b64 s[38:39], s[4:5]
	s_cbranch_execz .LBB254_773
.LBB254_2513:
	s_mov_b32 s4, 0x42800000
	v_add_f32_e64 v10, |v12|, s4
	v_and_b32_e32 v14, 0xff, v10
	v_cmp_ne_u32_e64 s[4:5], 0, v14
	s_andn2_b64 s[36:37], s[36:37], exec
	s_and_b64 s[4:5], s[4:5], exec
	s_or_b64 s[36:37], s[36:37], s[4:5]
	s_or_b64 exec, exec, s[38:39]
	v_mov_b32_e32 v10, 0
	s_and_saveexec_b64 s[4:5], s[36:37]
	s_cbranch_execnz .LBB254_774
	s_branch .LBB254_775
.LBB254_2514:
	s_andn2_saveexec_b64 s[38:39], s[4:5]
	s_cbranch_execz .LBB254_781
.LBB254_2515:
	v_add_f32_e32 v10, 0x42800000, v14
	v_and_b32_e32 v12, 0xff, v10
	v_cmp_ne_u32_e64 s[4:5], 0, v12
	s_andn2_b64 s[36:37], s[36:37], exec
	s_and_b64 s[4:5], s[4:5], exec
	s_or_b64 s[36:37], s[36:37], s[4:5]
	s_or_b64 exec, exec, s[38:39]
	v_mov_b32_e32 v10, 0
	s_and_saveexec_b64 s[4:5], s[36:37]
	s_cbranch_execnz .LBB254_782
	s_branch .LBB254_783
.LBB254_2516:
	s_or_saveexec_b64 s[42:43], s[42:43]
	v_mov_b32_e32 v16, 0x7f800001
	s_xor_b64 exec, exec, s[42:43]
	s_cbranch_execz .LBB254_849
.LBB254_2517:
	v_cmp_ne_u16_e64 s[4:5], 0, v12
	s_andn2_b64 s[40:41], s[40:41], exec
	s_and_b64 s[4:5], s[4:5], exec
	v_mov_b32_e32 v16, 0
	s_or_b64 s[40:41], s[40:41], s[4:5]
	s_or_b64 exec, exec, s[42:43]
	s_and_saveexec_b64 s[42:43], s[40:41]
	s_cbranch_execnz .LBB254_850
	s_branch .LBB254_851
.LBB254_2518:
	s_andn2_saveexec_b64 s[44:45], s[4:5]
	s_cbranch_execz .LBB254_1083
.LBB254_2519:
	v_add_f32_e32 v10, 0x42800000, v12
	v_and_b32_e32 v10, 0xff, v10
	v_cmp_ne_u32_e64 s[4:5], 0, v10
	s_andn2_b64 s[42:43], s[42:43], exec
	s_and_b64 s[4:5], s[4:5], exec
	s_or_b64 s[42:43], s[42:43], s[4:5]
	s_or_b64 exec, exec, s[44:45]
	v_mov_b32_e32 v14, 0
	s_and_saveexec_b64 s[4:5], s[42:43]
	s_cbranch_execnz .LBB254_1084
	s_branch .LBB254_1085
.LBB254_2520:
	s_or_saveexec_b64 s[40:41], s[40:41]
	v_mov_b32_e32 v10, 0x7f800001
	s_xor_b64 exec, exec, s[40:41]
	s_cbranch_execz .LBB254_1392
.LBB254_2521:
	v_mov_b32_e32 v10, 0
	v_cmp_ne_u16_sdwa s[44:45], v14, v10 src0_sel:BYTE_0 src1_sel:DWORD
	s_andn2_b64 s[4:5], s[4:5], exec
	s_and_b64 s[44:45], s[44:45], exec
	s_or_b64 s[4:5], s[4:5], s[44:45]
	s_or_b64 exec, exec, s[40:41]
	s_and_saveexec_b64 s[40:41], s[4:5]
	s_cbranch_execnz .LBB254_1393
	s_branch .LBB254_1394
.LBB254_2522:
	s_or_saveexec_b64 s[40:41], s[40:41]
	v_mov_b32_e32 v11, 0x7f800001
	s_xor_b64 exec, exec, s[40:41]
	s_cbranch_execz .LBB254_1398
.LBB254_2523:
	v_mov_b32_e32 v11, 0
	v_cmp_ne_u16_sdwa s[44:45], v12, v11 src0_sel:BYTE_0 src1_sel:DWORD
	s_andn2_b64 s[4:5], s[4:5], exec
	s_and_b64 s[44:45], s[44:45], exec
	s_or_b64 s[4:5], s[4:5], s[44:45]
	s_or_b64 exec, exec, s[40:41]
	s_and_saveexec_b64 s[40:41], s[4:5]
	s_cbranch_execnz .LBB254_1399
	s_branch .LBB254_1400
.LBB254_2524:
	s_or_saveexec_b64 s[44:45], s[44:45]
	v_mov_b32_e32 v10, 0x7f800001
	s_xor_b64 exec, exec, s[44:45]
	s_cbranch_execz .LBB254_1406
.LBB254_2525:
	v_mov_b32_e32 v10, 0
	v_cmp_ne_u16_sdwa s[46:47], v14, v10 src0_sel:BYTE_0 src1_sel:DWORD
	s_andn2_b64 s[4:5], s[4:5], exec
	s_and_b64 s[46:47], s[46:47], exec
	s_or_b64 s[4:5], s[4:5], s[46:47]
	s_or_b64 exec, exec, s[44:45]
	s_and_saveexec_b64 s[44:45], s[4:5]
	s_cbranch_execnz .LBB254_1407
	s_branch .LBB254_1408
.LBB254_2526:
	s_or_saveexec_b64 s[44:45], s[44:45]
	v_mov_b32_e32 v11, 0x7f800001
	s_xor_b64 exec, exec, s[44:45]
	s_cbranch_execz .LBB254_1412
.LBB254_2527:
	v_mov_b32_e32 v11, 0
	v_cmp_ne_u16_sdwa s[46:47], v12, v11 src0_sel:BYTE_0 src1_sel:DWORD
	s_andn2_b64 s[4:5], s[4:5], exec
	s_and_b64 s[46:47], s[46:47], exec
	s_or_b64 s[4:5], s[4:5], s[46:47]
	s_or_b64 exec, exec, s[44:45]
	s_and_saveexec_b64 s[44:45], s[4:5]
	s_cbranch_execnz .LBB254_1413
	s_branch .LBB254_1414
.LBB254_2528:
	s_andn2_saveexec_b64 s[46:47], s[46:47]
	s_cbranch_execz .LBB254_1486
.LBB254_2529:
	v_cmp_lt_i16_e64 s[4:5], 22, v3
	s_mov_b64 s[52:53], s[48:49]
                                        ; implicit-def: $vgpr10
	s_and_saveexec_b64 s[42:43], s[4:5]
	s_xor_b64 s[42:43], exec, s[42:43]
	s_cbranch_execz .LBB254_2551
; %bb.2530:
	v_cmp_lt_i16_e64 s[4:5], 23, v3
                                        ; implicit-def: $vgpr10
	s_and_saveexec_b64 s[52:53], s[4:5]
	s_xor_b64 s[52:53], exec, s[52:53]
	s_cbranch_execz .LBB254_2542
; %bb.2531:
	v_cmp_lt_i16_e64 s[4:5], 24, v3
                                        ; implicit-def: $vgpr10
	s_and_saveexec_b64 s[54:55], s[4:5]
	s_xor_b64 s[4:5], exec, s[54:55]
	s_cbranch_execz .LBB254_2533
; %bb.2532:
	flat_load_ubyte v10, v[8:9]
.LBB254_2533:
	s_andn2_saveexec_b64 s[54:55], s[4:5]
	s_cbranch_execz .LBB254_2541
; %bb.2534:
	flat_load_ubyte v3, v[8:9]
	s_mov_b32 s4, 0x7f800000
	s_brev_b32 s33, 1
	s_mov_b32 s56, 0x47800000
	s_waitcnt vmcnt(0) lgkmcnt(0)
	v_lshlrev_b32_e32 v3, 24, v3
	v_and_b32_e32 v10, 0x7f000000, v3
	v_ffbh_u32_e32 v11, v10
	v_min_u32_e32 v11, 32, v11
	v_sub_u32_e64 v11, v11, 4 clamp
	v_lshlrev_b32_e32 v13, v11, v10
	v_lshlrev_b32_e32 v11, 23, v11
	v_lshrrev_b32_e32 v13, 4, v13
	v_add_u32_e32 v12, 0x1000000, v10
	v_sub_u32_e32 v11, v13, v11
	v_ashrrev_i32_e32 v12, 8, v12
	v_add_u32_e32 v11, 0x3c000000, v11
	v_and_or_b32 v11, v12, s4, v11
	v_cmp_ne_u32_e64 s[4:5], 0, v10
	v_cndmask_b32_e64 v12, 0, v11, s[4:5]
	v_and_or_b32 v3, v3, s33, v12
	v_and_b32_e32 v11, 0x7fffffff, v3
	v_cmp_gt_u32_e64 s[4:5], s56, v11
	v_mov_b32_e32 v10, 0x80
	s_and_saveexec_b64 s[56:57], s[4:5]
	s_cbranch_execz .LBB254_2540
; %bb.2535:
	s_mov_b32 s4, 0x37ffffff
	v_cmp_lt_u32_e64 s[4:5], s4, v11
	s_mov_b64 s[58:59], 0
                                        ; implicit-def: $vgpr11
	s_and_saveexec_b64 s[60:61], s[4:5]
	s_xor_b64 s[4:5], exec, s[60:61]
	s_cbranch_execz .LBB254_3000
; %bb.2536:
	v_bfe_u32 v10, v12, 21, 1
	s_mov_b32 s33, 0x88fffff
	v_add3_u32 v10, v3, v10, s33
	s_mov_b64 s[58:59], exec
	v_lshrrev_b32_e32 v11, 21, v10
	s_andn2_saveexec_b64 s[60:61], s[4:5]
	s_cbranch_execnz .LBB254_3001
.LBB254_2537:
	s_or_b64 exec, exec, s[60:61]
	v_mov_b32_e32 v10, 0
	s_and_saveexec_b64 s[4:5], s[58:59]
.LBB254_2538:
	v_lshrrev_b32_e32 v3, 24, v3
	s_movk_i32 s33, 0x80
	v_and_or_b32 v10, v3, s33, v11
.LBB254_2539:
	s_or_b64 exec, exec, s[4:5]
.LBB254_2540:
	s_or_b64 exec, exec, s[56:57]
.LBB254_2541:
	s_or_b64 exec, exec, s[54:55]
.LBB254_2542:
	s_andn2_saveexec_b64 s[52:53], s[52:53]
	s_cbranch_execz .LBB254_2550
; %bb.2543:
	flat_load_ubyte v3, v[8:9]
	s_movk_i32 s4, 0x7f00
	s_brev_b32 s5, 16
	s_brev_b32 s33, 1
	s_mov_b32 s54, 0x47800000
	s_waitcnt vmcnt(0) lgkmcnt(0)
	v_lshlrev_b16_e32 v10, 8, v3
	v_lshlrev_b32_e32 v3, 25, v3
	v_lshrrev_b32_e32 v11, 4, v3
	v_and_or_b32 v12, v10, s4, 0.5
	v_or_b32_e32 v11, 0x70000000, v11
	v_add_f32_e32 v12, -0.5, v12
	v_mul_f32_e32 v11, 0x7800000, v11
	v_cmp_gt_u32_e64 s[4:5], s5, v3
	v_bfe_i32 v10, v10, 0, 16
	v_cndmask_b32_e64 v12, v11, v12, s[4:5]
	v_and_or_b32 v3, v10, s33, v12
	v_and_b32_e32 v11, 0x7fffffff, v3
	v_cmp_gt_u32_e64 s[4:5], s54, v11
	v_mov_b32_e32 v10, 0x80
	s_and_saveexec_b64 s[54:55], s[4:5]
	s_cbranch_execz .LBB254_2549
; %bb.2544:
	s_mov_b32 s4, 0x37ffffff
	v_cmp_lt_u32_e64 s[4:5], s4, v11
	s_mov_b64 s[56:57], 0
                                        ; implicit-def: $vgpr11
	s_and_saveexec_b64 s[58:59], s[4:5]
	s_xor_b64 s[4:5], exec, s[58:59]
	s_cbranch_execz .LBB254_2921
; %bb.2545:
	v_bfe_u32 v10, v12, 21, 1
	s_mov_b32 s33, 0x88fffff
	v_add3_u32 v10, v3, v10, s33
	s_mov_b64 s[56:57], exec
	v_lshrrev_b32_e32 v11, 21, v10
	s_andn2_saveexec_b64 s[58:59], s[4:5]
	s_cbranch_execnz .LBB254_2922
.LBB254_2546:
	s_or_b64 exec, exec, s[58:59]
	v_mov_b32_e32 v10, 0
	s_and_saveexec_b64 s[4:5], s[56:57]
.LBB254_2547:
	v_lshrrev_b32_e32 v3, 24, v3
	s_movk_i32 s33, 0x80
	v_and_or_b32 v10, v3, s33, v11
.LBB254_2548:
	s_or_b64 exec, exec, s[4:5]
.LBB254_2549:
	s_or_b64 exec, exec, s[54:55]
.LBB254_2550:
	s_or_b64 exec, exec, s[52:53]
	s_or_b64 s[52:53], s[48:49], exec
                                        ; implicit-def: $vgpr3
.LBB254_2551:
	s_or_saveexec_b64 s[42:43], s[42:43]
	s_mov_b64 s[4:5], 0
	s_mov_b64 s[54:55], s[50:51]
	s_xor_b64 exec, exec, s[42:43]
	s_cbranch_execz .LBB254_2565
; %bb.2552:
	v_cmp_lt_i16_e64 s[4:5], 14, v3
	s_mov_b64 s[56:57], s[50:51]
	s_mov_b64 s[58:59], s[52:53]
                                        ; implicit-def: $vgpr10
	s_and_saveexec_b64 s[54:55], s[4:5]
	s_xor_b64 s[54:55], exec, s[54:55]
	s_cbranch_execz .LBB254_2562
; %bb.2553:
	v_cmp_eq_u16_e64 s[4:5], 15, v3
	s_mov_b64 s[60:61], -1
	s_mov_b64 s[58:59], s[52:53]
                                        ; implicit-def: $vgpr10
	s_and_saveexec_b64 s[56:57], s[4:5]
	s_cbranch_execz .LBB254_2561
; %bb.2554:
	flat_load_ushort v3, v[8:9]
	s_mov_b32 s4, 0x47800000
	s_waitcnt vmcnt(0) lgkmcnt(0)
	v_mov_b32_e32 v10, 0x80
	v_lshlrev_b32_e32 v12, 16, v3
	v_and_b32_e32 v11, 0x7fffffff, v12
	v_cmp_gt_u32_e64 s[4:5], s4, v11
	s_and_saveexec_b64 s[58:59], s[4:5]
	s_cbranch_execz .LBB254_2560
; %bb.2555:
	s_mov_b32 s4, 0x37ffffff
	v_cmp_lt_u32_e64 s[4:5], s4, v11
	s_mov_b64 s[60:61], 0
                                        ; implicit-def: $vgpr11
	s_and_saveexec_b64 s[62:63], s[4:5]
	s_xor_b64 s[4:5], exec, s[62:63]
	s_cbranch_execz .LBB254_3002
; %bb.2556:
	v_bfe_u32 v10, v3, 5, 1
	s_mov_b32 s33, 0x88fffff
	v_add3_u32 v10, v12, v10, s33
	s_mov_b64 s[60:61], exec
	v_lshrrev_b32_e32 v11, 21, v10
                                        ; implicit-def: $vgpr12
	s_andn2_saveexec_b64 s[62:63], s[4:5]
	s_cbranch_execnz .LBB254_3003
.LBB254_2557:
	s_or_b64 exec, exec, s[62:63]
	v_mov_b32_e32 v10, 0
	s_and_saveexec_b64 s[4:5], s[60:61]
.LBB254_2558:
	v_lshrrev_b32_e32 v3, 8, v3
	s_movk_i32 s33, 0x80
	v_and_or_b32 v10, v3, s33, v11
.LBB254_2559:
	s_or_b64 exec, exec, s[4:5]
.LBB254_2560:
	s_or_b64 exec, exec, s[58:59]
	s_or_b64 s[58:59], s[52:53], exec
	s_xor_b64 s[60:61], exec, -1
.LBB254_2561:
	s_or_b64 exec, exec, s[56:57]
	s_andn2_b64 s[4:5], s[52:53], exec
	s_and_b64 s[56:57], s[58:59], exec
	s_or_b64 s[58:59], s[4:5], s[56:57]
	s_andn2_b64 s[4:5], s[50:51], exec
	s_and_b64 s[56:57], s[60:61], exec
	s_or_b64 s[56:57], s[4:5], s[56:57]
                                        ; implicit-def: $vgpr3
.LBB254_2562:
	s_or_saveexec_b64 s[54:55], s[54:55]
	s_mov_b64 s[60:61], 0
	s_xor_b64 exec, exec, s[54:55]
; %bb.2563:
	v_cmp_ne_u16_e64 s[4:5], 11, v3
	s_andn2_b64 s[56:57], s[56:57], exec
	s_and_b64 s[4:5], s[4:5], exec
	s_mov_b64 s[60:61], exec
	s_or_b64 s[56:57], s[56:57], s[4:5]
; %bb.2564:
	s_or_b64 exec, exec, s[54:55]
	s_andn2_b64 s[4:5], s[52:53], exec
	s_and_b64 s[52:53], s[58:59], exec
	s_andn2_b64 s[54:55], s[50:51], exec
	s_and_b64 s[56:57], s[56:57], exec
	s_or_b64 s[52:53], s[4:5], s[52:53]
	s_and_b64 s[4:5], s[60:61], exec
	s_or_b64 s[54:55], s[54:55], s[56:57]
.LBB254_2565:
	s_or_b64 exec, exec, s[42:43]
	s_andn2_b64 s[42:43], s[48:49], exec
	s_and_b64 s[48:49], s[52:53], exec
	s_or_b64 s[48:49], s[42:43], s[48:49]
	s_and_b64 s[42:43], s[4:5], exec
	s_andn2_b64 s[4:5], s[50:51], exec
	s_and_b64 s[50:51], s[54:55], exec
	s_or_b64 s[50:51], s[4:5], s[50:51]
	s_or_b64 exec, exec, s[46:47]
	s_mov_b64 s[46:47], s[36:37]
	s_and_saveexec_b64 s[4:5], s[50:51]
	s_cbranch_execz .LBB254_1487
.LBB254_2566:
	s_trap 2
	s_or_b64 s[46:47], s[36:37], exec
	s_andn2_b64 s[42:43], s[42:43], exec
	s_or_b64 exec, exec, s[4:5]
	s_and_saveexec_b64 s[4:5], s[42:43]
	s_xor_b64 s[42:43], exec, s[4:5]
	s_cbranch_execnz .LBB254_1488
	s_branch .LBB254_1495
.LBB254_2567:
	s_andn2_saveexec_b64 s[30:31], s[30:31]
	s_cbranch_execz .LBB254_2215
.LBB254_2568:
	s_mov_b32 s33, 0x42800000
	v_add_f32_e64 v14, |v20|, s33
	v_and_b32_e32 v21, 0xff, v14
	v_cmp_ne_u32_e32 vcc, 0, v21
	s_andn2_b64 s[28:29], s[28:29], exec
	s_and_b64 s[34:35], vcc, exec
	s_or_b64 s[28:29], s[28:29], s[34:35]
	s_or_b64 exec, exec, s[30:31]
	v_mov_b32_e32 v14, 0
	s_and_saveexec_b64 s[30:31], s[28:29]
	s_cbranch_execnz .LBB254_2216
	s_branch .LBB254_2217
.LBB254_2569:
	s_andn2_saveexec_b64 s[34:35], s[34:35]
	s_cbranch_execz .LBB254_2235
.LBB254_2570:
	s_mov_b32 s33, 0x42800000
	v_add_f32_e64 v14, |v22|, s33
	v_and_b32_e32 v21, 0xff, v14
	v_cmp_ne_u32_e32 vcc, 0, v21
	s_andn2_b64 s[30:31], s[30:31], exec
	s_and_b64 s[36:37], vcc, exec
	s_or_b64 s[30:31], s[30:31], s[36:37]
	s_or_b64 exec, exec, s[34:35]
	v_mov_b32_e32 v14, 0
	s_and_saveexec_b64 s[34:35], s[30:31]
	s_cbranch_execnz .LBB254_2236
	s_branch .LBB254_2237
.LBB254_2571:
	s_andn2_saveexec_b64 s[38:39], s[4:5]
	s_cbranch_execz .LBB254_2273
.LBB254_2572:
	s_mov_b32 s4, 0x42800000
	v_add_f32_e64 v10, |v12|, s4
	v_and_b32_e32 v14, 0xff, v10
	v_cmp_ne_u32_e64 s[4:5], 0, v14
	s_andn2_b64 s[36:37], s[36:37], exec
	s_and_b64 s[4:5], s[4:5], exec
	s_or_b64 s[36:37], s[36:37], s[4:5]
	s_or_b64 exec, exec, s[38:39]
	v_mov_b32_e32 v10, 0
	s_and_saveexec_b64 s[4:5], s[36:37]
	s_cbranch_execnz .LBB254_2274
	s_branch .LBB254_2275
.LBB254_2573:
	s_andn2_saveexec_b64 s[30:31], s[30:31]
	s_cbranch_execz .LBB254_390
.LBB254_2574:
	s_mov_b32 s33, 0x42800000
	v_add_f32_e64 v14, |v20|, s33
	v_and_b32_e32 v21, 0xff, v14
	v_cmp_ne_u32_e32 vcc, 0, v21
	s_andn2_b64 s[28:29], s[28:29], exec
	s_and_b64 s[34:35], vcc, exec
	s_or_b64 s[28:29], s[28:29], s[34:35]
	s_or_b64 exec, exec, s[30:31]
	v_mov_b32_e32 v14, 0
	s_and_saveexec_b64 s[30:31], s[28:29]
	s_cbranch_execnz .LBB254_391
	s_branch .LBB254_392
.LBB254_2575:
	s_andn2_saveexec_b64 s[36:37], s[36:37]
	s_cbranch_execz .LBB254_400
.LBB254_2576:
	v_add_f32_e32 v14, 0x42800000, v21
	v_and_b32_e32 v20, 0xff, v14
	v_cmp_ne_u32_e32 vcc, 0, v20
	s_andn2_b64 s[34:35], s[34:35], exec
	s_and_b64 s[38:39], vcc, exec
	s_or_b64 s[34:35], s[34:35], s[38:39]
	s_or_b64 exec, exec, s[36:37]
	v_mov_b32_e32 v14, 0
	s_and_saveexec_b64 s[36:37], s[34:35]
	s_cbranch_execnz .LBB254_401
	s_branch .LBB254_402
.LBB254_2577:
	s_andn2_saveexec_b64 s[42:43], s[4:5]
	s_cbranch_execz .LBB254_629
.LBB254_2578:
	v_add_f32_e32 v10, 0x42800000, v14
	v_and_b32_e32 v12, 0xff, v10
	v_cmp_ne_u32_e64 s[4:5], 0, v12
	s_andn2_b64 s[40:41], s[40:41], exec
	s_and_b64 s[4:5], s[4:5], exec
	s_or_b64 s[40:41], s[40:41], s[4:5]
	s_or_b64 exec, exec, s[42:43]
	v_mov_b32_e32 v10, 0
	s_and_saveexec_b64 s[4:5], s[40:41]
	s_cbranch_execnz .LBB254_630
	s_branch .LBB254_631
.LBB254_2579:
	s_andn2_saveexec_b64 s[42:43], s[4:5]
	s_cbranch_execz .LBB254_641
.LBB254_2580:
	v_add_f32_e32 v10, 0x42800000, v14
	v_and_b32_e32 v12, 0xff, v10
	v_cmp_ne_u32_e64 s[4:5], 0, v12
	s_andn2_b64 s[40:41], s[40:41], exec
	s_and_b64 s[4:5], s[4:5], exec
	s_or_b64 s[40:41], s[40:41], s[4:5]
	s_or_b64 exec, exec, s[42:43]
	v_mov_b32_e32 v10, 0
	s_and_saveexec_b64 s[4:5], s[40:41]
	s_cbranch_execnz .LBB254_642
	s_branch .LBB254_643
.LBB254_2581:
	s_andn2_saveexec_b64 s[42:43], s[4:5]
	s_cbranch_execz .LBB254_649
.LBB254_2582:
	v_add_f32_e32 v10, 0x42800000, v14
	v_and_b32_e32 v12, 0xff, v10
	v_cmp_ne_u32_e64 s[4:5], 0, v12
	s_andn2_b64 s[40:41], s[40:41], exec
	s_and_b64 s[4:5], s[4:5], exec
	s_or_b64 s[40:41], s[40:41], s[4:5]
	s_or_b64 exec, exec, s[42:43]
	v_mov_b32_e32 v10, 0
	s_and_saveexec_b64 s[4:5], s[40:41]
	s_cbranch_execnz .LBB254_650
	s_branch .LBB254_651
.LBB254_2583:
	s_andn2_saveexec_b64 s[40:41], s[4:5]
	s_cbranch_execz .LBB254_688
.LBB254_2584:
	s_mov_b32 s4, 0x42800000
	v_add_f32_e64 v10, |v12|, s4
	v_and_b32_e32 v14, 0xff, v10
	v_cmp_ne_u32_e64 s[4:5], 0, v14
	s_andn2_b64 s[38:39], s[38:39], exec
	s_and_b64 s[4:5], s[4:5], exec
	s_or_b64 s[38:39], s[38:39], s[4:5]
	s_or_b64 exec, exec, s[40:41]
	v_mov_b32_e32 v10, 0
	s_and_saveexec_b64 s[4:5], s[38:39]
	s_cbranch_execnz .LBB254_689
	s_branch .LBB254_690
.LBB254_2585:
	s_andn2_saveexec_b64 s[40:41], s[4:5]
	s_cbranch_execz .LBB254_696
.LBB254_2586:
	s_mov_b32 s4, 0x42800000
	v_add_f32_e64 v10, |v12|, s4
	v_and_b32_e32 v14, 0xff, v10
	v_cmp_ne_u32_e64 s[4:5], 0, v14
	s_andn2_b64 s[38:39], s[38:39], exec
	s_and_b64 s[4:5], s[4:5], exec
	s_or_b64 s[38:39], s[38:39], s[4:5]
	s_or_b64 exec, exec, s[40:41]
	v_mov_b32_e32 v10, 0
	s_and_saveexec_b64 s[4:5], s[38:39]
	s_cbranch_execnz .LBB254_697
	s_branch .LBB254_698
.LBB254_2587:
	s_andn2_saveexec_b64 s[40:41], s[4:5]
	s_cbranch_execz .LBB254_716
.LBB254_2588:
	s_mov_b32 s4, 0x42800000
	v_add_f32_e64 v10, |v12|, s4
	v_and_b32_e32 v14, 0xff, v10
	v_cmp_ne_u32_e64 s[4:5], 0, v14
	s_andn2_b64 s[38:39], s[38:39], exec
	s_and_b64 s[4:5], s[4:5], exec
	s_or_b64 s[38:39], s[38:39], s[4:5]
	s_or_b64 exec, exec, s[40:41]
	v_mov_b32_e32 v10, 0
	s_and_saveexec_b64 s[4:5], s[38:39]
	s_cbranch_execnz .LBB254_717
	s_branch .LBB254_718
.LBB254_2589:
	s_andn2_saveexec_b64 s[40:41], s[4:5]
	s_cbranch_execz .LBB254_724
.LBB254_2590:
	s_mov_b32 s4, 0x42800000
	v_add_f32_e64 v10, |v12|, s4
	v_and_b32_e32 v14, 0xff, v10
	v_cmp_ne_u32_e64 s[4:5], 0, v14
	s_andn2_b64 s[38:39], s[38:39], exec
	s_and_b64 s[4:5], s[4:5], exec
	s_or_b64 s[38:39], s[38:39], s[4:5]
	s_or_b64 exec, exec, s[40:41]
	v_mov_b32_e32 v10, 0
	s_and_saveexec_b64 s[4:5], s[38:39]
	s_cbranch_execnz .LBB254_725
	s_branch .LBB254_726
.LBB254_2591:
	s_andn2_saveexec_b64 s[40:41], s[4:5]
	s_cbranch_execz .LBB254_746
.LBB254_2592:
	s_mov_b32 s4, 0x42800000
	v_add_f32_e64 v10, |v12|, s4
	v_and_b32_e32 v14, 0xff, v10
	v_cmp_ne_u32_e64 s[4:5], 0, v14
	s_andn2_b64 s[38:39], s[38:39], exec
	s_and_b64 s[4:5], s[4:5], exec
	s_or_b64 s[38:39], s[38:39], s[4:5]
	s_or_b64 exec, exec, s[40:41]
	v_mov_b32_e32 v10, 0
	s_and_saveexec_b64 s[4:5], s[38:39]
	s_cbranch_execnz .LBB254_747
	s_branch .LBB254_748
.LBB254_2593:
	s_andn2_saveexec_b64 s[40:41], s[4:5]
	s_cbranch_execz .LBB254_754
.LBB254_2594:
	s_mov_b32 s4, 0x42800000
	v_add_f32_e64 v10, |v12|, s4
	v_and_b32_e32 v14, 0xff, v10
	v_cmp_ne_u32_e64 s[4:5], 0, v14
	s_andn2_b64 s[38:39], s[38:39], exec
	s_and_b64 s[4:5], s[4:5], exec
	s_or_b64 s[38:39], s[38:39], s[4:5]
	s_or_b64 exec, exec, s[40:41]
	v_mov_b32_e32 v10, 0
	s_and_saveexec_b64 s[4:5], s[38:39]
	s_cbranch_execnz .LBB254_755
	s_branch .LBB254_756
.LBB254_2595:
	s_andn2_saveexec_b64 s[44:45], s[4:5]
	s_cbranch_execz .LBB254_854
.LBB254_2596:
	s_mov_b32 s4, 0x42800000
	v_add_f32_e64 v12, |v16|, s4
	v_and_b32_e32 v17, 0xff, v12
	v_cmp_ne_u32_e64 s[4:5], 0, v17
	s_andn2_b64 s[42:43], s[42:43], exec
	s_and_b64 s[4:5], s[4:5], exec
	s_or_b64 s[42:43], s[42:43], s[4:5]
	s_or_b64 exec, exec, s[44:45]
	v_mov_b32_e32 v12, 0
	s_and_saveexec_b64 s[4:5], s[42:43]
	s_cbranch_execnz .LBB254_855
	s_branch .LBB254_856
.LBB254_2597:
	s_andn2_saveexec_b64 s[42:43], s[4:5]
	s_cbranch_execz .LBB254_895
.LBB254_2598:
	s_mov_b32 s4, 0x42800000
	v_add_f32_e64 v12, |v14|, s4
	v_and_b32_e32 v15, 0xff, v12
	v_cmp_ne_u32_e64 s[4:5], 0, v15
	s_andn2_b64 s[40:41], s[40:41], exec
	s_and_b64 s[4:5], s[4:5], exec
	s_or_b64 s[40:41], s[40:41], s[4:5]
	s_or_b64 exec, exec, s[42:43]
	v_mov_b32_e32 v12, 0
	s_and_saveexec_b64 s[4:5], s[40:41]
	s_cbranch_execnz .LBB254_896
	s_branch .LBB254_897
.LBB254_2599:
	s_andn2_saveexec_b64 s[42:43], s[4:5]
	s_cbranch_execz .LBB254_923
.LBB254_2600:
	s_mov_b32 s4, 0x42800000
	v_add_f32_e64 v12, |v14|, s4
	v_and_b32_e32 v15, 0xff, v12
	v_cmp_ne_u32_e64 s[4:5], 0, v15
	s_andn2_b64 s[40:41], s[40:41], exec
	s_and_b64 s[4:5], s[4:5], exec
	s_or_b64 s[40:41], s[40:41], s[4:5]
	s_or_b64 exec, exec, s[42:43]
	v_mov_b32_e32 v12, 0
	s_and_saveexec_b64 s[4:5], s[40:41]
	s_cbranch_execnz .LBB254_924
	s_branch .LBB254_925
.LBB254_2601:
	s_andn2_saveexec_b64 s[42:43], s[4:5]
	s_cbranch_execz .LBB254_953
.LBB254_2602:
	s_mov_b32 s4, 0x42800000
	v_add_f32_e64 v12, |v14|, s4
	v_and_b32_e32 v15, 0xff, v12
	v_cmp_ne_u32_e64 s[4:5], 0, v15
	s_andn2_b64 s[40:41], s[40:41], exec
	s_and_b64 s[4:5], s[4:5], exec
	s_or_b64 s[40:41], s[40:41], s[4:5]
	s_or_b64 exec, exec, s[42:43]
	v_mov_b32_e32 v12, 0
	s_and_saveexec_b64 s[4:5], s[40:41]
	s_cbranch_execnz .LBB254_954
	s_branch .LBB254_955
.LBB254_2603:
	s_andn2_saveexec_b64 s[42:43], s[4:5]
	s_cbranch_execz .LBB254_963
.LBB254_2604:
	s_mov_b32 s4, 0x42800000
	v_add_f32_e64 v12, |v14|, s4
	v_and_b32_e32 v15, 0xff, v12
	v_cmp_ne_u32_e64 s[4:5], 0, v15
	s_andn2_b64 s[40:41], s[40:41], exec
	s_and_b64 s[4:5], s[4:5], exec
	s_or_b64 s[40:41], s[40:41], s[4:5]
	s_or_b64 exec, exec, s[42:43]
	v_mov_b32_e32 v12, 0
	s_and_saveexec_b64 s[4:5], s[40:41]
	s_cbranch_execnz .LBB254_964
	s_branch .LBB254_965
.LBB254_2605:
	s_andn2_saveexec_b64 s[42:43], s[4:5]
	s_cbranch_execz .LBB254_971
.LBB254_2606:
	v_add_f32_e32 v12, 0x42800000, v15
	v_and_b32_e32 v14, 0xff, v12
	v_cmp_ne_u32_e64 s[4:5], 0, v14
	s_andn2_b64 s[40:41], s[40:41], exec
	s_and_b64 s[4:5], s[4:5], exec
	s_or_b64 s[40:41], s[40:41], s[4:5]
	s_or_b64 exec, exec, s[42:43]
	v_mov_b32_e32 v12, 0
	s_and_saveexec_b64 s[4:5], s[40:41]
	s_cbranch_execnz .LBB254_972
	s_branch .LBB254_973
.LBB254_2607:
	s_or_saveexec_b64 s[48:49], s[48:49]
	v_mov_b32_e32 v10, 0x7f800001
	s_xor_b64 exec, exec, s[48:49]
	s_cbranch_execz .LBB254_1067
.LBB254_2608:
	v_cmp_ne_u16_e64 s[4:5], 0, v14
	s_andn2_b64 s[46:47], s[46:47], exec
	s_and_b64 s[4:5], s[4:5], exec
	v_mov_b32_e32 v10, 0
	s_or_b64 s[46:47], s[46:47], s[4:5]
	s_or_b64 exec, exec, s[48:49]
	s_and_saveexec_b64 s[48:49], s[46:47]
	s_cbranch_execnz .LBB254_1068
	s_branch .LBB254_1069
.LBB254_2609:
	s_andn2_saveexec_b64 s[48:49], s[4:5]
	s_cbranch_execz .LBB254_1273
.LBB254_2610:
	v_add_f32_e32 v10, 0x42800000, v11
	v_and_b32_e32 v10, 0xff, v10
	v_cmp_ne_u32_e64 s[4:5], 0, v10
	s_andn2_b64 s[46:47], s[46:47], exec
	s_and_b64 s[4:5], s[4:5], exec
	s_or_b64 s[46:47], s[46:47], s[4:5]
	s_or_b64 exec, exec, s[48:49]
	v_mov_b32_e32 v12, 0
	s_and_saveexec_b64 s[4:5], s[46:47]
	s_cbranch_execnz .LBB254_1274
	s_branch .LBB254_1275
.LBB254_2611:
	s_andn2_saveexec_b64 s[50:51], s[50:51]
	s_cbranch_execz .LBB254_1676
.LBB254_2612:
	v_cmp_lt_i16_e64 s[4:5], 22, v1
	s_mov_b64 s[56:57], s[52:53]
                                        ; implicit-def: $vgpr3
	s_and_saveexec_b64 s[46:47], s[4:5]
	s_xor_b64 s[46:47], exec, s[46:47]
	s_cbranch_execz .LBB254_2634
; %bb.2613:
	v_cmp_lt_i16_e64 s[4:5], 23, v1
                                        ; implicit-def: $vgpr3
	s_and_saveexec_b64 s[56:57], s[4:5]
	s_xor_b64 s[56:57], exec, s[56:57]
	s_cbranch_execz .LBB254_2625
; %bb.2614:
	v_cmp_lt_i16_e64 s[4:5], 24, v1
                                        ; implicit-def: $vgpr3
	s_and_saveexec_b64 s[58:59], s[4:5]
	s_xor_b64 s[4:5], exec, s[58:59]
	s_cbranch_execz .LBB254_2616
; %bb.2615:
	flat_load_ubyte v3, v[7:8]
.LBB254_2616:
	s_andn2_saveexec_b64 s[58:59], s[4:5]
	s_cbranch_execz .LBB254_2624
; %bb.2617:
	flat_load_ubyte v1, v[7:8]
	s_mov_b32 s4, 0x7f800000
	s_brev_b32 s33, 1
	s_mov_b32 s60, 0x47800000
	s_waitcnt vmcnt(0) lgkmcnt(0)
	v_lshlrev_b32_e32 v1, 24, v1
	v_and_b32_e32 v3, 0x7f000000, v1
	v_ffbh_u32_e32 v5, v3
	v_min_u32_e32 v5, 32, v5
	v_sub_u32_e64 v5, v5, 4 clamp
	v_lshlrev_b32_e32 v11, v5, v3
	v_lshlrev_b32_e32 v5, 23, v5
	v_lshrrev_b32_e32 v11, 4, v11
	v_add_u32_e32 v9, 0x1000000, v3
	v_sub_u32_e32 v5, v11, v5
	v_ashrrev_i32_e32 v9, 8, v9
	v_add_u32_e32 v5, 0x3c000000, v5
	v_and_or_b32 v5, v9, s4, v5
	v_cmp_ne_u32_e64 s[4:5], 0, v3
	v_cndmask_b32_e64 v9, 0, v5, s[4:5]
	v_and_or_b32 v1, v1, s33, v9
	v_and_b32_e32 v5, 0x7fffffff, v1
	v_cmp_gt_u32_e64 s[4:5], s60, v5
	v_mov_b32_e32 v3, 0x80
	s_and_saveexec_b64 s[60:61], s[4:5]
	s_cbranch_execz .LBB254_2623
; %bb.2618:
	s_mov_b32 s4, 0x37ffffff
	v_cmp_lt_u32_e64 s[4:5], s4, v5
	s_mov_b64 s[62:63], 0
                                        ; implicit-def: $vgpr5
	s_and_saveexec_b64 s[64:65], s[4:5]
	s_xor_b64 s[4:5], exec, s[64:65]
	s_cbranch_execz .LBB254_3030
; %bb.2619:
	v_bfe_u32 v3, v9, 21, 1
	s_mov_b32 s33, 0x88fffff
	v_add3_u32 v3, v1, v3, s33
	s_mov_b64 s[62:63], exec
	v_lshrrev_b32_e32 v5, 21, v3
	s_andn2_saveexec_b64 s[64:65], s[4:5]
	s_cbranch_execnz .LBB254_3031
.LBB254_2620:
	s_or_b64 exec, exec, s[64:65]
	v_mov_b32_e32 v3, 0
	s_and_saveexec_b64 s[4:5], s[62:63]
.LBB254_2621:
	v_lshrrev_b32_e32 v1, 24, v1
	s_movk_i32 s33, 0x80
	v_and_or_b32 v3, v1, s33, v5
.LBB254_2622:
	s_or_b64 exec, exec, s[4:5]
.LBB254_2623:
	s_or_b64 exec, exec, s[60:61]
.LBB254_2624:
	s_or_b64 exec, exec, s[58:59]
.LBB254_2625:
	s_andn2_saveexec_b64 s[56:57], s[56:57]
	s_cbranch_execz .LBB254_2633
; %bb.2626:
	flat_load_ubyte v1, v[7:8]
	s_movk_i32 s4, 0x7f00
	s_brev_b32 s5, 16
	s_brev_b32 s33, 1
	s_mov_b32 s58, 0x47800000
	s_waitcnt vmcnt(0) lgkmcnt(0)
	v_lshlrev_b16_e32 v3, 8, v1
	v_lshlrev_b32_e32 v1, 25, v1
	v_lshrrev_b32_e32 v5, 4, v1
	v_and_or_b32 v9, v3, s4, 0.5
	v_or_b32_e32 v5, 0x70000000, v5
	v_add_f32_e32 v9, -0.5, v9
	v_mul_f32_e32 v5, 0x7800000, v5
	v_cmp_gt_u32_e64 s[4:5], s5, v1
	v_bfe_i32 v3, v3, 0, 16
	v_cndmask_b32_e64 v9, v5, v9, s[4:5]
	v_and_or_b32 v1, v3, s33, v9
	v_and_b32_e32 v5, 0x7fffffff, v1
	v_cmp_gt_u32_e64 s[4:5], s58, v5
	v_mov_b32_e32 v3, 0x80
	s_and_saveexec_b64 s[58:59], s[4:5]
	s_cbranch_execz .LBB254_2632
; %bb.2627:
	s_mov_b32 s4, 0x37ffffff
	v_cmp_lt_u32_e64 s[4:5], s4, v5
	s_mov_b64 s[60:61], 0
                                        ; implicit-def: $vgpr5
	s_and_saveexec_b64 s[62:63], s[4:5]
	s_xor_b64 s[4:5], exec, s[62:63]
	s_cbranch_execz .LBB254_3004
; %bb.2628:
	v_bfe_u32 v3, v9, 21, 1
	s_mov_b32 s33, 0x88fffff
	v_add3_u32 v3, v1, v3, s33
	s_mov_b64 s[60:61], exec
	v_lshrrev_b32_e32 v5, 21, v3
	s_andn2_saveexec_b64 s[62:63], s[4:5]
	s_cbranch_execnz .LBB254_3005
.LBB254_2629:
	s_or_b64 exec, exec, s[62:63]
	v_mov_b32_e32 v3, 0
	s_and_saveexec_b64 s[4:5], s[60:61]
.LBB254_2630:
	v_lshrrev_b32_e32 v1, 24, v1
	s_movk_i32 s33, 0x80
	v_and_or_b32 v3, v1, s33, v5
.LBB254_2631:
	s_or_b64 exec, exec, s[4:5]
.LBB254_2632:
	s_or_b64 exec, exec, s[58:59]
.LBB254_2633:
	s_or_b64 exec, exec, s[56:57]
	s_or_b64 s[56:57], s[52:53], exec
                                        ; implicit-def: $vgpr1
.LBB254_2634:
	s_or_saveexec_b64 s[46:47], s[46:47]
	s_mov_b64 s[4:5], 0
	s_mov_b64 s[58:59], s[54:55]
	s_xor_b64 exec, exec, s[46:47]
	s_cbranch_execz .LBB254_2648
; %bb.2635:
	v_cmp_lt_i16_e64 s[4:5], 14, v1
	s_mov_b64 s[60:61], s[54:55]
	s_mov_b64 s[62:63], s[56:57]
                                        ; implicit-def: $vgpr3
	s_and_saveexec_b64 s[58:59], s[4:5]
	s_xor_b64 s[58:59], exec, s[58:59]
	s_cbranch_execz .LBB254_2645
; %bb.2636:
	v_cmp_eq_u16_e64 s[4:5], 15, v1
	s_mov_b64 s[64:65], -1
	s_mov_b64 s[62:63], s[56:57]
                                        ; implicit-def: $vgpr3
	s_and_saveexec_b64 s[60:61], s[4:5]
	s_cbranch_execz .LBB254_2644
; %bb.2637:
	flat_load_ushort v1, v[7:8]
	s_mov_b32 s4, 0x47800000
	s_waitcnt vmcnt(0) lgkmcnt(0)
	v_mov_b32_e32 v3, 0x80
	v_lshlrev_b32_e32 v9, 16, v1
	v_and_b32_e32 v5, 0x7fffffff, v9
	v_cmp_gt_u32_e64 s[4:5], s4, v5
	s_and_saveexec_b64 s[62:63], s[4:5]
	s_cbranch_execz .LBB254_2643
; %bb.2638:
	s_mov_b32 s4, 0x37ffffff
	v_cmp_lt_u32_e64 s[4:5], s4, v5
	s_mov_b64 s[64:65], 0
                                        ; implicit-def: $vgpr5
	s_and_saveexec_b64 s[66:67], s[4:5]
	s_xor_b64 s[4:5], exec, s[66:67]
	s_cbranch_execz .LBB254_3032
; %bb.2639:
	v_bfe_u32 v3, v1, 5, 1
	s_mov_b32 s33, 0x88fffff
	v_add3_u32 v3, v9, v3, s33
	s_mov_b64 s[64:65], exec
	v_lshrrev_b32_e32 v5, 21, v3
                                        ; implicit-def: $vgpr9
	s_andn2_saveexec_b64 s[66:67], s[4:5]
	s_cbranch_execnz .LBB254_3033
.LBB254_2640:
	s_or_b64 exec, exec, s[66:67]
	v_mov_b32_e32 v3, 0
	s_and_saveexec_b64 s[4:5], s[64:65]
.LBB254_2641:
	v_lshrrev_b32_e32 v1, 8, v1
	s_movk_i32 s33, 0x80
	v_and_or_b32 v3, v1, s33, v5
.LBB254_2642:
	s_or_b64 exec, exec, s[4:5]
.LBB254_2643:
	s_or_b64 exec, exec, s[62:63]
	s_or_b64 s[62:63], s[56:57], exec
	s_xor_b64 s[64:65], exec, -1
.LBB254_2644:
	s_or_b64 exec, exec, s[60:61]
	s_andn2_b64 s[4:5], s[56:57], exec
	s_and_b64 s[60:61], s[62:63], exec
	s_or_b64 s[62:63], s[4:5], s[60:61]
	s_andn2_b64 s[4:5], s[54:55], exec
	s_and_b64 s[60:61], s[64:65], exec
	s_or_b64 s[60:61], s[4:5], s[60:61]
                                        ; implicit-def: $vgpr1
.LBB254_2645:
	s_or_saveexec_b64 s[58:59], s[58:59]
	s_mov_b64 s[64:65], 0
	s_xor_b64 exec, exec, s[58:59]
; %bb.2646:
	v_cmp_ne_u16_e64 s[4:5], 11, v1
	s_andn2_b64 s[60:61], s[60:61], exec
	s_and_b64 s[4:5], s[4:5], exec
	s_mov_b64 s[64:65], exec
	s_or_b64 s[60:61], s[60:61], s[4:5]
; %bb.2647:
	s_or_b64 exec, exec, s[58:59]
	s_andn2_b64 s[4:5], s[56:57], exec
	s_and_b64 s[56:57], s[62:63], exec
	s_andn2_b64 s[58:59], s[54:55], exec
	s_and_b64 s[60:61], s[60:61], exec
	s_or_b64 s[56:57], s[4:5], s[56:57]
	s_and_b64 s[4:5], s[64:65], exec
	s_or_b64 s[58:59], s[58:59], s[60:61]
.LBB254_2648:
	s_or_b64 exec, exec, s[46:47]
	s_andn2_b64 s[46:47], s[52:53], exec
	s_and_b64 s[52:53], s[56:57], exec
	s_or_b64 s[52:53], s[46:47], s[52:53]
	s_and_b64 s[46:47], s[4:5], exec
	s_andn2_b64 s[4:5], s[54:55], exec
	s_and_b64 s[54:55], s[58:59], exec
	s_or_b64 s[54:55], s[4:5], s[54:55]
	s_or_b64 exec, exec, s[50:51]
	s_mov_b64 s[50:51], s[42:43]
	s_and_saveexec_b64 s[4:5], s[54:55]
	s_cbranch_execz .LBB254_1677
.LBB254_2649:
	s_trap 2
	s_or_b64 s[50:51], s[42:43], exec
	s_andn2_b64 s[46:47], s[46:47], exec
	s_or_b64 exec, exec, s[4:5]
	s_and_saveexec_b64 s[4:5], s[46:47]
	s_xor_b64 s[46:47], exec, s[4:5]
	s_cbranch_execnz .LBB254_1678
	s_branch .LBB254_1685
.LBB254_2650:
	s_andn2_saveexec_b64 s[40:41], s[4:5]
	s_cbranch_execz .LBB254_2264
.LBB254_2651:
	s_mov_b32 s4, 0x42800000
	v_add_f32_e64 v10, |v12|, s4
	v_and_b32_e32 v14, 0xff, v10
	v_cmp_ne_u32_e64 s[4:5], 0, v14
	s_andn2_b64 s[38:39], s[38:39], exec
	s_and_b64 s[4:5], s[4:5], exec
	s_or_b64 s[38:39], s[38:39], s[4:5]
	s_or_b64 exec, exec, s[40:41]
	v_mov_b32_e32 v10, 0
	s_and_saveexec_b64 s[4:5], s[38:39]
	s_cbranch_execnz .LBB254_2265
	s_branch .LBB254_2266
.LBB254_2652:
	s_andn2_saveexec_b64 s[42:43], s[4:5]
	s_cbranch_execz .LBB254_2284
.LBB254_2653:
	s_mov_b32 s4, 0x42800000
	v_add_f32_e64 v10, |v18|, s4
	v_and_b32_e32 v14, 0xff, v10
	v_cmp_ne_u32_e64 s[4:5], 0, v14
	s_andn2_b64 s[40:41], s[40:41], exec
	s_and_b64 s[4:5], s[4:5], exec
	s_or_b64 s[40:41], s[40:41], s[4:5]
	s_or_b64 exec, exec, s[42:43]
	v_mov_b32_e32 v10, 0
	s_and_saveexec_b64 s[4:5], s[40:41]
	s_cbranch_execnz .LBB254_2285
	s_branch .LBB254_2286
.LBB254_2654:
	s_andn2_saveexec_b64 s[42:43], s[4:5]
	s_cbranch_execz .LBB254_2316
.LBB254_2655:
	s_mov_b32 s4, 0x42800000
	v_add_f32_e64 v12, |v16|, s4
	v_and_b32_e32 v17, 0xff, v12
	v_cmp_ne_u32_e64 s[4:5], 0, v17
	s_andn2_b64 s[40:41], s[40:41], exec
	s_and_b64 s[4:5], s[4:5], exec
	s_or_b64 s[40:41], s[40:41], s[4:5]
	s_or_b64 exec, exec, s[42:43]
	v_mov_b32_e32 v12, 0
	s_and_saveexec_b64 s[4:5], s[40:41]
	s_cbranch_execnz .LBB254_2317
	s_branch .LBB254_2318
.LBB254_2656:
	s_andn2_saveexec_b64 s[40:41], s[4:5]
	s_cbranch_execz .LBB254_608
.LBB254_2657:
	s_mov_b32 s4, 0x42800000
	v_add_f32_e64 v10, |v12|, s4
	v_and_b32_e32 v14, 0xff, v10
	v_cmp_ne_u32_e64 s[4:5], 0, v14
	s_andn2_b64 s[38:39], s[38:39], exec
	s_and_b64 s[4:5], s[4:5], exec
	s_or_b64 s[38:39], s[38:39], s[4:5]
	s_or_b64 exec, exec, s[40:41]
	v_mov_b32_e32 v10, 0
	s_and_saveexec_b64 s[4:5], s[38:39]
	s_cbranch_execnz .LBB254_609
	s_branch .LBB254_610
.LBB254_2658:
	s_andn2_saveexec_b64 s[44:45], s[4:5]
	s_cbranch_execz .LBB254_618
.LBB254_2659:
	v_add_f32_e32 v10, 0x42800000, v14
	v_and_b32_e32 v12, 0xff, v10
	v_cmp_ne_u32_e64 s[4:5], 0, v12
	s_andn2_b64 s[42:43], s[42:43], exec
	s_and_b64 s[4:5], s[4:5], exec
	s_or_b64 s[42:43], s[42:43], s[4:5]
	s_or_b64 exec, exec, s[44:45]
	v_mov_b32_e32 v10, 0
	s_and_saveexec_b64 s[4:5], s[42:43]
	s_cbranch_execnz .LBB254_619
	s_branch .LBB254_620
.LBB254_2660:
	s_andn2_saveexec_b64 s[46:47], s[4:5]
	s_cbranch_execz .LBB254_819
.LBB254_2661:
	v_add_f32_e32 v12, 0x42800000, v17
	v_and_b32_e32 v16, 0xff, v12
	v_cmp_ne_u32_e64 s[4:5], 0, v16
	s_andn2_b64 s[44:45], s[44:45], exec
	s_and_b64 s[4:5], s[4:5], exec
	s_or_b64 s[44:45], s[44:45], s[4:5]
	s_or_b64 exec, exec, s[46:47]
	v_mov_b32_e32 v12, 0
	s_and_saveexec_b64 s[4:5], s[44:45]
	s_cbranch_execnz .LBB254_820
	s_branch .LBB254_821
.LBB254_2662:
	s_andn2_saveexec_b64 s[46:47], s[4:5]
	s_cbranch_execz .LBB254_831
.LBB254_2663:
	v_add_f32_e32 v12, 0x42800000, v17
	v_and_b32_e32 v16, 0xff, v12
	v_cmp_ne_u32_e64 s[4:5], 0, v16
	s_andn2_b64 s[44:45], s[44:45], exec
	s_and_b64 s[4:5], s[4:5], exec
	s_or_b64 s[44:45], s[44:45], s[4:5]
	s_or_b64 exec, exec, s[46:47]
	v_mov_b32_e32 v12, 0
	s_and_saveexec_b64 s[4:5], s[44:45]
	s_cbranch_execnz .LBB254_832
	s_branch .LBB254_833
.LBB254_2664:
	s_andn2_saveexec_b64 s[46:47], s[4:5]
	s_cbranch_execz .LBB254_839
.LBB254_2665:
	v_add_f32_e32 v12, 0x42800000, v17
	v_and_b32_e32 v16, 0xff, v12
	v_cmp_ne_u32_e64 s[4:5], 0, v16
	s_andn2_b64 s[44:45], s[44:45], exec
	s_and_b64 s[4:5], s[4:5], exec
	s_or_b64 s[44:45], s[44:45], s[4:5]
	s_or_b64 exec, exec, s[46:47]
	v_mov_b32_e32 v12, 0
	s_and_saveexec_b64 s[4:5], s[44:45]
	s_cbranch_execnz .LBB254_840
	s_branch .LBB254_841
.LBB254_2666:
	s_andn2_saveexec_b64 s[44:45], s[4:5]
	s_cbranch_execz .LBB254_878
.LBB254_2667:
	s_mov_b32 s4, 0x42800000
	v_add_f32_e64 v12, |v14|, s4
	v_and_b32_e32 v15, 0xff, v12
	v_cmp_ne_u32_e64 s[4:5], 0, v15
	s_andn2_b64 s[42:43], s[42:43], exec
	s_and_b64 s[4:5], s[4:5], exec
	s_or_b64 s[42:43], s[42:43], s[4:5]
	s_or_b64 exec, exec, s[44:45]
	v_mov_b32_e32 v12, 0
	s_and_saveexec_b64 s[4:5], s[42:43]
	s_cbranch_execnz .LBB254_879
	s_branch .LBB254_880
.LBB254_2668:
	s_andn2_saveexec_b64 s[44:45], s[4:5]
	s_cbranch_execz .LBB254_886
.LBB254_2669:
	s_mov_b32 s4, 0x42800000
	v_add_f32_e64 v12, |v14|, s4
	v_and_b32_e32 v15, 0xff, v12
	v_cmp_ne_u32_e64 s[4:5], 0, v15
	s_andn2_b64 s[42:43], s[42:43], exec
	s_and_b64 s[4:5], s[4:5], exec
	s_or_b64 s[42:43], s[42:43], s[4:5]
	s_or_b64 exec, exec, s[44:45]
	v_mov_b32_e32 v12, 0
	s_and_saveexec_b64 s[4:5], s[42:43]
	s_cbranch_execnz .LBB254_887
	s_branch .LBB254_888
.LBB254_2670:
	s_andn2_saveexec_b64 s[44:45], s[4:5]
	s_cbranch_execz .LBB254_906
.LBB254_2671:
	s_mov_b32 s4, 0x42800000
	v_add_f32_e64 v12, |v14|, s4
	v_and_b32_e32 v15, 0xff, v12
	v_cmp_ne_u32_e64 s[4:5], 0, v15
	s_andn2_b64 s[42:43], s[42:43], exec
	s_and_b64 s[4:5], s[4:5], exec
	s_or_b64 s[42:43], s[42:43], s[4:5]
	s_or_b64 exec, exec, s[44:45]
	v_mov_b32_e32 v12, 0
	s_and_saveexec_b64 s[4:5], s[42:43]
	s_cbranch_execnz .LBB254_907
	s_branch .LBB254_908
.LBB254_2672:
	s_andn2_saveexec_b64 s[44:45], s[4:5]
	s_cbranch_execz .LBB254_914
.LBB254_2673:
	s_mov_b32 s4, 0x42800000
	v_add_f32_e64 v12, |v14|, s4
	v_and_b32_e32 v15, 0xff, v12
	v_cmp_ne_u32_e64 s[4:5], 0, v15
	s_andn2_b64 s[42:43], s[42:43], exec
	s_and_b64 s[4:5], s[4:5], exec
	s_or_b64 s[42:43], s[42:43], s[4:5]
	s_or_b64 exec, exec, s[44:45]
	v_mov_b32_e32 v12, 0
	s_and_saveexec_b64 s[4:5], s[42:43]
	s_cbranch_execnz .LBB254_915
	s_branch .LBB254_916
.LBB254_2674:
	s_andn2_saveexec_b64 s[44:45], s[4:5]
	s_cbranch_execz .LBB254_936
.LBB254_2675:
	s_mov_b32 s4, 0x42800000
	v_add_f32_e64 v12, |v14|, s4
	v_and_b32_e32 v15, 0xff, v12
	v_cmp_ne_u32_e64 s[4:5], 0, v15
	s_andn2_b64 s[42:43], s[42:43], exec
	s_and_b64 s[4:5], s[4:5], exec
	s_or_b64 s[42:43], s[42:43], s[4:5]
	s_or_b64 exec, exec, s[44:45]
	v_mov_b32_e32 v12, 0
	s_and_saveexec_b64 s[4:5], s[42:43]
	s_cbranch_execnz .LBB254_937
	s_branch .LBB254_938
.LBB254_2676:
	s_andn2_saveexec_b64 s[44:45], s[4:5]
	s_cbranch_execz .LBB254_944
.LBB254_2677:
	s_mov_b32 s4, 0x42800000
	v_add_f32_e64 v12, |v14|, s4
	v_and_b32_e32 v15, 0xff, v12
	v_cmp_ne_u32_e64 s[4:5], 0, v15
	s_andn2_b64 s[42:43], s[42:43], exec
	s_and_b64 s[4:5], s[4:5], exec
	s_or_b64 s[42:43], s[42:43], s[4:5]
	s_or_b64 exec, exec, s[44:45]
	v_mov_b32_e32 v12, 0
	s_and_saveexec_b64 s[4:5], s[42:43]
	s_cbranch_execnz .LBB254_945
	s_branch .LBB254_946
.LBB254_2678:
	s_andn2_saveexec_b64 s[50:51], s[4:5]
	s_cbranch_execz .LBB254_1072
.LBB254_2679:
	s_mov_b32 s4, 0x42800000
	v_add_f32_e64 v14, |v10|, s4
	v_and_b32_e32 v15, 0xff, v14
	v_cmp_ne_u32_e64 s[4:5], 0, v15
	s_andn2_b64 s[48:49], s[48:49], exec
	s_and_b64 s[4:5], s[4:5], exec
	s_or_b64 s[48:49], s[48:49], s[4:5]
	s_or_b64 exec, exec, s[50:51]
	v_mov_b32_e32 v14, 0
	s_and_saveexec_b64 s[4:5], s[48:49]
	s_cbranch_execnz .LBB254_1073
	s_branch .LBB254_1074
.LBB254_2680:
	s_andn2_saveexec_b64 s[48:49], s[4:5]
	s_cbranch_execz .LBB254_1113
.LBB254_2681:
	s_mov_b32 s4, 0x42800000
	v_add_f32_e64 v12, |v10|, s4
	v_and_b32_e32 v12, 0xff, v12
	v_cmp_ne_u32_e64 s[4:5], 0, v12
	s_andn2_b64 s[46:47], s[46:47], exec
	s_and_b64 s[4:5], s[4:5], exec
	s_or_b64 s[46:47], s[46:47], s[4:5]
	s_or_b64 exec, exec, s[48:49]
	v_mov_b32_e32 v14, 0
	s_and_saveexec_b64 s[4:5], s[46:47]
	s_cbranch_execnz .LBB254_1114
	s_branch .LBB254_1115
.LBB254_2682:
	s_andn2_saveexec_b64 s[48:49], s[4:5]
	s_cbranch_execz .LBB254_1141
.LBB254_2683:
	s_mov_b32 s4, 0x42800000
	v_add_f32_e64 v12, |v10|, s4
	v_and_b32_e32 v12, 0xff, v12
	v_cmp_ne_u32_e64 s[4:5], 0, v12
	s_andn2_b64 s[46:47], s[46:47], exec
	s_and_b64 s[4:5], s[4:5], exec
	s_or_b64 s[46:47], s[46:47], s[4:5]
	s_or_b64 exec, exec, s[48:49]
	v_mov_b32_e32 v14, 0
	s_and_saveexec_b64 s[4:5], s[46:47]
	s_cbranch_execnz .LBB254_1142
	s_branch .LBB254_1143
.LBB254_2684:
	s_andn2_saveexec_b64 s[48:49], s[4:5]
	s_cbranch_execz .LBB254_1171
.LBB254_2685:
	s_mov_b32 s4, 0x42800000
	v_add_f32_e64 v12, |v10|, s4
	v_and_b32_e32 v12, 0xff, v12
	v_cmp_ne_u32_e64 s[4:5], 0, v12
	s_andn2_b64 s[46:47], s[46:47], exec
	s_and_b64 s[4:5], s[4:5], exec
	s_or_b64 s[46:47], s[46:47], s[4:5]
	s_or_b64 exec, exec, s[48:49]
	v_mov_b32_e32 v14, 0
	s_and_saveexec_b64 s[4:5], s[46:47]
	s_cbranch_execnz .LBB254_1172
	s_branch .LBB254_1173
.LBB254_2686:
	s_andn2_saveexec_b64 s[48:49], s[4:5]
	s_cbranch_execz .LBB254_1181
.LBB254_2687:
	s_mov_b32 s4, 0x42800000
	v_add_f32_e64 v12, |v10|, s4
	v_and_b32_e32 v12, 0xff, v12
	v_cmp_ne_u32_e64 s[4:5], 0, v12
	s_andn2_b64 s[46:47], s[46:47], exec
	s_and_b64 s[4:5], s[4:5], exec
	s_or_b64 s[46:47], s[46:47], s[4:5]
	s_or_b64 exec, exec, s[48:49]
	v_mov_b32_e32 v14, 0
	s_and_saveexec_b64 s[4:5], s[46:47]
	s_cbranch_execnz .LBB254_1182
	s_branch .LBB254_1183
.LBB254_2688:
	s_andn2_saveexec_b64 s[48:49], s[4:5]
	s_cbranch_execz .LBB254_1189
.LBB254_2689:
	v_add_f32_e32 v10, 0x42800000, v12
	v_and_b32_e32 v10, 0xff, v10
	v_cmp_ne_u32_e64 s[4:5], 0, v10
	s_andn2_b64 s[46:47], s[46:47], exec
	s_and_b64 s[4:5], s[4:5], exec
	s_or_b64 s[46:47], s[46:47], s[4:5]
	s_or_b64 exec, exec, s[48:49]
	v_mov_b32_e32 v14, 0
	s_and_saveexec_b64 s[4:5], s[46:47]
	s_cbranch_execnz .LBB254_1190
	s_branch .LBB254_1191
.LBB254_2690:
	s_or_saveexec_b64 s[52:53], s[52:53]
	v_mov_b32_e32 v13, 0x7f800001
	s_xor_b64 exec, exec, s[52:53]
	s_cbranch_execz .LBB254_1257
.LBB254_2691:
	v_cmp_ne_u16_e64 s[4:5], 0, v12
	s_andn2_b64 s[50:51], s[50:51], exec
	s_and_b64 s[4:5], s[4:5], exec
	v_mov_b32_e32 v13, 0
	s_or_b64 s[50:51], s[50:51], s[4:5]
	s_or_b64 exec, exec, s[52:53]
	s_and_saveexec_b64 s[52:53], s[50:51]
	s_cbranch_execnz .LBB254_1258
	s_branch .LBB254_1259
.LBB254_2692:
	s_andn2_saveexec_b64 s[54:55], s[4:5]
	s_cbranch_execz .LBB254_1491
.LBB254_2693:
	v_add_f32_e32 v3, 0x42800000, v8
	v_and_b32_e32 v3, 0xff, v3
	v_cmp_ne_u32_e64 s[4:5], 0, v3
	s_andn2_b64 s[52:53], s[52:53], exec
	s_and_b64 s[4:5], s[4:5], exec
	s_or_b64 s[52:53], s[52:53], s[4:5]
	s_or_b64 exec, exec, s[54:55]
	v_mov_b32_e32 v10, 0
	s_and_saveexec_b64 s[4:5], s[52:53]
	s_cbranch_execnz .LBB254_1492
	s_branch .LBB254_1493
.LBB254_2694:
	s_or_saveexec_b64 s[52:53], s[52:53]
	v_mov_b32_e32 v1, 0x7f800001
	s_xor_b64 exec, exec, s[52:53]
	s_cbranch_execz .LBB254_1800
.LBB254_2695:
	v_mov_b32_e32 v1, 0
	v_cmp_ne_u16_sdwa s[54:55], v10, v1 src0_sel:BYTE_0 src1_sel:DWORD
	s_andn2_b64 s[48:49], s[48:49], exec
	s_and_b64 s[54:55], s[54:55], exec
	s_or_b64 s[48:49], s[48:49], s[54:55]
	s_or_b64 exec, exec, s[52:53]
	s_and_saveexec_b64 s[52:53], s[48:49]
	s_cbranch_execnz .LBB254_1801
	s_branch .LBB254_1802
.LBB254_2696:
	s_or_saveexec_b64 s[52:53], s[52:53]
	v_mov_b32_e32 v5, 0x7f800001
	s_xor_b64 exec, exec, s[52:53]
	s_cbranch_execz .LBB254_1806
.LBB254_2697:
	v_mov_b32_e32 v5, 0
	v_cmp_ne_u16_sdwa s[54:55], v3, v5 src0_sel:BYTE_0 src1_sel:DWORD
	s_andn2_b64 s[48:49], s[48:49], exec
	s_and_b64 s[54:55], s[54:55], exec
	s_or_b64 s[48:49], s[48:49], s[54:55]
	s_or_b64 exec, exec, s[52:53]
	s_and_saveexec_b64 s[52:53], s[48:49]
	s_cbranch_execnz .LBB254_1807
	s_branch .LBB254_1808
.LBB254_2698:
	s_or_saveexec_b64 s[54:55], s[54:55]
	v_mov_b32_e32 v1, 0x7f800001
	s_xor_b64 exec, exec, s[54:55]
	s_cbranch_execz .LBB254_1814
.LBB254_2699:
	v_mov_b32_e32 v1, 0
	v_cmp_ne_u16_sdwa s[56:57], v10, v1 src0_sel:BYTE_0 src1_sel:DWORD
	s_andn2_b64 s[52:53], s[52:53], exec
	s_and_b64 s[56:57], s[56:57], exec
	s_or_b64 s[52:53], s[52:53], s[56:57]
	s_or_b64 exec, exec, s[54:55]
	s_and_saveexec_b64 s[54:55], s[52:53]
	s_cbranch_execnz .LBB254_1815
	s_branch .LBB254_1816
.LBB254_2700:
	s_or_saveexec_b64 s[54:55], s[54:55]
	v_mov_b32_e32 v5, 0x7f800001
	s_xor_b64 exec, exec, s[54:55]
	s_cbranch_execz .LBB254_1820
.LBB254_2701:
	v_mov_b32_e32 v5, 0
	v_cmp_ne_u16_sdwa s[56:57], v3, v5 src0_sel:BYTE_0 src1_sel:DWORD
	s_andn2_b64 s[52:53], s[52:53], exec
	s_and_b64 s[56:57], s[56:57], exec
	s_or_b64 s[52:53], s[52:53], s[56:57]
	s_or_b64 exec, exec, s[54:55]
	s_and_saveexec_b64 s[54:55], s[52:53]
	s_cbranch_execnz .LBB254_1821
	s_branch .LBB254_1822
.LBB254_2702:
	s_andn2_saveexec_b64 s[58:59], s[58:59]
	s_cbranch_execz .LBB254_1860
.LBB254_2703:
	v_cmp_lt_i16_e32 vcc, 22, v1
	s_mov_b64 s[60:61], s[4:5]
	s_and_saveexec_b64 s[56:57], vcc
	s_xor_b64 s[56:57], exec, s[56:57]
	s_cbranch_execz .LBB254_2735
; %bb.2704:
	v_cmp_lt_i16_e32 vcc, 23, v1
	s_and_saveexec_b64 s[60:61], vcc
	s_xor_b64 s[60:61], exec, s[60:61]
	s_cbranch_execz .LBB254_2724
; %bb.2705:
	v_cmp_lt_i16_e32 vcc, 24, v1
	s_and_saveexec_b64 s[62:63], vcc
	s_xor_b64 s[62:63], exec, s[62:63]
	s_cbranch_execz .LBB254_2713
; %bb.2706:
	s_waitcnt lgkmcnt(0)
	v_cndmask_b32_e64 v3, 0, 1.0, s[22:23]
	s_mov_b32 s33, 0x47800000
	v_cmp_gt_u32_e32 vcc, s33, v3
	v_mov_b32_e32 v7, 0x80
	s_and_saveexec_b64 s[64:65], vcc
	s_cbranch_execz .LBB254_2712
; %bb.2707:
	s_mov_b32 s33, 0x37ffffff
	v_cmp_lt_u32_e32 vcc, s33, v3
	s_mov_b64 s[66:67], 0
                                        ; implicit-def: $vgpr1
	s_and_saveexec_b64 s[68:69], vcc
	s_xor_b64 s[68:69], exec, s[68:69]
	s_cbranch_execz .LBB254_3040
; %bb.2708:
	v_bfe_u32 v1, v3, 21, 1
	s_mov_b32 s33, 0x88fffff
	v_add3_u32 v1, v3, v1, s33
	s_mov_b64 s[66:67], exec
	v_lshrrev_b32_e32 v1, 21, v1
                                        ; implicit-def: $vgpr3
	s_andn2_saveexec_b64 s[68:69], s[68:69]
	s_cbranch_execnz .LBB254_3041
.LBB254_2709:
	s_or_b64 exec, exec, s[68:69]
	v_mov_b32_e32 v7, 0
	s_and_saveexec_b64 s[68:69], s[66:67]
.LBB254_2710:
	v_mov_b32_e32 v7, v1
.LBB254_2711:
	s_or_b64 exec, exec, s[68:69]
.LBB254_2712:
	s_or_b64 exec, exec, s[64:65]
	flat_store_byte v[5:6], v7
.LBB254_2713:
	s_andn2_saveexec_b64 s[62:63], s[62:63]
	s_cbranch_execz .LBB254_2723
; %bb.2714:
	v_cndmask_b32_e64 v1, 0, 1.0, s[22:23]
	s_mov_b32 s33, 0x43f00000
	v_cmp_gt_u32_e32 vcc, s33, v1
                                        ; implicit-def: $vgpr3
	s_and_saveexec_b64 s[64:65], vcc
	s_xor_b64 s[64:65], exec, s[64:65]
	s_cbranch_execz .LBB254_2720
; %bb.2715:
	s_mov_b32 s33, 0x3c7fffff
	v_cmp_lt_u32_e32 vcc, s33, v1
                                        ; implicit-def: $vgpr3
	s_and_saveexec_b64 s[66:67], vcc
	s_xor_b64 s[66:67], exec, s[66:67]
	s_cbranch_execz .LBB254_2717
; %bb.2716:
	s_waitcnt lgkmcnt(0)
	v_bfe_u32 v3, v1, 20, 1
	s_mov_b32 s33, 0x407ffff
	v_add3_u32 v1, v1, v3, s33
	v_lshrrev_b32_e32 v3, 20, v1
	v_and_b32_e32 v1, 0xff00000, v1
	s_mov_b32 s33, 0x7f00000
	v_mov_b32_e32 v7, 0x7e
	v_cmp_ne_u32_e32 vcc, s33, v1
	v_cndmask_b32_e32 v3, v7, v3, vcc
                                        ; implicit-def: $vgpr1
.LBB254_2717:
	s_andn2_saveexec_b64 s[66:67], s[66:67]
	s_cbranch_execz .LBB254_2719
; %bb.2718:
	s_waitcnt lgkmcnt(0)
	v_add_f32_e32 v3, 0x46800000, v1
.LBB254_2719:
	s_or_b64 exec, exec, s[66:67]
                                        ; implicit-def: $vgpr1
.LBB254_2720:
	s_andn2_saveexec_b64 s[64:65], s[64:65]
	s_cbranch_execz .LBB254_2722
; %bb.2721:
	s_mov_b32 s33, 0x7f800000
	s_waitcnt lgkmcnt(0)
	v_mov_b32_e32 v3, 0x7e
	v_mov_b32_e32 v7, 0x7f
	v_cmp_lt_u32_e32 vcc, s33, v1
	v_cndmask_b32_e32 v3, v3, v7, vcc
.LBB254_2722:
	s_or_b64 exec, exec, s[64:65]
	s_waitcnt lgkmcnt(0)
	flat_store_byte v[5:6], v3
.LBB254_2723:
	s_or_b64 exec, exec, s[62:63]
.LBB254_2724:
	s_andn2_saveexec_b64 s[60:61], s[60:61]
	s_cbranch_execz .LBB254_2734
; %bb.2725:
	v_cndmask_b32_e64 v1, 0, 1.0, s[22:23]
	s_mov_b32 s33, 0x47800000
	v_cmp_gt_u32_e32 vcc, s33, v1
                                        ; implicit-def: $vgpr3
	s_and_saveexec_b64 s[62:63], vcc
	s_xor_b64 s[62:63], exec, s[62:63]
	s_cbranch_execz .LBB254_2731
; %bb.2726:
	s_mov_b32 s33, 0x387fffff
	v_cmp_lt_u32_e32 vcc, s33, v1
                                        ; implicit-def: $vgpr3
	s_and_saveexec_b64 s[64:65], vcc
	s_xor_b64 s[64:65], exec, s[64:65]
	s_cbranch_execz .LBB254_2728
; %bb.2727:
	s_waitcnt lgkmcnt(0)
	v_bfe_u32 v3, v1, 21, 1
	s_mov_b32 s33, 0x80fffff
	v_add3_u32 v1, v1, v3, s33
	v_lshrrev_b32_e32 v3, 21, v1
                                        ; implicit-def: $vgpr1
.LBB254_2728:
	s_andn2_saveexec_b64 s[64:65], s[64:65]
	s_cbranch_execz .LBB254_2730
; %bb.2729:
	s_waitcnt lgkmcnt(0)
	v_add_f32_e32 v3, 0x43000000, v1
.LBB254_2730:
	s_or_b64 exec, exec, s[64:65]
                                        ; implicit-def: $vgpr1
.LBB254_2731:
	s_andn2_saveexec_b64 s[62:63], s[62:63]
	s_cbranch_execz .LBB254_2733
; %bb.2732:
	s_mov_b32 s33, 0x7f800000
	s_waitcnt lgkmcnt(0)
	v_mov_b32_e32 v3, 0x7c
	v_mov_b32_e32 v7, 0x7f
	v_cmp_lt_u32_e32 vcc, s33, v1
	v_cndmask_b32_e32 v3, v3, v7, vcc
.LBB254_2733:
	s_or_b64 exec, exec, s[62:63]
	s_waitcnt lgkmcnt(0)
	flat_store_byte v[5:6], v3
.LBB254_2734:
	s_or_b64 exec, exec, s[60:61]
	s_or_b64 s[60:61], s[4:5], exec
                                        ; implicit-def: $vgpr1
.LBB254_2735:
	s_or_saveexec_b64 s[56:57], s[56:57]
	s_mov_b64 s[64:65], 0
	s_mov_b64 s[62:63], s[52:53]
	s_xor_b64 exec, exec, s[56:57]
	s_cbranch_execz .LBB254_2743
; %bb.2736:
	v_cmp_lt_i16_e32 vcc, 14, v1
	s_mov_b64 s[62:63], s[52:53]
	s_mov_b64 s[64:65], s[60:61]
	s_and_saveexec_b64 s[66:67], vcc
	s_xor_b64 s[66:67], exec, s[66:67]
	s_cbranch_execz .LBB254_2740
; %bb.2737:
	v_cmp_eq_u16_e32 vcc, 15, v1
	s_mov_b64 s[62:63], -1
	s_mov_b64 s[68:69], s[60:61]
	s_and_saveexec_b64 s[64:65], vcc
	s_cbranch_execz .LBB254_2739
; %bb.2738:
	v_cndmask_b32_e64 v1, 0, 1.0, s[22:23]
	s_waitcnt lgkmcnt(0)
	v_bfe_u32 v3, v1, 16, 1
	s_movk_i32 s33, 0x7fff
	v_add3_u32 v1, v1, v3, s33
	flat_store_short_d16_hi v[5:6], v1
	s_or_b64 s[68:69], s[60:61], exec
	s_xor_b64 s[62:63], exec, -1
.LBB254_2739:
	s_or_b64 exec, exec, s[64:65]
	s_andn2_b64 s[64:65], s[60:61], exec
	s_and_b64 s[68:69], s[68:69], exec
	s_or_b64 s[64:65], s[64:65], s[68:69]
	s_andn2_b64 s[68:69], s[52:53], exec
	s_and_b64 s[62:63], s[62:63], exec
	s_or_b64 s[62:63], s[68:69], s[62:63]
                                        ; implicit-def: $vgpr1
.LBB254_2740:
	s_or_saveexec_b64 s[66:67], s[66:67]
	s_mov_b64 s[68:69], 0
	s_xor_b64 exec, exec, s[66:67]
; %bb.2741:
	v_cmp_ne_u16_e32 vcc, 11, v1
	s_andn2_b64 s[62:63], s[62:63], exec
	s_and_b64 s[70:71], vcc, exec
	s_mov_b64 s[68:69], exec
	s_or_b64 s[62:63], s[62:63], s[70:71]
; %bb.2742:
	s_or_b64 exec, exec, s[66:67]
	s_andn2_b64 s[60:61], s[60:61], exec
	s_and_b64 s[64:65], s[64:65], exec
	s_andn2_b64 s[66:67], s[52:53], exec
	s_and_b64 s[62:63], s[62:63], exec
	s_or_b64 s[60:61], s[60:61], s[64:65]
	s_and_b64 s[64:65], s[68:69], exec
	s_or_b64 s[62:63], s[66:67], s[62:63]
.LBB254_2743:
	s_or_b64 exec, exec, s[56:57]
	s_andn2_b64 s[4:5], s[4:5], exec
	s_and_b64 s[56:57], s[60:61], exec
	s_andn2_b64 s[52:53], s[52:53], exec
	s_and_b64 s[60:61], s[62:63], exec
	s_or_b64 s[4:5], s[4:5], s[56:57]
	s_and_b64 s[56:57], s[64:65], exec
	s_or_b64 s[52:53], s[52:53], s[60:61]
	s_or_b64 exec, exec, s[58:59]
	s_mov_b64 s[58:59], s[46:47]
	s_and_saveexec_b64 s[60:61], s[52:53]
	s_cbranch_execz .LBB254_1861
.LBB254_2744:
	s_trap 2
	s_or_b64 s[58:59], s[46:47], exec
	s_andn2_b64 s[56:57], s[56:57], exec
	s_or_b64 exec, exec, s[60:61]
	s_and_saveexec_b64 s[52:53], s[56:57]
	s_xor_b64 s[52:53], exec, s[52:53]
	s_cbranch_execnz .LBB254_1862
	s_branch .LBB254_1863
.LBB254_2745:
	s_andn2_saveexec_b64 s[44:45], s[4:5]
	s_cbranch_execz .LBB254_2307
.LBB254_2746:
	s_mov_b32 s4, 0x42800000
	v_add_f32_e64 v12, |v16|, s4
	v_and_b32_e32 v17, 0xff, v12
	v_cmp_ne_u32_e64 s[4:5], 0, v17
	s_andn2_b64 s[42:43], s[42:43], exec
	s_and_b64 s[4:5], s[4:5], exec
	s_or_b64 s[42:43], s[42:43], s[4:5]
	s_or_b64 exec, exec, s[44:45]
	v_mov_b32_e32 v12, 0
	s_and_saveexec_b64 s[4:5], s[42:43]
	s_cbranch_execnz .LBB254_2308
	s_branch .LBB254_2309
.LBB254_2747:
	s_andn2_saveexec_b64 s[46:47], s[4:5]
	s_cbranch_execz .LBB254_2327
.LBB254_2748:
	s_mov_b32 s4, 0x42800000
	v_add_f32_e64 v12, |v18|, s4
	v_and_b32_e32 v17, 0xff, v12
	v_cmp_ne_u32_e64 s[4:5], 0, v17
	s_andn2_b64 s[44:45], s[44:45], exec
	s_and_b64 s[4:5], s[4:5], exec
	s_or_b64 s[44:45], s[44:45], s[4:5]
	s_or_b64 exec, exec, s[46:47]
	v_mov_b32_e32 v12, 0
	s_and_saveexec_b64 s[4:5], s[44:45]
	s_cbranch_execnz .LBB254_2328
	s_branch .LBB254_2329
.LBB254_2749:
	s_andn2_saveexec_b64 s[48:49], s[4:5]
	s_cbranch_execz .LBB254_2380
.LBB254_2750:
	s_mov_b32 s4, 0x42800000
	v_add_f32_e64 v14, |v10|, s4
	v_and_b32_e32 v15, 0xff, v14
	v_cmp_ne_u32_e64 s[4:5], 0, v15
	s_andn2_b64 s[46:47], s[46:47], exec
	s_and_b64 s[4:5], s[4:5], exec
	s_or_b64 s[46:47], s[46:47], s[4:5]
	s_or_b64 exec, exec, s[48:49]
	v_mov_b32_e32 v14, 0
	s_and_saveexec_b64 s[4:5], s[46:47]
	s_cbranch_execnz .LBB254_2381
	s_branch .LBB254_2382
.LBB254_2751:
	s_andn2_saveexec_b64 s[44:45], s[4:5]
	s_cbranch_execz .LBB254_798
.LBB254_2752:
	s_mov_b32 s4, 0x42800000
	v_add_f32_e64 v12, |v16|, s4
	v_and_b32_e32 v17, 0xff, v12
	v_cmp_ne_u32_e64 s[4:5], 0, v17
	s_andn2_b64 s[42:43], s[42:43], exec
	s_and_b64 s[4:5], s[4:5], exec
	s_or_b64 s[42:43], s[42:43], s[4:5]
	s_or_b64 exec, exec, s[44:45]
	v_mov_b32_e32 v12, 0
	s_and_saveexec_b64 s[4:5], s[42:43]
	s_cbranch_execnz .LBB254_799
	s_branch .LBB254_800
.LBB254_2753:
	s_andn2_saveexec_b64 s[48:49], s[4:5]
	s_cbranch_execz .LBB254_808
.LBB254_2754:
	v_add_f32_e32 v12, 0x42800000, v17
	v_and_b32_e32 v16, 0xff, v12
	v_cmp_ne_u32_e64 s[4:5], 0, v16
	s_andn2_b64 s[46:47], s[46:47], exec
	s_and_b64 s[4:5], s[4:5], exec
	s_or_b64 s[46:47], s[46:47], s[4:5]
	s_or_b64 exec, exec, s[48:49]
	v_mov_b32_e32 v12, 0
	s_and_saveexec_b64 s[4:5], s[46:47]
	s_cbranch_execnz .LBB254_809
	s_branch .LBB254_810
.LBB254_2755:
	s_andn2_saveexec_b64 s[52:53], s[4:5]
	s_cbranch_execz .LBB254_1037
.LBB254_2756:
	v_add_f32_e32 v10, 0x42800000, v15
	v_and_b32_e32 v10, 0xff, v10
	v_cmp_ne_u32_e64 s[4:5], 0, v10
	s_andn2_b64 s[50:51], s[50:51], exec
	s_and_b64 s[4:5], s[4:5], exec
	s_or_b64 s[50:51], s[50:51], s[4:5]
	s_or_b64 exec, exec, s[52:53]
	v_mov_b32_e32 v14, 0
	s_and_saveexec_b64 s[4:5], s[50:51]
	s_cbranch_execnz .LBB254_1038
	s_branch .LBB254_1039
.LBB254_2757:
	s_andn2_saveexec_b64 s[52:53], s[4:5]
	s_cbranch_execz .LBB254_1049
.LBB254_2758:
	v_add_f32_e32 v10, 0x42800000, v15
	v_and_b32_e32 v10, 0xff, v10
	v_cmp_ne_u32_e64 s[4:5], 0, v10
	s_andn2_b64 s[50:51], s[50:51], exec
	s_and_b64 s[4:5], s[4:5], exec
	s_or_b64 s[50:51], s[50:51], s[4:5]
	s_or_b64 exec, exec, s[52:53]
	v_mov_b32_e32 v14, 0
	s_and_saveexec_b64 s[4:5], s[50:51]
	s_cbranch_execnz .LBB254_1050
	s_branch .LBB254_1051
.LBB254_2759:
	s_andn2_saveexec_b64 s[52:53], s[4:5]
	s_cbranch_execz .LBB254_1057
.LBB254_2760:
	v_add_f32_e32 v10, 0x42800000, v15
	v_and_b32_e32 v10, 0xff, v10
	v_cmp_ne_u32_e64 s[4:5], 0, v10
	s_andn2_b64 s[50:51], s[50:51], exec
	s_and_b64 s[4:5], s[4:5], exec
	s_or_b64 s[50:51], s[50:51], s[4:5]
	s_or_b64 exec, exec, s[52:53]
	v_mov_b32_e32 v14, 0
	s_and_saveexec_b64 s[4:5], s[50:51]
	s_cbranch_execnz .LBB254_1058
	s_branch .LBB254_1059
.LBB254_2761:
	s_andn2_saveexec_b64 s[50:51], s[4:5]
	s_cbranch_execz .LBB254_1096
.LBB254_2762:
	s_mov_b32 s4, 0x42800000
	v_add_f32_e64 v12, |v10|, s4
	v_and_b32_e32 v12, 0xff, v12
	v_cmp_ne_u32_e64 s[4:5], 0, v12
	s_andn2_b64 s[48:49], s[48:49], exec
	s_and_b64 s[4:5], s[4:5], exec
	s_or_b64 s[48:49], s[48:49], s[4:5]
	s_or_b64 exec, exec, s[50:51]
	v_mov_b32_e32 v14, 0
	s_and_saveexec_b64 s[4:5], s[48:49]
	s_cbranch_execnz .LBB254_1097
	s_branch .LBB254_1098
.LBB254_2763:
	s_andn2_saveexec_b64 s[50:51], s[4:5]
	s_cbranch_execz .LBB254_1104
.LBB254_2764:
	s_mov_b32 s4, 0x42800000
	v_add_f32_e64 v12, |v10|, s4
	v_and_b32_e32 v12, 0xff, v12
	v_cmp_ne_u32_e64 s[4:5], 0, v12
	s_andn2_b64 s[48:49], s[48:49], exec
	s_and_b64 s[4:5], s[4:5], exec
	s_or_b64 s[48:49], s[48:49], s[4:5]
	s_or_b64 exec, exec, s[50:51]
	v_mov_b32_e32 v14, 0
	s_and_saveexec_b64 s[4:5], s[48:49]
	s_cbranch_execnz .LBB254_1105
	s_branch .LBB254_1106
.LBB254_2765:
	s_andn2_saveexec_b64 s[50:51], s[4:5]
	s_cbranch_execz .LBB254_1124
.LBB254_2766:
	s_mov_b32 s4, 0x42800000
	v_add_f32_e64 v12, |v10|, s4
	v_and_b32_e32 v12, 0xff, v12
	v_cmp_ne_u32_e64 s[4:5], 0, v12
	s_andn2_b64 s[48:49], s[48:49], exec
	s_and_b64 s[4:5], s[4:5], exec
	s_or_b64 s[48:49], s[48:49], s[4:5]
	s_or_b64 exec, exec, s[50:51]
	v_mov_b32_e32 v14, 0
	s_and_saveexec_b64 s[4:5], s[48:49]
	s_cbranch_execnz .LBB254_1125
	s_branch .LBB254_1126
.LBB254_2767:
	s_andn2_saveexec_b64 s[50:51], s[4:5]
	s_cbranch_execz .LBB254_1132
.LBB254_2768:
	s_mov_b32 s4, 0x42800000
	v_add_f32_e64 v12, |v10|, s4
	v_and_b32_e32 v12, 0xff, v12
	v_cmp_ne_u32_e64 s[4:5], 0, v12
	s_andn2_b64 s[48:49], s[48:49], exec
	s_and_b64 s[4:5], s[4:5], exec
	s_or_b64 s[48:49], s[48:49], s[4:5]
	s_or_b64 exec, exec, s[50:51]
	v_mov_b32_e32 v14, 0
	s_and_saveexec_b64 s[4:5], s[48:49]
	s_cbranch_execnz .LBB254_1133
	s_branch .LBB254_1134
.LBB254_2769:
	s_andn2_saveexec_b64 s[50:51], s[4:5]
	s_cbranch_execz .LBB254_1154
.LBB254_2770:
	s_mov_b32 s4, 0x42800000
	v_add_f32_e64 v12, |v10|, s4
	v_and_b32_e32 v12, 0xff, v12
	v_cmp_ne_u32_e64 s[4:5], 0, v12
	s_andn2_b64 s[48:49], s[48:49], exec
	s_and_b64 s[4:5], s[4:5], exec
	s_or_b64 s[48:49], s[48:49], s[4:5]
	s_or_b64 exec, exec, s[50:51]
	v_mov_b32_e32 v14, 0
	s_and_saveexec_b64 s[4:5], s[48:49]
	s_cbranch_execnz .LBB254_1155
	s_branch .LBB254_1156
.LBB254_2771:
	s_andn2_saveexec_b64 s[50:51], s[4:5]
	s_cbranch_execz .LBB254_1162
.LBB254_2772:
	s_mov_b32 s4, 0x42800000
	v_add_f32_e64 v12, |v10|, s4
	v_and_b32_e32 v12, 0xff, v12
	v_cmp_ne_u32_e64 s[4:5], 0, v12
	s_andn2_b64 s[48:49], s[48:49], exec
	s_and_b64 s[4:5], s[4:5], exec
	s_or_b64 s[48:49], s[48:49], s[4:5]
	s_or_b64 exec, exec, s[50:51]
	v_mov_b32_e32 v14, 0
	s_and_saveexec_b64 s[4:5], s[48:49]
	s_cbranch_execnz .LBB254_1163
	s_branch .LBB254_1164
.LBB254_2773:
	s_andn2_saveexec_b64 s[54:55], s[4:5]
	s_cbranch_execz .LBB254_1262
.LBB254_2774:
	s_mov_b32 s4, 0x42800000
	v_add_f32_e64 v12, |v13|, s4
	v_and_b32_e32 v15, 0xff, v12
	v_cmp_ne_u32_e64 s[4:5], 0, v15
	s_andn2_b64 s[52:53], s[52:53], exec
	s_and_b64 s[4:5], s[4:5], exec
	s_or_b64 s[52:53], s[52:53], s[4:5]
	s_or_b64 exec, exec, s[54:55]
	v_mov_b32_e32 v12, 0
	s_and_saveexec_b64 s[4:5], s[52:53]
	s_cbranch_execnz .LBB254_1263
	s_branch .LBB254_1264
.LBB254_2775:
	s_andn2_saveexec_b64 s[52:53], s[4:5]
	s_cbranch_execz .LBB254_1303
.LBB254_2776:
	s_mov_b32 s4, 0x42800000
	v_add_f32_e64 v11, |v10|, s4
	v_and_b32_e32 v11, 0xff, v11
	v_cmp_ne_u32_e64 s[4:5], 0, v11
	s_andn2_b64 s[50:51], s[50:51], exec
	s_and_b64 s[4:5], s[4:5], exec
	s_or_b64 s[50:51], s[50:51], s[4:5]
	s_or_b64 exec, exec, s[52:53]
	v_mov_b32_e32 v12, 0
	s_and_saveexec_b64 s[4:5], s[50:51]
	s_cbranch_execnz .LBB254_1304
	s_branch .LBB254_1305
.LBB254_2777:
	s_andn2_saveexec_b64 s[52:53], s[4:5]
	s_cbranch_execz .LBB254_1331
.LBB254_2778:
	s_mov_b32 s4, 0x42800000
	v_add_f32_e64 v11, |v10|, s4
	v_and_b32_e32 v11, 0xff, v11
	v_cmp_ne_u32_e64 s[4:5], 0, v11
	s_andn2_b64 s[50:51], s[50:51], exec
	s_and_b64 s[4:5], s[4:5], exec
	s_or_b64 s[50:51], s[50:51], s[4:5]
	s_or_b64 exec, exec, s[52:53]
	v_mov_b32_e32 v12, 0
	s_and_saveexec_b64 s[4:5], s[50:51]
	s_cbranch_execnz .LBB254_1332
	s_branch .LBB254_1333
.LBB254_2779:
	s_andn2_saveexec_b64 s[52:53], s[4:5]
	s_cbranch_execz .LBB254_1361
.LBB254_2780:
	s_mov_b32 s4, 0x42800000
	v_add_f32_e64 v11, |v10|, s4
	v_and_b32_e32 v11, 0xff, v11
	v_cmp_ne_u32_e64 s[4:5], 0, v11
	s_andn2_b64 s[50:51], s[50:51], exec
	s_and_b64 s[4:5], s[4:5], exec
	s_or_b64 s[50:51], s[50:51], s[4:5]
	s_or_b64 exec, exec, s[52:53]
	v_mov_b32_e32 v12, 0
	s_and_saveexec_b64 s[4:5], s[50:51]
	s_cbranch_execnz .LBB254_1362
	s_branch .LBB254_1363
.LBB254_2781:
	s_andn2_saveexec_b64 s[52:53], s[4:5]
	s_cbranch_execz .LBB254_1371
.LBB254_2782:
	s_mov_b32 s4, 0x42800000
	v_add_f32_e64 v11, |v10|, s4
	v_and_b32_e32 v11, 0xff, v11
	v_cmp_ne_u32_e64 s[4:5], 0, v11
	s_andn2_b64 s[50:51], s[50:51], exec
	s_and_b64 s[4:5], s[4:5], exec
	s_or_b64 s[50:51], s[50:51], s[4:5]
	s_or_b64 exec, exec, s[52:53]
	v_mov_b32_e32 v12, 0
	s_and_saveexec_b64 s[4:5], s[50:51]
	s_cbranch_execnz .LBB254_1372
	s_branch .LBB254_1373
.LBB254_2783:
	s_andn2_saveexec_b64 s[52:53], s[4:5]
	s_cbranch_execz .LBB254_1379
.LBB254_2784:
	v_add_f32_e32 v10, 0x42800000, v11
	v_and_b32_e32 v10, 0xff, v10
	v_cmp_ne_u32_e64 s[4:5], 0, v10
	s_andn2_b64 s[50:51], s[50:51], exec
	s_and_b64 s[4:5], s[4:5], exec
	s_or_b64 s[50:51], s[50:51], s[4:5]
	s_or_b64 exec, exec, s[52:53]
	v_mov_b32_e32 v12, 0
	s_and_saveexec_b64 s[4:5], s[50:51]
	s_cbranch_execnz .LBB254_1380
	s_branch .LBB254_1381
.LBB254_2785:
	s_or_saveexec_b64 s[58:59], s[58:59]
	v_mov_b32_e32 v3, 0x7f800001
	s_xor_b64 exec, exec, s[58:59]
	s_cbranch_execz .LBB254_1475
.LBB254_2786:
	v_cmp_ne_u16_e64 s[4:5], 0, v10
	s_andn2_b64 s[56:57], s[56:57], exec
	s_and_b64 s[4:5], s[4:5], exec
	v_mov_b32_e32 v3, 0
	s_or_b64 s[56:57], s[56:57], s[4:5]
	s_or_b64 exec, exec, s[58:59]
	s_and_saveexec_b64 s[58:59], s[56:57]
	s_cbranch_execnz .LBB254_1476
	s_branch .LBB254_1477
.LBB254_2787:
	s_andn2_saveexec_b64 s[58:59], s[4:5]
	s_cbranch_execz .LBB254_1681
.LBB254_2788:
	v_add_f32_e32 v1, 0x42800000, v5
	v_and_b32_e32 v1, 0xff, v1
	v_cmp_ne_u32_e64 s[4:5], 0, v1
	s_andn2_b64 s[56:57], s[56:57], exec
	s_and_b64 s[4:5], s[4:5], exec
	s_or_b64 s[56:57], s[56:57], s[4:5]
	s_or_b64 exec, exec, s[58:59]
	v_mov_b32_e32 v3, 0
	s_and_saveexec_b64 s[4:5], s[56:57]
	s_cbranch_execnz .LBB254_1682
	s_branch .LBB254_1683
.LBB254_2789:
	s_andn2_saveexec_b64 s[60:61], s[60:61]
	s_cbranch_execz .LBB254_1944
.LBB254_2790:
	v_cmp_lt_i16_e32 vcc, 22, v1
	s_mov_b64 s[62:63], s[4:5]
	s_and_saveexec_b64 s[58:59], vcc
	s_xor_b64 s[58:59], exec, s[58:59]
	s_cbranch_execz .LBB254_2822
; %bb.2791:
	v_cmp_lt_i16_e32 vcc, 23, v1
	s_and_saveexec_b64 s[62:63], vcc
	s_xor_b64 s[62:63], exec, s[62:63]
	s_cbranch_execz .LBB254_2811
; %bb.2792:
	v_cmp_lt_i16_e32 vcc, 24, v1
	s_and_saveexec_b64 s[64:65], vcc
	s_xor_b64 s[64:65], exec, s[64:65]
	s_cbranch_execz .LBB254_2800
; %bb.2793:
	v_cndmask_b32_e64 v5, 0, 1.0, s[30:31]
	s_mov_b32 s33, 0x47800000
	v_cmp_gt_u32_e32 vcc, s33, v5
	v_mov_b32_e32 v6, 0x80
	s_and_saveexec_b64 s[66:67], vcc
	s_cbranch_execz .LBB254_2799
; %bb.2794:
	s_mov_b32 s33, 0x37ffffff
	v_cmp_lt_u32_e32 vcc, s33, v5
	s_mov_b64 s[68:69], 0
                                        ; implicit-def: $vgpr1
	s_and_saveexec_b64 s[70:71], vcc
	s_xor_b64 s[70:71], exec, s[70:71]
	s_cbranch_execz .LBB254_3044
; %bb.2795:
	v_bfe_u32 v1, v5, 21, 1
	s_mov_b32 s33, 0x88fffff
	v_add3_u32 v1, v5, v1, s33
	s_mov_b64 s[68:69], exec
	v_lshrrev_b32_e32 v1, 21, v1
                                        ; implicit-def: $vgpr5
	s_andn2_saveexec_b64 s[70:71], s[70:71]
	s_cbranch_execnz .LBB254_3045
.LBB254_2796:
	s_or_b64 exec, exec, s[70:71]
	v_mov_b32_e32 v6, 0
	s_and_saveexec_b64 s[70:71], s[68:69]
.LBB254_2797:
	v_mov_b32_e32 v6, v1
.LBB254_2798:
	s_or_b64 exec, exec, s[70:71]
.LBB254_2799:
	s_or_b64 exec, exec, s[66:67]
	flat_store_byte v[3:4], v6
.LBB254_2800:
	s_andn2_saveexec_b64 s[64:65], s[64:65]
	s_cbranch_execz .LBB254_2810
; %bb.2801:
	v_cndmask_b32_e64 v1, 0, 1.0, s[30:31]
	s_mov_b32 s33, 0x43f00000
	v_cmp_gt_u32_e32 vcc, s33, v1
                                        ; implicit-def: $vgpr5
	s_and_saveexec_b64 s[66:67], vcc
	s_xor_b64 s[66:67], exec, s[66:67]
	s_cbranch_execz .LBB254_2807
; %bb.2802:
	s_mov_b32 s33, 0x3c7fffff
	v_cmp_lt_u32_e32 vcc, s33, v1
                                        ; implicit-def: $vgpr5
	s_and_saveexec_b64 s[68:69], vcc
	s_xor_b64 s[68:69], exec, s[68:69]
; %bb.2803:
	v_bfe_u32 v5, v1, 20, 1
	s_mov_b32 s33, 0x407ffff
	v_add3_u32 v1, v1, v5, s33
	v_lshrrev_b32_e32 v5, 20, v1
	v_and_b32_e32 v1, 0xff00000, v1
	s_mov_b32 s33, 0x7f00000
	v_mov_b32_e32 v6, 0x7e
	v_cmp_ne_u32_e32 vcc, s33, v1
	v_cndmask_b32_e32 v5, v6, v5, vcc
                                        ; implicit-def: $vgpr1
; %bb.2804:
	s_andn2_saveexec_b64 s[68:69], s[68:69]
; %bb.2805:
	v_add_f32_e32 v5, 0x46800000, v1
; %bb.2806:
	s_or_b64 exec, exec, s[68:69]
                                        ; implicit-def: $vgpr1
.LBB254_2807:
	s_andn2_saveexec_b64 s[66:67], s[66:67]
; %bb.2808:
	s_mov_b32 s33, 0x7f800000
	v_mov_b32_e32 v5, 0x7e
	v_mov_b32_e32 v6, 0x7f
	v_cmp_lt_u32_e32 vcc, s33, v1
	v_cndmask_b32_e32 v5, v5, v6, vcc
; %bb.2809:
	s_or_b64 exec, exec, s[66:67]
	flat_store_byte v[3:4], v5
.LBB254_2810:
	s_or_b64 exec, exec, s[64:65]
.LBB254_2811:
	s_andn2_saveexec_b64 s[62:63], s[62:63]
	s_cbranch_execz .LBB254_2821
; %bb.2812:
	v_cndmask_b32_e64 v1, 0, 1.0, s[30:31]
	s_mov_b32 s33, 0x47800000
	v_cmp_gt_u32_e32 vcc, s33, v1
                                        ; implicit-def: $vgpr5
	s_and_saveexec_b64 s[64:65], vcc
	s_xor_b64 s[64:65], exec, s[64:65]
	s_cbranch_execz .LBB254_2818
; %bb.2813:
	s_mov_b32 s33, 0x387fffff
	v_cmp_lt_u32_e32 vcc, s33, v1
                                        ; implicit-def: $vgpr5
	s_and_saveexec_b64 s[66:67], vcc
	s_xor_b64 s[66:67], exec, s[66:67]
; %bb.2814:
	v_bfe_u32 v5, v1, 21, 1
	s_mov_b32 s33, 0x80fffff
	v_add3_u32 v1, v1, v5, s33
	v_lshrrev_b32_e32 v5, 21, v1
                                        ; implicit-def: $vgpr1
; %bb.2815:
	s_andn2_saveexec_b64 s[66:67], s[66:67]
; %bb.2816:
	v_add_f32_e32 v5, 0x43000000, v1
; %bb.2817:
	s_or_b64 exec, exec, s[66:67]
                                        ; implicit-def: $vgpr1
.LBB254_2818:
	s_andn2_saveexec_b64 s[64:65], s[64:65]
; %bb.2819:
	s_mov_b32 s33, 0x7f800000
	v_mov_b32_e32 v5, 0x7c
	v_mov_b32_e32 v6, 0x7f
	v_cmp_lt_u32_e32 vcc, s33, v1
	v_cndmask_b32_e32 v5, v5, v6, vcc
; %bb.2820:
	s_or_b64 exec, exec, s[64:65]
	flat_store_byte v[3:4], v5
.LBB254_2821:
	s_or_b64 exec, exec, s[62:63]
	s_or_b64 s[62:63], s[4:5], exec
                                        ; implicit-def: $vgpr1
.LBB254_2822:
	s_or_saveexec_b64 s[58:59], s[58:59]
	s_mov_b64 s[66:67], 0
	s_mov_b64 s[64:65], s[54:55]
	s_xor_b64 exec, exec, s[58:59]
	s_cbranch_execz .LBB254_2830
; %bb.2823:
	v_cmp_lt_i16_e32 vcc, 14, v1
	s_mov_b64 s[64:65], s[54:55]
	s_mov_b64 s[66:67], s[62:63]
	s_and_saveexec_b64 s[68:69], vcc
	s_xor_b64 s[68:69], exec, s[68:69]
	s_cbranch_execz .LBB254_2827
; %bb.2824:
	v_cmp_eq_u16_e32 vcc, 15, v1
	s_mov_b64 s[64:65], -1
	s_mov_b64 s[70:71], s[62:63]
	s_and_saveexec_b64 s[66:67], vcc
	s_cbranch_execz .LBB254_2826
; %bb.2825:
	v_cndmask_b32_e64 v1, 0, 1.0, s[30:31]
	v_bfe_u32 v5, v1, 16, 1
	s_movk_i32 s33, 0x7fff
	v_add3_u32 v1, v1, v5, s33
	flat_store_short_d16_hi v[3:4], v1
	s_or_b64 s[70:71], s[62:63], exec
	s_xor_b64 s[64:65], exec, -1
.LBB254_2826:
	s_or_b64 exec, exec, s[66:67]
	s_andn2_b64 s[66:67], s[62:63], exec
	s_and_b64 s[70:71], s[70:71], exec
	s_or_b64 s[66:67], s[66:67], s[70:71]
	s_andn2_b64 s[70:71], s[54:55], exec
	s_and_b64 s[64:65], s[64:65], exec
	s_or_b64 s[64:65], s[70:71], s[64:65]
                                        ; implicit-def: $vgpr1
.LBB254_2827:
	s_or_saveexec_b64 s[68:69], s[68:69]
	s_mov_b64 s[70:71], 0
	s_xor_b64 exec, exec, s[68:69]
; %bb.2828:
	v_cmp_ne_u16_e32 vcc, 11, v1
	s_andn2_b64 s[64:65], s[64:65], exec
	s_and_b64 s[72:73], vcc, exec
	s_mov_b64 s[70:71], exec
	s_or_b64 s[64:65], s[64:65], s[72:73]
; %bb.2829:
	s_or_b64 exec, exec, s[68:69]
	s_andn2_b64 s[62:63], s[62:63], exec
	s_and_b64 s[66:67], s[66:67], exec
	s_andn2_b64 s[68:69], s[54:55], exec
	s_and_b64 s[64:65], s[64:65], exec
	s_or_b64 s[62:63], s[62:63], s[66:67]
	s_and_b64 s[66:67], s[70:71], exec
	s_or_b64 s[64:65], s[68:69], s[64:65]
.LBB254_2830:
	s_or_b64 exec, exec, s[58:59]
	s_andn2_b64 s[4:5], s[4:5], exec
	s_and_b64 s[58:59], s[62:63], exec
	s_andn2_b64 s[54:55], s[54:55], exec
	s_and_b64 s[62:63], s[64:65], exec
	s_or_b64 s[4:5], s[4:5], s[58:59]
	s_and_b64 s[58:59], s[66:67], exec
	s_or_b64 s[54:55], s[54:55], s[62:63]
	s_or_b64 exec, exec, s[60:61]
	s_mov_b64 s[60:61], s[52:53]
	s_and_saveexec_b64 s[62:63], s[54:55]
	s_cbranch_execz .LBB254_1945
.LBB254_2831:
	s_trap 2
	s_or_b64 s[60:61], s[52:53], exec
	s_andn2_b64 s[58:59], s[58:59], exec
	s_or_b64 exec, exec, s[62:63]
	s_and_saveexec_b64 s[54:55], s[58:59]
	s_xor_b64 s[54:55], exec, s[54:55]
	s_cbranch_execnz .LBB254_1946
	s_branch .LBB254_1947
.LBB254_2832:
	s_andn2_saveexec_b64 s[50:51], s[4:5]
	s_cbranch_execz .LBB254_2371
.LBB254_2833:
	s_mov_b32 s4, 0x42800000
	v_add_f32_e64 v14, |v10|, s4
	v_and_b32_e32 v15, 0xff, v14
	v_cmp_ne_u32_e64 s[4:5], 0, v15
	s_andn2_b64 s[48:49], s[48:49], exec
	s_and_b64 s[4:5], s[4:5], exec
	s_or_b64 s[48:49], s[48:49], s[4:5]
	s_or_b64 exec, exec, s[50:51]
	v_mov_b32_e32 v14, 0
	s_and_saveexec_b64 s[4:5], s[48:49]
	s_cbranch_execnz .LBB254_2372
	s_branch .LBB254_2373
.LBB254_2834:
	s_andn2_saveexec_b64 s[52:53], s[4:5]
	s_cbranch_execz .LBB254_2391
.LBB254_2835:
	s_mov_b32 s4, 0x42800000
	v_add_f32_e64 v14, |v16|, s4
	v_and_b32_e32 v15, 0xff, v14
	v_cmp_ne_u32_e64 s[4:5], 0, v15
	s_andn2_b64 s[50:51], s[50:51], exec
	s_and_b64 s[4:5], s[4:5], exec
	s_or_b64 s[50:51], s[50:51], s[4:5]
	s_or_b64 exec, exec, s[52:53]
	v_mov_b32_e32 v14, 0
	s_and_saveexec_b64 s[4:5], s[50:51]
	s_cbranch_execnz .LBB254_2392
	s_branch .LBB254_2393
.LBB254_2836:
	s_andn2_saveexec_b64 s[52:53], s[4:5]
	s_cbranch_execz .LBB254_2455
.LBB254_2837:
	s_mov_b32 s4, 0x42800000
	v_add_f32_e64 v12, |v13|, s4
	v_and_b32_e32 v15, 0xff, v12
	v_cmp_ne_u32_e64 s[4:5], 0, v15
	s_andn2_b64 s[50:51], s[50:51], exec
	s_and_b64 s[4:5], s[4:5], exec
	s_or_b64 s[50:51], s[50:51], s[4:5]
	s_or_b64 exec, exec, s[52:53]
	v_mov_b32_e32 v12, 0
	s_and_saveexec_b64 s[4:5], s[50:51]
	s_cbranch_execnz .LBB254_2456
	s_branch .LBB254_2457
.LBB254_2838:
	s_andn2_saveexec_b64 s[50:51], s[4:5]
	s_cbranch_execz .LBB254_1016
.LBB254_2839:
	s_mov_b32 s4, 0x42800000
	v_add_f32_e64 v14, |v10|, s4
	v_and_b32_e32 v15, 0xff, v14
	v_cmp_ne_u32_e64 s[4:5], 0, v15
	s_andn2_b64 s[48:49], s[48:49], exec
	s_and_b64 s[4:5], s[4:5], exec
	s_or_b64 s[48:49], s[48:49], s[4:5]
	s_or_b64 exec, exec, s[50:51]
	v_mov_b32_e32 v14, 0
	s_and_saveexec_b64 s[4:5], s[48:49]
	s_cbranch_execnz .LBB254_1017
	s_branch .LBB254_1018
.LBB254_2840:
	s_andn2_saveexec_b64 s[54:55], s[4:5]
	s_cbranch_execz .LBB254_1026
.LBB254_2841:
	v_add_f32_e32 v10, 0x42800000, v15
	v_and_b32_e32 v10, 0xff, v10
	v_cmp_ne_u32_e64 s[4:5], 0, v10
	s_andn2_b64 s[52:53], s[52:53], exec
	s_and_b64 s[4:5], s[4:5], exec
	s_or_b64 s[52:53], s[52:53], s[4:5]
	s_or_b64 exec, exec, s[54:55]
	v_mov_b32_e32 v14, 0
	s_and_saveexec_b64 s[4:5], s[52:53]
	s_cbranch_execnz .LBB254_1027
	s_branch .LBB254_1028
.LBB254_2842:
	s_andn2_saveexec_b64 s[56:57], s[4:5]
	s_cbranch_execz .LBB254_1227
.LBB254_2843:
	v_add_f32_e32 v12, 0x42800000, v15
	v_and_b32_e32 v13, 0xff, v12
	v_cmp_ne_u32_e64 s[4:5], 0, v13
	s_andn2_b64 s[54:55], s[54:55], exec
	s_and_b64 s[4:5], s[4:5], exec
	s_or_b64 s[54:55], s[54:55], s[4:5]
	s_or_b64 exec, exec, s[56:57]
	v_mov_b32_e32 v12, 0
	s_and_saveexec_b64 s[4:5], s[54:55]
	s_cbranch_execnz .LBB254_1228
	s_branch .LBB254_1229
.LBB254_2844:
	s_andn2_saveexec_b64 s[56:57], s[4:5]
	s_cbranch_execz .LBB254_1239
.LBB254_2845:
	v_add_f32_e32 v12, 0x42800000, v15
	v_and_b32_e32 v13, 0xff, v12
	v_cmp_ne_u32_e64 s[4:5], 0, v13
	s_andn2_b64 s[54:55], s[54:55], exec
	s_and_b64 s[4:5], s[4:5], exec
	s_or_b64 s[54:55], s[54:55], s[4:5]
	s_or_b64 exec, exec, s[56:57]
	v_mov_b32_e32 v12, 0
	s_and_saveexec_b64 s[4:5], s[54:55]
	s_cbranch_execnz .LBB254_1240
	s_branch .LBB254_1241
.LBB254_2846:
	s_andn2_saveexec_b64 s[56:57], s[4:5]
	s_cbranch_execz .LBB254_1247
.LBB254_2847:
	v_add_f32_e32 v12, 0x42800000, v15
	v_and_b32_e32 v13, 0xff, v12
	v_cmp_ne_u32_e64 s[4:5], 0, v13
	s_andn2_b64 s[54:55], s[54:55], exec
	s_and_b64 s[4:5], s[4:5], exec
	s_or_b64 s[54:55], s[54:55], s[4:5]
	s_or_b64 exec, exec, s[56:57]
	v_mov_b32_e32 v12, 0
	s_and_saveexec_b64 s[4:5], s[54:55]
	s_cbranch_execnz .LBB254_1248
	s_branch .LBB254_1249
.LBB254_2848:
	s_andn2_saveexec_b64 s[54:55], s[4:5]
	s_cbranch_execz .LBB254_1286
.LBB254_2849:
	s_mov_b32 s4, 0x42800000
	v_add_f32_e64 v11, |v10|, s4
	v_and_b32_e32 v11, 0xff, v11
	v_cmp_ne_u32_e64 s[4:5], 0, v11
	s_andn2_b64 s[52:53], s[52:53], exec
	s_and_b64 s[4:5], s[4:5], exec
	s_or_b64 s[52:53], s[52:53], s[4:5]
	s_or_b64 exec, exec, s[54:55]
	v_mov_b32_e32 v12, 0
	s_and_saveexec_b64 s[4:5], s[52:53]
	s_cbranch_execnz .LBB254_1287
	s_branch .LBB254_1288
.LBB254_2850:
	s_andn2_saveexec_b64 s[54:55], s[4:5]
	s_cbranch_execz .LBB254_1294
.LBB254_2851:
	s_mov_b32 s4, 0x42800000
	v_add_f32_e64 v11, |v10|, s4
	v_and_b32_e32 v11, 0xff, v11
	v_cmp_ne_u32_e64 s[4:5], 0, v11
	s_andn2_b64 s[52:53], s[52:53], exec
	s_and_b64 s[4:5], s[4:5], exec
	s_or_b64 s[52:53], s[52:53], s[4:5]
	s_or_b64 exec, exec, s[54:55]
	v_mov_b32_e32 v12, 0
	s_and_saveexec_b64 s[4:5], s[52:53]
	s_cbranch_execnz .LBB254_1295
	s_branch .LBB254_1296
.LBB254_2852:
	s_andn2_saveexec_b64 s[54:55], s[4:5]
	s_cbranch_execz .LBB254_1314
.LBB254_2853:
	s_mov_b32 s4, 0x42800000
	v_add_f32_e64 v11, |v10|, s4
	v_and_b32_e32 v11, 0xff, v11
	v_cmp_ne_u32_e64 s[4:5], 0, v11
	s_andn2_b64 s[52:53], s[52:53], exec
	s_and_b64 s[4:5], s[4:5], exec
	s_or_b64 s[52:53], s[52:53], s[4:5]
	s_or_b64 exec, exec, s[54:55]
	v_mov_b32_e32 v12, 0
	s_and_saveexec_b64 s[4:5], s[52:53]
	s_cbranch_execnz .LBB254_1315
	s_branch .LBB254_1316
.LBB254_2854:
	s_andn2_saveexec_b64 s[54:55], s[4:5]
	s_cbranch_execz .LBB254_1322
.LBB254_2855:
	s_mov_b32 s4, 0x42800000
	v_add_f32_e64 v11, |v10|, s4
	v_and_b32_e32 v11, 0xff, v11
	v_cmp_ne_u32_e64 s[4:5], 0, v11
	s_andn2_b64 s[52:53], s[52:53], exec
	s_and_b64 s[4:5], s[4:5], exec
	s_or_b64 s[52:53], s[52:53], s[4:5]
	s_or_b64 exec, exec, s[54:55]
	v_mov_b32_e32 v12, 0
	s_and_saveexec_b64 s[4:5], s[52:53]
	s_cbranch_execnz .LBB254_1323
	s_branch .LBB254_1324
.LBB254_2856:
	s_andn2_saveexec_b64 s[54:55], s[4:5]
	s_cbranch_execz .LBB254_1344
.LBB254_2857:
	s_mov_b32 s4, 0x42800000
	v_add_f32_e64 v11, |v10|, s4
	v_and_b32_e32 v11, 0xff, v11
	v_cmp_ne_u32_e64 s[4:5], 0, v11
	s_andn2_b64 s[52:53], s[52:53], exec
	s_and_b64 s[4:5], s[4:5], exec
	s_or_b64 s[52:53], s[52:53], s[4:5]
	s_or_b64 exec, exec, s[54:55]
	v_mov_b32_e32 v12, 0
	s_and_saveexec_b64 s[4:5], s[52:53]
	s_cbranch_execnz .LBB254_1345
	s_branch .LBB254_1346
.LBB254_2858:
	s_andn2_saveexec_b64 s[54:55], s[4:5]
	s_cbranch_execz .LBB254_1352
.LBB254_2859:
	s_mov_b32 s4, 0x42800000
	v_add_f32_e64 v11, |v10|, s4
	v_and_b32_e32 v11, 0xff, v11
	v_cmp_ne_u32_e64 s[4:5], 0, v11
	s_andn2_b64 s[52:53], s[52:53], exec
	s_and_b64 s[4:5], s[4:5], exec
	s_or_b64 s[52:53], s[52:53], s[4:5]
	s_or_b64 exec, exec, s[54:55]
	v_mov_b32_e32 v12, 0
	s_and_saveexec_b64 s[4:5], s[52:53]
	s_cbranch_execnz .LBB254_1353
	s_branch .LBB254_1354
.LBB254_2860:
	s_andn2_saveexec_b64 s[60:61], s[4:5]
	s_cbranch_execz .LBB254_1480
.LBB254_2861:
	s_mov_b32 s4, 0x42800000
	v_add_f32_e64 v10, |v3|, s4
	v_and_b32_e32 v11, 0xff, v10
	v_cmp_ne_u32_e64 s[4:5], 0, v11
	s_andn2_b64 s[58:59], s[58:59], exec
	s_and_b64 s[4:5], s[4:5], exec
	s_or_b64 s[58:59], s[58:59], s[4:5]
	s_or_b64 exec, exec, s[60:61]
	v_mov_b32_e32 v10, 0
	s_and_saveexec_b64 s[4:5], s[58:59]
	s_cbranch_execnz .LBB254_1481
	s_branch .LBB254_1482
.LBB254_2862:
	s_andn2_saveexec_b64 s[58:59], s[4:5]
	s_cbranch_execz .LBB254_1521
.LBB254_2863:
	s_mov_b32 s4, 0x42800000
	v_add_f32_e64 v8, |v3|, s4
	v_and_b32_e32 v8, 0xff, v8
	v_cmp_ne_u32_e64 s[4:5], 0, v8
	s_andn2_b64 s[56:57], s[56:57], exec
	s_and_b64 s[4:5], s[4:5], exec
	s_or_b64 s[56:57], s[56:57], s[4:5]
	s_or_b64 exec, exec, s[58:59]
	v_mov_b32_e32 v10, 0
	s_and_saveexec_b64 s[4:5], s[56:57]
	s_cbranch_execnz .LBB254_1522
	s_branch .LBB254_1523
.LBB254_2864:
	s_andn2_saveexec_b64 s[58:59], s[4:5]
	s_cbranch_execz .LBB254_1549
.LBB254_2865:
	s_mov_b32 s4, 0x42800000
	v_add_f32_e64 v8, |v3|, s4
	v_and_b32_e32 v8, 0xff, v8
	v_cmp_ne_u32_e64 s[4:5], 0, v8
	s_andn2_b64 s[56:57], s[56:57], exec
	s_and_b64 s[4:5], s[4:5], exec
	s_or_b64 s[56:57], s[56:57], s[4:5]
	s_or_b64 exec, exec, s[58:59]
	v_mov_b32_e32 v10, 0
	s_and_saveexec_b64 s[4:5], s[56:57]
	s_cbranch_execnz .LBB254_1550
	s_branch .LBB254_1551
.LBB254_2866:
	s_andn2_saveexec_b64 s[58:59], s[4:5]
	s_cbranch_execz .LBB254_1579
.LBB254_2867:
	s_mov_b32 s4, 0x42800000
	v_add_f32_e64 v8, |v3|, s4
	v_and_b32_e32 v8, 0xff, v8
	v_cmp_ne_u32_e64 s[4:5], 0, v8
	s_andn2_b64 s[56:57], s[56:57], exec
	s_and_b64 s[4:5], s[4:5], exec
	s_or_b64 s[56:57], s[56:57], s[4:5]
	s_or_b64 exec, exec, s[58:59]
	v_mov_b32_e32 v10, 0
	s_and_saveexec_b64 s[4:5], s[56:57]
	s_cbranch_execnz .LBB254_1580
	s_branch .LBB254_1581
.LBB254_2868:
	s_andn2_saveexec_b64 s[58:59], s[4:5]
	s_cbranch_execz .LBB254_1589
.LBB254_2869:
	s_mov_b32 s4, 0x42800000
	v_add_f32_e64 v8, |v3|, s4
	v_and_b32_e32 v8, 0xff, v8
	v_cmp_ne_u32_e64 s[4:5], 0, v8
	s_andn2_b64 s[56:57], s[56:57], exec
	s_and_b64 s[4:5], s[4:5], exec
	s_or_b64 s[56:57], s[56:57], s[4:5]
	s_or_b64 exec, exec, s[58:59]
	v_mov_b32_e32 v10, 0
	s_and_saveexec_b64 s[4:5], s[56:57]
	s_cbranch_execnz .LBB254_1590
	s_branch .LBB254_1591
.LBB254_2870:
	s_andn2_saveexec_b64 s[58:59], s[4:5]
	s_cbranch_execz .LBB254_1597
.LBB254_2871:
	v_add_f32_e32 v3, 0x42800000, v8
	v_and_b32_e32 v3, 0xff, v3
	v_cmp_ne_u32_e64 s[4:5], 0, v3
	s_andn2_b64 s[56:57], s[56:57], exec
	s_and_b64 s[4:5], s[4:5], exec
	s_or_b64 s[56:57], s[56:57], s[4:5]
	s_or_b64 exec, exec, s[58:59]
	v_mov_b32_e32 v10, 0
	s_and_saveexec_b64 s[4:5], s[56:57]
	s_cbranch_execnz .LBB254_1598
	s_branch .LBB254_1599
.LBB254_2872:
	s_or_saveexec_b64 s[62:63], s[62:63]
	v_mov_b32_e32 v1, 0x7f800001
	s_xor_b64 exec, exec, s[62:63]
	s_cbranch_execz .LBB254_1665
.LBB254_2873:
	v_cmp_ne_u16_e64 s[4:5], 0, v3
	s_andn2_b64 s[60:61], s[60:61], exec
	s_and_b64 s[4:5], s[4:5], exec
	v_mov_b32_e32 v1, 0
	s_or_b64 s[60:61], s[60:61], s[4:5]
	s_or_b64 exec, exec, s[62:63]
	s_and_saveexec_b64 s[62:63], s[60:61]
	s_cbranch_execnz .LBB254_1666
	s_branch .LBB254_1667
.LBB254_2874:
	s_andn2_saveexec_b64 s[62:63], s[62:63]
	s_cbranch_execz .LBB254_2028
.LBB254_2875:
	v_cmp_lt_i16_e32 vcc, 22, v3
	s_mov_b64 s[64:65], s[4:5]
	s_and_saveexec_b64 s[60:61], vcc
	s_xor_b64 s[60:61], exec, s[60:61]
	s_cbranch_execz .LBB254_2907
; %bb.2876:
	v_cmp_lt_i16_e32 vcc, 23, v3
	s_and_saveexec_b64 s[64:65], vcc
	s_xor_b64 s[64:65], exec, s[64:65]
	s_cbranch_execz .LBB254_2896
; %bb.2877:
	v_cmp_lt_i16_e32 vcc, 24, v3
	s_and_saveexec_b64 s[66:67], vcc
	s_xor_b64 s[66:67], exec, s[66:67]
	s_cbranch_execz .LBB254_2885
; %bb.2878:
	v_cndmask_b32_e64 v4, 0, 1.0, s[40:41]
	s_mov_b32 s33, 0x47800000
	v_cmp_gt_u32_e32 vcc, s33, v4
	v_mov_b32_e32 v5, 0x80
	s_and_saveexec_b64 s[68:69], vcc
	s_cbranch_execz .LBB254_2884
; %bb.2879:
	s_mov_b32 s33, 0x37ffffff
	v_cmp_lt_u32_e32 vcc, s33, v4
	s_mov_b64 s[70:71], 0
                                        ; implicit-def: $vgpr3
	s_and_saveexec_b64 s[72:73], vcc
	s_xor_b64 s[72:73], exec, s[72:73]
	s_cbranch_execz .LBB254_3048
; %bb.2880:
	v_bfe_u32 v3, v4, 21, 1
	s_mov_b32 s33, 0x88fffff
	v_add3_u32 v3, v4, v3, s33
	s_mov_b64 s[70:71], exec
	v_lshrrev_b32_e32 v3, 21, v3
                                        ; implicit-def: $vgpr4
	s_andn2_saveexec_b64 s[72:73], s[72:73]
	s_cbranch_execnz .LBB254_3049
.LBB254_2881:
	s_or_b64 exec, exec, s[72:73]
	v_mov_b32_e32 v5, 0
	s_and_saveexec_b64 s[72:73], s[70:71]
.LBB254_2882:
	v_mov_b32_e32 v5, v3
.LBB254_2883:
	s_or_b64 exec, exec, s[72:73]
.LBB254_2884:
	s_or_b64 exec, exec, s[68:69]
	flat_store_byte v[1:2], v5
.LBB254_2885:
	s_andn2_saveexec_b64 s[66:67], s[66:67]
	s_cbranch_execz .LBB254_2895
; %bb.2886:
	v_cndmask_b32_e64 v3, 0, 1.0, s[40:41]
	s_mov_b32 s33, 0x43f00000
	v_cmp_gt_u32_e32 vcc, s33, v3
                                        ; implicit-def: $vgpr4
	s_and_saveexec_b64 s[68:69], vcc
	s_xor_b64 s[68:69], exec, s[68:69]
	s_cbranch_execz .LBB254_2892
; %bb.2887:
	s_mov_b32 s33, 0x3c7fffff
	v_cmp_lt_u32_e32 vcc, s33, v3
                                        ; implicit-def: $vgpr4
	s_and_saveexec_b64 s[70:71], vcc
	s_xor_b64 s[70:71], exec, s[70:71]
; %bb.2888:
	v_bfe_u32 v4, v3, 20, 1
	s_mov_b32 s33, 0x407ffff
	v_add3_u32 v3, v3, v4, s33
	v_lshrrev_b32_e32 v4, 20, v3
	v_and_b32_e32 v3, 0xff00000, v3
	s_mov_b32 s33, 0x7f00000
	v_mov_b32_e32 v5, 0x7e
	v_cmp_ne_u32_e32 vcc, s33, v3
	v_cndmask_b32_e32 v4, v5, v4, vcc
                                        ; implicit-def: $vgpr3
; %bb.2889:
	s_andn2_saveexec_b64 s[70:71], s[70:71]
; %bb.2890:
	v_add_f32_e32 v4, 0x46800000, v3
; %bb.2891:
	s_or_b64 exec, exec, s[70:71]
                                        ; implicit-def: $vgpr3
.LBB254_2892:
	s_andn2_saveexec_b64 s[68:69], s[68:69]
; %bb.2893:
	s_mov_b32 s33, 0x7f800000
	v_mov_b32_e32 v4, 0x7e
	v_mov_b32_e32 v5, 0x7f
	v_cmp_lt_u32_e32 vcc, s33, v3
	v_cndmask_b32_e32 v4, v4, v5, vcc
; %bb.2894:
	s_or_b64 exec, exec, s[68:69]
	flat_store_byte v[1:2], v4
.LBB254_2895:
	s_or_b64 exec, exec, s[66:67]
.LBB254_2896:
	s_andn2_saveexec_b64 s[64:65], s[64:65]
	s_cbranch_execz .LBB254_2906
; %bb.2897:
	v_cndmask_b32_e64 v3, 0, 1.0, s[40:41]
	s_mov_b32 s33, 0x47800000
	v_cmp_gt_u32_e32 vcc, s33, v3
                                        ; implicit-def: $vgpr4
	s_and_saveexec_b64 s[66:67], vcc
	s_xor_b64 s[66:67], exec, s[66:67]
	s_cbranch_execz .LBB254_2903
; %bb.2898:
	s_mov_b32 s33, 0x387fffff
	v_cmp_lt_u32_e32 vcc, s33, v3
                                        ; implicit-def: $vgpr4
	s_and_saveexec_b64 s[68:69], vcc
	s_xor_b64 s[68:69], exec, s[68:69]
; %bb.2899:
	v_bfe_u32 v4, v3, 21, 1
	s_mov_b32 s33, 0x80fffff
	v_add3_u32 v3, v3, v4, s33
	v_lshrrev_b32_e32 v4, 21, v3
                                        ; implicit-def: $vgpr3
; %bb.2900:
	s_andn2_saveexec_b64 s[68:69], s[68:69]
; %bb.2901:
	v_add_f32_e32 v4, 0x43000000, v3
; %bb.2902:
	s_or_b64 exec, exec, s[68:69]
                                        ; implicit-def: $vgpr3
.LBB254_2903:
	s_andn2_saveexec_b64 s[66:67], s[66:67]
; %bb.2904:
	s_mov_b32 s33, 0x7f800000
	v_mov_b32_e32 v4, 0x7c
	v_mov_b32_e32 v5, 0x7f
	v_cmp_lt_u32_e32 vcc, s33, v3
	v_cndmask_b32_e32 v4, v4, v5, vcc
; %bb.2905:
	s_or_b64 exec, exec, s[66:67]
	flat_store_byte v[1:2], v4
.LBB254_2906:
	s_or_b64 exec, exec, s[64:65]
	s_or_b64 s[64:65], s[4:5], exec
                                        ; implicit-def: $vgpr3
.LBB254_2907:
	s_or_saveexec_b64 s[60:61], s[60:61]
	s_mov_b64 s[68:69], 0
	s_mov_b64 s[66:67], s[56:57]
	s_xor_b64 exec, exec, s[60:61]
	s_cbranch_execz .LBB254_2915
; %bb.2908:
	v_cmp_lt_i16_e32 vcc, 14, v3
	s_mov_b64 s[66:67], s[56:57]
	s_mov_b64 s[68:69], s[64:65]
	s_and_saveexec_b64 s[70:71], vcc
	s_xor_b64 s[70:71], exec, s[70:71]
	s_cbranch_execz .LBB254_2912
; %bb.2909:
	v_cmp_eq_u16_e32 vcc, 15, v3
	s_mov_b64 s[66:67], -1
	s_mov_b64 s[72:73], s[64:65]
	s_and_saveexec_b64 s[68:69], vcc
	s_cbranch_execz .LBB254_2911
; %bb.2910:
	v_cndmask_b32_e64 v3, 0, 1.0, s[40:41]
	v_bfe_u32 v4, v3, 16, 1
	s_movk_i32 s33, 0x7fff
	v_add3_u32 v3, v3, v4, s33
	flat_store_short_d16_hi v[1:2], v3
	s_or_b64 s[72:73], s[64:65], exec
	s_xor_b64 s[66:67], exec, -1
.LBB254_2911:
	s_or_b64 exec, exec, s[68:69]
	s_andn2_b64 s[68:69], s[64:65], exec
	s_and_b64 s[72:73], s[72:73], exec
	s_or_b64 s[68:69], s[68:69], s[72:73]
	s_andn2_b64 s[72:73], s[56:57], exec
	s_and_b64 s[66:67], s[66:67], exec
	s_or_b64 s[66:67], s[72:73], s[66:67]
                                        ; implicit-def: $vgpr3
.LBB254_2912:
	s_or_saveexec_b64 s[70:71], s[70:71]
	s_mov_b64 s[72:73], 0
	s_xor_b64 exec, exec, s[70:71]
; %bb.2913:
	v_cmp_ne_u16_e32 vcc, 11, v3
	s_andn2_b64 s[66:67], s[66:67], exec
	s_and_b64 s[74:75], vcc, exec
	s_mov_b64 s[72:73], exec
	s_or_b64 s[66:67], s[66:67], s[74:75]
; %bb.2914:
	s_or_b64 exec, exec, s[70:71]
	s_andn2_b64 s[64:65], s[64:65], exec
	s_and_b64 s[68:69], s[68:69], exec
	s_andn2_b64 s[70:71], s[56:57], exec
	s_and_b64 s[66:67], s[66:67], exec
	s_or_b64 s[64:65], s[64:65], s[68:69]
	s_and_b64 s[68:69], s[72:73], exec
	s_or_b64 s[66:67], s[70:71], s[66:67]
.LBB254_2915:
	s_or_b64 exec, exec, s[60:61]
	s_andn2_b64 s[4:5], s[4:5], exec
	s_and_b64 s[60:61], s[64:65], exec
	s_andn2_b64 s[56:57], s[56:57], exec
	s_and_b64 s[64:65], s[66:67], exec
	s_or_b64 s[4:5], s[4:5], s[60:61]
	s_and_b64 s[60:61], s[68:69], exec
	s_or_b64 s[56:57], s[56:57], s[64:65]
	s_or_b64 exec, exec, s[62:63]
	s_mov_b64 s[62:63], s[54:55]
	s_and_saveexec_b64 s[64:65], s[56:57]
	s_cbranch_execz .LBB254_2029
.LBB254_2916:
	s_trap 2
	s_or_b64 s[62:63], s[54:55], exec
	s_andn2_b64 s[60:61], s[60:61], exec
	s_or_b64 exec, exec, s[64:65]
	s_and_saveexec_b64 s[56:57], s[60:61]
	s_xor_b64 s[56:57], exec, s[56:57]
	s_cbranch_execnz .LBB254_2030
	s_branch .LBB254_2031
.LBB254_2917:
	s_andn2_saveexec_b64 s[54:55], s[4:5]
	s_cbranch_execz .LBB254_2446
.LBB254_2918:
	s_mov_b32 s4, 0x42800000
	v_add_f32_e64 v12, |v13|, s4
	v_and_b32_e32 v15, 0xff, v12
	v_cmp_ne_u32_e64 s[4:5], 0, v15
	s_andn2_b64 s[52:53], s[52:53], exec
	s_and_b64 s[4:5], s[4:5], exec
	s_or_b64 s[52:53], s[52:53], s[4:5]
	s_or_b64 exec, exec, s[54:55]
	v_mov_b32_e32 v12, 0
	s_and_saveexec_b64 s[4:5], s[52:53]
	s_cbranch_execnz .LBB254_2447
	s_branch .LBB254_2448
.LBB254_2919:
	s_andn2_saveexec_b64 s[56:57], s[4:5]
	s_cbranch_execz .LBB254_2466
.LBB254_2920:
	s_mov_b32 s4, 0x42800000
	v_add_f32_e64 v12, |v16|, s4
	v_and_b32_e32 v15, 0xff, v12
	v_cmp_ne_u32_e64 s[4:5], 0, v15
	s_andn2_b64 s[54:55], s[54:55], exec
	s_and_b64 s[4:5], s[4:5], exec
	s_or_b64 s[54:55], s[54:55], s[4:5]
	s_or_b64 exec, exec, s[56:57]
	v_mov_b32_e32 v12, 0
	s_and_saveexec_b64 s[4:5], s[54:55]
	s_cbranch_execnz .LBB254_2467
	s_branch .LBB254_2468
.LBB254_2921:
	s_andn2_saveexec_b64 s[58:59], s[4:5]
	s_cbranch_execz .LBB254_2546
.LBB254_2922:
	s_mov_b32 s4, 0x42800000
	v_add_f32_e64 v10, |v3|, s4
	v_and_b32_e32 v11, 0xff, v10
	v_cmp_ne_u32_e64 s[4:5], 0, v11
	s_andn2_b64 s[56:57], s[56:57], exec
	s_and_b64 s[4:5], s[4:5], exec
	s_or_b64 s[56:57], s[56:57], s[4:5]
	s_or_b64 exec, exec, s[58:59]
	v_mov_b32_e32 v10, 0
	s_and_saveexec_b64 s[4:5], s[56:57]
	s_cbranch_execnz .LBB254_2547
	s_branch .LBB254_2548
.LBB254_2923:
	s_andn2_saveexec_b64 s[54:55], s[4:5]
	s_cbranch_execz .LBB254_1206
.LBB254_2924:
	s_mov_b32 s4, 0x42800000
	v_add_f32_e64 v12, |v13|, s4
	v_and_b32_e32 v15, 0xff, v12
	v_cmp_ne_u32_e64 s[4:5], 0, v15
	s_andn2_b64 s[52:53], s[52:53], exec
	s_and_b64 s[4:5], s[4:5], exec
	s_or_b64 s[52:53], s[52:53], s[4:5]
	s_or_b64 exec, exec, s[54:55]
	v_mov_b32_e32 v12, 0
	s_and_saveexec_b64 s[4:5], s[52:53]
	s_cbranch_execnz .LBB254_1207
	s_branch .LBB254_1208
.LBB254_2925:
	s_andn2_saveexec_b64 s[58:59], s[4:5]
	s_cbranch_execz .LBB254_1216
.LBB254_2926:
	v_add_f32_e32 v12, 0x42800000, v15
	v_and_b32_e32 v13, 0xff, v12
	v_cmp_ne_u32_e64 s[4:5], 0, v13
	s_andn2_b64 s[56:57], s[56:57], exec
	s_and_b64 s[4:5], s[4:5], exec
	s_or_b64 s[56:57], s[56:57], s[4:5]
	s_or_b64 exec, exec, s[58:59]
	v_mov_b32_e32 v12, 0
	s_and_saveexec_b64 s[4:5], s[56:57]
	s_cbranch_execnz .LBB254_1217
	s_branch .LBB254_1218
.LBB254_2927:
	s_andn2_saveexec_b64 s[62:63], s[4:5]
	s_cbranch_execz .LBB254_1445
.LBB254_2928:
	v_add_f32_e32 v3, 0x42800000, v11
	v_and_b32_e32 v3, 0xff, v3
	v_cmp_ne_u32_e64 s[4:5], 0, v3
	s_andn2_b64 s[60:61], s[60:61], exec
	s_and_b64 s[4:5], s[4:5], exec
	s_or_b64 s[60:61], s[60:61], s[4:5]
	s_or_b64 exec, exec, s[62:63]
	v_mov_b32_e32 v10, 0
	s_and_saveexec_b64 s[4:5], s[60:61]
	s_cbranch_execnz .LBB254_1446
	s_branch .LBB254_1447
.LBB254_2929:
	s_andn2_saveexec_b64 s[62:63], s[4:5]
	s_cbranch_execz .LBB254_1457
.LBB254_2930:
	v_add_f32_e32 v3, 0x42800000, v11
	v_and_b32_e32 v3, 0xff, v3
	v_cmp_ne_u32_e64 s[4:5], 0, v3
	s_andn2_b64 s[60:61], s[60:61], exec
	s_and_b64 s[4:5], s[4:5], exec
	s_or_b64 s[60:61], s[60:61], s[4:5]
	s_or_b64 exec, exec, s[62:63]
	v_mov_b32_e32 v10, 0
	s_and_saveexec_b64 s[4:5], s[60:61]
	s_cbranch_execnz .LBB254_1458
	s_branch .LBB254_1459
.LBB254_2931:
	s_andn2_saveexec_b64 s[62:63], s[4:5]
	s_cbranch_execz .LBB254_1465
.LBB254_2932:
	v_add_f32_e32 v3, 0x42800000, v11
	v_and_b32_e32 v3, 0xff, v3
	v_cmp_ne_u32_e64 s[4:5], 0, v3
	s_andn2_b64 s[60:61], s[60:61], exec
	s_and_b64 s[4:5], s[4:5], exec
	s_or_b64 s[60:61], s[60:61], s[4:5]
	s_or_b64 exec, exec, s[62:63]
	v_mov_b32_e32 v10, 0
	s_and_saveexec_b64 s[4:5], s[60:61]
	s_cbranch_execnz .LBB254_1466
	s_branch .LBB254_1467
.LBB254_2933:
	s_andn2_saveexec_b64 s[60:61], s[4:5]
	s_cbranch_execz .LBB254_1504
.LBB254_2934:
	s_mov_b32 s4, 0x42800000
	v_add_f32_e64 v8, |v3|, s4
	v_and_b32_e32 v8, 0xff, v8
	v_cmp_ne_u32_e64 s[4:5], 0, v8
	s_andn2_b64 s[58:59], s[58:59], exec
	s_and_b64 s[4:5], s[4:5], exec
	s_or_b64 s[58:59], s[58:59], s[4:5]
	s_or_b64 exec, exec, s[60:61]
	v_mov_b32_e32 v10, 0
	s_and_saveexec_b64 s[4:5], s[58:59]
	s_cbranch_execnz .LBB254_1505
	s_branch .LBB254_1506
.LBB254_2935:
	s_andn2_saveexec_b64 s[60:61], s[4:5]
	s_cbranch_execz .LBB254_1512
.LBB254_2936:
	s_mov_b32 s4, 0x42800000
	v_add_f32_e64 v8, |v3|, s4
	v_and_b32_e32 v8, 0xff, v8
	v_cmp_ne_u32_e64 s[4:5], 0, v8
	s_andn2_b64 s[58:59], s[58:59], exec
	s_and_b64 s[4:5], s[4:5], exec
	s_or_b64 s[58:59], s[58:59], s[4:5]
	s_or_b64 exec, exec, s[60:61]
	v_mov_b32_e32 v10, 0
	s_and_saveexec_b64 s[4:5], s[58:59]
	s_cbranch_execnz .LBB254_1513
	s_branch .LBB254_1514
.LBB254_2937:
	s_andn2_saveexec_b64 s[60:61], s[4:5]
	s_cbranch_execz .LBB254_1532
.LBB254_2938:
	s_mov_b32 s4, 0x42800000
	v_add_f32_e64 v8, |v3|, s4
	v_and_b32_e32 v8, 0xff, v8
	v_cmp_ne_u32_e64 s[4:5], 0, v8
	s_andn2_b64 s[58:59], s[58:59], exec
	s_and_b64 s[4:5], s[4:5], exec
	s_or_b64 s[58:59], s[58:59], s[4:5]
	s_or_b64 exec, exec, s[60:61]
	v_mov_b32_e32 v10, 0
	s_and_saveexec_b64 s[4:5], s[58:59]
	s_cbranch_execnz .LBB254_1533
	s_branch .LBB254_1534
.LBB254_2939:
	s_andn2_saveexec_b64 s[60:61], s[4:5]
	s_cbranch_execz .LBB254_1540
.LBB254_2940:
	s_mov_b32 s4, 0x42800000
	v_add_f32_e64 v8, |v3|, s4
	v_and_b32_e32 v8, 0xff, v8
	v_cmp_ne_u32_e64 s[4:5], 0, v8
	s_andn2_b64 s[58:59], s[58:59], exec
	s_and_b64 s[4:5], s[4:5], exec
	s_or_b64 s[58:59], s[58:59], s[4:5]
	s_or_b64 exec, exec, s[60:61]
	v_mov_b32_e32 v10, 0
	s_and_saveexec_b64 s[4:5], s[58:59]
	s_cbranch_execnz .LBB254_1541
	s_branch .LBB254_1542
.LBB254_2941:
	s_andn2_saveexec_b64 s[60:61], s[4:5]
	s_cbranch_execz .LBB254_1562
.LBB254_2942:
	s_mov_b32 s4, 0x42800000
	v_add_f32_e64 v8, |v3|, s4
	v_and_b32_e32 v8, 0xff, v8
	v_cmp_ne_u32_e64 s[4:5], 0, v8
	s_andn2_b64 s[58:59], s[58:59], exec
	s_and_b64 s[4:5], s[4:5], exec
	s_or_b64 s[58:59], s[58:59], s[4:5]
	s_or_b64 exec, exec, s[60:61]
	v_mov_b32_e32 v10, 0
	s_and_saveexec_b64 s[4:5], s[58:59]
	s_cbranch_execnz .LBB254_1563
	s_branch .LBB254_1564
.LBB254_2943:
	s_andn2_saveexec_b64 s[60:61], s[4:5]
	s_cbranch_execz .LBB254_1570
.LBB254_2944:
	s_mov_b32 s4, 0x42800000
	v_add_f32_e64 v8, |v3|, s4
	v_and_b32_e32 v8, 0xff, v8
	v_cmp_ne_u32_e64 s[4:5], 0, v8
	s_andn2_b64 s[58:59], s[58:59], exec
	s_and_b64 s[4:5], s[4:5], exec
	s_or_b64 s[58:59], s[58:59], s[4:5]
	s_or_b64 exec, exec, s[60:61]
	v_mov_b32_e32 v10, 0
	s_and_saveexec_b64 s[4:5], s[58:59]
	s_cbranch_execnz .LBB254_1571
	s_branch .LBB254_1572
.LBB254_2945:
	s_andn2_saveexec_b64 s[64:65], s[4:5]
	s_cbranch_execz .LBB254_1670
.LBB254_2946:
	s_mov_b32 s4, 0x42800000
	v_add_f32_e64 v3, |v1|, s4
	v_and_b32_e32 v5, 0xff, v3
	v_cmp_ne_u32_e64 s[4:5], 0, v5
	s_andn2_b64 s[62:63], s[62:63], exec
	s_and_b64 s[4:5], s[4:5], exec
	s_or_b64 s[62:63], s[62:63], s[4:5]
	s_or_b64 exec, exec, s[64:65]
	v_mov_b32_e32 v3, 0
	s_and_saveexec_b64 s[4:5], s[62:63]
	s_cbranch_execnz .LBB254_1671
	s_branch .LBB254_1672
.LBB254_2947:
	s_andn2_saveexec_b64 s[62:63], s[4:5]
	s_cbranch_execz .LBB254_1711
.LBB254_2948:
	s_mov_b32 s4, 0x42800000
	v_add_f32_e64 v3, |v1|, s4
	v_and_b32_e32 v5, 0xff, v3
	v_cmp_ne_u32_e64 s[4:5], 0, v5
	s_andn2_b64 s[60:61], s[60:61], exec
	s_and_b64 s[4:5], s[4:5], exec
	s_or_b64 s[60:61], s[60:61], s[4:5]
	s_or_b64 exec, exec, s[62:63]
	v_mov_b32_e32 v3, 0
	s_and_saveexec_b64 s[4:5], s[60:61]
	s_cbranch_execnz .LBB254_1712
	s_branch .LBB254_1713
.LBB254_2949:
	s_andn2_saveexec_b64 s[62:63], s[4:5]
	s_cbranch_execz .LBB254_1739
.LBB254_2950:
	s_mov_b32 s4, 0x42800000
	v_add_f32_e64 v3, |v1|, s4
	v_and_b32_e32 v5, 0xff, v3
	v_cmp_ne_u32_e64 s[4:5], 0, v5
	s_andn2_b64 s[60:61], s[60:61], exec
	s_and_b64 s[4:5], s[4:5], exec
	s_or_b64 s[60:61], s[60:61], s[4:5]
	s_or_b64 exec, exec, s[62:63]
	v_mov_b32_e32 v3, 0
	s_and_saveexec_b64 s[4:5], s[60:61]
	s_cbranch_execnz .LBB254_1740
	s_branch .LBB254_1741
.LBB254_2951:
	s_andn2_saveexec_b64 s[62:63], s[4:5]
	s_cbranch_execz .LBB254_1769
.LBB254_2952:
	s_mov_b32 s4, 0x42800000
	v_add_f32_e64 v3, |v1|, s4
	v_and_b32_e32 v5, 0xff, v3
	v_cmp_ne_u32_e64 s[4:5], 0, v5
	s_andn2_b64 s[60:61], s[60:61], exec
	s_and_b64 s[4:5], s[4:5], exec
	s_or_b64 s[60:61], s[60:61], s[4:5]
	s_or_b64 exec, exec, s[62:63]
	v_mov_b32_e32 v3, 0
	s_and_saveexec_b64 s[4:5], s[60:61]
	s_cbranch_execnz .LBB254_1770
	s_branch .LBB254_1771
.LBB254_2953:
	s_andn2_saveexec_b64 s[62:63], s[4:5]
	s_cbranch_execz .LBB254_1779
.LBB254_2954:
	s_mov_b32 s4, 0x42800000
	v_add_f32_e64 v3, |v1|, s4
	v_and_b32_e32 v5, 0xff, v3
	v_cmp_ne_u32_e64 s[4:5], 0, v5
	s_andn2_b64 s[60:61], s[60:61], exec
	s_and_b64 s[4:5], s[4:5], exec
	s_or_b64 s[60:61], s[60:61], s[4:5]
	s_or_b64 exec, exec, s[62:63]
	v_mov_b32_e32 v3, 0
	s_and_saveexec_b64 s[4:5], s[60:61]
	s_cbranch_execnz .LBB254_1780
	s_branch .LBB254_1781
.LBB254_2955:
	s_andn2_saveexec_b64 s[62:63], s[4:5]
	s_cbranch_execz .LBB254_1787
.LBB254_2956:
	v_add_f32_e32 v1, 0x42800000, v5
	v_and_b32_e32 v1, 0xff, v1
	v_cmp_ne_u32_e64 s[4:5], 0, v1
	s_andn2_b64 s[60:61], s[60:61], exec
	s_and_b64 s[4:5], s[4:5], exec
	s_or_b64 s[60:61], s[60:61], s[4:5]
	s_or_b64 exec, exec, s[62:63]
	v_mov_b32_e32 v3, 0
	s_and_saveexec_b64 s[4:5], s[60:61]
	s_cbranch_execnz .LBB254_1788
	s_branch .LBB254_1789
.LBB254_2957:
	s_andn2_saveexec_b64 s[60:61], s[60:61]
	s_cbranch_execz .LBB254_2112
.LBB254_2958:
	v_cmp_lt_i16_e32 vcc, 22, v16
	s_and_saveexec_b64 s[62:63], vcc
	s_xor_b64 s[62:63], exec, s[62:63]
	s_cbranch_execz .LBB254_2990
; %bb.2959:
	v_cmp_lt_i16_e32 vcc, 23, v16
	s_and_saveexec_b64 s[64:65], vcc
	s_xor_b64 s[64:65], exec, s[64:65]
	s_cbranch_execz .LBB254_2979
; %bb.2960:
	;; [unrolled: 5-line block ×3, first 2 shown]
	v_cndmask_b32_e64 v1, 0, 1.0, s[48:49]
	s_mov_b32 s33, 0x47800000
	v_cmp_gt_u32_e32 vcc, s33, v1
	v_mov_b32_e32 v2, 0x80
	s_and_saveexec_b64 s[68:69], vcc
	s_cbranch_execz .LBB254_2967
; %bb.2962:
	s_mov_b32 s33, 0x37ffffff
	v_cmp_lt_u32_e32 vcc, s33, v1
	s_mov_b64 s[70:71], 0
                                        ; implicit-def: $vgpr0
	s_and_saveexec_b64 s[72:73], vcc
	s_xor_b64 s[72:73], exec, s[72:73]
	s_cbranch_execz .LBB254_3050
; %bb.2963:
	v_bfe_u32 v0, v1, 21, 1
	s_mov_b32 s33, 0x88fffff
	v_add3_u32 v0, v1, v0, s33
	s_mov_b64 s[70:71], exec
	v_lshrrev_b32_e32 v0, 21, v0
                                        ; implicit-def: $vgpr1
	s_andn2_saveexec_b64 s[72:73], s[72:73]
	s_cbranch_execnz .LBB254_3051
.LBB254_2964:
	s_or_b64 exec, exec, s[72:73]
	v_mov_b32_e32 v2, 0
	s_and_saveexec_b64 s[72:73], s[70:71]
.LBB254_2965:
	v_mov_b32_e32 v2, v0
.LBB254_2966:
	s_or_b64 exec, exec, s[72:73]
.LBB254_2967:
	s_or_b64 exec, exec, s[68:69]
	flat_store_byte v[21:22], v2
.LBB254_2968:
	s_andn2_saveexec_b64 s[66:67], s[66:67]
	s_cbranch_execz .LBB254_2978
; %bb.2969:
	v_cndmask_b32_e64 v0, 0, 1.0, s[48:49]
	s_mov_b32 s33, 0x43f00000
	v_cmp_gt_u32_e32 vcc, s33, v0
                                        ; implicit-def: $vgpr1
	s_and_saveexec_b64 s[68:69], vcc
	s_xor_b64 s[68:69], exec, s[68:69]
	s_cbranch_execz .LBB254_2975
; %bb.2970:
	s_mov_b32 s33, 0x3c7fffff
	v_cmp_lt_u32_e32 vcc, s33, v0
                                        ; implicit-def: $vgpr1
	s_and_saveexec_b64 s[70:71], vcc
	s_xor_b64 s[70:71], exec, s[70:71]
; %bb.2971:
	v_bfe_u32 v1, v0, 20, 1
	s_mov_b32 s33, 0x407ffff
	v_add3_u32 v0, v0, v1, s33
	v_lshrrev_b32_e32 v1, 20, v0
	v_and_b32_e32 v0, 0xff00000, v0
	s_mov_b32 s33, 0x7f00000
	v_mov_b32_e32 v2, 0x7e
	v_cmp_ne_u32_e32 vcc, s33, v0
	v_cndmask_b32_e32 v1, v2, v1, vcc
                                        ; implicit-def: $vgpr0
; %bb.2972:
	s_andn2_saveexec_b64 s[70:71], s[70:71]
; %bb.2973:
	v_add_f32_e32 v1, 0x46800000, v0
; %bb.2974:
	s_or_b64 exec, exec, s[70:71]
                                        ; implicit-def: $vgpr0
.LBB254_2975:
	s_andn2_saveexec_b64 s[68:69], s[68:69]
; %bb.2976:
	s_mov_b32 s33, 0x7f800000
	v_mov_b32_e32 v1, 0x7e
	v_mov_b32_e32 v2, 0x7f
	v_cmp_lt_u32_e32 vcc, s33, v0
	v_cndmask_b32_e32 v1, v1, v2, vcc
; %bb.2977:
	s_or_b64 exec, exec, s[68:69]
	flat_store_byte v[21:22], v1
.LBB254_2978:
	s_or_b64 exec, exec, s[66:67]
.LBB254_2979:
	s_andn2_saveexec_b64 s[64:65], s[64:65]
	s_cbranch_execz .LBB254_2989
; %bb.2980:
	v_cndmask_b32_e64 v0, 0, 1.0, s[48:49]
	s_mov_b32 s33, 0x47800000
	v_cmp_gt_u32_e32 vcc, s33, v0
                                        ; implicit-def: $vgpr1
	s_and_saveexec_b64 s[66:67], vcc
	s_xor_b64 s[66:67], exec, s[66:67]
	s_cbranch_execz .LBB254_2986
; %bb.2981:
	s_mov_b32 s33, 0x387fffff
	v_cmp_lt_u32_e32 vcc, s33, v0
                                        ; implicit-def: $vgpr1
	s_and_saveexec_b64 s[68:69], vcc
	s_xor_b64 s[68:69], exec, s[68:69]
; %bb.2982:
	v_bfe_u32 v1, v0, 21, 1
	s_mov_b32 s33, 0x80fffff
	v_add3_u32 v0, v0, v1, s33
	v_lshrrev_b32_e32 v1, 21, v0
                                        ; implicit-def: $vgpr0
; %bb.2983:
	s_andn2_saveexec_b64 s[68:69], s[68:69]
; %bb.2984:
	v_add_f32_e32 v1, 0x43000000, v0
; %bb.2985:
	s_or_b64 exec, exec, s[68:69]
                                        ; implicit-def: $vgpr0
.LBB254_2986:
	s_andn2_saveexec_b64 s[66:67], s[66:67]
; %bb.2987:
	s_mov_b32 s33, 0x7f800000
	v_mov_b32_e32 v1, 0x7c
	v_mov_b32_e32 v2, 0x7f
	v_cmp_lt_u32_e32 vcc, s33, v0
	v_cndmask_b32_e32 v1, v1, v2, vcc
; %bb.2988:
	s_or_b64 exec, exec, s[66:67]
	flat_store_byte v[21:22], v1
.LBB254_2989:
	s_or_b64 exec, exec, s[64:65]
.LBB254_2990:
	s_or_saveexec_b64 s[62:63], s[62:63]
	s_mov_b64 s[66:67], 0
	s_mov_b64 s[64:65], s[4:5]
	s_xor_b64 exec, exec, s[62:63]
	s_cbranch_execz .LBB254_2998
; %bb.2991:
	v_cmp_lt_i16_e32 vcc, 14, v16
	s_mov_b64 s[64:65], s[4:5]
	s_and_saveexec_b64 s[66:67], vcc
	s_xor_b64 s[66:67], exec, s[66:67]
	s_cbranch_execz .LBB254_2995
; %bb.2992:
	v_cmp_eq_u16_e32 vcc, 15, v16
	s_mov_b64 s[68:69], -1
	s_and_saveexec_b64 s[64:65], vcc
	s_cbranch_execz .LBB254_2994
; %bb.2993:
	v_cndmask_b32_e64 v0, 0, 1.0, s[48:49]
	v_bfe_u32 v1, v0, 16, 1
	s_movk_i32 s33, 0x7fff
	v_add3_u32 v0, v0, v1, s33
	flat_store_short_d16_hi v[21:22], v0
	s_xor_b64 s[68:69], exec, -1
.LBB254_2994:
	s_or_b64 exec, exec, s[64:65]
	s_andn2_b64 s[64:65], s[4:5], exec
	s_and_b64 s[68:69], s[68:69], exec
	s_or_b64 s[64:65], s[64:65], s[68:69]
.LBB254_2995:
	s_or_saveexec_b64 s[66:67], s[66:67]
	s_mov_b64 s[68:69], 0
	s_xor_b64 exec, exec, s[66:67]
; %bb.2996:
	v_cmp_ne_u16_e32 vcc, 11, v16
	s_andn2_b64 s[64:65], s[64:65], exec
	s_and_b64 s[70:71], vcc, exec
	s_mov_b64 s[68:69], exec
	s_or_b64 s[64:65], s[64:65], s[70:71]
; %bb.2997:
	s_or_b64 exec, exec, s[66:67]
	s_and_b64 s[66:67], s[68:69], exec
	s_andn2_b64 s[68:69], s[4:5], exec
	s_and_b64 s[64:65], s[64:65], exec
	s_or_b64 s[64:65], s[68:69], s[64:65]
.LBB254_2998:
	s_or_b64 exec, exec, s[62:63]
	s_andn2_b64 s[4:5], s[4:5], exec
	s_and_b64 s[64:65], s[64:65], exec
	s_and_b64 s[62:63], s[66:67], exec
	s_or_b64 s[4:5], s[4:5], s[64:65]
	s_or_b64 exec, exec, s[60:61]
	s_mov_b64 s[64:65], s[56:57]
	s_and_saveexec_b64 s[60:61], s[4:5]
	s_cbranch_execz .LBB254_2113
.LBB254_2999:
	s_andn2_b64 s[62:63], s[62:63], exec
	s_or_b64 s[64:65], s[56:57], exec
	s_trap 2
	s_branch .LBB254_2113
.LBB254_3000:
	s_andn2_saveexec_b64 s[60:61], s[4:5]
	s_cbranch_execz .LBB254_2537
.LBB254_3001:
	s_mov_b32 s4, 0x42800000
	v_add_f32_e64 v10, |v3|, s4
	v_and_b32_e32 v11, 0xff, v10
	v_cmp_ne_u32_e64 s[4:5], 0, v11
	s_andn2_b64 s[58:59], s[58:59], exec
	s_and_b64 s[4:5], s[4:5], exec
	s_or_b64 s[58:59], s[58:59], s[4:5]
	s_or_b64 exec, exec, s[60:61]
	v_mov_b32_e32 v10, 0
	s_and_saveexec_b64 s[4:5], s[58:59]
	s_cbranch_execnz .LBB254_2538
	s_branch .LBB254_2539
.LBB254_3002:
	s_andn2_saveexec_b64 s[62:63], s[4:5]
	s_cbranch_execz .LBB254_2557
.LBB254_3003:
	s_mov_b32 s4, 0x42800000
	v_add_f32_e64 v10, |v12|, s4
	v_and_b32_e32 v11, 0xff, v10
	v_cmp_ne_u32_e64 s[4:5], 0, v11
	s_andn2_b64 s[60:61], s[60:61], exec
	s_and_b64 s[4:5], s[4:5], exec
	s_or_b64 s[60:61], s[60:61], s[4:5]
	s_or_b64 exec, exec, s[62:63]
	v_mov_b32_e32 v10, 0
	s_and_saveexec_b64 s[4:5], s[60:61]
	s_cbranch_execnz .LBB254_2558
	s_branch .LBB254_2559
.LBB254_3004:
	s_andn2_saveexec_b64 s[62:63], s[4:5]
	s_cbranch_execz .LBB254_2629
.LBB254_3005:
	s_mov_b32 s4, 0x42800000
	v_add_f32_e64 v3, |v1|, s4
	v_and_b32_e32 v5, 0xff, v3
	v_cmp_ne_u32_e64 s[4:5], 0, v5
	s_andn2_b64 s[60:61], s[60:61], exec
	s_and_b64 s[4:5], s[4:5], exec
	s_or_b64 s[60:61], s[60:61], s[4:5]
	s_or_b64 exec, exec, s[62:63]
	v_mov_b32_e32 v3, 0
	s_and_saveexec_b64 s[4:5], s[60:61]
	s_cbranch_execnz .LBB254_2630
	s_branch .LBB254_2631
.LBB254_3006:
	s_andn2_saveexec_b64 s[60:61], s[4:5]
	s_cbranch_execz .LBB254_1424
.LBB254_3007:
	s_mov_b32 s4, 0x42800000
	v_add_f32_e64 v10, |v3|, s4
	v_and_b32_e32 v11, 0xff, v10
	v_cmp_ne_u32_e64 s[4:5], 0, v11
	s_andn2_b64 s[58:59], s[58:59], exec
	s_and_b64 s[4:5], s[4:5], exec
	s_or_b64 s[58:59], s[58:59], s[4:5]
	s_or_b64 exec, exec, s[60:61]
	v_mov_b32_e32 v10, 0
	s_and_saveexec_b64 s[4:5], s[58:59]
	s_cbranch_execnz .LBB254_1425
	s_branch .LBB254_1426
.LBB254_3008:
	s_andn2_saveexec_b64 s[64:65], s[4:5]
	s_cbranch_execz .LBB254_1434
.LBB254_3009:
	v_add_f32_e32 v3, 0x42800000, v11
	v_and_b32_e32 v3, 0xff, v3
	v_cmp_ne_u32_e64 s[4:5], 0, v3
	s_andn2_b64 s[62:63], s[62:63], exec
	s_and_b64 s[4:5], s[4:5], exec
	s_or_b64 s[62:63], s[62:63], s[4:5]
	s_or_b64 exec, exec, s[64:65]
	v_mov_b32_e32 v10, 0
	s_and_saveexec_b64 s[4:5], s[62:63]
	s_cbranch_execnz .LBB254_1435
	s_branch .LBB254_1436
.LBB254_3010:
	s_andn2_saveexec_b64 s[66:67], s[4:5]
	s_cbranch_execz .LBB254_1635
.LBB254_3011:
	v_add_f32_e32 v1, 0x42800000, v5
	v_and_b32_e32 v1, 0xff, v1
	v_cmp_ne_u32_e64 s[4:5], 0, v1
	s_andn2_b64 s[64:65], s[64:65], exec
	s_and_b64 s[4:5], s[4:5], exec
	s_or_b64 s[64:65], s[64:65], s[4:5]
	s_or_b64 exec, exec, s[66:67]
	v_mov_b32_e32 v3, 0
	s_and_saveexec_b64 s[4:5], s[64:65]
	s_cbranch_execnz .LBB254_1636
	s_branch .LBB254_1637
.LBB254_3012:
	s_andn2_saveexec_b64 s[66:67], s[4:5]
	s_cbranch_execz .LBB254_1647
.LBB254_3013:
	v_add_f32_e32 v1, 0x42800000, v5
	v_and_b32_e32 v1, 0xff, v1
	v_cmp_ne_u32_e64 s[4:5], 0, v1
	s_andn2_b64 s[64:65], s[64:65], exec
	s_and_b64 s[4:5], s[4:5], exec
	s_or_b64 s[64:65], s[64:65], s[4:5]
	s_or_b64 exec, exec, s[66:67]
	v_mov_b32_e32 v3, 0
	s_and_saveexec_b64 s[4:5], s[64:65]
	s_cbranch_execnz .LBB254_1648
	s_branch .LBB254_1649
.LBB254_3014:
	s_andn2_saveexec_b64 s[66:67], s[4:5]
	s_cbranch_execz .LBB254_1655
.LBB254_3015:
	v_add_f32_e32 v1, 0x42800000, v5
	v_and_b32_e32 v1, 0xff, v1
	v_cmp_ne_u32_e64 s[4:5], 0, v1
	s_andn2_b64 s[64:65], s[64:65], exec
	s_and_b64 s[4:5], s[4:5], exec
	s_or_b64 s[64:65], s[64:65], s[4:5]
	s_or_b64 exec, exec, s[66:67]
	v_mov_b32_e32 v3, 0
	s_and_saveexec_b64 s[4:5], s[64:65]
	s_cbranch_execnz .LBB254_1656
	s_branch .LBB254_1657
.LBB254_3016:
	s_andn2_saveexec_b64 s[64:65], s[4:5]
	s_cbranch_execz .LBB254_1694
.LBB254_3017:
	s_mov_b32 s4, 0x42800000
	v_add_f32_e64 v3, |v1|, s4
	v_and_b32_e32 v5, 0xff, v3
	v_cmp_ne_u32_e64 s[4:5], 0, v5
	s_andn2_b64 s[62:63], s[62:63], exec
	s_and_b64 s[4:5], s[4:5], exec
	s_or_b64 s[62:63], s[62:63], s[4:5]
	s_or_b64 exec, exec, s[64:65]
	v_mov_b32_e32 v3, 0
	s_and_saveexec_b64 s[4:5], s[62:63]
	s_cbranch_execnz .LBB254_1695
	s_branch .LBB254_1696
.LBB254_3018:
	s_andn2_saveexec_b64 s[64:65], s[4:5]
	s_cbranch_execz .LBB254_1702
.LBB254_3019:
	s_mov_b32 s4, 0x42800000
	v_add_f32_e64 v3, |v1|, s4
	v_and_b32_e32 v5, 0xff, v3
	v_cmp_ne_u32_e64 s[4:5], 0, v5
	s_andn2_b64 s[62:63], s[62:63], exec
	s_and_b64 s[4:5], s[4:5], exec
	s_or_b64 s[62:63], s[62:63], s[4:5]
	s_or_b64 exec, exec, s[64:65]
	v_mov_b32_e32 v3, 0
	s_and_saveexec_b64 s[4:5], s[62:63]
	s_cbranch_execnz .LBB254_1703
	s_branch .LBB254_1704
.LBB254_3020:
	s_andn2_saveexec_b64 s[64:65], s[4:5]
	s_cbranch_execz .LBB254_1722
.LBB254_3021:
	s_mov_b32 s4, 0x42800000
	v_add_f32_e64 v3, |v1|, s4
	v_and_b32_e32 v5, 0xff, v3
	v_cmp_ne_u32_e64 s[4:5], 0, v5
	s_andn2_b64 s[62:63], s[62:63], exec
	s_and_b64 s[4:5], s[4:5], exec
	s_or_b64 s[62:63], s[62:63], s[4:5]
	s_or_b64 exec, exec, s[64:65]
	v_mov_b32_e32 v3, 0
	s_and_saveexec_b64 s[4:5], s[62:63]
	s_cbranch_execnz .LBB254_1723
	s_branch .LBB254_1724
.LBB254_3022:
	s_andn2_saveexec_b64 s[64:65], s[4:5]
	s_cbranch_execz .LBB254_1730
.LBB254_3023:
	s_mov_b32 s4, 0x42800000
	v_add_f32_e64 v3, |v1|, s4
	v_and_b32_e32 v5, 0xff, v3
	v_cmp_ne_u32_e64 s[4:5], 0, v5
	s_andn2_b64 s[62:63], s[62:63], exec
	s_and_b64 s[4:5], s[4:5], exec
	s_or_b64 s[62:63], s[62:63], s[4:5]
	s_or_b64 exec, exec, s[64:65]
	v_mov_b32_e32 v3, 0
	s_and_saveexec_b64 s[4:5], s[62:63]
	s_cbranch_execnz .LBB254_1731
	s_branch .LBB254_1732
.LBB254_3024:
	s_andn2_saveexec_b64 s[64:65], s[4:5]
	s_cbranch_execz .LBB254_1752
.LBB254_3025:
	s_mov_b32 s4, 0x42800000
	v_add_f32_e64 v3, |v1|, s4
	v_and_b32_e32 v5, 0xff, v3
	v_cmp_ne_u32_e64 s[4:5], 0, v5
	s_andn2_b64 s[62:63], s[62:63], exec
	s_and_b64 s[4:5], s[4:5], exec
	s_or_b64 s[62:63], s[62:63], s[4:5]
	s_or_b64 exec, exec, s[64:65]
	v_mov_b32_e32 v3, 0
	s_and_saveexec_b64 s[4:5], s[62:63]
	s_cbranch_execnz .LBB254_1753
	s_branch .LBB254_1754
.LBB254_3026:
	s_andn2_saveexec_b64 s[64:65], s[4:5]
	s_cbranch_execz .LBB254_1760
.LBB254_3027:
	s_mov_b32 s4, 0x42800000
	v_add_f32_e64 v3, |v1|, s4
	v_and_b32_e32 v5, 0xff, v3
	v_cmp_ne_u32_e64 s[4:5], 0, v5
	s_andn2_b64 s[62:63], s[62:63], exec
	s_and_b64 s[4:5], s[4:5], exec
	s_or_b64 s[62:63], s[62:63], s[4:5]
	s_or_b64 exec, exec, s[64:65]
	v_mov_b32_e32 v3, 0
	s_and_saveexec_b64 s[4:5], s[62:63]
	s_cbranch_execnz .LBB254_1761
	s_branch .LBB254_1762
.LBB254_3028:
	s_andn2_saveexec_b64 s[68:69], s[68:69]
	s_cbranch_execz .LBB254_1854
.LBB254_3029:
	v_add_f32_e32 v1, 0x46000000, v3
	v_and_b32_e32 v1, 0xff, v1
	v_cmp_ne_u32_e32 vcc, 0, v1
	s_andn2_b64 s[66:67], s[66:67], exec
	s_and_b64 s[70:71], vcc, exec
	s_or_b64 s[66:67], s[66:67], s[70:71]
	s_or_b64 exec, exec, s[68:69]
	v_mov_b32_e32 v7, 0
	s_and_saveexec_b64 s[68:69], s[66:67]
	s_cbranch_execnz .LBB254_1855
	s_branch .LBB254_1856
.LBB254_3030:
	s_andn2_saveexec_b64 s[64:65], s[4:5]
	s_cbranch_execz .LBB254_2620
.LBB254_3031:
	s_mov_b32 s4, 0x42800000
	v_add_f32_e64 v3, |v1|, s4
	v_and_b32_e32 v5, 0xff, v3
	v_cmp_ne_u32_e64 s[4:5], 0, v5
	s_andn2_b64 s[62:63], s[62:63], exec
	s_and_b64 s[4:5], s[4:5], exec
	s_or_b64 s[62:63], s[62:63], s[4:5]
	s_or_b64 exec, exec, s[64:65]
	v_mov_b32_e32 v3, 0
	s_and_saveexec_b64 s[4:5], s[62:63]
	s_cbranch_execnz .LBB254_2621
	s_branch .LBB254_2622
.LBB254_3032:
	s_andn2_saveexec_b64 s[66:67], s[4:5]
	s_cbranch_execz .LBB254_2640
.LBB254_3033:
	s_mov_b32 s4, 0x42800000
	v_add_f32_e64 v3, |v9|, s4
	v_and_b32_e32 v5, 0xff, v3
	v_cmp_ne_u32_e64 s[4:5], 0, v5
	s_andn2_b64 s[64:65], s[64:65], exec
	s_and_b64 s[4:5], s[4:5], exec
	s_or_b64 s[64:65], s[64:65], s[4:5]
	s_or_b64 exec, exec, s[66:67]
	v_mov_b32_e32 v3, 0
	s_and_saveexec_b64 s[4:5], s[64:65]
	s_cbranch_execnz .LBB254_2641
	s_branch .LBB254_2642
.LBB254_3034:
	s_andn2_saveexec_b64 s[64:65], s[4:5]
	s_cbranch_execz .LBB254_1614
.LBB254_3035:
	s_mov_b32 s4, 0x42800000
	v_add_f32_e64 v3, |v1|, s4
	v_and_b32_e32 v5, 0xff, v3
	v_cmp_ne_u32_e64 s[4:5], 0, v5
	s_andn2_b64 s[62:63], s[62:63], exec
	s_and_b64 s[4:5], s[4:5], exec
	s_or_b64 s[62:63], s[62:63], s[4:5]
	s_or_b64 exec, exec, s[64:65]
	v_mov_b32_e32 v3, 0
	s_and_saveexec_b64 s[4:5], s[62:63]
	s_cbranch_execnz .LBB254_1615
	s_branch .LBB254_1616
.LBB254_3036:
	s_andn2_saveexec_b64 s[68:69], s[4:5]
	s_cbranch_execz .LBB254_1624
.LBB254_3037:
	v_add_f32_e32 v1, 0x42800000, v5
	v_and_b32_e32 v1, 0xff, v1
	v_cmp_ne_u32_e64 s[4:5], 0, v1
	s_andn2_b64 s[66:67], s[66:67], exec
	s_and_b64 s[4:5], s[4:5], exec
	s_or_b64 s[66:67], s[66:67], s[4:5]
	s_or_b64 exec, exec, s[68:69]
	v_mov_b32_e32 v3, 0
	s_and_saveexec_b64 s[4:5], s[66:67]
	s_cbranch_execnz .LBB254_1625
	s_branch .LBB254_1626
.LBB254_3038:
	s_andn2_saveexec_b64 s[70:71], s[70:71]
	s_cbranch_execz .LBB254_1938
.LBB254_3039:
	v_add_f32_e32 v1, 0x46000000, v5
	v_and_b32_e32 v1, 0xff, v1
	v_cmp_ne_u32_e32 vcc, 0, v1
	s_andn2_b64 s[68:69], s[68:69], exec
	s_and_b64 s[72:73], vcc, exec
	s_or_b64 s[68:69], s[68:69], s[72:73]
	s_or_b64 exec, exec, s[70:71]
	v_mov_b32_e32 v6, 0
	s_and_saveexec_b64 s[70:71], s[68:69]
	s_cbranch_execnz .LBB254_1939
	s_branch .LBB254_1940
.LBB254_3040:
	s_andn2_saveexec_b64 s[68:69], s[68:69]
	s_cbranch_execz .LBB254_2709
.LBB254_3041:
	v_add_f32_e32 v1, 0x42800000, v3
	v_and_b32_e32 v1, 0xff, v1
	v_cmp_ne_u32_e32 vcc, 0, v1
	s_andn2_b64 s[66:67], s[66:67], exec
	s_and_b64 s[70:71], vcc, exec
	s_or_b64 s[66:67], s[66:67], s[70:71]
	s_or_b64 exec, exec, s[68:69]
	v_mov_b32_e32 v7, 0
	s_and_saveexec_b64 s[68:69], s[66:67]
	s_cbranch_execnz .LBB254_2710
	s_branch .LBB254_2711
.LBB254_3042:
	s_andn2_saveexec_b64 s[72:73], s[72:73]
	s_cbranch_execz .LBB254_2022
.LBB254_3043:
	v_add_f32_e32 v3, 0x46000000, v4
	v_and_b32_e32 v3, 0xff, v3
	v_cmp_ne_u32_e32 vcc, 0, v3
	s_andn2_b64 s[70:71], s[70:71], exec
	s_and_b64 s[74:75], vcc, exec
	s_or_b64 s[70:71], s[70:71], s[74:75]
	s_or_b64 exec, exec, s[72:73]
	v_mov_b32_e32 v5, 0
	s_and_saveexec_b64 s[72:73], s[70:71]
	s_cbranch_execnz .LBB254_2023
	s_branch .LBB254_2024
.LBB254_3044:
	s_andn2_saveexec_b64 s[70:71], s[70:71]
	s_cbranch_execz .LBB254_2796
.LBB254_3045:
	v_add_f32_e32 v1, 0x42800000, v5
	v_and_b32_e32 v1, 0xff, v1
	v_cmp_ne_u32_e32 vcc, 0, v1
	s_andn2_b64 s[68:69], s[68:69], exec
	s_and_b64 s[72:73], vcc, exec
	s_or_b64 s[68:69], s[68:69], s[72:73]
	s_or_b64 exec, exec, s[70:71]
	v_mov_b32_e32 v6, 0
	s_and_saveexec_b64 s[70:71], s[68:69]
	s_cbranch_execnz .LBB254_2797
	s_branch .LBB254_2798
.LBB254_3046:
	s_andn2_saveexec_b64 s[72:73], s[72:73]
	s_cbranch_execz .LBB254_2106
.LBB254_3047:
	v_add_f32_e32 v0, 0x46000000, v1
	v_and_b32_e32 v0, 0xff, v0
	v_cmp_ne_u32_e32 vcc, 0, v0
	s_andn2_b64 s[70:71], s[70:71], exec
	s_and_b64 s[74:75], vcc, exec
	s_or_b64 s[70:71], s[70:71], s[74:75]
	s_or_b64 exec, exec, s[72:73]
	v_mov_b32_e32 v2, 0
	s_and_saveexec_b64 s[72:73], s[70:71]
	s_cbranch_execnz .LBB254_2107
	s_branch .LBB254_2108
.LBB254_3048:
	s_andn2_saveexec_b64 s[72:73], s[72:73]
	s_cbranch_execz .LBB254_2881
.LBB254_3049:
	v_add_f32_e32 v3, 0x42800000, v4
	v_and_b32_e32 v3, 0xff, v3
	v_cmp_ne_u32_e32 vcc, 0, v3
	s_andn2_b64 s[70:71], s[70:71], exec
	s_and_b64 s[74:75], vcc, exec
	s_or_b64 s[70:71], s[70:71], s[74:75]
	s_or_b64 exec, exec, s[72:73]
	v_mov_b32_e32 v5, 0
	s_and_saveexec_b64 s[72:73], s[70:71]
	s_cbranch_execnz .LBB254_2882
	s_branch .LBB254_2883
.LBB254_3050:
	s_andn2_saveexec_b64 s[72:73], s[72:73]
	s_cbranch_execz .LBB254_2964
.LBB254_3051:
	v_add_f32_e32 v0, 0x42800000, v1
	v_and_b32_e32 v0, 0xff, v0
	v_cmp_ne_u32_e32 vcc, 0, v0
	s_andn2_b64 s[70:71], s[70:71], exec
	s_and_b64 s[74:75], vcc, exec
	s_or_b64 s[70:71], s[70:71], s[74:75]
	s_or_b64 exec, exec, s[72:73]
	v_mov_b32_e32 v2, 0
	s_and_saveexec_b64 s[72:73], s[70:71]
	s_cbranch_execnz .LBB254_2965
	s_branch .LBB254_2966
	.section	.rodata,"a",@progbits
	.p2align	6, 0x0
	.amdhsa_kernel _ZN2at6native32elementwise_kernel_manual_unrollILi128ELi4EZNS0_15gpu_kernel_implINS0_13BinaryFunctorIN3c1015Float8_e5m2fnuzES5_bNS0_12_GLOBAL__N_116CompareEqFunctorIS5_EEEEEEvRNS_18TensorIteratorBaseERKT_EUlibE0_EEviT1_
		.amdhsa_group_segment_fixed_size 0
		.amdhsa_private_segment_fixed_size 448
		.amdhsa_kernarg_size 432
		.amdhsa_user_sgpr_count 8
		.amdhsa_user_sgpr_private_segment_buffer 1
		.amdhsa_user_sgpr_dispatch_ptr 0
		.amdhsa_user_sgpr_queue_ptr 0
		.amdhsa_user_sgpr_kernarg_segment_ptr 1
		.amdhsa_user_sgpr_dispatch_id 0
		.amdhsa_user_sgpr_flat_scratch_init 1
		.amdhsa_user_sgpr_private_segment_size 0
		.amdhsa_uses_dynamic_stack 0
		.amdhsa_system_sgpr_private_segment_wavefront_offset 1
		.amdhsa_system_sgpr_workgroup_id_x 1
		.amdhsa_system_sgpr_workgroup_id_y 0
		.amdhsa_system_sgpr_workgroup_id_z 0
		.amdhsa_system_sgpr_workgroup_info 0
		.amdhsa_system_vgpr_workitem_id 0
		.amdhsa_next_free_vgpr 28
		.amdhsa_next_free_sgpr 77
		.amdhsa_reserve_vcc 1
		.amdhsa_reserve_flat_scratch 1
		.amdhsa_float_round_mode_32 0
		.amdhsa_float_round_mode_16_64 0
		.amdhsa_float_denorm_mode_32 3
		.amdhsa_float_denorm_mode_16_64 3
		.amdhsa_dx10_clamp 1
		.amdhsa_ieee_mode 1
		.amdhsa_fp16_overflow 0
		.amdhsa_exception_fp_ieee_invalid_op 0
		.amdhsa_exception_fp_denorm_src 0
		.amdhsa_exception_fp_ieee_div_zero 0
		.amdhsa_exception_fp_ieee_overflow 0
		.amdhsa_exception_fp_ieee_underflow 0
		.amdhsa_exception_fp_ieee_inexact 0
		.amdhsa_exception_int_div_zero 0
	.end_amdhsa_kernel
	.section	.text._ZN2at6native32elementwise_kernel_manual_unrollILi128ELi4EZNS0_15gpu_kernel_implINS0_13BinaryFunctorIN3c1015Float8_e5m2fnuzES5_bNS0_12_GLOBAL__N_116CompareEqFunctorIS5_EEEEEEvRNS_18TensorIteratorBaseERKT_EUlibE0_EEviT1_,"axG",@progbits,_ZN2at6native32elementwise_kernel_manual_unrollILi128ELi4EZNS0_15gpu_kernel_implINS0_13BinaryFunctorIN3c1015Float8_e5m2fnuzES5_bNS0_12_GLOBAL__N_116CompareEqFunctorIS5_EEEEEEvRNS_18TensorIteratorBaseERKT_EUlibE0_EEviT1_,comdat
.Lfunc_end254:
	.size	_ZN2at6native32elementwise_kernel_manual_unrollILi128ELi4EZNS0_15gpu_kernel_implINS0_13BinaryFunctorIN3c1015Float8_e5m2fnuzES5_bNS0_12_GLOBAL__N_116CompareEqFunctorIS5_EEEEEEvRNS_18TensorIteratorBaseERKT_EUlibE0_EEviT1_, .Lfunc_end254-_ZN2at6native32elementwise_kernel_manual_unrollILi128ELi4EZNS0_15gpu_kernel_implINS0_13BinaryFunctorIN3c1015Float8_e5m2fnuzES5_bNS0_12_GLOBAL__N_116CompareEqFunctorIS5_EEEEEEvRNS_18TensorIteratorBaseERKT_EUlibE0_EEviT1_
                                        ; -- End function
	.set _ZN2at6native32elementwise_kernel_manual_unrollILi128ELi4EZNS0_15gpu_kernel_implINS0_13BinaryFunctorIN3c1015Float8_e5m2fnuzES5_bNS0_12_GLOBAL__N_116CompareEqFunctorIS5_EEEEEEvRNS_18TensorIteratorBaseERKT_EUlibE0_EEviT1_.num_vgpr, max(28, .L_ZNK16OffsetCalculatorILi3EjLb0EE3getEj.num_vgpr, .L_ZN2at6native6invokeINS0_13BinaryFunctorIN3c1015Float8_e5m2fnuzES4_bNS0_12_GLOBAL__N_116CompareEqFunctorIS4_EEEEj15function_traitsIS8_EEENT1_11result_typeERKT_PrKPcPKT0_PKNS3_10ScalarTypeEi.num_vgpr)
	.set _ZN2at6native32elementwise_kernel_manual_unrollILi128ELi4EZNS0_15gpu_kernel_implINS0_13BinaryFunctorIN3c1015Float8_e5m2fnuzES5_bNS0_12_GLOBAL__N_116CompareEqFunctorIS5_EEEEEEvRNS_18TensorIteratorBaseERKT_EUlibE0_EEviT1_.num_agpr, max(0, .L_ZNK16OffsetCalculatorILi3EjLb0EE3getEj.num_agpr, .L_ZN2at6native6invokeINS0_13BinaryFunctorIN3c1015Float8_e5m2fnuzES4_bNS0_12_GLOBAL__N_116CompareEqFunctorIS4_EEEEj15function_traitsIS8_EEENT1_11result_typeERKT_PrKPcPKT0_PKNS3_10ScalarTypeEi.num_agpr)
	.set _ZN2at6native32elementwise_kernel_manual_unrollILi128ELi4EZNS0_15gpu_kernel_implINS0_13BinaryFunctorIN3c1015Float8_e5m2fnuzES5_bNS0_12_GLOBAL__N_116CompareEqFunctorIS5_EEEEEEvRNS_18TensorIteratorBaseERKT_EUlibE0_EEviT1_.numbered_sgpr, max(77, .L_ZNK16OffsetCalculatorILi3EjLb0EE3getEj.numbered_sgpr, .L_ZN2at6native6invokeINS0_13BinaryFunctorIN3c1015Float8_e5m2fnuzES4_bNS0_12_GLOBAL__N_116CompareEqFunctorIS4_EEEEj15function_traitsIS8_EEENT1_11result_typeERKT_PrKPcPKT0_PKNS3_10ScalarTypeEi.numbered_sgpr)
	.set _ZN2at6native32elementwise_kernel_manual_unrollILi128ELi4EZNS0_15gpu_kernel_implINS0_13BinaryFunctorIN3c1015Float8_e5m2fnuzES5_bNS0_12_GLOBAL__N_116CompareEqFunctorIS5_EEEEEEvRNS_18TensorIteratorBaseERKT_EUlibE0_EEviT1_.num_named_barrier, max(0, .L_ZNK16OffsetCalculatorILi3EjLb0EE3getEj.num_named_barrier, .L_ZN2at6native6invokeINS0_13BinaryFunctorIN3c1015Float8_e5m2fnuzES4_bNS0_12_GLOBAL__N_116CompareEqFunctorIS4_EEEEj15function_traitsIS8_EEENT1_11result_typeERKT_PrKPcPKT0_PKNS3_10ScalarTypeEi.num_named_barrier)
	.set _ZN2at6native32elementwise_kernel_manual_unrollILi128ELi4EZNS0_15gpu_kernel_implINS0_13BinaryFunctorIN3c1015Float8_e5m2fnuzES5_bNS0_12_GLOBAL__N_116CompareEqFunctorIS5_EEEEEEvRNS_18TensorIteratorBaseERKT_EUlibE0_EEviT1_.private_seg_size, 448+max(.L_ZNK16OffsetCalculatorILi3EjLb0EE3getEj.private_seg_size, .L_ZN2at6native6invokeINS0_13BinaryFunctorIN3c1015Float8_e5m2fnuzES4_bNS0_12_GLOBAL__N_116CompareEqFunctorIS4_EEEEj15function_traitsIS8_EEENT1_11result_typeERKT_PrKPcPKT0_PKNS3_10ScalarTypeEi.private_seg_size)
	.set _ZN2at6native32elementwise_kernel_manual_unrollILi128ELi4EZNS0_15gpu_kernel_implINS0_13BinaryFunctorIN3c1015Float8_e5m2fnuzES5_bNS0_12_GLOBAL__N_116CompareEqFunctorIS5_EEEEEEvRNS_18TensorIteratorBaseERKT_EUlibE0_EEviT1_.uses_vcc, or(1, .L_ZNK16OffsetCalculatorILi3EjLb0EE3getEj.uses_vcc, .L_ZN2at6native6invokeINS0_13BinaryFunctorIN3c1015Float8_e5m2fnuzES4_bNS0_12_GLOBAL__N_116CompareEqFunctorIS4_EEEEj15function_traitsIS8_EEENT1_11result_typeERKT_PrKPcPKT0_PKNS3_10ScalarTypeEi.uses_vcc)
	.set _ZN2at6native32elementwise_kernel_manual_unrollILi128ELi4EZNS0_15gpu_kernel_implINS0_13BinaryFunctorIN3c1015Float8_e5m2fnuzES5_bNS0_12_GLOBAL__N_116CompareEqFunctorIS5_EEEEEEvRNS_18TensorIteratorBaseERKT_EUlibE0_EEviT1_.uses_flat_scratch, or(1, .L_ZNK16OffsetCalculatorILi3EjLb0EE3getEj.uses_flat_scratch, .L_ZN2at6native6invokeINS0_13BinaryFunctorIN3c1015Float8_e5m2fnuzES4_bNS0_12_GLOBAL__N_116CompareEqFunctorIS4_EEEEj15function_traitsIS8_EEENT1_11result_typeERKT_PrKPcPKT0_PKNS3_10ScalarTypeEi.uses_flat_scratch)
	.set _ZN2at6native32elementwise_kernel_manual_unrollILi128ELi4EZNS0_15gpu_kernel_implINS0_13BinaryFunctorIN3c1015Float8_e5m2fnuzES5_bNS0_12_GLOBAL__N_116CompareEqFunctorIS5_EEEEEEvRNS_18TensorIteratorBaseERKT_EUlibE0_EEviT1_.has_dyn_sized_stack, or(0, .L_ZNK16OffsetCalculatorILi3EjLb0EE3getEj.has_dyn_sized_stack, .L_ZN2at6native6invokeINS0_13BinaryFunctorIN3c1015Float8_e5m2fnuzES4_bNS0_12_GLOBAL__N_116CompareEqFunctorIS4_EEEEj15function_traitsIS8_EEENT1_11result_typeERKT_PrKPcPKT0_PKNS3_10ScalarTypeEi.has_dyn_sized_stack)
	.set _ZN2at6native32elementwise_kernel_manual_unrollILi128ELi4EZNS0_15gpu_kernel_implINS0_13BinaryFunctorIN3c1015Float8_e5m2fnuzES5_bNS0_12_GLOBAL__N_116CompareEqFunctorIS5_EEEEEEvRNS_18TensorIteratorBaseERKT_EUlibE0_EEviT1_.has_recursion, or(0, .L_ZNK16OffsetCalculatorILi3EjLb0EE3getEj.has_recursion, .L_ZN2at6native6invokeINS0_13BinaryFunctorIN3c1015Float8_e5m2fnuzES4_bNS0_12_GLOBAL__N_116CompareEqFunctorIS4_EEEEj15function_traitsIS8_EEENT1_11result_typeERKT_PrKPcPKT0_PKNS3_10ScalarTypeEi.has_recursion)
	.set _ZN2at6native32elementwise_kernel_manual_unrollILi128ELi4EZNS0_15gpu_kernel_implINS0_13BinaryFunctorIN3c1015Float8_e5m2fnuzES5_bNS0_12_GLOBAL__N_116CompareEqFunctorIS5_EEEEEEvRNS_18TensorIteratorBaseERKT_EUlibE0_EEviT1_.has_indirect_call, or(0, .L_ZNK16OffsetCalculatorILi3EjLb0EE3getEj.has_indirect_call, .L_ZN2at6native6invokeINS0_13BinaryFunctorIN3c1015Float8_e5m2fnuzES4_bNS0_12_GLOBAL__N_116CompareEqFunctorIS4_EEEEj15function_traitsIS8_EEENT1_11result_typeERKT_PrKPcPKT0_PKNS3_10ScalarTypeEi.has_indirect_call)
	.section	.AMDGPU.csdata,"",@progbits
; Kernel info:
; codeLenInByte = 72776
; TotalNumSgprs: 83
; NumVgprs: 28
; ScratchSize: 448
; MemoryBound: 0
; FloatMode: 240
; IeeeMode: 1
; LDSByteSize: 0 bytes/workgroup (compile time only)
; SGPRBlocks: 10
; VGPRBlocks: 6
; NumSGPRsForWavesPerEU: 83
; NumVGPRsForWavesPerEU: 28
; Occupancy: 9
; WaveLimiterHint : 1
; COMPUTE_PGM_RSRC2:SCRATCH_EN: 1
; COMPUTE_PGM_RSRC2:USER_SGPR: 8
; COMPUTE_PGM_RSRC2:TRAP_HANDLER: 0
; COMPUTE_PGM_RSRC2:TGID_X_EN: 1
; COMPUTE_PGM_RSRC2:TGID_Y_EN: 0
; COMPUTE_PGM_RSRC2:TGID_Z_EN: 0
; COMPUTE_PGM_RSRC2:TIDIG_COMP_CNT: 0
	.text
	.p2align	2                               ; -- Begin function _ZN2at6native25elementwise_kernel_helperILb0ENS0_13AUnaryFunctorIN3c1015Float8_e5m2fnuzES4_bNS0_12_GLOBAL__N_116CompareEqFunctorIS4_EEEENS0_6memory8policies11unroll_baseILi256ESt5arrayIPcLm2EE23TrivialOffsetCalculatorILi1EjESG_NS9_15LoadWithoutCastENS9_16StoreWithoutCastELi16ELi1EEEEEvT0_T1_
	.type	_ZN2at6native25elementwise_kernel_helperILb0ENS0_13AUnaryFunctorIN3c1015Float8_e5m2fnuzES4_bNS0_12_GLOBAL__N_116CompareEqFunctorIS4_EEEENS0_6memory8policies11unroll_baseILi256ESt5arrayIPcLm2EE23TrivialOffsetCalculatorILi1EjESG_NS9_15LoadWithoutCastENS9_16StoreWithoutCastELi16ELi1EEEEEvT0_T1_,@function
_ZN2at6native25elementwise_kernel_helperILb0ENS0_13AUnaryFunctorIN3c1015Float8_e5m2fnuzES4_bNS0_12_GLOBAL__N_116CompareEqFunctorIS4_EEEENS0_6memory8policies11unroll_baseILi256ESt5arrayIPcLm2EE23TrivialOffsetCalculatorILi1EjESG_NS9_15LoadWithoutCastENS9_16StoreWithoutCastELi16ELi1EEEEEvT0_T1_: ; @_ZN2at6native25elementwise_kernel_helperILb0ENS0_13AUnaryFunctorIN3c1015Float8_e5m2fnuzES4_bNS0_12_GLOBAL__N_116CompareEqFunctorIS4_EEEENS0_6memory8policies11unroll_baseILi256ESt5arrayIPcLm2EE23TrivialOffsetCalculatorILi1EjESG_NS9_15LoadWithoutCastENS9_16StoreWithoutCastELi16ELi1EEEEEvT0_T1_
; %bb.0:
	s_waitcnt vmcnt(0) expcnt(0) lgkmcnt(0)
	v_and_b32_e32 v9, 0x3ff, v31
	s_lshl_b32 s56, s12, 12
	v_cmp_lt_i32_e32 vcc, v9, v6
	v_mov_b32_e32 v12, 0
	v_or_b32_e32 v10, s56, v9
	v_mov_b32_e32 v11, 0
	v_mov_b32_e32 v13, 0
	;; [unrolled: 1-line block ×16, first 2 shown]
	s_and_saveexec_b64 s[6:7], vcc
	s_cbranch_execz .LBB255_32
; %bb.1:
	v_add_co_u32_e64 v7, s[4:5], v4, v10
	v_addc_co_u32_e64 v8, s[4:5], 0, v5, s[4:5]
	flat_load_ubyte v27, v[7:8]
	v_add_u32_e32 v7, 0x100, v9
	v_mov_b32_e32 v26, 0
	v_cmp_lt_u32_e64 s[4:5], v7, v6
	v_mov_b32_e32 v25, 0
	v_mov_b32_e32 v24, 0
	;; [unrolled: 1-line block ×14, first 2 shown]
	s_and_saveexec_b64 s[8:9], s[4:5]
	s_cbranch_execz .LBB255_31
; %bb.2:
	v_add_u32_e32 v7, s56, v9
	v_add_co_u32_e64 v7, s[4:5], v4, v7
	v_addc_co_u32_e64 v8, s[4:5], 0, v5, s[4:5]
	flat_load_ubyte v26, v[7:8] offset:256
	v_add_u32_e32 v11, 0x200, v9
	v_mov_b32_e32 v25, 0
	v_cmp_lt_u32_e64 s[4:5], v11, v6
	v_mov_b32_e32 v24, 0
	v_mov_b32_e32 v23, 0
	;; [unrolled: 1-line block ×13, first 2 shown]
	s_and_saveexec_b64 s[10:11], s[4:5]
	s_cbranch_execz .LBB255_30
; %bb.3:
	flat_load_ubyte v25, v[7:8] offset:512
	v_add_u32_e32 v11, 0x300, v9
	v_cmp_lt_u32_e64 s[4:5], v11, v6
	v_mov_b32_e32 v24, 0
	v_mov_b32_e32 v23, 0
	;; [unrolled: 1-line block ×13, first 2 shown]
	s_and_saveexec_b64 s[12:13], s[4:5]
	s_cbranch_execz .LBB255_29
; %bb.4:
	flat_load_ubyte v24, v[7:8] offset:768
	v_or_b32_e32 v11, 0x400, v9
	v_cmp_lt_u32_e64 s[4:5], v11, v6
	v_mov_b32_e32 v23, 0
	v_mov_b32_e32 v22, 0
	;; [unrolled: 1-line block ×12, first 2 shown]
	s_and_saveexec_b64 s[14:15], s[4:5]
	s_cbranch_execz .LBB255_28
; %bb.5:
	flat_load_ubyte v23, v[7:8] offset:1024
	v_add_u32_e32 v11, 0x500, v9
	v_cmp_lt_u32_e64 s[4:5], v11, v6
	v_mov_b32_e32 v22, 0
	v_mov_b32_e32 v21, 0
	;; [unrolled: 1-line block ×11, first 2 shown]
	s_and_saveexec_b64 s[16:17], s[4:5]
	s_cbranch_execz .LBB255_27
; %bb.6:
	flat_load_ubyte v22, v[7:8] offset:1280
	v_add_u32_e32 v11, 0x600, v9
	v_cmp_lt_u32_e64 s[4:5], v11, v6
	v_mov_b32_e32 v21, 0
	v_mov_b32_e32 v20, 0
	;; [unrolled: 1-line block ×10, first 2 shown]
	s_and_saveexec_b64 s[18:19], s[4:5]
	s_cbranch_execz .LBB255_26
; %bb.7:
	flat_load_ubyte v21, v[7:8] offset:1536
	v_add_u32_e32 v11, 0x700, v9
	v_cmp_lt_u32_e64 s[4:5], v11, v6
	v_mov_b32_e32 v20, 0
	v_mov_b32_e32 v19, 0
	;; [unrolled: 1-line block ×9, first 2 shown]
	s_and_saveexec_b64 s[20:21], s[4:5]
	s_cbranch_execz .LBB255_25
; %bb.8:
	flat_load_ubyte v20, v[7:8] offset:1792
	v_or_b32_e32 v11, 0x800, v9
	v_cmp_lt_u32_e64 s[4:5], v11, v6
	v_mov_b32_e32 v19, 0
	v_mov_b32_e32 v18, 0
	;; [unrolled: 1-line block ×8, first 2 shown]
	s_and_saveexec_b64 s[22:23], s[4:5]
	s_cbranch_execz .LBB255_24
; %bb.9:
	flat_load_ubyte v19, v[7:8] offset:2048
	v_add_u32_e32 v11, 0x900, v9
	v_cmp_lt_u32_e64 s[4:5], v11, v6
	v_mov_b32_e32 v18, 0
	v_mov_b32_e32 v17, 0
	;; [unrolled: 1-line block ×7, first 2 shown]
	s_and_saveexec_b64 s[24:25], s[4:5]
	s_cbranch_execz .LBB255_23
; %bb.10:
	flat_load_ubyte v18, v[7:8] offset:2304
	v_add_u32_e32 v11, 0xa00, v9
	v_cmp_lt_u32_e64 s[4:5], v11, v6
	v_mov_b32_e32 v17, 0
	v_mov_b32_e32 v16, 0
	;; [unrolled: 1-line block ×6, first 2 shown]
	s_and_saveexec_b64 s[26:27], s[4:5]
	s_cbranch_execz .LBB255_22
; %bb.11:
	flat_load_ubyte v17, v[7:8] offset:2560
	v_add_u32_e32 v11, 0xb00, v9
	v_cmp_lt_u32_e64 s[4:5], v11, v6
	v_mov_b32_e32 v16, 0
	v_mov_b32_e32 v15, 0
	;; [unrolled: 1-line block ×5, first 2 shown]
	s_and_saveexec_b64 s[28:29], s[4:5]
	s_cbranch_execz .LBB255_21
; %bb.12:
	flat_load_ubyte v16, v[7:8] offset:2816
	v_or_b32_e32 v11, 0xc00, v9
	v_cmp_lt_u32_e64 s[4:5], v11, v6
	v_mov_b32_e32 v15, 0
	v_mov_b32_e32 v14, 0
	;; [unrolled: 1-line block ×4, first 2 shown]
	s_and_saveexec_b64 s[40:41], s[4:5]
	s_cbranch_execz .LBB255_20
; %bb.13:
	flat_load_ubyte v15, v[7:8] offset:3072
	v_add_u32_e32 v7, 0xd00, v9
	v_cmp_lt_u32_e64 s[4:5], v7, v6
	v_mov_b32_e32 v14, 0
	v_mov_b32_e32 v13, 0
	;; [unrolled: 1-line block ×3, first 2 shown]
	s_and_saveexec_b64 s[42:43], s[4:5]
	s_cbranch_execz .LBB255_19
; %bb.14:
	v_add_u32_e32 v7, s56, v7
	v_add_co_u32_e64 v7, s[4:5], v4, v7
	v_addc_co_u32_e64 v8, s[4:5], 0, v5, s[4:5]
	flat_load_ubyte v14, v[7:8]
	v_add_u32_e32 v7, 0xe00, v9
	v_mov_b32_e32 v13, 0
	v_cmp_lt_u32_e64 s[4:5], v7, v6
	v_mov_b32_e32 v11, 0
	s_and_saveexec_b64 s[44:45], s[4:5]
	s_cbranch_execz .LBB255_18
; %bb.15:
	v_add_u32_e32 v7, s56, v7
	v_add_co_u32_e64 v7, s[4:5], v4, v7
	v_addc_co_u32_e64 v8, s[4:5], 0, v5, s[4:5]
	flat_load_ubyte v13, v[7:8]
	v_add_u32_e32 v7, 0xf00, v9
	v_mov_b32_e32 v11, 0
	v_cmp_lt_u32_e64 s[4:5], v7, v6
	s_and_saveexec_b64 s[46:47], s[4:5]
	s_cbranch_execz .LBB255_17
; %bb.16:
	v_add_u32_e32 v7, s56, v7
	v_add_co_u32_e64 v4, s[4:5], v4, v7
	v_addc_co_u32_e64 v5, s[4:5], 0, v5, s[4:5]
	flat_load_ubyte v11, v[4:5]
.LBB255_17:
	s_or_b64 exec, exec, s[46:47]
.LBB255_18:
	s_or_b64 exec, exec, s[44:45]
.LBB255_19:
	s_or_b64 exec, exec, s[42:43]
.LBB255_20:
	s_or_b64 exec, exec, s[40:41]
.LBB255_21:
	s_or_b64 exec, exec, s[28:29]
.LBB255_22:
	s_or_b64 exec, exec, s[26:27]
.LBB255_23:
	s_or_b64 exec, exec, s[24:25]
.LBB255_24:
	s_or_b64 exec, exec, s[22:23]
.LBB255_25:
	s_or_b64 exec, exec, s[20:21]
.LBB255_26:
	s_or_b64 exec, exec, s[18:19]
.LBB255_27:
	s_or_b64 exec, exec, s[16:17]
.LBB255_28:
	s_or_b64 exec, exec, s[14:15]
.LBB255_29:
	s_or_b64 exec, exec, s[12:13]
.LBB255_30:
	s_or_b64 exec, exec, s[10:11]
.LBB255_31:
	s_or_b64 exec, exec, s[8:9]
.LBB255_32:
	s_or_b64 exec, exec, s[6:7]
	v_cmp_ne_u32_e64 s[4:5], 0, v0
	v_and_b32_e32 v0, 3, v1
	v_ffbh_u32_e32 v5, v0
	v_min_u32_e32 v5, 32, v5
	v_subrev_u32_e32 v7, 29, v5
	v_bfe_u32 v4, v1, 2, 5
	v_lshlrev_b32_e32 v7, v7, v1
	v_sub_u32_e32 v5, 30, v5
	v_and_b32_e32 v7, 3, v7
	v_cmp_eq_u32_e64 s[6:7], 0, v4
	v_cndmask_b32_e64 v4, v4, v5, s[6:7]
	v_cndmask_b32_e64 v0, v0, v7, s[6:7]
	v_lshlrev_b32_e32 v5, 24, v1
	v_mov_b32_e32 v7, 0x37800000
	v_lshlrev_b32_e32 v0, 21, v0
	v_and_b32_e32 v5, 0x80000000, v5
	v_lshl_add_u32 v4, v4, 23, v7
	v_or3_b32 v7, v5, v4, v0
	v_mov_b32_e32 v5, v12
	v_mov_b32_e32 v4, v12
	;; [unrolled: 1-line block ×3, first 2 shown]
	s_and_saveexec_b64 s[8:9], vcc
	s_cbranch_execz .LBB255_54
; %bb.33:
                                        ; implicit-def: $sgpr10_sgpr11
	s_and_saveexec_b64 s[6:7], s[4:5]
	s_xor_b64 s[12:13], exec, s[6:7]
	s_cbranch_execz .LBB255_43
; %bb.34:
	s_movk_i32 s6, 0x7f
	v_cmp_gt_i16_sdwa s[10:11], v1, s6 src0_sel:BYTE_0 src1_sel:DWORD
	s_mov_b64 s[6:7], 0
	s_and_saveexec_b64 s[14:15], s[10:11]
	s_xor_b64 s[10:11], exec, s[14:15]
	s_cbranch_execnz .LBB255_417
; %bb.35:
	s_or_saveexec_b64 s[10:11], s[10:11]
	v_mov_b32_e32 v0, 0x7f800001
	s_xor_b64 exec, exec, s[10:11]
	s_cbranch_execnz .LBB255_420
.LBB255_36:
	s_or_b64 exec, exec, s[10:11]
	s_and_saveexec_b64 s[10:11], s[6:7]
.LBB255_37:
	v_mov_b32_e32 v0, v7
.LBB255_38:
	s_or_b64 exec, exec, s[10:11]
	s_movk_i32 s6, 0x7f
	s_waitcnt vmcnt(0) lgkmcnt(0)
	v_cmp_gt_i16_sdwa s[10:11], v27, s6 src0_sel:BYTE_0 src1_sel:DWORD
	s_mov_b64 s[6:7], 0
	s_and_saveexec_b64 s[14:15], s[10:11]
	s_xor_b64 s[10:11], exec, s[14:15]
	s_cbranch_execnz .LBB255_421
; %bb.39:
	s_or_saveexec_b64 s[10:11], s[10:11]
	v_mov_b32_e32 v4, 0x7f800001
	s_xor_b64 exec, exec, s[10:11]
	s_cbranch_execnz .LBB255_424
.LBB255_40:
	s_or_b64 exec, exec, s[10:11]
	s_and_saveexec_b64 s[10:11], s[6:7]
	s_cbranch_execz .LBB255_42
.LBB255_41:
	v_and_b32_e32 v5, 3, v27
	v_ffbh_u32_e32 v8, v5
	v_min_u32_e32 v8, 32, v8
	v_lshrrev_b16_e32 v4, 2, v27
	v_subrev_u32_e32 v12, 29, v8
	v_and_b32_e32 v4, 31, v4
	v_lshlrev_b32_e32 v12, v12, v27
	v_sub_u32_e32 v8, 30, v8
	v_and_b32_e32 v12, 3, v12
	v_cmp_eq_u32_e64 s[6:7], 0, v4
	v_cndmask_b32_e64 v4, v4, v8, s[6:7]
	v_cndmask_b32_e64 v5, v5, v12, s[6:7]
	v_lshlrev_b32_e32 v8, 24, v27
	v_mov_b32_e32 v12, 0x37800000
	v_lshlrev_b32_e32 v5, 21, v5
	v_and_b32_e32 v8, 0x80000000, v8
	v_lshl_add_u32 v4, v4, 23, v12
	v_or3_b32 v4, v8, v4, v5
.LBB255_42:
	s_or_b64 exec, exec, s[10:11]
	v_cmp_neq_f32_e64 s[10:11], v0, v4
                                        ; implicit-def: $vgpr27
.LBB255_43:
	s_andn2_saveexec_b64 s[12:13], s[12:13]
	s_cbranch_execz .LBB255_53
; %bb.44:
	s_movk_i32 s6, 0x7f
	v_cmp_gt_i16_sdwa s[14:15], v1, s6 src0_sel:BYTE_0 src1_sel:DWORD
	s_mov_b64 s[6:7], 0
	s_and_saveexec_b64 s[16:17], s[14:15]
	s_xor_b64 s[14:15], exec, s[16:17]
	s_cbranch_execnz .LBB255_425
; %bb.45:
	s_or_saveexec_b64 s[14:15], s[14:15]
	v_mov_b32_e32 v0, 0x7f800001
	s_xor_b64 exec, exec, s[14:15]
	s_cbranch_execnz .LBB255_428
.LBB255_46:
	s_or_b64 exec, exec, s[14:15]
	s_and_saveexec_b64 s[14:15], s[6:7]
.LBB255_47:
	v_mov_b32_e32 v0, v7
.LBB255_48:
	s_or_b64 exec, exec, s[14:15]
	s_movk_i32 s6, 0x7f
	s_waitcnt vmcnt(0) lgkmcnt(0)
	v_cmp_gt_i16_sdwa s[14:15], v27, s6 src0_sel:BYTE_0 src1_sel:DWORD
	s_mov_b64 s[6:7], 0
	s_and_saveexec_b64 s[16:17], s[14:15]
	s_xor_b64 s[14:15], exec, s[16:17]
	s_cbranch_execnz .LBB255_429
; %bb.49:
	s_or_saveexec_b64 s[14:15], s[14:15]
	v_mov_b32_e32 v4, 0x7f800001
	s_xor_b64 exec, exec, s[14:15]
	s_cbranch_execnz .LBB255_432
.LBB255_50:
	s_or_b64 exec, exec, s[14:15]
	s_and_saveexec_b64 s[14:15], s[6:7]
	s_cbranch_execz .LBB255_52
.LBB255_51:
	v_and_b32_e32 v5, 3, v27
	v_ffbh_u32_e32 v8, v5
	v_min_u32_e32 v8, 32, v8
	v_lshrrev_b16_e32 v4, 2, v27
	v_subrev_u32_e32 v12, 29, v8
	v_and_b32_e32 v4, 31, v4
	v_lshlrev_b32_e32 v12, v12, v27
	v_sub_u32_e32 v8, 30, v8
	v_and_b32_e32 v12, 3, v12
	v_cmp_eq_u32_e64 s[6:7], 0, v4
	v_cndmask_b32_e64 v4, v4, v8, s[6:7]
	v_cndmask_b32_e64 v5, v5, v12, s[6:7]
	v_lshlrev_b32_e32 v8, 24, v27
	v_mov_b32_e32 v12, 0x37800000
	v_lshlrev_b32_e32 v5, 21, v5
	v_and_b32_e32 v8, 0x80000000, v8
	v_lshl_add_u32 v4, v4, 23, v12
	v_or3_b32 v4, v8, v4, v5
.LBB255_52:
	s_or_b64 exec, exec, s[14:15]
	v_cmp_eq_f32_e64 s[6:7], v0, v4
	s_andn2_b64 s[10:11], s[10:11], exec
	s_and_b64 s[6:7], s[6:7], exec
	s_or_b64 s[10:11], s[10:11], s[6:7]
.LBB255_53:
	s_or_b64 exec, exec, s[12:13]
	v_cndmask_b32_e64 v0, 0, 1, s[10:11]
	v_mov_b32_e32 v5, 0
	v_and_b32_e32 v12, 0xffff, v0
	v_mov_b32_e32 v4, v5
	v_mov_b32_e32 v0, v5
.LBB255_54:
	s_or_b64 exec, exec, s[8:9]
	v_add_u32_e32 v8, 0x100, v9
	v_cmp_lt_i32_e64 s[6:7], v8, v6
	s_and_saveexec_b64 s[8:9], s[6:7]
	s_cbranch_execz .LBB255_76
; %bb.55:
                                        ; implicit-def: $sgpr10_sgpr11
	s_and_saveexec_b64 s[6:7], s[4:5]
	s_xor_b64 s[12:13], exec, s[6:7]
	s_cbranch_execz .LBB255_65
; %bb.56:
	s_movk_i32 s6, 0x7f
	v_cmp_gt_i16_sdwa s[10:11], v1, s6 src0_sel:BYTE_0 src1_sel:DWORD
	s_mov_b64 s[6:7], 0
	s_and_saveexec_b64 s[14:15], s[10:11]
	s_xor_b64 s[10:11], exec, s[14:15]
	s_cbranch_execnz .LBB255_433
; %bb.57:
	s_or_saveexec_b64 s[10:11], s[10:11]
	s_waitcnt vmcnt(0) lgkmcnt(0)
	v_mov_b32_e32 v27, 0x7f800001
	s_xor_b64 exec, exec, s[10:11]
	s_cbranch_execnz .LBB255_436
.LBB255_58:
	s_or_b64 exec, exec, s[10:11]
	s_and_saveexec_b64 s[10:11], s[6:7]
.LBB255_59:
	v_mov_b32_e32 v27, v7
.LBB255_60:
	s_or_b64 exec, exec, s[10:11]
	s_movk_i32 s6, 0x7f
	v_cmp_gt_i16_sdwa s[10:11], v26, s6 src0_sel:BYTE_0 src1_sel:DWORD
	s_mov_b64 s[6:7], 0
	s_and_saveexec_b64 s[14:15], s[10:11]
	s_xor_b64 s[10:11], exec, s[14:15]
	s_cbranch_execnz .LBB255_437
; %bb.61:
	s_or_saveexec_b64 s[10:11], s[10:11]
	v_mov_b32_e32 v28, 0x7f800001
	s_xor_b64 exec, exec, s[10:11]
	s_cbranch_execnz .LBB255_440
.LBB255_62:
	s_or_b64 exec, exec, s[10:11]
	s_and_saveexec_b64 s[10:11], s[6:7]
	s_cbranch_execz .LBB255_64
.LBB255_63:
	v_and_b32_e32 v29, 3, v26
	v_ffbh_u32_e32 v30, v29
	v_min_u32_e32 v30, 32, v30
	v_lshrrev_b16_e32 v28, 2, v26
	v_subrev_u32_e32 v31, 29, v30
	v_and_b32_e32 v28, 31, v28
	v_lshlrev_b32_e32 v31, v31, v26
	v_sub_u32_e32 v30, 30, v30
	v_and_b32_e32 v31, 3, v31
	v_cmp_eq_u32_e64 s[6:7], 0, v28
	v_cndmask_b32_e64 v28, v28, v30, s[6:7]
	v_cndmask_b32_e64 v29, v29, v31, s[6:7]
	v_lshlrev_b32_e32 v26, 24, v26
	v_mov_b32_e32 v30, 0x37800000
	v_lshlrev_b32_e32 v29, 21, v29
	v_and_b32_e32 v26, 0x80000000, v26
	v_lshl_add_u32 v28, v28, 23, v30
	v_or3_b32 v28, v26, v28, v29
.LBB255_64:
	s_or_b64 exec, exec, s[10:11]
	v_cmp_neq_f32_e64 s[10:11], v27, v28
                                        ; implicit-def: $vgpr26
.LBB255_65:
	s_andn2_saveexec_b64 s[12:13], s[12:13]
	s_cbranch_execz .LBB255_75
; %bb.66:
	s_movk_i32 s6, 0x7f
	v_cmp_gt_i16_sdwa s[14:15], v1, s6 src0_sel:BYTE_0 src1_sel:DWORD
	s_mov_b64 s[6:7], 0
	s_and_saveexec_b64 s[16:17], s[14:15]
	s_xor_b64 s[14:15], exec, s[16:17]
	s_cbranch_execnz .LBB255_441
; %bb.67:
	s_or_saveexec_b64 s[14:15], s[14:15]
	s_waitcnt vmcnt(0) lgkmcnt(0)
	v_mov_b32_e32 v27, 0x7f800001
	s_xor_b64 exec, exec, s[14:15]
	s_cbranch_execnz .LBB255_444
.LBB255_68:
	s_or_b64 exec, exec, s[14:15]
	s_and_saveexec_b64 s[14:15], s[6:7]
.LBB255_69:
	v_mov_b32_e32 v27, v7
.LBB255_70:
	s_or_b64 exec, exec, s[14:15]
	s_movk_i32 s6, 0x7f
	v_cmp_gt_i16_sdwa s[14:15], v26, s6 src0_sel:BYTE_0 src1_sel:DWORD
	s_mov_b64 s[6:7], 0
	s_and_saveexec_b64 s[16:17], s[14:15]
	s_xor_b64 s[14:15], exec, s[16:17]
	s_cbranch_execnz .LBB255_445
; %bb.71:
	s_or_saveexec_b64 s[14:15], s[14:15]
	v_mov_b32_e32 v28, 0x7f800001
	s_xor_b64 exec, exec, s[14:15]
	s_cbranch_execnz .LBB255_448
.LBB255_72:
	s_or_b64 exec, exec, s[14:15]
	s_and_saveexec_b64 s[14:15], s[6:7]
	s_cbranch_execz .LBB255_74
.LBB255_73:
	v_and_b32_e32 v29, 3, v26
	v_ffbh_u32_e32 v30, v29
	v_min_u32_e32 v30, 32, v30
	v_lshrrev_b16_e32 v28, 2, v26
	v_subrev_u32_e32 v31, 29, v30
	v_and_b32_e32 v28, 31, v28
	v_lshlrev_b32_e32 v31, v31, v26
	v_sub_u32_e32 v30, 30, v30
	v_and_b32_e32 v31, 3, v31
	v_cmp_eq_u32_e64 s[6:7], 0, v28
	v_cndmask_b32_e64 v28, v28, v30, s[6:7]
	v_cndmask_b32_e64 v29, v29, v31, s[6:7]
	v_lshlrev_b32_e32 v26, 24, v26
	v_mov_b32_e32 v30, 0x37800000
	v_lshlrev_b32_e32 v29, 21, v29
	v_and_b32_e32 v26, 0x80000000, v26
	v_lshl_add_u32 v28, v28, 23, v30
	v_or3_b32 v28, v26, v28, v29
.LBB255_74:
	s_or_b64 exec, exec, s[14:15]
	v_cmp_eq_f32_e64 s[6:7], v27, v28
	s_andn2_b64 s[10:11], s[10:11], exec
	s_and_b64 s[6:7], s[6:7], exec
	s_or_b64 s[10:11], s[10:11], s[6:7]
.LBB255_75:
	s_or_b64 exec, exec, s[12:13]
	s_waitcnt vmcnt(0) lgkmcnt(0)
	v_cndmask_b32_e64 v26, 0, 1, s[10:11]
	v_lshlrev_b16_e32 v26, 8, v26
	v_or_b32_sdwa v26, v12, v26 dst_sel:DWORD dst_unused:UNUSED_PAD src0_sel:BYTE_0 src1_sel:DWORD
	v_and_b32_e32 v26, 0xffff, v26
	s_mov_b32 s6, 0xffff0000
	v_and_or_b32 v12, v12, s6, v26
.LBB255_76:
	s_or_b64 exec, exec, s[8:9]
	s_waitcnt vmcnt(0) lgkmcnt(0)
	v_add_u32_e32 v26, 0x200, v9
	v_cmp_lt_i32_e64 s[6:7], v26, v6
	s_and_saveexec_b64 s[8:9], s[6:7]
	s_cbranch_execz .LBB255_98
; %bb.77:
                                        ; implicit-def: $sgpr10_sgpr11
	s_and_saveexec_b64 s[6:7], s[4:5]
	s_xor_b64 s[12:13], exec, s[6:7]
	s_cbranch_execz .LBB255_87
; %bb.78:
	s_movk_i32 s6, 0x7f
	v_cmp_gt_i16_sdwa s[10:11], v1, s6 src0_sel:BYTE_0 src1_sel:DWORD
	s_mov_b64 s[6:7], 0
	s_and_saveexec_b64 s[14:15], s[10:11]
	s_xor_b64 s[10:11], exec, s[14:15]
	s_cbranch_execnz .LBB255_449
; %bb.79:
	s_or_saveexec_b64 s[10:11], s[10:11]
	v_mov_b32_e32 v26, 0x7f800001
	s_xor_b64 exec, exec, s[10:11]
	s_cbranch_execnz .LBB255_452
.LBB255_80:
	s_or_b64 exec, exec, s[10:11]
	s_and_saveexec_b64 s[10:11], s[6:7]
.LBB255_81:
	v_mov_b32_e32 v26, v7
.LBB255_82:
	s_or_b64 exec, exec, s[10:11]
	s_movk_i32 s6, 0x7f
	v_cmp_gt_i16_sdwa s[10:11], v25, s6 src0_sel:BYTE_0 src1_sel:DWORD
	s_mov_b64 s[6:7], 0
	s_and_saveexec_b64 s[14:15], s[10:11]
	s_xor_b64 s[10:11], exec, s[14:15]
	s_cbranch_execnz .LBB255_453
; %bb.83:
	s_or_saveexec_b64 s[10:11], s[10:11]
	v_mov_b32_e32 v27, 0x7f800001
	s_xor_b64 exec, exec, s[10:11]
	s_cbranch_execnz .LBB255_456
.LBB255_84:
	s_or_b64 exec, exec, s[10:11]
	s_and_saveexec_b64 s[10:11], s[6:7]
	s_cbranch_execz .LBB255_86
.LBB255_85:
	v_and_b32_e32 v28, 3, v25
	v_ffbh_u32_e32 v29, v28
	v_min_u32_e32 v29, 32, v29
	v_lshrrev_b16_e32 v27, 2, v25
	v_subrev_u32_e32 v30, 29, v29
	v_and_b32_e32 v27, 31, v27
	v_lshlrev_b32_e32 v30, v30, v25
	v_sub_u32_e32 v29, 30, v29
	v_and_b32_e32 v30, 3, v30
	v_cmp_eq_u32_e64 s[6:7], 0, v27
	v_cndmask_b32_e64 v27, v27, v29, s[6:7]
	v_cndmask_b32_e64 v28, v28, v30, s[6:7]
	v_lshlrev_b32_e32 v25, 24, v25
	v_mov_b32_e32 v29, 0x37800000
	v_lshlrev_b32_e32 v28, 21, v28
	v_and_b32_e32 v25, 0x80000000, v25
	v_lshl_add_u32 v27, v27, 23, v29
	v_or3_b32 v27, v25, v27, v28
.LBB255_86:
	s_or_b64 exec, exec, s[10:11]
	v_cmp_neq_f32_e64 s[10:11], v26, v27
                                        ; implicit-def: $vgpr25
.LBB255_87:
	s_andn2_saveexec_b64 s[12:13], s[12:13]
	s_cbranch_execz .LBB255_97
; %bb.88:
	s_movk_i32 s6, 0x7f
	v_cmp_gt_i16_sdwa s[14:15], v1, s6 src0_sel:BYTE_0 src1_sel:DWORD
	s_mov_b64 s[6:7], 0
	s_and_saveexec_b64 s[16:17], s[14:15]
	s_xor_b64 s[14:15], exec, s[16:17]
	s_cbranch_execnz .LBB255_457
; %bb.89:
	s_or_saveexec_b64 s[14:15], s[14:15]
	v_mov_b32_e32 v26, 0x7f800001
	s_xor_b64 exec, exec, s[14:15]
	s_cbranch_execnz .LBB255_460
.LBB255_90:
	s_or_b64 exec, exec, s[14:15]
	s_and_saveexec_b64 s[14:15], s[6:7]
.LBB255_91:
	v_mov_b32_e32 v26, v7
.LBB255_92:
	s_or_b64 exec, exec, s[14:15]
	s_movk_i32 s6, 0x7f
	v_cmp_gt_i16_sdwa s[14:15], v25, s6 src0_sel:BYTE_0 src1_sel:DWORD
	s_mov_b64 s[6:7], 0
	s_and_saveexec_b64 s[16:17], s[14:15]
	s_xor_b64 s[14:15], exec, s[16:17]
	s_cbranch_execnz .LBB255_461
; %bb.93:
	s_or_saveexec_b64 s[14:15], s[14:15]
	v_mov_b32_e32 v27, 0x7f800001
	s_xor_b64 exec, exec, s[14:15]
	s_cbranch_execnz .LBB255_464
.LBB255_94:
	s_or_b64 exec, exec, s[14:15]
	s_and_saveexec_b64 s[14:15], s[6:7]
	s_cbranch_execz .LBB255_96
.LBB255_95:
	v_and_b32_e32 v28, 3, v25
	v_ffbh_u32_e32 v29, v28
	v_min_u32_e32 v29, 32, v29
	v_lshrrev_b16_e32 v27, 2, v25
	v_subrev_u32_e32 v30, 29, v29
	v_and_b32_e32 v27, 31, v27
	v_lshlrev_b32_e32 v30, v30, v25
	v_sub_u32_e32 v29, 30, v29
	v_and_b32_e32 v30, 3, v30
	v_cmp_eq_u32_e64 s[6:7], 0, v27
	v_cndmask_b32_e64 v27, v27, v29, s[6:7]
	v_cndmask_b32_e64 v28, v28, v30, s[6:7]
	v_lshlrev_b32_e32 v25, 24, v25
	v_mov_b32_e32 v29, 0x37800000
	v_lshlrev_b32_e32 v28, 21, v28
	v_and_b32_e32 v25, 0x80000000, v25
	v_lshl_add_u32 v27, v27, 23, v29
	v_or3_b32 v27, v25, v27, v28
.LBB255_96:
	s_or_b64 exec, exec, s[14:15]
	v_cmp_eq_f32_e64 s[6:7], v26, v27
	s_andn2_b64 s[10:11], s[10:11], exec
	s_and_b64 s[6:7], s[6:7], exec
	s_or_b64 s[10:11], s[10:11], s[6:7]
.LBB255_97:
	s_or_b64 exec, exec, s[12:13]
	s_movk_i32 s6, 0xff00
	v_and_b32_sdwa v25, v12, s6 dst_sel:DWORD dst_unused:UNUSED_PAD src0_sel:WORD_1 src1_sel:DWORD
	v_cndmask_b32_e64 v26, 0, 1, s[10:11]
	v_or_b32_sdwa v25, v26, v25 dst_sel:WORD_1 dst_unused:UNUSED_PAD src0_sel:DWORD src1_sel:DWORD
	s_mov_b32 s6, 0xffff
	v_and_or_b32 v12, v12, s6, v25
.LBB255_98:
	s_or_b64 exec, exec, s[8:9]
	v_add_u32_e32 v25, 0x300, v9
	v_cmp_lt_i32_e64 s[6:7], v25, v6
	s_and_saveexec_b64 s[8:9], s[6:7]
	s_cbranch_execz .LBB255_120
; %bb.99:
                                        ; implicit-def: $sgpr10_sgpr11
	s_and_saveexec_b64 s[6:7], s[4:5]
	s_xor_b64 s[12:13], exec, s[6:7]
	s_cbranch_execz .LBB255_109
; %bb.100:
	s_movk_i32 s6, 0x7f
	v_cmp_gt_i16_sdwa s[10:11], v1, s6 src0_sel:BYTE_0 src1_sel:DWORD
	s_mov_b64 s[6:7], 0
	s_and_saveexec_b64 s[14:15], s[10:11]
	s_xor_b64 s[10:11], exec, s[14:15]
	s_cbranch_execnz .LBB255_465
; %bb.101:
	s_or_saveexec_b64 s[10:11], s[10:11]
	v_mov_b32_e32 v25, 0x7f800001
	s_xor_b64 exec, exec, s[10:11]
	s_cbranch_execnz .LBB255_468
.LBB255_102:
	s_or_b64 exec, exec, s[10:11]
	s_and_saveexec_b64 s[10:11], s[6:7]
.LBB255_103:
	v_mov_b32_e32 v25, v7
.LBB255_104:
	s_or_b64 exec, exec, s[10:11]
	s_movk_i32 s6, 0x7f
	v_cmp_gt_i16_sdwa s[10:11], v24, s6 src0_sel:BYTE_0 src1_sel:DWORD
	s_mov_b64 s[6:7], 0
	s_and_saveexec_b64 s[14:15], s[10:11]
	s_xor_b64 s[10:11], exec, s[14:15]
	s_cbranch_execnz .LBB255_469
; %bb.105:
	s_or_saveexec_b64 s[10:11], s[10:11]
	v_mov_b32_e32 v26, 0x7f800001
	s_xor_b64 exec, exec, s[10:11]
	s_cbranch_execnz .LBB255_472
.LBB255_106:
	s_or_b64 exec, exec, s[10:11]
	s_and_saveexec_b64 s[10:11], s[6:7]
	s_cbranch_execz .LBB255_108
.LBB255_107:
	v_and_b32_e32 v27, 3, v24
	v_ffbh_u32_e32 v28, v27
	v_min_u32_e32 v28, 32, v28
	v_lshrrev_b16_e32 v26, 2, v24
	v_subrev_u32_e32 v29, 29, v28
	v_and_b32_e32 v26, 31, v26
	v_lshlrev_b32_e32 v29, v29, v24
	v_sub_u32_e32 v28, 30, v28
	v_and_b32_e32 v29, 3, v29
	v_cmp_eq_u32_e64 s[6:7], 0, v26
	v_cndmask_b32_e64 v26, v26, v28, s[6:7]
	v_cndmask_b32_e64 v27, v27, v29, s[6:7]
	v_lshlrev_b32_e32 v24, 24, v24
	v_mov_b32_e32 v28, 0x37800000
	v_lshlrev_b32_e32 v27, 21, v27
	v_and_b32_e32 v24, 0x80000000, v24
	v_lshl_add_u32 v26, v26, 23, v28
	v_or3_b32 v26, v24, v26, v27
.LBB255_108:
	s_or_b64 exec, exec, s[10:11]
	v_cmp_neq_f32_e64 s[10:11], v25, v26
                                        ; implicit-def: $vgpr24
.LBB255_109:
	s_andn2_saveexec_b64 s[12:13], s[12:13]
	s_cbranch_execz .LBB255_119
; %bb.110:
	s_movk_i32 s6, 0x7f
	v_cmp_gt_i16_sdwa s[14:15], v1, s6 src0_sel:BYTE_0 src1_sel:DWORD
	s_mov_b64 s[6:7], 0
	s_and_saveexec_b64 s[16:17], s[14:15]
	s_xor_b64 s[14:15], exec, s[16:17]
	s_cbranch_execnz .LBB255_473
; %bb.111:
	s_or_saveexec_b64 s[14:15], s[14:15]
	v_mov_b32_e32 v25, 0x7f800001
	s_xor_b64 exec, exec, s[14:15]
	s_cbranch_execnz .LBB255_476
.LBB255_112:
	s_or_b64 exec, exec, s[14:15]
	s_and_saveexec_b64 s[14:15], s[6:7]
.LBB255_113:
	v_mov_b32_e32 v25, v7
.LBB255_114:
	s_or_b64 exec, exec, s[14:15]
	s_movk_i32 s6, 0x7f
	v_cmp_gt_i16_sdwa s[14:15], v24, s6 src0_sel:BYTE_0 src1_sel:DWORD
	s_mov_b64 s[6:7], 0
	s_and_saveexec_b64 s[16:17], s[14:15]
	s_xor_b64 s[14:15], exec, s[16:17]
	s_cbranch_execnz .LBB255_477
; %bb.115:
	s_or_saveexec_b64 s[14:15], s[14:15]
	v_mov_b32_e32 v26, 0x7f800001
	s_xor_b64 exec, exec, s[14:15]
	s_cbranch_execnz .LBB255_480
.LBB255_116:
	s_or_b64 exec, exec, s[14:15]
	s_and_saveexec_b64 s[14:15], s[6:7]
	s_cbranch_execz .LBB255_118
.LBB255_117:
	v_and_b32_e32 v27, 3, v24
	v_ffbh_u32_e32 v28, v27
	v_min_u32_e32 v28, 32, v28
	v_lshrrev_b16_e32 v26, 2, v24
	v_subrev_u32_e32 v29, 29, v28
	v_and_b32_e32 v26, 31, v26
	v_lshlrev_b32_e32 v29, v29, v24
	v_sub_u32_e32 v28, 30, v28
	v_and_b32_e32 v29, 3, v29
	v_cmp_eq_u32_e64 s[6:7], 0, v26
	v_cndmask_b32_e64 v26, v26, v28, s[6:7]
	v_cndmask_b32_e64 v27, v27, v29, s[6:7]
	v_lshlrev_b32_e32 v24, 24, v24
	v_mov_b32_e32 v28, 0x37800000
	v_lshlrev_b32_e32 v27, 21, v27
	v_and_b32_e32 v24, 0x80000000, v24
	v_lshl_add_u32 v26, v26, 23, v28
	v_or3_b32 v26, v24, v26, v27
.LBB255_118:
	s_or_b64 exec, exec, s[14:15]
	v_cmp_eq_f32_e64 s[6:7], v25, v26
	s_andn2_b64 s[10:11], s[10:11], exec
	s_and_b64 s[6:7], s[6:7], exec
	s_or_b64 s[10:11], s[10:11], s[6:7]
.LBB255_119:
	s_or_b64 exec, exec, s[12:13]
	s_movk_i32 s6, 0xff
	v_cndmask_b32_e64 v25, 0, 1, s[10:11]
	v_and_b32_sdwa v24, v12, s6 dst_sel:DWORD dst_unused:UNUSED_PAD src0_sel:WORD_1 src1_sel:DWORD
	v_lshlrev_b16_e32 v25, 8, v25
	v_or_b32_sdwa v24, v24, v25 dst_sel:WORD_1 dst_unused:UNUSED_PAD src0_sel:DWORD src1_sel:DWORD
	s_mov_b32 s6, 0xffff
	v_and_or_b32 v12, v12, s6, v24
.LBB255_120:
	s_or_b64 exec, exec, s[8:9]
	v_or_b32_e32 v24, 0x400, v9
	v_cmp_lt_i32_e64 s[6:7], v24, v6
	s_and_saveexec_b64 s[8:9], s[6:7]
	s_cbranch_execz .LBB255_142
; %bb.121:
                                        ; implicit-def: $sgpr10_sgpr11
	s_and_saveexec_b64 s[6:7], s[4:5]
	s_xor_b64 s[12:13], exec, s[6:7]
	s_cbranch_execz .LBB255_131
; %bb.122:
	s_movk_i32 s6, 0x7f
	v_cmp_gt_i16_sdwa s[10:11], v1, s6 src0_sel:BYTE_0 src1_sel:DWORD
	s_mov_b64 s[6:7], 0
	s_and_saveexec_b64 s[14:15], s[10:11]
	s_xor_b64 s[10:11], exec, s[14:15]
	s_cbranch_execnz .LBB255_481
; %bb.123:
	s_or_saveexec_b64 s[10:11], s[10:11]
	v_mov_b32_e32 v24, 0x7f800001
	s_xor_b64 exec, exec, s[10:11]
	s_cbranch_execnz .LBB255_484
.LBB255_124:
	s_or_b64 exec, exec, s[10:11]
	s_and_saveexec_b64 s[10:11], s[6:7]
.LBB255_125:
	v_mov_b32_e32 v24, v7
.LBB255_126:
	s_or_b64 exec, exec, s[10:11]
	s_movk_i32 s6, 0x7f
	v_cmp_gt_i16_sdwa s[10:11], v23, s6 src0_sel:BYTE_0 src1_sel:DWORD
	s_mov_b64 s[6:7], 0
	s_and_saveexec_b64 s[14:15], s[10:11]
	s_xor_b64 s[10:11], exec, s[14:15]
	s_cbranch_execnz .LBB255_485
; %bb.127:
	s_or_saveexec_b64 s[10:11], s[10:11]
	v_mov_b32_e32 v25, 0x7f800001
	s_xor_b64 exec, exec, s[10:11]
	s_cbranch_execnz .LBB255_488
.LBB255_128:
	s_or_b64 exec, exec, s[10:11]
	s_and_saveexec_b64 s[10:11], s[6:7]
	s_cbranch_execz .LBB255_130
.LBB255_129:
	v_and_b32_e32 v26, 3, v23
	v_ffbh_u32_e32 v27, v26
	v_min_u32_e32 v27, 32, v27
	v_lshrrev_b16_e32 v25, 2, v23
	v_subrev_u32_e32 v28, 29, v27
	v_and_b32_e32 v25, 31, v25
	v_lshlrev_b32_e32 v28, v28, v23
	v_sub_u32_e32 v27, 30, v27
	v_and_b32_e32 v28, 3, v28
	v_cmp_eq_u32_e64 s[6:7], 0, v25
	v_cndmask_b32_e64 v25, v25, v27, s[6:7]
	v_cndmask_b32_e64 v26, v26, v28, s[6:7]
	v_lshlrev_b32_e32 v23, 24, v23
	v_mov_b32_e32 v27, 0x37800000
	v_lshlrev_b32_e32 v26, 21, v26
	v_and_b32_e32 v23, 0x80000000, v23
	v_lshl_add_u32 v25, v25, 23, v27
	v_or3_b32 v25, v23, v25, v26
.LBB255_130:
	s_or_b64 exec, exec, s[10:11]
	v_cmp_neq_f32_e64 s[10:11], v24, v25
                                        ; implicit-def: $vgpr23
.LBB255_131:
	s_andn2_saveexec_b64 s[12:13], s[12:13]
	s_cbranch_execz .LBB255_141
; %bb.132:
	s_movk_i32 s6, 0x7f
	v_cmp_gt_i16_sdwa s[14:15], v1, s6 src0_sel:BYTE_0 src1_sel:DWORD
	s_mov_b64 s[6:7], 0
	s_and_saveexec_b64 s[16:17], s[14:15]
	s_xor_b64 s[14:15], exec, s[16:17]
	s_cbranch_execnz .LBB255_489
; %bb.133:
	s_or_saveexec_b64 s[14:15], s[14:15]
	v_mov_b32_e32 v24, 0x7f800001
	s_xor_b64 exec, exec, s[14:15]
	s_cbranch_execnz .LBB255_492
.LBB255_134:
	s_or_b64 exec, exec, s[14:15]
	s_and_saveexec_b64 s[14:15], s[6:7]
.LBB255_135:
	v_mov_b32_e32 v24, v7
.LBB255_136:
	s_or_b64 exec, exec, s[14:15]
	s_movk_i32 s6, 0x7f
	v_cmp_gt_i16_sdwa s[14:15], v23, s6 src0_sel:BYTE_0 src1_sel:DWORD
	s_mov_b64 s[6:7], 0
	s_and_saveexec_b64 s[16:17], s[14:15]
	s_xor_b64 s[14:15], exec, s[16:17]
	s_cbranch_execnz .LBB255_493
; %bb.137:
	s_or_saveexec_b64 s[14:15], s[14:15]
	v_mov_b32_e32 v25, 0x7f800001
	s_xor_b64 exec, exec, s[14:15]
	s_cbranch_execnz .LBB255_496
.LBB255_138:
	s_or_b64 exec, exec, s[14:15]
	s_and_saveexec_b64 s[14:15], s[6:7]
	s_cbranch_execz .LBB255_140
.LBB255_139:
	v_and_b32_e32 v26, 3, v23
	v_ffbh_u32_e32 v27, v26
	v_min_u32_e32 v27, 32, v27
	v_lshrrev_b16_e32 v25, 2, v23
	v_subrev_u32_e32 v28, 29, v27
	v_and_b32_e32 v25, 31, v25
	v_lshlrev_b32_e32 v28, v28, v23
	v_sub_u32_e32 v27, 30, v27
	v_and_b32_e32 v28, 3, v28
	v_cmp_eq_u32_e64 s[6:7], 0, v25
	v_cndmask_b32_e64 v25, v25, v27, s[6:7]
	v_cndmask_b32_e64 v26, v26, v28, s[6:7]
	v_lshlrev_b32_e32 v23, 24, v23
	v_mov_b32_e32 v27, 0x37800000
	v_lshlrev_b32_e32 v26, 21, v26
	v_and_b32_e32 v23, 0x80000000, v23
	v_lshl_add_u32 v25, v25, 23, v27
	v_or3_b32 v25, v23, v25, v26
.LBB255_140:
	s_or_b64 exec, exec, s[14:15]
	v_cmp_eq_f32_e64 s[6:7], v24, v25
	s_andn2_b64 s[10:11], s[10:11], exec
	s_and_b64 s[6:7], s[6:7], exec
	s_or_b64 s[10:11], s[10:11], s[6:7]
.LBB255_141:
	s_or_b64 exec, exec, s[12:13]
	v_and_b32_e32 v23, 0xffffff00, v5
	v_cndmask_b32_e64 v24, 0, 1, s[10:11]
	v_or_b32_e32 v23, v24, v23
	v_and_b32_e32 v23, 0xffff, v23
	s_mov_b32 s6, 0xffff0000
	v_and_or_b32 v5, v5, s6, v23
.LBB255_142:
	s_or_b64 exec, exec, s[8:9]
	v_add_u32_e32 v23, 0x500, v9
	v_cmp_lt_i32_e64 s[6:7], v23, v6
	s_and_saveexec_b64 s[8:9], s[6:7]
	s_cbranch_execz .LBB255_164
; %bb.143:
                                        ; implicit-def: $sgpr10_sgpr11
	s_and_saveexec_b64 s[6:7], s[4:5]
	s_xor_b64 s[12:13], exec, s[6:7]
	s_cbranch_execz .LBB255_153
; %bb.144:
	s_movk_i32 s6, 0x7f
	v_cmp_gt_i16_sdwa s[10:11], v1, s6 src0_sel:BYTE_0 src1_sel:DWORD
	s_mov_b64 s[6:7], 0
	s_and_saveexec_b64 s[14:15], s[10:11]
	s_xor_b64 s[10:11], exec, s[14:15]
	s_cbranch_execnz .LBB255_497
; %bb.145:
	s_or_saveexec_b64 s[10:11], s[10:11]
	v_mov_b32_e32 v23, 0x7f800001
	s_xor_b64 exec, exec, s[10:11]
	s_cbranch_execnz .LBB255_500
.LBB255_146:
	s_or_b64 exec, exec, s[10:11]
	s_and_saveexec_b64 s[10:11], s[6:7]
.LBB255_147:
	v_mov_b32_e32 v23, v7
.LBB255_148:
	s_or_b64 exec, exec, s[10:11]
	s_movk_i32 s6, 0x7f
	v_cmp_gt_i16_sdwa s[10:11], v22, s6 src0_sel:BYTE_0 src1_sel:DWORD
	s_mov_b64 s[6:7], 0
	s_and_saveexec_b64 s[14:15], s[10:11]
	s_xor_b64 s[10:11], exec, s[14:15]
	s_cbranch_execnz .LBB255_501
; %bb.149:
	s_or_saveexec_b64 s[10:11], s[10:11]
	v_mov_b32_e32 v24, 0x7f800001
	s_xor_b64 exec, exec, s[10:11]
	s_cbranch_execnz .LBB255_504
.LBB255_150:
	s_or_b64 exec, exec, s[10:11]
	s_and_saveexec_b64 s[10:11], s[6:7]
	s_cbranch_execz .LBB255_152
.LBB255_151:
	v_and_b32_e32 v25, 3, v22
	v_ffbh_u32_e32 v26, v25
	v_min_u32_e32 v26, 32, v26
	v_lshrrev_b16_e32 v24, 2, v22
	v_subrev_u32_e32 v27, 29, v26
	v_and_b32_e32 v24, 31, v24
	v_lshlrev_b32_e32 v27, v27, v22
	v_sub_u32_e32 v26, 30, v26
	v_and_b32_e32 v27, 3, v27
	v_cmp_eq_u32_e64 s[6:7], 0, v24
	v_cndmask_b32_e64 v24, v24, v26, s[6:7]
	v_cndmask_b32_e64 v25, v25, v27, s[6:7]
	v_lshlrev_b32_e32 v22, 24, v22
	v_mov_b32_e32 v26, 0x37800000
	v_lshlrev_b32_e32 v25, 21, v25
	v_and_b32_e32 v22, 0x80000000, v22
	v_lshl_add_u32 v24, v24, 23, v26
	v_or3_b32 v24, v22, v24, v25
.LBB255_152:
	s_or_b64 exec, exec, s[10:11]
	v_cmp_neq_f32_e64 s[10:11], v23, v24
                                        ; implicit-def: $vgpr22
.LBB255_153:
	s_andn2_saveexec_b64 s[12:13], s[12:13]
	s_cbranch_execz .LBB255_163
; %bb.154:
	s_movk_i32 s6, 0x7f
	v_cmp_gt_i16_sdwa s[14:15], v1, s6 src0_sel:BYTE_0 src1_sel:DWORD
	s_mov_b64 s[6:7], 0
	s_and_saveexec_b64 s[16:17], s[14:15]
	s_xor_b64 s[14:15], exec, s[16:17]
	s_cbranch_execnz .LBB255_505
; %bb.155:
	s_or_saveexec_b64 s[14:15], s[14:15]
	v_mov_b32_e32 v23, 0x7f800001
	s_xor_b64 exec, exec, s[14:15]
	s_cbranch_execnz .LBB255_508
.LBB255_156:
	s_or_b64 exec, exec, s[14:15]
	s_and_saveexec_b64 s[14:15], s[6:7]
.LBB255_157:
	v_mov_b32_e32 v23, v7
.LBB255_158:
	s_or_b64 exec, exec, s[14:15]
	s_movk_i32 s6, 0x7f
	v_cmp_gt_i16_sdwa s[14:15], v22, s6 src0_sel:BYTE_0 src1_sel:DWORD
	s_mov_b64 s[6:7], 0
	s_and_saveexec_b64 s[16:17], s[14:15]
	s_xor_b64 s[14:15], exec, s[16:17]
	s_cbranch_execnz .LBB255_509
; %bb.159:
	s_or_saveexec_b64 s[14:15], s[14:15]
	v_mov_b32_e32 v24, 0x7f800001
	s_xor_b64 exec, exec, s[14:15]
	s_cbranch_execnz .LBB255_512
.LBB255_160:
	s_or_b64 exec, exec, s[14:15]
	s_and_saveexec_b64 s[14:15], s[6:7]
	s_cbranch_execz .LBB255_162
.LBB255_161:
	v_and_b32_e32 v25, 3, v22
	v_ffbh_u32_e32 v26, v25
	v_min_u32_e32 v26, 32, v26
	v_lshrrev_b16_e32 v24, 2, v22
	v_subrev_u32_e32 v27, 29, v26
	v_and_b32_e32 v24, 31, v24
	v_lshlrev_b32_e32 v27, v27, v22
	v_sub_u32_e32 v26, 30, v26
	v_and_b32_e32 v27, 3, v27
	v_cmp_eq_u32_e64 s[6:7], 0, v24
	v_cndmask_b32_e64 v24, v24, v26, s[6:7]
	v_cndmask_b32_e64 v25, v25, v27, s[6:7]
	v_lshlrev_b32_e32 v22, 24, v22
	v_mov_b32_e32 v26, 0x37800000
	v_lshlrev_b32_e32 v25, 21, v25
	v_and_b32_e32 v22, 0x80000000, v22
	v_lshl_add_u32 v24, v24, 23, v26
	v_or3_b32 v24, v22, v24, v25
.LBB255_162:
	s_or_b64 exec, exec, s[14:15]
	v_cmp_eq_f32_e64 s[6:7], v23, v24
	s_andn2_b64 s[10:11], s[10:11], exec
	s_and_b64 s[6:7], s[6:7], exec
	s_or_b64 s[10:11], s[10:11], s[6:7]
.LBB255_163:
	s_or_b64 exec, exec, s[12:13]
	v_cndmask_b32_e64 v22, 0, 1, s[10:11]
	v_lshlrev_b16_e32 v22, 8, v22
	v_or_b32_sdwa v22, v5, v22 dst_sel:DWORD dst_unused:UNUSED_PAD src0_sel:BYTE_0 src1_sel:DWORD
	v_and_b32_e32 v22, 0xffff, v22
	s_mov_b32 s6, 0xffff0000
	v_and_or_b32 v5, v5, s6, v22
.LBB255_164:
	s_or_b64 exec, exec, s[8:9]
	v_add_u32_e32 v22, 0x600, v9
	v_cmp_lt_i32_e64 s[6:7], v22, v6
	s_and_saveexec_b64 s[8:9], s[6:7]
	s_cbranch_execz .LBB255_186
; %bb.165:
                                        ; implicit-def: $sgpr10_sgpr11
	s_and_saveexec_b64 s[6:7], s[4:5]
	s_xor_b64 s[12:13], exec, s[6:7]
	s_cbranch_execz .LBB255_175
; %bb.166:
	s_movk_i32 s6, 0x7f
	v_cmp_gt_i16_sdwa s[10:11], v1, s6 src0_sel:BYTE_0 src1_sel:DWORD
	s_mov_b64 s[6:7], 0
	s_and_saveexec_b64 s[14:15], s[10:11]
	s_xor_b64 s[10:11], exec, s[14:15]
	s_cbranch_execnz .LBB255_513
; %bb.167:
	s_or_saveexec_b64 s[10:11], s[10:11]
	v_mov_b32_e32 v22, 0x7f800001
	s_xor_b64 exec, exec, s[10:11]
	s_cbranch_execnz .LBB255_516
.LBB255_168:
	s_or_b64 exec, exec, s[10:11]
	s_and_saveexec_b64 s[10:11], s[6:7]
.LBB255_169:
	v_mov_b32_e32 v22, v7
.LBB255_170:
	s_or_b64 exec, exec, s[10:11]
	s_movk_i32 s6, 0x7f
	v_cmp_gt_i16_sdwa s[10:11], v21, s6 src0_sel:BYTE_0 src1_sel:DWORD
	s_mov_b64 s[6:7], 0
	s_and_saveexec_b64 s[14:15], s[10:11]
	s_xor_b64 s[10:11], exec, s[14:15]
	s_cbranch_execnz .LBB255_517
; %bb.171:
	s_or_saveexec_b64 s[10:11], s[10:11]
	v_mov_b32_e32 v23, 0x7f800001
	s_xor_b64 exec, exec, s[10:11]
	s_cbranch_execnz .LBB255_520
.LBB255_172:
	s_or_b64 exec, exec, s[10:11]
	s_and_saveexec_b64 s[10:11], s[6:7]
	s_cbranch_execz .LBB255_174
.LBB255_173:
	v_and_b32_e32 v24, 3, v21
	v_ffbh_u32_e32 v25, v24
	v_min_u32_e32 v25, 32, v25
	v_lshrrev_b16_e32 v23, 2, v21
	v_subrev_u32_e32 v26, 29, v25
	v_and_b32_e32 v23, 31, v23
	v_lshlrev_b32_e32 v26, v26, v21
	v_sub_u32_e32 v25, 30, v25
	v_and_b32_e32 v26, 3, v26
	v_cmp_eq_u32_e64 s[6:7], 0, v23
	v_cndmask_b32_e64 v23, v23, v25, s[6:7]
	v_cndmask_b32_e64 v24, v24, v26, s[6:7]
	v_lshlrev_b32_e32 v21, 24, v21
	v_mov_b32_e32 v25, 0x37800000
	v_lshlrev_b32_e32 v24, 21, v24
	v_and_b32_e32 v21, 0x80000000, v21
	v_lshl_add_u32 v23, v23, 23, v25
	v_or3_b32 v23, v21, v23, v24
.LBB255_174:
	s_or_b64 exec, exec, s[10:11]
	v_cmp_neq_f32_e64 s[10:11], v22, v23
                                        ; implicit-def: $vgpr21
.LBB255_175:
	s_andn2_saveexec_b64 s[12:13], s[12:13]
	s_cbranch_execz .LBB255_185
; %bb.176:
	s_movk_i32 s6, 0x7f
	v_cmp_gt_i16_sdwa s[14:15], v1, s6 src0_sel:BYTE_0 src1_sel:DWORD
	s_mov_b64 s[6:7], 0
	s_and_saveexec_b64 s[16:17], s[14:15]
	s_xor_b64 s[14:15], exec, s[16:17]
	s_cbranch_execnz .LBB255_521
; %bb.177:
	s_or_saveexec_b64 s[14:15], s[14:15]
	v_mov_b32_e32 v22, 0x7f800001
	s_xor_b64 exec, exec, s[14:15]
	s_cbranch_execnz .LBB255_524
.LBB255_178:
	s_or_b64 exec, exec, s[14:15]
	s_and_saveexec_b64 s[14:15], s[6:7]
.LBB255_179:
	v_mov_b32_e32 v22, v7
.LBB255_180:
	s_or_b64 exec, exec, s[14:15]
	s_movk_i32 s6, 0x7f
	v_cmp_gt_i16_sdwa s[14:15], v21, s6 src0_sel:BYTE_0 src1_sel:DWORD
	s_mov_b64 s[6:7], 0
	s_and_saveexec_b64 s[16:17], s[14:15]
	s_xor_b64 s[14:15], exec, s[16:17]
	s_cbranch_execnz .LBB255_525
; %bb.181:
	s_or_saveexec_b64 s[14:15], s[14:15]
	v_mov_b32_e32 v23, 0x7f800001
	s_xor_b64 exec, exec, s[14:15]
	s_cbranch_execnz .LBB255_528
.LBB255_182:
	s_or_b64 exec, exec, s[14:15]
	s_and_saveexec_b64 s[14:15], s[6:7]
	s_cbranch_execz .LBB255_184
.LBB255_183:
	v_and_b32_e32 v24, 3, v21
	v_ffbh_u32_e32 v25, v24
	v_min_u32_e32 v25, 32, v25
	v_lshrrev_b16_e32 v23, 2, v21
	v_subrev_u32_e32 v26, 29, v25
	v_and_b32_e32 v23, 31, v23
	v_lshlrev_b32_e32 v26, v26, v21
	v_sub_u32_e32 v25, 30, v25
	v_and_b32_e32 v26, 3, v26
	v_cmp_eq_u32_e64 s[6:7], 0, v23
	v_cndmask_b32_e64 v23, v23, v25, s[6:7]
	v_cndmask_b32_e64 v24, v24, v26, s[6:7]
	v_lshlrev_b32_e32 v21, 24, v21
	v_mov_b32_e32 v25, 0x37800000
	v_lshlrev_b32_e32 v24, 21, v24
	v_and_b32_e32 v21, 0x80000000, v21
	v_lshl_add_u32 v23, v23, 23, v25
	v_or3_b32 v23, v21, v23, v24
.LBB255_184:
	s_or_b64 exec, exec, s[14:15]
	v_cmp_eq_f32_e64 s[6:7], v22, v23
	s_andn2_b64 s[10:11], s[10:11], exec
	s_and_b64 s[6:7], s[6:7], exec
	s_or_b64 s[10:11], s[10:11], s[6:7]
.LBB255_185:
	s_or_b64 exec, exec, s[12:13]
	s_movk_i32 s6, 0xff00
	v_and_b32_sdwa v21, v5, s6 dst_sel:DWORD dst_unused:UNUSED_PAD src0_sel:WORD_1 src1_sel:DWORD
	v_cndmask_b32_e64 v22, 0, 1, s[10:11]
	v_or_b32_sdwa v21, v22, v21 dst_sel:WORD_1 dst_unused:UNUSED_PAD src0_sel:DWORD src1_sel:DWORD
	s_mov_b32 s6, 0xffff
	v_and_or_b32 v5, v5, s6, v21
.LBB255_186:
	s_or_b64 exec, exec, s[8:9]
	v_add_u32_e32 v21, 0x700, v9
	v_cmp_lt_i32_e64 s[6:7], v21, v6
	s_and_saveexec_b64 s[8:9], s[6:7]
	s_cbranch_execz .LBB255_208
; %bb.187:
                                        ; implicit-def: $sgpr10_sgpr11
	s_and_saveexec_b64 s[6:7], s[4:5]
	s_xor_b64 s[12:13], exec, s[6:7]
	s_cbranch_execz .LBB255_197
; %bb.188:
	s_movk_i32 s6, 0x7f
	v_cmp_gt_i16_sdwa s[10:11], v1, s6 src0_sel:BYTE_0 src1_sel:DWORD
	s_mov_b64 s[6:7], 0
	s_and_saveexec_b64 s[14:15], s[10:11]
	s_xor_b64 s[10:11], exec, s[14:15]
	s_cbranch_execnz .LBB255_529
; %bb.189:
	s_or_saveexec_b64 s[10:11], s[10:11]
	v_mov_b32_e32 v21, 0x7f800001
	s_xor_b64 exec, exec, s[10:11]
	s_cbranch_execnz .LBB255_532
.LBB255_190:
	s_or_b64 exec, exec, s[10:11]
	s_and_saveexec_b64 s[10:11], s[6:7]
.LBB255_191:
	v_mov_b32_e32 v21, v7
.LBB255_192:
	s_or_b64 exec, exec, s[10:11]
	s_movk_i32 s6, 0x7f
	v_cmp_gt_i16_sdwa s[10:11], v20, s6 src0_sel:BYTE_0 src1_sel:DWORD
	s_mov_b64 s[6:7], 0
	s_and_saveexec_b64 s[14:15], s[10:11]
	s_xor_b64 s[10:11], exec, s[14:15]
	s_cbranch_execnz .LBB255_533
; %bb.193:
	s_or_saveexec_b64 s[10:11], s[10:11]
	v_mov_b32_e32 v22, 0x7f800001
	s_xor_b64 exec, exec, s[10:11]
	s_cbranch_execnz .LBB255_536
.LBB255_194:
	s_or_b64 exec, exec, s[10:11]
	s_and_saveexec_b64 s[10:11], s[6:7]
	s_cbranch_execz .LBB255_196
.LBB255_195:
	v_and_b32_e32 v23, 3, v20
	v_ffbh_u32_e32 v24, v23
	v_min_u32_e32 v24, 32, v24
	v_lshrrev_b16_e32 v22, 2, v20
	v_subrev_u32_e32 v25, 29, v24
	v_and_b32_e32 v22, 31, v22
	v_lshlrev_b32_e32 v25, v25, v20
	v_sub_u32_e32 v24, 30, v24
	v_and_b32_e32 v25, 3, v25
	v_cmp_eq_u32_e64 s[6:7], 0, v22
	v_cndmask_b32_e64 v22, v22, v24, s[6:7]
	v_cndmask_b32_e64 v23, v23, v25, s[6:7]
	v_lshlrev_b32_e32 v20, 24, v20
	v_mov_b32_e32 v24, 0x37800000
	v_lshlrev_b32_e32 v23, 21, v23
	v_and_b32_e32 v20, 0x80000000, v20
	v_lshl_add_u32 v22, v22, 23, v24
	v_or3_b32 v22, v20, v22, v23
.LBB255_196:
	s_or_b64 exec, exec, s[10:11]
	v_cmp_neq_f32_e64 s[10:11], v21, v22
                                        ; implicit-def: $vgpr20
.LBB255_197:
	s_andn2_saveexec_b64 s[12:13], s[12:13]
	s_cbranch_execz .LBB255_207
; %bb.198:
	s_movk_i32 s6, 0x7f
	v_cmp_gt_i16_sdwa s[14:15], v1, s6 src0_sel:BYTE_0 src1_sel:DWORD
	s_mov_b64 s[6:7], 0
	s_and_saveexec_b64 s[16:17], s[14:15]
	s_xor_b64 s[14:15], exec, s[16:17]
	s_cbranch_execnz .LBB255_537
; %bb.199:
	s_or_saveexec_b64 s[14:15], s[14:15]
	v_mov_b32_e32 v21, 0x7f800001
	s_xor_b64 exec, exec, s[14:15]
	s_cbranch_execnz .LBB255_540
.LBB255_200:
	s_or_b64 exec, exec, s[14:15]
	s_and_saveexec_b64 s[14:15], s[6:7]
.LBB255_201:
	v_mov_b32_e32 v21, v7
.LBB255_202:
	s_or_b64 exec, exec, s[14:15]
	s_movk_i32 s6, 0x7f
	v_cmp_gt_i16_sdwa s[14:15], v20, s6 src0_sel:BYTE_0 src1_sel:DWORD
	s_mov_b64 s[6:7], 0
	s_and_saveexec_b64 s[16:17], s[14:15]
	s_xor_b64 s[14:15], exec, s[16:17]
	s_cbranch_execnz .LBB255_541
; %bb.203:
	s_or_saveexec_b64 s[14:15], s[14:15]
	v_mov_b32_e32 v22, 0x7f800001
	s_xor_b64 exec, exec, s[14:15]
	s_cbranch_execnz .LBB255_544
.LBB255_204:
	s_or_b64 exec, exec, s[14:15]
	s_and_saveexec_b64 s[14:15], s[6:7]
	s_cbranch_execz .LBB255_206
.LBB255_205:
	v_and_b32_e32 v23, 3, v20
	v_ffbh_u32_e32 v24, v23
	v_min_u32_e32 v24, 32, v24
	v_lshrrev_b16_e32 v22, 2, v20
	v_subrev_u32_e32 v25, 29, v24
	v_and_b32_e32 v22, 31, v22
	v_lshlrev_b32_e32 v25, v25, v20
	v_sub_u32_e32 v24, 30, v24
	v_and_b32_e32 v25, 3, v25
	v_cmp_eq_u32_e64 s[6:7], 0, v22
	v_cndmask_b32_e64 v22, v22, v24, s[6:7]
	v_cndmask_b32_e64 v23, v23, v25, s[6:7]
	v_lshlrev_b32_e32 v20, 24, v20
	v_mov_b32_e32 v24, 0x37800000
	v_lshlrev_b32_e32 v23, 21, v23
	v_and_b32_e32 v20, 0x80000000, v20
	v_lshl_add_u32 v22, v22, 23, v24
	v_or3_b32 v22, v20, v22, v23
.LBB255_206:
	s_or_b64 exec, exec, s[14:15]
	v_cmp_eq_f32_e64 s[6:7], v21, v22
	s_andn2_b64 s[10:11], s[10:11], exec
	s_and_b64 s[6:7], s[6:7], exec
	s_or_b64 s[10:11], s[10:11], s[6:7]
.LBB255_207:
	s_or_b64 exec, exec, s[12:13]
	s_movk_i32 s6, 0xff
	v_cndmask_b32_e64 v21, 0, 1, s[10:11]
	v_and_b32_sdwa v20, v5, s6 dst_sel:DWORD dst_unused:UNUSED_PAD src0_sel:WORD_1 src1_sel:DWORD
	v_lshlrev_b16_e32 v21, 8, v21
	v_or_b32_sdwa v20, v20, v21 dst_sel:WORD_1 dst_unused:UNUSED_PAD src0_sel:DWORD src1_sel:DWORD
	s_mov_b32 s6, 0xffff
	v_and_or_b32 v5, v5, s6, v20
.LBB255_208:
	s_or_b64 exec, exec, s[8:9]
	v_or_b32_e32 v20, 0x800, v9
	v_cmp_lt_i32_e64 s[6:7], v20, v6
	s_and_saveexec_b64 s[8:9], s[6:7]
	s_cbranch_execz .LBB255_230
; %bb.209:
                                        ; implicit-def: $sgpr10_sgpr11
	s_and_saveexec_b64 s[6:7], s[4:5]
	s_xor_b64 s[12:13], exec, s[6:7]
	s_cbranch_execz .LBB255_219
; %bb.210:
	s_movk_i32 s6, 0x7f
	v_cmp_gt_i16_sdwa s[10:11], v1, s6 src0_sel:BYTE_0 src1_sel:DWORD
	s_mov_b64 s[6:7], 0
	s_and_saveexec_b64 s[14:15], s[10:11]
	s_xor_b64 s[10:11], exec, s[14:15]
	s_cbranch_execnz .LBB255_545
; %bb.211:
	s_or_saveexec_b64 s[10:11], s[10:11]
	v_mov_b32_e32 v20, 0x7f800001
	s_xor_b64 exec, exec, s[10:11]
	s_cbranch_execnz .LBB255_548
.LBB255_212:
	s_or_b64 exec, exec, s[10:11]
	s_and_saveexec_b64 s[10:11], s[6:7]
.LBB255_213:
	v_mov_b32_e32 v20, v7
.LBB255_214:
	s_or_b64 exec, exec, s[10:11]
	s_movk_i32 s6, 0x7f
	v_cmp_gt_i16_sdwa s[10:11], v19, s6 src0_sel:BYTE_0 src1_sel:DWORD
	s_mov_b64 s[6:7], 0
	s_and_saveexec_b64 s[14:15], s[10:11]
	s_xor_b64 s[10:11], exec, s[14:15]
	s_cbranch_execnz .LBB255_549
; %bb.215:
	s_or_saveexec_b64 s[10:11], s[10:11]
	v_mov_b32_e32 v21, 0x7f800001
	s_xor_b64 exec, exec, s[10:11]
	s_cbranch_execnz .LBB255_552
.LBB255_216:
	s_or_b64 exec, exec, s[10:11]
	s_and_saveexec_b64 s[10:11], s[6:7]
	s_cbranch_execz .LBB255_218
.LBB255_217:
	v_and_b32_e32 v22, 3, v19
	v_ffbh_u32_e32 v23, v22
	v_min_u32_e32 v23, 32, v23
	v_lshrrev_b16_e32 v21, 2, v19
	v_subrev_u32_e32 v24, 29, v23
	v_and_b32_e32 v21, 31, v21
	v_lshlrev_b32_e32 v24, v24, v19
	v_sub_u32_e32 v23, 30, v23
	v_and_b32_e32 v24, 3, v24
	v_cmp_eq_u32_e64 s[6:7], 0, v21
	v_cndmask_b32_e64 v21, v21, v23, s[6:7]
	v_cndmask_b32_e64 v22, v22, v24, s[6:7]
	v_lshlrev_b32_e32 v19, 24, v19
	v_mov_b32_e32 v23, 0x37800000
	v_lshlrev_b32_e32 v22, 21, v22
	v_and_b32_e32 v19, 0x80000000, v19
	v_lshl_add_u32 v21, v21, 23, v23
	v_or3_b32 v21, v19, v21, v22
.LBB255_218:
	s_or_b64 exec, exec, s[10:11]
	v_cmp_neq_f32_e64 s[10:11], v20, v21
                                        ; implicit-def: $vgpr19
.LBB255_219:
	s_andn2_saveexec_b64 s[12:13], s[12:13]
	s_cbranch_execz .LBB255_229
; %bb.220:
	s_movk_i32 s6, 0x7f
	v_cmp_gt_i16_sdwa s[14:15], v1, s6 src0_sel:BYTE_0 src1_sel:DWORD
	s_mov_b64 s[6:7], 0
	s_and_saveexec_b64 s[16:17], s[14:15]
	s_xor_b64 s[14:15], exec, s[16:17]
	s_cbranch_execnz .LBB255_553
; %bb.221:
	s_or_saveexec_b64 s[14:15], s[14:15]
	v_mov_b32_e32 v20, 0x7f800001
	s_xor_b64 exec, exec, s[14:15]
	s_cbranch_execnz .LBB255_556
.LBB255_222:
	s_or_b64 exec, exec, s[14:15]
	s_and_saveexec_b64 s[14:15], s[6:7]
.LBB255_223:
	v_mov_b32_e32 v20, v7
.LBB255_224:
	s_or_b64 exec, exec, s[14:15]
	s_movk_i32 s6, 0x7f
	v_cmp_gt_i16_sdwa s[14:15], v19, s6 src0_sel:BYTE_0 src1_sel:DWORD
	s_mov_b64 s[6:7], 0
	s_and_saveexec_b64 s[16:17], s[14:15]
	s_xor_b64 s[14:15], exec, s[16:17]
	s_cbranch_execnz .LBB255_557
; %bb.225:
	s_or_saveexec_b64 s[14:15], s[14:15]
	v_mov_b32_e32 v21, 0x7f800001
	s_xor_b64 exec, exec, s[14:15]
	s_cbranch_execnz .LBB255_560
.LBB255_226:
	s_or_b64 exec, exec, s[14:15]
	s_and_saveexec_b64 s[14:15], s[6:7]
	s_cbranch_execz .LBB255_228
.LBB255_227:
	v_and_b32_e32 v22, 3, v19
	v_ffbh_u32_e32 v23, v22
	v_min_u32_e32 v23, 32, v23
	v_lshrrev_b16_e32 v21, 2, v19
	v_subrev_u32_e32 v24, 29, v23
	v_and_b32_e32 v21, 31, v21
	v_lshlrev_b32_e32 v24, v24, v19
	v_sub_u32_e32 v23, 30, v23
	v_and_b32_e32 v24, 3, v24
	v_cmp_eq_u32_e64 s[6:7], 0, v21
	v_cndmask_b32_e64 v21, v21, v23, s[6:7]
	v_cndmask_b32_e64 v22, v22, v24, s[6:7]
	v_lshlrev_b32_e32 v19, 24, v19
	v_mov_b32_e32 v23, 0x37800000
	v_lshlrev_b32_e32 v22, 21, v22
	v_and_b32_e32 v19, 0x80000000, v19
	v_lshl_add_u32 v21, v21, 23, v23
	v_or3_b32 v21, v19, v21, v22
.LBB255_228:
	s_or_b64 exec, exec, s[14:15]
	v_cmp_eq_f32_e64 s[6:7], v20, v21
	s_andn2_b64 s[10:11], s[10:11], exec
	s_and_b64 s[6:7], s[6:7], exec
	s_or_b64 s[10:11], s[10:11], s[6:7]
.LBB255_229:
	s_or_b64 exec, exec, s[12:13]
	v_and_b32_e32 v19, 0xffffff00, v4
	v_cndmask_b32_e64 v20, 0, 1, s[10:11]
	v_or_b32_e32 v19, v20, v19
	v_and_b32_e32 v19, 0xffff, v19
	s_mov_b32 s6, 0xffff0000
	v_and_or_b32 v4, v4, s6, v19
.LBB255_230:
	s_or_b64 exec, exec, s[8:9]
	v_add_u32_e32 v19, 0x900, v9
	v_cmp_lt_i32_e64 s[6:7], v19, v6
	s_and_saveexec_b64 s[8:9], s[6:7]
	s_cbranch_execz .LBB255_252
; %bb.231:
                                        ; implicit-def: $sgpr10_sgpr11
	s_and_saveexec_b64 s[6:7], s[4:5]
	s_xor_b64 s[12:13], exec, s[6:7]
	s_cbranch_execz .LBB255_241
; %bb.232:
	s_movk_i32 s6, 0x7f
	v_cmp_gt_i16_sdwa s[10:11], v1, s6 src0_sel:BYTE_0 src1_sel:DWORD
	s_mov_b64 s[6:7], 0
	s_and_saveexec_b64 s[14:15], s[10:11]
	s_xor_b64 s[10:11], exec, s[14:15]
	s_cbranch_execnz .LBB255_561
; %bb.233:
	s_or_saveexec_b64 s[10:11], s[10:11]
	v_mov_b32_e32 v19, 0x7f800001
	s_xor_b64 exec, exec, s[10:11]
	s_cbranch_execnz .LBB255_564
.LBB255_234:
	s_or_b64 exec, exec, s[10:11]
	s_and_saveexec_b64 s[10:11], s[6:7]
.LBB255_235:
	v_mov_b32_e32 v19, v7
.LBB255_236:
	s_or_b64 exec, exec, s[10:11]
	s_movk_i32 s6, 0x7f
	v_cmp_gt_i16_sdwa s[10:11], v18, s6 src0_sel:BYTE_0 src1_sel:DWORD
	s_mov_b64 s[6:7], 0
	s_and_saveexec_b64 s[14:15], s[10:11]
	s_xor_b64 s[10:11], exec, s[14:15]
	s_cbranch_execnz .LBB255_565
; %bb.237:
	s_or_saveexec_b64 s[10:11], s[10:11]
	v_mov_b32_e32 v20, 0x7f800001
	s_xor_b64 exec, exec, s[10:11]
	s_cbranch_execnz .LBB255_568
.LBB255_238:
	s_or_b64 exec, exec, s[10:11]
	s_and_saveexec_b64 s[10:11], s[6:7]
	s_cbranch_execz .LBB255_240
.LBB255_239:
	v_and_b32_e32 v21, 3, v18
	v_ffbh_u32_e32 v22, v21
	v_min_u32_e32 v22, 32, v22
	v_lshrrev_b16_e32 v20, 2, v18
	v_subrev_u32_e32 v23, 29, v22
	v_and_b32_e32 v20, 31, v20
	v_lshlrev_b32_e32 v23, v23, v18
	v_sub_u32_e32 v22, 30, v22
	v_and_b32_e32 v23, 3, v23
	v_cmp_eq_u32_e64 s[6:7], 0, v20
	v_cndmask_b32_e64 v20, v20, v22, s[6:7]
	v_cndmask_b32_e64 v21, v21, v23, s[6:7]
	v_lshlrev_b32_e32 v18, 24, v18
	v_mov_b32_e32 v22, 0x37800000
	v_lshlrev_b32_e32 v21, 21, v21
	v_and_b32_e32 v18, 0x80000000, v18
	v_lshl_add_u32 v20, v20, 23, v22
	v_or3_b32 v20, v18, v20, v21
.LBB255_240:
	s_or_b64 exec, exec, s[10:11]
	v_cmp_neq_f32_e64 s[10:11], v19, v20
                                        ; implicit-def: $vgpr18
.LBB255_241:
	s_andn2_saveexec_b64 s[12:13], s[12:13]
	s_cbranch_execz .LBB255_251
; %bb.242:
	s_movk_i32 s6, 0x7f
	v_cmp_gt_i16_sdwa s[14:15], v1, s6 src0_sel:BYTE_0 src1_sel:DWORD
	s_mov_b64 s[6:7], 0
	s_and_saveexec_b64 s[16:17], s[14:15]
	s_xor_b64 s[14:15], exec, s[16:17]
	s_cbranch_execnz .LBB255_569
; %bb.243:
	s_or_saveexec_b64 s[14:15], s[14:15]
	v_mov_b32_e32 v19, 0x7f800001
	s_xor_b64 exec, exec, s[14:15]
	s_cbranch_execnz .LBB255_572
.LBB255_244:
	s_or_b64 exec, exec, s[14:15]
	s_and_saveexec_b64 s[14:15], s[6:7]
.LBB255_245:
	v_mov_b32_e32 v19, v7
.LBB255_246:
	s_or_b64 exec, exec, s[14:15]
	s_movk_i32 s6, 0x7f
	v_cmp_gt_i16_sdwa s[14:15], v18, s6 src0_sel:BYTE_0 src1_sel:DWORD
	s_mov_b64 s[6:7], 0
	s_and_saveexec_b64 s[16:17], s[14:15]
	s_xor_b64 s[14:15], exec, s[16:17]
	s_cbranch_execnz .LBB255_573
; %bb.247:
	s_or_saveexec_b64 s[14:15], s[14:15]
	v_mov_b32_e32 v20, 0x7f800001
	s_xor_b64 exec, exec, s[14:15]
	s_cbranch_execnz .LBB255_576
.LBB255_248:
	s_or_b64 exec, exec, s[14:15]
	s_and_saveexec_b64 s[14:15], s[6:7]
	s_cbranch_execz .LBB255_250
.LBB255_249:
	v_and_b32_e32 v21, 3, v18
	v_ffbh_u32_e32 v22, v21
	v_min_u32_e32 v22, 32, v22
	v_lshrrev_b16_e32 v20, 2, v18
	v_subrev_u32_e32 v23, 29, v22
	v_and_b32_e32 v20, 31, v20
	v_lshlrev_b32_e32 v23, v23, v18
	v_sub_u32_e32 v22, 30, v22
	v_and_b32_e32 v23, 3, v23
	v_cmp_eq_u32_e64 s[6:7], 0, v20
	v_cndmask_b32_e64 v20, v20, v22, s[6:7]
	v_cndmask_b32_e64 v21, v21, v23, s[6:7]
	v_lshlrev_b32_e32 v18, 24, v18
	v_mov_b32_e32 v22, 0x37800000
	v_lshlrev_b32_e32 v21, 21, v21
	v_and_b32_e32 v18, 0x80000000, v18
	v_lshl_add_u32 v20, v20, 23, v22
	v_or3_b32 v20, v18, v20, v21
.LBB255_250:
	s_or_b64 exec, exec, s[14:15]
	v_cmp_eq_f32_e64 s[6:7], v19, v20
	s_andn2_b64 s[10:11], s[10:11], exec
	s_and_b64 s[6:7], s[6:7], exec
	s_or_b64 s[10:11], s[10:11], s[6:7]
.LBB255_251:
	s_or_b64 exec, exec, s[12:13]
	v_cndmask_b32_e64 v18, 0, 1, s[10:11]
	v_lshlrev_b16_e32 v18, 8, v18
	v_or_b32_sdwa v18, v4, v18 dst_sel:DWORD dst_unused:UNUSED_PAD src0_sel:BYTE_0 src1_sel:DWORD
	v_and_b32_e32 v18, 0xffff, v18
	s_mov_b32 s6, 0xffff0000
	v_and_or_b32 v4, v4, s6, v18
.LBB255_252:
	s_or_b64 exec, exec, s[8:9]
	v_add_u32_e32 v18, 0xa00, v9
	v_cmp_lt_i32_e64 s[6:7], v18, v6
	s_and_saveexec_b64 s[8:9], s[6:7]
	s_cbranch_execz .LBB255_274
; %bb.253:
                                        ; implicit-def: $sgpr10_sgpr11
	s_and_saveexec_b64 s[6:7], s[4:5]
	s_xor_b64 s[12:13], exec, s[6:7]
	s_cbranch_execz .LBB255_263
; %bb.254:
	s_movk_i32 s6, 0x7f
	v_cmp_gt_i16_sdwa s[10:11], v1, s6 src0_sel:BYTE_0 src1_sel:DWORD
	s_mov_b64 s[6:7], 0
	s_and_saveexec_b64 s[14:15], s[10:11]
	s_xor_b64 s[10:11], exec, s[14:15]
	s_cbranch_execnz .LBB255_577
; %bb.255:
	s_or_saveexec_b64 s[10:11], s[10:11]
	v_mov_b32_e32 v18, 0x7f800001
	s_xor_b64 exec, exec, s[10:11]
	s_cbranch_execnz .LBB255_580
.LBB255_256:
	s_or_b64 exec, exec, s[10:11]
	s_and_saveexec_b64 s[10:11], s[6:7]
.LBB255_257:
	v_mov_b32_e32 v18, v7
.LBB255_258:
	s_or_b64 exec, exec, s[10:11]
	s_movk_i32 s6, 0x7f
	v_cmp_gt_i16_sdwa s[10:11], v17, s6 src0_sel:BYTE_0 src1_sel:DWORD
	s_mov_b64 s[6:7], 0
	s_and_saveexec_b64 s[14:15], s[10:11]
	s_xor_b64 s[10:11], exec, s[14:15]
	s_cbranch_execnz .LBB255_581
; %bb.259:
	s_or_saveexec_b64 s[10:11], s[10:11]
	v_mov_b32_e32 v19, 0x7f800001
	s_xor_b64 exec, exec, s[10:11]
	s_cbranch_execnz .LBB255_584
.LBB255_260:
	s_or_b64 exec, exec, s[10:11]
	s_and_saveexec_b64 s[10:11], s[6:7]
	s_cbranch_execz .LBB255_262
.LBB255_261:
	v_and_b32_e32 v20, 3, v17
	v_ffbh_u32_e32 v21, v20
	v_min_u32_e32 v21, 32, v21
	v_lshrrev_b16_e32 v19, 2, v17
	v_subrev_u32_e32 v22, 29, v21
	v_and_b32_e32 v19, 31, v19
	v_lshlrev_b32_e32 v22, v22, v17
	v_sub_u32_e32 v21, 30, v21
	v_and_b32_e32 v22, 3, v22
	v_cmp_eq_u32_e64 s[6:7], 0, v19
	v_cndmask_b32_e64 v19, v19, v21, s[6:7]
	v_cndmask_b32_e64 v20, v20, v22, s[6:7]
	v_lshlrev_b32_e32 v17, 24, v17
	v_mov_b32_e32 v21, 0x37800000
	v_lshlrev_b32_e32 v20, 21, v20
	v_and_b32_e32 v17, 0x80000000, v17
	v_lshl_add_u32 v19, v19, 23, v21
	v_or3_b32 v19, v17, v19, v20
.LBB255_262:
	s_or_b64 exec, exec, s[10:11]
	v_cmp_neq_f32_e64 s[10:11], v18, v19
                                        ; implicit-def: $vgpr17
.LBB255_263:
	s_andn2_saveexec_b64 s[12:13], s[12:13]
	s_cbranch_execz .LBB255_273
; %bb.264:
	s_movk_i32 s6, 0x7f
	v_cmp_gt_i16_sdwa s[14:15], v1, s6 src0_sel:BYTE_0 src1_sel:DWORD
	s_mov_b64 s[6:7], 0
	s_and_saveexec_b64 s[16:17], s[14:15]
	s_xor_b64 s[14:15], exec, s[16:17]
	s_cbranch_execnz .LBB255_585
; %bb.265:
	s_or_saveexec_b64 s[14:15], s[14:15]
	v_mov_b32_e32 v18, 0x7f800001
	s_xor_b64 exec, exec, s[14:15]
	s_cbranch_execnz .LBB255_588
.LBB255_266:
	s_or_b64 exec, exec, s[14:15]
	s_and_saveexec_b64 s[14:15], s[6:7]
.LBB255_267:
	v_mov_b32_e32 v18, v7
.LBB255_268:
	s_or_b64 exec, exec, s[14:15]
	s_movk_i32 s6, 0x7f
	v_cmp_gt_i16_sdwa s[14:15], v17, s6 src0_sel:BYTE_0 src1_sel:DWORD
	s_mov_b64 s[6:7], 0
	s_and_saveexec_b64 s[16:17], s[14:15]
	s_xor_b64 s[14:15], exec, s[16:17]
	s_cbranch_execnz .LBB255_589
; %bb.269:
	s_or_saveexec_b64 s[14:15], s[14:15]
	v_mov_b32_e32 v19, 0x7f800001
	s_xor_b64 exec, exec, s[14:15]
	s_cbranch_execnz .LBB255_592
.LBB255_270:
	s_or_b64 exec, exec, s[14:15]
	s_and_saveexec_b64 s[14:15], s[6:7]
	s_cbranch_execz .LBB255_272
.LBB255_271:
	v_and_b32_e32 v20, 3, v17
	v_ffbh_u32_e32 v21, v20
	v_min_u32_e32 v21, 32, v21
	v_lshrrev_b16_e32 v19, 2, v17
	v_subrev_u32_e32 v22, 29, v21
	v_and_b32_e32 v19, 31, v19
	v_lshlrev_b32_e32 v22, v22, v17
	v_sub_u32_e32 v21, 30, v21
	v_and_b32_e32 v22, 3, v22
	v_cmp_eq_u32_e64 s[6:7], 0, v19
	v_cndmask_b32_e64 v19, v19, v21, s[6:7]
	v_cndmask_b32_e64 v20, v20, v22, s[6:7]
	v_lshlrev_b32_e32 v17, 24, v17
	v_mov_b32_e32 v21, 0x37800000
	v_lshlrev_b32_e32 v20, 21, v20
	v_and_b32_e32 v17, 0x80000000, v17
	v_lshl_add_u32 v19, v19, 23, v21
	v_or3_b32 v19, v17, v19, v20
.LBB255_272:
	s_or_b64 exec, exec, s[14:15]
	v_cmp_eq_f32_e64 s[6:7], v18, v19
	s_andn2_b64 s[10:11], s[10:11], exec
	s_and_b64 s[6:7], s[6:7], exec
	s_or_b64 s[10:11], s[10:11], s[6:7]
.LBB255_273:
	s_or_b64 exec, exec, s[12:13]
	s_movk_i32 s6, 0xff00
	v_and_b32_sdwa v17, v4, s6 dst_sel:DWORD dst_unused:UNUSED_PAD src0_sel:WORD_1 src1_sel:DWORD
	v_cndmask_b32_e64 v18, 0, 1, s[10:11]
	v_or_b32_sdwa v17, v18, v17 dst_sel:WORD_1 dst_unused:UNUSED_PAD src0_sel:DWORD src1_sel:DWORD
	s_mov_b32 s6, 0xffff
	v_and_or_b32 v4, v4, s6, v17
.LBB255_274:
	s_or_b64 exec, exec, s[8:9]
	v_add_u32_e32 v17, 0xb00, v9
	v_cmp_lt_i32_e64 s[6:7], v17, v6
	s_and_saveexec_b64 s[8:9], s[6:7]
	s_cbranch_execz .LBB255_296
; %bb.275:
                                        ; implicit-def: $sgpr10_sgpr11
	s_and_saveexec_b64 s[6:7], s[4:5]
	s_xor_b64 s[12:13], exec, s[6:7]
	s_cbranch_execz .LBB255_285
; %bb.276:
	s_movk_i32 s6, 0x7f
	v_cmp_gt_i16_sdwa s[10:11], v1, s6 src0_sel:BYTE_0 src1_sel:DWORD
	s_mov_b64 s[6:7], 0
	s_and_saveexec_b64 s[14:15], s[10:11]
	s_xor_b64 s[10:11], exec, s[14:15]
	s_cbranch_execnz .LBB255_593
; %bb.277:
	s_or_saveexec_b64 s[10:11], s[10:11]
	v_mov_b32_e32 v17, 0x7f800001
	s_xor_b64 exec, exec, s[10:11]
	s_cbranch_execnz .LBB255_596
.LBB255_278:
	s_or_b64 exec, exec, s[10:11]
	s_and_saveexec_b64 s[10:11], s[6:7]
.LBB255_279:
	v_mov_b32_e32 v17, v7
.LBB255_280:
	s_or_b64 exec, exec, s[10:11]
	s_movk_i32 s6, 0x7f
	v_cmp_gt_i16_sdwa s[10:11], v16, s6 src0_sel:BYTE_0 src1_sel:DWORD
	s_mov_b64 s[6:7], 0
	s_and_saveexec_b64 s[14:15], s[10:11]
	s_xor_b64 s[10:11], exec, s[14:15]
	s_cbranch_execnz .LBB255_597
; %bb.281:
	s_or_saveexec_b64 s[10:11], s[10:11]
	v_mov_b32_e32 v18, 0x7f800001
	s_xor_b64 exec, exec, s[10:11]
	s_cbranch_execnz .LBB255_600
.LBB255_282:
	s_or_b64 exec, exec, s[10:11]
	s_and_saveexec_b64 s[10:11], s[6:7]
	s_cbranch_execz .LBB255_284
.LBB255_283:
	v_and_b32_e32 v19, 3, v16
	v_ffbh_u32_e32 v20, v19
	v_min_u32_e32 v20, 32, v20
	v_lshrrev_b16_e32 v18, 2, v16
	v_subrev_u32_e32 v21, 29, v20
	v_and_b32_e32 v18, 31, v18
	v_lshlrev_b32_e32 v21, v21, v16
	v_sub_u32_e32 v20, 30, v20
	v_and_b32_e32 v21, 3, v21
	v_cmp_eq_u32_e64 s[6:7], 0, v18
	v_cndmask_b32_e64 v18, v18, v20, s[6:7]
	v_cndmask_b32_e64 v19, v19, v21, s[6:7]
	v_lshlrev_b32_e32 v16, 24, v16
	v_mov_b32_e32 v20, 0x37800000
	v_lshlrev_b32_e32 v19, 21, v19
	v_and_b32_e32 v16, 0x80000000, v16
	v_lshl_add_u32 v18, v18, 23, v20
	v_or3_b32 v18, v16, v18, v19
.LBB255_284:
	s_or_b64 exec, exec, s[10:11]
	v_cmp_neq_f32_e64 s[10:11], v17, v18
                                        ; implicit-def: $vgpr16
.LBB255_285:
	s_andn2_saveexec_b64 s[12:13], s[12:13]
	s_cbranch_execz .LBB255_295
; %bb.286:
	s_movk_i32 s6, 0x7f
	v_cmp_gt_i16_sdwa s[14:15], v1, s6 src0_sel:BYTE_0 src1_sel:DWORD
	s_mov_b64 s[6:7], 0
	s_and_saveexec_b64 s[16:17], s[14:15]
	s_xor_b64 s[14:15], exec, s[16:17]
	s_cbranch_execnz .LBB255_601
; %bb.287:
	s_or_saveexec_b64 s[14:15], s[14:15]
	v_mov_b32_e32 v17, 0x7f800001
	s_xor_b64 exec, exec, s[14:15]
	s_cbranch_execnz .LBB255_604
.LBB255_288:
	s_or_b64 exec, exec, s[14:15]
	s_and_saveexec_b64 s[14:15], s[6:7]
.LBB255_289:
	v_mov_b32_e32 v17, v7
.LBB255_290:
	s_or_b64 exec, exec, s[14:15]
	s_movk_i32 s6, 0x7f
	v_cmp_gt_i16_sdwa s[14:15], v16, s6 src0_sel:BYTE_0 src1_sel:DWORD
	s_mov_b64 s[6:7], 0
	s_and_saveexec_b64 s[16:17], s[14:15]
	s_xor_b64 s[14:15], exec, s[16:17]
	s_cbranch_execnz .LBB255_605
; %bb.291:
	s_or_saveexec_b64 s[14:15], s[14:15]
	v_mov_b32_e32 v18, 0x7f800001
	s_xor_b64 exec, exec, s[14:15]
	s_cbranch_execnz .LBB255_608
.LBB255_292:
	s_or_b64 exec, exec, s[14:15]
	s_and_saveexec_b64 s[14:15], s[6:7]
	s_cbranch_execz .LBB255_294
.LBB255_293:
	v_and_b32_e32 v19, 3, v16
	v_ffbh_u32_e32 v20, v19
	v_min_u32_e32 v20, 32, v20
	v_lshrrev_b16_e32 v18, 2, v16
	v_subrev_u32_e32 v21, 29, v20
	v_and_b32_e32 v18, 31, v18
	v_lshlrev_b32_e32 v21, v21, v16
	v_sub_u32_e32 v20, 30, v20
	v_and_b32_e32 v21, 3, v21
	v_cmp_eq_u32_e64 s[6:7], 0, v18
	v_cndmask_b32_e64 v18, v18, v20, s[6:7]
	v_cndmask_b32_e64 v19, v19, v21, s[6:7]
	v_lshlrev_b32_e32 v16, 24, v16
	v_mov_b32_e32 v20, 0x37800000
	v_lshlrev_b32_e32 v19, 21, v19
	v_and_b32_e32 v16, 0x80000000, v16
	v_lshl_add_u32 v18, v18, 23, v20
	v_or3_b32 v18, v16, v18, v19
.LBB255_294:
	s_or_b64 exec, exec, s[14:15]
	v_cmp_eq_f32_e64 s[6:7], v17, v18
	s_andn2_b64 s[10:11], s[10:11], exec
	s_and_b64 s[6:7], s[6:7], exec
	s_or_b64 s[10:11], s[10:11], s[6:7]
.LBB255_295:
	s_or_b64 exec, exec, s[12:13]
	s_movk_i32 s6, 0xff
	v_cndmask_b32_e64 v17, 0, 1, s[10:11]
	v_and_b32_sdwa v16, v4, s6 dst_sel:DWORD dst_unused:UNUSED_PAD src0_sel:WORD_1 src1_sel:DWORD
	v_lshlrev_b16_e32 v17, 8, v17
	v_or_b32_sdwa v16, v16, v17 dst_sel:WORD_1 dst_unused:UNUSED_PAD src0_sel:DWORD src1_sel:DWORD
	s_mov_b32 s6, 0xffff
	v_and_or_b32 v4, v4, s6, v16
.LBB255_296:
	s_or_b64 exec, exec, s[8:9]
	v_or_b32_e32 v16, 0xc00, v9
	v_cmp_lt_i32_e64 s[6:7], v16, v6
	s_and_saveexec_b64 s[8:9], s[6:7]
	s_cbranch_execz .LBB255_318
; %bb.297:
                                        ; implicit-def: $sgpr10_sgpr11
	s_and_saveexec_b64 s[6:7], s[4:5]
	s_xor_b64 s[12:13], exec, s[6:7]
	s_cbranch_execz .LBB255_307
; %bb.298:
	s_movk_i32 s6, 0x7f
	v_cmp_gt_i16_sdwa s[10:11], v1, s6 src0_sel:BYTE_0 src1_sel:DWORD
	s_mov_b64 s[6:7], 0
	s_and_saveexec_b64 s[14:15], s[10:11]
	s_xor_b64 s[10:11], exec, s[14:15]
	s_cbranch_execnz .LBB255_609
; %bb.299:
	s_or_saveexec_b64 s[10:11], s[10:11]
	v_mov_b32_e32 v16, 0x7f800001
	s_xor_b64 exec, exec, s[10:11]
	s_cbranch_execnz .LBB255_612
.LBB255_300:
	s_or_b64 exec, exec, s[10:11]
	s_and_saveexec_b64 s[10:11], s[6:7]
.LBB255_301:
	v_mov_b32_e32 v16, v7
.LBB255_302:
	s_or_b64 exec, exec, s[10:11]
	s_movk_i32 s6, 0x7f
	v_cmp_gt_i16_sdwa s[10:11], v15, s6 src0_sel:BYTE_0 src1_sel:DWORD
	s_mov_b64 s[6:7], 0
	s_and_saveexec_b64 s[14:15], s[10:11]
	s_xor_b64 s[10:11], exec, s[14:15]
	s_cbranch_execnz .LBB255_613
; %bb.303:
	s_or_saveexec_b64 s[10:11], s[10:11]
	v_mov_b32_e32 v17, 0x7f800001
	s_xor_b64 exec, exec, s[10:11]
	s_cbranch_execnz .LBB255_616
.LBB255_304:
	s_or_b64 exec, exec, s[10:11]
	s_and_saveexec_b64 s[10:11], s[6:7]
	s_cbranch_execz .LBB255_306
.LBB255_305:
	v_and_b32_e32 v18, 3, v15
	v_ffbh_u32_e32 v19, v18
	v_min_u32_e32 v19, 32, v19
	v_lshrrev_b16_e32 v17, 2, v15
	v_subrev_u32_e32 v20, 29, v19
	v_and_b32_e32 v17, 31, v17
	v_lshlrev_b32_e32 v20, v20, v15
	v_sub_u32_e32 v19, 30, v19
	v_and_b32_e32 v20, 3, v20
	v_cmp_eq_u32_e64 s[6:7], 0, v17
	v_cndmask_b32_e64 v17, v17, v19, s[6:7]
	v_cndmask_b32_e64 v18, v18, v20, s[6:7]
	v_lshlrev_b32_e32 v15, 24, v15
	v_mov_b32_e32 v19, 0x37800000
	v_lshlrev_b32_e32 v18, 21, v18
	v_and_b32_e32 v15, 0x80000000, v15
	v_lshl_add_u32 v17, v17, 23, v19
	v_or3_b32 v17, v15, v17, v18
.LBB255_306:
	s_or_b64 exec, exec, s[10:11]
	v_cmp_neq_f32_e64 s[10:11], v16, v17
                                        ; implicit-def: $vgpr15
.LBB255_307:
	s_andn2_saveexec_b64 s[12:13], s[12:13]
	s_cbranch_execz .LBB255_317
; %bb.308:
	s_movk_i32 s6, 0x7f
	v_cmp_gt_i16_sdwa s[14:15], v1, s6 src0_sel:BYTE_0 src1_sel:DWORD
	s_mov_b64 s[6:7], 0
	s_and_saveexec_b64 s[16:17], s[14:15]
	s_xor_b64 s[14:15], exec, s[16:17]
	s_cbranch_execnz .LBB255_617
; %bb.309:
	s_or_saveexec_b64 s[14:15], s[14:15]
	v_mov_b32_e32 v16, 0x7f800001
	s_xor_b64 exec, exec, s[14:15]
	s_cbranch_execnz .LBB255_620
.LBB255_310:
	s_or_b64 exec, exec, s[14:15]
	s_and_saveexec_b64 s[14:15], s[6:7]
.LBB255_311:
	v_mov_b32_e32 v16, v7
.LBB255_312:
	s_or_b64 exec, exec, s[14:15]
	s_movk_i32 s6, 0x7f
	v_cmp_gt_i16_sdwa s[14:15], v15, s6 src0_sel:BYTE_0 src1_sel:DWORD
	s_mov_b64 s[6:7], 0
	s_and_saveexec_b64 s[16:17], s[14:15]
	s_xor_b64 s[14:15], exec, s[16:17]
	s_cbranch_execnz .LBB255_621
; %bb.313:
	s_or_saveexec_b64 s[14:15], s[14:15]
	v_mov_b32_e32 v17, 0x7f800001
	s_xor_b64 exec, exec, s[14:15]
	s_cbranch_execnz .LBB255_624
.LBB255_314:
	s_or_b64 exec, exec, s[14:15]
	s_and_saveexec_b64 s[14:15], s[6:7]
	s_cbranch_execz .LBB255_316
.LBB255_315:
	v_and_b32_e32 v18, 3, v15
	v_ffbh_u32_e32 v19, v18
	v_min_u32_e32 v19, 32, v19
	v_lshrrev_b16_e32 v17, 2, v15
	v_subrev_u32_e32 v20, 29, v19
	v_and_b32_e32 v17, 31, v17
	v_lshlrev_b32_e32 v20, v20, v15
	v_sub_u32_e32 v19, 30, v19
	v_and_b32_e32 v20, 3, v20
	v_cmp_eq_u32_e64 s[6:7], 0, v17
	v_cndmask_b32_e64 v17, v17, v19, s[6:7]
	v_cndmask_b32_e64 v18, v18, v20, s[6:7]
	v_lshlrev_b32_e32 v15, 24, v15
	v_mov_b32_e32 v19, 0x37800000
	v_lshlrev_b32_e32 v18, 21, v18
	v_and_b32_e32 v15, 0x80000000, v15
	v_lshl_add_u32 v17, v17, 23, v19
	v_or3_b32 v17, v15, v17, v18
.LBB255_316:
	s_or_b64 exec, exec, s[14:15]
	v_cmp_eq_f32_e64 s[6:7], v16, v17
	s_andn2_b64 s[10:11], s[10:11], exec
	s_and_b64 s[6:7], s[6:7], exec
	s_or_b64 s[10:11], s[10:11], s[6:7]
.LBB255_317:
	s_or_b64 exec, exec, s[12:13]
	v_and_b32_e32 v15, 0xffffff00, v0
	v_cndmask_b32_e64 v16, 0, 1, s[10:11]
	v_or_b32_e32 v15, v16, v15
	v_and_b32_e32 v15, 0xffff, v15
	s_mov_b32 s6, 0xffff0000
	v_and_or_b32 v0, v0, s6, v15
.LBB255_318:
	s_or_b64 exec, exec, s[8:9]
	v_add_u32_e32 v15, 0xd00, v9
	v_cmp_lt_i32_e64 s[6:7], v15, v6
	s_and_saveexec_b64 s[8:9], s[6:7]
	s_cbranch_execz .LBB255_340
; %bb.319:
                                        ; implicit-def: $sgpr10_sgpr11
	s_and_saveexec_b64 s[6:7], s[4:5]
	s_xor_b64 s[12:13], exec, s[6:7]
	s_cbranch_execz .LBB255_329
; %bb.320:
	s_movk_i32 s6, 0x7f
	v_cmp_gt_i16_sdwa s[10:11], v1, s6 src0_sel:BYTE_0 src1_sel:DWORD
	s_mov_b64 s[6:7], 0
	s_and_saveexec_b64 s[14:15], s[10:11]
	s_xor_b64 s[10:11], exec, s[14:15]
	s_cbranch_execnz .LBB255_625
; %bb.321:
	s_or_saveexec_b64 s[10:11], s[10:11]
	v_mov_b32_e32 v15, 0x7f800001
	s_xor_b64 exec, exec, s[10:11]
	s_cbranch_execnz .LBB255_628
.LBB255_322:
	s_or_b64 exec, exec, s[10:11]
	s_and_saveexec_b64 s[10:11], s[6:7]
.LBB255_323:
	v_mov_b32_e32 v15, v7
.LBB255_324:
	s_or_b64 exec, exec, s[10:11]
	s_movk_i32 s6, 0x7f
	v_cmp_gt_i16_sdwa s[10:11], v14, s6 src0_sel:BYTE_0 src1_sel:DWORD
	s_mov_b64 s[6:7], 0
	s_and_saveexec_b64 s[14:15], s[10:11]
	s_xor_b64 s[10:11], exec, s[14:15]
	s_cbranch_execnz .LBB255_629
; %bb.325:
	s_or_saveexec_b64 s[10:11], s[10:11]
	v_mov_b32_e32 v16, 0x7f800001
	s_xor_b64 exec, exec, s[10:11]
	s_cbranch_execnz .LBB255_632
.LBB255_326:
	s_or_b64 exec, exec, s[10:11]
	s_and_saveexec_b64 s[10:11], s[6:7]
	s_cbranch_execz .LBB255_328
.LBB255_327:
	v_and_b32_e32 v17, 3, v14
	v_ffbh_u32_e32 v18, v17
	v_min_u32_e32 v18, 32, v18
	v_lshrrev_b16_e32 v16, 2, v14
	v_subrev_u32_e32 v19, 29, v18
	v_and_b32_e32 v16, 31, v16
	v_lshlrev_b32_e32 v19, v19, v14
	v_sub_u32_e32 v18, 30, v18
	v_and_b32_e32 v19, 3, v19
	v_cmp_eq_u32_e64 s[6:7], 0, v16
	v_cndmask_b32_e64 v16, v16, v18, s[6:7]
	v_cndmask_b32_e64 v17, v17, v19, s[6:7]
	v_lshlrev_b32_e32 v14, 24, v14
	v_mov_b32_e32 v18, 0x37800000
	v_lshlrev_b32_e32 v17, 21, v17
	v_and_b32_e32 v14, 0x80000000, v14
	v_lshl_add_u32 v16, v16, 23, v18
	v_or3_b32 v16, v14, v16, v17
.LBB255_328:
	s_or_b64 exec, exec, s[10:11]
	v_cmp_neq_f32_e64 s[10:11], v15, v16
                                        ; implicit-def: $vgpr14
.LBB255_329:
	s_andn2_saveexec_b64 s[12:13], s[12:13]
	s_cbranch_execz .LBB255_339
; %bb.330:
	s_movk_i32 s6, 0x7f
	v_cmp_gt_i16_sdwa s[14:15], v1, s6 src0_sel:BYTE_0 src1_sel:DWORD
	s_mov_b64 s[6:7], 0
	s_and_saveexec_b64 s[16:17], s[14:15]
	s_xor_b64 s[14:15], exec, s[16:17]
	s_cbranch_execnz .LBB255_633
; %bb.331:
	s_or_saveexec_b64 s[14:15], s[14:15]
	v_mov_b32_e32 v15, 0x7f800001
	s_xor_b64 exec, exec, s[14:15]
	s_cbranch_execnz .LBB255_636
.LBB255_332:
	s_or_b64 exec, exec, s[14:15]
	s_and_saveexec_b64 s[14:15], s[6:7]
.LBB255_333:
	v_mov_b32_e32 v15, v7
.LBB255_334:
	s_or_b64 exec, exec, s[14:15]
	s_movk_i32 s6, 0x7f
	v_cmp_gt_i16_sdwa s[14:15], v14, s6 src0_sel:BYTE_0 src1_sel:DWORD
	s_mov_b64 s[6:7], 0
	s_and_saveexec_b64 s[16:17], s[14:15]
	s_xor_b64 s[14:15], exec, s[16:17]
	s_cbranch_execnz .LBB255_637
; %bb.335:
	s_or_saveexec_b64 s[14:15], s[14:15]
	v_mov_b32_e32 v16, 0x7f800001
	s_xor_b64 exec, exec, s[14:15]
	s_cbranch_execnz .LBB255_640
.LBB255_336:
	s_or_b64 exec, exec, s[14:15]
	s_and_saveexec_b64 s[14:15], s[6:7]
	s_cbranch_execz .LBB255_338
.LBB255_337:
	v_and_b32_e32 v17, 3, v14
	v_ffbh_u32_e32 v18, v17
	v_min_u32_e32 v18, 32, v18
	v_lshrrev_b16_e32 v16, 2, v14
	v_subrev_u32_e32 v19, 29, v18
	v_and_b32_e32 v16, 31, v16
	v_lshlrev_b32_e32 v19, v19, v14
	v_sub_u32_e32 v18, 30, v18
	v_and_b32_e32 v19, 3, v19
	v_cmp_eq_u32_e64 s[6:7], 0, v16
	v_cndmask_b32_e64 v16, v16, v18, s[6:7]
	v_cndmask_b32_e64 v17, v17, v19, s[6:7]
	v_lshlrev_b32_e32 v14, 24, v14
	v_mov_b32_e32 v18, 0x37800000
	v_lshlrev_b32_e32 v17, 21, v17
	v_and_b32_e32 v14, 0x80000000, v14
	v_lshl_add_u32 v16, v16, 23, v18
	v_or3_b32 v16, v14, v16, v17
.LBB255_338:
	s_or_b64 exec, exec, s[14:15]
	v_cmp_eq_f32_e64 s[6:7], v15, v16
	s_andn2_b64 s[10:11], s[10:11], exec
	s_and_b64 s[6:7], s[6:7], exec
	s_or_b64 s[10:11], s[10:11], s[6:7]
.LBB255_339:
	s_or_b64 exec, exec, s[12:13]
	v_cndmask_b32_e64 v14, 0, 1, s[10:11]
	v_lshlrev_b16_e32 v14, 8, v14
	v_or_b32_sdwa v14, v0, v14 dst_sel:DWORD dst_unused:UNUSED_PAD src0_sel:BYTE_0 src1_sel:DWORD
	v_and_b32_e32 v14, 0xffff, v14
	s_mov_b32 s6, 0xffff0000
	v_and_or_b32 v0, v0, s6, v14
.LBB255_340:
	s_or_b64 exec, exec, s[8:9]
	v_add_u32_e32 v14, 0xe00, v9
	v_cmp_lt_i32_e64 s[6:7], v14, v6
	s_and_saveexec_b64 s[8:9], s[6:7]
	s_cbranch_execz .LBB255_362
; %bb.341:
                                        ; implicit-def: $sgpr10_sgpr11
	s_and_saveexec_b64 s[6:7], s[4:5]
	s_xor_b64 s[12:13], exec, s[6:7]
	s_cbranch_execz .LBB255_351
; %bb.342:
	s_movk_i32 s6, 0x7f
	v_cmp_gt_i16_sdwa s[10:11], v1, s6 src0_sel:BYTE_0 src1_sel:DWORD
	s_mov_b64 s[6:7], 0
	s_and_saveexec_b64 s[14:15], s[10:11]
	s_xor_b64 s[10:11], exec, s[14:15]
	s_cbranch_execnz .LBB255_641
; %bb.343:
	s_or_saveexec_b64 s[10:11], s[10:11]
	v_mov_b32_e32 v14, 0x7f800001
	s_xor_b64 exec, exec, s[10:11]
	s_cbranch_execnz .LBB255_644
.LBB255_344:
	s_or_b64 exec, exec, s[10:11]
	s_and_saveexec_b64 s[10:11], s[6:7]
.LBB255_345:
	v_mov_b32_e32 v14, v7
.LBB255_346:
	s_or_b64 exec, exec, s[10:11]
	s_movk_i32 s6, 0x7f
	v_cmp_gt_i16_sdwa s[10:11], v13, s6 src0_sel:BYTE_0 src1_sel:DWORD
	s_mov_b64 s[6:7], 0
	s_and_saveexec_b64 s[14:15], s[10:11]
	s_xor_b64 s[10:11], exec, s[14:15]
	s_cbranch_execnz .LBB255_645
; %bb.347:
	s_or_saveexec_b64 s[10:11], s[10:11]
	v_mov_b32_e32 v15, 0x7f800001
	s_xor_b64 exec, exec, s[10:11]
	s_cbranch_execnz .LBB255_648
.LBB255_348:
	s_or_b64 exec, exec, s[10:11]
	s_and_saveexec_b64 s[10:11], s[6:7]
	s_cbranch_execz .LBB255_350
.LBB255_349:
	v_and_b32_e32 v16, 3, v13
	v_ffbh_u32_e32 v17, v16
	v_min_u32_e32 v17, 32, v17
	v_lshrrev_b16_e32 v15, 2, v13
	v_subrev_u32_e32 v18, 29, v17
	v_and_b32_e32 v15, 31, v15
	v_lshlrev_b32_e32 v18, v18, v13
	v_sub_u32_e32 v17, 30, v17
	v_and_b32_e32 v18, 3, v18
	v_cmp_eq_u32_e64 s[6:7], 0, v15
	v_cndmask_b32_e64 v15, v15, v17, s[6:7]
	v_cndmask_b32_e64 v16, v16, v18, s[6:7]
	v_lshlrev_b32_e32 v13, 24, v13
	v_mov_b32_e32 v17, 0x37800000
	v_lshlrev_b32_e32 v16, 21, v16
	v_and_b32_e32 v13, 0x80000000, v13
	v_lshl_add_u32 v15, v15, 23, v17
	v_or3_b32 v15, v13, v15, v16
.LBB255_350:
	s_or_b64 exec, exec, s[10:11]
	v_cmp_neq_f32_e64 s[10:11], v14, v15
                                        ; implicit-def: $vgpr13
.LBB255_351:
	s_andn2_saveexec_b64 s[12:13], s[12:13]
	s_cbranch_execz .LBB255_361
; %bb.352:
	s_movk_i32 s6, 0x7f
	v_cmp_gt_i16_sdwa s[14:15], v1, s6 src0_sel:BYTE_0 src1_sel:DWORD
	s_mov_b64 s[6:7], 0
	s_and_saveexec_b64 s[16:17], s[14:15]
	s_xor_b64 s[14:15], exec, s[16:17]
	s_cbranch_execnz .LBB255_649
; %bb.353:
	s_or_saveexec_b64 s[14:15], s[14:15]
	v_mov_b32_e32 v14, 0x7f800001
	s_xor_b64 exec, exec, s[14:15]
	s_cbranch_execnz .LBB255_652
.LBB255_354:
	s_or_b64 exec, exec, s[14:15]
	s_and_saveexec_b64 s[14:15], s[6:7]
.LBB255_355:
	v_mov_b32_e32 v14, v7
.LBB255_356:
	s_or_b64 exec, exec, s[14:15]
	s_movk_i32 s6, 0x7f
	v_cmp_gt_i16_sdwa s[14:15], v13, s6 src0_sel:BYTE_0 src1_sel:DWORD
	s_mov_b64 s[6:7], 0
	s_and_saveexec_b64 s[16:17], s[14:15]
	s_xor_b64 s[14:15], exec, s[16:17]
	s_cbranch_execnz .LBB255_653
; %bb.357:
	s_or_saveexec_b64 s[14:15], s[14:15]
	v_mov_b32_e32 v15, 0x7f800001
	s_xor_b64 exec, exec, s[14:15]
	s_cbranch_execnz .LBB255_656
.LBB255_358:
	s_or_b64 exec, exec, s[14:15]
	s_and_saveexec_b64 s[14:15], s[6:7]
	s_cbranch_execz .LBB255_360
.LBB255_359:
	v_and_b32_e32 v16, 3, v13
	v_ffbh_u32_e32 v17, v16
	v_min_u32_e32 v17, 32, v17
	v_lshrrev_b16_e32 v15, 2, v13
	v_subrev_u32_e32 v18, 29, v17
	v_and_b32_e32 v15, 31, v15
	v_lshlrev_b32_e32 v18, v18, v13
	v_sub_u32_e32 v17, 30, v17
	v_and_b32_e32 v18, 3, v18
	v_cmp_eq_u32_e64 s[6:7], 0, v15
	v_cndmask_b32_e64 v15, v15, v17, s[6:7]
	v_cndmask_b32_e64 v16, v16, v18, s[6:7]
	v_lshlrev_b32_e32 v13, 24, v13
	v_mov_b32_e32 v17, 0x37800000
	v_lshlrev_b32_e32 v16, 21, v16
	v_and_b32_e32 v13, 0x80000000, v13
	v_lshl_add_u32 v15, v15, 23, v17
	v_or3_b32 v15, v13, v15, v16
.LBB255_360:
	s_or_b64 exec, exec, s[14:15]
	v_cmp_eq_f32_e64 s[6:7], v14, v15
	s_andn2_b64 s[10:11], s[10:11], exec
	s_and_b64 s[6:7], s[6:7], exec
	s_or_b64 s[10:11], s[10:11], s[6:7]
.LBB255_361:
	s_or_b64 exec, exec, s[12:13]
	s_movk_i32 s6, 0xff00
	v_and_b32_sdwa v13, v0, s6 dst_sel:DWORD dst_unused:UNUSED_PAD src0_sel:WORD_1 src1_sel:DWORD
	v_cndmask_b32_e64 v14, 0, 1, s[10:11]
	v_or_b32_sdwa v13, v14, v13 dst_sel:WORD_1 dst_unused:UNUSED_PAD src0_sel:DWORD src1_sel:DWORD
	s_mov_b32 s6, 0xffff
	v_and_or_b32 v0, v0, s6, v13
.LBB255_362:
	s_or_b64 exec, exec, s[8:9]
	v_add_u32_e32 v13, 0xf00, v9
	v_cmp_lt_i32_e64 s[6:7], v13, v6
	s_and_saveexec_b64 s[8:9], s[6:7]
	s_cbranch_execnz .LBB255_380
; %bb.363:
	s_or_b64 exec, exec, s[8:9]
	s_and_saveexec_b64 s[4:5], vcc
	s_xor_b64 s[4:5], exec, s[4:5]
	s_cbranch_execnz .LBB255_401
.LBB255_364:
	s_or_b64 exec, exec, s[4:5]
	v_cmp_lt_i32_e32 vcc, v9, v6
	s_and_saveexec_b64 s[4:5], vcc
	s_cbranch_execnz .LBB255_402
.LBB255_365:
	s_or_b64 exec, exec, s[4:5]
	v_cmp_lt_i32_e32 vcc, v9, v6
	s_and_saveexec_b64 s[4:5], vcc
	s_cbranch_execnz .LBB255_403
.LBB255_366:
	s_or_b64 exec, exec, s[4:5]
	v_cmp_lt_i32_e32 vcc, v9, v6
	s_and_saveexec_b64 s[4:5], vcc
	s_cbranch_execnz .LBB255_404
.LBB255_367:
	s_or_b64 exec, exec, s[4:5]
	v_cmp_lt_i32_e32 vcc, v9, v6
	s_and_saveexec_b64 s[4:5], vcc
	s_cbranch_execnz .LBB255_405
.LBB255_368:
	s_or_b64 exec, exec, s[4:5]
	v_cmp_lt_i32_e32 vcc, v9, v6
	s_and_saveexec_b64 s[4:5], vcc
	s_cbranch_execnz .LBB255_406
.LBB255_369:
	s_or_b64 exec, exec, s[4:5]
	v_cmp_lt_i32_e32 vcc, v9, v6
	s_and_saveexec_b64 s[4:5], vcc
	s_cbranch_execnz .LBB255_407
.LBB255_370:
	s_or_b64 exec, exec, s[4:5]
	v_cmp_lt_i32_e32 vcc, v9, v6
	s_and_saveexec_b64 s[4:5], vcc
	s_cbranch_execnz .LBB255_408
.LBB255_371:
	s_or_b64 exec, exec, s[4:5]
	v_cmp_lt_i32_e32 vcc, v9, v6
	s_and_saveexec_b64 s[4:5], vcc
	s_cbranch_execnz .LBB255_409
.LBB255_372:
	s_or_b64 exec, exec, s[4:5]
	v_cmp_lt_i32_e32 vcc, v9, v6
	s_and_saveexec_b64 s[4:5], vcc
	s_cbranch_execnz .LBB255_410
.LBB255_373:
	s_or_b64 exec, exec, s[4:5]
	v_cmp_lt_i32_e32 vcc, v9, v6
	s_and_saveexec_b64 s[4:5], vcc
	s_cbranch_execnz .LBB255_411
.LBB255_374:
	s_or_b64 exec, exec, s[4:5]
	v_cmp_lt_i32_e32 vcc, v9, v6
	s_and_saveexec_b64 s[4:5], vcc
	s_cbranch_execnz .LBB255_412
.LBB255_375:
	s_or_b64 exec, exec, s[4:5]
	v_cmp_lt_i32_e32 vcc, v9, v6
	s_and_saveexec_b64 s[4:5], vcc
	s_cbranch_execnz .LBB255_413
.LBB255_376:
	s_or_b64 exec, exec, s[4:5]
	v_cmp_lt_i32_e32 vcc, v9, v6
	s_and_saveexec_b64 s[4:5], vcc
	s_cbranch_execnz .LBB255_414
.LBB255_377:
	s_or_b64 exec, exec, s[4:5]
	v_cmp_lt_i32_e32 vcc, v9, v6
	s_and_saveexec_b64 s[4:5], vcc
	s_cbranch_execnz .LBB255_415
.LBB255_378:
	s_or_b64 exec, exec, s[4:5]
	v_cmp_lt_i32_e32 vcc, v9, v6
	s_and_saveexec_b64 s[4:5], vcc
	s_cbranch_execnz .LBB255_416
.LBB255_379:
	s_or_b64 exec, exec, s[4:5]
	s_waitcnt vmcnt(0) lgkmcnt(0)
	s_setpc_b64 s[30:31]
.LBB255_380:
                                        ; implicit-def: $sgpr6_sgpr7
	s_and_saveexec_b64 s[10:11], s[4:5]
	s_xor_b64 s[10:11], exec, s[10:11]
	s_cbranch_execz .LBB255_390
; %bb.381:
	s_movk_i32 s4, 0x7f
	v_cmp_gt_i16_sdwa s[6:7], v1, s4 src0_sel:BYTE_0 src1_sel:DWORD
	s_mov_b64 s[4:5], 0
	s_and_saveexec_b64 s[12:13], s[6:7]
	s_xor_b64 s[6:7], exec, s[12:13]
	s_cbranch_execnz .LBB255_657
; %bb.382:
	s_or_saveexec_b64 s[6:7], s[6:7]
	v_mov_b32_e32 v13, 0x7f800001
	s_xor_b64 exec, exec, s[6:7]
	s_cbranch_execnz .LBB255_660
.LBB255_383:
	s_or_b64 exec, exec, s[6:7]
	s_and_saveexec_b64 s[6:7], s[4:5]
.LBB255_384:
	v_mov_b32_e32 v13, v7
.LBB255_385:
	s_or_b64 exec, exec, s[6:7]
	s_movk_i32 s4, 0x7f
	v_cmp_gt_i16_sdwa s[6:7], v11, s4 src0_sel:BYTE_0 src1_sel:DWORD
	s_mov_b64 s[4:5], 0
	s_and_saveexec_b64 s[12:13], s[6:7]
	s_xor_b64 s[6:7], exec, s[12:13]
	s_cbranch_execnz .LBB255_661
; %bb.386:
	s_or_saveexec_b64 s[6:7], s[6:7]
	v_mov_b32_e32 v1, 0x7f800001
	s_xor_b64 exec, exec, s[6:7]
	s_cbranch_execnz .LBB255_664
.LBB255_387:
	s_or_b64 exec, exec, s[6:7]
	s_and_saveexec_b64 s[6:7], s[4:5]
	s_cbranch_execz .LBB255_389
.LBB255_388:
	v_and_b32_e32 v7, 3, v11
	v_ffbh_u32_e32 v14, v7
	v_min_u32_e32 v14, 32, v14
	v_lshrrev_b16_e32 v1, 2, v11
	v_subrev_u32_e32 v15, 29, v14
	v_and_b32_e32 v1, 31, v1
	v_lshlrev_b32_e32 v15, v15, v11
	v_sub_u32_e32 v14, 30, v14
	v_and_b32_e32 v15, 3, v15
	v_cmp_eq_u32_e64 s[4:5], 0, v1
	v_cndmask_b32_e64 v1, v1, v14, s[4:5]
	v_cndmask_b32_e64 v7, v7, v15, s[4:5]
	v_lshlrev_b32_e32 v11, 24, v11
	v_mov_b32_e32 v14, 0x37800000
	v_lshlrev_b32_e32 v7, 21, v7
	v_and_b32_e32 v11, 0x80000000, v11
	v_lshl_add_u32 v1, v1, 23, v14
	v_or3_b32 v1, v11, v1, v7
.LBB255_389:
	s_or_b64 exec, exec, s[6:7]
	v_cmp_neq_f32_e64 s[6:7], v13, v1
                                        ; implicit-def: $vgpr11
                                        ; implicit-def: $vgpr7
                                        ; implicit-def: $vgpr1
.LBB255_390:
	s_andn2_saveexec_b64 s[10:11], s[10:11]
	s_cbranch_execz .LBB255_400
; %bb.391:
	s_movk_i32 s4, 0x7f
	v_cmp_gt_i16_sdwa s[12:13], v1, s4 src0_sel:BYTE_0 src1_sel:DWORD
	s_mov_b64 s[4:5], 0
	s_and_saveexec_b64 s[14:15], s[12:13]
	s_xor_b64 s[12:13], exec, s[14:15]
	s_cbranch_execnz .LBB255_665
; %bb.392:
	s_or_saveexec_b64 s[12:13], s[12:13]
	v_mov_b32_e32 v13, 0x7f800001
	s_xor_b64 exec, exec, s[12:13]
	s_cbranch_execnz .LBB255_668
.LBB255_393:
	s_or_b64 exec, exec, s[12:13]
	s_and_saveexec_b64 s[12:13], s[4:5]
.LBB255_394:
	v_mov_b32_e32 v13, v7
.LBB255_395:
	s_or_b64 exec, exec, s[12:13]
	s_movk_i32 s4, 0x7f
	v_cmp_gt_i16_sdwa s[12:13], v11, s4 src0_sel:BYTE_0 src1_sel:DWORD
	s_mov_b64 s[4:5], 0
	s_and_saveexec_b64 s[14:15], s[12:13]
	s_xor_b64 s[12:13], exec, s[14:15]
	s_cbranch_execnz .LBB255_669
; %bb.396:
	s_or_saveexec_b64 s[12:13], s[12:13]
	v_mov_b32_e32 v1, 0x7f800001
	s_xor_b64 exec, exec, s[12:13]
	s_cbranch_execnz .LBB255_672
.LBB255_397:
	s_or_b64 exec, exec, s[12:13]
	s_and_saveexec_b64 s[12:13], s[4:5]
	s_cbranch_execz .LBB255_399
.LBB255_398:
	v_and_b32_e32 v7, 3, v11
	v_ffbh_u32_e32 v14, v7
	v_min_u32_e32 v14, 32, v14
	v_lshrrev_b16_e32 v1, 2, v11
	v_subrev_u32_e32 v15, 29, v14
	v_and_b32_e32 v1, 31, v1
	v_lshlrev_b32_e32 v15, v15, v11
	v_sub_u32_e32 v14, 30, v14
	v_and_b32_e32 v15, 3, v15
	v_cmp_eq_u32_e64 s[4:5], 0, v1
	v_cndmask_b32_e64 v1, v1, v14, s[4:5]
	v_cndmask_b32_e64 v7, v7, v15, s[4:5]
	v_lshlrev_b32_e32 v11, 24, v11
	v_mov_b32_e32 v14, 0x37800000
	v_lshlrev_b32_e32 v7, 21, v7
	v_and_b32_e32 v11, 0x80000000, v11
	v_lshl_add_u32 v1, v1, 23, v14
	v_or3_b32 v1, v11, v1, v7
.LBB255_399:
	s_or_b64 exec, exec, s[12:13]
	v_cmp_eq_f32_e64 s[4:5], v13, v1
	s_andn2_b64 s[6:7], s[6:7], exec
	s_and_b64 s[4:5], s[4:5], exec
	s_or_b64 s[6:7], s[6:7], s[4:5]
.LBB255_400:
	s_or_b64 exec, exec, s[10:11]
	s_movk_i32 s4, 0xff
	v_cndmask_b32_e64 v7, 0, 1, s[6:7]
	v_and_b32_sdwa v1, v0, s4 dst_sel:DWORD dst_unused:UNUSED_PAD src0_sel:WORD_1 src1_sel:DWORD
	v_lshlrev_b16_e32 v7, 8, v7
	v_or_b32_sdwa v1, v1, v7 dst_sel:WORD_1 dst_unused:UNUSED_PAD src0_sel:DWORD src1_sel:DWORD
	s_mov_b32 s4, 0xffff
	v_and_or_b32 v0, v0, s4, v1
	s_or_b64 exec, exec, s[8:9]
	s_and_saveexec_b64 s[4:5], vcc
	s_xor_b64 s[4:5], exec, s[4:5]
	s_cbranch_execz .LBB255_364
.LBB255_401:
	v_add_co_u32_e32 v9, vcc, v2, v10
	v_addc_co_u32_e32 v10, vcc, 0, v3, vcc
	flat_store_byte v[9:10], v12
	v_mov_b32_e32 v9, v8
	s_or_b64 exec, exec, s[4:5]
	v_cmp_lt_i32_e32 vcc, v9, v6
	s_and_saveexec_b64 s[4:5], vcc
	s_cbranch_execz .LBB255_365
.LBB255_402:
	v_add_u32_e32 v7, s56, v9
	v_add_co_u32_e32 v7, vcc, v2, v7
	v_lshrrev_b32_e32 v1, 8, v12
	v_addc_co_u32_e32 v8, vcc, 0, v3, vcc
	v_add_u32_e32 v9, 0x100, v9
	flat_store_byte v[7:8], v1
	s_or_b64 exec, exec, s[4:5]
	v_cmp_lt_i32_e32 vcc, v9, v6
	s_and_saveexec_b64 s[4:5], vcc
	s_cbranch_execz .LBB255_366
.LBB255_403:
	v_add_u32_e32 v1, s56, v9
	v_add_co_u32_e32 v7, vcc, v2, v1
	v_addc_co_u32_e32 v8, vcc, 0, v3, vcc
	v_add_u32_e32 v9, 0x100, v9
	flat_store_byte_d16_hi v[7:8], v12
	s_or_b64 exec, exec, s[4:5]
	v_cmp_lt_i32_e32 vcc, v9, v6
	s_and_saveexec_b64 s[4:5], vcc
	s_cbranch_execz .LBB255_367
.LBB255_404:
	v_add_u32_e32 v7, s56, v9
	v_add_co_u32_e32 v7, vcc, v2, v7
	v_lshrrev_b32_e32 v1, 24, v12
	v_addc_co_u32_e32 v8, vcc, 0, v3, vcc
	v_add_u32_e32 v9, 0x100, v9
	flat_store_byte v[7:8], v1
	s_or_b64 exec, exec, s[4:5]
	v_cmp_lt_i32_e32 vcc, v9, v6
	s_and_saveexec_b64 s[4:5], vcc
	s_cbranch_execz .LBB255_368
.LBB255_405:
	v_add_u32_e32 v1, s56, v9
	v_add_co_u32_e32 v7, vcc, v2, v1
	v_addc_co_u32_e32 v8, vcc, 0, v3, vcc
	v_add_u32_e32 v9, 0x100, v9
	flat_store_byte v[7:8], v5
	s_or_b64 exec, exec, s[4:5]
	v_cmp_lt_i32_e32 vcc, v9, v6
	s_and_saveexec_b64 s[4:5], vcc
	s_cbranch_execz .LBB255_369
.LBB255_406:
	v_add_u32_e32 v7, s56, v9
	v_add_co_u32_e32 v7, vcc, v2, v7
	v_lshrrev_b32_e32 v1, 8, v5
	v_addc_co_u32_e32 v8, vcc, 0, v3, vcc
	v_add_u32_e32 v9, 0x100, v9
	flat_store_byte v[7:8], v1
	s_or_b64 exec, exec, s[4:5]
	v_cmp_lt_i32_e32 vcc, v9, v6
	s_and_saveexec_b64 s[4:5], vcc
	s_cbranch_execz .LBB255_370
.LBB255_407:
	v_add_u32_e32 v1, s56, v9
	v_add_co_u32_e32 v7, vcc, v2, v1
	v_addc_co_u32_e32 v8, vcc, 0, v3, vcc
	v_add_u32_e32 v9, 0x100, v9
	flat_store_byte_d16_hi v[7:8], v5
	s_or_b64 exec, exec, s[4:5]
	v_cmp_lt_i32_e32 vcc, v9, v6
	s_and_saveexec_b64 s[4:5], vcc
	s_cbranch_execz .LBB255_371
.LBB255_408:
	v_lshrrev_b32_e32 v1, 24, v5
	v_add_u32_e32 v5, s56, v9
	v_add_co_u32_e32 v7, vcc, v2, v5
	v_addc_co_u32_e32 v8, vcc, 0, v3, vcc
	v_add_u32_e32 v9, 0x100, v9
	flat_store_byte v[7:8], v1
	s_or_b64 exec, exec, s[4:5]
	v_cmp_lt_i32_e32 vcc, v9, v6
	s_and_saveexec_b64 s[4:5], vcc
	s_cbranch_execz .LBB255_372
.LBB255_409:
	v_add_u32_e32 v1, s56, v9
	v_add_co_u32_e32 v7, vcc, v2, v1
	v_addc_co_u32_e32 v8, vcc, 0, v3, vcc
	v_add_u32_e32 v9, 0x100, v9
	flat_store_byte v[7:8], v4
	s_or_b64 exec, exec, s[4:5]
	v_cmp_lt_i32_e32 vcc, v9, v6
	s_and_saveexec_b64 s[4:5], vcc
	s_cbranch_execz .LBB255_373
.LBB255_410:
	v_add_u32_e32 v5, s56, v9
	v_add_co_u32_e32 v7, vcc, v2, v5
	v_lshrrev_b32_e32 v1, 8, v4
	v_addc_co_u32_e32 v8, vcc, 0, v3, vcc
	v_add_u32_e32 v9, 0x100, v9
	flat_store_byte v[7:8], v1
	s_or_b64 exec, exec, s[4:5]
	v_cmp_lt_i32_e32 vcc, v9, v6
	s_and_saveexec_b64 s[4:5], vcc
	s_cbranch_execz .LBB255_374
.LBB255_411:
	v_add_u32_e32 v1, s56, v9
	v_add_co_u32_e32 v7, vcc, v2, v1
	v_addc_co_u32_e32 v8, vcc, 0, v3, vcc
	v_add_u32_e32 v9, 0x100, v9
	flat_store_byte_d16_hi v[7:8], v4
	s_or_b64 exec, exec, s[4:5]
	v_cmp_lt_i32_e32 vcc, v9, v6
	s_and_saveexec_b64 s[4:5], vcc
	s_cbranch_execz .LBB255_375
.LBB255_412:
	v_lshrrev_b32_e32 v1, 24, v4
	v_add_u32_e32 v4, s56, v9
	v_add_co_u32_e32 v4, vcc, v2, v4
	v_addc_co_u32_e32 v5, vcc, 0, v3, vcc
	v_add_u32_e32 v9, 0x100, v9
	flat_store_byte v[4:5], v1
	s_or_b64 exec, exec, s[4:5]
	v_cmp_lt_i32_e32 vcc, v9, v6
	s_and_saveexec_b64 s[4:5], vcc
	s_cbranch_execz .LBB255_376
.LBB255_413:
	v_add_u32_e32 v1, s56, v9
	v_add_co_u32_e32 v4, vcc, v2, v1
	v_addc_co_u32_e32 v5, vcc, 0, v3, vcc
	v_add_u32_e32 v9, 0x100, v9
	flat_store_byte v[4:5], v0
	s_or_b64 exec, exec, s[4:5]
	v_cmp_lt_i32_e32 vcc, v9, v6
	s_and_saveexec_b64 s[4:5], vcc
	s_cbranch_execz .LBB255_377
.LBB255_414:
	v_add_u32_e32 v4, s56, v9
	v_add_co_u32_e32 v4, vcc, v2, v4
	v_lshrrev_b32_e32 v1, 8, v0
	v_addc_co_u32_e32 v5, vcc, 0, v3, vcc
	v_add_u32_e32 v9, 0x100, v9
	flat_store_byte v[4:5], v1
	s_or_b64 exec, exec, s[4:5]
	v_cmp_lt_i32_e32 vcc, v9, v6
	s_and_saveexec_b64 s[4:5], vcc
	s_cbranch_execz .LBB255_378
.LBB255_415:
	v_add_u32_e32 v1, s56, v9
	v_add_co_u32_e32 v4, vcc, v2, v1
	v_addc_co_u32_e32 v5, vcc, 0, v3, vcc
	v_add_u32_e32 v9, 0x100, v9
	flat_store_byte_d16_hi v[4:5], v0
	s_or_b64 exec, exec, s[4:5]
	v_cmp_lt_i32_e32 vcc, v9, v6
	s_and_saveexec_b64 s[4:5], vcc
	s_cbranch_execz .LBB255_379
.LBB255_416:
	v_lshrrev_b32_e32 v4, 24, v0
	v_add_u32_e32 v0, s56, v9
	v_add_co_u32_e32 v0, vcc, v2, v0
	v_addc_co_u32_e32 v1, vcc, 0, v3, vcc
	flat_store_byte v[0:1], v4
	s_or_b64 exec, exec, s[4:5]
	s_waitcnt vmcnt(0) lgkmcnt(0)
	s_setpc_b64 s[30:31]
.LBB255_417:
	s_movk_i32 s6, 0x80
	v_cmp_eq_u16_sdwa s[16:17], v1, s6 src0_sel:BYTE_0 src1_sel:DWORD
	s_mov_b64 s[6:7], -1
	s_and_saveexec_b64 s[14:15], s[16:17]
; %bb.418:
	s_xor_b64 s[6:7], exec, -1
; %bb.419:
	s_or_b64 exec, exec, s[14:15]
	s_and_b64 s[6:7], s[6:7], exec
	s_or_saveexec_b64 s[10:11], s[10:11]
	v_mov_b32_e32 v0, 0x7f800001
	s_xor_b64 exec, exec, s[10:11]
	s_cbranch_execz .LBB255_36
.LBB255_420:
	v_mov_b32_e32 v0, 0
	v_cmp_ne_u16_sdwa s[14:15], v1, v0 src0_sel:BYTE_0 src1_sel:DWORD
	s_andn2_b64 s[6:7], s[6:7], exec
	s_and_b64 s[14:15], s[14:15], exec
	s_or_b64 s[6:7], s[6:7], s[14:15]
	s_or_b64 exec, exec, s[10:11]
	s_and_saveexec_b64 s[10:11], s[6:7]
	s_cbranch_execnz .LBB255_37
	s_branch .LBB255_38
.LBB255_421:
	s_movk_i32 s6, 0x80
	v_cmp_eq_u16_sdwa s[16:17], v27, s6 src0_sel:BYTE_0 src1_sel:DWORD
	s_mov_b64 s[6:7], -1
	s_and_saveexec_b64 s[14:15], s[16:17]
; %bb.422:
	s_xor_b64 s[6:7], exec, -1
; %bb.423:
	s_or_b64 exec, exec, s[14:15]
	s_and_b64 s[6:7], s[6:7], exec
	s_or_saveexec_b64 s[10:11], s[10:11]
	v_mov_b32_e32 v4, 0x7f800001
	s_xor_b64 exec, exec, s[10:11]
	s_cbranch_execz .LBB255_40
.LBB255_424:
	v_mov_b32_e32 v4, 0
	v_cmp_ne_u16_sdwa s[14:15], v27, v4 src0_sel:BYTE_0 src1_sel:DWORD
	s_andn2_b64 s[6:7], s[6:7], exec
	s_and_b64 s[14:15], s[14:15], exec
	s_or_b64 s[6:7], s[6:7], s[14:15]
	s_or_b64 exec, exec, s[10:11]
	s_and_saveexec_b64 s[10:11], s[6:7]
	s_cbranch_execnz .LBB255_41
	s_branch .LBB255_42
.LBB255_425:
	s_movk_i32 s6, 0x80
	v_cmp_eq_u16_sdwa s[18:19], v1, s6 src0_sel:BYTE_0 src1_sel:DWORD
	s_mov_b64 s[6:7], -1
	s_and_saveexec_b64 s[16:17], s[18:19]
; %bb.426:
	s_xor_b64 s[6:7], exec, -1
; %bb.427:
	s_or_b64 exec, exec, s[16:17]
	s_and_b64 s[6:7], s[6:7], exec
	s_or_saveexec_b64 s[14:15], s[14:15]
	v_mov_b32_e32 v0, 0x7f800001
	s_xor_b64 exec, exec, s[14:15]
	s_cbranch_execz .LBB255_46
.LBB255_428:
	v_mov_b32_e32 v0, 0
	v_cmp_ne_u16_sdwa s[16:17], v1, v0 src0_sel:BYTE_0 src1_sel:DWORD
	s_andn2_b64 s[6:7], s[6:7], exec
	s_and_b64 s[16:17], s[16:17], exec
	s_or_b64 s[6:7], s[6:7], s[16:17]
	s_or_b64 exec, exec, s[14:15]
	s_and_saveexec_b64 s[14:15], s[6:7]
	s_cbranch_execnz .LBB255_47
	s_branch .LBB255_48
.LBB255_429:
	s_movk_i32 s6, 0x80
	v_cmp_eq_u16_sdwa s[18:19], v27, s6 src0_sel:BYTE_0 src1_sel:DWORD
	s_mov_b64 s[6:7], -1
	s_and_saveexec_b64 s[16:17], s[18:19]
; %bb.430:
	s_xor_b64 s[6:7], exec, -1
; %bb.431:
	s_or_b64 exec, exec, s[16:17]
	s_and_b64 s[6:7], s[6:7], exec
	s_or_saveexec_b64 s[14:15], s[14:15]
	v_mov_b32_e32 v4, 0x7f800001
	s_xor_b64 exec, exec, s[14:15]
	s_cbranch_execz .LBB255_50
.LBB255_432:
	v_mov_b32_e32 v4, 0
	v_cmp_ne_u16_sdwa s[16:17], v27, v4 src0_sel:BYTE_0 src1_sel:DWORD
	s_andn2_b64 s[6:7], s[6:7], exec
	s_and_b64 s[16:17], s[16:17], exec
	s_or_b64 s[6:7], s[6:7], s[16:17]
	s_or_b64 exec, exec, s[14:15]
	s_and_saveexec_b64 s[14:15], s[6:7]
	s_cbranch_execnz .LBB255_51
	s_branch .LBB255_52
.LBB255_433:
	s_movk_i32 s6, 0x80
	v_cmp_eq_u16_sdwa s[16:17], v1, s6 src0_sel:BYTE_0 src1_sel:DWORD
	s_mov_b64 s[6:7], -1
	s_and_saveexec_b64 s[14:15], s[16:17]
; %bb.434:
	s_xor_b64 s[6:7], exec, -1
; %bb.435:
	s_or_b64 exec, exec, s[14:15]
	s_and_b64 s[6:7], s[6:7], exec
	s_or_saveexec_b64 s[10:11], s[10:11]
	s_waitcnt vmcnt(0) lgkmcnt(0)
	v_mov_b32_e32 v27, 0x7f800001
	s_xor_b64 exec, exec, s[10:11]
	s_cbranch_execz .LBB255_58
.LBB255_436:
	v_mov_b32_e32 v27, 0
	v_cmp_ne_u16_sdwa s[14:15], v1, v27 src0_sel:BYTE_0 src1_sel:DWORD
	s_andn2_b64 s[6:7], s[6:7], exec
	s_and_b64 s[14:15], s[14:15], exec
	s_or_b64 s[6:7], s[6:7], s[14:15]
	s_or_b64 exec, exec, s[10:11]
	s_and_saveexec_b64 s[10:11], s[6:7]
	s_cbranch_execnz .LBB255_59
	s_branch .LBB255_60
.LBB255_437:
	s_movk_i32 s6, 0x80
	v_cmp_eq_u16_sdwa s[16:17], v26, s6 src0_sel:BYTE_0 src1_sel:DWORD
	s_mov_b64 s[6:7], -1
	s_and_saveexec_b64 s[14:15], s[16:17]
; %bb.438:
	s_xor_b64 s[6:7], exec, -1
; %bb.439:
	s_or_b64 exec, exec, s[14:15]
	s_and_b64 s[6:7], s[6:7], exec
	s_or_saveexec_b64 s[10:11], s[10:11]
	v_mov_b32_e32 v28, 0x7f800001
	s_xor_b64 exec, exec, s[10:11]
	s_cbranch_execz .LBB255_62
.LBB255_440:
	v_mov_b32_e32 v28, 0
	v_cmp_ne_u16_sdwa s[14:15], v26, v28 src0_sel:BYTE_0 src1_sel:DWORD
	s_andn2_b64 s[6:7], s[6:7], exec
	s_and_b64 s[14:15], s[14:15], exec
	s_or_b64 s[6:7], s[6:7], s[14:15]
	s_or_b64 exec, exec, s[10:11]
	s_and_saveexec_b64 s[10:11], s[6:7]
	s_cbranch_execnz .LBB255_63
	s_branch .LBB255_64
.LBB255_441:
	s_movk_i32 s6, 0x80
	v_cmp_eq_u16_sdwa s[18:19], v1, s6 src0_sel:BYTE_0 src1_sel:DWORD
	s_mov_b64 s[6:7], -1
	s_and_saveexec_b64 s[16:17], s[18:19]
; %bb.442:
	s_xor_b64 s[6:7], exec, -1
; %bb.443:
	s_or_b64 exec, exec, s[16:17]
	s_and_b64 s[6:7], s[6:7], exec
	s_or_saveexec_b64 s[14:15], s[14:15]
	s_waitcnt vmcnt(0) lgkmcnt(0)
	v_mov_b32_e32 v27, 0x7f800001
	s_xor_b64 exec, exec, s[14:15]
	s_cbranch_execz .LBB255_68
.LBB255_444:
	v_mov_b32_e32 v27, 0
	v_cmp_ne_u16_sdwa s[16:17], v1, v27 src0_sel:BYTE_0 src1_sel:DWORD
	s_andn2_b64 s[6:7], s[6:7], exec
	s_and_b64 s[16:17], s[16:17], exec
	s_or_b64 s[6:7], s[6:7], s[16:17]
	s_or_b64 exec, exec, s[14:15]
	s_and_saveexec_b64 s[14:15], s[6:7]
	s_cbranch_execnz .LBB255_69
	s_branch .LBB255_70
.LBB255_445:
	s_movk_i32 s6, 0x80
	v_cmp_eq_u16_sdwa s[18:19], v26, s6 src0_sel:BYTE_0 src1_sel:DWORD
	s_mov_b64 s[6:7], -1
	s_and_saveexec_b64 s[16:17], s[18:19]
; %bb.446:
	s_xor_b64 s[6:7], exec, -1
; %bb.447:
	s_or_b64 exec, exec, s[16:17]
	s_and_b64 s[6:7], s[6:7], exec
	s_or_saveexec_b64 s[14:15], s[14:15]
	v_mov_b32_e32 v28, 0x7f800001
	s_xor_b64 exec, exec, s[14:15]
	s_cbranch_execz .LBB255_72
.LBB255_448:
	v_mov_b32_e32 v28, 0
	v_cmp_ne_u16_sdwa s[16:17], v26, v28 src0_sel:BYTE_0 src1_sel:DWORD
	s_andn2_b64 s[6:7], s[6:7], exec
	s_and_b64 s[16:17], s[16:17], exec
	s_or_b64 s[6:7], s[6:7], s[16:17]
	s_or_b64 exec, exec, s[14:15]
	s_and_saveexec_b64 s[14:15], s[6:7]
	s_cbranch_execnz .LBB255_73
	s_branch .LBB255_74
.LBB255_449:
	s_movk_i32 s6, 0x80
	v_cmp_eq_u16_sdwa s[16:17], v1, s6 src0_sel:BYTE_0 src1_sel:DWORD
	s_mov_b64 s[6:7], -1
	s_and_saveexec_b64 s[14:15], s[16:17]
; %bb.450:
	s_xor_b64 s[6:7], exec, -1
; %bb.451:
	s_or_b64 exec, exec, s[14:15]
	s_and_b64 s[6:7], s[6:7], exec
	s_or_saveexec_b64 s[10:11], s[10:11]
	v_mov_b32_e32 v26, 0x7f800001
	s_xor_b64 exec, exec, s[10:11]
	s_cbranch_execz .LBB255_80
.LBB255_452:
	v_mov_b32_e32 v26, 0
	v_cmp_ne_u16_sdwa s[14:15], v1, v26 src0_sel:BYTE_0 src1_sel:DWORD
	s_andn2_b64 s[6:7], s[6:7], exec
	s_and_b64 s[14:15], s[14:15], exec
	s_or_b64 s[6:7], s[6:7], s[14:15]
	s_or_b64 exec, exec, s[10:11]
	s_and_saveexec_b64 s[10:11], s[6:7]
	s_cbranch_execnz .LBB255_81
	s_branch .LBB255_82
.LBB255_453:
	s_movk_i32 s6, 0x80
	v_cmp_eq_u16_sdwa s[16:17], v25, s6 src0_sel:BYTE_0 src1_sel:DWORD
	s_mov_b64 s[6:7], -1
	s_and_saveexec_b64 s[14:15], s[16:17]
; %bb.454:
	s_xor_b64 s[6:7], exec, -1
; %bb.455:
	s_or_b64 exec, exec, s[14:15]
	s_and_b64 s[6:7], s[6:7], exec
	s_or_saveexec_b64 s[10:11], s[10:11]
	v_mov_b32_e32 v27, 0x7f800001
	s_xor_b64 exec, exec, s[10:11]
	s_cbranch_execz .LBB255_84
.LBB255_456:
	v_mov_b32_e32 v27, 0
	v_cmp_ne_u16_sdwa s[14:15], v25, v27 src0_sel:BYTE_0 src1_sel:DWORD
	s_andn2_b64 s[6:7], s[6:7], exec
	s_and_b64 s[14:15], s[14:15], exec
	s_or_b64 s[6:7], s[6:7], s[14:15]
	s_or_b64 exec, exec, s[10:11]
	s_and_saveexec_b64 s[10:11], s[6:7]
	s_cbranch_execnz .LBB255_85
	s_branch .LBB255_86
.LBB255_457:
	s_movk_i32 s6, 0x80
	v_cmp_eq_u16_sdwa s[18:19], v1, s6 src0_sel:BYTE_0 src1_sel:DWORD
	s_mov_b64 s[6:7], -1
	s_and_saveexec_b64 s[16:17], s[18:19]
; %bb.458:
	s_xor_b64 s[6:7], exec, -1
; %bb.459:
	s_or_b64 exec, exec, s[16:17]
	s_and_b64 s[6:7], s[6:7], exec
	s_or_saveexec_b64 s[14:15], s[14:15]
	v_mov_b32_e32 v26, 0x7f800001
	s_xor_b64 exec, exec, s[14:15]
	s_cbranch_execz .LBB255_90
.LBB255_460:
	v_mov_b32_e32 v26, 0
	v_cmp_ne_u16_sdwa s[16:17], v1, v26 src0_sel:BYTE_0 src1_sel:DWORD
	s_andn2_b64 s[6:7], s[6:7], exec
	s_and_b64 s[16:17], s[16:17], exec
	s_or_b64 s[6:7], s[6:7], s[16:17]
	s_or_b64 exec, exec, s[14:15]
	s_and_saveexec_b64 s[14:15], s[6:7]
	s_cbranch_execnz .LBB255_91
	s_branch .LBB255_92
.LBB255_461:
	s_movk_i32 s6, 0x80
	v_cmp_eq_u16_sdwa s[18:19], v25, s6 src0_sel:BYTE_0 src1_sel:DWORD
	s_mov_b64 s[6:7], -1
	s_and_saveexec_b64 s[16:17], s[18:19]
; %bb.462:
	s_xor_b64 s[6:7], exec, -1
; %bb.463:
	s_or_b64 exec, exec, s[16:17]
	s_and_b64 s[6:7], s[6:7], exec
	s_or_saveexec_b64 s[14:15], s[14:15]
	v_mov_b32_e32 v27, 0x7f800001
	s_xor_b64 exec, exec, s[14:15]
	s_cbranch_execz .LBB255_94
.LBB255_464:
	v_mov_b32_e32 v27, 0
	v_cmp_ne_u16_sdwa s[16:17], v25, v27 src0_sel:BYTE_0 src1_sel:DWORD
	s_andn2_b64 s[6:7], s[6:7], exec
	s_and_b64 s[16:17], s[16:17], exec
	s_or_b64 s[6:7], s[6:7], s[16:17]
	s_or_b64 exec, exec, s[14:15]
	s_and_saveexec_b64 s[14:15], s[6:7]
	s_cbranch_execnz .LBB255_95
	s_branch .LBB255_96
.LBB255_465:
	s_movk_i32 s6, 0x80
	v_cmp_eq_u16_sdwa s[16:17], v1, s6 src0_sel:BYTE_0 src1_sel:DWORD
	s_mov_b64 s[6:7], -1
	s_and_saveexec_b64 s[14:15], s[16:17]
; %bb.466:
	s_xor_b64 s[6:7], exec, -1
; %bb.467:
	s_or_b64 exec, exec, s[14:15]
	s_and_b64 s[6:7], s[6:7], exec
	s_or_saveexec_b64 s[10:11], s[10:11]
	v_mov_b32_e32 v25, 0x7f800001
	s_xor_b64 exec, exec, s[10:11]
	s_cbranch_execz .LBB255_102
.LBB255_468:
	v_mov_b32_e32 v25, 0
	v_cmp_ne_u16_sdwa s[14:15], v1, v25 src0_sel:BYTE_0 src1_sel:DWORD
	s_andn2_b64 s[6:7], s[6:7], exec
	s_and_b64 s[14:15], s[14:15], exec
	s_or_b64 s[6:7], s[6:7], s[14:15]
	s_or_b64 exec, exec, s[10:11]
	s_and_saveexec_b64 s[10:11], s[6:7]
	s_cbranch_execnz .LBB255_103
	s_branch .LBB255_104
.LBB255_469:
	s_movk_i32 s6, 0x80
	v_cmp_eq_u16_sdwa s[16:17], v24, s6 src0_sel:BYTE_0 src1_sel:DWORD
	s_mov_b64 s[6:7], -1
	s_and_saveexec_b64 s[14:15], s[16:17]
; %bb.470:
	s_xor_b64 s[6:7], exec, -1
; %bb.471:
	s_or_b64 exec, exec, s[14:15]
	s_and_b64 s[6:7], s[6:7], exec
	s_or_saveexec_b64 s[10:11], s[10:11]
	v_mov_b32_e32 v26, 0x7f800001
	s_xor_b64 exec, exec, s[10:11]
	s_cbranch_execz .LBB255_106
.LBB255_472:
	v_mov_b32_e32 v26, 0
	v_cmp_ne_u16_sdwa s[14:15], v24, v26 src0_sel:BYTE_0 src1_sel:DWORD
	s_andn2_b64 s[6:7], s[6:7], exec
	s_and_b64 s[14:15], s[14:15], exec
	s_or_b64 s[6:7], s[6:7], s[14:15]
	s_or_b64 exec, exec, s[10:11]
	s_and_saveexec_b64 s[10:11], s[6:7]
	s_cbranch_execnz .LBB255_107
	s_branch .LBB255_108
.LBB255_473:
	s_movk_i32 s6, 0x80
	v_cmp_eq_u16_sdwa s[18:19], v1, s6 src0_sel:BYTE_0 src1_sel:DWORD
	s_mov_b64 s[6:7], -1
	s_and_saveexec_b64 s[16:17], s[18:19]
; %bb.474:
	s_xor_b64 s[6:7], exec, -1
; %bb.475:
	s_or_b64 exec, exec, s[16:17]
	s_and_b64 s[6:7], s[6:7], exec
	s_or_saveexec_b64 s[14:15], s[14:15]
	v_mov_b32_e32 v25, 0x7f800001
	s_xor_b64 exec, exec, s[14:15]
	s_cbranch_execz .LBB255_112
.LBB255_476:
	v_mov_b32_e32 v25, 0
	v_cmp_ne_u16_sdwa s[16:17], v1, v25 src0_sel:BYTE_0 src1_sel:DWORD
	s_andn2_b64 s[6:7], s[6:7], exec
	s_and_b64 s[16:17], s[16:17], exec
	s_or_b64 s[6:7], s[6:7], s[16:17]
	s_or_b64 exec, exec, s[14:15]
	s_and_saveexec_b64 s[14:15], s[6:7]
	s_cbranch_execnz .LBB255_113
	s_branch .LBB255_114
.LBB255_477:
	s_movk_i32 s6, 0x80
	v_cmp_eq_u16_sdwa s[18:19], v24, s6 src0_sel:BYTE_0 src1_sel:DWORD
	s_mov_b64 s[6:7], -1
	s_and_saveexec_b64 s[16:17], s[18:19]
; %bb.478:
	s_xor_b64 s[6:7], exec, -1
; %bb.479:
	s_or_b64 exec, exec, s[16:17]
	s_and_b64 s[6:7], s[6:7], exec
	s_or_saveexec_b64 s[14:15], s[14:15]
	v_mov_b32_e32 v26, 0x7f800001
	s_xor_b64 exec, exec, s[14:15]
	s_cbranch_execz .LBB255_116
.LBB255_480:
	v_mov_b32_e32 v26, 0
	v_cmp_ne_u16_sdwa s[16:17], v24, v26 src0_sel:BYTE_0 src1_sel:DWORD
	s_andn2_b64 s[6:7], s[6:7], exec
	s_and_b64 s[16:17], s[16:17], exec
	s_or_b64 s[6:7], s[6:7], s[16:17]
	s_or_b64 exec, exec, s[14:15]
	s_and_saveexec_b64 s[14:15], s[6:7]
	s_cbranch_execnz .LBB255_117
	s_branch .LBB255_118
.LBB255_481:
	s_movk_i32 s6, 0x80
	v_cmp_eq_u16_sdwa s[16:17], v1, s6 src0_sel:BYTE_0 src1_sel:DWORD
	s_mov_b64 s[6:7], -1
	s_and_saveexec_b64 s[14:15], s[16:17]
; %bb.482:
	s_xor_b64 s[6:7], exec, -1
; %bb.483:
	s_or_b64 exec, exec, s[14:15]
	s_and_b64 s[6:7], s[6:7], exec
	s_or_saveexec_b64 s[10:11], s[10:11]
	v_mov_b32_e32 v24, 0x7f800001
	s_xor_b64 exec, exec, s[10:11]
	s_cbranch_execz .LBB255_124
.LBB255_484:
	v_mov_b32_e32 v24, 0
	v_cmp_ne_u16_sdwa s[14:15], v1, v24 src0_sel:BYTE_0 src1_sel:DWORD
	s_andn2_b64 s[6:7], s[6:7], exec
	s_and_b64 s[14:15], s[14:15], exec
	s_or_b64 s[6:7], s[6:7], s[14:15]
	s_or_b64 exec, exec, s[10:11]
	s_and_saveexec_b64 s[10:11], s[6:7]
	s_cbranch_execnz .LBB255_125
	s_branch .LBB255_126
.LBB255_485:
	s_movk_i32 s6, 0x80
	v_cmp_eq_u16_sdwa s[16:17], v23, s6 src0_sel:BYTE_0 src1_sel:DWORD
	s_mov_b64 s[6:7], -1
	s_and_saveexec_b64 s[14:15], s[16:17]
; %bb.486:
	s_xor_b64 s[6:7], exec, -1
; %bb.487:
	s_or_b64 exec, exec, s[14:15]
	s_and_b64 s[6:7], s[6:7], exec
	s_or_saveexec_b64 s[10:11], s[10:11]
	v_mov_b32_e32 v25, 0x7f800001
	s_xor_b64 exec, exec, s[10:11]
	s_cbranch_execz .LBB255_128
.LBB255_488:
	v_mov_b32_e32 v25, 0
	v_cmp_ne_u16_sdwa s[14:15], v23, v25 src0_sel:BYTE_0 src1_sel:DWORD
	s_andn2_b64 s[6:7], s[6:7], exec
	s_and_b64 s[14:15], s[14:15], exec
	s_or_b64 s[6:7], s[6:7], s[14:15]
	s_or_b64 exec, exec, s[10:11]
	s_and_saveexec_b64 s[10:11], s[6:7]
	s_cbranch_execnz .LBB255_129
	s_branch .LBB255_130
.LBB255_489:
	s_movk_i32 s6, 0x80
	v_cmp_eq_u16_sdwa s[18:19], v1, s6 src0_sel:BYTE_0 src1_sel:DWORD
	s_mov_b64 s[6:7], -1
	s_and_saveexec_b64 s[16:17], s[18:19]
; %bb.490:
	s_xor_b64 s[6:7], exec, -1
; %bb.491:
	s_or_b64 exec, exec, s[16:17]
	s_and_b64 s[6:7], s[6:7], exec
	s_or_saveexec_b64 s[14:15], s[14:15]
	v_mov_b32_e32 v24, 0x7f800001
	s_xor_b64 exec, exec, s[14:15]
	s_cbranch_execz .LBB255_134
.LBB255_492:
	v_mov_b32_e32 v24, 0
	v_cmp_ne_u16_sdwa s[16:17], v1, v24 src0_sel:BYTE_0 src1_sel:DWORD
	s_andn2_b64 s[6:7], s[6:7], exec
	s_and_b64 s[16:17], s[16:17], exec
	s_or_b64 s[6:7], s[6:7], s[16:17]
	s_or_b64 exec, exec, s[14:15]
	s_and_saveexec_b64 s[14:15], s[6:7]
	s_cbranch_execnz .LBB255_135
	s_branch .LBB255_136
.LBB255_493:
	s_movk_i32 s6, 0x80
	v_cmp_eq_u16_sdwa s[18:19], v23, s6 src0_sel:BYTE_0 src1_sel:DWORD
	s_mov_b64 s[6:7], -1
	s_and_saveexec_b64 s[16:17], s[18:19]
; %bb.494:
	s_xor_b64 s[6:7], exec, -1
; %bb.495:
	s_or_b64 exec, exec, s[16:17]
	s_and_b64 s[6:7], s[6:7], exec
	s_or_saveexec_b64 s[14:15], s[14:15]
	v_mov_b32_e32 v25, 0x7f800001
	s_xor_b64 exec, exec, s[14:15]
	s_cbranch_execz .LBB255_138
.LBB255_496:
	v_mov_b32_e32 v25, 0
	v_cmp_ne_u16_sdwa s[16:17], v23, v25 src0_sel:BYTE_0 src1_sel:DWORD
	s_andn2_b64 s[6:7], s[6:7], exec
	s_and_b64 s[16:17], s[16:17], exec
	s_or_b64 s[6:7], s[6:7], s[16:17]
	s_or_b64 exec, exec, s[14:15]
	s_and_saveexec_b64 s[14:15], s[6:7]
	s_cbranch_execnz .LBB255_139
	s_branch .LBB255_140
.LBB255_497:
	s_movk_i32 s6, 0x80
	v_cmp_eq_u16_sdwa s[16:17], v1, s6 src0_sel:BYTE_0 src1_sel:DWORD
	s_mov_b64 s[6:7], -1
	s_and_saveexec_b64 s[14:15], s[16:17]
; %bb.498:
	s_xor_b64 s[6:7], exec, -1
; %bb.499:
	s_or_b64 exec, exec, s[14:15]
	s_and_b64 s[6:7], s[6:7], exec
	s_or_saveexec_b64 s[10:11], s[10:11]
	v_mov_b32_e32 v23, 0x7f800001
	s_xor_b64 exec, exec, s[10:11]
	s_cbranch_execz .LBB255_146
.LBB255_500:
	v_mov_b32_e32 v23, 0
	v_cmp_ne_u16_sdwa s[14:15], v1, v23 src0_sel:BYTE_0 src1_sel:DWORD
	s_andn2_b64 s[6:7], s[6:7], exec
	s_and_b64 s[14:15], s[14:15], exec
	s_or_b64 s[6:7], s[6:7], s[14:15]
	s_or_b64 exec, exec, s[10:11]
	s_and_saveexec_b64 s[10:11], s[6:7]
	s_cbranch_execnz .LBB255_147
	s_branch .LBB255_148
.LBB255_501:
	s_movk_i32 s6, 0x80
	v_cmp_eq_u16_sdwa s[16:17], v22, s6 src0_sel:BYTE_0 src1_sel:DWORD
	s_mov_b64 s[6:7], -1
	s_and_saveexec_b64 s[14:15], s[16:17]
; %bb.502:
	s_xor_b64 s[6:7], exec, -1
; %bb.503:
	s_or_b64 exec, exec, s[14:15]
	s_and_b64 s[6:7], s[6:7], exec
	s_or_saveexec_b64 s[10:11], s[10:11]
	v_mov_b32_e32 v24, 0x7f800001
	s_xor_b64 exec, exec, s[10:11]
	s_cbranch_execz .LBB255_150
.LBB255_504:
	v_mov_b32_e32 v24, 0
	v_cmp_ne_u16_sdwa s[14:15], v22, v24 src0_sel:BYTE_0 src1_sel:DWORD
	s_andn2_b64 s[6:7], s[6:7], exec
	s_and_b64 s[14:15], s[14:15], exec
	s_or_b64 s[6:7], s[6:7], s[14:15]
	s_or_b64 exec, exec, s[10:11]
	s_and_saveexec_b64 s[10:11], s[6:7]
	s_cbranch_execnz .LBB255_151
	s_branch .LBB255_152
.LBB255_505:
	s_movk_i32 s6, 0x80
	v_cmp_eq_u16_sdwa s[18:19], v1, s6 src0_sel:BYTE_0 src1_sel:DWORD
	s_mov_b64 s[6:7], -1
	s_and_saveexec_b64 s[16:17], s[18:19]
; %bb.506:
	s_xor_b64 s[6:7], exec, -1
; %bb.507:
	s_or_b64 exec, exec, s[16:17]
	s_and_b64 s[6:7], s[6:7], exec
	s_or_saveexec_b64 s[14:15], s[14:15]
	v_mov_b32_e32 v23, 0x7f800001
	s_xor_b64 exec, exec, s[14:15]
	s_cbranch_execz .LBB255_156
.LBB255_508:
	v_mov_b32_e32 v23, 0
	v_cmp_ne_u16_sdwa s[16:17], v1, v23 src0_sel:BYTE_0 src1_sel:DWORD
	s_andn2_b64 s[6:7], s[6:7], exec
	s_and_b64 s[16:17], s[16:17], exec
	s_or_b64 s[6:7], s[6:7], s[16:17]
	s_or_b64 exec, exec, s[14:15]
	s_and_saveexec_b64 s[14:15], s[6:7]
	s_cbranch_execnz .LBB255_157
	s_branch .LBB255_158
.LBB255_509:
	s_movk_i32 s6, 0x80
	v_cmp_eq_u16_sdwa s[18:19], v22, s6 src0_sel:BYTE_0 src1_sel:DWORD
	s_mov_b64 s[6:7], -1
	s_and_saveexec_b64 s[16:17], s[18:19]
; %bb.510:
	s_xor_b64 s[6:7], exec, -1
; %bb.511:
	s_or_b64 exec, exec, s[16:17]
	s_and_b64 s[6:7], s[6:7], exec
	s_or_saveexec_b64 s[14:15], s[14:15]
	v_mov_b32_e32 v24, 0x7f800001
	s_xor_b64 exec, exec, s[14:15]
	s_cbranch_execz .LBB255_160
.LBB255_512:
	v_mov_b32_e32 v24, 0
	v_cmp_ne_u16_sdwa s[16:17], v22, v24 src0_sel:BYTE_0 src1_sel:DWORD
	s_andn2_b64 s[6:7], s[6:7], exec
	s_and_b64 s[16:17], s[16:17], exec
	s_or_b64 s[6:7], s[6:7], s[16:17]
	s_or_b64 exec, exec, s[14:15]
	s_and_saveexec_b64 s[14:15], s[6:7]
	s_cbranch_execnz .LBB255_161
	s_branch .LBB255_162
.LBB255_513:
	s_movk_i32 s6, 0x80
	v_cmp_eq_u16_sdwa s[16:17], v1, s6 src0_sel:BYTE_0 src1_sel:DWORD
	s_mov_b64 s[6:7], -1
	s_and_saveexec_b64 s[14:15], s[16:17]
; %bb.514:
	s_xor_b64 s[6:7], exec, -1
; %bb.515:
	s_or_b64 exec, exec, s[14:15]
	s_and_b64 s[6:7], s[6:7], exec
	s_or_saveexec_b64 s[10:11], s[10:11]
	v_mov_b32_e32 v22, 0x7f800001
	s_xor_b64 exec, exec, s[10:11]
	s_cbranch_execz .LBB255_168
.LBB255_516:
	v_mov_b32_e32 v22, 0
	v_cmp_ne_u16_sdwa s[14:15], v1, v22 src0_sel:BYTE_0 src1_sel:DWORD
	s_andn2_b64 s[6:7], s[6:7], exec
	s_and_b64 s[14:15], s[14:15], exec
	s_or_b64 s[6:7], s[6:7], s[14:15]
	s_or_b64 exec, exec, s[10:11]
	s_and_saveexec_b64 s[10:11], s[6:7]
	s_cbranch_execnz .LBB255_169
	s_branch .LBB255_170
.LBB255_517:
	s_movk_i32 s6, 0x80
	v_cmp_eq_u16_sdwa s[16:17], v21, s6 src0_sel:BYTE_0 src1_sel:DWORD
	s_mov_b64 s[6:7], -1
	s_and_saveexec_b64 s[14:15], s[16:17]
; %bb.518:
	s_xor_b64 s[6:7], exec, -1
; %bb.519:
	s_or_b64 exec, exec, s[14:15]
	s_and_b64 s[6:7], s[6:7], exec
	s_or_saveexec_b64 s[10:11], s[10:11]
	v_mov_b32_e32 v23, 0x7f800001
	s_xor_b64 exec, exec, s[10:11]
	s_cbranch_execz .LBB255_172
.LBB255_520:
	v_mov_b32_e32 v23, 0
	v_cmp_ne_u16_sdwa s[14:15], v21, v23 src0_sel:BYTE_0 src1_sel:DWORD
	s_andn2_b64 s[6:7], s[6:7], exec
	s_and_b64 s[14:15], s[14:15], exec
	s_or_b64 s[6:7], s[6:7], s[14:15]
	s_or_b64 exec, exec, s[10:11]
	s_and_saveexec_b64 s[10:11], s[6:7]
	s_cbranch_execnz .LBB255_173
	s_branch .LBB255_174
.LBB255_521:
	s_movk_i32 s6, 0x80
	v_cmp_eq_u16_sdwa s[18:19], v1, s6 src0_sel:BYTE_0 src1_sel:DWORD
	s_mov_b64 s[6:7], -1
	s_and_saveexec_b64 s[16:17], s[18:19]
; %bb.522:
	s_xor_b64 s[6:7], exec, -1
; %bb.523:
	s_or_b64 exec, exec, s[16:17]
	s_and_b64 s[6:7], s[6:7], exec
	s_or_saveexec_b64 s[14:15], s[14:15]
	v_mov_b32_e32 v22, 0x7f800001
	s_xor_b64 exec, exec, s[14:15]
	s_cbranch_execz .LBB255_178
.LBB255_524:
	v_mov_b32_e32 v22, 0
	v_cmp_ne_u16_sdwa s[16:17], v1, v22 src0_sel:BYTE_0 src1_sel:DWORD
	s_andn2_b64 s[6:7], s[6:7], exec
	s_and_b64 s[16:17], s[16:17], exec
	s_or_b64 s[6:7], s[6:7], s[16:17]
	s_or_b64 exec, exec, s[14:15]
	s_and_saveexec_b64 s[14:15], s[6:7]
	s_cbranch_execnz .LBB255_179
	s_branch .LBB255_180
.LBB255_525:
	s_movk_i32 s6, 0x80
	v_cmp_eq_u16_sdwa s[18:19], v21, s6 src0_sel:BYTE_0 src1_sel:DWORD
	s_mov_b64 s[6:7], -1
	s_and_saveexec_b64 s[16:17], s[18:19]
; %bb.526:
	s_xor_b64 s[6:7], exec, -1
; %bb.527:
	s_or_b64 exec, exec, s[16:17]
	s_and_b64 s[6:7], s[6:7], exec
	s_or_saveexec_b64 s[14:15], s[14:15]
	v_mov_b32_e32 v23, 0x7f800001
	s_xor_b64 exec, exec, s[14:15]
	s_cbranch_execz .LBB255_182
.LBB255_528:
	v_mov_b32_e32 v23, 0
	v_cmp_ne_u16_sdwa s[16:17], v21, v23 src0_sel:BYTE_0 src1_sel:DWORD
	s_andn2_b64 s[6:7], s[6:7], exec
	s_and_b64 s[16:17], s[16:17], exec
	s_or_b64 s[6:7], s[6:7], s[16:17]
	s_or_b64 exec, exec, s[14:15]
	s_and_saveexec_b64 s[14:15], s[6:7]
	s_cbranch_execnz .LBB255_183
	s_branch .LBB255_184
.LBB255_529:
	s_movk_i32 s6, 0x80
	v_cmp_eq_u16_sdwa s[16:17], v1, s6 src0_sel:BYTE_0 src1_sel:DWORD
	s_mov_b64 s[6:7], -1
	s_and_saveexec_b64 s[14:15], s[16:17]
; %bb.530:
	s_xor_b64 s[6:7], exec, -1
; %bb.531:
	s_or_b64 exec, exec, s[14:15]
	s_and_b64 s[6:7], s[6:7], exec
	s_or_saveexec_b64 s[10:11], s[10:11]
	v_mov_b32_e32 v21, 0x7f800001
	s_xor_b64 exec, exec, s[10:11]
	s_cbranch_execz .LBB255_190
.LBB255_532:
	v_mov_b32_e32 v21, 0
	v_cmp_ne_u16_sdwa s[14:15], v1, v21 src0_sel:BYTE_0 src1_sel:DWORD
	s_andn2_b64 s[6:7], s[6:7], exec
	s_and_b64 s[14:15], s[14:15], exec
	s_or_b64 s[6:7], s[6:7], s[14:15]
	s_or_b64 exec, exec, s[10:11]
	s_and_saveexec_b64 s[10:11], s[6:7]
	s_cbranch_execnz .LBB255_191
	s_branch .LBB255_192
.LBB255_533:
	s_movk_i32 s6, 0x80
	v_cmp_eq_u16_sdwa s[16:17], v20, s6 src0_sel:BYTE_0 src1_sel:DWORD
	s_mov_b64 s[6:7], -1
	s_and_saveexec_b64 s[14:15], s[16:17]
; %bb.534:
	s_xor_b64 s[6:7], exec, -1
; %bb.535:
	s_or_b64 exec, exec, s[14:15]
	s_and_b64 s[6:7], s[6:7], exec
	s_or_saveexec_b64 s[10:11], s[10:11]
	v_mov_b32_e32 v22, 0x7f800001
	s_xor_b64 exec, exec, s[10:11]
	s_cbranch_execz .LBB255_194
.LBB255_536:
	v_mov_b32_e32 v22, 0
	v_cmp_ne_u16_sdwa s[14:15], v20, v22 src0_sel:BYTE_0 src1_sel:DWORD
	s_andn2_b64 s[6:7], s[6:7], exec
	s_and_b64 s[14:15], s[14:15], exec
	s_or_b64 s[6:7], s[6:7], s[14:15]
	s_or_b64 exec, exec, s[10:11]
	s_and_saveexec_b64 s[10:11], s[6:7]
	s_cbranch_execnz .LBB255_195
	s_branch .LBB255_196
.LBB255_537:
	s_movk_i32 s6, 0x80
	v_cmp_eq_u16_sdwa s[18:19], v1, s6 src0_sel:BYTE_0 src1_sel:DWORD
	s_mov_b64 s[6:7], -1
	s_and_saveexec_b64 s[16:17], s[18:19]
; %bb.538:
	s_xor_b64 s[6:7], exec, -1
; %bb.539:
	s_or_b64 exec, exec, s[16:17]
	s_and_b64 s[6:7], s[6:7], exec
	s_or_saveexec_b64 s[14:15], s[14:15]
	v_mov_b32_e32 v21, 0x7f800001
	s_xor_b64 exec, exec, s[14:15]
	s_cbranch_execz .LBB255_200
.LBB255_540:
	v_mov_b32_e32 v21, 0
	v_cmp_ne_u16_sdwa s[16:17], v1, v21 src0_sel:BYTE_0 src1_sel:DWORD
	s_andn2_b64 s[6:7], s[6:7], exec
	s_and_b64 s[16:17], s[16:17], exec
	s_or_b64 s[6:7], s[6:7], s[16:17]
	s_or_b64 exec, exec, s[14:15]
	s_and_saveexec_b64 s[14:15], s[6:7]
	s_cbranch_execnz .LBB255_201
	s_branch .LBB255_202
.LBB255_541:
	s_movk_i32 s6, 0x80
	v_cmp_eq_u16_sdwa s[18:19], v20, s6 src0_sel:BYTE_0 src1_sel:DWORD
	s_mov_b64 s[6:7], -1
	s_and_saveexec_b64 s[16:17], s[18:19]
; %bb.542:
	s_xor_b64 s[6:7], exec, -1
; %bb.543:
	s_or_b64 exec, exec, s[16:17]
	s_and_b64 s[6:7], s[6:7], exec
	s_or_saveexec_b64 s[14:15], s[14:15]
	v_mov_b32_e32 v22, 0x7f800001
	s_xor_b64 exec, exec, s[14:15]
	s_cbranch_execz .LBB255_204
.LBB255_544:
	v_mov_b32_e32 v22, 0
	v_cmp_ne_u16_sdwa s[16:17], v20, v22 src0_sel:BYTE_0 src1_sel:DWORD
	s_andn2_b64 s[6:7], s[6:7], exec
	s_and_b64 s[16:17], s[16:17], exec
	s_or_b64 s[6:7], s[6:7], s[16:17]
	s_or_b64 exec, exec, s[14:15]
	s_and_saveexec_b64 s[14:15], s[6:7]
	s_cbranch_execnz .LBB255_205
	s_branch .LBB255_206
.LBB255_545:
	s_movk_i32 s6, 0x80
	v_cmp_eq_u16_sdwa s[16:17], v1, s6 src0_sel:BYTE_0 src1_sel:DWORD
	s_mov_b64 s[6:7], -1
	s_and_saveexec_b64 s[14:15], s[16:17]
; %bb.546:
	s_xor_b64 s[6:7], exec, -1
; %bb.547:
	s_or_b64 exec, exec, s[14:15]
	s_and_b64 s[6:7], s[6:7], exec
	s_or_saveexec_b64 s[10:11], s[10:11]
	v_mov_b32_e32 v20, 0x7f800001
	s_xor_b64 exec, exec, s[10:11]
	s_cbranch_execz .LBB255_212
.LBB255_548:
	v_mov_b32_e32 v20, 0
	v_cmp_ne_u16_sdwa s[14:15], v1, v20 src0_sel:BYTE_0 src1_sel:DWORD
	s_andn2_b64 s[6:7], s[6:7], exec
	s_and_b64 s[14:15], s[14:15], exec
	s_or_b64 s[6:7], s[6:7], s[14:15]
	s_or_b64 exec, exec, s[10:11]
	s_and_saveexec_b64 s[10:11], s[6:7]
	s_cbranch_execnz .LBB255_213
	s_branch .LBB255_214
.LBB255_549:
	s_movk_i32 s6, 0x80
	v_cmp_eq_u16_sdwa s[16:17], v19, s6 src0_sel:BYTE_0 src1_sel:DWORD
	s_mov_b64 s[6:7], -1
	s_and_saveexec_b64 s[14:15], s[16:17]
; %bb.550:
	s_xor_b64 s[6:7], exec, -1
; %bb.551:
	s_or_b64 exec, exec, s[14:15]
	s_and_b64 s[6:7], s[6:7], exec
	s_or_saveexec_b64 s[10:11], s[10:11]
	v_mov_b32_e32 v21, 0x7f800001
	s_xor_b64 exec, exec, s[10:11]
	s_cbranch_execz .LBB255_216
.LBB255_552:
	v_mov_b32_e32 v21, 0
	v_cmp_ne_u16_sdwa s[14:15], v19, v21 src0_sel:BYTE_0 src1_sel:DWORD
	s_andn2_b64 s[6:7], s[6:7], exec
	s_and_b64 s[14:15], s[14:15], exec
	s_or_b64 s[6:7], s[6:7], s[14:15]
	s_or_b64 exec, exec, s[10:11]
	s_and_saveexec_b64 s[10:11], s[6:7]
	s_cbranch_execnz .LBB255_217
	s_branch .LBB255_218
.LBB255_553:
	s_movk_i32 s6, 0x80
	v_cmp_eq_u16_sdwa s[18:19], v1, s6 src0_sel:BYTE_0 src1_sel:DWORD
	s_mov_b64 s[6:7], -1
	s_and_saveexec_b64 s[16:17], s[18:19]
; %bb.554:
	s_xor_b64 s[6:7], exec, -1
; %bb.555:
	s_or_b64 exec, exec, s[16:17]
	s_and_b64 s[6:7], s[6:7], exec
	s_or_saveexec_b64 s[14:15], s[14:15]
	v_mov_b32_e32 v20, 0x7f800001
	s_xor_b64 exec, exec, s[14:15]
	s_cbranch_execz .LBB255_222
.LBB255_556:
	v_mov_b32_e32 v20, 0
	v_cmp_ne_u16_sdwa s[16:17], v1, v20 src0_sel:BYTE_0 src1_sel:DWORD
	s_andn2_b64 s[6:7], s[6:7], exec
	s_and_b64 s[16:17], s[16:17], exec
	s_or_b64 s[6:7], s[6:7], s[16:17]
	s_or_b64 exec, exec, s[14:15]
	s_and_saveexec_b64 s[14:15], s[6:7]
	s_cbranch_execnz .LBB255_223
	s_branch .LBB255_224
.LBB255_557:
	s_movk_i32 s6, 0x80
	v_cmp_eq_u16_sdwa s[18:19], v19, s6 src0_sel:BYTE_0 src1_sel:DWORD
	s_mov_b64 s[6:7], -1
	s_and_saveexec_b64 s[16:17], s[18:19]
; %bb.558:
	s_xor_b64 s[6:7], exec, -1
; %bb.559:
	s_or_b64 exec, exec, s[16:17]
	s_and_b64 s[6:7], s[6:7], exec
	s_or_saveexec_b64 s[14:15], s[14:15]
	v_mov_b32_e32 v21, 0x7f800001
	s_xor_b64 exec, exec, s[14:15]
	s_cbranch_execz .LBB255_226
.LBB255_560:
	v_mov_b32_e32 v21, 0
	v_cmp_ne_u16_sdwa s[16:17], v19, v21 src0_sel:BYTE_0 src1_sel:DWORD
	s_andn2_b64 s[6:7], s[6:7], exec
	s_and_b64 s[16:17], s[16:17], exec
	s_or_b64 s[6:7], s[6:7], s[16:17]
	s_or_b64 exec, exec, s[14:15]
	s_and_saveexec_b64 s[14:15], s[6:7]
	s_cbranch_execnz .LBB255_227
	s_branch .LBB255_228
.LBB255_561:
	s_movk_i32 s6, 0x80
	v_cmp_eq_u16_sdwa s[16:17], v1, s6 src0_sel:BYTE_0 src1_sel:DWORD
	s_mov_b64 s[6:7], -1
	s_and_saveexec_b64 s[14:15], s[16:17]
; %bb.562:
	s_xor_b64 s[6:7], exec, -1
; %bb.563:
	s_or_b64 exec, exec, s[14:15]
	s_and_b64 s[6:7], s[6:7], exec
	s_or_saveexec_b64 s[10:11], s[10:11]
	v_mov_b32_e32 v19, 0x7f800001
	s_xor_b64 exec, exec, s[10:11]
	s_cbranch_execz .LBB255_234
.LBB255_564:
	v_mov_b32_e32 v19, 0
	v_cmp_ne_u16_sdwa s[14:15], v1, v19 src0_sel:BYTE_0 src1_sel:DWORD
	s_andn2_b64 s[6:7], s[6:7], exec
	s_and_b64 s[14:15], s[14:15], exec
	s_or_b64 s[6:7], s[6:7], s[14:15]
	s_or_b64 exec, exec, s[10:11]
	s_and_saveexec_b64 s[10:11], s[6:7]
	s_cbranch_execnz .LBB255_235
	s_branch .LBB255_236
.LBB255_565:
	s_movk_i32 s6, 0x80
	v_cmp_eq_u16_sdwa s[16:17], v18, s6 src0_sel:BYTE_0 src1_sel:DWORD
	s_mov_b64 s[6:7], -1
	s_and_saveexec_b64 s[14:15], s[16:17]
; %bb.566:
	s_xor_b64 s[6:7], exec, -1
; %bb.567:
	s_or_b64 exec, exec, s[14:15]
	s_and_b64 s[6:7], s[6:7], exec
	s_or_saveexec_b64 s[10:11], s[10:11]
	v_mov_b32_e32 v20, 0x7f800001
	s_xor_b64 exec, exec, s[10:11]
	s_cbranch_execz .LBB255_238
.LBB255_568:
	v_mov_b32_e32 v20, 0
	v_cmp_ne_u16_sdwa s[14:15], v18, v20 src0_sel:BYTE_0 src1_sel:DWORD
	s_andn2_b64 s[6:7], s[6:7], exec
	s_and_b64 s[14:15], s[14:15], exec
	s_or_b64 s[6:7], s[6:7], s[14:15]
	s_or_b64 exec, exec, s[10:11]
	s_and_saveexec_b64 s[10:11], s[6:7]
	s_cbranch_execnz .LBB255_239
	s_branch .LBB255_240
.LBB255_569:
	s_movk_i32 s6, 0x80
	v_cmp_eq_u16_sdwa s[18:19], v1, s6 src0_sel:BYTE_0 src1_sel:DWORD
	s_mov_b64 s[6:7], -1
	s_and_saveexec_b64 s[16:17], s[18:19]
; %bb.570:
	s_xor_b64 s[6:7], exec, -1
; %bb.571:
	s_or_b64 exec, exec, s[16:17]
	s_and_b64 s[6:7], s[6:7], exec
	s_or_saveexec_b64 s[14:15], s[14:15]
	v_mov_b32_e32 v19, 0x7f800001
	s_xor_b64 exec, exec, s[14:15]
	s_cbranch_execz .LBB255_244
.LBB255_572:
	v_mov_b32_e32 v19, 0
	v_cmp_ne_u16_sdwa s[16:17], v1, v19 src0_sel:BYTE_0 src1_sel:DWORD
	s_andn2_b64 s[6:7], s[6:7], exec
	s_and_b64 s[16:17], s[16:17], exec
	s_or_b64 s[6:7], s[6:7], s[16:17]
	s_or_b64 exec, exec, s[14:15]
	s_and_saveexec_b64 s[14:15], s[6:7]
	s_cbranch_execnz .LBB255_245
	s_branch .LBB255_246
.LBB255_573:
	s_movk_i32 s6, 0x80
	v_cmp_eq_u16_sdwa s[18:19], v18, s6 src0_sel:BYTE_0 src1_sel:DWORD
	s_mov_b64 s[6:7], -1
	s_and_saveexec_b64 s[16:17], s[18:19]
; %bb.574:
	s_xor_b64 s[6:7], exec, -1
; %bb.575:
	s_or_b64 exec, exec, s[16:17]
	s_and_b64 s[6:7], s[6:7], exec
	s_or_saveexec_b64 s[14:15], s[14:15]
	v_mov_b32_e32 v20, 0x7f800001
	s_xor_b64 exec, exec, s[14:15]
	s_cbranch_execz .LBB255_248
.LBB255_576:
	v_mov_b32_e32 v20, 0
	v_cmp_ne_u16_sdwa s[16:17], v18, v20 src0_sel:BYTE_0 src1_sel:DWORD
	s_andn2_b64 s[6:7], s[6:7], exec
	s_and_b64 s[16:17], s[16:17], exec
	s_or_b64 s[6:7], s[6:7], s[16:17]
	s_or_b64 exec, exec, s[14:15]
	s_and_saveexec_b64 s[14:15], s[6:7]
	s_cbranch_execnz .LBB255_249
	s_branch .LBB255_250
.LBB255_577:
	s_movk_i32 s6, 0x80
	v_cmp_eq_u16_sdwa s[16:17], v1, s6 src0_sel:BYTE_0 src1_sel:DWORD
	s_mov_b64 s[6:7], -1
	s_and_saveexec_b64 s[14:15], s[16:17]
; %bb.578:
	s_xor_b64 s[6:7], exec, -1
; %bb.579:
	s_or_b64 exec, exec, s[14:15]
	s_and_b64 s[6:7], s[6:7], exec
	s_or_saveexec_b64 s[10:11], s[10:11]
	v_mov_b32_e32 v18, 0x7f800001
	s_xor_b64 exec, exec, s[10:11]
	s_cbranch_execz .LBB255_256
.LBB255_580:
	v_mov_b32_e32 v18, 0
	v_cmp_ne_u16_sdwa s[14:15], v1, v18 src0_sel:BYTE_0 src1_sel:DWORD
	s_andn2_b64 s[6:7], s[6:7], exec
	s_and_b64 s[14:15], s[14:15], exec
	s_or_b64 s[6:7], s[6:7], s[14:15]
	s_or_b64 exec, exec, s[10:11]
	s_and_saveexec_b64 s[10:11], s[6:7]
	s_cbranch_execnz .LBB255_257
	s_branch .LBB255_258
.LBB255_581:
	s_movk_i32 s6, 0x80
	v_cmp_eq_u16_sdwa s[16:17], v17, s6 src0_sel:BYTE_0 src1_sel:DWORD
	s_mov_b64 s[6:7], -1
	s_and_saveexec_b64 s[14:15], s[16:17]
; %bb.582:
	s_xor_b64 s[6:7], exec, -1
; %bb.583:
	s_or_b64 exec, exec, s[14:15]
	s_and_b64 s[6:7], s[6:7], exec
	s_or_saveexec_b64 s[10:11], s[10:11]
	v_mov_b32_e32 v19, 0x7f800001
	s_xor_b64 exec, exec, s[10:11]
	s_cbranch_execz .LBB255_260
.LBB255_584:
	v_mov_b32_e32 v19, 0
	v_cmp_ne_u16_sdwa s[14:15], v17, v19 src0_sel:BYTE_0 src1_sel:DWORD
	s_andn2_b64 s[6:7], s[6:7], exec
	s_and_b64 s[14:15], s[14:15], exec
	s_or_b64 s[6:7], s[6:7], s[14:15]
	s_or_b64 exec, exec, s[10:11]
	s_and_saveexec_b64 s[10:11], s[6:7]
	s_cbranch_execnz .LBB255_261
	s_branch .LBB255_262
.LBB255_585:
	s_movk_i32 s6, 0x80
	v_cmp_eq_u16_sdwa s[18:19], v1, s6 src0_sel:BYTE_0 src1_sel:DWORD
	s_mov_b64 s[6:7], -1
	s_and_saveexec_b64 s[16:17], s[18:19]
; %bb.586:
	s_xor_b64 s[6:7], exec, -1
; %bb.587:
	s_or_b64 exec, exec, s[16:17]
	s_and_b64 s[6:7], s[6:7], exec
	s_or_saveexec_b64 s[14:15], s[14:15]
	v_mov_b32_e32 v18, 0x7f800001
	s_xor_b64 exec, exec, s[14:15]
	s_cbranch_execz .LBB255_266
.LBB255_588:
	v_mov_b32_e32 v18, 0
	v_cmp_ne_u16_sdwa s[16:17], v1, v18 src0_sel:BYTE_0 src1_sel:DWORD
	s_andn2_b64 s[6:7], s[6:7], exec
	s_and_b64 s[16:17], s[16:17], exec
	s_or_b64 s[6:7], s[6:7], s[16:17]
	s_or_b64 exec, exec, s[14:15]
	s_and_saveexec_b64 s[14:15], s[6:7]
	s_cbranch_execnz .LBB255_267
	s_branch .LBB255_268
.LBB255_589:
	s_movk_i32 s6, 0x80
	v_cmp_eq_u16_sdwa s[18:19], v17, s6 src0_sel:BYTE_0 src1_sel:DWORD
	s_mov_b64 s[6:7], -1
	s_and_saveexec_b64 s[16:17], s[18:19]
; %bb.590:
	s_xor_b64 s[6:7], exec, -1
; %bb.591:
	s_or_b64 exec, exec, s[16:17]
	s_and_b64 s[6:7], s[6:7], exec
	s_or_saveexec_b64 s[14:15], s[14:15]
	v_mov_b32_e32 v19, 0x7f800001
	s_xor_b64 exec, exec, s[14:15]
	s_cbranch_execz .LBB255_270
.LBB255_592:
	v_mov_b32_e32 v19, 0
	v_cmp_ne_u16_sdwa s[16:17], v17, v19 src0_sel:BYTE_0 src1_sel:DWORD
	s_andn2_b64 s[6:7], s[6:7], exec
	s_and_b64 s[16:17], s[16:17], exec
	s_or_b64 s[6:7], s[6:7], s[16:17]
	s_or_b64 exec, exec, s[14:15]
	s_and_saveexec_b64 s[14:15], s[6:7]
	s_cbranch_execnz .LBB255_271
	s_branch .LBB255_272
.LBB255_593:
	s_movk_i32 s6, 0x80
	v_cmp_eq_u16_sdwa s[16:17], v1, s6 src0_sel:BYTE_0 src1_sel:DWORD
	s_mov_b64 s[6:7], -1
	s_and_saveexec_b64 s[14:15], s[16:17]
; %bb.594:
	s_xor_b64 s[6:7], exec, -1
; %bb.595:
	s_or_b64 exec, exec, s[14:15]
	s_and_b64 s[6:7], s[6:7], exec
	s_or_saveexec_b64 s[10:11], s[10:11]
	v_mov_b32_e32 v17, 0x7f800001
	s_xor_b64 exec, exec, s[10:11]
	s_cbranch_execz .LBB255_278
.LBB255_596:
	v_mov_b32_e32 v17, 0
	v_cmp_ne_u16_sdwa s[14:15], v1, v17 src0_sel:BYTE_0 src1_sel:DWORD
	s_andn2_b64 s[6:7], s[6:7], exec
	s_and_b64 s[14:15], s[14:15], exec
	s_or_b64 s[6:7], s[6:7], s[14:15]
	s_or_b64 exec, exec, s[10:11]
	s_and_saveexec_b64 s[10:11], s[6:7]
	s_cbranch_execnz .LBB255_279
	s_branch .LBB255_280
.LBB255_597:
	s_movk_i32 s6, 0x80
	v_cmp_eq_u16_sdwa s[16:17], v16, s6 src0_sel:BYTE_0 src1_sel:DWORD
	s_mov_b64 s[6:7], -1
	s_and_saveexec_b64 s[14:15], s[16:17]
; %bb.598:
	s_xor_b64 s[6:7], exec, -1
; %bb.599:
	s_or_b64 exec, exec, s[14:15]
	s_and_b64 s[6:7], s[6:7], exec
	s_or_saveexec_b64 s[10:11], s[10:11]
	v_mov_b32_e32 v18, 0x7f800001
	s_xor_b64 exec, exec, s[10:11]
	s_cbranch_execz .LBB255_282
.LBB255_600:
	v_mov_b32_e32 v18, 0
	v_cmp_ne_u16_sdwa s[14:15], v16, v18 src0_sel:BYTE_0 src1_sel:DWORD
	s_andn2_b64 s[6:7], s[6:7], exec
	s_and_b64 s[14:15], s[14:15], exec
	s_or_b64 s[6:7], s[6:7], s[14:15]
	s_or_b64 exec, exec, s[10:11]
	s_and_saveexec_b64 s[10:11], s[6:7]
	s_cbranch_execnz .LBB255_283
	s_branch .LBB255_284
.LBB255_601:
	s_movk_i32 s6, 0x80
	v_cmp_eq_u16_sdwa s[18:19], v1, s6 src0_sel:BYTE_0 src1_sel:DWORD
	s_mov_b64 s[6:7], -1
	s_and_saveexec_b64 s[16:17], s[18:19]
; %bb.602:
	s_xor_b64 s[6:7], exec, -1
; %bb.603:
	s_or_b64 exec, exec, s[16:17]
	s_and_b64 s[6:7], s[6:7], exec
	s_or_saveexec_b64 s[14:15], s[14:15]
	v_mov_b32_e32 v17, 0x7f800001
	s_xor_b64 exec, exec, s[14:15]
	s_cbranch_execz .LBB255_288
.LBB255_604:
	v_mov_b32_e32 v17, 0
	v_cmp_ne_u16_sdwa s[16:17], v1, v17 src0_sel:BYTE_0 src1_sel:DWORD
	s_andn2_b64 s[6:7], s[6:7], exec
	s_and_b64 s[16:17], s[16:17], exec
	s_or_b64 s[6:7], s[6:7], s[16:17]
	s_or_b64 exec, exec, s[14:15]
	s_and_saveexec_b64 s[14:15], s[6:7]
	s_cbranch_execnz .LBB255_289
	s_branch .LBB255_290
.LBB255_605:
	s_movk_i32 s6, 0x80
	v_cmp_eq_u16_sdwa s[18:19], v16, s6 src0_sel:BYTE_0 src1_sel:DWORD
	s_mov_b64 s[6:7], -1
	s_and_saveexec_b64 s[16:17], s[18:19]
; %bb.606:
	s_xor_b64 s[6:7], exec, -1
; %bb.607:
	s_or_b64 exec, exec, s[16:17]
	s_and_b64 s[6:7], s[6:7], exec
	s_or_saveexec_b64 s[14:15], s[14:15]
	v_mov_b32_e32 v18, 0x7f800001
	s_xor_b64 exec, exec, s[14:15]
	s_cbranch_execz .LBB255_292
.LBB255_608:
	v_mov_b32_e32 v18, 0
	v_cmp_ne_u16_sdwa s[16:17], v16, v18 src0_sel:BYTE_0 src1_sel:DWORD
	s_andn2_b64 s[6:7], s[6:7], exec
	s_and_b64 s[16:17], s[16:17], exec
	s_or_b64 s[6:7], s[6:7], s[16:17]
	s_or_b64 exec, exec, s[14:15]
	s_and_saveexec_b64 s[14:15], s[6:7]
	s_cbranch_execnz .LBB255_293
	s_branch .LBB255_294
.LBB255_609:
	s_movk_i32 s6, 0x80
	v_cmp_eq_u16_sdwa s[16:17], v1, s6 src0_sel:BYTE_0 src1_sel:DWORD
	s_mov_b64 s[6:7], -1
	s_and_saveexec_b64 s[14:15], s[16:17]
; %bb.610:
	s_xor_b64 s[6:7], exec, -1
; %bb.611:
	s_or_b64 exec, exec, s[14:15]
	s_and_b64 s[6:7], s[6:7], exec
	s_or_saveexec_b64 s[10:11], s[10:11]
	v_mov_b32_e32 v16, 0x7f800001
	s_xor_b64 exec, exec, s[10:11]
	s_cbranch_execz .LBB255_300
.LBB255_612:
	v_mov_b32_e32 v16, 0
	v_cmp_ne_u16_sdwa s[14:15], v1, v16 src0_sel:BYTE_0 src1_sel:DWORD
	s_andn2_b64 s[6:7], s[6:7], exec
	s_and_b64 s[14:15], s[14:15], exec
	s_or_b64 s[6:7], s[6:7], s[14:15]
	s_or_b64 exec, exec, s[10:11]
	s_and_saveexec_b64 s[10:11], s[6:7]
	s_cbranch_execnz .LBB255_301
	s_branch .LBB255_302
.LBB255_613:
	s_movk_i32 s6, 0x80
	v_cmp_eq_u16_sdwa s[16:17], v15, s6 src0_sel:BYTE_0 src1_sel:DWORD
	s_mov_b64 s[6:7], -1
	s_and_saveexec_b64 s[14:15], s[16:17]
; %bb.614:
	s_xor_b64 s[6:7], exec, -1
; %bb.615:
	s_or_b64 exec, exec, s[14:15]
	s_and_b64 s[6:7], s[6:7], exec
	s_or_saveexec_b64 s[10:11], s[10:11]
	v_mov_b32_e32 v17, 0x7f800001
	s_xor_b64 exec, exec, s[10:11]
	s_cbranch_execz .LBB255_304
.LBB255_616:
	v_mov_b32_e32 v17, 0
	v_cmp_ne_u16_sdwa s[14:15], v15, v17 src0_sel:BYTE_0 src1_sel:DWORD
	s_andn2_b64 s[6:7], s[6:7], exec
	s_and_b64 s[14:15], s[14:15], exec
	s_or_b64 s[6:7], s[6:7], s[14:15]
	s_or_b64 exec, exec, s[10:11]
	s_and_saveexec_b64 s[10:11], s[6:7]
	s_cbranch_execnz .LBB255_305
	s_branch .LBB255_306
.LBB255_617:
	s_movk_i32 s6, 0x80
	v_cmp_eq_u16_sdwa s[18:19], v1, s6 src0_sel:BYTE_0 src1_sel:DWORD
	s_mov_b64 s[6:7], -1
	s_and_saveexec_b64 s[16:17], s[18:19]
; %bb.618:
	s_xor_b64 s[6:7], exec, -1
; %bb.619:
	s_or_b64 exec, exec, s[16:17]
	s_and_b64 s[6:7], s[6:7], exec
	s_or_saveexec_b64 s[14:15], s[14:15]
	v_mov_b32_e32 v16, 0x7f800001
	s_xor_b64 exec, exec, s[14:15]
	s_cbranch_execz .LBB255_310
.LBB255_620:
	v_mov_b32_e32 v16, 0
	v_cmp_ne_u16_sdwa s[16:17], v1, v16 src0_sel:BYTE_0 src1_sel:DWORD
	s_andn2_b64 s[6:7], s[6:7], exec
	s_and_b64 s[16:17], s[16:17], exec
	s_or_b64 s[6:7], s[6:7], s[16:17]
	s_or_b64 exec, exec, s[14:15]
	s_and_saveexec_b64 s[14:15], s[6:7]
	s_cbranch_execnz .LBB255_311
	s_branch .LBB255_312
.LBB255_621:
	s_movk_i32 s6, 0x80
	v_cmp_eq_u16_sdwa s[18:19], v15, s6 src0_sel:BYTE_0 src1_sel:DWORD
	s_mov_b64 s[6:7], -1
	s_and_saveexec_b64 s[16:17], s[18:19]
; %bb.622:
	s_xor_b64 s[6:7], exec, -1
; %bb.623:
	s_or_b64 exec, exec, s[16:17]
	s_and_b64 s[6:7], s[6:7], exec
	s_or_saveexec_b64 s[14:15], s[14:15]
	v_mov_b32_e32 v17, 0x7f800001
	s_xor_b64 exec, exec, s[14:15]
	s_cbranch_execz .LBB255_314
.LBB255_624:
	v_mov_b32_e32 v17, 0
	v_cmp_ne_u16_sdwa s[16:17], v15, v17 src0_sel:BYTE_0 src1_sel:DWORD
	s_andn2_b64 s[6:7], s[6:7], exec
	s_and_b64 s[16:17], s[16:17], exec
	s_or_b64 s[6:7], s[6:7], s[16:17]
	s_or_b64 exec, exec, s[14:15]
	s_and_saveexec_b64 s[14:15], s[6:7]
	s_cbranch_execnz .LBB255_315
	s_branch .LBB255_316
.LBB255_625:
	s_movk_i32 s6, 0x80
	v_cmp_eq_u16_sdwa s[16:17], v1, s6 src0_sel:BYTE_0 src1_sel:DWORD
	s_mov_b64 s[6:7], -1
	s_and_saveexec_b64 s[14:15], s[16:17]
; %bb.626:
	s_xor_b64 s[6:7], exec, -1
; %bb.627:
	s_or_b64 exec, exec, s[14:15]
	s_and_b64 s[6:7], s[6:7], exec
	s_or_saveexec_b64 s[10:11], s[10:11]
	v_mov_b32_e32 v15, 0x7f800001
	s_xor_b64 exec, exec, s[10:11]
	s_cbranch_execz .LBB255_322
.LBB255_628:
	v_mov_b32_e32 v15, 0
	v_cmp_ne_u16_sdwa s[14:15], v1, v15 src0_sel:BYTE_0 src1_sel:DWORD
	s_andn2_b64 s[6:7], s[6:7], exec
	s_and_b64 s[14:15], s[14:15], exec
	s_or_b64 s[6:7], s[6:7], s[14:15]
	s_or_b64 exec, exec, s[10:11]
	s_and_saveexec_b64 s[10:11], s[6:7]
	s_cbranch_execnz .LBB255_323
	s_branch .LBB255_324
.LBB255_629:
	s_movk_i32 s6, 0x80
	v_cmp_eq_u16_sdwa s[16:17], v14, s6 src0_sel:BYTE_0 src1_sel:DWORD
	s_mov_b64 s[6:7], -1
	s_and_saveexec_b64 s[14:15], s[16:17]
; %bb.630:
	s_xor_b64 s[6:7], exec, -1
; %bb.631:
	s_or_b64 exec, exec, s[14:15]
	s_and_b64 s[6:7], s[6:7], exec
	s_or_saveexec_b64 s[10:11], s[10:11]
	v_mov_b32_e32 v16, 0x7f800001
	s_xor_b64 exec, exec, s[10:11]
	s_cbranch_execz .LBB255_326
.LBB255_632:
	v_mov_b32_e32 v16, 0
	v_cmp_ne_u16_sdwa s[14:15], v14, v16 src0_sel:BYTE_0 src1_sel:DWORD
	s_andn2_b64 s[6:7], s[6:7], exec
	s_and_b64 s[14:15], s[14:15], exec
	s_or_b64 s[6:7], s[6:7], s[14:15]
	s_or_b64 exec, exec, s[10:11]
	s_and_saveexec_b64 s[10:11], s[6:7]
	s_cbranch_execnz .LBB255_327
	s_branch .LBB255_328
.LBB255_633:
	s_movk_i32 s6, 0x80
	v_cmp_eq_u16_sdwa s[18:19], v1, s6 src0_sel:BYTE_0 src1_sel:DWORD
	s_mov_b64 s[6:7], -1
	s_and_saveexec_b64 s[16:17], s[18:19]
; %bb.634:
	s_xor_b64 s[6:7], exec, -1
; %bb.635:
	s_or_b64 exec, exec, s[16:17]
	s_and_b64 s[6:7], s[6:7], exec
	s_or_saveexec_b64 s[14:15], s[14:15]
	v_mov_b32_e32 v15, 0x7f800001
	s_xor_b64 exec, exec, s[14:15]
	s_cbranch_execz .LBB255_332
.LBB255_636:
	v_mov_b32_e32 v15, 0
	v_cmp_ne_u16_sdwa s[16:17], v1, v15 src0_sel:BYTE_0 src1_sel:DWORD
	s_andn2_b64 s[6:7], s[6:7], exec
	s_and_b64 s[16:17], s[16:17], exec
	s_or_b64 s[6:7], s[6:7], s[16:17]
	s_or_b64 exec, exec, s[14:15]
	s_and_saveexec_b64 s[14:15], s[6:7]
	s_cbranch_execnz .LBB255_333
	s_branch .LBB255_334
.LBB255_637:
	s_movk_i32 s6, 0x80
	v_cmp_eq_u16_sdwa s[18:19], v14, s6 src0_sel:BYTE_0 src1_sel:DWORD
	s_mov_b64 s[6:7], -1
	s_and_saveexec_b64 s[16:17], s[18:19]
; %bb.638:
	s_xor_b64 s[6:7], exec, -1
; %bb.639:
	s_or_b64 exec, exec, s[16:17]
	s_and_b64 s[6:7], s[6:7], exec
	s_or_saveexec_b64 s[14:15], s[14:15]
	v_mov_b32_e32 v16, 0x7f800001
	s_xor_b64 exec, exec, s[14:15]
	s_cbranch_execz .LBB255_336
.LBB255_640:
	v_mov_b32_e32 v16, 0
	v_cmp_ne_u16_sdwa s[16:17], v14, v16 src0_sel:BYTE_0 src1_sel:DWORD
	s_andn2_b64 s[6:7], s[6:7], exec
	s_and_b64 s[16:17], s[16:17], exec
	s_or_b64 s[6:7], s[6:7], s[16:17]
	s_or_b64 exec, exec, s[14:15]
	s_and_saveexec_b64 s[14:15], s[6:7]
	s_cbranch_execnz .LBB255_337
	s_branch .LBB255_338
.LBB255_641:
	s_movk_i32 s6, 0x80
	v_cmp_eq_u16_sdwa s[16:17], v1, s6 src0_sel:BYTE_0 src1_sel:DWORD
	s_mov_b64 s[6:7], -1
	s_and_saveexec_b64 s[14:15], s[16:17]
; %bb.642:
	s_xor_b64 s[6:7], exec, -1
; %bb.643:
	s_or_b64 exec, exec, s[14:15]
	s_and_b64 s[6:7], s[6:7], exec
	s_or_saveexec_b64 s[10:11], s[10:11]
	v_mov_b32_e32 v14, 0x7f800001
	s_xor_b64 exec, exec, s[10:11]
	s_cbranch_execz .LBB255_344
.LBB255_644:
	v_mov_b32_e32 v14, 0
	v_cmp_ne_u16_sdwa s[14:15], v1, v14 src0_sel:BYTE_0 src1_sel:DWORD
	s_andn2_b64 s[6:7], s[6:7], exec
	s_and_b64 s[14:15], s[14:15], exec
	s_or_b64 s[6:7], s[6:7], s[14:15]
	s_or_b64 exec, exec, s[10:11]
	s_and_saveexec_b64 s[10:11], s[6:7]
	s_cbranch_execnz .LBB255_345
	s_branch .LBB255_346
.LBB255_645:
	s_movk_i32 s6, 0x80
	v_cmp_eq_u16_sdwa s[16:17], v13, s6 src0_sel:BYTE_0 src1_sel:DWORD
	s_mov_b64 s[6:7], -1
	s_and_saveexec_b64 s[14:15], s[16:17]
; %bb.646:
	s_xor_b64 s[6:7], exec, -1
; %bb.647:
	s_or_b64 exec, exec, s[14:15]
	s_and_b64 s[6:7], s[6:7], exec
	s_or_saveexec_b64 s[10:11], s[10:11]
	v_mov_b32_e32 v15, 0x7f800001
	s_xor_b64 exec, exec, s[10:11]
	s_cbranch_execz .LBB255_348
.LBB255_648:
	v_mov_b32_e32 v15, 0
	v_cmp_ne_u16_sdwa s[14:15], v13, v15 src0_sel:BYTE_0 src1_sel:DWORD
	s_andn2_b64 s[6:7], s[6:7], exec
	s_and_b64 s[14:15], s[14:15], exec
	s_or_b64 s[6:7], s[6:7], s[14:15]
	s_or_b64 exec, exec, s[10:11]
	s_and_saveexec_b64 s[10:11], s[6:7]
	s_cbranch_execnz .LBB255_349
	s_branch .LBB255_350
.LBB255_649:
	s_movk_i32 s6, 0x80
	v_cmp_eq_u16_sdwa s[18:19], v1, s6 src0_sel:BYTE_0 src1_sel:DWORD
	s_mov_b64 s[6:7], -1
	s_and_saveexec_b64 s[16:17], s[18:19]
; %bb.650:
	s_xor_b64 s[6:7], exec, -1
; %bb.651:
	s_or_b64 exec, exec, s[16:17]
	s_and_b64 s[6:7], s[6:7], exec
	s_or_saveexec_b64 s[14:15], s[14:15]
	v_mov_b32_e32 v14, 0x7f800001
	s_xor_b64 exec, exec, s[14:15]
	s_cbranch_execz .LBB255_354
.LBB255_652:
	v_mov_b32_e32 v14, 0
	v_cmp_ne_u16_sdwa s[16:17], v1, v14 src0_sel:BYTE_0 src1_sel:DWORD
	s_andn2_b64 s[6:7], s[6:7], exec
	s_and_b64 s[16:17], s[16:17], exec
	s_or_b64 s[6:7], s[6:7], s[16:17]
	s_or_b64 exec, exec, s[14:15]
	s_and_saveexec_b64 s[14:15], s[6:7]
	s_cbranch_execnz .LBB255_355
	s_branch .LBB255_356
.LBB255_653:
	s_movk_i32 s6, 0x80
	v_cmp_eq_u16_sdwa s[18:19], v13, s6 src0_sel:BYTE_0 src1_sel:DWORD
	s_mov_b64 s[6:7], -1
	s_and_saveexec_b64 s[16:17], s[18:19]
; %bb.654:
	s_xor_b64 s[6:7], exec, -1
; %bb.655:
	s_or_b64 exec, exec, s[16:17]
	s_and_b64 s[6:7], s[6:7], exec
	s_or_saveexec_b64 s[14:15], s[14:15]
	v_mov_b32_e32 v15, 0x7f800001
	s_xor_b64 exec, exec, s[14:15]
	s_cbranch_execz .LBB255_358
.LBB255_656:
	v_mov_b32_e32 v15, 0
	v_cmp_ne_u16_sdwa s[16:17], v13, v15 src0_sel:BYTE_0 src1_sel:DWORD
	s_andn2_b64 s[6:7], s[6:7], exec
	s_and_b64 s[16:17], s[16:17], exec
	s_or_b64 s[6:7], s[6:7], s[16:17]
	s_or_b64 exec, exec, s[14:15]
	s_and_saveexec_b64 s[14:15], s[6:7]
	s_cbranch_execnz .LBB255_359
	s_branch .LBB255_360
.LBB255_657:
	s_movk_i32 s4, 0x80
	v_cmp_eq_u16_sdwa s[14:15], v1, s4 src0_sel:BYTE_0 src1_sel:DWORD
	s_mov_b64 s[4:5], -1
	s_and_saveexec_b64 s[12:13], s[14:15]
; %bb.658:
	s_xor_b64 s[4:5], exec, -1
; %bb.659:
	s_or_b64 exec, exec, s[12:13]
	s_and_b64 s[4:5], s[4:5], exec
                                        ; implicit-def: $vgpr1
	s_or_saveexec_b64 s[6:7], s[6:7]
	v_mov_b32_e32 v13, 0x7f800001
	s_xor_b64 exec, exec, s[6:7]
	s_cbranch_execz .LBB255_383
.LBB255_660:
	v_mov_b32_e32 v13, 0
	v_cmp_ne_u16_sdwa s[12:13], v1, v13 src0_sel:BYTE_0 src1_sel:DWORD
	s_andn2_b64 s[4:5], s[4:5], exec
	s_and_b64 s[12:13], s[12:13], exec
	s_or_b64 s[4:5], s[4:5], s[12:13]
	s_or_b64 exec, exec, s[6:7]
	s_and_saveexec_b64 s[6:7], s[4:5]
	s_cbranch_execnz .LBB255_384
	s_branch .LBB255_385
.LBB255_661:
	s_movk_i32 s4, 0x80
	v_cmp_eq_u16_sdwa s[14:15], v11, s4 src0_sel:BYTE_0 src1_sel:DWORD
	s_mov_b64 s[4:5], -1
	s_and_saveexec_b64 s[12:13], s[14:15]
; %bb.662:
	s_xor_b64 s[4:5], exec, -1
; %bb.663:
	s_or_b64 exec, exec, s[12:13]
	s_and_b64 s[4:5], s[4:5], exec
	s_or_saveexec_b64 s[6:7], s[6:7]
	v_mov_b32_e32 v1, 0x7f800001
	s_xor_b64 exec, exec, s[6:7]
	s_cbranch_execz .LBB255_387
.LBB255_664:
	v_mov_b32_e32 v1, 0
	v_cmp_ne_u16_sdwa s[12:13], v11, v1 src0_sel:BYTE_0 src1_sel:DWORD
	s_andn2_b64 s[4:5], s[4:5], exec
	s_and_b64 s[12:13], s[12:13], exec
	s_or_b64 s[4:5], s[4:5], s[12:13]
	s_or_b64 exec, exec, s[6:7]
	s_and_saveexec_b64 s[6:7], s[4:5]
	s_cbranch_execnz .LBB255_388
	s_branch .LBB255_389
.LBB255_665:
	s_movk_i32 s4, 0x80
	v_cmp_eq_u16_sdwa s[16:17], v1, s4 src0_sel:BYTE_0 src1_sel:DWORD
	s_mov_b64 s[4:5], -1
	s_and_saveexec_b64 s[14:15], s[16:17]
; %bb.666:
	s_xor_b64 s[4:5], exec, -1
; %bb.667:
	s_or_b64 exec, exec, s[14:15]
	s_and_b64 s[4:5], s[4:5], exec
                                        ; implicit-def: $vgpr1
	s_or_saveexec_b64 s[12:13], s[12:13]
	v_mov_b32_e32 v13, 0x7f800001
	s_xor_b64 exec, exec, s[12:13]
	s_cbranch_execz .LBB255_393
.LBB255_668:
	v_mov_b32_e32 v13, 0
	v_cmp_ne_u16_sdwa s[14:15], v1, v13 src0_sel:BYTE_0 src1_sel:DWORD
	s_andn2_b64 s[4:5], s[4:5], exec
	s_and_b64 s[14:15], s[14:15], exec
	s_or_b64 s[4:5], s[4:5], s[14:15]
	s_or_b64 exec, exec, s[12:13]
	s_and_saveexec_b64 s[12:13], s[4:5]
	s_cbranch_execnz .LBB255_394
	s_branch .LBB255_395
.LBB255_669:
	s_movk_i32 s4, 0x80
	v_cmp_eq_u16_sdwa s[16:17], v11, s4 src0_sel:BYTE_0 src1_sel:DWORD
	s_mov_b64 s[4:5], -1
	s_and_saveexec_b64 s[14:15], s[16:17]
; %bb.670:
	s_xor_b64 s[4:5], exec, -1
; %bb.671:
	s_or_b64 exec, exec, s[14:15]
	s_and_b64 s[4:5], s[4:5], exec
	s_or_saveexec_b64 s[12:13], s[12:13]
	v_mov_b32_e32 v1, 0x7f800001
	s_xor_b64 exec, exec, s[12:13]
	s_cbranch_execz .LBB255_397
.LBB255_672:
	v_mov_b32_e32 v1, 0
	v_cmp_ne_u16_sdwa s[14:15], v11, v1 src0_sel:BYTE_0 src1_sel:DWORD
	s_andn2_b64 s[4:5], s[4:5], exec
	s_and_b64 s[14:15], s[14:15], exec
	s_or_b64 s[4:5], s[4:5], s[14:15]
	s_or_b64 exec, exec, s[12:13]
	s_and_saveexec_b64 s[12:13], s[4:5]
	s_cbranch_execnz .LBB255_398
	s_branch .LBB255_399
.Lfunc_end255:
	.size	_ZN2at6native25elementwise_kernel_helperILb0ENS0_13AUnaryFunctorIN3c1015Float8_e5m2fnuzES4_bNS0_12_GLOBAL__N_116CompareEqFunctorIS4_EEEENS0_6memory8policies11unroll_baseILi256ESt5arrayIPcLm2EE23TrivialOffsetCalculatorILi1EjESG_NS9_15LoadWithoutCastENS9_16StoreWithoutCastELi16ELi1EEEEEvT0_T1_, .Lfunc_end255-_ZN2at6native25elementwise_kernel_helperILb0ENS0_13AUnaryFunctorIN3c1015Float8_e5m2fnuzES4_bNS0_12_GLOBAL__N_116CompareEqFunctorIS4_EEEENS0_6memory8policies11unroll_baseILi256ESt5arrayIPcLm2EE23TrivialOffsetCalculatorILi1EjESG_NS9_15LoadWithoutCastENS9_16StoreWithoutCastELi16ELi1EEEEEvT0_T1_
                                        ; -- End function
	.set .L_ZN2at6native25elementwise_kernel_helperILb0ENS0_13AUnaryFunctorIN3c1015Float8_e5m2fnuzES4_bNS0_12_GLOBAL__N_116CompareEqFunctorIS4_EEEENS0_6memory8policies11unroll_baseILi256ESt5arrayIPcLm2EE23TrivialOffsetCalculatorILi1EjESG_NS9_15LoadWithoutCastENS9_16StoreWithoutCastELi16ELi1EEEEEvT0_T1_.num_vgpr, 32
	.set .L_ZN2at6native25elementwise_kernel_helperILb0ENS0_13AUnaryFunctorIN3c1015Float8_e5m2fnuzES4_bNS0_12_GLOBAL__N_116CompareEqFunctorIS4_EEEENS0_6memory8policies11unroll_baseILi256ESt5arrayIPcLm2EE23TrivialOffsetCalculatorILi1EjESG_NS9_15LoadWithoutCastENS9_16StoreWithoutCastELi16ELi1EEEEEvT0_T1_.num_agpr, 0
	.set .L_ZN2at6native25elementwise_kernel_helperILb0ENS0_13AUnaryFunctorIN3c1015Float8_e5m2fnuzES4_bNS0_12_GLOBAL__N_116CompareEqFunctorIS4_EEEENS0_6memory8policies11unroll_baseILi256ESt5arrayIPcLm2EE23TrivialOffsetCalculatorILi1EjESG_NS9_15LoadWithoutCastENS9_16StoreWithoutCastELi16ELi1EEEEEvT0_T1_.numbered_sgpr, 57
	.set .L_ZN2at6native25elementwise_kernel_helperILb0ENS0_13AUnaryFunctorIN3c1015Float8_e5m2fnuzES4_bNS0_12_GLOBAL__N_116CompareEqFunctorIS4_EEEENS0_6memory8policies11unroll_baseILi256ESt5arrayIPcLm2EE23TrivialOffsetCalculatorILi1EjESG_NS9_15LoadWithoutCastENS9_16StoreWithoutCastELi16ELi1EEEEEvT0_T1_.num_named_barrier, 0
	.set .L_ZN2at6native25elementwise_kernel_helperILb0ENS0_13AUnaryFunctorIN3c1015Float8_e5m2fnuzES4_bNS0_12_GLOBAL__N_116CompareEqFunctorIS4_EEEENS0_6memory8policies11unroll_baseILi256ESt5arrayIPcLm2EE23TrivialOffsetCalculatorILi1EjESG_NS9_15LoadWithoutCastENS9_16StoreWithoutCastELi16ELi1EEEEEvT0_T1_.private_seg_size, 0
	.set .L_ZN2at6native25elementwise_kernel_helperILb0ENS0_13AUnaryFunctorIN3c1015Float8_e5m2fnuzES4_bNS0_12_GLOBAL__N_116CompareEqFunctorIS4_EEEENS0_6memory8policies11unroll_baseILi256ESt5arrayIPcLm2EE23TrivialOffsetCalculatorILi1EjESG_NS9_15LoadWithoutCastENS9_16StoreWithoutCastELi16ELi1EEEEEvT0_T1_.uses_vcc, 1
	.set .L_ZN2at6native25elementwise_kernel_helperILb0ENS0_13AUnaryFunctorIN3c1015Float8_e5m2fnuzES4_bNS0_12_GLOBAL__N_116CompareEqFunctorIS4_EEEENS0_6memory8policies11unroll_baseILi256ESt5arrayIPcLm2EE23TrivialOffsetCalculatorILi1EjESG_NS9_15LoadWithoutCastENS9_16StoreWithoutCastELi16ELi1EEEEEvT0_T1_.uses_flat_scratch, 0
	.set .L_ZN2at6native25elementwise_kernel_helperILb0ENS0_13AUnaryFunctorIN3c1015Float8_e5m2fnuzES4_bNS0_12_GLOBAL__N_116CompareEqFunctorIS4_EEEENS0_6memory8policies11unroll_baseILi256ESt5arrayIPcLm2EE23TrivialOffsetCalculatorILi1EjESG_NS9_15LoadWithoutCastENS9_16StoreWithoutCastELi16ELi1EEEEEvT0_T1_.has_dyn_sized_stack, 0
	.set .L_ZN2at6native25elementwise_kernel_helperILb0ENS0_13AUnaryFunctorIN3c1015Float8_e5m2fnuzES4_bNS0_12_GLOBAL__N_116CompareEqFunctorIS4_EEEENS0_6memory8policies11unroll_baseILi256ESt5arrayIPcLm2EE23TrivialOffsetCalculatorILi1EjESG_NS9_15LoadWithoutCastENS9_16StoreWithoutCastELi16ELi1EEEEEvT0_T1_.has_recursion, 0
	.set .L_ZN2at6native25elementwise_kernel_helperILb0ENS0_13AUnaryFunctorIN3c1015Float8_e5m2fnuzES4_bNS0_12_GLOBAL__N_116CompareEqFunctorIS4_EEEENS0_6memory8policies11unroll_baseILi256ESt5arrayIPcLm2EE23TrivialOffsetCalculatorILi1EjESG_NS9_15LoadWithoutCastENS9_16StoreWithoutCastELi16ELi1EEEEEvT0_T1_.has_indirect_call, 0
	.section	.AMDGPU.csdata,"",@progbits
; Function info:
; codeLenInByte = 17528
; TotalNumSgprs: 61
; NumVgprs: 32
; ScratchSize: 0
; MemoryBound: 0
	.section	.text._ZN2at6native29vectorized_elementwise_kernelILi16ENS0_13AUnaryFunctorIN3c1015Float8_e5m2fnuzES4_bNS0_12_GLOBAL__N_116CompareEqFunctorIS4_EEEESt5arrayIPcLm2EEEEviT0_T1_,"axG",@progbits,_ZN2at6native29vectorized_elementwise_kernelILi16ENS0_13AUnaryFunctorIN3c1015Float8_e5m2fnuzES4_bNS0_12_GLOBAL__N_116CompareEqFunctorIS4_EEEESt5arrayIPcLm2EEEEviT0_T1_,comdat
	.globl	_ZN2at6native29vectorized_elementwise_kernelILi16ENS0_13AUnaryFunctorIN3c1015Float8_e5m2fnuzES4_bNS0_12_GLOBAL__N_116CompareEqFunctorIS4_EEEESt5arrayIPcLm2EEEEviT0_T1_ ; -- Begin function _ZN2at6native29vectorized_elementwise_kernelILi16ENS0_13AUnaryFunctorIN3c1015Float8_e5m2fnuzES4_bNS0_12_GLOBAL__N_116CompareEqFunctorIS4_EEEESt5arrayIPcLm2EEEEviT0_T1_
	.p2align	8
	.type	_ZN2at6native29vectorized_elementwise_kernelILi16ENS0_13AUnaryFunctorIN3c1015Float8_e5m2fnuzES4_bNS0_12_GLOBAL__N_116CompareEqFunctorIS4_EEEESt5arrayIPcLm2EEEEviT0_T1_,@function
_ZN2at6native29vectorized_elementwise_kernelILi16ENS0_13AUnaryFunctorIN3c1015Float8_e5m2fnuzES4_bNS0_12_GLOBAL__N_116CompareEqFunctorIS4_EEEESt5arrayIPcLm2EEEEviT0_T1_: ; @_ZN2at6native29vectorized_elementwise_kernelILi16ENS0_13AUnaryFunctorIN3c1015Float8_e5m2fnuzES4_bNS0_12_GLOBAL__N_116CompareEqFunctorIS4_EEEESt5arrayIPcLm2EEEEviT0_T1_
; %bb.0:
	s_load_dwordx8 s[12:19], s[4:5], 0x0
	s_add_u32 s0, s0, s7
	s_addc_u32 s1, s1, 0
	s_waitcnt lgkmcnt(0)
	s_lshl_b32 s15, s6, 12
	s_mov_b64 s[4:5], -1
	s_sub_i32 s7, s12, s15
	s_cmpk_gt_i32 s7, 0xfff
	s_mov_b32 s32, 0
	s_cbranch_scc1 .LBB256_3
; %bb.1:
	s_and_b64 vcc, exec, s[4:5]
	s_cbranch_vccnz .LBB256_576
.LBB256_2:
	s_endpgm
.LBB256_3:
	s_ashr_i32 s12, s15, 31
	s_add_u32 s4, s18, s15
	s_addc_u32 s5, s19, s12
	v_lshlrev_b32_e32 v5, 4, v0
	global_load_dwordx4 v[1:4], v5, s[4:5]
	s_cmp_lg_u32 s13, 0
	s_cselect_b64 s[10:11], -1, 0
	s_and_b32 s4, s14, 3
	s_flbit_i32_b32 s8, s4
	s_min_u32 s8, s8, 32
	s_sub_i32 s9, s8, 29
	s_lshl_b32 s9, s14, s9
	s_bfe_u32 s5, s14, 0x50002
	s_sub_i32 s8, 30, s8
	s_and_b32 s9, s9, 3
	s_cmp_eq_u32 s5, 0
	s_cselect_b32 s5, s8, s5
	s_cselect_b32 s4, s9, s4
	s_lshl_b32 s8, s14, 24
	s_lshl_b32 s5, s5, 23
	s_and_b32 s8, s8, 0x80000000
	s_add_i32 s5, s5, 0x37800000
	s_lshl_b32 s4, s4, 21
	s_or_b32 s5, s8, s5
	s_or_b32 s33, s5, s4
	s_and_b64 vcc, exec, s[10:11]
	s_cbranch_vccz .LBB256_8
; %bb.4:
	s_and_b32 s20, s14, 0xff
	s_cmpk_lt_i32 s20, 0x80
	s_cbranch_scc1 .LBB256_9
; %bb.5:
	s_and_b32 s4, 0xffff, s20
	s_cmpk_eq_i32 s4, 0x80
	s_mov_b64 s[4:5], -1
	s_cbranch_scc0 .LBB256_7
; %bb.6:
	s_mov_b64 s[4:5], 0
.LBB256_7:
	s_mov_b32 s22, 0x7f800001
	s_branch .LBB256_11
.LBB256_8:
                                        ; implicit-def: $sgpr8_sgpr9
	s_cbranch_execnz .LBB256_18
	s_branch .LBB256_35
.LBB256_9:
	s_mov_b64 s[4:5], 0
	s_mov_b32 s22, 0x7f800001
	s_cbranch_execz .LBB256_11
; %bb.10:
	s_and_b32 s4, 0xffff, s20
	s_cmp_lg_u32 s4, 0
	s_mov_b32 s22, 0
	s_cselect_b64 s[4:5], -1, 0
.LBB256_11:
	s_andn2_b64 vcc, exec, s[4:5]
	s_cbranch_vccnz .LBB256_13
; %bb.12:
	s_mov_b32 s22, s33
.LBB256_13:
	s_movk_i32 s4, 0x7f
	s_waitcnt vmcnt(0)
	v_cmp_gt_i16_sdwa s[8:9], v1, s4 src0_sel:BYTE_0 src1_sel:DWORD
	s_mov_b64 s[4:5], 0
	s_and_saveexec_b64 s[20:21], s[8:9]
	s_xor_b64 s[8:9], exec, s[20:21]
	s_cbranch_execnz .LBB256_22
; %bb.14:
	s_or_saveexec_b64 s[8:9], s[8:9]
	v_mov_b32_e32 v6, 0x7f800001
	s_xor_b64 exec, exec, s[8:9]
	s_cbranch_execnz .LBB256_25
.LBB256_15:
	s_or_b64 exec, exec, s[8:9]
	s_and_saveexec_b64 s[8:9], s[4:5]
	s_cbranch_execz .LBB256_17
.LBB256_16:
	v_and_b32_e32 v8, 3, v1
	v_ffbh_u32_e32 v9, v8
	v_min_u32_e32 v9, 32, v9
	v_lshrrev_b16_e32 v7, 2, v1
	v_subrev_u32_e32 v10, 29, v9
	v_and_b32_e32 v7, 31, v7
	v_lshlrev_b32_e32 v10, v10, v1
	v_sub_u32_e32 v9, 30, v9
	v_and_b32_e32 v10, 3, v10
	v_cmp_eq_u32_e32 vcc, 0, v7
	v_lshlrev_b32_e32 v6, 24, v1
	v_cndmask_b32_e32 v7, v7, v9, vcc
	v_cndmask_b32_e32 v8, v8, v10, vcc
	v_mov_b32_e32 v9, 0x37800000
	v_lshlrev_b32_e32 v8, 21, v8
	v_and_b32_e32 v6, 0x80000000, v6
	v_lshl_add_u32 v7, v7, 23, v9
	v_or3_b32 v6, v6, v7, v8
.LBB256_17:
	s_or_b64 exec, exec, s[8:9]
	v_cmp_neq_f32_e64 s[8:9], s22, v6
	s_branch .LBB256_35
.LBB256_18:
	s_and_b32 s20, s14, 0xff
	s_cmpk_lt_i32 s20, 0x80
	s_cbranch_scc1 .LBB256_26
; %bb.19:
	s_and_b32 s4, 0xffff, s20
	s_cmpk_eq_i32 s4, 0x80
	s_mov_b64 s[4:5], -1
	s_cbranch_scc0 .LBB256_21
; %bb.20:
	s_mov_b64 s[4:5], 0
.LBB256_21:
	s_mov_b32 s22, 0x7f800001
	s_branch .LBB256_28
.LBB256_22:
	s_movk_i32 s4, 0x80
	v_cmp_eq_u16_sdwa s[24:25], v1, s4 src0_sel:BYTE_0 src1_sel:DWORD
	s_mov_b64 s[4:5], -1
	s_and_saveexec_b64 s[20:21], s[24:25]
; %bb.23:
	s_xor_b64 s[4:5], exec, -1
; %bb.24:
	s_or_b64 exec, exec, s[20:21]
	s_and_b64 s[4:5], s[4:5], exec
	s_or_saveexec_b64 s[8:9], s[8:9]
	v_mov_b32_e32 v6, 0x7f800001
	s_xor_b64 exec, exec, s[8:9]
	s_cbranch_execz .LBB256_15
.LBB256_25:
	v_mov_b32_e32 v6, 0
	v_cmp_ne_u16_sdwa s[20:21], v1, v6 src0_sel:BYTE_0 src1_sel:DWORD
	s_andn2_b64 s[4:5], s[4:5], exec
	s_and_b64 s[20:21], s[20:21], exec
	s_or_b64 s[4:5], s[4:5], s[20:21]
	s_or_b64 exec, exec, s[8:9]
	s_and_saveexec_b64 s[8:9], s[4:5]
	s_cbranch_execnz .LBB256_16
	s_branch .LBB256_17
.LBB256_26:
	s_mov_b64 s[4:5], 0
	s_mov_b32 s22, 0x7f800001
	s_cbranch_execz .LBB256_28
; %bb.27:
	s_and_b32 s4, 0xffff, s20
	s_cmp_lg_u32 s4, 0
	s_mov_b32 s22, 0
	s_cselect_b64 s[4:5], -1, 0
.LBB256_28:
	s_andn2_b64 vcc, exec, s[4:5]
	s_cbranch_vccnz .LBB256_30
; %bb.29:
	s_mov_b32 s22, s33
.LBB256_30:
	s_movk_i32 s4, 0x7f
	s_waitcnt vmcnt(0)
	v_cmp_gt_i16_sdwa s[8:9], v1, s4 src0_sel:BYTE_0 src1_sel:DWORD
	s_mov_b64 s[4:5], 0
	s_and_saveexec_b64 s[20:21], s[8:9]
	s_xor_b64 s[8:9], exec, s[20:21]
	s_cbranch_execnz .LBB256_310
; %bb.31:
	s_or_saveexec_b64 s[8:9], s[8:9]
	v_mov_b32_e32 v6, 0x7f800001
	s_xor_b64 exec, exec, s[8:9]
	s_cbranch_execnz .LBB256_313
.LBB256_32:
	s_or_b64 exec, exec, s[8:9]
	s_and_saveexec_b64 s[8:9], s[4:5]
	s_cbranch_execz .LBB256_34
.LBB256_33:
	v_and_b32_e32 v8, 3, v1
	v_ffbh_u32_e32 v9, v8
	v_min_u32_e32 v9, 32, v9
	v_lshrrev_b16_e32 v7, 2, v1
	v_subrev_u32_e32 v10, 29, v9
	v_and_b32_e32 v7, 31, v7
	v_lshlrev_b32_e32 v10, v10, v1
	v_sub_u32_e32 v9, 30, v9
	v_and_b32_e32 v10, 3, v10
	v_cmp_eq_u32_e32 vcc, 0, v7
	v_lshlrev_b32_e32 v6, 24, v1
	v_cndmask_b32_e32 v7, v7, v9, vcc
	v_cndmask_b32_e32 v8, v8, v10, vcc
	v_mov_b32_e32 v9, 0x37800000
	v_lshlrev_b32_e32 v8, 21, v8
	v_and_b32_e32 v6, 0x80000000, v6
	v_lshl_add_u32 v7, v7, 23, v9
	v_or3_b32 v6, v6, v7, v8
.LBB256_34:
	s_or_b64 exec, exec, s[8:9]
	v_cmp_eq_f32_e64 s[8:9], s22, v6
.LBB256_35:
	v_cndmask_b32_e64 v10, 0, 1, s[10:11]
	s_waitcnt vmcnt(0)
	v_lshrrev_b32_e32 v6, 8, v4
	v_lshrrev_b32_e32 v7, 8, v3
	;; [unrolled: 1-line block ×4, first 2 shown]
	v_cmp_ne_u32_e64 s[4:5], 1, v10
	s_andn2_b64 vcc, exec, s[10:11]
	s_cbranch_vccnz .LBB256_40
; %bb.36:
	s_and_b32 s22, s14, 0xff
	s_cmpk_lt_i32 s22, 0x80
	s_cbranch_scc1 .LBB256_46
; %bb.37:
	s_and_b32 s10, 0xffff, s22
	s_cmpk_eq_i32 s10, 0x80
	s_mov_b64 s[10:11], -1
	s_cbranch_scc0 .LBB256_39
; %bb.38:
	s_mov_b64 s[10:11], 0
.LBB256_39:
	s_mov_b32 s24, 0x7f800001
	s_branch .LBB256_48
.LBB256_40:
                                        ; implicit-def: $sgpr10_sgpr11
	s_cbranch_execnz .LBB256_55
.LBB256_41:
	s_and_b64 vcc, exec, s[4:5]
	s_cbranch_vccnz .LBB256_323
.LBB256_42:
	s_and_b32 s24, s14, 0xff
	s_cmpk_lt_i32 s24, 0x80
	s_cbranch_scc1 .LBB256_59
; %bb.43:
	s_and_b32 s20, 0xffff, s24
	s_cmpk_eq_i32 s20, 0x80
	s_mov_b64 s[20:21], -1
	s_cbranch_scc0 .LBB256_45
; %bb.44:
	s_mov_b64 s[20:21], 0
.LBB256_45:
	s_mov_b32 s26, 0x7f800001
	s_branch .LBB256_61
.LBB256_46:
	s_mov_b64 s[10:11], 0
	s_mov_b32 s24, 0x7f800001
	s_cbranch_execz .LBB256_48
; %bb.47:
	s_and_b32 s10, 0xffff, s22
	s_cmp_lg_u32 s10, 0
	s_mov_b32 s24, 0
	s_cselect_b64 s[10:11], -1, 0
.LBB256_48:
	s_andn2_b64 vcc, exec, s[10:11]
	s_cbranch_vccnz .LBB256_50
; %bb.49:
	s_mov_b32 s24, s33
.LBB256_50:
	s_movk_i32 s10, 0x7f
	v_cmp_gt_i16_sdwa s[20:21], v9, s10 src0_sel:BYTE_0 src1_sel:DWORD
	s_mov_b64 s[10:11], 0
	s_and_saveexec_b64 s[22:23], s[20:21]
	s_xor_b64 s[20:21], exec, s[22:23]
	s_cbranch_execnz .LBB256_73
; %bb.51:
	s_or_saveexec_b64 s[20:21], s[20:21]
	v_mov_b32_e32 v10, 0x7f800001
	s_xor_b64 exec, exec, s[20:21]
	s_cbranch_execnz .LBB256_76
.LBB256_52:
	s_or_b64 exec, exec, s[20:21]
	s_and_saveexec_b64 s[20:21], s[10:11]
	s_cbranch_execz .LBB256_54
.LBB256_53:
	v_and_b32_e32 v12, 3, v9
	v_ffbh_u32_e32 v13, v12
	v_min_u32_e32 v13, 32, v13
	v_lshrrev_b16_e32 v11, 2, v9
	v_subrev_u32_e32 v14, 29, v13
	v_and_b32_e32 v11, 31, v11
	v_lshlrev_b32_e32 v14, v14, v9
	v_sub_u32_e32 v13, 30, v13
	v_and_b32_e32 v14, 3, v14
	v_cmp_eq_u32_e32 vcc, 0, v11
	v_lshlrev_b32_e32 v10, 24, v9
	v_cndmask_b32_e32 v11, v11, v13, vcc
	v_cndmask_b32_e32 v12, v12, v14, vcc
	v_mov_b32_e32 v13, 0x37800000
	v_lshlrev_b32_e32 v12, 21, v12
	v_and_b32_e32 v10, 0x80000000, v10
	v_lshl_add_u32 v11, v11, 23, v13
	v_or3_b32 v10, v10, v11, v12
.LBB256_54:
	s_or_b64 exec, exec, s[20:21]
	v_cmp_neq_f32_e64 s[10:11], s24, v10
	s_branch .LBB256_41
.LBB256_55:
	s_and_b32 s22, s14, 0xff
	s_cmpk_lt_i32 s22, 0x80
	s_cbranch_scc1 .LBB256_314
; %bb.56:
	s_and_b32 s10, 0xffff, s22
	s_cmpk_eq_i32 s10, 0x80
	s_mov_b64 s[10:11], -1
	s_cbranch_scc0 .LBB256_58
; %bb.57:
	s_mov_b64 s[10:11], 0
.LBB256_58:
	s_mov_b32 s24, 0x7f800001
	s_branch .LBB256_316
.LBB256_59:
	s_mov_b64 s[20:21], 0
	s_mov_b32 s26, 0x7f800001
	s_cbranch_execz .LBB256_61
; %bb.60:
	s_and_b32 s20, 0xffff, s24
	s_cmp_lg_u32 s20, 0
	s_mov_b32 s26, 0
	s_cselect_b64 s[20:21], -1, 0
.LBB256_61:
	s_andn2_b64 vcc, exec, s[20:21]
	s_cbranch_vccnz .LBB256_63
; %bb.62:
	s_mov_b32 s26, s33
.LBB256_63:
	s_movk_i32 s20, 0xff
	v_and_b32_sdwa v9, v1, s20 dst_sel:DWORD dst_unused:UNUSED_PAD src0_sel:WORD_1 src1_sel:DWORD
	s_movk_i32 s20, 0x7f
	v_cmp_lt_i16_e32 vcc, s20, v9
	s_mov_b64 s[20:21], 0
	s_and_saveexec_b64 s[22:23], vcc
	s_xor_b64 s[22:23], exec, s[22:23]
	s_cbranch_execnz .LBB256_77
; %bb.64:
	s_or_saveexec_b64 s[22:23], s[22:23]
	v_mov_b32_e32 v10, 0x7f800001
	s_xor_b64 exec, exec, s[22:23]
	s_cbranch_execnz .LBB256_80
.LBB256_65:
	s_or_b64 exec, exec, s[22:23]
	s_and_saveexec_b64 s[22:23], s[20:21]
	s_cbranch_execz .LBB256_67
.LBB256_66:
	v_mov_b32_e32 v11, 3
	v_and_b32_sdwa v11, v1, v11 dst_sel:DWORD dst_unused:UNUSED_PAD src0_sel:WORD_1 src1_sel:DWORD
	v_ffbh_u32_e32 v12, v11
	v_mov_b32_e32 v10, 2
	v_min_u32_e32 v12, 32, v12
	v_lshrrev_b16_sdwa v10, v10, v1 dst_sel:DWORD dst_unused:UNUSED_PAD src0_sel:DWORD src1_sel:WORD_1
	v_subrev_u32_e32 v13, 29, v12
	v_and_b32_e32 v10, 31, v10
	v_lshlrev_b32_sdwa v13, v13, v1 dst_sel:DWORD dst_unused:UNUSED_PAD src0_sel:DWORD src1_sel:WORD_1
	v_mov_b32_e32 v9, 24
	v_sub_u32_e32 v12, 30, v12
	v_and_b32_e32 v13, 3, v13
	v_cmp_eq_u32_e32 vcc, 0, v10
	v_lshlrev_b32_sdwa v9, v9, v1 dst_sel:DWORD dst_unused:UNUSED_PAD src0_sel:DWORD src1_sel:WORD_1
	v_cndmask_b32_e32 v10, v10, v12, vcc
	v_cndmask_b32_e32 v11, v11, v13, vcc
	v_mov_b32_e32 v12, 0x37800000
	v_lshlrev_b32_e32 v11, 21, v11
	v_and_b32_e32 v9, 0x80000000, v9
	v_lshl_add_u32 v10, v10, 23, v12
	v_or3_b32 v10, v9, v10, v11
.LBB256_67:
	s_or_b64 exec, exec, s[22:23]
	v_cmp_neq_f32_e64 s[20:21], s26, v10
.LBB256_68:
	s_and_b64 vcc, exec, s[4:5]
	s_cbranch_vccnz .LBB256_341
.LBB256_69:
	s_and_b32 s26, s14, 0xff
	s_cmpk_lt_i32 s26, 0x80
	s_cbranch_scc1 .LBB256_81
; %bb.70:
	s_and_b32 s22, 0xffff, s26
	s_cmpk_eq_i32 s22, 0x80
	s_mov_b64 s[22:23], -1
	s_cbranch_scc0 .LBB256_72
; %bb.71:
	s_mov_b64 s[22:23], 0
.LBB256_72:
	s_mov_b32 s28, 0x7f800001
	s_branch .LBB256_83
.LBB256_73:
	s_movk_i32 s10, 0x80
	v_cmp_eq_u16_sdwa s[26:27], v9, s10 src0_sel:BYTE_0 src1_sel:DWORD
	s_mov_b64 s[10:11], -1
	s_and_saveexec_b64 s[22:23], s[26:27]
; %bb.74:
	s_xor_b64 s[10:11], exec, -1
; %bb.75:
	s_or_b64 exec, exec, s[22:23]
	s_and_b64 s[10:11], s[10:11], exec
	s_or_saveexec_b64 s[20:21], s[20:21]
	v_mov_b32_e32 v10, 0x7f800001
	s_xor_b64 exec, exec, s[20:21]
	s_cbranch_execz .LBB256_52
.LBB256_76:
	v_mov_b32_e32 v10, 0
	v_cmp_ne_u16_sdwa s[22:23], v9, v10 src0_sel:BYTE_0 src1_sel:DWORD
	s_andn2_b64 s[10:11], s[10:11], exec
	s_and_b64 s[22:23], s[22:23], exec
	s_or_b64 s[10:11], s[10:11], s[22:23]
	s_or_b64 exec, exec, s[20:21]
	s_and_saveexec_b64 s[20:21], s[10:11]
	s_cbranch_execnz .LBB256_53
	s_branch .LBB256_54
.LBB256_77:
	s_movk_i32 s20, 0x80
	v_cmp_eq_u16_e32 vcc, s20, v9
	s_mov_b64 s[20:21], -1
	s_and_saveexec_b64 s[24:25], vcc
; %bb.78:
	s_xor_b64 s[20:21], exec, -1
; %bb.79:
	s_or_b64 exec, exec, s[24:25]
	s_and_b64 s[20:21], s[20:21], exec
                                        ; implicit-def: $vgpr9
	s_or_saveexec_b64 s[22:23], s[22:23]
	v_mov_b32_e32 v10, 0x7f800001
	s_xor_b64 exec, exec, s[22:23]
	s_cbranch_execz .LBB256_65
.LBB256_80:
	v_cmp_ne_u16_e32 vcc, 0, v9
	s_andn2_b64 s[20:21], s[20:21], exec
	s_and_b64 s[24:25], vcc, exec
	v_mov_b32_e32 v10, 0
	s_or_b64 s[20:21], s[20:21], s[24:25]
	s_or_b64 exec, exec, s[22:23]
	s_and_saveexec_b64 s[22:23], s[20:21]
	s_cbranch_execnz .LBB256_66
	s_branch .LBB256_67
.LBB256_81:
	s_mov_b64 s[22:23], 0
	s_mov_b32 s28, 0x7f800001
	s_cbranch_execz .LBB256_83
; %bb.82:
	s_and_b32 s22, 0xffff, s26
	s_cmp_lg_u32 s22, 0
	s_mov_b32 s28, 0
	s_cselect_b64 s[22:23], -1, 0
.LBB256_83:
	s_andn2_b64 vcc, exec, s[22:23]
	s_cbranch_vccnz .LBB256_85
; %bb.84:
	s_mov_b32 s28, s33
.LBB256_85:
	s_movk_i32 s22, 0x7f
	v_cmp_gt_i16_sdwa s[24:25], v1, s22 src0_sel:BYTE_3 src1_sel:DWORD
	s_mov_b64 s[22:23], 0
	s_and_saveexec_b64 s[26:27], s[24:25]
	s_xor_b64 s[24:25], exec, s[26:27]
	s_cbranch_execnz .LBB256_95
; %bb.86:
	s_or_saveexec_b64 s[24:25], s[24:25]
	v_mov_b32_e32 v9, 0x7f800001
	s_xor_b64 exec, exec, s[24:25]
	s_cbranch_execnz .LBB256_98
.LBB256_87:
	s_or_b64 exec, exec, s[24:25]
	s_and_saveexec_b64 s[24:25], s[22:23]
	s_cbranch_execz .LBB256_89
.LBB256_88:
	s_mov_b32 s22, 0xffff
	v_and_b32_sdwa v10, s22, v1 dst_sel:DWORD dst_unused:UNUSED_PAD src0_sel:DWORD src1_sel:BYTE_3
	v_and_b32_e32 v11, 3, v10
	v_ffbh_u32_e32 v13, v11
	v_min_u32_e32 v13, 32, v13
	v_subrev_u32_e32 v14, 29, v13
	v_bfe_u32 v12, v10, 2, 5
	v_lshlrev_b32_e32 v10, v14, v10
	v_mov_b32_e32 v9, 24
	v_sub_u32_e32 v13, 30, v13
	v_and_b32_e32 v10, 3, v10
	v_cmp_eq_u32_e32 vcc, 0, v12
	v_lshlrev_b32_sdwa v9, v9, v1 dst_sel:DWORD dst_unused:UNUSED_PAD src0_sel:DWORD src1_sel:BYTE_3
	v_cndmask_b32_e32 v12, v12, v13, vcc
	v_cndmask_b32_e32 v10, v11, v10, vcc
	v_mov_b32_e32 v11, 0x37800000
	v_lshlrev_b32_e32 v10, 21, v10
	v_and_b32_e32 v9, 0x80000000, v9
	v_lshl_add_u32 v11, v12, 23, v11
	v_or3_b32 v9, v9, v11, v10
.LBB256_89:
	s_or_b64 exec, exec, s[24:25]
	v_cmp_neq_f32_e64 s[22:23], s28, v9
.LBB256_90:
	s_and_b64 vcc, exec, s[4:5]
	s_cbranch_vccnz .LBB256_359
.LBB256_91:
	s_and_b32 s28, s14, 0xff
	s_cmpk_lt_i32 s28, 0x80
	s_cbranch_scc1 .LBB256_99
; %bb.92:
	s_and_b32 s24, 0xffff, s28
	s_cmpk_eq_i32 s24, 0x80
	s_mov_b64 s[24:25], -1
	s_cbranch_scc0 .LBB256_94
; %bb.93:
	s_mov_b64 s[24:25], 0
.LBB256_94:
	s_mov_b32 s30, 0x7f800001
	s_branch .LBB256_101
.LBB256_95:
	s_movk_i32 s22, 0x80
	v_cmp_eq_u16_sdwa s[30:31], v1, s22 src0_sel:BYTE_3 src1_sel:DWORD
	s_mov_b64 s[22:23], -1
	s_and_saveexec_b64 s[26:27], s[30:31]
; %bb.96:
	s_xor_b64 s[22:23], exec, -1
; %bb.97:
	s_or_b64 exec, exec, s[26:27]
	s_and_b64 s[22:23], s[22:23], exec
	s_or_saveexec_b64 s[24:25], s[24:25]
	v_mov_b32_e32 v9, 0x7f800001
	s_xor_b64 exec, exec, s[24:25]
	s_cbranch_execz .LBB256_87
.LBB256_98:
	v_mov_b32_e32 v9, 0
	v_cmp_ne_u16_sdwa s[26:27], v1, v9 src0_sel:BYTE_3 src1_sel:DWORD
	s_andn2_b64 s[22:23], s[22:23], exec
	s_and_b64 s[26:27], s[26:27], exec
	s_or_b64 s[22:23], s[22:23], s[26:27]
	s_or_b64 exec, exec, s[24:25]
	s_and_saveexec_b64 s[24:25], s[22:23]
	s_cbranch_execnz .LBB256_88
	s_branch .LBB256_89
.LBB256_99:
	s_mov_b64 s[24:25], 0
	s_mov_b32 s30, 0x7f800001
	s_cbranch_execz .LBB256_101
; %bb.100:
	s_and_b32 s24, 0xffff, s28
	s_cmp_lg_u32 s24, 0
	s_mov_b32 s30, 0
	s_cselect_b64 s[24:25], -1, 0
.LBB256_101:
	s_andn2_b64 vcc, exec, s[24:25]
	s_cbranch_vccnz .LBB256_103
; %bb.102:
	s_mov_b32 s30, s33
.LBB256_103:
	s_movk_i32 s24, 0x7f
	v_cmp_gt_i16_sdwa s[26:27], v2, s24 src0_sel:BYTE_0 src1_sel:DWORD
	s_mov_b64 s[24:25], 0
	s_and_saveexec_b64 s[28:29], s[26:27]
	s_xor_b64 s[26:27], exec, s[28:29]
	s_cbranch_execnz .LBB256_113
; %bb.104:
	s_or_saveexec_b64 s[26:27], s[26:27]
	v_mov_b32_e32 v1, 0x7f800001
	s_xor_b64 exec, exec, s[26:27]
	s_cbranch_execnz .LBB256_116
.LBB256_105:
	s_or_b64 exec, exec, s[26:27]
	s_and_saveexec_b64 s[26:27], s[24:25]
	s_cbranch_execz .LBB256_107
.LBB256_106:
	v_and_b32_e32 v10, 3, v2
	v_ffbh_u32_e32 v11, v10
	v_min_u32_e32 v11, 32, v11
	v_lshrrev_b16_e32 v9, 2, v2
	v_subrev_u32_e32 v12, 29, v11
	v_and_b32_e32 v9, 31, v9
	v_lshlrev_b32_e32 v12, v12, v2
	v_sub_u32_e32 v11, 30, v11
	v_and_b32_e32 v12, 3, v12
	v_cmp_eq_u32_e32 vcc, 0, v9
	v_lshlrev_b32_e32 v1, 24, v2
	v_cndmask_b32_e32 v9, v9, v11, vcc
	v_cndmask_b32_e32 v10, v10, v12, vcc
	v_mov_b32_e32 v11, 0x37800000
	v_lshlrev_b32_e32 v10, 21, v10
	v_and_b32_e32 v1, 0x80000000, v1
	v_lshl_add_u32 v9, v9, 23, v11
	v_or3_b32 v1, v1, v9, v10
.LBB256_107:
	s_or_b64 exec, exec, s[26:27]
	v_cmp_neq_f32_e64 s[24:25], s30, v1
.LBB256_108:
	s_and_b64 vcc, exec, s[4:5]
	s_cbranch_vccnz .LBB256_377
.LBB256_109:
	s_and_b32 s30, s14, 0xff
	s_cmpk_lt_i32 s30, 0x80
	s_cbranch_scc1 .LBB256_117
; %bb.110:
	s_and_b32 s26, 0xffff, s30
	s_cmpk_eq_i32 s26, 0x80
	s_mov_b64 s[26:27], -1
	s_cbranch_scc0 .LBB256_112
; %bb.111:
	s_mov_b64 s[26:27], 0
.LBB256_112:
	s_mov_b32 s34, 0x7f800001
	s_branch .LBB256_119
.LBB256_113:
	s_movk_i32 s24, 0x80
	v_cmp_eq_u16_sdwa s[34:35], v2, s24 src0_sel:BYTE_0 src1_sel:DWORD
	s_mov_b64 s[24:25], -1
	s_and_saveexec_b64 s[28:29], s[34:35]
; %bb.114:
	s_xor_b64 s[24:25], exec, -1
; %bb.115:
	s_or_b64 exec, exec, s[28:29]
	s_and_b64 s[24:25], s[24:25], exec
	s_or_saveexec_b64 s[26:27], s[26:27]
	v_mov_b32_e32 v1, 0x7f800001
	s_xor_b64 exec, exec, s[26:27]
	s_cbranch_execz .LBB256_105
.LBB256_116:
	v_mov_b32_e32 v1, 0
	v_cmp_ne_u16_sdwa s[28:29], v2, v1 src0_sel:BYTE_0 src1_sel:DWORD
	s_andn2_b64 s[24:25], s[24:25], exec
	s_and_b64 s[28:29], s[28:29], exec
	s_or_b64 s[24:25], s[24:25], s[28:29]
	s_or_b64 exec, exec, s[26:27]
	s_and_saveexec_b64 s[26:27], s[24:25]
	s_cbranch_execnz .LBB256_106
	s_branch .LBB256_107
.LBB256_117:
	s_mov_b64 s[26:27], 0
	s_mov_b32 s34, 0x7f800001
	s_cbranch_execz .LBB256_119
; %bb.118:
	s_and_b32 s26, 0xffff, s30
	s_cmp_lg_u32 s26, 0
	s_mov_b32 s34, 0
	s_cselect_b64 s[26:27], -1, 0
.LBB256_119:
	s_andn2_b64 vcc, exec, s[26:27]
	s_cbranch_vccnz .LBB256_121
; %bb.120:
	s_mov_b32 s34, s33
.LBB256_121:
	s_movk_i32 s26, 0x7f
	v_cmp_gt_i16_sdwa s[28:29], v8, s26 src0_sel:BYTE_0 src1_sel:DWORD
	s_mov_b64 s[26:27], 0
	s_and_saveexec_b64 s[30:31], s[28:29]
	s_xor_b64 s[28:29], exec, s[30:31]
	s_cbranch_execnz .LBB256_131
; %bb.122:
	s_or_saveexec_b64 s[28:29], s[28:29]
	v_mov_b32_e32 v1, 0x7f800001
	s_xor_b64 exec, exec, s[28:29]
	s_cbranch_execnz .LBB256_134
.LBB256_123:
	s_or_b64 exec, exec, s[28:29]
	s_and_saveexec_b64 s[28:29], s[26:27]
	s_cbranch_execz .LBB256_125
.LBB256_124:
	v_and_b32_e32 v10, 3, v8
	v_ffbh_u32_e32 v11, v10
	v_min_u32_e32 v11, 32, v11
	v_lshrrev_b16_e32 v9, 2, v8
	v_subrev_u32_e32 v12, 29, v11
	v_and_b32_e32 v9, 31, v9
	v_lshlrev_b32_e32 v12, v12, v8
	v_sub_u32_e32 v11, 30, v11
	v_and_b32_e32 v12, 3, v12
	v_cmp_eq_u32_e32 vcc, 0, v9
	v_lshlrev_b32_e32 v1, 24, v8
	v_cndmask_b32_e32 v9, v9, v11, vcc
	v_cndmask_b32_e32 v10, v10, v12, vcc
	v_mov_b32_e32 v11, 0x37800000
	v_lshlrev_b32_e32 v10, 21, v10
	v_and_b32_e32 v1, 0x80000000, v1
	v_lshl_add_u32 v9, v9, 23, v11
	v_or3_b32 v1, v1, v9, v10
.LBB256_125:
	s_or_b64 exec, exec, s[28:29]
	v_cmp_neq_f32_e64 s[26:27], s34, v1
.LBB256_126:
	s_and_b64 vcc, exec, s[4:5]
	s_cbranch_vccnz .LBB256_395
.LBB256_127:
	s_and_b32 s34, s14, 0xff
	s_cmpk_lt_i32 s34, 0x80
	s_cbranch_scc1 .LBB256_135
; %bb.128:
	s_and_b32 s28, 0xffff, s34
	s_cmpk_eq_i32 s28, 0x80
	s_mov_b64 s[28:29], -1
	s_cbranch_scc0 .LBB256_130
; %bb.129:
	s_mov_b64 s[28:29], 0
.LBB256_130:
	s_mov_b32 s36, 0x7f800001
	s_branch .LBB256_137
.LBB256_131:
	s_movk_i32 s26, 0x80
	v_cmp_eq_u16_sdwa s[36:37], v8, s26 src0_sel:BYTE_0 src1_sel:DWORD
	s_mov_b64 s[26:27], -1
	s_and_saveexec_b64 s[30:31], s[36:37]
; %bb.132:
	s_xor_b64 s[26:27], exec, -1
; %bb.133:
	s_or_b64 exec, exec, s[30:31]
	s_and_b64 s[26:27], s[26:27], exec
	s_or_saveexec_b64 s[28:29], s[28:29]
	v_mov_b32_e32 v1, 0x7f800001
	s_xor_b64 exec, exec, s[28:29]
	s_cbranch_execz .LBB256_123
.LBB256_134:
	v_mov_b32_e32 v1, 0
	v_cmp_ne_u16_sdwa s[30:31], v8, v1 src0_sel:BYTE_0 src1_sel:DWORD
	s_andn2_b64 s[26:27], s[26:27], exec
	s_and_b64 s[30:31], s[30:31], exec
	s_or_b64 s[26:27], s[26:27], s[30:31]
	s_or_b64 exec, exec, s[28:29]
	s_and_saveexec_b64 s[28:29], s[26:27]
	s_cbranch_execnz .LBB256_124
	s_branch .LBB256_125
.LBB256_135:
	s_mov_b64 s[28:29], 0
	s_mov_b32 s36, 0x7f800001
	s_cbranch_execz .LBB256_137
; %bb.136:
	s_and_b32 s28, 0xffff, s34
	s_cmp_lg_u32 s28, 0
	s_mov_b32 s36, 0
	s_cselect_b64 s[28:29], -1, 0
.LBB256_137:
	s_andn2_b64 vcc, exec, s[28:29]
	s_cbranch_vccnz .LBB256_139
; %bb.138:
	s_mov_b32 s36, s33
.LBB256_139:
	s_movk_i32 s28, 0xff
	v_and_b32_sdwa v1, v2, s28 dst_sel:DWORD dst_unused:UNUSED_PAD src0_sel:WORD_1 src1_sel:DWORD
	s_movk_i32 s28, 0x7f
	v_cmp_lt_i16_e32 vcc, s28, v1
	s_mov_b64 s[28:29], 0
	s_and_saveexec_b64 s[30:31], vcc
	s_xor_b64 s[30:31], exec, s[30:31]
	s_cbranch_execnz .LBB256_149
; %bb.140:
	s_or_saveexec_b64 s[30:31], s[30:31]
	v_mov_b32_e32 v8, 0x7f800001
	s_xor_b64 exec, exec, s[30:31]
	s_cbranch_execnz .LBB256_152
.LBB256_141:
	s_or_b64 exec, exec, s[30:31]
	s_and_saveexec_b64 s[30:31], s[28:29]
	s_cbranch_execz .LBB256_143
.LBB256_142:
	v_mov_b32_e32 v9, 3
	v_and_b32_sdwa v9, v2, v9 dst_sel:DWORD dst_unused:UNUSED_PAD src0_sel:WORD_1 src1_sel:DWORD
	v_ffbh_u32_e32 v10, v9
	v_mov_b32_e32 v8, 2
	v_min_u32_e32 v10, 32, v10
	v_lshrrev_b16_sdwa v8, v8, v2 dst_sel:DWORD dst_unused:UNUSED_PAD src0_sel:DWORD src1_sel:WORD_1
	v_subrev_u32_e32 v11, 29, v10
	v_and_b32_e32 v8, 31, v8
	v_lshlrev_b32_sdwa v11, v11, v2 dst_sel:DWORD dst_unused:UNUSED_PAD src0_sel:DWORD src1_sel:WORD_1
	v_mov_b32_e32 v1, 24
	v_sub_u32_e32 v10, 30, v10
	v_and_b32_e32 v11, 3, v11
	v_cmp_eq_u32_e32 vcc, 0, v8
	v_lshlrev_b32_sdwa v1, v1, v2 dst_sel:DWORD dst_unused:UNUSED_PAD src0_sel:DWORD src1_sel:WORD_1
	v_cndmask_b32_e32 v8, v8, v10, vcc
	v_cndmask_b32_e32 v9, v9, v11, vcc
	v_mov_b32_e32 v10, 0x37800000
	v_lshlrev_b32_e32 v9, 21, v9
	v_and_b32_e32 v1, 0x80000000, v1
	v_lshl_add_u32 v8, v8, 23, v10
	v_or3_b32 v8, v1, v8, v9
.LBB256_143:
	s_or_b64 exec, exec, s[30:31]
	v_cmp_neq_f32_e64 s[28:29], s36, v8
.LBB256_144:
	s_and_b64 vcc, exec, s[4:5]
	s_cbranch_vccnz .LBB256_413
.LBB256_145:
	s_and_b32 s36, s14, 0xff
	s_cmpk_lt_i32 s36, 0x80
	s_cbranch_scc1 .LBB256_153
; %bb.146:
	s_and_b32 s30, 0xffff, s36
	s_cmpk_eq_i32 s30, 0x80
	s_mov_b64 s[30:31], -1
	s_cbranch_scc0 .LBB256_148
; %bb.147:
	s_mov_b64 s[30:31], 0
.LBB256_148:
	s_mov_b32 s38, 0x7f800001
	s_branch .LBB256_155
.LBB256_149:
	s_movk_i32 s28, 0x80
	v_cmp_eq_u16_e32 vcc, s28, v1
	s_mov_b64 s[28:29], -1
	s_and_saveexec_b64 s[34:35], vcc
; %bb.150:
	s_xor_b64 s[28:29], exec, -1
; %bb.151:
	s_or_b64 exec, exec, s[34:35]
	s_and_b64 s[28:29], s[28:29], exec
                                        ; implicit-def: $vgpr1
	s_or_saveexec_b64 s[30:31], s[30:31]
	v_mov_b32_e32 v8, 0x7f800001
	s_xor_b64 exec, exec, s[30:31]
	s_cbranch_execz .LBB256_141
.LBB256_152:
	v_cmp_ne_u16_e32 vcc, 0, v1
	s_andn2_b64 s[28:29], s[28:29], exec
	s_and_b64 s[34:35], vcc, exec
	v_mov_b32_e32 v8, 0
	s_or_b64 s[28:29], s[28:29], s[34:35]
	s_or_b64 exec, exec, s[30:31]
	s_and_saveexec_b64 s[30:31], s[28:29]
	s_cbranch_execnz .LBB256_142
	s_branch .LBB256_143
.LBB256_153:
	s_mov_b64 s[30:31], 0
	s_mov_b32 s38, 0x7f800001
	s_cbranch_execz .LBB256_155
; %bb.154:
	s_and_b32 s30, 0xffff, s36
	s_cmp_lg_u32 s30, 0
	s_mov_b32 s38, 0
	s_cselect_b64 s[30:31], -1, 0
.LBB256_155:
	s_andn2_b64 vcc, exec, s[30:31]
	s_cbranch_vccnz .LBB256_157
; %bb.156:
	s_mov_b32 s38, s33
.LBB256_157:
	s_movk_i32 s30, 0x7f
	v_cmp_gt_i16_sdwa s[34:35], v2, s30 src0_sel:BYTE_3 src1_sel:DWORD
	s_mov_b64 s[30:31], 0
	s_and_saveexec_b64 s[36:37], s[34:35]
	s_xor_b64 s[34:35], exec, s[36:37]
	s_cbranch_execnz .LBB256_167
; %bb.158:
	s_or_saveexec_b64 s[34:35], s[34:35]
	v_mov_b32_e32 v1, 0x7f800001
	s_xor_b64 exec, exec, s[34:35]
	s_cbranch_execnz .LBB256_170
.LBB256_159:
	s_or_b64 exec, exec, s[34:35]
	s_and_saveexec_b64 s[34:35], s[30:31]
	s_cbranch_execz .LBB256_161
.LBB256_160:
	s_mov_b32 s30, 0xffff
	v_and_b32_sdwa v8, s30, v2 dst_sel:DWORD dst_unused:UNUSED_PAD src0_sel:DWORD src1_sel:BYTE_3
	v_and_b32_e32 v9, 3, v8
	v_ffbh_u32_e32 v11, v9
	v_min_u32_e32 v11, 32, v11
	v_subrev_u32_e32 v12, 29, v11
	v_bfe_u32 v10, v8, 2, 5
	v_lshlrev_b32_e32 v8, v12, v8
	v_mov_b32_e32 v1, 24
	v_sub_u32_e32 v11, 30, v11
	v_and_b32_e32 v8, 3, v8
	v_cmp_eq_u32_e32 vcc, 0, v10
	v_lshlrev_b32_sdwa v1, v1, v2 dst_sel:DWORD dst_unused:UNUSED_PAD src0_sel:DWORD src1_sel:BYTE_3
	v_cndmask_b32_e32 v10, v10, v11, vcc
	v_cndmask_b32_e32 v8, v9, v8, vcc
	v_mov_b32_e32 v9, 0x37800000
	v_lshlrev_b32_e32 v8, 21, v8
	v_and_b32_e32 v1, 0x80000000, v1
	v_lshl_add_u32 v9, v10, 23, v9
	v_or3_b32 v1, v1, v9, v8
.LBB256_161:
	s_or_b64 exec, exec, s[34:35]
	v_cmp_neq_f32_e64 s[30:31], s38, v1
.LBB256_162:
	s_and_b64 vcc, exec, s[4:5]
	s_cbranch_vccnz .LBB256_431
.LBB256_163:
	s_and_b32 s38, s14, 0xff
	s_cmpk_lt_i32 s38, 0x80
	s_cbranch_scc1 .LBB256_171
; %bb.164:
	s_and_b32 s34, 0xffff, s38
	s_cmpk_eq_i32 s34, 0x80
	s_mov_b64 s[34:35], -1
	s_cbranch_scc0 .LBB256_166
; %bb.165:
	s_mov_b64 s[34:35], 0
.LBB256_166:
	s_mov_b32 s40, 0x7f800001
	s_branch .LBB256_173
.LBB256_167:
	s_movk_i32 s30, 0x80
	v_cmp_eq_u16_sdwa s[40:41], v2, s30 src0_sel:BYTE_3 src1_sel:DWORD
	s_mov_b64 s[30:31], -1
	s_and_saveexec_b64 s[36:37], s[40:41]
; %bb.168:
	s_xor_b64 s[30:31], exec, -1
; %bb.169:
	s_or_b64 exec, exec, s[36:37]
	s_and_b64 s[30:31], s[30:31], exec
	s_or_saveexec_b64 s[34:35], s[34:35]
	v_mov_b32_e32 v1, 0x7f800001
	s_xor_b64 exec, exec, s[34:35]
	s_cbranch_execz .LBB256_159
.LBB256_170:
	v_mov_b32_e32 v1, 0
	v_cmp_ne_u16_sdwa s[36:37], v2, v1 src0_sel:BYTE_3 src1_sel:DWORD
	s_andn2_b64 s[30:31], s[30:31], exec
	s_and_b64 s[36:37], s[36:37], exec
	s_or_b64 s[30:31], s[30:31], s[36:37]
	s_or_b64 exec, exec, s[34:35]
	s_and_saveexec_b64 s[34:35], s[30:31]
	s_cbranch_execnz .LBB256_160
	s_branch .LBB256_161
.LBB256_171:
	s_mov_b64 s[34:35], 0
	s_mov_b32 s40, 0x7f800001
	s_cbranch_execz .LBB256_173
; %bb.172:
	s_and_b32 s34, 0xffff, s38
	s_cmp_lg_u32 s34, 0
	s_mov_b32 s40, 0
	s_cselect_b64 s[34:35], -1, 0
.LBB256_173:
	s_andn2_b64 vcc, exec, s[34:35]
	s_cbranch_vccnz .LBB256_175
; %bb.174:
	s_mov_b32 s40, s33
.LBB256_175:
	s_movk_i32 s34, 0x7f
	v_cmp_gt_i16_sdwa s[36:37], v3, s34 src0_sel:BYTE_0 src1_sel:DWORD
	s_mov_b64 s[34:35], 0
	s_and_saveexec_b64 s[38:39], s[36:37]
	s_xor_b64 s[36:37], exec, s[38:39]
	s_cbranch_execnz .LBB256_185
; %bb.176:
	s_or_saveexec_b64 s[36:37], s[36:37]
	v_mov_b32_e32 v1, 0x7f800001
	s_xor_b64 exec, exec, s[36:37]
	s_cbranch_execnz .LBB256_188
.LBB256_177:
	s_or_b64 exec, exec, s[36:37]
	s_and_saveexec_b64 s[36:37], s[34:35]
	s_cbranch_execz .LBB256_179
.LBB256_178:
	v_and_b32_e32 v8, 3, v3
	v_ffbh_u32_e32 v9, v8
	v_min_u32_e32 v9, 32, v9
	v_lshrrev_b16_e32 v2, 2, v3
	v_subrev_u32_e32 v10, 29, v9
	v_and_b32_e32 v2, 31, v2
	v_lshlrev_b32_e32 v10, v10, v3
	v_sub_u32_e32 v9, 30, v9
	v_and_b32_e32 v10, 3, v10
	v_cmp_eq_u32_e32 vcc, 0, v2
	v_lshlrev_b32_e32 v1, 24, v3
	v_cndmask_b32_e32 v2, v2, v9, vcc
	v_cndmask_b32_e32 v8, v8, v10, vcc
	v_mov_b32_e32 v9, 0x37800000
	v_lshlrev_b32_e32 v8, 21, v8
	v_and_b32_e32 v1, 0x80000000, v1
	v_lshl_add_u32 v2, v2, 23, v9
	v_or3_b32 v1, v1, v2, v8
.LBB256_179:
	s_or_b64 exec, exec, s[36:37]
	v_cmp_neq_f32_e64 s[34:35], s40, v1
.LBB256_180:
	s_and_b64 vcc, exec, s[4:5]
	s_cbranch_vccnz .LBB256_449
.LBB256_181:
	s_and_b32 s40, s14, 0xff
	s_cmpk_lt_i32 s40, 0x80
	s_cbranch_scc1 .LBB256_189
; %bb.182:
	s_and_b32 s36, 0xffff, s40
	s_cmpk_eq_i32 s36, 0x80
	s_mov_b64 s[36:37], -1
	s_cbranch_scc0 .LBB256_184
; %bb.183:
	s_mov_b64 s[36:37], 0
.LBB256_184:
	s_mov_b32 s42, 0x7f800001
	s_branch .LBB256_191
.LBB256_185:
	s_movk_i32 s34, 0x80
	v_cmp_eq_u16_sdwa s[42:43], v3, s34 src0_sel:BYTE_0 src1_sel:DWORD
	s_mov_b64 s[34:35], -1
	s_and_saveexec_b64 s[38:39], s[42:43]
; %bb.186:
	s_xor_b64 s[34:35], exec, -1
; %bb.187:
	s_or_b64 exec, exec, s[38:39]
	s_and_b64 s[34:35], s[34:35], exec
	s_or_saveexec_b64 s[36:37], s[36:37]
	v_mov_b32_e32 v1, 0x7f800001
	s_xor_b64 exec, exec, s[36:37]
	s_cbranch_execz .LBB256_177
.LBB256_188:
	v_mov_b32_e32 v1, 0
	v_cmp_ne_u16_sdwa s[38:39], v3, v1 src0_sel:BYTE_0 src1_sel:DWORD
	s_andn2_b64 s[34:35], s[34:35], exec
	s_and_b64 s[38:39], s[38:39], exec
	s_or_b64 s[34:35], s[34:35], s[38:39]
	s_or_b64 exec, exec, s[36:37]
	s_and_saveexec_b64 s[36:37], s[34:35]
	s_cbranch_execnz .LBB256_178
	s_branch .LBB256_179
.LBB256_189:
	s_mov_b64 s[36:37], 0
	s_mov_b32 s42, 0x7f800001
	s_cbranch_execz .LBB256_191
; %bb.190:
	s_and_b32 s36, 0xffff, s40
	s_cmp_lg_u32 s36, 0
	s_mov_b32 s42, 0
	s_cselect_b64 s[36:37], -1, 0
.LBB256_191:
	s_andn2_b64 vcc, exec, s[36:37]
	s_cbranch_vccnz .LBB256_193
; %bb.192:
	s_mov_b32 s42, s33
.LBB256_193:
	s_movk_i32 s36, 0x7f
	v_cmp_gt_i16_sdwa s[38:39], v7, s36 src0_sel:BYTE_0 src1_sel:DWORD
	s_mov_b64 s[36:37], 0
	s_and_saveexec_b64 s[40:41], s[38:39]
	s_xor_b64 s[38:39], exec, s[40:41]
	s_cbranch_execnz .LBB256_203
; %bb.194:
	s_or_saveexec_b64 s[38:39], s[38:39]
	v_mov_b32_e32 v1, 0x7f800001
	s_xor_b64 exec, exec, s[38:39]
	s_cbranch_execnz .LBB256_206
.LBB256_195:
	s_or_b64 exec, exec, s[38:39]
	s_and_saveexec_b64 s[38:39], s[36:37]
	s_cbranch_execz .LBB256_197
.LBB256_196:
	v_and_b32_e32 v8, 3, v7
	v_ffbh_u32_e32 v9, v8
	v_min_u32_e32 v9, 32, v9
	v_lshrrev_b16_e32 v2, 2, v7
	v_subrev_u32_e32 v10, 29, v9
	v_and_b32_e32 v2, 31, v2
	v_lshlrev_b32_e32 v10, v10, v7
	v_sub_u32_e32 v9, 30, v9
	v_and_b32_e32 v10, 3, v10
	v_cmp_eq_u32_e32 vcc, 0, v2
	v_lshlrev_b32_e32 v1, 24, v7
	v_cndmask_b32_e32 v2, v2, v9, vcc
	v_cndmask_b32_e32 v8, v8, v10, vcc
	v_mov_b32_e32 v9, 0x37800000
	v_lshlrev_b32_e32 v8, 21, v8
	v_and_b32_e32 v1, 0x80000000, v1
	v_lshl_add_u32 v2, v2, 23, v9
	v_or3_b32 v1, v1, v2, v8
.LBB256_197:
	s_or_b64 exec, exec, s[38:39]
	v_cmp_neq_f32_e64 s[36:37], s42, v1
.LBB256_198:
	s_and_b64 vcc, exec, s[4:5]
	s_cbranch_vccnz .LBB256_467
.LBB256_199:
	s_and_b32 s42, s14, 0xff
	s_cmpk_lt_i32 s42, 0x80
	s_cbranch_scc1 .LBB256_207
; %bb.200:
	s_and_b32 s38, 0xffff, s42
	s_cmpk_eq_i32 s38, 0x80
	s_mov_b64 s[38:39], -1
	s_cbranch_scc0 .LBB256_202
; %bb.201:
	s_mov_b64 s[38:39], 0
.LBB256_202:
	s_mov_b32 s44, 0x7f800001
	s_branch .LBB256_209
.LBB256_203:
	s_movk_i32 s36, 0x80
	v_cmp_eq_u16_sdwa s[44:45], v7, s36 src0_sel:BYTE_0 src1_sel:DWORD
	s_mov_b64 s[36:37], -1
	s_and_saveexec_b64 s[40:41], s[44:45]
; %bb.204:
	s_xor_b64 s[36:37], exec, -1
; %bb.205:
	s_or_b64 exec, exec, s[40:41]
	s_and_b64 s[36:37], s[36:37], exec
	s_or_saveexec_b64 s[38:39], s[38:39]
	v_mov_b32_e32 v1, 0x7f800001
	s_xor_b64 exec, exec, s[38:39]
	s_cbranch_execz .LBB256_195
.LBB256_206:
	v_mov_b32_e32 v1, 0
	v_cmp_ne_u16_sdwa s[40:41], v7, v1 src0_sel:BYTE_0 src1_sel:DWORD
	s_andn2_b64 s[36:37], s[36:37], exec
	s_and_b64 s[40:41], s[40:41], exec
	s_or_b64 s[36:37], s[36:37], s[40:41]
	s_or_b64 exec, exec, s[38:39]
	s_and_saveexec_b64 s[38:39], s[36:37]
	s_cbranch_execnz .LBB256_196
	s_branch .LBB256_197
.LBB256_207:
	s_mov_b64 s[38:39], 0
	s_mov_b32 s44, 0x7f800001
	s_cbranch_execz .LBB256_209
; %bb.208:
	s_and_b32 s38, 0xffff, s42
	s_cmp_lg_u32 s38, 0
	s_mov_b32 s44, 0
	s_cselect_b64 s[38:39], -1, 0
.LBB256_209:
	s_andn2_b64 vcc, exec, s[38:39]
	s_cbranch_vccnz .LBB256_211
; %bb.210:
	s_mov_b32 s44, s33
.LBB256_211:
	s_movk_i32 s38, 0xff
	v_and_b32_sdwa v1, v3, s38 dst_sel:DWORD dst_unused:UNUSED_PAD src0_sel:WORD_1 src1_sel:DWORD
	s_movk_i32 s38, 0x7f
	v_cmp_lt_i16_e32 vcc, s38, v1
	s_mov_b64 s[38:39], 0
	s_and_saveexec_b64 s[40:41], vcc
	s_xor_b64 s[40:41], exec, s[40:41]
	s_cbranch_execnz .LBB256_221
; %bb.212:
	s_or_saveexec_b64 s[40:41], s[40:41]
	v_mov_b32_e32 v2, 0x7f800001
	s_xor_b64 exec, exec, s[40:41]
	s_cbranch_execnz .LBB256_224
.LBB256_213:
	s_or_b64 exec, exec, s[40:41]
	s_and_saveexec_b64 s[40:41], s[38:39]
	s_cbranch_execz .LBB256_215
.LBB256_214:
	v_mov_b32_e32 v7, 3
	v_and_b32_sdwa v7, v3, v7 dst_sel:DWORD dst_unused:UNUSED_PAD src0_sel:WORD_1 src1_sel:DWORD
	v_ffbh_u32_e32 v8, v7
	v_mov_b32_e32 v2, 2
	v_min_u32_e32 v8, 32, v8
	v_lshrrev_b16_sdwa v2, v2, v3 dst_sel:DWORD dst_unused:UNUSED_PAD src0_sel:DWORD src1_sel:WORD_1
	v_subrev_u32_e32 v9, 29, v8
	v_and_b32_e32 v2, 31, v2
	v_lshlrev_b32_sdwa v9, v9, v3 dst_sel:DWORD dst_unused:UNUSED_PAD src0_sel:DWORD src1_sel:WORD_1
	v_mov_b32_e32 v1, 24
	v_sub_u32_e32 v8, 30, v8
	v_and_b32_e32 v9, 3, v9
	v_cmp_eq_u32_e32 vcc, 0, v2
	v_lshlrev_b32_sdwa v1, v1, v3 dst_sel:DWORD dst_unused:UNUSED_PAD src0_sel:DWORD src1_sel:WORD_1
	v_cndmask_b32_e32 v2, v2, v8, vcc
	v_cndmask_b32_e32 v7, v7, v9, vcc
	v_mov_b32_e32 v8, 0x37800000
	v_lshlrev_b32_e32 v7, 21, v7
	v_and_b32_e32 v1, 0x80000000, v1
	v_lshl_add_u32 v2, v2, 23, v8
	v_or3_b32 v2, v1, v2, v7
.LBB256_215:
	s_or_b64 exec, exec, s[40:41]
	v_cmp_neq_f32_e64 s[38:39], s44, v2
.LBB256_216:
	s_and_b64 vcc, exec, s[4:5]
	s_cbranch_vccnz .LBB256_485
.LBB256_217:
	s_and_b32 s44, s14, 0xff
	s_cmpk_lt_i32 s44, 0x80
	s_cbranch_scc1 .LBB256_225
; %bb.218:
	s_and_b32 s40, 0xffff, s44
	s_cmpk_eq_i32 s40, 0x80
	s_mov_b64 s[40:41], -1
	s_cbranch_scc0 .LBB256_220
; %bb.219:
	s_mov_b64 s[40:41], 0
.LBB256_220:
	s_mov_b32 s46, 0x7f800001
	s_branch .LBB256_227
.LBB256_221:
	s_movk_i32 s38, 0x80
	v_cmp_eq_u16_e32 vcc, s38, v1
	s_mov_b64 s[38:39], -1
	s_and_saveexec_b64 s[42:43], vcc
; %bb.222:
	s_xor_b64 s[38:39], exec, -1
; %bb.223:
	s_or_b64 exec, exec, s[42:43]
	s_and_b64 s[38:39], s[38:39], exec
                                        ; implicit-def: $vgpr1
	s_or_saveexec_b64 s[40:41], s[40:41]
	v_mov_b32_e32 v2, 0x7f800001
	s_xor_b64 exec, exec, s[40:41]
	s_cbranch_execz .LBB256_213
.LBB256_224:
	v_cmp_ne_u16_e32 vcc, 0, v1
	s_andn2_b64 s[38:39], s[38:39], exec
	s_and_b64 s[42:43], vcc, exec
	v_mov_b32_e32 v2, 0
	s_or_b64 s[38:39], s[38:39], s[42:43]
	s_or_b64 exec, exec, s[40:41]
	s_and_saveexec_b64 s[40:41], s[38:39]
	s_cbranch_execnz .LBB256_214
	s_branch .LBB256_215
.LBB256_225:
	s_mov_b64 s[40:41], 0
	s_mov_b32 s46, 0x7f800001
	s_cbranch_execz .LBB256_227
; %bb.226:
	s_and_b32 s40, 0xffff, s44
	s_cmp_lg_u32 s40, 0
	s_mov_b32 s46, 0
	s_cselect_b64 s[40:41], -1, 0
.LBB256_227:
	s_andn2_b64 vcc, exec, s[40:41]
	s_cbranch_vccnz .LBB256_229
; %bb.228:
	s_mov_b32 s46, s33
.LBB256_229:
	s_movk_i32 s40, 0x7f
	v_cmp_gt_i16_sdwa s[42:43], v3, s40 src0_sel:BYTE_3 src1_sel:DWORD
	s_mov_b64 s[40:41], 0
	s_and_saveexec_b64 s[44:45], s[42:43]
	s_xor_b64 s[42:43], exec, s[44:45]
	s_cbranch_execnz .LBB256_239
; %bb.230:
	s_or_saveexec_b64 s[42:43], s[42:43]
	v_mov_b32_e32 v1, 0x7f800001
	s_xor_b64 exec, exec, s[42:43]
	s_cbranch_execnz .LBB256_242
.LBB256_231:
	s_or_b64 exec, exec, s[42:43]
	s_and_saveexec_b64 s[42:43], s[40:41]
	s_cbranch_execz .LBB256_233
.LBB256_232:
	s_mov_b32 s40, 0xffff
	v_and_b32_sdwa v2, s40, v3 dst_sel:DWORD dst_unused:UNUSED_PAD src0_sel:DWORD src1_sel:BYTE_3
	v_and_b32_e32 v7, 3, v2
	v_ffbh_u32_e32 v9, v7
	v_min_u32_e32 v9, 32, v9
	v_subrev_u32_e32 v10, 29, v9
	v_bfe_u32 v8, v2, 2, 5
	v_lshlrev_b32_e32 v2, v10, v2
	v_mov_b32_e32 v1, 24
	v_sub_u32_e32 v9, 30, v9
	v_and_b32_e32 v2, 3, v2
	v_cmp_eq_u32_e32 vcc, 0, v8
	v_lshlrev_b32_sdwa v1, v1, v3 dst_sel:DWORD dst_unused:UNUSED_PAD src0_sel:DWORD src1_sel:BYTE_3
	v_cndmask_b32_e32 v8, v8, v9, vcc
	v_cndmask_b32_e32 v2, v7, v2, vcc
	v_mov_b32_e32 v7, 0x37800000
	v_lshlrev_b32_e32 v2, 21, v2
	v_and_b32_e32 v1, 0x80000000, v1
	v_lshl_add_u32 v7, v8, 23, v7
	v_or3_b32 v1, v1, v7, v2
.LBB256_233:
	s_or_b64 exec, exec, s[42:43]
	v_cmp_neq_f32_e64 s[40:41], s46, v1
.LBB256_234:
	s_and_b64 vcc, exec, s[4:5]
	s_cbranch_vccnz .LBB256_503
.LBB256_235:
	s_and_b32 s46, s14, 0xff
	s_cmpk_lt_i32 s46, 0x80
	s_cbranch_scc1 .LBB256_243
; %bb.236:
	s_and_b32 s42, 0xffff, s46
	s_cmpk_eq_i32 s42, 0x80
	s_mov_b64 s[42:43], -1
	s_cbranch_scc0 .LBB256_238
; %bb.237:
	s_mov_b64 s[42:43], 0
.LBB256_238:
	s_mov_b32 s48, 0x7f800001
	s_branch .LBB256_245
.LBB256_239:
	s_movk_i32 s40, 0x80
	v_cmp_eq_u16_sdwa s[48:49], v3, s40 src0_sel:BYTE_3 src1_sel:DWORD
	s_mov_b64 s[40:41], -1
	s_and_saveexec_b64 s[44:45], s[48:49]
; %bb.240:
	s_xor_b64 s[40:41], exec, -1
; %bb.241:
	s_or_b64 exec, exec, s[44:45]
	s_and_b64 s[40:41], s[40:41], exec
	s_or_saveexec_b64 s[42:43], s[42:43]
	v_mov_b32_e32 v1, 0x7f800001
	s_xor_b64 exec, exec, s[42:43]
	s_cbranch_execz .LBB256_231
.LBB256_242:
	v_mov_b32_e32 v1, 0
	v_cmp_ne_u16_sdwa s[44:45], v3, v1 src0_sel:BYTE_3 src1_sel:DWORD
	s_andn2_b64 s[40:41], s[40:41], exec
	s_and_b64 s[44:45], s[44:45], exec
	s_or_b64 s[40:41], s[40:41], s[44:45]
	s_or_b64 exec, exec, s[42:43]
	s_and_saveexec_b64 s[42:43], s[40:41]
	s_cbranch_execnz .LBB256_232
	s_branch .LBB256_233
.LBB256_243:
	s_mov_b64 s[42:43], 0
	s_mov_b32 s48, 0x7f800001
	s_cbranch_execz .LBB256_245
; %bb.244:
	s_and_b32 s42, 0xffff, s46
	s_cmp_lg_u32 s42, 0
	s_mov_b32 s48, 0
	s_cselect_b64 s[42:43], -1, 0
.LBB256_245:
	s_andn2_b64 vcc, exec, s[42:43]
	s_cbranch_vccnz .LBB256_247
; %bb.246:
	s_mov_b32 s48, s33
.LBB256_247:
	s_movk_i32 s42, 0x7f
	v_cmp_gt_i16_sdwa s[44:45], v4, s42 src0_sel:BYTE_0 src1_sel:DWORD
	s_mov_b64 s[42:43], 0
	s_and_saveexec_b64 s[46:47], s[44:45]
	s_xor_b64 s[44:45], exec, s[46:47]
	s_cbranch_execnz .LBB256_257
; %bb.248:
	s_or_saveexec_b64 s[44:45], s[44:45]
	v_mov_b32_e32 v1, 0x7f800001
	s_xor_b64 exec, exec, s[44:45]
	s_cbranch_execnz .LBB256_260
.LBB256_249:
	s_or_b64 exec, exec, s[44:45]
	s_and_saveexec_b64 s[44:45], s[42:43]
	s_cbranch_execz .LBB256_251
.LBB256_250:
	v_and_b32_e32 v3, 3, v4
	v_ffbh_u32_e32 v7, v3
	v_min_u32_e32 v7, 32, v7
	v_lshrrev_b16_e32 v2, 2, v4
	v_subrev_u32_e32 v8, 29, v7
	v_and_b32_e32 v2, 31, v2
	v_lshlrev_b32_e32 v8, v8, v4
	v_sub_u32_e32 v7, 30, v7
	v_and_b32_e32 v8, 3, v8
	v_cmp_eq_u32_e32 vcc, 0, v2
	v_lshlrev_b32_e32 v1, 24, v4
	v_cndmask_b32_e32 v2, v2, v7, vcc
	v_cndmask_b32_e32 v3, v3, v8, vcc
	v_mov_b32_e32 v7, 0x37800000
	v_lshlrev_b32_e32 v3, 21, v3
	v_and_b32_e32 v1, 0x80000000, v1
	v_lshl_add_u32 v2, v2, 23, v7
	v_or3_b32 v1, v1, v2, v3
.LBB256_251:
	s_or_b64 exec, exec, s[44:45]
	v_cmp_neq_f32_e64 s[42:43], s48, v1
.LBB256_252:
	s_and_b64 vcc, exec, s[4:5]
	s_cbranch_vccnz .LBB256_521
.LBB256_253:
	s_and_b32 s48, s14, 0xff
	s_cmpk_lt_i32 s48, 0x80
	s_cbranch_scc1 .LBB256_261
; %bb.254:
	s_and_b32 s44, 0xffff, s48
	s_cmpk_eq_i32 s44, 0x80
	s_mov_b64 s[44:45], -1
	s_cbranch_scc0 .LBB256_256
; %bb.255:
	s_mov_b64 s[44:45], 0
.LBB256_256:
	s_mov_b32 s50, 0x7f800001
	s_branch .LBB256_263
.LBB256_257:
	s_movk_i32 s42, 0x80
	v_cmp_eq_u16_sdwa s[50:51], v4, s42 src0_sel:BYTE_0 src1_sel:DWORD
	s_mov_b64 s[42:43], -1
	s_and_saveexec_b64 s[46:47], s[50:51]
; %bb.258:
	s_xor_b64 s[42:43], exec, -1
; %bb.259:
	s_or_b64 exec, exec, s[46:47]
	s_and_b64 s[42:43], s[42:43], exec
	s_or_saveexec_b64 s[44:45], s[44:45]
	v_mov_b32_e32 v1, 0x7f800001
	s_xor_b64 exec, exec, s[44:45]
	s_cbranch_execz .LBB256_249
.LBB256_260:
	v_mov_b32_e32 v1, 0
	v_cmp_ne_u16_sdwa s[46:47], v4, v1 src0_sel:BYTE_0 src1_sel:DWORD
	s_andn2_b64 s[42:43], s[42:43], exec
	s_and_b64 s[46:47], s[46:47], exec
	s_or_b64 s[42:43], s[42:43], s[46:47]
	s_or_b64 exec, exec, s[44:45]
	s_and_saveexec_b64 s[44:45], s[42:43]
	s_cbranch_execnz .LBB256_250
	s_branch .LBB256_251
.LBB256_261:
	s_mov_b64 s[44:45], 0
	s_mov_b32 s50, 0x7f800001
	s_cbranch_execz .LBB256_263
; %bb.262:
	s_and_b32 s44, 0xffff, s48
	s_cmp_lg_u32 s44, 0
	s_mov_b32 s50, 0
	s_cselect_b64 s[44:45], -1, 0
.LBB256_263:
	s_andn2_b64 vcc, exec, s[44:45]
	s_cbranch_vccnz .LBB256_265
; %bb.264:
	s_mov_b32 s50, s33
.LBB256_265:
	s_movk_i32 s44, 0x7f
	v_cmp_gt_i16_sdwa s[46:47], v6, s44 src0_sel:BYTE_0 src1_sel:DWORD
	s_mov_b64 s[44:45], 0
	s_and_saveexec_b64 s[48:49], s[46:47]
	s_xor_b64 s[46:47], exec, s[48:49]
	s_cbranch_execnz .LBB256_275
; %bb.266:
	s_or_saveexec_b64 s[46:47], s[46:47]
	v_mov_b32_e32 v1, 0x7f800001
	s_xor_b64 exec, exec, s[46:47]
	s_cbranch_execnz .LBB256_278
.LBB256_267:
	s_or_b64 exec, exec, s[46:47]
	s_and_saveexec_b64 s[46:47], s[44:45]
	s_cbranch_execz .LBB256_269
.LBB256_268:
	v_and_b32_e32 v3, 3, v6
	v_ffbh_u32_e32 v7, v3
	v_min_u32_e32 v7, 32, v7
	v_lshrrev_b16_e32 v2, 2, v6
	v_subrev_u32_e32 v8, 29, v7
	v_and_b32_e32 v2, 31, v2
	v_lshlrev_b32_e32 v8, v8, v6
	v_sub_u32_e32 v7, 30, v7
	v_and_b32_e32 v8, 3, v8
	v_cmp_eq_u32_e32 vcc, 0, v2
	v_lshlrev_b32_e32 v1, 24, v6
	v_cndmask_b32_e32 v2, v2, v7, vcc
	v_cndmask_b32_e32 v3, v3, v8, vcc
	v_mov_b32_e32 v7, 0x37800000
	v_lshlrev_b32_e32 v3, 21, v3
	v_and_b32_e32 v1, 0x80000000, v1
	v_lshl_add_u32 v2, v2, 23, v7
	v_or3_b32 v1, v1, v2, v3
.LBB256_269:
	s_or_b64 exec, exec, s[46:47]
	v_cmp_neq_f32_e64 s[44:45], s50, v1
.LBB256_270:
	s_and_b64 vcc, exec, s[4:5]
	s_cbranch_vccnz .LBB256_539
.LBB256_271:
	s_and_b32 s50, s14, 0xff
	s_cmpk_lt_i32 s50, 0x80
	s_cbranch_scc1 .LBB256_279
; %bb.272:
	s_and_b32 s46, 0xffff, s50
	s_cmpk_eq_i32 s46, 0x80
	s_mov_b64 s[46:47], -1
	s_cbranch_scc0 .LBB256_274
; %bb.273:
	s_mov_b64 s[46:47], 0
.LBB256_274:
	s_mov_b32 s52, 0x7f800001
	s_branch .LBB256_281
.LBB256_275:
	s_movk_i32 s44, 0x80
	v_cmp_eq_u16_sdwa s[52:53], v6, s44 src0_sel:BYTE_0 src1_sel:DWORD
	s_mov_b64 s[44:45], -1
	s_and_saveexec_b64 s[48:49], s[52:53]
; %bb.276:
	s_xor_b64 s[44:45], exec, -1
; %bb.277:
	s_or_b64 exec, exec, s[48:49]
	s_and_b64 s[44:45], s[44:45], exec
	s_or_saveexec_b64 s[46:47], s[46:47]
	v_mov_b32_e32 v1, 0x7f800001
	s_xor_b64 exec, exec, s[46:47]
	s_cbranch_execz .LBB256_267
.LBB256_278:
	v_mov_b32_e32 v1, 0
	v_cmp_ne_u16_sdwa s[48:49], v6, v1 src0_sel:BYTE_0 src1_sel:DWORD
	s_andn2_b64 s[44:45], s[44:45], exec
	s_and_b64 s[48:49], s[48:49], exec
	s_or_b64 s[44:45], s[44:45], s[48:49]
	s_or_b64 exec, exec, s[46:47]
	s_and_saveexec_b64 s[46:47], s[44:45]
	s_cbranch_execnz .LBB256_268
	s_branch .LBB256_269
.LBB256_279:
	s_mov_b64 s[46:47], 0
	s_mov_b32 s52, 0x7f800001
	s_cbranch_execz .LBB256_281
; %bb.280:
	s_and_b32 s46, 0xffff, s50
	s_cmp_lg_u32 s46, 0
	s_mov_b32 s52, 0
	s_cselect_b64 s[46:47], -1, 0
.LBB256_281:
	s_andn2_b64 vcc, exec, s[46:47]
	s_cbranch_vccnz .LBB256_283
; %bb.282:
	s_mov_b32 s52, s33
.LBB256_283:
	s_movk_i32 s46, 0xff
	v_and_b32_sdwa v1, v4, s46 dst_sel:DWORD dst_unused:UNUSED_PAD src0_sel:WORD_1 src1_sel:DWORD
	s_movk_i32 s46, 0x7f
	v_cmp_lt_i16_e32 vcc, s46, v1
	s_mov_b64 s[46:47], 0
	s_and_saveexec_b64 s[48:49], vcc
	s_xor_b64 s[48:49], exec, s[48:49]
	s_cbranch_execnz .LBB256_293
; %bb.284:
	s_or_saveexec_b64 s[48:49], s[48:49]
	v_mov_b32_e32 v2, 0x7f800001
	s_xor_b64 exec, exec, s[48:49]
	s_cbranch_execnz .LBB256_296
.LBB256_285:
	s_or_b64 exec, exec, s[48:49]
	s_and_saveexec_b64 s[48:49], s[46:47]
	s_cbranch_execz .LBB256_287
.LBB256_286:
	v_mov_b32_e32 v3, 3
	v_and_b32_sdwa v3, v4, v3 dst_sel:DWORD dst_unused:UNUSED_PAD src0_sel:WORD_1 src1_sel:DWORD
	v_ffbh_u32_e32 v6, v3
	v_mov_b32_e32 v2, 2
	v_min_u32_e32 v6, 32, v6
	v_lshrrev_b16_sdwa v2, v2, v4 dst_sel:DWORD dst_unused:UNUSED_PAD src0_sel:DWORD src1_sel:WORD_1
	v_subrev_u32_e32 v7, 29, v6
	v_and_b32_e32 v2, 31, v2
	v_lshlrev_b32_sdwa v7, v7, v4 dst_sel:DWORD dst_unused:UNUSED_PAD src0_sel:DWORD src1_sel:WORD_1
	v_mov_b32_e32 v1, 24
	v_sub_u32_e32 v6, 30, v6
	v_and_b32_e32 v7, 3, v7
	v_cmp_eq_u32_e32 vcc, 0, v2
	v_lshlrev_b32_sdwa v1, v1, v4 dst_sel:DWORD dst_unused:UNUSED_PAD src0_sel:DWORD src1_sel:WORD_1
	v_cndmask_b32_e32 v2, v2, v6, vcc
	v_cndmask_b32_e32 v3, v3, v7, vcc
	v_mov_b32_e32 v6, 0x37800000
	v_lshlrev_b32_e32 v3, 21, v3
	v_and_b32_e32 v1, 0x80000000, v1
	v_lshl_add_u32 v2, v2, 23, v6
	v_or3_b32 v2, v1, v2, v3
.LBB256_287:
	s_or_b64 exec, exec, s[48:49]
	v_cmp_neq_f32_e64 s[46:47], s52, v2
.LBB256_288:
	s_and_b64 vcc, exec, s[4:5]
	s_cbranch_vccnz .LBB256_557
.LBB256_289:
	s_and_b32 s50, s14, 0xff
	s_cmpk_lt_i32 s50, 0x80
	s_cbranch_scc1 .LBB256_297
; %bb.290:
	s_and_b32 s4, 0xffff, s50
	s_cmpk_eq_i32 s4, 0x80
	s_mov_b64 s[4:5], -1
	s_cbranch_scc0 .LBB256_292
; %bb.291:
	s_mov_b64 s[4:5], 0
.LBB256_292:
	s_mov_b32 s52, 0x7f800001
	s_branch .LBB256_299
.LBB256_293:
	s_movk_i32 s46, 0x80
	v_cmp_eq_u16_e32 vcc, s46, v1
	s_mov_b64 s[46:47], -1
	s_and_saveexec_b64 s[50:51], vcc
; %bb.294:
	s_xor_b64 s[46:47], exec, -1
; %bb.295:
	s_or_b64 exec, exec, s[50:51]
	s_and_b64 s[46:47], s[46:47], exec
                                        ; implicit-def: $vgpr1
	s_or_saveexec_b64 s[48:49], s[48:49]
	v_mov_b32_e32 v2, 0x7f800001
	s_xor_b64 exec, exec, s[48:49]
	s_cbranch_execz .LBB256_285
.LBB256_296:
	v_cmp_ne_u16_e32 vcc, 0, v1
	s_andn2_b64 s[46:47], s[46:47], exec
	s_and_b64 s[50:51], vcc, exec
	v_mov_b32_e32 v2, 0
	s_or_b64 s[46:47], s[46:47], s[50:51]
	s_or_b64 exec, exec, s[48:49]
	s_and_saveexec_b64 s[48:49], s[46:47]
	s_cbranch_execnz .LBB256_286
	s_branch .LBB256_287
.LBB256_297:
	s_mov_b64 s[4:5], 0
	s_mov_b32 s52, 0x7f800001
	s_cbranch_execz .LBB256_299
; %bb.298:
	s_and_b32 s4, 0xffff, s50
	s_cmp_lg_u32 s4, 0
	s_mov_b32 s52, 0
	s_cselect_b64 s[4:5], -1, 0
.LBB256_299:
	s_andn2_b64 vcc, exec, s[4:5]
	s_cbranch_vccnz .LBB256_301
; %bb.300:
	s_mov_b32 s52, s33
.LBB256_301:
	s_movk_i32 s4, 0x7f
	v_cmp_gt_i16_sdwa s[48:49], v4, s4 src0_sel:BYTE_3 src1_sel:DWORD
	s_mov_b64 s[4:5], 0
	s_and_saveexec_b64 s[50:51], s[48:49]
	s_xor_b64 s[48:49], exec, s[50:51]
	s_cbranch_execnz .LBB256_306
; %bb.302:
	s_or_saveexec_b64 s[48:49], s[48:49]
	v_mov_b32_e32 v1, 0x7f800001
	s_xor_b64 exec, exec, s[48:49]
	s_cbranch_execnz .LBB256_309
.LBB256_303:
	s_or_b64 exec, exec, s[48:49]
	s_and_saveexec_b64 s[48:49], s[4:5]
	s_cbranch_execz .LBB256_305
.LBB256_304:
	s_mov_b32 s4, 0xffff
	v_and_b32_sdwa v2, s4, v4 dst_sel:DWORD dst_unused:UNUSED_PAD src0_sel:DWORD src1_sel:BYTE_3
	v_and_b32_e32 v3, 3, v2
	v_ffbh_u32_e32 v7, v3
	v_min_u32_e32 v7, 32, v7
	v_subrev_u32_e32 v8, 29, v7
	v_bfe_u32 v6, v2, 2, 5
	v_lshlrev_b32_e32 v2, v8, v2
	v_mov_b32_e32 v1, 24
	v_sub_u32_e32 v7, 30, v7
	v_and_b32_e32 v2, 3, v2
	v_cmp_eq_u32_e32 vcc, 0, v6
	v_lshlrev_b32_sdwa v1, v1, v4 dst_sel:DWORD dst_unused:UNUSED_PAD src0_sel:DWORD src1_sel:BYTE_3
	v_cndmask_b32_e32 v6, v6, v7, vcc
	v_cndmask_b32_e32 v2, v3, v2, vcc
	v_mov_b32_e32 v3, 0x37800000
	v_lshlrev_b32_e32 v2, 21, v2
	v_and_b32_e32 v1, 0x80000000, v1
	v_lshl_add_u32 v3, v6, 23, v3
	v_or3_b32 v1, v1, v3, v2
.LBB256_305:
	s_or_b64 exec, exec, s[48:49]
	v_cmp_neq_f32_e64 s[4:5], s52, v1
	s_branch .LBB256_575
.LBB256_306:
	s_movk_i32 s4, 0x80
	v_cmp_eq_u16_sdwa s[54:55], v4, s4 src0_sel:BYTE_3 src1_sel:DWORD
	s_mov_b64 s[4:5], -1
	s_and_saveexec_b64 s[50:51], s[54:55]
; %bb.307:
	s_xor_b64 s[4:5], exec, -1
; %bb.308:
	s_or_b64 exec, exec, s[50:51]
	s_and_b64 s[4:5], s[4:5], exec
	s_or_saveexec_b64 s[48:49], s[48:49]
	v_mov_b32_e32 v1, 0x7f800001
	s_xor_b64 exec, exec, s[48:49]
	s_cbranch_execz .LBB256_303
.LBB256_309:
	v_mov_b32_e32 v1, 0
	v_cmp_ne_u16_sdwa s[50:51], v4, v1 src0_sel:BYTE_3 src1_sel:DWORD
	s_andn2_b64 s[4:5], s[4:5], exec
	s_and_b64 s[50:51], s[50:51], exec
	s_or_b64 s[4:5], s[4:5], s[50:51]
	s_or_b64 exec, exec, s[48:49]
	s_and_saveexec_b64 s[48:49], s[4:5]
	s_cbranch_execnz .LBB256_304
	s_branch .LBB256_305
.LBB256_310:
	s_movk_i32 s4, 0x80
	v_cmp_eq_u16_sdwa s[24:25], v1, s4 src0_sel:BYTE_0 src1_sel:DWORD
	s_mov_b64 s[4:5], -1
	s_and_saveexec_b64 s[20:21], s[24:25]
; %bb.311:
	s_xor_b64 s[4:5], exec, -1
; %bb.312:
	s_or_b64 exec, exec, s[20:21]
	s_and_b64 s[4:5], s[4:5], exec
	s_or_saveexec_b64 s[8:9], s[8:9]
	v_mov_b32_e32 v6, 0x7f800001
	s_xor_b64 exec, exec, s[8:9]
	s_cbranch_execz .LBB256_32
.LBB256_313:
	v_mov_b32_e32 v6, 0
	v_cmp_ne_u16_sdwa s[20:21], v1, v6 src0_sel:BYTE_0 src1_sel:DWORD
	s_andn2_b64 s[4:5], s[4:5], exec
	s_and_b64 s[20:21], s[20:21], exec
	s_or_b64 s[4:5], s[4:5], s[20:21]
	s_or_b64 exec, exec, s[8:9]
	s_and_saveexec_b64 s[8:9], s[4:5]
	s_cbranch_execnz .LBB256_33
	s_branch .LBB256_34
.LBB256_314:
	s_mov_b64 s[10:11], 0
	s_mov_b32 s24, 0x7f800001
	s_cbranch_execz .LBB256_316
; %bb.315:
	s_and_b32 s10, 0xffff, s22
	s_cmp_lg_u32 s10, 0
	s_mov_b32 s24, 0
	s_cselect_b64 s[10:11], -1, 0
.LBB256_316:
	s_andn2_b64 vcc, exec, s[10:11]
	s_cbranch_vccnz .LBB256_318
; %bb.317:
	s_mov_b32 s24, s33
.LBB256_318:
	s_movk_i32 s10, 0x7f
	v_cmp_gt_i16_sdwa s[20:21], v9, s10 src0_sel:BYTE_0 src1_sel:DWORD
	s_mov_b64 s[10:11], 0
	s_and_saveexec_b64 s[22:23], s[20:21]
	s_xor_b64 s[20:21], exec, s[22:23]
	s_cbranch_execnz .LBB256_328
; %bb.319:
	s_or_saveexec_b64 s[20:21], s[20:21]
	v_mov_b32_e32 v10, 0x7f800001
	s_xor_b64 exec, exec, s[20:21]
	s_cbranch_execnz .LBB256_331
.LBB256_320:
	s_or_b64 exec, exec, s[20:21]
	s_and_saveexec_b64 s[20:21], s[10:11]
	s_cbranch_execz .LBB256_322
.LBB256_321:
	v_and_b32_e32 v12, 3, v9
	v_ffbh_u32_e32 v13, v12
	v_min_u32_e32 v13, 32, v13
	v_lshrrev_b16_e32 v11, 2, v9
	v_subrev_u32_e32 v14, 29, v13
	v_lshlrev_b32_e32 v10, 24, v9
	v_and_b32_e32 v11, 31, v11
	v_lshlrev_b32_e32 v9, v14, v9
	v_sub_u32_e32 v13, 30, v13
	v_and_b32_e32 v9, 3, v9
	v_cmp_eq_u32_e32 vcc, 0, v11
	v_cndmask_b32_e32 v11, v11, v13, vcc
	v_cndmask_b32_e32 v9, v12, v9, vcc
	v_mov_b32_e32 v12, 0x37800000
	v_lshlrev_b32_e32 v9, 21, v9
	v_and_b32_e32 v10, 0x80000000, v10
	v_lshl_add_u32 v11, v11, 23, v12
	v_or3_b32 v10, v10, v11, v9
.LBB256_322:
	s_or_b64 exec, exec, s[20:21]
	v_cmp_eq_f32_e64 s[10:11], s24, v10
	s_and_b64 vcc, exec, s[4:5]
	s_cbranch_vccz .LBB256_42
.LBB256_323:
                                        ; implicit-def: $sgpr20_sgpr21
	s_cbranch_execz .LBB256_68
; %bb.324:
	s_and_b32 s24, s14, 0xff
	s_cmpk_lt_i32 s24, 0x80
	s_cbranch_scc1 .LBB256_332
; %bb.325:
	s_and_b32 s20, 0xffff, s24
	s_cmpk_eq_i32 s20, 0x80
	s_mov_b64 s[20:21], -1
	s_cbranch_scc0 .LBB256_327
; %bb.326:
	s_mov_b64 s[20:21], 0
.LBB256_327:
	s_mov_b32 s26, 0x7f800001
	s_branch .LBB256_334
.LBB256_328:
	s_movk_i32 s10, 0x80
	v_cmp_eq_u16_sdwa s[26:27], v9, s10 src0_sel:BYTE_0 src1_sel:DWORD
	s_mov_b64 s[10:11], -1
	s_and_saveexec_b64 s[22:23], s[26:27]
; %bb.329:
	s_xor_b64 s[10:11], exec, -1
; %bb.330:
	s_or_b64 exec, exec, s[22:23]
	s_and_b64 s[10:11], s[10:11], exec
	s_or_saveexec_b64 s[20:21], s[20:21]
	v_mov_b32_e32 v10, 0x7f800001
	s_xor_b64 exec, exec, s[20:21]
	s_cbranch_execz .LBB256_320
.LBB256_331:
	v_mov_b32_e32 v10, 0
	v_cmp_ne_u16_sdwa s[22:23], v9, v10 src0_sel:BYTE_0 src1_sel:DWORD
	s_andn2_b64 s[10:11], s[10:11], exec
	s_and_b64 s[22:23], s[22:23], exec
	s_or_b64 s[10:11], s[10:11], s[22:23]
	s_or_b64 exec, exec, s[20:21]
	s_and_saveexec_b64 s[20:21], s[10:11]
	s_cbranch_execnz .LBB256_321
	s_branch .LBB256_322
.LBB256_332:
	s_mov_b64 s[20:21], 0
	s_mov_b32 s26, 0x7f800001
	s_cbranch_execz .LBB256_334
; %bb.333:
	s_and_b32 s20, 0xffff, s24
	s_cmp_lg_u32 s20, 0
	s_mov_b32 s26, 0
	s_cselect_b64 s[20:21], -1, 0
.LBB256_334:
	s_andn2_b64 vcc, exec, s[20:21]
	s_cbranch_vccnz .LBB256_336
; %bb.335:
	s_mov_b32 s26, s33
.LBB256_336:
	s_movk_i32 s20, 0xff
	v_and_b32_sdwa v9, v1, s20 dst_sel:DWORD dst_unused:UNUSED_PAD src0_sel:WORD_1 src1_sel:DWORD
	s_movk_i32 s20, 0x7f
	v_cmp_lt_i16_e32 vcc, s20, v9
	s_mov_b64 s[20:21], 0
	s_and_saveexec_b64 s[22:23], vcc
	s_xor_b64 s[22:23], exec, s[22:23]
	s_cbranch_execnz .LBB256_346
; %bb.337:
	s_or_saveexec_b64 s[22:23], s[22:23]
	v_mov_b32_e32 v10, 0x7f800001
	s_xor_b64 exec, exec, s[22:23]
	s_cbranch_execnz .LBB256_349
.LBB256_338:
	s_or_b64 exec, exec, s[22:23]
	s_and_saveexec_b64 s[22:23], s[20:21]
	s_cbranch_execz .LBB256_340
.LBB256_339:
	v_mov_b32_e32 v11, 3
	v_and_b32_sdwa v11, v1, v11 dst_sel:DWORD dst_unused:UNUSED_PAD src0_sel:WORD_1 src1_sel:DWORD
	v_ffbh_u32_e32 v12, v11
	v_mov_b32_e32 v10, 2
	v_min_u32_e32 v12, 32, v12
	v_lshrrev_b16_sdwa v10, v10, v1 dst_sel:DWORD dst_unused:UNUSED_PAD src0_sel:DWORD src1_sel:WORD_1
	v_subrev_u32_e32 v13, 29, v12
	v_and_b32_e32 v10, 31, v10
	v_lshlrev_b32_sdwa v13, v13, v1 dst_sel:DWORD dst_unused:UNUSED_PAD src0_sel:DWORD src1_sel:WORD_1
	v_mov_b32_e32 v9, 24
	v_sub_u32_e32 v12, 30, v12
	v_and_b32_e32 v13, 3, v13
	v_cmp_eq_u32_e32 vcc, 0, v10
	v_lshlrev_b32_sdwa v9, v9, v1 dst_sel:DWORD dst_unused:UNUSED_PAD src0_sel:DWORD src1_sel:WORD_1
	v_cndmask_b32_e32 v10, v10, v12, vcc
	v_cndmask_b32_e32 v11, v11, v13, vcc
	v_mov_b32_e32 v12, 0x37800000
	v_lshlrev_b32_e32 v11, 21, v11
	v_and_b32_e32 v9, 0x80000000, v9
	v_lshl_add_u32 v10, v10, 23, v12
	v_or3_b32 v10, v9, v10, v11
.LBB256_340:
	s_or_b64 exec, exec, s[22:23]
	v_cmp_eq_f32_e64 s[20:21], s26, v10
	s_and_b64 vcc, exec, s[4:5]
	s_cbranch_vccz .LBB256_69
.LBB256_341:
                                        ; implicit-def: $sgpr22_sgpr23
	s_cbranch_execz .LBB256_90
; %bb.342:
	s_and_b32 s26, s14, 0xff
	s_cmpk_lt_i32 s26, 0x80
	s_cbranch_scc1 .LBB256_350
; %bb.343:
	s_and_b32 s22, 0xffff, s26
	s_cmpk_eq_i32 s22, 0x80
	s_mov_b64 s[22:23], -1
	s_cbranch_scc0 .LBB256_345
; %bb.344:
	s_mov_b64 s[22:23], 0
.LBB256_345:
	s_mov_b32 s28, 0x7f800001
	s_branch .LBB256_352
.LBB256_346:
	s_movk_i32 s20, 0x80
	v_cmp_eq_u16_e32 vcc, s20, v9
	s_mov_b64 s[20:21], -1
	s_and_saveexec_b64 s[24:25], vcc
; %bb.347:
	s_xor_b64 s[20:21], exec, -1
; %bb.348:
	s_or_b64 exec, exec, s[24:25]
	s_and_b64 s[20:21], s[20:21], exec
                                        ; implicit-def: $vgpr9
	s_or_saveexec_b64 s[22:23], s[22:23]
	v_mov_b32_e32 v10, 0x7f800001
	s_xor_b64 exec, exec, s[22:23]
	s_cbranch_execz .LBB256_338
.LBB256_349:
	v_cmp_ne_u16_e32 vcc, 0, v9
	s_andn2_b64 s[20:21], s[20:21], exec
	s_and_b64 s[24:25], vcc, exec
	v_mov_b32_e32 v10, 0
	s_or_b64 s[20:21], s[20:21], s[24:25]
	s_or_b64 exec, exec, s[22:23]
	s_and_saveexec_b64 s[22:23], s[20:21]
	s_cbranch_execnz .LBB256_339
	s_branch .LBB256_340
.LBB256_350:
	s_mov_b64 s[22:23], 0
	s_mov_b32 s28, 0x7f800001
	s_cbranch_execz .LBB256_352
; %bb.351:
	s_and_b32 s22, 0xffff, s26
	s_cmp_lg_u32 s22, 0
	s_mov_b32 s28, 0
	s_cselect_b64 s[22:23], -1, 0
.LBB256_352:
	s_andn2_b64 vcc, exec, s[22:23]
	s_cbranch_vccnz .LBB256_354
; %bb.353:
	s_mov_b32 s28, s33
.LBB256_354:
	s_movk_i32 s22, 0x7f
	v_cmp_gt_i16_sdwa s[24:25], v1, s22 src0_sel:BYTE_3 src1_sel:DWORD
	s_mov_b64 s[22:23], 0
	s_and_saveexec_b64 s[26:27], s[24:25]
	s_xor_b64 s[24:25], exec, s[26:27]
	s_cbranch_execnz .LBB256_364
; %bb.355:
	s_or_saveexec_b64 s[24:25], s[24:25]
	v_mov_b32_e32 v9, 0x7f800001
	s_xor_b64 exec, exec, s[24:25]
	s_cbranch_execnz .LBB256_367
.LBB256_356:
	s_or_b64 exec, exec, s[24:25]
	s_and_saveexec_b64 s[24:25], s[22:23]
	s_cbranch_execz .LBB256_358
.LBB256_357:
	v_mov_b32_e32 v9, 24
	s_mov_b32 s22, 0xffff
	v_lshlrev_b32_sdwa v9, v9, v1 dst_sel:DWORD dst_unused:UNUSED_PAD src0_sel:DWORD src1_sel:BYTE_3
	v_and_b32_sdwa v1, s22, v1 dst_sel:DWORD dst_unused:UNUSED_PAD src0_sel:DWORD src1_sel:BYTE_3
	v_and_b32_e32 v10, 3, v1
	v_ffbh_u32_e32 v12, v10
	v_min_u32_e32 v12, 32, v12
	v_subrev_u32_e32 v13, 29, v12
	v_bfe_u32 v11, v1, 2, 5
	v_lshlrev_b32_e32 v1, v13, v1
	v_sub_u32_e32 v12, 30, v12
	v_and_b32_e32 v1, 3, v1
	v_cmp_eq_u32_e32 vcc, 0, v11
	v_cndmask_b32_e32 v11, v11, v12, vcc
	v_cndmask_b32_e32 v1, v10, v1, vcc
	v_mov_b32_e32 v10, 0x37800000
	v_lshlrev_b32_e32 v1, 21, v1
	v_and_b32_e32 v9, 0x80000000, v9
	v_lshl_add_u32 v10, v11, 23, v10
	v_or3_b32 v9, v9, v10, v1
.LBB256_358:
	s_or_b64 exec, exec, s[24:25]
	v_cmp_eq_f32_e64 s[22:23], s28, v9
	s_and_b64 vcc, exec, s[4:5]
	s_cbranch_vccz .LBB256_91
.LBB256_359:
                                        ; implicit-def: $sgpr24_sgpr25
	s_cbranch_execz .LBB256_108
; %bb.360:
	s_and_b32 s28, s14, 0xff
	s_cmpk_lt_i32 s28, 0x80
	s_cbranch_scc1 .LBB256_368
; %bb.361:
	s_and_b32 s24, 0xffff, s28
	s_cmpk_eq_i32 s24, 0x80
	s_mov_b64 s[24:25], -1
	s_cbranch_scc0 .LBB256_363
; %bb.362:
	s_mov_b64 s[24:25], 0
.LBB256_363:
	s_mov_b32 s30, 0x7f800001
	s_branch .LBB256_370
.LBB256_364:
	s_movk_i32 s22, 0x80
	v_cmp_eq_u16_sdwa s[30:31], v1, s22 src0_sel:BYTE_3 src1_sel:DWORD
	s_mov_b64 s[22:23], -1
	s_and_saveexec_b64 s[26:27], s[30:31]
; %bb.365:
	s_xor_b64 s[22:23], exec, -1
; %bb.366:
	s_or_b64 exec, exec, s[26:27]
	s_and_b64 s[22:23], s[22:23], exec
	s_or_saveexec_b64 s[24:25], s[24:25]
	v_mov_b32_e32 v9, 0x7f800001
	s_xor_b64 exec, exec, s[24:25]
	s_cbranch_execz .LBB256_356
.LBB256_367:
	v_mov_b32_e32 v9, 0
	v_cmp_ne_u16_sdwa s[26:27], v1, v9 src0_sel:BYTE_3 src1_sel:DWORD
	s_andn2_b64 s[22:23], s[22:23], exec
	s_and_b64 s[26:27], s[26:27], exec
	s_or_b64 s[22:23], s[22:23], s[26:27]
	s_or_b64 exec, exec, s[24:25]
	s_and_saveexec_b64 s[24:25], s[22:23]
	s_cbranch_execnz .LBB256_357
	s_branch .LBB256_358
.LBB256_368:
	s_mov_b64 s[24:25], 0
	s_mov_b32 s30, 0x7f800001
	s_cbranch_execz .LBB256_370
; %bb.369:
	s_and_b32 s24, 0xffff, s28
	s_cmp_lg_u32 s24, 0
	s_mov_b32 s30, 0
	s_cselect_b64 s[24:25], -1, 0
.LBB256_370:
	s_andn2_b64 vcc, exec, s[24:25]
	s_cbranch_vccnz .LBB256_372
; %bb.371:
	s_mov_b32 s30, s33
.LBB256_372:
	s_movk_i32 s24, 0x7f
	v_cmp_gt_i16_sdwa s[26:27], v2, s24 src0_sel:BYTE_0 src1_sel:DWORD
	s_mov_b64 s[24:25], 0
	s_and_saveexec_b64 s[28:29], s[26:27]
	s_xor_b64 s[26:27], exec, s[28:29]
	s_cbranch_execnz .LBB256_382
; %bb.373:
	s_or_saveexec_b64 s[26:27], s[26:27]
	v_mov_b32_e32 v1, 0x7f800001
	s_xor_b64 exec, exec, s[26:27]
	s_cbranch_execnz .LBB256_385
.LBB256_374:
	s_or_b64 exec, exec, s[26:27]
	s_and_saveexec_b64 s[26:27], s[24:25]
	s_cbranch_execz .LBB256_376
.LBB256_375:
	v_and_b32_e32 v10, 3, v2
	v_ffbh_u32_e32 v11, v10
	v_min_u32_e32 v11, 32, v11
	v_lshrrev_b16_e32 v9, 2, v2
	v_subrev_u32_e32 v12, 29, v11
	v_and_b32_e32 v9, 31, v9
	v_lshlrev_b32_e32 v12, v12, v2
	v_sub_u32_e32 v11, 30, v11
	v_and_b32_e32 v12, 3, v12
	v_cmp_eq_u32_e32 vcc, 0, v9
	v_lshlrev_b32_e32 v1, 24, v2
	v_cndmask_b32_e32 v9, v9, v11, vcc
	v_cndmask_b32_e32 v10, v10, v12, vcc
	v_mov_b32_e32 v11, 0x37800000
	v_lshlrev_b32_e32 v10, 21, v10
	v_and_b32_e32 v1, 0x80000000, v1
	v_lshl_add_u32 v9, v9, 23, v11
	v_or3_b32 v1, v1, v9, v10
.LBB256_376:
	s_or_b64 exec, exec, s[26:27]
	v_cmp_eq_f32_e64 s[24:25], s30, v1
	s_and_b64 vcc, exec, s[4:5]
	s_cbranch_vccz .LBB256_109
.LBB256_377:
                                        ; implicit-def: $sgpr26_sgpr27
	s_cbranch_execz .LBB256_126
; %bb.378:
	s_and_b32 s30, s14, 0xff
	s_cmpk_lt_i32 s30, 0x80
	s_cbranch_scc1 .LBB256_386
; %bb.379:
	s_and_b32 s26, 0xffff, s30
	s_cmpk_eq_i32 s26, 0x80
	s_mov_b64 s[26:27], -1
	s_cbranch_scc0 .LBB256_381
; %bb.380:
	s_mov_b64 s[26:27], 0
.LBB256_381:
	s_mov_b32 s34, 0x7f800001
	s_branch .LBB256_388
.LBB256_382:
	s_movk_i32 s24, 0x80
	v_cmp_eq_u16_sdwa s[34:35], v2, s24 src0_sel:BYTE_0 src1_sel:DWORD
	s_mov_b64 s[24:25], -1
	s_and_saveexec_b64 s[28:29], s[34:35]
; %bb.383:
	s_xor_b64 s[24:25], exec, -1
; %bb.384:
	s_or_b64 exec, exec, s[28:29]
	s_and_b64 s[24:25], s[24:25], exec
	s_or_saveexec_b64 s[26:27], s[26:27]
	v_mov_b32_e32 v1, 0x7f800001
	s_xor_b64 exec, exec, s[26:27]
	s_cbranch_execz .LBB256_374
.LBB256_385:
	v_mov_b32_e32 v1, 0
	v_cmp_ne_u16_sdwa s[28:29], v2, v1 src0_sel:BYTE_0 src1_sel:DWORD
	s_andn2_b64 s[24:25], s[24:25], exec
	s_and_b64 s[28:29], s[28:29], exec
	s_or_b64 s[24:25], s[24:25], s[28:29]
	s_or_b64 exec, exec, s[26:27]
	s_and_saveexec_b64 s[26:27], s[24:25]
	s_cbranch_execnz .LBB256_375
	s_branch .LBB256_376
.LBB256_386:
	s_mov_b64 s[26:27], 0
	s_mov_b32 s34, 0x7f800001
	s_cbranch_execz .LBB256_388
; %bb.387:
	s_and_b32 s26, 0xffff, s30
	s_cmp_lg_u32 s26, 0
	s_mov_b32 s34, 0
	s_cselect_b64 s[26:27], -1, 0
.LBB256_388:
	s_andn2_b64 vcc, exec, s[26:27]
	s_cbranch_vccnz .LBB256_390
; %bb.389:
	s_mov_b32 s34, s33
.LBB256_390:
	s_movk_i32 s26, 0x7f
	v_cmp_gt_i16_sdwa s[28:29], v8, s26 src0_sel:BYTE_0 src1_sel:DWORD
	s_mov_b64 s[26:27], 0
	s_and_saveexec_b64 s[30:31], s[28:29]
	s_xor_b64 s[28:29], exec, s[30:31]
	s_cbranch_execnz .LBB256_400
; %bb.391:
	s_or_saveexec_b64 s[28:29], s[28:29]
	v_mov_b32_e32 v1, 0x7f800001
	s_xor_b64 exec, exec, s[28:29]
	s_cbranch_execnz .LBB256_403
.LBB256_392:
	s_or_b64 exec, exec, s[28:29]
	s_and_saveexec_b64 s[28:29], s[26:27]
	s_cbranch_execz .LBB256_394
.LBB256_393:
	v_and_b32_e32 v10, 3, v8
	v_ffbh_u32_e32 v11, v10
	v_min_u32_e32 v11, 32, v11
	v_lshrrev_b16_e32 v9, 2, v8
	v_subrev_u32_e32 v12, 29, v11
	v_lshlrev_b32_e32 v1, 24, v8
	v_and_b32_e32 v9, 31, v9
	v_lshlrev_b32_e32 v8, v12, v8
	v_sub_u32_e32 v11, 30, v11
	v_and_b32_e32 v8, 3, v8
	v_cmp_eq_u32_e32 vcc, 0, v9
	v_cndmask_b32_e32 v9, v9, v11, vcc
	v_cndmask_b32_e32 v8, v10, v8, vcc
	v_mov_b32_e32 v10, 0x37800000
	v_lshlrev_b32_e32 v8, 21, v8
	v_and_b32_e32 v1, 0x80000000, v1
	v_lshl_add_u32 v9, v9, 23, v10
	v_or3_b32 v1, v1, v9, v8
.LBB256_394:
	s_or_b64 exec, exec, s[28:29]
	v_cmp_eq_f32_e64 s[26:27], s34, v1
	s_and_b64 vcc, exec, s[4:5]
	s_cbranch_vccz .LBB256_127
.LBB256_395:
                                        ; implicit-def: $sgpr28_sgpr29
	s_cbranch_execz .LBB256_144
; %bb.396:
	s_and_b32 s34, s14, 0xff
	s_cmpk_lt_i32 s34, 0x80
	s_cbranch_scc1 .LBB256_404
; %bb.397:
	s_and_b32 s28, 0xffff, s34
	s_cmpk_eq_i32 s28, 0x80
	s_mov_b64 s[28:29], -1
	s_cbranch_scc0 .LBB256_399
; %bb.398:
	s_mov_b64 s[28:29], 0
.LBB256_399:
	s_mov_b32 s36, 0x7f800001
	s_branch .LBB256_406
.LBB256_400:
	s_movk_i32 s26, 0x80
	v_cmp_eq_u16_sdwa s[36:37], v8, s26 src0_sel:BYTE_0 src1_sel:DWORD
	s_mov_b64 s[26:27], -1
	s_and_saveexec_b64 s[30:31], s[36:37]
; %bb.401:
	s_xor_b64 s[26:27], exec, -1
; %bb.402:
	s_or_b64 exec, exec, s[30:31]
	s_and_b64 s[26:27], s[26:27], exec
	s_or_saveexec_b64 s[28:29], s[28:29]
	v_mov_b32_e32 v1, 0x7f800001
	s_xor_b64 exec, exec, s[28:29]
	s_cbranch_execz .LBB256_392
.LBB256_403:
	v_mov_b32_e32 v1, 0
	v_cmp_ne_u16_sdwa s[30:31], v8, v1 src0_sel:BYTE_0 src1_sel:DWORD
	s_andn2_b64 s[26:27], s[26:27], exec
	s_and_b64 s[30:31], s[30:31], exec
	s_or_b64 s[26:27], s[26:27], s[30:31]
	s_or_b64 exec, exec, s[28:29]
	s_and_saveexec_b64 s[28:29], s[26:27]
	s_cbranch_execnz .LBB256_393
	s_branch .LBB256_394
.LBB256_404:
	s_mov_b64 s[28:29], 0
	s_mov_b32 s36, 0x7f800001
	s_cbranch_execz .LBB256_406
; %bb.405:
	s_and_b32 s28, 0xffff, s34
	s_cmp_lg_u32 s28, 0
	s_mov_b32 s36, 0
	s_cselect_b64 s[28:29], -1, 0
.LBB256_406:
	s_andn2_b64 vcc, exec, s[28:29]
	s_cbranch_vccnz .LBB256_408
; %bb.407:
	s_mov_b32 s36, s33
.LBB256_408:
	s_movk_i32 s28, 0xff
	v_and_b32_sdwa v1, v2, s28 dst_sel:DWORD dst_unused:UNUSED_PAD src0_sel:WORD_1 src1_sel:DWORD
	s_movk_i32 s28, 0x7f
	v_cmp_lt_i16_e32 vcc, s28, v1
	s_mov_b64 s[28:29], 0
	s_and_saveexec_b64 s[30:31], vcc
	s_xor_b64 s[30:31], exec, s[30:31]
	s_cbranch_execnz .LBB256_418
; %bb.409:
	s_or_saveexec_b64 s[30:31], s[30:31]
	v_mov_b32_e32 v8, 0x7f800001
	s_xor_b64 exec, exec, s[30:31]
	s_cbranch_execnz .LBB256_421
.LBB256_410:
	s_or_b64 exec, exec, s[30:31]
	s_and_saveexec_b64 s[30:31], s[28:29]
	s_cbranch_execz .LBB256_412
.LBB256_411:
	v_mov_b32_e32 v9, 3
	v_and_b32_sdwa v9, v2, v9 dst_sel:DWORD dst_unused:UNUSED_PAD src0_sel:WORD_1 src1_sel:DWORD
	v_ffbh_u32_e32 v10, v9
	v_mov_b32_e32 v8, 2
	v_min_u32_e32 v10, 32, v10
	v_lshrrev_b16_sdwa v8, v8, v2 dst_sel:DWORD dst_unused:UNUSED_PAD src0_sel:DWORD src1_sel:WORD_1
	v_subrev_u32_e32 v11, 29, v10
	v_and_b32_e32 v8, 31, v8
	v_lshlrev_b32_sdwa v11, v11, v2 dst_sel:DWORD dst_unused:UNUSED_PAD src0_sel:DWORD src1_sel:WORD_1
	v_mov_b32_e32 v1, 24
	v_sub_u32_e32 v10, 30, v10
	v_and_b32_e32 v11, 3, v11
	v_cmp_eq_u32_e32 vcc, 0, v8
	v_lshlrev_b32_sdwa v1, v1, v2 dst_sel:DWORD dst_unused:UNUSED_PAD src0_sel:DWORD src1_sel:WORD_1
	v_cndmask_b32_e32 v8, v8, v10, vcc
	v_cndmask_b32_e32 v9, v9, v11, vcc
	v_mov_b32_e32 v10, 0x37800000
	v_lshlrev_b32_e32 v9, 21, v9
	v_and_b32_e32 v1, 0x80000000, v1
	v_lshl_add_u32 v8, v8, 23, v10
	v_or3_b32 v8, v1, v8, v9
.LBB256_412:
	s_or_b64 exec, exec, s[30:31]
	v_cmp_eq_f32_e64 s[28:29], s36, v8
	s_and_b64 vcc, exec, s[4:5]
	s_cbranch_vccz .LBB256_145
.LBB256_413:
                                        ; implicit-def: $sgpr30_sgpr31
	s_cbranch_execz .LBB256_162
; %bb.414:
	s_and_b32 s36, s14, 0xff
	s_cmpk_lt_i32 s36, 0x80
	s_cbranch_scc1 .LBB256_422
; %bb.415:
	s_and_b32 s30, 0xffff, s36
	s_cmpk_eq_i32 s30, 0x80
	s_mov_b64 s[30:31], -1
	s_cbranch_scc0 .LBB256_417
; %bb.416:
	s_mov_b64 s[30:31], 0
.LBB256_417:
	s_mov_b32 s38, 0x7f800001
	s_branch .LBB256_424
.LBB256_418:
	s_movk_i32 s28, 0x80
	v_cmp_eq_u16_e32 vcc, s28, v1
	s_mov_b64 s[28:29], -1
	s_and_saveexec_b64 s[34:35], vcc
; %bb.419:
	s_xor_b64 s[28:29], exec, -1
; %bb.420:
	s_or_b64 exec, exec, s[34:35]
	s_and_b64 s[28:29], s[28:29], exec
                                        ; implicit-def: $vgpr1
	s_or_saveexec_b64 s[30:31], s[30:31]
	v_mov_b32_e32 v8, 0x7f800001
	s_xor_b64 exec, exec, s[30:31]
	s_cbranch_execz .LBB256_410
.LBB256_421:
	v_cmp_ne_u16_e32 vcc, 0, v1
	s_andn2_b64 s[28:29], s[28:29], exec
	s_and_b64 s[34:35], vcc, exec
	v_mov_b32_e32 v8, 0
	s_or_b64 s[28:29], s[28:29], s[34:35]
	s_or_b64 exec, exec, s[30:31]
	s_and_saveexec_b64 s[30:31], s[28:29]
	s_cbranch_execnz .LBB256_411
	s_branch .LBB256_412
.LBB256_422:
	s_mov_b64 s[30:31], 0
	s_mov_b32 s38, 0x7f800001
	s_cbranch_execz .LBB256_424
; %bb.423:
	s_and_b32 s30, 0xffff, s36
	s_cmp_lg_u32 s30, 0
	s_mov_b32 s38, 0
	s_cselect_b64 s[30:31], -1, 0
.LBB256_424:
	s_andn2_b64 vcc, exec, s[30:31]
	s_cbranch_vccnz .LBB256_426
; %bb.425:
	s_mov_b32 s38, s33
.LBB256_426:
	s_movk_i32 s30, 0x7f
	v_cmp_gt_i16_sdwa s[34:35], v2, s30 src0_sel:BYTE_3 src1_sel:DWORD
	s_mov_b64 s[30:31], 0
	s_and_saveexec_b64 s[36:37], s[34:35]
	s_xor_b64 s[34:35], exec, s[36:37]
	s_cbranch_execnz .LBB256_436
; %bb.427:
	s_or_saveexec_b64 s[34:35], s[34:35]
	v_mov_b32_e32 v1, 0x7f800001
	s_xor_b64 exec, exec, s[34:35]
	s_cbranch_execnz .LBB256_439
.LBB256_428:
	s_or_b64 exec, exec, s[34:35]
	s_and_saveexec_b64 s[34:35], s[30:31]
	s_cbranch_execz .LBB256_430
.LBB256_429:
	v_mov_b32_e32 v1, 24
	s_mov_b32 s30, 0xffff
	v_lshlrev_b32_sdwa v1, v1, v2 dst_sel:DWORD dst_unused:UNUSED_PAD src0_sel:DWORD src1_sel:BYTE_3
	v_and_b32_sdwa v2, s30, v2 dst_sel:DWORD dst_unused:UNUSED_PAD src0_sel:DWORD src1_sel:BYTE_3
	v_and_b32_e32 v8, 3, v2
	v_ffbh_u32_e32 v10, v8
	v_min_u32_e32 v10, 32, v10
	v_subrev_u32_e32 v11, 29, v10
	v_bfe_u32 v9, v2, 2, 5
	v_lshlrev_b32_e32 v2, v11, v2
	v_sub_u32_e32 v10, 30, v10
	v_and_b32_e32 v2, 3, v2
	v_cmp_eq_u32_e32 vcc, 0, v9
	v_cndmask_b32_e32 v9, v9, v10, vcc
	v_cndmask_b32_e32 v2, v8, v2, vcc
	v_mov_b32_e32 v8, 0x37800000
	v_lshlrev_b32_e32 v2, 21, v2
	v_and_b32_e32 v1, 0x80000000, v1
	v_lshl_add_u32 v8, v9, 23, v8
	v_or3_b32 v1, v1, v8, v2
.LBB256_430:
	s_or_b64 exec, exec, s[34:35]
	v_cmp_eq_f32_e64 s[30:31], s38, v1
	s_and_b64 vcc, exec, s[4:5]
	s_cbranch_vccz .LBB256_163
.LBB256_431:
                                        ; implicit-def: $sgpr34_sgpr35
	s_cbranch_execz .LBB256_180
; %bb.432:
	s_and_b32 s38, s14, 0xff
	s_cmpk_lt_i32 s38, 0x80
	s_cbranch_scc1 .LBB256_440
; %bb.433:
	s_and_b32 s34, 0xffff, s38
	s_cmpk_eq_i32 s34, 0x80
	s_mov_b64 s[34:35], -1
	s_cbranch_scc0 .LBB256_435
; %bb.434:
	s_mov_b64 s[34:35], 0
.LBB256_435:
	s_mov_b32 s40, 0x7f800001
	s_branch .LBB256_442
.LBB256_436:
	s_movk_i32 s30, 0x80
	v_cmp_eq_u16_sdwa s[40:41], v2, s30 src0_sel:BYTE_3 src1_sel:DWORD
	s_mov_b64 s[30:31], -1
	s_and_saveexec_b64 s[36:37], s[40:41]
; %bb.437:
	s_xor_b64 s[30:31], exec, -1
; %bb.438:
	s_or_b64 exec, exec, s[36:37]
	s_and_b64 s[30:31], s[30:31], exec
	s_or_saveexec_b64 s[34:35], s[34:35]
	v_mov_b32_e32 v1, 0x7f800001
	s_xor_b64 exec, exec, s[34:35]
	s_cbranch_execz .LBB256_428
.LBB256_439:
	v_mov_b32_e32 v1, 0
	v_cmp_ne_u16_sdwa s[36:37], v2, v1 src0_sel:BYTE_3 src1_sel:DWORD
	s_andn2_b64 s[30:31], s[30:31], exec
	s_and_b64 s[36:37], s[36:37], exec
	s_or_b64 s[30:31], s[30:31], s[36:37]
	s_or_b64 exec, exec, s[34:35]
	s_and_saveexec_b64 s[34:35], s[30:31]
	s_cbranch_execnz .LBB256_429
	s_branch .LBB256_430
.LBB256_440:
	s_mov_b64 s[34:35], 0
	s_mov_b32 s40, 0x7f800001
	s_cbranch_execz .LBB256_442
; %bb.441:
	s_and_b32 s34, 0xffff, s38
	s_cmp_lg_u32 s34, 0
	s_mov_b32 s40, 0
	s_cselect_b64 s[34:35], -1, 0
.LBB256_442:
	s_andn2_b64 vcc, exec, s[34:35]
	s_cbranch_vccnz .LBB256_444
; %bb.443:
	s_mov_b32 s40, s33
.LBB256_444:
	s_movk_i32 s34, 0x7f
	v_cmp_gt_i16_sdwa s[36:37], v3, s34 src0_sel:BYTE_0 src1_sel:DWORD
	s_mov_b64 s[34:35], 0
	s_and_saveexec_b64 s[38:39], s[36:37]
	s_xor_b64 s[36:37], exec, s[38:39]
	s_cbranch_execnz .LBB256_454
; %bb.445:
	s_or_saveexec_b64 s[36:37], s[36:37]
	v_mov_b32_e32 v1, 0x7f800001
	s_xor_b64 exec, exec, s[36:37]
	s_cbranch_execnz .LBB256_457
.LBB256_446:
	s_or_b64 exec, exec, s[36:37]
	s_and_saveexec_b64 s[36:37], s[34:35]
	s_cbranch_execz .LBB256_448
.LBB256_447:
	v_and_b32_e32 v8, 3, v3
	v_ffbh_u32_e32 v9, v8
	v_min_u32_e32 v9, 32, v9
	v_lshrrev_b16_e32 v2, 2, v3
	v_subrev_u32_e32 v10, 29, v9
	v_and_b32_e32 v2, 31, v2
	v_lshlrev_b32_e32 v10, v10, v3
	v_sub_u32_e32 v9, 30, v9
	v_and_b32_e32 v10, 3, v10
	v_cmp_eq_u32_e32 vcc, 0, v2
	v_lshlrev_b32_e32 v1, 24, v3
	v_cndmask_b32_e32 v2, v2, v9, vcc
	v_cndmask_b32_e32 v8, v8, v10, vcc
	v_mov_b32_e32 v9, 0x37800000
	v_lshlrev_b32_e32 v8, 21, v8
	v_and_b32_e32 v1, 0x80000000, v1
	v_lshl_add_u32 v2, v2, 23, v9
	v_or3_b32 v1, v1, v2, v8
.LBB256_448:
	s_or_b64 exec, exec, s[36:37]
	v_cmp_eq_f32_e64 s[34:35], s40, v1
	s_and_b64 vcc, exec, s[4:5]
	s_cbranch_vccz .LBB256_181
.LBB256_449:
                                        ; implicit-def: $sgpr36_sgpr37
	s_cbranch_execz .LBB256_198
; %bb.450:
	s_and_b32 s40, s14, 0xff
	s_cmpk_lt_i32 s40, 0x80
	s_cbranch_scc1 .LBB256_458
; %bb.451:
	s_and_b32 s36, 0xffff, s40
	s_cmpk_eq_i32 s36, 0x80
	s_mov_b64 s[36:37], -1
	s_cbranch_scc0 .LBB256_453
; %bb.452:
	s_mov_b64 s[36:37], 0
.LBB256_453:
	s_mov_b32 s42, 0x7f800001
	s_branch .LBB256_460
.LBB256_454:
	s_movk_i32 s34, 0x80
	v_cmp_eq_u16_sdwa s[42:43], v3, s34 src0_sel:BYTE_0 src1_sel:DWORD
	s_mov_b64 s[34:35], -1
	s_and_saveexec_b64 s[38:39], s[42:43]
; %bb.455:
	s_xor_b64 s[34:35], exec, -1
; %bb.456:
	s_or_b64 exec, exec, s[38:39]
	s_and_b64 s[34:35], s[34:35], exec
	s_or_saveexec_b64 s[36:37], s[36:37]
	v_mov_b32_e32 v1, 0x7f800001
	s_xor_b64 exec, exec, s[36:37]
	s_cbranch_execz .LBB256_446
.LBB256_457:
	v_mov_b32_e32 v1, 0
	v_cmp_ne_u16_sdwa s[38:39], v3, v1 src0_sel:BYTE_0 src1_sel:DWORD
	s_andn2_b64 s[34:35], s[34:35], exec
	s_and_b64 s[38:39], s[38:39], exec
	s_or_b64 s[34:35], s[34:35], s[38:39]
	s_or_b64 exec, exec, s[36:37]
	s_and_saveexec_b64 s[36:37], s[34:35]
	s_cbranch_execnz .LBB256_447
	s_branch .LBB256_448
.LBB256_458:
	s_mov_b64 s[36:37], 0
	s_mov_b32 s42, 0x7f800001
	s_cbranch_execz .LBB256_460
; %bb.459:
	s_and_b32 s36, 0xffff, s40
	s_cmp_lg_u32 s36, 0
	s_mov_b32 s42, 0
	s_cselect_b64 s[36:37], -1, 0
.LBB256_460:
	s_andn2_b64 vcc, exec, s[36:37]
	s_cbranch_vccnz .LBB256_462
; %bb.461:
	s_mov_b32 s42, s33
.LBB256_462:
	s_movk_i32 s36, 0x7f
	v_cmp_gt_i16_sdwa s[38:39], v7, s36 src0_sel:BYTE_0 src1_sel:DWORD
	s_mov_b64 s[36:37], 0
	s_and_saveexec_b64 s[40:41], s[38:39]
	s_xor_b64 s[38:39], exec, s[40:41]
	s_cbranch_execnz .LBB256_472
; %bb.463:
	s_or_saveexec_b64 s[38:39], s[38:39]
	v_mov_b32_e32 v1, 0x7f800001
	s_xor_b64 exec, exec, s[38:39]
	s_cbranch_execnz .LBB256_475
.LBB256_464:
	s_or_b64 exec, exec, s[38:39]
	s_and_saveexec_b64 s[38:39], s[36:37]
	s_cbranch_execz .LBB256_466
.LBB256_465:
	v_and_b32_e32 v8, 3, v7
	v_ffbh_u32_e32 v9, v8
	v_min_u32_e32 v9, 32, v9
	v_lshrrev_b16_e32 v2, 2, v7
	v_subrev_u32_e32 v10, 29, v9
	v_lshlrev_b32_e32 v1, 24, v7
	v_and_b32_e32 v2, 31, v2
	v_lshlrev_b32_e32 v7, v10, v7
	v_sub_u32_e32 v9, 30, v9
	v_and_b32_e32 v7, 3, v7
	v_cmp_eq_u32_e32 vcc, 0, v2
	v_cndmask_b32_e32 v2, v2, v9, vcc
	v_cndmask_b32_e32 v7, v8, v7, vcc
	v_mov_b32_e32 v8, 0x37800000
	v_lshlrev_b32_e32 v7, 21, v7
	v_and_b32_e32 v1, 0x80000000, v1
	v_lshl_add_u32 v2, v2, 23, v8
	v_or3_b32 v1, v1, v2, v7
.LBB256_466:
	s_or_b64 exec, exec, s[38:39]
	v_cmp_eq_f32_e64 s[36:37], s42, v1
	s_and_b64 vcc, exec, s[4:5]
	s_cbranch_vccz .LBB256_199
.LBB256_467:
                                        ; implicit-def: $sgpr38_sgpr39
	s_cbranch_execz .LBB256_216
; %bb.468:
	s_and_b32 s42, s14, 0xff
	s_cmpk_lt_i32 s42, 0x80
	s_cbranch_scc1 .LBB256_476
; %bb.469:
	s_and_b32 s38, 0xffff, s42
	s_cmpk_eq_i32 s38, 0x80
	s_mov_b64 s[38:39], -1
	s_cbranch_scc0 .LBB256_471
; %bb.470:
	s_mov_b64 s[38:39], 0
.LBB256_471:
	s_mov_b32 s44, 0x7f800001
	s_branch .LBB256_478
.LBB256_472:
	s_movk_i32 s36, 0x80
	v_cmp_eq_u16_sdwa s[44:45], v7, s36 src0_sel:BYTE_0 src1_sel:DWORD
	s_mov_b64 s[36:37], -1
	s_and_saveexec_b64 s[40:41], s[44:45]
; %bb.473:
	s_xor_b64 s[36:37], exec, -1
; %bb.474:
	s_or_b64 exec, exec, s[40:41]
	s_and_b64 s[36:37], s[36:37], exec
	s_or_saveexec_b64 s[38:39], s[38:39]
	v_mov_b32_e32 v1, 0x7f800001
	s_xor_b64 exec, exec, s[38:39]
	s_cbranch_execz .LBB256_464
.LBB256_475:
	v_mov_b32_e32 v1, 0
	v_cmp_ne_u16_sdwa s[40:41], v7, v1 src0_sel:BYTE_0 src1_sel:DWORD
	s_andn2_b64 s[36:37], s[36:37], exec
	s_and_b64 s[40:41], s[40:41], exec
	s_or_b64 s[36:37], s[36:37], s[40:41]
	s_or_b64 exec, exec, s[38:39]
	s_and_saveexec_b64 s[38:39], s[36:37]
	s_cbranch_execnz .LBB256_465
	s_branch .LBB256_466
.LBB256_476:
	s_mov_b64 s[38:39], 0
	s_mov_b32 s44, 0x7f800001
	s_cbranch_execz .LBB256_478
; %bb.477:
	s_and_b32 s38, 0xffff, s42
	s_cmp_lg_u32 s38, 0
	s_mov_b32 s44, 0
	s_cselect_b64 s[38:39], -1, 0
.LBB256_478:
	s_andn2_b64 vcc, exec, s[38:39]
	s_cbranch_vccnz .LBB256_480
; %bb.479:
	s_mov_b32 s44, s33
.LBB256_480:
	s_movk_i32 s38, 0xff
	v_and_b32_sdwa v1, v3, s38 dst_sel:DWORD dst_unused:UNUSED_PAD src0_sel:WORD_1 src1_sel:DWORD
	s_movk_i32 s38, 0x7f
	v_cmp_lt_i16_e32 vcc, s38, v1
	s_mov_b64 s[38:39], 0
	s_and_saveexec_b64 s[40:41], vcc
	s_xor_b64 s[40:41], exec, s[40:41]
	s_cbranch_execnz .LBB256_490
; %bb.481:
	s_or_saveexec_b64 s[40:41], s[40:41]
	v_mov_b32_e32 v2, 0x7f800001
	s_xor_b64 exec, exec, s[40:41]
	s_cbranch_execnz .LBB256_493
.LBB256_482:
	s_or_b64 exec, exec, s[40:41]
	s_and_saveexec_b64 s[40:41], s[38:39]
	s_cbranch_execz .LBB256_484
.LBB256_483:
	v_mov_b32_e32 v7, 3
	v_and_b32_sdwa v7, v3, v7 dst_sel:DWORD dst_unused:UNUSED_PAD src0_sel:WORD_1 src1_sel:DWORD
	v_ffbh_u32_e32 v8, v7
	v_mov_b32_e32 v2, 2
	v_min_u32_e32 v8, 32, v8
	v_lshrrev_b16_sdwa v2, v2, v3 dst_sel:DWORD dst_unused:UNUSED_PAD src0_sel:DWORD src1_sel:WORD_1
	v_subrev_u32_e32 v9, 29, v8
	v_and_b32_e32 v2, 31, v2
	v_lshlrev_b32_sdwa v9, v9, v3 dst_sel:DWORD dst_unused:UNUSED_PAD src0_sel:DWORD src1_sel:WORD_1
	v_mov_b32_e32 v1, 24
	v_sub_u32_e32 v8, 30, v8
	v_and_b32_e32 v9, 3, v9
	v_cmp_eq_u32_e32 vcc, 0, v2
	v_lshlrev_b32_sdwa v1, v1, v3 dst_sel:DWORD dst_unused:UNUSED_PAD src0_sel:DWORD src1_sel:WORD_1
	v_cndmask_b32_e32 v2, v2, v8, vcc
	v_cndmask_b32_e32 v7, v7, v9, vcc
	v_mov_b32_e32 v8, 0x37800000
	v_lshlrev_b32_e32 v7, 21, v7
	v_and_b32_e32 v1, 0x80000000, v1
	v_lshl_add_u32 v2, v2, 23, v8
	v_or3_b32 v2, v1, v2, v7
.LBB256_484:
	s_or_b64 exec, exec, s[40:41]
	v_cmp_eq_f32_e64 s[38:39], s44, v2
	s_and_b64 vcc, exec, s[4:5]
	s_cbranch_vccz .LBB256_217
.LBB256_485:
                                        ; implicit-def: $sgpr40_sgpr41
	s_cbranch_execz .LBB256_234
; %bb.486:
	s_and_b32 s44, s14, 0xff
	s_cmpk_lt_i32 s44, 0x80
	s_cbranch_scc1 .LBB256_494
; %bb.487:
	s_and_b32 s40, 0xffff, s44
	s_cmpk_eq_i32 s40, 0x80
	s_mov_b64 s[40:41], -1
	s_cbranch_scc0 .LBB256_489
; %bb.488:
	s_mov_b64 s[40:41], 0
.LBB256_489:
	s_mov_b32 s46, 0x7f800001
	s_branch .LBB256_496
.LBB256_490:
	s_movk_i32 s38, 0x80
	v_cmp_eq_u16_e32 vcc, s38, v1
	s_mov_b64 s[38:39], -1
	s_and_saveexec_b64 s[42:43], vcc
; %bb.491:
	s_xor_b64 s[38:39], exec, -1
; %bb.492:
	s_or_b64 exec, exec, s[42:43]
	s_and_b64 s[38:39], s[38:39], exec
                                        ; implicit-def: $vgpr1
	s_or_saveexec_b64 s[40:41], s[40:41]
	v_mov_b32_e32 v2, 0x7f800001
	s_xor_b64 exec, exec, s[40:41]
	s_cbranch_execz .LBB256_482
.LBB256_493:
	v_cmp_ne_u16_e32 vcc, 0, v1
	s_andn2_b64 s[38:39], s[38:39], exec
	s_and_b64 s[42:43], vcc, exec
	v_mov_b32_e32 v2, 0
	s_or_b64 s[38:39], s[38:39], s[42:43]
	s_or_b64 exec, exec, s[40:41]
	s_and_saveexec_b64 s[40:41], s[38:39]
	s_cbranch_execnz .LBB256_483
	s_branch .LBB256_484
.LBB256_494:
	s_mov_b64 s[40:41], 0
	s_mov_b32 s46, 0x7f800001
	s_cbranch_execz .LBB256_496
; %bb.495:
	s_and_b32 s40, 0xffff, s44
	s_cmp_lg_u32 s40, 0
	s_mov_b32 s46, 0
	s_cselect_b64 s[40:41], -1, 0
.LBB256_496:
	s_andn2_b64 vcc, exec, s[40:41]
	s_cbranch_vccnz .LBB256_498
; %bb.497:
	s_mov_b32 s46, s33
.LBB256_498:
	s_movk_i32 s40, 0x7f
	v_cmp_gt_i16_sdwa s[42:43], v3, s40 src0_sel:BYTE_3 src1_sel:DWORD
	s_mov_b64 s[40:41], 0
	s_and_saveexec_b64 s[44:45], s[42:43]
	s_xor_b64 s[42:43], exec, s[44:45]
	s_cbranch_execnz .LBB256_508
; %bb.499:
	s_or_saveexec_b64 s[42:43], s[42:43]
	v_mov_b32_e32 v1, 0x7f800001
	s_xor_b64 exec, exec, s[42:43]
	s_cbranch_execnz .LBB256_511
.LBB256_500:
	s_or_b64 exec, exec, s[42:43]
	s_and_saveexec_b64 s[42:43], s[40:41]
	s_cbranch_execz .LBB256_502
.LBB256_501:
	s_mov_b32 s40, 0xffff
	v_mov_b32_e32 v1, 24
	v_and_b32_sdwa v2, s40, v3 dst_sel:DWORD dst_unused:UNUSED_PAD src0_sel:DWORD src1_sel:BYTE_3
	v_lshlrev_b32_sdwa v1, v1, v3 dst_sel:DWORD dst_unused:UNUSED_PAD src0_sel:DWORD src1_sel:BYTE_3
	v_and_b32_e32 v3, 3, v2
	v_ffbh_u32_e32 v8, v3
	v_min_u32_e32 v8, 32, v8
	v_subrev_u32_e32 v9, 29, v8
	v_bfe_u32 v7, v2, 2, 5
	v_lshlrev_b32_e32 v2, v9, v2
	v_sub_u32_e32 v8, 30, v8
	v_and_b32_e32 v2, 3, v2
	v_cmp_eq_u32_e32 vcc, 0, v7
	v_cndmask_b32_e32 v7, v7, v8, vcc
	v_cndmask_b32_e32 v2, v3, v2, vcc
	v_mov_b32_e32 v3, 0x37800000
	v_lshlrev_b32_e32 v2, 21, v2
	v_and_b32_e32 v1, 0x80000000, v1
	v_lshl_add_u32 v3, v7, 23, v3
	v_or3_b32 v1, v1, v3, v2
.LBB256_502:
	s_or_b64 exec, exec, s[42:43]
	v_cmp_eq_f32_e64 s[40:41], s46, v1
	s_and_b64 vcc, exec, s[4:5]
	s_cbranch_vccz .LBB256_235
.LBB256_503:
                                        ; implicit-def: $sgpr42_sgpr43
	s_cbranch_execz .LBB256_252
; %bb.504:
	s_and_b32 s46, s14, 0xff
	s_cmpk_lt_i32 s46, 0x80
	s_cbranch_scc1 .LBB256_512
; %bb.505:
	s_and_b32 s42, 0xffff, s46
	s_cmpk_eq_i32 s42, 0x80
	s_mov_b64 s[42:43], -1
	s_cbranch_scc0 .LBB256_507
; %bb.506:
	s_mov_b64 s[42:43], 0
.LBB256_507:
	s_mov_b32 s48, 0x7f800001
	s_branch .LBB256_514
.LBB256_508:
	s_movk_i32 s40, 0x80
	v_cmp_eq_u16_sdwa s[48:49], v3, s40 src0_sel:BYTE_3 src1_sel:DWORD
	s_mov_b64 s[40:41], -1
	s_and_saveexec_b64 s[44:45], s[48:49]
; %bb.509:
	s_xor_b64 s[40:41], exec, -1
; %bb.510:
	s_or_b64 exec, exec, s[44:45]
	s_and_b64 s[40:41], s[40:41], exec
	s_or_saveexec_b64 s[42:43], s[42:43]
	v_mov_b32_e32 v1, 0x7f800001
	s_xor_b64 exec, exec, s[42:43]
	s_cbranch_execz .LBB256_500
.LBB256_511:
	v_mov_b32_e32 v1, 0
	v_cmp_ne_u16_sdwa s[44:45], v3, v1 src0_sel:BYTE_3 src1_sel:DWORD
	s_andn2_b64 s[40:41], s[40:41], exec
	s_and_b64 s[44:45], s[44:45], exec
	s_or_b64 s[40:41], s[40:41], s[44:45]
	s_or_b64 exec, exec, s[42:43]
	s_and_saveexec_b64 s[42:43], s[40:41]
	s_cbranch_execnz .LBB256_501
	s_branch .LBB256_502
.LBB256_512:
	s_mov_b64 s[42:43], 0
	s_mov_b32 s48, 0x7f800001
	s_cbranch_execz .LBB256_514
; %bb.513:
	s_and_b32 s42, 0xffff, s46
	s_cmp_lg_u32 s42, 0
	s_mov_b32 s48, 0
	s_cselect_b64 s[42:43], -1, 0
.LBB256_514:
	s_andn2_b64 vcc, exec, s[42:43]
	s_cbranch_vccnz .LBB256_516
; %bb.515:
	s_mov_b32 s48, s33
.LBB256_516:
	s_movk_i32 s42, 0x7f
	v_cmp_gt_i16_sdwa s[44:45], v4, s42 src0_sel:BYTE_0 src1_sel:DWORD
	s_mov_b64 s[42:43], 0
	s_and_saveexec_b64 s[46:47], s[44:45]
	s_xor_b64 s[44:45], exec, s[46:47]
	s_cbranch_execnz .LBB256_526
; %bb.517:
	s_or_saveexec_b64 s[44:45], s[44:45]
	v_mov_b32_e32 v1, 0x7f800001
	s_xor_b64 exec, exec, s[44:45]
	s_cbranch_execnz .LBB256_529
.LBB256_518:
	s_or_b64 exec, exec, s[44:45]
	s_and_saveexec_b64 s[44:45], s[42:43]
	s_cbranch_execz .LBB256_520
.LBB256_519:
	v_and_b32_e32 v3, 3, v4
	v_ffbh_u32_e32 v7, v3
	v_min_u32_e32 v7, 32, v7
	v_lshrrev_b16_e32 v2, 2, v4
	v_subrev_u32_e32 v8, 29, v7
	v_and_b32_e32 v2, 31, v2
	v_lshlrev_b32_e32 v8, v8, v4
	v_sub_u32_e32 v7, 30, v7
	v_and_b32_e32 v8, 3, v8
	v_cmp_eq_u32_e32 vcc, 0, v2
	v_lshlrev_b32_e32 v1, 24, v4
	v_cndmask_b32_e32 v2, v2, v7, vcc
	v_cndmask_b32_e32 v3, v3, v8, vcc
	v_mov_b32_e32 v7, 0x37800000
	v_lshlrev_b32_e32 v3, 21, v3
	v_and_b32_e32 v1, 0x80000000, v1
	v_lshl_add_u32 v2, v2, 23, v7
	v_or3_b32 v1, v1, v2, v3
.LBB256_520:
	s_or_b64 exec, exec, s[44:45]
	v_cmp_eq_f32_e64 s[42:43], s48, v1
	s_and_b64 vcc, exec, s[4:5]
	s_cbranch_vccz .LBB256_253
.LBB256_521:
                                        ; implicit-def: $sgpr44_sgpr45
	s_cbranch_execz .LBB256_270
; %bb.522:
	s_and_b32 s48, s14, 0xff
	s_cmpk_lt_i32 s48, 0x80
	s_cbranch_scc1 .LBB256_530
; %bb.523:
	s_and_b32 s44, 0xffff, s48
	s_cmpk_eq_i32 s44, 0x80
	s_mov_b64 s[44:45], -1
	s_cbranch_scc0 .LBB256_525
; %bb.524:
	s_mov_b64 s[44:45], 0
.LBB256_525:
	s_mov_b32 s50, 0x7f800001
	s_branch .LBB256_532
.LBB256_526:
	s_movk_i32 s42, 0x80
	v_cmp_eq_u16_sdwa s[50:51], v4, s42 src0_sel:BYTE_0 src1_sel:DWORD
	s_mov_b64 s[42:43], -1
	s_and_saveexec_b64 s[46:47], s[50:51]
; %bb.527:
	s_xor_b64 s[42:43], exec, -1
; %bb.528:
	s_or_b64 exec, exec, s[46:47]
	s_and_b64 s[42:43], s[42:43], exec
	s_or_saveexec_b64 s[44:45], s[44:45]
	v_mov_b32_e32 v1, 0x7f800001
	s_xor_b64 exec, exec, s[44:45]
	s_cbranch_execz .LBB256_518
.LBB256_529:
	v_mov_b32_e32 v1, 0
	v_cmp_ne_u16_sdwa s[46:47], v4, v1 src0_sel:BYTE_0 src1_sel:DWORD
	s_andn2_b64 s[42:43], s[42:43], exec
	s_and_b64 s[46:47], s[46:47], exec
	s_or_b64 s[42:43], s[42:43], s[46:47]
	s_or_b64 exec, exec, s[44:45]
	s_and_saveexec_b64 s[44:45], s[42:43]
	s_cbranch_execnz .LBB256_519
	s_branch .LBB256_520
.LBB256_530:
	s_mov_b64 s[44:45], 0
	s_mov_b32 s50, 0x7f800001
	s_cbranch_execz .LBB256_532
; %bb.531:
	s_and_b32 s44, 0xffff, s48
	s_cmp_lg_u32 s44, 0
	s_mov_b32 s50, 0
	s_cselect_b64 s[44:45], -1, 0
.LBB256_532:
	s_andn2_b64 vcc, exec, s[44:45]
	s_cbranch_vccnz .LBB256_534
; %bb.533:
	s_mov_b32 s50, s33
.LBB256_534:
	s_movk_i32 s44, 0x7f
	v_cmp_gt_i16_sdwa s[46:47], v6, s44 src0_sel:BYTE_0 src1_sel:DWORD
	s_mov_b64 s[44:45], 0
	s_and_saveexec_b64 s[48:49], s[46:47]
	s_xor_b64 s[46:47], exec, s[48:49]
	s_cbranch_execnz .LBB256_544
; %bb.535:
	s_or_saveexec_b64 s[46:47], s[46:47]
	v_mov_b32_e32 v1, 0x7f800001
	s_xor_b64 exec, exec, s[46:47]
	s_cbranch_execnz .LBB256_547
.LBB256_536:
	s_or_b64 exec, exec, s[46:47]
	s_and_saveexec_b64 s[46:47], s[44:45]
	s_cbranch_execz .LBB256_538
.LBB256_537:
	v_and_b32_e32 v3, 3, v6
	v_ffbh_u32_e32 v7, v3
	v_min_u32_e32 v7, 32, v7
	v_lshrrev_b16_e32 v2, 2, v6
	v_subrev_u32_e32 v8, 29, v7
	v_lshlrev_b32_e32 v1, 24, v6
	v_and_b32_e32 v2, 31, v2
	v_lshlrev_b32_e32 v6, v8, v6
	v_sub_u32_e32 v7, 30, v7
	v_and_b32_e32 v6, 3, v6
	v_cmp_eq_u32_e32 vcc, 0, v2
	v_cndmask_b32_e32 v2, v2, v7, vcc
	v_cndmask_b32_e32 v3, v3, v6, vcc
	v_mov_b32_e32 v6, 0x37800000
	v_lshlrev_b32_e32 v3, 21, v3
	v_and_b32_e32 v1, 0x80000000, v1
	v_lshl_add_u32 v2, v2, 23, v6
	v_or3_b32 v1, v1, v2, v3
.LBB256_538:
	s_or_b64 exec, exec, s[46:47]
	v_cmp_eq_f32_e64 s[44:45], s50, v1
	s_and_b64 vcc, exec, s[4:5]
	s_cbranch_vccz .LBB256_271
.LBB256_539:
                                        ; implicit-def: $sgpr46_sgpr47
	s_cbranch_execz .LBB256_288
; %bb.540:
	s_and_b32 s50, s14, 0xff
	s_cmpk_lt_i32 s50, 0x80
	s_cbranch_scc1 .LBB256_548
; %bb.541:
	s_and_b32 s46, 0xffff, s50
	s_cmpk_eq_i32 s46, 0x80
	s_mov_b64 s[46:47], -1
	s_cbranch_scc0 .LBB256_543
; %bb.542:
	s_mov_b64 s[46:47], 0
.LBB256_543:
	s_mov_b32 s52, 0x7f800001
	s_branch .LBB256_550
.LBB256_544:
	s_movk_i32 s44, 0x80
	v_cmp_eq_u16_sdwa s[52:53], v6, s44 src0_sel:BYTE_0 src1_sel:DWORD
	s_mov_b64 s[44:45], -1
	s_and_saveexec_b64 s[48:49], s[52:53]
; %bb.545:
	s_xor_b64 s[44:45], exec, -1
; %bb.546:
	s_or_b64 exec, exec, s[48:49]
	s_and_b64 s[44:45], s[44:45], exec
	s_or_saveexec_b64 s[46:47], s[46:47]
	v_mov_b32_e32 v1, 0x7f800001
	s_xor_b64 exec, exec, s[46:47]
	s_cbranch_execz .LBB256_536
.LBB256_547:
	v_mov_b32_e32 v1, 0
	v_cmp_ne_u16_sdwa s[48:49], v6, v1 src0_sel:BYTE_0 src1_sel:DWORD
	s_andn2_b64 s[44:45], s[44:45], exec
	s_and_b64 s[48:49], s[48:49], exec
	s_or_b64 s[44:45], s[44:45], s[48:49]
	s_or_b64 exec, exec, s[46:47]
	s_and_saveexec_b64 s[46:47], s[44:45]
	s_cbranch_execnz .LBB256_537
	s_branch .LBB256_538
.LBB256_548:
	s_mov_b64 s[46:47], 0
	s_mov_b32 s52, 0x7f800001
	s_cbranch_execz .LBB256_550
; %bb.549:
	s_and_b32 s46, 0xffff, s50
	s_cmp_lg_u32 s46, 0
	s_mov_b32 s52, 0
	s_cselect_b64 s[46:47], -1, 0
.LBB256_550:
	s_andn2_b64 vcc, exec, s[46:47]
	s_cbranch_vccnz .LBB256_552
; %bb.551:
	s_mov_b32 s52, s33
.LBB256_552:
	s_movk_i32 s46, 0xff
	v_and_b32_sdwa v1, v4, s46 dst_sel:DWORD dst_unused:UNUSED_PAD src0_sel:WORD_1 src1_sel:DWORD
	s_movk_i32 s46, 0x7f
	v_cmp_lt_i16_e32 vcc, s46, v1
	s_mov_b64 s[46:47], 0
	s_and_saveexec_b64 s[48:49], vcc
	s_xor_b64 s[48:49], exec, s[48:49]
	s_cbranch_execnz .LBB256_562
; %bb.553:
	s_or_saveexec_b64 s[48:49], s[48:49]
	v_mov_b32_e32 v2, 0x7f800001
	s_xor_b64 exec, exec, s[48:49]
	s_cbranch_execnz .LBB256_565
.LBB256_554:
	s_or_b64 exec, exec, s[48:49]
	s_and_saveexec_b64 s[48:49], s[46:47]
	s_cbranch_execz .LBB256_556
.LBB256_555:
	v_mov_b32_e32 v3, 3
	v_and_b32_sdwa v3, v4, v3 dst_sel:DWORD dst_unused:UNUSED_PAD src0_sel:WORD_1 src1_sel:DWORD
	v_ffbh_u32_e32 v6, v3
	v_mov_b32_e32 v2, 2
	v_min_u32_e32 v6, 32, v6
	v_lshrrev_b16_sdwa v2, v2, v4 dst_sel:DWORD dst_unused:UNUSED_PAD src0_sel:DWORD src1_sel:WORD_1
	v_subrev_u32_e32 v7, 29, v6
	v_and_b32_e32 v2, 31, v2
	v_lshlrev_b32_sdwa v7, v7, v4 dst_sel:DWORD dst_unused:UNUSED_PAD src0_sel:DWORD src1_sel:WORD_1
	v_mov_b32_e32 v1, 24
	v_sub_u32_e32 v6, 30, v6
	v_and_b32_e32 v7, 3, v7
	v_cmp_eq_u32_e32 vcc, 0, v2
	v_lshlrev_b32_sdwa v1, v1, v4 dst_sel:DWORD dst_unused:UNUSED_PAD src0_sel:DWORD src1_sel:WORD_1
	v_cndmask_b32_e32 v2, v2, v6, vcc
	v_cndmask_b32_e32 v3, v3, v7, vcc
	v_mov_b32_e32 v6, 0x37800000
	v_lshlrev_b32_e32 v3, 21, v3
	v_and_b32_e32 v1, 0x80000000, v1
	v_lshl_add_u32 v2, v2, 23, v6
	v_or3_b32 v2, v1, v2, v3
.LBB256_556:
	s_or_b64 exec, exec, s[48:49]
	v_cmp_eq_f32_e64 s[46:47], s52, v2
	s_and_b64 vcc, exec, s[4:5]
	s_cbranch_vccz .LBB256_289
.LBB256_557:
                                        ; implicit-def: $sgpr4_sgpr5
	s_cbranch_execz .LBB256_575
; %bb.558:
	s_and_b32 s50, s14, 0xff
	s_cmpk_lt_i32 s50, 0x80
	s_cbranch_scc1 .LBB256_566
; %bb.559:
	s_and_b32 s4, 0xffff, s50
	s_cmpk_eq_i32 s4, 0x80
	s_mov_b64 s[4:5], -1
	s_cbranch_scc0 .LBB256_561
; %bb.560:
	s_mov_b64 s[4:5], 0
.LBB256_561:
	s_mov_b32 s52, 0x7f800001
	s_branch .LBB256_568
.LBB256_562:
	s_movk_i32 s46, 0x80
	v_cmp_eq_u16_e32 vcc, s46, v1
	s_mov_b64 s[46:47], -1
	s_and_saveexec_b64 s[50:51], vcc
; %bb.563:
	s_xor_b64 s[46:47], exec, -1
; %bb.564:
	s_or_b64 exec, exec, s[50:51]
	s_and_b64 s[46:47], s[46:47], exec
                                        ; implicit-def: $vgpr1
	s_or_saveexec_b64 s[48:49], s[48:49]
	v_mov_b32_e32 v2, 0x7f800001
	s_xor_b64 exec, exec, s[48:49]
	s_cbranch_execz .LBB256_554
.LBB256_565:
	v_cmp_ne_u16_e32 vcc, 0, v1
	s_andn2_b64 s[46:47], s[46:47], exec
	s_and_b64 s[50:51], vcc, exec
	v_mov_b32_e32 v2, 0
	s_or_b64 s[46:47], s[46:47], s[50:51]
	s_or_b64 exec, exec, s[48:49]
	s_and_saveexec_b64 s[48:49], s[46:47]
	s_cbranch_execnz .LBB256_555
	s_branch .LBB256_556
.LBB256_566:
	s_mov_b64 s[4:5], 0
	s_mov_b32 s52, 0x7f800001
	s_cbranch_execz .LBB256_568
; %bb.567:
	s_and_b32 s4, 0xffff, s50
	s_cmp_lg_u32 s4, 0
	s_mov_b32 s52, 0
	s_cselect_b64 s[4:5], -1, 0
.LBB256_568:
	s_andn2_b64 vcc, exec, s[4:5]
	s_cbranch_vccnz .LBB256_570
; %bb.569:
	s_mov_b32 s52, s33
.LBB256_570:
	s_movk_i32 s4, 0x7f
	v_cmp_gt_i16_sdwa s[48:49], v4, s4 src0_sel:BYTE_3 src1_sel:DWORD
	s_mov_b64 s[4:5], 0
	s_and_saveexec_b64 s[50:51], s[48:49]
	s_xor_b64 s[48:49], exec, s[50:51]
	s_cbranch_execnz .LBB256_577
; %bb.571:
	s_or_saveexec_b64 s[48:49], s[48:49]
	v_mov_b32_e32 v1, 0x7f800001
	s_xor_b64 exec, exec, s[48:49]
	s_cbranch_execnz .LBB256_580
.LBB256_572:
	s_or_b64 exec, exec, s[48:49]
	s_and_saveexec_b64 s[48:49], s[4:5]
	s_cbranch_execz .LBB256_574
.LBB256_573:
	s_mov_b32 s4, 0xffff
	v_and_b32_sdwa v2, s4, v4 dst_sel:DWORD dst_unused:UNUSED_PAD src0_sel:DWORD src1_sel:BYTE_3
	v_and_b32_e32 v3, 3, v2
	v_ffbh_u32_e32 v6, v3
	v_min_u32_e32 v6, 32, v6
	v_mov_b32_e32 v1, 24
	v_subrev_u32_e32 v7, 29, v6
	v_lshlrev_b32_sdwa v1, v1, v4 dst_sel:DWORD dst_unused:UNUSED_PAD src0_sel:DWORD src1_sel:BYTE_3
	v_bfe_u32 v4, v2, 2, 5
	v_lshlrev_b32_e32 v2, v7, v2
	v_sub_u32_e32 v6, 30, v6
	v_and_b32_e32 v2, 3, v2
	v_cmp_eq_u32_e32 vcc, 0, v4
	v_cndmask_b32_e32 v4, v4, v6, vcc
	v_cndmask_b32_e32 v2, v3, v2, vcc
	v_mov_b32_e32 v3, 0x37800000
	v_lshlrev_b32_e32 v2, 21, v2
	v_and_b32_e32 v1, 0x80000000, v1
	v_lshl_add_u32 v3, v4, 23, v3
	v_or3_b32 v1, v1, v3, v2
.LBB256_574:
	s_or_b64 exec, exec, s[48:49]
	v_cmp_eq_f32_e64 s[4:5], s52, v1
.LBB256_575:
	v_cndmask_b32_e64 v1, 0, 1, s[10:11]
	v_lshlrev_b16_e32 v1, 8, v1
	v_cndmask_b32_e64 v2, 0, 1, s[8:9]
	v_or_b32_e32 v1, v2, v1
	v_cndmask_b32_e64 v2, 0, 1, s[22:23]
	v_lshlrev_b16_e32 v2, 8, v2
	v_cndmask_b32_e64 v3, 0, 1, s[20:21]
	v_or_b32_sdwa v2, v3, v2 dst_sel:WORD_1 dst_unused:UNUSED_PAD src0_sel:DWORD src1_sel:DWORD
	v_or_b32_sdwa v1, v1, v2 dst_sel:DWORD dst_unused:UNUSED_PAD src0_sel:WORD_0 src1_sel:DWORD
	v_cndmask_b32_e64 v2, 0, 1, s[26:27]
	v_lshlrev_b16_e32 v2, 8, v2
	v_cndmask_b32_e64 v3, 0, 1, s[24:25]
	v_or_b32_e32 v2, v3, v2
	v_cndmask_b32_e64 v3, 0, 1, s[30:31]
	v_lshlrev_b16_e32 v3, 8, v3
	v_cndmask_b32_e64 v4, 0, 1, s[28:29]
	v_or_b32_sdwa v3, v4, v3 dst_sel:WORD_1 dst_unused:UNUSED_PAD src0_sel:DWORD src1_sel:DWORD
	v_or_b32_sdwa v2, v2, v3 dst_sel:DWORD dst_unused:UNUSED_PAD src0_sel:WORD_0 src1_sel:DWORD
	;; [unrolled: 9-line block ×3, first 2 shown]
	v_cndmask_b32_e64 v4, 0, 1, s[44:45]
	v_lshlrev_b16_e32 v4, 8, v4
	v_cndmask_b32_e64 v6, 0, 1, s[42:43]
	v_or_b32_e32 v4, v6, v4
	v_cndmask_b32_e64 v6, 0, 1, s[4:5]
	v_lshlrev_b16_e32 v6, 8, v6
	v_cndmask_b32_e64 v7, 0, 1, s[46:47]
	s_add_u32 s48, s16, s15
	v_or_b32_sdwa v6, v7, v6 dst_sel:WORD_1 dst_unused:UNUSED_PAD src0_sel:DWORD src1_sel:DWORD
	s_addc_u32 s49, s17, s12
	v_or_b32_sdwa v4, v4, v6 dst_sel:DWORD dst_unused:UNUSED_PAD src0_sel:WORD_0 src1_sel:DWORD
	global_store_dwordx4 v5, v[1:4], s[48:49]
	s_branch .LBB256_2
.LBB256_576:
	s_getpc_b64 s[4:5]
	s_add_u32 s4, s4, _ZN2at6native25elementwise_kernel_helperILb0ENS0_13AUnaryFunctorIN3c1015Float8_e5m2fnuzES4_bNS0_12_GLOBAL__N_116CompareEqFunctorIS4_EEEENS0_6memory8policies11unroll_baseILi256ESt5arrayIPcLm2EE23TrivialOffsetCalculatorILi1EjESG_NS9_15LoadWithoutCastENS9_16StoreWithoutCastELi16ELi1EEEEEvT0_T1_@rel32@lo+4
	s_addc_u32 s5, s5, _ZN2at6native25elementwise_kernel_helperILb0ENS0_13AUnaryFunctorIN3c1015Float8_e5m2fnuzES4_bNS0_12_GLOBAL__N_116CompareEqFunctorIS4_EEEENS0_6memory8policies11unroll_baseILi256ESt5arrayIPcLm2EE23TrivialOffsetCalculatorILi1EjESG_NS9_15LoadWithoutCastENS9_16StoreWithoutCastELi16ELi1EEEEEvT0_T1_@rel32@hi+12
	s_mov_b32 s12, s6
	v_mov_b32_e32 v31, v0
	v_mov_b32_e32 v0, s13
	;; [unrolled: 1-line block ×8, first 2 shown]
	s_swappc_b64 s[30:31], s[4:5]
	s_endpgm
.LBB256_577:
	s_movk_i32 s4, 0x80
	v_cmp_eq_u16_sdwa s[54:55], v4, s4 src0_sel:BYTE_3 src1_sel:DWORD
	s_mov_b64 s[4:5], -1
	s_and_saveexec_b64 s[50:51], s[54:55]
; %bb.578:
	s_xor_b64 s[4:5], exec, -1
; %bb.579:
	s_or_b64 exec, exec, s[50:51]
	s_and_b64 s[4:5], s[4:5], exec
	s_or_saveexec_b64 s[48:49], s[48:49]
	v_mov_b32_e32 v1, 0x7f800001
	s_xor_b64 exec, exec, s[48:49]
	s_cbranch_execz .LBB256_572
.LBB256_580:
	v_mov_b32_e32 v1, 0
	v_cmp_ne_u16_sdwa s[50:51], v4, v1 src0_sel:BYTE_3 src1_sel:DWORD
	s_andn2_b64 s[4:5], s[4:5], exec
	s_and_b64 s[50:51], s[50:51], exec
	s_or_b64 s[4:5], s[4:5], s[50:51]
	s_or_b64 exec, exec, s[48:49]
	s_and_saveexec_b64 s[48:49], s[4:5]
	s_cbranch_execnz .LBB256_573
	s_branch .LBB256_574
	.section	.rodata,"a",@progbits
	.p2align	6, 0x0
	.amdhsa_kernel _ZN2at6native29vectorized_elementwise_kernelILi16ENS0_13AUnaryFunctorIN3c1015Float8_e5m2fnuzES4_bNS0_12_GLOBAL__N_116CompareEqFunctorIS4_EEEESt5arrayIPcLm2EEEEviT0_T1_
		.amdhsa_group_segment_fixed_size 0
		.amdhsa_private_segment_fixed_size 0
		.amdhsa_kernarg_size 32
		.amdhsa_user_sgpr_count 6
		.amdhsa_user_sgpr_private_segment_buffer 1
		.amdhsa_user_sgpr_dispatch_ptr 0
		.amdhsa_user_sgpr_queue_ptr 0
		.amdhsa_user_sgpr_kernarg_segment_ptr 1
		.amdhsa_user_sgpr_dispatch_id 0
		.amdhsa_user_sgpr_flat_scratch_init 0
		.amdhsa_user_sgpr_private_segment_size 0
		.amdhsa_uses_dynamic_stack 0
		.amdhsa_system_sgpr_private_segment_wavefront_offset 0
		.amdhsa_system_sgpr_workgroup_id_x 1
		.amdhsa_system_sgpr_workgroup_id_y 0
		.amdhsa_system_sgpr_workgroup_id_z 0
		.amdhsa_system_sgpr_workgroup_info 0
		.amdhsa_system_vgpr_workitem_id 0
		.amdhsa_next_free_vgpr 32
		.amdhsa_next_free_sgpr 57
		.amdhsa_reserve_vcc 1
		.amdhsa_reserve_flat_scratch 0
		.amdhsa_float_round_mode_32 0
		.amdhsa_float_round_mode_16_64 0
		.amdhsa_float_denorm_mode_32 3
		.amdhsa_float_denorm_mode_16_64 3
		.amdhsa_dx10_clamp 1
		.amdhsa_ieee_mode 1
		.amdhsa_fp16_overflow 0
		.amdhsa_exception_fp_ieee_invalid_op 0
		.amdhsa_exception_fp_denorm_src 0
		.amdhsa_exception_fp_ieee_div_zero 0
		.amdhsa_exception_fp_ieee_overflow 0
		.amdhsa_exception_fp_ieee_underflow 0
		.amdhsa_exception_fp_ieee_inexact 0
		.amdhsa_exception_int_div_zero 0
	.end_amdhsa_kernel
	.section	.text._ZN2at6native29vectorized_elementwise_kernelILi16ENS0_13AUnaryFunctorIN3c1015Float8_e5m2fnuzES4_bNS0_12_GLOBAL__N_116CompareEqFunctorIS4_EEEESt5arrayIPcLm2EEEEviT0_T1_,"axG",@progbits,_ZN2at6native29vectorized_elementwise_kernelILi16ENS0_13AUnaryFunctorIN3c1015Float8_e5m2fnuzES4_bNS0_12_GLOBAL__N_116CompareEqFunctorIS4_EEEESt5arrayIPcLm2EEEEviT0_T1_,comdat
.Lfunc_end256:
	.size	_ZN2at6native29vectorized_elementwise_kernelILi16ENS0_13AUnaryFunctorIN3c1015Float8_e5m2fnuzES4_bNS0_12_GLOBAL__N_116CompareEqFunctorIS4_EEEESt5arrayIPcLm2EEEEviT0_T1_, .Lfunc_end256-_ZN2at6native29vectorized_elementwise_kernelILi16ENS0_13AUnaryFunctorIN3c1015Float8_e5m2fnuzES4_bNS0_12_GLOBAL__N_116CompareEqFunctorIS4_EEEESt5arrayIPcLm2EEEEviT0_T1_
                                        ; -- End function
	.set _ZN2at6native29vectorized_elementwise_kernelILi16ENS0_13AUnaryFunctorIN3c1015Float8_e5m2fnuzES4_bNS0_12_GLOBAL__N_116CompareEqFunctorIS4_EEEESt5arrayIPcLm2EEEEviT0_T1_.num_vgpr, max(32, .L_ZN2at6native25elementwise_kernel_helperILb0ENS0_13AUnaryFunctorIN3c1015Float8_e5m2fnuzES4_bNS0_12_GLOBAL__N_116CompareEqFunctorIS4_EEEENS0_6memory8policies11unroll_baseILi256ESt5arrayIPcLm2EE23TrivialOffsetCalculatorILi1EjESG_NS9_15LoadWithoutCastENS9_16StoreWithoutCastELi16ELi1EEEEEvT0_T1_.num_vgpr)
	.set _ZN2at6native29vectorized_elementwise_kernelILi16ENS0_13AUnaryFunctorIN3c1015Float8_e5m2fnuzES4_bNS0_12_GLOBAL__N_116CompareEqFunctorIS4_EEEESt5arrayIPcLm2EEEEviT0_T1_.num_agpr, max(0, .L_ZN2at6native25elementwise_kernel_helperILb0ENS0_13AUnaryFunctorIN3c1015Float8_e5m2fnuzES4_bNS0_12_GLOBAL__N_116CompareEqFunctorIS4_EEEENS0_6memory8policies11unroll_baseILi256ESt5arrayIPcLm2EE23TrivialOffsetCalculatorILi1EjESG_NS9_15LoadWithoutCastENS9_16StoreWithoutCastELi16ELi1EEEEEvT0_T1_.num_agpr)
	.set _ZN2at6native29vectorized_elementwise_kernelILi16ENS0_13AUnaryFunctorIN3c1015Float8_e5m2fnuzES4_bNS0_12_GLOBAL__N_116CompareEqFunctorIS4_EEEESt5arrayIPcLm2EEEEviT0_T1_.numbered_sgpr, max(56, .L_ZN2at6native25elementwise_kernel_helperILb0ENS0_13AUnaryFunctorIN3c1015Float8_e5m2fnuzES4_bNS0_12_GLOBAL__N_116CompareEqFunctorIS4_EEEENS0_6memory8policies11unroll_baseILi256ESt5arrayIPcLm2EE23TrivialOffsetCalculatorILi1EjESG_NS9_15LoadWithoutCastENS9_16StoreWithoutCastELi16ELi1EEEEEvT0_T1_.numbered_sgpr)
	.set _ZN2at6native29vectorized_elementwise_kernelILi16ENS0_13AUnaryFunctorIN3c1015Float8_e5m2fnuzES4_bNS0_12_GLOBAL__N_116CompareEqFunctorIS4_EEEESt5arrayIPcLm2EEEEviT0_T1_.num_named_barrier, max(0, .L_ZN2at6native25elementwise_kernel_helperILb0ENS0_13AUnaryFunctorIN3c1015Float8_e5m2fnuzES4_bNS0_12_GLOBAL__N_116CompareEqFunctorIS4_EEEENS0_6memory8policies11unroll_baseILi256ESt5arrayIPcLm2EE23TrivialOffsetCalculatorILi1EjESG_NS9_15LoadWithoutCastENS9_16StoreWithoutCastELi16ELi1EEEEEvT0_T1_.num_named_barrier)
	.set _ZN2at6native29vectorized_elementwise_kernelILi16ENS0_13AUnaryFunctorIN3c1015Float8_e5m2fnuzES4_bNS0_12_GLOBAL__N_116CompareEqFunctorIS4_EEEESt5arrayIPcLm2EEEEviT0_T1_.private_seg_size, 0+max(.L_ZN2at6native25elementwise_kernel_helperILb0ENS0_13AUnaryFunctorIN3c1015Float8_e5m2fnuzES4_bNS0_12_GLOBAL__N_116CompareEqFunctorIS4_EEEENS0_6memory8policies11unroll_baseILi256ESt5arrayIPcLm2EE23TrivialOffsetCalculatorILi1EjESG_NS9_15LoadWithoutCastENS9_16StoreWithoutCastELi16ELi1EEEEEvT0_T1_.private_seg_size)
	.set _ZN2at6native29vectorized_elementwise_kernelILi16ENS0_13AUnaryFunctorIN3c1015Float8_e5m2fnuzES4_bNS0_12_GLOBAL__N_116CompareEqFunctorIS4_EEEESt5arrayIPcLm2EEEEviT0_T1_.uses_vcc, or(1, .L_ZN2at6native25elementwise_kernel_helperILb0ENS0_13AUnaryFunctorIN3c1015Float8_e5m2fnuzES4_bNS0_12_GLOBAL__N_116CompareEqFunctorIS4_EEEENS0_6memory8policies11unroll_baseILi256ESt5arrayIPcLm2EE23TrivialOffsetCalculatorILi1EjESG_NS9_15LoadWithoutCastENS9_16StoreWithoutCastELi16ELi1EEEEEvT0_T1_.uses_vcc)
	.set _ZN2at6native29vectorized_elementwise_kernelILi16ENS0_13AUnaryFunctorIN3c1015Float8_e5m2fnuzES4_bNS0_12_GLOBAL__N_116CompareEqFunctorIS4_EEEESt5arrayIPcLm2EEEEviT0_T1_.uses_flat_scratch, or(0, .L_ZN2at6native25elementwise_kernel_helperILb0ENS0_13AUnaryFunctorIN3c1015Float8_e5m2fnuzES4_bNS0_12_GLOBAL__N_116CompareEqFunctorIS4_EEEENS0_6memory8policies11unroll_baseILi256ESt5arrayIPcLm2EE23TrivialOffsetCalculatorILi1EjESG_NS9_15LoadWithoutCastENS9_16StoreWithoutCastELi16ELi1EEEEEvT0_T1_.uses_flat_scratch)
	.set _ZN2at6native29vectorized_elementwise_kernelILi16ENS0_13AUnaryFunctorIN3c1015Float8_e5m2fnuzES4_bNS0_12_GLOBAL__N_116CompareEqFunctorIS4_EEEESt5arrayIPcLm2EEEEviT0_T1_.has_dyn_sized_stack, or(0, .L_ZN2at6native25elementwise_kernel_helperILb0ENS0_13AUnaryFunctorIN3c1015Float8_e5m2fnuzES4_bNS0_12_GLOBAL__N_116CompareEqFunctorIS4_EEEENS0_6memory8policies11unroll_baseILi256ESt5arrayIPcLm2EE23TrivialOffsetCalculatorILi1EjESG_NS9_15LoadWithoutCastENS9_16StoreWithoutCastELi16ELi1EEEEEvT0_T1_.has_dyn_sized_stack)
	.set _ZN2at6native29vectorized_elementwise_kernelILi16ENS0_13AUnaryFunctorIN3c1015Float8_e5m2fnuzES4_bNS0_12_GLOBAL__N_116CompareEqFunctorIS4_EEEESt5arrayIPcLm2EEEEviT0_T1_.has_recursion, or(0, .L_ZN2at6native25elementwise_kernel_helperILb0ENS0_13AUnaryFunctorIN3c1015Float8_e5m2fnuzES4_bNS0_12_GLOBAL__N_116CompareEqFunctorIS4_EEEENS0_6memory8policies11unroll_baseILi256ESt5arrayIPcLm2EE23TrivialOffsetCalculatorILi1EjESG_NS9_15LoadWithoutCastENS9_16StoreWithoutCastELi16ELi1EEEEEvT0_T1_.has_recursion)
	.set _ZN2at6native29vectorized_elementwise_kernelILi16ENS0_13AUnaryFunctorIN3c1015Float8_e5m2fnuzES4_bNS0_12_GLOBAL__N_116CompareEqFunctorIS4_EEEESt5arrayIPcLm2EEEEviT0_T1_.has_indirect_call, or(0, .L_ZN2at6native25elementwise_kernel_helperILb0ENS0_13AUnaryFunctorIN3c1015Float8_e5m2fnuzES4_bNS0_12_GLOBAL__N_116CompareEqFunctorIS4_EEEENS0_6memory8policies11unroll_baseILi256ESt5arrayIPcLm2EE23TrivialOffsetCalculatorILi1EjESG_NS9_15LoadWithoutCastENS9_16StoreWithoutCastELi16ELi1EEEEEvT0_T1_.has_indirect_call)
	.section	.AMDGPU.csdata,"",@progbits
; Kernel info:
; codeLenInByte = 12540
; TotalNumSgprs: 61
; NumVgprs: 32
; ScratchSize: 0
; MemoryBound: 0
; FloatMode: 240
; IeeeMode: 1
; LDSByteSize: 0 bytes/workgroup (compile time only)
; SGPRBlocks: 7
; VGPRBlocks: 7
; NumSGPRsForWavesPerEU: 61
; NumVGPRsForWavesPerEU: 32
; Occupancy: 8
; WaveLimiterHint : 0
; COMPUTE_PGM_RSRC2:SCRATCH_EN: 0
; COMPUTE_PGM_RSRC2:USER_SGPR: 6
; COMPUTE_PGM_RSRC2:TRAP_HANDLER: 0
; COMPUTE_PGM_RSRC2:TGID_X_EN: 1
; COMPUTE_PGM_RSRC2:TGID_Y_EN: 0
; COMPUTE_PGM_RSRC2:TGID_Z_EN: 0
; COMPUTE_PGM_RSRC2:TIDIG_COMP_CNT: 0
	.section	.text._ZN2at6native29vectorized_elementwise_kernelILi8ENS0_13AUnaryFunctorIN3c1015Float8_e5m2fnuzES4_bNS0_12_GLOBAL__N_116CompareEqFunctorIS4_EEEESt5arrayIPcLm2EEEEviT0_T1_,"axG",@progbits,_ZN2at6native29vectorized_elementwise_kernelILi8ENS0_13AUnaryFunctorIN3c1015Float8_e5m2fnuzES4_bNS0_12_GLOBAL__N_116CompareEqFunctorIS4_EEEESt5arrayIPcLm2EEEEviT0_T1_,comdat
	.globl	_ZN2at6native29vectorized_elementwise_kernelILi8ENS0_13AUnaryFunctorIN3c1015Float8_e5m2fnuzES4_bNS0_12_GLOBAL__N_116CompareEqFunctorIS4_EEEESt5arrayIPcLm2EEEEviT0_T1_ ; -- Begin function _ZN2at6native29vectorized_elementwise_kernelILi8ENS0_13AUnaryFunctorIN3c1015Float8_e5m2fnuzES4_bNS0_12_GLOBAL__N_116CompareEqFunctorIS4_EEEESt5arrayIPcLm2EEEEviT0_T1_
	.p2align	8
	.type	_ZN2at6native29vectorized_elementwise_kernelILi8ENS0_13AUnaryFunctorIN3c1015Float8_e5m2fnuzES4_bNS0_12_GLOBAL__N_116CompareEqFunctorIS4_EEEESt5arrayIPcLm2EEEEviT0_T1_,@function
_ZN2at6native29vectorized_elementwise_kernelILi8ENS0_13AUnaryFunctorIN3c1015Float8_e5m2fnuzES4_bNS0_12_GLOBAL__N_116CompareEqFunctorIS4_EEEESt5arrayIPcLm2EEEEviT0_T1_: ; @_ZN2at6native29vectorized_elementwise_kernelILi8ENS0_13AUnaryFunctorIN3c1015Float8_e5m2fnuzES4_bNS0_12_GLOBAL__N_116CompareEqFunctorIS4_EEEESt5arrayIPcLm2EEEEviT0_T1_
; %bb.0:
	s_load_dwordx8 s[12:19], s[4:5], 0x0
	s_add_u32 s0, s0, s7
	s_addc_u32 s1, s1, 0
	s_waitcnt lgkmcnt(0)
	s_lshl_b32 s15, s6, 12
	s_mov_b64 s[4:5], -1
	s_sub_i32 s7, s12, s15
	s_cmpk_gt_i32 s7, 0xfff
	s_mov_b32 s32, 0
	s_cbranch_scc1 .LBB257_3
; %bb.1:
	s_and_b64 vcc, exec, s[4:5]
	s_cbranch_vccnz .LBB257_576
.LBB257_2:
	s_endpgm
.LBB257_3:
	s_ashr_i32 s12, s15, 31
	s_add_u32 s4, s18, s15
	s_addc_u32 s5, s19, s12
	v_lshlrev_b32_e32 v5, 3, v0
	global_load_dwordx2 v[3:4], v5, s[4:5]
	global_load_dwordx2 v[1:2], v5, s[4:5] offset:2048
	s_cmp_lg_u32 s13, 0
	s_cselect_b64 s[10:11], -1, 0
	s_and_b32 s4, s14, 3
	s_flbit_i32_b32 s8, s4
	s_min_u32 s8, s8, 32
	s_sub_i32 s9, s8, 29
	s_lshl_b32 s9, s14, s9
	s_bfe_u32 s5, s14, 0x50002
	s_sub_i32 s8, 30, s8
	s_and_b32 s9, s9, 3
	s_cmp_eq_u32 s5, 0
	s_cselect_b32 s5, s8, s5
	s_cselect_b32 s4, s9, s4
	s_lshl_b32 s8, s14, 24
	s_lshl_b32 s5, s5, 23
	s_and_b32 s8, s8, 0x80000000
	s_add_i32 s5, s5, 0x37800000
	s_lshl_b32 s4, s4, 21
	s_or_b32 s5, s8, s5
	s_or_b32 s33, s5, s4
	s_and_b64 vcc, exec, s[10:11]
	s_cbranch_vccz .LBB257_8
; %bb.4:
	s_and_b32 s20, s14, 0xff
	s_cmpk_lt_i32 s20, 0x80
	s_cbranch_scc1 .LBB257_9
; %bb.5:
	s_and_b32 s4, 0xffff, s20
	s_cmpk_eq_i32 s4, 0x80
	s_mov_b64 s[4:5], -1
	s_cbranch_scc0 .LBB257_7
; %bb.6:
	s_mov_b64 s[4:5], 0
.LBB257_7:
	s_mov_b32 s22, 0x7f800001
	s_branch .LBB257_11
.LBB257_8:
                                        ; implicit-def: $sgpr8_sgpr9
	s_cbranch_execnz .LBB257_18
	s_branch .LBB257_35
.LBB257_9:
	s_mov_b64 s[4:5], 0
	s_mov_b32 s22, 0x7f800001
	s_cbranch_execz .LBB257_11
; %bb.10:
	s_and_b32 s4, 0xffff, s20
	s_cmp_lg_u32 s4, 0
	s_mov_b32 s22, 0
	s_cselect_b64 s[4:5], -1, 0
.LBB257_11:
	s_andn2_b64 vcc, exec, s[4:5]
	s_cbranch_vccnz .LBB257_13
; %bb.12:
	s_mov_b32 s22, s33
.LBB257_13:
	s_movk_i32 s4, 0x7f
	s_waitcnt vmcnt(1)
	v_cmp_gt_i16_sdwa s[8:9], v3, s4 src0_sel:BYTE_0 src1_sel:DWORD
	s_mov_b64 s[4:5], 0
	s_and_saveexec_b64 s[20:21], s[8:9]
	s_xor_b64 s[8:9], exec, s[20:21]
	s_cbranch_execnz .LBB257_22
; %bb.14:
	s_or_saveexec_b64 s[8:9], s[8:9]
	v_mov_b32_e32 v6, 0x7f800001
	s_xor_b64 exec, exec, s[8:9]
	s_cbranch_execnz .LBB257_25
.LBB257_15:
	s_or_b64 exec, exec, s[8:9]
	s_and_saveexec_b64 s[8:9], s[4:5]
	s_cbranch_execz .LBB257_17
.LBB257_16:
	v_and_b32_e32 v6, 3, v3
	v_ffbh_u32_e32 v8, v6
	v_min_u32_e32 v8, 32, v8
	v_subrev_u32_e32 v9, 29, v8
	v_bfe_u32 v7, v3, 2, 5
	v_lshlrev_b32_e32 v9, v9, v3
	v_sub_u32_e32 v8, 30, v8
	v_and_b32_e32 v9, 3, v9
	v_cmp_eq_u32_e32 vcc, 0, v7
	v_cndmask_b32_e32 v7, v7, v8, vcc
	v_cndmask_b32_e32 v6, v6, v9, vcc
	v_lshlrev_b32_e32 v8, 24, v3
	v_mov_b32_e32 v9, 0x37800000
	v_lshlrev_b32_e32 v6, 21, v6
	v_and_b32_e32 v8, 0x80000000, v8
	v_lshl_add_u32 v7, v7, 23, v9
	v_or3_b32 v6, v8, v7, v6
.LBB257_17:
	s_or_b64 exec, exec, s[8:9]
	v_cmp_neq_f32_e64 s[8:9], s22, v6
	s_branch .LBB257_35
.LBB257_18:
	s_and_b32 s20, s14, 0xff
	s_cmpk_lt_i32 s20, 0x80
	s_cbranch_scc1 .LBB257_26
; %bb.19:
	s_and_b32 s4, 0xffff, s20
	s_cmpk_eq_i32 s4, 0x80
	s_mov_b64 s[4:5], -1
	s_cbranch_scc0 .LBB257_21
; %bb.20:
	s_mov_b64 s[4:5], 0
.LBB257_21:
	s_mov_b32 s22, 0x7f800001
	s_branch .LBB257_28
.LBB257_22:
	s_movk_i32 s4, 0x80
	v_cmp_eq_u16_sdwa s[24:25], v3, s4 src0_sel:BYTE_0 src1_sel:DWORD
	s_mov_b64 s[4:5], -1
	s_and_saveexec_b64 s[20:21], s[24:25]
; %bb.23:
	s_xor_b64 s[4:5], exec, -1
; %bb.24:
	s_or_b64 exec, exec, s[20:21]
	s_and_b64 s[4:5], s[4:5], exec
	s_or_saveexec_b64 s[8:9], s[8:9]
	v_mov_b32_e32 v6, 0x7f800001
	s_xor_b64 exec, exec, s[8:9]
	s_cbranch_execz .LBB257_15
.LBB257_25:
	v_mov_b32_e32 v6, 0
	v_cmp_ne_u16_sdwa s[20:21], v3, v6 src0_sel:BYTE_0 src1_sel:DWORD
	s_andn2_b64 s[4:5], s[4:5], exec
	s_and_b64 s[20:21], s[20:21], exec
	s_or_b64 s[4:5], s[4:5], s[20:21]
	s_or_b64 exec, exec, s[8:9]
	s_and_saveexec_b64 s[8:9], s[4:5]
	s_cbranch_execnz .LBB257_16
	s_branch .LBB257_17
.LBB257_26:
	s_mov_b64 s[4:5], 0
	s_mov_b32 s22, 0x7f800001
	s_cbranch_execz .LBB257_28
; %bb.27:
	s_and_b32 s4, 0xffff, s20
	s_cmp_lg_u32 s4, 0
	s_mov_b32 s22, 0
	s_cselect_b64 s[4:5], -1, 0
.LBB257_28:
	s_andn2_b64 vcc, exec, s[4:5]
	s_cbranch_vccnz .LBB257_30
; %bb.29:
	s_mov_b32 s22, s33
.LBB257_30:
	s_movk_i32 s4, 0x7f
	s_waitcnt vmcnt(1)
	v_cmp_gt_i16_sdwa s[8:9], v3, s4 src0_sel:BYTE_0 src1_sel:DWORD
	s_mov_b64 s[4:5], 0
	s_and_saveexec_b64 s[20:21], s[8:9]
	s_xor_b64 s[8:9], exec, s[20:21]
	s_cbranch_execnz .LBB257_310
; %bb.31:
	s_or_saveexec_b64 s[8:9], s[8:9]
	v_mov_b32_e32 v6, 0x7f800001
	s_xor_b64 exec, exec, s[8:9]
	s_cbranch_execnz .LBB257_313
.LBB257_32:
	s_or_b64 exec, exec, s[8:9]
	s_and_saveexec_b64 s[8:9], s[4:5]
	s_cbranch_execz .LBB257_34
.LBB257_33:
	v_and_b32_e32 v6, 3, v3
	v_ffbh_u32_e32 v8, v6
	v_min_u32_e32 v8, 32, v8
	v_subrev_u32_e32 v9, 29, v8
	v_bfe_u32 v7, v3, 2, 5
	v_lshlrev_b32_e32 v9, v9, v3
	v_sub_u32_e32 v8, 30, v8
	v_and_b32_e32 v9, 3, v9
	v_cmp_eq_u32_e32 vcc, 0, v7
	v_cndmask_b32_e32 v7, v7, v8, vcc
	v_cndmask_b32_e32 v6, v6, v9, vcc
	v_lshlrev_b32_e32 v8, 24, v3
	v_mov_b32_e32 v9, 0x37800000
	v_lshlrev_b32_e32 v6, 21, v6
	v_and_b32_e32 v8, 0x80000000, v8
	v_lshl_add_u32 v7, v7, 23, v9
	v_or3_b32 v6, v8, v7, v6
.LBB257_34:
	s_or_b64 exec, exec, s[8:9]
	v_cmp_eq_f32_e64 s[8:9], s22, v6
.LBB257_35:
	v_cndmask_b32_e64 v6, 0, 1, s[10:11]
	v_cmp_ne_u32_e64 s[4:5], 1, v6
	s_andn2_b64 vcc, exec, s[10:11]
	s_waitcnt vmcnt(1)
	v_lshrrev_b32_e32 v6, 8, v3
	s_cbranch_vccnz .LBB257_40
; %bb.36:
	s_and_b32 s22, s14, 0xff
	s_cmpk_lt_i32 s22, 0x80
	s_cbranch_scc1 .LBB257_46
; %bb.37:
	s_and_b32 s10, 0xffff, s22
	s_cmpk_eq_i32 s10, 0x80
	s_mov_b64 s[10:11], -1
	s_cbranch_scc0 .LBB257_39
; %bb.38:
	s_mov_b64 s[10:11], 0
.LBB257_39:
	s_mov_b32 s24, 0x7f800001
	s_branch .LBB257_48
.LBB257_40:
                                        ; implicit-def: $sgpr10_sgpr11
	s_cbranch_execnz .LBB257_55
.LBB257_41:
	s_and_b64 vcc, exec, s[4:5]
	s_cbranch_vccnz .LBB257_323
.LBB257_42:
	s_and_b32 s24, s14, 0xff
	s_cmpk_lt_i32 s24, 0x80
	s_cbranch_scc1 .LBB257_59
; %bb.43:
	s_and_b32 s20, 0xffff, s24
	s_cmpk_eq_i32 s20, 0x80
	s_mov_b64 s[20:21], -1
	s_cbranch_scc0 .LBB257_45
; %bb.44:
	s_mov_b64 s[20:21], 0
.LBB257_45:
	s_mov_b32 s26, 0x7f800001
	s_branch .LBB257_61
.LBB257_46:
	s_mov_b64 s[10:11], 0
	s_mov_b32 s24, 0x7f800001
	s_cbranch_execz .LBB257_48
; %bb.47:
	s_and_b32 s10, 0xffff, s22
	s_cmp_lg_u32 s10, 0
	s_mov_b32 s24, 0
	s_cselect_b64 s[10:11], -1, 0
.LBB257_48:
	s_andn2_b64 vcc, exec, s[10:11]
	s_cbranch_vccnz .LBB257_50
; %bb.49:
	s_mov_b32 s24, s33
.LBB257_50:
	s_movk_i32 s10, 0x7f
	v_cmp_gt_i16_sdwa s[20:21], v6, s10 src0_sel:BYTE_0 src1_sel:DWORD
	s_mov_b64 s[10:11], 0
	s_and_saveexec_b64 s[22:23], s[20:21]
	s_xor_b64 s[20:21], exec, s[22:23]
	s_cbranch_execnz .LBB257_73
; %bb.51:
	s_or_saveexec_b64 s[20:21], s[20:21]
	v_mov_b32_e32 v7, 0x7f800001
	s_xor_b64 exec, exec, s[20:21]
	s_cbranch_execnz .LBB257_76
.LBB257_52:
	s_or_b64 exec, exec, s[20:21]
	s_and_saveexec_b64 s[20:21], s[10:11]
	s_cbranch_execz .LBB257_54
.LBB257_53:
	v_bfe_u32 v7, v3, 8, 2
	v_ffbh_u32_e32 v9, v7
	v_min_u32_e32 v9, 32, v9
	v_subrev_u32_e32 v10, 29, v9
	v_bfe_u32 v8, v3, 10, 5
	v_lshlrev_b32_e32 v10, v10, v6
	v_sub_u32_e32 v9, 30, v9
	v_and_b32_e32 v10, 3, v10
	v_cmp_eq_u32_e32 vcc, 0, v8
	v_cndmask_b32_e32 v8, v8, v9, vcc
	v_cndmask_b32_e32 v7, v7, v10, vcc
	v_lshlrev_b32_e32 v9, 24, v6
	v_mov_b32_e32 v10, 0x37800000
	v_lshlrev_b32_e32 v7, 21, v7
	v_and_b32_e32 v9, 0x80000000, v9
	v_lshl_add_u32 v8, v8, 23, v10
	v_or3_b32 v7, v9, v8, v7
.LBB257_54:
	s_or_b64 exec, exec, s[20:21]
	v_cmp_neq_f32_e64 s[10:11], s24, v7
	s_branch .LBB257_41
.LBB257_55:
	s_and_b32 s22, s14, 0xff
	s_cmpk_lt_i32 s22, 0x80
	s_cbranch_scc1 .LBB257_314
; %bb.56:
	s_and_b32 s10, 0xffff, s22
	s_cmpk_eq_i32 s10, 0x80
	s_mov_b64 s[10:11], -1
	s_cbranch_scc0 .LBB257_58
; %bb.57:
	s_mov_b64 s[10:11], 0
.LBB257_58:
	s_mov_b32 s24, 0x7f800001
	s_branch .LBB257_316
.LBB257_59:
	s_mov_b64 s[20:21], 0
	s_mov_b32 s26, 0x7f800001
	s_cbranch_execz .LBB257_61
; %bb.60:
	s_and_b32 s20, 0xffff, s24
	s_cmp_lg_u32 s20, 0
	s_mov_b32 s26, 0
	s_cselect_b64 s[20:21], -1, 0
.LBB257_61:
	s_andn2_b64 vcc, exec, s[20:21]
	s_cbranch_vccnz .LBB257_63
; %bb.62:
	s_mov_b32 s26, s33
.LBB257_63:
	s_movk_i32 s20, 0xff
	v_and_b32_sdwa v6, v3, s20 dst_sel:DWORD dst_unused:UNUSED_PAD src0_sel:WORD_1 src1_sel:DWORD
	s_movk_i32 s20, 0x7f
	v_cmp_lt_i16_e32 vcc, s20, v6
	s_mov_b64 s[20:21], 0
	s_and_saveexec_b64 s[22:23], vcc
	s_xor_b64 s[22:23], exec, s[22:23]
	s_cbranch_execnz .LBB257_77
; %bb.64:
	s_or_saveexec_b64 s[22:23], s[22:23]
	v_mov_b32_e32 v7, 0x7f800001
	s_xor_b64 exec, exec, s[22:23]
	s_cbranch_execnz .LBB257_80
.LBB257_65:
	s_or_b64 exec, exec, s[22:23]
	s_and_saveexec_b64 s[22:23], s[20:21]
	s_cbranch_execz .LBB257_67
.LBB257_66:
	v_bfe_u32 v6, v3, 16, 2
	v_ffbh_u32_e32 v8, v6
	v_min_u32_e32 v8, 32, v8
	v_bfe_u32 v7, v3, 18, 5
	v_subrev_u32_e32 v9, 29, v8
	v_lshlrev_b32_sdwa v9, v9, v3 dst_sel:DWORD dst_unused:UNUSED_PAD src0_sel:DWORD src1_sel:WORD_1
	v_sub_u32_e32 v8, 30, v8
	v_cmp_eq_u32_e32 vcc, 0, v7
	v_and_b32_e32 v9, 3, v9
	v_cndmask_b32_e32 v7, v7, v8, vcc
	v_mov_b32_e32 v8, 24
	v_cndmask_b32_e32 v6, v6, v9, vcc
	v_lshlrev_b32_sdwa v8, v8, v3 dst_sel:DWORD dst_unused:UNUSED_PAD src0_sel:DWORD src1_sel:WORD_1
	v_mov_b32_e32 v9, 0x37800000
	v_lshlrev_b32_e32 v6, 21, v6
	v_and_b32_e32 v8, 0x80000000, v8
	v_lshl_add_u32 v7, v7, 23, v9
	v_or3_b32 v7, v8, v7, v6
.LBB257_67:
	s_or_b64 exec, exec, s[22:23]
	v_cmp_neq_f32_e64 s[20:21], s26, v7
.LBB257_68:
	s_and_b64 vcc, exec, s[4:5]
	s_cbranch_vccnz .LBB257_341
.LBB257_69:
	s_and_b32 s26, s14, 0xff
	s_cmpk_lt_i32 s26, 0x80
	s_cbranch_scc1 .LBB257_81
; %bb.70:
	s_and_b32 s22, 0xffff, s26
	s_cmpk_eq_i32 s22, 0x80
	s_mov_b64 s[22:23], -1
	s_cbranch_scc0 .LBB257_72
; %bb.71:
	s_mov_b64 s[22:23], 0
.LBB257_72:
	s_mov_b32 s28, 0x7f800001
	s_branch .LBB257_83
.LBB257_73:
	s_movk_i32 s10, 0x80
	v_cmp_eq_u16_sdwa s[26:27], v6, s10 src0_sel:BYTE_0 src1_sel:DWORD
	s_mov_b64 s[10:11], -1
	s_and_saveexec_b64 s[22:23], s[26:27]
; %bb.74:
	s_xor_b64 s[10:11], exec, -1
; %bb.75:
	s_or_b64 exec, exec, s[22:23]
	s_and_b64 s[10:11], s[10:11], exec
	s_or_saveexec_b64 s[20:21], s[20:21]
	v_mov_b32_e32 v7, 0x7f800001
	s_xor_b64 exec, exec, s[20:21]
	s_cbranch_execz .LBB257_52
.LBB257_76:
	v_mov_b32_e32 v7, 0
	v_cmp_ne_u16_sdwa s[22:23], v6, v7 src0_sel:BYTE_0 src1_sel:DWORD
	s_andn2_b64 s[10:11], s[10:11], exec
	s_and_b64 s[22:23], s[22:23], exec
	s_or_b64 s[10:11], s[10:11], s[22:23]
	s_or_b64 exec, exec, s[20:21]
	s_and_saveexec_b64 s[20:21], s[10:11]
	s_cbranch_execnz .LBB257_53
	s_branch .LBB257_54
.LBB257_77:
	s_movk_i32 s20, 0x80
	v_cmp_eq_u16_e32 vcc, s20, v6
	s_mov_b64 s[20:21], -1
	s_and_saveexec_b64 s[24:25], vcc
; %bb.78:
	s_xor_b64 s[20:21], exec, -1
; %bb.79:
	s_or_b64 exec, exec, s[24:25]
	s_and_b64 s[20:21], s[20:21], exec
                                        ; implicit-def: $vgpr6
	s_or_saveexec_b64 s[22:23], s[22:23]
	v_mov_b32_e32 v7, 0x7f800001
	s_xor_b64 exec, exec, s[22:23]
	s_cbranch_execz .LBB257_65
.LBB257_80:
	v_cmp_ne_u16_e32 vcc, 0, v6
	s_andn2_b64 s[20:21], s[20:21], exec
	s_and_b64 s[24:25], vcc, exec
	v_mov_b32_e32 v7, 0
	s_or_b64 s[20:21], s[20:21], s[24:25]
	s_or_b64 exec, exec, s[22:23]
	s_and_saveexec_b64 s[22:23], s[20:21]
	s_cbranch_execnz .LBB257_66
	s_branch .LBB257_67
.LBB257_81:
	s_mov_b64 s[22:23], 0
	s_mov_b32 s28, 0x7f800001
	s_cbranch_execz .LBB257_83
; %bb.82:
	s_and_b32 s22, 0xffff, s26
	s_cmp_lg_u32 s22, 0
	s_mov_b32 s28, 0
	s_cselect_b64 s[22:23], -1, 0
.LBB257_83:
	s_andn2_b64 vcc, exec, s[22:23]
	s_cbranch_vccnz .LBB257_85
; %bb.84:
	s_mov_b32 s28, s33
.LBB257_85:
	s_movk_i32 s22, 0x7f
	v_cmp_gt_i16_sdwa s[24:25], v3, s22 src0_sel:BYTE_3 src1_sel:DWORD
	s_mov_b64 s[22:23], 0
	s_and_saveexec_b64 s[26:27], s[24:25]
	s_xor_b64 s[24:25], exec, s[26:27]
	s_cbranch_execnz .LBB257_95
; %bb.86:
	s_or_saveexec_b64 s[24:25], s[24:25]
	v_mov_b32_e32 v6, 0x7f800001
	s_xor_b64 exec, exec, s[24:25]
	s_cbranch_execnz .LBB257_98
.LBB257_87:
	s_or_b64 exec, exec, s[24:25]
	s_and_saveexec_b64 s[24:25], s[22:23]
	s_cbranch_execz .LBB257_89
.LBB257_88:
	v_bfe_u32 v6, v3, 24, 2
	v_ffbh_u32_e32 v8, v6
	v_min_u32_e32 v8, 32, v8
	v_subrev_u32_e32 v9, 29, v8
	v_bfe_u32 v7, v3, 26, 5
	v_lshlrev_b32_sdwa v9, v9, v3 dst_sel:DWORD dst_unused:UNUSED_PAD src0_sel:DWORD src1_sel:BYTE_3
	v_sub_u32_e32 v8, 30, v8
	v_and_b32_e32 v9, 3, v9
	v_cmp_eq_u32_e32 vcc, 0, v7
	v_cndmask_b32_e32 v7, v7, v8, vcc
	v_cndmask_b32_e32 v6, v6, v9, vcc
	v_mov_b32_e32 v9, 0x37800000
	v_lshlrev_b32_e32 v6, 21, v6
	v_and_b32_e32 v8, 0x80000000, v3
	v_lshl_add_u32 v7, v7, 23, v9
	v_or3_b32 v6, v8, v7, v6
.LBB257_89:
	s_or_b64 exec, exec, s[24:25]
	v_cmp_neq_f32_e64 s[22:23], s28, v6
.LBB257_90:
	s_and_b64 vcc, exec, s[4:5]
	s_cbranch_vccnz .LBB257_359
.LBB257_91:
	s_and_b32 s28, s14, 0xff
	s_cmpk_lt_i32 s28, 0x80
	s_cbranch_scc1 .LBB257_99
; %bb.92:
	s_and_b32 s24, 0xffff, s28
	s_cmpk_eq_i32 s24, 0x80
	s_mov_b64 s[24:25], -1
	s_cbranch_scc0 .LBB257_94
; %bb.93:
	s_mov_b64 s[24:25], 0
.LBB257_94:
	s_mov_b32 s30, 0x7f800001
	s_branch .LBB257_101
.LBB257_95:
	s_movk_i32 s22, 0x80
	v_cmp_eq_u16_sdwa s[30:31], v3, s22 src0_sel:BYTE_3 src1_sel:DWORD
	s_mov_b64 s[22:23], -1
	s_and_saveexec_b64 s[26:27], s[30:31]
; %bb.96:
	s_xor_b64 s[22:23], exec, -1
; %bb.97:
	s_or_b64 exec, exec, s[26:27]
	s_and_b64 s[22:23], s[22:23], exec
	s_or_saveexec_b64 s[24:25], s[24:25]
	v_mov_b32_e32 v6, 0x7f800001
	s_xor_b64 exec, exec, s[24:25]
	s_cbranch_execz .LBB257_87
.LBB257_98:
	v_mov_b32_e32 v6, 0
	v_cmp_ne_u16_sdwa s[26:27], v3, v6 src0_sel:BYTE_3 src1_sel:DWORD
	s_andn2_b64 s[22:23], s[22:23], exec
	s_and_b64 s[26:27], s[26:27], exec
	s_or_b64 s[22:23], s[22:23], s[26:27]
	s_or_b64 exec, exec, s[24:25]
	s_and_saveexec_b64 s[24:25], s[22:23]
	s_cbranch_execnz .LBB257_88
	s_branch .LBB257_89
.LBB257_99:
	s_mov_b64 s[24:25], 0
	s_mov_b32 s30, 0x7f800001
	s_cbranch_execz .LBB257_101
; %bb.100:
	s_and_b32 s24, 0xffff, s28
	s_cmp_lg_u32 s24, 0
	s_mov_b32 s30, 0
	s_cselect_b64 s[24:25], -1, 0
.LBB257_101:
	s_andn2_b64 vcc, exec, s[24:25]
	s_cbranch_vccnz .LBB257_103
; %bb.102:
	s_mov_b32 s30, s33
.LBB257_103:
	s_movk_i32 s24, 0x7f
	v_cmp_gt_i16_sdwa s[26:27], v4, s24 src0_sel:BYTE_0 src1_sel:DWORD
	s_mov_b64 s[24:25], 0
	s_and_saveexec_b64 s[28:29], s[26:27]
	s_xor_b64 s[26:27], exec, s[28:29]
	s_cbranch_execnz .LBB257_113
; %bb.104:
	s_or_saveexec_b64 s[26:27], s[26:27]
	v_mov_b32_e32 v3, 0x7f800001
	s_xor_b64 exec, exec, s[26:27]
	s_cbranch_execnz .LBB257_116
.LBB257_105:
	s_or_b64 exec, exec, s[26:27]
	s_and_saveexec_b64 s[26:27], s[24:25]
	s_cbranch_execz .LBB257_107
.LBB257_106:
	v_and_b32_e32 v3, 3, v4
	v_ffbh_u32_e32 v7, v3
	v_min_u32_e32 v7, 32, v7
	v_subrev_u32_e32 v8, 29, v7
	v_bfe_u32 v6, v4, 2, 5
	v_lshlrev_b32_e32 v8, v8, v4
	v_sub_u32_e32 v7, 30, v7
	v_and_b32_e32 v8, 3, v8
	v_cmp_eq_u32_e32 vcc, 0, v6
	v_cndmask_b32_e32 v6, v6, v7, vcc
	v_cndmask_b32_e32 v3, v3, v8, vcc
	v_lshlrev_b32_e32 v7, 24, v4
	v_mov_b32_e32 v8, 0x37800000
	v_lshlrev_b32_e32 v3, 21, v3
	v_and_b32_e32 v7, 0x80000000, v7
	v_lshl_add_u32 v6, v6, 23, v8
	v_or3_b32 v3, v7, v6, v3
.LBB257_107:
	s_or_b64 exec, exec, s[26:27]
	v_cmp_neq_f32_e64 s[24:25], s30, v3
.LBB257_108:
	s_and_b64 vcc, exec, s[4:5]
	v_lshrrev_b32_e32 v3, 8, v4
	s_cbranch_vccnz .LBB257_377
.LBB257_109:
	s_and_b32 s30, s14, 0xff
	s_cmpk_lt_i32 s30, 0x80
	s_cbranch_scc1 .LBB257_117
; %bb.110:
	s_and_b32 s26, 0xffff, s30
	s_cmpk_eq_i32 s26, 0x80
	s_mov_b64 s[26:27], -1
	s_cbranch_scc0 .LBB257_112
; %bb.111:
	s_mov_b64 s[26:27], 0
.LBB257_112:
	s_mov_b32 s34, 0x7f800001
	s_branch .LBB257_119
.LBB257_113:
	s_movk_i32 s24, 0x80
	v_cmp_eq_u16_sdwa s[34:35], v4, s24 src0_sel:BYTE_0 src1_sel:DWORD
	s_mov_b64 s[24:25], -1
	s_and_saveexec_b64 s[28:29], s[34:35]
; %bb.114:
	s_xor_b64 s[24:25], exec, -1
; %bb.115:
	s_or_b64 exec, exec, s[28:29]
	s_and_b64 s[24:25], s[24:25], exec
	s_or_saveexec_b64 s[26:27], s[26:27]
	v_mov_b32_e32 v3, 0x7f800001
	s_xor_b64 exec, exec, s[26:27]
	s_cbranch_execz .LBB257_105
.LBB257_116:
	v_mov_b32_e32 v3, 0
	v_cmp_ne_u16_sdwa s[28:29], v4, v3 src0_sel:BYTE_0 src1_sel:DWORD
	s_andn2_b64 s[24:25], s[24:25], exec
	s_and_b64 s[28:29], s[28:29], exec
	s_or_b64 s[24:25], s[24:25], s[28:29]
	s_or_b64 exec, exec, s[26:27]
	s_and_saveexec_b64 s[26:27], s[24:25]
	s_cbranch_execnz .LBB257_106
	s_branch .LBB257_107
.LBB257_117:
	s_mov_b64 s[26:27], 0
	s_mov_b32 s34, 0x7f800001
	s_cbranch_execz .LBB257_119
; %bb.118:
	s_and_b32 s26, 0xffff, s30
	s_cmp_lg_u32 s26, 0
	s_mov_b32 s34, 0
	s_cselect_b64 s[26:27], -1, 0
.LBB257_119:
	s_andn2_b64 vcc, exec, s[26:27]
	s_cbranch_vccnz .LBB257_121
; %bb.120:
	s_mov_b32 s34, s33
.LBB257_121:
	s_movk_i32 s26, 0x7f
	v_cmp_gt_i16_sdwa s[28:29], v3, s26 src0_sel:BYTE_0 src1_sel:DWORD
	s_mov_b64 s[26:27], 0
	s_and_saveexec_b64 s[30:31], s[28:29]
	s_xor_b64 s[28:29], exec, s[30:31]
	s_cbranch_execnz .LBB257_131
; %bb.122:
	s_or_saveexec_b64 s[28:29], s[28:29]
	v_mov_b32_e32 v6, 0x7f800001
	s_xor_b64 exec, exec, s[28:29]
	s_cbranch_execnz .LBB257_134
.LBB257_123:
	s_or_b64 exec, exec, s[28:29]
	s_and_saveexec_b64 s[28:29], s[26:27]
	s_cbranch_execz .LBB257_125
.LBB257_124:
	v_bfe_u32 v6, v4, 8, 2
	v_ffbh_u32_e32 v8, v6
	v_min_u32_e32 v8, 32, v8
	v_subrev_u32_e32 v9, 29, v8
	v_bfe_u32 v7, v4, 10, 5
	v_lshlrev_b32_e32 v9, v9, v3
	v_sub_u32_e32 v8, 30, v8
	v_and_b32_e32 v9, 3, v9
	v_cmp_eq_u32_e32 vcc, 0, v7
	v_cndmask_b32_e32 v7, v7, v8, vcc
	v_cndmask_b32_e32 v6, v6, v9, vcc
	v_lshlrev_b32_e32 v8, 24, v3
	v_mov_b32_e32 v9, 0x37800000
	v_lshlrev_b32_e32 v6, 21, v6
	v_and_b32_e32 v8, 0x80000000, v8
	v_lshl_add_u32 v7, v7, 23, v9
	v_or3_b32 v6, v8, v7, v6
.LBB257_125:
	s_or_b64 exec, exec, s[28:29]
	v_cmp_neq_f32_e64 s[26:27], s34, v6
.LBB257_126:
	s_and_b64 vcc, exec, s[4:5]
	s_cbranch_vccnz .LBB257_395
.LBB257_127:
	s_and_b32 s34, s14, 0xff
	s_cmpk_lt_i32 s34, 0x80
	s_cbranch_scc1 .LBB257_135
; %bb.128:
	s_and_b32 s28, 0xffff, s34
	s_cmpk_eq_i32 s28, 0x80
	s_mov_b64 s[28:29], -1
	s_cbranch_scc0 .LBB257_130
; %bb.129:
	s_mov_b64 s[28:29], 0
.LBB257_130:
	s_mov_b32 s36, 0x7f800001
	s_branch .LBB257_137
.LBB257_131:
	s_movk_i32 s26, 0x80
	v_cmp_eq_u16_sdwa s[36:37], v3, s26 src0_sel:BYTE_0 src1_sel:DWORD
	s_mov_b64 s[26:27], -1
	s_and_saveexec_b64 s[30:31], s[36:37]
; %bb.132:
	s_xor_b64 s[26:27], exec, -1
; %bb.133:
	s_or_b64 exec, exec, s[30:31]
	s_and_b64 s[26:27], s[26:27], exec
	s_or_saveexec_b64 s[28:29], s[28:29]
	v_mov_b32_e32 v6, 0x7f800001
	s_xor_b64 exec, exec, s[28:29]
	s_cbranch_execz .LBB257_123
.LBB257_134:
	v_mov_b32_e32 v6, 0
	v_cmp_ne_u16_sdwa s[30:31], v3, v6 src0_sel:BYTE_0 src1_sel:DWORD
	s_andn2_b64 s[26:27], s[26:27], exec
	s_and_b64 s[30:31], s[30:31], exec
	s_or_b64 s[26:27], s[26:27], s[30:31]
	s_or_b64 exec, exec, s[28:29]
	s_and_saveexec_b64 s[28:29], s[26:27]
	s_cbranch_execnz .LBB257_124
	s_branch .LBB257_125
.LBB257_135:
	s_mov_b64 s[28:29], 0
	s_mov_b32 s36, 0x7f800001
	s_cbranch_execz .LBB257_137
; %bb.136:
	s_and_b32 s28, 0xffff, s34
	s_cmp_lg_u32 s28, 0
	s_mov_b32 s36, 0
	s_cselect_b64 s[28:29], -1, 0
.LBB257_137:
	s_andn2_b64 vcc, exec, s[28:29]
	s_cbranch_vccnz .LBB257_139
; %bb.138:
	s_mov_b32 s36, s33
.LBB257_139:
	s_movk_i32 s28, 0xff
	v_and_b32_sdwa v3, v4, s28 dst_sel:DWORD dst_unused:UNUSED_PAD src0_sel:WORD_1 src1_sel:DWORD
	s_movk_i32 s28, 0x7f
	v_cmp_lt_i16_e32 vcc, s28, v3
	s_mov_b64 s[28:29], 0
	s_and_saveexec_b64 s[30:31], vcc
	s_xor_b64 s[30:31], exec, s[30:31]
	s_cbranch_execnz .LBB257_149
; %bb.140:
	s_or_saveexec_b64 s[30:31], s[30:31]
	v_mov_b32_e32 v6, 0x7f800001
	s_xor_b64 exec, exec, s[30:31]
	s_cbranch_execnz .LBB257_152
.LBB257_141:
	s_or_b64 exec, exec, s[30:31]
	s_and_saveexec_b64 s[30:31], s[28:29]
	s_cbranch_execz .LBB257_143
.LBB257_142:
	v_bfe_u32 v3, v4, 16, 2
	v_ffbh_u32_e32 v7, v3
	v_min_u32_e32 v7, 32, v7
	v_bfe_u32 v6, v4, 18, 5
	v_subrev_u32_e32 v8, 29, v7
	v_lshlrev_b32_sdwa v8, v8, v4 dst_sel:DWORD dst_unused:UNUSED_PAD src0_sel:DWORD src1_sel:WORD_1
	v_sub_u32_e32 v7, 30, v7
	v_cmp_eq_u32_e32 vcc, 0, v6
	v_and_b32_e32 v8, 3, v8
	v_cndmask_b32_e32 v6, v6, v7, vcc
	v_mov_b32_e32 v7, 24
	v_cndmask_b32_e32 v3, v3, v8, vcc
	v_lshlrev_b32_sdwa v7, v7, v4 dst_sel:DWORD dst_unused:UNUSED_PAD src0_sel:DWORD src1_sel:WORD_1
	v_mov_b32_e32 v8, 0x37800000
	v_lshlrev_b32_e32 v3, 21, v3
	v_and_b32_e32 v7, 0x80000000, v7
	v_lshl_add_u32 v6, v6, 23, v8
	v_or3_b32 v6, v7, v6, v3
.LBB257_143:
	s_or_b64 exec, exec, s[30:31]
	v_cmp_neq_f32_e64 s[28:29], s36, v6
.LBB257_144:
	s_and_b64 vcc, exec, s[4:5]
	s_cbranch_vccnz .LBB257_413
.LBB257_145:
	s_and_b32 s36, s14, 0xff
	s_cmpk_lt_i32 s36, 0x80
	s_cbranch_scc1 .LBB257_153
; %bb.146:
	s_and_b32 s30, 0xffff, s36
	s_cmpk_eq_i32 s30, 0x80
	s_mov_b64 s[30:31], -1
	s_cbranch_scc0 .LBB257_148
; %bb.147:
	s_mov_b64 s[30:31], 0
.LBB257_148:
	s_mov_b32 s38, 0x7f800001
	s_branch .LBB257_155
.LBB257_149:
	s_movk_i32 s28, 0x80
	v_cmp_eq_u16_e32 vcc, s28, v3
	s_mov_b64 s[28:29], -1
	s_and_saveexec_b64 s[34:35], vcc
; %bb.150:
	s_xor_b64 s[28:29], exec, -1
; %bb.151:
	s_or_b64 exec, exec, s[34:35]
	s_and_b64 s[28:29], s[28:29], exec
                                        ; implicit-def: $vgpr3
	s_or_saveexec_b64 s[30:31], s[30:31]
	v_mov_b32_e32 v6, 0x7f800001
	s_xor_b64 exec, exec, s[30:31]
	s_cbranch_execz .LBB257_141
.LBB257_152:
	v_cmp_ne_u16_e32 vcc, 0, v3
	s_andn2_b64 s[28:29], s[28:29], exec
	s_and_b64 s[34:35], vcc, exec
	v_mov_b32_e32 v6, 0
	s_or_b64 s[28:29], s[28:29], s[34:35]
	s_or_b64 exec, exec, s[30:31]
	s_and_saveexec_b64 s[30:31], s[28:29]
	s_cbranch_execnz .LBB257_142
	s_branch .LBB257_143
.LBB257_153:
	s_mov_b64 s[30:31], 0
	s_mov_b32 s38, 0x7f800001
	s_cbranch_execz .LBB257_155
; %bb.154:
	s_and_b32 s30, 0xffff, s36
	s_cmp_lg_u32 s30, 0
	s_mov_b32 s38, 0
	s_cselect_b64 s[30:31], -1, 0
.LBB257_155:
	s_andn2_b64 vcc, exec, s[30:31]
	s_cbranch_vccnz .LBB257_157
; %bb.156:
	s_mov_b32 s38, s33
.LBB257_157:
	s_movk_i32 s30, 0x7f
	v_cmp_gt_i16_sdwa s[34:35], v4, s30 src0_sel:BYTE_3 src1_sel:DWORD
	s_mov_b64 s[30:31], 0
	s_and_saveexec_b64 s[36:37], s[34:35]
	s_xor_b64 s[34:35], exec, s[36:37]
	s_cbranch_execnz .LBB257_167
; %bb.158:
	s_or_saveexec_b64 s[34:35], s[34:35]
	v_mov_b32_e32 v3, 0x7f800001
	s_xor_b64 exec, exec, s[34:35]
	s_cbranch_execnz .LBB257_170
.LBB257_159:
	s_or_b64 exec, exec, s[34:35]
	s_and_saveexec_b64 s[34:35], s[30:31]
	s_cbranch_execz .LBB257_161
.LBB257_160:
	v_bfe_u32 v3, v4, 24, 2
	v_ffbh_u32_e32 v7, v3
	v_min_u32_e32 v7, 32, v7
	v_subrev_u32_e32 v8, 29, v7
	v_bfe_u32 v6, v4, 26, 5
	v_lshlrev_b32_sdwa v8, v8, v4 dst_sel:DWORD dst_unused:UNUSED_PAD src0_sel:DWORD src1_sel:BYTE_3
	v_sub_u32_e32 v7, 30, v7
	v_and_b32_e32 v8, 3, v8
	v_cmp_eq_u32_e32 vcc, 0, v6
	v_cndmask_b32_e32 v6, v6, v7, vcc
	v_cndmask_b32_e32 v3, v3, v8, vcc
	v_mov_b32_e32 v8, 0x37800000
	v_lshlrev_b32_e32 v3, 21, v3
	v_and_b32_e32 v7, 0x80000000, v4
	v_lshl_add_u32 v6, v6, 23, v8
	v_or3_b32 v3, v7, v6, v3
.LBB257_161:
	s_or_b64 exec, exec, s[34:35]
	v_cmp_neq_f32_e64 s[30:31], s38, v3
.LBB257_162:
	s_and_b64 vcc, exec, s[4:5]
	s_cbranch_vccnz .LBB257_431
.LBB257_163:
	s_and_b32 s38, s14, 0xff
	s_cmpk_lt_i32 s38, 0x80
	s_cbranch_scc1 .LBB257_171
; %bb.164:
	s_and_b32 s34, 0xffff, s38
	s_cmpk_eq_i32 s34, 0x80
	s_mov_b64 s[34:35], -1
	s_cbranch_scc0 .LBB257_166
; %bb.165:
	s_mov_b64 s[34:35], 0
.LBB257_166:
	s_mov_b32 s40, 0x7f800001
	s_branch .LBB257_173
.LBB257_167:
	s_movk_i32 s30, 0x80
	v_cmp_eq_u16_sdwa s[40:41], v4, s30 src0_sel:BYTE_3 src1_sel:DWORD
	s_mov_b64 s[30:31], -1
	s_and_saveexec_b64 s[36:37], s[40:41]
; %bb.168:
	s_xor_b64 s[30:31], exec, -1
; %bb.169:
	s_or_b64 exec, exec, s[36:37]
	s_and_b64 s[30:31], s[30:31], exec
	s_or_saveexec_b64 s[34:35], s[34:35]
	v_mov_b32_e32 v3, 0x7f800001
	s_xor_b64 exec, exec, s[34:35]
	s_cbranch_execz .LBB257_159
.LBB257_170:
	v_mov_b32_e32 v3, 0
	v_cmp_ne_u16_sdwa s[36:37], v4, v3 src0_sel:BYTE_3 src1_sel:DWORD
	s_andn2_b64 s[30:31], s[30:31], exec
	s_and_b64 s[36:37], s[36:37], exec
	s_or_b64 s[30:31], s[30:31], s[36:37]
	s_or_b64 exec, exec, s[34:35]
	s_and_saveexec_b64 s[34:35], s[30:31]
	s_cbranch_execnz .LBB257_160
	s_branch .LBB257_161
.LBB257_171:
	s_mov_b64 s[34:35], 0
	s_mov_b32 s40, 0x7f800001
	s_cbranch_execz .LBB257_173
; %bb.172:
	s_and_b32 s34, 0xffff, s38
	s_cmp_lg_u32 s34, 0
	s_mov_b32 s40, 0
	s_cselect_b64 s[34:35], -1, 0
.LBB257_173:
	s_andn2_b64 vcc, exec, s[34:35]
	s_cbranch_vccnz .LBB257_175
; %bb.174:
	s_mov_b32 s40, s33
.LBB257_175:
	s_movk_i32 s34, 0x7f
	s_waitcnt vmcnt(0)
	v_cmp_gt_i16_sdwa s[36:37], v1, s34 src0_sel:BYTE_0 src1_sel:DWORD
	s_mov_b64 s[34:35], 0
	s_and_saveexec_b64 s[38:39], s[36:37]
	s_xor_b64 s[36:37], exec, s[38:39]
	s_cbranch_execnz .LBB257_185
; %bb.176:
	s_or_saveexec_b64 s[36:37], s[36:37]
	v_mov_b32_e32 v3, 0x7f800001
	s_xor_b64 exec, exec, s[36:37]
	s_cbranch_execnz .LBB257_188
.LBB257_177:
	s_or_b64 exec, exec, s[36:37]
	s_and_saveexec_b64 s[36:37], s[34:35]
	s_cbranch_execz .LBB257_179
.LBB257_178:
	v_and_b32_e32 v3, 3, v1
	v_ffbh_u32_e32 v6, v3
	v_min_u32_e32 v6, 32, v6
	v_subrev_u32_e32 v7, 29, v6
	v_bfe_u32 v4, v1, 2, 5
	v_lshlrev_b32_e32 v7, v7, v1
	v_sub_u32_e32 v6, 30, v6
	v_and_b32_e32 v7, 3, v7
	v_cmp_eq_u32_e32 vcc, 0, v4
	v_cndmask_b32_e32 v4, v4, v6, vcc
	v_cndmask_b32_e32 v3, v3, v7, vcc
	v_lshlrev_b32_e32 v6, 24, v1
	v_mov_b32_e32 v7, 0x37800000
	v_lshlrev_b32_e32 v3, 21, v3
	v_and_b32_e32 v6, 0x80000000, v6
	v_lshl_add_u32 v4, v4, 23, v7
	v_or3_b32 v3, v6, v4, v3
.LBB257_179:
	s_or_b64 exec, exec, s[36:37]
	v_cmp_neq_f32_e64 s[34:35], s40, v3
.LBB257_180:
	s_and_b64 vcc, exec, s[4:5]
	s_waitcnt vmcnt(0)
	v_lshrrev_b32_e32 v3, 8, v1
	s_cbranch_vccnz .LBB257_449
.LBB257_181:
	s_and_b32 s40, s14, 0xff
	s_cmpk_lt_i32 s40, 0x80
	s_cbranch_scc1 .LBB257_189
; %bb.182:
	s_and_b32 s36, 0xffff, s40
	s_cmpk_eq_i32 s36, 0x80
	s_mov_b64 s[36:37], -1
	s_cbranch_scc0 .LBB257_184
; %bb.183:
	s_mov_b64 s[36:37], 0
.LBB257_184:
	s_mov_b32 s42, 0x7f800001
	s_branch .LBB257_191
.LBB257_185:
	s_movk_i32 s34, 0x80
	v_cmp_eq_u16_sdwa s[42:43], v1, s34 src0_sel:BYTE_0 src1_sel:DWORD
	s_mov_b64 s[34:35], -1
	s_and_saveexec_b64 s[38:39], s[42:43]
; %bb.186:
	s_xor_b64 s[34:35], exec, -1
; %bb.187:
	s_or_b64 exec, exec, s[38:39]
	s_and_b64 s[34:35], s[34:35], exec
	s_or_saveexec_b64 s[36:37], s[36:37]
	v_mov_b32_e32 v3, 0x7f800001
	s_xor_b64 exec, exec, s[36:37]
	s_cbranch_execz .LBB257_177
.LBB257_188:
	v_mov_b32_e32 v3, 0
	v_cmp_ne_u16_sdwa s[38:39], v1, v3 src0_sel:BYTE_0 src1_sel:DWORD
	s_andn2_b64 s[34:35], s[34:35], exec
	s_and_b64 s[38:39], s[38:39], exec
	s_or_b64 s[34:35], s[34:35], s[38:39]
	s_or_b64 exec, exec, s[36:37]
	s_and_saveexec_b64 s[36:37], s[34:35]
	s_cbranch_execnz .LBB257_178
	s_branch .LBB257_179
.LBB257_189:
	s_mov_b64 s[36:37], 0
	s_mov_b32 s42, 0x7f800001
	s_cbranch_execz .LBB257_191
; %bb.190:
	s_and_b32 s36, 0xffff, s40
	s_cmp_lg_u32 s36, 0
	s_mov_b32 s42, 0
	s_cselect_b64 s[36:37], -1, 0
.LBB257_191:
	s_andn2_b64 vcc, exec, s[36:37]
	s_cbranch_vccnz .LBB257_193
; %bb.192:
	s_mov_b32 s42, s33
.LBB257_193:
	s_movk_i32 s36, 0x7f
	v_cmp_gt_i16_sdwa s[38:39], v3, s36 src0_sel:BYTE_0 src1_sel:DWORD
	s_mov_b64 s[36:37], 0
	s_and_saveexec_b64 s[40:41], s[38:39]
	s_xor_b64 s[38:39], exec, s[40:41]
	s_cbranch_execnz .LBB257_203
; %bb.194:
	s_or_saveexec_b64 s[38:39], s[38:39]
	v_mov_b32_e32 v4, 0x7f800001
	s_xor_b64 exec, exec, s[38:39]
	s_cbranch_execnz .LBB257_206
.LBB257_195:
	s_or_b64 exec, exec, s[38:39]
	s_and_saveexec_b64 s[38:39], s[36:37]
	s_cbranch_execz .LBB257_197
.LBB257_196:
	v_bfe_u32 v4, v1, 8, 2
	v_ffbh_u32_e32 v7, v4
	v_min_u32_e32 v7, 32, v7
	v_subrev_u32_e32 v8, 29, v7
	v_bfe_u32 v6, v1, 10, 5
	v_lshlrev_b32_e32 v8, v8, v3
	v_sub_u32_e32 v7, 30, v7
	v_and_b32_e32 v8, 3, v8
	v_cmp_eq_u32_e32 vcc, 0, v6
	v_cndmask_b32_e32 v6, v6, v7, vcc
	v_cndmask_b32_e32 v4, v4, v8, vcc
	v_lshlrev_b32_e32 v7, 24, v3
	v_mov_b32_e32 v8, 0x37800000
	v_lshlrev_b32_e32 v4, 21, v4
	v_and_b32_e32 v7, 0x80000000, v7
	v_lshl_add_u32 v6, v6, 23, v8
	v_or3_b32 v4, v7, v6, v4
.LBB257_197:
	s_or_b64 exec, exec, s[38:39]
	v_cmp_neq_f32_e64 s[36:37], s42, v4
.LBB257_198:
	s_and_b64 vcc, exec, s[4:5]
	s_cbranch_vccnz .LBB257_467
.LBB257_199:
	s_and_b32 s42, s14, 0xff
	s_cmpk_lt_i32 s42, 0x80
	s_cbranch_scc1 .LBB257_207
; %bb.200:
	s_and_b32 s38, 0xffff, s42
	s_cmpk_eq_i32 s38, 0x80
	s_mov_b64 s[38:39], -1
	s_cbranch_scc0 .LBB257_202
; %bb.201:
	s_mov_b64 s[38:39], 0
.LBB257_202:
	s_mov_b32 s44, 0x7f800001
	s_branch .LBB257_209
.LBB257_203:
	s_movk_i32 s36, 0x80
	v_cmp_eq_u16_sdwa s[44:45], v3, s36 src0_sel:BYTE_0 src1_sel:DWORD
	s_mov_b64 s[36:37], -1
	s_and_saveexec_b64 s[40:41], s[44:45]
; %bb.204:
	s_xor_b64 s[36:37], exec, -1
; %bb.205:
	s_or_b64 exec, exec, s[40:41]
	s_and_b64 s[36:37], s[36:37], exec
	s_or_saveexec_b64 s[38:39], s[38:39]
	v_mov_b32_e32 v4, 0x7f800001
	s_xor_b64 exec, exec, s[38:39]
	s_cbranch_execz .LBB257_195
.LBB257_206:
	v_mov_b32_e32 v4, 0
	v_cmp_ne_u16_sdwa s[40:41], v3, v4 src0_sel:BYTE_0 src1_sel:DWORD
	s_andn2_b64 s[36:37], s[36:37], exec
	s_and_b64 s[40:41], s[40:41], exec
	s_or_b64 s[36:37], s[36:37], s[40:41]
	s_or_b64 exec, exec, s[38:39]
	s_and_saveexec_b64 s[38:39], s[36:37]
	s_cbranch_execnz .LBB257_196
	s_branch .LBB257_197
.LBB257_207:
	s_mov_b64 s[38:39], 0
	s_mov_b32 s44, 0x7f800001
	s_cbranch_execz .LBB257_209
; %bb.208:
	s_and_b32 s38, 0xffff, s42
	s_cmp_lg_u32 s38, 0
	s_mov_b32 s44, 0
	s_cselect_b64 s[38:39], -1, 0
.LBB257_209:
	s_andn2_b64 vcc, exec, s[38:39]
	s_cbranch_vccnz .LBB257_211
; %bb.210:
	s_mov_b32 s44, s33
.LBB257_211:
	s_movk_i32 s38, 0xff
	v_and_b32_sdwa v3, v1, s38 dst_sel:DWORD dst_unused:UNUSED_PAD src0_sel:WORD_1 src1_sel:DWORD
	s_movk_i32 s38, 0x7f
	v_cmp_lt_i16_e32 vcc, s38, v3
	s_mov_b64 s[38:39], 0
	s_and_saveexec_b64 s[40:41], vcc
	s_xor_b64 s[40:41], exec, s[40:41]
	s_cbranch_execnz .LBB257_221
; %bb.212:
	s_or_saveexec_b64 s[40:41], s[40:41]
	v_mov_b32_e32 v4, 0x7f800001
	s_xor_b64 exec, exec, s[40:41]
	s_cbranch_execnz .LBB257_224
.LBB257_213:
	s_or_b64 exec, exec, s[40:41]
	s_and_saveexec_b64 s[40:41], s[38:39]
	s_cbranch_execz .LBB257_215
.LBB257_214:
	v_bfe_u32 v3, v1, 16, 2
	v_ffbh_u32_e32 v6, v3
	v_min_u32_e32 v6, 32, v6
	v_bfe_u32 v4, v1, 18, 5
	v_subrev_u32_e32 v7, 29, v6
	v_lshlrev_b32_sdwa v7, v7, v1 dst_sel:DWORD dst_unused:UNUSED_PAD src0_sel:DWORD src1_sel:WORD_1
	v_sub_u32_e32 v6, 30, v6
	v_cmp_eq_u32_e32 vcc, 0, v4
	v_and_b32_e32 v7, 3, v7
	v_cndmask_b32_e32 v4, v4, v6, vcc
	v_mov_b32_e32 v6, 24
	v_cndmask_b32_e32 v3, v3, v7, vcc
	v_lshlrev_b32_sdwa v6, v6, v1 dst_sel:DWORD dst_unused:UNUSED_PAD src0_sel:DWORD src1_sel:WORD_1
	v_mov_b32_e32 v7, 0x37800000
	v_lshlrev_b32_e32 v3, 21, v3
	v_and_b32_e32 v6, 0x80000000, v6
	v_lshl_add_u32 v4, v4, 23, v7
	v_or3_b32 v4, v6, v4, v3
.LBB257_215:
	s_or_b64 exec, exec, s[40:41]
	v_cmp_neq_f32_e64 s[38:39], s44, v4
.LBB257_216:
	s_and_b64 vcc, exec, s[4:5]
	s_cbranch_vccnz .LBB257_485
.LBB257_217:
	s_and_b32 s44, s14, 0xff
	s_cmpk_lt_i32 s44, 0x80
	s_cbranch_scc1 .LBB257_225
; %bb.218:
	s_and_b32 s40, 0xffff, s44
	s_cmpk_eq_i32 s40, 0x80
	s_mov_b64 s[40:41], -1
	s_cbranch_scc0 .LBB257_220
; %bb.219:
	s_mov_b64 s[40:41], 0
.LBB257_220:
	s_mov_b32 s46, 0x7f800001
	s_branch .LBB257_227
.LBB257_221:
	s_movk_i32 s38, 0x80
	v_cmp_eq_u16_e32 vcc, s38, v3
	s_mov_b64 s[38:39], -1
	s_and_saveexec_b64 s[42:43], vcc
; %bb.222:
	s_xor_b64 s[38:39], exec, -1
; %bb.223:
	s_or_b64 exec, exec, s[42:43]
	s_and_b64 s[38:39], s[38:39], exec
                                        ; implicit-def: $vgpr3
	s_or_saveexec_b64 s[40:41], s[40:41]
	v_mov_b32_e32 v4, 0x7f800001
	s_xor_b64 exec, exec, s[40:41]
	s_cbranch_execz .LBB257_213
.LBB257_224:
	v_cmp_ne_u16_e32 vcc, 0, v3
	s_andn2_b64 s[38:39], s[38:39], exec
	s_and_b64 s[42:43], vcc, exec
	v_mov_b32_e32 v4, 0
	s_or_b64 s[38:39], s[38:39], s[42:43]
	s_or_b64 exec, exec, s[40:41]
	s_and_saveexec_b64 s[40:41], s[38:39]
	s_cbranch_execnz .LBB257_214
	s_branch .LBB257_215
.LBB257_225:
	s_mov_b64 s[40:41], 0
	s_mov_b32 s46, 0x7f800001
	s_cbranch_execz .LBB257_227
; %bb.226:
	s_and_b32 s40, 0xffff, s44
	s_cmp_lg_u32 s40, 0
	s_mov_b32 s46, 0
	s_cselect_b64 s[40:41], -1, 0
.LBB257_227:
	s_andn2_b64 vcc, exec, s[40:41]
	s_cbranch_vccnz .LBB257_229
; %bb.228:
	s_mov_b32 s46, s33
.LBB257_229:
	s_movk_i32 s40, 0x7f
	v_cmp_gt_i16_sdwa s[42:43], v1, s40 src0_sel:BYTE_3 src1_sel:DWORD
	s_mov_b64 s[40:41], 0
	s_and_saveexec_b64 s[44:45], s[42:43]
	s_xor_b64 s[42:43], exec, s[44:45]
	s_cbranch_execnz .LBB257_239
; %bb.230:
	s_or_saveexec_b64 s[42:43], s[42:43]
	v_mov_b32_e32 v3, 0x7f800001
	s_xor_b64 exec, exec, s[42:43]
	s_cbranch_execnz .LBB257_242
.LBB257_231:
	s_or_b64 exec, exec, s[42:43]
	s_and_saveexec_b64 s[42:43], s[40:41]
	s_cbranch_execz .LBB257_233
.LBB257_232:
	v_bfe_u32 v3, v1, 24, 2
	v_ffbh_u32_e32 v6, v3
	v_min_u32_e32 v6, 32, v6
	v_subrev_u32_e32 v7, 29, v6
	v_bfe_u32 v4, v1, 26, 5
	v_lshlrev_b32_sdwa v7, v7, v1 dst_sel:DWORD dst_unused:UNUSED_PAD src0_sel:DWORD src1_sel:BYTE_3
	v_sub_u32_e32 v6, 30, v6
	v_and_b32_e32 v7, 3, v7
	v_cmp_eq_u32_e32 vcc, 0, v4
	v_cndmask_b32_e32 v4, v4, v6, vcc
	v_cndmask_b32_e32 v3, v3, v7, vcc
	v_mov_b32_e32 v7, 0x37800000
	v_lshlrev_b32_e32 v3, 21, v3
	v_and_b32_e32 v6, 0x80000000, v1
	v_lshl_add_u32 v4, v4, 23, v7
	v_or3_b32 v3, v6, v4, v3
.LBB257_233:
	s_or_b64 exec, exec, s[42:43]
	v_cmp_neq_f32_e64 s[40:41], s46, v3
.LBB257_234:
	s_and_b64 vcc, exec, s[4:5]
	s_cbranch_vccnz .LBB257_503
.LBB257_235:
	s_and_b32 s46, s14, 0xff
	s_cmpk_lt_i32 s46, 0x80
	s_cbranch_scc1 .LBB257_243
; %bb.236:
	s_and_b32 s42, 0xffff, s46
	s_cmpk_eq_i32 s42, 0x80
	s_mov_b64 s[42:43], -1
	s_cbranch_scc0 .LBB257_238
; %bb.237:
	s_mov_b64 s[42:43], 0
.LBB257_238:
	s_mov_b32 s48, 0x7f800001
	s_branch .LBB257_245
.LBB257_239:
	s_movk_i32 s40, 0x80
	v_cmp_eq_u16_sdwa s[48:49], v1, s40 src0_sel:BYTE_3 src1_sel:DWORD
	s_mov_b64 s[40:41], -1
	s_and_saveexec_b64 s[44:45], s[48:49]
; %bb.240:
	s_xor_b64 s[40:41], exec, -1
; %bb.241:
	s_or_b64 exec, exec, s[44:45]
	s_and_b64 s[40:41], s[40:41], exec
	s_or_saveexec_b64 s[42:43], s[42:43]
	v_mov_b32_e32 v3, 0x7f800001
	s_xor_b64 exec, exec, s[42:43]
	s_cbranch_execz .LBB257_231
.LBB257_242:
	v_mov_b32_e32 v3, 0
	v_cmp_ne_u16_sdwa s[44:45], v1, v3 src0_sel:BYTE_3 src1_sel:DWORD
	s_andn2_b64 s[40:41], s[40:41], exec
	s_and_b64 s[44:45], s[44:45], exec
	s_or_b64 s[40:41], s[40:41], s[44:45]
	s_or_b64 exec, exec, s[42:43]
	s_and_saveexec_b64 s[42:43], s[40:41]
	s_cbranch_execnz .LBB257_232
	s_branch .LBB257_233
.LBB257_243:
	s_mov_b64 s[42:43], 0
	s_mov_b32 s48, 0x7f800001
	s_cbranch_execz .LBB257_245
; %bb.244:
	s_and_b32 s42, 0xffff, s46
	s_cmp_lg_u32 s42, 0
	s_mov_b32 s48, 0
	s_cselect_b64 s[42:43], -1, 0
.LBB257_245:
	s_andn2_b64 vcc, exec, s[42:43]
	s_cbranch_vccnz .LBB257_247
; %bb.246:
	s_mov_b32 s48, s33
.LBB257_247:
	s_movk_i32 s42, 0x7f
	v_cmp_gt_i16_sdwa s[44:45], v2, s42 src0_sel:BYTE_0 src1_sel:DWORD
	s_mov_b64 s[42:43], 0
	s_and_saveexec_b64 s[46:47], s[44:45]
	s_xor_b64 s[44:45], exec, s[46:47]
	s_cbranch_execnz .LBB257_257
; %bb.248:
	s_or_saveexec_b64 s[44:45], s[44:45]
	v_mov_b32_e32 v1, 0x7f800001
	s_xor_b64 exec, exec, s[44:45]
	s_cbranch_execnz .LBB257_260
.LBB257_249:
	s_or_b64 exec, exec, s[44:45]
	s_and_saveexec_b64 s[44:45], s[42:43]
	s_cbranch_execz .LBB257_251
.LBB257_250:
	v_and_b32_e32 v1, 3, v2
	v_ffbh_u32_e32 v4, v1
	v_min_u32_e32 v4, 32, v4
	v_subrev_u32_e32 v6, 29, v4
	v_bfe_u32 v3, v2, 2, 5
	v_lshlrev_b32_e32 v6, v6, v2
	v_sub_u32_e32 v4, 30, v4
	v_and_b32_e32 v6, 3, v6
	v_cmp_eq_u32_e32 vcc, 0, v3
	v_cndmask_b32_e32 v3, v3, v4, vcc
	v_cndmask_b32_e32 v1, v1, v6, vcc
	v_lshlrev_b32_e32 v4, 24, v2
	v_mov_b32_e32 v6, 0x37800000
	v_lshlrev_b32_e32 v1, 21, v1
	v_and_b32_e32 v4, 0x80000000, v4
	v_lshl_add_u32 v3, v3, 23, v6
	v_or3_b32 v1, v4, v3, v1
.LBB257_251:
	s_or_b64 exec, exec, s[44:45]
	v_cmp_neq_f32_e64 s[42:43], s48, v1
.LBB257_252:
	s_and_b64 vcc, exec, s[4:5]
	v_lshrrev_b32_e32 v1, 8, v2
	s_cbranch_vccnz .LBB257_521
.LBB257_253:
	s_and_b32 s48, s14, 0xff
	s_cmpk_lt_i32 s48, 0x80
	s_cbranch_scc1 .LBB257_261
; %bb.254:
	s_and_b32 s44, 0xffff, s48
	s_cmpk_eq_i32 s44, 0x80
	s_mov_b64 s[44:45], -1
	s_cbranch_scc0 .LBB257_256
; %bb.255:
	s_mov_b64 s[44:45], 0
.LBB257_256:
	s_mov_b32 s50, 0x7f800001
	s_branch .LBB257_263
.LBB257_257:
	s_movk_i32 s42, 0x80
	v_cmp_eq_u16_sdwa s[50:51], v2, s42 src0_sel:BYTE_0 src1_sel:DWORD
	s_mov_b64 s[42:43], -1
	s_and_saveexec_b64 s[46:47], s[50:51]
; %bb.258:
	s_xor_b64 s[42:43], exec, -1
; %bb.259:
	s_or_b64 exec, exec, s[46:47]
	s_and_b64 s[42:43], s[42:43], exec
	s_or_saveexec_b64 s[44:45], s[44:45]
	v_mov_b32_e32 v1, 0x7f800001
	s_xor_b64 exec, exec, s[44:45]
	s_cbranch_execz .LBB257_249
.LBB257_260:
	v_mov_b32_e32 v1, 0
	v_cmp_ne_u16_sdwa s[46:47], v2, v1 src0_sel:BYTE_0 src1_sel:DWORD
	s_andn2_b64 s[42:43], s[42:43], exec
	s_and_b64 s[46:47], s[46:47], exec
	s_or_b64 s[42:43], s[42:43], s[46:47]
	s_or_b64 exec, exec, s[44:45]
	s_and_saveexec_b64 s[44:45], s[42:43]
	s_cbranch_execnz .LBB257_250
	s_branch .LBB257_251
.LBB257_261:
	s_mov_b64 s[44:45], 0
	s_mov_b32 s50, 0x7f800001
	s_cbranch_execz .LBB257_263
; %bb.262:
	s_and_b32 s44, 0xffff, s48
	s_cmp_lg_u32 s44, 0
	s_mov_b32 s50, 0
	s_cselect_b64 s[44:45], -1, 0
.LBB257_263:
	s_andn2_b64 vcc, exec, s[44:45]
	s_cbranch_vccnz .LBB257_265
; %bb.264:
	s_mov_b32 s50, s33
.LBB257_265:
	s_movk_i32 s44, 0x7f
	v_cmp_gt_i16_sdwa s[46:47], v1, s44 src0_sel:BYTE_0 src1_sel:DWORD
	s_mov_b64 s[44:45], 0
	s_and_saveexec_b64 s[48:49], s[46:47]
	s_xor_b64 s[46:47], exec, s[48:49]
	s_cbranch_execnz .LBB257_275
; %bb.266:
	s_or_saveexec_b64 s[46:47], s[46:47]
	v_mov_b32_e32 v3, 0x7f800001
	s_xor_b64 exec, exec, s[46:47]
	s_cbranch_execnz .LBB257_278
.LBB257_267:
	s_or_b64 exec, exec, s[46:47]
	s_and_saveexec_b64 s[46:47], s[44:45]
	s_cbranch_execz .LBB257_269
.LBB257_268:
	v_bfe_u32 v3, v2, 8, 2
	v_ffbh_u32_e32 v6, v3
	v_min_u32_e32 v6, 32, v6
	v_subrev_u32_e32 v7, 29, v6
	v_bfe_u32 v4, v2, 10, 5
	v_lshlrev_b32_e32 v7, v7, v1
	v_sub_u32_e32 v6, 30, v6
	v_and_b32_e32 v7, 3, v7
	v_cmp_eq_u32_e32 vcc, 0, v4
	v_cndmask_b32_e32 v4, v4, v6, vcc
	v_cndmask_b32_e32 v3, v3, v7, vcc
	v_lshlrev_b32_e32 v6, 24, v1
	v_mov_b32_e32 v7, 0x37800000
	v_lshlrev_b32_e32 v3, 21, v3
	v_and_b32_e32 v6, 0x80000000, v6
	v_lshl_add_u32 v4, v4, 23, v7
	v_or3_b32 v3, v6, v4, v3
.LBB257_269:
	s_or_b64 exec, exec, s[46:47]
	v_cmp_neq_f32_e64 s[44:45], s50, v3
.LBB257_270:
	s_and_b64 vcc, exec, s[4:5]
	s_cbranch_vccnz .LBB257_539
.LBB257_271:
	s_and_b32 s50, s14, 0xff
	s_cmpk_lt_i32 s50, 0x80
	s_cbranch_scc1 .LBB257_279
; %bb.272:
	s_and_b32 s46, 0xffff, s50
	s_cmpk_eq_i32 s46, 0x80
	s_mov_b64 s[46:47], -1
	s_cbranch_scc0 .LBB257_274
; %bb.273:
	s_mov_b64 s[46:47], 0
.LBB257_274:
	s_mov_b32 s52, 0x7f800001
	s_branch .LBB257_281
.LBB257_275:
	s_movk_i32 s44, 0x80
	v_cmp_eq_u16_sdwa s[52:53], v1, s44 src0_sel:BYTE_0 src1_sel:DWORD
	s_mov_b64 s[44:45], -1
	s_and_saveexec_b64 s[48:49], s[52:53]
; %bb.276:
	s_xor_b64 s[44:45], exec, -1
; %bb.277:
	s_or_b64 exec, exec, s[48:49]
	s_and_b64 s[44:45], s[44:45], exec
	s_or_saveexec_b64 s[46:47], s[46:47]
	v_mov_b32_e32 v3, 0x7f800001
	s_xor_b64 exec, exec, s[46:47]
	s_cbranch_execz .LBB257_267
.LBB257_278:
	v_mov_b32_e32 v3, 0
	v_cmp_ne_u16_sdwa s[48:49], v1, v3 src0_sel:BYTE_0 src1_sel:DWORD
	s_andn2_b64 s[44:45], s[44:45], exec
	s_and_b64 s[48:49], s[48:49], exec
	s_or_b64 s[44:45], s[44:45], s[48:49]
	s_or_b64 exec, exec, s[46:47]
	s_and_saveexec_b64 s[46:47], s[44:45]
	s_cbranch_execnz .LBB257_268
	s_branch .LBB257_269
.LBB257_279:
	s_mov_b64 s[46:47], 0
	s_mov_b32 s52, 0x7f800001
	s_cbranch_execz .LBB257_281
; %bb.280:
	s_and_b32 s46, 0xffff, s50
	s_cmp_lg_u32 s46, 0
	s_mov_b32 s52, 0
	s_cselect_b64 s[46:47], -1, 0
.LBB257_281:
	s_andn2_b64 vcc, exec, s[46:47]
	s_cbranch_vccnz .LBB257_283
; %bb.282:
	s_mov_b32 s52, s33
.LBB257_283:
	s_movk_i32 s46, 0xff
	v_and_b32_sdwa v1, v2, s46 dst_sel:DWORD dst_unused:UNUSED_PAD src0_sel:WORD_1 src1_sel:DWORD
	s_movk_i32 s46, 0x7f
	v_cmp_lt_i16_e32 vcc, s46, v1
	s_mov_b64 s[46:47], 0
	s_and_saveexec_b64 s[48:49], vcc
	s_xor_b64 s[48:49], exec, s[48:49]
	s_cbranch_execnz .LBB257_293
; %bb.284:
	s_or_saveexec_b64 s[48:49], s[48:49]
	v_mov_b32_e32 v3, 0x7f800001
	s_xor_b64 exec, exec, s[48:49]
	s_cbranch_execnz .LBB257_296
.LBB257_285:
	s_or_b64 exec, exec, s[48:49]
	s_and_saveexec_b64 s[48:49], s[46:47]
	s_cbranch_execz .LBB257_287
.LBB257_286:
	v_bfe_u32 v1, v2, 16, 2
	v_ffbh_u32_e32 v4, v1
	v_min_u32_e32 v4, 32, v4
	v_bfe_u32 v3, v2, 18, 5
	v_subrev_u32_e32 v6, 29, v4
	v_lshlrev_b32_sdwa v6, v6, v2 dst_sel:DWORD dst_unused:UNUSED_PAD src0_sel:DWORD src1_sel:WORD_1
	v_sub_u32_e32 v4, 30, v4
	v_cmp_eq_u32_e32 vcc, 0, v3
	v_and_b32_e32 v6, 3, v6
	v_cndmask_b32_e32 v3, v3, v4, vcc
	v_mov_b32_e32 v4, 24
	v_cndmask_b32_e32 v1, v1, v6, vcc
	v_lshlrev_b32_sdwa v4, v4, v2 dst_sel:DWORD dst_unused:UNUSED_PAD src0_sel:DWORD src1_sel:WORD_1
	v_mov_b32_e32 v6, 0x37800000
	v_lshlrev_b32_e32 v1, 21, v1
	v_and_b32_e32 v4, 0x80000000, v4
	v_lshl_add_u32 v3, v3, 23, v6
	v_or3_b32 v3, v4, v3, v1
.LBB257_287:
	s_or_b64 exec, exec, s[48:49]
	v_cmp_neq_f32_e64 s[46:47], s52, v3
.LBB257_288:
	s_and_b64 vcc, exec, s[4:5]
	s_cbranch_vccnz .LBB257_557
.LBB257_289:
	s_and_b32 s50, s14, 0xff
	s_cmpk_lt_i32 s50, 0x80
	s_cbranch_scc1 .LBB257_297
; %bb.290:
	s_and_b32 s4, 0xffff, s50
	s_cmpk_eq_i32 s4, 0x80
	s_mov_b64 s[4:5], -1
	s_cbranch_scc0 .LBB257_292
; %bb.291:
	s_mov_b64 s[4:5], 0
.LBB257_292:
	s_mov_b32 s52, 0x7f800001
	s_branch .LBB257_299
.LBB257_293:
	s_movk_i32 s46, 0x80
	v_cmp_eq_u16_e32 vcc, s46, v1
	s_mov_b64 s[46:47], -1
	s_and_saveexec_b64 s[50:51], vcc
; %bb.294:
	s_xor_b64 s[46:47], exec, -1
; %bb.295:
	s_or_b64 exec, exec, s[50:51]
	s_and_b64 s[46:47], s[46:47], exec
                                        ; implicit-def: $vgpr1
	s_or_saveexec_b64 s[48:49], s[48:49]
	v_mov_b32_e32 v3, 0x7f800001
	s_xor_b64 exec, exec, s[48:49]
	s_cbranch_execz .LBB257_285
.LBB257_296:
	v_cmp_ne_u16_e32 vcc, 0, v1
	s_andn2_b64 s[46:47], s[46:47], exec
	s_and_b64 s[50:51], vcc, exec
	v_mov_b32_e32 v3, 0
	s_or_b64 s[46:47], s[46:47], s[50:51]
	s_or_b64 exec, exec, s[48:49]
	s_and_saveexec_b64 s[48:49], s[46:47]
	s_cbranch_execnz .LBB257_286
	s_branch .LBB257_287
.LBB257_297:
	s_mov_b64 s[4:5], 0
	s_mov_b32 s52, 0x7f800001
	s_cbranch_execz .LBB257_299
; %bb.298:
	s_and_b32 s4, 0xffff, s50
	s_cmp_lg_u32 s4, 0
	s_mov_b32 s52, 0
	s_cselect_b64 s[4:5], -1, 0
.LBB257_299:
	s_andn2_b64 vcc, exec, s[4:5]
	s_cbranch_vccnz .LBB257_301
; %bb.300:
	s_mov_b32 s52, s33
.LBB257_301:
	s_movk_i32 s4, 0x7f
	v_cmp_gt_i16_sdwa s[48:49], v2, s4 src0_sel:BYTE_3 src1_sel:DWORD
	s_mov_b64 s[4:5], 0
	s_and_saveexec_b64 s[50:51], s[48:49]
	s_xor_b64 s[48:49], exec, s[50:51]
	s_cbranch_execnz .LBB257_306
; %bb.302:
	s_or_saveexec_b64 s[48:49], s[48:49]
	v_mov_b32_e32 v1, 0x7f800001
	s_xor_b64 exec, exec, s[48:49]
	s_cbranch_execnz .LBB257_309
.LBB257_303:
	s_or_b64 exec, exec, s[48:49]
	s_and_saveexec_b64 s[48:49], s[4:5]
	s_cbranch_execz .LBB257_305
.LBB257_304:
	v_bfe_u32 v1, v2, 24, 2
	v_ffbh_u32_e32 v4, v1
	v_min_u32_e32 v4, 32, v4
	v_subrev_u32_e32 v6, 29, v4
	v_bfe_u32 v3, v2, 26, 5
	v_lshlrev_b32_sdwa v6, v6, v2 dst_sel:DWORD dst_unused:UNUSED_PAD src0_sel:DWORD src1_sel:BYTE_3
	v_sub_u32_e32 v4, 30, v4
	v_and_b32_e32 v6, 3, v6
	v_cmp_eq_u32_e32 vcc, 0, v3
	v_cndmask_b32_e32 v3, v3, v4, vcc
	v_cndmask_b32_e32 v1, v1, v6, vcc
	v_mov_b32_e32 v6, 0x37800000
	v_lshlrev_b32_e32 v1, 21, v1
	v_and_b32_e32 v4, 0x80000000, v2
	v_lshl_add_u32 v3, v3, 23, v6
	v_or3_b32 v1, v4, v3, v1
.LBB257_305:
	s_or_b64 exec, exec, s[48:49]
	v_cmp_neq_f32_e64 s[4:5], s52, v1
	s_branch .LBB257_575
.LBB257_306:
	s_movk_i32 s4, 0x80
	v_cmp_eq_u16_sdwa s[54:55], v2, s4 src0_sel:BYTE_3 src1_sel:DWORD
	s_mov_b64 s[4:5], -1
	s_and_saveexec_b64 s[50:51], s[54:55]
; %bb.307:
	s_xor_b64 s[4:5], exec, -1
; %bb.308:
	s_or_b64 exec, exec, s[50:51]
	s_and_b64 s[4:5], s[4:5], exec
	s_or_saveexec_b64 s[48:49], s[48:49]
	v_mov_b32_e32 v1, 0x7f800001
	s_xor_b64 exec, exec, s[48:49]
	s_cbranch_execz .LBB257_303
.LBB257_309:
	v_mov_b32_e32 v1, 0
	v_cmp_ne_u16_sdwa s[50:51], v2, v1 src0_sel:BYTE_3 src1_sel:DWORD
	s_andn2_b64 s[4:5], s[4:5], exec
	s_and_b64 s[50:51], s[50:51], exec
	s_or_b64 s[4:5], s[4:5], s[50:51]
	s_or_b64 exec, exec, s[48:49]
	s_and_saveexec_b64 s[48:49], s[4:5]
	s_cbranch_execnz .LBB257_304
	s_branch .LBB257_305
.LBB257_310:
	s_movk_i32 s4, 0x80
	v_cmp_eq_u16_sdwa s[24:25], v3, s4 src0_sel:BYTE_0 src1_sel:DWORD
	s_mov_b64 s[4:5], -1
	s_and_saveexec_b64 s[20:21], s[24:25]
; %bb.311:
	s_xor_b64 s[4:5], exec, -1
; %bb.312:
	s_or_b64 exec, exec, s[20:21]
	s_and_b64 s[4:5], s[4:5], exec
	s_or_saveexec_b64 s[8:9], s[8:9]
	v_mov_b32_e32 v6, 0x7f800001
	s_xor_b64 exec, exec, s[8:9]
	s_cbranch_execz .LBB257_32
.LBB257_313:
	v_mov_b32_e32 v6, 0
	v_cmp_ne_u16_sdwa s[20:21], v3, v6 src0_sel:BYTE_0 src1_sel:DWORD
	s_andn2_b64 s[4:5], s[4:5], exec
	s_and_b64 s[20:21], s[20:21], exec
	s_or_b64 s[4:5], s[4:5], s[20:21]
	s_or_b64 exec, exec, s[8:9]
	s_and_saveexec_b64 s[8:9], s[4:5]
	s_cbranch_execnz .LBB257_33
	s_branch .LBB257_34
.LBB257_314:
	s_mov_b64 s[10:11], 0
	s_mov_b32 s24, 0x7f800001
	s_cbranch_execz .LBB257_316
; %bb.315:
	s_and_b32 s10, 0xffff, s22
	s_cmp_lg_u32 s10, 0
	s_mov_b32 s24, 0
	s_cselect_b64 s[10:11], -1, 0
.LBB257_316:
	s_andn2_b64 vcc, exec, s[10:11]
	s_cbranch_vccnz .LBB257_318
; %bb.317:
	s_mov_b32 s24, s33
.LBB257_318:
	s_movk_i32 s10, 0x7f
	v_cmp_gt_i16_sdwa s[20:21], v6, s10 src0_sel:BYTE_0 src1_sel:DWORD
	s_mov_b64 s[10:11], 0
	s_and_saveexec_b64 s[22:23], s[20:21]
	s_xor_b64 s[20:21], exec, s[22:23]
	s_cbranch_execnz .LBB257_328
; %bb.319:
	s_or_saveexec_b64 s[20:21], s[20:21]
	v_mov_b32_e32 v7, 0x7f800001
	s_xor_b64 exec, exec, s[20:21]
	s_cbranch_execnz .LBB257_331
.LBB257_320:
	s_or_b64 exec, exec, s[20:21]
	s_and_saveexec_b64 s[20:21], s[10:11]
	s_cbranch_execz .LBB257_322
.LBB257_321:
	v_bfe_u32 v7, v3, 8, 2
	v_ffbh_u32_e32 v9, v7
	v_min_u32_e32 v9, 32, v9
	v_subrev_u32_e32 v10, 29, v9
	v_bfe_u32 v8, v3, 10, 5
	v_lshlrev_b32_e32 v10, v10, v6
	v_sub_u32_e32 v9, 30, v9
	v_and_b32_e32 v10, 3, v10
	v_cmp_eq_u32_e32 vcc, 0, v8
	v_cndmask_b32_e32 v8, v8, v9, vcc
	v_cndmask_b32_e32 v7, v7, v10, vcc
	v_lshlrev_b32_e32 v6, 24, v6
	v_mov_b32_e32 v9, 0x37800000
	v_lshlrev_b32_e32 v7, 21, v7
	v_and_b32_e32 v6, 0x80000000, v6
	v_lshl_add_u32 v8, v8, 23, v9
	v_or3_b32 v7, v6, v8, v7
.LBB257_322:
	s_or_b64 exec, exec, s[20:21]
	v_cmp_eq_f32_e64 s[10:11], s24, v7
	s_and_b64 vcc, exec, s[4:5]
	s_cbranch_vccz .LBB257_42
.LBB257_323:
                                        ; implicit-def: $sgpr20_sgpr21
	s_cbranch_execz .LBB257_68
; %bb.324:
	s_and_b32 s24, s14, 0xff
	s_cmpk_lt_i32 s24, 0x80
	s_cbranch_scc1 .LBB257_332
; %bb.325:
	s_and_b32 s20, 0xffff, s24
	s_cmpk_eq_i32 s20, 0x80
	s_mov_b64 s[20:21], -1
	s_cbranch_scc0 .LBB257_327
; %bb.326:
	s_mov_b64 s[20:21], 0
.LBB257_327:
	s_mov_b32 s26, 0x7f800001
	s_branch .LBB257_334
.LBB257_328:
	s_movk_i32 s10, 0x80
	v_cmp_eq_u16_sdwa s[26:27], v6, s10 src0_sel:BYTE_0 src1_sel:DWORD
	s_mov_b64 s[10:11], -1
	s_and_saveexec_b64 s[22:23], s[26:27]
; %bb.329:
	s_xor_b64 s[10:11], exec, -1
; %bb.330:
	s_or_b64 exec, exec, s[22:23]
	s_and_b64 s[10:11], s[10:11], exec
	s_or_saveexec_b64 s[20:21], s[20:21]
	v_mov_b32_e32 v7, 0x7f800001
	s_xor_b64 exec, exec, s[20:21]
	s_cbranch_execz .LBB257_320
.LBB257_331:
	v_mov_b32_e32 v7, 0
	v_cmp_ne_u16_sdwa s[22:23], v6, v7 src0_sel:BYTE_0 src1_sel:DWORD
	s_andn2_b64 s[10:11], s[10:11], exec
	s_and_b64 s[22:23], s[22:23], exec
	s_or_b64 s[10:11], s[10:11], s[22:23]
	s_or_b64 exec, exec, s[20:21]
	s_and_saveexec_b64 s[20:21], s[10:11]
	s_cbranch_execnz .LBB257_321
	s_branch .LBB257_322
.LBB257_332:
	s_mov_b64 s[20:21], 0
	s_mov_b32 s26, 0x7f800001
	s_cbranch_execz .LBB257_334
; %bb.333:
	s_and_b32 s20, 0xffff, s24
	s_cmp_lg_u32 s20, 0
	s_mov_b32 s26, 0
	s_cselect_b64 s[20:21], -1, 0
.LBB257_334:
	s_andn2_b64 vcc, exec, s[20:21]
	s_cbranch_vccnz .LBB257_336
; %bb.335:
	s_mov_b32 s26, s33
.LBB257_336:
	s_movk_i32 s20, 0xff
	v_and_b32_sdwa v6, v3, s20 dst_sel:DWORD dst_unused:UNUSED_PAD src0_sel:WORD_1 src1_sel:DWORD
	s_movk_i32 s20, 0x7f
	v_cmp_lt_i16_e32 vcc, s20, v6
	s_mov_b64 s[20:21], 0
	s_and_saveexec_b64 s[22:23], vcc
	s_xor_b64 s[22:23], exec, s[22:23]
	s_cbranch_execnz .LBB257_346
; %bb.337:
	s_or_saveexec_b64 s[22:23], s[22:23]
	v_mov_b32_e32 v7, 0x7f800001
	s_xor_b64 exec, exec, s[22:23]
	s_cbranch_execnz .LBB257_349
.LBB257_338:
	s_or_b64 exec, exec, s[22:23]
	s_and_saveexec_b64 s[22:23], s[20:21]
	s_cbranch_execz .LBB257_340
.LBB257_339:
	v_bfe_u32 v6, v3, 16, 2
	v_ffbh_u32_e32 v8, v6
	v_min_u32_e32 v8, 32, v8
	v_bfe_u32 v7, v3, 18, 5
	v_subrev_u32_e32 v9, 29, v8
	v_lshlrev_b32_sdwa v9, v9, v3 dst_sel:DWORD dst_unused:UNUSED_PAD src0_sel:DWORD src1_sel:WORD_1
	v_sub_u32_e32 v8, 30, v8
	v_cmp_eq_u32_e32 vcc, 0, v7
	v_and_b32_e32 v9, 3, v9
	v_cndmask_b32_e32 v7, v7, v8, vcc
	v_mov_b32_e32 v8, 24
	v_cndmask_b32_e32 v6, v6, v9, vcc
	v_lshlrev_b32_sdwa v8, v8, v3 dst_sel:DWORD dst_unused:UNUSED_PAD src0_sel:DWORD src1_sel:WORD_1
	v_mov_b32_e32 v9, 0x37800000
	v_lshlrev_b32_e32 v6, 21, v6
	v_and_b32_e32 v8, 0x80000000, v8
	v_lshl_add_u32 v7, v7, 23, v9
	v_or3_b32 v7, v8, v7, v6
.LBB257_340:
	s_or_b64 exec, exec, s[22:23]
	v_cmp_eq_f32_e64 s[20:21], s26, v7
	s_and_b64 vcc, exec, s[4:5]
	s_cbranch_vccz .LBB257_69
.LBB257_341:
                                        ; implicit-def: $sgpr22_sgpr23
	s_cbranch_execz .LBB257_90
; %bb.342:
	s_and_b32 s26, s14, 0xff
	s_cmpk_lt_i32 s26, 0x80
	s_cbranch_scc1 .LBB257_350
; %bb.343:
	s_and_b32 s22, 0xffff, s26
	s_cmpk_eq_i32 s22, 0x80
	s_mov_b64 s[22:23], -1
	s_cbranch_scc0 .LBB257_345
; %bb.344:
	s_mov_b64 s[22:23], 0
.LBB257_345:
	s_mov_b32 s28, 0x7f800001
	s_branch .LBB257_352
.LBB257_346:
	s_movk_i32 s20, 0x80
	v_cmp_eq_u16_e32 vcc, s20, v6
	s_mov_b64 s[20:21], -1
	s_and_saveexec_b64 s[24:25], vcc
; %bb.347:
	s_xor_b64 s[20:21], exec, -1
; %bb.348:
	s_or_b64 exec, exec, s[24:25]
	s_and_b64 s[20:21], s[20:21], exec
                                        ; implicit-def: $vgpr6
	s_or_saveexec_b64 s[22:23], s[22:23]
	v_mov_b32_e32 v7, 0x7f800001
	s_xor_b64 exec, exec, s[22:23]
	s_cbranch_execz .LBB257_338
.LBB257_349:
	v_cmp_ne_u16_e32 vcc, 0, v6
	s_andn2_b64 s[20:21], s[20:21], exec
	s_and_b64 s[24:25], vcc, exec
	v_mov_b32_e32 v7, 0
	s_or_b64 s[20:21], s[20:21], s[24:25]
	s_or_b64 exec, exec, s[22:23]
	s_and_saveexec_b64 s[22:23], s[20:21]
	s_cbranch_execnz .LBB257_339
	s_branch .LBB257_340
.LBB257_350:
	s_mov_b64 s[22:23], 0
	s_mov_b32 s28, 0x7f800001
	s_cbranch_execz .LBB257_352
; %bb.351:
	s_and_b32 s22, 0xffff, s26
	s_cmp_lg_u32 s22, 0
	s_mov_b32 s28, 0
	s_cselect_b64 s[22:23], -1, 0
.LBB257_352:
	s_andn2_b64 vcc, exec, s[22:23]
	s_cbranch_vccnz .LBB257_354
; %bb.353:
	s_mov_b32 s28, s33
.LBB257_354:
	s_movk_i32 s22, 0x7f
	v_cmp_gt_i16_sdwa s[24:25], v3, s22 src0_sel:BYTE_3 src1_sel:DWORD
	s_mov_b64 s[22:23], 0
	s_and_saveexec_b64 s[26:27], s[24:25]
	s_xor_b64 s[24:25], exec, s[26:27]
	s_cbranch_execnz .LBB257_364
; %bb.355:
	s_or_saveexec_b64 s[24:25], s[24:25]
	v_mov_b32_e32 v6, 0x7f800001
	s_xor_b64 exec, exec, s[24:25]
	s_cbranch_execnz .LBB257_367
.LBB257_356:
	s_or_b64 exec, exec, s[24:25]
	s_and_saveexec_b64 s[24:25], s[22:23]
	s_cbranch_execz .LBB257_358
.LBB257_357:
	v_bfe_u32 v6, v3, 24, 2
	v_ffbh_u32_e32 v8, v6
	v_min_u32_e32 v8, 32, v8
	v_subrev_u32_e32 v9, 29, v8
	v_bfe_u32 v7, v3, 26, 5
	v_lshlrev_b32_sdwa v9, v9, v3 dst_sel:DWORD dst_unused:UNUSED_PAD src0_sel:DWORD src1_sel:BYTE_3
	v_sub_u32_e32 v8, 30, v8
	v_and_b32_e32 v9, 3, v9
	v_cmp_eq_u32_e32 vcc, 0, v7
	v_cndmask_b32_e32 v7, v7, v8, vcc
	v_cndmask_b32_e32 v6, v6, v9, vcc
	v_mov_b32_e32 v8, 0x37800000
	v_lshlrev_b32_e32 v6, 21, v6
	v_and_b32_e32 v3, 0x80000000, v3
	v_lshl_add_u32 v7, v7, 23, v8
	v_or3_b32 v6, v3, v7, v6
.LBB257_358:
	s_or_b64 exec, exec, s[24:25]
	v_cmp_eq_f32_e64 s[22:23], s28, v6
	s_and_b64 vcc, exec, s[4:5]
	s_cbranch_vccz .LBB257_91
.LBB257_359:
                                        ; implicit-def: $sgpr24_sgpr25
	s_cbranch_execz .LBB257_108
; %bb.360:
	s_and_b32 s28, s14, 0xff
	s_cmpk_lt_i32 s28, 0x80
	s_cbranch_scc1 .LBB257_368
; %bb.361:
	s_and_b32 s24, 0xffff, s28
	s_cmpk_eq_i32 s24, 0x80
	s_mov_b64 s[24:25], -1
	s_cbranch_scc0 .LBB257_363
; %bb.362:
	s_mov_b64 s[24:25], 0
.LBB257_363:
	s_mov_b32 s30, 0x7f800001
	s_branch .LBB257_370
.LBB257_364:
	s_movk_i32 s22, 0x80
	v_cmp_eq_u16_sdwa s[30:31], v3, s22 src0_sel:BYTE_3 src1_sel:DWORD
	s_mov_b64 s[22:23], -1
	s_and_saveexec_b64 s[26:27], s[30:31]
; %bb.365:
	s_xor_b64 s[22:23], exec, -1
; %bb.366:
	s_or_b64 exec, exec, s[26:27]
	s_and_b64 s[22:23], s[22:23], exec
	s_or_saveexec_b64 s[24:25], s[24:25]
	v_mov_b32_e32 v6, 0x7f800001
	s_xor_b64 exec, exec, s[24:25]
	s_cbranch_execz .LBB257_356
.LBB257_367:
	v_mov_b32_e32 v6, 0
	v_cmp_ne_u16_sdwa s[26:27], v3, v6 src0_sel:BYTE_3 src1_sel:DWORD
	s_andn2_b64 s[22:23], s[22:23], exec
	s_and_b64 s[26:27], s[26:27], exec
	s_or_b64 s[22:23], s[22:23], s[26:27]
	s_or_b64 exec, exec, s[24:25]
	s_and_saveexec_b64 s[24:25], s[22:23]
	s_cbranch_execnz .LBB257_357
	s_branch .LBB257_358
.LBB257_368:
	s_mov_b64 s[24:25], 0
	s_mov_b32 s30, 0x7f800001
	s_cbranch_execz .LBB257_370
; %bb.369:
	s_and_b32 s24, 0xffff, s28
	s_cmp_lg_u32 s24, 0
	s_mov_b32 s30, 0
	s_cselect_b64 s[24:25], -1, 0
.LBB257_370:
	s_andn2_b64 vcc, exec, s[24:25]
	s_cbranch_vccnz .LBB257_372
; %bb.371:
	s_mov_b32 s30, s33
.LBB257_372:
	s_movk_i32 s24, 0x7f
	v_cmp_gt_i16_sdwa s[26:27], v4, s24 src0_sel:BYTE_0 src1_sel:DWORD
	s_mov_b64 s[24:25], 0
	s_and_saveexec_b64 s[28:29], s[26:27]
	s_xor_b64 s[26:27], exec, s[28:29]
	s_cbranch_execnz .LBB257_382
; %bb.373:
	s_or_saveexec_b64 s[26:27], s[26:27]
	v_mov_b32_e32 v3, 0x7f800001
	s_xor_b64 exec, exec, s[26:27]
	s_cbranch_execnz .LBB257_385
.LBB257_374:
	s_or_b64 exec, exec, s[26:27]
	s_and_saveexec_b64 s[26:27], s[24:25]
	s_cbranch_execz .LBB257_376
.LBB257_375:
	v_and_b32_e32 v3, 3, v4
	v_ffbh_u32_e32 v7, v3
	v_min_u32_e32 v7, 32, v7
	v_subrev_u32_e32 v8, 29, v7
	v_bfe_u32 v6, v4, 2, 5
	v_lshlrev_b32_e32 v8, v8, v4
	v_sub_u32_e32 v7, 30, v7
	v_and_b32_e32 v8, 3, v8
	v_cmp_eq_u32_e32 vcc, 0, v6
	v_cndmask_b32_e32 v6, v6, v7, vcc
	v_cndmask_b32_e32 v3, v3, v8, vcc
	v_lshlrev_b32_e32 v7, 24, v4
	v_mov_b32_e32 v8, 0x37800000
	v_lshlrev_b32_e32 v3, 21, v3
	v_and_b32_e32 v7, 0x80000000, v7
	v_lshl_add_u32 v6, v6, 23, v8
	v_or3_b32 v3, v7, v6, v3
.LBB257_376:
	s_or_b64 exec, exec, s[26:27]
	v_cmp_eq_f32_e64 s[24:25], s30, v3
	s_and_b64 vcc, exec, s[4:5]
	v_lshrrev_b32_e32 v3, 8, v4
	s_cbranch_vccz .LBB257_109
.LBB257_377:
                                        ; implicit-def: $sgpr26_sgpr27
	s_cbranch_execz .LBB257_126
; %bb.378:
	s_and_b32 s30, s14, 0xff
	s_cmpk_lt_i32 s30, 0x80
	s_cbranch_scc1 .LBB257_386
; %bb.379:
	s_and_b32 s26, 0xffff, s30
	s_cmpk_eq_i32 s26, 0x80
	s_mov_b64 s[26:27], -1
	s_cbranch_scc0 .LBB257_381
; %bb.380:
	s_mov_b64 s[26:27], 0
.LBB257_381:
	s_mov_b32 s34, 0x7f800001
	s_branch .LBB257_388
.LBB257_382:
	s_movk_i32 s24, 0x80
	v_cmp_eq_u16_sdwa s[34:35], v4, s24 src0_sel:BYTE_0 src1_sel:DWORD
	s_mov_b64 s[24:25], -1
	s_and_saveexec_b64 s[28:29], s[34:35]
; %bb.383:
	s_xor_b64 s[24:25], exec, -1
; %bb.384:
	s_or_b64 exec, exec, s[28:29]
	s_and_b64 s[24:25], s[24:25], exec
	s_or_saveexec_b64 s[26:27], s[26:27]
	v_mov_b32_e32 v3, 0x7f800001
	s_xor_b64 exec, exec, s[26:27]
	s_cbranch_execz .LBB257_374
.LBB257_385:
	v_mov_b32_e32 v3, 0
	v_cmp_ne_u16_sdwa s[28:29], v4, v3 src0_sel:BYTE_0 src1_sel:DWORD
	s_andn2_b64 s[24:25], s[24:25], exec
	s_and_b64 s[28:29], s[28:29], exec
	s_or_b64 s[24:25], s[24:25], s[28:29]
	s_or_b64 exec, exec, s[26:27]
	s_and_saveexec_b64 s[26:27], s[24:25]
	s_cbranch_execnz .LBB257_375
	s_branch .LBB257_376
.LBB257_386:
	s_mov_b64 s[26:27], 0
	s_mov_b32 s34, 0x7f800001
	s_cbranch_execz .LBB257_388
; %bb.387:
	s_and_b32 s26, 0xffff, s30
	s_cmp_lg_u32 s26, 0
	s_mov_b32 s34, 0
	s_cselect_b64 s[26:27], -1, 0
.LBB257_388:
	s_andn2_b64 vcc, exec, s[26:27]
	s_cbranch_vccnz .LBB257_390
; %bb.389:
	s_mov_b32 s34, s33
.LBB257_390:
	s_movk_i32 s26, 0x7f
	v_cmp_gt_i16_sdwa s[28:29], v3, s26 src0_sel:BYTE_0 src1_sel:DWORD
	s_mov_b64 s[26:27], 0
	s_and_saveexec_b64 s[30:31], s[28:29]
	s_xor_b64 s[28:29], exec, s[30:31]
	s_cbranch_execnz .LBB257_400
; %bb.391:
	s_or_saveexec_b64 s[28:29], s[28:29]
	v_mov_b32_e32 v6, 0x7f800001
	s_xor_b64 exec, exec, s[28:29]
	s_cbranch_execnz .LBB257_403
.LBB257_392:
	s_or_b64 exec, exec, s[28:29]
	s_and_saveexec_b64 s[28:29], s[26:27]
	s_cbranch_execz .LBB257_394
.LBB257_393:
	v_bfe_u32 v6, v4, 8, 2
	v_ffbh_u32_e32 v8, v6
	v_min_u32_e32 v8, 32, v8
	v_subrev_u32_e32 v9, 29, v8
	v_bfe_u32 v7, v4, 10, 5
	v_lshlrev_b32_e32 v9, v9, v3
	v_sub_u32_e32 v8, 30, v8
	v_and_b32_e32 v9, 3, v9
	v_cmp_eq_u32_e32 vcc, 0, v7
	v_cndmask_b32_e32 v7, v7, v8, vcc
	v_cndmask_b32_e32 v6, v6, v9, vcc
	v_lshlrev_b32_e32 v3, 24, v3
	v_mov_b32_e32 v8, 0x37800000
	v_lshlrev_b32_e32 v6, 21, v6
	v_and_b32_e32 v3, 0x80000000, v3
	v_lshl_add_u32 v7, v7, 23, v8
	v_or3_b32 v6, v3, v7, v6
.LBB257_394:
	s_or_b64 exec, exec, s[28:29]
	v_cmp_eq_f32_e64 s[26:27], s34, v6
	s_and_b64 vcc, exec, s[4:5]
	s_cbranch_vccz .LBB257_127
.LBB257_395:
                                        ; implicit-def: $sgpr28_sgpr29
	s_cbranch_execz .LBB257_144
; %bb.396:
	s_and_b32 s34, s14, 0xff
	s_cmpk_lt_i32 s34, 0x80
	s_cbranch_scc1 .LBB257_404
; %bb.397:
	s_and_b32 s28, 0xffff, s34
	s_cmpk_eq_i32 s28, 0x80
	s_mov_b64 s[28:29], -1
	s_cbranch_scc0 .LBB257_399
; %bb.398:
	s_mov_b64 s[28:29], 0
.LBB257_399:
	s_mov_b32 s36, 0x7f800001
	s_branch .LBB257_406
.LBB257_400:
	s_movk_i32 s26, 0x80
	v_cmp_eq_u16_sdwa s[36:37], v3, s26 src0_sel:BYTE_0 src1_sel:DWORD
	s_mov_b64 s[26:27], -1
	s_and_saveexec_b64 s[30:31], s[36:37]
; %bb.401:
	s_xor_b64 s[26:27], exec, -1
; %bb.402:
	s_or_b64 exec, exec, s[30:31]
	s_and_b64 s[26:27], s[26:27], exec
	s_or_saveexec_b64 s[28:29], s[28:29]
	v_mov_b32_e32 v6, 0x7f800001
	s_xor_b64 exec, exec, s[28:29]
	s_cbranch_execz .LBB257_392
.LBB257_403:
	v_mov_b32_e32 v6, 0
	v_cmp_ne_u16_sdwa s[30:31], v3, v6 src0_sel:BYTE_0 src1_sel:DWORD
	s_andn2_b64 s[26:27], s[26:27], exec
	s_and_b64 s[30:31], s[30:31], exec
	s_or_b64 s[26:27], s[26:27], s[30:31]
	s_or_b64 exec, exec, s[28:29]
	s_and_saveexec_b64 s[28:29], s[26:27]
	s_cbranch_execnz .LBB257_393
	s_branch .LBB257_394
.LBB257_404:
	s_mov_b64 s[28:29], 0
	s_mov_b32 s36, 0x7f800001
	s_cbranch_execz .LBB257_406
; %bb.405:
	s_and_b32 s28, 0xffff, s34
	s_cmp_lg_u32 s28, 0
	s_mov_b32 s36, 0
	s_cselect_b64 s[28:29], -1, 0
.LBB257_406:
	s_andn2_b64 vcc, exec, s[28:29]
	s_cbranch_vccnz .LBB257_408
; %bb.407:
	s_mov_b32 s36, s33
.LBB257_408:
	s_movk_i32 s28, 0xff
	v_and_b32_sdwa v3, v4, s28 dst_sel:DWORD dst_unused:UNUSED_PAD src0_sel:WORD_1 src1_sel:DWORD
	s_movk_i32 s28, 0x7f
	v_cmp_lt_i16_e32 vcc, s28, v3
	s_mov_b64 s[28:29], 0
	s_and_saveexec_b64 s[30:31], vcc
	s_xor_b64 s[30:31], exec, s[30:31]
	s_cbranch_execnz .LBB257_418
; %bb.409:
	s_or_saveexec_b64 s[30:31], s[30:31]
	v_mov_b32_e32 v6, 0x7f800001
	s_xor_b64 exec, exec, s[30:31]
	s_cbranch_execnz .LBB257_421
.LBB257_410:
	s_or_b64 exec, exec, s[30:31]
	s_and_saveexec_b64 s[30:31], s[28:29]
	s_cbranch_execz .LBB257_412
.LBB257_411:
	v_bfe_u32 v3, v4, 16, 2
	v_ffbh_u32_e32 v7, v3
	v_min_u32_e32 v7, 32, v7
	v_bfe_u32 v6, v4, 18, 5
	v_subrev_u32_e32 v8, 29, v7
	v_lshlrev_b32_sdwa v8, v8, v4 dst_sel:DWORD dst_unused:UNUSED_PAD src0_sel:DWORD src1_sel:WORD_1
	v_sub_u32_e32 v7, 30, v7
	v_cmp_eq_u32_e32 vcc, 0, v6
	v_and_b32_e32 v8, 3, v8
	v_cndmask_b32_e32 v6, v6, v7, vcc
	v_mov_b32_e32 v7, 24
	v_cndmask_b32_e32 v3, v3, v8, vcc
	v_lshlrev_b32_sdwa v7, v7, v4 dst_sel:DWORD dst_unused:UNUSED_PAD src0_sel:DWORD src1_sel:WORD_1
	v_mov_b32_e32 v8, 0x37800000
	v_lshlrev_b32_e32 v3, 21, v3
	v_and_b32_e32 v7, 0x80000000, v7
	v_lshl_add_u32 v6, v6, 23, v8
	v_or3_b32 v6, v7, v6, v3
.LBB257_412:
	s_or_b64 exec, exec, s[30:31]
	v_cmp_eq_f32_e64 s[28:29], s36, v6
	s_and_b64 vcc, exec, s[4:5]
	s_cbranch_vccz .LBB257_145
.LBB257_413:
                                        ; implicit-def: $sgpr30_sgpr31
	s_cbranch_execz .LBB257_162
; %bb.414:
	s_and_b32 s36, s14, 0xff
	s_cmpk_lt_i32 s36, 0x80
	s_cbranch_scc1 .LBB257_422
; %bb.415:
	s_and_b32 s30, 0xffff, s36
	s_cmpk_eq_i32 s30, 0x80
	s_mov_b64 s[30:31], -1
	s_cbranch_scc0 .LBB257_417
; %bb.416:
	s_mov_b64 s[30:31], 0
.LBB257_417:
	s_mov_b32 s38, 0x7f800001
	s_branch .LBB257_424
.LBB257_418:
	s_movk_i32 s28, 0x80
	v_cmp_eq_u16_e32 vcc, s28, v3
	s_mov_b64 s[28:29], -1
	s_and_saveexec_b64 s[34:35], vcc
; %bb.419:
	s_xor_b64 s[28:29], exec, -1
; %bb.420:
	s_or_b64 exec, exec, s[34:35]
	s_and_b64 s[28:29], s[28:29], exec
                                        ; implicit-def: $vgpr3
	s_or_saveexec_b64 s[30:31], s[30:31]
	v_mov_b32_e32 v6, 0x7f800001
	s_xor_b64 exec, exec, s[30:31]
	s_cbranch_execz .LBB257_410
.LBB257_421:
	v_cmp_ne_u16_e32 vcc, 0, v3
	s_andn2_b64 s[28:29], s[28:29], exec
	s_and_b64 s[34:35], vcc, exec
	v_mov_b32_e32 v6, 0
	s_or_b64 s[28:29], s[28:29], s[34:35]
	s_or_b64 exec, exec, s[30:31]
	s_and_saveexec_b64 s[30:31], s[28:29]
	s_cbranch_execnz .LBB257_411
	s_branch .LBB257_412
.LBB257_422:
	s_mov_b64 s[30:31], 0
	s_mov_b32 s38, 0x7f800001
	s_cbranch_execz .LBB257_424
; %bb.423:
	s_and_b32 s30, 0xffff, s36
	s_cmp_lg_u32 s30, 0
	s_mov_b32 s38, 0
	s_cselect_b64 s[30:31], -1, 0
.LBB257_424:
	s_andn2_b64 vcc, exec, s[30:31]
	s_cbranch_vccnz .LBB257_426
; %bb.425:
	s_mov_b32 s38, s33
.LBB257_426:
	s_movk_i32 s30, 0x7f
	v_cmp_gt_i16_sdwa s[34:35], v4, s30 src0_sel:BYTE_3 src1_sel:DWORD
	s_mov_b64 s[30:31], 0
	s_and_saveexec_b64 s[36:37], s[34:35]
	s_xor_b64 s[34:35], exec, s[36:37]
	s_cbranch_execnz .LBB257_436
; %bb.427:
	s_or_saveexec_b64 s[34:35], s[34:35]
	v_mov_b32_e32 v3, 0x7f800001
	s_xor_b64 exec, exec, s[34:35]
	s_cbranch_execnz .LBB257_439
.LBB257_428:
	s_or_b64 exec, exec, s[34:35]
	s_and_saveexec_b64 s[34:35], s[30:31]
	s_cbranch_execz .LBB257_430
.LBB257_429:
	v_bfe_u32 v3, v4, 24, 2
	v_ffbh_u32_e32 v7, v3
	v_min_u32_e32 v7, 32, v7
	v_subrev_u32_e32 v8, 29, v7
	v_bfe_u32 v6, v4, 26, 5
	v_lshlrev_b32_sdwa v8, v8, v4 dst_sel:DWORD dst_unused:UNUSED_PAD src0_sel:DWORD src1_sel:BYTE_3
	v_sub_u32_e32 v7, 30, v7
	v_and_b32_e32 v8, 3, v8
	v_cmp_eq_u32_e32 vcc, 0, v6
	v_cndmask_b32_e32 v6, v6, v7, vcc
	v_cndmask_b32_e32 v3, v3, v8, vcc
	v_mov_b32_e32 v7, 0x37800000
	v_lshlrev_b32_e32 v3, 21, v3
	v_and_b32_e32 v4, 0x80000000, v4
	v_lshl_add_u32 v6, v6, 23, v7
	v_or3_b32 v3, v4, v6, v3
.LBB257_430:
	s_or_b64 exec, exec, s[34:35]
	v_cmp_eq_f32_e64 s[30:31], s38, v3
	s_and_b64 vcc, exec, s[4:5]
	s_cbranch_vccz .LBB257_163
.LBB257_431:
                                        ; implicit-def: $sgpr34_sgpr35
	s_cbranch_execz .LBB257_180
; %bb.432:
	s_and_b32 s38, s14, 0xff
	s_cmpk_lt_i32 s38, 0x80
	s_cbranch_scc1 .LBB257_440
; %bb.433:
	s_and_b32 s34, 0xffff, s38
	s_cmpk_eq_i32 s34, 0x80
	s_mov_b64 s[34:35], -1
	s_cbranch_scc0 .LBB257_435
; %bb.434:
	s_mov_b64 s[34:35], 0
.LBB257_435:
	s_mov_b32 s40, 0x7f800001
	s_branch .LBB257_442
.LBB257_436:
	s_movk_i32 s30, 0x80
	v_cmp_eq_u16_sdwa s[40:41], v4, s30 src0_sel:BYTE_3 src1_sel:DWORD
	s_mov_b64 s[30:31], -1
	s_and_saveexec_b64 s[36:37], s[40:41]
; %bb.437:
	s_xor_b64 s[30:31], exec, -1
; %bb.438:
	s_or_b64 exec, exec, s[36:37]
	s_and_b64 s[30:31], s[30:31], exec
	s_or_saveexec_b64 s[34:35], s[34:35]
	v_mov_b32_e32 v3, 0x7f800001
	s_xor_b64 exec, exec, s[34:35]
	s_cbranch_execz .LBB257_428
.LBB257_439:
	v_mov_b32_e32 v3, 0
	v_cmp_ne_u16_sdwa s[36:37], v4, v3 src0_sel:BYTE_3 src1_sel:DWORD
	s_andn2_b64 s[30:31], s[30:31], exec
	s_and_b64 s[36:37], s[36:37], exec
	s_or_b64 s[30:31], s[30:31], s[36:37]
	s_or_b64 exec, exec, s[34:35]
	s_and_saveexec_b64 s[34:35], s[30:31]
	s_cbranch_execnz .LBB257_429
	s_branch .LBB257_430
.LBB257_440:
	s_mov_b64 s[34:35], 0
	s_mov_b32 s40, 0x7f800001
	s_cbranch_execz .LBB257_442
; %bb.441:
	s_and_b32 s34, 0xffff, s38
	s_cmp_lg_u32 s34, 0
	s_mov_b32 s40, 0
	s_cselect_b64 s[34:35], -1, 0
.LBB257_442:
	s_andn2_b64 vcc, exec, s[34:35]
	s_cbranch_vccnz .LBB257_444
; %bb.443:
	s_mov_b32 s40, s33
.LBB257_444:
	s_movk_i32 s34, 0x7f
	s_waitcnt vmcnt(0)
	v_cmp_gt_i16_sdwa s[36:37], v1, s34 src0_sel:BYTE_0 src1_sel:DWORD
	s_mov_b64 s[34:35], 0
	s_and_saveexec_b64 s[38:39], s[36:37]
	s_xor_b64 s[36:37], exec, s[38:39]
	s_cbranch_execnz .LBB257_454
; %bb.445:
	s_or_saveexec_b64 s[36:37], s[36:37]
	v_mov_b32_e32 v3, 0x7f800001
	s_xor_b64 exec, exec, s[36:37]
	s_cbranch_execnz .LBB257_457
.LBB257_446:
	s_or_b64 exec, exec, s[36:37]
	s_and_saveexec_b64 s[36:37], s[34:35]
	s_cbranch_execz .LBB257_448
.LBB257_447:
	v_and_b32_e32 v3, 3, v1
	v_ffbh_u32_e32 v6, v3
	v_min_u32_e32 v6, 32, v6
	v_subrev_u32_e32 v7, 29, v6
	v_bfe_u32 v4, v1, 2, 5
	v_lshlrev_b32_e32 v7, v7, v1
	v_sub_u32_e32 v6, 30, v6
	v_and_b32_e32 v7, 3, v7
	v_cmp_eq_u32_e32 vcc, 0, v4
	v_cndmask_b32_e32 v4, v4, v6, vcc
	v_cndmask_b32_e32 v3, v3, v7, vcc
	v_lshlrev_b32_e32 v6, 24, v1
	v_mov_b32_e32 v7, 0x37800000
	v_lshlrev_b32_e32 v3, 21, v3
	v_and_b32_e32 v6, 0x80000000, v6
	v_lshl_add_u32 v4, v4, 23, v7
	v_or3_b32 v3, v6, v4, v3
.LBB257_448:
	s_or_b64 exec, exec, s[36:37]
	v_cmp_eq_f32_e64 s[34:35], s40, v3
	s_and_b64 vcc, exec, s[4:5]
	v_lshrrev_b32_e32 v3, 8, v1
	s_cbranch_vccz .LBB257_181
.LBB257_449:
                                        ; implicit-def: $sgpr36_sgpr37
	s_cbranch_execz .LBB257_198
; %bb.450:
	s_and_b32 s40, s14, 0xff
	s_cmpk_lt_i32 s40, 0x80
	s_cbranch_scc1 .LBB257_458
; %bb.451:
	s_and_b32 s36, 0xffff, s40
	s_cmpk_eq_i32 s36, 0x80
	s_mov_b64 s[36:37], -1
	s_cbranch_scc0 .LBB257_453
; %bb.452:
	s_mov_b64 s[36:37], 0
.LBB257_453:
	s_mov_b32 s42, 0x7f800001
	s_branch .LBB257_460
.LBB257_454:
	s_movk_i32 s34, 0x80
	v_cmp_eq_u16_sdwa s[42:43], v1, s34 src0_sel:BYTE_0 src1_sel:DWORD
	s_mov_b64 s[34:35], -1
	s_and_saveexec_b64 s[38:39], s[42:43]
; %bb.455:
	s_xor_b64 s[34:35], exec, -1
; %bb.456:
	s_or_b64 exec, exec, s[38:39]
	s_and_b64 s[34:35], s[34:35], exec
	s_or_saveexec_b64 s[36:37], s[36:37]
	v_mov_b32_e32 v3, 0x7f800001
	s_xor_b64 exec, exec, s[36:37]
	s_cbranch_execz .LBB257_446
.LBB257_457:
	v_mov_b32_e32 v3, 0
	v_cmp_ne_u16_sdwa s[38:39], v1, v3 src0_sel:BYTE_0 src1_sel:DWORD
	s_andn2_b64 s[34:35], s[34:35], exec
	s_and_b64 s[38:39], s[38:39], exec
	s_or_b64 s[34:35], s[34:35], s[38:39]
	s_or_b64 exec, exec, s[36:37]
	s_and_saveexec_b64 s[36:37], s[34:35]
	s_cbranch_execnz .LBB257_447
	s_branch .LBB257_448
.LBB257_458:
	s_mov_b64 s[36:37], 0
	s_mov_b32 s42, 0x7f800001
	s_cbranch_execz .LBB257_460
; %bb.459:
	s_and_b32 s36, 0xffff, s40
	s_cmp_lg_u32 s36, 0
	s_mov_b32 s42, 0
	s_cselect_b64 s[36:37], -1, 0
.LBB257_460:
	s_andn2_b64 vcc, exec, s[36:37]
	s_cbranch_vccnz .LBB257_462
; %bb.461:
	s_mov_b32 s42, s33
.LBB257_462:
	s_movk_i32 s36, 0x7f
	v_cmp_gt_i16_sdwa s[38:39], v3, s36 src0_sel:BYTE_0 src1_sel:DWORD
	s_mov_b64 s[36:37], 0
	s_and_saveexec_b64 s[40:41], s[38:39]
	s_xor_b64 s[38:39], exec, s[40:41]
	s_cbranch_execnz .LBB257_472
; %bb.463:
	s_or_saveexec_b64 s[38:39], s[38:39]
	v_mov_b32_e32 v4, 0x7f800001
	s_xor_b64 exec, exec, s[38:39]
	s_cbranch_execnz .LBB257_475
.LBB257_464:
	s_or_b64 exec, exec, s[38:39]
	s_and_saveexec_b64 s[38:39], s[36:37]
	s_cbranch_execz .LBB257_466
.LBB257_465:
	v_bfe_u32 v4, v1, 8, 2
	v_ffbh_u32_e32 v7, v4
	v_min_u32_e32 v7, 32, v7
	v_subrev_u32_e32 v8, 29, v7
	v_bfe_u32 v6, v1, 10, 5
	v_lshlrev_b32_e32 v8, v8, v3
	v_sub_u32_e32 v7, 30, v7
	v_and_b32_e32 v8, 3, v8
	v_cmp_eq_u32_e32 vcc, 0, v6
	v_cndmask_b32_e32 v6, v6, v7, vcc
	v_cndmask_b32_e32 v4, v4, v8, vcc
	v_lshlrev_b32_e32 v3, 24, v3
	v_mov_b32_e32 v7, 0x37800000
	v_lshlrev_b32_e32 v4, 21, v4
	v_and_b32_e32 v3, 0x80000000, v3
	v_lshl_add_u32 v6, v6, 23, v7
	v_or3_b32 v4, v3, v6, v4
.LBB257_466:
	s_or_b64 exec, exec, s[38:39]
	v_cmp_eq_f32_e64 s[36:37], s42, v4
	s_and_b64 vcc, exec, s[4:5]
	s_cbranch_vccz .LBB257_199
.LBB257_467:
                                        ; implicit-def: $sgpr38_sgpr39
	s_cbranch_execz .LBB257_216
; %bb.468:
	s_and_b32 s42, s14, 0xff
	s_cmpk_lt_i32 s42, 0x80
	s_cbranch_scc1 .LBB257_476
; %bb.469:
	s_and_b32 s38, 0xffff, s42
	s_cmpk_eq_i32 s38, 0x80
	s_mov_b64 s[38:39], -1
	s_cbranch_scc0 .LBB257_471
; %bb.470:
	s_mov_b64 s[38:39], 0
.LBB257_471:
	s_mov_b32 s44, 0x7f800001
	s_branch .LBB257_478
.LBB257_472:
	s_movk_i32 s36, 0x80
	v_cmp_eq_u16_sdwa s[44:45], v3, s36 src0_sel:BYTE_0 src1_sel:DWORD
	s_mov_b64 s[36:37], -1
	s_and_saveexec_b64 s[40:41], s[44:45]
; %bb.473:
	s_xor_b64 s[36:37], exec, -1
; %bb.474:
	s_or_b64 exec, exec, s[40:41]
	s_and_b64 s[36:37], s[36:37], exec
	s_or_saveexec_b64 s[38:39], s[38:39]
	v_mov_b32_e32 v4, 0x7f800001
	s_xor_b64 exec, exec, s[38:39]
	s_cbranch_execz .LBB257_464
.LBB257_475:
	v_mov_b32_e32 v4, 0
	v_cmp_ne_u16_sdwa s[40:41], v3, v4 src0_sel:BYTE_0 src1_sel:DWORD
	s_andn2_b64 s[36:37], s[36:37], exec
	s_and_b64 s[40:41], s[40:41], exec
	s_or_b64 s[36:37], s[36:37], s[40:41]
	s_or_b64 exec, exec, s[38:39]
	s_and_saveexec_b64 s[38:39], s[36:37]
	s_cbranch_execnz .LBB257_465
	s_branch .LBB257_466
.LBB257_476:
	s_mov_b64 s[38:39], 0
	s_mov_b32 s44, 0x7f800001
	s_cbranch_execz .LBB257_478
; %bb.477:
	s_and_b32 s38, 0xffff, s42
	s_cmp_lg_u32 s38, 0
	s_mov_b32 s44, 0
	s_cselect_b64 s[38:39], -1, 0
.LBB257_478:
	s_andn2_b64 vcc, exec, s[38:39]
	s_cbranch_vccnz .LBB257_480
; %bb.479:
	s_mov_b32 s44, s33
.LBB257_480:
	s_movk_i32 s38, 0xff
	v_and_b32_sdwa v3, v1, s38 dst_sel:DWORD dst_unused:UNUSED_PAD src0_sel:WORD_1 src1_sel:DWORD
	s_movk_i32 s38, 0x7f
	v_cmp_lt_i16_e32 vcc, s38, v3
	s_mov_b64 s[38:39], 0
	s_and_saveexec_b64 s[40:41], vcc
	s_xor_b64 s[40:41], exec, s[40:41]
	s_cbranch_execnz .LBB257_490
; %bb.481:
	s_or_saveexec_b64 s[40:41], s[40:41]
	v_mov_b32_e32 v4, 0x7f800001
	s_xor_b64 exec, exec, s[40:41]
	s_cbranch_execnz .LBB257_493
.LBB257_482:
	s_or_b64 exec, exec, s[40:41]
	s_and_saveexec_b64 s[40:41], s[38:39]
	s_cbranch_execz .LBB257_484
.LBB257_483:
	v_bfe_u32 v3, v1, 16, 2
	v_ffbh_u32_e32 v6, v3
	v_min_u32_e32 v6, 32, v6
	v_bfe_u32 v4, v1, 18, 5
	v_subrev_u32_e32 v7, 29, v6
	v_lshlrev_b32_sdwa v7, v7, v1 dst_sel:DWORD dst_unused:UNUSED_PAD src0_sel:DWORD src1_sel:WORD_1
	v_sub_u32_e32 v6, 30, v6
	v_cmp_eq_u32_e32 vcc, 0, v4
	v_and_b32_e32 v7, 3, v7
	v_cndmask_b32_e32 v4, v4, v6, vcc
	v_mov_b32_e32 v6, 24
	v_cndmask_b32_e32 v3, v3, v7, vcc
	v_lshlrev_b32_sdwa v6, v6, v1 dst_sel:DWORD dst_unused:UNUSED_PAD src0_sel:DWORD src1_sel:WORD_1
	v_mov_b32_e32 v7, 0x37800000
	v_lshlrev_b32_e32 v3, 21, v3
	v_and_b32_e32 v6, 0x80000000, v6
	v_lshl_add_u32 v4, v4, 23, v7
	v_or3_b32 v4, v6, v4, v3
.LBB257_484:
	s_or_b64 exec, exec, s[40:41]
	v_cmp_eq_f32_e64 s[38:39], s44, v4
	s_and_b64 vcc, exec, s[4:5]
	s_cbranch_vccz .LBB257_217
.LBB257_485:
                                        ; implicit-def: $sgpr40_sgpr41
	s_cbranch_execz .LBB257_234
; %bb.486:
	s_and_b32 s44, s14, 0xff
	s_cmpk_lt_i32 s44, 0x80
	s_cbranch_scc1 .LBB257_494
; %bb.487:
	s_and_b32 s40, 0xffff, s44
	s_cmpk_eq_i32 s40, 0x80
	s_mov_b64 s[40:41], -1
	s_cbranch_scc0 .LBB257_489
; %bb.488:
	s_mov_b64 s[40:41], 0
.LBB257_489:
	s_mov_b32 s46, 0x7f800001
	s_branch .LBB257_496
.LBB257_490:
	s_movk_i32 s38, 0x80
	v_cmp_eq_u16_e32 vcc, s38, v3
	s_mov_b64 s[38:39], -1
	s_and_saveexec_b64 s[42:43], vcc
; %bb.491:
	s_xor_b64 s[38:39], exec, -1
; %bb.492:
	s_or_b64 exec, exec, s[42:43]
	s_and_b64 s[38:39], s[38:39], exec
                                        ; implicit-def: $vgpr3
	s_or_saveexec_b64 s[40:41], s[40:41]
	v_mov_b32_e32 v4, 0x7f800001
	s_xor_b64 exec, exec, s[40:41]
	s_cbranch_execz .LBB257_482
.LBB257_493:
	v_cmp_ne_u16_e32 vcc, 0, v3
	s_andn2_b64 s[38:39], s[38:39], exec
	s_and_b64 s[42:43], vcc, exec
	v_mov_b32_e32 v4, 0
	s_or_b64 s[38:39], s[38:39], s[42:43]
	s_or_b64 exec, exec, s[40:41]
	s_and_saveexec_b64 s[40:41], s[38:39]
	s_cbranch_execnz .LBB257_483
	s_branch .LBB257_484
.LBB257_494:
	s_mov_b64 s[40:41], 0
	s_mov_b32 s46, 0x7f800001
	s_cbranch_execz .LBB257_496
; %bb.495:
	s_and_b32 s40, 0xffff, s44
	s_cmp_lg_u32 s40, 0
	s_mov_b32 s46, 0
	s_cselect_b64 s[40:41], -1, 0
.LBB257_496:
	s_andn2_b64 vcc, exec, s[40:41]
	s_cbranch_vccnz .LBB257_498
; %bb.497:
	s_mov_b32 s46, s33
.LBB257_498:
	s_movk_i32 s40, 0x7f
	v_cmp_gt_i16_sdwa s[42:43], v1, s40 src0_sel:BYTE_3 src1_sel:DWORD
	s_mov_b64 s[40:41], 0
	s_and_saveexec_b64 s[44:45], s[42:43]
	s_xor_b64 s[42:43], exec, s[44:45]
	s_cbranch_execnz .LBB257_508
; %bb.499:
	s_or_saveexec_b64 s[42:43], s[42:43]
	v_mov_b32_e32 v3, 0x7f800001
	s_xor_b64 exec, exec, s[42:43]
	s_cbranch_execnz .LBB257_511
.LBB257_500:
	s_or_b64 exec, exec, s[42:43]
	s_and_saveexec_b64 s[42:43], s[40:41]
	s_cbranch_execz .LBB257_502
.LBB257_501:
	v_bfe_u32 v3, v1, 24, 2
	v_ffbh_u32_e32 v6, v3
	v_min_u32_e32 v6, 32, v6
	v_subrev_u32_e32 v7, 29, v6
	v_bfe_u32 v4, v1, 26, 5
	v_lshlrev_b32_sdwa v7, v7, v1 dst_sel:DWORD dst_unused:UNUSED_PAD src0_sel:DWORD src1_sel:BYTE_3
	v_sub_u32_e32 v6, 30, v6
	v_and_b32_e32 v7, 3, v7
	v_cmp_eq_u32_e32 vcc, 0, v4
	v_cndmask_b32_e32 v4, v4, v6, vcc
	v_cndmask_b32_e32 v3, v3, v7, vcc
	v_mov_b32_e32 v6, 0x37800000
	v_lshlrev_b32_e32 v3, 21, v3
	v_and_b32_e32 v1, 0x80000000, v1
	v_lshl_add_u32 v4, v4, 23, v6
	v_or3_b32 v3, v1, v4, v3
.LBB257_502:
	s_or_b64 exec, exec, s[42:43]
	v_cmp_eq_f32_e64 s[40:41], s46, v3
	s_and_b64 vcc, exec, s[4:5]
	s_cbranch_vccz .LBB257_235
.LBB257_503:
                                        ; implicit-def: $sgpr42_sgpr43
	s_cbranch_execz .LBB257_252
; %bb.504:
	s_and_b32 s46, s14, 0xff
	s_cmpk_lt_i32 s46, 0x80
	s_cbranch_scc1 .LBB257_512
; %bb.505:
	s_and_b32 s42, 0xffff, s46
	s_cmpk_eq_i32 s42, 0x80
	s_mov_b64 s[42:43], -1
	s_cbranch_scc0 .LBB257_507
; %bb.506:
	s_mov_b64 s[42:43], 0
.LBB257_507:
	s_mov_b32 s48, 0x7f800001
	s_branch .LBB257_514
.LBB257_508:
	s_movk_i32 s40, 0x80
	v_cmp_eq_u16_sdwa s[48:49], v1, s40 src0_sel:BYTE_3 src1_sel:DWORD
	s_mov_b64 s[40:41], -1
	s_and_saveexec_b64 s[44:45], s[48:49]
; %bb.509:
	s_xor_b64 s[40:41], exec, -1
; %bb.510:
	s_or_b64 exec, exec, s[44:45]
	s_and_b64 s[40:41], s[40:41], exec
	s_or_saveexec_b64 s[42:43], s[42:43]
	v_mov_b32_e32 v3, 0x7f800001
	s_xor_b64 exec, exec, s[42:43]
	s_cbranch_execz .LBB257_500
.LBB257_511:
	v_mov_b32_e32 v3, 0
	v_cmp_ne_u16_sdwa s[44:45], v1, v3 src0_sel:BYTE_3 src1_sel:DWORD
	s_andn2_b64 s[40:41], s[40:41], exec
	s_and_b64 s[44:45], s[44:45], exec
	s_or_b64 s[40:41], s[40:41], s[44:45]
	s_or_b64 exec, exec, s[42:43]
	s_and_saveexec_b64 s[42:43], s[40:41]
	s_cbranch_execnz .LBB257_501
	s_branch .LBB257_502
.LBB257_512:
	s_mov_b64 s[42:43], 0
	s_mov_b32 s48, 0x7f800001
	s_cbranch_execz .LBB257_514
; %bb.513:
	s_and_b32 s42, 0xffff, s46
	s_cmp_lg_u32 s42, 0
	s_mov_b32 s48, 0
	s_cselect_b64 s[42:43], -1, 0
.LBB257_514:
	s_andn2_b64 vcc, exec, s[42:43]
	s_cbranch_vccnz .LBB257_516
; %bb.515:
	s_mov_b32 s48, s33
.LBB257_516:
	s_movk_i32 s42, 0x7f
	v_cmp_gt_i16_sdwa s[44:45], v2, s42 src0_sel:BYTE_0 src1_sel:DWORD
	s_mov_b64 s[42:43], 0
	s_and_saveexec_b64 s[46:47], s[44:45]
	s_xor_b64 s[44:45], exec, s[46:47]
	s_cbranch_execnz .LBB257_526
; %bb.517:
	s_or_saveexec_b64 s[44:45], s[44:45]
	v_mov_b32_e32 v1, 0x7f800001
	s_xor_b64 exec, exec, s[44:45]
	s_cbranch_execnz .LBB257_529
.LBB257_518:
	s_or_b64 exec, exec, s[44:45]
	s_and_saveexec_b64 s[44:45], s[42:43]
	s_cbranch_execz .LBB257_520
.LBB257_519:
	v_and_b32_e32 v1, 3, v2
	v_ffbh_u32_e32 v4, v1
	v_min_u32_e32 v4, 32, v4
	v_subrev_u32_e32 v6, 29, v4
	v_bfe_u32 v3, v2, 2, 5
	v_lshlrev_b32_e32 v6, v6, v2
	v_sub_u32_e32 v4, 30, v4
	v_and_b32_e32 v6, 3, v6
	v_cmp_eq_u32_e32 vcc, 0, v3
	v_cndmask_b32_e32 v3, v3, v4, vcc
	v_cndmask_b32_e32 v1, v1, v6, vcc
	v_lshlrev_b32_e32 v4, 24, v2
	v_mov_b32_e32 v6, 0x37800000
	v_lshlrev_b32_e32 v1, 21, v1
	v_and_b32_e32 v4, 0x80000000, v4
	v_lshl_add_u32 v3, v3, 23, v6
	v_or3_b32 v1, v4, v3, v1
.LBB257_520:
	s_or_b64 exec, exec, s[44:45]
	v_cmp_eq_f32_e64 s[42:43], s48, v1
	s_and_b64 vcc, exec, s[4:5]
	v_lshrrev_b32_e32 v1, 8, v2
	s_cbranch_vccz .LBB257_253
.LBB257_521:
                                        ; implicit-def: $sgpr44_sgpr45
	s_cbranch_execz .LBB257_270
; %bb.522:
	s_and_b32 s48, s14, 0xff
	s_cmpk_lt_i32 s48, 0x80
	s_cbranch_scc1 .LBB257_530
; %bb.523:
	s_and_b32 s44, 0xffff, s48
	s_cmpk_eq_i32 s44, 0x80
	s_mov_b64 s[44:45], -1
	s_cbranch_scc0 .LBB257_525
; %bb.524:
	s_mov_b64 s[44:45], 0
.LBB257_525:
	s_mov_b32 s50, 0x7f800001
	s_branch .LBB257_532
.LBB257_526:
	s_movk_i32 s42, 0x80
	v_cmp_eq_u16_sdwa s[50:51], v2, s42 src0_sel:BYTE_0 src1_sel:DWORD
	s_mov_b64 s[42:43], -1
	s_and_saveexec_b64 s[46:47], s[50:51]
; %bb.527:
	s_xor_b64 s[42:43], exec, -1
; %bb.528:
	s_or_b64 exec, exec, s[46:47]
	s_and_b64 s[42:43], s[42:43], exec
	s_or_saveexec_b64 s[44:45], s[44:45]
	v_mov_b32_e32 v1, 0x7f800001
	s_xor_b64 exec, exec, s[44:45]
	s_cbranch_execz .LBB257_518
.LBB257_529:
	v_mov_b32_e32 v1, 0
	v_cmp_ne_u16_sdwa s[46:47], v2, v1 src0_sel:BYTE_0 src1_sel:DWORD
	s_andn2_b64 s[42:43], s[42:43], exec
	s_and_b64 s[46:47], s[46:47], exec
	s_or_b64 s[42:43], s[42:43], s[46:47]
	s_or_b64 exec, exec, s[44:45]
	s_and_saveexec_b64 s[44:45], s[42:43]
	s_cbranch_execnz .LBB257_519
	s_branch .LBB257_520
.LBB257_530:
	s_mov_b64 s[44:45], 0
	s_mov_b32 s50, 0x7f800001
	s_cbranch_execz .LBB257_532
; %bb.531:
	s_and_b32 s44, 0xffff, s48
	s_cmp_lg_u32 s44, 0
	s_mov_b32 s50, 0
	s_cselect_b64 s[44:45], -1, 0
.LBB257_532:
	s_andn2_b64 vcc, exec, s[44:45]
	s_cbranch_vccnz .LBB257_534
; %bb.533:
	s_mov_b32 s50, s33
.LBB257_534:
	s_movk_i32 s44, 0x7f
	v_cmp_gt_i16_sdwa s[46:47], v1, s44 src0_sel:BYTE_0 src1_sel:DWORD
	s_mov_b64 s[44:45], 0
	s_and_saveexec_b64 s[48:49], s[46:47]
	s_xor_b64 s[46:47], exec, s[48:49]
	s_cbranch_execnz .LBB257_544
; %bb.535:
	s_or_saveexec_b64 s[46:47], s[46:47]
	v_mov_b32_e32 v3, 0x7f800001
	s_xor_b64 exec, exec, s[46:47]
	s_cbranch_execnz .LBB257_547
.LBB257_536:
	s_or_b64 exec, exec, s[46:47]
	s_and_saveexec_b64 s[46:47], s[44:45]
	s_cbranch_execz .LBB257_538
.LBB257_537:
	v_bfe_u32 v3, v2, 8, 2
	v_ffbh_u32_e32 v6, v3
	v_min_u32_e32 v6, 32, v6
	v_subrev_u32_e32 v7, 29, v6
	v_bfe_u32 v4, v2, 10, 5
	v_lshlrev_b32_e32 v7, v7, v1
	v_sub_u32_e32 v6, 30, v6
	v_and_b32_e32 v7, 3, v7
	v_cmp_eq_u32_e32 vcc, 0, v4
	v_cndmask_b32_e32 v4, v4, v6, vcc
	v_cndmask_b32_e32 v3, v3, v7, vcc
	v_lshlrev_b32_e32 v1, 24, v1
	v_mov_b32_e32 v6, 0x37800000
	v_lshlrev_b32_e32 v3, 21, v3
	v_and_b32_e32 v1, 0x80000000, v1
	v_lshl_add_u32 v4, v4, 23, v6
	v_or3_b32 v3, v1, v4, v3
.LBB257_538:
	s_or_b64 exec, exec, s[46:47]
	v_cmp_eq_f32_e64 s[44:45], s50, v3
	s_and_b64 vcc, exec, s[4:5]
	s_cbranch_vccz .LBB257_271
.LBB257_539:
                                        ; implicit-def: $sgpr46_sgpr47
	s_cbranch_execz .LBB257_288
; %bb.540:
	s_and_b32 s50, s14, 0xff
	s_cmpk_lt_i32 s50, 0x80
	s_cbranch_scc1 .LBB257_548
; %bb.541:
	s_and_b32 s46, 0xffff, s50
	s_cmpk_eq_i32 s46, 0x80
	s_mov_b64 s[46:47], -1
	s_cbranch_scc0 .LBB257_543
; %bb.542:
	s_mov_b64 s[46:47], 0
.LBB257_543:
	s_mov_b32 s52, 0x7f800001
	s_branch .LBB257_550
.LBB257_544:
	s_movk_i32 s44, 0x80
	v_cmp_eq_u16_sdwa s[52:53], v1, s44 src0_sel:BYTE_0 src1_sel:DWORD
	s_mov_b64 s[44:45], -1
	s_and_saveexec_b64 s[48:49], s[52:53]
; %bb.545:
	s_xor_b64 s[44:45], exec, -1
; %bb.546:
	s_or_b64 exec, exec, s[48:49]
	s_and_b64 s[44:45], s[44:45], exec
	s_or_saveexec_b64 s[46:47], s[46:47]
	v_mov_b32_e32 v3, 0x7f800001
	s_xor_b64 exec, exec, s[46:47]
	s_cbranch_execz .LBB257_536
.LBB257_547:
	v_mov_b32_e32 v3, 0
	v_cmp_ne_u16_sdwa s[48:49], v1, v3 src0_sel:BYTE_0 src1_sel:DWORD
	s_andn2_b64 s[44:45], s[44:45], exec
	s_and_b64 s[48:49], s[48:49], exec
	s_or_b64 s[44:45], s[44:45], s[48:49]
	s_or_b64 exec, exec, s[46:47]
	s_and_saveexec_b64 s[46:47], s[44:45]
	s_cbranch_execnz .LBB257_537
	s_branch .LBB257_538
.LBB257_548:
	s_mov_b64 s[46:47], 0
	s_mov_b32 s52, 0x7f800001
	s_cbranch_execz .LBB257_550
; %bb.549:
	s_and_b32 s46, 0xffff, s50
	s_cmp_lg_u32 s46, 0
	s_mov_b32 s52, 0
	s_cselect_b64 s[46:47], -1, 0
.LBB257_550:
	s_andn2_b64 vcc, exec, s[46:47]
	s_cbranch_vccnz .LBB257_552
; %bb.551:
	s_mov_b32 s52, s33
.LBB257_552:
	s_movk_i32 s46, 0xff
	v_and_b32_sdwa v1, v2, s46 dst_sel:DWORD dst_unused:UNUSED_PAD src0_sel:WORD_1 src1_sel:DWORD
	s_movk_i32 s46, 0x7f
	v_cmp_lt_i16_e32 vcc, s46, v1
	s_mov_b64 s[46:47], 0
	s_and_saveexec_b64 s[48:49], vcc
	s_xor_b64 s[48:49], exec, s[48:49]
	s_cbranch_execnz .LBB257_562
; %bb.553:
	s_or_saveexec_b64 s[48:49], s[48:49]
	v_mov_b32_e32 v3, 0x7f800001
	s_xor_b64 exec, exec, s[48:49]
	s_cbranch_execnz .LBB257_565
.LBB257_554:
	s_or_b64 exec, exec, s[48:49]
	s_and_saveexec_b64 s[48:49], s[46:47]
	s_cbranch_execz .LBB257_556
.LBB257_555:
	v_bfe_u32 v1, v2, 16, 2
	v_ffbh_u32_e32 v4, v1
	v_min_u32_e32 v4, 32, v4
	v_bfe_u32 v3, v2, 18, 5
	v_subrev_u32_e32 v6, 29, v4
	v_lshlrev_b32_sdwa v6, v6, v2 dst_sel:DWORD dst_unused:UNUSED_PAD src0_sel:DWORD src1_sel:WORD_1
	v_sub_u32_e32 v4, 30, v4
	v_cmp_eq_u32_e32 vcc, 0, v3
	v_and_b32_e32 v6, 3, v6
	v_cndmask_b32_e32 v3, v3, v4, vcc
	v_mov_b32_e32 v4, 24
	v_cndmask_b32_e32 v1, v1, v6, vcc
	v_lshlrev_b32_sdwa v4, v4, v2 dst_sel:DWORD dst_unused:UNUSED_PAD src0_sel:DWORD src1_sel:WORD_1
	v_mov_b32_e32 v6, 0x37800000
	v_lshlrev_b32_e32 v1, 21, v1
	v_and_b32_e32 v4, 0x80000000, v4
	v_lshl_add_u32 v3, v3, 23, v6
	v_or3_b32 v3, v4, v3, v1
.LBB257_556:
	s_or_b64 exec, exec, s[48:49]
	v_cmp_eq_f32_e64 s[46:47], s52, v3
	s_and_b64 vcc, exec, s[4:5]
	s_cbranch_vccz .LBB257_289
.LBB257_557:
                                        ; implicit-def: $sgpr4_sgpr5
	s_cbranch_execz .LBB257_575
; %bb.558:
	s_and_b32 s50, s14, 0xff
	s_cmpk_lt_i32 s50, 0x80
	s_cbranch_scc1 .LBB257_566
; %bb.559:
	s_and_b32 s4, 0xffff, s50
	s_cmpk_eq_i32 s4, 0x80
	s_mov_b64 s[4:5], -1
	s_cbranch_scc0 .LBB257_561
; %bb.560:
	s_mov_b64 s[4:5], 0
.LBB257_561:
	s_mov_b32 s52, 0x7f800001
	s_branch .LBB257_568
.LBB257_562:
	s_movk_i32 s46, 0x80
	v_cmp_eq_u16_e32 vcc, s46, v1
	s_mov_b64 s[46:47], -1
	s_and_saveexec_b64 s[50:51], vcc
; %bb.563:
	s_xor_b64 s[46:47], exec, -1
; %bb.564:
	s_or_b64 exec, exec, s[50:51]
	s_and_b64 s[46:47], s[46:47], exec
                                        ; implicit-def: $vgpr1
	s_or_saveexec_b64 s[48:49], s[48:49]
	v_mov_b32_e32 v3, 0x7f800001
	s_xor_b64 exec, exec, s[48:49]
	s_cbranch_execz .LBB257_554
.LBB257_565:
	v_cmp_ne_u16_e32 vcc, 0, v1
	s_andn2_b64 s[46:47], s[46:47], exec
	s_and_b64 s[50:51], vcc, exec
	v_mov_b32_e32 v3, 0
	s_or_b64 s[46:47], s[46:47], s[50:51]
	s_or_b64 exec, exec, s[48:49]
	s_and_saveexec_b64 s[48:49], s[46:47]
	s_cbranch_execnz .LBB257_555
	s_branch .LBB257_556
.LBB257_566:
	s_mov_b64 s[4:5], 0
	s_mov_b32 s52, 0x7f800001
	s_cbranch_execz .LBB257_568
; %bb.567:
	s_and_b32 s4, 0xffff, s50
	s_cmp_lg_u32 s4, 0
	s_mov_b32 s52, 0
	s_cselect_b64 s[4:5], -1, 0
.LBB257_568:
	s_andn2_b64 vcc, exec, s[4:5]
	s_cbranch_vccnz .LBB257_570
; %bb.569:
	s_mov_b32 s52, s33
.LBB257_570:
	s_movk_i32 s4, 0x7f
	v_cmp_gt_i16_sdwa s[48:49], v2, s4 src0_sel:BYTE_3 src1_sel:DWORD
	s_mov_b64 s[4:5], 0
	s_and_saveexec_b64 s[50:51], s[48:49]
	s_xor_b64 s[48:49], exec, s[50:51]
	s_cbranch_execnz .LBB257_577
; %bb.571:
	s_or_saveexec_b64 s[48:49], s[48:49]
	v_mov_b32_e32 v1, 0x7f800001
	s_xor_b64 exec, exec, s[48:49]
	s_cbranch_execnz .LBB257_580
.LBB257_572:
	s_or_b64 exec, exec, s[48:49]
	s_and_saveexec_b64 s[48:49], s[4:5]
	s_cbranch_execz .LBB257_574
.LBB257_573:
	v_bfe_u32 v1, v2, 24, 2
	v_ffbh_u32_e32 v4, v1
	v_min_u32_e32 v4, 32, v4
	v_subrev_u32_e32 v6, 29, v4
	v_bfe_u32 v3, v2, 26, 5
	v_lshlrev_b32_sdwa v6, v6, v2 dst_sel:DWORD dst_unused:UNUSED_PAD src0_sel:DWORD src1_sel:BYTE_3
	v_sub_u32_e32 v4, 30, v4
	v_and_b32_e32 v6, 3, v6
	v_cmp_eq_u32_e32 vcc, 0, v3
	v_cndmask_b32_e32 v3, v3, v4, vcc
	v_cndmask_b32_e32 v1, v1, v6, vcc
	v_mov_b32_e32 v4, 0x37800000
	v_lshlrev_b32_e32 v1, 21, v1
	v_and_b32_e32 v2, 0x80000000, v2
	v_lshl_add_u32 v3, v3, 23, v4
	v_or3_b32 v1, v2, v3, v1
.LBB257_574:
	s_or_b64 exec, exec, s[48:49]
	v_cmp_eq_f32_e64 s[4:5], s52, v1
.LBB257_575:
	v_cndmask_b32_e64 v1, 0, 1, s[10:11]
	v_lshlrev_b16_e32 v1, 8, v1
	v_cndmask_b32_e64 v2, 0, 1, s[8:9]
	v_or_b32_e32 v1, v2, v1
	v_cndmask_b32_e64 v2, 0, 1, s[22:23]
	v_lshlrev_b16_e32 v2, 8, v2
	v_cndmask_b32_e64 v3, 0, 1, s[20:21]
	v_or_b32_sdwa v2, v3, v2 dst_sel:WORD_1 dst_unused:UNUSED_PAD src0_sel:DWORD src1_sel:DWORD
	v_or_b32_sdwa v1, v1, v2 dst_sel:DWORD dst_unused:UNUSED_PAD src0_sel:WORD_0 src1_sel:DWORD
	v_cndmask_b32_e64 v2, 0, 1, s[26:27]
	v_lshlrev_b16_e32 v2, 8, v2
	v_cndmask_b32_e64 v3, 0, 1, s[24:25]
	v_or_b32_e32 v2, v3, v2
	v_cndmask_b32_e64 v3, 0, 1, s[30:31]
	v_lshlrev_b16_e32 v3, 8, v3
	v_cndmask_b32_e64 v4, 0, 1, s[28:29]
	v_or_b32_sdwa v3, v4, v3 dst_sel:WORD_1 dst_unused:UNUSED_PAD src0_sel:DWORD src1_sel:DWORD
	v_or_b32_sdwa v2, v2, v3 dst_sel:DWORD dst_unused:UNUSED_PAD src0_sel:WORD_0 src1_sel:DWORD
	;; [unrolled: 9-line block ×3, first 2 shown]
	v_cndmask_b32_e64 v4, 0, 1, s[44:45]
	v_lshlrev_b16_e32 v4, 8, v4
	v_cndmask_b32_e64 v6, 0, 1, s[42:43]
	v_or_b32_e32 v4, v6, v4
	v_cndmask_b32_e64 v6, 0, 1, s[4:5]
	v_lshlrev_b16_e32 v6, 8, v6
	v_cndmask_b32_e64 v7, 0, 1, s[46:47]
	s_add_u32 s4, s16, s15
	v_or_b32_sdwa v6, v7, v6 dst_sel:WORD_1 dst_unused:UNUSED_PAD src0_sel:DWORD src1_sel:DWORD
	s_addc_u32 s5, s17, s12
	v_or_b32_sdwa v4, v4, v6 dst_sel:DWORD dst_unused:UNUSED_PAD src0_sel:WORD_0 src1_sel:DWORD
	global_store_dwordx2 v5, v[1:2], s[4:5]
	global_store_dwordx2 v5, v[3:4], s[4:5] offset:2048
	s_branch .LBB257_2
.LBB257_576:
	s_getpc_b64 s[4:5]
	s_add_u32 s4, s4, _ZN2at6native25elementwise_kernel_helperILb0ENS0_13AUnaryFunctorIN3c1015Float8_e5m2fnuzES4_bNS0_12_GLOBAL__N_116CompareEqFunctorIS4_EEEENS0_6memory8policies11unroll_baseILi256ESt5arrayIPcLm2EE23TrivialOffsetCalculatorILi1EjESG_NS9_15LoadWithoutCastENS9_16StoreWithoutCastELi16ELi1EEEEEvT0_T1_@rel32@lo+4
	s_addc_u32 s5, s5, _ZN2at6native25elementwise_kernel_helperILb0ENS0_13AUnaryFunctorIN3c1015Float8_e5m2fnuzES4_bNS0_12_GLOBAL__N_116CompareEqFunctorIS4_EEEENS0_6memory8policies11unroll_baseILi256ESt5arrayIPcLm2EE23TrivialOffsetCalculatorILi1EjESG_NS9_15LoadWithoutCastENS9_16StoreWithoutCastELi16ELi1EEEEEvT0_T1_@rel32@hi+12
	s_mov_b32 s12, s6
	v_mov_b32_e32 v31, v0
	v_mov_b32_e32 v0, s13
	;; [unrolled: 1-line block ×8, first 2 shown]
	s_swappc_b64 s[30:31], s[4:5]
	s_endpgm
.LBB257_577:
	s_movk_i32 s4, 0x80
	v_cmp_eq_u16_sdwa s[54:55], v2, s4 src0_sel:BYTE_3 src1_sel:DWORD
	s_mov_b64 s[4:5], -1
	s_and_saveexec_b64 s[50:51], s[54:55]
; %bb.578:
	s_xor_b64 s[4:5], exec, -1
; %bb.579:
	s_or_b64 exec, exec, s[50:51]
	s_and_b64 s[4:5], s[4:5], exec
	s_or_saveexec_b64 s[48:49], s[48:49]
	v_mov_b32_e32 v1, 0x7f800001
	s_xor_b64 exec, exec, s[48:49]
	s_cbranch_execz .LBB257_572
.LBB257_580:
	v_mov_b32_e32 v1, 0
	v_cmp_ne_u16_sdwa s[50:51], v2, v1 src0_sel:BYTE_3 src1_sel:DWORD
	s_andn2_b64 s[4:5], s[4:5], exec
	s_and_b64 s[50:51], s[50:51], exec
	s_or_b64 s[4:5], s[4:5], s[50:51]
	s_or_b64 exec, exec, s[48:49]
	s_and_saveexec_b64 s[48:49], s[4:5]
	s_cbranch_execnz .LBB257_573
	s_branch .LBB257_574
	.section	.rodata,"a",@progbits
	.p2align	6, 0x0
	.amdhsa_kernel _ZN2at6native29vectorized_elementwise_kernelILi8ENS0_13AUnaryFunctorIN3c1015Float8_e5m2fnuzES4_bNS0_12_GLOBAL__N_116CompareEqFunctorIS4_EEEESt5arrayIPcLm2EEEEviT0_T1_
		.amdhsa_group_segment_fixed_size 0
		.amdhsa_private_segment_fixed_size 0
		.amdhsa_kernarg_size 32
		.amdhsa_user_sgpr_count 6
		.amdhsa_user_sgpr_private_segment_buffer 1
		.amdhsa_user_sgpr_dispatch_ptr 0
		.amdhsa_user_sgpr_queue_ptr 0
		.amdhsa_user_sgpr_kernarg_segment_ptr 1
		.amdhsa_user_sgpr_dispatch_id 0
		.amdhsa_user_sgpr_flat_scratch_init 0
		.amdhsa_user_sgpr_private_segment_size 0
		.amdhsa_uses_dynamic_stack 0
		.amdhsa_system_sgpr_private_segment_wavefront_offset 0
		.amdhsa_system_sgpr_workgroup_id_x 1
		.amdhsa_system_sgpr_workgroup_id_y 0
		.amdhsa_system_sgpr_workgroup_id_z 0
		.amdhsa_system_sgpr_workgroup_info 0
		.amdhsa_system_vgpr_workitem_id 0
		.amdhsa_next_free_vgpr 32
		.amdhsa_next_free_sgpr 57
		.amdhsa_reserve_vcc 1
		.amdhsa_reserve_flat_scratch 0
		.amdhsa_float_round_mode_32 0
		.amdhsa_float_round_mode_16_64 0
		.amdhsa_float_denorm_mode_32 3
		.amdhsa_float_denorm_mode_16_64 3
		.amdhsa_dx10_clamp 1
		.amdhsa_ieee_mode 1
		.amdhsa_fp16_overflow 0
		.amdhsa_exception_fp_ieee_invalid_op 0
		.amdhsa_exception_fp_denorm_src 0
		.amdhsa_exception_fp_ieee_div_zero 0
		.amdhsa_exception_fp_ieee_overflow 0
		.amdhsa_exception_fp_ieee_underflow 0
		.amdhsa_exception_fp_ieee_inexact 0
		.amdhsa_exception_int_div_zero 0
	.end_amdhsa_kernel
	.section	.text._ZN2at6native29vectorized_elementwise_kernelILi8ENS0_13AUnaryFunctorIN3c1015Float8_e5m2fnuzES4_bNS0_12_GLOBAL__N_116CompareEqFunctorIS4_EEEESt5arrayIPcLm2EEEEviT0_T1_,"axG",@progbits,_ZN2at6native29vectorized_elementwise_kernelILi8ENS0_13AUnaryFunctorIN3c1015Float8_e5m2fnuzES4_bNS0_12_GLOBAL__N_116CompareEqFunctorIS4_EEEESt5arrayIPcLm2EEEEviT0_T1_,comdat
.Lfunc_end257:
	.size	_ZN2at6native29vectorized_elementwise_kernelILi8ENS0_13AUnaryFunctorIN3c1015Float8_e5m2fnuzES4_bNS0_12_GLOBAL__N_116CompareEqFunctorIS4_EEEESt5arrayIPcLm2EEEEviT0_T1_, .Lfunc_end257-_ZN2at6native29vectorized_elementwise_kernelILi8ENS0_13AUnaryFunctorIN3c1015Float8_e5m2fnuzES4_bNS0_12_GLOBAL__N_116CompareEqFunctorIS4_EEEESt5arrayIPcLm2EEEEviT0_T1_
                                        ; -- End function
	.set _ZN2at6native29vectorized_elementwise_kernelILi8ENS0_13AUnaryFunctorIN3c1015Float8_e5m2fnuzES4_bNS0_12_GLOBAL__N_116CompareEqFunctorIS4_EEEESt5arrayIPcLm2EEEEviT0_T1_.num_vgpr, max(32, .L_ZN2at6native25elementwise_kernel_helperILb0ENS0_13AUnaryFunctorIN3c1015Float8_e5m2fnuzES4_bNS0_12_GLOBAL__N_116CompareEqFunctorIS4_EEEENS0_6memory8policies11unroll_baseILi256ESt5arrayIPcLm2EE23TrivialOffsetCalculatorILi1EjESG_NS9_15LoadWithoutCastENS9_16StoreWithoutCastELi16ELi1EEEEEvT0_T1_.num_vgpr)
	.set _ZN2at6native29vectorized_elementwise_kernelILi8ENS0_13AUnaryFunctorIN3c1015Float8_e5m2fnuzES4_bNS0_12_GLOBAL__N_116CompareEqFunctorIS4_EEEESt5arrayIPcLm2EEEEviT0_T1_.num_agpr, max(0, .L_ZN2at6native25elementwise_kernel_helperILb0ENS0_13AUnaryFunctorIN3c1015Float8_e5m2fnuzES4_bNS0_12_GLOBAL__N_116CompareEqFunctorIS4_EEEENS0_6memory8policies11unroll_baseILi256ESt5arrayIPcLm2EE23TrivialOffsetCalculatorILi1EjESG_NS9_15LoadWithoutCastENS9_16StoreWithoutCastELi16ELi1EEEEEvT0_T1_.num_agpr)
	.set _ZN2at6native29vectorized_elementwise_kernelILi8ENS0_13AUnaryFunctorIN3c1015Float8_e5m2fnuzES4_bNS0_12_GLOBAL__N_116CompareEqFunctorIS4_EEEESt5arrayIPcLm2EEEEviT0_T1_.numbered_sgpr, max(56, .L_ZN2at6native25elementwise_kernel_helperILb0ENS0_13AUnaryFunctorIN3c1015Float8_e5m2fnuzES4_bNS0_12_GLOBAL__N_116CompareEqFunctorIS4_EEEENS0_6memory8policies11unroll_baseILi256ESt5arrayIPcLm2EE23TrivialOffsetCalculatorILi1EjESG_NS9_15LoadWithoutCastENS9_16StoreWithoutCastELi16ELi1EEEEEvT0_T1_.numbered_sgpr)
	.set _ZN2at6native29vectorized_elementwise_kernelILi8ENS0_13AUnaryFunctorIN3c1015Float8_e5m2fnuzES4_bNS0_12_GLOBAL__N_116CompareEqFunctorIS4_EEEESt5arrayIPcLm2EEEEviT0_T1_.num_named_barrier, max(0, .L_ZN2at6native25elementwise_kernel_helperILb0ENS0_13AUnaryFunctorIN3c1015Float8_e5m2fnuzES4_bNS0_12_GLOBAL__N_116CompareEqFunctorIS4_EEEENS0_6memory8policies11unroll_baseILi256ESt5arrayIPcLm2EE23TrivialOffsetCalculatorILi1EjESG_NS9_15LoadWithoutCastENS9_16StoreWithoutCastELi16ELi1EEEEEvT0_T1_.num_named_barrier)
	.set _ZN2at6native29vectorized_elementwise_kernelILi8ENS0_13AUnaryFunctorIN3c1015Float8_e5m2fnuzES4_bNS0_12_GLOBAL__N_116CompareEqFunctorIS4_EEEESt5arrayIPcLm2EEEEviT0_T1_.private_seg_size, 0+max(.L_ZN2at6native25elementwise_kernel_helperILb0ENS0_13AUnaryFunctorIN3c1015Float8_e5m2fnuzES4_bNS0_12_GLOBAL__N_116CompareEqFunctorIS4_EEEENS0_6memory8policies11unroll_baseILi256ESt5arrayIPcLm2EE23TrivialOffsetCalculatorILi1EjESG_NS9_15LoadWithoutCastENS9_16StoreWithoutCastELi16ELi1EEEEEvT0_T1_.private_seg_size)
	.set _ZN2at6native29vectorized_elementwise_kernelILi8ENS0_13AUnaryFunctorIN3c1015Float8_e5m2fnuzES4_bNS0_12_GLOBAL__N_116CompareEqFunctorIS4_EEEESt5arrayIPcLm2EEEEviT0_T1_.uses_vcc, or(1, .L_ZN2at6native25elementwise_kernel_helperILb0ENS0_13AUnaryFunctorIN3c1015Float8_e5m2fnuzES4_bNS0_12_GLOBAL__N_116CompareEqFunctorIS4_EEEENS0_6memory8policies11unroll_baseILi256ESt5arrayIPcLm2EE23TrivialOffsetCalculatorILi1EjESG_NS9_15LoadWithoutCastENS9_16StoreWithoutCastELi16ELi1EEEEEvT0_T1_.uses_vcc)
	.set _ZN2at6native29vectorized_elementwise_kernelILi8ENS0_13AUnaryFunctorIN3c1015Float8_e5m2fnuzES4_bNS0_12_GLOBAL__N_116CompareEqFunctorIS4_EEEESt5arrayIPcLm2EEEEviT0_T1_.uses_flat_scratch, or(0, .L_ZN2at6native25elementwise_kernel_helperILb0ENS0_13AUnaryFunctorIN3c1015Float8_e5m2fnuzES4_bNS0_12_GLOBAL__N_116CompareEqFunctorIS4_EEEENS0_6memory8policies11unroll_baseILi256ESt5arrayIPcLm2EE23TrivialOffsetCalculatorILi1EjESG_NS9_15LoadWithoutCastENS9_16StoreWithoutCastELi16ELi1EEEEEvT0_T1_.uses_flat_scratch)
	.set _ZN2at6native29vectorized_elementwise_kernelILi8ENS0_13AUnaryFunctorIN3c1015Float8_e5m2fnuzES4_bNS0_12_GLOBAL__N_116CompareEqFunctorIS4_EEEESt5arrayIPcLm2EEEEviT0_T1_.has_dyn_sized_stack, or(0, .L_ZN2at6native25elementwise_kernel_helperILb0ENS0_13AUnaryFunctorIN3c1015Float8_e5m2fnuzES4_bNS0_12_GLOBAL__N_116CompareEqFunctorIS4_EEEENS0_6memory8policies11unroll_baseILi256ESt5arrayIPcLm2EE23TrivialOffsetCalculatorILi1EjESG_NS9_15LoadWithoutCastENS9_16StoreWithoutCastELi16ELi1EEEEEvT0_T1_.has_dyn_sized_stack)
	.set _ZN2at6native29vectorized_elementwise_kernelILi8ENS0_13AUnaryFunctorIN3c1015Float8_e5m2fnuzES4_bNS0_12_GLOBAL__N_116CompareEqFunctorIS4_EEEESt5arrayIPcLm2EEEEviT0_T1_.has_recursion, or(0, .L_ZN2at6native25elementwise_kernel_helperILb0ENS0_13AUnaryFunctorIN3c1015Float8_e5m2fnuzES4_bNS0_12_GLOBAL__N_116CompareEqFunctorIS4_EEEENS0_6memory8policies11unroll_baseILi256ESt5arrayIPcLm2EE23TrivialOffsetCalculatorILi1EjESG_NS9_15LoadWithoutCastENS9_16StoreWithoutCastELi16ELi1EEEEEvT0_T1_.has_recursion)
	.set _ZN2at6native29vectorized_elementwise_kernelILi8ENS0_13AUnaryFunctorIN3c1015Float8_e5m2fnuzES4_bNS0_12_GLOBAL__N_116CompareEqFunctorIS4_EEEESt5arrayIPcLm2EEEEviT0_T1_.has_indirect_call, or(0, .L_ZN2at6native25elementwise_kernel_helperILb0ENS0_13AUnaryFunctorIN3c1015Float8_e5m2fnuzES4_bNS0_12_GLOBAL__N_116CompareEqFunctorIS4_EEEENS0_6memory8policies11unroll_baseILi256ESt5arrayIPcLm2EE23TrivialOffsetCalculatorILi1EjESG_NS9_15LoadWithoutCastENS9_16StoreWithoutCastELi16ELi1EEEEEvT0_T1_.has_indirect_call)
	.section	.AMDGPU.csdata,"",@progbits
; Kernel info:
; codeLenInByte = 12356
; TotalNumSgprs: 61
; NumVgprs: 32
; ScratchSize: 0
; MemoryBound: 0
; FloatMode: 240
; IeeeMode: 1
; LDSByteSize: 0 bytes/workgroup (compile time only)
; SGPRBlocks: 7
; VGPRBlocks: 7
; NumSGPRsForWavesPerEU: 61
; NumVGPRsForWavesPerEU: 32
; Occupancy: 8
; WaveLimiterHint : 1
; COMPUTE_PGM_RSRC2:SCRATCH_EN: 0
; COMPUTE_PGM_RSRC2:USER_SGPR: 6
; COMPUTE_PGM_RSRC2:TRAP_HANDLER: 0
; COMPUTE_PGM_RSRC2:TGID_X_EN: 1
; COMPUTE_PGM_RSRC2:TGID_Y_EN: 0
; COMPUTE_PGM_RSRC2:TGID_Z_EN: 0
; COMPUTE_PGM_RSRC2:TIDIG_COMP_CNT: 0
	.section	.text._ZN2at6native29vectorized_elementwise_kernelILi4ENS0_13AUnaryFunctorIN3c1015Float8_e5m2fnuzES4_bNS0_12_GLOBAL__N_116CompareEqFunctorIS4_EEEESt5arrayIPcLm2EEEEviT0_T1_,"axG",@progbits,_ZN2at6native29vectorized_elementwise_kernelILi4ENS0_13AUnaryFunctorIN3c1015Float8_e5m2fnuzES4_bNS0_12_GLOBAL__N_116CompareEqFunctorIS4_EEEESt5arrayIPcLm2EEEEviT0_T1_,comdat
	.globl	_ZN2at6native29vectorized_elementwise_kernelILi4ENS0_13AUnaryFunctorIN3c1015Float8_e5m2fnuzES4_bNS0_12_GLOBAL__N_116CompareEqFunctorIS4_EEEESt5arrayIPcLm2EEEEviT0_T1_ ; -- Begin function _ZN2at6native29vectorized_elementwise_kernelILi4ENS0_13AUnaryFunctorIN3c1015Float8_e5m2fnuzES4_bNS0_12_GLOBAL__N_116CompareEqFunctorIS4_EEEESt5arrayIPcLm2EEEEviT0_T1_
	.p2align	8
	.type	_ZN2at6native29vectorized_elementwise_kernelILi4ENS0_13AUnaryFunctorIN3c1015Float8_e5m2fnuzES4_bNS0_12_GLOBAL__N_116CompareEqFunctorIS4_EEEESt5arrayIPcLm2EEEEviT0_T1_,@function
_ZN2at6native29vectorized_elementwise_kernelILi4ENS0_13AUnaryFunctorIN3c1015Float8_e5m2fnuzES4_bNS0_12_GLOBAL__N_116CompareEqFunctorIS4_EEEESt5arrayIPcLm2EEEEviT0_T1_: ; @_ZN2at6native29vectorized_elementwise_kernelILi4ENS0_13AUnaryFunctorIN3c1015Float8_e5m2fnuzES4_bNS0_12_GLOBAL__N_116CompareEqFunctorIS4_EEEESt5arrayIPcLm2EEEEviT0_T1_
; %bb.0:
	s_load_dwordx8 s[12:19], s[4:5], 0x0
	s_add_u32 s0, s0, s7
	s_addc_u32 s1, s1, 0
	s_waitcnt lgkmcnt(0)
	s_lshl_b32 s15, s6, 12
	s_mov_b64 s[4:5], -1
	s_sub_i32 s7, s12, s15
	s_cmpk_gt_i32 s7, 0xfff
	s_mov_b32 s32, 0
	s_cbranch_scc1 .LBB258_3
; %bb.1:
	s_and_b64 vcc, exec, s[4:5]
	s_cbranch_vccnz .LBB258_576
.LBB258_2:
	s_endpgm
.LBB258_3:
	s_ashr_i32 s12, s15, 31
	s_add_u32 s4, s18, s15
	s_addc_u32 s5, s19, s12
	v_lshlrev_b32_e32 v1, 2, v0
	global_load_dword v5, v1, s[4:5]
	global_load_dword v4, v1, s[4:5] offset:1024
	global_load_dword v3, v1, s[4:5] offset:2048
	;; [unrolled: 1-line block ×3, first 2 shown]
	s_cmp_lg_u32 s13, 0
	s_cselect_b64 s[10:11], -1, 0
	s_and_b32 s4, s14, 3
	s_flbit_i32_b32 s8, s4
	s_min_u32 s8, s8, 32
	s_sub_i32 s9, s8, 29
	s_lshl_b32 s9, s14, s9
	s_bfe_u32 s5, s14, 0x50002
	s_sub_i32 s8, 30, s8
	s_and_b32 s9, s9, 3
	s_cmp_eq_u32 s5, 0
	s_cselect_b32 s5, s8, s5
	s_cselect_b32 s4, s9, s4
	s_lshl_b32 s8, s14, 24
	s_lshl_b32 s5, s5, 23
	s_and_b32 s8, s8, 0x80000000
	s_add_i32 s5, s5, 0x37800000
	s_lshl_b32 s4, s4, 21
	s_or_b32 s5, s8, s5
	s_or_b32 s33, s5, s4
	s_and_b64 vcc, exec, s[10:11]
	s_cbranch_vccz .LBB258_8
; %bb.4:
	s_and_b32 s20, s14, 0xff
	s_cmpk_lt_i32 s20, 0x80
	s_cbranch_scc1 .LBB258_9
; %bb.5:
	s_and_b32 s4, 0xffff, s20
	s_cmpk_eq_i32 s4, 0x80
	s_mov_b64 s[4:5], -1
	s_cbranch_scc0 .LBB258_7
; %bb.6:
	s_mov_b64 s[4:5], 0
.LBB258_7:
	s_mov_b32 s22, 0x7f800001
	s_branch .LBB258_11
.LBB258_8:
                                        ; implicit-def: $sgpr8_sgpr9
	s_cbranch_execnz .LBB258_18
	s_branch .LBB258_35
.LBB258_9:
	s_mov_b64 s[4:5], 0
	s_mov_b32 s22, 0x7f800001
	s_cbranch_execz .LBB258_11
; %bb.10:
	s_and_b32 s4, 0xffff, s20
	s_cmp_lg_u32 s4, 0
	s_mov_b32 s22, 0
	s_cselect_b64 s[4:5], -1, 0
.LBB258_11:
	s_andn2_b64 vcc, exec, s[4:5]
	s_cbranch_vccnz .LBB258_13
; %bb.12:
	s_mov_b32 s22, s33
.LBB258_13:
	s_movk_i32 s4, 0x7f
	s_waitcnt vmcnt(3)
	v_cmp_gt_i16_sdwa s[8:9], v5, s4 src0_sel:BYTE_0 src1_sel:DWORD
	s_mov_b64 s[4:5], 0
	s_and_saveexec_b64 s[20:21], s[8:9]
	s_xor_b64 s[8:9], exec, s[20:21]
	s_cbranch_execnz .LBB258_22
; %bb.14:
	s_or_saveexec_b64 s[8:9], s[8:9]
	v_mov_b32_e32 v6, 0x7f800001
	s_xor_b64 exec, exec, s[8:9]
	s_cbranch_execnz .LBB258_25
.LBB258_15:
	s_or_b64 exec, exec, s[8:9]
	s_and_saveexec_b64 s[8:9], s[4:5]
	s_cbranch_execz .LBB258_17
.LBB258_16:
	v_and_b32_e32 v6, 3, v5
	v_ffbh_u32_e32 v8, v6
	v_min_u32_e32 v8, 32, v8
	v_subrev_u32_e32 v9, 29, v8
	v_bfe_u32 v7, v5, 2, 5
	v_lshlrev_b32_e32 v9, v9, v5
	v_sub_u32_e32 v8, 30, v8
	v_and_b32_e32 v9, 3, v9
	v_cmp_eq_u32_e32 vcc, 0, v7
	v_cndmask_b32_e32 v7, v7, v8, vcc
	v_cndmask_b32_e32 v6, v6, v9, vcc
	v_lshlrev_b32_e32 v8, 24, v5
	v_mov_b32_e32 v9, 0x37800000
	v_lshlrev_b32_e32 v6, 21, v6
	v_and_b32_e32 v8, 0x80000000, v8
	v_lshl_add_u32 v7, v7, 23, v9
	v_or3_b32 v6, v8, v7, v6
.LBB258_17:
	s_or_b64 exec, exec, s[8:9]
	v_cmp_neq_f32_e64 s[8:9], s22, v6
	s_branch .LBB258_35
.LBB258_18:
	s_and_b32 s20, s14, 0xff
	s_cmpk_lt_i32 s20, 0x80
	s_cbranch_scc1 .LBB258_26
; %bb.19:
	s_and_b32 s4, 0xffff, s20
	s_cmpk_eq_i32 s4, 0x80
	s_mov_b64 s[4:5], -1
	s_cbranch_scc0 .LBB258_21
; %bb.20:
	s_mov_b64 s[4:5], 0
.LBB258_21:
	s_mov_b32 s22, 0x7f800001
	s_branch .LBB258_28
.LBB258_22:
	s_movk_i32 s4, 0x80
	v_cmp_eq_u16_sdwa s[24:25], v5, s4 src0_sel:BYTE_0 src1_sel:DWORD
	s_mov_b64 s[4:5], -1
	s_and_saveexec_b64 s[20:21], s[24:25]
; %bb.23:
	s_xor_b64 s[4:5], exec, -1
; %bb.24:
	s_or_b64 exec, exec, s[20:21]
	s_and_b64 s[4:5], s[4:5], exec
	s_or_saveexec_b64 s[8:9], s[8:9]
	v_mov_b32_e32 v6, 0x7f800001
	s_xor_b64 exec, exec, s[8:9]
	s_cbranch_execz .LBB258_15
.LBB258_25:
	v_mov_b32_e32 v6, 0
	v_cmp_ne_u16_sdwa s[20:21], v5, v6 src0_sel:BYTE_0 src1_sel:DWORD
	s_andn2_b64 s[4:5], s[4:5], exec
	s_and_b64 s[20:21], s[20:21], exec
	s_or_b64 s[4:5], s[4:5], s[20:21]
	s_or_b64 exec, exec, s[8:9]
	s_and_saveexec_b64 s[8:9], s[4:5]
	s_cbranch_execnz .LBB258_16
	s_branch .LBB258_17
.LBB258_26:
	s_mov_b64 s[4:5], 0
	s_mov_b32 s22, 0x7f800001
	s_cbranch_execz .LBB258_28
; %bb.27:
	s_and_b32 s4, 0xffff, s20
	s_cmp_lg_u32 s4, 0
	s_mov_b32 s22, 0
	s_cselect_b64 s[4:5], -1, 0
.LBB258_28:
	s_andn2_b64 vcc, exec, s[4:5]
	s_cbranch_vccnz .LBB258_30
; %bb.29:
	s_mov_b32 s22, s33
.LBB258_30:
	s_movk_i32 s4, 0x7f
	s_waitcnt vmcnt(3)
	v_cmp_gt_i16_sdwa s[8:9], v5, s4 src0_sel:BYTE_0 src1_sel:DWORD
	s_mov_b64 s[4:5], 0
	s_and_saveexec_b64 s[20:21], s[8:9]
	s_xor_b64 s[8:9], exec, s[20:21]
	s_cbranch_execnz .LBB258_310
; %bb.31:
	s_or_saveexec_b64 s[8:9], s[8:9]
	v_mov_b32_e32 v6, 0x7f800001
	s_xor_b64 exec, exec, s[8:9]
	s_cbranch_execnz .LBB258_313
.LBB258_32:
	s_or_b64 exec, exec, s[8:9]
	s_and_saveexec_b64 s[8:9], s[4:5]
	s_cbranch_execz .LBB258_34
.LBB258_33:
	v_and_b32_e32 v6, 3, v5
	v_ffbh_u32_e32 v8, v6
	v_min_u32_e32 v8, 32, v8
	v_subrev_u32_e32 v9, 29, v8
	v_bfe_u32 v7, v5, 2, 5
	v_lshlrev_b32_e32 v9, v9, v5
	v_sub_u32_e32 v8, 30, v8
	v_and_b32_e32 v9, 3, v9
	v_cmp_eq_u32_e32 vcc, 0, v7
	v_cndmask_b32_e32 v7, v7, v8, vcc
	v_cndmask_b32_e32 v6, v6, v9, vcc
	v_lshlrev_b32_e32 v8, 24, v5
	v_mov_b32_e32 v9, 0x37800000
	v_lshlrev_b32_e32 v6, 21, v6
	v_and_b32_e32 v8, 0x80000000, v8
	v_lshl_add_u32 v7, v7, 23, v9
	v_or3_b32 v6, v8, v7, v6
.LBB258_34:
	s_or_b64 exec, exec, s[8:9]
	v_cmp_eq_f32_e64 s[8:9], s22, v6
.LBB258_35:
	v_cndmask_b32_e64 v6, 0, 1, s[10:11]
	v_cmp_ne_u32_e64 s[4:5], 1, v6
	s_andn2_b64 vcc, exec, s[10:11]
	s_waitcnt vmcnt(3)
	v_lshrrev_b32_e32 v6, 8, v5
	s_cbranch_vccnz .LBB258_40
; %bb.36:
	s_and_b32 s22, s14, 0xff
	s_cmpk_lt_i32 s22, 0x80
	s_cbranch_scc1 .LBB258_46
; %bb.37:
	s_and_b32 s10, 0xffff, s22
	s_cmpk_eq_i32 s10, 0x80
	s_mov_b64 s[10:11], -1
	s_cbranch_scc0 .LBB258_39
; %bb.38:
	s_mov_b64 s[10:11], 0
.LBB258_39:
	s_mov_b32 s24, 0x7f800001
	s_branch .LBB258_48
.LBB258_40:
                                        ; implicit-def: $sgpr10_sgpr11
	s_cbranch_execnz .LBB258_55
.LBB258_41:
	s_and_b64 vcc, exec, s[4:5]
	s_cbranch_vccnz .LBB258_323
.LBB258_42:
	s_and_b32 s24, s14, 0xff
	s_cmpk_lt_i32 s24, 0x80
	s_cbranch_scc1 .LBB258_59
; %bb.43:
	s_and_b32 s20, 0xffff, s24
	s_cmpk_eq_i32 s20, 0x80
	s_mov_b64 s[20:21], -1
	s_cbranch_scc0 .LBB258_45
; %bb.44:
	s_mov_b64 s[20:21], 0
.LBB258_45:
	s_mov_b32 s26, 0x7f800001
	s_branch .LBB258_61
.LBB258_46:
	s_mov_b64 s[10:11], 0
	s_mov_b32 s24, 0x7f800001
	s_cbranch_execz .LBB258_48
; %bb.47:
	s_and_b32 s10, 0xffff, s22
	s_cmp_lg_u32 s10, 0
	s_mov_b32 s24, 0
	s_cselect_b64 s[10:11], -1, 0
.LBB258_48:
	s_andn2_b64 vcc, exec, s[10:11]
	s_cbranch_vccnz .LBB258_50
; %bb.49:
	s_mov_b32 s24, s33
.LBB258_50:
	s_movk_i32 s10, 0x7f
	v_cmp_gt_i16_sdwa s[20:21], v6, s10 src0_sel:BYTE_0 src1_sel:DWORD
	s_mov_b64 s[10:11], 0
	s_and_saveexec_b64 s[22:23], s[20:21]
	s_xor_b64 s[20:21], exec, s[22:23]
	s_cbranch_execnz .LBB258_73
; %bb.51:
	s_or_saveexec_b64 s[20:21], s[20:21]
	v_mov_b32_e32 v7, 0x7f800001
	s_xor_b64 exec, exec, s[20:21]
	s_cbranch_execnz .LBB258_76
.LBB258_52:
	s_or_b64 exec, exec, s[20:21]
	s_and_saveexec_b64 s[20:21], s[10:11]
	s_cbranch_execz .LBB258_54
.LBB258_53:
	v_bfe_u32 v7, v5, 8, 2
	v_ffbh_u32_e32 v9, v7
	v_min_u32_e32 v9, 32, v9
	v_subrev_u32_e32 v10, 29, v9
	v_bfe_u32 v8, v5, 10, 5
	v_lshlrev_b32_e32 v10, v10, v6
	v_sub_u32_e32 v9, 30, v9
	v_and_b32_e32 v10, 3, v10
	v_cmp_eq_u32_e32 vcc, 0, v8
	v_cndmask_b32_e32 v8, v8, v9, vcc
	v_cndmask_b32_e32 v7, v7, v10, vcc
	v_lshlrev_b32_e32 v9, 24, v6
	v_mov_b32_e32 v10, 0x37800000
	v_lshlrev_b32_e32 v7, 21, v7
	v_and_b32_e32 v9, 0x80000000, v9
	v_lshl_add_u32 v8, v8, 23, v10
	v_or3_b32 v7, v9, v8, v7
.LBB258_54:
	s_or_b64 exec, exec, s[20:21]
	v_cmp_neq_f32_e64 s[10:11], s24, v7
	s_branch .LBB258_41
.LBB258_55:
	s_and_b32 s22, s14, 0xff
	s_cmpk_lt_i32 s22, 0x80
	s_cbranch_scc1 .LBB258_314
; %bb.56:
	s_and_b32 s10, 0xffff, s22
	s_cmpk_eq_i32 s10, 0x80
	s_mov_b64 s[10:11], -1
	s_cbranch_scc0 .LBB258_58
; %bb.57:
	s_mov_b64 s[10:11], 0
.LBB258_58:
	s_mov_b32 s24, 0x7f800001
	s_branch .LBB258_316
.LBB258_59:
	s_mov_b64 s[20:21], 0
	s_mov_b32 s26, 0x7f800001
	s_cbranch_execz .LBB258_61
; %bb.60:
	s_and_b32 s20, 0xffff, s24
	s_cmp_lg_u32 s20, 0
	s_mov_b32 s26, 0
	s_cselect_b64 s[20:21], -1, 0
.LBB258_61:
	s_andn2_b64 vcc, exec, s[20:21]
	s_cbranch_vccnz .LBB258_63
; %bb.62:
	s_mov_b32 s26, s33
.LBB258_63:
	s_movk_i32 s20, 0xff
	v_and_b32_sdwa v6, v5, s20 dst_sel:DWORD dst_unused:UNUSED_PAD src0_sel:WORD_1 src1_sel:DWORD
	s_movk_i32 s20, 0x7f
	v_cmp_lt_i16_e32 vcc, s20, v6
	s_mov_b64 s[20:21], 0
	s_and_saveexec_b64 s[22:23], vcc
	s_xor_b64 s[22:23], exec, s[22:23]
	s_cbranch_execnz .LBB258_77
; %bb.64:
	s_or_saveexec_b64 s[22:23], s[22:23]
	v_mov_b32_e32 v7, 0x7f800001
	s_xor_b64 exec, exec, s[22:23]
	s_cbranch_execnz .LBB258_80
.LBB258_65:
	s_or_b64 exec, exec, s[22:23]
	s_and_saveexec_b64 s[22:23], s[20:21]
	s_cbranch_execz .LBB258_67
.LBB258_66:
	v_bfe_u32 v6, v5, 16, 2
	v_ffbh_u32_e32 v8, v6
	v_min_u32_e32 v8, 32, v8
	v_bfe_u32 v7, v5, 18, 5
	v_subrev_u32_e32 v9, 29, v8
	v_lshlrev_b32_sdwa v9, v9, v5 dst_sel:DWORD dst_unused:UNUSED_PAD src0_sel:DWORD src1_sel:WORD_1
	v_sub_u32_e32 v8, 30, v8
	v_cmp_eq_u32_e32 vcc, 0, v7
	v_and_b32_e32 v9, 3, v9
	v_cndmask_b32_e32 v7, v7, v8, vcc
	v_mov_b32_e32 v8, 24
	v_cndmask_b32_e32 v6, v6, v9, vcc
	v_lshlrev_b32_sdwa v8, v8, v5 dst_sel:DWORD dst_unused:UNUSED_PAD src0_sel:DWORD src1_sel:WORD_1
	v_mov_b32_e32 v9, 0x37800000
	v_lshlrev_b32_e32 v6, 21, v6
	v_and_b32_e32 v8, 0x80000000, v8
	v_lshl_add_u32 v7, v7, 23, v9
	v_or3_b32 v7, v8, v7, v6
.LBB258_67:
	s_or_b64 exec, exec, s[22:23]
	v_cmp_neq_f32_e64 s[20:21], s26, v7
.LBB258_68:
	s_and_b64 vcc, exec, s[4:5]
	s_cbranch_vccnz .LBB258_341
.LBB258_69:
	s_and_b32 s26, s14, 0xff
	s_cmpk_lt_i32 s26, 0x80
	s_cbranch_scc1 .LBB258_81
; %bb.70:
	s_and_b32 s22, 0xffff, s26
	s_cmpk_eq_i32 s22, 0x80
	s_mov_b64 s[22:23], -1
	s_cbranch_scc0 .LBB258_72
; %bb.71:
	s_mov_b64 s[22:23], 0
.LBB258_72:
	s_mov_b32 s28, 0x7f800001
	s_branch .LBB258_83
.LBB258_73:
	s_movk_i32 s10, 0x80
	v_cmp_eq_u16_sdwa s[26:27], v6, s10 src0_sel:BYTE_0 src1_sel:DWORD
	s_mov_b64 s[10:11], -1
	s_and_saveexec_b64 s[22:23], s[26:27]
; %bb.74:
	s_xor_b64 s[10:11], exec, -1
; %bb.75:
	s_or_b64 exec, exec, s[22:23]
	s_and_b64 s[10:11], s[10:11], exec
	s_or_saveexec_b64 s[20:21], s[20:21]
	v_mov_b32_e32 v7, 0x7f800001
	s_xor_b64 exec, exec, s[20:21]
	s_cbranch_execz .LBB258_52
.LBB258_76:
	v_mov_b32_e32 v7, 0
	v_cmp_ne_u16_sdwa s[22:23], v6, v7 src0_sel:BYTE_0 src1_sel:DWORD
	s_andn2_b64 s[10:11], s[10:11], exec
	s_and_b64 s[22:23], s[22:23], exec
	s_or_b64 s[10:11], s[10:11], s[22:23]
	s_or_b64 exec, exec, s[20:21]
	s_and_saveexec_b64 s[20:21], s[10:11]
	s_cbranch_execnz .LBB258_53
	s_branch .LBB258_54
.LBB258_77:
	s_movk_i32 s20, 0x80
	v_cmp_eq_u16_e32 vcc, s20, v6
	s_mov_b64 s[20:21], -1
	s_and_saveexec_b64 s[24:25], vcc
; %bb.78:
	s_xor_b64 s[20:21], exec, -1
; %bb.79:
	s_or_b64 exec, exec, s[24:25]
	s_and_b64 s[20:21], s[20:21], exec
                                        ; implicit-def: $vgpr6
	s_or_saveexec_b64 s[22:23], s[22:23]
	v_mov_b32_e32 v7, 0x7f800001
	s_xor_b64 exec, exec, s[22:23]
	s_cbranch_execz .LBB258_65
.LBB258_80:
	v_cmp_ne_u16_e32 vcc, 0, v6
	s_andn2_b64 s[20:21], s[20:21], exec
	s_and_b64 s[24:25], vcc, exec
	v_mov_b32_e32 v7, 0
	s_or_b64 s[20:21], s[20:21], s[24:25]
	s_or_b64 exec, exec, s[22:23]
	s_and_saveexec_b64 s[22:23], s[20:21]
	s_cbranch_execnz .LBB258_66
	s_branch .LBB258_67
.LBB258_81:
	s_mov_b64 s[22:23], 0
	s_mov_b32 s28, 0x7f800001
	s_cbranch_execz .LBB258_83
; %bb.82:
	s_and_b32 s22, 0xffff, s26
	s_cmp_lg_u32 s22, 0
	s_mov_b32 s28, 0
	s_cselect_b64 s[22:23], -1, 0
.LBB258_83:
	s_andn2_b64 vcc, exec, s[22:23]
	s_cbranch_vccnz .LBB258_85
; %bb.84:
	s_mov_b32 s28, s33
.LBB258_85:
	s_movk_i32 s22, 0x7f
	v_cmp_gt_i16_sdwa s[24:25], v5, s22 src0_sel:BYTE_3 src1_sel:DWORD
	s_mov_b64 s[22:23], 0
	s_and_saveexec_b64 s[26:27], s[24:25]
	s_xor_b64 s[24:25], exec, s[26:27]
	s_cbranch_execnz .LBB258_95
; %bb.86:
	s_or_saveexec_b64 s[24:25], s[24:25]
	v_mov_b32_e32 v6, 0x7f800001
	s_xor_b64 exec, exec, s[24:25]
	s_cbranch_execnz .LBB258_98
.LBB258_87:
	s_or_b64 exec, exec, s[24:25]
	s_and_saveexec_b64 s[24:25], s[22:23]
	s_cbranch_execz .LBB258_89
.LBB258_88:
	v_bfe_u32 v6, v5, 24, 2
	v_ffbh_u32_e32 v8, v6
	v_min_u32_e32 v8, 32, v8
	v_subrev_u32_e32 v9, 29, v8
	v_bfe_u32 v7, v5, 26, 5
	v_lshlrev_b32_sdwa v9, v9, v5 dst_sel:DWORD dst_unused:UNUSED_PAD src0_sel:DWORD src1_sel:BYTE_3
	v_sub_u32_e32 v8, 30, v8
	v_and_b32_e32 v9, 3, v9
	v_cmp_eq_u32_e32 vcc, 0, v7
	v_cndmask_b32_e32 v7, v7, v8, vcc
	v_cndmask_b32_e32 v6, v6, v9, vcc
	v_mov_b32_e32 v9, 0x37800000
	v_lshlrev_b32_e32 v6, 21, v6
	v_and_b32_e32 v8, 0x80000000, v5
	v_lshl_add_u32 v7, v7, 23, v9
	v_or3_b32 v6, v8, v7, v6
.LBB258_89:
	s_or_b64 exec, exec, s[24:25]
	v_cmp_neq_f32_e64 s[22:23], s28, v6
.LBB258_90:
	s_and_b64 vcc, exec, s[4:5]
	s_cbranch_vccnz .LBB258_359
.LBB258_91:
	s_and_b32 s28, s14, 0xff
	s_cmpk_lt_i32 s28, 0x80
	s_cbranch_scc1 .LBB258_99
; %bb.92:
	s_and_b32 s24, 0xffff, s28
	s_cmpk_eq_i32 s24, 0x80
	s_mov_b64 s[24:25], -1
	s_cbranch_scc0 .LBB258_94
; %bb.93:
	s_mov_b64 s[24:25], 0
.LBB258_94:
	s_mov_b32 s30, 0x7f800001
	s_branch .LBB258_101
.LBB258_95:
	s_movk_i32 s22, 0x80
	v_cmp_eq_u16_sdwa s[30:31], v5, s22 src0_sel:BYTE_3 src1_sel:DWORD
	s_mov_b64 s[22:23], -1
	s_and_saveexec_b64 s[26:27], s[30:31]
; %bb.96:
	s_xor_b64 s[22:23], exec, -1
; %bb.97:
	s_or_b64 exec, exec, s[26:27]
	s_and_b64 s[22:23], s[22:23], exec
	s_or_saveexec_b64 s[24:25], s[24:25]
	v_mov_b32_e32 v6, 0x7f800001
	s_xor_b64 exec, exec, s[24:25]
	s_cbranch_execz .LBB258_87
.LBB258_98:
	v_mov_b32_e32 v6, 0
	v_cmp_ne_u16_sdwa s[26:27], v5, v6 src0_sel:BYTE_3 src1_sel:DWORD
	s_andn2_b64 s[22:23], s[22:23], exec
	s_and_b64 s[26:27], s[26:27], exec
	s_or_b64 s[22:23], s[22:23], s[26:27]
	s_or_b64 exec, exec, s[24:25]
	s_and_saveexec_b64 s[24:25], s[22:23]
	s_cbranch_execnz .LBB258_88
	s_branch .LBB258_89
.LBB258_99:
	s_mov_b64 s[24:25], 0
	s_mov_b32 s30, 0x7f800001
	s_cbranch_execz .LBB258_101
; %bb.100:
	s_and_b32 s24, 0xffff, s28
	s_cmp_lg_u32 s24, 0
	s_mov_b32 s30, 0
	s_cselect_b64 s[24:25], -1, 0
.LBB258_101:
	s_andn2_b64 vcc, exec, s[24:25]
	s_cbranch_vccnz .LBB258_103
; %bb.102:
	s_mov_b32 s30, s33
.LBB258_103:
	s_movk_i32 s24, 0x7f
	s_waitcnt vmcnt(2)
	v_cmp_gt_i16_sdwa s[26:27], v4, s24 src0_sel:BYTE_0 src1_sel:DWORD
	s_mov_b64 s[24:25], 0
	s_and_saveexec_b64 s[28:29], s[26:27]
	s_xor_b64 s[26:27], exec, s[28:29]
	s_cbranch_execnz .LBB258_113
; %bb.104:
	s_or_saveexec_b64 s[26:27], s[26:27]
	v_mov_b32_e32 v5, 0x7f800001
	s_xor_b64 exec, exec, s[26:27]
	s_cbranch_execnz .LBB258_116
.LBB258_105:
	s_or_b64 exec, exec, s[26:27]
	s_and_saveexec_b64 s[26:27], s[24:25]
	s_cbranch_execz .LBB258_107
.LBB258_106:
	v_and_b32_e32 v5, 3, v4
	v_ffbh_u32_e32 v7, v5
	v_min_u32_e32 v7, 32, v7
	v_subrev_u32_e32 v8, 29, v7
	v_bfe_u32 v6, v4, 2, 5
	v_lshlrev_b32_e32 v8, v8, v4
	v_sub_u32_e32 v7, 30, v7
	v_and_b32_e32 v8, 3, v8
	v_cmp_eq_u32_e32 vcc, 0, v6
	v_cndmask_b32_e32 v6, v6, v7, vcc
	v_cndmask_b32_e32 v5, v5, v8, vcc
	v_lshlrev_b32_e32 v7, 24, v4
	v_mov_b32_e32 v8, 0x37800000
	v_lshlrev_b32_e32 v5, 21, v5
	v_and_b32_e32 v7, 0x80000000, v7
	v_lshl_add_u32 v6, v6, 23, v8
	v_or3_b32 v5, v7, v6, v5
.LBB258_107:
	s_or_b64 exec, exec, s[26:27]
	v_cmp_neq_f32_e64 s[24:25], s30, v5
.LBB258_108:
	s_and_b64 vcc, exec, s[4:5]
	s_waitcnt vmcnt(2)
	v_lshrrev_b32_e32 v5, 8, v4
	s_cbranch_vccnz .LBB258_377
.LBB258_109:
	s_and_b32 s30, s14, 0xff
	s_cmpk_lt_i32 s30, 0x80
	s_cbranch_scc1 .LBB258_117
; %bb.110:
	s_and_b32 s26, 0xffff, s30
	s_cmpk_eq_i32 s26, 0x80
	s_mov_b64 s[26:27], -1
	s_cbranch_scc0 .LBB258_112
; %bb.111:
	s_mov_b64 s[26:27], 0
.LBB258_112:
	s_mov_b32 s34, 0x7f800001
	s_branch .LBB258_119
.LBB258_113:
	s_movk_i32 s24, 0x80
	v_cmp_eq_u16_sdwa s[34:35], v4, s24 src0_sel:BYTE_0 src1_sel:DWORD
	s_mov_b64 s[24:25], -1
	s_and_saveexec_b64 s[28:29], s[34:35]
; %bb.114:
	s_xor_b64 s[24:25], exec, -1
; %bb.115:
	s_or_b64 exec, exec, s[28:29]
	s_and_b64 s[24:25], s[24:25], exec
	s_or_saveexec_b64 s[26:27], s[26:27]
	v_mov_b32_e32 v5, 0x7f800001
	s_xor_b64 exec, exec, s[26:27]
	s_cbranch_execz .LBB258_105
.LBB258_116:
	v_mov_b32_e32 v5, 0
	v_cmp_ne_u16_sdwa s[28:29], v4, v5 src0_sel:BYTE_0 src1_sel:DWORD
	s_andn2_b64 s[24:25], s[24:25], exec
	s_and_b64 s[28:29], s[28:29], exec
	s_or_b64 s[24:25], s[24:25], s[28:29]
	s_or_b64 exec, exec, s[26:27]
	s_and_saveexec_b64 s[26:27], s[24:25]
	s_cbranch_execnz .LBB258_106
	s_branch .LBB258_107
.LBB258_117:
	s_mov_b64 s[26:27], 0
	s_mov_b32 s34, 0x7f800001
	s_cbranch_execz .LBB258_119
; %bb.118:
	s_and_b32 s26, 0xffff, s30
	s_cmp_lg_u32 s26, 0
	s_mov_b32 s34, 0
	s_cselect_b64 s[26:27], -1, 0
.LBB258_119:
	s_andn2_b64 vcc, exec, s[26:27]
	s_cbranch_vccnz .LBB258_121
; %bb.120:
	s_mov_b32 s34, s33
.LBB258_121:
	s_movk_i32 s26, 0x7f
	v_cmp_gt_i16_sdwa s[28:29], v5, s26 src0_sel:BYTE_0 src1_sel:DWORD
	s_mov_b64 s[26:27], 0
	s_and_saveexec_b64 s[30:31], s[28:29]
	s_xor_b64 s[28:29], exec, s[30:31]
	s_cbranch_execnz .LBB258_131
; %bb.122:
	s_or_saveexec_b64 s[28:29], s[28:29]
	v_mov_b32_e32 v6, 0x7f800001
	s_xor_b64 exec, exec, s[28:29]
	s_cbranch_execnz .LBB258_134
.LBB258_123:
	s_or_b64 exec, exec, s[28:29]
	s_and_saveexec_b64 s[28:29], s[26:27]
	s_cbranch_execz .LBB258_125
.LBB258_124:
	v_bfe_u32 v6, v4, 8, 2
	v_ffbh_u32_e32 v8, v6
	v_min_u32_e32 v8, 32, v8
	v_subrev_u32_e32 v9, 29, v8
	v_bfe_u32 v7, v4, 10, 5
	v_lshlrev_b32_e32 v9, v9, v5
	v_sub_u32_e32 v8, 30, v8
	v_and_b32_e32 v9, 3, v9
	v_cmp_eq_u32_e32 vcc, 0, v7
	v_cndmask_b32_e32 v7, v7, v8, vcc
	v_cndmask_b32_e32 v6, v6, v9, vcc
	v_lshlrev_b32_e32 v8, 24, v5
	v_mov_b32_e32 v9, 0x37800000
	v_lshlrev_b32_e32 v6, 21, v6
	v_and_b32_e32 v8, 0x80000000, v8
	v_lshl_add_u32 v7, v7, 23, v9
	v_or3_b32 v6, v8, v7, v6
.LBB258_125:
	s_or_b64 exec, exec, s[28:29]
	v_cmp_neq_f32_e64 s[26:27], s34, v6
.LBB258_126:
	s_and_b64 vcc, exec, s[4:5]
	s_cbranch_vccnz .LBB258_395
.LBB258_127:
	s_and_b32 s34, s14, 0xff
	s_cmpk_lt_i32 s34, 0x80
	s_cbranch_scc1 .LBB258_135
; %bb.128:
	s_and_b32 s28, 0xffff, s34
	s_cmpk_eq_i32 s28, 0x80
	s_mov_b64 s[28:29], -1
	s_cbranch_scc0 .LBB258_130
; %bb.129:
	s_mov_b64 s[28:29], 0
.LBB258_130:
	s_mov_b32 s36, 0x7f800001
	s_branch .LBB258_137
.LBB258_131:
	s_movk_i32 s26, 0x80
	v_cmp_eq_u16_sdwa s[36:37], v5, s26 src0_sel:BYTE_0 src1_sel:DWORD
	s_mov_b64 s[26:27], -1
	s_and_saveexec_b64 s[30:31], s[36:37]
; %bb.132:
	s_xor_b64 s[26:27], exec, -1
; %bb.133:
	s_or_b64 exec, exec, s[30:31]
	s_and_b64 s[26:27], s[26:27], exec
	s_or_saveexec_b64 s[28:29], s[28:29]
	v_mov_b32_e32 v6, 0x7f800001
	s_xor_b64 exec, exec, s[28:29]
	s_cbranch_execz .LBB258_123
.LBB258_134:
	v_mov_b32_e32 v6, 0
	v_cmp_ne_u16_sdwa s[30:31], v5, v6 src0_sel:BYTE_0 src1_sel:DWORD
	s_andn2_b64 s[26:27], s[26:27], exec
	s_and_b64 s[30:31], s[30:31], exec
	s_or_b64 s[26:27], s[26:27], s[30:31]
	s_or_b64 exec, exec, s[28:29]
	s_and_saveexec_b64 s[28:29], s[26:27]
	s_cbranch_execnz .LBB258_124
	s_branch .LBB258_125
.LBB258_135:
	s_mov_b64 s[28:29], 0
	s_mov_b32 s36, 0x7f800001
	s_cbranch_execz .LBB258_137
; %bb.136:
	s_and_b32 s28, 0xffff, s34
	s_cmp_lg_u32 s28, 0
	s_mov_b32 s36, 0
	s_cselect_b64 s[28:29], -1, 0
.LBB258_137:
	s_andn2_b64 vcc, exec, s[28:29]
	s_cbranch_vccnz .LBB258_139
; %bb.138:
	s_mov_b32 s36, s33
.LBB258_139:
	s_movk_i32 s28, 0xff
	v_and_b32_sdwa v5, v4, s28 dst_sel:DWORD dst_unused:UNUSED_PAD src0_sel:WORD_1 src1_sel:DWORD
	s_movk_i32 s28, 0x7f
	v_cmp_lt_i16_e32 vcc, s28, v5
	s_mov_b64 s[28:29], 0
	s_and_saveexec_b64 s[30:31], vcc
	s_xor_b64 s[30:31], exec, s[30:31]
	s_cbranch_execnz .LBB258_149
; %bb.140:
	s_or_saveexec_b64 s[30:31], s[30:31]
	v_mov_b32_e32 v6, 0x7f800001
	s_xor_b64 exec, exec, s[30:31]
	s_cbranch_execnz .LBB258_152
.LBB258_141:
	s_or_b64 exec, exec, s[30:31]
	s_and_saveexec_b64 s[30:31], s[28:29]
	s_cbranch_execz .LBB258_143
.LBB258_142:
	v_bfe_u32 v5, v4, 16, 2
	v_ffbh_u32_e32 v7, v5
	v_min_u32_e32 v7, 32, v7
	v_bfe_u32 v6, v4, 18, 5
	v_subrev_u32_e32 v8, 29, v7
	v_lshlrev_b32_sdwa v8, v8, v4 dst_sel:DWORD dst_unused:UNUSED_PAD src0_sel:DWORD src1_sel:WORD_1
	v_sub_u32_e32 v7, 30, v7
	v_cmp_eq_u32_e32 vcc, 0, v6
	v_and_b32_e32 v8, 3, v8
	v_cndmask_b32_e32 v6, v6, v7, vcc
	v_mov_b32_e32 v7, 24
	v_cndmask_b32_e32 v5, v5, v8, vcc
	v_lshlrev_b32_sdwa v7, v7, v4 dst_sel:DWORD dst_unused:UNUSED_PAD src0_sel:DWORD src1_sel:WORD_1
	v_mov_b32_e32 v8, 0x37800000
	v_lshlrev_b32_e32 v5, 21, v5
	v_and_b32_e32 v7, 0x80000000, v7
	v_lshl_add_u32 v6, v6, 23, v8
	v_or3_b32 v6, v7, v6, v5
.LBB258_143:
	s_or_b64 exec, exec, s[30:31]
	v_cmp_neq_f32_e64 s[28:29], s36, v6
.LBB258_144:
	s_and_b64 vcc, exec, s[4:5]
	s_cbranch_vccnz .LBB258_413
.LBB258_145:
	s_and_b32 s36, s14, 0xff
	s_cmpk_lt_i32 s36, 0x80
	s_cbranch_scc1 .LBB258_153
; %bb.146:
	s_and_b32 s30, 0xffff, s36
	s_cmpk_eq_i32 s30, 0x80
	s_mov_b64 s[30:31], -1
	s_cbranch_scc0 .LBB258_148
; %bb.147:
	s_mov_b64 s[30:31], 0
.LBB258_148:
	s_mov_b32 s38, 0x7f800001
	s_branch .LBB258_155
.LBB258_149:
	s_movk_i32 s28, 0x80
	v_cmp_eq_u16_e32 vcc, s28, v5
	s_mov_b64 s[28:29], -1
	s_and_saveexec_b64 s[34:35], vcc
; %bb.150:
	s_xor_b64 s[28:29], exec, -1
; %bb.151:
	s_or_b64 exec, exec, s[34:35]
	s_and_b64 s[28:29], s[28:29], exec
                                        ; implicit-def: $vgpr5
	s_or_saveexec_b64 s[30:31], s[30:31]
	v_mov_b32_e32 v6, 0x7f800001
	s_xor_b64 exec, exec, s[30:31]
	s_cbranch_execz .LBB258_141
.LBB258_152:
	v_cmp_ne_u16_e32 vcc, 0, v5
	s_andn2_b64 s[28:29], s[28:29], exec
	s_and_b64 s[34:35], vcc, exec
	v_mov_b32_e32 v6, 0
	s_or_b64 s[28:29], s[28:29], s[34:35]
	s_or_b64 exec, exec, s[30:31]
	s_and_saveexec_b64 s[30:31], s[28:29]
	s_cbranch_execnz .LBB258_142
	s_branch .LBB258_143
.LBB258_153:
	s_mov_b64 s[30:31], 0
	s_mov_b32 s38, 0x7f800001
	s_cbranch_execz .LBB258_155
; %bb.154:
	s_and_b32 s30, 0xffff, s36
	s_cmp_lg_u32 s30, 0
	s_mov_b32 s38, 0
	s_cselect_b64 s[30:31], -1, 0
.LBB258_155:
	s_andn2_b64 vcc, exec, s[30:31]
	s_cbranch_vccnz .LBB258_157
; %bb.156:
	s_mov_b32 s38, s33
.LBB258_157:
	s_movk_i32 s30, 0x7f
	v_cmp_gt_i16_sdwa s[34:35], v4, s30 src0_sel:BYTE_3 src1_sel:DWORD
	s_mov_b64 s[30:31], 0
	s_and_saveexec_b64 s[36:37], s[34:35]
	s_xor_b64 s[34:35], exec, s[36:37]
	s_cbranch_execnz .LBB258_167
; %bb.158:
	s_or_saveexec_b64 s[34:35], s[34:35]
	v_mov_b32_e32 v5, 0x7f800001
	s_xor_b64 exec, exec, s[34:35]
	s_cbranch_execnz .LBB258_170
.LBB258_159:
	s_or_b64 exec, exec, s[34:35]
	s_and_saveexec_b64 s[34:35], s[30:31]
	s_cbranch_execz .LBB258_161
.LBB258_160:
	v_bfe_u32 v5, v4, 24, 2
	v_ffbh_u32_e32 v7, v5
	v_min_u32_e32 v7, 32, v7
	v_subrev_u32_e32 v8, 29, v7
	v_bfe_u32 v6, v4, 26, 5
	v_lshlrev_b32_sdwa v8, v8, v4 dst_sel:DWORD dst_unused:UNUSED_PAD src0_sel:DWORD src1_sel:BYTE_3
	v_sub_u32_e32 v7, 30, v7
	v_and_b32_e32 v8, 3, v8
	v_cmp_eq_u32_e32 vcc, 0, v6
	v_cndmask_b32_e32 v6, v6, v7, vcc
	v_cndmask_b32_e32 v5, v5, v8, vcc
	v_mov_b32_e32 v8, 0x37800000
	v_lshlrev_b32_e32 v5, 21, v5
	v_and_b32_e32 v7, 0x80000000, v4
	v_lshl_add_u32 v6, v6, 23, v8
	v_or3_b32 v5, v7, v6, v5
.LBB258_161:
	s_or_b64 exec, exec, s[34:35]
	v_cmp_neq_f32_e64 s[30:31], s38, v5
.LBB258_162:
	s_and_b64 vcc, exec, s[4:5]
	s_cbranch_vccnz .LBB258_431
.LBB258_163:
	s_and_b32 s38, s14, 0xff
	s_cmpk_lt_i32 s38, 0x80
	s_cbranch_scc1 .LBB258_171
; %bb.164:
	s_and_b32 s34, 0xffff, s38
	s_cmpk_eq_i32 s34, 0x80
	s_mov_b64 s[34:35], -1
	s_cbranch_scc0 .LBB258_166
; %bb.165:
	s_mov_b64 s[34:35], 0
.LBB258_166:
	s_mov_b32 s40, 0x7f800001
	s_branch .LBB258_173
.LBB258_167:
	s_movk_i32 s30, 0x80
	v_cmp_eq_u16_sdwa s[40:41], v4, s30 src0_sel:BYTE_3 src1_sel:DWORD
	s_mov_b64 s[30:31], -1
	s_and_saveexec_b64 s[36:37], s[40:41]
; %bb.168:
	s_xor_b64 s[30:31], exec, -1
; %bb.169:
	s_or_b64 exec, exec, s[36:37]
	s_and_b64 s[30:31], s[30:31], exec
	s_or_saveexec_b64 s[34:35], s[34:35]
	v_mov_b32_e32 v5, 0x7f800001
	s_xor_b64 exec, exec, s[34:35]
	s_cbranch_execz .LBB258_159
.LBB258_170:
	v_mov_b32_e32 v5, 0
	v_cmp_ne_u16_sdwa s[36:37], v4, v5 src0_sel:BYTE_3 src1_sel:DWORD
	s_andn2_b64 s[30:31], s[30:31], exec
	s_and_b64 s[36:37], s[36:37], exec
	s_or_b64 s[30:31], s[30:31], s[36:37]
	s_or_b64 exec, exec, s[34:35]
	s_and_saveexec_b64 s[34:35], s[30:31]
	s_cbranch_execnz .LBB258_160
	s_branch .LBB258_161
.LBB258_171:
	s_mov_b64 s[34:35], 0
	s_mov_b32 s40, 0x7f800001
	s_cbranch_execz .LBB258_173
; %bb.172:
	s_and_b32 s34, 0xffff, s38
	s_cmp_lg_u32 s34, 0
	s_mov_b32 s40, 0
	s_cselect_b64 s[34:35], -1, 0
.LBB258_173:
	s_andn2_b64 vcc, exec, s[34:35]
	s_cbranch_vccnz .LBB258_175
; %bb.174:
	s_mov_b32 s40, s33
.LBB258_175:
	s_movk_i32 s34, 0x7f
	s_waitcnt vmcnt(1)
	v_cmp_gt_i16_sdwa s[36:37], v3, s34 src0_sel:BYTE_0 src1_sel:DWORD
	s_mov_b64 s[34:35], 0
	s_and_saveexec_b64 s[38:39], s[36:37]
	s_xor_b64 s[36:37], exec, s[38:39]
	s_cbranch_execnz .LBB258_185
; %bb.176:
	s_or_saveexec_b64 s[36:37], s[36:37]
	v_mov_b32_e32 v4, 0x7f800001
	s_xor_b64 exec, exec, s[36:37]
	s_cbranch_execnz .LBB258_188
.LBB258_177:
	s_or_b64 exec, exec, s[36:37]
	s_and_saveexec_b64 s[36:37], s[34:35]
	s_cbranch_execz .LBB258_179
.LBB258_178:
	v_and_b32_e32 v4, 3, v3
	v_ffbh_u32_e32 v6, v4
	v_min_u32_e32 v6, 32, v6
	v_subrev_u32_e32 v7, 29, v6
	v_bfe_u32 v5, v3, 2, 5
	v_lshlrev_b32_e32 v7, v7, v3
	v_sub_u32_e32 v6, 30, v6
	v_and_b32_e32 v7, 3, v7
	v_cmp_eq_u32_e32 vcc, 0, v5
	v_cndmask_b32_e32 v5, v5, v6, vcc
	v_cndmask_b32_e32 v4, v4, v7, vcc
	v_lshlrev_b32_e32 v6, 24, v3
	v_mov_b32_e32 v7, 0x37800000
	v_lshlrev_b32_e32 v4, 21, v4
	v_and_b32_e32 v6, 0x80000000, v6
	v_lshl_add_u32 v5, v5, 23, v7
	v_or3_b32 v4, v6, v5, v4
.LBB258_179:
	s_or_b64 exec, exec, s[36:37]
	v_cmp_neq_f32_e64 s[34:35], s40, v4
.LBB258_180:
	s_and_b64 vcc, exec, s[4:5]
	s_waitcnt vmcnt(1)
	v_lshrrev_b32_e32 v4, 8, v3
	s_cbranch_vccnz .LBB258_449
.LBB258_181:
	s_and_b32 s40, s14, 0xff
	s_cmpk_lt_i32 s40, 0x80
	s_cbranch_scc1 .LBB258_189
; %bb.182:
	s_and_b32 s36, 0xffff, s40
	s_cmpk_eq_i32 s36, 0x80
	s_mov_b64 s[36:37], -1
	s_cbranch_scc0 .LBB258_184
; %bb.183:
	s_mov_b64 s[36:37], 0
.LBB258_184:
	s_mov_b32 s42, 0x7f800001
	s_branch .LBB258_191
.LBB258_185:
	s_movk_i32 s34, 0x80
	v_cmp_eq_u16_sdwa s[42:43], v3, s34 src0_sel:BYTE_0 src1_sel:DWORD
	s_mov_b64 s[34:35], -1
	s_and_saveexec_b64 s[38:39], s[42:43]
; %bb.186:
	s_xor_b64 s[34:35], exec, -1
; %bb.187:
	s_or_b64 exec, exec, s[38:39]
	s_and_b64 s[34:35], s[34:35], exec
	s_or_saveexec_b64 s[36:37], s[36:37]
	v_mov_b32_e32 v4, 0x7f800001
	s_xor_b64 exec, exec, s[36:37]
	s_cbranch_execz .LBB258_177
.LBB258_188:
	v_mov_b32_e32 v4, 0
	v_cmp_ne_u16_sdwa s[38:39], v3, v4 src0_sel:BYTE_0 src1_sel:DWORD
	s_andn2_b64 s[34:35], s[34:35], exec
	s_and_b64 s[38:39], s[38:39], exec
	s_or_b64 s[34:35], s[34:35], s[38:39]
	s_or_b64 exec, exec, s[36:37]
	s_and_saveexec_b64 s[36:37], s[34:35]
	s_cbranch_execnz .LBB258_178
	s_branch .LBB258_179
.LBB258_189:
	s_mov_b64 s[36:37], 0
	s_mov_b32 s42, 0x7f800001
	s_cbranch_execz .LBB258_191
; %bb.190:
	s_and_b32 s36, 0xffff, s40
	s_cmp_lg_u32 s36, 0
	s_mov_b32 s42, 0
	s_cselect_b64 s[36:37], -1, 0
.LBB258_191:
	s_andn2_b64 vcc, exec, s[36:37]
	s_cbranch_vccnz .LBB258_193
; %bb.192:
	s_mov_b32 s42, s33
.LBB258_193:
	s_movk_i32 s36, 0x7f
	v_cmp_gt_i16_sdwa s[38:39], v4, s36 src0_sel:BYTE_0 src1_sel:DWORD
	s_mov_b64 s[36:37], 0
	s_and_saveexec_b64 s[40:41], s[38:39]
	s_xor_b64 s[38:39], exec, s[40:41]
	s_cbranch_execnz .LBB258_203
; %bb.194:
	s_or_saveexec_b64 s[38:39], s[38:39]
	v_mov_b32_e32 v5, 0x7f800001
	s_xor_b64 exec, exec, s[38:39]
	s_cbranch_execnz .LBB258_206
.LBB258_195:
	s_or_b64 exec, exec, s[38:39]
	s_and_saveexec_b64 s[38:39], s[36:37]
	s_cbranch_execz .LBB258_197
.LBB258_196:
	v_bfe_u32 v5, v3, 8, 2
	v_ffbh_u32_e32 v7, v5
	v_min_u32_e32 v7, 32, v7
	v_subrev_u32_e32 v8, 29, v7
	v_bfe_u32 v6, v3, 10, 5
	v_lshlrev_b32_e32 v8, v8, v4
	v_sub_u32_e32 v7, 30, v7
	v_and_b32_e32 v8, 3, v8
	v_cmp_eq_u32_e32 vcc, 0, v6
	v_cndmask_b32_e32 v6, v6, v7, vcc
	v_cndmask_b32_e32 v5, v5, v8, vcc
	v_lshlrev_b32_e32 v7, 24, v4
	v_mov_b32_e32 v8, 0x37800000
	v_lshlrev_b32_e32 v5, 21, v5
	v_and_b32_e32 v7, 0x80000000, v7
	v_lshl_add_u32 v6, v6, 23, v8
	v_or3_b32 v5, v7, v6, v5
.LBB258_197:
	s_or_b64 exec, exec, s[38:39]
	v_cmp_neq_f32_e64 s[36:37], s42, v5
.LBB258_198:
	s_and_b64 vcc, exec, s[4:5]
	s_cbranch_vccnz .LBB258_467
.LBB258_199:
	s_and_b32 s42, s14, 0xff
	s_cmpk_lt_i32 s42, 0x80
	s_cbranch_scc1 .LBB258_207
; %bb.200:
	s_and_b32 s38, 0xffff, s42
	s_cmpk_eq_i32 s38, 0x80
	s_mov_b64 s[38:39], -1
	s_cbranch_scc0 .LBB258_202
; %bb.201:
	s_mov_b64 s[38:39], 0
.LBB258_202:
	s_mov_b32 s44, 0x7f800001
	s_branch .LBB258_209
.LBB258_203:
	s_movk_i32 s36, 0x80
	v_cmp_eq_u16_sdwa s[44:45], v4, s36 src0_sel:BYTE_0 src1_sel:DWORD
	s_mov_b64 s[36:37], -1
	s_and_saveexec_b64 s[40:41], s[44:45]
; %bb.204:
	s_xor_b64 s[36:37], exec, -1
; %bb.205:
	s_or_b64 exec, exec, s[40:41]
	s_and_b64 s[36:37], s[36:37], exec
	s_or_saveexec_b64 s[38:39], s[38:39]
	v_mov_b32_e32 v5, 0x7f800001
	s_xor_b64 exec, exec, s[38:39]
	s_cbranch_execz .LBB258_195
.LBB258_206:
	v_mov_b32_e32 v5, 0
	v_cmp_ne_u16_sdwa s[40:41], v4, v5 src0_sel:BYTE_0 src1_sel:DWORD
	s_andn2_b64 s[36:37], s[36:37], exec
	s_and_b64 s[40:41], s[40:41], exec
	s_or_b64 s[36:37], s[36:37], s[40:41]
	s_or_b64 exec, exec, s[38:39]
	s_and_saveexec_b64 s[38:39], s[36:37]
	s_cbranch_execnz .LBB258_196
	s_branch .LBB258_197
.LBB258_207:
	s_mov_b64 s[38:39], 0
	s_mov_b32 s44, 0x7f800001
	s_cbranch_execz .LBB258_209
; %bb.208:
	s_and_b32 s38, 0xffff, s42
	s_cmp_lg_u32 s38, 0
	s_mov_b32 s44, 0
	s_cselect_b64 s[38:39], -1, 0
.LBB258_209:
	s_andn2_b64 vcc, exec, s[38:39]
	s_cbranch_vccnz .LBB258_211
; %bb.210:
	s_mov_b32 s44, s33
.LBB258_211:
	s_movk_i32 s38, 0xff
	v_and_b32_sdwa v4, v3, s38 dst_sel:DWORD dst_unused:UNUSED_PAD src0_sel:WORD_1 src1_sel:DWORD
	s_movk_i32 s38, 0x7f
	v_cmp_lt_i16_e32 vcc, s38, v4
	s_mov_b64 s[38:39], 0
	s_and_saveexec_b64 s[40:41], vcc
	s_xor_b64 s[40:41], exec, s[40:41]
	s_cbranch_execnz .LBB258_221
; %bb.212:
	s_or_saveexec_b64 s[40:41], s[40:41]
	v_mov_b32_e32 v5, 0x7f800001
	s_xor_b64 exec, exec, s[40:41]
	s_cbranch_execnz .LBB258_224
.LBB258_213:
	s_or_b64 exec, exec, s[40:41]
	s_and_saveexec_b64 s[40:41], s[38:39]
	s_cbranch_execz .LBB258_215
.LBB258_214:
	v_bfe_u32 v4, v3, 16, 2
	v_ffbh_u32_e32 v6, v4
	v_min_u32_e32 v6, 32, v6
	v_bfe_u32 v5, v3, 18, 5
	v_subrev_u32_e32 v7, 29, v6
	v_lshlrev_b32_sdwa v7, v7, v3 dst_sel:DWORD dst_unused:UNUSED_PAD src0_sel:DWORD src1_sel:WORD_1
	v_sub_u32_e32 v6, 30, v6
	v_cmp_eq_u32_e32 vcc, 0, v5
	v_and_b32_e32 v7, 3, v7
	v_cndmask_b32_e32 v5, v5, v6, vcc
	v_mov_b32_e32 v6, 24
	v_cndmask_b32_e32 v4, v4, v7, vcc
	v_lshlrev_b32_sdwa v6, v6, v3 dst_sel:DWORD dst_unused:UNUSED_PAD src0_sel:DWORD src1_sel:WORD_1
	v_mov_b32_e32 v7, 0x37800000
	v_lshlrev_b32_e32 v4, 21, v4
	v_and_b32_e32 v6, 0x80000000, v6
	v_lshl_add_u32 v5, v5, 23, v7
	v_or3_b32 v5, v6, v5, v4
.LBB258_215:
	s_or_b64 exec, exec, s[40:41]
	v_cmp_neq_f32_e64 s[38:39], s44, v5
.LBB258_216:
	s_and_b64 vcc, exec, s[4:5]
	s_cbranch_vccnz .LBB258_485
.LBB258_217:
	s_and_b32 s44, s14, 0xff
	s_cmpk_lt_i32 s44, 0x80
	s_cbranch_scc1 .LBB258_225
; %bb.218:
	s_and_b32 s40, 0xffff, s44
	s_cmpk_eq_i32 s40, 0x80
	s_mov_b64 s[40:41], -1
	s_cbranch_scc0 .LBB258_220
; %bb.219:
	s_mov_b64 s[40:41], 0
.LBB258_220:
	s_mov_b32 s46, 0x7f800001
	s_branch .LBB258_227
.LBB258_221:
	s_movk_i32 s38, 0x80
	v_cmp_eq_u16_e32 vcc, s38, v4
	s_mov_b64 s[38:39], -1
	s_and_saveexec_b64 s[42:43], vcc
; %bb.222:
	s_xor_b64 s[38:39], exec, -1
; %bb.223:
	s_or_b64 exec, exec, s[42:43]
	s_and_b64 s[38:39], s[38:39], exec
                                        ; implicit-def: $vgpr4
	s_or_saveexec_b64 s[40:41], s[40:41]
	v_mov_b32_e32 v5, 0x7f800001
	s_xor_b64 exec, exec, s[40:41]
	s_cbranch_execz .LBB258_213
.LBB258_224:
	v_cmp_ne_u16_e32 vcc, 0, v4
	s_andn2_b64 s[38:39], s[38:39], exec
	s_and_b64 s[42:43], vcc, exec
	v_mov_b32_e32 v5, 0
	s_or_b64 s[38:39], s[38:39], s[42:43]
	s_or_b64 exec, exec, s[40:41]
	s_and_saveexec_b64 s[40:41], s[38:39]
	s_cbranch_execnz .LBB258_214
	s_branch .LBB258_215
.LBB258_225:
	s_mov_b64 s[40:41], 0
	s_mov_b32 s46, 0x7f800001
	s_cbranch_execz .LBB258_227
; %bb.226:
	s_and_b32 s40, 0xffff, s44
	s_cmp_lg_u32 s40, 0
	s_mov_b32 s46, 0
	s_cselect_b64 s[40:41], -1, 0
.LBB258_227:
	s_andn2_b64 vcc, exec, s[40:41]
	s_cbranch_vccnz .LBB258_229
; %bb.228:
	s_mov_b32 s46, s33
.LBB258_229:
	s_movk_i32 s40, 0x7f
	v_cmp_gt_i16_sdwa s[42:43], v3, s40 src0_sel:BYTE_3 src1_sel:DWORD
	s_mov_b64 s[40:41], 0
	s_and_saveexec_b64 s[44:45], s[42:43]
	s_xor_b64 s[42:43], exec, s[44:45]
	s_cbranch_execnz .LBB258_239
; %bb.230:
	s_or_saveexec_b64 s[42:43], s[42:43]
	v_mov_b32_e32 v4, 0x7f800001
	s_xor_b64 exec, exec, s[42:43]
	s_cbranch_execnz .LBB258_242
.LBB258_231:
	s_or_b64 exec, exec, s[42:43]
	s_and_saveexec_b64 s[42:43], s[40:41]
	s_cbranch_execz .LBB258_233
.LBB258_232:
	v_bfe_u32 v4, v3, 24, 2
	v_ffbh_u32_e32 v6, v4
	v_min_u32_e32 v6, 32, v6
	v_subrev_u32_e32 v7, 29, v6
	v_bfe_u32 v5, v3, 26, 5
	v_lshlrev_b32_sdwa v7, v7, v3 dst_sel:DWORD dst_unused:UNUSED_PAD src0_sel:DWORD src1_sel:BYTE_3
	v_sub_u32_e32 v6, 30, v6
	v_and_b32_e32 v7, 3, v7
	v_cmp_eq_u32_e32 vcc, 0, v5
	v_cndmask_b32_e32 v5, v5, v6, vcc
	v_cndmask_b32_e32 v4, v4, v7, vcc
	v_mov_b32_e32 v7, 0x37800000
	v_lshlrev_b32_e32 v4, 21, v4
	v_and_b32_e32 v6, 0x80000000, v3
	v_lshl_add_u32 v5, v5, 23, v7
	v_or3_b32 v4, v6, v5, v4
.LBB258_233:
	s_or_b64 exec, exec, s[42:43]
	v_cmp_neq_f32_e64 s[40:41], s46, v4
.LBB258_234:
	s_and_b64 vcc, exec, s[4:5]
	s_cbranch_vccnz .LBB258_503
.LBB258_235:
	s_and_b32 s46, s14, 0xff
	s_cmpk_lt_i32 s46, 0x80
	s_cbranch_scc1 .LBB258_243
; %bb.236:
	s_and_b32 s42, 0xffff, s46
	s_cmpk_eq_i32 s42, 0x80
	s_mov_b64 s[42:43], -1
	s_cbranch_scc0 .LBB258_238
; %bb.237:
	s_mov_b64 s[42:43], 0
.LBB258_238:
	s_mov_b32 s48, 0x7f800001
	s_branch .LBB258_245
.LBB258_239:
	s_movk_i32 s40, 0x80
	v_cmp_eq_u16_sdwa s[48:49], v3, s40 src0_sel:BYTE_3 src1_sel:DWORD
	s_mov_b64 s[40:41], -1
	s_and_saveexec_b64 s[44:45], s[48:49]
; %bb.240:
	s_xor_b64 s[40:41], exec, -1
; %bb.241:
	s_or_b64 exec, exec, s[44:45]
	s_and_b64 s[40:41], s[40:41], exec
	s_or_saveexec_b64 s[42:43], s[42:43]
	v_mov_b32_e32 v4, 0x7f800001
	s_xor_b64 exec, exec, s[42:43]
	s_cbranch_execz .LBB258_231
.LBB258_242:
	v_mov_b32_e32 v4, 0
	v_cmp_ne_u16_sdwa s[44:45], v3, v4 src0_sel:BYTE_3 src1_sel:DWORD
	s_andn2_b64 s[40:41], s[40:41], exec
	s_and_b64 s[44:45], s[44:45], exec
	s_or_b64 s[40:41], s[40:41], s[44:45]
	s_or_b64 exec, exec, s[42:43]
	s_and_saveexec_b64 s[42:43], s[40:41]
	s_cbranch_execnz .LBB258_232
	s_branch .LBB258_233
.LBB258_243:
	s_mov_b64 s[42:43], 0
	s_mov_b32 s48, 0x7f800001
	s_cbranch_execz .LBB258_245
; %bb.244:
	s_and_b32 s42, 0xffff, s46
	s_cmp_lg_u32 s42, 0
	s_mov_b32 s48, 0
	s_cselect_b64 s[42:43], -1, 0
.LBB258_245:
	s_andn2_b64 vcc, exec, s[42:43]
	s_cbranch_vccnz .LBB258_247
; %bb.246:
	s_mov_b32 s48, s33
.LBB258_247:
	s_movk_i32 s42, 0x7f
	s_waitcnt vmcnt(0)
	v_cmp_gt_i16_sdwa s[44:45], v2, s42 src0_sel:BYTE_0 src1_sel:DWORD
	s_mov_b64 s[42:43], 0
	s_and_saveexec_b64 s[46:47], s[44:45]
	s_xor_b64 s[44:45], exec, s[46:47]
	s_cbranch_execnz .LBB258_257
; %bb.248:
	s_or_saveexec_b64 s[44:45], s[44:45]
	v_mov_b32_e32 v3, 0x7f800001
	s_xor_b64 exec, exec, s[44:45]
	s_cbranch_execnz .LBB258_260
.LBB258_249:
	s_or_b64 exec, exec, s[44:45]
	s_and_saveexec_b64 s[44:45], s[42:43]
	s_cbranch_execz .LBB258_251
.LBB258_250:
	v_and_b32_e32 v3, 3, v2
	v_ffbh_u32_e32 v5, v3
	v_min_u32_e32 v5, 32, v5
	v_subrev_u32_e32 v6, 29, v5
	v_bfe_u32 v4, v2, 2, 5
	v_lshlrev_b32_e32 v6, v6, v2
	v_sub_u32_e32 v5, 30, v5
	v_and_b32_e32 v6, 3, v6
	v_cmp_eq_u32_e32 vcc, 0, v4
	v_cndmask_b32_e32 v4, v4, v5, vcc
	v_cndmask_b32_e32 v3, v3, v6, vcc
	v_lshlrev_b32_e32 v5, 24, v2
	v_mov_b32_e32 v6, 0x37800000
	v_lshlrev_b32_e32 v3, 21, v3
	v_and_b32_e32 v5, 0x80000000, v5
	v_lshl_add_u32 v4, v4, 23, v6
	v_or3_b32 v3, v5, v4, v3
.LBB258_251:
	s_or_b64 exec, exec, s[44:45]
	v_cmp_neq_f32_e64 s[42:43], s48, v3
.LBB258_252:
	s_and_b64 vcc, exec, s[4:5]
	s_waitcnt vmcnt(0)
	v_lshrrev_b32_e32 v3, 8, v2
	s_cbranch_vccnz .LBB258_521
.LBB258_253:
	s_and_b32 s48, s14, 0xff
	s_cmpk_lt_i32 s48, 0x80
	s_cbranch_scc1 .LBB258_261
; %bb.254:
	s_and_b32 s44, 0xffff, s48
	s_cmpk_eq_i32 s44, 0x80
	s_mov_b64 s[44:45], -1
	s_cbranch_scc0 .LBB258_256
; %bb.255:
	s_mov_b64 s[44:45], 0
.LBB258_256:
	s_mov_b32 s50, 0x7f800001
	s_branch .LBB258_263
.LBB258_257:
	s_movk_i32 s42, 0x80
	v_cmp_eq_u16_sdwa s[50:51], v2, s42 src0_sel:BYTE_0 src1_sel:DWORD
	s_mov_b64 s[42:43], -1
	s_and_saveexec_b64 s[46:47], s[50:51]
; %bb.258:
	s_xor_b64 s[42:43], exec, -1
; %bb.259:
	s_or_b64 exec, exec, s[46:47]
	s_and_b64 s[42:43], s[42:43], exec
	s_or_saveexec_b64 s[44:45], s[44:45]
	v_mov_b32_e32 v3, 0x7f800001
	s_xor_b64 exec, exec, s[44:45]
	s_cbranch_execz .LBB258_249
.LBB258_260:
	v_mov_b32_e32 v3, 0
	v_cmp_ne_u16_sdwa s[46:47], v2, v3 src0_sel:BYTE_0 src1_sel:DWORD
	s_andn2_b64 s[42:43], s[42:43], exec
	s_and_b64 s[46:47], s[46:47], exec
	s_or_b64 s[42:43], s[42:43], s[46:47]
	s_or_b64 exec, exec, s[44:45]
	s_and_saveexec_b64 s[44:45], s[42:43]
	s_cbranch_execnz .LBB258_250
	s_branch .LBB258_251
.LBB258_261:
	s_mov_b64 s[44:45], 0
	s_mov_b32 s50, 0x7f800001
	s_cbranch_execz .LBB258_263
; %bb.262:
	s_and_b32 s44, 0xffff, s48
	s_cmp_lg_u32 s44, 0
	s_mov_b32 s50, 0
	s_cselect_b64 s[44:45], -1, 0
.LBB258_263:
	s_andn2_b64 vcc, exec, s[44:45]
	s_cbranch_vccnz .LBB258_265
; %bb.264:
	s_mov_b32 s50, s33
.LBB258_265:
	s_movk_i32 s44, 0x7f
	v_cmp_gt_i16_sdwa s[46:47], v3, s44 src0_sel:BYTE_0 src1_sel:DWORD
	s_mov_b64 s[44:45], 0
	s_and_saveexec_b64 s[48:49], s[46:47]
	s_xor_b64 s[46:47], exec, s[48:49]
	s_cbranch_execnz .LBB258_275
; %bb.266:
	s_or_saveexec_b64 s[46:47], s[46:47]
	v_mov_b32_e32 v4, 0x7f800001
	s_xor_b64 exec, exec, s[46:47]
	s_cbranch_execnz .LBB258_278
.LBB258_267:
	s_or_b64 exec, exec, s[46:47]
	s_and_saveexec_b64 s[46:47], s[44:45]
	s_cbranch_execz .LBB258_269
.LBB258_268:
	v_bfe_u32 v4, v2, 8, 2
	v_ffbh_u32_e32 v6, v4
	v_min_u32_e32 v6, 32, v6
	v_subrev_u32_e32 v7, 29, v6
	v_bfe_u32 v5, v2, 10, 5
	v_lshlrev_b32_e32 v7, v7, v3
	v_sub_u32_e32 v6, 30, v6
	v_and_b32_e32 v7, 3, v7
	v_cmp_eq_u32_e32 vcc, 0, v5
	v_cndmask_b32_e32 v5, v5, v6, vcc
	v_cndmask_b32_e32 v4, v4, v7, vcc
	v_lshlrev_b32_e32 v6, 24, v3
	v_mov_b32_e32 v7, 0x37800000
	v_lshlrev_b32_e32 v4, 21, v4
	v_and_b32_e32 v6, 0x80000000, v6
	v_lshl_add_u32 v5, v5, 23, v7
	v_or3_b32 v4, v6, v5, v4
.LBB258_269:
	s_or_b64 exec, exec, s[46:47]
	v_cmp_neq_f32_e64 s[44:45], s50, v4
.LBB258_270:
	s_and_b64 vcc, exec, s[4:5]
	s_cbranch_vccnz .LBB258_539
.LBB258_271:
	s_and_b32 s50, s14, 0xff
	s_cmpk_lt_i32 s50, 0x80
	s_cbranch_scc1 .LBB258_279
; %bb.272:
	s_and_b32 s46, 0xffff, s50
	s_cmpk_eq_i32 s46, 0x80
	s_mov_b64 s[46:47], -1
	s_cbranch_scc0 .LBB258_274
; %bb.273:
	s_mov_b64 s[46:47], 0
.LBB258_274:
	s_mov_b32 s52, 0x7f800001
	s_branch .LBB258_281
.LBB258_275:
	s_movk_i32 s44, 0x80
	v_cmp_eq_u16_sdwa s[52:53], v3, s44 src0_sel:BYTE_0 src1_sel:DWORD
	s_mov_b64 s[44:45], -1
	s_and_saveexec_b64 s[48:49], s[52:53]
; %bb.276:
	s_xor_b64 s[44:45], exec, -1
; %bb.277:
	s_or_b64 exec, exec, s[48:49]
	s_and_b64 s[44:45], s[44:45], exec
	s_or_saveexec_b64 s[46:47], s[46:47]
	v_mov_b32_e32 v4, 0x7f800001
	s_xor_b64 exec, exec, s[46:47]
	s_cbranch_execz .LBB258_267
.LBB258_278:
	v_mov_b32_e32 v4, 0
	v_cmp_ne_u16_sdwa s[48:49], v3, v4 src0_sel:BYTE_0 src1_sel:DWORD
	s_andn2_b64 s[44:45], s[44:45], exec
	s_and_b64 s[48:49], s[48:49], exec
	s_or_b64 s[44:45], s[44:45], s[48:49]
	s_or_b64 exec, exec, s[46:47]
	s_and_saveexec_b64 s[46:47], s[44:45]
	s_cbranch_execnz .LBB258_268
	s_branch .LBB258_269
.LBB258_279:
	s_mov_b64 s[46:47], 0
	s_mov_b32 s52, 0x7f800001
	s_cbranch_execz .LBB258_281
; %bb.280:
	s_and_b32 s46, 0xffff, s50
	s_cmp_lg_u32 s46, 0
	s_mov_b32 s52, 0
	s_cselect_b64 s[46:47], -1, 0
.LBB258_281:
	s_andn2_b64 vcc, exec, s[46:47]
	s_cbranch_vccnz .LBB258_283
; %bb.282:
	s_mov_b32 s52, s33
.LBB258_283:
	s_movk_i32 s46, 0xff
	v_and_b32_sdwa v3, v2, s46 dst_sel:DWORD dst_unused:UNUSED_PAD src0_sel:WORD_1 src1_sel:DWORD
	s_movk_i32 s46, 0x7f
	v_cmp_lt_i16_e32 vcc, s46, v3
	s_mov_b64 s[46:47], 0
	s_and_saveexec_b64 s[48:49], vcc
	s_xor_b64 s[48:49], exec, s[48:49]
	s_cbranch_execnz .LBB258_293
; %bb.284:
	s_or_saveexec_b64 s[48:49], s[48:49]
	v_mov_b32_e32 v4, 0x7f800001
	s_xor_b64 exec, exec, s[48:49]
	s_cbranch_execnz .LBB258_296
.LBB258_285:
	s_or_b64 exec, exec, s[48:49]
	s_and_saveexec_b64 s[48:49], s[46:47]
	s_cbranch_execz .LBB258_287
.LBB258_286:
	v_bfe_u32 v3, v2, 16, 2
	v_ffbh_u32_e32 v5, v3
	v_min_u32_e32 v5, 32, v5
	v_bfe_u32 v4, v2, 18, 5
	v_subrev_u32_e32 v6, 29, v5
	v_lshlrev_b32_sdwa v6, v6, v2 dst_sel:DWORD dst_unused:UNUSED_PAD src0_sel:DWORD src1_sel:WORD_1
	v_sub_u32_e32 v5, 30, v5
	v_cmp_eq_u32_e32 vcc, 0, v4
	v_and_b32_e32 v6, 3, v6
	v_cndmask_b32_e32 v4, v4, v5, vcc
	v_mov_b32_e32 v5, 24
	v_cndmask_b32_e32 v3, v3, v6, vcc
	v_lshlrev_b32_sdwa v5, v5, v2 dst_sel:DWORD dst_unused:UNUSED_PAD src0_sel:DWORD src1_sel:WORD_1
	v_mov_b32_e32 v6, 0x37800000
	v_lshlrev_b32_e32 v3, 21, v3
	v_and_b32_e32 v5, 0x80000000, v5
	v_lshl_add_u32 v4, v4, 23, v6
	v_or3_b32 v4, v5, v4, v3
.LBB258_287:
	s_or_b64 exec, exec, s[48:49]
	v_cmp_neq_f32_e64 s[46:47], s52, v4
.LBB258_288:
	s_and_b64 vcc, exec, s[4:5]
	s_cbranch_vccnz .LBB258_557
.LBB258_289:
	s_and_b32 s50, s14, 0xff
	s_cmpk_lt_i32 s50, 0x80
	s_cbranch_scc1 .LBB258_297
; %bb.290:
	s_and_b32 s4, 0xffff, s50
	s_cmpk_eq_i32 s4, 0x80
	s_mov_b64 s[4:5], -1
	s_cbranch_scc0 .LBB258_292
; %bb.291:
	s_mov_b64 s[4:5], 0
.LBB258_292:
	s_mov_b32 s52, 0x7f800001
	s_branch .LBB258_299
.LBB258_293:
	s_movk_i32 s46, 0x80
	v_cmp_eq_u16_e32 vcc, s46, v3
	s_mov_b64 s[46:47], -1
	s_and_saveexec_b64 s[50:51], vcc
; %bb.294:
	s_xor_b64 s[46:47], exec, -1
; %bb.295:
	s_or_b64 exec, exec, s[50:51]
	s_and_b64 s[46:47], s[46:47], exec
                                        ; implicit-def: $vgpr3
	s_or_saveexec_b64 s[48:49], s[48:49]
	v_mov_b32_e32 v4, 0x7f800001
	s_xor_b64 exec, exec, s[48:49]
	s_cbranch_execz .LBB258_285
.LBB258_296:
	v_cmp_ne_u16_e32 vcc, 0, v3
	s_andn2_b64 s[46:47], s[46:47], exec
	s_and_b64 s[50:51], vcc, exec
	v_mov_b32_e32 v4, 0
	s_or_b64 s[46:47], s[46:47], s[50:51]
	s_or_b64 exec, exec, s[48:49]
	s_and_saveexec_b64 s[48:49], s[46:47]
	s_cbranch_execnz .LBB258_286
	s_branch .LBB258_287
.LBB258_297:
	s_mov_b64 s[4:5], 0
	s_mov_b32 s52, 0x7f800001
	s_cbranch_execz .LBB258_299
; %bb.298:
	s_and_b32 s4, 0xffff, s50
	s_cmp_lg_u32 s4, 0
	s_mov_b32 s52, 0
	s_cselect_b64 s[4:5], -1, 0
.LBB258_299:
	s_andn2_b64 vcc, exec, s[4:5]
	s_cbranch_vccnz .LBB258_301
; %bb.300:
	s_mov_b32 s52, s33
.LBB258_301:
	s_movk_i32 s4, 0x7f
	v_cmp_gt_i16_sdwa s[48:49], v2, s4 src0_sel:BYTE_3 src1_sel:DWORD
	s_mov_b64 s[4:5], 0
	s_and_saveexec_b64 s[50:51], s[48:49]
	s_xor_b64 s[48:49], exec, s[50:51]
	s_cbranch_execnz .LBB258_306
; %bb.302:
	s_or_saveexec_b64 s[48:49], s[48:49]
	v_mov_b32_e32 v3, 0x7f800001
	s_xor_b64 exec, exec, s[48:49]
	s_cbranch_execnz .LBB258_309
.LBB258_303:
	s_or_b64 exec, exec, s[48:49]
	s_and_saveexec_b64 s[48:49], s[4:5]
	s_cbranch_execz .LBB258_305
.LBB258_304:
	v_bfe_u32 v3, v2, 24, 2
	v_ffbh_u32_e32 v5, v3
	v_min_u32_e32 v5, 32, v5
	v_subrev_u32_e32 v6, 29, v5
	v_bfe_u32 v4, v2, 26, 5
	v_lshlrev_b32_sdwa v6, v6, v2 dst_sel:DWORD dst_unused:UNUSED_PAD src0_sel:DWORD src1_sel:BYTE_3
	v_sub_u32_e32 v5, 30, v5
	v_and_b32_e32 v6, 3, v6
	v_cmp_eq_u32_e32 vcc, 0, v4
	v_cndmask_b32_e32 v4, v4, v5, vcc
	v_cndmask_b32_e32 v3, v3, v6, vcc
	v_mov_b32_e32 v6, 0x37800000
	v_lshlrev_b32_e32 v3, 21, v3
	v_and_b32_e32 v5, 0x80000000, v2
	v_lshl_add_u32 v4, v4, 23, v6
	v_or3_b32 v3, v5, v4, v3
.LBB258_305:
	s_or_b64 exec, exec, s[48:49]
	v_cmp_neq_f32_e64 s[4:5], s52, v3
	s_branch .LBB258_575
.LBB258_306:
	s_movk_i32 s4, 0x80
	v_cmp_eq_u16_sdwa s[54:55], v2, s4 src0_sel:BYTE_3 src1_sel:DWORD
	s_mov_b64 s[4:5], -1
	s_and_saveexec_b64 s[50:51], s[54:55]
; %bb.307:
	s_xor_b64 s[4:5], exec, -1
; %bb.308:
	s_or_b64 exec, exec, s[50:51]
	s_and_b64 s[4:5], s[4:5], exec
	s_or_saveexec_b64 s[48:49], s[48:49]
	v_mov_b32_e32 v3, 0x7f800001
	s_xor_b64 exec, exec, s[48:49]
	s_cbranch_execz .LBB258_303
.LBB258_309:
	v_mov_b32_e32 v3, 0
	v_cmp_ne_u16_sdwa s[50:51], v2, v3 src0_sel:BYTE_3 src1_sel:DWORD
	s_andn2_b64 s[4:5], s[4:5], exec
	s_and_b64 s[50:51], s[50:51], exec
	s_or_b64 s[4:5], s[4:5], s[50:51]
	s_or_b64 exec, exec, s[48:49]
	s_and_saveexec_b64 s[48:49], s[4:5]
	s_cbranch_execnz .LBB258_304
	s_branch .LBB258_305
.LBB258_310:
	s_movk_i32 s4, 0x80
	v_cmp_eq_u16_sdwa s[24:25], v5, s4 src0_sel:BYTE_0 src1_sel:DWORD
	s_mov_b64 s[4:5], -1
	s_and_saveexec_b64 s[20:21], s[24:25]
; %bb.311:
	s_xor_b64 s[4:5], exec, -1
; %bb.312:
	s_or_b64 exec, exec, s[20:21]
	s_and_b64 s[4:5], s[4:5], exec
	s_or_saveexec_b64 s[8:9], s[8:9]
	v_mov_b32_e32 v6, 0x7f800001
	s_xor_b64 exec, exec, s[8:9]
	s_cbranch_execz .LBB258_32
.LBB258_313:
	v_mov_b32_e32 v6, 0
	v_cmp_ne_u16_sdwa s[20:21], v5, v6 src0_sel:BYTE_0 src1_sel:DWORD
	s_andn2_b64 s[4:5], s[4:5], exec
	s_and_b64 s[20:21], s[20:21], exec
	s_or_b64 s[4:5], s[4:5], s[20:21]
	s_or_b64 exec, exec, s[8:9]
	s_and_saveexec_b64 s[8:9], s[4:5]
	s_cbranch_execnz .LBB258_33
	s_branch .LBB258_34
.LBB258_314:
	s_mov_b64 s[10:11], 0
	s_mov_b32 s24, 0x7f800001
	s_cbranch_execz .LBB258_316
; %bb.315:
	s_and_b32 s10, 0xffff, s22
	s_cmp_lg_u32 s10, 0
	s_mov_b32 s24, 0
	s_cselect_b64 s[10:11], -1, 0
.LBB258_316:
	s_andn2_b64 vcc, exec, s[10:11]
	s_cbranch_vccnz .LBB258_318
; %bb.317:
	s_mov_b32 s24, s33
.LBB258_318:
	s_movk_i32 s10, 0x7f
	v_cmp_gt_i16_sdwa s[20:21], v6, s10 src0_sel:BYTE_0 src1_sel:DWORD
	s_mov_b64 s[10:11], 0
	s_and_saveexec_b64 s[22:23], s[20:21]
	s_xor_b64 s[20:21], exec, s[22:23]
	s_cbranch_execnz .LBB258_328
; %bb.319:
	s_or_saveexec_b64 s[20:21], s[20:21]
	v_mov_b32_e32 v7, 0x7f800001
	s_xor_b64 exec, exec, s[20:21]
	s_cbranch_execnz .LBB258_331
.LBB258_320:
	s_or_b64 exec, exec, s[20:21]
	s_and_saveexec_b64 s[20:21], s[10:11]
	s_cbranch_execz .LBB258_322
.LBB258_321:
	v_bfe_u32 v7, v5, 8, 2
	v_ffbh_u32_e32 v9, v7
	v_min_u32_e32 v9, 32, v9
	v_subrev_u32_e32 v10, 29, v9
	v_bfe_u32 v8, v5, 10, 5
	v_lshlrev_b32_e32 v10, v10, v6
	v_sub_u32_e32 v9, 30, v9
	v_and_b32_e32 v10, 3, v10
	v_cmp_eq_u32_e32 vcc, 0, v8
	v_cndmask_b32_e32 v8, v8, v9, vcc
	v_cndmask_b32_e32 v7, v7, v10, vcc
	v_lshlrev_b32_e32 v6, 24, v6
	v_mov_b32_e32 v9, 0x37800000
	v_lshlrev_b32_e32 v7, 21, v7
	v_and_b32_e32 v6, 0x80000000, v6
	v_lshl_add_u32 v8, v8, 23, v9
	v_or3_b32 v7, v6, v8, v7
.LBB258_322:
	s_or_b64 exec, exec, s[20:21]
	v_cmp_eq_f32_e64 s[10:11], s24, v7
	s_and_b64 vcc, exec, s[4:5]
	s_cbranch_vccz .LBB258_42
.LBB258_323:
                                        ; implicit-def: $sgpr20_sgpr21
	s_cbranch_execz .LBB258_68
; %bb.324:
	s_and_b32 s24, s14, 0xff
	s_cmpk_lt_i32 s24, 0x80
	s_cbranch_scc1 .LBB258_332
; %bb.325:
	s_and_b32 s20, 0xffff, s24
	s_cmpk_eq_i32 s20, 0x80
	s_mov_b64 s[20:21], -1
	s_cbranch_scc0 .LBB258_327
; %bb.326:
	s_mov_b64 s[20:21], 0
.LBB258_327:
	s_mov_b32 s26, 0x7f800001
	s_branch .LBB258_334
.LBB258_328:
	s_movk_i32 s10, 0x80
	v_cmp_eq_u16_sdwa s[26:27], v6, s10 src0_sel:BYTE_0 src1_sel:DWORD
	s_mov_b64 s[10:11], -1
	s_and_saveexec_b64 s[22:23], s[26:27]
; %bb.329:
	s_xor_b64 s[10:11], exec, -1
; %bb.330:
	s_or_b64 exec, exec, s[22:23]
	s_and_b64 s[10:11], s[10:11], exec
	s_or_saveexec_b64 s[20:21], s[20:21]
	v_mov_b32_e32 v7, 0x7f800001
	s_xor_b64 exec, exec, s[20:21]
	s_cbranch_execz .LBB258_320
.LBB258_331:
	v_mov_b32_e32 v7, 0
	v_cmp_ne_u16_sdwa s[22:23], v6, v7 src0_sel:BYTE_0 src1_sel:DWORD
	s_andn2_b64 s[10:11], s[10:11], exec
	s_and_b64 s[22:23], s[22:23], exec
	s_or_b64 s[10:11], s[10:11], s[22:23]
	s_or_b64 exec, exec, s[20:21]
	s_and_saveexec_b64 s[20:21], s[10:11]
	s_cbranch_execnz .LBB258_321
	s_branch .LBB258_322
.LBB258_332:
	s_mov_b64 s[20:21], 0
	s_mov_b32 s26, 0x7f800001
	s_cbranch_execz .LBB258_334
; %bb.333:
	s_and_b32 s20, 0xffff, s24
	s_cmp_lg_u32 s20, 0
	s_mov_b32 s26, 0
	s_cselect_b64 s[20:21], -1, 0
.LBB258_334:
	s_andn2_b64 vcc, exec, s[20:21]
	s_cbranch_vccnz .LBB258_336
; %bb.335:
	s_mov_b32 s26, s33
.LBB258_336:
	s_movk_i32 s20, 0xff
	v_and_b32_sdwa v6, v5, s20 dst_sel:DWORD dst_unused:UNUSED_PAD src0_sel:WORD_1 src1_sel:DWORD
	s_movk_i32 s20, 0x7f
	v_cmp_lt_i16_e32 vcc, s20, v6
	s_mov_b64 s[20:21], 0
	s_and_saveexec_b64 s[22:23], vcc
	s_xor_b64 s[22:23], exec, s[22:23]
	s_cbranch_execnz .LBB258_346
; %bb.337:
	s_or_saveexec_b64 s[22:23], s[22:23]
	v_mov_b32_e32 v7, 0x7f800001
	s_xor_b64 exec, exec, s[22:23]
	s_cbranch_execnz .LBB258_349
.LBB258_338:
	s_or_b64 exec, exec, s[22:23]
	s_and_saveexec_b64 s[22:23], s[20:21]
	s_cbranch_execz .LBB258_340
.LBB258_339:
	v_bfe_u32 v6, v5, 16, 2
	v_ffbh_u32_e32 v8, v6
	v_min_u32_e32 v8, 32, v8
	v_bfe_u32 v7, v5, 18, 5
	v_subrev_u32_e32 v9, 29, v8
	v_lshlrev_b32_sdwa v9, v9, v5 dst_sel:DWORD dst_unused:UNUSED_PAD src0_sel:DWORD src1_sel:WORD_1
	v_sub_u32_e32 v8, 30, v8
	v_cmp_eq_u32_e32 vcc, 0, v7
	v_and_b32_e32 v9, 3, v9
	v_cndmask_b32_e32 v7, v7, v8, vcc
	v_mov_b32_e32 v8, 24
	v_cndmask_b32_e32 v6, v6, v9, vcc
	v_lshlrev_b32_sdwa v8, v8, v5 dst_sel:DWORD dst_unused:UNUSED_PAD src0_sel:DWORD src1_sel:WORD_1
	v_mov_b32_e32 v9, 0x37800000
	v_lshlrev_b32_e32 v6, 21, v6
	v_and_b32_e32 v8, 0x80000000, v8
	v_lshl_add_u32 v7, v7, 23, v9
	v_or3_b32 v7, v8, v7, v6
.LBB258_340:
	s_or_b64 exec, exec, s[22:23]
	v_cmp_eq_f32_e64 s[20:21], s26, v7
	s_and_b64 vcc, exec, s[4:5]
	s_cbranch_vccz .LBB258_69
.LBB258_341:
                                        ; implicit-def: $sgpr22_sgpr23
	s_cbranch_execz .LBB258_90
; %bb.342:
	s_and_b32 s26, s14, 0xff
	s_cmpk_lt_i32 s26, 0x80
	s_cbranch_scc1 .LBB258_350
; %bb.343:
	s_and_b32 s22, 0xffff, s26
	s_cmpk_eq_i32 s22, 0x80
	s_mov_b64 s[22:23], -1
	s_cbranch_scc0 .LBB258_345
; %bb.344:
	s_mov_b64 s[22:23], 0
.LBB258_345:
	s_mov_b32 s28, 0x7f800001
	s_branch .LBB258_352
.LBB258_346:
	s_movk_i32 s20, 0x80
	v_cmp_eq_u16_e32 vcc, s20, v6
	s_mov_b64 s[20:21], -1
	s_and_saveexec_b64 s[24:25], vcc
; %bb.347:
	s_xor_b64 s[20:21], exec, -1
; %bb.348:
	s_or_b64 exec, exec, s[24:25]
	s_and_b64 s[20:21], s[20:21], exec
                                        ; implicit-def: $vgpr6
	s_or_saveexec_b64 s[22:23], s[22:23]
	v_mov_b32_e32 v7, 0x7f800001
	s_xor_b64 exec, exec, s[22:23]
	s_cbranch_execz .LBB258_338
.LBB258_349:
	v_cmp_ne_u16_e32 vcc, 0, v6
	s_andn2_b64 s[20:21], s[20:21], exec
	s_and_b64 s[24:25], vcc, exec
	v_mov_b32_e32 v7, 0
	s_or_b64 s[20:21], s[20:21], s[24:25]
	s_or_b64 exec, exec, s[22:23]
	s_and_saveexec_b64 s[22:23], s[20:21]
	s_cbranch_execnz .LBB258_339
	s_branch .LBB258_340
.LBB258_350:
	s_mov_b64 s[22:23], 0
	s_mov_b32 s28, 0x7f800001
	s_cbranch_execz .LBB258_352
; %bb.351:
	s_and_b32 s22, 0xffff, s26
	s_cmp_lg_u32 s22, 0
	s_mov_b32 s28, 0
	s_cselect_b64 s[22:23], -1, 0
.LBB258_352:
	s_andn2_b64 vcc, exec, s[22:23]
	s_cbranch_vccnz .LBB258_354
; %bb.353:
	s_mov_b32 s28, s33
.LBB258_354:
	s_movk_i32 s22, 0x7f
	v_cmp_gt_i16_sdwa s[24:25], v5, s22 src0_sel:BYTE_3 src1_sel:DWORD
	s_mov_b64 s[22:23], 0
	s_and_saveexec_b64 s[26:27], s[24:25]
	s_xor_b64 s[24:25], exec, s[26:27]
	s_cbranch_execnz .LBB258_364
; %bb.355:
	s_or_saveexec_b64 s[24:25], s[24:25]
	v_mov_b32_e32 v6, 0x7f800001
	s_xor_b64 exec, exec, s[24:25]
	s_cbranch_execnz .LBB258_367
.LBB258_356:
	s_or_b64 exec, exec, s[24:25]
	s_and_saveexec_b64 s[24:25], s[22:23]
	s_cbranch_execz .LBB258_358
.LBB258_357:
	v_bfe_u32 v6, v5, 24, 2
	v_ffbh_u32_e32 v8, v6
	v_min_u32_e32 v8, 32, v8
	v_subrev_u32_e32 v9, 29, v8
	v_bfe_u32 v7, v5, 26, 5
	v_lshlrev_b32_sdwa v9, v9, v5 dst_sel:DWORD dst_unused:UNUSED_PAD src0_sel:DWORD src1_sel:BYTE_3
	v_sub_u32_e32 v8, 30, v8
	v_and_b32_e32 v9, 3, v9
	v_cmp_eq_u32_e32 vcc, 0, v7
	v_cndmask_b32_e32 v7, v7, v8, vcc
	v_cndmask_b32_e32 v6, v6, v9, vcc
	v_mov_b32_e32 v8, 0x37800000
	v_lshlrev_b32_e32 v6, 21, v6
	v_and_b32_e32 v5, 0x80000000, v5
	v_lshl_add_u32 v7, v7, 23, v8
	v_or3_b32 v6, v5, v7, v6
.LBB258_358:
	s_or_b64 exec, exec, s[24:25]
	v_cmp_eq_f32_e64 s[22:23], s28, v6
	s_and_b64 vcc, exec, s[4:5]
	s_cbranch_vccz .LBB258_91
.LBB258_359:
                                        ; implicit-def: $sgpr24_sgpr25
	s_cbranch_execz .LBB258_108
; %bb.360:
	s_and_b32 s28, s14, 0xff
	s_cmpk_lt_i32 s28, 0x80
	s_cbranch_scc1 .LBB258_368
; %bb.361:
	s_and_b32 s24, 0xffff, s28
	s_cmpk_eq_i32 s24, 0x80
	s_mov_b64 s[24:25], -1
	s_cbranch_scc0 .LBB258_363
; %bb.362:
	s_mov_b64 s[24:25], 0
.LBB258_363:
	s_mov_b32 s30, 0x7f800001
	s_branch .LBB258_370
.LBB258_364:
	s_movk_i32 s22, 0x80
	v_cmp_eq_u16_sdwa s[30:31], v5, s22 src0_sel:BYTE_3 src1_sel:DWORD
	s_mov_b64 s[22:23], -1
	s_and_saveexec_b64 s[26:27], s[30:31]
; %bb.365:
	s_xor_b64 s[22:23], exec, -1
; %bb.366:
	s_or_b64 exec, exec, s[26:27]
	s_and_b64 s[22:23], s[22:23], exec
	s_or_saveexec_b64 s[24:25], s[24:25]
	v_mov_b32_e32 v6, 0x7f800001
	s_xor_b64 exec, exec, s[24:25]
	s_cbranch_execz .LBB258_356
.LBB258_367:
	v_mov_b32_e32 v6, 0
	v_cmp_ne_u16_sdwa s[26:27], v5, v6 src0_sel:BYTE_3 src1_sel:DWORD
	s_andn2_b64 s[22:23], s[22:23], exec
	s_and_b64 s[26:27], s[26:27], exec
	s_or_b64 s[22:23], s[22:23], s[26:27]
	s_or_b64 exec, exec, s[24:25]
	s_and_saveexec_b64 s[24:25], s[22:23]
	s_cbranch_execnz .LBB258_357
	s_branch .LBB258_358
.LBB258_368:
	s_mov_b64 s[24:25], 0
	s_mov_b32 s30, 0x7f800001
	s_cbranch_execz .LBB258_370
; %bb.369:
	s_and_b32 s24, 0xffff, s28
	s_cmp_lg_u32 s24, 0
	s_mov_b32 s30, 0
	s_cselect_b64 s[24:25], -1, 0
.LBB258_370:
	s_andn2_b64 vcc, exec, s[24:25]
	s_cbranch_vccnz .LBB258_372
; %bb.371:
	s_mov_b32 s30, s33
.LBB258_372:
	s_movk_i32 s24, 0x7f
	s_waitcnt vmcnt(2)
	v_cmp_gt_i16_sdwa s[26:27], v4, s24 src0_sel:BYTE_0 src1_sel:DWORD
	s_mov_b64 s[24:25], 0
	s_and_saveexec_b64 s[28:29], s[26:27]
	s_xor_b64 s[26:27], exec, s[28:29]
	s_cbranch_execnz .LBB258_382
; %bb.373:
	s_or_saveexec_b64 s[26:27], s[26:27]
	v_mov_b32_e32 v5, 0x7f800001
	s_xor_b64 exec, exec, s[26:27]
	s_cbranch_execnz .LBB258_385
.LBB258_374:
	s_or_b64 exec, exec, s[26:27]
	s_and_saveexec_b64 s[26:27], s[24:25]
	s_cbranch_execz .LBB258_376
.LBB258_375:
	v_and_b32_e32 v5, 3, v4
	v_ffbh_u32_e32 v7, v5
	v_min_u32_e32 v7, 32, v7
	v_subrev_u32_e32 v8, 29, v7
	v_bfe_u32 v6, v4, 2, 5
	v_lshlrev_b32_e32 v8, v8, v4
	v_sub_u32_e32 v7, 30, v7
	v_and_b32_e32 v8, 3, v8
	v_cmp_eq_u32_e32 vcc, 0, v6
	v_cndmask_b32_e32 v6, v6, v7, vcc
	v_cndmask_b32_e32 v5, v5, v8, vcc
	v_lshlrev_b32_e32 v7, 24, v4
	v_mov_b32_e32 v8, 0x37800000
	v_lshlrev_b32_e32 v5, 21, v5
	v_and_b32_e32 v7, 0x80000000, v7
	v_lshl_add_u32 v6, v6, 23, v8
	v_or3_b32 v5, v7, v6, v5
.LBB258_376:
	s_or_b64 exec, exec, s[26:27]
	v_cmp_eq_f32_e64 s[24:25], s30, v5
	s_and_b64 vcc, exec, s[4:5]
	v_lshrrev_b32_e32 v5, 8, v4
	s_cbranch_vccz .LBB258_109
.LBB258_377:
                                        ; implicit-def: $sgpr26_sgpr27
	s_cbranch_execz .LBB258_126
; %bb.378:
	s_and_b32 s30, s14, 0xff
	s_cmpk_lt_i32 s30, 0x80
	s_cbranch_scc1 .LBB258_386
; %bb.379:
	s_and_b32 s26, 0xffff, s30
	s_cmpk_eq_i32 s26, 0x80
	s_mov_b64 s[26:27], -1
	s_cbranch_scc0 .LBB258_381
; %bb.380:
	s_mov_b64 s[26:27], 0
.LBB258_381:
	s_mov_b32 s34, 0x7f800001
	s_branch .LBB258_388
.LBB258_382:
	s_movk_i32 s24, 0x80
	v_cmp_eq_u16_sdwa s[34:35], v4, s24 src0_sel:BYTE_0 src1_sel:DWORD
	s_mov_b64 s[24:25], -1
	s_and_saveexec_b64 s[28:29], s[34:35]
; %bb.383:
	s_xor_b64 s[24:25], exec, -1
; %bb.384:
	s_or_b64 exec, exec, s[28:29]
	s_and_b64 s[24:25], s[24:25], exec
	s_or_saveexec_b64 s[26:27], s[26:27]
	v_mov_b32_e32 v5, 0x7f800001
	s_xor_b64 exec, exec, s[26:27]
	s_cbranch_execz .LBB258_374
.LBB258_385:
	v_mov_b32_e32 v5, 0
	v_cmp_ne_u16_sdwa s[28:29], v4, v5 src0_sel:BYTE_0 src1_sel:DWORD
	s_andn2_b64 s[24:25], s[24:25], exec
	s_and_b64 s[28:29], s[28:29], exec
	s_or_b64 s[24:25], s[24:25], s[28:29]
	s_or_b64 exec, exec, s[26:27]
	s_and_saveexec_b64 s[26:27], s[24:25]
	s_cbranch_execnz .LBB258_375
	s_branch .LBB258_376
.LBB258_386:
	s_mov_b64 s[26:27], 0
	s_mov_b32 s34, 0x7f800001
	s_cbranch_execz .LBB258_388
; %bb.387:
	s_and_b32 s26, 0xffff, s30
	s_cmp_lg_u32 s26, 0
	s_mov_b32 s34, 0
	s_cselect_b64 s[26:27], -1, 0
.LBB258_388:
	s_andn2_b64 vcc, exec, s[26:27]
	s_cbranch_vccnz .LBB258_390
; %bb.389:
	s_mov_b32 s34, s33
.LBB258_390:
	s_movk_i32 s26, 0x7f
	v_cmp_gt_i16_sdwa s[28:29], v5, s26 src0_sel:BYTE_0 src1_sel:DWORD
	s_mov_b64 s[26:27], 0
	s_and_saveexec_b64 s[30:31], s[28:29]
	s_xor_b64 s[28:29], exec, s[30:31]
	s_cbranch_execnz .LBB258_400
; %bb.391:
	s_or_saveexec_b64 s[28:29], s[28:29]
	v_mov_b32_e32 v6, 0x7f800001
	s_xor_b64 exec, exec, s[28:29]
	s_cbranch_execnz .LBB258_403
.LBB258_392:
	s_or_b64 exec, exec, s[28:29]
	s_and_saveexec_b64 s[28:29], s[26:27]
	s_cbranch_execz .LBB258_394
.LBB258_393:
	v_bfe_u32 v6, v4, 8, 2
	v_ffbh_u32_e32 v8, v6
	v_min_u32_e32 v8, 32, v8
	v_subrev_u32_e32 v9, 29, v8
	v_bfe_u32 v7, v4, 10, 5
	v_lshlrev_b32_e32 v9, v9, v5
	v_sub_u32_e32 v8, 30, v8
	v_and_b32_e32 v9, 3, v9
	v_cmp_eq_u32_e32 vcc, 0, v7
	v_cndmask_b32_e32 v7, v7, v8, vcc
	v_cndmask_b32_e32 v6, v6, v9, vcc
	v_lshlrev_b32_e32 v5, 24, v5
	v_mov_b32_e32 v8, 0x37800000
	v_lshlrev_b32_e32 v6, 21, v6
	v_and_b32_e32 v5, 0x80000000, v5
	v_lshl_add_u32 v7, v7, 23, v8
	v_or3_b32 v6, v5, v7, v6
.LBB258_394:
	s_or_b64 exec, exec, s[28:29]
	v_cmp_eq_f32_e64 s[26:27], s34, v6
	s_and_b64 vcc, exec, s[4:5]
	s_cbranch_vccz .LBB258_127
.LBB258_395:
                                        ; implicit-def: $sgpr28_sgpr29
	s_cbranch_execz .LBB258_144
; %bb.396:
	s_and_b32 s34, s14, 0xff
	s_cmpk_lt_i32 s34, 0x80
	s_cbranch_scc1 .LBB258_404
; %bb.397:
	s_and_b32 s28, 0xffff, s34
	s_cmpk_eq_i32 s28, 0x80
	s_mov_b64 s[28:29], -1
	s_cbranch_scc0 .LBB258_399
; %bb.398:
	s_mov_b64 s[28:29], 0
.LBB258_399:
	s_mov_b32 s36, 0x7f800001
	s_branch .LBB258_406
.LBB258_400:
	s_movk_i32 s26, 0x80
	v_cmp_eq_u16_sdwa s[36:37], v5, s26 src0_sel:BYTE_0 src1_sel:DWORD
	s_mov_b64 s[26:27], -1
	s_and_saveexec_b64 s[30:31], s[36:37]
; %bb.401:
	s_xor_b64 s[26:27], exec, -1
; %bb.402:
	s_or_b64 exec, exec, s[30:31]
	s_and_b64 s[26:27], s[26:27], exec
	s_or_saveexec_b64 s[28:29], s[28:29]
	v_mov_b32_e32 v6, 0x7f800001
	s_xor_b64 exec, exec, s[28:29]
	s_cbranch_execz .LBB258_392
.LBB258_403:
	v_mov_b32_e32 v6, 0
	v_cmp_ne_u16_sdwa s[30:31], v5, v6 src0_sel:BYTE_0 src1_sel:DWORD
	s_andn2_b64 s[26:27], s[26:27], exec
	s_and_b64 s[30:31], s[30:31], exec
	s_or_b64 s[26:27], s[26:27], s[30:31]
	s_or_b64 exec, exec, s[28:29]
	s_and_saveexec_b64 s[28:29], s[26:27]
	s_cbranch_execnz .LBB258_393
	s_branch .LBB258_394
.LBB258_404:
	s_mov_b64 s[28:29], 0
	s_mov_b32 s36, 0x7f800001
	s_cbranch_execz .LBB258_406
; %bb.405:
	s_and_b32 s28, 0xffff, s34
	s_cmp_lg_u32 s28, 0
	s_mov_b32 s36, 0
	s_cselect_b64 s[28:29], -1, 0
.LBB258_406:
	s_andn2_b64 vcc, exec, s[28:29]
	s_cbranch_vccnz .LBB258_408
; %bb.407:
	s_mov_b32 s36, s33
.LBB258_408:
	s_movk_i32 s28, 0xff
	v_and_b32_sdwa v5, v4, s28 dst_sel:DWORD dst_unused:UNUSED_PAD src0_sel:WORD_1 src1_sel:DWORD
	s_movk_i32 s28, 0x7f
	v_cmp_lt_i16_e32 vcc, s28, v5
	s_mov_b64 s[28:29], 0
	s_and_saveexec_b64 s[30:31], vcc
	s_xor_b64 s[30:31], exec, s[30:31]
	s_cbranch_execnz .LBB258_418
; %bb.409:
	s_or_saveexec_b64 s[30:31], s[30:31]
	v_mov_b32_e32 v6, 0x7f800001
	s_xor_b64 exec, exec, s[30:31]
	s_cbranch_execnz .LBB258_421
.LBB258_410:
	s_or_b64 exec, exec, s[30:31]
	s_and_saveexec_b64 s[30:31], s[28:29]
	s_cbranch_execz .LBB258_412
.LBB258_411:
	v_bfe_u32 v5, v4, 16, 2
	v_ffbh_u32_e32 v7, v5
	v_min_u32_e32 v7, 32, v7
	v_bfe_u32 v6, v4, 18, 5
	v_subrev_u32_e32 v8, 29, v7
	v_lshlrev_b32_sdwa v8, v8, v4 dst_sel:DWORD dst_unused:UNUSED_PAD src0_sel:DWORD src1_sel:WORD_1
	v_sub_u32_e32 v7, 30, v7
	v_cmp_eq_u32_e32 vcc, 0, v6
	v_and_b32_e32 v8, 3, v8
	v_cndmask_b32_e32 v6, v6, v7, vcc
	v_mov_b32_e32 v7, 24
	v_cndmask_b32_e32 v5, v5, v8, vcc
	v_lshlrev_b32_sdwa v7, v7, v4 dst_sel:DWORD dst_unused:UNUSED_PAD src0_sel:DWORD src1_sel:WORD_1
	v_mov_b32_e32 v8, 0x37800000
	v_lshlrev_b32_e32 v5, 21, v5
	v_and_b32_e32 v7, 0x80000000, v7
	v_lshl_add_u32 v6, v6, 23, v8
	v_or3_b32 v6, v7, v6, v5
.LBB258_412:
	s_or_b64 exec, exec, s[30:31]
	v_cmp_eq_f32_e64 s[28:29], s36, v6
	s_and_b64 vcc, exec, s[4:5]
	s_cbranch_vccz .LBB258_145
.LBB258_413:
                                        ; implicit-def: $sgpr30_sgpr31
	s_cbranch_execz .LBB258_162
; %bb.414:
	s_and_b32 s36, s14, 0xff
	s_cmpk_lt_i32 s36, 0x80
	s_cbranch_scc1 .LBB258_422
; %bb.415:
	s_and_b32 s30, 0xffff, s36
	s_cmpk_eq_i32 s30, 0x80
	s_mov_b64 s[30:31], -1
	s_cbranch_scc0 .LBB258_417
; %bb.416:
	s_mov_b64 s[30:31], 0
.LBB258_417:
	s_mov_b32 s38, 0x7f800001
	s_branch .LBB258_424
.LBB258_418:
	s_movk_i32 s28, 0x80
	v_cmp_eq_u16_e32 vcc, s28, v5
	s_mov_b64 s[28:29], -1
	s_and_saveexec_b64 s[34:35], vcc
; %bb.419:
	s_xor_b64 s[28:29], exec, -1
; %bb.420:
	s_or_b64 exec, exec, s[34:35]
	s_and_b64 s[28:29], s[28:29], exec
                                        ; implicit-def: $vgpr5
	s_or_saveexec_b64 s[30:31], s[30:31]
	v_mov_b32_e32 v6, 0x7f800001
	s_xor_b64 exec, exec, s[30:31]
	s_cbranch_execz .LBB258_410
.LBB258_421:
	v_cmp_ne_u16_e32 vcc, 0, v5
	s_andn2_b64 s[28:29], s[28:29], exec
	s_and_b64 s[34:35], vcc, exec
	v_mov_b32_e32 v6, 0
	s_or_b64 s[28:29], s[28:29], s[34:35]
	s_or_b64 exec, exec, s[30:31]
	s_and_saveexec_b64 s[30:31], s[28:29]
	s_cbranch_execnz .LBB258_411
	s_branch .LBB258_412
.LBB258_422:
	s_mov_b64 s[30:31], 0
	s_mov_b32 s38, 0x7f800001
	s_cbranch_execz .LBB258_424
; %bb.423:
	s_and_b32 s30, 0xffff, s36
	s_cmp_lg_u32 s30, 0
	s_mov_b32 s38, 0
	s_cselect_b64 s[30:31], -1, 0
.LBB258_424:
	s_andn2_b64 vcc, exec, s[30:31]
	s_cbranch_vccnz .LBB258_426
; %bb.425:
	s_mov_b32 s38, s33
.LBB258_426:
	s_movk_i32 s30, 0x7f
	v_cmp_gt_i16_sdwa s[34:35], v4, s30 src0_sel:BYTE_3 src1_sel:DWORD
	s_mov_b64 s[30:31], 0
	s_and_saveexec_b64 s[36:37], s[34:35]
	s_xor_b64 s[34:35], exec, s[36:37]
	s_cbranch_execnz .LBB258_436
; %bb.427:
	s_or_saveexec_b64 s[34:35], s[34:35]
	v_mov_b32_e32 v5, 0x7f800001
	s_xor_b64 exec, exec, s[34:35]
	s_cbranch_execnz .LBB258_439
.LBB258_428:
	s_or_b64 exec, exec, s[34:35]
	s_and_saveexec_b64 s[34:35], s[30:31]
	s_cbranch_execz .LBB258_430
.LBB258_429:
	v_bfe_u32 v5, v4, 24, 2
	v_ffbh_u32_e32 v7, v5
	v_min_u32_e32 v7, 32, v7
	v_subrev_u32_e32 v8, 29, v7
	v_bfe_u32 v6, v4, 26, 5
	v_lshlrev_b32_sdwa v8, v8, v4 dst_sel:DWORD dst_unused:UNUSED_PAD src0_sel:DWORD src1_sel:BYTE_3
	v_sub_u32_e32 v7, 30, v7
	v_and_b32_e32 v8, 3, v8
	v_cmp_eq_u32_e32 vcc, 0, v6
	v_cndmask_b32_e32 v6, v6, v7, vcc
	v_cndmask_b32_e32 v5, v5, v8, vcc
	v_mov_b32_e32 v7, 0x37800000
	v_lshlrev_b32_e32 v5, 21, v5
	v_and_b32_e32 v4, 0x80000000, v4
	v_lshl_add_u32 v6, v6, 23, v7
	v_or3_b32 v5, v4, v6, v5
.LBB258_430:
	s_or_b64 exec, exec, s[34:35]
	v_cmp_eq_f32_e64 s[30:31], s38, v5
	s_and_b64 vcc, exec, s[4:5]
	s_cbranch_vccz .LBB258_163
.LBB258_431:
                                        ; implicit-def: $sgpr34_sgpr35
	s_cbranch_execz .LBB258_180
; %bb.432:
	s_and_b32 s38, s14, 0xff
	s_cmpk_lt_i32 s38, 0x80
	s_cbranch_scc1 .LBB258_440
; %bb.433:
	s_and_b32 s34, 0xffff, s38
	s_cmpk_eq_i32 s34, 0x80
	s_mov_b64 s[34:35], -1
	s_cbranch_scc0 .LBB258_435
; %bb.434:
	s_mov_b64 s[34:35], 0
.LBB258_435:
	s_mov_b32 s40, 0x7f800001
	s_branch .LBB258_442
.LBB258_436:
	s_movk_i32 s30, 0x80
	v_cmp_eq_u16_sdwa s[40:41], v4, s30 src0_sel:BYTE_3 src1_sel:DWORD
	s_mov_b64 s[30:31], -1
	s_and_saveexec_b64 s[36:37], s[40:41]
; %bb.437:
	s_xor_b64 s[30:31], exec, -1
; %bb.438:
	s_or_b64 exec, exec, s[36:37]
	s_and_b64 s[30:31], s[30:31], exec
	s_or_saveexec_b64 s[34:35], s[34:35]
	v_mov_b32_e32 v5, 0x7f800001
	s_xor_b64 exec, exec, s[34:35]
	s_cbranch_execz .LBB258_428
.LBB258_439:
	v_mov_b32_e32 v5, 0
	v_cmp_ne_u16_sdwa s[36:37], v4, v5 src0_sel:BYTE_3 src1_sel:DWORD
	s_andn2_b64 s[30:31], s[30:31], exec
	s_and_b64 s[36:37], s[36:37], exec
	s_or_b64 s[30:31], s[30:31], s[36:37]
	s_or_b64 exec, exec, s[34:35]
	s_and_saveexec_b64 s[34:35], s[30:31]
	s_cbranch_execnz .LBB258_429
	s_branch .LBB258_430
.LBB258_440:
	s_mov_b64 s[34:35], 0
	s_mov_b32 s40, 0x7f800001
	s_cbranch_execz .LBB258_442
; %bb.441:
	s_and_b32 s34, 0xffff, s38
	s_cmp_lg_u32 s34, 0
	s_mov_b32 s40, 0
	s_cselect_b64 s[34:35], -1, 0
.LBB258_442:
	s_andn2_b64 vcc, exec, s[34:35]
	s_cbranch_vccnz .LBB258_444
; %bb.443:
	s_mov_b32 s40, s33
.LBB258_444:
	s_movk_i32 s34, 0x7f
	s_waitcnt vmcnt(1)
	v_cmp_gt_i16_sdwa s[36:37], v3, s34 src0_sel:BYTE_0 src1_sel:DWORD
	s_mov_b64 s[34:35], 0
	s_and_saveexec_b64 s[38:39], s[36:37]
	s_xor_b64 s[36:37], exec, s[38:39]
	s_cbranch_execnz .LBB258_454
; %bb.445:
	s_or_saveexec_b64 s[36:37], s[36:37]
	v_mov_b32_e32 v4, 0x7f800001
	s_xor_b64 exec, exec, s[36:37]
	s_cbranch_execnz .LBB258_457
.LBB258_446:
	s_or_b64 exec, exec, s[36:37]
	s_and_saveexec_b64 s[36:37], s[34:35]
	s_cbranch_execz .LBB258_448
.LBB258_447:
	v_and_b32_e32 v4, 3, v3
	v_ffbh_u32_e32 v6, v4
	v_min_u32_e32 v6, 32, v6
	v_subrev_u32_e32 v7, 29, v6
	v_bfe_u32 v5, v3, 2, 5
	v_lshlrev_b32_e32 v7, v7, v3
	v_sub_u32_e32 v6, 30, v6
	v_and_b32_e32 v7, 3, v7
	v_cmp_eq_u32_e32 vcc, 0, v5
	v_cndmask_b32_e32 v5, v5, v6, vcc
	v_cndmask_b32_e32 v4, v4, v7, vcc
	v_lshlrev_b32_e32 v6, 24, v3
	v_mov_b32_e32 v7, 0x37800000
	v_lshlrev_b32_e32 v4, 21, v4
	v_and_b32_e32 v6, 0x80000000, v6
	v_lshl_add_u32 v5, v5, 23, v7
	v_or3_b32 v4, v6, v5, v4
.LBB258_448:
	s_or_b64 exec, exec, s[36:37]
	v_cmp_eq_f32_e64 s[34:35], s40, v4
	s_and_b64 vcc, exec, s[4:5]
	v_lshrrev_b32_e32 v4, 8, v3
	s_cbranch_vccz .LBB258_181
.LBB258_449:
                                        ; implicit-def: $sgpr36_sgpr37
	s_cbranch_execz .LBB258_198
; %bb.450:
	s_and_b32 s40, s14, 0xff
	s_cmpk_lt_i32 s40, 0x80
	s_cbranch_scc1 .LBB258_458
; %bb.451:
	s_and_b32 s36, 0xffff, s40
	s_cmpk_eq_i32 s36, 0x80
	s_mov_b64 s[36:37], -1
	s_cbranch_scc0 .LBB258_453
; %bb.452:
	s_mov_b64 s[36:37], 0
.LBB258_453:
	s_mov_b32 s42, 0x7f800001
	s_branch .LBB258_460
.LBB258_454:
	s_movk_i32 s34, 0x80
	v_cmp_eq_u16_sdwa s[42:43], v3, s34 src0_sel:BYTE_0 src1_sel:DWORD
	s_mov_b64 s[34:35], -1
	s_and_saveexec_b64 s[38:39], s[42:43]
; %bb.455:
	s_xor_b64 s[34:35], exec, -1
; %bb.456:
	s_or_b64 exec, exec, s[38:39]
	s_and_b64 s[34:35], s[34:35], exec
	s_or_saveexec_b64 s[36:37], s[36:37]
	v_mov_b32_e32 v4, 0x7f800001
	s_xor_b64 exec, exec, s[36:37]
	s_cbranch_execz .LBB258_446
.LBB258_457:
	v_mov_b32_e32 v4, 0
	v_cmp_ne_u16_sdwa s[38:39], v3, v4 src0_sel:BYTE_0 src1_sel:DWORD
	s_andn2_b64 s[34:35], s[34:35], exec
	s_and_b64 s[38:39], s[38:39], exec
	s_or_b64 s[34:35], s[34:35], s[38:39]
	s_or_b64 exec, exec, s[36:37]
	s_and_saveexec_b64 s[36:37], s[34:35]
	s_cbranch_execnz .LBB258_447
	s_branch .LBB258_448
.LBB258_458:
	s_mov_b64 s[36:37], 0
	s_mov_b32 s42, 0x7f800001
	s_cbranch_execz .LBB258_460
; %bb.459:
	s_and_b32 s36, 0xffff, s40
	s_cmp_lg_u32 s36, 0
	s_mov_b32 s42, 0
	s_cselect_b64 s[36:37], -1, 0
.LBB258_460:
	s_andn2_b64 vcc, exec, s[36:37]
	s_cbranch_vccnz .LBB258_462
; %bb.461:
	s_mov_b32 s42, s33
.LBB258_462:
	s_movk_i32 s36, 0x7f
	v_cmp_gt_i16_sdwa s[38:39], v4, s36 src0_sel:BYTE_0 src1_sel:DWORD
	s_mov_b64 s[36:37], 0
	s_and_saveexec_b64 s[40:41], s[38:39]
	s_xor_b64 s[38:39], exec, s[40:41]
	s_cbranch_execnz .LBB258_472
; %bb.463:
	s_or_saveexec_b64 s[38:39], s[38:39]
	v_mov_b32_e32 v5, 0x7f800001
	s_xor_b64 exec, exec, s[38:39]
	s_cbranch_execnz .LBB258_475
.LBB258_464:
	s_or_b64 exec, exec, s[38:39]
	s_and_saveexec_b64 s[38:39], s[36:37]
	s_cbranch_execz .LBB258_466
.LBB258_465:
	v_bfe_u32 v5, v3, 8, 2
	v_ffbh_u32_e32 v7, v5
	v_min_u32_e32 v7, 32, v7
	v_subrev_u32_e32 v8, 29, v7
	v_bfe_u32 v6, v3, 10, 5
	v_lshlrev_b32_e32 v8, v8, v4
	v_sub_u32_e32 v7, 30, v7
	v_and_b32_e32 v8, 3, v8
	v_cmp_eq_u32_e32 vcc, 0, v6
	v_cndmask_b32_e32 v6, v6, v7, vcc
	v_cndmask_b32_e32 v5, v5, v8, vcc
	v_lshlrev_b32_e32 v4, 24, v4
	v_mov_b32_e32 v7, 0x37800000
	v_lshlrev_b32_e32 v5, 21, v5
	v_and_b32_e32 v4, 0x80000000, v4
	v_lshl_add_u32 v6, v6, 23, v7
	v_or3_b32 v5, v4, v6, v5
.LBB258_466:
	s_or_b64 exec, exec, s[38:39]
	v_cmp_eq_f32_e64 s[36:37], s42, v5
	s_and_b64 vcc, exec, s[4:5]
	s_cbranch_vccz .LBB258_199
.LBB258_467:
                                        ; implicit-def: $sgpr38_sgpr39
	s_cbranch_execz .LBB258_216
; %bb.468:
	s_and_b32 s42, s14, 0xff
	s_cmpk_lt_i32 s42, 0x80
	s_cbranch_scc1 .LBB258_476
; %bb.469:
	s_and_b32 s38, 0xffff, s42
	s_cmpk_eq_i32 s38, 0x80
	s_mov_b64 s[38:39], -1
	s_cbranch_scc0 .LBB258_471
; %bb.470:
	s_mov_b64 s[38:39], 0
.LBB258_471:
	s_mov_b32 s44, 0x7f800001
	s_branch .LBB258_478
.LBB258_472:
	s_movk_i32 s36, 0x80
	v_cmp_eq_u16_sdwa s[44:45], v4, s36 src0_sel:BYTE_0 src1_sel:DWORD
	s_mov_b64 s[36:37], -1
	s_and_saveexec_b64 s[40:41], s[44:45]
; %bb.473:
	s_xor_b64 s[36:37], exec, -1
; %bb.474:
	s_or_b64 exec, exec, s[40:41]
	s_and_b64 s[36:37], s[36:37], exec
	s_or_saveexec_b64 s[38:39], s[38:39]
	v_mov_b32_e32 v5, 0x7f800001
	s_xor_b64 exec, exec, s[38:39]
	s_cbranch_execz .LBB258_464
.LBB258_475:
	v_mov_b32_e32 v5, 0
	v_cmp_ne_u16_sdwa s[40:41], v4, v5 src0_sel:BYTE_0 src1_sel:DWORD
	s_andn2_b64 s[36:37], s[36:37], exec
	s_and_b64 s[40:41], s[40:41], exec
	s_or_b64 s[36:37], s[36:37], s[40:41]
	s_or_b64 exec, exec, s[38:39]
	s_and_saveexec_b64 s[38:39], s[36:37]
	s_cbranch_execnz .LBB258_465
	s_branch .LBB258_466
.LBB258_476:
	s_mov_b64 s[38:39], 0
	s_mov_b32 s44, 0x7f800001
	s_cbranch_execz .LBB258_478
; %bb.477:
	s_and_b32 s38, 0xffff, s42
	s_cmp_lg_u32 s38, 0
	s_mov_b32 s44, 0
	s_cselect_b64 s[38:39], -1, 0
.LBB258_478:
	s_andn2_b64 vcc, exec, s[38:39]
	s_cbranch_vccnz .LBB258_480
; %bb.479:
	s_mov_b32 s44, s33
.LBB258_480:
	s_movk_i32 s38, 0xff
	v_and_b32_sdwa v4, v3, s38 dst_sel:DWORD dst_unused:UNUSED_PAD src0_sel:WORD_1 src1_sel:DWORD
	s_movk_i32 s38, 0x7f
	v_cmp_lt_i16_e32 vcc, s38, v4
	s_mov_b64 s[38:39], 0
	s_and_saveexec_b64 s[40:41], vcc
	s_xor_b64 s[40:41], exec, s[40:41]
	s_cbranch_execnz .LBB258_490
; %bb.481:
	s_or_saveexec_b64 s[40:41], s[40:41]
	v_mov_b32_e32 v5, 0x7f800001
	s_xor_b64 exec, exec, s[40:41]
	s_cbranch_execnz .LBB258_493
.LBB258_482:
	s_or_b64 exec, exec, s[40:41]
	s_and_saveexec_b64 s[40:41], s[38:39]
	s_cbranch_execz .LBB258_484
.LBB258_483:
	v_bfe_u32 v4, v3, 16, 2
	v_ffbh_u32_e32 v6, v4
	v_min_u32_e32 v6, 32, v6
	v_bfe_u32 v5, v3, 18, 5
	v_subrev_u32_e32 v7, 29, v6
	v_lshlrev_b32_sdwa v7, v7, v3 dst_sel:DWORD dst_unused:UNUSED_PAD src0_sel:DWORD src1_sel:WORD_1
	v_sub_u32_e32 v6, 30, v6
	v_cmp_eq_u32_e32 vcc, 0, v5
	v_and_b32_e32 v7, 3, v7
	v_cndmask_b32_e32 v5, v5, v6, vcc
	v_mov_b32_e32 v6, 24
	v_cndmask_b32_e32 v4, v4, v7, vcc
	v_lshlrev_b32_sdwa v6, v6, v3 dst_sel:DWORD dst_unused:UNUSED_PAD src0_sel:DWORD src1_sel:WORD_1
	v_mov_b32_e32 v7, 0x37800000
	v_lshlrev_b32_e32 v4, 21, v4
	v_and_b32_e32 v6, 0x80000000, v6
	v_lshl_add_u32 v5, v5, 23, v7
	v_or3_b32 v5, v6, v5, v4
.LBB258_484:
	s_or_b64 exec, exec, s[40:41]
	v_cmp_eq_f32_e64 s[38:39], s44, v5
	s_and_b64 vcc, exec, s[4:5]
	s_cbranch_vccz .LBB258_217
.LBB258_485:
                                        ; implicit-def: $sgpr40_sgpr41
	s_cbranch_execz .LBB258_234
; %bb.486:
	s_and_b32 s44, s14, 0xff
	s_cmpk_lt_i32 s44, 0x80
	s_cbranch_scc1 .LBB258_494
; %bb.487:
	s_and_b32 s40, 0xffff, s44
	s_cmpk_eq_i32 s40, 0x80
	s_mov_b64 s[40:41], -1
	s_cbranch_scc0 .LBB258_489
; %bb.488:
	s_mov_b64 s[40:41], 0
.LBB258_489:
	s_mov_b32 s46, 0x7f800001
	s_branch .LBB258_496
.LBB258_490:
	s_movk_i32 s38, 0x80
	v_cmp_eq_u16_e32 vcc, s38, v4
	s_mov_b64 s[38:39], -1
	s_and_saveexec_b64 s[42:43], vcc
; %bb.491:
	s_xor_b64 s[38:39], exec, -1
; %bb.492:
	s_or_b64 exec, exec, s[42:43]
	s_and_b64 s[38:39], s[38:39], exec
                                        ; implicit-def: $vgpr4
	s_or_saveexec_b64 s[40:41], s[40:41]
	v_mov_b32_e32 v5, 0x7f800001
	s_xor_b64 exec, exec, s[40:41]
	s_cbranch_execz .LBB258_482
.LBB258_493:
	v_cmp_ne_u16_e32 vcc, 0, v4
	s_andn2_b64 s[38:39], s[38:39], exec
	s_and_b64 s[42:43], vcc, exec
	v_mov_b32_e32 v5, 0
	s_or_b64 s[38:39], s[38:39], s[42:43]
	s_or_b64 exec, exec, s[40:41]
	s_and_saveexec_b64 s[40:41], s[38:39]
	s_cbranch_execnz .LBB258_483
	s_branch .LBB258_484
.LBB258_494:
	s_mov_b64 s[40:41], 0
	s_mov_b32 s46, 0x7f800001
	s_cbranch_execz .LBB258_496
; %bb.495:
	s_and_b32 s40, 0xffff, s44
	s_cmp_lg_u32 s40, 0
	s_mov_b32 s46, 0
	s_cselect_b64 s[40:41], -1, 0
.LBB258_496:
	s_andn2_b64 vcc, exec, s[40:41]
	s_cbranch_vccnz .LBB258_498
; %bb.497:
	s_mov_b32 s46, s33
.LBB258_498:
	s_movk_i32 s40, 0x7f
	v_cmp_gt_i16_sdwa s[42:43], v3, s40 src0_sel:BYTE_3 src1_sel:DWORD
	s_mov_b64 s[40:41], 0
	s_and_saveexec_b64 s[44:45], s[42:43]
	s_xor_b64 s[42:43], exec, s[44:45]
	s_cbranch_execnz .LBB258_508
; %bb.499:
	s_or_saveexec_b64 s[42:43], s[42:43]
	v_mov_b32_e32 v4, 0x7f800001
	s_xor_b64 exec, exec, s[42:43]
	s_cbranch_execnz .LBB258_511
.LBB258_500:
	s_or_b64 exec, exec, s[42:43]
	s_and_saveexec_b64 s[42:43], s[40:41]
	s_cbranch_execz .LBB258_502
.LBB258_501:
	v_bfe_u32 v4, v3, 24, 2
	v_ffbh_u32_e32 v6, v4
	v_min_u32_e32 v6, 32, v6
	v_subrev_u32_e32 v7, 29, v6
	v_bfe_u32 v5, v3, 26, 5
	v_lshlrev_b32_sdwa v7, v7, v3 dst_sel:DWORD dst_unused:UNUSED_PAD src0_sel:DWORD src1_sel:BYTE_3
	v_sub_u32_e32 v6, 30, v6
	v_and_b32_e32 v7, 3, v7
	v_cmp_eq_u32_e32 vcc, 0, v5
	v_cndmask_b32_e32 v5, v5, v6, vcc
	v_cndmask_b32_e32 v4, v4, v7, vcc
	v_mov_b32_e32 v6, 0x37800000
	v_lshlrev_b32_e32 v4, 21, v4
	v_and_b32_e32 v3, 0x80000000, v3
	v_lshl_add_u32 v5, v5, 23, v6
	v_or3_b32 v4, v3, v5, v4
.LBB258_502:
	s_or_b64 exec, exec, s[42:43]
	v_cmp_eq_f32_e64 s[40:41], s46, v4
	s_and_b64 vcc, exec, s[4:5]
	s_cbranch_vccz .LBB258_235
.LBB258_503:
                                        ; implicit-def: $sgpr42_sgpr43
	s_cbranch_execz .LBB258_252
; %bb.504:
	s_and_b32 s46, s14, 0xff
	s_cmpk_lt_i32 s46, 0x80
	s_cbranch_scc1 .LBB258_512
; %bb.505:
	s_and_b32 s42, 0xffff, s46
	s_cmpk_eq_i32 s42, 0x80
	s_mov_b64 s[42:43], -1
	s_cbranch_scc0 .LBB258_507
; %bb.506:
	s_mov_b64 s[42:43], 0
.LBB258_507:
	s_mov_b32 s48, 0x7f800001
	s_branch .LBB258_514
.LBB258_508:
	s_movk_i32 s40, 0x80
	v_cmp_eq_u16_sdwa s[48:49], v3, s40 src0_sel:BYTE_3 src1_sel:DWORD
	s_mov_b64 s[40:41], -1
	s_and_saveexec_b64 s[44:45], s[48:49]
; %bb.509:
	s_xor_b64 s[40:41], exec, -1
; %bb.510:
	s_or_b64 exec, exec, s[44:45]
	s_and_b64 s[40:41], s[40:41], exec
	s_or_saveexec_b64 s[42:43], s[42:43]
	v_mov_b32_e32 v4, 0x7f800001
	s_xor_b64 exec, exec, s[42:43]
	s_cbranch_execz .LBB258_500
.LBB258_511:
	v_mov_b32_e32 v4, 0
	v_cmp_ne_u16_sdwa s[44:45], v3, v4 src0_sel:BYTE_3 src1_sel:DWORD
	s_andn2_b64 s[40:41], s[40:41], exec
	s_and_b64 s[44:45], s[44:45], exec
	s_or_b64 s[40:41], s[40:41], s[44:45]
	s_or_b64 exec, exec, s[42:43]
	s_and_saveexec_b64 s[42:43], s[40:41]
	s_cbranch_execnz .LBB258_501
	s_branch .LBB258_502
.LBB258_512:
	s_mov_b64 s[42:43], 0
	s_mov_b32 s48, 0x7f800001
	s_cbranch_execz .LBB258_514
; %bb.513:
	s_and_b32 s42, 0xffff, s46
	s_cmp_lg_u32 s42, 0
	s_mov_b32 s48, 0
	s_cselect_b64 s[42:43], -1, 0
.LBB258_514:
	s_andn2_b64 vcc, exec, s[42:43]
	s_cbranch_vccnz .LBB258_516
; %bb.515:
	s_mov_b32 s48, s33
.LBB258_516:
	s_movk_i32 s42, 0x7f
	s_waitcnt vmcnt(0)
	v_cmp_gt_i16_sdwa s[44:45], v2, s42 src0_sel:BYTE_0 src1_sel:DWORD
	s_mov_b64 s[42:43], 0
	s_and_saveexec_b64 s[46:47], s[44:45]
	s_xor_b64 s[44:45], exec, s[46:47]
	s_cbranch_execnz .LBB258_526
; %bb.517:
	s_or_saveexec_b64 s[44:45], s[44:45]
	v_mov_b32_e32 v3, 0x7f800001
	s_xor_b64 exec, exec, s[44:45]
	s_cbranch_execnz .LBB258_529
.LBB258_518:
	s_or_b64 exec, exec, s[44:45]
	s_and_saveexec_b64 s[44:45], s[42:43]
	s_cbranch_execz .LBB258_520
.LBB258_519:
	v_and_b32_e32 v3, 3, v2
	v_ffbh_u32_e32 v5, v3
	v_min_u32_e32 v5, 32, v5
	v_subrev_u32_e32 v6, 29, v5
	v_bfe_u32 v4, v2, 2, 5
	v_lshlrev_b32_e32 v6, v6, v2
	v_sub_u32_e32 v5, 30, v5
	v_and_b32_e32 v6, 3, v6
	v_cmp_eq_u32_e32 vcc, 0, v4
	v_cndmask_b32_e32 v4, v4, v5, vcc
	v_cndmask_b32_e32 v3, v3, v6, vcc
	v_lshlrev_b32_e32 v5, 24, v2
	v_mov_b32_e32 v6, 0x37800000
	v_lshlrev_b32_e32 v3, 21, v3
	v_and_b32_e32 v5, 0x80000000, v5
	v_lshl_add_u32 v4, v4, 23, v6
	v_or3_b32 v3, v5, v4, v3
.LBB258_520:
	s_or_b64 exec, exec, s[44:45]
	v_cmp_eq_f32_e64 s[42:43], s48, v3
	s_and_b64 vcc, exec, s[4:5]
	v_lshrrev_b32_e32 v3, 8, v2
	s_cbranch_vccz .LBB258_253
.LBB258_521:
                                        ; implicit-def: $sgpr44_sgpr45
	s_cbranch_execz .LBB258_270
; %bb.522:
	s_and_b32 s48, s14, 0xff
	s_cmpk_lt_i32 s48, 0x80
	s_cbranch_scc1 .LBB258_530
; %bb.523:
	s_and_b32 s44, 0xffff, s48
	s_cmpk_eq_i32 s44, 0x80
	s_mov_b64 s[44:45], -1
	s_cbranch_scc0 .LBB258_525
; %bb.524:
	s_mov_b64 s[44:45], 0
.LBB258_525:
	s_mov_b32 s50, 0x7f800001
	s_branch .LBB258_532
.LBB258_526:
	s_movk_i32 s42, 0x80
	v_cmp_eq_u16_sdwa s[50:51], v2, s42 src0_sel:BYTE_0 src1_sel:DWORD
	s_mov_b64 s[42:43], -1
	s_and_saveexec_b64 s[46:47], s[50:51]
; %bb.527:
	s_xor_b64 s[42:43], exec, -1
; %bb.528:
	s_or_b64 exec, exec, s[46:47]
	s_and_b64 s[42:43], s[42:43], exec
	s_or_saveexec_b64 s[44:45], s[44:45]
	v_mov_b32_e32 v3, 0x7f800001
	s_xor_b64 exec, exec, s[44:45]
	s_cbranch_execz .LBB258_518
.LBB258_529:
	v_mov_b32_e32 v3, 0
	v_cmp_ne_u16_sdwa s[46:47], v2, v3 src0_sel:BYTE_0 src1_sel:DWORD
	s_andn2_b64 s[42:43], s[42:43], exec
	s_and_b64 s[46:47], s[46:47], exec
	s_or_b64 s[42:43], s[42:43], s[46:47]
	s_or_b64 exec, exec, s[44:45]
	s_and_saveexec_b64 s[44:45], s[42:43]
	s_cbranch_execnz .LBB258_519
	s_branch .LBB258_520
.LBB258_530:
	s_mov_b64 s[44:45], 0
	s_mov_b32 s50, 0x7f800001
	s_cbranch_execz .LBB258_532
; %bb.531:
	s_and_b32 s44, 0xffff, s48
	s_cmp_lg_u32 s44, 0
	s_mov_b32 s50, 0
	s_cselect_b64 s[44:45], -1, 0
.LBB258_532:
	s_andn2_b64 vcc, exec, s[44:45]
	s_cbranch_vccnz .LBB258_534
; %bb.533:
	s_mov_b32 s50, s33
.LBB258_534:
	s_movk_i32 s44, 0x7f
	v_cmp_gt_i16_sdwa s[46:47], v3, s44 src0_sel:BYTE_0 src1_sel:DWORD
	s_mov_b64 s[44:45], 0
	s_and_saveexec_b64 s[48:49], s[46:47]
	s_xor_b64 s[46:47], exec, s[48:49]
	s_cbranch_execnz .LBB258_544
; %bb.535:
	s_or_saveexec_b64 s[46:47], s[46:47]
	v_mov_b32_e32 v4, 0x7f800001
	s_xor_b64 exec, exec, s[46:47]
	s_cbranch_execnz .LBB258_547
.LBB258_536:
	s_or_b64 exec, exec, s[46:47]
	s_and_saveexec_b64 s[46:47], s[44:45]
	s_cbranch_execz .LBB258_538
.LBB258_537:
	v_bfe_u32 v4, v2, 8, 2
	v_ffbh_u32_e32 v6, v4
	v_min_u32_e32 v6, 32, v6
	v_subrev_u32_e32 v7, 29, v6
	v_bfe_u32 v5, v2, 10, 5
	v_lshlrev_b32_e32 v7, v7, v3
	v_sub_u32_e32 v6, 30, v6
	v_and_b32_e32 v7, 3, v7
	v_cmp_eq_u32_e32 vcc, 0, v5
	v_cndmask_b32_e32 v5, v5, v6, vcc
	v_cndmask_b32_e32 v4, v4, v7, vcc
	v_lshlrev_b32_e32 v3, 24, v3
	v_mov_b32_e32 v6, 0x37800000
	v_lshlrev_b32_e32 v4, 21, v4
	v_and_b32_e32 v3, 0x80000000, v3
	v_lshl_add_u32 v5, v5, 23, v6
	v_or3_b32 v4, v3, v5, v4
.LBB258_538:
	s_or_b64 exec, exec, s[46:47]
	v_cmp_eq_f32_e64 s[44:45], s50, v4
	s_and_b64 vcc, exec, s[4:5]
	s_cbranch_vccz .LBB258_271
.LBB258_539:
                                        ; implicit-def: $sgpr46_sgpr47
	s_cbranch_execz .LBB258_288
; %bb.540:
	s_and_b32 s50, s14, 0xff
	s_cmpk_lt_i32 s50, 0x80
	s_cbranch_scc1 .LBB258_548
; %bb.541:
	s_and_b32 s46, 0xffff, s50
	s_cmpk_eq_i32 s46, 0x80
	s_mov_b64 s[46:47], -1
	s_cbranch_scc0 .LBB258_543
; %bb.542:
	s_mov_b64 s[46:47], 0
.LBB258_543:
	s_mov_b32 s52, 0x7f800001
	s_branch .LBB258_550
.LBB258_544:
	s_movk_i32 s44, 0x80
	v_cmp_eq_u16_sdwa s[52:53], v3, s44 src0_sel:BYTE_0 src1_sel:DWORD
	s_mov_b64 s[44:45], -1
	s_and_saveexec_b64 s[48:49], s[52:53]
; %bb.545:
	s_xor_b64 s[44:45], exec, -1
; %bb.546:
	s_or_b64 exec, exec, s[48:49]
	s_and_b64 s[44:45], s[44:45], exec
	s_or_saveexec_b64 s[46:47], s[46:47]
	v_mov_b32_e32 v4, 0x7f800001
	s_xor_b64 exec, exec, s[46:47]
	s_cbranch_execz .LBB258_536
.LBB258_547:
	v_mov_b32_e32 v4, 0
	v_cmp_ne_u16_sdwa s[48:49], v3, v4 src0_sel:BYTE_0 src1_sel:DWORD
	s_andn2_b64 s[44:45], s[44:45], exec
	s_and_b64 s[48:49], s[48:49], exec
	s_or_b64 s[44:45], s[44:45], s[48:49]
	s_or_b64 exec, exec, s[46:47]
	s_and_saveexec_b64 s[46:47], s[44:45]
	s_cbranch_execnz .LBB258_537
	s_branch .LBB258_538
.LBB258_548:
	s_mov_b64 s[46:47], 0
	s_mov_b32 s52, 0x7f800001
	s_cbranch_execz .LBB258_550
; %bb.549:
	s_and_b32 s46, 0xffff, s50
	s_cmp_lg_u32 s46, 0
	s_mov_b32 s52, 0
	s_cselect_b64 s[46:47], -1, 0
.LBB258_550:
	s_andn2_b64 vcc, exec, s[46:47]
	s_cbranch_vccnz .LBB258_552
; %bb.551:
	s_mov_b32 s52, s33
.LBB258_552:
	s_movk_i32 s46, 0xff
	v_and_b32_sdwa v3, v2, s46 dst_sel:DWORD dst_unused:UNUSED_PAD src0_sel:WORD_1 src1_sel:DWORD
	s_movk_i32 s46, 0x7f
	v_cmp_lt_i16_e32 vcc, s46, v3
	s_mov_b64 s[46:47], 0
	s_and_saveexec_b64 s[48:49], vcc
	s_xor_b64 s[48:49], exec, s[48:49]
	s_cbranch_execnz .LBB258_562
; %bb.553:
	s_or_saveexec_b64 s[48:49], s[48:49]
	v_mov_b32_e32 v4, 0x7f800001
	s_xor_b64 exec, exec, s[48:49]
	s_cbranch_execnz .LBB258_565
.LBB258_554:
	s_or_b64 exec, exec, s[48:49]
	s_and_saveexec_b64 s[48:49], s[46:47]
	s_cbranch_execz .LBB258_556
.LBB258_555:
	v_bfe_u32 v3, v2, 16, 2
	v_ffbh_u32_e32 v5, v3
	v_min_u32_e32 v5, 32, v5
	v_bfe_u32 v4, v2, 18, 5
	v_subrev_u32_e32 v6, 29, v5
	v_lshlrev_b32_sdwa v6, v6, v2 dst_sel:DWORD dst_unused:UNUSED_PAD src0_sel:DWORD src1_sel:WORD_1
	v_sub_u32_e32 v5, 30, v5
	v_cmp_eq_u32_e32 vcc, 0, v4
	v_and_b32_e32 v6, 3, v6
	v_cndmask_b32_e32 v4, v4, v5, vcc
	v_mov_b32_e32 v5, 24
	v_cndmask_b32_e32 v3, v3, v6, vcc
	v_lshlrev_b32_sdwa v5, v5, v2 dst_sel:DWORD dst_unused:UNUSED_PAD src0_sel:DWORD src1_sel:WORD_1
	v_mov_b32_e32 v6, 0x37800000
	v_lshlrev_b32_e32 v3, 21, v3
	v_and_b32_e32 v5, 0x80000000, v5
	v_lshl_add_u32 v4, v4, 23, v6
	v_or3_b32 v4, v5, v4, v3
.LBB258_556:
	s_or_b64 exec, exec, s[48:49]
	v_cmp_eq_f32_e64 s[46:47], s52, v4
	s_and_b64 vcc, exec, s[4:5]
	s_cbranch_vccz .LBB258_289
.LBB258_557:
                                        ; implicit-def: $sgpr4_sgpr5
	s_cbranch_execz .LBB258_575
; %bb.558:
	s_and_b32 s50, s14, 0xff
	s_cmpk_lt_i32 s50, 0x80
	s_cbranch_scc1 .LBB258_566
; %bb.559:
	s_and_b32 s4, 0xffff, s50
	s_cmpk_eq_i32 s4, 0x80
	s_mov_b64 s[4:5], -1
	s_cbranch_scc0 .LBB258_561
; %bb.560:
	s_mov_b64 s[4:5], 0
.LBB258_561:
	s_mov_b32 s52, 0x7f800001
	s_branch .LBB258_568
.LBB258_562:
	s_movk_i32 s46, 0x80
	v_cmp_eq_u16_e32 vcc, s46, v3
	s_mov_b64 s[46:47], -1
	s_and_saveexec_b64 s[50:51], vcc
; %bb.563:
	s_xor_b64 s[46:47], exec, -1
; %bb.564:
	s_or_b64 exec, exec, s[50:51]
	s_and_b64 s[46:47], s[46:47], exec
                                        ; implicit-def: $vgpr3
	s_or_saveexec_b64 s[48:49], s[48:49]
	v_mov_b32_e32 v4, 0x7f800001
	s_xor_b64 exec, exec, s[48:49]
	s_cbranch_execz .LBB258_554
.LBB258_565:
	v_cmp_ne_u16_e32 vcc, 0, v3
	s_andn2_b64 s[46:47], s[46:47], exec
	s_and_b64 s[50:51], vcc, exec
	v_mov_b32_e32 v4, 0
	s_or_b64 s[46:47], s[46:47], s[50:51]
	s_or_b64 exec, exec, s[48:49]
	s_and_saveexec_b64 s[48:49], s[46:47]
	s_cbranch_execnz .LBB258_555
	s_branch .LBB258_556
.LBB258_566:
	s_mov_b64 s[4:5], 0
	s_mov_b32 s52, 0x7f800001
	s_cbranch_execz .LBB258_568
; %bb.567:
	s_and_b32 s4, 0xffff, s50
	s_cmp_lg_u32 s4, 0
	s_mov_b32 s52, 0
	s_cselect_b64 s[4:5], -1, 0
.LBB258_568:
	s_andn2_b64 vcc, exec, s[4:5]
	s_cbranch_vccnz .LBB258_570
; %bb.569:
	s_mov_b32 s52, s33
.LBB258_570:
	s_movk_i32 s4, 0x7f
	v_cmp_gt_i16_sdwa s[48:49], v2, s4 src0_sel:BYTE_3 src1_sel:DWORD
	s_mov_b64 s[4:5], 0
	s_and_saveexec_b64 s[50:51], s[48:49]
	s_xor_b64 s[48:49], exec, s[50:51]
	s_cbranch_execnz .LBB258_577
; %bb.571:
	s_or_saveexec_b64 s[48:49], s[48:49]
	v_mov_b32_e32 v3, 0x7f800001
	s_xor_b64 exec, exec, s[48:49]
	s_cbranch_execnz .LBB258_580
.LBB258_572:
	s_or_b64 exec, exec, s[48:49]
	s_and_saveexec_b64 s[48:49], s[4:5]
	s_cbranch_execz .LBB258_574
.LBB258_573:
	v_bfe_u32 v3, v2, 24, 2
	v_ffbh_u32_e32 v5, v3
	v_min_u32_e32 v5, 32, v5
	v_subrev_u32_e32 v6, 29, v5
	v_bfe_u32 v4, v2, 26, 5
	v_lshlrev_b32_sdwa v6, v6, v2 dst_sel:DWORD dst_unused:UNUSED_PAD src0_sel:DWORD src1_sel:BYTE_3
	v_sub_u32_e32 v5, 30, v5
	v_and_b32_e32 v6, 3, v6
	v_cmp_eq_u32_e32 vcc, 0, v4
	v_cndmask_b32_e32 v4, v4, v5, vcc
	v_cndmask_b32_e32 v3, v3, v6, vcc
	v_mov_b32_e32 v5, 0x37800000
	v_lshlrev_b32_e32 v3, 21, v3
	v_and_b32_e32 v2, 0x80000000, v2
	v_lshl_add_u32 v4, v4, 23, v5
	v_or3_b32 v3, v2, v4, v3
.LBB258_574:
	s_or_b64 exec, exec, s[48:49]
	v_cmp_eq_f32_e64 s[4:5], s52, v3
.LBB258_575:
	v_cndmask_b32_e64 v2, 0, 1, s[10:11]
	v_lshlrev_b16_e32 v2, 8, v2
	v_cndmask_b32_e64 v3, 0, 1, s[8:9]
	v_or_b32_e32 v2, v3, v2
	v_cndmask_b32_e64 v3, 0, 1, s[22:23]
	v_lshlrev_b16_e32 v3, 8, v3
	v_cndmask_b32_e64 v4, 0, 1, s[20:21]
	v_or_b32_sdwa v3, v4, v3 dst_sel:WORD_1 dst_unused:UNUSED_PAD src0_sel:DWORD src1_sel:DWORD
	v_or_b32_sdwa v2, v2, v3 dst_sel:DWORD dst_unused:UNUSED_PAD src0_sel:WORD_0 src1_sel:DWORD
	v_cndmask_b32_e64 v3, 0, 1, s[26:27]
	v_lshlrev_b16_e32 v3, 8, v3
	v_cndmask_b32_e64 v4, 0, 1, s[24:25]
	v_or_b32_e32 v3, v4, v3
	v_cndmask_b32_e64 v4, 0, 1, s[30:31]
	v_lshlrev_b16_e32 v4, 8, v4
	v_cndmask_b32_e64 v5, 0, 1, s[28:29]
	v_or_b32_sdwa v4, v5, v4 dst_sel:WORD_1 dst_unused:UNUSED_PAD src0_sel:DWORD src1_sel:DWORD
	v_or_b32_sdwa v3, v3, v4 dst_sel:DWORD dst_unused:UNUSED_PAD src0_sel:WORD_0 src1_sel:DWORD
	;; [unrolled: 9-line block ×3, first 2 shown]
	v_cndmask_b32_e64 v5, 0, 1, s[44:45]
	v_lshlrev_b16_e32 v5, 8, v5
	v_cndmask_b32_e64 v6, 0, 1, s[42:43]
	v_or_b32_e32 v5, v6, v5
	v_cndmask_b32_e64 v6, 0, 1, s[4:5]
	v_lshlrev_b16_e32 v6, 8, v6
	v_cndmask_b32_e64 v7, 0, 1, s[46:47]
	s_add_u32 s4, s16, s15
	v_or_b32_sdwa v6, v7, v6 dst_sel:WORD_1 dst_unused:UNUSED_PAD src0_sel:DWORD src1_sel:DWORD
	s_addc_u32 s5, s17, s12
	v_or_b32_sdwa v5, v5, v6 dst_sel:DWORD dst_unused:UNUSED_PAD src0_sel:WORD_0 src1_sel:DWORD
	global_store_dword v1, v2, s[4:5]
	global_store_dword v1, v3, s[4:5] offset:1024
	global_store_dword v1, v4, s[4:5] offset:2048
	;; [unrolled: 1-line block ×3, first 2 shown]
	s_branch .LBB258_2
.LBB258_576:
	s_getpc_b64 s[4:5]
	s_add_u32 s4, s4, _ZN2at6native25elementwise_kernel_helperILb0ENS0_13AUnaryFunctorIN3c1015Float8_e5m2fnuzES4_bNS0_12_GLOBAL__N_116CompareEqFunctorIS4_EEEENS0_6memory8policies11unroll_baseILi256ESt5arrayIPcLm2EE23TrivialOffsetCalculatorILi1EjESG_NS9_15LoadWithoutCastENS9_16StoreWithoutCastELi16ELi1EEEEEvT0_T1_@rel32@lo+4
	s_addc_u32 s5, s5, _ZN2at6native25elementwise_kernel_helperILb0ENS0_13AUnaryFunctorIN3c1015Float8_e5m2fnuzES4_bNS0_12_GLOBAL__N_116CompareEqFunctorIS4_EEEENS0_6memory8policies11unroll_baseILi256ESt5arrayIPcLm2EE23TrivialOffsetCalculatorILi1EjESG_NS9_15LoadWithoutCastENS9_16StoreWithoutCastELi16ELi1EEEEEvT0_T1_@rel32@hi+12
	s_mov_b32 s12, s6
	v_mov_b32_e32 v31, v0
	v_mov_b32_e32 v0, s13
	v_mov_b32_e32 v1, s14
	v_mov_b32_e32 v2, s16
	v_mov_b32_e32 v3, s17
	v_mov_b32_e32 v4, s18
	v_mov_b32_e32 v5, s19
	v_mov_b32_e32 v6, s7
	s_swappc_b64 s[30:31], s[4:5]
	s_endpgm
.LBB258_577:
	s_movk_i32 s4, 0x80
	v_cmp_eq_u16_sdwa s[54:55], v2, s4 src0_sel:BYTE_3 src1_sel:DWORD
	s_mov_b64 s[4:5], -1
	s_and_saveexec_b64 s[50:51], s[54:55]
; %bb.578:
	s_xor_b64 s[4:5], exec, -1
; %bb.579:
	s_or_b64 exec, exec, s[50:51]
	s_and_b64 s[4:5], s[4:5], exec
	s_or_saveexec_b64 s[48:49], s[48:49]
	v_mov_b32_e32 v3, 0x7f800001
	s_xor_b64 exec, exec, s[48:49]
	s_cbranch_execz .LBB258_572
.LBB258_580:
	v_mov_b32_e32 v3, 0
	v_cmp_ne_u16_sdwa s[50:51], v2, v3 src0_sel:BYTE_3 src1_sel:DWORD
	s_andn2_b64 s[4:5], s[4:5], exec
	s_and_b64 s[50:51], s[50:51], exec
	s_or_b64 s[4:5], s[4:5], s[50:51]
	s_or_b64 exec, exec, s[48:49]
	s_and_saveexec_b64 s[48:49], s[4:5]
	s_cbranch_execnz .LBB258_573
	s_branch .LBB258_574
	.section	.rodata,"a",@progbits
	.p2align	6, 0x0
	.amdhsa_kernel _ZN2at6native29vectorized_elementwise_kernelILi4ENS0_13AUnaryFunctorIN3c1015Float8_e5m2fnuzES4_bNS0_12_GLOBAL__N_116CompareEqFunctorIS4_EEEESt5arrayIPcLm2EEEEviT0_T1_
		.amdhsa_group_segment_fixed_size 0
		.amdhsa_private_segment_fixed_size 0
		.amdhsa_kernarg_size 32
		.amdhsa_user_sgpr_count 6
		.amdhsa_user_sgpr_private_segment_buffer 1
		.amdhsa_user_sgpr_dispatch_ptr 0
		.amdhsa_user_sgpr_queue_ptr 0
		.amdhsa_user_sgpr_kernarg_segment_ptr 1
		.amdhsa_user_sgpr_dispatch_id 0
		.amdhsa_user_sgpr_flat_scratch_init 0
		.amdhsa_user_sgpr_private_segment_size 0
		.amdhsa_uses_dynamic_stack 0
		.amdhsa_system_sgpr_private_segment_wavefront_offset 0
		.amdhsa_system_sgpr_workgroup_id_x 1
		.amdhsa_system_sgpr_workgroup_id_y 0
		.amdhsa_system_sgpr_workgroup_id_z 0
		.amdhsa_system_sgpr_workgroup_info 0
		.amdhsa_system_vgpr_workitem_id 0
		.amdhsa_next_free_vgpr 32
		.amdhsa_next_free_sgpr 57
		.amdhsa_reserve_vcc 1
		.amdhsa_reserve_flat_scratch 0
		.amdhsa_float_round_mode_32 0
		.amdhsa_float_round_mode_16_64 0
		.amdhsa_float_denorm_mode_32 3
		.amdhsa_float_denorm_mode_16_64 3
		.amdhsa_dx10_clamp 1
		.amdhsa_ieee_mode 1
		.amdhsa_fp16_overflow 0
		.amdhsa_exception_fp_ieee_invalid_op 0
		.amdhsa_exception_fp_denorm_src 0
		.amdhsa_exception_fp_ieee_div_zero 0
		.amdhsa_exception_fp_ieee_overflow 0
		.amdhsa_exception_fp_ieee_underflow 0
		.amdhsa_exception_fp_ieee_inexact 0
		.amdhsa_exception_int_div_zero 0
	.end_amdhsa_kernel
	.section	.text._ZN2at6native29vectorized_elementwise_kernelILi4ENS0_13AUnaryFunctorIN3c1015Float8_e5m2fnuzES4_bNS0_12_GLOBAL__N_116CompareEqFunctorIS4_EEEESt5arrayIPcLm2EEEEviT0_T1_,"axG",@progbits,_ZN2at6native29vectorized_elementwise_kernelILi4ENS0_13AUnaryFunctorIN3c1015Float8_e5m2fnuzES4_bNS0_12_GLOBAL__N_116CompareEqFunctorIS4_EEEESt5arrayIPcLm2EEEEviT0_T1_,comdat
.Lfunc_end258:
	.size	_ZN2at6native29vectorized_elementwise_kernelILi4ENS0_13AUnaryFunctorIN3c1015Float8_e5m2fnuzES4_bNS0_12_GLOBAL__N_116CompareEqFunctorIS4_EEEESt5arrayIPcLm2EEEEviT0_T1_, .Lfunc_end258-_ZN2at6native29vectorized_elementwise_kernelILi4ENS0_13AUnaryFunctorIN3c1015Float8_e5m2fnuzES4_bNS0_12_GLOBAL__N_116CompareEqFunctorIS4_EEEESt5arrayIPcLm2EEEEviT0_T1_
                                        ; -- End function
	.set _ZN2at6native29vectorized_elementwise_kernelILi4ENS0_13AUnaryFunctorIN3c1015Float8_e5m2fnuzES4_bNS0_12_GLOBAL__N_116CompareEqFunctorIS4_EEEESt5arrayIPcLm2EEEEviT0_T1_.num_vgpr, max(32, .L_ZN2at6native25elementwise_kernel_helperILb0ENS0_13AUnaryFunctorIN3c1015Float8_e5m2fnuzES4_bNS0_12_GLOBAL__N_116CompareEqFunctorIS4_EEEENS0_6memory8policies11unroll_baseILi256ESt5arrayIPcLm2EE23TrivialOffsetCalculatorILi1EjESG_NS9_15LoadWithoutCastENS9_16StoreWithoutCastELi16ELi1EEEEEvT0_T1_.num_vgpr)
	.set _ZN2at6native29vectorized_elementwise_kernelILi4ENS0_13AUnaryFunctorIN3c1015Float8_e5m2fnuzES4_bNS0_12_GLOBAL__N_116CompareEqFunctorIS4_EEEESt5arrayIPcLm2EEEEviT0_T1_.num_agpr, max(0, .L_ZN2at6native25elementwise_kernel_helperILb0ENS0_13AUnaryFunctorIN3c1015Float8_e5m2fnuzES4_bNS0_12_GLOBAL__N_116CompareEqFunctorIS4_EEEENS0_6memory8policies11unroll_baseILi256ESt5arrayIPcLm2EE23TrivialOffsetCalculatorILi1EjESG_NS9_15LoadWithoutCastENS9_16StoreWithoutCastELi16ELi1EEEEEvT0_T1_.num_agpr)
	.set _ZN2at6native29vectorized_elementwise_kernelILi4ENS0_13AUnaryFunctorIN3c1015Float8_e5m2fnuzES4_bNS0_12_GLOBAL__N_116CompareEqFunctorIS4_EEEESt5arrayIPcLm2EEEEviT0_T1_.numbered_sgpr, max(56, .L_ZN2at6native25elementwise_kernel_helperILb0ENS0_13AUnaryFunctorIN3c1015Float8_e5m2fnuzES4_bNS0_12_GLOBAL__N_116CompareEqFunctorIS4_EEEENS0_6memory8policies11unroll_baseILi256ESt5arrayIPcLm2EE23TrivialOffsetCalculatorILi1EjESG_NS9_15LoadWithoutCastENS9_16StoreWithoutCastELi16ELi1EEEEEvT0_T1_.numbered_sgpr)
	.set _ZN2at6native29vectorized_elementwise_kernelILi4ENS0_13AUnaryFunctorIN3c1015Float8_e5m2fnuzES4_bNS0_12_GLOBAL__N_116CompareEqFunctorIS4_EEEESt5arrayIPcLm2EEEEviT0_T1_.num_named_barrier, max(0, .L_ZN2at6native25elementwise_kernel_helperILb0ENS0_13AUnaryFunctorIN3c1015Float8_e5m2fnuzES4_bNS0_12_GLOBAL__N_116CompareEqFunctorIS4_EEEENS0_6memory8policies11unroll_baseILi256ESt5arrayIPcLm2EE23TrivialOffsetCalculatorILi1EjESG_NS9_15LoadWithoutCastENS9_16StoreWithoutCastELi16ELi1EEEEEvT0_T1_.num_named_barrier)
	.set _ZN2at6native29vectorized_elementwise_kernelILi4ENS0_13AUnaryFunctorIN3c1015Float8_e5m2fnuzES4_bNS0_12_GLOBAL__N_116CompareEqFunctorIS4_EEEESt5arrayIPcLm2EEEEviT0_T1_.private_seg_size, 0+max(.L_ZN2at6native25elementwise_kernel_helperILb0ENS0_13AUnaryFunctorIN3c1015Float8_e5m2fnuzES4_bNS0_12_GLOBAL__N_116CompareEqFunctorIS4_EEEENS0_6memory8policies11unroll_baseILi256ESt5arrayIPcLm2EE23TrivialOffsetCalculatorILi1EjESG_NS9_15LoadWithoutCastENS9_16StoreWithoutCastELi16ELi1EEEEEvT0_T1_.private_seg_size)
	.set _ZN2at6native29vectorized_elementwise_kernelILi4ENS0_13AUnaryFunctorIN3c1015Float8_e5m2fnuzES4_bNS0_12_GLOBAL__N_116CompareEqFunctorIS4_EEEESt5arrayIPcLm2EEEEviT0_T1_.uses_vcc, or(1, .L_ZN2at6native25elementwise_kernel_helperILb0ENS0_13AUnaryFunctorIN3c1015Float8_e5m2fnuzES4_bNS0_12_GLOBAL__N_116CompareEqFunctorIS4_EEEENS0_6memory8policies11unroll_baseILi256ESt5arrayIPcLm2EE23TrivialOffsetCalculatorILi1EjESG_NS9_15LoadWithoutCastENS9_16StoreWithoutCastELi16ELi1EEEEEvT0_T1_.uses_vcc)
	.set _ZN2at6native29vectorized_elementwise_kernelILi4ENS0_13AUnaryFunctorIN3c1015Float8_e5m2fnuzES4_bNS0_12_GLOBAL__N_116CompareEqFunctorIS4_EEEESt5arrayIPcLm2EEEEviT0_T1_.uses_flat_scratch, or(0, .L_ZN2at6native25elementwise_kernel_helperILb0ENS0_13AUnaryFunctorIN3c1015Float8_e5m2fnuzES4_bNS0_12_GLOBAL__N_116CompareEqFunctorIS4_EEEENS0_6memory8policies11unroll_baseILi256ESt5arrayIPcLm2EE23TrivialOffsetCalculatorILi1EjESG_NS9_15LoadWithoutCastENS9_16StoreWithoutCastELi16ELi1EEEEEvT0_T1_.uses_flat_scratch)
	.set _ZN2at6native29vectorized_elementwise_kernelILi4ENS0_13AUnaryFunctorIN3c1015Float8_e5m2fnuzES4_bNS0_12_GLOBAL__N_116CompareEqFunctorIS4_EEEESt5arrayIPcLm2EEEEviT0_T1_.has_dyn_sized_stack, or(0, .L_ZN2at6native25elementwise_kernel_helperILb0ENS0_13AUnaryFunctorIN3c1015Float8_e5m2fnuzES4_bNS0_12_GLOBAL__N_116CompareEqFunctorIS4_EEEENS0_6memory8policies11unroll_baseILi256ESt5arrayIPcLm2EE23TrivialOffsetCalculatorILi1EjESG_NS9_15LoadWithoutCastENS9_16StoreWithoutCastELi16ELi1EEEEEvT0_T1_.has_dyn_sized_stack)
	.set _ZN2at6native29vectorized_elementwise_kernelILi4ENS0_13AUnaryFunctorIN3c1015Float8_e5m2fnuzES4_bNS0_12_GLOBAL__N_116CompareEqFunctorIS4_EEEESt5arrayIPcLm2EEEEviT0_T1_.has_recursion, or(0, .L_ZN2at6native25elementwise_kernel_helperILb0ENS0_13AUnaryFunctorIN3c1015Float8_e5m2fnuzES4_bNS0_12_GLOBAL__N_116CompareEqFunctorIS4_EEEENS0_6memory8policies11unroll_baseILi256ESt5arrayIPcLm2EE23TrivialOffsetCalculatorILi1EjESG_NS9_15LoadWithoutCastENS9_16StoreWithoutCastELi16ELi1EEEEEvT0_T1_.has_recursion)
	.set _ZN2at6native29vectorized_elementwise_kernelILi4ENS0_13AUnaryFunctorIN3c1015Float8_e5m2fnuzES4_bNS0_12_GLOBAL__N_116CompareEqFunctorIS4_EEEESt5arrayIPcLm2EEEEviT0_T1_.has_indirect_call, or(0, .L_ZN2at6native25elementwise_kernel_helperILb0ENS0_13AUnaryFunctorIN3c1015Float8_e5m2fnuzES4_bNS0_12_GLOBAL__N_116CompareEqFunctorIS4_EEEENS0_6memory8policies11unroll_baseILi256ESt5arrayIPcLm2EE23TrivialOffsetCalculatorILi1EjESG_NS9_15LoadWithoutCastENS9_16StoreWithoutCastELi16ELi1EEEEEvT0_T1_.has_indirect_call)
	.section	.AMDGPU.csdata,"",@progbits
; Kernel info:
; codeLenInByte = 12412
; TotalNumSgprs: 61
; NumVgprs: 32
; ScratchSize: 0
; MemoryBound: 0
; FloatMode: 240
; IeeeMode: 1
; LDSByteSize: 0 bytes/workgroup (compile time only)
; SGPRBlocks: 7
; VGPRBlocks: 7
; NumSGPRsForWavesPerEU: 61
; NumVGPRsForWavesPerEU: 32
; Occupancy: 8
; WaveLimiterHint : 1
; COMPUTE_PGM_RSRC2:SCRATCH_EN: 0
; COMPUTE_PGM_RSRC2:USER_SGPR: 6
; COMPUTE_PGM_RSRC2:TRAP_HANDLER: 0
; COMPUTE_PGM_RSRC2:TGID_X_EN: 1
; COMPUTE_PGM_RSRC2:TGID_Y_EN: 0
; COMPUTE_PGM_RSRC2:TGID_Z_EN: 0
; COMPUTE_PGM_RSRC2:TIDIG_COMP_CNT: 0
	.section	.text._ZN2at6native29vectorized_elementwise_kernelILi2ENS0_13AUnaryFunctorIN3c1015Float8_e5m2fnuzES4_bNS0_12_GLOBAL__N_116CompareEqFunctorIS4_EEEESt5arrayIPcLm2EEEEviT0_T1_,"axG",@progbits,_ZN2at6native29vectorized_elementwise_kernelILi2ENS0_13AUnaryFunctorIN3c1015Float8_e5m2fnuzES4_bNS0_12_GLOBAL__N_116CompareEqFunctorIS4_EEEESt5arrayIPcLm2EEEEviT0_T1_,comdat
	.globl	_ZN2at6native29vectorized_elementwise_kernelILi2ENS0_13AUnaryFunctorIN3c1015Float8_e5m2fnuzES4_bNS0_12_GLOBAL__N_116CompareEqFunctorIS4_EEEESt5arrayIPcLm2EEEEviT0_T1_ ; -- Begin function _ZN2at6native29vectorized_elementwise_kernelILi2ENS0_13AUnaryFunctorIN3c1015Float8_e5m2fnuzES4_bNS0_12_GLOBAL__N_116CompareEqFunctorIS4_EEEESt5arrayIPcLm2EEEEviT0_T1_
	.p2align	8
	.type	_ZN2at6native29vectorized_elementwise_kernelILi2ENS0_13AUnaryFunctorIN3c1015Float8_e5m2fnuzES4_bNS0_12_GLOBAL__N_116CompareEqFunctorIS4_EEEESt5arrayIPcLm2EEEEviT0_T1_,@function
_ZN2at6native29vectorized_elementwise_kernelILi2ENS0_13AUnaryFunctorIN3c1015Float8_e5m2fnuzES4_bNS0_12_GLOBAL__N_116CompareEqFunctorIS4_EEEESt5arrayIPcLm2EEEEviT0_T1_: ; @_ZN2at6native29vectorized_elementwise_kernelILi2ENS0_13AUnaryFunctorIN3c1015Float8_e5m2fnuzES4_bNS0_12_GLOBAL__N_116CompareEqFunctorIS4_EEEESt5arrayIPcLm2EEEEviT0_T1_
; %bb.0:
	s_load_dwordx8 s[12:19], s[4:5], 0x0
	s_add_u32 s0, s0, s7
	s_addc_u32 s1, s1, 0
	s_waitcnt lgkmcnt(0)
	s_lshl_b32 s15, s6, 12
	s_mov_b64 s[4:5], -1
	s_sub_i32 s7, s12, s15
	s_cmpk_gt_i32 s7, 0xfff
	s_mov_b32 s32, 0
	s_cbranch_scc1 .LBB259_3
; %bb.1:
	s_and_b64 vcc, exec, s[4:5]
	s_cbranch_vccnz .LBB259_576
.LBB259_2:
	s_endpgm
.LBB259_3:
	s_ashr_i32 s12, s15, 31
	s_add_u32 s4, s18, s15
	s_addc_u32 s5, s19, s12
	v_lshlrev_b32_e32 v1, 1, v0
	global_load_ushort v9, v1, s[4:5]
	global_load_ushort v8, v1, s[4:5] offset:512
	global_load_ushort v7, v1, s[4:5] offset:1024
	;; [unrolled: 1-line block ×7, first 2 shown]
	s_cmp_lg_u32 s13, 0
	s_cselect_b64 s[10:11], -1, 0
	s_and_b32 s4, s14, 3
	s_flbit_i32_b32 s8, s4
	s_min_u32 s8, s8, 32
	s_sub_i32 s9, s8, 29
	s_lshl_b32 s9, s14, s9
	s_bfe_u32 s5, s14, 0x50002
	s_sub_i32 s8, 30, s8
	s_and_b32 s9, s9, 3
	s_cmp_eq_u32 s5, 0
	s_cselect_b32 s5, s8, s5
	s_cselect_b32 s4, s9, s4
	s_lshl_b32 s8, s14, 24
	s_lshl_b32 s5, s5, 23
	s_and_b32 s8, s8, 0x80000000
	s_add_i32 s5, s5, 0x37800000
	s_lshl_b32 s4, s4, 21
	s_or_b32 s5, s8, s5
	s_or_b32 s33, s5, s4
	s_and_b64 vcc, exec, s[10:11]
	s_cbranch_vccz .LBB259_8
; %bb.4:
	s_and_b32 s20, s14, 0xff
	s_cmpk_lt_i32 s20, 0x80
	s_cbranch_scc1 .LBB259_9
; %bb.5:
	s_and_b32 s4, 0xffff, s20
	s_cmpk_eq_i32 s4, 0x80
	s_mov_b64 s[4:5], -1
	s_cbranch_scc0 .LBB259_7
; %bb.6:
	s_mov_b64 s[4:5], 0
.LBB259_7:
	s_mov_b32 s22, 0x7f800001
	s_branch .LBB259_11
.LBB259_8:
                                        ; implicit-def: $sgpr8_sgpr9
	s_cbranch_execnz .LBB259_18
	s_branch .LBB259_35
.LBB259_9:
	s_mov_b64 s[4:5], 0
	s_mov_b32 s22, 0x7f800001
	s_cbranch_execz .LBB259_11
; %bb.10:
	s_and_b32 s4, 0xffff, s20
	s_cmp_lg_u32 s4, 0
	s_mov_b32 s22, 0
	s_cselect_b64 s[4:5], -1, 0
.LBB259_11:
	s_andn2_b64 vcc, exec, s[4:5]
	s_cbranch_vccnz .LBB259_13
; %bb.12:
	s_mov_b32 s22, s33
.LBB259_13:
	s_movk_i32 s4, 0x7f
	s_waitcnt vmcnt(7)
	v_cmp_gt_i16_sdwa s[8:9], v9, s4 src0_sel:BYTE_0 src1_sel:DWORD
	s_mov_b64 s[4:5], 0
	s_and_saveexec_b64 s[20:21], s[8:9]
	s_xor_b64 s[8:9], exec, s[20:21]
	s_cbranch_execnz .LBB259_22
; %bb.14:
	s_or_saveexec_b64 s[8:9], s[8:9]
	v_mov_b32_e32 v10, 0x7f800001
	s_xor_b64 exec, exec, s[8:9]
	s_cbranch_execnz .LBB259_25
.LBB259_15:
	s_or_b64 exec, exec, s[8:9]
	s_and_saveexec_b64 s[8:9], s[4:5]
	s_cbranch_execz .LBB259_17
.LBB259_16:
	s_mov_b32 s4, 0xffff
	v_and_b32_sdwa v10, s4, v9 dst_sel:DWORD dst_unused:UNUSED_PAD src0_sel:DWORD src1_sel:BYTE_0
	v_and_b32_e32 v11, 3, v10
	v_ffbh_u32_e32 v13, v11
	v_min_u32_e32 v13, 32, v13
	v_subrev_u32_e32 v14, 29, v13
	v_bfe_u32 v12, v10, 2, 5
	v_lshlrev_b32_e32 v10, v14, v10
	v_sub_u32_e32 v13, 30, v13
	v_and_b32_e32 v10, 3, v10
	v_cmp_eq_u32_e32 vcc, 0, v12
	v_cndmask_b32_e32 v12, v12, v13, vcc
	v_cndmask_b32_e32 v10, v11, v10, vcc
	v_lshlrev_b32_e32 v11, 24, v9
	v_mov_b32_e32 v13, 0x37800000
	v_lshlrev_b32_e32 v10, 21, v10
	v_and_b32_e32 v11, 0x80000000, v11
	v_lshl_add_u32 v12, v12, 23, v13
	v_or3_b32 v10, v11, v12, v10
.LBB259_17:
	s_or_b64 exec, exec, s[8:9]
	v_cmp_neq_f32_e64 s[8:9], s22, v10
	s_branch .LBB259_35
.LBB259_18:
	s_and_b32 s20, s14, 0xff
	s_cmpk_lt_i32 s20, 0x80
	s_cbranch_scc1 .LBB259_26
; %bb.19:
	s_and_b32 s4, 0xffff, s20
	s_cmpk_eq_i32 s4, 0x80
	s_mov_b64 s[4:5], -1
	s_cbranch_scc0 .LBB259_21
; %bb.20:
	s_mov_b64 s[4:5], 0
.LBB259_21:
	s_mov_b32 s22, 0x7f800001
	s_branch .LBB259_28
.LBB259_22:
	s_movk_i32 s4, 0x80
	v_cmp_eq_u16_sdwa s[24:25], v9, s4 src0_sel:BYTE_0 src1_sel:DWORD
	s_mov_b64 s[4:5], -1
	s_and_saveexec_b64 s[20:21], s[24:25]
; %bb.23:
	s_xor_b64 s[4:5], exec, -1
; %bb.24:
	s_or_b64 exec, exec, s[20:21]
	s_and_b64 s[4:5], s[4:5], exec
	s_or_saveexec_b64 s[8:9], s[8:9]
	v_mov_b32_e32 v10, 0x7f800001
	s_xor_b64 exec, exec, s[8:9]
	s_cbranch_execz .LBB259_15
.LBB259_25:
	v_mov_b32_e32 v10, 0
	v_cmp_ne_u16_sdwa s[20:21], v9, v10 src0_sel:BYTE_0 src1_sel:DWORD
	s_andn2_b64 s[4:5], s[4:5], exec
	s_and_b64 s[20:21], s[20:21], exec
	s_or_b64 s[4:5], s[4:5], s[20:21]
	s_or_b64 exec, exec, s[8:9]
	s_and_saveexec_b64 s[8:9], s[4:5]
	s_cbranch_execnz .LBB259_16
	s_branch .LBB259_17
.LBB259_26:
	s_mov_b64 s[4:5], 0
	s_mov_b32 s22, 0x7f800001
	s_cbranch_execz .LBB259_28
; %bb.27:
	s_and_b32 s4, 0xffff, s20
	s_cmp_lg_u32 s4, 0
	s_mov_b32 s22, 0
	s_cselect_b64 s[4:5], -1, 0
.LBB259_28:
	s_andn2_b64 vcc, exec, s[4:5]
	s_cbranch_vccnz .LBB259_30
; %bb.29:
	s_mov_b32 s22, s33
.LBB259_30:
	s_movk_i32 s4, 0x7f
	s_waitcnt vmcnt(7)
	v_cmp_gt_i16_sdwa s[8:9], v9, s4 src0_sel:BYTE_0 src1_sel:DWORD
	s_mov_b64 s[4:5], 0
	s_and_saveexec_b64 s[20:21], s[8:9]
	s_xor_b64 s[8:9], exec, s[20:21]
	s_cbranch_execnz .LBB259_310
; %bb.31:
	s_or_saveexec_b64 s[8:9], s[8:9]
	v_mov_b32_e32 v10, 0x7f800001
	s_xor_b64 exec, exec, s[8:9]
	s_cbranch_execnz .LBB259_313
.LBB259_32:
	s_or_b64 exec, exec, s[8:9]
	s_and_saveexec_b64 s[8:9], s[4:5]
	s_cbranch_execz .LBB259_34
.LBB259_33:
	s_mov_b32 s4, 0xffff
	v_and_b32_sdwa v10, s4, v9 dst_sel:DWORD dst_unused:UNUSED_PAD src0_sel:DWORD src1_sel:BYTE_0
	v_and_b32_e32 v11, 3, v10
	v_ffbh_u32_e32 v13, v11
	v_min_u32_e32 v13, 32, v13
	v_subrev_u32_e32 v14, 29, v13
	v_bfe_u32 v12, v10, 2, 5
	v_lshlrev_b32_e32 v10, v14, v10
	v_sub_u32_e32 v13, 30, v13
	v_and_b32_e32 v10, 3, v10
	v_cmp_eq_u32_e32 vcc, 0, v12
	v_cndmask_b32_e32 v12, v12, v13, vcc
	v_cndmask_b32_e32 v10, v11, v10, vcc
	v_lshlrev_b32_e32 v11, 24, v9
	v_mov_b32_e32 v13, 0x37800000
	v_lshlrev_b32_e32 v10, 21, v10
	v_and_b32_e32 v11, 0x80000000, v11
	v_lshl_add_u32 v12, v12, 23, v13
	v_or3_b32 v10, v11, v12, v10
.LBB259_34:
	s_or_b64 exec, exec, s[8:9]
	v_cmp_eq_f32_e64 s[8:9], s22, v10
.LBB259_35:
	v_cndmask_b32_e64 v10, 0, 1, s[10:11]
	v_cmp_ne_u32_e64 s[4:5], 1, v10
	s_andn2_b64 vcc, exec, s[10:11]
	s_waitcnt vmcnt(7)
	v_lshrrev_b16_e32 v10, 8, v9
	s_cbranch_vccnz .LBB259_40
; %bb.36:
	s_and_b32 s22, s14, 0xff
	s_cmpk_lt_i32 s22, 0x80
	s_cbranch_scc1 .LBB259_46
; %bb.37:
	s_and_b32 s10, 0xffff, s22
	s_cmpk_eq_i32 s10, 0x80
	s_mov_b64 s[10:11], -1
	s_cbranch_scc0 .LBB259_39
; %bb.38:
	s_mov_b64 s[10:11], 0
.LBB259_39:
	s_mov_b32 s24, 0x7f800001
	s_branch .LBB259_48
.LBB259_40:
                                        ; implicit-def: $sgpr10_sgpr11
	s_cbranch_execnz .LBB259_55
.LBB259_41:
	s_and_b64 vcc, exec, s[4:5]
	s_cbranch_vccnz .LBB259_323
.LBB259_42:
	s_and_b32 s24, s14, 0xff
	s_cmpk_lt_i32 s24, 0x80
	s_cbranch_scc1 .LBB259_59
; %bb.43:
	s_and_b32 s20, 0xffff, s24
	s_cmpk_eq_i32 s20, 0x80
	s_mov_b64 s[20:21], -1
	s_cbranch_scc0 .LBB259_45
; %bb.44:
	s_mov_b64 s[20:21], 0
.LBB259_45:
	s_mov_b32 s26, 0x7f800001
	s_branch .LBB259_61
.LBB259_46:
	s_mov_b64 s[10:11], 0
	s_mov_b32 s24, 0x7f800001
	s_cbranch_execz .LBB259_48
; %bb.47:
	s_and_b32 s10, 0xffff, s22
	s_cmp_lg_u32 s10, 0
	s_mov_b32 s24, 0
	s_cselect_b64 s[10:11], -1, 0
.LBB259_48:
	s_andn2_b64 vcc, exec, s[10:11]
	s_cbranch_vccnz .LBB259_50
; %bb.49:
	s_mov_b32 s24, s33
.LBB259_50:
	s_movk_i32 s10, 0x7f
	v_cmp_gt_i16_sdwa s[20:21], v9, s10 src0_sel:BYTE_1 src1_sel:DWORD
	s_mov_b64 s[10:11], 0
	s_and_saveexec_b64 s[22:23], s[20:21]
	s_xor_b64 s[20:21], exec, s[22:23]
	s_cbranch_execnz .LBB259_73
; %bb.51:
	s_or_saveexec_b64 s[20:21], s[20:21]
	v_mov_b32_e32 v11, 0x7f800001
	s_xor_b64 exec, exec, s[20:21]
	s_cbranch_execnz .LBB259_76
.LBB259_52:
	s_or_b64 exec, exec, s[20:21]
	s_and_saveexec_b64 s[20:21], s[10:11]
	s_cbranch_execz .LBB259_54
.LBB259_53:
	v_and_b32_e32 v11, 3, v10
	v_ffbh_u32_e32 v13, v11
	v_min_u32_e32 v13, 32, v13
	v_subrev_u32_e32 v14, 29, v13
	v_bfe_u32 v12, v10, 2, 5
	v_lshlrev_b32_e32 v14, v14, v10
	v_sub_u32_e32 v13, 30, v13
	v_and_b32_e32 v14, 3, v14
	v_cmp_eq_u32_e32 vcc, 0, v12
	v_cndmask_b32_e32 v12, v12, v13, vcc
	v_cndmask_b32_e32 v11, v11, v14, vcc
	v_lshlrev_b32_e32 v13, 16, v9
	v_mov_b32_e32 v14, 0x37800000
	v_lshlrev_b32_e32 v11, 21, v11
	v_and_b32_e32 v13, 0x80000000, v13
	v_lshl_add_u32 v12, v12, 23, v14
	v_or3_b32 v11, v13, v12, v11
.LBB259_54:
	s_or_b64 exec, exec, s[20:21]
	v_cmp_neq_f32_e64 s[10:11], s24, v11
	s_branch .LBB259_41
.LBB259_55:
	s_and_b32 s22, s14, 0xff
	s_cmpk_lt_i32 s22, 0x80
	s_cbranch_scc1 .LBB259_314
; %bb.56:
	s_and_b32 s10, 0xffff, s22
	s_cmpk_eq_i32 s10, 0x80
	s_mov_b64 s[10:11], -1
	s_cbranch_scc0 .LBB259_58
; %bb.57:
	s_mov_b64 s[10:11], 0
.LBB259_58:
	s_mov_b32 s24, 0x7f800001
	s_branch .LBB259_316
.LBB259_59:
	s_mov_b64 s[20:21], 0
	s_mov_b32 s26, 0x7f800001
	s_cbranch_execz .LBB259_61
; %bb.60:
	s_and_b32 s20, 0xffff, s24
	s_cmp_lg_u32 s20, 0
	s_mov_b32 s26, 0
	s_cselect_b64 s[20:21], -1, 0
.LBB259_61:
	s_andn2_b64 vcc, exec, s[20:21]
	s_cbranch_vccnz .LBB259_63
; %bb.62:
	s_mov_b32 s26, s33
.LBB259_63:
	s_movk_i32 s20, 0x7f
	s_waitcnt vmcnt(6)
	v_cmp_gt_i16_sdwa s[22:23], v8, s20 src0_sel:BYTE_0 src1_sel:DWORD
	s_mov_b64 s[20:21], 0
	s_and_saveexec_b64 s[24:25], s[22:23]
	s_xor_b64 s[22:23], exec, s[24:25]
	s_cbranch_execnz .LBB259_77
; %bb.64:
	s_or_saveexec_b64 s[22:23], s[22:23]
	v_mov_b32_e32 v9, 0x7f800001
	s_xor_b64 exec, exec, s[22:23]
	s_cbranch_execnz .LBB259_80
.LBB259_65:
	s_or_b64 exec, exec, s[22:23]
	s_and_saveexec_b64 s[22:23], s[20:21]
	s_cbranch_execz .LBB259_67
.LBB259_66:
	s_mov_b32 s20, 0xffff
	v_and_b32_sdwa v9, s20, v8 dst_sel:DWORD dst_unused:UNUSED_PAD src0_sel:DWORD src1_sel:BYTE_0
	v_and_b32_e32 v10, 3, v9
	v_ffbh_u32_e32 v12, v10
	v_min_u32_e32 v12, 32, v12
	v_subrev_u32_e32 v13, 29, v12
	v_bfe_u32 v11, v9, 2, 5
	v_lshlrev_b32_e32 v9, v13, v9
	v_sub_u32_e32 v12, 30, v12
	v_and_b32_e32 v9, 3, v9
	v_cmp_eq_u32_e32 vcc, 0, v11
	v_cndmask_b32_e32 v11, v11, v12, vcc
	v_cndmask_b32_e32 v9, v10, v9, vcc
	v_lshlrev_b32_e32 v10, 24, v8
	v_mov_b32_e32 v12, 0x37800000
	v_lshlrev_b32_e32 v9, 21, v9
	v_and_b32_e32 v10, 0x80000000, v10
	v_lshl_add_u32 v11, v11, 23, v12
	v_or3_b32 v9, v10, v11, v9
.LBB259_67:
	s_or_b64 exec, exec, s[22:23]
	v_cmp_neq_f32_e64 s[20:21], s26, v9
.LBB259_68:
	s_and_b64 vcc, exec, s[4:5]
	s_waitcnt vmcnt(6)
	v_lshrrev_b16_e32 v9, 8, v8
	s_cbranch_vccnz .LBB259_341
.LBB259_69:
	s_and_b32 s26, s14, 0xff
	s_cmpk_lt_i32 s26, 0x80
	s_cbranch_scc1 .LBB259_81
; %bb.70:
	s_and_b32 s22, 0xffff, s26
	s_cmpk_eq_i32 s22, 0x80
	s_mov_b64 s[22:23], -1
	s_cbranch_scc0 .LBB259_72
; %bb.71:
	s_mov_b64 s[22:23], 0
.LBB259_72:
	s_mov_b32 s28, 0x7f800001
	s_branch .LBB259_83
.LBB259_73:
	s_movk_i32 s10, 0x80
	v_cmp_eq_u16_sdwa s[26:27], v9, s10 src0_sel:BYTE_1 src1_sel:DWORD
	s_mov_b64 s[10:11], -1
	s_and_saveexec_b64 s[22:23], s[26:27]
; %bb.74:
	s_xor_b64 s[10:11], exec, -1
; %bb.75:
	s_or_b64 exec, exec, s[22:23]
	s_and_b64 s[10:11], s[10:11], exec
	s_or_saveexec_b64 s[20:21], s[20:21]
	v_mov_b32_e32 v11, 0x7f800001
	s_xor_b64 exec, exec, s[20:21]
	s_cbranch_execz .LBB259_52
.LBB259_76:
	v_mov_b32_e32 v11, 0
	v_cmp_ne_u16_sdwa s[22:23], v9, v11 src0_sel:BYTE_1 src1_sel:DWORD
	s_andn2_b64 s[10:11], s[10:11], exec
	s_and_b64 s[22:23], s[22:23], exec
	s_or_b64 s[10:11], s[10:11], s[22:23]
	s_or_b64 exec, exec, s[20:21]
	s_and_saveexec_b64 s[20:21], s[10:11]
	s_cbranch_execnz .LBB259_53
	s_branch .LBB259_54
.LBB259_77:
	s_movk_i32 s20, 0x80
	v_cmp_eq_u16_sdwa s[28:29], v8, s20 src0_sel:BYTE_0 src1_sel:DWORD
	s_mov_b64 s[20:21], -1
	s_and_saveexec_b64 s[24:25], s[28:29]
; %bb.78:
	s_xor_b64 s[20:21], exec, -1
; %bb.79:
	s_or_b64 exec, exec, s[24:25]
	s_and_b64 s[20:21], s[20:21], exec
	s_or_saveexec_b64 s[22:23], s[22:23]
	v_mov_b32_e32 v9, 0x7f800001
	s_xor_b64 exec, exec, s[22:23]
	s_cbranch_execz .LBB259_65
.LBB259_80:
	v_mov_b32_e32 v9, 0
	v_cmp_ne_u16_sdwa s[24:25], v8, v9 src0_sel:BYTE_0 src1_sel:DWORD
	s_andn2_b64 s[20:21], s[20:21], exec
	s_and_b64 s[24:25], s[24:25], exec
	s_or_b64 s[20:21], s[20:21], s[24:25]
	s_or_b64 exec, exec, s[22:23]
	s_and_saveexec_b64 s[22:23], s[20:21]
	s_cbranch_execnz .LBB259_66
	s_branch .LBB259_67
.LBB259_81:
	s_mov_b64 s[22:23], 0
	s_mov_b32 s28, 0x7f800001
	s_cbranch_execz .LBB259_83
; %bb.82:
	s_and_b32 s22, 0xffff, s26
	s_cmp_lg_u32 s22, 0
	s_mov_b32 s28, 0
	s_cselect_b64 s[22:23], -1, 0
.LBB259_83:
	s_andn2_b64 vcc, exec, s[22:23]
	s_cbranch_vccnz .LBB259_85
; %bb.84:
	s_mov_b32 s28, s33
.LBB259_85:
	s_movk_i32 s22, 0x7f
	v_cmp_gt_i16_sdwa s[24:25], v8, s22 src0_sel:BYTE_1 src1_sel:DWORD
	s_mov_b64 s[22:23], 0
	s_and_saveexec_b64 s[26:27], s[24:25]
	s_xor_b64 s[24:25], exec, s[26:27]
	s_cbranch_execnz .LBB259_95
; %bb.86:
	s_or_saveexec_b64 s[24:25], s[24:25]
	v_mov_b32_e32 v10, 0x7f800001
	s_xor_b64 exec, exec, s[24:25]
	s_cbranch_execnz .LBB259_98
.LBB259_87:
	s_or_b64 exec, exec, s[24:25]
	s_and_saveexec_b64 s[24:25], s[22:23]
	s_cbranch_execz .LBB259_89
.LBB259_88:
	v_and_b32_e32 v10, 3, v9
	v_ffbh_u32_e32 v12, v10
	v_min_u32_e32 v12, 32, v12
	v_subrev_u32_e32 v13, 29, v12
	v_bfe_u32 v11, v9, 2, 5
	v_lshlrev_b32_e32 v13, v13, v9
	v_sub_u32_e32 v12, 30, v12
	v_and_b32_e32 v13, 3, v13
	v_cmp_eq_u32_e32 vcc, 0, v11
	v_cndmask_b32_e32 v11, v11, v12, vcc
	v_cndmask_b32_e32 v10, v10, v13, vcc
	v_lshlrev_b32_e32 v12, 16, v8
	v_mov_b32_e32 v13, 0x37800000
	v_lshlrev_b32_e32 v10, 21, v10
	v_and_b32_e32 v12, 0x80000000, v12
	v_lshl_add_u32 v11, v11, 23, v13
	v_or3_b32 v10, v12, v11, v10
.LBB259_89:
	s_or_b64 exec, exec, s[24:25]
	v_cmp_neq_f32_e64 s[22:23], s28, v10
.LBB259_90:
	s_and_b64 vcc, exec, s[4:5]
	s_cbranch_vccnz .LBB259_359
.LBB259_91:
	s_and_b32 s28, s14, 0xff
	s_cmpk_lt_i32 s28, 0x80
	s_cbranch_scc1 .LBB259_99
; %bb.92:
	s_and_b32 s24, 0xffff, s28
	s_cmpk_eq_i32 s24, 0x80
	s_mov_b64 s[24:25], -1
	s_cbranch_scc0 .LBB259_94
; %bb.93:
	s_mov_b64 s[24:25], 0
.LBB259_94:
	s_mov_b32 s30, 0x7f800001
	s_branch .LBB259_101
.LBB259_95:
	s_movk_i32 s22, 0x80
	v_cmp_eq_u16_sdwa s[30:31], v8, s22 src0_sel:BYTE_1 src1_sel:DWORD
	s_mov_b64 s[22:23], -1
	s_and_saveexec_b64 s[26:27], s[30:31]
; %bb.96:
	s_xor_b64 s[22:23], exec, -1
; %bb.97:
	s_or_b64 exec, exec, s[26:27]
	s_and_b64 s[22:23], s[22:23], exec
	s_or_saveexec_b64 s[24:25], s[24:25]
	v_mov_b32_e32 v10, 0x7f800001
	s_xor_b64 exec, exec, s[24:25]
	s_cbranch_execz .LBB259_87
.LBB259_98:
	v_mov_b32_e32 v10, 0
	v_cmp_ne_u16_sdwa s[26:27], v8, v10 src0_sel:BYTE_1 src1_sel:DWORD
	s_andn2_b64 s[22:23], s[22:23], exec
	s_and_b64 s[26:27], s[26:27], exec
	s_or_b64 s[22:23], s[22:23], s[26:27]
	s_or_b64 exec, exec, s[24:25]
	s_and_saveexec_b64 s[24:25], s[22:23]
	s_cbranch_execnz .LBB259_88
	s_branch .LBB259_89
.LBB259_99:
	s_mov_b64 s[24:25], 0
	s_mov_b32 s30, 0x7f800001
	s_cbranch_execz .LBB259_101
; %bb.100:
	s_and_b32 s24, 0xffff, s28
	s_cmp_lg_u32 s24, 0
	s_mov_b32 s30, 0
	s_cselect_b64 s[24:25], -1, 0
.LBB259_101:
	s_andn2_b64 vcc, exec, s[24:25]
	s_cbranch_vccnz .LBB259_103
; %bb.102:
	s_mov_b32 s30, s33
.LBB259_103:
	s_movk_i32 s24, 0x7f
	s_waitcnt vmcnt(5)
	v_cmp_gt_i16_sdwa s[26:27], v7, s24 src0_sel:BYTE_0 src1_sel:DWORD
	s_mov_b64 s[24:25], 0
	s_and_saveexec_b64 s[28:29], s[26:27]
	s_xor_b64 s[26:27], exec, s[28:29]
	s_cbranch_execnz .LBB259_113
; %bb.104:
	s_or_saveexec_b64 s[26:27], s[26:27]
	v_mov_b32_e32 v8, 0x7f800001
	s_xor_b64 exec, exec, s[26:27]
	s_cbranch_execnz .LBB259_116
.LBB259_105:
	s_or_b64 exec, exec, s[26:27]
	s_and_saveexec_b64 s[26:27], s[24:25]
	s_cbranch_execz .LBB259_107
.LBB259_106:
	s_mov_b32 s24, 0xffff
	v_and_b32_sdwa v8, s24, v7 dst_sel:DWORD dst_unused:UNUSED_PAD src0_sel:DWORD src1_sel:BYTE_0
	v_and_b32_e32 v9, 3, v8
	v_ffbh_u32_e32 v11, v9
	v_min_u32_e32 v11, 32, v11
	v_subrev_u32_e32 v12, 29, v11
	v_bfe_u32 v10, v8, 2, 5
	v_lshlrev_b32_e32 v8, v12, v8
	v_sub_u32_e32 v11, 30, v11
	v_and_b32_e32 v8, 3, v8
	v_cmp_eq_u32_e32 vcc, 0, v10
	v_cndmask_b32_e32 v10, v10, v11, vcc
	v_cndmask_b32_e32 v8, v9, v8, vcc
	v_lshlrev_b32_e32 v9, 24, v7
	v_mov_b32_e32 v11, 0x37800000
	v_lshlrev_b32_e32 v8, 21, v8
	v_and_b32_e32 v9, 0x80000000, v9
	v_lshl_add_u32 v10, v10, 23, v11
	v_or3_b32 v8, v9, v10, v8
.LBB259_107:
	s_or_b64 exec, exec, s[26:27]
	v_cmp_neq_f32_e64 s[24:25], s30, v8
.LBB259_108:
	s_and_b64 vcc, exec, s[4:5]
	s_waitcnt vmcnt(5)
	v_lshrrev_b16_e32 v8, 8, v7
	s_cbranch_vccnz .LBB259_377
.LBB259_109:
	s_and_b32 s30, s14, 0xff
	s_cmpk_lt_i32 s30, 0x80
	s_cbranch_scc1 .LBB259_117
; %bb.110:
	s_and_b32 s26, 0xffff, s30
	s_cmpk_eq_i32 s26, 0x80
	s_mov_b64 s[26:27], -1
	s_cbranch_scc0 .LBB259_112
; %bb.111:
	s_mov_b64 s[26:27], 0
.LBB259_112:
	s_mov_b32 s34, 0x7f800001
	s_branch .LBB259_119
.LBB259_113:
	s_movk_i32 s24, 0x80
	v_cmp_eq_u16_sdwa s[34:35], v7, s24 src0_sel:BYTE_0 src1_sel:DWORD
	s_mov_b64 s[24:25], -1
	s_and_saveexec_b64 s[28:29], s[34:35]
; %bb.114:
	s_xor_b64 s[24:25], exec, -1
; %bb.115:
	s_or_b64 exec, exec, s[28:29]
	s_and_b64 s[24:25], s[24:25], exec
	s_or_saveexec_b64 s[26:27], s[26:27]
	v_mov_b32_e32 v8, 0x7f800001
	s_xor_b64 exec, exec, s[26:27]
	s_cbranch_execz .LBB259_105
.LBB259_116:
	v_mov_b32_e32 v8, 0
	v_cmp_ne_u16_sdwa s[28:29], v7, v8 src0_sel:BYTE_0 src1_sel:DWORD
	s_andn2_b64 s[24:25], s[24:25], exec
	s_and_b64 s[28:29], s[28:29], exec
	s_or_b64 s[24:25], s[24:25], s[28:29]
	s_or_b64 exec, exec, s[26:27]
	s_and_saveexec_b64 s[26:27], s[24:25]
	s_cbranch_execnz .LBB259_106
	s_branch .LBB259_107
.LBB259_117:
	s_mov_b64 s[26:27], 0
	s_mov_b32 s34, 0x7f800001
	s_cbranch_execz .LBB259_119
; %bb.118:
	s_and_b32 s26, 0xffff, s30
	s_cmp_lg_u32 s26, 0
	s_mov_b32 s34, 0
	s_cselect_b64 s[26:27], -1, 0
.LBB259_119:
	s_andn2_b64 vcc, exec, s[26:27]
	s_cbranch_vccnz .LBB259_121
; %bb.120:
	s_mov_b32 s34, s33
.LBB259_121:
	s_movk_i32 s26, 0x7f
	v_cmp_gt_i16_sdwa s[28:29], v7, s26 src0_sel:BYTE_1 src1_sel:DWORD
	s_mov_b64 s[26:27], 0
	s_and_saveexec_b64 s[30:31], s[28:29]
	s_xor_b64 s[28:29], exec, s[30:31]
	s_cbranch_execnz .LBB259_131
; %bb.122:
	s_or_saveexec_b64 s[28:29], s[28:29]
	v_mov_b32_e32 v9, 0x7f800001
	s_xor_b64 exec, exec, s[28:29]
	s_cbranch_execnz .LBB259_134
.LBB259_123:
	s_or_b64 exec, exec, s[28:29]
	s_and_saveexec_b64 s[28:29], s[26:27]
	s_cbranch_execz .LBB259_125
.LBB259_124:
	v_and_b32_e32 v9, 3, v8
	v_ffbh_u32_e32 v11, v9
	v_min_u32_e32 v11, 32, v11
	v_subrev_u32_e32 v12, 29, v11
	v_bfe_u32 v10, v8, 2, 5
	v_lshlrev_b32_e32 v12, v12, v8
	v_sub_u32_e32 v11, 30, v11
	v_and_b32_e32 v12, 3, v12
	v_cmp_eq_u32_e32 vcc, 0, v10
	v_cndmask_b32_e32 v10, v10, v11, vcc
	v_cndmask_b32_e32 v9, v9, v12, vcc
	v_lshlrev_b32_e32 v11, 16, v7
	v_mov_b32_e32 v12, 0x37800000
	v_lshlrev_b32_e32 v9, 21, v9
	v_and_b32_e32 v11, 0x80000000, v11
	v_lshl_add_u32 v10, v10, 23, v12
	v_or3_b32 v9, v11, v10, v9
.LBB259_125:
	s_or_b64 exec, exec, s[28:29]
	v_cmp_neq_f32_e64 s[26:27], s34, v9
.LBB259_126:
	s_and_b64 vcc, exec, s[4:5]
	s_cbranch_vccnz .LBB259_395
.LBB259_127:
	s_and_b32 s34, s14, 0xff
	s_cmpk_lt_i32 s34, 0x80
	s_cbranch_scc1 .LBB259_135
; %bb.128:
	s_and_b32 s28, 0xffff, s34
	s_cmpk_eq_i32 s28, 0x80
	s_mov_b64 s[28:29], -1
	s_cbranch_scc0 .LBB259_130
; %bb.129:
	s_mov_b64 s[28:29], 0
.LBB259_130:
	s_mov_b32 s36, 0x7f800001
	s_branch .LBB259_137
.LBB259_131:
	s_movk_i32 s26, 0x80
	v_cmp_eq_u16_sdwa s[36:37], v7, s26 src0_sel:BYTE_1 src1_sel:DWORD
	s_mov_b64 s[26:27], -1
	s_and_saveexec_b64 s[30:31], s[36:37]
; %bb.132:
	s_xor_b64 s[26:27], exec, -1
; %bb.133:
	s_or_b64 exec, exec, s[30:31]
	s_and_b64 s[26:27], s[26:27], exec
	s_or_saveexec_b64 s[28:29], s[28:29]
	v_mov_b32_e32 v9, 0x7f800001
	s_xor_b64 exec, exec, s[28:29]
	s_cbranch_execz .LBB259_123
.LBB259_134:
	v_mov_b32_e32 v9, 0
	v_cmp_ne_u16_sdwa s[30:31], v7, v9 src0_sel:BYTE_1 src1_sel:DWORD
	s_andn2_b64 s[26:27], s[26:27], exec
	s_and_b64 s[30:31], s[30:31], exec
	s_or_b64 s[26:27], s[26:27], s[30:31]
	s_or_b64 exec, exec, s[28:29]
	s_and_saveexec_b64 s[28:29], s[26:27]
	s_cbranch_execnz .LBB259_124
	s_branch .LBB259_125
.LBB259_135:
	s_mov_b64 s[28:29], 0
	s_mov_b32 s36, 0x7f800001
	s_cbranch_execz .LBB259_137
; %bb.136:
	s_and_b32 s28, 0xffff, s34
	s_cmp_lg_u32 s28, 0
	s_mov_b32 s36, 0
	s_cselect_b64 s[28:29], -1, 0
.LBB259_137:
	s_andn2_b64 vcc, exec, s[28:29]
	s_cbranch_vccnz .LBB259_139
; %bb.138:
	s_mov_b32 s36, s33
.LBB259_139:
	s_movk_i32 s28, 0x7f
	s_waitcnt vmcnt(4)
	v_cmp_gt_i16_sdwa s[30:31], v6, s28 src0_sel:BYTE_0 src1_sel:DWORD
	s_mov_b64 s[28:29], 0
	s_and_saveexec_b64 s[34:35], s[30:31]
	s_xor_b64 s[30:31], exec, s[34:35]
	s_cbranch_execnz .LBB259_149
; %bb.140:
	s_or_saveexec_b64 s[30:31], s[30:31]
	v_mov_b32_e32 v7, 0x7f800001
	s_xor_b64 exec, exec, s[30:31]
	s_cbranch_execnz .LBB259_152
.LBB259_141:
	s_or_b64 exec, exec, s[30:31]
	s_and_saveexec_b64 s[30:31], s[28:29]
	s_cbranch_execz .LBB259_143
.LBB259_142:
	s_mov_b32 s28, 0xffff
	v_and_b32_sdwa v7, s28, v6 dst_sel:DWORD dst_unused:UNUSED_PAD src0_sel:DWORD src1_sel:BYTE_0
	v_and_b32_e32 v8, 3, v7
	v_ffbh_u32_e32 v10, v8
	v_min_u32_e32 v10, 32, v10
	v_subrev_u32_e32 v11, 29, v10
	v_bfe_u32 v9, v7, 2, 5
	v_lshlrev_b32_e32 v7, v11, v7
	v_sub_u32_e32 v10, 30, v10
	v_and_b32_e32 v7, 3, v7
	v_cmp_eq_u32_e32 vcc, 0, v9
	v_cndmask_b32_e32 v9, v9, v10, vcc
	v_cndmask_b32_e32 v7, v8, v7, vcc
	v_lshlrev_b32_e32 v8, 24, v6
	v_mov_b32_e32 v10, 0x37800000
	v_lshlrev_b32_e32 v7, 21, v7
	v_and_b32_e32 v8, 0x80000000, v8
	v_lshl_add_u32 v9, v9, 23, v10
	v_or3_b32 v7, v8, v9, v7
.LBB259_143:
	s_or_b64 exec, exec, s[30:31]
	v_cmp_neq_f32_e64 s[28:29], s36, v7
.LBB259_144:
	s_and_b64 vcc, exec, s[4:5]
	s_waitcnt vmcnt(4)
	v_lshrrev_b16_e32 v7, 8, v6
	s_cbranch_vccnz .LBB259_413
.LBB259_145:
	s_and_b32 s36, s14, 0xff
	s_cmpk_lt_i32 s36, 0x80
	s_cbranch_scc1 .LBB259_153
; %bb.146:
	s_and_b32 s30, 0xffff, s36
	s_cmpk_eq_i32 s30, 0x80
	s_mov_b64 s[30:31], -1
	s_cbranch_scc0 .LBB259_148
; %bb.147:
	s_mov_b64 s[30:31], 0
.LBB259_148:
	s_mov_b32 s38, 0x7f800001
	s_branch .LBB259_155
.LBB259_149:
	s_movk_i32 s28, 0x80
	v_cmp_eq_u16_sdwa s[38:39], v6, s28 src0_sel:BYTE_0 src1_sel:DWORD
	s_mov_b64 s[28:29], -1
	s_and_saveexec_b64 s[34:35], s[38:39]
; %bb.150:
	s_xor_b64 s[28:29], exec, -1
; %bb.151:
	s_or_b64 exec, exec, s[34:35]
	s_and_b64 s[28:29], s[28:29], exec
	s_or_saveexec_b64 s[30:31], s[30:31]
	v_mov_b32_e32 v7, 0x7f800001
	s_xor_b64 exec, exec, s[30:31]
	s_cbranch_execz .LBB259_141
.LBB259_152:
	v_mov_b32_e32 v7, 0
	v_cmp_ne_u16_sdwa s[34:35], v6, v7 src0_sel:BYTE_0 src1_sel:DWORD
	s_andn2_b64 s[28:29], s[28:29], exec
	s_and_b64 s[34:35], s[34:35], exec
	s_or_b64 s[28:29], s[28:29], s[34:35]
	s_or_b64 exec, exec, s[30:31]
	s_and_saveexec_b64 s[30:31], s[28:29]
	s_cbranch_execnz .LBB259_142
	s_branch .LBB259_143
.LBB259_153:
	s_mov_b64 s[30:31], 0
	s_mov_b32 s38, 0x7f800001
	s_cbranch_execz .LBB259_155
; %bb.154:
	s_and_b32 s30, 0xffff, s36
	s_cmp_lg_u32 s30, 0
	s_mov_b32 s38, 0
	s_cselect_b64 s[30:31], -1, 0
.LBB259_155:
	s_andn2_b64 vcc, exec, s[30:31]
	s_cbranch_vccnz .LBB259_157
; %bb.156:
	s_mov_b32 s38, s33
.LBB259_157:
	s_movk_i32 s30, 0x7f
	v_cmp_gt_i16_sdwa s[34:35], v6, s30 src0_sel:BYTE_1 src1_sel:DWORD
	s_mov_b64 s[30:31], 0
	s_and_saveexec_b64 s[36:37], s[34:35]
	s_xor_b64 s[34:35], exec, s[36:37]
	s_cbranch_execnz .LBB259_167
; %bb.158:
	s_or_saveexec_b64 s[34:35], s[34:35]
	v_mov_b32_e32 v8, 0x7f800001
	s_xor_b64 exec, exec, s[34:35]
	s_cbranch_execnz .LBB259_170
.LBB259_159:
	s_or_b64 exec, exec, s[34:35]
	s_and_saveexec_b64 s[34:35], s[30:31]
	s_cbranch_execz .LBB259_161
.LBB259_160:
	v_and_b32_e32 v8, 3, v7
	v_ffbh_u32_e32 v10, v8
	v_min_u32_e32 v10, 32, v10
	v_subrev_u32_e32 v11, 29, v10
	v_bfe_u32 v9, v7, 2, 5
	v_lshlrev_b32_e32 v11, v11, v7
	v_sub_u32_e32 v10, 30, v10
	v_and_b32_e32 v11, 3, v11
	v_cmp_eq_u32_e32 vcc, 0, v9
	v_cndmask_b32_e32 v9, v9, v10, vcc
	v_cndmask_b32_e32 v8, v8, v11, vcc
	v_lshlrev_b32_e32 v10, 16, v6
	v_mov_b32_e32 v11, 0x37800000
	v_lshlrev_b32_e32 v8, 21, v8
	v_and_b32_e32 v10, 0x80000000, v10
	v_lshl_add_u32 v9, v9, 23, v11
	v_or3_b32 v8, v10, v9, v8
.LBB259_161:
	s_or_b64 exec, exec, s[34:35]
	v_cmp_neq_f32_e64 s[30:31], s38, v8
.LBB259_162:
	s_and_b64 vcc, exec, s[4:5]
	s_cbranch_vccnz .LBB259_431
.LBB259_163:
	s_and_b32 s38, s14, 0xff
	s_cmpk_lt_i32 s38, 0x80
	s_cbranch_scc1 .LBB259_171
; %bb.164:
	s_and_b32 s34, 0xffff, s38
	s_cmpk_eq_i32 s34, 0x80
	s_mov_b64 s[34:35], -1
	s_cbranch_scc0 .LBB259_166
; %bb.165:
	s_mov_b64 s[34:35], 0
.LBB259_166:
	s_mov_b32 s40, 0x7f800001
	s_branch .LBB259_173
.LBB259_167:
	s_movk_i32 s30, 0x80
	v_cmp_eq_u16_sdwa s[40:41], v6, s30 src0_sel:BYTE_1 src1_sel:DWORD
	s_mov_b64 s[30:31], -1
	s_and_saveexec_b64 s[36:37], s[40:41]
; %bb.168:
	s_xor_b64 s[30:31], exec, -1
; %bb.169:
	s_or_b64 exec, exec, s[36:37]
	s_and_b64 s[30:31], s[30:31], exec
	s_or_saveexec_b64 s[34:35], s[34:35]
	v_mov_b32_e32 v8, 0x7f800001
	s_xor_b64 exec, exec, s[34:35]
	s_cbranch_execz .LBB259_159
.LBB259_170:
	v_mov_b32_e32 v8, 0
	v_cmp_ne_u16_sdwa s[36:37], v6, v8 src0_sel:BYTE_1 src1_sel:DWORD
	s_andn2_b64 s[30:31], s[30:31], exec
	s_and_b64 s[36:37], s[36:37], exec
	s_or_b64 s[30:31], s[30:31], s[36:37]
	s_or_b64 exec, exec, s[34:35]
	s_and_saveexec_b64 s[34:35], s[30:31]
	s_cbranch_execnz .LBB259_160
	s_branch .LBB259_161
.LBB259_171:
	s_mov_b64 s[34:35], 0
	s_mov_b32 s40, 0x7f800001
	s_cbranch_execz .LBB259_173
; %bb.172:
	s_and_b32 s34, 0xffff, s38
	s_cmp_lg_u32 s34, 0
	s_mov_b32 s40, 0
	s_cselect_b64 s[34:35], -1, 0
.LBB259_173:
	s_andn2_b64 vcc, exec, s[34:35]
	s_cbranch_vccnz .LBB259_175
; %bb.174:
	s_mov_b32 s40, s33
.LBB259_175:
	s_movk_i32 s34, 0x7f
	s_waitcnt vmcnt(3)
	v_cmp_gt_i16_sdwa s[36:37], v5, s34 src0_sel:BYTE_0 src1_sel:DWORD
	s_mov_b64 s[34:35], 0
	s_and_saveexec_b64 s[38:39], s[36:37]
	s_xor_b64 s[36:37], exec, s[38:39]
	s_cbranch_execnz .LBB259_185
; %bb.176:
	s_or_saveexec_b64 s[36:37], s[36:37]
	v_mov_b32_e32 v6, 0x7f800001
	s_xor_b64 exec, exec, s[36:37]
	s_cbranch_execnz .LBB259_188
.LBB259_177:
	s_or_b64 exec, exec, s[36:37]
	s_and_saveexec_b64 s[36:37], s[34:35]
	s_cbranch_execz .LBB259_179
.LBB259_178:
	s_mov_b32 s34, 0xffff
	v_and_b32_sdwa v6, s34, v5 dst_sel:DWORD dst_unused:UNUSED_PAD src0_sel:DWORD src1_sel:BYTE_0
	v_and_b32_e32 v7, 3, v6
	v_ffbh_u32_e32 v9, v7
	v_min_u32_e32 v9, 32, v9
	v_subrev_u32_e32 v10, 29, v9
	v_bfe_u32 v8, v6, 2, 5
	v_lshlrev_b32_e32 v6, v10, v6
	v_sub_u32_e32 v9, 30, v9
	v_and_b32_e32 v6, 3, v6
	v_cmp_eq_u32_e32 vcc, 0, v8
	v_cndmask_b32_e32 v8, v8, v9, vcc
	v_cndmask_b32_e32 v6, v7, v6, vcc
	v_lshlrev_b32_e32 v7, 24, v5
	v_mov_b32_e32 v9, 0x37800000
	v_lshlrev_b32_e32 v6, 21, v6
	v_and_b32_e32 v7, 0x80000000, v7
	v_lshl_add_u32 v8, v8, 23, v9
	v_or3_b32 v6, v7, v8, v6
.LBB259_179:
	s_or_b64 exec, exec, s[36:37]
	v_cmp_neq_f32_e64 s[34:35], s40, v6
.LBB259_180:
	s_and_b64 vcc, exec, s[4:5]
	s_waitcnt vmcnt(3)
	v_lshrrev_b16_e32 v6, 8, v5
	s_cbranch_vccnz .LBB259_449
.LBB259_181:
	s_and_b32 s40, s14, 0xff
	s_cmpk_lt_i32 s40, 0x80
	s_cbranch_scc1 .LBB259_189
; %bb.182:
	s_and_b32 s36, 0xffff, s40
	s_cmpk_eq_i32 s36, 0x80
	s_mov_b64 s[36:37], -1
	s_cbranch_scc0 .LBB259_184
; %bb.183:
	s_mov_b64 s[36:37], 0
.LBB259_184:
	s_mov_b32 s42, 0x7f800001
	s_branch .LBB259_191
.LBB259_185:
	s_movk_i32 s34, 0x80
	v_cmp_eq_u16_sdwa s[42:43], v5, s34 src0_sel:BYTE_0 src1_sel:DWORD
	s_mov_b64 s[34:35], -1
	s_and_saveexec_b64 s[38:39], s[42:43]
; %bb.186:
	s_xor_b64 s[34:35], exec, -1
; %bb.187:
	s_or_b64 exec, exec, s[38:39]
	s_and_b64 s[34:35], s[34:35], exec
	s_or_saveexec_b64 s[36:37], s[36:37]
	v_mov_b32_e32 v6, 0x7f800001
	s_xor_b64 exec, exec, s[36:37]
	s_cbranch_execz .LBB259_177
.LBB259_188:
	v_mov_b32_e32 v6, 0
	v_cmp_ne_u16_sdwa s[38:39], v5, v6 src0_sel:BYTE_0 src1_sel:DWORD
	s_andn2_b64 s[34:35], s[34:35], exec
	s_and_b64 s[38:39], s[38:39], exec
	s_or_b64 s[34:35], s[34:35], s[38:39]
	s_or_b64 exec, exec, s[36:37]
	s_and_saveexec_b64 s[36:37], s[34:35]
	s_cbranch_execnz .LBB259_178
	s_branch .LBB259_179
.LBB259_189:
	s_mov_b64 s[36:37], 0
	s_mov_b32 s42, 0x7f800001
	s_cbranch_execz .LBB259_191
; %bb.190:
	s_and_b32 s36, 0xffff, s40
	s_cmp_lg_u32 s36, 0
	s_mov_b32 s42, 0
	s_cselect_b64 s[36:37], -1, 0
.LBB259_191:
	s_andn2_b64 vcc, exec, s[36:37]
	s_cbranch_vccnz .LBB259_193
; %bb.192:
	s_mov_b32 s42, s33
.LBB259_193:
	s_movk_i32 s36, 0x7f
	v_cmp_gt_i16_sdwa s[38:39], v5, s36 src0_sel:BYTE_1 src1_sel:DWORD
	s_mov_b64 s[36:37], 0
	s_and_saveexec_b64 s[40:41], s[38:39]
	s_xor_b64 s[38:39], exec, s[40:41]
	s_cbranch_execnz .LBB259_203
; %bb.194:
	s_or_saveexec_b64 s[38:39], s[38:39]
	v_mov_b32_e32 v7, 0x7f800001
	s_xor_b64 exec, exec, s[38:39]
	s_cbranch_execnz .LBB259_206
.LBB259_195:
	s_or_b64 exec, exec, s[38:39]
	s_and_saveexec_b64 s[38:39], s[36:37]
	s_cbranch_execz .LBB259_197
.LBB259_196:
	v_and_b32_e32 v7, 3, v6
	v_ffbh_u32_e32 v9, v7
	v_min_u32_e32 v9, 32, v9
	v_subrev_u32_e32 v10, 29, v9
	v_bfe_u32 v8, v6, 2, 5
	v_lshlrev_b32_e32 v10, v10, v6
	v_sub_u32_e32 v9, 30, v9
	v_and_b32_e32 v10, 3, v10
	v_cmp_eq_u32_e32 vcc, 0, v8
	v_cndmask_b32_e32 v8, v8, v9, vcc
	v_cndmask_b32_e32 v7, v7, v10, vcc
	v_lshlrev_b32_e32 v9, 16, v5
	v_mov_b32_e32 v10, 0x37800000
	v_lshlrev_b32_e32 v7, 21, v7
	v_and_b32_e32 v9, 0x80000000, v9
	v_lshl_add_u32 v8, v8, 23, v10
	v_or3_b32 v7, v9, v8, v7
.LBB259_197:
	s_or_b64 exec, exec, s[38:39]
	v_cmp_neq_f32_e64 s[36:37], s42, v7
.LBB259_198:
	s_and_b64 vcc, exec, s[4:5]
	s_cbranch_vccnz .LBB259_467
.LBB259_199:
	s_and_b32 s42, s14, 0xff
	s_cmpk_lt_i32 s42, 0x80
	s_cbranch_scc1 .LBB259_207
; %bb.200:
	s_and_b32 s38, 0xffff, s42
	s_cmpk_eq_i32 s38, 0x80
	s_mov_b64 s[38:39], -1
	s_cbranch_scc0 .LBB259_202
; %bb.201:
	s_mov_b64 s[38:39], 0
.LBB259_202:
	s_mov_b32 s44, 0x7f800001
	s_branch .LBB259_209
.LBB259_203:
	s_movk_i32 s36, 0x80
	v_cmp_eq_u16_sdwa s[44:45], v5, s36 src0_sel:BYTE_1 src1_sel:DWORD
	s_mov_b64 s[36:37], -1
	s_and_saveexec_b64 s[40:41], s[44:45]
; %bb.204:
	s_xor_b64 s[36:37], exec, -1
; %bb.205:
	s_or_b64 exec, exec, s[40:41]
	s_and_b64 s[36:37], s[36:37], exec
	s_or_saveexec_b64 s[38:39], s[38:39]
	v_mov_b32_e32 v7, 0x7f800001
	s_xor_b64 exec, exec, s[38:39]
	s_cbranch_execz .LBB259_195
.LBB259_206:
	v_mov_b32_e32 v7, 0
	v_cmp_ne_u16_sdwa s[40:41], v5, v7 src0_sel:BYTE_1 src1_sel:DWORD
	s_andn2_b64 s[36:37], s[36:37], exec
	s_and_b64 s[40:41], s[40:41], exec
	s_or_b64 s[36:37], s[36:37], s[40:41]
	s_or_b64 exec, exec, s[38:39]
	s_and_saveexec_b64 s[38:39], s[36:37]
	s_cbranch_execnz .LBB259_196
	s_branch .LBB259_197
.LBB259_207:
	s_mov_b64 s[38:39], 0
	s_mov_b32 s44, 0x7f800001
	s_cbranch_execz .LBB259_209
; %bb.208:
	s_and_b32 s38, 0xffff, s42
	s_cmp_lg_u32 s38, 0
	s_mov_b32 s44, 0
	s_cselect_b64 s[38:39], -1, 0
.LBB259_209:
	s_andn2_b64 vcc, exec, s[38:39]
	s_cbranch_vccnz .LBB259_211
; %bb.210:
	s_mov_b32 s44, s33
.LBB259_211:
	s_movk_i32 s38, 0x7f
	s_waitcnt vmcnt(2)
	v_cmp_gt_i16_sdwa s[40:41], v4, s38 src0_sel:BYTE_0 src1_sel:DWORD
	s_mov_b64 s[38:39], 0
	s_and_saveexec_b64 s[42:43], s[40:41]
	s_xor_b64 s[40:41], exec, s[42:43]
	s_cbranch_execnz .LBB259_221
; %bb.212:
	s_or_saveexec_b64 s[40:41], s[40:41]
	v_mov_b32_e32 v5, 0x7f800001
	s_xor_b64 exec, exec, s[40:41]
	s_cbranch_execnz .LBB259_224
.LBB259_213:
	s_or_b64 exec, exec, s[40:41]
	s_and_saveexec_b64 s[40:41], s[38:39]
	s_cbranch_execz .LBB259_215
.LBB259_214:
	s_mov_b32 s38, 0xffff
	v_and_b32_sdwa v5, s38, v4 dst_sel:DWORD dst_unused:UNUSED_PAD src0_sel:DWORD src1_sel:BYTE_0
	v_and_b32_e32 v6, 3, v5
	v_ffbh_u32_e32 v8, v6
	v_min_u32_e32 v8, 32, v8
	v_subrev_u32_e32 v9, 29, v8
	v_bfe_u32 v7, v5, 2, 5
	v_lshlrev_b32_e32 v5, v9, v5
	v_sub_u32_e32 v8, 30, v8
	v_and_b32_e32 v5, 3, v5
	v_cmp_eq_u32_e32 vcc, 0, v7
	v_cndmask_b32_e32 v7, v7, v8, vcc
	v_cndmask_b32_e32 v5, v6, v5, vcc
	v_lshlrev_b32_e32 v6, 24, v4
	v_mov_b32_e32 v8, 0x37800000
	v_lshlrev_b32_e32 v5, 21, v5
	v_and_b32_e32 v6, 0x80000000, v6
	v_lshl_add_u32 v7, v7, 23, v8
	v_or3_b32 v5, v6, v7, v5
.LBB259_215:
	s_or_b64 exec, exec, s[40:41]
	v_cmp_neq_f32_e64 s[38:39], s44, v5
.LBB259_216:
	s_and_b64 vcc, exec, s[4:5]
	s_waitcnt vmcnt(2)
	v_lshrrev_b16_e32 v5, 8, v4
	s_cbranch_vccnz .LBB259_485
.LBB259_217:
	s_and_b32 s44, s14, 0xff
	s_cmpk_lt_i32 s44, 0x80
	s_cbranch_scc1 .LBB259_225
; %bb.218:
	s_and_b32 s40, 0xffff, s44
	s_cmpk_eq_i32 s40, 0x80
	s_mov_b64 s[40:41], -1
	s_cbranch_scc0 .LBB259_220
; %bb.219:
	s_mov_b64 s[40:41], 0
.LBB259_220:
	s_mov_b32 s46, 0x7f800001
	s_branch .LBB259_227
.LBB259_221:
	s_movk_i32 s38, 0x80
	v_cmp_eq_u16_sdwa s[46:47], v4, s38 src0_sel:BYTE_0 src1_sel:DWORD
	s_mov_b64 s[38:39], -1
	s_and_saveexec_b64 s[42:43], s[46:47]
; %bb.222:
	s_xor_b64 s[38:39], exec, -1
; %bb.223:
	s_or_b64 exec, exec, s[42:43]
	s_and_b64 s[38:39], s[38:39], exec
	s_or_saveexec_b64 s[40:41], s[40:41]
	v_mov_b32_e32 v5, 0x7f800001
	s_xor_b64 exec, exec, s[40:41]
	s_cbranch_execz .LBB259_213
.LBB259_224:
	v_mov_b32_e32 v5, 0
	v_cmp_ne_u16_sdwa s[42:43], v4, v5 src0_sel:BYTE_0 src1_sel:DWORD
	s_andn2_b64 s[38:39], s[38:39], exec
	s_and_b64 s[42:43], s[42:43], exec
	s_or_b64 s[38:39], s[38:39], s[42:43]
	s_or_b64 exec, exec, s[40:41]
	s_and_saveexec_b64 s[40:41], s[38:39]
	s_cbranch_execnz .LBB259_214
	s_branch .LBB259_215
.LBB259_225:
	s_mov_b64 s[40:41], 0
	s_mov_b32 s46, 0x7f800001
	s_cbranch_execz .LBB259_227
; %bb.226:
	s_and_b32 s40, 0xffff, s44
	s_cmp_lg_u32 s40, 0
	s_mov_b32 s46, 0
	s_cselect_b64 s[40:41], -1, 0
.LBB259_227:
	s_andn2_b64 vcc, exec, s[40:41]
	s_cbranch_vccnz .LBB259_229
; %bb.228:
	s_mov_b32 s46, s33
.LBB259_229:
	s_movk_i32 s40, 0x7f
	v_cmp_gt_i16_sdwa s[42:43], v4, s40 src0_sel:BYTE_1 src1_sel:DWORD
	s_mov_b64 s[40:41], 0
	s_and_saveexec_b64 s[44:45], s[42:43]
	s_xor_b64 s[42:43], exec, s[44:45]
	s_cbranch_execnz .LBB259_239
; %bb.230:
	s_or_saveexec_b64 s[42:43], s[42:43]
	v_mov_b32_e32 v6, 0x7f800001
	s_xor_b64 exec, exec, s[42:43]
	s_cbranch_execnz .LBB259_242
.LBB259_231:
	s_or_b64 exec, exec, s[42:43]
	s_and_saveexec_b64 s[42:43], s[40:41]
	s_cbranch_execz .LBB259_233
.LBB259_232:
	v_and_b32_e32 v6, 3, v5
	v_ffbh_u32_e32 v8, v6
	v_min_u32_e32 v8, 32, v8
	v_subrev_u32_e32 v9, 29, v8
	v_bfe_u32 v7, v5, 2, 5
	v_lshlrev_b32_e32 v9, v9, v5
	v_sub_u32_e32 v8, 30, v8
	v_and_b32_e32 v9, 3, v9
	v_cmp_eq_u32_e32 vcc, 0, v7
	v_cndmask_b32_e32 v7, v7, v8, vcc
	v_cndmask_b32_e32 v6, v6, v9, vcc
	v_lshlrev_b32_e32 v8, 16, v4
	v_mov_b32_e32 v9, 0x37800000
	v_lshlrev_b32_e32 v6, 21, v6
	v_and_b32_e32 v8, 0x80000000, v8
	v_lshl_add_u32 v7, v7, 23, v9
	v_or3_b32 v6, v8, v7, v6
.LBB259_233:
	s_or_b64 exec, exec, s[42:43]
	v_cmp_neq_f32_e64 s[40:41], s46, v6
.LBB259_234:
	s_and_b64 vcc, exec, s[4:5]
	s_cbranch_vccnz .LBB259_503
.LBB259_235:
	s_and_b32 s46, s14, 0xff
	s_cmpk_lt_i32 s46, 0x80
	s_cbranch_scc1 .LBB259_243
; %bb.236:
	s_and_b32 s42, 0xffff, s46
	s_cmpk_eq_i32 s42, 0x80
	s_mov_b64 s[42:43], -1
	s_cbranch_scc0 .LBB259_238
; %bb.237:
	s_mov_b64 s[42:43], 0
.LBB259_238:
	s_mov_b32 s48, 0x7f800001
	s_branch .LBB259_245
.LBB259_239:
	s_movk_i32 s40, 0x80
	v_cmp_eq_u16_sdwa s[48:49], v4, s40 src0_sel:BYTE_1 src1_sel:DWORD
	s_mov_b64 s[40:41], -1
	s_and_saveexec_b64 s[44:45], s[48:49]
; %bb.240:
	s_xor_b64 s[40:41], exec, -1
; %bb.241:
	s_or_b64 exec, exec, s[44:45]
	s_and_b64 s[40:41], s[40:41], exec
	s_or_saveexec_b64 s[42:43], s[42:43]
	v_mov_b32_e32 v6, 0x7f800001
	s_xor_b64 exec, exec, s[42:43]
	s_cbranch_execz .LBB259_231
.LBB259_242:
	v_mov_b32_e32 v6, 0
	v_cmp_ne_u16_sdwa s[44:45], v4, v6 src0_sel:BYTE_1 src1_sel:DWORD
	s_andn2_b64 s[40:41], s[40:41], exec
	s_and_b64 s[44:45], s[44:45], exec
	s_or_b64 s[40:41], s[40:41], s[44:45]
	s_or_b64 exec, exec, s[42:43]
	s_and_saveexec_b64 s[42:43], s[40:41]
	s_cbranch_execnz .LBB259_232
	s_branch .LBB259_233
.LBB259_243:
	s_mov_b64 s[42:43], 0
	s_mov_b32 s48, 0x7f800001
	s_cbranch_execz .LBB259_245
; %bb.244:
	s_and_b32 s42, 0xffff, s46
	s_cmp_lg_u32 s42, 0
	s_mov_b32 s48, 0
	s_cselect_b64 s[42:43], -1, 0
.LBB259_245:
	s_andn2_b64 vcc, exec, s[42:43]
	s_cbranch_vccnz .LBB259_247
; %bb.246:
	s_mov_b32 s48, s33
.LBB259_247:
	s_movk_i32 s42, 0x7f
	s_waitcnt vmcnt(1)
	v_cmp_gt_i16_sdwa s[44:45], v3, s42 src0_sel:BYTE_0 src1_sel:DWORD
	s_mov_b64 s[42:43], 0
	s_and_saveexec_b64 s[46:47], s[44:45]
	s_xor_b64 s[44:45], exec, s[46:47]
	s_cbranch_execnz .LBB259_257
; %bb.248:
	s_or_saveexec_b64 s[44:45], s[44:45]
	v_mov_b32_e32 v4, 0x7f800001
	s_xor_b64 exec, exec, s[44:45]
	s_cbranch_execnz .LBB259_260
.LBB259_249:
	s_or_b64 exec, exec, s[44:45]
	s_and_saveexec_b64 s[44:45], s[42:43]
	s_cbranch_execz .LBB259_251
.LBB259_250:
	s_mov_b32 s42, 0xffff
	v_and_b32_sdwa v4, s42, v3 dst_sel:DWORD dst_unused:UNUSED_PAD src0_sel:DWORD src1_sel:BYTE_0
	v_and_b32_e32 v5, 3, v4
	v_ffbh_u32_e32 v7, v5
	v_min_u32_e32 v7, 32, v7
	v_subrev_u32_e32 v8, 29, v7
	v_bfe_u32 v6, v4, 2, 5
	v_lshlrev_b32_e32 v4, v8, v4
	v_sub_u32_e32 v7, 30, v7
	v_and_b32_e32 v4, 3, v4
	v_cmp_eq_u32_e32 vcc, 0, v6
	v_cndmask_b32_e32 v6, v6, v7, vcc
	v_cndmask_b32_e32 v4, v5, v4, vcc
	v_lshlrev_b32_e32 v5, 24, v3
	v_mov_b32_e32 v7, 0x37800000
	v_lshlrev_b32_e32 v4, 21, v4
	v_and_b32_e32 v5, 0x80000000, v5
	v_lshl_add_u32 v6, v6, 23, v7
	v_or3_b32 v4, v5, v6, v4
.LBB259_251:
	s_or_b64 exec, exec, s[44:45]
	v_cmp_neq_f32_e64 s[42:43], s48, v4
.LBB259_252:
	s_and_b64 vcc, exec, s[4:5]
	s_waitcnt vmcnt(1)
	v_lshrrev_b16_e32 v4, 8, v3
	s_cbranch_vccnz .LBB259_521
.LBB259_253:
	s_and_b32 s48, s14, 0xff
	s_cmpk_lt_i32 s48, 0x80
	s_cbranch_scc1 .LBB259_261
; %bb.254:
	s_and_b32 s44, 0xffff, s48
	s_cmpk_eq_i32 s44, 0x80
	s_mov_b64 s[44:45], -1
	s_cbranch_scc0 .LBB259_256
; %bb.255:
	s_mov_b64 s[44:45], 0
.LBB259_256:
	s_mov_b32 s50, 0x7f800001
	s_branch .LBB259_263
.LBB259_257:
	s_movk_i32 s42, 0x80
	v_cmp_eq_u16_sdwa s[50:51], v3, s42 src0_sel:BYTE_0 src1_sel:DWORD
	s_mov_b64 s[42:43], -1
	s_and_saveexec_b64 s[46:47], s[50:51]
; %bb.258:
	s_xor_b64 s[42:43], exec, -1
; %bb.259:
	s_or_b64 exec, exec, s[46:47]
	s_and_b64 s[42:43], s[42:43], exec
	s_or_saveexec_b64 s[44:45], s[44:45]
	v_mov_b32_e32 v4, 0x7f800001
	s_xor_b64 exec, exec, s[44:45]
	s_cbranch_execz .LBB259_249
.LBB259_260:
	v_mov_b32_e32 v4, 0
	v_cmp_ne_u16_sdwa s[46:47], v3, v4 src0_sel:BYTE_0 src1_sel:DWORD
	s_andn2_b64 s[42:43], s[42:43], exec
	s_and_b64 s[46:47], s[46:47], exec
	s_or_b64 s[42:43], s[42:43], s[46:47]
	s_or_b64 exec, exec, s[44:45]
	s_and_saveexec_b64 s[44:45], s[42:43]
	s_cbranch_execnz .LBB259_250
	s_branch .LBB259_251
.LBB259_261:
	s_mov_b64 s[44:45], 0
	s_mov_b32 s50, 0x7f800001
	s_cbranch_execz .LBB259_263
; %bb.262:
	s_and_b32 s44, 0xffff, s48
	s_cmp_lg_u32 s44, 0
	s_mov_b32 s50, 0
	s_cselect_b64 s[44:45], -1, 0
.LBB259_263:
	s_andn2_b64 vcc, exec, s[44:45]
	s_cbranch_vccnz .LBB259_265
; %bb.264:
	s_mov_b32 s50, s33
.LBB259_265:
	s_movk_i32 s44, 0x7f
	v_cmp_gt_i16_sdwa s[46:47], v3, s44 src0_sel:BYTE_1 src1_sel:DWORD
	s_mov_b64 s[44:45], 0
	s_and_saveexec_b64 s[48:49], s[46:47]
	s_xor_b64 s[46:47], exec, s[48:49]
	s_cbranch_execnz .LBB259_275
; %bb.266:
	s_or_saveexec_b64 s[46:47], s[46:47]
	v_mov_b32_e32 v5, 0x7f800001
	s_xor_b64 exec, exec, s[46:47]
	s_cbranch_execnz .LBB259_278
.LBB259_267:
	s_or_b64 exec, exec, s[46:47]
	s_and_saveexec_b64 s[46:47], s[44:45]
	s_cbranch_execz .LBB259_269
.LBB259_268:
	v_and_b32_e32 v5, 3, v4
	v_ffbh_u32_e32 v7, v5
	v_min_u32_e32 v7, 32, v7
	v_subrev_u32_e32 v8, 29, v7
	v_bfe_u32 v6, v4, 2, 5
	v_lshlrev_b32_e32 v8, v8, v4
	v_sub_u32_e32 v7, 30, v7
	v_and_b32_e32 v8, 3, v8
	v_cmp_eq_u32_e32 vcc, 0, v6
	v_cndmask_b32_e32 v6, v6, v7, vcc
	v_cndmask_b32_e32 v5, v5, v8, vcc
	v_lshlrev_b32_e32 v7, 16, v3
	v_mov_b32_e32 v8, 0x37800000
	v_lshlrev_b32_e32 v5, 21, v5
	v_and_b32_e32 v7, 0x80000000, v7
	v_lshl_add_u32 v6, v6, 23, v8
	v_or3_b32 v5, v7, v6, v5
.LBB259_269:
	s_or_b64 exec, exec, s[46:47]
	v_cmp_neq_f32_e64 s[44:45], s50, v5
.LBB259_270:
	s_and_b64 vcc, exec, s[4:5]
	s_cbranch_vccnz .LBB259_539
.LBB259_271:
	s_and_b32 s50, s14, 0xff
	s_cmpk_lt_i32 s50, 0x80
	s_cbranch_scc1 .LBB259_279
; %bb.272:
	s_and_b32 s46, 0xffff, s50
	s_cmpk_eq_i32 s46, 0x80
	s_mov_b64 s[46:47], -1
	s_cbranch_scc0 .LBB259_274
; %bb.273:
	s_mov_b64 s[46:47], 0
.LBB259_274:
	s_mov_b32 s52, 0x7f800001
	s_branch .LBB259_281
.LBB259_275:
	s_movk_i32 s44, 0x80
	v_cmp_eq_u16_sdwa s[52:53], v3, s44 src0_sel:BYTE_1 src1_sel:DWORD
	s_mov_b64 s[44:45], -1
	s_and_saveexec_b64 s[48:49], s[52:53]
; %bb.276:
	s_xor_b64 s[44:45], exec, -1
; %bb.277:
	s_or_b64 exec, exec, s[48:49]
	s_and_b64 s[44:45], s[44:45], exec
	s_or_saveexec_b64 s[46:47], s[46:47]
	v_mov_b32_e32 v5, 0x7f800001
	s_xor_b64 exec, exec, s[46:47]
	s_cbranch_execz .LBB259_267
.LBB259_278:
	v_mov_b32_e32 v5, 0
	v_cmp_ne_u16_sdwa s[48:49], v3, v5 src0_sel:BYTE_1 src1_sel:DWORD
	s_andn2_b64 s[44:45], s[44:45], exec
	s_and_b64 s[48:49], s[48:49], exec
	s_or_b64 s[44:45], s[44:45], s[48:49]
	s_or_b64 exec, exec, s[46:47]
	s_and_saveexec_b64 s[46:47], s[44:45]
	s_cbranch_execnz .LBB259_268
	s_branch .LBB259_269
.LBB259_279:
	s_mov_b64 s[46:47], 0
	s_mov_b32 s52, 0x7f800001
	s_cbranch_execz .LBB259_281
; %bb.280:
	s_and_b32 s46, 0xffff, s50
	s_cmp_lg_u32 s46, 0
	s_mov_b32 s52, 0
	s_cselect_b64 s[46:47], -1, 0
.LBB259_281:
	s_andn2_b64 vcc, exec, s[46:47]
	s_cbranch_vccnz .LBB259_283
; %bb.282:
	s_mov_b32 s52, s33
.LBB259_283:
	s_movk_i32 s46, 0x7f
	s_waitcnt vmcnt(0)
	v_cmp_gt_i16_sdwa s[48:49], v2, s46 src0_sel:BYTE_0 src1_sel:DWORD
	s_mov_b64 s[46:47], 0
	s_and_saveexec_b64 s[50:51], s[48:49]
	s_xor_b64 s[48:49], exec, s[50:51]
	s_cbranch_execnz .LBB259_293
; %bb.284:
	s_or_saveexec_b64 s[48:49], s[48:49]
	v_mov_b32_e32 v3, 0x7f800001
	s_xor_b64 exec, exec, s[48:49]
	s_cbranch_execnz .LBB259_296
.LBB259_285:
	s_or_b64 exec, exec, s[48:49]
	s_and_saveexec_b64 s[48:49], s[46:47]
	s_cbranch_execz .LBB259_287
.LBB259_286:
	s_mov_b32 s46, 0xffff
	v_and_b32_sdwa v3, s46, v2 dst_sel:DWORD dst_unused:UNUSED_PAD src0_sel:DWORD src1_sel:BYTE_0
	v_and_b32_e32 v4, 3, v3
	v_ffbh_u32_e32 v6, v4
	v_min_u32_e32 v6, 32, v6
	v_subrev_u32_e32 v7, 29, v6
	v_bfe_u32 v5, v3, 2, 5
	v_lshlrev_b32_e32 v3, v7, v3
	v_sub_u32_e32 v6, 30, v6
	v_and_b32_e32 v3, 3, v3
	v_cmp_eq_u32_e32 vcc, 0, v5
	v_cndmask_b32_e32 v5, v5, v6, vcc
	v_cndmask_b32_e32 v3, v4, v3, vcc
	v_lshlrev_b32_e32 v4, 24, v2
	v_mov_b32_e32 v6, 0x37800000
	v_lshlrev_b32_e32 v3, 21, v3
	v_and_b32_e32 v4, 0x80000000, v4
	v_lshl_add_u32 v5, v5, 23, v6
	v_or3_b32 v3, v4, v5, v3
.LBB259_287:
	s_or_b64 exec, exec, s[48:49]
	v_cmp_neq_f32_e64 s[46:47], s52, v3
.LBB259_288:
	s_and_b64 vcc, exec, s[4:5]
	s_waitcnt vmcnt(0)
	v_lshrrev_b16_e32 v3, 8, v2
	s_cbranch_vccnz .LBB259_557
.LBB259_289:
	s_and_b32 s50, s14, 0xff
	s_cmpk_lt_i32 s50, 0x80
	s_cbranch_scc1 .LBB259_297
; %bb.290:
	s_and_b32 s4, 0xffff, s50
	s_cmpk_eq_i32 s4, 0x80
	s_mov_b64 s[4:5], -1
	s_cbranch_scc0 .LBB259_292
; %bb.291:
	s_mov_b64 s[4:5], 0
.LBB259_292:
	s_mov_b32 s52, 0x7f800001
	s_branch .LBB259_299
.LBB259_293:
	s_movk_i32 s46, 0x80
	v_cmp_eq_u16_sdwa s[54:55], v2, s46 src0_sel:BYTE_0 src1_sel:DWORD
	s_mov_b64 s[46:47], -1
	s_and_saveexec_b64 s[50:51], s[54:55]
; %bb.294:
	s_xor_b64 s[46:47], exec, -1
; %bb.295:
	s_or_b64 exec, exec, s[50:51]
	s_and_b64 s[46:47], s[46:47], exec
	s_or_saveexec_b64 s[48:49], s[48:49]
	v_mov_b32_e32 v3, 0x7f800001
	s_xor_b64 exec, exec, s[48:49]
	s_cbranch_execz .LBB259_285
.LBB259_296:
	v_mov_b32_e32 v3, 0
	v_cmp_ne_u16_sdwa s[50:51], v2, v3 src0_sel:BYTE_0 src1_sel:DWORD
	s_andn2_b64 s[46:47], s[46:47], exec
	s_and_b64 s[50:51], s[50:51], exec
	s_or_b64 s[46:47], s[46:47], s[50:51]
	s_or_b64 exec, exec, s[48:49]
	s_and_saveexec_b64 s[48:49], s[46:47]
	s_cbranch_execnz .LBB259_286
	s_branch .LBB259_287
.LBB259_297:
	s_mov_b64 s[4:5], 0
	s_mov_b32 s52, 0x7f800001
	s_cbranch_execz .LBB259_299
; %bb.298:
	s_and_b32 s4, 0xffff, s50
	s_cmp_lg_u32 s4, 0
	s_mov_b32 s52, 0
	s_cselect_b64 s[4:5], -1, 0
.LBB259_299:
	s_andn2_b64 vcc, exec, s[4:5]
	s_cbranch_vccnz .LBB259_301
; %bb.300:
	s_mov_b32 s52, s33
.LBB259_301:
	s_movk_i32 s4, 0x7f
	v_cmp_gt_i16_sdwa s[48:49], v2, s4 src0_sel:BYTE_1 src1_sel:DWORD
	s_mov_b64 s[4:5], 0
	s_and_saveexec_b64 s[50:51], s[48:49]
	s_xor_b64 s[48:49], exec, s[50:51]
	s_cbranch_execnz .LBB259_306
; %bb.302:
	s_or_saveexec_b64 s[48:49], s[48:49]
	v_mov_b32_e32 v4, 0x7f800001
	s_xor_b64 exec, exec, s[48:49]
	s_cbranch_execnz .LBB259_309
.LBB259_303:
	s_or_b64 exec, exec, s[48:49]
	s_and_saveexec_b64 s[48:49], s[4:5]
	s_cbranch_execz .LBB259_305
.LBB259_304:
	v_and_b32_e32 v4, 3, v3
	v_ffbh_u32_e32 v6, v4
	v_min_u32_e32 v6, 32, v6
	v_subrev_u32_e32 v7, 29, v6
	v_bfe_u32 v5, v3, 2, 5
	v_lshlrev_b32_e32 v7, v7, v3
	v_sub_u32_e32 v6, 30, v6
	v_and_b32_e32 v7, 3, v7
	v_cmp_eq_u32_e32 vcc, 0, v5
	v_cndmask_b32_e32 v5, v5, v6, vcc
	v_cndmask_b32_e32 v4, v4, v7, vcc
	v_lshlrev_b32_e32 v6, 16, v2
	v_mov_b32_e32 v7, 0x37800000
	v_lshlrev_b32_e32 v4, 21, v4
	v_and_b32_e32 v6, 0x80000000, v6
	v_lshl_add_u32 v5, v5, 23, v7
	v_or3_b32 v4, v6, v5, v4
.LBB259_305:
	s_or_b64 exec, exec, s[48:49]
	v_cmp_neq_f32_e64 s[4:5], s52, v4
	s_branch .LBB259_575
.LBB259_306:
	s_movk_i32 s4, 0x80
	v_cmp_eq_u16_sdwa s[54:55], v2, s4 src0_sel:BYTE_1 src1_sel:DWORD
	s_mov_b64 s[4:5], -1
	s_and_saveexec_b64 s[50:51], s[54:55]
; %bb.307:
	s_xor_b64 s[4:5], exec, -1
; %bb.308:
	s_or_b64 exec, exec, s[50:51]
	s_and_b64 s[4:5], s[4:5], exec
	s_or_saveexec_b64 s[48:49], s[48:49]
	v_mov_b32_e32 v4, 0x7f800001
	s_xor_b64 exec, exec, s[48:49]
	s_cbranch_execz .LBB259_303
.LBB259_309:
	v_mov_b32_e32 v4, 0
	v_cmp_ne_u16_sdwa s[50:51], v2, v4 src0_sel:BYTE_1 src1_sel:DWORD
	s_andn2_b64 s[4:5], s[4:5], exec
	s_and_b64 s[50:51], s[50:51], exec
	s_or_b64 s[4:5], s[4:5], s[50:51]
	s_or_b64 exec, exec, s[48:49]
	s_and_saveexec_b64 s[48:49], s[4:5]
	s_cbranch_execnz .LBB259_304
	s_branch .LBB259_305
.LBB259_310:
	s_movk_i32 s4, 0x80
	v_cmp_eq_u16_sdwa s[24:25], v9, s4 src0_sel:BYTE_0 src1_sel:DWORD
	s_mov_b64 s[4:5], -1
	s_and_saveexec_b64 s[20:21], s[24:25]
; %bb.311:
	s_xor_b64 s[4:5], exec, -1
; %bb.312:
	s_or_b64 exec, exec, s[20:21]
	s_and_b64 s[4:5], s[4:5], exec
	s_or_saveexec_b64 s[8:9], s[8:9]
	v_mov_b32_e32 v10, 0x7f800001
	s_xor_b64 exec, exec, s[8:9]
	s_cbranch_execz .LBB259_32
.LBB259_313:
	v_mov_b32_e32 v10, 0
	v_cmp_ne_u16_sdwa s[20:21], v9, v10 src0_sel:BYTE_0 src1_sel:DWORD
	s_andn2_b64 s[4:5], s[4:5], exec
	s_and_b64 s[20:21], s[20:21], exec
	s_or_b64 s[4:5], s[4:5], s[20:21]
	s_or_b64 exec, exec, s[8:9]
	s_and_saveexec_b64 s[8:9], s[4:5]
	s_cbranch_execnz .LBB259_33
	s_branch .LBB259_34
.LBB259_314:
	s_mov_b64 s[10:11], 0
	s_mov_b32 s24, 0x7f800001
	s_cbranch_execz .LBB259_316
; %bb.315:
	s_and_b32 s10, 0xffff, s22
	s_cmp_lg_u32 s10, 0
	s_mov_b32 s24, 0
	s_cselect_b64 s[10:11], -1, 0
.LBB259_316:
	s_andn2_b64 vcc, exec, s[10:11]
	s_cbranch_vccnz .LBB259_318
; %bb.317:
	s_mov_b32 s24, s33
.LBB259_318:
	s_movk_i32 s10, 0x7f
	v_cmp_gt_i16_sdwa s[20:21], v9, s10 src0_sel:BYTE_1 src1_sel:DWORD
	s_mov_b64 s[10:11], 0
	s_and_saveexec_b64 s[22:23], s[20:21]
	s_xor_b64 s[20:21], exec, s[22:23]
	s_cbranch_execnz .LBB259_328
; %bb.319:
	s_or_saveexec_b64 s[20:21], s[20:21]
	v_mov_b32_e32 v11, 0x7f800001
	s_xor_b64 exec, exec, s[20:21]
	s_cbranch_execnz .LBB259_331
.LBB259_320:
	s_or_b64 exec, exec, s[20:21]
	s_and_saveexec_b64 s[20:21], s[10:11]
	s_cbranch_execz .LBB259_322
.LBB259_321:
	v_and_b32_e32 v11, 3, v10
	v_ffbh_u32_e32 v13, v11
	v_min_u32_e32 v13, 32, v13
	v_subrev_u32_e32 v14, 29, v13
	v_bfe_u32 v12, v10, 2, 5
	v_lshlrev_b32_e32 v10, v14, v10
	v_sub_u32_e32 v13, 30, v13
	v_and_b32_e32 v10, 3, v10
	v_cmp_eq_u32_e32 vcc, 0, v12
	v_cndmask_b32_e32 v12, v12, v13, vcc
	v_cndmask_b32_e32 v10, v11, v10, vcc
	v_lshlrev_b32_e32 v9, 16, v9
	v_mov_b32_e32 v11, 0x37800000
	v_lshlrev_b32_e32 v10, 21, v10
	v_and_b32_e32 v9, 0x80000000, v9
	v_lshl_add_u32 v11, v12, 23, v11
	v_or3_b32 v11, v9, v11, v10
.LBB259_322:
	s_or_b64 exec, exec, s[20:21]
	v_cmp_eq_f32_e64 s[10:11], s24, v11
	s_and_b64 vcc, exec, s[4:5]
	s_cbranch_vccz .LBB259_42
.LBB259_323:
                                        ; implicit-def: $sgpr20_sgpr21
	s_cbranch_execz .LBB259_68
; %bb.324:
	s_and_b32 s24, s14, 0xff
	s_cmpk_lt_i32 s24, 0x80
	s_cbranch_scc1 .LBB259_332
; %bb.325:
	s_and_b32 s20, 0xffff, s24
	s_cmpk_eq_i32 s20, 0x80
	s_mov_b64 s[20:21], -1
	s_cbranch_scc0 .LBB259_327
; %bb.326:
	s_mov_b64 s[20:21], 0
.LBB259_327:
	s_mov_b32 s26, 0x7f800001
	s_branch .LBB259_334
.LBB259_328:
	s_movk_i32 s10, 0x80
	v_cmp_eq_u16_sdwa s[26:27], v9, s10 src0_sel:BYTE_1 src1_sel:DWORD
	s_mov_b64 s[10:11], -1
	s_and_saveexec_b64 s[22:23], s[26:27]
; %bb.329:
	s_xor_b64 s[10:11], exec, -1
; %bb.330:
	s_or_b64 exec, exec, s[22:23]
	s_and_b64 s[10:11], s[10:11], exec
	s_or_saveexec_b64 s[20:21], s[20:21]
	v_mov_b32_e32 v11, 0x7f800001
	s_xor_b64 exec, exec, s[20:21]
	s_cbranch_execz .LBB259_320
.LBB259_331:
	v_mov_b32_e32 v11, 0
	v_cmp_ne_u16_sdwa s[22:23], v9, v11 src0_sel:BYTE_1 src1_sel:DWORD
	s_andn2_b64 s[10:11], s[10:11], exec
	s_and_b64 s[22:23], s[22:23], exec
	s_or_b64 s[10:11], s[10:11], s[22:23]
	s_or_b64 exec, exec, s[20:21]
	s_and_saveexec_b64 s[20:21], s[10:11]
	s_cbranch_execnz .LBB259_321
	s_branch .LBB259_322
.LBB259_332:
	s_mov_b64 s[20:21], 0
	s_mov_b32 s26, 0x7f800001
	s_cbranch_execz .LBB259_334
; %bb.333:
	s_and_b32 s20, 0xffff, s24
	s_cmp_lg_u32 s20, 0
	s_mov_b32 s26, 0
	s_cselect_b64 s[20:21], -1, 0
.LBB259_334:
	s_andn2_b64 vcc, exec, s[20:21]
	s_cbranch_vccnz .LBB259_336
; %bb.335:
	s_mov_b32 s26, s33
.LBB259_336:
	s_movk_i32 s20, 0x7f
	s_waitcnt vmcnt(6)
	v_cmp_gt_i16_sdwa s[22:23], v8, s20 src0_sel:BYTE_0 src1_sel:DWORD
	s_mov_b64 s[20:21], 0
	s_and_saveexec_b64 s[24:25], s[22:23]
	s_xor_b64 s[22:23], exec, s[24:25]
	s_cbranch_execnz .LBB259_346
; %bb.337:
	s_or_saveexec_b64 s[22:23], s[22:23]
	v_mov_b32_e32 v9, 0x7f800001
	s_xor_b64 exec, exec, s[22:23]
	s_cbranch_execnz .LBB259_349
.LBB259_338:
	s_or_b64 exec, exec, s[22:23]
	s_and_saveexec_b64 s[22:23], s[20:21]
	s_cbranch_execz .LBB259_340
.LBB259_339:
	s_mov_b32 s20, 0xffff
	v_and_b32_sdwa v9, s20, v8 dst_sel:DWORD dst_unused:UNUSED_PAD src0_sel:DWORD src1_sel:BYTE_0
	v_and_b32_e32 v10, 3, v9
	v_ffbh_u32_e32 v12, v10
	v_min_u32_e32 v12, 32, v12
	v_subrev_u32_e32 v13, 29, v12
	v_bfe_u32 v11, v9, 2, 5
	v_lshlrev_b32_e32 v9, v13, v9
	v_sub_u32_e32 v12, 30, v12
	v_and_b32_e32 v9, 3, v9
	v_cmp_eq_u32_e32 vcc, 0, v11
	v_cndmask_b32_e32 v11, v11, v12, vcc
	v_cndmask_b32_e32 v9, v10, v9, vcc
	v_lshlrev_b32_e32 v10, 24, v8
	v_mov_b32_e32 v12, 0x37800000
	v_lshlrev_b32_e32 v9, 21, v9
	v_and_b32_e32 v10, 0x80000000, v10
	v_lshl_add_u32 v11, v11, 23, v12
	v_or3_b32 v9, v10, v11, v9
.LBB259_340:
	s_or_b64 exec, exec, s[22:23]
	v_cmp_eq_f32_e64 s[20:21], s26, v9
	s_and_b64 vcc, exec, s[4:5]
	v_lshrrev_b16_e32 v9, 8, v8
	s_cbranch_vccz .LBB259_69
.LBB259_341:
                                        ; implicit-def: $sgpr22_sgpr23
	s_cbranch_execz .LBB259_90
; %bb.342:
	s_and_b32 s26, s14, 0xff
	s_cmpk_lt_i32 s26, 0x80
	s_cbranch_scc1 .LBB259_350
; %bb.343:
	s_and_b32 s22, 0xffff, s26
	s_cmpk_eq_i32 s22, 0x80
	s_mov_b64 s[22:23], -1
	s_cbranch_scc0 .LBB259_345
; %bb.344:
	s_mov_b64 s[22:23], 0
.LBB259_345:
	s_mov_b32 s28, 0x7f800001
	s_branch .LBB259_352
.LBB259_346:
	s_movk_i32 s20, 0x80
	v_cmp_eq_u16_sdwa s[28:29], v8, s20 src0_sel:BYTE_0 src1_sel:DWORD
	s_mov_b64 s[20:21], -1
	s_and_saveexec_b64 s[24:25], s[28:29]
; %bb.347:
	s_xor_b64 s[20:21], exec, -1
; %bb.348:
	s_or_b64 exec, exec, s[24:25]
	s_and_b64 s[20:21], s[20:21], exec
	s_or_saveexec_b64 s[22:23], s[22:23]
	v_mov_b32_e32 v9, 0x7f800001
	s_xor_b64 exec, exec, s[22:23]
	s_cbranch_execz .LBB259_338
.LBB259_349:
	v_mov_b32_e32 v9, 0
	v_cmp_ne_u16_sdwa s[24:25], v8, v9 src0_sel:BYTE_0 src1_sel:DWORD
	s_andn2_b64 s[20:21], s[20:21], exec
	s_and_b64 s[24:25], s[24:25], exec
	s_or_b64 s[20:21], s[20:21], s[24:25]
	s_or_b64 exec, exec, s[22:23]
	s_and_saveexec_b64 s[22:23], s[20:21]
	s_cbranch_execnz .LBB259_339
	s_branch .LBB259_340
.LBB259_350:
	s_mov_b64 s[22:23], 0
	s_mov_b32 s28, 0x7f800001
	s_cbranch_execz .LBB259_352
; %bb.351:
	s_and_b32 s22, 0xffff, s26
	s_cmp_lg_u32 s22, 0
	s_mov_b32 s28, 0
	s_cselect_b64 s[22:23], -1, 0
.LBB259_352:
	s_andn2_b64 vcc, exec, s[22:23]
	s_cbranch_vccnz .LBB259_354
; %bb.353:
	s_mov_b32 s28, s33
.LBB259_354:
	s_movk_i32 s22, 0x7f
	v_cmp_gt_i16_sdwa s[24:25], v8, s22 src0_sel:BYTE_1 src1_sel:DWORD
	s_mov_b64 s[22:23], 0
	s_and_saveexec_b64 s[26:27], s[24:25]
	s_xor_b64 s[24:25], exec, s[26:27]
	s_cbranch_execnz .LBB259_364
; %bb.355:
	s_or_saveexec_b64 s[24:25], s[24:25]
	v_mov_b32_e32 v10, 0x7f800001
	s_xor_b64 exec, exec, s[24:25]
	s_cbranch_execnz .LBB259_367
.LBB259_356:
	s_or_b64 exec, exec, s[24:25]
	s_and_saveexec_b64 s[24:25], s[22:23]
	s_cbranch_execz .LBB259_358
.LBB259_357:
	v_and_b32_e32 v10, 3, v9
	v_ffbh_u32_e32 v12, v10
	v_min_u32_e32 v12, 32, v12
	v_subrev_u32_e32 v13, 29, v12
	v_bfe_u32 v11, v9, 2, 5
	v_lshlrev_b32_e32 v9, v13, v9
	v_sub_u32_e32 v12, 30, v12
	v_and_b32_e32 v9, 3, v9
	v_cmp_eq_u32_e32 vcc, 0, v11
	v_cndmask_b32_e32 v11, v11, v12, vcc
	v_cndmask_b32_e32 v9, v10, v9, vcc
	v_lshlrev_b32_e32 v8, 16, v8
	v_mov_b32_e32 v10, 0x37800000
	v_lshlrev_b32_e32 v9, 21, v9
	v_and_b32_e32 v8, 0x80000000, v8
	v_lshl_add_u32 v10, v11, 23, v10
	v_or3_b32 v10, v8, v10, v9
.LBB259_358:
	s_or_b64 exec, exec, s[24:25]
	v_cmp_eq_f32_e64 s[22:23], s28, v10
	s_and_b64 vcc, exec, s[4:5]
	s_cbranch_vccz .LBB259_91
.LBB259_359:
                                        ; implicit-def: $sgpr24_sgpr25
	s_cbranch_execz .LBB259_108
; %bb.360:
	s_and_b32 s28, s14, 0xff
	s_cmpk_lt_i32 s28, 0x80
	s_cbranch_scc1 .LBB259_368
; %bb.361:
	s_and_b32 s24, 0xffff, s28
	s_cmpk_eq_i32 s24, 0x80
	s_mov_b64 s[24:25], -1
	s_cbranch_scc0 .LBB259_363
; %bb.362:
	s_mov_b64 s[24:25], 0
.LBB259_363:
	s_mov_b32 s30, 0x7f800001
	s_branch .LBB259_370
.LBB259_364:
	s_movk_i32 s22, 0x80
	v_cmp_eq_u16_sdwa s[30:31], v8, s22 src0_sel:BYTE_1 src1_sel:DWORD
	s_mov_b64 s[22:23], -1
	s_and_saveexec_b64 s[26:27], s[30:31]
; %bb.365:
	s_xor_b64 s[22:23], exec, -1
; %bb.366:
	s_or_b64 exec, exec, s[26:27]
	s_and_b64 s[22:23], s[22:23], exec
	s_or_saveexec_b64 s[24:25], s[24:25]
	v_mov_b32_e32 v10, 0x7f800001
	s_xor_b64 exec, exec, s[24:25]
	s_cbranch_execz .LBB259_356
.LBB259_367:
	v_mov_b32_e32 v10, 0
	v_cmp_ne_u16_sdwa s[26:27], v8, v10 src0_sel:BYTE_1 src1_sel:DWORD
	s_andn2_b64 s[22:23], s[22:23], exec
	s_and_b64 s[26:27], s[26:27], exec
	s_or_b64 s[22:23], s[22:23], s[26:27]
	s_or_b64 exec, exec, s[24:25]
	s_and_saveexec_b64 s[24:25], s[22:23]
	s_cbranch_execnz .LBB259_357
	s_branch .LBB259_358
.LBB259_368:
	s_mov_b64 s[24:25], 0
	s_mov_b32 s30, 0x7f800001
	s_cbranch_execz .LBB259_370
; %bb.369:
	s_and_b32 s24, 0xffff, s28
	s_cmp_lg_u32 s24, 0
	s_mov_b32 s30, 0
	s_cselect_b64 s[24:25], -1, 0
.LBB259_370:
	s_andn2_b64 vcc, exec, s[24:25]
	s_cbranch_vccnz .LBB259_372
; %bb.371:
	s_mov_b32 s30, s33
.LBB259_372:
	s_movk_i32 s24, 0x7f
	s_waitcnt vmcnt(5)
	v_cmp_gt_i16_sdwa s[26:27], v7, s24 src0_sel:BYTE_0 src1_sel:DWORD
	s_mov_b64 s[24:25], 0
	s_and_saveexec_b64 s[28:29], s[26:27]
	s_xor_b64 s[26:27], exec, s[28:29]
	s_cbranch_execnz .LBB259_382
; %bb.373:
	s_or_saveexec_b64 s[26:27], s[26:27]
	v_mov_b32_e32 v8, 0x7f800001
	s_xor_b64 exec, exec, s[26:27]
	s_cbranch_execnz .LBB259_385
.LBB259_374:
	s_or_b64 exec, exec, s[26:27]
	s_and_saveexec_b64 s[26:27], s[24:25]
	s_cbranch_execz .LBB259_376
.LBB259_375:
	s_mov_b32 s24, 0xffff
	v_and_b32_sdwa v8, s24, v7 dst_sel:DWORD dst_unused:UNUSED_PAD src0_sel:DWORD src1_sel:BYTE_0
	v_and_b32_e32 v9, 3, v8
	v_ffbh_u32_e32 v11, v9
	v_min_u32_e32 v11, 32, v11
	v_subrev_u32_e32 v12, 29, v11
	v_bfe_u32 v10, v8, 2, 5
	v_lshlrev_b32_e32 v8, v12, v8
	v_sub_u32_e32 v11, 30, v11
	v_and_b32_e32 v8, 3, v8
	v_cmp_eq_u32_e32 vcc, 0, v10
	v_cndmask_b32_e32 v10, v10, v11, vcc
	v_cndmask_b32_e32 v8, v9, v8, vcc
	v_lshlrev_b32_e32 v9, 24, v7
	v_mov_b32_e32 v11, 0x37800000
	v_lshlrev_b32_e32 v8, 21, v8
	v_and_b32_e32 v9, 0x80000000, v9
	v_lshl_add_u32 v10, v10, 23, v11
	v_or3_b32 v8, v9, v10, v8
.LBB259_376:
	s_or_b64 exec, exec, s[26:27]
	v_cmp_eq_f32_e64 s[24:25], s30, v8
	s_and_b64 vcc, exec, s[4:5]
	v_lshrrev_b16_e32 v8, 8, v7
	s_cbranch_vccz .LBB259_109
.LBB259_377:
                                        ; implicit-def: $sgpr26_sgpr27
	s_cbranch_execz .LBB259_126
; %bb.378:
	s_and_b32 s30, s14, 0xff
	s_cmpk_lt_i32 s30, 0x80
	s_cbranch_scc1 .LBB259_386
; %bb.379:
	s_and_b32 s26, 0xffff, s30
	s_cmpk_eq_i32 s26, 0x80
	s_mov_b64 s[26:27], -1
	s_cbranch_scc0 .LBB259_381
; %bb.380:
	s_mov_b64 s[26:27], 0
.LBB259_381:
	s_mov_b32 s34, 0x7f800001
	s_branch .LBB259_388
.LBB259_382:
	s_movk_i32 s24, 0x80
	v_cmp_eq_u16_sdwa s[34:35], v7, s24 src0_sel:BYTE_0 src1_sel:DWORD
	s_mov_b64 s[24:25], -1
	s_and_saveexec_b64 s[28:29], s[34:35]
; %bb.383:
	s_xor_b64 s[24:25], exec, -1
; %bb.384:
	s_or_b64 exec, exec, s[28:29]
	s_and_b64 s[24:25], s[24:25], exec
	s_or_saveexec_b64 s[26:27], s[26:27]
	v_mov_b32_e32 v8, 0x7f800001
	s_xor_b64 exec, exec, s[26:27]
	s_cbranch_execz .LBB259_374
.LBB259_385:
	v_mov_b32_e32 v8, 0
	v_cmp_ne_u16_sdwa s[28:29], v7, v8 src0_sel:BYTE_0 src1_sel:DWORD
	s_andn2_b64 s[24:25], s[24:25], exec
	s_and_b64 s[28:29], s[28:29], exec
	s_or_b64 s[24:25], s[24:25], s[28:29]
	s_or_b64 exec, exec, s[26:27]
	s_and_saveexec_b64 s[26:27], s[24:25]
	s_cbranch_execnz .LBB259_375
	s_branch .LBB259_376
.LBB259_386:
	s_mov_b64 s[26:27], 0
	s_mov_b32 s34, 0x7f800001
	s_cbranch_execz .LBB259_388
; %bb.387:
	s_and_b32 s26, 0xffff, s30
	s_cmp_lg_u32 s26, 0
	s_mov_b32 s34, 0
	s_cselect_b64 s[26:27], -1, 0
.LBB259_388:
	s_andn2_b64 vcc, exec, s[26:27]
	s_cbranch_vccnz .LBB259_390
; %bb.389:
	s_mov_b32 s34, s33
.LBB259_390:
	s_movk_i32 s26, 0x7f
	v_cmp_gt_i16_sdwa s[28:29], v7, s26 src0_sel:BYTE_1 src1_sel:DWORD
	s_mov_b64 s[26:27], 0
	s_and_saveexec_b64 s[30:31], s[28:29]
	s_xor_b64 s[28:29], exec, s[30:31]
	s_cbranch_execnz .LBB259_400
; %bb.391:
	s_or_saveexec_b64 s[28:29], s[28:29]
	v_mov_b32_e32 v9, 0x7f800001
	s_xor_b64 exec, exec, s[28:29]
	s_cbranch_execnz .LBB259_403
.LBB259_392:
	s_or_b64 exec, exec, s[28:29]
	s_and_saveexec_b64 s[28:29], s[26:27]
	s_cbranch_execz .LBB259_394
.LBB259_393:
	v_and_b32_e32 v9, 3, v8
	v_ffbh_u32_e32 v11, v9
	v_min_u32_e32 v11, 32, v11
	v_subrev_u32_e32 v12, 29, v11
	v_bfe_u32 v10, v8, 2, 5
	v_lshlrev_b32_e32 v8, v12, v8
	v_sub_u32_e32 v11, 30, v11
	v_and_b32_e32 v8, 3, v8
	v_cmp_eq_u32_e32 vcc, 0, v10
	v_cndmask_b32_e32 v10, v10, v11, vcc
	v_cndmask_b32_e32 v8, v9, v8, vcc
	v_lshlrev_b32_e32 v7, 16, v7
	v_mov_b32_e32 v9, 0x37800000
	v_lshlrev_b32_e32 v8, 21, v8
	v_and_b32_e32 v7, 0x80000000, v7
	v_lshl_add_u32 v9, v10, 23, v9
	v_or3_b32 v9, v7, v9, v8
.LBB259_394:
	s_or_b64 exec, exec, s[28:29]
	v_cmp_eq_f32_e64 s[26:27], s34, v9
	s_and_b64 vcc, exec, s[4:5]
	s_cbranch_vccz .LBB259_127
.LBB259_395:
                                        ; implicit-def: $sgpr28_sgpr29
	s_cbranch_execz .LBB259_144
; %bb.396:
	s_and_b32 s34, s14, 0xff
	s_cmpk_lt_i32 s34, 0x80
	s_cbranch_scc1 .LBB259_404
; %bb.397:
	s_and_b32 s28, 0xffff, s34
	s_cmpk_eq_i32 s28, 0x80
	s_mov_b64 s[28:29], -1
	s_cbranch_scc0 .LBB259_399
; %bb.398:
	s_mov_b64 s[28:29], 0
.LBB259_399:
	s_mov_b32 s36, 0x7f800001
	s_branch .LBB259_406
.LBB259_400:
	s_movk_i32 s26, 0x80
	v_cmp_eq_u16_sdwa s[36:37], v7, s26 src0_sel:BYTE_1 src1_sel:DWORD
	s_mov_b64 s[26:27], -1
	s_and_saveexec_b64 s[30:31], s[36:37]
; %bb.401:
	s_xor_b64 s[26:27], exec, -1
; %bb.402:
	s_or_b64 exec, exec, s[30:31]
	s_and_b64 s[26:27], s[26:27], exec
	s_or_saveexec_b64 s[28:29], s[28:29]
	v_mov_b32_e32 v9, 0x7f800001
	s_xor_b64 exec, exec, s[28:29]
	s_cbranch_execz .LBB259_392
.LBB259_403:
	v_mov_b32_e32 v9, 0
	v_cmp_ne_u16_sdwa s[30:31], v7, v9 src0_sel:BYTE_1 src1_sel:DWORD
	s_andn2_b64 s[26:27], s[26:27], exec
	s_and_b64 s[30:31], s[30:31], exec
	s_or_b64 s[26:27], s[26:27], s[30:31]
	s_or_b64 exec, exec, s[28:29]
	s_and_saveexec_b64 s[28:29], s[26:27]
	s_cbranch_execnz .LBB259_393
	s_branch .LBB259_394
.LBB259_404:
	s_mov_b64 s[28:29], 0
	s_mov_b32 s36, 0x7f800001
	s_cbranch_execz .LBB259_406
; %bb.405:
	s_and_b32 s28, 0xffff, s34
	s_cmp_lg_u32 s28, 0
	s_mov_b32 s36, 0
	s_cselect_b64 s[28:29], -1, 0
.LBB259_406:
	s_andn2_b64 vcc, exec, s[28:29]
	s_cbranch_vccnz .LBB259_408
; %bb.407:
	s_mov_b32 s36, s33
.LBB259_408:
	s_movk_i32 s28, 0x7f
	s_waitcnt vmcnt(4)
	v_cmp_gt_i16_sdwa s[30:31], v6, s28 src0_sel:BYTE_0 src1_sel:DWORD
	s_mov_b64 s[28:29], 0
	s_and_saveexec_b64 s[34:35], s[30:31]
	s_xor_b64 s[30:31], exec, s[34:35]
	s_cbranch_execnz .LBB259_418
; %bb.409:
	s_or_saveexec_b64 s[30:31], s[30:31]
	v_mov_b32_e32 v7, 0x7f800001
	s_xor_b64 exec, exec, s[30:31]
	s_cbranch_execnz .LBB259_421
.LBB259_410:
	s_or_b64 exec, exec, s[30:31]
	s_and_saveexec_b64 s[30:31], s[28:29]
	s_cbranch_execz .LBB259_412
.LBB259_411:
	s_mov_b32 s28, 0xffff
	v_and_b32_sdwa v7, s28, v6 dst_sel:DWORD dst_unused:UNUSED_PAD src0_sel:DWORD src1_sel:BYTE_0
	v_and_b32_e32 v8, 3, v7
	v_ffbh_u32_e32 v10, v8
	v_min_u32_e32 v10, 32, v10
	v_subrev_u32_e32 v11, 29, v10
	v_bfe_u32 v9, v7, 2, 5
	v_lshlrev_b32_e32 v7, v11, v7
	v_sub_u32_e32 v10, 30, v10
	v_and_b32_e32 v7, 3, v7
	v_cmp_eq_u32_e32 vcc, 0, v9
	v_cndmask_b32_e32 v9, v9, v10, vcc
	v_cndmask_b32_e32 v7, v8, v7, vcc
	v_lshlrev_b32_e32 v8, 24, v6
	v_mov_b32_e32 v10, 0x37800000
	v_lshlrev_b32_e32 v7, 21, v7
	v_and_b32_e32 v8, 0x80000000, v8
	v_lshl_add_u32 v9, v9, 23, v10
	v_or3_b32 v7, v8, v9, v7
.LBB259_412:
	s_or_b64 exec, exec, s[30:31]
	v_cmp_eq_f32_e64 s[28:29], s36, v7
	s_and_b64 vcc, exec, s[4:5]
	v_lshrrev_b16_e32 v7, 8, v6
	s_cbranch_vccz .LBB259_145
.LBB259_413:
                                        ; implicit-def: $sgpr30_sgpr31
	s_cbranch_execz .LBB259_162
; %bb.414:
	s_and_b32 s36, s14, 0xff
	s_cmpk_lt_i32 s36, 0x80
	s_cbranch_scc1 .LBB259_422
; %bb.415:
	s_and_b32 s30, 0xffff, s36
	s_cmpk_eq_i32 s30, 0x80
	s_mov_b64 s[30:31], -1
	s_cbranch_scc0 .LBB259_417
; %bb.416:
	s_mov_b64 s[30:31], 0
.LBB259_417:
	s_mov_b32 s38, 0x7f800001
	s_branch .LBB259_424
.LBB259_418:
	s_movk_i32 s28, 0x80
	v_cmp_eq_u16_sdwa s[38:39], v6, s28 src0_sel:BYTE_0 src1_sel:DWORD
	s_mov_b64 s[28:29], -1
	s_and_saveexec_b64 s[34:35], s[38:39]
; %bb.419:
	s_xor_b64 s[28:29], exec, -1
; %bb.420:
	s_or_b64 exec, exec, s[34:35]
	s_and_b64 s[28:29], s[28:29], exec
	s_or_saveexec_b64 s[30:31], s[30:31]
	v_mov_b32_e32 v7, 0x7f800001
	s_xor_b64 exec, exec, s[30:31]
	s_cbranch_execz .LBB259_410
.LBB259_421:
	v_mov_b32_e32 v7, 0
	v_cmp_ne_u16_sdwa s[34:35], v6, v7 src0_sel:BYTE_0 src1_sel:DWORD
	s_andn2_b64 s[28:29], s[28:29], exec
	s_and_b64 s[34:35], s[34:35], exec
	s_or_b64 s[28:29], s[28:29], s[34:35]
	s_or_b64 exec, exec, s[30:31]
	s_and_saveexec_b64 s[30:31], s[28:29]
	s_cbranch_execnz .LBB259_411
	s_branch .LBB259_412
.LBB259_422:
	s_mov_b64 s[30:31], 0
	s_mov_b32 s38, 0x7f800001
	s_cbranch_execz .LBB259_424
; %bb.423:
	s_and_b32 s30, 0xffff, s36
	s_cmp_lg_u32 s30, 0
	s_mov_b32 s38, 0
	s_cselect_b64 s[30:31], -1, 0
.LBB259_424:
	s_andn2_b64 vcc, exec, s[30:31]
	s_cbranch_vccnz .LBB259_426
; %bb.425:
	s_mov_b32 s38, s33
.LBB259_426:
	s_movk_i32 s30, 0x7f
	v_cmp_gt_i16_sdwa s[34:35], v6, s30 src0_sel:BYTE_1 src1_sel:DWORD
	s_mov_b64 s[30:31], 0
	s_and_saveexec_b64 s[36:37], s[34:35]
	s_xor_b64 s[34:35], exec, s[36:37]
	s_cbranch_execnz .LBB259_436
; %bb.427:
	s_or_saveexec_b64 s[34:35], s[34:35]
	v_mov_b32_e32 v8, 0x7f800001
	s_xor_b64 exec, exec, s[34:35]
	s_cbranch_execnz .LBB259_439
.LBB259_428:
	s_or_b64 exec, exec, s[34:35]
	s_and_saveexec_b64 s[34:35], s[30:31]
	s_cbranch_execz .LBB259_430
.LBB259_429:
	v_and_b32_e32 v8, 3, v7
	v_ffbh_u32_e32 v10, v8
	v_min_u32_e32 v10, 32, v10
	v_subrev_u32_e32 v11, 29, v10
	v_bfe_u32 v9, v7, 2, 5
	v_lshlrev_b32_e32 v7, v11, v7
	v_sub_u32_e32 v10, 30, v10
	v_and_b32_e32 v7, 3, v7
	v_cmp_eq_u32_e32 vcc, 0, v9
	v_cndmask_b32_e32 v9, v9, v10, vcc
	v_cndmask_b32_e32 v7, v8, v7, vcc
	v_lshlrev_b32_e32 v6, 16, v6
	v_mov_b32_e32 v8, 0x37800000
	v_lshlrev_b32_e32 v7, 21, v7
	v_and_b32_e32 v6, 0x80000000, v6
	v_lshl_add_u32 v8, v9, 23, v8
	v_or3_b32 v8, v6, v8, v7
.LBB259_430:
	s_or_b64 exec, exec, s[34:35]
	v_cmp_eq_f32_e64 s[30:31], s38, v8
	s_and_b64 vcc, exec, s[4:5]
	s_cbranch_vccz .LBB259_163
.LBB259_431:
                                        ; implicit-def: $sgpr34_sgpr35
	s_cbranch_execz .LBB259_180
; %bb.432:
	s_and_b32 s38, s14, 0xff
	s_cmpk_lt_i32 s38, 0x80
	s_cbranch_scc1 .LBB259_440
; %bb.433:
	s_and_b32 s34, 0xffff, s38
	s_cmpk_eq_i32 s34, 0x80
	s_mov_b64 s[34:35], -1
	s_cbranch_scc0 .LBB259_435
; %bb.434:
	s_mov_b64 s[34:35], 0
.LBB259_435:
	s_mov_b32 s40, 0x7f800001
	s_branch .LBB259_442
.LBB259_436:
	s_movk_i32 s30, 0x80
	v_cmp_eq_u16_sdwa s[40:41], v6, s30 src0_sel:BYTE_1 src1_sel:DWORD
	s_mov_b64 s[30:31], -1
	s_and_saveexec_b64 s[36:37], s[40:41]
; %bb.437:
	s_xor_b64 s[30:31], exec, -1
; %bb.438:
	s_or_b64 exec, exec, s[36:37]
	s_and_b64 s[30:31], s[30:31], exec
	s_or_saveexec_b64 s[34:35], s[34:35]
	v_mov_b32_e32 v8, 0x7f800001
	s_xor_b64 exec, exec, s[34:35]
	s_cbranch_execz .LBB259_428
.LBB259_439:
	v_mov_b32_e32 v8, 0
	v_cmp_ne_u16_sdwa s[36:37], v6, v8 src0_sel:BYTE_1 src1_sel:DWORD
	s_andn2_b64 s[30:31], s[30:31], exec
	s_and_b64 s[36:37], s[36:37], exec
	s_or_b64 s[30:31], s[30:31], s[36:37]
	s_or_b64 exec, exec, s[34:35]
	s_and_saveexec_b64 s[34:35], s[30:31]
	s_cbranch_execnz .LBB259_429
	s_branch .LBB259_430
.LBB259_440:
	s_mov_b64 s[34:35], 0
	s_mov_b32 s40, 0x7f800001
	s_cbranch_execz .LBB259_442
; %bb.441:
	s_and_b32 s34, 0xffff, s38
	s_cmp_lg_u32 s34, 0
	s_mov_b32 s40, 0
	s_cselect_b64 s[34:35], -1, 0
.LBB259_442:
	s_andn2_b64 vcc, exec, s[34:35]
	s_cbranch_vccnz .LBB259_444
; %bb.443:
	s_mov_b32 s40, s33
.LBB259_444:
	s_movk_i32 s34, 0x7f
	s_waitcnt vmcnt(3)
	v_cmp_gt_i16_sdwa s[36:37], v5, s34 src0_sel:BYTE_0 src1_sel:DWORD
	s_mov_b64 s[34:35], 0
	s_and_saveexec_b64 s[38:39], s[36:37]
	s_xor_b64 s[36:37], exec, s[38:39]
	s_cbranch_execnz .LBB259_454
; %bb.445:
	s_or_saveexec_b64 s[36:37], s[36:37]
	v_mov_b32_e32 v6, 0x7f800001
	s_xor_b64 exec, exec, s[36:37]
	s_cbranch_execnz .LBB259_457
.LBB259_446:
	s_or_b64 exec, exec, s[36:37]
	s_and_saveexec_b64 s[36:37], s[34:35]
	s_cbranch_execz .LBB259_448
.LBB259_447:
	s_mov_b32 s34, 0xffff
	v_and_b32_sdwa v6, s34, v5 dst_sel:DWORD dst_unused:UNUSED_PAD src0_sel:DWORD src1_sel:BYTE_0
	v_and_b32_e32 v7, 3, v6
	v_ffbh_u32_e32 v9, v7
	v_min_u32_e32 v9, 32, v9
	v_subrev_u32_e32 v10, 29, v9
	v_bfe_u32 v8, v6, 2, 5
	v_lshlrev_b32_e32 v6, v10, v6
	v_sub_u32_e32 v9, 30, v9
	v_and_b32_e32 v6, 3, v6
	v_cmp_eq_u32_e32 vcc, 0, v8
	v_cndmask_b32_e32 v8, v8, v9, vcc
	v_cndmask_b32_e32 v6, v7, v6, vcc
	v_lshlrev_b32_e32 v7, 24, v5
	v_mov_b32_e32 v9, 0x37800000
	v_lshlrev_b32_e32 v6, 21, v6
	v_and_b32_e32 v7, 0x80000000, v7
	v_lshl_add_u32 v8, v8, 23, v9
	v_or3_b32 v6, v7, v8, v6
.LBB259_448:
	s_or_b64 exec, exec, s[36:37]
	v_cmp_eq_f32_e64 s[34:35], s40, v6
	s_and_b64 vcc, exec, s[4:5]
	v_lshrrev_b16_e32 v6, 8, v5
	s_cbranch_vccz .LBB259_181
.LBB259_449:
                                        ; implicit-def: $sgpr36_sgpr37
	s_cbranch_execz .LBB259_198
; %bb.450:
	s_and_b32 s40, s14, 0xff
	s_cmpk_lt_i32 s40, 0x80
	s_cbranch_scc1 .LBB259_458
; %bb.451:
	s_and_b32 s36, 0xffff, s40
	s_cmpk_eq_i32 s36, 0x80
	s_mov_b64 s[36:37], -1
	s_cbranch_scc0 .LBB259_453
; %bb.452:
	s_mov_b64 s[36:37], 0
.LBB259_453:
	s_mov_b32 s42, 0x7f800001
	s_branch .LBB259_460
.LBB259_454:
	s_movk_i32 s34, 0x80
	v_cmp_eq_u16_sdwa s[42:43], v5, s34 src0_sel:BYTE_0 src1_sel:DWORD
	s_mov_b64 s[34:35], -1
	s_and_saveexec_b64 s[38:39], s[42:43]
; %bb.455:
	s_xor_b64 s[34:35], exec, -1
; %bb.456:
	s_or_b64 exec, exec, s[38:39]
	s_and_b64 s[34:35], s[34:35], exec
	s_or_saveexec_b64 s[36:37], s[36:37]
	v_mov_b32_e32 v6, 0x7f800001
	s_xor_b64 exec, exec, s[36:37]
	s_cbranch_execz .LBB259_446
.LBB259_457:
	v_mov_b32_e32 v6, 0
	v_cmp_ne_u16_sdwa s[38:39], v5, v6 src0_sel:BYTE_0 src1_sel:DWORD
	s_andn2_b64 s[34:35], s[34:35], exec
	s_and_b64 s[38:39], s[38:39], exec
	s_or_b64 s[34:35], s[34:35], s[38:39]
	s_or_b64 exec, exec, s[36:37]
	s_and_saveexec_b64 s[36:37], s[34:35]
	s_cbranch_execnz .LBB259_447
	s_branch .LBB259_448
.LBB259_458:
	s_mov_b64 s[36:37], 0
	s_mov_b32 s42, 0x7f800001
	s_cbranch_execz .LBB259_460
; %bb.459:
	s_and_b32 s36, 0xffff, s40
	s_cmp_lg_u32 s36, 0
	s_mov_b32 s42, 0
	s_cselect_b64 s[36:37], -1, 0
.LBB259_460:
	s_andn2_b64 vcc, exec, s[36:37]
	s_cbranch_vccnz .LBB259_462
; %bb.461:
	s_mov_b32 s42, s33
.LBB259_462:
	s_movk_i32 s36, 0x7f
	v_cmp_gt_i16_sdwa s[38:39], v5, s36 src0_sel:BYTE_1 src1_sel:DWORD
	s_mov_b64 s[36:37], 0
	s_and_saveexec_b64 s[40:41], s[38:39]
	s_xor_b64 s[38:39], exec, s[40:41]
	s_cbranch_execnz .LBB259_472
; %bb.463:
	s_or_saveexec_b64 s[38:39], s[38:39]
	v_mov_b32_e32 v7, 0x7f800001
	s_xor_b64 exec, exec, s[38:39]
	s_cbranch_execnz .LBB259_475
.LBB259_464:
	s_or_b64 exec, exec, s[38:39]
	s_and_saveexec_b64 s[38:39], s[36:37]
	s_cbranch_execz .LBB259_466
.LBB259_465:
	v_and_b32_e32 v7, 3, v6
	v_ffbh_u32_e32 v9, v7
	v_min_u32_e32 v9, 32, v9
	v_subrev_u32_e32 v10, 29, v9
	v_bfe_u32 v8, v6, 2, 5
	v_lshlrev_b32_e32 v6, v10, v6
	v_sub_u32_e32 v9, 30, v9
	v_and_b32_e32 v6, 3, v6
	v_cmp_eq_u32_e32 vcc, 0, v8
	v_cndmask_b32_e32 v8, v8, v9, vcc
	v_cndmask_b32_e32 v6, v7, v6, vcc
	v_lshlrev_b32_e32 v5, 16, v5
	v_mov_b32_e32 v7, 0x37800000
	v_lshlrev_b32_e32 v6, 21, v6
	v_and_b32_e32 v5, 0x80000000, v5
	v_lshl_add_u32 v7, v8, 23, v7
	v_or3_b32 v7, v5, v7, v6
.LBB259_466:
	s_or_b64 exec, exec, s[38:39]
	v_cmp_eq_f32_e64 s[36:37], s42, v7
	s_and_b64 vcc, exec, s[4:5]
	s_cbranch_vccz .LBB259_199
.LBB259_467:
                                        ; implicit-def: $sgpr38_sgpr39
	s_cbranch_execz .LBB259_216
; %bb.468:
	s_and_b32 s42, s14, 0xff
	s_cmpk_lt_i32 s42, 0x80
	s_cbranch_scc1 .LBB259_476
; %bb.469:
	s_and_b32 s38, 0xffff, s42
	s_cmpk_eq_i32 s38, 0x80
	s_mov_b64 s[38:39], -1
	s_cbranch_scc0 .LBB259_471
; %bb.470:
	s_mov_b64 s[38:39], 0
.LBB259_471:
	s_mov_b32 s44, 0x7f800001
	s_branch .LBB259_478
.LBB259_472:
	s_movk_i32 s36, 0x80
	v_cmp_eq_u16_sdwa s[44:45], v5, s36 src0_sel:BYTE_1 src1_sel:DWORD
	s_mov_b64 s[36:37], -1
	s_and_saveexec_b64 s[40:41], s[44:45]
; %bb.473:
	s_xor_b64 s[36:37], exec, -1
; %bb.474:
	s_or_b64 exec, exec, s[40:41]
	s_and_b64 s[36:37], s[36:37], exec
	s_or_saveexec_b64 s[38:39], s[38:39]
	v_mov_b32_e32 v7, 0x7f800001
	s_xor_b64 exec, exec, s[38:39]
	s_cbranch_execz .LBB259_464
.LBB259_475:
	v_mov_b32_e32 v7, 0
	v_cmp_ne_u16_sdwa s[40:41], v5, v7 src0_sel:BYTE_1 src1_sel:DWORD
	s_andn2_b64 s[36:37], s[36:37], exec
	s_and_b64 s[40:41], s[40:41], exec
	s_or_b64 s[36:37], s[36:37], s[40:41]
	s_or_b64 exec, exec, s[38:39]
	s_and_saveexec_b64 s[38:39], s[36:37]
	s_cbranch_execnz .LBB259_465
	s_branch .LBB259_466
.LBB259_476:
	s_mov_b64 s[38:39], 0
	s_mov_b32 s44, 0x7f800001
	s_cbranch_execz .LBB259_478
; %bb.477:
	s_and_b32 s38, 0xffff, s42
	s_cmp_lg_u32 s38, 0
	s_mov_b32 s44, 0
	s_cselect_b64 s[38:39], -1, 0
.LBB259_478:
	s_andn2_b64 vcc, exec, s[38:39]
	s_cbranch_vccnz .LBB259_480
; %bb.479:
	s_mov_b32 s44, s33
.LBB259_480:
	s_movk_i32 s38, 0x7f
	s_waitcnt vmcnt(2)
	v_cmp_gt_i16_sdwa s[40:41], v4, s38 src0_sel:BYTE_0 src1_sel:DWORD
	s_mov_b64 s[38:39], 0
	s_and_saveexec_b64 s[42:43], s[40:41]
	s_xor_b64 s[40:41], exec, s[42:43]
	s_cbranch_execnz .LBB259_490
; %bb.481:
	s_or_saveexec_b64 s[40:41], s[40:41]
	v_mov_b32_e32 v5, 0x7f800001
	s_xor_b64 exec, exec, s[40:41]
	s_cbranch_execnz .LBB259_493
.LBB259_482:
	s_or_b64 exec, exec, s[40:41]
	s_and_saveexec_b64 s[40:41], s[38:39]
	s_cbranch_execz .LBB259_484
.LBB259_483:
	s_mov_b32 s38, 0xffff
	v_and_b32_sdwa v5, s38, v4 dst_sel:DWORD dst_unused:UNUSED_PAD src0_sel:DWORD src1_sel:BYTE_0
	v_and_b32_e32 v6, 3, v5
	v_ffbh_u32_e32 v8, v6
	v_min_u32_e32 v8, 32, v8
	v_subrev_u32_e32 v9, 29, v8
	v_bfe_u32 v7, v5, 2, 5
	v_lshlrev_b32_e32 v5, v9, v5
	v_sub_u32_e32 v8, 30, v8
	v_and_b32_e32 v5, 3, v5
	v_cmp_eq_u32_e32 vcc, 0, v7
	v_cndmask_b32_e32 v7, v7, v8, vcc
	v_cndmask_b32_e32 v5, v6, v5, vcc
	v_lshlrev_b32_e32 v6, 24, v4
	v_mov_b32_e32 v8, 0x37800000
	v_lshlrev_b32_e32 v5, 21, v5
	v_and_b32_e32 v6, 0x80000000, v6
	v_lshl_add_u32 v7, v7, 23, v8
	v_or3_b32 v5, v6, v7, v5
.LBB259_484:
	s_or_b64 exec, exec, s[40:41]
	v_cmp_eq_f32_e64 s[38:39], s44, v5
	s_and_b64 vcc, exec, s[4:5]
	v_lshrrev_b16_e32 v5, 8, v4
	s_cbranch_vccz .LBB259_217
.LBB259_485:
                                        ; implicit-def: $sgpr40_sgpr41
	s_cbranch_execz .LBB259_234
; %bb.486:
	s_and_b32 s44, s14, 0xff
	s_cmpk_lt_i32 s44, 0x80
	s_cbranch_scc1 .LBB259_494
; %bb.487:
	s_and_b32 s40, 0xffff, s44
	s_cmpk_eq_i32 s40, 0x80
	s_mov_b64 s[40:41], -1
	s_cbranch_scc0 .LBB259_489
; %bb.488:
	s_mov_b64 s[40:41], 0
.LBB259_489:
	s_mov_b32 s46, 0x7f800001
	s_branch .LBB259_496
.LBB259_490:
	s_movk_i32 s38, 0x80
	v_cmp_eq_u16_sdwa s[46:47], v4, s38 src0_sel:BYTE_0 src1_sel:DWORD
	s_mov_b64 s[38:39], -1
	s_and_saveexec_b64 s[42:43], s[46:47]
; %bb.491:
	s_xor_b64 s[38:39], exec, -1
; %bb.492:
	s_or_b64 exec, exec, s[42:43]
	s_and_b64 s[38:39], s[38:39], exec
	s_or_saveexec_b64 s[40:41], s[40:41]
	v_mov_b32_e32 v5, 0x7f800001
	s_xor_b64 exec, exec, s[40:41]
	s_cbranch_execz .LBB259_482
.LBB259_493:
	v_mov_b32_e32 v5, 0
	v_cmp_ne_u16_sdwa s[42:43], v4, v5 src0_sel:BYTE_0 src1_sel:DWORD
	s_andn2_b64 s[38:39], s[38:39], exec
	s_and_b64 s[42:43], s[42:43], exec
	s_or_b64 s[38:39], s[38:39], s[42:43]
	s_or_b64 exec, exec, s[40:41]
	s_and_saveexec_b64 s[40:41], s[38:39]
	s_cbranch_execnz .LBB259_483
	s_branch .LBB259_484
.LBB259_494:
	s_mov_b64 s[40:41], 0
	s_mov_b32 s46, 0x7f800001
	s_cbranch_execz .LBB259_496
; %bb.495:
	s_and_b32 s40, 0xffff, s44
	s_cmp_lg_u32 s40, 0
	s_mov_b32 s46, 0
	s_cselect_b64 s[40:41], -1, 0
.LBB259_496:
	s_andn2_b64 vcc, exec, s[40:41]
	s_cbranch_vccnz .LBB259_498
; %bb.497:
	s_mov_b32 s46, s33
.LBB259_498:
	s_movk_i32 s40, 0x7f
	v_cmp_gt_i16_sdwa s[42:43], v4, s40 src0_sel:BYTE_1 src1_sel:DWORD
	s_mov_b64 s[40:41], 0
	s_and_saveexec_b64 s[44:45], s[42:43]
	s_xor_b64 s[42:43], exec, s[44:45]
	s_cbranch_execnz .LBB259_508
; %bb.499:
	s_or_saveexec_b64 s[42:43], s[42:43]
	v_mov_b32_e32 v6, 0x7f800001
	s_xor_b64 exec, exec, s[42:43]
	s_cbranch_execnz .LBB259_511
.LBB259_500:
	s_or_b64 exec, exec, s[42:43]
	s_and_saveexec_b64 s[42:43], s[40:41]
	s_cbranch_execz .LBB259_502
.LBB259_501:
	v_and_b32_e32 v6, 3, v5
	v_ffbh_u32_e32 v8, v6
	v_min_u32_e32 v8, 32, v8
	v_subrev_u32_e32 v9, 29, v8
	v_bfe_u32 v7, v5, 2, 5
	v_lshlrev_b32_e32 v5, v9, v5
	v_sub_u32_e32 v8, 30, v8
	v_and_b32_e32 v5, 3, v5
	v_cmp_eq_u32_e32 vcc, 0, v7
	v_cndmask_b32_e32 v7, v7, v8, vcc
	v_cndmask_b32_e32 v5, v6, v5, vcc
	v_lshlrev_b32_e32 v4, 16, v4
	v_mov_b32_e32 v6, 0x37800000
	v_lshlrev_b32_e32 v5, 21, v5
	v_and_b32_e32 v4, 0x80000000, v4
	v_lshl_add_u32 v6, v7, 23, v6
	v_or3_b32 v6, v4, v6, v5
.LBB259_502:
	s_or_b64 exec, exec, s[42:43]
	v_cmp_eq_f32_e64 s[40:41], s46, v6
	s_and_b64 vcc, exec, s[4:5]
	s_cbranch_vccz .LBB259_235
.LBB259_503:
                                        ; implicit-def: $sgpr42_sgpr43
	s_cbranch_execz .LBB259_252
; %bb.504:
	s_and_b32 s46, s14, 0xff
	s_cmpk_lt_i32 s46, 0x80
	s_cbranch_scc1 .LBB259_512
; %bb.505:
	s_and_b32 s42, 0xffff, s46
	s_cmpk_eq_i32 s42, 0x80
	s_mov_b64 s[42:43], -1
	s_cbranch_scc0 .LBB259_507
; %bb.506:
	s_mov_b64 s[42:43], 0
.LBB259_507:
	s_mov_b32 s48, 0x7f800001
	s_branch .LBB259_514
.LBB259_508:
	s_movk_i32 s40, 0x80
	v_cmp_eq_u16_sdwa s[48:49], v4, s40 src0_sel:BYTE_1 src1_sel:DWORD
	s_mov_b64 s[40:41], -1
	s_and_saveexec_b64 s[44:45], s[48:49]
; %bb.509:
	s_xor_b64 s[40:41], exec, -1
; %bb.510:
	s_or_b64 exec, exec, s[44:45]
	s_and_b64 s[40:41], s[40:41], exec
	s_or_saveexec_b64 s[42:43], s[42:43]
	v_mov_b32_e32 v6, 0x7f800001
	s_xor_b64 exec, exec, s[42:43]
	s_cbranch_execz .LBB259_500
.LBB259_511:
	v_mov_b32_e32 v6, 0
	v_cmp_ne_u16_sdwa s[44:45], v4, v6 src0_sel:BYTE_1 src1_sel:DWORD
	s_andn2_b64 s[40:41], s[40:41], exec
	s_and_b64 s[44:45], s[44:45], exec
	s_or_b64 s[40:41], s[40:41], s[44:45]
	s_or_b64 exec, exec, s[42:43]
	s_and_saveexec_b64 s[42:43], s[40:41]
	s_cbranch_execnz .LBB259_501
	s_branch .LBB259_502
.LBB259_512:
	s_mov_b64 s[42:43], 0
	s_mov_b32 s48, 0x7f800001
	s_cbranch_execz .LBB259_514
; %bb.513:
	s_and_b32 s42, 0xffff, s46
	s_cmp_lg_u32 s42, 0
	s_mov_b32 s48, 0
	s_cselect_b64 s[42:43], -1, 0
.LBB259_514:
	s_andn2_b64 vcc, exec, s[42:43]
	s_cbranch_vccnz .LBB259_516
; %bb.515:
	s_mov_b32 s48, s33
.LBB259_516:
	s_movk_i32 s42, 0x7f
	s_waitcnt vmcnt(1)
	v_cmp_gt_i16_sdwa s[44:45], v3, s42 src0_sel:BYTE_0 src1_sel:DWORD
	s_mov_b64 s[42:43], 0
	s_and_saveexec_b64 s[46:47], s[44:45]
	s_xor_b64 s[44:45], exec, s[46:47]
	s_cbranch_execnz .LBB259_526
; %bb.517:
	s_or_saveexec_b64 s[44:45], s[44:45]
	v_mov_b32_e32 v4, 0x7f800001
	s_xor_b64 exec, exec, s[44:45]
	s_cbranch_execnz .LBB259_529
.LBB259_518:
	s_or_b64 exec, exec, s[44:45]
	s_and_saveexec_b64 s[44:45], s[42:43]
	s_cbranch_execz .LBB259_520
.LBB259_519:
	s_mov_b32 s42, 0xffff
	v_and_b32_sdwa v4, s42, v3 dst_sel:DWORD dst_unused:UNUSED_PAD src0_sel:DWORD src1_sel:BYTE_0
	v_and_b32_e32 v5, 3, v4
	v_ffbh_u32_e32 v7, v5
	v_min_u32_e32 v7, 32, v7
	v_subrev_u32_e32 v8, 29, v7
	v_bfe_u32 v6, v4, 2, 5
	v_lshlrev_b32_e32 v4, v8, v4
	v_sub_u32_e32 v7, 30, v7
	v_and_b32_e32 v4, 3, v4
	v_cmp_eq_u32_e32 vcc, 0, v6
	v_cndmask_b32_e32 v6, v6, v7, vcc
	v_cndmask_b32_e32 v4, v5, v4, vcc
	v_lshlrev_b32_e32 v5, 24, v3
	v_mov_b32_e32 v7, 0x37800000
	v_lshlrev_b32_e32 v4, 21, v4
	v_and_b32_e32 v5, 0x80000000, v5
	v_lshl_add_u32 v6, v6, 23, v7
	v_or3_b32 v4, v5, v6, v4
.LBB259_520:
	s_or_b64 exec, exec, s[44:45]
	v_cmp_eq_f32_e64 s[42:43], s48, v4
	s_and_b64 vcc, exec, s[4:5]
	v_lshrrev_b16_e32 v4, 8, v3
	s_cbranch_vccz .LBB259_253
.LBB259_521:
                                        ; implicit-def: $sgpr44_sgpr45
	s_cbranch_execz .LBB259_270
; %bb.522:
	s_and_b32 s48, s14, 0xff
	s_cmpk_lt_i32 s48, 0x80
	s_cbranch_scc1 .LBB259_530
; %bb.523:
	s_and_b32 s44, 0xffff, s48
	s_cmpk_eq_i32 s44, 0x80
	s_mov_b64 s[44:45], -1
	s_cbranch_scc0 .LBB259_525
; %bb.524:
	s_mov_b64 s[44:45], 0
.LBB259_525:
	s_mov_b32 s50, 0x7f800001
	s_branch .LBB259_532
.LBB259_526:
	s_movk_i32 s42, 0x80
	v_cmp_eq_u16_sdwa s[50:51], v3, s42 src0_sel:BYTE_0 src1_sel:DWORD
	s_mov_b64 s[42:43], -1
	s_and_saveexec_b64 s[46:47], s[50:51]
; %bb.527:
	s_xor_b64 s[42:43], exec, -1
; %bb.528:
	s_or_b64 exec, exec, s[46:47]
	s_and_b64 s[42:43], s[42:43], exec
	s_or_saveexec_b64 s[44:45], s[44:45]
	v_mov_b32_e32 v4, 0x7f800001
	s_xor_b64 exec, exec, s[44:45]
	s_cbranch_execz .LBB259_518
.LBB259_529:
	v_mov_b32_e32 v4, 0
	v_cmp_ne_u16_sdwa s[46:47], v3, v4 src0_sel:BYTE_0 src1_sel:DWORD
	s_andn2_b64 s[42:43], s[42:43], exec
	s_and_b64 s[46:47], s[46:47], exec
	s_or_b64 s[42:43], s[42:43], s[46:47]
	s_or_b64 exec, exec, s[44:45]
	s_and_saveexec_b64 s[44:45], s[42:43]
	s_cbranch_execnz .LBB259_519
	s_branch .LBB259_520
.LBB259_530:
	s_mov_b64 s[44:45], 0
	s_mov_b32 s50, 0x7f800001
	s_cbranch_execz .LBB259_532
; %bb.531:
	s_and_b32 s44, 0xffff, s48
	s_cmp_lg_u32 s44, 0
	s_mov_b32 s50, 0
	s_cselect_b64 s[44:45], -1, 0
.LBB259_532:
	s_andn2_b64 vcc, exec, s[44:45]
	s_cbranch_vccnz .LBB259_534
; %bb.533:
	s_mov_b32 s50, s33
.LBB259_534:
	s_movk_i32 s44, 0x7f
	v_cmp_gt_i16_sdwa s[46:47], v3, s44 src0_sel:BYTE_1 src1_sel:DWORD
	s_mov_b64 s[44:45], 0
	s_and_saveexec_b64 s[48:49], s[46:47]
	s_xor_b64 s[46:47], exec, s[48:49]
	s_cbranch_execnz .LBB259_544
; %bb.535:
	s_or_saveexec_b64 s[46:47], s[46:47]
	v_mov_b32_e32 v5, 0x7f800001
	s_xor_b64 exec, exec, s[46:47]
	s_cbranch_execnz .LBB259_547
.LBB259_536:
	s_or_b64 exec, exec, s[46:47]
	s_and_saveexec_b64 s[46:47], s[44:45]
	s_cbranch_execz .LBB259_538
.LBB259_537:
	v_and_b32_e32 v5, 3, v4
	v_ffbh_u32_e32 v7, v5
	v_min_u32_e32 v7, 32, v7
	v_subrev_u32_e32 v8, 29, v7
	v_bfe_u32 v6, v4, 2, 5
	v_lshlrev_b32_e32 v4, v8, v4
	v_sub_u32_e32 v7, 30, v7
	v_and_b32_e32 v4, 3, v4
	v_cmp_eq_u32_e32 vcc, 0, v6
	v_cndmask_b32_e32 v6, v6, v7, vcc
	v_cndmask_b32_e32 v4, v5, v4, vcc
	v_lshlrev_b32_e32 v3, 16, v3
	v_mov_b32_e32 v5, 0x37800000
	v_lshlrev_b32_e32 v4, 21, v4
	v_and_b32_e32 v3, 0x80000000, v3
	v_lshl_add_u32 v5, v6, 23, v5
	v_or3_b32 v5, v3, v5, v4
.LBB259_538:
	s_or_b64 exec, exec, s[46:47]
	v_cmp_eq_f32_e64 s[44:45], s50, v5
	s_and_b64 vcc, exec, s[4:5]
	s_cbranch_vccz .LBB259_271
.LBB259_539:
                                        ; implicit-def: $sgpr46_sgpr47
	s_cbranch_execz .LBB259_288
; %bb.540:
	s_and_b32 s50, s14, 0xff
	s_cmpk_lt_i32 s50, 0x80
	s_cbranch_scc1 .LBB259_548
; %bb.541:
	s_and_b32 s46, 0xffff, s50
	s_cmpk_eq_i32 s46, 0x80
	s_mov_b64 s[46:47], -1
	s_cbranch_scc0 .LBB259_543
; %bb.542:
	s_mov_b64 s[46:47], 0
.LBB259_543:
	s_mov_b32 s52, 0x7f800001
	s_branch .LBB259_550
.LBB259_544:
	s_movk_i32 s44, 0x80
	v_cmp_eq_u16_sdwa s[52:53], v3, s44 src0_sel:BYTE_1 src1_sel:DWORD
	s_mov_b64 s[44:45], -1
	s_and_saveexec_b64 s[48:49], s[52:53]
; %bb.545:
	s_xor_b64 s[44:45], exec, -1
; %bb.546:
	s_or_b64 exec, exec, s[48:49]
	s_and_b64 s[44:45], s[44:45], exec
	s_or_saveexec_b64 s[46:47], s[46:47]
	v_mov_b32_e32 v5, 0x7f800001
	s_xor_b64 exec, exec, s[46:47]
	s_cbranch_execz .LBB259_536
.LBB259_547:
	v_mov_b32_e32 v5, 0
	v_cmp_ne_u16_sdwa s[48:49], v3, v5 src0_sel:BYTE_1 src1_sel:DWORD
	s_andn2_b64 s[44:45], s[44:45], exec
	s_and_b64 s[48:49], s[48:49], exec
	s_or_b64 s[44:45], s[44:45], s[48:49]
	s_or_b64 exec, exec, s[46:47]
	s_and_saveexec_b64 s[46:47], s[44:45]
	s_cbranch_execnz .LBB259_537
	s_branch .LBB259_538
.LBB259_548:
	s_mov_b64 s[46:47], 0
	s_mov_b32 s52, 0x7f800001
	s_cbranch_execz .LBB259_550
; %bb.549:
	s_and_b32 s46, 0xffff, s50
	s_cmp_lg_u32 s46, 0
	s_mov_b32 s52, 0
	s_cselect_b64 s[46:47], -1, 0
.LBB259_550:
	s_andn2_b64 vcc, exec, s[46:47]
	s_cbranch_vccnz .LBB259_552
; %bb.551:
	s_mov_b32 s52, s33
.LBB259_552:
	s_movk_i32 s46, 0x7f
	s_waitcnt vmcnt(0)
	v_cmp_gt_i16_sdwa s[48:49], v2, s46 src0_sel:BYTE_0 src1_sel:DWORD
	s_mov_b64 s[46:47], 0
	s_and_saveexec_b64 s[50:51], s[48:49]
	s_xor_b64 s[48:49], exec, s[50:51]
	s_cbranch_execnz .LBB259_562
; %bb.553:
	s_or_saveexec_b64 s[48:49], s[48:49]
	v_mov_b32_e32 v3, 0x7f800001
	s_xor_b64 exec, exec, s[48:49]
	s_cbranch_execnz .LBB259_565
.LBB259_554:
	s_or_b64 exec, exec, s[48:49]
	s_and_saveexec_b64 s[48:49], s[46:47]
	s_cbranch_execz .LBB259_556
.LBB259_555:
	s_mov_b32 s46, 0xffff
	v_and_b32_sdwa v3, s46, v2 dst_sel:DWORD dst_unused:UNUSED_PAD src0_sel:DWORD src1_sel:BYTE_0
	v_and_b32_e32 v4, 3, v3
	v_ffbh_u32_e32 v6, v4
	v_min_u32_e32 v6, 32, v6
	v_subrev_u32_e32 v7, 29, v6
	v_bfe_u32 v5, v3, 2, 5
	v_lshlrev_b32_e32 v3, v7, v3
	v_sub_u32_e32 v6, 30, v6
	v_and_b32_e32 v3, 3, v3
	v_cmp_eq_u32_e32 vcc, 0, v5
	v_cndmask_b32_e32 v5, v5, v6, vcc
	v_cndmask_b32_e32 v3, v4, v3, vcc
	v_lshlrev_b32_e32 v4, 24, v2
	v_mov_b32_e32 v6, 0x37800000
	v_lshlrev_b32_e32 v3, 21, v3
	v_and_b32_e32 v4, 0x80000000, v4
	v_lshl_add_u32 v5, v5, 23, v6
	v_or3_b32 v3, v4, v5, v3
.LBB259_556:
	s_or_b64 exec, exec, s[48:49]
	v_cmp_eq_f32_e64 s[46:47], s52, v3
	s_and_b64 vcc, exec, s[4:5]
	v_lshrrev_b16_e32 v3, 8, v2
	s_cbranch_vccz .LBB259_289
.LBB259_557:
                                        ; implicit-def: $sgpr4_sgpr5
	s_cbranch_execz .LBB259_575
; %bb.558:
	s_and_b32 s50, s14, 0xff
	s_cmpk_lt_i32 s50, 0x80
	s_cbranch_scc1 .LBB259_566
; %bb.559:
	s_and_b32 s4, 0xffff, s50
	s_cmpk_eq_i32 s4, 0x80
	s_mov_b64 s[4:5], -1
	s_cbranch_scc0 .LBB259_561
; %bb.560:
	s_mov_b64 s[4:5], 0
.LBB259_561:
	s_mov_b32 s52, 0x7f800001
	s_branch .LBB259_568
.LBB259_562:
	s_movk_i32 s46, 0x80
	v_cmp_eq_u16_sdwa s[54:55], v2, s46 src0_sel:BYTE_0 src1_sel:DWORD
	s_mov_b64 s[46:47], -1
	s_and_saveexec_b64 s[50:51], s[54:55]
; %bb.563:
	s_xor_b64 s[46:47], exec, -1
; %bb.564:
	s_or_b64 exec, exec, s[50:51]
	s_and_b64 s[46:47], s[46:47], exec
	s_or_saveexec_b64 s[48:49], s[48:49]
	v_mov_b32_e32 v3, 0x7f800001
	s_xor_b64 exec, exec, s[48:49]
	s_cbranch_execz .LBB259_554
.LBB259_565:
	v_mov_b32_e32 v3, 0
	v_cmp_ne_u16_sdwa s[50:51], v2, v3 src0_sel:BYTE_0 src1_sel:DWORD
	s_andn2_b64 s[46:47], s[46:47], exec
	s_and_b64 s[50:51], s[50:51], exec
	s_or_b64 s[46:47], s[46:47], s[50:51]
	s_or_b64 exec, exec, s[48:49]
	s_and_saveexec_b64 s[48:49], s[46:47]
	s_cbranch_execnz .LBB259_555
	s_branch .LBB259_556
.LBB259_566:
	s_mov_b64 s[4:5], 0
	s_mov_b32 s52, 0x7f800001
	s_cbranch_execz .LBB259_568
; %bb.567:
	s_and_b32 s4, 0xffff, s50
	s_cmp_lg_u32 s4, 0
	s_mov_b32 s52, 0
	s_cselect_b64 s[4:5], -1, 0
.LBB259_568:
	s_andn2_b64 vcc, exec, s[4:5]
	s_cbranch_vccnz .LBB259_570
; %bb.569:
	s_mov_b32 s52, s33
.LBB259_570:
	s_movk_i32 s4, 0x7f
	v_cmp_gt_i16_sdwa s[48:49], v2, s4 src0_sel:BYTE_1 src1_sel:DWORD
	s_mov_b64 s[4:5], 0
	s_and_saveexec_b64 s[50:51], s[48:49]
	s_xor_b64 s[48:49], exec, s[50:51]
	s_cbranch_execnz .LBB259_577
; %bb.571:
	s_or_saveexec_b64 s[48:49], s[48:49]
	v_mov_b32_e32 v4, 0x7f800001
	s_xor_b64 exec, exec, s[48:49]
	s_cbranch_execnz .LBB259_580
.LBB259_572:
	s_or_b64 exec, exec, s[48:49]
	s_and_saveexec_b64 s[48:49], s[4:5]
	s_cbranch_execz .LBB259_574
.LBB259_573:
	v_and_b32_e32 v4, 3, v3
	v_ffbh_u32_e32 v6, v4
	v_min_u32_e32 v6, 32, v6
	v_subrev_u32_e32 v7, 29, v6
	v_bfe_u32 v5, v3, 2, 5
	v_lshlrev_b32_e32 v3, v7, v3
	v_sub_u32_e32 v6, 30, v6
	v_and_b32_e32 v3, 3, v3
	v_cmp_eq_u32_e32 vcc, 0, v5
	v_cndmask_b32_e32 v5, v5, v6, vcc
	v_cndmask_b32_e32 v3, v4, v3, vcc
	v_lshlrev_b32_e32 v2, 16, v2
	v_mov_b32_e32 v4, 0x37800000
	v_lshlrev_b32_e32 v3, 21, v3
	v_and_b32_e32 v2, 0x80000000, v2
	v_lshl_add_u32 v4, v5, 23, v4
	v_or3_b32 v4, v2, v4, v3
.LBB259_574:
	s_or_b64 exec, exec, s[48:49]
	v_cmp_eq_f32_e64 s[4:5], s52, v4
.LBB259_575:
	v_cndmask_b32_e64 v2, 0, 1, s[22:23]
	v_lshlrev_b16_e32 v2, 8, v2
	v_cndmask_b32_e64 v3, 0, 1, s[20:21]
	v_or_b32_e32 v2, v3, v2
	v_cndmask_b32_e64 v3, 0, 1, s[10:11]
	v_lshlrev_b16_e32 v3, 8, v3
	v_cndmask_b32_e64 v4, 0, 1, s[8:9]
	v_or_b32_e32 v3, v4, v3
	;; [unrolled: 4-line block ×7, first 2 shown]
	v_cndmask_b32_e64 v9, 0, 1, s[44:45]
	s_add_u32 s4, s16, s15
	v_lshlrev_b16_e32 v9, 8, v9
	v_cndmask_b32_e64 v10, 0, 1, s[42:43]
	s_addc_u32 s5, s17, s12
	v_or_b32_e32 v9, v10, v9
	global_store_short v1, v3, s[4:5]
	global_store_short v1, v2, s[4:5] offset:512
	global_store_short v1, v5, s[4:5] offset:1024
	;; [unrolled: 1-line block ×7, first 2 shown]
	s_branch .LBB259_2
.LBB259_576:
	s_getpc_b64 s[4:5]
	s_add_u32 s4, s4, _ZN2at6native25elementwise_kernel_helperILb0ENS0_13AUnaryFunctorIN3c1015Float8_e5m2fnuzES4_bNS0_12_GLOBAL__N_116CompareEqFunctorIS4_EEEENS0_6memory8policies11unroll_baseILi256ESt5arrayIPcLm2EE23TrivialOffsetCalculatorILi1EjESG_NS9_15LoadWithoutCastENS9_16StoreWithoutCastELi16ELi1EEEEEvT0_T1_@rel32@lo+4
	s_addc_u32 s5, s5, _ZN2at6native25elementwise_kernel_helperILb0ENS0_13AUnaryFunctorIN3c1015Float8_e5m2fnuzES4_bNS0_12_GLOBAL__N_116CompareEqFunctorIS4_EEEENS0_6memory8policies11unroll_baseILi256ESt5arrayIPcLm2EE23TrivialOffsetCalculatorILi1EjESG_NS9_15LoadWithoutCastENS9_16StoreWithoutCastELi16ELi1EEEEEvT0_T1_@rel32@hi+12
	s_mov_b32 s12, s6
	v_mov_b32_e32 v31, v0
	v_mov_b32_e32 v0, s13
	;; [unrolled: 1-line block ×8, first 2 shown]
	s_swappc_b64 s[30:31], s[4:5]
	s_endpgm
.LBB259_577:
	s_movk_i32 s4, 0x80
	v_cmp_eq_u16_sdwa s[54:55], v2, s4 src0_sel:BYTE_1 src1_sel:DWORD
	s_mov_b64 s[4:5], -1
	s_and_saveexec_b64 s[50:51], s[54:55]
; %bb.578:
	s_xor_b64 s[4:5], exec, -1
; %bb.579:
	s_or_b64 exec, exec, s[50:51]
	s_and_b64 s[4:5], s[4:5], exec
	s_or_saveexec_b64 s[48:49], s[48:49]
	v_mov_b32_e32 v4, 0x7f800001
	s_xor_b64 exec, exec, s[48:49]
	s_cbranch_execz .LBB259_572
.LBB259_580:
	v_mov_b32_e32 v4, 0
	v_cmp_ne_u16_sdwa s[50:51], v2, v4 src0_sel:BYTE_1 src1_sel:DWORD
	s_andn2_b64 s[4:5], s[4:5], exec
	s_and_b64 s[50:51], s[50:51], exec
	s_or_b64 s[4:5], s[4:5], s[50:51]
	s_or_b64 exec, exec, s[48:49]
	s_and_saveexec_b64 s[48:49], s[4:5]
	s_cbranch_execnz .LBB259_573
	s_branch .LBB259_574
	.section	.rodata,"a",@progbits
	.p2align	6, 0x0
	.amdhsa_kernel _ZN2at6native29vectorized_elementwise_kernelILi2ENS0_13AUnaryFunctorIN3c1015Float8_e5m2fnuzES4_bNS0_12_GLOBAL__N_116CompareEqFunctorIS4_EEEESt5arrayIPcLm2EEEEviT0_T1_
		.amdhsa_group_segment_fixed_size 0
		.amdhsa_private_segment_fixed_size 0
		.amdhsa_kernarg_size 32
		.amdhsa_user_sgpr_count 6
		.amdhsa_user_sgpr_private_segment_buffer 1
		.amdhsa_user_sgpr_dispatch_ptr 0
		.amdhsa_user_sgpr_queue_ptr 0
		.amdhsa_user_sgpr_kernarg_segment_ptr 1
		.amdhsa_user_sgpr_dispatch_id 0
		.amdhsa_user_sgpr_flat_scratch_init 0
		.amdhsa_user_sgpr_private_segment_size 0
		.amdhsa_uses_dynamic_stack 0
		.amdhsa_system_sgpr_private_segment_wavefront_offset 0
		.amdhsa_system_sgpr_workgroup_id_x 1
		.amdhsa_system_sgpr_workgroup_id_y 0
		.amdhsa_system_sgpr_workgroup_id_z 0
		.amdhsa_system_sgpr_workgroup_info 0
		.amdhsa_system_vgpr_workitem_id 0
		.amdhsa_next_free_vgpr 32
		.amdhsa_next_free_sgpr 57
		.amdhsa_reserve_vcc 1
		.amdhsa_reserve_flat_scratch 0
		.amdhsa_float_round_mode_32 0
		.amdhsa_float_round_mode_16_64 0
		.amdhsa_float_denorm_mode_32 3
		.amdhsa_float_denorm_mode_16_64 3
		.amdhsa_dx10_clamp 1
		.amdhsa_ieee_mode 1
		.amdhsa_fp16_overflow 0
		.amdhsa_exception_fp_ieee_invalid_op 0
		.amdhsa_exception_fp_denorm_src 0
		.amdhsa_exception_fp_ieee_div_zero 0
		.amdhsa_exception_fp_ieee_overflow 0
		.amdhsa_exception_fp_ieee_underflow 0
		.amdhsa_exception_fp_ieee_inexact 0
		.amdhsa_exception_int_div_zero 0
	.end_amdhsa_kernel
	.section	.text._ZN2at6native29vectorized_elementwise_kernelILi2ENS0_13AUnaryFunctorIN3c1015Float8_e5m2fnuzES4_bNS0_12_GLOBAL__N_116CompareEqFunctorIS4_EEEESt5arrayIPcLm2EEEEviT0_T1_,"axG",@progbits,_ZN2at6native29vectorized_elementwise_kernelILi2ENS0_13AUnaryFunctorIN3c1015Float8_e5m2fnuzES4_bNS0_12_GLOBAL__N_116CompareEqFunctorIS4_EEEESt5arrayIPcLm2EEEEviT0_T1_,comdat
.Lfunc_end259:
	.size	_ZN2at6native29vectorized_elementwise_kernelILi2ENS0_13AUnaryFunctorIN3c1015Float8_e5m2fnuzES4_bNS0_12_GLOBAL__N_116CompareEqFunctorIS4_EEEESt5arrayIPcLm2EEEEviT0_T1_, .Lfunc_end259-_ZN2at6native29vectorized_elementwise_kernelILi2ENS0_13AUnaryFunctorIN3c1015Float8_e5m2fnuzES4_bNS0_12_GLOBAL__N_116CompareEqFunctorIS4_EEEESt5arrayIPcLm2EEEEviT0_T1_
                                        ; -- End function
	.set _ZN2at6native29vectorized_elementwise_kernelILi2ENS0_13AUnaryFunctorIN3c1015Float8_e5m2fnuzES4_bNS0_12_GLOBAL__N_116CompareEqFunctorIS4_EEEESt5arrayIPcLm2EEEEviT0_T1_.num_vgpr, max(32, .L_ZN2at6native25elementwise_kernel_helperILb0ENS0_13AUnaryFunctorIN3c1015Float8_e5m2fnuzES4_bNS0_12_GLOBAL__N_116CompareEqFunctorIS4_EEEENS0_6memory8policies11unroll_baseILi256ESt5arrayIPcLm2EE23TrivialOffsetCalculatorILi1EjESG_NS9_15LoadWithoutCastENS9_16StoreWithoutCastELi16ELi1EEEEEvT0_T1_.num_vgpr)
	.set _ZN2at6native29vectorized_elementwise_kernelILi2ENS0_13AUnaryFunctorIN3c1015Float8_e5m2fnuzES4_bNS0_12_GLOBAL__N_116CompareEqFunctorIS4_EEEESt5arrayIPcLm2EEEEviT0_T1_.num_agpr, max(0, .L_ZN2at6native25elementwise_kernel_helperILb0ENS0_13AUnaryFunctorIN3c1015Float8_e5m2fnuzES4_bNS0_12_GLOBAL__N_116CompareEqFunctorIS4_EEEENS0_6memory8policies11unroll_baseILi256ESt5arrayIPcLm2EE23TrivialOffsetCalculatorILi1EjESG_NS9_15LoadWithoutCastENS9_16StoreWithoutCastELi16ELi1EEEEEvT0_T1_.num_agpr)
	.set _ZN2at6native29vectorized_elementwise_kernelILi2ENS0_13AUnaryFunctorIN3c1015Float8_e5m2fnuzES4_bNS0_12_GLOBAL__N_116CompareEqFunctorIS4_EEEESt5arrayIPcLm2EEEEviT0_T1_.numbered_sgpr, max(56, .L_ZN2at6native25elementwise_kernel_helperILb0ENS0_13AUnaryFunctorIN3c1015Float8_e5m2fnuzES4_bNS0_12_GLOBAL__N_116CompareEqFunctorIS4_EEEENS0_6memory8policies11unroll_baseILi256ESt5arrayIPcLm2EE23TrivialOffsetCalculatorILi1EjESG_NS9_15LoadWithoutCastENS9_16StoreWithoutCastELi16ELi1EEEEEvT0_T1_.numbered_sgpr)
	.set _ZN2at6native29vectorized_elementwise_kernelILi2ENS0_13AUnaryFunctorIN3c1015Float8_e5m2fnuzES4_bNS0_12_GLOBAL__N_116CompareEqFunctorIS4_EEEESt5arrayIPcLm2EEEEviT0_T1_.num_named_barrier, max(0, .L_ZN2at6native25elementwise_kernel_helperILb0ENS0_13AUnaryFunctorIN3c1015Float8_e5m2fnuzES4_bNS0_12_GLOBAL__N_116CompareEqFunctorIS4_EEEENS0_6memory8policies11unroll_baseILi256ESt5arrayIPcLm2EE23TrivialOffsetCalculatorILi1EjESG_NS9_15LoadWithoutCastENS9_16StoreWithoutCastELi16ELi1EEEEEvT0_T1_.num_named_barrier)
	.set _ZN2at6native29vectorized_elementwise_kernelILi2ENS0_13AUnaryFunctorIN3c1015Float8_e5m2fnuzES4_bNS0_12_GLOBAL__N_116CompareEqFunctorIS4_EEEESt5arrayIPcLm2EEEEviT0_T1_.private_seg_size, 0+max(.L_ZN2at6native25elementwise_kernel_helperILb0ENS0_13AUnaryFunctorIN3c1015Float8_e5m2fnuzES4_bNS0_12_GLOBAL__N_116CompareEqFunctorIS4_EEEENS0_6memory8policies11unroll_baseILi256ESt5arrayIPcLm2EE23TrivialOffsetCalculatorILi1EjESG_NS9_15LoadWithoutCastENS9_16StoreWithoutCastELi16ELi1EEEEEvT0_T1_.private_seg_size)
	.set _ZN2at6native29vectorized_elementwise_kernelILi2ENS0_13AUnaryFunctorIN3c1015Float8_e5m2fnuzES4_bNS0_12_GLOBAL__N_116CompareEqFunctorIS4_EEEESt5arrayIPcLm2EEEEviT0_T1_.uses_vcc, or(1, .L_ZN2at6native25elementwise_kernel_helperILb0ENS0_13AUnaryFunctorIN3c1015Float8_e5m2fnuzES4_bNS0_12_GLOBAL__N_116CompareEqFunctorIS4_EEEENS0_6memory8policies11unroll_baseILi256ESt5arrayIPcLm2EE23TrivialOffsetCalculatorILi1EjESG_NS9_15LoadWithoutCastENS9_16StoreWithoutCastELi16ELi1EEEEEvT0_T1_.uses_vcc)
	.set _ZN2at6native29vectorized_elementwise_kernelILi2ENS0_13AUnaryFunctorIN3c1015Float8_e5m2fnuzES4_bNS0_12_GLOBAL__N_116CompareEqFunctorIS4_EEEESt5arrayIPcLm2EEEEviT0_T1_.uses_flat_scratch, or(0, .L_ZN2at6native25elementwise_kernel_helperILb0ENS0_13AUnaryFunctorIN3c1015Float8_e5m2fnuzES4_bNS0_12_GLOBAL__N_116CompareEqFunctorIS4_EEEENS0_6memory8policies11unroll_baseILi256ESt5arrayIPcLm2EE23TrivialOffsetCalculatorILi1EjESG_NS9_15LoadWithoutCastENS9_16StoreWithoutCastELi16ELi1EEEEEvT0_T1_.uses_flat_scratch)
	.set _ZN2at6native29vectorized_elementwise_kernelILi2ENS0_13AUnaryFunctorIN3c1015Float8_e5m2fnuzES4_bNS0_12_GLOBAL__N_116CompareEqFunctorIS4_EEEESt5arrayIPcLm2EEEEviT0_T1_.has_dyn_sized_stack, or(0, .L_ZN2at6native25elementwise_kernel_helperILb0ENS0_13AUnaryFunctorIN3c1015Float8_e5m2fnuzES4_bNS0_12_GLOBAL__N_116CompareEqFunctorIS4_EEEENS0_6memory8policies11unroll_baseILi256ESt5arrayIPcLm2EE23TrivialOffsetCalculatorILi1EjESG_NS9_15LoadWithoutCastENS9_16StoreWithoutCastELi16ELi1EEEEEvT0_T1_.has_dyn_sized_stack)
	.set _ZN2at6native29vectorized_elementwise_kernelILi2ENS0_13AUnaryFunctorIN3c1015Float8_e5m2fnuzES4_bNS0_12_GLOBAL__N_116CompareEqFunctorIS4_EEEESt5arrayIPcLm2EEEEviT0_T1_.has_recursion, or(0, .L_ZN2at6native25elementwise_kernel_helperILb0ENS0_13AUnaryFunctorIN3c1015Float8_e5m2fnuzES4_bNS0_12_GLOBAL__N_116CompareEqFunctorIS4_EEEENS0_6memory8policies11unroll_baseILi256ESt5arrayIPcLm2EE23TrivialOffsetCalculatorILi1EjESG_NS9_15LoadWithoutCastENS9_16StoreWithoutCastELi16ELi1EEEEEvT0_T1_.has_recursion)
	.set _ZN2at6native29vectorized_elementwise_kernelILi2ENS0_13AUnaryFunctorIN3c1015Float8_e5m2fnuzES4_bNS0_12_GLOBAL__N_116CompareEqFunctorIS4_EEEESt5arrayIPcLm2EEEEviT0_T1_.has_indirect_call, or(0, .L_ZN2at6native25elementwise_kernel_helperILb0ENS0_13AUnaryFunctorIN3c1015Float8_e5m2fnuzES4_bNS0_12_GLOBAL__N_116CompareEqFunctorIS4_EEEENS0_6memory8policies11unroll_baseILi256ESt5arrayIPcLm2EE23TrivialOffsetCalculatorILi1EjESG_NS9_15LoadWithoutCastENS9_16StoreWithoutCastELi16ELi1EEEEEvT0_T1_.has_indirect_call)
	.section	.AMDGPU.csdata,"",@progbits
; Kernel info:
; codeLenInByte = 12572
; TotalNumSgprs: 61
; NumVgprs: 32
; ScratchSize: 0
; MemoryBound: 0
; FloatMode: 240
; IeeeMode: 1
; LDSByteSize: 0 bytes/workgroup (compile time only)
; SGPRBlocks: 7
; VGPRBlocks: 7
; NumSGPRsForWavesPerEU: 61
; NumVGPRsForWavesPerEU: 32
; Occupancy: 8
; WaveLimiterHint : 1
; COMPUTE_PGM_RSRC2:SCRATCH_EN: 0
; COMPUTE_PGM_RSRC2:USER_SGPR: 6
; COMPUTE_PGM_RSRC2:TRAP_HANDLER: 0
; COMPUTE_PGM_RSRC2:TGID_X_EN: 1
; COMPUTE_PGM_RSRC2:TGID_Y_EN: 0
; COMPUTE_PGM_RSRC2:TGID_Z_EN: 0
; COMPUTE_PGM_RSRC2:TIDIG_COMP_CNT: 0
	.section	.text._ZN2at6native27unrolled_elementwise_kernelINS0_13AUnaryFunctorIN3c1015Float8_e5m2fnuzES4_bNS0_12_GLOBAL__N_116CompareEqFunctorIS4_EEEESt5arrayIPcLm2EELi4E23TrivialOffsetCalculatorILi1EjESD_NS0_6memory15LoadWithoutCastENSE_16StoreWithoutCastEEEviT_T0_T2_T3_T4_T5_,"axG",@progbits,_ZN2at6native27unrolled_elementwise_kernelINS0_13AUnaryFunctorIN3c1015Float8_e5m2fnuzES4_bNS0_12_GLOBAL__N_116CompareEqFunctorIS4_EEEESt5arrayIPcLm2EELi4E23TrivialOffsetCalculatorILi1EjESD_NS0_6memory15LoadWithoutCastENSE_16StoreWithoutCastEEEviT_T0_T2_T3_T4_T5_,comdat
	.globl	_ZN2at6native27unrolled_elementwise_kernelINS0_13AUnaryFunctorIN3c1015Float8_e5m2fnuzES4_bNS0_12_GLOBAL__N_116CompareEqFunctorIS4_EEEESt5arrayIPcLm2EELi4E23TrivialOffsetCalculatorILi1EjESD_NS0_6memory15LoadWithoutCastENSE_16StoreWithoutCastEEEviT_T0_T2_T3_T4_T5_ ; -- Begin function _ZN2at6native27unrolled_elementwise_kernelINS0_13AUnaryFunctorIN3c1015Float8_e5m2fnuzES4_bNS0_12_GLOBAL__N_116CompareEqFunctorIS4_EEEESt5arrayIPcLm2EELi4E23TrivialOffsetCalculatorILi1EjESD_NS0_6memory15LoadWithoutCastENSE_16StoreWithoutCastEEEviT_T0_T2_T3_T4_T5_
	.p2align	8
	.type	_ZN2at6native27unrolled_elementwise_kernelINS0_13AUnaryFunctorIN3c1015Float8_e5m2fnuzES4_bNS0_12_GLOBAL__N_116CompareEqFunctorIS4_EEEESt5arrayIPcLm2EELi4E23TrivialOffsetCalculatorILi1EjESD_NS0_6memory15LoadWithoutCastENSE_16StoreWithoutCastEEEviT_T0_T2_T3_T4_T5_,@function
_ZN2at6native27unrolled_elementwise_kernelINS0_13AUnaryFunctorIN3c1015Float8_e5m2fnuzES4_bNS0_12_GLOBAL__N_116CompareEqFunctorIS4_EEEESt5arrayIPcLm2EELi4E23TrivialOffsetCalculatorILi1EjESD_NS0_6memory15LoadWithoutCastENSE_16StoreWithoutCastEEEviT_T0_T2_T3_T4_T5_: ; @_ZN2at6native27unrolled_elementwise_kernelINS0_13AUnaryFunctorIN3c1015Float8_e5m2fnuzES4_bNS0_12_GLOBAL__N_116CompareEqFunctorIS4_EEEESt5arrayIPcLm2EELi4E23TrivialOffsetCalculatorILi1EjESD_NS0_6memory15LoadWithoutCastENSE_16StoreWithoutCastEEEviT_T0_T2_T3_T4_T5_
; %bb.0:
	s_load_dwordx8 s[8:15], s[4:5], 0x0
	s_waitcnt lgkmcnt(0)
	s_lshl_b32 s11, s6, 10
	v_mov_b32_e32 v3, 0
	v_or_b32_e32 v1, s11, v0
	v_mov_b32_e32 v2, 0
	s_sub_i32 s18, s8, s11
	v_cmp_gt_i32_e64 s[0:1], s18, v0
	v_mov_b32_e32 v4, 0
	v_mov_b32_e32 v6, 0
	;; [unrolled: 1-line block ×3, first 2 shown]
	s_and_saveexec_b64 s[2:3], s[0:1]
	s_cbranch_execz .LBB260_8
; %bb.1:
	global_load_ubyte v5, v1, s[14:15]
	v_or_b32_e32 v7, 0x100, v0
	v_cmp_gt_u32_e32 vcc, s18, v7
	v_mov_b32_e32 v6, 0
	v_mov_b32_e32 v4, 0
	;; [unrolled: 1-line block ×3, first 2 shown]
	s_and_saveexec_b64 s[4:5], vcc
	s_cbranch_execz .LBB260_7
; %bb.2:
	v_add_u32_e32 v2, s11, v7
	global_load_ubyte v6, v2, s[14:15]
	v_or_b32_e32 v7, 0x200, v0
	v_cmp_gt_u32_e32 vcc, s18, v7
	v_mov_b32_e32 v4, 0
	v_mov_b32_e32 v2, 0
	s_and_saveexec_b64 s[6:7], vcc
	s_cbranch_execz .LBB260_6
; %bb.3:
	v_add_u32_e32 v2, s11, v7
	global_load_ubyte v4, v2, s[14:15]
	v_or_b32_e32 v7, 0x300, v0
	v_cmp_gt_u32_e32 vcc, s18, v7
	v_mov_b32_e32 v2, 0
	s_and_saveexec_b64 s[16:17], vcc
	s_cbranch_execz .LBB260_5
; %bb.4:
	v_add_u32_e32 v2, s11, v7
	global_load_ubyte v2, v2, s[14:15]
.LBB260_5:
	s_or_b64 exec, exec, s[16:17]
.LBB260_6:
	s_or_b64 exec, exec, s[6:7]
.LBB260_7:
	s_or_b64 exec, exec, s[4:5]
.LBB260_8:
	s_or_b64 exec, exec, s[2:3]
	s_cmp_lg_u32 s9, 0
	s_cselect_b64 s[2:3], -1, 0
	s_and_b32 s4, s10, 3
	s_flbit_i32_b32 s6, s4
	s_min_u32 s6, s6, 32
	s_sub_i32 s7, s6, 29
	s_lshl_b32 s7, s10, s7
	s_bfe_u32 s5, s10, 0x50002
	s_sub_i32 s6, 30, s6
	s_and_b32 s7, s7, 3
	s_cmp_eq_u32 s5, 0
	s_cselect_b32 s5, s6, s5
	s_cselect_b32 s4, s7, s4
	s_lshl_b32 s6, s10, 24
	s_lshl_b32 s5, s5, 23
	s_and_b32 s6, s6, 0x80000000
	s_add_i32 s5, s5, 0x37800000
	s_lshl_b32 s4, s4, 21
	s_or_b32 s5, s6, s5
	s_or_b32 s16, s5, s4
	s_and_saveexec_b64 s[4:5], s[0:1]
	s_cbranch_execz .LBB260_42
; %bb.9:
	s_and_b64 vcc, exec, s[2:3]
	s_cbranch_vccz .LBB260_14
; %bb.10:
	s_and_b32 s14, s10, 0xff
	s_cmpk_lt_i32 s14, 0x80
	s_cbranch_scc1 .LBB260_15
; %bb.11:
	s_and_b32 s6, 0xffff, s14
	s_cmpk_eq_i32 s6, 0x80
	s_mov_b64 s[6:7], -1
	s_cbranch_scc0 .LBB260_13
; %bb.12:
	s_mov_b64 s[6:7], 0
.LBB260_13:
	s_mov_b32 s17, 0x7f800001
	s_branch .LBB260_17
.LBB260_14:
                                        ; implicit-def: $sgpr6_sgpr7
	s_cbranch_execnz .LBB260_24
	s_branch .LBB260_41
.LBB260_15:
	s_mov_b64 s[6:7], 0
	s_mov_b32 s17, 0x7f800001
	s_cbranch_execz .LBB260_17
; %bb.16:
	s_and_b32 s6, 0xffff, s14
	s_cmp_lg_u32 s6, 0
	s_mov_b32 s17, 0
	s_cselect_b64 s[6:7], -1, 0
.LBB260_17:
	s_andn2_b64 vcc, exec, s[6:7]
	s_cbranch_vccnz .LBB260_19
; %bb.18:
	s_mov_b32 s17, s16
.LBB260_19:
	s_movk_i32 s6, 0x7f
	s_waitcnt vmcnt(0)
	v_cmp_gt_i16_sdwa s[8:9], v5, s6 src0_sel:BYTE_0 src1_sel:DWORD
	s_mov_b64 s[6:7], 0
	s_and_saveexec_b64 s[14:15], s[8:9]
	s_xor_b64 s[8:9], exec, s[14:15]
	s_cbranch_execnz .LBB260_28
; %bb.20:
	s_or_saveexec_b64 s[8:9], s[8:9]
	v_mov_b32_e32 v3, 0x7f800001
	s_xor_b64 exec, exec, s[8:9]
	s_cbranch_execnz .LBB260_31
.LBB260_21:
	s_or_b64 exec, exec, s[8:9]
	s_and_saveexec_b64 s[8:9], s[6:7]
	s_cbranch_execz .LBB260_23
.LBB260_22:
	v_and_b32_e32 v7, 3, v5
	v_ffbh_u32_e32 v8, v7
	v_min_u32_e32 v8, 32, v8
	v_lshrrev_b16_e32 v3, 2, v5
	v_subrev_u32_e32 v9, 29, v8
	v_and_b32_e32 v3, 31, v3
	v_lshlrev_b32_e32 v9, v9, v5
	v_sub_u32_e32 v8, 30, v8
	v_and_b32_e32 v9, 3, v9
	v_cmp_eq_u32_e32 vcc, 0, v3
	v_cndmask_b32_e32 v3, v3, v8, vcc
	v_cndmask_b32_e32 v7, v7, v9, vcc
	v_lshlrev_b32_e32 v8, 24, v5
	v_mov_b32_e32 v9, 0x37800000
	v_lshlrev_b32_e32 v7, 21, v7
	v_and_b32_e32 v8, 0x80000000, v8
	v_lshl_add_u32 v3, v3, 23, v9
	v_or3_b32 v3, v8, v3, v7
.LBB260_23:
	s_or_b64 exec, exec, s[8:9]
	v_cmp_neq_f32_e64 s[6:7], s17, v3
	s_branch .LBB260_41
.LBB260_24:
	s_and_b32 s14, s10, 0xff
	s_cmpk_lt_i32 s14, 0x80
	s_cbranch_scc1 .LBB260_32
; %bb.25:
	s_and_b32 s6, 0xffff, s14
	s_cmpk_eq_i32 s6, 0x80
	s_mov_b64 s[6:7], -1
	s_cbranch_scc0 .LBB260_27
; %bb.26:
	s_mov_b64 s[6:7], 0
.LBB260_27:
	s_mov_b32 s17, 0x7f800001
	s_branch .LBB260_34
.LBB260_28:
	s_movk_i32 s6, 0x80
	v_cmp_eq_u16_sdwa s[20:21], v5, s6 src0_sel:BYTE_0 src1_sel:DWORD
	s_mov_b64 s[6:7], -1
	s_and_saveexec_b64 s[14:15], s[20:21]
; %bb.29:
	s_xor_b64 s[6:7], exec, -1
; %bb.30:
	s_or_b64 exec, exec, s[14:15]
	s_and_b64 s[6:7], s[6:7], exec
	s_or_saveexec_b64 s[8:9], s[8:9]
	v_mov_b32_e32 v3, 0x7f800001
	s_xor_b64 exec, exec, s[8:9]
	s_cbranch_execz .LBB260_21
.LBB260_31:
	v_mov_b32_e32 v3, 0
	v_cmp_ne_u16_sdwa s[14:15], v5, v3 src0_sel:BYTE_0 src1_sel:DWORD
	s_andn2_b64 s[6:7], s[6:7], exec
	s_and_b64 s[14:15], s[14:15], exec
	s_or_b64 s[6:7], s[6:7], s[14:15]
	s_or_b64 exec, exec, s[8:9]
	s_and_saveexec_b64 s[8:9], s[6:7]
	s_cbranch_execnz .LBB260_22
	s_branch .LBB260_23
.LBB260_32:
	s_mov_b64 s[6:7], 0
	s_mov_b32 s17, 0x7f800001
	s_cbranch_execz .LBB260_34
; %bb.33:
	s_and_b32 s6, 0xffff, s14
	s_cmp_lg_u32 s6, 0
	s_mov_b32 s17, 0
	s_cselect_b64 s[6:7], -1, 0
.LBB260_34:
	s_andn2_b64 vcc, exec, s[6:7]
	s_cbranch_vccnz .LBB260_36
; %bb.35:
	s_mov_b32 s17, s16
.LBB260_36:
	s_movk_i32 s6, 0x7f
	s_waitcnt vmcnt(0)
	v_cmp_gt_i16_sdwa s[8:9], v5, s6 src0_sel:BYTE_0 src1_sel:DWORD
	s_mov_b64 s[6:7], 0
	s_and_saveexec_b64 s[14:15], s[8:9]
	s_xor_b64 s[8:9], exec, s[14:15]
	s_cbranch_execnz .LBB260_66
; %bb.37:
	s_or_saveexec_b64 s[8:9], s[8:9]
	v_mov_b32_e32 v3, 0x7f800001
	s_xor_b64 exec, exec, s[8:9]
	s_cbranch_execnz .LBB260_69
.LBB260_38:
	s_or_b64 exec, exec, s[8:9]
	s_and_saveexec_b64 s[8:9], s[6:7]
	s_cbranch_execz .LBB260_40
.LBB260_39:
	v_and_b32_e32 v7, 3, v5
	v_ffbh_u32_e32 v8, v7
	v_min_u32_e32 v8, 32, v8
	v_lshrrev_b16_e32 v3, 2, v5
	v_subrev_u32_e32 v9, 29, v8
	v_and_b32_e32 v3, 31, v3
	v_lshlrev_b32_e32 v9, v9, v5
	v_sub_u32_e32 v8, 30, v8
	v_and_b32_e32 v9, 3, v9
	v_cmp_eq_u32_e32 vcc, 0, v3
	v_cndmask_b32_e32 v3, v3, v8, vcc
	v_cndmask_b32_e32 v7, v7, v9, vcc
	v_lshlrev_b32_e32 v5, 24, v5
	v_mov_b32_e32 v8, 0x37800000
	v_lshlrev_b32_e32 v7, 21, v7
	v_and_b32_e32 v5, 0x80000000, v5
	v_lshl_add_u32 v3, v3, 23, v8
	v_or3_b32 v3, v5, v3, v7
.LBB260_40:
	s_or_b64 exec, exec, s[8:9]
	v_cmp_eq_f32_e64 s[6:7], s17, v3
.LBB260_41:
	v_cndmask_b32_e64 v3, 0, 1, s[6:7]
.LBB260_42:
	s_or_b64 exec, exec, s[4:5]
	s_waitcnt vmcnt(0)
	v_or_b32_e32 v5, 0x100, v0
	v_cndmask_b32_e64 v7, 0, 1, s[2:3]
	v_cmp_gt_i32_e32 vcc, s18, v5
	v_cmp_ne_u32_e64 s[2:3], 1, v7
	s_and_saveexec_b64 s[4:5], vcc
	s_cbranch_execz .LBB260_80
; %bb.43:
	s_and_b64 vcc, exec, s[2:3]
	s_cbranch_vccnz .LBB260_48
; %bb.44:
	s_and_b32 s14, s10, 0xff
	s_cmpk_lt_i32 s14, 0x80
	s_cbranch_scc1 .LBB260_49
; %bb.45:
	s_and_b32 s6, 0xffff, s14
	s_cmpk_eq_i32 s6, 0x80
	s_mov_b64 s[6:7], -1
	s_cbranch_scc0 .LBB260_47
; %bb.46:
	s_mov_b64 s[6:7], 0
.LBB260_47:
	s_mov_b32 s17, 0x7f800001
	s_branch .LBB260_51
.LBB260_48:
                                        ; implicit-def: $sgpr6_sgpr7
	s_cbranch_execnz .LBB260_58
	s_branch .LBB260_79
.LBB260_49:
	s_mov_b64 s[6:7], 0
	s_mov_b32 s17, 0x7f800001
	s_cbranch_execz .LBB260_51
; %bb.50:
	s_and_b32 s6, 0xffff, s14
	s_cmp_lg_u32 s6, 0
	s_mov_b32 s17, 0
	s_cselect_b64 s[6:7], -1, 0
.LBB260_51:
	s_andn2_b64 vcc, exec, s[6:7]
	s_cbranch_vccnz .LBB260_53
; %bb.52:
	s_mov_b32 s17, s16
.LBB260_53:
	s_movk_i32 s6, 0x7f
	v_cmp_gt_i16_sdwa s[8:9], v6, s6 src0_sel:BYTE_0 src1_sel:DWORD
	s_mov_b64 s[6:7], 0
	s_and_saveexec_b64 s[14:15], s[8:9]
	s_xor_b64 s[8:9], exec, s[14:15]
	s_cbranch_execnz .LBB260_62
; %bb.54:
	s_or_saveexec_b64 s[8:9], s[8:9]
	v_mov_b32_e32 v7, 0x7f800001
	s_xor_b64 exec, exec, s[8:9]
	s_cbranch_execnz .LBB260_65
.LBB260_55:
	s_or_b64 exec, exec, s[8:9]
	s_and_saveexec_b64 s[8:9], s[6:7]
	s_cbranch_execz .LBB260_57
.LBB260_56:
	v_and_b32_e32 v8, 3, v6
	v_ffbh_u32_e32 v9, v8
	v_min_u32_e32 v9, 32, v9
	v_lshrrev_b16_e32 v7, 2, v6
	v_subrev_u32_e32 v10, 29, v9
	v_and_b32_e32 v7, 31, v7
	v_lshlrev_b32_e32 v10, v10, v6
	v_sub_u32_e32 v9, 30, v9
	v_and_b32_e32 v10, 3, v10
	v_cmp_eq_u32_e32 vcc, 0, v7
	v_cndmask_b32_e32 v7, v7, v9, vcc
	v_cndmask_b32_e32 v8, v8, v10, vcc
	v_lshlrev_b32_e32 v9, 24, v6
	v_mov_b32_e32 v10, 0x37800000
	v_lshlrev_b32_e32 v8, 21, v8
	v_and_b32_e32 v9, 0x80000000, v9
	v_lshl_add_u32 v7, v7, 23, v10
	v_or3_b32 v7, v9, v7, v8
.LBB260_57:
	s_or_b64 exec, exec, s[8:9]
	v_cmp_neq_f32_e64 s[6:7], s17, v7
	s_branch .LBB260_79
.LBB260_58:
	s_and_b32 s14, s10, 0xff
	s_cmpk_lt_i32 s14, 0x80
	s_cbranch_scc1 .LBB260_70
; %bb.59:
	s_and_b32 s6, 0xffff, s14
	s_cmpk_eq_i32 s6, 0x80
	s_mov_b64 s[6:7], -1
	s_cbranch_scc0 .LBB260_61
; %bb.60:
	s_mov_b64 s[6:7], 0
.LBB260_61:
	s_mov_b32 s17, 0x7f800001
	s_branch .LBB260_72
.LBB260_62:
	s_movk_i32 s6, 0x80
	v_cmp_eq_u16_sdwa s[20:21], v6, s6 src0_sel:BYTE_0 src1_sel:DWORD
	s_mov_b64 s[6:7], -1
	s_and_saveexec_b64 s[14:15], s[20:21]
; %bb.63:
	s_xor_b64 s[6:7], exec, -1
; %bb.64:
	s_or_b64 exec, exec, s[14:15]
	s_and_b64 s[6:7], s[6:7], exec
	s_or_saveexec_b64 s[8:9], s[8:9]
	v_mov_b32_e32 v7, 0x7f800001
	s_xor_b64 exec, exec, s[8:9]
	s_cbranch_execz .LBB260_55
.LBB260_65:
	v_mov_b32_e32 v7, 0
	v_cmp_ne_u16_sdwa s[14:15], v6, v7 src0_sel:BYTE_0 src1_sel:DWORD
	s_andn2_b64 s[6:7], s[6:7], exec
	s_and_b64 s[14:15], s[14:15], exec
	s_or_b64 s[6:7], s[6:7], s[14:15]
	s_or_b64 exec, exec, s[8:9]
	s_and_saveexec_b64 s[8:9], s[6:7]
	s_cbranch_execnz .LBB260_56
	s_branch .LBB260_57
.LBB260_66:
	s_movk_i32 s6, 0x80
	v_cmp_eq_u16_sdwa s[20:21], v5, s6 src0_sel:BYTE_0 src1_sel:DWORD
	s_mov_b64 s[6:7], -1
	s_and_saveexec_b64 s[14:15], s[20:21]
; %bb.67:
	s_xor_b64 s[6:7], exec, -1
; %bb.68:
	s_or_b64 exec, exec, s[14:15]
	s_and_b64 s[6:7], s[6:7], exec
	s_or_saveexec_b64 s[8:9], s[8:9]
	v_mov_b32_e32 v3, 0x7f800001
	s_xor_b64 exec, exec, s[8:9]
	s_cbranch_execz .LBB260_38
.LBB260_69:
	v_mov_b32_e32 v3, 0
	v_cmp_ne_u16_sdwa s[14:15], v5, v3 src0_sel:BYTE_0 src1_sel:DWORD
	s_andn2_b64 s[6:7], s[6:7], exec
	s_and_b64 s[14:15], s[14:15], exec
	s_or_b64 s[6:7], s[6:7], s[14:15]
	s_or_b64 exec, exec, s[8:9]
	s_and_saveexec_b64 s[8:9], s[6:7]
	s_cbranch_execnz .LBB260_39
	s_branch .LBB260_40
.LBB260_70:
	s_mov_b64 s[6:7], 0
	s_mov_b32 s17, 0x7f800001
	s_cbranch_execz .LBB260_72
; %bb.71:
	s_and_b32 s6, 0xffff, s14
	s_cmp_lg_u32 s6, 0
	s_mov_b32 s17, 0
	s_cselect_b64 s[6:7], -1, 0
.LBB260_72:
	s_andn2_b64 vcc, exec, s[6:7]
	s_cbranch_vccnz .LBB260_74
; %bb.73:
	s_mov_b32 s17, s16
.LBB260_74:
	s_movk_i32 s6, 0x7f
	v_cmp_gt_i16_sdwa s[8:9], v6, s6 src0_sel:BYTE_0 src1_sel:DWORD
	s_mov_b64 s[6:7], 0
	s_and_saveexec_b64 s[14:15], s[8:9]
	s_xor_b64 s[8:9], exec, s[14:15]
	s_cbranch_execnz .LBB260_104
; %bb.75:
	s_or_saveexec_b64 s[8:9], s[8:9]
	v_mov_b32_e32 v7, 0x7f800001
	s_xor_b64 exec, exec, s[8:9]
	s_cbranch_execnz .LBB260_107
.LBB260_76:
	s_or_b64 exec, exec, s[8:9]
	s_and_saveexec_b64 s[8:9], s[6:7]
	s_cbranch_execz .LBB260_78
.LBB260_77:
	v_and_b32_e32 v8, 3, v6
	v_ffbh_u32_e32 v9, v8
	v_min_u32_e32 v9, 32, v9
	v_lshrrev_b16_e32 v7, 2, v6
	v_subrev_u32_e32 v10, 29, v9
	v_and_b32_e32 v7, 31, v7
	v_lshlrev_b32_e32 v10, v10, v6
	v_sub_u32_e32 v9, 30, v9
	v_and_b32_e32 v10, 3, v10
	v_cmp_eq_u32_e32 vcc, 0, v7
	v_cndmask_b32_e32 v7, v7, v9, vcc
	v_cndmask_b32_e32 v8, v8, v10, vcc
	v_lshlrev_b32_e32 v6, 24, v6
	v_mov_b32_e32 v9, 0x37800000
	v_lshlrev_b32_e32 v8, 21, v8
	v_and_b32_e32 v6, 0x80000000, v6
	v_lshl_add_u32 v7, v7, 23, v9
	v_or3_b32 v7, v6, v7, v8
.LBB260_78:
	s_or_b64 exec, exec, s[8:9]
	v_cmp_eq_f32_e64 s[6:7], s17, v7
.LBB260_79:
	v_cndmask_b32_e64 v6, 0, 1, s[6:7]
	v_lshlrev_b16_e32 v6, 8, v6
	v_or_b32_e32 v3, v3, v6
	v_and_b32_e32 v3, 0xffff, v3
.LBB260_80:
	s_or_b64 exec, exec, s[4:5]
	v_or_b32_e32 v6, 0x200, v0
	v_cmp_gt_i32_e32 vcc, s18, v6
	s_and_saveexec_b64 s[4:5], vcc
	s_cbranch_execz .LBB260_118
; %bb.81:
	s_and_b64 vcc, exec, s[2:3]
	s_cbranch_vccnz .LBB260_86
; %bb.82:
	s_and_b32 s14, s10, 0xff
	s_cmpk_lt_i32 s14, 0x80
	s_cbranch_scc1 .LBB260_87
; %bb.83:
	s_and_b32 s6, 0xffff, s14
	s_cmpk_eq_i32 s6, 0x80
	s_mov_b64 s[6:7], -1
	s_cbranch_scc0 .LBB260_85
; %bb.84:
	s_mov_b64 s[6:7], 0
.LBB260_85:
	s_mov_b32 s17, 0x7f800001
	s_branch .LBB260_89
.LBB260_86:
                                        ; implicit-def: $sgpr6_sgpr7
	s_cbranch_execnz .LBB260_96
	s_branch .LBB260_117
.LBB260_87:
	s_mov_b64 s[6:7], 0
	s_mov_b32 s17, 0x7f800001
	s_cbranch_execz .LBB260_89
; %bb.88:
	s_and_b32 s6, 0xffff, s14
	s_cmp_lg_u32 s6, 0
	s_mov_b32 s17, 0
	s_cselect_b64 s[6:7], -1, 0
.LBB260_89:
	s_andn2_b64 vcc, exec, s[6:7]
	s_cbranch_vccnz .LBB260_91
; %bb.90:
	s_mov_b32 s17, s16
.LBB260_91:
	s_movk_i32 s6, 0x7f
	v_cmp_gt_i16_sdwa s[8:9], v4, s6 src0_sel:BYTE_0 src1_sel:DWORD
	s_mov_b64 s[6:7], 0
	s_and_saveexec_b64 s[14:15], s[8:9]
	s_xor_b64 s[8:9], exec, s[14:15]
	s_cbranch_execnz .LBB260_100
; %bb.92:
	s_or_saveexec_b64 s[8:9], s[8:9]
	v_mov_b32_e32 v6, 0x7f800001
	s_xor_b64 exec, exec, s[8:9]
	s_cbranch_execnz .LBB260_103
.LBB260_93:
	s_or_b64 exec, exec, s[8:9]
	s_and_saveexec_b64 s[8:9], s[6:7]
	s_cbranch_execz .LBB260_95
.LBB260_94:
	v_and_b32_e32 v7, 3, v4
	v_ffbh_u32_e32 v8, v7
	v_min_u32_e32 v8, 32, v8
	v_lshrrev_b16_e32 v6, 2, v4
	v_subrev_u32_e32 v9, 29, v8
	v_and_b32_e32 v6, 31, v6
	v_lshlrev_b32_e32 v9, v9, v4
	v_sub_u32_e32 v8, 30, v8
	v_and_b32_e32 v9, 3, v9
	v_cmp_eq_u32_e32 vcc, 0, v6
	v_cndmask_b32_e32 v6, v6, v8, vcc
	v_cndmask_b32_e32 v7, v7, v9, vcc
	v_lshlrev_b32_e32 v8, 24, v4
	v_mov_b32_e32 v9, 0x37800000
	v_lshlrev_b32_e32 v7, 21, v7
	v_and_b32_e32 v8, 0x80000000, v8
	v_lshl_add_u32 v6, v6, 23, v9
	v_or3_b32 v6, v8, v6, v7
.LBB260_95:
	s_or_b64 exec, exec, s[8:9]
	v_cmp_neq_f32_e64 s[6:7], s17, v6
	s_branch .LBB260_117
.LBB260_96:
	s_and_b32 s14, s10, 0xff
	s_cmpk_lt_i32 s14, 0x80
	s_cbranch_scc1 .LBB260_108
; %bb.97:
	s_and_b32 s6, 0xffff, s14
	s_cmpk_eq_i32 s6, 0x80
	s_mov_b64 s[6:7], -1
	s_cbranch_scc0 .LBB260_99
; %bb.98:
	s_mov_b64 s[6:7], 0
.LBB260_99:
	s_mov_b32 s17, 0x7f800001
	s_branch .LBB260_110
.LBB260_100:
	s_movk_i32 s6, 0x80
	v_cmp_eq_u16_sdwa s[20:21], v4, s6 src0_sel:BYTE_0 src1_sel:DWORD
	s_mov_b64 s[6:7], -1
	s_and_saveexec_b64 s[14:15], s[20:21]
; %bb.101:
	s_xor_b64 s[6:7], exec, -1
; %bb.102:
	s_or_b64 exec, exec, s[14:15]
	s_and_b64 s[6:7], s[6:7], exec
	s_or_saveexec_b64 s[8:9], s[8:9]
	v_mov_b32_e32 v6, 0x7f800001
	s_xor_b64 exec, exec, s[8:9]
	s_cbranch_execz .LBB260_93
.LBB260_103:
	v_mov_b32_e32 v6, 0
	v_cmp_ne_u16_sdwa s[14:15], v4, v6 src0_sel:BYTE_0 src1_sel:DWORD
	s_andn2_b64 s[6:7], s[6:7], exec
	s_and_b64 s[14:15], s[14:15], exec
	s_or_b64 s[6:7], s[6:7], s[14:15]
	s_or_b64 exec, exec, s[8:9]
	s_and_saveexec_b64 s[8:9], s[6:7]
	s_cbranch_execnz .LBB260_94
	s_branch .LBB260_95
.LBB260_104:
	s_movk_i32 s6, 0x80
	v_cmp_eq_u16_sdwa s[20:21], v6, s6 src0_sel:BYTE_0 src1_sel:DWORD
	s_mov_b64 s[6:7], -1
	s_and_saveexec_b64 s[14:15], s[20:21]
; %bb.105:
	s_xor_b64 s[6:7], exec, -1
; %bb.106:
	s_or_b64 exec, exec, s[14:15]
	s_and_b64 s[6:7], s[6:7], exec
	s_or_saveexec_b64 s[8:9], s[8:9]
	v_mov_b32_e32 v7, 0x7f800001
	s_xor_b64 exec, exec, s[8:9]
	s_cbranch_execz .LBB260_76
.LBB260_107:
	v_mov_b32_e32 v7, 0
	v_cmp_ne_u16_sdwa s[14:15], v6, v7 src0_sel:BYTE_0 src1_sel:DWORD
	s_andn2_b64 s[6:7], s[6:7], exec
	s_and_b64 s[14:15], s[14:15], exec
	s_or_b64 s[6:7], s[6:7], s[14:15]
	s_or_b64 exec, exec, s[8:9]
	s_and_saveexec_b64 s[8:9], s[6:7]
	s_cbranch_execnz .LBB260_77
	s_branch .LBB260_78
.LBB260_108:
	s_mov_b64 s[6:7], 0
	s_mov_b32 s17, 0x7f800001
	s_cbranch_execz .LBB260_110
; %bb.109:
	s_and_b32 s6, 0xffff, s14
	s_cmp_lg_u32 s6, 0
	s_mov_b32 s17, 0
	s_cselect_b64 s[6:7], -1, 0
.LBB260_110:
	s_andn2_b64 vcc, exec, s[6:7]
	s_cbranch_vccnz .LBB260_112
; %bb.111:
	s_mov_b32 s17, s16
.LBB260_112:
	s_movk_i32 s6, 0x7f
	v_cmp_gt_i16_sdwa s[8:9], v4, s6 src0_sel:BYTE_0 src1_sel:DWORD
	s_mov_b64 s[6:7], 0
	s_and_saveexec_b64 s[14:15], s[8:9]
	s_xor_b64 s[8:9], exec, s[14:15]
	s_cbranch_execnz .LBB260_142
; %bb.113:
	s_or_saveexec_b64 s[8:9], s[8:9]
	v_mov_b32_e32 v6, 0x7f800001
	s_xor_b64 exec, exec, s[8:9]
	s_cbranch_execnz .LBB260_145
.LBB260_114:
	s_or_b64 exec, exec, s[8:9]
	s_and_saveexec_b64 s[8:9], s[6:7]
	s_cbranch_execz .LBB260_116
.LBB260_115:
	v_and_b32_e32 v7, 3, v4
	v_ffbh_u32_e32 v8, v7
	v_min_u32_e32 v8, 32, v8
	v_lshrrev_b16_e32 v6, 2, v4
	v_subrev_u32_e32 v9, 29, v8
	v_and_b32_e32 v6, 31, v6
	v_lshlrev_b32_e32 v9, v9, v4
	v_sub_u32_e32 v8, 30, v8
	v_and_b32_e32 v9, 3, v9
	v_cmp_eq_u32_e32 vcc, 0, v6
	v_cndmask_b32_e32 v6, v6, v8, vcc
	v_cndmask_b32_e32 v7, v7, v9, vcc
	v_lshlrev_b32_e32 v4, 24, v4
	v_mov_b32_e32 v8, 0x37800000
	v_lshlrev_b32_e32 v7, 21, v7
	v_and_b32_e32 v4, 0x80000000, v4
	v_lshl_add_u32 v6, v6, 23, v8
	v_or3_b32 v6, v4, v6, v7
.LBB260_116:
	s_or_b64 exec, exec, s[8:9]
	v_cmp_eq_f32_e64 s[6:7], s17, v6
.LBB260_117:
	v_cndmask_b32_e64 v4, 0, 1, s[6:7]
	v_lshl_or_b32 v3, v4, 16, v3
.LBB260_118:
	s_or_b64 exec, exec, s[4:5]
	v_or_b32_e32 v4, 0x300, v0
	v_cmp_gt_i32_e32 vcc, s18, v4
	s_and_saveexec_b64 s[4:5], vcc
	s_cbranch_execz .LBB260_156
; %bb.119:
	s_and_b64 vcc, exec, s[2:3]
	s_cbranch_vccnz .LBB260_124
; %bb.120:
	s_and_b32 s8, s10, 0xff
	s_cmpk_lt_i32 s8, 0x80
	s_cbranch_scc1 .LBB260_125
; %bb.121:
	s_and_b32 s2, 0xffff, s8
	s_cmpk_eq_i32 s2, 0x80
	s_mov_b64 s[2:3], -1
	s_cbranch_scc0 .LBB260_123
; %bb.122:
	s_mov_b64 s[2:3], 0
.LBB260_123:
	s_mov_b32 s14, 0x7f800001
	s_branch .LBB260_127
.LBB260_124:
                                        ; implicit-def: $sgpr2_sgpr3
	s_cbranch_execnz .LBB260_134
	s_branch .LBB260_155
.LBB260_125:
	s_mov_b64 s[2:3], 0
	s_mov_b32 s14, 0x7f800001
	s_cbranch_execz .LBB260_127
; %bb.126:
	s_and_b32 s2, 0xffff, s8
	s_cmp_lg_u32 s2, 0
	s_mov_b32 s14, 0
	s_cselect_b64 s[2:3], -1, 0
.LBB260_127:
	s_andn2_b64 vcc, exec, s[2:3]
	s_cbranch_vccnz .LBB260_129
; %bb.128:
	s_mov_b32 s14, s16
.LBB260_129:
	s_movk_i32 s2, 0x7f
	v_cmp_gt_i16_sdwa s[6:7], v2, s2 src0_sel:BYTE_0 src1_sel:DWORD
	s_mov_b64 s[2:3], 0
	s_and_saveexec_b64 s[8:9], s[6:7]
	s_xor_b64 s[6:7], exec, s[8:9]
	s_cbranch_execnz .LBB260_138
; %bb.130:
	s_or_saveexec_b64 s[6:7], s[6:7]
	v_mov_b32_e32 v4, 0x7f800001
	s_xor_b64 exec, exec, s[6:7]
	s_cbranch_execnz .LBB260_141
.LBB260_131:
	s_or_b64 exec, exec, s[6:7]
	s_and_saveexec_b64 s[6:7], s[2:3]
	s_cbranch_execz .LBB260_133
.LBB260_132:
	v_and_b32_e32 v6, 3, v2
	v_ffbh_u32_e32 v7, v6
	v_min_u32_e32 v7, 32, v7
	v_lshrrev_b16_e32 v4, 2, v2
	v_subrev_u32_e32 v8, 29, v7
	v_and_b32_e32 v4, 31, v4
	v_lshlrev_b32_e32 v8, v8, v2
	v_sub_u32_e32 v7, 30, v7
	v_and_b32_e32 v8, 3, v8
	v_cmp_eq_u32_e32 vcc, 0, v4
	v_cndmask_b32_e32 v4, v4, v7, vcc
	v_cndmask_b32_e32 v6, v6, v8, vcc
	v_lshlrev_b32_e32 v7, 24, v2
	v_mov_b32_e32 v8, 0x37800000
	v_lshlrev_b32_e32 v6, 21, v6
	v_and_b32_e32 v7, 0x80000000, v7
	v_lshl_add_u32 v4, v4, 23, v8
	v_or3_b32 v4, v7, v4, v6
.LBB260_133:
	s_or_b64 exec, exec, s[6:7]
	v_cmp_neq_f32_e64 s[2:3], s14, v4
	s_branch .LBB260_155
.LBB260_134:
	s_and_b32 s8, s10, 0xff
	s_cmpk_lt_i32 s8, 0x80
	s_cbranch_scc1 .LBB260_146
; %bb.135:
	s_and_b32 s2, 0xffff, s8
	s_cmpk_eq_i32 s2, 0x80
	s_mov_b64 s[2:3], -1
	s_cbranch_scc0 .LBB260_137
; %bb.136:
	s_mov_b64 s[2:3], 0
.LBB260_137:
	s_mov_b32 s10, 0x7f800001
	s_branch .LBB260_148
.LBB260_138:
	s_movk_i32 s2, 0x80
	v_cmp_eq_u16_sdwa s[20:21], v2, s2 src0_sel:BYTE_0 src1_sel:DWORD
	s_mov_b64 s[2:3], -1
	s_and_saveexec_b64 s[8:9], s[20:21]
; %bb.139:
	s_xor_b64 s[2:3], exec, -1
; %bb.140:
	s_or_b64 exec, exec, s[8:9]
	s_and_b64 s[2:3], s[2:3], exec
	s_or_saveexec_b64 s[6:7], s[6:7]
	v_mov_b32_e32 v4, 0x7f800001
	s_xor_b64 exec, exec, s[6:7]
	s_cbranch_execz .LBB260_131
.LBB260_141:
	v_mov_b32_e32 v4, 0
	v_cmp_ne_u16_sdwa s[8:9], v2, v4 src0_sel:BYTE_0 src1_sel:DWORD
	s_andn2_b64 s[2:3], s[2:3], exec
	s_and_b64 s[8:9], s[8:9], exec
	s_or_b64 s[2:3], s[2:3], s[8:9]
	s_or_b64 exec, exec, s[6:7]
	s_and_saveexec_b64 s[6:7], s[2:3]
	s_cbranch_execnz .LBB260_132
	s_branch .LBB260_133
.LBB260_142:
	s_movk_i32 s6, 0x80
	v_cmp_eq_u16_sdwa s[20:21], v4, s6 src0_sel:BYTE_0 src1_sel:DWORD
	s_mov_b64 s[6:7], -1
	s_and_saveexec_b64 s[14:15], s[20:21]
; %bb.143:
	s_xor_b64 s[6:7], exec, -1
; %bb.144:
	s_or_b64 exec, exec, s[14:15]
	s_and_b64 s[6:7], s[6:7], exec
	s_or_saveexec_b64 s[8:9], s[8:9]
	v_mov_b32_e32 v6, 0x7f800001
	s_xor_b64 exec, exec, s[8:9]
	s_cbranch_execz .LBB260_114
.LBB260_145:
	v_mov_b32_e32 v6, 0
	v_cmp_ne_u16_sdwa s[14:15], v4, v6 src0_sel:BYTE_0 src1_sel:DWORD
	s_andn2_b64 s[6:7], s[6:7], exec
	s_and_b64 s[14:15], s[14:15], exec
	s_or_b64 s[6:7], s[6:7], s[14:15]
	s_or_b64 exec, exec, s[8:9]
	s_and_saveexec_b64 s[8:9], s[6:7]
	s_cbranch_execnz .LBB260_115
	s_branch .LBB260_116
.LBB260_146:
	s_mov_b64 s[2:3], 0
	s_mov_b32 s10, 0x7f800001
	s_cbranch_execz .LBB260_148
; %bb.147:
	s_and_b32 s2, 0xffff, s8
	s_cmp_lg_u32 s2, 0
	s_mov_b32 s10, 0
	s_cselect_b64 s[2:3], -1, 0
.LBB260_148:
	s_andn2_b64 vcc, exec, s[2:3]
	s_cbranch_vccnz .LBB260_150
; %bb.149:
	s_mov_b32 s10, s16
.LBB260_150:
	s_movk_i32 s2, 0x7f
	v_cmp_gt_i16_sdwa s[6:7], v2, s2 src0_sel:BYTE_0 src1_sel:DWORD
	s_mov_b64 s[2:3], 0
	s_and_saveexec_b64 s[8:9], s[6:7]
	s_xor_b64 s[6:7], exec, s[8:9]
	s_cbranch_execnz .LBB260_165
; %bb.151:
	s_or_saveexec_b64 s[6:7], s[6:7]
	v_mov_b32_e32 v4, 0x7f800001
	s_xor_b64 exec, exec, s[6:7]
	s_cbranch_execnz .LBB260_168
.LBB260_152:
	s_or_b64 exec, exec, s[6:7]
	s_and_saveexec_b64 s[6:7], s[2:3]
	s_cbranch_execz .LBB260_154
.LBB260_153:
	v_and_b32_e32 v6, 3, v2
	v_ffbh_u32_e32 v7, v6
	v_min_u32_e32 v7, 32, v7
	v_lshrrev_b16_e32 v4, 2, v2
	v_subrev_u32_e32 v8, 29, v7
	v_and_b32_e32 v4, 31, v4
	v_lshlrev_b32_e32 v8, v8, v2
	v_sub_u32_e32 v7, 30, v7
	v_and_b32_e32 v8, 3, v8
	v_cmp_eq_u32_e32 vcc, 0, v4
	v_cndmask_b32_e32 v4, v4, v7, vcc
	v_cndmask_b32_e32 v6, v6, v8, vcc
	v_lshlrev_b32_e32 v2, 24, v2
	v_mov_b32_e32 v7, 0x37800000
	v_lshlrev_b32_e32 v6, 21, v6
	v_and_b32_e32 v2, 0x80000000, v2
	v_lshl_add_u32 v4, v4, 23, v7
	v_or3_b32 v4, v2, v4, v6
.LBB260_154:
	s_or_b64 exec, exec, s[6:7]
	v_cmp_eq_f32_e64 s[2:3], s10, v4
.LBB260_155:
	v_cndmask_b32_e64 v2, 0, 1, s[2:3]
	v_lshlrev_b16_e32 v2, 8, v2
	v_or_b32_sdwa v2, v3, v2 dst_sel:WORD_1 dst_unused:UNUSED_PAD src0_sel:WORD_1 src1_sel:DWORD
	s_mov_b32 s2, 0xffff
	v_and_or_b32 v3, v3, s2, v2
.LBB260_156:
	s_or_b64 exec, exec, s[4:5]
	s_and_saveexec_b64 s[2:3], s[0:1]
	s_xor_b64 s[0:1], exec, s[2:3]
	s_cbranch_execz .LBB260_158
; %bb.157:
	v_mov_b32_e32 v0, v5
	global_store_byte v1, v3, s[12:13]
.LBB260_158:
	s_or_b64 exec, exec, s[0:1]
	v_cmp_gt_i32_e32 vcc, s18, v0
	s_and_saveexec_b64 s[0:1], vcc
	s_cbranch_execnz .LBB260_162
; %bb.159:
	s_or_b64 exec, exec, s[0:1]
	v_cmp_gt_i32_e32 vcc, s18, v0
	s_and_saveexec_b64 s[0:1], vcc
	s_cbranch_execnz .LBB260_163
.LBB260_160:
	s_or_b64 exec, exec, s[0:1]
	v_cmp_gt_i32_e32 vcc, s18, v0
	s_and_saveexec_b64 s[0:1], vcc
	s_cbranch_execnz .LBB260_164
.LBB260_161:
	s_endpgm
.LBB260_162:
	v_add_u32_e32 v1, 0x100, v0
	v_add_u32_e32 v0, s11, v0
	v_lshrrev_b32_e32 v2, 8, v3
	global_store_byte v0, v2, s[12:13]
	v_mov_b32_e32 v0, v1
	s_or_b64 exec, exec, s[0:1]
	v_cmp_gt_i32_e32 vcc, s18, v0
	s_and_saveexec_b64 s[0:1], vcc
	s_cbranch_execz .LBB260_160
.LBB260_163:
	v_add_u32_e32 v1, 0x100, v0
	v_add_u32_e32 v0, s11, v0
	global_store_byte_d16_hi v0, v3, s[12:13]
	v_mov_b32_e32 v0, v1
	s_or_b64 exec, exec, s[0:1]
	v_cmp_gt_i32_e32 vcc, s18, v0
	s_and_saveexec_b64 s[0:1], vcc
	s_cbranch_execz .LBB260_161
.LBB260_164:
	v_add_u32_e32 v0, s11, v0
	v_lshrrev_b32_e32 v1, 24, v3
	global_store_byte v0, v1, s[12:13]
	s_endpgm
.LBB260_165:
	s_movk_i32 s2, 0x80
	v_cmp_eq_u16_sdwa s[14:15], v2, s2 src0_sel:BYTE_0 src1_sel:DWORD
	s_mov_b64 s[2:3], -1
	s_and_saveexec_b64 s[8:9], s[14:15]
; %bb.166:
	s_xor_b64 s[2:3], exec, -1
; %bb.167:
	s_or_b64 exec, exec, s[8:9]
	s_and_b64 s[2:3], s[2:3], exec
	s_or_saveexec_b64 s[6:7], s[6:7]
	v_mov_b32_e32 v4, 0x7f800001
	s_xor_b64 exec, exec, s[6:7]
	s_cbranch_execz .LBB260_152
.LBB260_168:
	v_mov_b32_e32 v4, 0
	v_cmp_ne_u16_sdwa s[8:9], v2, v4 src0_sel:BYTE_0 src1_sel:DWORD
	s_andn2_b64 s[2:3], s[2:3], exec
	s_and_b64 s[8:9], s[8:9], exec
	s_or_b64 s[2:3], s[2:3], s[8:9]
	s_or_b64 exec, exec, s[6:7]
	s_and_saveexec_b64 s[6:7], s[2:3]
	s_cbranch_execnz .LBB260_153
	s_branch .LBB260_154
	.section	.rodata,"a",@progbits
	.p2align	6, 0x0
	.amdhsa_kernel _ZN2at6native27unrolled_elementwise_kernelINS0_13AUnaryFunctorIN3c1015Float8_e5m2fnuzES4_bNS0_12_GLOBAL__N_116CompareEqFunctorIS4_EEEESt5arrayIPcLm2EELi4E23TrivialOffsetCalculatorILi1EjESD_NS0_6memory15LoadWithoutCastENSE_16StoreWithoutCastEEEviT_T0_T2_T3_T4_T5_
		.amdhsa_group_segment_fixed_size 0
		.amdhsa_private_segment_fixed_size 0
		.amdhsa_kernarg_size 36
		.amdhsa_user_sgpr_count 6
		.amdhsa_user_sgpr_private_segment_buffer 1
		.amdhsa_user_sgpr_dispatch_ptr 0
		.amdhsa_user_sgpr_queue_ptr 0
		.amdhsa_user_sgpr_kernarg_segment_ptr 1
		.amdhsa_user_sgpr_dispatch_id 0
		.amdhsa_user_sgpr_flat_scratch_init 0
		.amdhsa_user_sgpr_private_segment_size 0
		.amdhsa_uses_dynamic_stack 0
		.amdhsa_system_sgpr_private_segment_wavefront_offset 0
		.amdhsa_system_sgpr_workgroup_id_x 1
		.amdhsa_system_sgpr_workgroup_id_y 0
		.amdhsa_system_sgpr_workgroup_id_z 0
		.amdhsa_system_sgpr_workgroup_info 0
		.amdhsa_system_vgpr_workitem_id 0
		.amdhsa_next_free_vgpr 11
		.amdhsa_next_free_sgpr 22
		.amdhsa_reserve_vcc 1
		.amdhsa_reserve_flat_scratch 0
		.amdhsa_float_round_mode_32 0
		.amdhsa_float_round_mode_16_64 0
		.amdhsa_float_denorm_mode_32 3
		.amdhsa_float_denorm_mode_16_64 3
		.amdhsa_dx10_clamp 1
		.amdhsa_ieee_mode 1
		.amdhsa_fp16_overflow 0
		.amdhsa_exception_fp_ieee_invalid_op 0
		.amdhsa_exception_fp_denorm_src 0
		.amdhsa_exception_fp_ieee_div_zero 0
		.amdhsa_exception_fp_ieee_overflow 0
		.amdhsa_exception_fp_ieee_underflow 0
		.amdhsa_exception_fp_ieee_inexact 0
		.amdhsa_exception_int_div_zero 0
	.end_amdhsa_kernel
	.section	.text._ZN2at6native27unrolled_elementwise_kernelINS0_13AUnaryFunctorIN3c1015Float8_e5m2fnuzES4_bNS0_12_GLOBAL__N_116CompareEqFunctorIS4_EEEESt5arrayIPcLm2EELi4E23TrivialOffsetCalculatorILi1EjESD_NS0_6memory15LoadWithoutCastENSE_16StoreWithoutCastEEEviT_T0_T2_T3_T4_T5_,"axG",@progbits,_ZN2at6native27unrolled_elementwise_kernelINS0_13AUnaryFunctorIN3c1015Float8_e5m2fnuzES4_bNS0_12_GLOBAL__N_116CompareEqFunctorIS4_EEEESt5arrayIPcLm2EELi4E23TrivialOffsetCalculatorILi1EjESD_NS0_6memory15LoadWithoutCastENSE_16StoreWithoutCastEEEviT_T0_T2_T3_T4_T5_,comdat
.Lfunc_end260:
	.size	_ZN2at6native27unrolled_elementwise_kernelINS0_13AUnaryFunctorIN3c1015Float8_e5m2fnuzES4_bNS0_12_GLOBAL__N_116CompareEqFunctorIS4_EEEESt5arrayIPcLm2EELi4E23TrivialOffsetCalculatorILi1EjESD_NS0_6memory15LoadWithoutCastENSE_16StoreWithoutCastEEEviT_T0_T2_T3_T4_T5_, .Lfunc_end260-_ZN2at6native27unrolled_elementwise_kernelINS0_13AUnaryFunctorIN3c1015Float8_e5m2fnuzES4_bNS0_12_GLOBAL__N_116CompareEqFunctorIS4_EEEESt5arrayIPcLm2EELi4E23TrivialOffsetCalculatorILi1EjESD_NS0_6memory15LoadWithoutCastENSE_16StoreWithoutCastEEEviT_T0_T2_T3_T4_T5_
                                        ; -- End function
	.set _ZN2at6native27unrolled_elementwise_kernelINS0_13AUnaryFunctorIN3c1015Float8_e5m2fnuzES4_bNS0_12_GLOBAL__N_116CompareEqFunctorIS4_EEEESt5arrayIPcLm2EELi4E23TrivialOffsetCalculatorILi1EjESD_NS0_6memory15LoadWithoutCastENSE_16StoreWithoutCastEEEviT_T0_T2_T3_T4_T5_.num_vgpr, 11
	.set _ZN2at6native27unrolled_elementwise_kernelINS0_13AUnaryFunctorIN3c1015Float8_e5m2fnuzES4_bNS0_12_GLOBAL__N_116CompareEqFunctorIS4_EEEESt5arrayIPcLm2EELi4E23TrivialOffsetCalculatorILi1EjESD_NS0_6memory15LoadWithoutCastENSE_16StoreWithoutCastEEEviT_T0_T2_T3_T4_T5_.num_agpr, 0
	.set _ZN2at6native27unrolled_elementwise_kernelINS0_13AUnaryFunctorIN3c1015Float8_e5m2fnuzES4_bNS0_12_GLOBAL__N_116CompareEqFunctorIS4_EEEESt5arrayIPcLm2EELi4E23TrivialOffsetCalculatorILi1EjESD_NS0_6memory15LoadWithoutCastENSE_16StoreWithoutCastEEEviT_T0_T2_T3_T4_T5_.numbered_sgpr, 22
	.set _ZN2at6native27unrolled_elementwise_kernelINS0_13AUnaryFunctorIN3c1015Float8_e5m2fnuzES4_bNS0_12_GLOBAL__N_116CompareEqFunctorIS4_EEEESt5arrayIPcLm2EELi4E23TrivialOffsetCalculatorILi1EjESD_NS0_6memory15LoadWithoutCastENSE_16StoreWithoutCastEEEviT_T0_T2_T3_T4_T5_.num_named_barrier, 0
	.set _ZN2at6native27unrolled_elementwise_kernelINS0_13AUnaryFunctorIN3c1015Float8_e5m2fnuzES4_bNS0_12_GLOBAL__N_116CompareEqFunctorIS4_EEEESt5arrayIPcLm2EELi4E23TrivialOffsetCalculatorILi1EjESD_NS0_6memory15LoadWithoutCastENSE_16StoreWithoutCastEEEviT_T0_T2_T3_T4_T5_.private_seg_size, 0
	.set _ZN2at6native27unrolled_elementwise_kernelINS0_13AUnaryFunctorIN3c1015Float8_e5m2fnuzES4_bNS0_12_GLOBAL__N_116CompareEqFunctorIS4_EEEESt5arrayIPcLm2EELi4E23TrivialOffsetCalculatorILi1EjESD_NS0_6memory15LoadWithoutCastENSE_16StoreWithoutCastEEEviT_T0_T2_T3_T4_T5_.uses_vcc, 1
	.set _ZN2at6native27unrolled_elementwise_kernelINS0_13AUnaryFunctorIN3c1015Float8_e5m2fnuzES4_bNS0_12_GLOBAL__N_116CompareEqFunctorIS4_EEEESt5arrayIPcLm2EELi4E23TrivialOffsetCalculatorILi1EjESD_NS0_6memory15LoadWithoutCastENSE_16StoreWithoutCastEEEviT_T0_T2_T3_T4_T5_.uses_flat_scratch, 0
	.set _ZN2at6native27unrolled_elementwise_kernelINS0_13AUnaryFunctorIN3c1015Float8_e5m2fnuzES4_bNS0_12_GLOBAL__N_116CompareEqFunctorIS4_EEEESt5arrayIPcLm2EELi4E23TrivialOffsetCalculatorILi1EjESD_NS0_6memory15LoadWithoutCastENSE_16StoreWithoutCastEEEviT_T0_T2_T3_T4_T5_.has_dyn_sized_stack, 0
	.set _ZN2at6native27unrolled_elementwise_kernelINS0_13AUnaryFunctorIN3c1015Float8_e5m2fnuzES4_bNS0_12_GLOBAL__N_116CompareEqFunctorIS4_EEEESt5arrayIPcLm2EELi4E23TrivialOffsetCalculatorILi1EjESD_NS0_6memory15LoadWithoutCastENSE_16StoreWithoutCastEEEviT_T0_T2_T3_T4_T5_.has_recursion, 0
	.set _ZN2at6native27unrolled_elementwise_kernelINS0_13AUnaryFunctorIN3c1015Float8_e5m2fnuzES4_bNS0_12_GLOBAL__N_116CompareEqFunctorIS4_EEEESt5arrayIPcLm2EELi4E23TrivialOffsetCalculatorILi1EjESD_NS0_6memory15LoadWithoutCastENSE_16StoreWithoutCastEEEviT_T0_T2_T3_T4_T5_.has_indirect_call, 0
	.section	.AMDGPU.csdata,"",@progbits
; Kernel info:
; codeLenInByte = 3568
; TotalNumSgprs: 26
; NumVgprs: 11
; ScratchSize: 0
; MemoryBound: 0
; FloatMode: 240
; IeeeMode: 1
; LDSByteSize: 0 bytes/workgroup (compile time only)
; SGPRBlocks: 3
; VGPRBlocks: 2
; NumSGPRsForWavesPerEU: 26
; NumVGPRsForWavesPerEU: 11
; Occupancy: 10
; WaveLimiterHint : 0
; COMPUTE_PGM_RSRC2:SCRATCH_EN: 0
; COMPUTE_PGM_RSRC2:USER_SGPR: 6
; COMPUTE_PGM_RSRC2:TRAP_HANDLER: 0
; COMPUTE_PGM_RSRC2:TGID_X_EN: 1
; COMPUTE_PGM_RSRC2:TGID_Y_EN: 0
; COMPUTE_PGM_RSRC2:TGID_Z_EN: 0
; COMPUTE_PGM_RSRC2:TIDIG_COMP_CNT: 0
	.section	.text._ZN2at6native32elementwise_kernel_manual_unrollILi128ELi8EZNS0_22gpu_kernel_impl_nocastINS0_13AUnaryFunctorIN3c1015Float8_e5m2fnuzES5_bNS0_12_GLOBAL__N_116CompareEqFunctorIS5_EEEEEEvRNS_18TensorIteratorBaseERKT_EUlibE_EEviT1_,"axG",@progbits,_ZN2at6native32elementwise_kernel_manual_unrollILi128ELi8EZNS0_22gpu_kernel_impl_nocastINS0_13AUnaryFunctorIN3c1015Float8_e5m2fnuzES5_bNS0_12_GLOBAL__N_116CompareEqFunctorIS5_EEEEEEvRNS_18TensorIteratorBaseERKT_EUlibE_EEviT1_,comdat
	.globl	_ZN2at6native32elementwise_kernel_manual_unrollILi128ELi8EZNS0_22gpu_kernel_impl_nocastINS0_13AUnaryFunctorIN3c1015Float8_e5m2fnuzES5_bNS0_12_GLOBAL__N_116CompareEqFunctorIS5_EEEEEEvRNS_18TensorIteratorBaseERKT_EUlibE_EEviT1_ ; -- Begin function _ZN2at6native32elementwise_kernel_manual_unrollILi128ELi8EZNS0_22gpu_kernel_impl_nocastINS0_13AUnaryFunctorIN3c1015Float8_e5m2fnuzES5_bNS0_12_GLOBAL__N_116CompareEqFunctorIS5_EEEEEEvRNS_18TensorIteratorBaseERKT_EUlibE_EEviT1_
	.p2align	8
	.type	_ZN2at6native32elementwise_kernel_manual_unrollILi128ELi8EZNS0_22gpu_kernel_impl_nocastINS0_13AUnaryFunctorIN3c1015Float8_e5m2fnuzES5_bNS0_12_GLOBAL__N_116CompareEqFunctorIS5_EEEEEEvRNS_18TensorIteratorBaseERKT_EUlibE_EEviT1_,@function
_ZN2at6native32elementwise_kernel_manual_unrollILi128ELi8EZNS0_22gpu_kernel_impl_nocastINS0_13AUnaryFunctorIN3c1015Float8_e5m2fnuzES5_bNS0_12_GLOBAL__N_116CompareEqFunctorIS5_EEEEEEvRNS_18TensorIteratorBaseERKT_EUlibE_EEviT1_: ; @_ZN2at6native32elementwise_kernel_manual_unrollILi128ELi8EZNS0_22gpu_kernel_impl_nocastINS0_13AUnaryFunctorIN3c1015Float8_e5m2fnuzES5_bNS0_12_GLOBAL__N_116CompareEqFunctorIS5_EEEEEEvRNS_18TensorIteratorBaseERKT_EUlibE_EEviT1_
; %bb.0:
	s_load_dword s59, s[4:5], 0x0
	s_load_dword s33, s[4:5], 0x8
	s_add_u32 s34, s4, 8
	s_addc_u32 s35, s5, 0
	v_lshl_or_b32 v7, s6, 10, v0
	v_or_b32_e32 v25, 0x380, v7
	s_waitcnt lgkmcnt(0)
	s_add_i32 s58, s33, -1
	s_cmp_gt_u32 s58, 1
	v_cmp_le_i32_e32 vcc, s59, v25
	s_cselect_b64 s[36:37], -1, 0
	s_and_saveexec_b64 s[0:1], vcc
	s_xor_b64 s[38:39], exec, s[0:1]
	s_cbranch_execz .LBB261_414
; %bb.1:
	s_load_dwordx4 s[20:23], s[34:35], 0x4
	s_load_dwordx2 s[44:45], s[34:35], 0x14
	s_load_dwordx2 s[40:41], s[34:35], 0x158
	s_cmp_lg_u32 s33, 0
	s_cselect_b64 s[50:51], -1, 0
	s_add_u32 s48, s34, 0xc4
	s_addc_u32 s49, s35, 0
	s_min_u32 s60, s58, 15
	s_cmp_gt_u32 s33, 1
	s_cselect_b64 s[46:47], -1, 0
	s_waitcnt lgkmcnt(0)
	s_cmp_lg_u32 s40, 0
	s_cselect_b64 s[42:43], -1, 0
	s_and_b32 s0, s41, 3
	s_flbit_i32_b32 s2, s0
	s_min_u32 s2, s2, 32
	s_sub_i32 s3, s2, 29
	s_lshl_b32 s3, s41, s3
	s_bfe_u32 s1, s41, 0x50002
	s_sub_i32 s2, 30, s2
	s_and_b32 s3, s3, 3
	s_cmp_eq_u32 s1, 0
	s_load_dwordx4 s[24:27], s[34:35], 0xc4
	s_load_dwordx4 s[16:19], s[34:35], 0x148
	s_cselect_b32 s1, s2, s1
	s_cselect_b32 s0, s3, s0
	s_lshl_b32 s2, s41, 24
	s_lshl_b32 s1, s1, 23
	s_and_b32 s2, s2, 0x80000000
	s_add_i32 s1, s1, 0x37800000
	s_lshl_b32 s0, s0, 21
	s_or_b32 s1, s2, s1
	s_or_b32 s40, s1, s0
	v_cmp_gt_i32_e32 vcc, s59, v7
	s_and_saveexec_b64 s[52:53], vcc
	s_cbranch_execnz .LBB261_9
; %bb.2:
	s_or_b64 exec, exec, s[52:53]
	v_cmp_gt_i32_e32 vcc, s59, v7
	s_and_saveexec_b64 s[52:53], vcc
	s_cbranch_execnz .LBB261_56
.LBB261_3:
	s_or_b64 exec, exec, s[52:53]
	v_cmp_gt_i32_e32 vcc, s59, v7
	s_and_saveexec_b64 s[52:53], vcc
	s_cbranch_execnz .LBB261_107
.LBB261_4:
	s_or_b64 exec, exec, s[52:53]
	v_cmp_gt_i32_e32 vcc, s59, v7
	s_and_saveexec_b64 s[52:53], vcc
	s_cbranch_execnz .LBB261_158
.LBB261_5:
	s_or_b64 exec, exec, s[52:53]
	v_cmp_gt_i32_e32 vcc, s59, v7
	s_and_saveexec_b64 s[52:53], vcc
	s_cbranch_execnz .LBB261_209
.LBB261_6:
	s_or_b64 exec, exec, s[52:53]
	v_cmp_gt_i32_e32 vcc, s59, v7
	s_and_saveexec_b64 s[52:53], vcc
	s_cbranch_execnz .LBB261_260
.LBB261_7:
	s_or_b64 exec, exec, s[52:53]
	v_cmp_gt_i32_e32 vcc, s59, v7
	s_and_saveexec_b64 s[52:53], vcc
	s_cbranch_execnz .LBB261_311
.LBB261_8:
	s_or_b64 exec, exec, s[52:53]
	v_cmp_gt_i32_e32 vcc, s59, v7
	s_and_saveexec_b64 s[52:53], vcc
	s_cbranch_execnz .LBB261_362
	s_branch .LBB261_413
.LBB261_9:
	s_andn2_b64 vcc, exec, s[36:37]
	s_cbranch_vccnz .LBB261_14
; %bb.10:
	s_andn2_b64 vcc, exec, s[50:51]
	s_cbranch_vccnz .LBB261_15
; %bb.11:
	s_add_i32 s62, s60, 1
	s_cmp_eq_u32 s58, 2
	s_cbranch_scc1 .LBB261_16
; %bb.12:
	s_and_b32 s61, s62, 28
	v_mov_b32_e32 v2, 0
	s_mov_b32 s63, 0
	s_mov_b64 s[54:55], s[34:35]
	s_mov_b64 s[56:57], s[48:49]
	v_mov_b32_e32 v0, 0
	v_mov_b32_e32 v1, v7
.LBB261_13:                             ; =>This Inner Loop Header: Depth=1
	s_load_dwordx8 s[8:15], s[54:55], 0x4
	s_load_dwordx4 s[28:31], s[54:55], 0x24
	s_load_dwordx8 s[0:7], s[56:57], 0x0
	s_add_u32 s54, s54, 48
	s_addc_u32 s55, s55, 0
	s_waitcnt lgkmcnt(0)
	v_mul_hi_u32 v3, s9, v1
	s_add_i32 s63, s63, 4
	s_add_u32 s56, s56, 32
	s_addc_u32 s57, s57, 0
	v_add_u32_e32 v3, v1, v3
	v_lshrrev_b32_e32 v3, s10, v3
	v_mul_lo_u32 v4, v3, s8
	v_mul_hi_u32 v5, s12, v3
	s_cmp_lg_u32 s61, s63
	v_sub_u32_e32 v1, v1, v4
	v_add_u32_e32 v4, v3, v5
	v_mul_lo_u32 v5, v1, s0
	v_mul_lo_u32 v6, v1, s1
	v_lshrrev_b32_e32 v1, s13, v4
	v_mul_lo_u32 v4, v1, s11
	v_mul_hi_u32 v8, s15, v1
	v_sub_u32_e32 v3, v3, v4
	v_add_u32_e32 v4, v1, v8
	v_lshrrev_b32_e32 v4, s28, v4
	v_mul_hi_u32 v9, s30, v4
	v_mul_lo_u32 v10, v4, s14
	v_mul_lo_u32 v8, v3, s2
	;; [unrolled: 1-line block ×3, first 2 shown]
	v_sub_u32_e32 v10, v1, v10
	v_add_u32_e32 v1, v4, v9
	v_lshrrev_b32_e32 v1, s31, v1
	v_mul_lo_u32 v9, v1, s29
	v_mul_lo_u32 v11, v10, s4
	;; [unrolled: 1-line block ×3, first 2 shown]
	v_add3_u32 v0, v5, v0, v8
	v_sub_u32_e32 v4, v4, v9
	v_mul_lo_u32 v9, v4, s6
	v_mul_lo_u32 v4, v4, s7
	v_add3_u32 v2, v6, v2, v3
	v_add3_u32 v0, v11, v0, v9
	;; [unrolled: 1-line block ×3, first 2 shown]
	s_cbranch_scc1 .LBB261_13
	s_branch .LBB261_17
.LBB261_14:
                                        ; implicit-def: $vgpr0
                                        ; implicit-def: $vgpr2
	s_branch .LBB261_21
.LBB261_15:
	v_mov_b32_e32 v0, 0
	v_mov_b32_e32 v2, 0
	s_branch .LBB261_20
.LBB261_16:
	s_mov_b32 s61, 0
	v_mov_b32_e32 v0, 0
	v_mov_b32_e32 v2, 0
	;; [unrolled: 1-line block ×3, first 2 shown]
.LBB261_17:
	s_and_b32 s4, s62, 3
	s_cmp_eq_u32 s4, 0
	s_cbranch_scc1 .LBB261_20
; %bb.18:
	s_lshl_b32 s0, s61, 3
	s_add_u32 s0, s34, s0
	s_addc_u32 s1, s35, 0
	s_add_u32 s0, s0, 0xc4
	s_addc_u32 s1, s1, 0
	s_mul_i32 s2, s61, 12
	s_add_u32 s2, s34, s2
	s_addc_u32 s3, s35, 0
.LBB261_19:                             ; =>This Inner Loop Header: Depth=1
	s_load_dwordx2 s[6:7], s[2:3], 0x4
	s_load_dword s5, s[2:3], 0xc
	s_load_dwordx2 s[8:9], s[0:1], 0x0
	s_add_u32 s2, s2, 12
	s_addc_u32 s3, s3, 0
	s_waitcnt lgkmcnt(0)
	v_mul_hi_u32 v3, s7, v1
	s_add_u32 s0, s0, 8
	s_addc_u32 s1, s1, 0
	s_add_i32 s4, s4, -1
	v_add_u32_e32 v3, v1, v3
	v_lshrrev_b32_e32 v4, s5, v3
	v_mul_lo_u32 v3, v4, s6
	s_cmp_lg_u32 s4, 0
	v_sub_u32_e32 v3, v1, v3
	v_mad_u64_u32 v[0:1], s[6:7], v3, s8, v[0:1]
	v_mad_u64_u32 v[2:3], s[6:7], v3, s9, v[2:3]
	v_mov_b32_e32 v1, v4
	s_cbranch_scc1 .LBB261_19
.LBB261_20:
	s_cbranch_execnz .LBB261_23
.LBB261_21:
	v_mul_hi_u32 v0, s21, v7
	s_andn2_b64 vcc, exec, s[46:47]
	v_add_u32_e32 v0, v7, v0
	v_lshrrev_b32_e32 v1, s22, v0
	v_mul_lo_u32 v0, v1, s20
	v_sub_u32_e32 v2, v7, v0
	s_waitcnt lgkmcnt(0)
	v_mul_lo_u32 v0, v2, s24
	v_mul_lo_u32 v2, v2, s25
	s_cbranch_vccnz .LBB261_23
; %bb.22:
	v_mul_hi_u32 v3, s44, v1
	v_add_u32_e32 v3, v1, v3
	v_lshrrev_b32_e32 v3, s45, v3
	v_mul_lo_u32 v3, v3, s23
	v_sub_u32_e32 v3, v1, v3
	v_mad_u64_u32 v[0:1], s[0:1], v3, s26, v[0:1]
	v_mad_u64_u32 v[2:3], s[0:1], v3, s27, v[2:3]
.LBB261_23:
	s_waitcnt lgkmcnt(0)
	global_load_ubyte v1, v2, s[18:19]
	s_and_b64 vcc, exec, s[42:43]
	s_cbranch_vccz .LBB261_28
; %bb.24:
	s_and_b32 s4, s41, 0xff
	s_cmpk_lt_i32 s4, 0x80
	s_cbranch_scc1 .LBB261_29
; %bb.25:
	s_and_b32 s0, 0xffff, s4
	s_cmpk_eq_i32 s0, 0x80
	s_mov_b64 s[0:1], -1
	s_cbranch_scc0 .LBB261_27
; %bb.26:
	s_mov_b64 s[0:1], 0
.LBB261_27:
	s_mov_b32 s6, 0x7f800001
	s_branch .LBB261_31
.LBB261_28:
                                        ; implicit-def: $sgpr0_sgpr1
	s_cbranch_execnz .LBB261_38
	s_branch .LBB261_55
.LBB261_29:
	s_mov_b64 s[0:1], 0
	s_mov_b32 s6, 0x7f800001
	s_cbranch_execz .LBB261_31
; %bb.30:
	s_and_b32 s0, 0xffff, s4
	s_cmp_lg_u32 s0, 0
	s_mov_b32 s6, 0
	s_cselect_b64 s[0:1], -1, 0
.LBB261_31:
	s_andn2_b64 vcc, exec, s[0:1]
	s_cbranch_vccnz .LBB261_33
; %bb.32:
	s_mov_b32 s6, s40
.LBB261_33:
	s_movk_i32 s0, 0x7f
	s_waitcnt vmcnt(0)
	v_cmp_gt_i16_sdwa s[2:3], v1, s0 src0_sel:BYTE_0 src1_sel:DWORD
	s_mov_b64 s[0:1], 0
	s_and_saveexec_b64 s[4:5], s[2:3]
	s_xor_b64 s[2:3], exec, s[4:5]
	s_cbranch_execnz .LBB261_42
; %bb.34:
	s_or_saveexec_b64 s[2:3], s[2:3]
	v_mov_b32_e32 v2, 0x7f800001
	s_xor_b64 exec, exec, s[2:3]
	s_cbranch_execnz .LBB261_45
.LBB261_35:
	s_or_b64 exec, exec, s[2:3]
	s_and_saveexec_b64 s[2:3], s[0:1]
	s_cbranch_execz .LBB261_37
.LBB261_36:
	v_and_b32_e32 v4, 3, v1
	v_ffbh_u32_e32 v5, v4
	v_min_u32_e32 v5, 32, v5
	v_lshrrev_b16_e32 v3, 2, v1
	v_subrev_u32_e32 v6, 29, v5
	v_and_b32_e32 v3, 31, v3
	v_lshlrev_b32_e32 v6, v6, v1
	v_sub_u32_e32 v5, 30, v5
	v_and_b32_e32 v6, 3, v6
	v_cmp_eq_u32_e32 vcc, 0, v3
	v_lshlrev_b32_e32 v2, 24, v1
	v_cndmask_b32_e32 v3, v3, v5, vcc
	v_cndmask_b32_e32 v4, v4, v6, vcc
	v_mov_b32_e32 v5, 0x37800000
	v_lshlrev_b32_e32 v4, 21, v4
	v_and_b32_e32 v2, 0x80000000, v2
	v_lshl_add_u32 v3, v3, 23, v5
	v_or3_b32 v2, v2, v3, v4
.LBB261_37:
	s_or_b64 exec, exec, s[2:3]
	v_cmp_neq_f32_e64 s[0:1], s6, v2
	s_branch .LBB261_55
.LBB261_38:
	s_and_b32 s4, s41, 0xff
	s_cmpk_lt_i32 s4, 0x80
	s_cbranch_scc1 .LBB261_46
; %bb.39:
	s_and_b32 s0, 0xffff, s4
	s_cmpk_eq_i32 s0, 0x80
	s_mov_b64 s[0:1], -1
	s_cbranch_scc0 .LBB261_41
; %bb.40:
	s_mov_b64 s[0:1], 0
.LBB261_41:
	s_mov_b32 s6, 0x7f800001
	s_branch .LBB261_48
.LBB261_42:
	s_movk_i32 s0, 0x80
	v_cmp_eq_u16_sdwa s[8:9], v1, s0 src0_sel:BYTE_0 src1_sel:DWORD
	s_mov_b64 s[0:1], -1
	s_and_saveexec_b64 s[4:5], s[8:9]
; %bb.43:
	s_xor_b64 s[0:1], exec, -1
; %bb.44:
	s_or_b64 exec, exec, s[4:5]
	s_and_b64 s[0:1], s[0:1], exec
	s_or_saveexec_b64 s[2:3], s[2:3]
	v_mov_b32_e32 v2, 0x7f800001
	s_xor_b64 exec, exec, s[2:3]
	s_cbranch_execz .LBB261_35
.LBB261_45:
	v_mov_b32_e32 v2, 0
	v_cmp_ne_u16_sdwa s[4:5], v1, v2 src0_sel:BYTE_0 src1_sel:DWORD
	s_andn2_b64 s[0:1], s[0:1], exec
	s_and_b64 s[4:5], s[4:5], exec
	s_or_b64 s[0:1], s[0:1], s[4:5]
	s_or_b64 exec, exec, s[2:3]
	s_and_saveexec_b64 s[2:3], s[0:1]
	s_cbranch_execnz .LBB261_36
	s_branch .LBB261_37
.LBB261_46:
	s_mov_b64 s[0:1], 0
	s_mov_b32 s6, 0x7f800001
	s_cbranch_execz .LBB261_48
; %bb.47:
	s_and_b32 s0, 0xffff, s4
	s_cmp_lg_u32 s0, 0
	s_mov_b32 s6, 0
	s_cselect_b64 s[0:1], -1, 0
.LBB261_48:
	s_andn2_b64 vcc, exec, s[0:1]
	s_cbranch_vccnz .LBB261_50
; %bb.49:
	s_mov_b32 s6, s40
.LBB261_50:
	s_movk_i32 s0, 0x7f
	s_waitcnt vmcnt(0)
	v_cmp_gt_i16_sdwa s[2:3], v1, s0 src0_sel:BYTE_0 src1_sel:DWORD
	s_mov_b64 s[0:1], 0
	s_and_saveexec_b64 s[4:5], s[2:3]
	s_xor_b64 s[2:3], exec, s[4:5]
	s_cbranch_execnz .LBB261_62
; %bb.51:
	s_or_saveexec_b64 s[2:3], s[2:3]
	v_mov_b32_e32 v2, 0x7f800001
	s_xor_b64 exec, exec, s[2:3]
	s_cbranch_execnz .LBB261_65
.LBB261_52:
	s_or_b64 exec, exec, s[2:3]
	s_and_saveexec_b64 s[2:3], s[0:1]
	s_cbranch_execz .LBB261_54
.LBB261_53:
	v_and_b32_e32 v4, 3, v1
	v_ffbh_u32_e32 v5, v4
	v_min_u32_e32 v5, 32, v5
	v_lshrrev_b16_e32 v3, 2, v1
	v_subrev_u32_e32 v6, 29, v5
	v_lshlrev_b32_e32 v2, 24, v1
	v_and_b32_e32 v3, 31, v3
	v_lshlrev_b32_e32 v1, v6, v1
	v_sub_u32_e32 v5, 30, v5
	v_and_b32_e32 v1, 3, v1
	v_cmp_eq_u32_e32 vcc, 0, v3
	v_cndmask_b32_e32 v3, v3, v5, vcc
	v_cndmask_b32_e32 v1, v4, v1, vcc
	v_mov_b32_e32 v4, 0x37800000
	v_lshlrev_b32_e32 v1, 21, v1
	v_and_b32_e32 v2, 0x80000000, v2
	v_lshl_add_u32 v3, v3, 23, v4
	v_or3_b32 v2, v2, v3, v1
.LBB261_54:
	s_or_b64 exec, exec, s[2:3]
	v_cmp_eq_f32_e64 s[0:1], s6, v2
.LBB261_55:
	s_waitcnt vmcnt(0)
	v_cndmask_b32_e64 v1, 0, 1, s[0:1]
	v_add_u32_e32 v7, 0x80, v7
	global_store_byte v0, v1, s[16:17]
	s_or_b64 exec, exec, s[52:53]
	v_cmp_gt_i32_e32 vcc, s59, v7
	s_and_saveexec_b64 s[52:53], vcc
	s_cbranch_execz .LBB261_3
.LBB261_56:
	s_andn2_b64 vcc, exec, s[36:37]
	s_cbranch_vccnz .LBB261_61
; %bb.57:
	s_andn2_b64 vcc, exec, s[50:51]
	s_cbranch_vccnz .LBB261_66
; %bb.58:
	s_add_i32 s62, s60, 1
	s_cmp_eq_u32 s58, 2
	s_cbranch_scc1 .LBB261_67
; %bb.59:
	s_and_b32 s61, s62, 28
	v_mov_b32_e32 v2, 0
	s_mov_b32 s63, 0
	s_mov_b64 s[54:55], s[34:35]
	s_mov_b64 s[56:57], s[48:49]
	v_mov_b32_e32 v0, 0
	v_mov_b32_e32 v1, v7
.LBB261_60:                             ; =>This Inner Loop Header: Depth=1
	s_load_dwordx8 s[8:15], s[54:55], 0x4
	s_load_dwordx4 s[28:31], s[54:55], 0x24
	s_load_dwordx8 s[0:7], s[56:57], 0x0
	s_add_u32 s54, s54, 48
	s_addc_u32 s55, s55, 0
	s_waitcnt lgkmcnt(0)
	v_mul_hi_u32 v3, s9, v1
	s_add_i32 s63, s63, 4
	s_add_u32 s56, s56, 32
	s_addc_u32 s57, s57, 0
	v_add_u32_e32 v3, v1, v3
	v_lshrrev_b32_e32 v3, s10, v3
	v_mul_lo_u32 v4, v3, s8
	v_mul_hi_u32 v5, s12, v3
	s_cmp_eq_u32 s61, s63
	v_sub_u32_e32 v1, v1, v4
	v_add_u32_e32 v4, v3, v5
	v_mul_lo_u32 v5, v1, s0
	v_mul_lo_u32 v6, v1, s1
	v_lshrrev_b32_e32 v1, s13, v4
	v_mul_lo_u32 v4, v1, s11
	v_mul_hi_u32 v8, s15, v1
	v_sub_u32_e32 v3, v3, v4
	v_add_u32_e32 v4, v1, v8
	v_lshrrev_b32_e32 v4, s28, v4
	v_mul_hi_u32 v9, s30, v4
	v_mul_lo_u32 v10, v4, s14
	v_mul_lo_u32 v8, v3, s2
	;; [unrolled: 1-line block ×3, first 2 shown]
	v_sub_u32_e32 v10, v1, v10
	v_add_u32_e32 v1, v4, v9
	v_lshrrev_b32_e32 v1, s31, v1
	v_mul_lo_u32 v9, v1, s29
	v_mul_lo_u32 v11, v10, s4
	;; [unrolled: 1-line block ×3, first 2 shown]
	v_add3_u32 v0, v5, v0, v8
	v_sub_u32_e32 v4, v4, v9
	v_mul_lo_u32 v9, v4, s6
	v_mul_lo_u32 v4, v4, s7
	v_add3_u32 v2, v6, v2, v3
	v_add3_u32 v0, v11, v0, v9
	v_add3_u32 v2, v10, v2, v4
	s_cbranch_scc0 .LBB261_60
	s_branch .LBB261_68
.LBB261_61:
                                        ; implicit-def: $vgpr0
                                        ; implicit-def: $vgpr2
	s_branch .LBB261_72
.LBB261_62:
	s_movk_i32 s0, 0x80
	v_cmp_eq_u16_sdwa s[8:9], v1, s0 src0_sel:BYTE_0 src1_sel:DWORD
	s_mov_b64 s[0:1], -1
	s_and_saveexec_b64 s[4:5], s[8:9]
; %bb.63:
	s_xor_b64 s[0:1], exec, -1
; %bb.64:
	s_or_b64 exec, exec, s[4:5]
	s_and_b64 s[0:1], s[0:1], exec
	s_or_saveexec_b64 s[2:3], s[2:3]
	v_mov_b32_e32 v2, 0x7f800001
	s_xor_b64 exec, exec, s[2:3]
	s_cbranch_execz .LBB261_52
.LBB261_65:
	v_mov_b32_e32 v2, 0
	v_cmp_ne_u16_sdwa s[4:5], v1, v2 src0_sel:BYTE_0 src1_sel:DWORD
	s_andn2_b64 s[0:1], s[0:1], exec
	s_and_b64 s[4:5], s[4:5], exec
	s_or_b64 s[0:1], s[0:1], s[4:5]
	s_or_b64 exec, exec, s[2:3]
	s_and_saveexec_b64 s[2:3], s[0:1]
	s_cbranch_execnz .LBB261_53
	s_branch .LBB261_54
.LBB261_66:
	v_mov_b32_e32 v0, 0
	v_mov_b32_e32 v2, 0
	s_branch .LBB261_71
.LBB261_67:
	s_mov_b32 s61, 0
	v_mov_b32_e32 v0, 0
	v_mov_b32_e32 v2, 0
	;; [unrolled: 1-line block ×3, first 2 shown]
.LBB261_68:
	s_and_b32 s4, s62, 3
	s_cmp_eq_u32 s4, 0
	s_cbranch_scc1 .LBB261_71
; %bb.69:
	s_lshl_b32 s0, s61, 3
	s_add_u32 s0, s34, s0
	s_addc_u32 s1, s35, 0
	s_add_u32 s0, s0, 0xc4
	s_addc_u32 s1, s1, 0
	s_mul_i32 s2, s61, 12
	s_add_u32 s2, s34, s2
	s_addc_u32 s3, s35, 0
.LBB261_70:                             ; =>This Inner Loop Header: Depth=1
	s_load_dwordx2 s[6:7], s[2:3], 0x4
	s_load_dword s5, s[2:3], 0xc
	s_load_dwordx2 s[8:9], s[0:1], 0x0
	s_add_u32 s2, s2, 12
	s_addc_u32 s3, s3, 0
	s_waitcnt lgkmcnt(0)
	v_mul_hi_u32 v3, s7, v1
	s_add_u32 s0, s0, 8
	s_addc_u32 s1, s1, 0
	s_add_i32 s4, s4, -1
	v_add_u32_e32 v3, v1, v3
	v_lshrrev_b32_e32 v4, s5, v3
	v_mul_lo_u32 v3, v4, s6
	s_cmp_lg_u32 s4, 0
	v_sub_u32_e32 v3, v1, v3
	v_mad_u64_u32 v[0:1], s[6:7], v3, s8, v[0:1]
	v_mad_u64_u32 v[2:3], s[6:7], v3, s9, v[2:3]
	v_mov_b32_e32 v1, v4
	s_cbranch_scc1 .LBB261_70
.LBB261_71:
	s_cbranch_execnz .LBB261_74
.LBB261_72:
	v_mul_hi_u32 v0, s21, v7
	s_andn2_b64 vcc, exec, s[46:47]
	v_add_u32_e32 v0, v7, v0
	v_lshrrev_b32_e32 v1, s22, v0
	v_mul_lo_u32 v0, v1, s20
	v_sub_u32_e32 v2, v7, v0
	s_waitcnt lgkmcnt(0)
	v_mul_lo_u32 v0, v2, s24
	v_mul_lo_u32 v2, v2, s25
	s_cbranch_vccnz .LBB261_74
; %bb.73:
	v_mul_hi_u32 v3, s44, v1
	v_add_u32_e32 v3, v1, v3
	v_lshrrev_b32_e32 v3, s45, v3
	v_mul_lo_u32 v3, v3, s23
	v_sub_u32_e32 v3, v1, v3
	v_mad_u64_u32 v[0:1], s[0:1], v3, s26, v[0:1]
	v_mad_u64_u32 v[2:3], s[0:1], v3, s27, v[2:3]
.LBB261_74:
	s_waitcnt lgkmcnt(0)
	global_load_ubyte v1, v2, s[18:19]
	s_andn2_b64 vcc, exec, s[42:43]
	s_cbranch_vccnz .LBB261_79
; %bb.75:
	s_and_b32 s4, s41, 0xff
	s_cmpk_lt_i32 s4, 0x80
	s_cbranch_scc1 .LBB261_80
; %bb.76:
	s_and_b32 s0, 0xffff, s4
	s_cmpk_eq_i32 s0, 0x80
	s_mov_b64 s[0:1], -1
	s_cbranch_scc0 .LBB261_78
; %bb.77:
	s_mov_b64 s[0:1], 0
.LBB261_78:
	s_mov_b32 s6, 0x7f800001
	s_branch .LBB261_82
.LBB261_79:
                                        ; implicit-def: $sgpr0_sgpr1
	s_cbranch_execnz .LBB261_89
	s_branch .LBB261_106
.LBB261_80:
	s_mov_b64 s[0:1], 0
	s_mov_b32 s6, 0x7f800001
	s_cbranch_execz .LBB261_82
; %bb.81:
	s_and_b32 s0, 0xffff, s4
	s_cmp_lg_u32 s0, 0
	s_mov_b32 s6, 0
	s_cselect_b64 s[0:1], -1, 0
.LBB261_82:
	s_andn2_b64 vcc, exec, s[0:1]
	s_cbranch_vccnz .LBB261_84
; %bb.83:
	s_mov_b32 s6, s40
.LBB261_84:
	s_movk_i32 s0, 0x7f
	s_waitcnt vmcnt(0)
	v_cmp_gt_i16_sdwa s[2:3], v1, s0 src0_sel:BYTE_0 src1_sel:DWORD
	s_mov_b64 s[0:1], 0
	s_and_saveexec_b64 s[4:5], s[2:3]
	s_xor_b64 s[2:3], exec, s[4:5]
	s_cbranch_execnz .LBB261_93
; %bb.85:
	s_or_saveexec_b64 s[2:3], s[2:3]
	v_mov_b32_e32 v2, 0x7f800001
	s_xor_b64 exec, exec, s[2:3]
	s_cbranch_execnz .LBB261_96
.LBB261_86:
	s_or_b64 exec, exec, s[2:3]
	s_and_saveexec_b64 s[2:3], s[0:1]
	s_cbranch_execz .LBB261_88
.LBB261_87:
	v_and_b32_e32 v4, 3, v1
	v_ffbh_u32_e32 v5, v4
	v_min_u32_e32 v5, 32, v5
	v_lshrrev_b16_e32 v3, 2, v1
	v_subrev_u32_e32 v6, 29, v5
	v_and_b32_e32 v3, 31, v3
	v_lshlrev_b32_e32 v6, v6, v1
	v_sub_u32_e32 v5, 30, v5
	v_and_b32_e32 v6, 3, v6
	v_cmp_eq_u32_e32 vcc, 0, v3
	v_lshlrev_b32_e32 v2, 24, v1
	v_cndmask_b32_e32 v3, v3, v5, vcc
	v_cndmask_b32_e32 v4, v4, v6, vcc
	v_mov_b32_e32 v5, 0x37800000
	v_lshlrev_b32_e32 v4, 21, v4
	v_and_b32_e32 v2, 0x80000000, v2
	v_lshl_add_u32 v3, v3, 23, v5
	v_or3_b32 v2, v2, v3, v4
.LBB261_88:
	s_or_b64 exec, exec, s[2:3]
	v_cmp_neq_f32_e64 s[0:1], s6, v2
	s_branch .LBB261_106
.LBB261_89:
	s_and_b32 s4, s41, 0xff
	s_cmpk_lt_i32 s4, 0x80
	s_cbranch_scc1 .LBB261_97
; %bb.90:
	s_and_b32 s0, 0xffff, s4
	s_cmpk_eq_i32 s0, 0x80
	s_mov_b64 s[0:1], -1
	s_cbranch_scc0 .LBB261_92
; %bb.91:
	s_mov_b64 s[0:1], 0
.LBB261_92:
	s_mov_b32 s6, 0x7f800001
	s_branch .LBB261_99
.LBB261_93:
	s_movk_i32 s0, 0x80
	v_cmp_eq_u16_sdwa s[8:9], v1, s0 src0_sel:BYTE_0 src1_sel:DWORD
	s_mov_b64 s[0:1], -1
	s_and_saveexec_b64 s[4:5], s[8:9]
; %bb.94:
	s_xor_b64 s[0:1], exec, -1
; %bb.95:
	s_or_b64 exec, exec, s[4:5]
	s_and_b64 s[0:1], s[0:1], exec
	s_or_saveexec_b64 s[2:3], s[2:3]
	v_mov_b32_e32 v2, 0x7f800001
	s_xor_b64 exec, exec, s[2:3]
	s_cbranch_execz .LBB261_86
.LBB261_96:
	v_mov_b32_e32 v2, 0
	v_cmp_ne_u16_sdwa s[4:5], v1, v2 src0_sel:BYTE_0 src1_sel:DWORD
	s_andn2_b64 s[0:1], s[0:1], exec
	s_and_b64 s[4:5], s[4:5], exec
	s_or_b64 s[0:1], s[0:1], s[4:5]
	s_or_b64 exec, exec, s[2:3]
	s_and_saveexec_b64 s[2:3], s[0:1]
	s_cbranch_execnz .LBB261_87
	s_branch .LBB261_88
.LBB261_97:
	s_mov_b64 s[0:1], 0
	s_mov_b32 s6, 0x7f800001
	s_cbranch_execz .LBB261_99
; %bb.98:
	s_and_b32 s0, 0xffff, s4
	s_cmp_lg_u32 s0, 0
	s_mov_b32 s6, 0
	s_cselect_b64 s[0:1], -1, 0
.LBB261_99:
	s_andn2_b64 vcc, exec, s[0:1]
	s_cbranch_vccnz .LBB261_101
; %bb.100:
	s_mov_b32 s6, s40
.LBB261_101:
	s_movk_i32 s0, 0x7f
	s_waitcnt vmcnt(0)
	v_cmp_gt_i16_sdwa s[2:3], v1, s0 src0_sel:BYTE_0 src1_sel:DWORD
	s_mov_b64 s[0:1], 0
	s_and_saveexec_b64 s[4:5], s[2:3]
	s_xor_b64 s[2:3], exec, s[4:5]
	s_cbranch_execnz .LBB261_113
; %bb.102:
	s_or_saveexec_b64 s[2:3], s[2:3]
	v_mov_b32_e32 v2, 0x7f800001
	s_xor_b64 exec, exec, s[2:3]
	s_cbranch_execnz .LBB261_116
.LBB261_103:
	s_or_b64 exec, exec, s[2:3]
	s_and_saveexec_b64 s[2:3], s[0:1]
	s_cbranch_execz .LBB261_105
.LBB261_104:
	v_and_b32_e32 v4, 3, v1
	v_ffbh_u32_e32 v5, v4
	v_min_u32_e32 v5, 32, v5
	v_lshrrev_b16_e32 v3, 2, v1
	v_subrev_u32_e32 v6, 29, v5
	v_lshlrev_b32_e32 v2, 24, v1
	v_and_b32_e32 v3, 31, v3
	v_lshlrev_b32_e32 v1, v6, v1
	v_sub_u32_e32 v5, 30, v5
	v_and_b32_e32 v1, 3, v1
	v_cmp_eq_u32_e32 vcc, 0, v3
	v_cndmask_b32_e32 v3, v3, v5, vcc
	v_cndmask_b32_e32 v1, v4, v1, vcc
	v_mov_b32_e32 v4, 0x37800000
	v_lshlrev_b32_e32 v1, 21, v1
	v_and_b32_e32 v2, 0x80000000, v2
	v_lshl_add_u32 v3, v3, 23, v4
	v_or3_b32 v2, v2, v3, v1
.LBB261_105:
	s_or_b64 exec, exec, s[2:3]
	v_cmp_eq_f32_e64 s[0:1], s6, v2
.LBB261_106:
	s_waitcnt vmcnt(0)
	v_cndmask_b32_e64 v1, 0, 1, s[0:1]
	v_add_u32_e32 v7, 0x80, v7
	global_store_byte v0, v1, s[16:17]
	s_or_b64 exec, exec, s[52:53]
	v_cmp_gt_i32_e32 vcc, s59, v7
	s_and_saveexec_b64 s[52:53], vcc
	s_cbranch_execz .LBB261_4
.LBB261_107:
	s_andn2_b64 vcc, exec, s[36:37]
	s_cbranch_vccnz .LBB261_112
; %bb.108:
	s_andn2_b64 vcc, exec, s[50:51]
	s_cbranch_vccnz .LBB261_117
; %bb.109:
	s_add_i32 s62, s60, 1
	s_cmp_eq_u32 s58, 2
	s_cbranch_scc1 .LBB261_118
; %bb.110:
	s_and_b32 s61, s62, 28
	v_mov_b32_e32 v2, 0
	s_mov_b32 s63, 0
	s_mov_b64 s[54:55], s[34:35]
	s_mov_b64 s[56:57], s[48:49]
	v_mov_b32_e32 v0, 0
	v_mov_b32_e32 v1, v7
.LBB261_111:                            ; =>This Inner Loop Header: Depth=1
	s_load_dwordx8 s[8:15], s[54:55], 0x4
	s_load_dwordx4 s[28:31], s[54:55], 0x24
	s_load_dwordx8 s[0:7], s[56:57], 0x0
	s_add_u32 s54, s54, 48
	s_addc_u32 s55, s55, 0
	s_waitcnt lgkmcnt(0)
	v_mul_hi_u32 v3, s9, v1
	s_add_i32 s63, s63, 4
	s_add_u32 s56, s56, 32
	s_addc_u32 s57, s57, 0
	v_add_u32_e32 v3, v1, v3
	v_lshrrev_b32_e32 v3, s10, v3
	v_mul_lo_u32 v4, v3, s8
	v_mul_hi_u32 v5, s12, v3
	s_cmp_eq_u32 s61, s63
	v_sub_u32_e32 v1, v1, v4
	v_add_u32_e32 v4, v3, v5
	v_mul_lo_u32 v5, v1, s0
	v_mul_lo_u32 v6, v1, s1
	v_lshrrev_b32_e32 v1, s13, v4
	v_mul_lo_u32 v4, v1, s11
	v_mul_hi_u32 v8, s15, v1
	v_sub_u32_e32 v3, v3, v4
	v_add_u32_e32 v4, v1, v8
	v_lshrrev_b32_e32 v4, s28, v4
	v_mul_hi_u32 v9, s30, v4
	v_mul_lo_u32 v10, v4, s14
	v_mul_lo_u32 v8, v3, s2
	;; [unrolled: 1-line block ×3, first 2 shown]
	v_sub_u32_e32 v10, v1, v10
	v_add_u32_e32 v1, v4, v9
	v_lshrrev_b32_e32 v1, s31, v1
	v_mul_lo_u32 v9, v1, s29
	v_mul_lo_u32 v11, v10, s4
	;; [unrolled: 1-line block ×3, first 2 shown]
	v_add3_u32 v0, v5, v0, v8
	v_sub_u32_e32 v4, v4, v9
	v_mul_lo_u32 v9, v4, s6
	v_mul_lo_u32 v4, v4, s7
	v_add3_u32 v2, v6, v2, v3
	v_add3_u32 v0, v11, v0, v9
	;; [unrolled: 1-line block ×3, first 2 shown]
	s_cbranch_scc0 .LBB261_111
	s_branch .LBB261_119
.LBB261_112:
                                        ; implicit-def: $vgpr0
                                        ; implicit-def: $vgpr2
	s_branch .LBB261_123
.LBB261_113:
	s_movk_i32 s0, 0x80
	v_cmp_eq_u16_sdwa s[8:9], v1, s0 src0_sel:BYTE_0 src1_sel:DWORD
	s_mov_b64 s[0:1], -1
	s_and_saveexec_b64 s[4:5], s[8:9]
; %bb.114:
	s_xor_b64 s[0:1], exec, -1
; %bb.115:
	s_or_b64 exec, exec, s[4:5]
	s_and_b64 s[0:1], s[0:1], exec
	s_or_saveexec_b64 s[2:3], s[2:3]
	v_mov_b32_e32 v2, 0x7f800001
	s_xor_b64 exec, exec, s[2:3]
	s_cbranch_execz .LBB261_103
.LBB261_116:
	v_mov_b32_e32 v2, 0
	v_cmp_ne_u16_sdwa s[4:5], v1, v2 src0_sel:BYTE_0 src1_sel:DWORD
	s_andn2_b64 s[0:1], s[0:1], exec
	s_and_b64 s[4:5], s[4:5], exec
	s_or_b64 s[0:1], s[0:1], s[4:5]
	s_or_b64 exec, exec, s[2:3]
	s_and_saveexec_b64 s[2:3], s[0:1]
	s_cbranch_execnz .LBB261_104
	s_branch .LBB261_105
.LBB261_117:
	v_mov_b32_e32 v0, 0
	v_mov_b32_e32 v2, 0
	s_branch .LBB261_122
.LBB261_118:
	s_mov_b32 s61, 0
	v_mov_b32_e32 v0, 0
	v_mov_b32_e32 v2, 0
	;; [unrolled: 1-line block ×3, first 2 shown]
.LBB261_119:
	s_and_b32 s4, s62, 3
	s_cmp_eq_u32 s4, 0
	s_cbranch_scc1 .LBB261_122
; %bb.120:
	s_lshl_b32 s0, s61, 3
	s_add_u32 s0, s34, s0
	s_addc_u32 s1, s35, 0
	s_add_u32 s0, s0, 0xc4
	s_addc_u32 s1, s1, 0
	s_mul_i32 s2, s61, 12
	s_add_u32 s2, s34, s2
	s_addc_u32 s3, s35, 0
.LBB261_121:                            ; =>This Inner Loop Header: Depth=1
	s_load_dwordx2 s[6:7], s[2:3], 0x4
	s_load_dword s5, s[2:3], 0xc
	s_load_dwordx2 s[8:9], s[0:1], 0x0
	s_add_u32 s2, s2, 12
	s_addc_u32 s3, s3, 0
	s_waitcnt lgkmcnt(0)
	v_mul_hi_u32 v3, s7, v1
	s_add_u32 s0, s0, 8
	s_addc_u32 s1, s1, 0
	s_add_i32 s4, s4, -1
	v_add_u32_e32 v3, v1, v3
	v_lshrrev_b32_e32 v4, s5, v3
	v_mul_lo_u32 v3, v4, s6
	s_cmp_lg_u32 s4, 0
	v_sub_u32_e32 v3, v1, v3
	v_mad_u64_u32 v[0:1], s[6:7], v3, s8, v[0:1]
	v_mad_u64_u32 v[2:3], s[6:7], v3, s9, v[2:3]
	v_mov_b32_e32 v1, v4
	s_cbranch_scc1 .LBB261_121
.LBB261_122:
	s_cbranch_execnz .LBB261_125
.LBB261_123:
	v_mul_hi_u32 v0, s21, v7
	s_andn2_b64 vcc, exec, s[46:47]
	v_add_u32_e32 v0, v7, v0
	v_lshrrev_b32_e32 v1, s22, v0
	v_mul_lo_u32 v0, v1, s20
	v_sub_u32_e32 v2, v7, v0
	s_waitcnt lgkmcnt(0)
	v_mul_lo_u32 v0, v2, s24
	v_mul_lo_u32 v2, v2, s25
	s_cbranch_vccnz .LBB261_125
; %bb.124:
	v_mul_hi_u32 v3, s44, v1
	v_add_u32_e32 v3, v1, v3
	v_lshrrev_b32_e32 v3, s45, v3
	v_mul_lo_u32 v3, v3, s23
	v_sub_u32_e32 v3, v1, v3
	v_mad_u64_u32 v[0:1], s[0:1], v3, s26, v[0:1]
	v_mad_u64_u32 v[2:3], s[0:1], v3, s27, v[2:3]
.LBB261_125:
	s_waitcnt lgkmcnt(0)
	global_load_ubyte v1, v2, s[18:19]
	s_andn2_b64 vcc, exec, s[42:43]
	s_cbranch_vccnz .LBB261_130
; %bb.126:
	s_and_b32 s4, s41, 0xff
	s_cmpk_lt_i32 s4, 0x80
	s_cbranch_scc1 .LBB261_131
; %bb.127:
	s_and_b32 s0, 0xffff, s4
	s_cmpk_eq_i32 s0, 0x80
	s_mov_b64 s[0:1], -1
	s_cbranch_scc0 .LBB261_129
; %bb.128:
	s_mov_b64 s[0:1], 0
.LBB261_129:
	s_mov_b32 s6, 0x7f800001
	s_branch .LBB261_133
.LBB261_130:
                                        ; implicit-def: $sgpr0_sgpr1
	s_cbranch_execnz .LBB261_140
	s_branch .LBB261_157
.LBB261_131:
	s_mov_b64 s[0:1], 0
	s_mov_b32 s6, 0x7f800001
	s_cbranch_execz .LBB261_133
; %bb.132:
	s_and_b32 s0, 0xffff, s4
	s_cmp_lg_u32 s0, 0
	s_mov_b32 s6, 0
	s_cselect_b64 s[0:1], -1, 0
.LBB261_133:
	s_andn2_b64 vcc, exec, s[0:1]
	s_cbranch_vccnz .LBB261_135
; %bb.134:
	s_mov_b32 s6, s40
.LBB261_135:
	s_movk_i32 s0, 0x7f
	s_waitcnt vmcnt(0)
	v_cmp_gt_i16_sdwa s[2:3], v1, s0 src0_sel:BYTE_0 src1_sel:DWORD
	s_mov_b64 s[0:1], 0
	s_and_saveexec_b64 s[4:5], s[2:3]
	s_xor_b64 s[2:3], exec, s[4:5]
	s_cbranch_execnz .LBB261_144
; %bb.136:
	s_or_saveexec_b64 s[2:3], s[2:3]
	v_mov_b32_e32 v2, 0x7f800001
	s_xor_b64 exec, exec, s[2:3]
	s_cbranch_execnz .LBB261_147
.LBB261_137:
	s_or_b64 exec, exec, s[2:3]
	s_and_saveexec_b64 s[2:3], s[0:1]
	s_cbranch_execz .LBB261_139
.LBB261_138:
	v_and_b32_e32 v4, 3, v1
	v_ffbh_u32_e32 v5, v4
	v_min_u32_e32 v5, 32, v5
	v_lshrrev_b16_e32 v3, 2, v1
	v_subrev_u32_e32 v6, 29, v5
	v_and_b32_e32 v3, 31, v3
	v_lshlrev_b32_e32 v6, v6, v1
	v_sub_u32_e32 v5, 30, v5
	v_and_b32_e32 v6, 3, v6
	v_cmp_eq_u32_e32 vcc, 0, v3
	v_lshlrev_b32_e32 v2, 24, v1
	v_cndmask_b32_e32 v3, v3, v5, vcc
	v_cndmask_b32_e32 v4, v4, v6, vcc
	v_mov_b32_e32 v5, 0x37800000
	v_lshlrev_b32_e32 v4, 21, v4
	v_and_b32_e32 v2, 0x80000000, v2
	v_lshl_add_u32 v3, v3, 23, v5
	v_or3_b32 v2, v2, v3, v4
.LBB261_139:
	s_or_b64 exec, exec, s[2:3]
	v_cmp_neq_f32_e64 s[0:1], s6, v2
	s_branch .LBB261_157
.LBB261_140:
	s_and_b32 s4, s41, 0xff
	s_cmpk_lt_i32 s4, 0x80
	s_cbranch_scc1 .LBB261_148
; %bb.141:
	s_and_b32 s0, 0xffff, s4
	s_cmpk_eq_i32 s0, 0x80
	s_mov_b64 s[0:1], -1
	s_cbranch_scc0 .LBB261_143
; %bb.142:
	s_mov_b64 s[0:1], 0
.LBB261_143:
	s_mov_b32 s6, 0x7f800001
	s_branch .LBB261_150
.LBB261_144:
	s_movk_i32 s0, 0x80
	v_cmp_eq_u16_sdwa s[8:9], v1, s0 src0_sel:BYTE_0 src1_sel:DWORD
	s_mov_b64 s[0:1], -1
	s_and_saveexec_b64 s[4:5], s[8:9]
; %bb.145:
	s_xor_b64 s[0:1], exec, -1
; %bb.146:
	s_or_b64 exec, exec, s[4:5]
	s_and_b64 s[0:1], s[0:1], exec
	s_or_saveexec_b64 s[2:3], s[2:3]
	v_mov_b32_e32 v2, 0x7f800001
	s_xor_b64 exec, exec, s[2:3]
	s_cbranch_execz .LBB261_137
.LBB261_147:
	v_mov_b32_e32 v2, 0
	v_cmp_ne_u16_sdwa s[4:5], v1, v2 src0_sel:BYTE_0 src1_sel:DWORD
	s_andn2_b64 s[0:1], s[0:1], exec
	s_and_b64 s[4:5], s[4:5], exec
	s_or_b64 s[0:1], s[0:1], s[4:5]
	s_or_b64 exec, exec, s[2:3]
	s_and_saveexec_b64 s[2:3], s[0:1]
	s_cbranch_execnz .LBB261_138
	s_branch .LBB261_139
.LBB261_148:
	s_mov_b64 s[0:1], 0
	s_mov_b32 s6, 0x7f800001
	s_cbranch_execz .LBB261_150
; %bb.149:
	s_and_b32 s0, 0xffff, s4
	s_cmp_lg_u32 s0, 0
	s_mov_b32 s6, 0
	s_cselect_b64 s[0:1], -1, 0
.LBB261_150:
	s_andn2_b64 vcc, exec, s[0:1]
	s_cbranch_vccnz .LBB261_152
; %bb.151:
	s_mov_b32 s6, s40
.LBB261_152:
	s_movk_i32 s0, 0x7f
	s_waitcnt vmcnt(0)
	v_cmp_gt_i16_sdwa s[2:3], v1, s0 src0_sel:BYTE_0 src1_sel:DWORD
	s_mov_b64 s[0:1], 0
	s_and_saveexec_b64 s[4:5], s[2:3]
	s_xor_b64 s[2:3], exec, s[4:5]
	s_cbranch_execnz .LBB261_164
; %bb.153:
	s_or_saveexec_b64 s[2:3], s[2:3]
	v_mov_b32_e32 v2, 0x7f800001
	s_xor_b64 exec, exec, s[2:3]
	s_cbranch_execnz .LBB261_167
.LBB261_154:
	s_or_b64 exec, exec, s[2:3]
	s_and_saveexec_b64 s[2:3], s[0:1]
	s_cbranch_execz .LBB261_156
.LBB261_155:
	v_and_b32_e32 v4, 3, v1
	v_ffbh_u32_e32 v5, v4
	v_min_u32_e32 v5, 32, v5
	v_lshrrev_b16_e32 v3, 2, v1
	v_subrev_u32_e32 v6, 29, v5
	v_lshlrev_b32_e32 v2, 24, v1
	v_and_b32_e32 v3, 31, v3
	v_lshlrev_b32_e32 v1, v6, v1
	v_sub_u32_e32 v5, 30, v5
	v_and_b32_e32 v1, 3, v1
	v_cmp_eq_u32_e32 vcc, 0, v3
	v_cndmask_b32_e32 v3, v3, v5, vcc
	v_cndmask_b32_e32 v1, v4, v1, vcc
	v_mov_b32_e32 v4, 0x37800000
	v_lshlrev_b32_e32 v1, 21, v1
	v_and_b32_e32 v2, 0x80000000, v2
	v_lshl_add_u32 v3, v3, 23, v4
	v_or3_b32 v2, v2, v3, v1
.LBB261_156:
	s_or_b64 exec, exec, s[2:3]
	v_cmp_eq_f32_e64 s[0:1], s6, v2
.LBB261_157:
	s_waitcnt vmcnt(0)
	v_cndmask_b32_e64 v1, 0, 1, s[0:1]
	v_add_u32_e32 v7, 0x80, v7
	global_store_byte v0, v1, s[16:17]
	s_or_b64 exec, exec, s[52:53]
	v_cmp_gt_i32_e32 vcc, s59, v7
	s_and_saveexec_b64 s[52:53], vcc
	s_cbranch_execz .LBB261_5
.LBB261_158:
	s_andn2_b64 vcc, exec, s[36:37]
	s_cbranch_vccnz .LBB261_163
; %bb.159:
	s_andn2_b64 vcc, exec, s[50:51]
	s_cbranch_vccnz .LBB261_168
; %bb.160:
	s_add_i32 s62, s60, 1
	s_cmp_eq_u32 s58, 2
	s_cbranch_scc1 .LBB261_169
; %bb.161:
	s_and_b32 s61, s62, 28
	v_mov_b32_e32 v2, 0
	s_mov_b32 s63, 0
	s_mov_b64 s[54:55], s[34:35]
	s_mov_b64 s[56:57], s[48:49]
	v_mov_b32_e32 v0, 0
	v_mov_b32_e32 v1, v7
.LBB261_162:                            ; =>This Inner Loop Header: Depth=1
	s_load_dwordx8 s[8:15], s[54:55], 0x4
	s_load_dwordx4 s[28:31], s[54:55], 0x24
	s_load_dwordx8 s[0:7], s[56:57], 0x0
	s_add_u32 s54, s54, 48
	s_addc_u32 s55, s55, 0
	s_waitcnt lgkmcnt(0)
	v_mul_hi_u32 v3, s9, v1
	s_add_i32 s63, s63, 4
	s_add_u32 s56, s56, 32
	s_addc_u32 s57, s57, 0
	v_add_u32_e32 v3, v1, v3
	v_lshrrev_b32_e32 v3, s10, v3
	v_mul_lo_u32 v4, v3, s8
	v_mul_hi_u32 v5, s12, v3
	s_cmp_eq_u32 s61, s63
	v_sub_u32_e32 v1, v1, v4
	v_add_u32_e32 v4, v3, v5
	v_mul_lo_u32 v5, v1, s0
	v_mul_lo_u32 v6, v1, s1
	v_lshrrev_b32_e32 v1, s13, v4
	v_mul_lo_u32 v4, v1, s11
	v_mul_hi_u32 v8, s15, v1
	v_sub_u32_e32 v3, v3, v4
	v_add_u32_e32 v4, v1, v8
	v_lshrrev_b32_e32 v4, s28, v4
	v_mul_hi_u32 v9, s30, v4
	v_mul_lo_u32 v10, v4, s14
	v_mul_lo_u32 v8, v3, s2
	v_mul_lo_u32 v3, v3, s3
	v_sub_u32_e32 v10, v1, v10
	v_add_u32_e32 v1, v4, v9
	v_lshrrev_b32_e32 v1, s31, v1
	v_mul_lo_u32 v9, v1, s29
	v_mul_lo_u32 v11, v10, s4
	;; [unrolled: 1-line block ×3, first 2 shown]
	v_add3_u32 v0, v5, v0, v8
	v_sub_u32_e32 v4, v4, v9
	v_mul_lo_u32 v9, v4, s6
	v_mul_lo_u32 v4, v4, s7
	v_add3_u32 v2, v6, v2, v3
	v_add3_u32 v0, v11, v0, v9
	;; [unrolled: 1-line block ×3, first 2 shown]
	s_cbranch_scc0 .LBB261_162
	s_branch .LBB261_170
.LBB261_163:
                                        ; implicit-def: $vgpr0
                                        ; implicit-def: $vgpr2
	s_branch .LBB261_174
.LBB261_164:
	s_movk_i32 s0, 0x80
	v_cmp_eq_u16_sdwa s[8:9], v1, s0 src0_sel:BYTE_0 src1_sel:DWORD
	s_mov_b64 s[0:1], -1
	s_and_saveexec_b64 s[4:5], s[8:9]
; %bb.165:
	s_xor_b64 s[0:1], exec, -1
; %bb.166:
	s_or_b64 exec, exec, s[4:5]
	s_and_b64 s[0:1], s[0:1], exec
	s_or_saveexec_b64 s[2:3], s[2:3]
	v_mov_b32_e32 v2, 0x7f800001
	s_xor_b64 exec, exec, s[2:3]
	s_cbranch_execz .LBB261_154
.LBB261_167:
	v_mov_b32_e32 v2, 0
	v_cmp_ne_u16_sdwa s[4:5], v1, v2 src0_sel:BYTE_0 src1_sel:DWORD
	s_andn2_b64 s[0:1], s[0:1], exec
	s_and_b64 s[4:5], s[4:5], exec
	s_or_b64 s[0:1], s[0:1], s[4:5]
	s_or_b64 exec, exec, s[2:3]
	s_and_saveexec_b64 s[2:3], s[0:1]
	s_cbranch_execnz .LBB261_155
	s_branch .LBB261_156
.LBB261_168:
	v_mov_b32_e32 v0, 0
	v_mov_b32_e32 v2, 0
	s_branch .LBB261_173
.LBB261_169:
	s_mov_b32 s61, 0
	v_mov_b32_e32 v0, 0
	v_mov_b32_e32 v2, 0
	;; [unrolled: 1-line block ×3, first 2 shown]
.LBB261_170:
	s_and_b32 s4, s62, 3
	s_cmp_eq_u32 s4, 0
	s_cbranch_scc1 .LBB261_173
; %bb.171:
	s_lshl_b32 s0, s61, 3
	s_add_u32 s0, s34, s0
	s_addc_u32 s1, s35, 0
	s_add_u32 s0, s0, 0xc4
	s_addc_u32 s1, s1, 0
	s_mul_i32 s2, s61, 12
	s_add_u32 s2, s34, s2
	s_addc_u32 s3, s35, 0
.LBB261_172:                            ; =>This Inner Loop Header: Depth=1
	s_load_dwordx2 s[6:7], s[2:3], 0x4
	s_load_dword s5, s[2:3], 0xc
	s_load_dwordx2 s[8:9], s[0:1], 0x0
	s_add_u32 s2, s2, 12
	s_addc_u32 s3, s3, 0
	s_waitcnt lgkmcnt(0)
	v_mul_hi_u32 v3, s7, v1
	s_add_u32 s0, s0, 8
	s_addc_u32 s1, s1, 0
	s_add_i32 s4, s4, -1
	v_add_u32_e32 v3, v1, v3
	v_lshrrev_b32_e32 v4, s5, v3
	v_mul_lo_u32 v3, v4, s6
	s_cmp_lg_u32 s4, 0
	v_sub_u32_e32 v3, v1, v3
	v_mad_u64_u32 v[0:1], s[6:7], v3, s8, v[0:1]
	v_mad_u64_u32 v[2:3], s[6:7], v3, s9, v[2:3]
	v_mov_b32_e32 v1, v4
	s_cbranch_scc1 .LBB261_172
.LBB261_173:
	s_cbranch_execnz .LBB261_176
.LBB261_174:
	v_mul_hi_u32 v0, s21, v7
	s_andn2_b64 vcc, exec, s[46:47]
	v_add_u32_e32 v0, v7, v0
	v_lshrrev_b32_e32 v1, s22, v0
	v_mul_lo_u32 v0, v1, s20
	v_sub_u32_e32 v2, v7, v0
	s_waitcnt lgkmcnt(0)
	v_mul_lo_u32 v0, v2, s24
	v_mul_lo_u32 v2, v2, s25
	s_cbranch_vccnz .LBB261_176
; %bb.175:
	v_mul_hi_u32 v3, s44, v1
	v_add_u32_e32 v3, v1, v3
	v_lshrrev_b32_e32 v3, s45, v3
	v_mul_lo_u32 v3, v3, s23
	v_sub_u32_e32 v3, v1, v3
	v_mad_u64_u32 v[0:1], s[0:1], v3, s26, v[0:1]
	v_mad_u64_u32 v[2:3], s[0:1], v3, s27, v[2:3]
.LBB261_176:
	s_waitcnt lgkmcnt(0)
	global_load_ubyte v1, v2, s[18:19]
	s_andn2_b64 vcc, exec, s[42:43]
	s_cbranch_vccnz .LBB261_181
; %bb.177:
	s_and_b32 s4, s41, 0xff
	s_cmpk_lt_i32 s4, 0x80
	s_cbranch_scc1 .LBB261_182
; %bb.178:
	s_and_b32 s0, 0xffff, s4
	s_cmpk_eq_i32 s0, 0x80
	s_mov_b64 s[0:1], -1
	s_cbranch_scc0 .LBB261_180
; %bb.179:
	s_mov_b64 s[0:1], 0
.LBB261_180:
	s_mov_b32 s6, 0x7f800001
	s_branch .LBB261_184
.LBB261_181:
                                        ; implicit-def: $sgpr0_sgpr1
	s_cbranch_execnz .LBB261_191
	s_branch .LBB261_208
.LBB261_182:
	s_mov_b64 s[0:1], 0
	s_mov_b32 s6, 0x7f800001
	s_cbranch_execz .LBB261_184
; %bb.183:
	s_and_b32 s0, 0xffff, s4
	s_cmp_lg_u32 s0, 0
	s_mov_b32 s6, 0
	s_cselect_b64 s[0:1], -1, 0
.LBB261_184:
	s_andn2_b64 vcc, exec, s[0:1]
	s_cbranch_vccnz .LBB261_186
; %bb.185:
	s_mov_b32 s6, s40
.LBB261_186:
	s_movk_i32 s0, 0x7f
	s_waitcnt vmcnt(0)
	v_cmp_gt_i16_sdwa s[2:3], v1, s0 src0_sel:BYTE_0 src1_sel:DWORD
	s_mov_b64 s[0:1], 0
	s_and_saveexec_b64 s[4:5], s[2:3]
	s_xor_b64 s[2:3], exec, s[4:5]
	s_cbranch_execnz .LBB261_195
; %bb.187:
	s_or_saveexec_b64 s[2:3], s[2:3]
	v_mov_b32_e32 v2, 0x7f800001
	s_xor_b64 exec, exec, s[2:3]
	s_cbranch_execnz .LBB261_198
.LBB261_188:
	s_or_b64 exec, exec, s[2:3]
	s_and_saveexec_b64 s[2:3], s[0:1]
	s_cbranch_execz .LBB261_190
.LBB261_189:
	v_and_b32_e32 v4, 3, v1
	v_ffbh_u32_e32 v5, v4
	v_min_u32_e32 v5, 32, v5
	v_lshrrev_b16_e32 v3, 2, v1
	v_subrev_u32_e32 v6, 29, v5
	v_and_b32_e32 v3, 31, v3
	v_lshlrev_b32_e32 v6, v6, v1
	v_sub_u32_e32 v5, 30, v5
	v_and_b32_e32 v6, 3, v6
	v_cmp_eq_u32_e32 vcc, 0, v3
	v_lshlrev_b32_e32 v2, 24, v1
	v_cndmask_b32_e32 v3, v3, v5, vcc
	v_cndmask_b32_e32 v4, v4, v6, vcc
	v_mov_b32_e32 v5, 0x37800000
	v_lshlrev_b32_e32 v4, 21, v4
	v_and_b32_e32 v2, 0x80000000, v2
	v_lshl_add_u32 v3, v3, 23, v5
	v_or3_b32 v2, v2, v3, v4
.LBB261_190:
	s_or_b64 exec, exec, s[2:3]
	v_cmp_neq_f32_e64 s[0:1], s6, v2
	s_branch .LBB261_208
.LBB261_191:
	s_and_b32 s4, s41, 0xff
	s_cmpk_lt_i32 s4, 0x80
	s_cbranch_scc1 .LBB261_199
; %bb.192:
	s_and_b32 s0, 0xffff, s4
	s_cmpk_eq_i32 s0, 0x80
	s_mov_b64 s[0:1], -1
	s_cbranch_scc0 .LBB261_194
; %bb.193:
	s_mov_b64 s[0:1], 0
.LBB261_194:
	s_mov_b32 s6, 0x7f800001
	s_branch .LBB261_201
.LBB261_195:
	s_movk_i32 s0, 0x80
	v_cmp_eq_u16_sdwa s[8:9], v1, s0 src0_sel:BYTE_0 src1_sel:DWORD
	s_mov_b64 s[0:1], -1
	s_and_saveexec_b64 s[4:5], s[8:9]
; %bb.196:
	s_xor_b64 s[0:1], exec, -1
; %bb.197:
	s_or_b64 exec, exec, s[4:5]
	s_and_b64 s[0:1], s[0:1], exec
	s_or_saveexec_b64 s[2:3], s[2:3]
	v_mov_b32_e32 v2, 0x7f800001
	s_xor_b64 exec, exec, s[2:3]
	s_cbranch_execz .LBB261_188
.LBB261_198:
	v_mov_b32_e32 v2, 0
	v_cmp_ne_u16_sdwa s[4:5], v1, v2 src0_sel:BYTE_0 src1_sel:DWORD
	s_andn2_b64 s[0:1], s[0:1], exec
	s_and_b64 s[4:5], s[4:5], exec
	s_or_b64 s[0:1], s[0:1], s[4:5]
	s_or_b64 exec, exec, s[2:3]
	s_and_saveexec_b64 s[2:3], s[0:1]
	s_cbranch_execnz .LBB261_189
	s_branch .LBB261_190
.LBB261_199:
	s_mov_b64 s[0:1], 0
	s_mov_b32 s6, 0x7f800001
	s_cbranch_execz .LBB261_201
; %bb.200:
	s_and_b32 s0, 0xffff, s4
	s_cmp_lg_u32 s0, 0
	s_mov_b32 s6, 0
	s_cselect_b64 s[0:1], -1, 0
.LBB261_201:
	s_andn2_b64 vcc, exec, s[0:1]
	s_cbranch_vccnz .LBB261_203
; %bb.202:
	s_mov_b32 s6, s40
.LBB261_203:
	s_movk_i32 s0, 0x7f
	s_waitcnt vmcnt(0)
	v_cmp_gt_i16_sdwa s[2:3], v1, s0 src0_sel:BYTE_0 src1_sel:DWORD
	s_mov_b64 s[0:1], 0
	s_and_saveexec_b64 s[4:5], s[2:3]
	s_xor_b64 s[2:3], exec, s[4:5]
	s_cbranch_execnz .LBB261_215
; %bb.204:
	s_or_saveexec_b64 s[2:3], s[2:3]
	v_mov_b32_e32 v2, 0x7f800001
	s_xor_b64 exec, exec, s[2:3]
	s_cbranch_execnz .LBB261_218
.LBB261_205:
	s_or_b64 exec, exec, s[2:3]
	s_and_saveexec_b64 s[2:3], s[0:1]
	s_cbranch_execz .LBB261_207
.LBB261_206:
	v_and_b32_e32 v4, 3, v1
	v_ffbh_u32_e32 v5, v4
	v_min_u32_e32 v5, 32, v5
	v_lshrrev_b16_e32 v3, 2, v1
	v_subrev_u32_e32 v6, 29, v5
	v_lshlrev_b32_e32 v2, 24, v1
	v_and_b32_e32 v3, 31, v3
	v_lshlrev_b32_e32 v1, v6, v1
	v_sub_u32_e32 v5, 30, v5
	v_and_b32_e32 v1, 3, v1
	v_cmp_eq_u32_e32 vcc, 0, v3
	v_cndmask_b32_e32 v3, v3, v5, vcc
	v_cndmask_b32_e32 v1, v4, v1, vcc
	v_mov_b32_e32 v4, 0x37800000
	v_lshlrev_b32_e32 v1, 21, v1
	v_and_b32_e32 v2, 0x80000000, v2
	v_lshl_add_u32 v3, v3, 23, v4
	v_or3_b32 v2, v2, v3, v1
.LBB261_207:
	s_or_b64 exec, exec, s[2:3]
	v_cmp_eq_f32_e64 s[0:1], s6, v2
.LBB261_208:
	s_waitcnt vmcnt(0)
	v_cndmask_b32_e64 v1, 0, 1, s[0:1]
	v_add_u32_e32 v7, 0x80, v7
	global_store_byte v0, v1, s[16:17]
	s_or_b64 exec, exec, s[52:53]
	v_cmp_gt_i32_e32 vcc, s59, v7
	s_and_saveexec_b64 s[52:53], vcc
	s_cbranch_execz .LBB261_6
.LBB261_209:
	s_andn2_b64 vcc, exec, s[36:37]
	s_cbranch_vccnz .LBB261_214
; %bb.210:
	s_andn2_b64 vcc, exec, s[50:51]
	s_cbranch_vccnz .LBB261_219
; %bb.211:
	s_add_i32 s62, s60, 1
	s_cmp_eq_u32 s58, 2
	s_cbranch_scc1 .LBB261_220
; %bb.212:
	s_and_b32 s61, s62, 28
	v_mov_b32_e32 v2, 0
	s_mov_b32 s63, 0
	s_mov_b64 s[54:55], s[34:35]
	s_mov_b64 s[56:57], s[48:49]
	v_mov_b32_e32 v0, 0
	v_mov_b32_e32 v1, v7
.LBB261_213:                            ; =>This Inner Loop Header: Depth=1
	s_load_dwordx8 s[8:15], s[54:55], 0x4
	s_load_dwordx4 s[28:31], s[54:55], 0x24
	s_load_dwordx8 s[0:7], s[56:57], 0x0
	s_add_u32 s54, s54, 48
	s_addc_u32 s55, s55, 0
	s_waitcnt lgkmcnt(0)
	v_mul_hi_u32 v3, s9, v1
	s_add_i32 s63, s63, 4
	s_add_u32 s56, s56, 32
	s_addc_u32 s57, s57, 0
	v_add_u32_e32 v3, v1, v3
	v_lshrrev_b32_e32 v3, s10, v3
	v_mul_lo_u32 v4, v3, s8
	v_mul_hi_u32 v5, s12, v3
	s_cmp_eq_u32 s61, s63
	v_sub_u32_e32 v1, v1, v4
	v_add_u32_e32 v4, v3, v5
	v_mul_lo_u32 v5, v1, s0
	v_mul_lo_u32 v6, v1, s1
	v_lshrrev_b32_e32 v1, s13, v4
	v_mul_lo_u32 v4, v1, s11
	v_mul_hi_u32 v8, s15, v1
	v_sub_u32_e32 v3, v3, v4
	v_add_u32_e32 v4, v1, v8
	v_lshrrev_b32_e32 v4, s28, v4
	v_mul_hi_u32 v9, s30, v4
	v_mul_lo_u32 v10, v4, s14
	v_mul_lo_u32 v8, v3, s2
	;; [unrolled: 1-line block ×3, first 2 shown]
	v_sub_u32_e32 v10, v1, v10
	v_add_u32_e32 v1, v4, v9
	v_lshrrev_b32_e32 v1, s31, v1
	v_mul_lo_u32 v9, v1, s29
	v_mul_lo_u32 v11, v10, s4
	;; [unrolled: 1-line block ×3, first 2 shown]
	v_add3_u32 v0, v5, v0, v8
	v_sub_u32_e32 v4, v4, v9
	v_mul_lo_u32 v9, v4, s6
	v_mul_lo_u32 v4, v4, s7
	v_add3_u32 v2, v6, v2, v3
	v_add3_u32 v0, v11, v0, v9
	;; [unrolled: 1-line block ×3, first 2 shown]
	s_cbranch_scc0 .LBB261_213
	s_branch .LBB261_221
.LBB261_214:
                                        ; implicit-def: $vgpr0
                                        ; implicit-def: $vgpr2
	s_branch .LBB261_225
.LBB261_215:
	s_movk_i32 s0, 0x80
	v_cmp_eq_u16_sdwa s[8:9], v1, s0 src0_sel:BYTE_0 src1_sel:DWORD
	s_mov_b64 s[0:1], -1
	s_and_saveexec_b64 s[4:5], s[8:9]
; %bb.216:
	s_xor_b64 s[0:1], exec, -1
; %bb.217:
	s_or_b64 exec, exec, s[4:5]
	s_and_b64 s[0:1], s[0:1], exec
	s_or_saveexec_b64 s[2:3], s[2:3]
	v_mov_b32_e32 v2, 0x7f800001
	s_xor_b64 exec, exec, s[2:3]
	s_cbranch_execz .LBB261_205
.LBB261_218:
	v_mov_b32_e32 v2, 0
	v_cmp_ne_u16_sdwa s[4:5], v1, v2 src0_sel:BYTE_0 src1_sel:DWORD
	s_andn2_b64 s[0:1], s[0:1], exec
	s_and_b64 s[4:5], s[4:5], exec
	s_or_b64 s[0:1], s[0:1], s[4:5]
	s_or_b64 exec, exec, s[2:3]
	s_and_saveexec_b64 s[2:3], s[0:1]
	s_cbranch_execnz .LBB261_206
	s_branch .LBB261_207
.LBB261_219:
	v_mov_b32_e32 v0, 0
	v_mov_b32_e32 v2, 0
	s_branch .LBB261_224
.LBB261_220:
	s_mov_b32 s61, 0
	v_mov_b32_e32 v0, 0
	v_mov_b32_e32 v2, 0
	;; [unrolled: 1-line block ×3, first 2 shown]
.LBB261_221:
	s_and_b32 s4, s62, 3
	s_cmp_eq_u32 s4, 0
	s_cbranch_scc1 .LBB261_224
; %bb.222:
	s_lshl_b32 s0, s61, 3
	s_add_u32 s0, s34, s0
	s_addc_u32 s1, s35, 0
	s_add_u32 s0, s0, 0xc4
	s_addc_u32 s1, s1, 0
	s_mul_i32 s2, s61, 12
	s_add_u32 s2, s34, s2
	s_addc_u32 s3, s35, 0
.LBB261_223:                            ; =>This Inner Loop Header: Depth=1
	s_load_dwordx2 s[6:7], s[2:3], 0x4
	s_load_dword s5, s[2:3], 0xc
	s_load_dwordx2 s[8:9], s[0:1], 0x0
	s_add_u32 s2, s2, 12
	s_addc_u32 s3, s3, 0
	s_waitcnt lgkmcnt(0)
	v_mul_hi_u32 v3, s7, v1
	s_add_u32 s0, s0, 8
	s_addc_u32 s1, s1, 0
	s_add_i32 s4, s4, -1
	v_add_u32_e32 v3, v1, v3
	v_lshrrev_b32_e32 v4, s5, v3
	v_mul_lo_u32 v3, v4, s6
	s_cmp_lg_u32 s4, 0
	v_sub_u32_e32 v3, v1, v3
	v_mad_u64_u32 v[0:1], s[6:7], v3, s8, v[0:1]
	v_mad_u64_u32 v[2:3], s[6:7], v3, s9, v[2:3]
	v_mov_b32_e32 v1, v4
	s_cbranch_scc1 .LBB261_223
.LBB261_224:
	s_cbranch_execnz .LBB261_227
.LBB261_225:
	v_mul_hi_u32 v0, s21, v7
	s_andn2_b64 vcc, exec, s[46:47]
	v_add_u32_e32 v0, v7, v0
	v_lshrrev_b32_e32 v1, s22, v0
	v_mul_lo_u32 v0, v1, s20
	v_sub_u32_e32 v2, v7, v0
	s_waitcnt lgkmcnt(0)
	v_mul_lo_u32 v0, v2, s24
	v_mul_lo_u32 v2, v2, s25
	s_cbranch_vccnz .LBB261_227
; %bb.226:
	v_mul_hi_u32 v3, s44, v1
	v_add_u32_e32 v3, v1, v3
	v_lshrrev_b32_e32 v3, s45, v3
	v_mul_lo_u32 v3, v3, s23
	v_sub_u32_e32 v3, v1, v3
	v_mad_u64_u32 v[0:1], s[0:1], v3, s26, v[0:1]
	v_mad_u64_u32 v[2:3], s[0:1], v3, s27, v[2:3]
.LBB261_227:
	s_waitcnt lgkmcnt(0)
	global_load_ubyte v1, v2, s[18:19]
	s_andn2_b64 vcc, exec, s[42:43]
	s_cbranch_vccnz .LBB261_232
; %bb.228:
	s_and_b32 s4, s41, 0xff
	s_cmpk_lt_i32 s4, 0x80
	s_cbranch_scc1 .LBB261_233
; %bb.229:
	s_and_b32 s0, 0xffff, s4
	s_cmpk_eq_i32 s0, 0x80
	s_mov_b64 s[0:1], -1
	s_cbranch_scc0 .LBB261_231
; %bb.230:
	s_mov_b64 s[0:1], 0
.LBB261_231:
	s_mov_b32 s6, 0x7f800001
	s_branch .LBB261_235
.LBB261_232:
                                        ; implicit-def: $sgpr0_sgpr1
	s_cbranch_execnz .LBB261_242
	s_branch .LBB261_259
.LBB261_233:
	s_mov_b64 s[0:1], 0
	s_mov_b32 s6, 0x7f800001
	s_cbranch_execz .LBB261_235
; %bb.234:
	s_and_b32 s0, 0xffff, s4
	s_cmp_lg_u32 s0, 0
	s_mov_b32 s6, 0
	s_cselect_b64 s[0:1], -1, 0
.LBB261_235:
	s_andn2_b64 vcc, exec, s[0:1]
	s_cbranch_vccnz .LBB261_237
; %bb.236:
	s_mov_b32 s6, s40
.LBB261_237:
	s_movk_i32 s0, 0x7f
	s_waitcnt vmcnt(0)
	v_cmp_gt_i16_sdwa s[2:3], v1, s0 src0_sel:BYTE_0 src1_sel:DWORD
	s_mov_b64 s[0:1], 0
	s_and_saveexec_b64 s[4:5], s[2:3]
	s_xor_b64 s[2:3], exec, s[4:5]
	s_cbranch_execnz .LBB261_246
; %bb.238:
	s_or_saveexec_b64 s[2:3], s[2:3]
	v_mov_b32_e32 v2, 0x7f800001
	s_xor_b64 exec, exec, s[2:3]
	s_cbranch_execnz .LBB261_249
.LBB261_239:
	s_or_b64 exec, exec, s[2:3]
	s_and_saveexec_b64 s[2:3], s[0:1]
	s_cbranch_execz .LBB261_241
.LBB261_240:
	v_and_b32_e32 v4, 3, v1
	v_ffbh_u32_e32 v5, v4
	v_min_u32_e32 v5, 32, v5
	v_lshrrev_b16_e32 v3, 2, v1
	v_subrev_u32_e32 v6, 29, v5
	v_and_b32_e32 v3, 31, v3
	v_lshlrev_b32_e32 v6, v6, v1
	v_sub_u32_e32 v5, 30, v5
	v_and_b32_e32 v6, 3, v6
	v_cmp_eq_u32_e32 vcc, 0, v3
	v_lshlrev_b32_e32 v2, 24, v1
	v_cndmask_b32_e32 v3, v3, v5, vcc
	v_cndmask_b32_e32 v4, v4, v6, vcc
	v_mov_b32_e32 v5, 0x37800000
	v_lshlrev_b32_e32 v4, 21, v4
	v_and_b32_e32 v2, 0x80000000, v2
	v_lshl_add_u32 v3, v3, 23, v5
	v_or3_b32 v2, v2, v3, v4
.LBB261_241:
	s_or_b64 exec, exec, s[2:3]
	v_cmp_neq_f32_e64 s[0:1], s6, v2
	s_branch .LBB261_259
.LBB261_242:
	s_and_b32 s4, s41, 0xff
	s_cmpk_lt_i32 s4, 0x80
	s_cbranch_scc1 .LBB261_250
; %bb.243:
	s_and_b32 s0, 0xffff, s4
	s_cmpk_eq_i32 s0, 0x80
	s_mov_b64 s[0:1], -1
	s_cbranch_scc0 .LBB261_245
; %bb.244:
	s_mov_b64 s[0:1], 0
.LBB261_245:
	s_mov_b32 s6, 0x7f800001
	s_branch .LBB261_252
.LBB261_246:
	s_movk_i32 s0, 0x80
	v_cmp_eq_u16_sdwa s[8:9], v1, s0 src0_sel:BYTE_0 src1_sel:DWORD
	s_mov_b64 s[0:1], -1
	s_and_saveexec_b64 s[4:5], s[8:9]
; %bb.247:
	s_xor_b64 s[0:1], exec, -1
; %bb.248:
	s_or_b64 exec, exec, s[4:5]
	s_and_b64 s[0:1], s[0:1], exec
	s_or_saveexec_b64 s[2:3], s[2:3]
	v_mov_b32_e32 v2, 0x7f800001
	s_xor_b64 exec, exec, s[2:3]
	s_cbranch_execz .LBB261_239
.LBB261_249:
	v_mov_b32_e32 v2, 0
	v_cmp_ne_u16_sdwa s[4:5], v1, v2 src0_sel:BYTE_0 src1_sel:DWORD
	s_andn2_b64 s[0:1], s[0:1], exec
	s_and_b64 s[4:5], s[4:5], exec
	s_or_b64 s[0:1], s[0:1], s[4:5]
	s_or_b64 exec, exec, s[2:3]
	s_and_saveexec_b64 s[2:3], s[0:1]
	s_cbranch_execnz .LBB261_240
	s_branch .LBB261_241
.LBB261_250:
	s_mov_b64 s[0:1], 0
	s_mov_b32 s6, 0x7f800001
	s_cbranch_execz .LBB261_252
; %bb.251:
	s_and_b32 s0, 0xffff, s4
	s_cmp_lg_u32 s0, 0
	s_mov_b32 s6, 0
	s_cselect_b64 s[0:1], -1, 0
.LBB261_252:
	s_andn2_b64 vcc, exec, s[0:1]
	s_cbranch_vccnz .LBB261_254
; %bb.253:
	s_mov_b32 s6, s40
.LBB261_254:
	s_movk_i32 s0, 0x7f
	s_waitcnt vmcnt(0)
	v_cmp_gt_i16_sdwa s[2:3], v1, s0 src0_sel:BYTE_0 src1_sel:DWORD
	s_mov_b64 s[0:1], 0
	s_and_saveexec_b64 s[4:5], s[2:3]
	s_xor_b64 s[2:3], exec, s[4:5]
	s_cbranch_execnz .LBB261_266
; %bb.255:
	s_or_saveexec_b64 s[2:3], s[2:3]
	v_mov_b32_e32 v2, 0x7f800001
	s_xor_b64 exec, exec, s[2:3]
	s_cbranch_execnz .LBB261_269
.LBB261_256:
	s_or_b64 exec, exec, s[2:3]
	s_and_saveexec_b64 s[2:3], s[0:1]
	s_cbranch_execz .LBB261_258
.LBB261_257:
	v_and_b32_e32 v4, 3, v1
	v_ffbh_u32_e32 v5, v4
	v_min_u32_e32 v5, 32, v5
	v_lshrrev_b16_e32 v3, 2, v1
	v_subrev_u32_e32 v6, 29, v5
	v_lshlrev_b32_e32 v2, 24, v1
	v_and_b32_e32 v3, 31, v3
	v_lshlrev_b32_e32 v1, v6, v1
	v_sub_u32_e32 v5, 30, v5
	v_and_b32_e32 v1, 3, v1
	v_cmp_eq_u32_e32 vcc, 0, v3
	v_cndmask_b32_e32 v3, v3, v5, vcc
	v_cndmask_b32_e32 v1, v4, v1, vcc
	v_mov_b32_e32 v4, 0x37800000
	v_lshlrev_b32_e32 v1, 21, v1
	v_and_b32_e32 v2, 0x80000000, v2
	v_lshl_add_u32 v3, v3, 23, v4
	v_or3_b32 v2, v2, v3, v1
.LBB261_258:
	s_or_b64 exec, exec, s[2:3]
	v_cmp_eq_f32_e64 s[0:1], s6, v2
.LBB261_259:
	s_waitcnt vmcnt(0)
	v_cndmask_b32_e64 v1, 0, 1, s[0:1]
	v_add_u32_e32 v7, 0x80, v7
	global_store_byte v0, v1, s[16:17]
	s_or_b64 exec, exec, s[52:53]
	v_cmp_gt_i32_e32 vcc, s59, v7
	s_and_saveexec_b64 s[52:53], vcc
	s_cbranch_execz .LBB261_7
.LBB261_260:
	s_andn2_b64 vcc, exec, s[36:37]
	s_cbranch_vccnz .LBB261_265
; %bb.261:
	s_andn2_b64 vcc, exec, s[50:51]
	s_cbranch_vccnz .LBB261_270
; %bb.262:
	s_add_i32 s62, s60, 1
	s_cmp_eq_u32 s58, 2
	s_cbranch_scc1 .LBB261_271
; %bb.263:
	s_and_b32 s61, s62, 28
	v_mov_b32_e32 v2, 0
	s_mov_b32 s63, 0
	s_mov_b64 s[54:55], s[34:35]
	s_mov_b64 s[56:57], s[48:49]
	v_mov_b32_e32 v0, 0
	v_mov_b32_e32 v1, v7
.LBB261_264:                            ; =>This Inner Loop Header: Depth=1
	s_load_dwordx8 s[8:15], s[54:55], 0x4
	s_load_dwordx4 s[28:31], s[54:55], 0x24
	s_load_dwordx8 s[0:7], s[56:57], 0x0
	s_add_u32 s54, s54, 48
	s_addc_u32 s55, s55, 0
	s_waitcnt lgkmcnt(0)
	v_mul_hi_u32 v3, s9, v1
	s_add_i32 s63, s63, 4
	s_add_u32 s56, s56, 32
	s_addc_u32 s57, s57, 0
	v_add_u32_e32 v3, v1, v3
	v_lshrrev_b32_e32 v3, s10, v3
	v_mul_lo_u32 v4, v3, s8
	v_mul_hi_u32 v5, s12, v3
	s_cmp_eq_u32 s61, s63
	v_sub_u32_e32 v1, v1, v4
	v_add_u32_e32 v4, v3, v5
	v_mul_lo_u32 v5, v1, s0
	v_mul_lo_u32 v6, v1, s1
	v_lshrrev_b32_e32 v1, s13, v4
	v_mul_lo_u32 v4, v1, s11
	v_mul_hi_u32 v8, s15, v1
	v_sub_u32_e32 v3, v3, v4
	v_add_u32_e32 v4, v1, v8
	v_lshrrev_b32_e32 v4, s28, v4
	v_mul_hi_u32 v9, s30, v4
	v_mul_lo_u32 v10, v4, s14
	v_mul_lo_u32 v8, v3, s2
	;; [unrolled: 1-line block ×3, first 2 shown]
	v_sub_u32_e32 v10, v1, v10
	v_add_u32_e32 v1, v4, v9
	v_lshrrev_b32_e32 v1, s31, v1
	v_mul_lo_u32 v9, v1, s29
	v_mul_lo_u32 v11, v10, s4
	;; [unrolled: 1-line block ×3, first 2 shown]
	v_add3_u32 v0, v5, v0, v8
	v_sub_u32_e32 v4, v4, v9
	v_mul_lo_u32 v9, v4, s6
	v_mul_lo_u32 v4, v4, s7
	v_add3_u32 v2, v6, v2, v3
	v_add3_u32 v0, v11, v0, v9
	;; [unrolled: 1-line block ×3, first 2 shown]
	s_cbranch_scc0 .LBB261_264
	s_branch .LBB261_272
.LBB261_265:
                                        ; implicit-def: $vgpr0
                                        ; implicit-def: $vgpr2
	s_branch .LBB261_276
.LBB261_266:
	s_movk_i32 s0, 0x80
	v_cmp_eq_u16_sdwa s[8:9], v1, s0 src0_sel:BYTE_0 src1_sel:DWORD
	s_mov_b64 s[0:1], -1
	s_and_saveexec_b64 s[4:5], s[8:9]
; %bb.267:
	s_xor_b64 s[0:1], exec, -1
; %bb.268:
	s_or_b64 exec, exec, s[4:5]
	s_and_b64 s[0:1], s[0:1], exec
	s_or_saveexec_b64 s[2:3], s[2:3]
	v_mov_b32_e32 v2, 0x7f800001
	s_xor_b64 exec, exec, s[2:3]
	s_cbranch_execz .LBB261_256
.LBB261_269:
	v_mov_b32_e32 v2, 0
	v_cmp_ne_u16_sdwa s[4:5], v1, v2 src0_sel:BYTE_0 src1_sel:DWORD
	s_andn2_b64 s[0:1], s[0:1], exec
	s_and_b64 s[4:5], s[4:5], exec
	s_or_b64 s[0:1], s[0:1], s[4:5]
	s_or_b64 exec, exec, s[2:3]
	s_and_saveexec_b64 s[2:3], s[0:1]
	s_cbranch_execnz .LBB261_257
	s_branch .LBB261_258
.LBB261_270:
	v_mov_b32_e32 v0, 0
	v_mov_b32_e32 v2, 0
	s_branch .LBB261_275
.LBB261_271:
	s_mov_b32 s61, 0
	v_mov_b32_e32 v0, 0
	v_mov_b32_e32 v2, 0
	v_mov_b32_e32 v1, v7
.LBB261_272:
	s_and_b32 s4, s62, 3
	s_cmp_eq_u32 s4, 0
	s_cbranch_scc1 .LBB261_275
; %bb.273:
	s_lshl_b32 s0, s61, 3
	s_add_u32 s0, s34, s0
	s_addc_u32 s1, s35, 0
	s_add_u32 s0, s0, 0xc4
	s_addc_u32 s1, s1, 0
	s_mul_i32 s2, s61, 12
	s_add_u32 s2, s34, s2
	s_addc_u32 s3, s35, 0
.LBB261_274:                            ; =>This Inner Loop Header: Depth=1
	s_load_dwordx2 s[6:7], s[2:3], 0x4
	s_load_dword s5, s[2:3], 0xc
	s_load_dwordx2 s[8:9], s[0:1], 0x0
	s_add_u32 s2, s2, 12
	s_addc_u32 s3, s3, 0
	s_waitcnt lgkmcnt(0)
	v_mul_hi_u32 v3, s7, v1
	s_add_u32 s0, s0, 8
	s_addc_u32 s1, s1, 0
	s_add_i32 s4, s4, -1
	v_add_u32_e32 v3, v1, v3
	v_lshrrev_b32_e32 v4, s5, v3
	v_mul_lo_u32 v3, v4, s6
	s_cmp_lg_u32 s4, 0
	v_sub_u32_e32 v3, v1, v3
	v_mad_u64_u32 v[0:1], s[6:7], v3, s8, v[0:1]
	v_mad_u64_u32 v[2:3], s[6:7], v3, s9, v[2:3]
	v_mov_b32_e32 v1, v4
	s_cbranch_scc1 .LBB261_274
.LBB261_275:
	s_cbranch_execnz .LBB261_278
.LBB261_276:
	v_mul_hi_u32 v0, s21, v7
	s_andn2_b64 vcc, exec, s[46:47]
	v_add_u32_e32 v0, v7, v0
	v_lshrrev_b32_e32 v1, s22, v0
	v_mul_lo_u32 v0, v1, s20
	v_sub_u32_e32 v2, v7, v0
	s_waitcnt lgkmcnt(0)
	v_mul_lo_u32 v0, v2, s24
	v_mul_lo_u32 v2, v2, s25
	s_cbranch_vccnz .LBB261_278
; %bb.277:
	v_mul_hi_u32 v3, s44, v1
	v_add_u32_e32 v3, v1, v3
	v_lshrrev_b32_e32 v3, s45, v3
	v_mul_lo_u32 v3, v3, s23
	v_sub_u32_e32 v3, v1, v3
	v_mad_u64_u32 v[0:1], s[0:1], v3, s26, v[0:1]
	v_mad_u64_u32 v[2:3], s[0:1], v3, s27, v[2:3]
.LBB261_278:
	s_waitcnt lgkmcnt(0)
	global_load_ubyte v1, v2, s[18:19]
	s_andn2_b64 vcc, exec, s[42:43]
	s_cbranch_vccnz .LBB261_283
; %bb.279:
	s_and_b32 s4, s41, 0xff
	s_cmpk_lt_i32 s4, 0x80
	s_cbranch_scc1 .LBB261_284
; %bb.280:
	s_and_b32 s0, 0xffff, s4
	s_cmpk_eq_i32 s0, 0x80
	s_mov_b64 s[0:1], -1
	s_cbranch_scc0 .LBB261_282
; %bb.281:
	s_mov_b64 s[0:1], 0
.LBB261_282:
	s_mov_b32 s6, 0x7f800001
	s_branch .LBB261_286
.LBB261_283:
                                        ; implicit-def: $sgpr0_sgpr1
	s_cbranch_execnz .LBB261_293
	s_branch .LBB261_310
.LBB261_284:
	s_mov_b64 s[0:1], 0
	s_mov_b32 s6, 0x7f800001
	s_cbranch_execz .LBB261_286
; %bb.285:
	s_and_b32 s0, 0xffff, s4
	s_cmp_lg_u32 s0, 0
	s_mov_b32 s6, 0
	s_cselect_b64 s[0:1], -1, 0
.LBB261_286:
	s_andn2_b64 vcc, exec, s[0:1]
	s_cbranch_vccnz .LBB261_288
; %bb.287:
	s_mov_b32 s6, s40
.LBB261_288:
	s_movk_i32 s0, 0x7f
	s_waitcnt vmcnt(0)
	v_cmp_gt_i16_sdwa s[2:3], v1, s0 src0_sel:BYTE_0 src1_sel:DWORD
	s_mov_b64 s[0:1], 0
	s_and_saveexec_b64 s[4:5], s[2:3]
	s_xor_b64 s[2:3], exec, s[4:5]
	s_cbranch_execnz .LBB261_297
; %bb.289:
	s_or_saveexec_b64 s[2:3], s[2:3]
	v_mov_b32_e32 v2, 0x7f800001
	s_xor_b64 exec, exec, s[2:3]
	s_cbranch_execnz .LBB261_300
.LBB261_290:
	s_or_b64 exec, exec, s[2:3]
	s_and_saveexec_b64 s[2:3], s[0:1]
	s_cbranch_execz .LBB261_292
.LBB261_291:
	v_and_b32_e32 v4, 3, v1
	v_ffbh_u32_e32 v5, v4
	v_min_u32_e32 v5, 32, v5
	v_lshrrev_b16_e32 v3, 2, v1
	v_subrev_u32_e32 v6, 29, v5
	v_and_b32_e32 v3, 31, v3
	v_lshlrev_b32_e32 v6, v6, v1
	v_sub_u32_e32 v5, 30, v5
	v_and_b32_e32 v6, 3, v6
	v_cmp_eq_u32_e32 vcc, 0, v3
	v_lshlrev_b32_e32 v2, 24, v1
	v_cndmask_b32_e32 v3, v3, v5, vcc
	v_cndmask_b32_e32 v4, v4, v6, vcc
	v_mov_b32_e32 v5, 0x37800000
	v_lshlrev_b32_e32 v4, 21, v4
	v_and_b32_e32 v2, 0x80000000, v2
	v_lshl_add_u32 v3, v3, 23, v5
	v_or3_b32 v2, v2, v3, v4
.LBB261_292:
	s_or_b64 exec, exec, s[2:3]
	v_cmp_neq_f32_e64 s[0:1], s6, v2
	s_branch .LBB261_310
.LBB261_293:
	s_and_b32 s4, s41, 0xff
	s_cmpk_lt_i32 s4, 0x80
	s_cbranch_scc1 .LBB261_301
; %bb.294:
	s_and_b32 s0, 0xffff, s4
	s_cmpk_eq_i32 s0, 0x80
	s_mov_b64 s[0:1], -1
	s_cbranch_scc0 .LBB261_296
; %bb.295:
	s_mov_b64 s[0:1], 0
.LBB261_296:
	s_mov_b32 s6, 0x7f800001
	s_branch .LBB261_303
.LBB261_297:
	s_movk_i32 s0, 0x80
	v_cmp_eq_u16_sdwa s[8:9], v1, s0 src0_sel:BYTE_0 src1_sel:DWORD
	s_mov_b64 s[0:1], -1
	s_and_saveexec_b64 s[4:5], s[8:9]
; %bb.298:
	s_xor_b64 s[0:1], exec, -1
; %bb.299:
	s_or_b64 exec, exec, s[4:5]
	s_and_b64 s[0:1], s[0:1], exec
	s_or_saveexec_b64 s[2:3], s[2:3]
	v_mov_b32_e32 v2, 0x7f800001
	s_xor_b64 exec, exec, s[2:3]
	s_cbranch_execz .LBB261_290
.LBB261_300:
	v_mov_b32_e32 v2, 0
	v_cmp_ne_u16_sdwa s[4:5], v1, v2 src0_sel:BYTE_0 src1_sel:DWORD
	s_andn2_b64 s[0:1], s[0:1], exec
	s_and_b64 s[4:5], s[4:5], exec
	s_or_b64 s[0:1], s[0:1], s[4:5]
	s_or_b64 exec, exec, s[2:3]
	s_and_saveexec_b64 s[2:3], s[0:1]
	s_cbranch_execnz .LBB261_291
	s_branch .LBB261_292
.LBB261_301:
	s_mov_b64 s[0:1], 0
	s_mov_b32 s6, 0x7f800001
	s_cbranch_execz .LBB261_303
; %bb.302:
	s_and_b32 s0, 0xffff, s4
	s_cmp_lg_u32 s0, 0
	s_mov_b32 s6, 0
	s_cselect_b64 s[0:1], -1, 0
.LBB261_303:
	s_andn2_b64 vcc, exec, s[0:1]
	s_cbranch_vccnz .LBB261_305
; %bb.304:
	s_mov_b32 s6, s40
.LBB261_305:
	s_movk_i32 s0, 0x7f
	s_waitcnt vmcnt(0)
	v_cmp_gt_i16_sdwa s[2:3], v1, s0 src0_sel:BYTE_0 src1_sel:DWORD
	s_mov_b64 s[0:1], 0
	s_and_saveexec_b64 s[4:5], s[2:3]
	s_xor_b64 s[2:3], exec, s[4:5]
	s_cbranch_execnz .LBB261_317
; %bb.306:
	s_or_saveexec_b64 s[2:3], s[2:3]
	v_mov_b32_e32 v2, 0x7f800001
	s_xor_b64 exec, exec, s[2:3]
	s_cbranch_execnz .LBB261_320
.LBB261_307:
	s_or_b64 exec, exec, s[2:3]
	s_and_saveexec_b64 s[2:3], s[0:1]
	s_cbranch_execz .LBB261_309
.LBB261_308:
	v_and_b32_e32 v4, 3, v1
	v_ffbh_u32_e32 v5, v4
	v_min_u32_e32 v5, 32, v5
	v_lshrrev_b16_e32 v3, 2, v1
	v_subrev_u32_e32 v6, 29, v5
	v_lshlrev_b32_e32 v2, 24, v1
	v_and_b32_e32 v3, 31, v3
	v_lshlrev_b32_e32 v1, v6, v1
	v_sub_u32_e32 v5, 30, v5
	v_and_b32_e32 v1, 3, v1
	v_cmp_eq_u32_e32 vcc, 0, v3
	v_cndmask_b32_e32 v3, v3, v5, vcc
	v_cndmask_b32_e32 v1, v4, v1, vcc
	v_mov_b32_e32 v4, 0x37800000
	v_lshlrev_b32_e32 v1, 21, v1
	v_and_b32_e32 v2, 0x80000000, v2
	v_lshl_add_u32 v3, v3, 23, v4
	v_or3_b32 v2, v2, v3, v1
.LBB261_309:
	s_or_b64 exec, exec, s[2:3]
	v_cmp_eq_f32_e64 s[0:1], s6, v2
.LBB261_310:
	s_waitcnt vmcnt(0)
	v_cndmask_b32_e64 v1, 0, 1, s[0:1]
	v_add_u32_e32 v7, 0x80, v7
	global_store_byte v0, v1, s[16:17]
	s_or_b64 exec, exec, s[52:53]
	v_cmp_gt_i32_e32 vcc, s59, v7
	s_and_saveexec_b64 s[52:53], vcc
	s_cbranch_execz .LBB261_8
.LBB261_311:
	s_andn2_b64 vcc, exec, s[36:37]
	s_cbranch_vccnz .LBB261_316
; %bb.312:
	s_andn2_b64 vcc, exec, s[50:51]
	s_cbranch_vccnz .LBB261_321
; %bb.313:
	s_add_i32 s62, s60, 1
	s_cmp_eq_u32 s58, 2
	s_cbranch_scc1 .LBB261_322
; %bb.314:
	s_and_b32 s61, s62, 28
	v_mov_b32_e32 v2, 0
	s_mov_b32 s63, 0
	s_mov_b64 s[54:55], s[34:35]
	s_mov_b64 s[56:57], s[48:49]
	v_mov_b32_e32 v0, 0
	v_mov_b32_e32 v1, v7
.LBB261_315:                            ; =>This Inner Loop Header: Depth=1
	s_load_dwordx8 s[8:15], s[54:55], 0x4
	s_load_dwordx4 s[28:31], s[54:55], 0x24
	s_load_dwordx8 s[0:7], s[56:57], 0x0
	s_add_u32 s54, s54, 48
	s_addc_u32 s55, s55, 0
	s_waitcnt lgkmcnt(0)
	v_mul_hi_u32 v3, s9, v1
	s_add_i32 s63, s63, 4
	s_add_u32 s56, s56, 32
	s_addc_u32 s57, s57, 0
	v_add_u32_e32 v3, v1, v3
	v_lshrrev_b32_e32 v3, s10, v3
	v_mul_lo_u32 v4, v3, s8
	v_mul_hi_u32 v5, s12, v3
	s_cmp_eq_u32 s61, s63
	v_sub_u32_e32 v1, v1, v4
	v_add_u32_e32 v4, v3, v5
	v_mul_lo_u32 v5, v1, s0
	v_mul_lo_u32 v6, v1, s1
	v_lshrrev_b32_e32 v1, s13, v4
	v_mul_lo_u32 v4, v1, s11
	v_mul_hi_u32 v8, s15, v1
	v_sub_u32_e32 v3, v3, v4
	v_add_u32_e32 v4, v1, v8
	v_lshrrev_b32_e32 v4, s28, v4
	v_mul_hi_u32 v9, s30, v4
	v_mul_lo_u32 v10, v4, s14
	v_mul_lo_u32 v8, v3, s2
	;; [unrolled: 1-line block ×3, first 2 shown]
	v_sub_u32_e32 v10, v1, v10
	v_add_u32_e32 v1, v4, v9
	v_lshrrev_b32_e32 v1, s31, v1
	v_mul_lo_u32 v9, v1, s29
	v_mul_lo_u32 v11, v10, s4
	;; [unrolled: 1-line block ×3, first 2 shown]
	v_add3_u32 v0, v5, v0, v8
	v_sub_u32_e32 v4, v4, v9
	v_mul_lo_u32 v9, v4, s6
	v_mul_lo_u32 v4, v4, s7
	v_add3_u32 v2, v6, v2, v3
	v_add3_u32 v0, v11, v0, v9
	;; [unrolled: 1-line block ×3, first 2 shown]
	s_cbranch_scc0 .LBB261_315
	s_branch .LBB261_323
.LBB261_316:
                                        ; implicit-def: $vgpr0
                                        ; implicit-def: $vgpr2
	s_branch .LBB261_327
.LBB261_317:
	s_movk_i32 s0, 0x80
	v_cmp_eq_u16_sdwa s[8:9], v1, s0 src0_sel:BYTE_0 src1_sel:DWORD
	s_mov_b64 s[0:1], -1
	s_and_saveexec_b64 s[4:5], s[8:9]
; %bb.318:
	s_xor_b64 s[0:1], exec, -1
; %bb.319:
	s_or_b64 exec, exec, s[4:5]
	s_and_b64 s[0:1], s[0:1], exec
	s_or_saveexec_b64 s[2:3], s[2:3]
	v_mov_b32_e32 v2, 0x7f800001
	s_xor_b64 exec, exec, s[2:3]
	s_cbranch_execz .LBB261_307
.LBB261_320:
	v_mov_b32_e32 v2, 0
	v_cmp_ne_u16_sdwa s[4:5], v1, v2 src0_sel:BYTE_0 src1_sel:DWORD
	s_andn2_b64 s[0:1], s[0:1], exec
	s_and_b64 s[4:5], s[4:5], exec
	s_or_b64 s[0:1], s[0:1], s[4:5]
	s_or_b64 exec, exec, s[2:3]
	s_and_saveexec_b64 s[2:3], s[0:1]
	s_cbranch_execnz .LBB261_308
	s_branch .LBB261_309
.LBB261_321:
	v_mov_b32_e32 v0, 0
	v_mov_b32_e32 v2, 0
	s_branch .LBB261_326
.LBB261_322:
	s_mov_b32 s61, 0
	v_mov_b32_e32 v0, 0
	v_mov_b32_e32 v2, 0
	;; [unrolled: 1-line block ×3, first 2 shown]
.LBB261_323:
	s_and_b32 s4, s62, 3
	s_cmp_eq_u32 s4, 0
	s_cbranch_scc1 .LBB261_326
; %bb.324:
	s_lshl_b32 s0, s61, 3
	s_add_u32 s0, s34, s0
	s_addc_u32 s1, s35, 0
	s_add_u32 s0, s0, 0xc4
	s_addc_u32 s1, s1, 0
	s_mul_i32 s2, s61, 12
	s_add_u32 s2, s34, s2
	s_addc_u32 s3, s35, 0
.LBB261_325:                            ; =>This Inner Loop Header: Depth=1
	s_load_dwordx2 s[6:7], s[2:3], 0x4
	s_load_dword s5, s[2:3], 0xc
	s_load_dwordx2 s[8:9], s[0:1], 0x0
	s_add_u32 s2, s2, 12
	s_addc_u32 s3, s3, 0
	s_waitcnt lgkmcnt(0)
	v_mul_hi_u32 v3, s7, v1
	s_add_u32 s0, s0, 8
	s_addc_u32 s1, s1, 0
	s_add_i32 s4, s4, -1
	v_add_u32_e32 v3, v1, v3
	v_lshrrev_b32_e32 v4, s5, v3
	v_mul_lo_u32 v3, v4, s6
	s_cmp_lg_u32 s4, 0
	v_sub_u32_e32 v3, v1, v3
	v_mad_u64_u32 v[0:1], s[6:7], v3, s8, v[0:1]
	v_mad_u64_u32 v[2:3], s[6:7], v3, s9, v[2:3]
	v_mov_b32_e32 v1, v4
	s_cbranch_scc1 .LBB261_325
.LBB261_326:
	s_cbranch_execnz .LBB261_329
.LBB261_327:
	v_mul_hi_u32 v0, s21, v7
	s_andn2_b64 vcc, exec, s[46:47]
	v_add_u32_e32 v0, v7, v0
	v_lshrrev_b32_e32 v1, s22, v0
	v_mul_lo_u32 v0, v1, s20
	v_sub_u32_e32 v2, v7, v0
	s_waitcnt lgkmcnt(0)
	v_mul_lo_u32 v0, v2, s24
	v_mul_lo_u32 v2, v2, s25
	s_cbranch_vccnz .LBB261_329
; %bb.328:
	v_mul_hi_u32 v3, s44, v1
	v_add_u32_e32 v3, v1, v3
	v_lshrrev_b32_e32 v3, s45, v3
	v_mul_lo_u32 v3, v3, s23
	v_sub_u32_e32 v3, v1, v3
	v_mad_u64_u32 v[0:1], s[0:1], v3, s26, v[0:1]
	v_mad_u64_u32 v[2:3], s[0:1], v3, s27, v[2:3]
.LBB261_329:
	s_waitcnt lgkmcnt(0)
	global_load_ubyte v1, v2, s[18:19]
	s_andn2_b64 vcc, exec, s[42:43]
	s_cbranch_vccnz .LBB261_334
; %bb.330:
	s_and_b32 s4, s41, 0xff
	s_cmpk_lt_i32 s4, 0x80
	s_cbranch_scc1 .LBB261_335
; %bb.331:
	s_and_b32 s0, 0xffff, s4
	s_cmpk_eq_i32 s0, 0x80
	s_mov_b64 s[0:1], -1
	s_cbranch_scc0 .LBB261_333
; %bb.332:
	s_mov_b64 s[0:1], 0
.LBB261_333:
	s_mov_b32 s6, 0x7f800001
	s_branch .LBB261_337
.LBB261_334:
                                        ; implicit-def: $sgpr0_sgpr1
	s_cbranch_execnz .LBB261_344
	s_branch .LBB261_361
.LBB261_335:
	s_mov_b64 s[0:1], 0
	s_mov_b32 s6, 0x7f800001
	s_cbranch_execz .LBB261_337
; %bb.336:
	s_and_b32 s0, 0xffff, s4
	s_cmp_lg_u32 s0, 0
	s_mov_b32 s6, 0
	s_cselect_b64 s[0:1], -1, 0
.LBB261_337:
	s_andn2_b64 vcc, exec, s[0:1]
	s_cbranch_vccnz .LBB261_339
; %bb.338:
	s_mov_b32 s6, s40
.LBB261_339:
	s_movk_i32 s0, 0x7f
	s_waitcnt vmcnt(0)
	v_cmp_gt_i16_sdwa s[2:3], v1, s0 src0_sel:BYTE_0 src1_sel:DWORD
	s_mov_b64 s[0:1], 0
	s_and_saveexec_b64 s[4:5], s[2:3]
	s_xor_b64 s[2:3], exec, s[4:5]
	s_cbranch_execnz .LBB261_348
; %bb.340:
	s_or_saveexec_b64 s[2:3], s[2:3]
	v_mov_b32_e32 v2, 0x7f800001
	s_xor_b64 exec, exec, s[2:3]
	s_cbranch_execnz .LBB261_351
.LBB261_341:
	s_or_b64 exec, exec, s[2:3]
	s_and_saveexec_b64 s[2:3], s[0:1]
	s_cbranch_execz .LBB261_343
.LBB261_342:
	v_and_b32_e32 v4, 3, v1
	v_ffbh_u32_e32 v5, v4
	v_min_u32_e32 v5, 32, v5
	v_lshrrev_b16_e32 v3, 2, v1
	v_subrev_u32_e32 v6, 29, v5
	v_and_b32_e32 v3, 31, v3
	v_lshlrev_b32_e32 v6, v6, v1
	v_sub_u32_e32 v5, 30, v5
	v_and_b32_e32 v6, 3, v6
	v_cmp_eq_u32_e32 vcc, 0, v3
	v_lshlrev_b32_e32 v2, 24, v1
	v_cndmask_b32_e32 v3, v3, v5, vcc
	v_cndmask_b32_e32 v4, v4, v6, vcc
	v_mov_b32_e32 v5, 0x37800000
	v_lshlrev_b32_e32 v4, 21, v4
	v_and_b32_e32 v2, 0x80000000, v2
	v_lshl_add_u32 v3, v3, 23, v5
	v_or3_b32 v2, v2, v3, v4
.LBB261_343:
	s_or_b64 exec, exec, s[2:3]
	v_cmp_neq_f32_e64 s[0:1], s6, v2
	s_branch .LBB261_361
.LBB261_344:
	s_and_b32 s4, s41, 0xff
	s_cmpk_lt_i32 s4, 0x80
	s_cbranch_scc1 .LBB261_352
; %bb.345:
	s_and_b32 s0, 0xffff, s4
	s_cmpk_eq_i32 s0, 0x80
	s_mov_b64 s[0:1], -1
	s_cbranch_scc0 .LBB261_347
; %bb.346:
	s_mov_b64 s[0:1], 0
.LBB261_347:
	s_mov_b32 s6, 0x7f800001
	s_branch .LBB261_354
.LBB261_348:
	s_movk_i32 s0, 0x80
	v_cmp_eq_u16_sdwa s[8:9], v1, s0 src0_sel:BYTE_0 src1_sel:DWORD
	s_mov_b64 s[0:1], -1
	s_and_saveexec_b64 s[4:5], s[8:9]
; %bb.349:
	s_xor_b64 s[0:1], exec, -1
; %bb.350:
	s_or_b64 exec, exec, s[4:5]
	s_and_b64 s[0:1], s[0:1], exec
	s_or_saveexec_b64 s[2:3], s[2:3]
	v_mov_b32_e32 v2, 0x7f800001
	s_xor_b64 exec, exec, s[2:3]
	s_cbranch_execz .LBB261_341
.LBB261_351:
	v_mov_b32_e32 v2, 0
	v_cmp_ne_u16_sdwa s[4:5], v1, v2 src0_sel:BYTE_0 src1_sel:DWORD
	s_andn2_b64 s[0:1], s[0:1], exec
	s_and_b64 s[4:5], s[4:5], exec
	s_or_b64 s[0:1], s[0:1], s[4:5]
	s_or_b64 exec, exec, s[2:3]
	s_and_saveexec_b64 s[2:3], s[0:1]
	s_cbranch_execnz .LBB261_342
	s_branch .LBB261_343
.LBB261_352:
	s_mov_b64 s[0:1], 0
	s_mov_b32 s6, 0x7f800001
	s_cbranch_execz .LBB261_354
; %bb.353:
	s_and_b32 s0, 0xffff, s4
	s_cmp_lg_u32 s0, 0
	s_mov_b32 s6, 0
	s_cselect_b64 s[0:1], -1, 0
.LBB261_354:
	s_andn2_b64 vcc, exec, s[0:1]
	s_cbranch_vccnz .LBB261_356
; %bb.355:
	s_mov_b32 s6, s40
.LBB261_356:
	s_movk_i32 s0, 0x7f
	s_waitcnt vmcnt(0)
	v_cmp_gt_i16_sdwa s[2:3], v1, s0 src0_sel:BYTE_0 src1_sel:DWORD
	s_mov_b64 s[0:1], 0
	s_and_saveexec_b64 s[4:5], s[2:3]
	s_xor_b64 s[2:3], exec, s[4:5]
	s_cbranch_execnz .LBB261_368
; %bb.357:
	s_or_saveexec_b64 s[2:3], s[2:3]
	v_mov_b32_e32 v2, 0x7f800001
	s_xor_b64 exec, exec, s[2:3]
	s_cbranch_execnz .LBB261_371
.LBB261_358:
	s_or_b64 exec, exec, s[2:3]
	s_and_saveexec_b64 s[2:3], s[0:1]
	s_cbranch_execz .LBB261_360
.LBB261_359:
	v_and_b32_e32 v4, 3, v1
	v_ffbh_u32_e32 v5, v4
	v_min_u32_e32 v5, 32, v5
	v_lshrrev_b16_e32 v3, 2, v1
	v_subrev_u32_e32 v6, 29, v5
	v_lshlrev_b32_e32 v2, 24, v1
	v_and_b32_e32 v3, 31, v3
	v_lshlrev_b32_e32 v1, v6, v1
	v_sub_u32_e32 v5, 30, v5
	v_and_b32_e32 v1, 3, v1
	v_cmp_eq_u32_e32 vcc, 0, v3
	v_cndmask_b32_e32 v3, v3, v5, vcc
	v_cndmask_b32_e32 v1, v4, v1, vcc
	v_mov_b32_e32 v4, 0x37800000
	v_lshlrev_b32_e32 v1, 21, v1
	v_and_b32_e32 v2, 0x80000000, v2
	v_lshl_add_u32 v3, v3, 23, v4
	v_or3_b32 v2, v2, v3, v1
.LBB261_360:
	s_or_b64 exec, exec, s[2:3]
	v_cmp_eq_f32_e64 s[0:1], s6, v2
.LBB261_361:
	s_waitcnt vmcnt(0)
	v_cndmask_b32_e64 v1, 0, 1, s[0:1]
	v_add_u32_e32 v7, 0x80, v7
	global_store_byte v0, v1, s[16:17]
	s_or_b64 exec, exec, s[52:53]
	v_cmp_gt_i32_e32 vcc, s59, v7
	s_and_saveexec_b64 s[52:53], vcc
	s_cbranch_execz .LBB261_413
.LBB261_362:
	s_andn2_b64 vcc, exec, s[36:37]
	s_cbranch_vccnz .LBB261_367
; %bb.363:
	s_andn2_b64 vcc, exec, s[50:51]
	s_cbranch_vccnz .LBB261_372
; %bb.364:
	s_add_i32 s60, s60, 1
	s_cmp_eq_u32 s58, 2
	s_cbranch_scc1 .LBB261_373
; %bb.365:
	s_and_b32 s54, s60, 28
	v_mov_b32_e32 v2, 0
	s_mov_b32 s55, 0
	s_mov_b64 s[50:51], s[34:35]
	v_mov_b32_e32 v0, 0
	v_mov_b32_e32 v1, v7
.LBB261_366:                            ; =>This Inner Loop Header: Depth=1
	s_load_dwordx8 s[8:15], s[50:51], 0x4
	s_load_dwordx4 s[28:31], s[50:51], 0x24
	s_load_dwordx8 s[0:7], s[48:49], 0x0
	s_add_u32 s50, s50, 48
	s_addc_u32 s51, s51, 0
	s_waitcnt lgkmcnt(0)
	v_mul_hi_u32 v3, s9, v1
	s_add_i32 s55, s55, 4
	s_add_u32 s48, s48, 32
	s_addc_u32 s49, s49, 0
	v_add_u32_e32 v3, v1, v3
	v_lshrrev_b32_e32 v3, s10, v3
	v_mul_lo_u32 v4, v3, s8
	v_mul_hi_u32 v5, s12, v3
	s_cmp_eq_u32 s54, s55
	v_sub_u32_e32 v1, v1, v4
	v_add_u32_e32 v4, v3, v5
	v_mul_lo_u32 v5, v1, s0
	v_mul_lo_u32 v6, v1, s1
	v_lshrrev_b32_e32 v1, s13, v4
	v_mul_lo_u32 v4, v1, s11
	v_mul_hi_u32 v8, s15, v1
	v_sub_u32_e32 v3, v3, v4
	v_add_u32_e32 v4, v1, v8
	v_lshrrev_b32_e32 v4, s28, v4
	v_mul_hi_u32 v9, s30, v4
	v_mul_lo_u32 v10, v4, s14
	v_mul_lo_u32 v8, v3, s2
	v_mul_lo_u32 v3, v3, s3
	v_sub_u32_e32 v10, v1, v10
	v_add_u32_e32 v1, v4, v9
	v_lshrrev_b32_e32 v1, s31, v1
	v_mul_lo_u32 v9, v1, s29
	v_mul_lo_u32 v11, v10, s4
	;; [unrolled: 1-line block ×3, first 2 shown]
	v_add3_u32 v0, v5, v0, v8
	v_sub_u32_e32 v4, v4, v9
	v_mul_lo_u32 v9, v4, s6
	v_mul_lo_u32 v4, v4, s7
	v_add3_u32 v2, v6, v2, v3
	v_add3_u32 v0, v11, v0, v9
	;; [unrolled: 1-line block ×3, first 2 shown]
	s_cbranch_scc0 .LBB261_366
	s_branch .LBB261_374
.LBB261_367:
                                        ; implicit-def: $vgpr0
                                        ; implicit-def: $vgpr2
	s_branch .LBB261_378
.LBB261_368:
	s_movk_i32 s0, 0x80
	v_cmp_eq_u16_sdwa s[8:9], v1, s0 src0_sel:BYTE_0 src1_sel:DWORD
	s_mov_b64 s[0:1], -1
	s_and_saveexec_b64 s[4:5], s[8:9]
; %bb.369:
	s_xor_b64 s[0:1], exec, -1
; %bb.370:
	s_or_b64 exec, exec, s[4:5]
	s_and_b64 s[0:1], s[0:1], exec
	s_or_saveexec_b64 s[2:3], s[2:3]
	v_mov_b32_e32 v2, 0x7f800001
	s_xor_b64 exec, exec, s[2:3]
	s_cbranch_execz .LBB261_358
.LBB261_371:
	v_mov_b32_e32 v2, 0
	v_cmp_ne_u16_sdwa s[4:5], v1, v2 src0_sel:BYTE_0 src1_sel:DWORD
	s_andn2_b64 s[0:1], s[0:1], exec
	s_and_b64 s[4:5], s[4:5], exec
	s_or_b64 s[0:1], s[0:1], s[4:5]
	s_or_b64 exec, exec, s[2:3]
	s_and_saveexec_b64 s[2:3], s[0:1]
	s_cbranch_execnz .LBB261_359
	s_branch .LBB261_360
.LBB261_372:
	v_mov_b32_e32 v0, 0
	v_mov_b32_e32 v2, 0
	s_branch .LBB261_377
.LBB261_373:
	s_mov_b32 s54, 0
	v_mov_b32_e32 v0, 0
	v_mov_b32_e32 v2, 0
	;; [unrolled: 1-line block ×3, first 2 shown]
.LBB261_374:
	s_and_b32 s4, s60, 3
	s_cmp_eq_u32 s4, 0
	s_cbranch_scc1 .LBB261_377
; %bb.375:
	s_lshl_b32 s0, s54, 3
	s_add_u32 s0, s34, s0
	s_addc_u32 s1, s35, 0
	s_add_u32 s0, s0, 0xc4
	s_addc_u32 s1, s1, 0
	s_mul_i32 s2, s54, 12
	s_add_u32 s2, s34, s2
	s_addc_u32 s3, s35, 0
.LBB261_376:                            ; =>This Inner Loop Header: Depth=1
	s_load_dwordx2 s[6:7], s[2:3], 0x4
	s_load_dword s5, s[2:3], 0xc
	s_load_dwordx2 s[8:9], s[0:1], 0x0
	s_add_u32 s2, s2, 12
	s_addc_u32 s3, s3, 0
	s_waitcnt lgkmcnt(0)
	v_mul_hi_u32 v3, s7, v1
	s_add_u32 s0, s0, 8
	s_addc_u32 s1, s1, 0
	s_add_i32 s4, s4, -1
	v_add_u32_e32 v3, v1, v3
	v_lshrrev_b32_e32 v4, s5, v3
	v_mul_lo_u32 v3, v4, s6
	s_cmp_lg_u32 s4, 0
	v_sub_u32_e32 v3, v1, v3
	v_mad_u64_u32 v[0:1], s[6:7], v3, s8, v[0:1]
	v_mad_u64_u32 v[2:3], s[6:7], v3, s9, v[2:3]
	v_mov_b32_e32 v1, v4
	s_cbranch_scc1 .LBB261_376
.LBB261_377:
	s_cbranch_execnz .LBB261_380
.LBB261_378:
	v_mul_hi_u32 v0, s21, v7
	s_andn2_b64 vcc, exec, s[46:47]
	v_add_u32_e32 v0, v7, v0
	v_lshrrev_b32_e32 v1, s22, v0
	v_mul_lo_u32 v0, v1, s20
	v_sub_u32_e32 v2, v7, v0
	s_waitcnt lgkmcnt(0)
	v_mul_lo_u32 v0, v2, s24
	v_mul_lo_u32 v2, v2, s25
	s_cbranch_vccnz .LBB261_380
; %bb.379:
	v_mul_hi_u32 v3, s44, v1
	v_add_u32_e32 v3, v1, v3
	v_lshrrev_b32_e32 v3, s45, v3
	v_mul_lo_u32 v3, v3, s23
	v_sub_u32_e32 v3, v1, v3
	v_mad_u64_u32 v[0:1], s[0:1], v3, s26, v[0:1]
	v_mad_u64_u32 v[2:3], s[0:1], v3, s27, v[2:3]
.LBB261_380:
	s_waitcnt lgkmcnt(0)
	global_load_ubyte v1, v2, s[18:19]
	s_andn2_b64 vcc, exec, s[42:43]
	s_cbranch_vccnz .LBB261_385
; %bb.381:
	s_and_b32 s4, s41, 0xff
	s_cmpk_lt_i32 s4, 0x80
	s_cbranch_scc1 .LBB261_386
; %bb.382:
	s_and_b32 s0, 0xffff, s4
	s_cmpk_eq_i32 s0, 0x80
	s_mov_b64 s[0:1], -1
	s_cbranch_scc0 .LBB261_384
; %bb.383:
	s_mov_b64 s[0:1], 0
.LBB261_384:
	s_mov_b32 s6, 0x7f800001
	s_branch .LBB261_388
.LBB261_385:
                                        ; implicit-def: $sgpr0_sgpr1
	s_cbranch_execnz .LBB261_395
	s_branch .LBB261_412
.LBB261_386:
	s_mov_b64 s[0:1], 0
	s_mov_b32 s6, 0x7f800001
	s_cbranch_execz .LBB261_388
; %bb.387:
	s_and_b32 s0, 0xffff, s4
	s_cmp_lg_u32 s0, 0
	s_mov_b32 s6, 0
	s_cselect_b64 s[0:1], -1, 0
.LBB261_388:
	s_andn2_b64 vcc, exec, s[0:1]
	s_cbranch_vccnz .LBB261_390
; %bb.389:
	s_mov_b32 s6, s40
.LBB261_390:
	s_movk_i32 s0, 0x7f
	s_waitcnt vmcnt(0)
	v_cmp_gt_i16_sdwa s[2:3], v1, s0 src0_sel:BYTE_0 src1_sel:DWORD
	s_mov_b64 s[0:1], 0
	s_and_saveexec_b64 s[4:5], s[2:3]
	s_xor_b64 s[2:3], exec, s[4:5]
	s_cbranch_execnz .LBB261_399
; %bb.391:
	s_or_saveexec_b64 s[2:3], s[2:3]
	v_mov_b32_e32 v2, 0x7f800001
	s_xor_b64 exec, exec, s[2:3]
	s_cbranch_execnz .LBB261_402
.LBB261_392:
	s_or_b64 exec, exec, s[2:3]
	s_and_saveexec_b64 s[2:3], s[0:1]
	s_cbranch_execz .LBB261_394
.LBB261_393:
	v_and_b32_e32 v4, 3, v1
	v_ffbh_u32_e32 v5, v4
	v_min_u32_e32 v5, 32, v5
	v_lshrrev_b16_e32 v3, 2, v1
	v_subrev_u32_e32 v6, 29, v5
	v_and_b32_e32 v3, 31, v3
	v_lshlrev_b32_e32 v6, v6, v1
	v_sub_u32_e32 v5, 30, v5
	v_and_b32_e32 v6, 3, v6
	v_cmp_eq_u32_e32 vcc, 0, v3
	v_lshlrev_b32_e32 v2, 24, v1
	v_cndmask_b32_e32 v3, v3, v5, vcc
	v_cndmask_b32_e32 v4, v4, v6, vcc
	v_mov_b32_e32 v5, 0x37800000
	v_lshlrev_b32_e32 v4, 21, v4
	v_and_b32_e32 v2, 0x80000000, v2
	v_lshl_add_u32 v3, v3, 23, v5
	v_or3_b32 v2, v2, v3, v4
.LBB261_394:
	s_or_b64 exec, exec, s[2:3]
	v_cmp_neq_f32_e64 s[0:1], s6, v2
	s_branch .LBB261_412
.LBB261_395:
	s_and_b32 s4, s41, 0xff
	s_cmpk_lt_i32 s4, 0x80
	s_cbranch_scc1 .LBB261_403
; %bb.396:
	s_and_b32 s0, 0xffff, s4
	s_cmpk_eq_i32 s0, 0x80
	s_mov_b64 s[0:1], -1
	s_cbranch_scc0 .LBB261_398
; %bb.397:
	s_mov_b64 s[0:1], 0
.LBB261_398:
	s_mov_b32 s6, 0x7f800001
	s_branch .LBB261_405
.LBB261_399:
	s_movk_i32 s0, 0x80
	v_cmp_eq_u16_sdwa s[8:9], v1, s0 src0_sel:BYTE_0 src1_sel:DWORD
	s_mov_b64 s[0:1], -1
	s_and_saveexec_b64 s[4:5], s[8:9]
; %bb.400:
	s_xor_b64 s[0:1], exec, -1
; %bb.401:
	s_or_b64 exec, exec, s[4:5]
	s_and_b64 s[0:1], s[0:1], exec
	s_or_saveexec_b64 s[2:3], s[2:3]
	v_mov_b32_e32 v2, 0x7f800001
	s_xor_b64 exec, exec, s[2:3]
	s_cbranch_execz .LBB261_392
.LBB261_402:
	v_mov_b32_e32 v2, 0
	v_cmp_ne_u16_sdwa s[4:5], v1, v2 src0_sel:BYTE_0 src1_sel:DWORD
	s_andn2_b64 s[0:1], s[0:1], exec
	s_and_b64 s[4:5], s[4:5], exec
	s_or_b64 s[0:1], s[0:1], s[4:5]
	s_or_b64 exec, exec, s[2:3]
	s_and_saveexec_b64 s[2:3], s[0:1]
	s_cbranch_execnz .LBB261_393
	s_branch .LBB261_394
.LBB261_403:
	s_mov_b64 s[0:1], 0
	s_mov_b32 s6, 0x7f800001
	s_cbranch_execz .LBB261_405
; %bb.404:
	s_and_b32 s0, 0xffff, s4
	s_cmp_lg_u32 s0, 0
	s_mov_b32 s6, 0
	s_cselect_b64 s[0:1], -1, 0
.LBB261_405:
	s_andn2_b64 vcc, exec, s[0:1]
	s_cbranch_vccnz .LBB261_407
; %bb.406:
	s_mov_b32 s6, s40
.LBB261_407:
	s_movk_i32 s0, 0x7f
	s_waitcnt vmcnt(0)
	v_cmp_gt_i16_sdwa s[2:3], v1, s0 src0_sel:BYTE_0 src1_sel:DWORD
	s_mov_b64 s[0:1], 0
	s_and_saveexec_b64 s[4:5], s[2:3]
	s_xor_b64 s[2:3], exec, s[4:5]
	s_cbranch_execnz .LBB261_817
; %bb.408:
	s_or_saveexec_b64 s[2:3], s[2:3]
	v_mov_b32_e32 v2, 0x7f800001
	s_xor_b64 exec, exec, s[2:3]
	s_cbranch_execnz .LBB261_820
.LBB261_409:
	s_or_b64 exec, exec, s[2:3]
	s_and_saveexec_b64 s[2:3], s[0:1]
	s_cbranch_execz .LBB261_411
.LBB261_410:
	v_and_b32_e32 v4, 3, v1
	v_ffbh_u32_e32 v5, v4
	v_min_u32_e32 v5, 32, v5
	v_lshrrev_b16_e32 v3, 2, v1
	v_subrev_u32_e32 v6, 29, v5
	v_lshlrev_b32_e32 v2, 24, v1
	v_and_b32_e32 v3, 31, v3
	v_lshlrev_b32_e32 v1, v6, v1
	v_sub_u32_e32 v5, 30, v5
	v_and_b32_e32 v1, 3, v1
	v_cmp_eq_u32_e32 vcc, 0, v3
	v_cndmask_b32_e32 v3, v3, v5, vcc
	v_cndmask_b32_e32 v1, v4, v1, vcc
	v_mov_b32_e32 v4, 0x37800000
	v_lshlrev_b32_e32 v1, 21, v1
	v_and_b32_e32 v2, 0x80000000, v2
	v_lshl_add_u32 v3, v3, 23, v4
	v_or3_b32 v2, v2, v3, v1
.LBB261_411:
	s_or_b64 exec, exec, s[2:3]
	v_cmp_eq_f32_e64 s[0:1], s6, v2
.LBB261_412:
	s_waitcnt vmcnt(0)
	v_cndmask_b32_e64 v1, 0, 1, s[0:1]
	global_store_byte v0, v1, s[16:17]
.LBB261_413:
	s_or_b64 exec, exec, s[52:53]
                                        ; implicit-def: $vgpr25
                                        ; implicit-def: $vgpr7
.LBB261_414:
	s_andn2_saveexec_b64 s[0:1], s[38:39]
	s_cbranch_execz .LBB261_421
; %bb.415:
	v_cndmask_b32_e64 v0, 0, 1, s[36:37]
	v_cmp_ne_u32_e64 s[0:1], 1, v0
	s_andn2_b64 vcc, exec, s[36:37]
	s_cbranch_vccnz .LBB261_422
; %bb.416:
	s_cmp_lg_u32 s33, 0
	s_waitcnt lgkmcnt(0)
	s_mov_b32 s26, 0
	s_cbranch_scc0 .LBB261_423
; %bb.417:
	s_min_u32 s27, s58, 15
	s_add_i32 s27, s27, 1
	s_cmp_eq_u32 s58, 2
	s_cbranch_scc1 .LBB261_424
; %bb.418:
	s_and_b32 s26, s27, 28
	s_add_u32 s2, s34, 0xc4
	s_addc_u32 s3, s35, 0
	v_mov_b32_e32 v23, 0
	s_mov_b32 s28, 0
	s_mov_b64 s[24:25], s[34:35]
	v_mov_b32_e32 v0, 0
	v_mov_b32_e32 v1, v7
.LBB261_419:                            ; =>This Inner Loop Header: Depth=1
	s_load_dwordx8 s[12:19], s[24:25], 0x4
	s_load_dwordx4 s[20:23], s[24:25], 0x24
	s_load_dwordx8 s[4:11], s[2:3], 0x0
	s_add_u32 s24, s24, 48
	s_addc_u32 s25, s25, 0
	s_waitcnt lgkmcnt(0)
	v_mul_hi_u32 v2, s13, v1
	s_add_i32 s28, s28, 4
	s_add_u32 s2, s2, 32
	s_addc_u32 s3, s3, 0
	v_add_u32_e32 v2, v1, v2
	v_lshrrev_b32_e32 v2, s14, v2
	v_mul_lo_u32 v3, v2, s12
	v_mul_hi_u32 v4, s16, v2
	s_cmp_lg_u32 s26, s28
	v_sub_u32_e32 v1, v1, v3
	v_add_u32_e32 v3, v2, v4
	v_mul_lo_u32 v4, v1, s4
	v_mul_lo_u32 v5, v1, s5
	v_lshrrev_b32_e32 v1, s17, v3
	v_mul_lo_u32 v3, v1, s15
	v_mul_hi_u32 v6, s19, v1
	v_sub_u32_e32 v2, v2, v3
	v_add_u32_e32 v3, v1, v6
	v_lshrrev_b32_e32 v3, s20, v3
	v_mul_hi_u32 v8, s22, v3
	v_mul_lo_u32 v9, v3, s18
	v_mul_lo_u32 v6, v2, s6
	v_mul_lo_u32 v2, v2, s7
	v_sub_u32_e32 v9, v1, v9
	v_add_u32_e32 v1, v3, v8
	v_lshrrev_b32_e32 v1, s23, v1
	v_mul_lo_u32 v8, v1, s21
	v_mul_lo_u32 v10, v9, s8
	;; [unrolled: 1-line block ×3, first 2 shown]
	v_add3_u32 v0, v4, v0, v6
	v_sub_u32_e32 v3, v3, v8
	v_mul_lo_u32 v8, v3, s10
	v_mul_lo_u32 v3, v3, s11
	v_add3_u32 v2, v5, v23, v2
	v_add3_u32 v0, v10, v0, v8
	;; [unrolled: 1-line block ×3, first 2 shown]
	s_cbranch_scc1 .LBB261_419
; %bb.420:
	s_and_b32 s6, s27, 3
	s_cmp_eq_u32 s6, 0
	s_cbranch_scc0 .LBB261_425
	s_branch .LBB261_427
.LBB261_421:
	s_endpgm
.LBB261_422:
                                        ; implicit-def: $vgpr0
                                        ; implicit-def: $vgpr23
	s_branch .LBB261_428
.LBB261_423:
	v_mov_b32_e32 v0, 0
	v_mov_b32_e32 v23, 0
	s_branch .LBB261_427
.LBB261_424:
	v_mov_b32_e32 v0, 0
	v_mov_b32_e32 v23, 0
	;; [unrolled: 1-line block ×3, first 2 shown]
	s_and_b32 s6, s27, 3
	s_cmp_eq_u32 s6, 0
	s_cbranch_scc1 .LBB261_427
.LBB261_425:
	s_lshl_b32 s2, s26, 3
	s_add_u32 s2, s34, s2
	s_addc_u32 s3, s35, 0
	s_add_u32 s2, s2, 0xc4
	s_addc_u32 s3, s3, 0
	s_mul_i32 s4, s26, 12
	s_add_u32 s4, s34, s4
	s_addc_u32 s5, s35, 0
.LBB261_426:                            ; =>This Inner Loop Header: Depth=1
	s_load_dwordx2 s[8:9], s[4:5], 0x4
	s_load_dword s7, s[4:5], 0xc
	s_load_dwordx2 s[10:11], s[2:3], 0x0
	s_add_u32 s4, s4, 12
	s_addc_u32 s5, s5, 0
	s_waitcnt lgkmcnt(0)
	v_mul_hi_u32 v2, s9, v1
	s_add_u32 s2, s2, 8
	s_addc_u32 s3, s3, 0
	s_add_i32 s6, s6, -1
	v_add_u32_e32 v2, v1, v2
	v_lshrrev_b32_e32 v2, s7, v2
	v_mul_lo_u32 v3, v2, s8
	s_cmp_lg_u32 s6, 0
	v_sub_u32_e32 v3, v1, v3
	v_mad_u64_u32 v[0:1], s[8:9], v3, s10, v[0:1]
	v_mad_u64_u32 v[23:24], s[8:9], v3, s11, v[23:24]
	v_mov_b32_e32 v1, v2
	s_cbranch_scc1 .LBB261_426
.LBB261_427:
	s_cbranch_execnz .LBB261_430
.LBB261_428:
	s_load_dwordx4 s[4:7], s[34:35], 0x4
	s_load_dwordx2 s[2:3], s[34:35], 0xc4
	s_cmp_lt_u32 s33, 2
	s_waitcnt lgkmcnt(0)
	v_mul_hi_u32 v0, s5, v7
	v_add_u32_e32 v0, v7, v0
	v_lshrrev_b32_e32 v1, s6, v0
	v_mul_lo_u32 v0, v1, s4
	v_sub_u32_e32 v2, v7, v0
	v_mul_lo_u32 v0, v2, s2
	v_mul_lo_u32 v23, v2, s3
	s_cbranch_scc1 .LBB261_430
; %bb.429:
	s_load_dwordx4 s[4:7], s[34:35], 0x10
	s_load_dwordx2 s[2:3], s[34:35], 0xcc
	s_waitcnt lgkmcnt(0)
	v_mul_hi_u32 v2, s5, v1
	v_add_u32_e32 v2, v1, v2
	v_lshrrev_b32_e32 v2, s6, v2
	v_mul_lo_u32 v2, v2, s4
	v_sub_u32_e32 v2, v1, v2
	v_mad_u64_u32 v[0:1], s[4:5], v2, s2, v[0:1]
	v_mad_u64_u32 v[23:24], s[2:3], v2, s3, v[23:24]
.LBB261_430:
	s_and_b64 vcc, exec, s[0:1]
	v_add_u32_e32 v3, 0x80, v7
	s_cbranch_vccnz .LBB261_436
; %bb.431:
	s_cmp_lg_u32 s33, 0
	s_waitcnt lgkmcnt(0)
	s_mov_b32 s26, 0
	s_cbranch_scc0 .LBB261_437
; %bb.432:
	s_min_u32 s27, s58, 15
	s_add_i32 s27, s27, 1
	s_cmp_eq_u32 s58, 2
	s_cbranch_scc1 .LBB261_438
; %bb.433:
	s_and_b32 s26, s27, 28
	s_add_u32 s2, s34, 0xc4
	s_addc_u32 s3, s35, 0
	v_mov_b32_e32 v21, 0
	s_mov_b32 s28, 0
	s_mov_b64 s[24:25], s[34:35]
	v_mov_b32_e32 v1, 0
	v_mov_b32_e32 v2, v3
.LBB261_434:                            ; =>This Inner Loop Header: Depth=1
	s_load_dwordx8 s[12:19], s[24:25], 0x4
	s_load_dwordx4 s[20:23], s[24:25], 0x24
	s_load_dwordx8 s[4:11], s[2:3], 0x0
	s_add_u32 s24, s24, 48
	s_addc_u32 s25, s25, 0
	s_waitcnt lgkmcnt(0)
	v_mul_hi_u32 v4, s13, v2
	s_add_i32 s28, s28, 4
	s_add_u32 s2, s2, 32
	s_addc_u32 s3, s3, 0
	v_add_u32_e32 v4, v2, v4
	v_lshrrev_b32_e32 v4, s14, v4
	v_mul_lo_u32 v5, v4, s12
	v_mul_hi_u32 v6, s16, v4
	s_cmp_lg_u32 s26, s28
	v_sub_u32_e32 v2, v2, v5
	v_add_u32_e32 v5, v4, v6
	v_mul_lo_u32 v6, v2, s4
	v_mul_lo_u32 v8, v2, s5
	v_lshrrev_b32_e32 v2, s17, v5
	v_mul_lo_u32 v5, v2, s15
	v_mul_hi_u32 v9, s19, v2
	v_sub_u32_e32 v4, v4, v5
	v_add_u32_e32 v5, v2, v9
	v_lshrrev_b32_e32 v5, s20, v5
	v_mul_hi_u32 v10, s22, v5
	v_mul_lo_u32 v11, v5, s18
	v_mul_lo_u32 v9, v4, s6
	v_mul_lo_u32 v4, v4, s7
	v_sub_u32_e32 v11, v2, v11
	v_add_u32_e32 v2, v5, v10
	v_lshrrev_b32_e32 v2, s23, v2
	v_mul_lo_u32 v10, v2, s21
	v_mul_lo_u32 v12, v11, s8
	;; [unrolled: 1-line block ×3, first 2 shown]
	v_add3_u32 v1, v6, v1, v9
	v_sub_u32_e32 v5, v5, v10
	v_mul_lo_u32 v10, v5, s10
	v_mul_lo_u32 v5, v5, s11
	v_add3_u32 v4, v8, v21, v4
	v_add3_u32 v1, v12, v1, v10
	;; [unrolled: 1-line block ×3, first 2 shown]
	s_cbranch_scc1 .LBB261_434
; %bb.435:
	s_and_b32 s6, s27, 3
	s_cmp_eq_u32 s6, 0
	s_cbranch_scc0 .LBB261_439
	s_branch .LBB261_441
.LBB261_436:
                                        ; implicit-def: $vgpr1
                                        ; implicit-def: $vgpr21
	s_branch .LBB261_442
.LBB261_437:
	v_mov_b32_e32 v1, 0
	v_mov_b32_e32 v21, 0
	s_branch .LBB261_441
.LBB261_438:
	v_mov_b32_e32 v1, 0
	v_mov_b32_e32 v21, 0
	;; [unrolled: 1-line block ×3, first 2 shown]
	s_and_b32 s6, s27, 3
	s_cmp_eq_u32 s6, 0
	s_cbranch_scc1 .LBB261_441
.LBB261_439:
	s_lshl_b32 s2, s26, 3
	s_add_u32 s2, s34, s2
	s_addc_u32 s3, s35, 0
	s_add_u32 s2, s2, 0xc4
	s_addc_u32 s3, s3, 0
	s_mul_i32 s4, s26, 12
	s_add_u32 s4, s34, s4
	s_addc_u32 s5, s35, 0
.LBB261_440:                            ; =>This Inner Loop Header: Depth=1
	s_load_dwordx2 s[8:9], s[4:5], 0x4
	s_load_dword s7, s[4:5], 0xc
	s_load_dwordx2 s[10:11], s[2:3], 0x0
	s_add_u32 s4, s4, 12
	s_addc_u32 s5, s5, 0
	s_waitcnt lgkmcnt(0)
	v_mul_hi_u32 v4, s9, v2
	s_add_u32 s2, s2, 8
	s_addc_u32 s3, s3, 0
	s_add_i32 s6, s6, -1
	v_add_u32_e32 v4, v2, v4
	v_lshrrev_b32_e32 v4, s7, v4
	v_mul_lo_u32 v5, v4, s8
	s_cmp_lg_u32 s6, 0
	v_sub_u32_e32 v5, v2, v5
	v_mad_u64_u32 v[1:2], s[8:9], v5, s10, v[1:2]
	v_mad_u64_u32 v[21:22], s[8:9], v5, s11, v[21:22]
	v_mov_b32_e32 v2, v4
	s_cbranch_scc1 .LBB261_440
.LBB261_441:
	s_cbranch_execnz .LBB261_444
.LBB261_442:
	s_load_dwordx4 s[4:7], s[34:35], 0x4
	s_load_dwordx2 s[2:3], s[34:35], 0xc4
	s_cmp_lt_u32 s33, 2
	s_waitcnt lgkmcnt(0)
	v_mul_hi_u32 v1, s5, v3
	v_add_u32_e32 v1, v3, v1
	v_lshrrev_b32_e32 v2, s6, v1
	v_mul_lo_u32 v1, v2, s4
	v_sub_u32_e32 v3, v3, v1
	v_mul_lo_u32 v1, v3, s2
	v_mul_lo_u32 v21, v3, s3
	s_cbranch_scc1 .LBB261_444
; %bb.443:
	s_load_dwordx4 s[4:7], s[34:35], 0x10
	s_load_dwordx2 s[2:3], s[34:35], 0xcc
	s_waitcnt lgkmcnt(0)
	v_mul_hi_u32 v3, s5, v2
	v_add_u32_e32 v3, v2, v3
	v_lshrrev_b32_e32 v3, s6, v3
	v_mul_lo_u32 v3, v3, s4
	v_sub_u32_e32 v3, v2, v3
	v_mad_u64_u32 v[1:2], s[4:5], v3, s2, v[1:2]
	v_mad_u64_u32 v[21:22], s[2:3], v3, s3, v[21:22]
.LBB261_444:
	s_and_b64 vcc, exec, s[0:1]
	v_add_u32_e32 v4, 0x100, v7
	s_cbranch_vccnz .LBB261_450
; %bb.445:
	s_cmp_lg_u32 s33, 0
	s_waitcnt lgkmcnt(0)
	s_mov_b32 s26, 0
	s_cbranch_scc0 .LBB261_451
; %bb.446:
	s_min_u32 s27, s58, 15
	s_add_i32 s27, s27, 1
	s_cmp_eq_u32 s58, 2
	s_cbranch_scc1 .LBB261_452
; %bb.447:
	s_and_b32 s26, s27, 28
	s_add_u32 s2, s34, 0xc4
	s_addc_u32 s3, s35, 0
	v_mov_b32_e32 v19, 0
	s_mov_b32 s28, 0
	s_mov_b64 s[24:25], s[34:35]
	v_mov_b32_e32 v2, 0
	v_mov_b32_e32 v3, v4
.LBB261_448:                            ; =>This Inner Loop Header: Depth=1
	s_load_dwordx8 s[12:19], s[24:25], 0x4
	s_load_dwordx4 s[20:23], s[24:25], 0x24
	s_load_dwordx8 s[4:11], s[2:3], 0x0
	s_add_u32 s24, s24, 48
	s_addc_u32 s25, s25, 0
	s_waitcnt lgkmcnt(0)
	v_mul_hi_u32 v5, s13, v3
	s_add_i32 s28, s28, 4
	s_add_u32 s2, s2, 32
	s_addc_u32 s3, s3, 0
	v_add_u32_e32 v5, v3, v5
	v_lshrrev_b32_e32 v5, s14, v5
	v_mul_lo_u32 v6, v5, s12
	v_mul_hi_u32 v8, s16, v5
	s_cmp_lg_u32 s26, s28
	v_sub_u32_e32 v3, v3, v6
	v_add_u32_e32 v6, v5, v8
	v_mul_lo_u32 v8, v3, s4
	v_mul_lo_u32 v9, v3, s5
	v_lshrrev_b32_e32 v3, s17, v6
	v_mul_lo_u32 v6, v3, s15
	v_mul_hi_u32 v10, s19, v3
	v_sub_u32_e32 v5, v5, v6
	v_add_u32_e32 v6, v3, v10
	v_lshrrev_b32_e32 v6, s20, v6
	v_mul_hi_u32 v11, s22, v6
	v_mul_lo_u32 v12, v6, s18
	v_mul_lo_u32 v10, v5, s6
	;; [unrolled: 1-line block ×3, first 2 shown]
	v_sub_u32_e32 v12, v3, v12
	v_add_u32_e32 v3, v6, v11
	v_lshrrev_b32_e32 v3, s23, v3
	v_mul_lo_u32 v11, v3, s21
	v_mul_lo_u32 v13, v12, s8
	;; [unrolled: 1-line block ×3, first 2 shown]
	v_add3_u32 v2, v8, v2, v10
	v_sub_u32_e32 v6, v6, v11
	v_mul_lo_u32 v11, v6, s10
	v_mul_lo_u32 v6, v6, s11
	v_add3_u32 v5, v9, v19, v5
	v_add3_u32 v2, v13, v2, v11
	;; [unrolled: 1-line block ×3, first 2 shown]
	s_cbranch_scc1 .LBB261_448
; %bb.449:
	s_and_b32 s6, s27, 3
	s_cmp_eq_u32 s6, 0
	s_cbranch_scc0 .LBB261_453
	s_branch .LBB261_455
.LBB261_450:
                                        ; implicit-def: $vgpr2
                                        ; implicit-def: $vgpr19
	s_branch .LBB261_456
.LBB261_451:
	v_mov_b32_e32 v2, 0
	v_mov_b32_e32 v19, 0
	s_branch .LBB261_455
.LBB261_452:
	v_mov_b32_e32 v2, 0
	v_mov_b32_e32 v19, 0
	;; [unrolled: 1-line block ×3, first 2 shown]
	s_and_b32 s6, s27, 3
	s_cmp_eq_u32 s6, 0
	s_cbranch_scc1 .LBB261_455
.LBB261_453:
	s_lshl_b32 s2, s26, 3
	s_add_u32 s2, s34, s2
	s_addc_u32 s3, s35, 0
	s_add_u32 s2, s2, 0xc4
	s_addc_u32 s3, s3, 0
	s_mul_i32 s4, s26, 12
	s_add_u32 s4, s34, s4
	s_addc_u32 s5, s35, 0
.LBB261_454:                            ; =>This Inner Loop Header: Depth=1
	s_load_dwordx2 s[8:9], s[4:5], 0x4
	s_load_dword s7, s[4:5], 0xc
	s_load_dwordx2 s[10:11], s[2:3], 0x0
	s_add_u32 s4, s4, 12
	s_addc_u32 s5, s5, 0
	s_waitcnt lgkmcnt(0)
	v_mul_hi_u32 v5, s9, v3
	s_add_u32 s2, s2, 8
	s_addc_u32 s3, s3, 0
	s_add_i32 s6, s6, -1
	v_add_u32_e32 v5, v3, v5
	v_lshrrev_b32_e32 v5, s7, v5
	v_mul_lo_u32 v6, v5, s8
	s_cmp_lg_u32 s6, 0
	v_sub_u32_e32 v6, v3, v6
	v_mad_u64_u32 v[2:3], s[8:9], v6, s10, v[2:3]
	v_mad_u64_u32 v[19:20], s[8:9], v6, s11, v[19:20]
	v_mov_b32_e32 v3, v5
	s_cbranch_scc1 .LBB261_454
.LBB261_455:
	s_cbranch_execnz .LBB261_458
.LBB261_456:
	s_load_dwordx4 s[4:7], s[34:35], 0x4
	s_load_dwordx2 s[2:3], s[34:35], 0xc4
	s_cmp_lt_u32 s33, 2
	s_waitcnt lgkmcnt(0)
	v_mul_hi_u32 v2, s5, v4
	v_add_u32_e32 v2, v4, v2
	v_lshrrev_b32_e32 v3, s6, v2
	v_mul_lo_u32 v2, v3, s4
	v_sub_u32_e32 v4, v4, v2
	v_mul_lo_u32 v2, v4, s2
	v_mul_lo_u32 v19, v4, s3
	s_cbranch_scc1 .LBB261_458
; %bb.457:
	s_load_dwordx4 s[4:7], s[34:35], 0x10
	s_load_dwordx2 s[2:3], s[34:35], 0xcc
	s_waitcnt lgkmcnt(0)
	v_mul_hi_u32 v4, s5, v3
	v_add_u32_e32 v4, v3, v4
	v_lshrrev_b32_e32 v4, s6, v4
	v_mul_lo_u32 v4, v4, s4
	v_sub_u32_e32 v4, v3, v4
	v_mad_u64_u32 v[2:3], s[4:5], v4, s2, v[2:3]
	v_mad_u64_u32 v[19:20], s[2:3], v4, s3, v[19:20]
.LBB261_458:
	s_and_b64 vcc, exec, s[0:1]
	v_add_u32_e32 v5, 0x180, v7
	s_cbranch_vccnz .LBB261_464
; %bb.459:
	s_cmp_lg_u32 s33, 0
	s_waitcnt lgkmcnt(0)
	s_mov_b32 s26, 0
	s_cbranch_scc0 .LBB261_465
; %bb.460:
	s_min_u32 s27, s58, 15
	s_add_i32 s27, s27, 1
	s_cmp_eq_u32 s58, 2
	s_cbranch_scc1 .LBB261_466
; %bb.461:
	s_and_b32 s26, s27, 28
	s_add_u32 s2, s34, 0xc4
	s_addc_u32 s3, s35, 0
	v_mov_b32_e32 v17, 0
	s_mov_b32 s28, 0
	s_mov_b64 s[24:25], s[34:35]
	v_mov_b32_e32 v3, 0
	v_mov_b32_e32 v4, v5
.LBB261_462:                            ; =>This Inner Loop Header: Depth=1
	s_load_dwordx8 s[12:19], s[24:25], 0x4
	s_load_dwordx4 s[20:23], s[24:25], 0x24
	s_load_dwordx8 s[4:11], s[2:3], 0x0
	s_add_u32 s24, s24, 48
	s_addc_u32 s25, s25, 0
	s_waitcnt lgkmcnt(0)
	v_mul_hi_u32 v6, s13, v4
	s_add_i32 s28, s28, 4
	s_add_u32 s2, s2, 32
	s_addc_u32 s3, s3, 0
	v_add_u32_e32 v6, v4, v6
	v_lshrrev_b32_e32 v6, s14, v6
	v_mul_lo_u32 v8, v6, s12
	v_mul_hi_u32 v9, s16, v6
	s_cmp_lg_u32 s26, s28
	v_sub_u32_e32 v4, v4, v8
	v_add_u32_e32 v8, v6, v9
	v_mul_lo_u32 v9, v4, s4
	v_mul_lo_u32 v10, v4, s5
	v_lshrrev_b32_e32 v4, s17, v8
	v_mul_lo_u32 v8, v4, s15
	v_mul_hi_u32 v11, s19, v4
	v_sub_u32_e32 v6, v6, v8
	v_add_u32_e32 v8, v4, v11
	v_lshrrev_b32_e32 v8, s20, v8
	v_mul_hi_u32 v12, s22, v8
	v_mul_lo_u32 v13, v8, s18
	v_mul_lo_u32 v11, v6, s6
	;; [unrolled: 1-line block ×3, first 2 shown]
	v_sub_u32_e32 v13, v4, v13
	v_add_u32_e32 v4, v8, v12
	v_lshrrev_b32_e32 v4, s23, v4
	v_mul_lo_u32 v12, v4, s21
	v_mul_lo_u32 v14, v13, s8
	;; [unrolled: 1-line block ×3, first 2 shown]
	v_add3_u32 v3, v9, v3, v11
	v_sub_u32_e32 v8, v8, v12
	v_mul_lo_u32 v12, v8, s10
	v_mul_lo_u32 v8, v8, s11
	v_add3_u32 v6, v10, v17, v6
	v_add3_u32 v3, v14, v3, v12
	;; [unrolled: 1-line block ×3, first 2 shown]
	s_cbranch_scc1 .LBB261_462
; %bb.463:
	s_and_b32 s6, s27, 3
	s_cmp_eq_u32 s6, 0
	s_cbranch_scc0 .LBB261_467
	s_branch .LBB261_469
.LBB261_464:
                                        ; implicit-def: $vgpr3
                                        ; implicit-def: $vgpr17
	s_branch .LBB261_470
.LBB261_465:
	v_mov_b32_e32 v3, 0
	v_mov_b32_e32 v17, 0
	s_branch .LBB261_469
.LBB261_466:
	v_mov_b32_e32 v3, 0
	v_mov_b32_e32 v17, 0
	v_mov_b32_e32 v4, v5
	s_and_b32 s6, s27, 3
	s_cmp_eq_u32 s6, 0
	s_cbranch_scc1 .LBB261_469
.LBB261_467:
	s_lshl_b32 s2, s26, 3
	s_add_u32 s2, s34, s2
	s_addc_u32 s3, s35, 0
	s_add_u32 s2, s2, 0xc4
	s_addc_u32 s3, s3, 0
	s_mul_i32 s4, s26, 12
	s_add_u32 s4, s34, s4
	s_addc_u32 s5, s35, 0
.LBB261_468:                            ; =>This Inner Loop Header: Depth=1
	s_load_dwordx2 s[8:9], s[4:5], 0x4
	s_load_dword s7, s[4:5], 0xc
	s_load_dwordx2 s[10:11], s[2:3], 0x0
	s_add_u32 s4, s4, 12
	s_addc_u32 s5, s5, 0
	s_waitcnt lgkmcnt(0)
	v_mul_hi_u32 v6, s9, v4
	s_add_u32 s2, s2, 8
	s_addc_u32 s3, s3, 0
	s_add_i32 s6, s6, -1
	v_add_u32_e32 v6, v4, v6
	v_lshrrev_b32_e32 v6, s7, v6
	v_mul_lo_u32 v8, v6, s8
	s_cmp_lg_u32 s6, 0
	v_sub_u32_e32 v8, v4, v8
	v_mad_u64_u32 v[3:4], s[8:9], v8, s10, v[3:4]
	v_mad_u64_u32 v[17:18], s[8:9], v8, s11, v[17:18]
	v_mov_b32_e32 v4, v6
	s_cbranch_scc1 .LBB261_468
.LBB261_469:
	s_cbranch_execnz .LBB261_472
.LBB261_470:
	s_load_dwordx4 s[4:7], s[34:35], 0x4
	s_load_dwordx2 s[2:3], s[34:35], 0xc4
	s_cmp_lt_u32 s33, 2
	s_waitcnt lgkmcnt(0)
	v_mul_hi_u32 v3, s5, v5
	v_add_u32_e32 v3, v5, v3
	v_lshrrev_b32_e32 v4, s6, v3
	v_mul_lo_u32 v3, v4, s4
	v_sub_u32_e32 v5, v5, v3
	v_mul_lo_u32 v3, v5, s2
	v_mul_lo_u32 v17, v5, s3
	s_cbranch_scc1 .LBB261_472
; %bb.471:
	s_load_dwordx4 s[4:7], s[34:35], 0x10
	s_load_dwordx2 s[2:3], s[34:35], 0xcc
	s_waitcnt lgkmcnt(0)
	v_mul_hi_u32 v5, s5, v4
	v_add_u32_e32 v5, v4, v5
	v_lshrrev_b32_e32 v5, s6, v5
	v_mul_lo_u32 v5, v5, s4
	v_sub_u32_e32 v5, v4, v5
	v_mad_u64_u32 v[3:4], s[4:5], v5, s2, v[3:4]
	v_mad_u64_u32 v[17:18], s[2:3], v5, s3, v[17:18]
.LBB261_472:
	s_and_b64 vcc, exec, s[0:1]
	v_add_u32_e32 v6, 0x200, v7
	s_cbranch_vccnz .LBB261_478
; %bb.473:
	s_cmp_lg_u32 s33, 0
	s_waitcnt lgkmcnt(0)
	s_mov_b32 s26, 0
	s_cbranch_scc0 .LBB261_479
; %bb.474:
	s_min_u32 s27, s58, 15
	s_add_i32 s27, s27, 1
	s_cmp_eq_u32 s58, 2
	s_cbranch_scc1 .LBB261_480
; %bb.475:
	s_and_b32 s26, s27, 28
	s_add_u32 s2, s34, 0xc4
	s_addc_u32 s3, s35, 0
	v_mov_b32_e32 v15, 0
	s_mov_b32 s28, 0
	s_mov_b64 s[24:25], s[34:35]
	v_mov_b32_e32 v4, 0
	v_mov_b32_e32 v5, v6
.LBB261_476:                            ; =>This Inner Loop Header: Depth=1
	s_load_dwordx8 s[12:19], s[24:25], 0x4
	s_load_dwordx4 s[20:23], s[24:25], 0x24
	s_load_dwordx8 s[4:11], s[2:3], 0x0
	s_add_u32 s24, s24, 48
	s_addc_u32 s25, s25, 0
	s_waitcnt lgkmcnt(0)
	v_mul_hi_u32 v8, s13, v5
	s_add_i32 s28, s28, 4
	s_add_u32 s2, s2, 32
	s_addc_u32 s3, s3, 0
	v_add_u32_e32 v8, v5, v8
	v_lshrrev_b32_e32 v8, s14, v8
	v_mul_lo_u32 v9, v8, s12
	v_mul_hi_u32 v10, s16, v8
	s_cmp_lg_u32 s26, s28
	v_sub_u32_e32 v5, v5, v9
	v_add_u32_e32 v9, v8, v10
	v_mul_lo_u32 v10, v5, s4
	v_mul_lo_u32 v11, v5, s5
	v_lshrrev_b32_e32 v5, s17, v9
	v_mul_lo_u32 v9, v5, s15
	v_mul_hi_u32 v12, s19, v5
	v_sub_u32_e32 v8, v8, v9
	v_add_u32_e32 v9, v5, v12
	v_lshrrev_b32_e32 v9, s20, v9
	v_mul_hi_u32 v13, s22, v9
	v_mul_lo_u32 v14, v9, s18
	v_mul_lo_u32 v12, v8, s6
	;; [unrolled: 1-line block ×3, first 2 shown]
	v_sub_u32_e32 v14, v5, v14
	v_add_u32_e32 v5, v9, v13
	v_lshrrev_b32_e32 v5, s23, v5
	v_mul_lo_u32 v13, v5, s21
	v_mul_lo_u32 v16, v14, s8
	;; [unrolled: 1-line block ×3, first 2 shown]
	v_add3_u32 v4, v10, v4, v12
	v_sub_u32_e32 v9, v9, v13
	v_mul_lo_u32 v13, v9, s10
	v_mul_lo_u32 v9, v9, s11
	v_add3_u32 v8, v11, v15, v8
	v_add3_u32 v4, v16, v4, v13
	;; [unrolled: 1-line block ×3, first 2 shown]
	s_cbranch_scc1 .LBB261_476
; %bb.477:
	s_and_b32 s6, s27, 3
	s_cmp_eq_u32 s6, 0
	s_cbranch_scc0 .LBB261_481
	s_branch .LBB261_483
.LBB261_478:
                                        ; implicit-def: $vgpr4
                                        ; implicit-def: $vgpr15
	s_branch .LBB261_484
.LBB261_479:
	v_mov_b32_e32 v4, 0
	v_mov_b32_e32 v15, 0
	s_branch .LBB261_483
.LBB261_480:
	v_mov_b32_e32 v4, 0
	v_mov_b32_e32 v15, 0
	;; [unrolled: 1-line block ×3, first 2 shown]
	s_and_b32 s6, s27, 3
	s_cmp_eq_u32 s6, 0
	s_cbranch_scc1 .LBB261_483
.LBB261_481:
	s_lshl_b32 s2, s26, 3
	s_add_u32 s2, s34, s2
	s_addc_u32 s3, s35, 0
	s_add_u32 s2, s2, 0xc4
	s_addc_u32 s3, s3, 0
	s_mul_i32 s4, s26, 12
	s_add_u32 s4, s34, s4
	s_addc_u32 s5, s35, 0
.LBB261_482:                            ; =>This Inner Loop Header: Depth=1
	s_load_dwordx2 s[8:9], s[4:5], 0x4
	s_load_dword s7, s[4:5], 0xc
	s_load_dwordx2 s[10:11], s[2:3], 0x0
	s_add_u32 s4, s4, 12
	s_addc_u32 s5, s5, 0
	s_waitcnt lgkmcnt(0)
	v_mul_hi_u32 v8, s9, v5
	s_add_u32 s2, s2, 8
	s_addc_u32 s3, s3, 0
	s_add_i32 s6, s6, -1
	v_add_u32_e32 v8, v5, v8
	v_lshrrev_b32_e32 v8, s7, v8
	v_mul_lo_u32 v9, v8, s8
	s_cmp_lg_u32 s6, 0
	v_sub_u32_e32 v9, v5, v9
	v_mad_u64_u32 v[4:5], s[8:9], v9, s10, v[4:5]
	v_mad_u64_u32 v[15:16], s[8:9], v9, s11, v[15:16]
	v_mov_b32_e32 v5, v8
	s_cbranch_scc1 .LBB261_482
.LBB261_483:
	s_cbranch_execnz .LBB261_486
.LBB261_484:
	s_load_dwordx4 s[4:7], s[34:35], 0x4
	s_load_dwordx2 s[2:3], s[34:35], 0xc4
	s_cmp_lt_u32 s33, 2
	s_waitcnt lgkmcnt(0)
	v_mul_hi_u32 v4, s5, v6
	v_add_u32_e32 v4, v6, v4
	v_lshrrev_b32_e32 v5, s6, v4
	v_mul_lo_u32 v4, v5, s4
	v_sub_u32_e32 v6, v6, v4
	v_mul_lo_u32 v4, v6, s2
	v_mul_lo_u32 v15, v6, s3
	s_cbranch_scc1 .LBB261_486
; %bb.485:
	s_load_dwordx4 s[4:7], s[34:35], 0x10
	s_load_dwordx2 s[2:3], s[34:35], 0xcc
	s_waitcnt lgkmcnt(0)
	v_mul_hi_u32 v6, s5, v5
	v_add_u32_e32 v6, v5, v6
	v_lshrrev_b32_e32 v6, s6, v6
	v_mul_lo_u32 v6, v6, s4
	v_sub_u32_e32 v6, v5, v6
	v_mad_u64_u32 v[4:5], s[4:5], v6, s2, v[4:5]
	v_mad_u64_u32 v[15:16], s[2:3], v6, s3, v[15:16]
.LBB261_486:
	s_and_b64 vcc, exec, s[0:1]
	v_add_u32_e32 v8, 0x280, v7
	s_cbranch_vccnz .LBB261_492
; %bb.487:
	s_cmp_lg_u32 s33, 0
	s_waitcnt lgkmcnt(0)
	s_mov_b32 s26, 0
	s_cbranch_scc0 .LBB261_493
; %bb.488:
	s_min_u32 s27, s58, 15
	s_add_i32 s27, s27, 1
	s_cmp_eq_u32 s58, 2
	s_cbranch_scc1 .LBB261_494
; %bb.489:
	s_and_b32 s26, s27, 28
	s_add_u32 s2, s34, 0xc4
	s_addc_u32 s3, s35, 0
	v_mov_b32_e32 v13, 0
	s_mov_b32 s28, 0
	s_mov_b64 s[24:25], s[34:35]
	v_mov_b32_e32 v5, 0
	v_mov_b32_e32 v6, v8
.LBB261_490:                            ; =>This Inner Loop Header: Depth=1
	s_load_dwordx8 s[12:19], s[24:25], 0x4
	s_load_dwordx4 s[20:23], s[24:25], 0x24
	s_load_dwordx8 s[4:11], s[2:3], 0x0
	s_add_u32 s24, s24, 48
	s_addc_u32 s25, s25, 0
	s_waitcnt lgkmcnt(0)
	v_mul_hi_u32 v9, s13, v6
	s_add_i32 s28, s28, 4
	s_add_u32 s2, s2, 32
	s_addc_u32 s3, s3, 0
	v_add_u32_e32 v9, v6, v9
	v_lshrrev_b32_e32 v9, s14, v9
	v_mul_lo_u32 v10, v9, s12
	v_mul_hi_u32 v11, s16, v9
	s_cmp_lg_u32 s26, s28
	v_sub_u32_e32 v6, v6, v10
	v_add_u32_e32 v10, v9, v11
	v_mul_lo_u32 v11, v6, s4
	v_mul_lo_u32 v12, v6, s5
	v_lshrrev_b32_e32 v6, s17, v10
	v_mul_lo_u32 v10, v6, s15
	v_mul_hi_u32 v14, s19, v6
	v_sub_u32_e32 v9, v9, v10
	v_add_u32_e32 v10, v6, v14
	v_lshrrev_b32_e32 v10, s20, v10
	v_mul_hi_u32 v16, s22, v10
	v_mul_lo_u32 v18, v10, s18
	v_mul_lo_u32 v14, v9, s6
	;; [unrolled: 1-line block ×3, first 2 shown]
	v_sub_u32_e32 v18, v6, v18
	v_add_u32_e32 v6, v10, v16
	v_lshrrev_b32_e32 v6, s23, v6
	v_mul_lo_u32 v16, v6, s21
	v_mul_lo_u32 v20, v18, s8
	;; [unrolled: 1-line block ×3, first 2 shown]
	v_add3_u32 v5, v11, v5, v14
	v_sub_u32_e32 v10, v10, v16
	v_mul_lo_u32 v16, v10, s10
	v_mul_lo_u32 v10, v10, s11
	v_add3_u32 v9, v12, v13, v9
	v_add3_u32 v5, v20, v5, v16
	v_add3_u32 v13, v18, v9, v10
	s_cbranch_scc1 .LBB261_490
; %bb.491:
	s_and_b32 s6, s27, 3
	s_cmp_eq_u32 s6, 0
	s_cbranch_scc0 .LBB261_495
	s_branch .LBB261_497
.LBB261_492:
                                        ; implicit-def: $vgpr5
                                        ; implicit-def: $vgpr13
	s_branch .LBB261_498
.LBB261_493:
	v_mov_b32_e32 v5, 0
	v_mov_b32_e32 v13, 0
	s_branch .LBB261_497
.LBB261_494:
	v_mov_b32_e32 v5, 0
	v_mov_b32_e32 v13, 0
	v_mov_b32_e32 v6, v8
	s_and_b32 s6, s27, 3
	s_cmp_eq_u32 s6, 0
	s_cbranch_scc1 .LBB261_497
.LBB261_495:
	s_lshl_b32 s2, s26, 3
	s_add_u32 s2, s34, s2
	s_addc_u32 s3, s35, 0
	s_add_u32 s2, s2, 0xc4
	s_addc_u32 s3, s3, 0
	s_mul_i32 s4, s26, 12
	s_add_u32 s4, s34, s4
	s_addc_u32 s5, s35, 0
.LBB261_496:                            ; =>This Inner Loop Header: Depth=1
	s_load_dwordx2 s[8:9], s[4:5], 0x4
	s_load_dword s7, s[4:5], 0xc
	s_load_dwordx2 s[10:11], s[2:3], 0x0
	s_add_u32 s4, s4, 12
	s_addc_u32 s5, s5, 0
	s_waitcnt lgkmcnt(0)
	v_mul_hi_u32 v9, s9, v6
	s_add_u32 s2, s2, 8
	s_addc_u32 s3, s3, 0
	s_add_i32 s6, s6, -1
	v_add_u32_e32 v9, v6, v9
	v_lshrrev_b32_e32 v9, s7, v9
	v_mul_lo_u32 v10, v9, s8
	s_cmp_lg_u32 s6, 0
	v_sub_u32_e32 v10, v6, v10
	v_mad_u64_u32 v[5:6], s[8:9], v10, s10, v[5:6]
	v_mad_u64_u32 v[13:14], s[8:9], v10, s11, v[13:14]
	v_mov_b32_e32 v6, v9
	s_cbranch_scc1 .LBB261_496
.LBB261_497:
	s_cbranch_execnz .LBB261_500
.LBB261_498:
	s_load_dwordx4 s[4:7], s[34:35], 0x4
	s_load_dwordx2 s[2:3], s[34:35], 0xc4
	s_cmp_lt_u32 s33, 2
	s_waitcnt lgkmcnt(0)
	v_mul_hi_u32 v5, s5, v8
	v_add_u32_e32 v5, v8, v5
	v_lshrrev_b32_e32 v6, s6, v5
	v_mul_lo_u32 v5, v6, s4
	v_sub_u32_e32 v8, v8, v5
	v_mul_lo_u32 v5, v8, s2
	v_mul_lo_u32 v13, v8, s3
	s_cbranch_scc1 .LBB261_500
; %bb.499:
	s_load_dwordx4 s[4:7], s[34:35], 0x10
	s_load_dwordx2 s[2:3], s[34:35], 0xcc
	s_waitcnt lgkmcnt(0)
	v_mul_hi_u32 v8, s5, v6
	v_add_u32_e32 v8, v6, v8
	v_lshrrev_b32_e32 v8, s6, v8
	v_mul_lo_u32 v8, v8, s4
	v_sub_u32_e32 v8, v6, v8
	v_mad_u64_u32 v[5:6], s[4:5], v8, s2, v[5:6]
	v_mad_u64_u32 v[13:14], s[2:3], v8, s3, v[13:14]
.LBB261_500:
	s_and_b64 vcc, exec, s[0:1]
	v_add_u32_e32 v8, 0x300, v7
	s_cbranch_vccnz .LBB261_506
; %bb.501:
	s_cmp_lg_u32 s33, 0
	s_waitcnt lgkmcnt(0)
	s_mov_b32 s26, 0
	s_cbranch_scc0 .LBB261_507
; %bb.502:
	s_min_u32 s27, s58, 15
	s_add_i32 s27, s27, 1
	s_cmp_eq_u32 s58, 2
	s_cbranch_scc1 .LBB261_508
; %bb.503:
	s_and_b32 s26, s27, 28
	s_add_u32 s2, s34, 0xc4
	s_addc_u32 s3, s35, 0
	v_mov_b32_e32 v11, 0
	s_mov_b32 s28, 0
	s_mov_b64 s[24:25], s[34:35]
	v_mov_b32_e32 v6, 0
	v_mov_b32_e32 v7, v8
.LBB261_504:                            ; =>This Inner Loop Header: Depth=1
	s_load_dwordx8 s[12:19], s[24:25], 0x4
	s_load_dwordx4 s[20:23], s[24:25], 0x24
	s_load_dwordx8 s[4:11], s[2:3], 0x0
	s_add_u32 s24, s24, 48
	s_addc_u32 s25, s25, 0
	s_waitcnt lgkmcnt(0)
	v_mul_hi_u32 v9, s13, v7
	s_add_i32 s28, s28, 4
	s_add_u32 s2, s2, 32
	s_addc_u32 s3, s3, 0
	v_add_u32_e32 v9, v7, v9
	v_lshrrev_b32_e32 v9, s14, v9
	v_mul_lo_u32 v10, v9, s12
	v_mul_hi_u32 v12, s16, v9
	s_cmp_lg_u32 s26, s28
	v_sub_u32_e32 v7, v7, v10
	v_add_u32_e32 v10, v9, v12
	v_mul_lo_u32 v12, v7, s4
	v_mul_lo_u32 v14, v7, s5
	v_lshrrev_b32_e32 v7, s17, v10
	v_mul_lo_u32 v10, v7, s15
	v_mul_hi_u32 v16, s19, v7
	v_sub_u32_e32 v9, v9, v10
	v_add_u32_e32 v10, v7, v16
	v_lshrrev_b32_e32 v10, s20, v10
	v_mul_hi_u32 v18, s22, v10
	v_mul_lo_u32 v20, v10, s18
	v_mul_lo_u32 v16, v9, s6
	;; [unrolled: 1-line block ×3, first 2 shown]
	v_sub_u32_e32 v20, v7, v20
	v_add_u32_e32 v7, v10, v18
	v_lshrrev_b32_e32 v7, s23, v7
	v_mul_lo_u32 v18, v7, s21
	v_mul_lo_u32 v22, v20, s8
	;; [unrolled: 1-line block ×3, first 2 shown]
	v_add3_u32 v6, v12, v6, v16
	v_sub_u32_e32 v10, v10, v18
	v_mul_lo_u32 v18, v10, s10
	v_mul_lo_u32 v10, v10, s11
	v_add3_u32 v9, v14, v11, v9
	v_add3_u32 v6, v22, v6, v18
	;; [unrolled: 1-line block ×3, first 2 shown]
	s_cbranch_scc1 .LBB261_504
; %bb.505:
	s_and_b32 s6, s27, 3
	s_cmp_eq_u32 s6, 0
	s_cbranch_scc0 .LBB261_509
	s_branch .LBB261_511
.LBB261_506:
                                        ; implicit-def: $vgpr6
                                        ; implicit-def: $vgpr11
	s_branch .LBB261_512
.LBB261_507:
	v_mov_b32_e32 v6, 0
	v_mov_b32_e32 v11, 0
	s_branch .LBB261_511
.LBB261_508:
	v_mov_b32_e32 v6, 0
	v_mov_b32_e32 v11, 0
	;; [unrolled: 1-line block ×3, first 2 shown]
	s_and_b32 s6, s27, 3
	s_cmp_eq_u32 s6, 0
	s_cbranch_scc1 .LBB261_511
.LBB261_509:
	s_lshl_b32 s2, s26, 3
	s_add_u32 s2, s34, s2
	s_addc_u32 s3, s35, 0
	s_add_u32 s2, s2, 0xc4
	s_addc_u32 s3, s3, 0
	s_mul_i32 s4, s26, 12
	s_add_u32 s4, s34, s4
	s_addc_u32 s5, s35, 0
.LBB261_510:                            ; =>This Inner Loop Header: Depth=1
	s_load_dwordx2 s[8:9], s[4:5], 0x4
	s_load_dword s7, s[4:5], 0xc
	s_load_dwordx2 s[10:11], s[2:3], 0x0
	s_add_u32 s4, s4, 12
	s_addc_u32 s5, s5, 0
	s_waitcnt lgkmcnt(0)
	v_mul_hi_u32 v9, s9, v7
	s_add_u32 s2, s2, 8
	s_addc_u32 s3, s3, 0
	s_add_i32 s6, s6, -1
	v_add_u32_e32 v9, v7, v9
	v_lshrrev_b32_e32 v9, s7, v9
	v_mul_lo_u32 v10, v9, s8
	s_cmp_lg_u32 s6, 0
	v_sub_u32_e32 v10, v7, v10
	v_mad_u64_u32 v[6:7], s[8:9], v10, s10, v[6:7]
	v_mad_u64_u32 v[11:12], s[8:9], v10, s11, v[11:12]
	v_mov_b32_e32 v7, v9
	s_cbranch_scc1 .LBB261_510
.LBB261_511:
	s_cbranch_execnz .LBB261_514
.LBB261_512:
	s_load_dwordx4 s[4:7], s[34:35], 0x4
	s_load_dwordx2 s[2:3], s[34:35], 0xc4
	s_cmp_lt_u32 s33, 2
	s_waitcnt lgkmcnt(0)
	v_mul_hi_u32 v6, s5, v8
	v_add_u32_e32 v6, v8, v6
	v_lshrrev_b32_e32 v7, s6, v6
	v_mul_lo_u32 v6, v7, s4
	v_sub_u32_e32 v8, v8, v6
	v_mul_lo_u32 v6, v8, s2
	v_mul_lo_u32 v11, v8, s3
	s_cbranch_scc1 .LBB261_514
; %bb.513:
	s_load_dwordx4 s[4:7], s[34:35], 0x10
	s_load_dwordx2 s[2:3], s[34:35], 0xcc
	s_waitcnt lgkmcnt(0)
	v_mul_hi_u32 v8, s5, v7
	v_add_u32_e32 v8, v7, v8
	v_lshrrev_b32_e32 v8, s6, v8
	v_mul_lo_u32 v8, v8, s4
	v_sub_u32_e32 v8, v7, v8
	v_mad_u64_u32 v[6:7], s[4:5], v8, s2, v[6:7]
	v_mad_u64_u32 v[11:12], s[2:3], v8, s3, v[11:12]
.LBB261_514:
	s_and_b64 vcc, exec, s[0:1]
	s_cbranch_vccnz .LBB261_520
; %bb.515:
	s_cmp_lg_u32 s33, 0
	s_waitcnt lgkmcnt(0)
	s_mov_b32 s24, 0
	s_cbranch_scc0 .LBB261_521
; %bb.516:
	s_min_u32 s25, s58, 15
	s_add_i32 s25, s25, 1
	s_cmp_eq_u32 s58, 2
	s_cbranch_scc1 .LBB261_522
; %bb.517:
	s_and_b32 s24, s25, 28
	s_add_u32 s20, s34, 0xc4
	s_addc_u32 s21, s35, 0
	v_mov_b32_e32 v9, 0
	s_mov_b32 s26, 0
	s_mov_b64 s[22:23], s[34:35]
	v_mov_b32_e32 v7, 0
	v_mov_b32_e32 v8, v25
.LBB261_518:                            ; =>This Inner Loop Header: Depth=1
	s_load_dwordx8 s[8:15], s[22:23], 0x4
	s_load_dwordx4 s[16:19], s[22:23], 0x24
	s_load_dwordx8 s[0:7], s[20:21], 0x0
	s_add_u32 s22, s22, 48
	s_addc_u32 s23, s23, 0
	s_waitcnt lgkmcnt(0)
	v_mul_hi_u32 v10, s9, v8
	s_add_i32 s26, s26, 4
	s_add_u32 s20, s20, 32
	s_addc_u32 s21, s21, 0
	v_add_u32_e32 v10, v8, v10
	v_lshrrev_b32_e32 v10, s10, v10
	v_mul_lo_u32 v12, v10, s8
	v_mul_hi_u32 v14, s12, v10
	s_cmp_lg_u32 s24, s26
	v_sub_u32_e32 v8, v8, v12
	v_add_u32_e32 v12, v10, v14
	v_mul_lo_u32 v14, v8, s0
	v_mul_lo_u32 v16, v8, s1
	v_lshrrev_b32_e32 v8, s13, v12
	v_mul_lo_u32 v12, v8, s11
	v_mul_hi_u32 v18, s15, v8
	v_sub_u32_e32 v10, v10, v12
	v_add_u32_e32 v12, v8, v18
	v_lshrrev_b32_e32 v12, s16, v12
	v_mul_hi_u32 v20, s18, v12
	v_mul_lo_u32 v22, v12, s14
	v_mul_lo_u32 v18, v10, s2
	;; [unrolled: 1-line block ×3, first 2 shown]
	v_sub_u32_e32 v22, v8, v22
	v_add_u32_e32 v8, v12, v20
	v_lshrrev_b32_e32 v8, s19, v8
	v_mul_lo_u32 v20, v8, s17
	v_mul_lo_u32 v24, v22, s4
	;; [unrolled: 1-line block ×3, first 2 shown]
	v_add3_u32 v7, v14, v7, v18
	v_sub_u32_e32 v12, v12, v20
	v_mul_lo_u32 v20, v12, s6
	v_mul_lo_u32 v12, v12, s7
	v_add3_u32 v9, v16, v9, v10
	v_add3_u32 v7, v24, v7, v20
	v_add3_u32 v9, v22, v9, v12
	s_cbranch_scc1 .LBB261_518
; %bb.519:
	s_and_b32 s4, s25, 3
	s_cmp_eq_u32 s4, 0
	s_cbranch_scc0 .LBB261_523
	s_branch .LBB261_525
.LBB261_520:
                                        ; implicit-def: $vgpr7
                                        ; implicit-def: $vgpr9
	s_branch .LBB261_526
.LBB261_521:
	v_mov_b32_e32 v7, 0
	v_mov_b32_e32 v9, 0
	s_branch .LBB261_525
.LBB261_522:
	v_mov_b32_e32 v7, 0
	v_mov_b32_e32 v9, 0
	v_mov_b32_e32 v8, v25
	s_and_b32 s4, s25, 3
	s_cmp_eq_u32 s4, 0
	s_cbranch_scc1 .LBB261_525
.LBB261_523:
	s_lshl_b32 s0, s24, 3
	s_add_u32 s0, s34, s0
	s_addc_u32 s1, s35, 0
	s_add_u32 s0, s0, 0xc4
	s_addc_u32 s1, s1, 0
	s_mul_i32 s2, s24, 12
	s_add_u32 s2, s34, s2
	s_addc_u32 s3, s35, 0
.LBB261_524:                            ; =>This Inner Loop Header: Depth=1
	s_load_dwordx2 s[6:7], s[2:3], 0x4
	s_load_dword s5, s[2:3], 0xc
	s_load_dwordx2 s[8:9], s[0:1], 0x0
	s_add_u32 s2, s2, 12
	s_addc_u32 s3, s3, 0
	s_waitcnt lgkmcnt(0)
	v_mul_hi_u32 v10, s7, v8
	s_add_u32 s0, s0, 8
	s_addc_u32 s1, s1, 0
	s_add_i32 s4, s4, -1
	v_add_u32_e32 v10, v8, v10
	v_lshrrev_b32_e32 v12, s5, v10
	v_mul_lo_u32 v10, v12, s6
	s_cmp_lg_u32 s4, 0
	v_sub_u32_e32 v10, v8, v10
	v_mad_u64_u32 v[7:8], s[6:7], v10, s8, v[7:8]
	v_mad_u64_u32 v[9:10], s[6:7], v10, s9, v[9:10]
	v_mov_b32_e32 v8, v12
	s_cbranch_scc1 .LBB261_524
.LBB261_525:
	s_cbranch_execnz .LBB261_528
.LBB261_526:
	s_load_dwordx4 s[0:3], s[34:35], 0x4
	s_load_dwordx2 s[4:5], s[34:35], 0xc4
	s_cmp_lt_u32 s33, 2
	s_waitcnt lgkmcnt(0)
	v_mul_hi_u32 v7, s1, v25
	v_add_u32_e32 v7, v25, v7
	v_lshrrev_b32_e32 v8, s2, v7
	v_mul_lo_u32 v7, v8, s0
	v_sub_u32_e32 v9, v25, v7
	v_mul_lo_u32 v7, v9, s4
	v_mul_lo_u32 v9, v9, s5
	s_cbranch_scc1 .LBB261_528
; %bb.527:
	s_load_dwordx4 s[0:3], s[34:35], 0x10
	s_load_dwordx2 s[4:5], s[34:35], 0xcc
	s_waitcnt lgkmcnt(0)
	v_mul_hi_u32 v10, s1, v8
	v_add_u32_e32 v10, v8, v10
	v_lshrrev_b32_e32 v10, s2, v10
	v_mul_lo_u32 v10, v10, s0
	v_sub_u32_e32 v10, v8, v10
	v_mad_u64_u32 v[7:8], s[0:1], v10, s4, v[7:8]
	v_mad_u64_u32 v[9:10], s[0:1], v10, s5, v[9:10]
.LBB261_528:
	s_load_dwordx4 s[0:3], s[34:35], 0x148
	s_load_dwordx2 s[4:5], s[34:35], 0x158
	s_waitcnt lgkmcnt(0)
	global_load_ubyte v8, v23, s[2:3]
	s_cmp_lg_u32 s4, 0
	s_cselect_b64 s[8:9], -1, 0
	s_and_b64 vcc, exec, s[8:9]
	s_cbranch_vccz .LBB261_533
; %bb.529:
	s_and_b32 s12, s5, 0xff
	s_cmpk_lt_i32 s12, 0x80
	s_cbranch_scc1 .LBB261_539
; %bb.530:
	s_and_b32 s4, 0xffff, s12
	s_cmpk_eq_i32 s4, 0x80
	s_mov_b64 s[6:7], -1
	s_cbranch_scc0 .LBB261_532
; %bb.531:
	s_mov_b64 s[6:7], 0
.LBB261_532:
	s_mov_b32 s4, 0x7f800001
	s_branch .LBB261_541
.LBB261_533:
                                        ; implicit-def: $sgpr6_sgpr7
	s_cbranch_execnz .LBB261_548
.LBB261_534:
	global_load_ubyte v8, v21, s[2:3]
	s_and_b64 vcc, exec, s[8:9]
	s_cbranch_vccz .LBB261_686
.LBB261_535:
	s_and_b32 s14, s5, 0xff
	s_cmpk_lt_i32 s14, 0x80
	s_cbranch_scc1 .LBB261_552
; %bb.536:
	s_and_b32 s4, 0xffff, s14
	s_cmpk_eq_i32 s4, 0x80
	s_mov_b64 s[10:11], -1
	s_cbranch_scc0 .LBB261_538
; %bb.537:
	s_mov_b64 s[10:11], 0
.LBB261_538:
	s_mov_b32 s4, 0x7f800001
	s_branch .LBB261_554
.LBB261_539:
	s_mov_b64 s[6:7], 0
	s_mov_b32 s4, 0x7f800001
	s_cbranch_execz .LBB261_541
; %bb.540:
	s_and_b32 s6, 0xffff, s12
	s_cmp_lg_u32 s6, 0
	s_mov_b32 s4, 0
	s_cselect_b64 s[6:7], -1, 0
.LBB261_541:
	s_andn2_b64 vcc, exec, s[6:7]
	s_cbranch_vccnz .LBB261_543
; %bb.542:
	s_and_b32 s6, s5, 3
	s_flbit_i32_b32 s10, s6
	s_min_u32 s10, s10, 32
	s_sub_i32 s11, s10, 29
	s_lshl_b32 s11, s5, s11
	s_lshl_b32 s4, s5, 24
	s_bfe_u32 s7, s5, 0x50002
	s_sub_i32 s10, 30, s10
	s_and_b32 s11, s11, 3
	s_cmp_eq_u32 s7, 0
	s_cselect_b32 s7, s10, s7
	s_cselect_b32 s6, s11, s6
	s_lshl_b32 s7, s7, 23
	s_and_b32 s4, s4, 0x80000000
	s_add_i32 s7, s7, 0x37800000
	s_lshl_b32 s6, s6, 21
	s_or_b32 s4, s4, s7
	s_or_b32 s4, s4, s6
.LBB261_543:
	s_movk_i32 s6, 0x7f
	s_waitcnt vmcnt(0)
	v_cmp_gt_i16_sdwa s[10:11], v8, s6 src0_sel:BYTE_0 src1_sel:DWORD
	s_mov_b64 s[6:7], 0
	s_and_saveexec_b64 s[12:13], s[10:11]
	s_xor_b64 s[10:11], exec, s[12:13]
	s_cbranch_execnz .LBB261_566
; %bb.544:
	s_or_saveexec_b64 s[10:11], s[10:11]
	v_mov_b32_e32 v10, 0x7f800001
	s_xor_b64 exec, exec, s[10:11]
	s_cbranch_execnz .LBB261_569
.LBB261_545:
	s_or_b64 exec, exec, s[10:11]
	s_and_saveexec_b64 s[10:11], s[6:7]
	s_cbranch_execz .LBB261_547
.LBB261_546:
	v_and_b32_e32 v14, 3, v8
	v_ffbh_u32_e32 v16, v14
	v_min_u32_e32 v16, 32, v16
	v_lshrrev_b16_e32 v12, 2, v8
	v_subrev_u32_e32 v18, 29, v16
	v_and_b32_e32 v12, 31, v12
	v_lshlrev_b32_e32 v18, v18, v8
	v_sub_u32_e32 v16, 30, v16
	v_and_b32_e32 v18, 3, v18
	v_cmp_eq_u32_e32 vcc, 0, v12
	v_lshlrev_b32_e32 v10, 24, v8
	v_cndmask_b32_e32 v12, v12, v16, vcc
	v_cndmask_b32_e32 v14, v14, v18, vcc
	v_mov_b32_e32 v16, 0x37800000
	v_lshlrev_b32_e32 v14, 21, v14
	v_and_b32_e32 v10, 0x80000000, v10
	v_lshl_add_u32 v12, v12, 23, v16
	v_or3_b32 v10, v10, v12, v14
.LBB261_547:
	s_or_b64 exec, exec, s[10:11]
	v_cmp_neq_f32_e64 s[6:7], s4, v10
	s_branch .LBB261_534
.LBB261_548:
	s_and_b32 s12, s5, 0xff
	s_cmpk_lt_i32 s12, 0x80
	s_cbranch_scc1 .LBB261_677
; %bb.549:
	s_and_b32 s4, 0xffff, s12
	s_cmpk_eq_i32 s4, 0x80
	s_mov_b64 s[6:7], -1
	s_cbranch_scc0 .LBB261_551
; %bb.550:
	s_mov_b64 s[6:7], 0
.LBB261_551:
	s_mov_b32 s4, 0x7f800001
	s_branch .LBB261_679
.LBB261_552:
	s_mov_b64 s[10:11], 0
	s_mov_b32 s4, 0x7f800001
	s_cbranch_execz .LBB261_554
; %bb.553:
	s_and_b32 s10, 0xffff, s14
	s_cmp_lg_u32 s10, 0
	s_mov_b32 s4, 0
	s_cselect_b64 s[10:11], -1, 0
.LBB261_554:
	s_andn2_b64 vcc, exec, s[10:11]
	s_cbranch_vccnz .LBB261_556
; %bb.555:
	s_and_b32 s10, s5, 3
	s_flbit_i32_b32 s12, s10
	s_min_u32 s12, s12, 32
	s_sub_i32 s13, s12, 29
	s_lshl_b32 s13, s5, s13
	s_lshl_b32 s4, s5, 24
	s_bfe_u32 s11, s5, 0x50002
	s_sub_i32 s12, 30, s12
	s_and_b32 s13, s13, 3
	s_cmp_eq_u32 s11, 0
	s_cselect_b32 s11, s12, s11
	s_cselect_b32 s10, s13, s10
	s_lshl_b32 s11, s11, 23
	s_and_b32 s4, s4, 0x80000000
	s_add_i32 s11, s11, 0x37800000
	s_lshl_b32 s10, s10, 21
	s_or_b32 s4, s4, s11
	s_or_b32 s4, s4, s10
.LBB261_556:
	s_movk_i32 s10, 0x7f
	s_waitcnt vmcnt(0)
	v_cmp_gt_i16_sdwa s[12:13], v8, s10 src0_sel:BYTE_0 src1_sel:DWORD
	s_mov_b64 s[10:11], 0
	s_and_saveexec_b64 s[14:15], s[12:13]
	s_xor_b64 s[12:13], exec, s[14:15]
	s_cbranch_execnz .LBB261_570
; %bb.557:
	s_or_saveexec_b64 s[12:13], s[12:13]
	v_mov_b32_e32 v10, 0x7f800001
	s_xor_b64 exec, exec, s[12:13]
	s_cbranch_execnz .LBB261_573
.LBB261_558:
	s_or_b64 exec, exec, s[12:13]
	s_and_saveexec_b64 s[12:13], s[10:11]
	s_cbranch_execz .LBB261_560
.LBB261_559:
	v_and_b32_e32 v14, 3, v8
	v_ffbh_u32_e32 v16, v14
	v_min_u32_e32 v16, 32, v16
	v_lshrrev_b16_e32 v12, 2, v8
	v_subrev_u32_e32 v18, 29, v16
	v_and_b32_e32 v12, 31, v12
	v_lshlrev_b32_e32 v18, v18, v8
	v_sub_u32_e32 v16, 30, v16
	v_and_b32_e32 v18, 3, v18
	v_cmp_eq_u32_e32 vcc, 0, v12
	v_lshlrev_b32_e32 v10, 24, v8
	v_cndmask_b32_e32 v12, v12, v16, vcc
	v_cndmask_b32_e32 v14, v14, v18, vcc
	v_mov_b32_e32 v16, 0x37800000
	v_lshlrev_b32_e32 v14, 21, v14
	v_and_b32_e32 v10, 0x80000000, v10
	v_lshl_add_u32 v12, v12, 23, v16
	v_or3_b32 v10, v10, v12, v14
.LBB261_560:
	s_or_b64 exec, exec, s[12:13]
	v_cmp_neq_f32_e64 s[10:11], s4, v10
.LBB261_561:
	global_load_ubyte v8, v19, s[2:3]
	s_and_b64 vcc, exec, s[8:9]
	s_cbranch_vccz .LBB261_704
.LBB261_562:
	s_and_b32 s16, s5, 0xff
	s_cmpk_lt_i32 s16, 0x80
	s_cbranch_scc1 .LBB261_574
; %bb.563:
	s_and_b32 s4, 0xffff, s16
	s_cmpk_eq_i32 s4, 0x80
	s_mov_b64 s[12:13], -1
	s_cbranch_scc0 .LBB261_565
; %bb.564:
	s_mov_b64 s[12:13], 0
.LBB261_565:
	s_mov_b32 s4, 0x7f800001
	s_branch .LBB261_576
.LBB261_566:
	s_movk_i32 s6, 0x80
	v_cmp_eq_u16_sdwa s[14:15], v8, s6 src0_sel:BYTE_0 src1_sel:DWORD
	s_mov_b64 s[6:7], -1
	s_and_saveexec_b64 s[12:13], s[14:15]
; %bb.567:
	s_xor_b64 s[6:7], exec, -1
; %bb.568:
	s_or_b64 exec, exec, s[12:13]
	s_and_b64 s[6:7], s[6:7], exec
	s_or_saveexec_b64 s[10:11], s[10:11]
	v_mov_b32_e32 v10, 0x7f800001
	s_xor_b64 exec, exec, s[10:11]
	s_cbranch_execz .LBB261_545
.LBB261_569:
	v_mov_b32_e32 v10, 0
	v_cmp_ne_u16_sdwa s[12:13], v8, v10 src0_sel:BYTE_0 src1_sel:DWORD
	s_andn2_b64 s[6:7], s[6:7], exec
	s_and_b64 s[12:13], s[12:13], exec
	s_or_b64 s[6:7], s[6:7], s[12:13]
	s_or_b64 exec, exec, s[10:11]
	s_and_saveexec_b64 s[10:11], s[6:7]
	s_cbranch_execnz .LBB261_546
	s_branch .LBB261_547
.LBB261_570:
	s_movk_i32 s10, 0x80
	v_cmp_eq_u16_sdwa s[16:17], v8, s10 src0_sel:BYTE_0 src1_sel:DWORD
	s_mov_b64 s[10:11], -1
	s_and_saveexec_b64 s[14:15], s[16:17]
; %bb.571:
	s_xor_b64 s[10:11], exec, -1
; %bb.572:
	s_or_b64 exec, exec, s[14:15]
	s_and_b64 s[10:11], s[10:11], exec
	s_or_saveexec_b64 s[12:13], s[12:13]
	v_mov_b32_e32 v10, 0x7f800001
	s_xor_b64 exec, exec, s[12:13]
	s_cbranch_execz .LBB261_558
.LBB261_573:
	v_mov_b32_e32 v10, 0
	v_cmp_ne_u16_sdwa s[14:15], v8, v10 src0_sel:BYTE_0 src1_sel:DWORD
	s_andn2_b64 s[10:11], s[10:11], exec
	s_and_b64 s[14:15], s[14:15], exec
	s_or_b64 s[10:11], s[10:11], s[14:15]
	s_or_b64 exec, exec, s[12:13]
	s_and_saveexec_b64 s[12:13], s[10:11]
	s_cbranch_execnz .LBB261_559
	s_branch .LBB261_560
.LBB261_574:
	s_mov_b64 s[12:13], 0
	s_mov_b32 s4, 0x7f800001
	s_cbranch_execz .LBB261_576
; %bb.575:
	s_and_b32 s12, 0xffff, s16
	s_cmp_lg_u32 s12, 0
	s_mov_b32 s4, 0
	s_cselect_b64 s[12:13], -1, 0
.LBB261_576:
	s_andn2_b64 vcc, exec, s[12:13]
	s_cbranch_vccnz .LBB261_578
; %bb.577:
	s_and_b32 s12, s5, 3
	s_flbit_i32_b32 s14, s12
	s_min_u32 s14, s14, 32
	s_sub_i32 s15, s14, 29
	s_lshl_b32 s15, s5, s15
	s_lshl_b32 s4, s5, 24
	s_bfe_u32 s13, s5, 0x50002
	s_sub_i32 s14, 30, s14
	s_and_b32 s15, s15, 3
	s_cmp_eq_u32 s13, 0
	s_cselect_b32 s13, s14, s13
	s_cselect_b32 s12, s15, s12
	s_lshl_b32 s13, s13, 23
	s_and_b32 s4, s4, 0x80000000
	s_add_i32 s13, s13, 0x37800000
	s_lshl_b32 s12, s12, 21
	s_or_b32 s4, s4, s13
	s_or_b32 s4, s4, s12
.LBB261_578:
	s_movk_i32 s12, 0x7f
	s_waitcnt vmcnt(0)
	v_cmp_gt_i16_sdwa s[14:15], v8, s12 src0_sel:BYTE_0 src1_sel:DWORD
	s_mov_b64 s[12:13], 0
	s_and_saveexec_b64 s[16:17], s[14:15]
	s_xor_b64 s[14:15], exec, s[16:17]
	s_cbranch_execnz .LBB261_588
; %bb.579:
	s_or_saveexec_b64 s[14:15], s[14:15]
	v_mov_b32_e32 v10, 0x7f800001
	s_xor_b64 exec, exec, s[14:15]
	s_cbranch_execnz .LBB261_591
.LBB261_580:
	s_or_b64 exec, exec, s[14:15]
	s_and_saveexec_b64 s[14:15], s[12:13]
	s_cbranch_execz .LBB261_582
.LBB261_581:
	v_and_b32_e32 v14, 3, v8
	v_ffbh_u32_e32 v16, v14
	v_min_u32_e32 v16, 32, v16
	v_lshrrev_b16_e32 v12, 2, v8
	v_subrev_u32_e32 v18, 29, v16
	v_and_b32_e32 v12, 31, v12
	v_lshlrev_b32_e32 v18, v18, v8
	v_sub_u32_e32 v16, 30, v16
	v_and_b32_e32 v18, 3, v18
	v_cmp_eq_u32_e32 vcc, 0, v12
	v_lshlrev_b32_e32 v10, 24, v8
	v_cndmask_b32_e32 v12, v12, v16, vcc
	v_cndmask_b32_e32 v14, v14, v18, vcc
	v_mov_b32_e32 v16, 0x37800000
	v_lshlrev_b32_e32 v14, 21, v14
	v_and_b32_e32 v10, 0x80000000, v10
	v_lshl_add_u32 v12, v12, 23, v16
	v_or3_b32 v10, v10, v12, v14
.LBB261_582:
	s_or_b64 exec, exec, s[14:15]
	v_cmp_neq_f32_e64 s[12:13], s4, v10
.LBB261_583:
	global_load_ubyte v8, v17, s[2:3]
	s_and_b64 vcc, exec, s[8:9]
	s_cbranch_vccz .LBB261_722
.LBB261_584:
	s_and_b32 s18, s5, 0xff
	s_cmpk_lt_i32 s18, 0x80
	s_cbranch_scc1 .LBB261_592
; %bb.585:
	s_and_b32 s4, 0xffff, s18
	s_cmpk_eq_i32 s4, 0x80
	s_mov_b64 s[14:15], -1
	s_cbranch_scc0 .LBB261_587
; %bb.586:
	s_mov_b64 s[14:15], 0
.LBB261_587:
	s_mov_b32 s4, 0x7f800001
	s_branch .LBB261_594
.LBB261_588:
	s_movk_i32 s12, 0x80
	v_cmp_eq_u16_sdwa s[18:19], v8, s12 src0_sel:BYTE_0 src1_sel:DWORD
	s_mov_b64 s[12:13], -1
	s_and_saveexec_b64 s[16:17], s[18:19]
; %bb.589:
	s_xor_b64 s[12:13], exec, -1
; %bb.590:
	s_or_b64 exec, exec, s[16:17]
	s_and_b64 s[12:13], s[12:13], exec
	s_or_saveexec_b64 s[14:15], s[14:15]
	v_mov_b32_e32 v10, 0x7f800001
	s_xor_b64 exec, exec, s[14:15]
	s_cbranch_execz .LBB261_580
.LBB261_591:
	v_mov_b32_e32 v10, 0
	v_cmp_ne_u16_sdwa s[16:17], v8, v10 src0_sel:BYTE_0 src1_sel:DWORD
	s_andn2_b64 s[12:13], s[12:13], exec
	s_and_b64 s[16:17], s[16:17], exec
	s_or_b64 s[12:13], s[12:13], s[16:17]
	s_or_b64 exec, exec, s[14:15]
	s_and_saveexec_b64 s[14:15], s[12:13]
	s_cbranch_execnz .LBB261_581
	s_branch .LBB261_582
.LBB261_592:
	s_mov_b64 s[14:15], 0
	s_mov_b32 s4, 0x7f800001
	s_cbranch_execz .LBB261_594
; %bb.593:
	s_and_b32 s14, 0xffff, s18
	s_cmp_lg_u32 s14, 0
	s_mov_b32 s4, 0
	s_cselect_b64 s[14:15], -1, 0
.LBB261_594:
	s_andn2_b64 vcc, exec, s[14:15]
	s_cbranch_vccnz .LBB261_596
; %bb.595:
	s_and_b32 s14, s5, 3
	s_flbit_i32_b32 s16, s14
	s_min_u32 s16, s16, 32
	s_sub_i32 s17, s16, 29
	s_lshl_b32 s17, s5, s17
	s_lshl_b32 s4, s5, 24
	s_bfe_u32 s15, s5, 0x50002
	s_sub_i32 s16, 30, s16
	s_and_b32 s17, s17, 3
	s_cmp_eq_u32 s15, 0
	s_cselect_b32 s15, s16, s15
	s_cselect_b32 s14, s17, s14
	s_lshl_b32 s15, s15, 23
	s_and_b32 s4, s4, 0x80000000
	s_add_i32 s15, s15, 0x37800000
	s_lshl_b32 s14, s14, 21
	s_or_b32 s4, s4, s15
	s_or_b32 s4, s4, s14
.LBB261_596:
	s_movk_i32 s14, 0x7f
	s_waitcnt vmcnt(0)
	v_cmp_gt_i16_sdwa s[16:17], v8, s14 src0_sel:BYTE_0 src1_sel:DWORD
	s_mov_b64 s[14:15], 0
	s_and_saveexec_b64 s[18:19], s[16:17]
	s_xor_b64 s[16:17], exec, s[18:19]
	s_cbranch_execnz .LBB261_606
; %bb.597:
	s_or_saveexec_b64 s[16:17], s[16:17]
	v_mov_b32_e32 v10, 0x7f800001
	s_xor_b64 exec, exec, s[16:17]
	s_cbranch_execnz .LBB261_609
.LBB261_598:
	s_or_b64 exec, exec, s[16:17]
	s_and_saveexec_b64 s[16:17], s[14:15]
	s_cbranch_execz .LBB261_600
.LBB261_599:
	v_and_b32_e32 v14, 3, v8
	v_ffbh_u32_e32 v16, v14
	v_min_u32_e32 v16, 32, v16
	v_lshrrev_b16_e32 v12, 2, v8
	v_subrev_u32_e32 v17, 29, v16
	v_and_b32_e32 v12, 31, v12
	v_lshlrev_b32_e32 v17, v17, v8
	v_sub_u32_e32 v16, 30, v16
	v_and_b32_e32 v17, 3, v17
	v_cmp_eq_u32_e32 vcc, 0, v12
	v_lshlrev_b32_e32 v10, 24, v8
	v_cndmask_b32_e32 v12, v12, v16, vcc
	v_cndmask_b32_e32 v14, v14, v17, vcc
	v_mov_b32_e32 v16, 0x37800000
	v_lshlrev_b32_e32 v14, 21, v14
	v_and_b32_e32 v10, 0x80000000, v10
	v_lshl_add_u32 v12, v12, 23, v16
	v_or3_b32 v10, v10, v12, v14
.LBB261_600:
	s_or_b64 exec, exec, s[16:17]
	v_cmp_neq_f32_e64 s[14:15], s4, v10
.LBB261_601:
	global_load_ubyte v8, v15, s[2:3]
	s_and_b64 vcc, exec, s[8:9]
	s_cbranch_vccz .LBB261_740
.LBB261_602:
	s_and_b32 s20, s5, 0xff
	s_cmpk_lt_i32 s20, 0x80
	s_cbranch_scc1 .LBB261_610
; %bb.603:
	s_and_b32 s4, 0xffff, s20
	s_cmpk_eq_i32 s4, 0x80
	s_mov_b64 s[16:17], -1
	s_cbranch_scc0 .LBB261_605
; %bb.604:
	s_mov_b64 s[16:17], 0
.LBB261_605:
	s_mov_b32 s4, 0x7f800001
	s_branch .LBB261_612
.LBB261_606:
	s_movk_i32 s14, 0x80
	v_cmp_eq_u16_sdwa s[20:21], v8, s14 src0_sel:BYTE_0 src1_sel:DWORD
	s_mov_b64 s[14:15], -1
	s_and_saveexec_b64 s[18:19], s[20:21]
; %bb.607:
	s_xor_b64 s[14:15], exec, -1
; %bb.608:
	s_or_b64 exec, exec, s[18:19]
	s_and_b64 s[14:15], s[14:15], exec
	s_or_saveexec_b64 s[16:17], s[16:17]
	v_mov_b32_e32 v10, 0x7f800001
	s_xor_b64 exec, exec, s[16:17]
	s_cbranch_execz .LBB261_598
.LBB261_609:
	v_mov_b32_e32 v10, 0
	v_cmp_ne_u16_sdwa s[18:19], v8, v10 src0_sel:BYTE_0 src1_sel:DWORD
	s_andn2_b64 s[14:15], s[14:15], exec
	s_and_b64 s[18:19], s[18:19], exec
	s_or_b64 s[14:15], s[14:15], s[18:19]
	s_or_b64 exec, exec, s[16:17]
	s_and_saveexec_b64 s[16:17], s[14:15]
	s_cbranch_execnz .LBB261_599
	s_branch .LBB261_600
.LBB261_610:
	s_mov_b64 s[16:17], 0
	s_mov_b32 s4, 0x7f800001
	s_cbranch_execz .LBB261_612
; %bb.611:
	s_and_b32 s16, 0xffff, s20
	s_cmp_lg_u32 s16, 0
	s_mov_b32 s4, 0
	s_cselect_b64 s[16:17], -1, 0
.LBB261_612:
	s_andn2_b64 vcc, exec, s[16:17]
	s_cbranch_vccnz .LBB261_614
; %bb.613:
	s_and_b32 s16, s5, 3
	s_flbit_i32_b32 s18, s16
	s_min_u32 s18, s18, 32
	s_sub_i32 s19, s18, 29
	s_lshl_b32 s19, s5, s19
	s_lshl_b32 s4, s5, 24
	s_bfe_u32 s17, s5, 0x50002
	s_sub_i32 s18, 30, s18
	s_and_b32 s19, s19, 3
	s_cmp_eq_u32 s17, 0
	s_cselect_b32 s17, s18, s17
	s_cselect_b32 s16, s19, s16
	s_lshl_b32 s17, s17, 23
	s_and_b32 s4, s4, 0x80000000
	s_add_i32 s17, s17, 0x37800000
	s_lshl_b32 s16, s16, 21
	s_or_b32 s4, s4, s17
	s_or_b32 s4, s4, s16
.LBB261_614:
	s_movk_i32 s16, 0x7f
	s_waitcnt vmcnt(0)
	v_cmp_gt_i16_sdwa s[18:19], v8, s16 src0_sel:BYTE_0 src1_sel:DWORD
	s_mov_b64 s[16:17], 0
	s_and_saveexec_b64 s[20:21], s[18:19]
	s_xor_b64 s[18:19], exec, s[20:21]
	s_cbranch_execnz .LBB261_624
; %bb.615:
	s_or_saveexec_b64 s[18:19], s[18:19]
	v_mov_b32_e32 v10, 0x7f800001
	s_xor_b64 exec, exec, s[18:19]
	s_cbranch_execnz .LBB261_627
.LBB261_616:
	s_or_b64 exec, exec, s[18:19]
	s_and_saveexec_b64 s[18:19], s[16:17]
	s_cbranch_execz .LBB261_618
.LBB261_617:
	v_and_b32_e32 v14, 3, v8
	v_ffbh_u32_e32 v15, v14
	v_min_u32_e32 v15, 32, v15
	v_lshrrev_b16_e32 v12, 2, v8
	v_subrev_u32_e32 v16, 29, v15
	v_and_b32_e32 v12, 31, v12
	v_lshlrev_b32_e32 v16, v16, v8
	v_sub_u32_e32 v15, 30, v15
	v_and_b32_e32 v16, 3, v16
	v_cmp_eq_u32_e32 vcc, 0, v12
	v_lshlrev_b32_e32 v10, 24, v8
	v_cndmask_b32_e32 v12, v12, v15, vcc
	v_cndmask_b32_e32 v14, v14, v16, vcc
	v_mov_b32_e32 v15, 0x37800000
	v_lshlrev_b32_e32 v14, 21, v14
	v_and_b32_e32 v10, 0x80000000, v10
	v_lshl_add_u32 v12, v12, 23, v15
	v_or3_b32 v10, v10, v12, v14
.LBB261_618:
	s_or_b64 exec, exec, s[18:19]
	v_cmp_neq_f32_e64 s[16:17], s4, v10
.LBB261_619:
	global_load_ubyte v8, v13, s[2:3]
	s_and_b64 vcc, exec, s[8:9]
	s_cbranch_vccz .LBB261_758
.LBB261_620:
	s_and_b32 s22, s5, 0xff
	s_cmpk_lt_i32 s22, 0x80
	s_cbranch_scc1 .LBB261_628
; %bb.621:
	s_and_b32 s4, 0xffff, s22
	s_cmpk_eq_i32 s4, 0x80
	s_mov_b64 s[18:19], -1
	s_cbranch_scc0 .LBB261_623
; %bb.622:
	s_mov_b64 s[18:19], 0
.LBB261_623:
	s_mov_b32 s4, 0x7f800001
	s_branch .LBB261_630
.LBB261_624:
	s_movk_i32 s16, 0x80
	v_cmp_eq_u16_sdwa s[22:23], v8, s16 src0_sel:BYTE_0 src1_sel:DWORD
	s_mov_b64 s[16:17], -1
	s_and_saveexec_b64 s[20:21], s[22:23]
; %bb.625:
	s_xor_b64 s[16:17], exec, -1
; %bb.626:
	s_or_b64 exec, exec, s[20:21]
	s_and_b64 s[16:17], s[16:17], exec
	s_or_saveexec_b64 s[18:19], s[18:19]
	v_mov_b32_e32 v10, 0x7f800001
	s_xor_b64 exec, exec, s[18:19]
	s_cbranch_execz .LBB261_616
.LBB261_627:
	v_mov_b32_e32 v10, 0
	v_cmp_ne_u16_sdwa s[20:21], v8, v10 src0_sel:BYTE_0 src1_sel:DWORD
	s_andn2_b64 s[16:17], s[16:17], exec
	s_and_b64 s[20:21], s[20:21], exec
	s_or_b64 s[16:17], s[16:17], s[20:21]
	s_or_b64 exec, exec, s[18:19]
	s_and_saveexec_b64 s[18:19], s[16:17]
	s_cbranch_execnz .LBB261_617
	s_branch .LBB261_618
.LBB261_628:
	s_mov_b64 s[18:19], 0
	s_mov_b32 s4, 0x7f800001
	s_cbranch_execz .LBB261_630
; %bb.629:
	s_and_b32 s18, 0xffff, s22
	s_cmp_lg_u32 s18, 0
	s_mov_b32 s4, 0
	s_cselect_b64 s[18:19], -1, 0
.LBB261_630:
	s_andn2_b64 vcc, exec, s[18:19]
	s_cbranch_vccnz .LBB261_632
; %bb.631:
	s_and_b32 s18, s5, 3
	s_flbit_i32_b32 s20, s18
	s_min_u32 s20, s20, 32
	s_sub_i32 s21, s20, 29
	s_lshl_b32 s21, s5, s21
	s_lshl_b32 s4, s5, 24
	s_bfe_u32 s19, s5, 0x50002
	s_sub_i32 s20, 30, s20
	s_and_b32 s21, s21, 3
	s_cmp_eq_u32 s19, 0
	s_cselect_b32 s19, s20, s19
	s_cselect_b32 s18, s21, s18
	s_lshl_b32 s19, s19, 23
	s_and_b32 s4, s4, 0x80000000
	s_add_i32 s19, s19, 0x37800000
	s_lshl_b32 s18, s18, 21
	s_or_b32 s4, s4, s19
	s_or_b32 s4, s4, s18
.LBB261_632:
	s_movk_i32 s18, 0x7f
	s_waitcnt vmcnt(0)
	v_cmp_gt_i16_sdwa s[20:21], v8, s18 src0_sel:BYTE_0 src1_sel:DWORD
	s_mov_b64 s[18:19], 0
	s_and_saveexec_b64 s[22:23], s[20:21]
	s_xor_b64 s[20:21], exec, s[22:23]
	s_cbranch_execnz .LBB261_642
; %bb.633:
	s_or_saveexec_b64 s[20:21], s[20:21]
	v_mov_b32_e32 v10, 0x7f800001
	s_xor_b64 exec, exec, s[20:21]
	s_cbranch_execnz .LBB261_645
.LBB261_634:
	s_or_b64 exec, exec, s[20:21]
	s_and_saveexec_b64 s[20:21], s[18:19]
	s_cbranch_execz .LBB261_636
.LBB261_635:
	v_and_b32_e32 v13, 3, v8
	v_ffbh_u32_e32 v14, v13
	v_min_u32_e32 v14, 32, v14
	v_lshrrev_b16_e32 v12, 2, v8
	v_subrev_u32_e32 v15, 29, v14
	v_and_b32_e32 v12, 31, v12
	v_lshlrev_b32_e32 v15, v15, v8
	v_sub_u32_e32 v14, 30, v14
	v_and_b32_e32 v15, 3, v15
	v_cmp_eq_u32_e32 vcc, 0, v12
	v_lshlrev_b32_e32 v10, 24, v8
	v_cndmask_b32_e32 v12, v12, v14, vcc
	v_cndmask_b32_e32 v13, v13, v15, vcc
	v_mov_b32_e32 v14, 0x37800000
	v_lshlrev_b32_e32 v13, 21, v13
	v_and_b32_e32 v10, 0x80000000, v10
	v_lshl_add_u32 v12, v12, 23, v14
	v_or3_b32 v10, v10, v12, v13
.LBB261_636:
	s_or_b64 exec, exec, s[20:21]
	v_cmp_neq_f32_e64 s[18:19], s4, v10
.LBB261_637:
	global_load_ubyte v8, v11, s[2:3]
	s_and_b64 vcc, exec, s[8:9]
	s_cbranch_vccz .LBB261_776
.LBB261_638:
	s_and_b32 s24, s5, 0xff
	s_cmpk_lt_i32 s24, 0x80
	s_cbranch_scc1 .LBB261_646
; %bb.639:
	s_and_b32 s4, 0xffff, s24
	s_cmpk_eq_i32 s4, 0x80
	s_mov_b64 s[20:21], -1
	s_cbranch_scc0 .LBB261_641
; %bb.640:
	s_mov_b64 s[20:21], 0
.LBB261_641:
	s_mov_b32 s4, 0x7f800001
	s_branch .LBB261_648
.LBB261_642:
	s_movk_i32 s18, 0x80
	v_cmp_eq_u16_sdwa s[24:25], v8, s18 src0_sel:BYTE_0 src1_sel:DWORD
	s_mov_b64 s[18:19], -1
	s_and_saveexec_b64 s[22:23], s[24:25]
; %bb.643:
	s_xor_b64 s[18:19], exec, -1
; %bb.644:
	s_or_b64 exec, exec, s[22:23]
	s_and_b64 s[18:19], s[18:19], exec
	s_or_saveexec_b64 s[20:21], s[20:21]
	v_mov_b32_e32 v10, 0x7f800001
	s_xor_b64 exec, exec, s[20:21]
	s_cbranch_execz .LBB261_634
.LBB261_645:
	v_mov_b32_e32 v10, 0
	v_cmp_ne_u16_sdwa s[22:23], v8, v10 src0_sel:BYTE_0 src1_sel:DWORD
	s_andn2_b64 s[18:19], s[18:19], exec
	s_and_b64 s[22:23], s[22:23], exec
	s_or_b64 s[18:19], s[18:19], s[22:23]
	s_or_b64 exec, exec, s[20:21]
	s_and_saveexec_b64 s[20:21], s[18:19]
	s_cbranch_execnz .LBB261_635
	s_branch .LBB261_636
.LBB261_646:
	s_mov_b64 s[20:21], 0
	s_mov_b32 s4, 0x7f800001
	s_cbranch_execz .LBB261_648
; %bb.647:
	s_and_b32 s20, 0xffff, s24
	s_cmp_lg_u32 s20, 0
	s_mov_b32 s4, 0
	s_cselect_b64 s[20:21], -1, 0
.LBB261_648:
	s_andn2_b64 vcc, exec, s[20:21]
	s_cbranch_vccnz .LBB261_650
; %bb.649:
	s_and_b32 s20, s5, 3
	s_flbit_i32_b32 s22, s20
	s_min_u32 s22, s22, 32
	s_sub_i32 s23, s22, 29
	s_lshl_b32 s23, s5, s23
	s_lshl_b32 s4, s5, 24
	s_bfe_u32 s21, s5, 0x50002
	s_sub_i32 s22, 30, s22
	s_and_b32 s23, s23, 3
	s_cmp_eq_u32 s21, 0
	s_cselect_b32 s21, s22, s21
	s_cselect_b32 s20, s23, s20
	s_lshl_b32 s21, s21, 23
	s_and_b32 s4, s4, 0x80000000
	s_add_i32 s21, s21, 0x37800000
	s_lshl_b32 s20, s20, 21
	s_or_b32 s4, s4, s21
	s_or_b32 s4, s4, s20
.LBB261_650:
	s_movk_i32 s20, 0x7f
	s_waitcnt vmcnt(0)
	v_cmp_gt_i16_sdwa s[22:23], v8, s20 src0_sel:BYTE_0 src1_sel:DWORD
	s_mov_b64 s[20:21], 0
	s_and_saveexec_b64 s[24:25], s[22:23]
	s_xor_b64 s[22:23], exec, s[24:25]
	s_cbranch_execnz .LBB261_660
; %bb.651:
	s_or_saveexec_b64 s[22:23], s[22:23]
	v_mov_b32_e32 v10, 0x7f800001
	s_xor_b64 exec, exec, s[22:23]
	s_cbranch_execnz .LBB261_663
.LBB261_652:
	s_or_b64 exec, exec, s[22:23]
	s_and_saveexec_b64 s[22:23], s[20:21]
	s_cbranch_execz .LBB261_654
.LBB261_653:
	v_and_b32_e32 v12, 3, v8
	v_ffbh_u32_e32 v13, v12
	v_min_u32_e32 v13, 32, v13
	v_lshrrev_b16_e32 v11, 2, v8
	v_subrev_u32_e32 v14, 29, v13
	v_and_b32_e32 v11, 31, v11
	v_lshlrev_b32_e32 v14, v14, v8
	v_sub_u32_e32 v13, 30, v13
	v_and_b32_e32 v14, 3, v14
	v_cmp_eq_u32_e32 vcc, 0, v11
	v_lshlrev_b32_e32 v10, 24, v8
	v_cndmask_b32_e32 v11, v11, v13, vcc
	v_cndmask_b32_e32 v12, v12, v14, vcc
	v_mov_b32_e32 v13, 0x37800000
	v_lshlrev_b32_e32 v12, 21, v12
	v_and_b32_e32 v10, 0x80000000, v10
	v_lshl_add_u32 v11, v11, 23, v13
	v_or3_b32 v10, v10, v11, v12
.LBB261_654:
	s_or_b64 exec, exec, s[22:23]
	v_cmp_neq_f32_e64 s[20:21], s4, v10
.LBB261_655:
	global_load_ubyte v8, v9, s[2:3]
	s_and_b64 vcc, exec, s[8:9]
	s_cbranch_vccz .LBB261_794
.LBB261_656:
	s_and_b32 s22, s5, 0xff
	s_cmpk_lt_i32 s22, 0x80
	s_cbranch_scc1 .LBB261_664
; %bb.657:
	s_and_b32 s2, 0xffff, s22
	s_cmpk_eq_i32 s2, 0x80
	s_mov_b64 s[2:3], -1
	s_cbranch_scc0 .LBB261_659
; %bb.658:
	s_mov_b64 s[2:3], 0
.LBB261_659:
	s_mov_b32 s4, 0x7f800001
	s_branch .LBB261_666
.LBB261_660:
	s_movk_i32 s20, 0x80
	v_cmp_eq_u16_sdwa s[26:27], v8, s20 src0_sel:BYTE_0 src1_sel:DWORD
	s_mov_b64 s[20:21], -1
	s_and_saveexec_b64 s[24:25], s[26:27]
; %bb.661:
	s_xor_b64 s[20:21], exec, -1
; %bb.662:
	s_or_b64 exec, exec, s[24:25]
	s_and_b64 s[20:21], s[20:21], exec
	s_or_saveexec_b64 s[22:23], s[22:23]
	v_mov_b32_e32 v10, 0x7f800001
	s_xor_b64 exec, exec, s[22:23]
	s_cbranch_execz .LBB261_652
.LBB261_663:
	v_mov_b32_e32 v10, 0
	v_cmp_ne_u16_sdwa s[24:25], v8, v10 src0_sel:BYTE_0 src1_sel:DWORD
	s_andn2_b64 s[20:21], s[20:21], exec
	s_and_b64 s[24:25], s[24:25], exec
	s_or_b64 s[20:21], s[20:21], s[24:25]
	s_or_b64 exec, exec, s[22:23]
	s_and_saveexec_b64 s[22:23], s[20:21]
	s_cbranch_execnz .LBB261_653
	s_branch .LBB261_654
.LBB261_664:
	s_mov_b64 s[2:3], 0
	s_mov_b32 s4, 0x7f800001
	s_cbranch_execz .LBB261_666
; %bb.665:
	s_and_b32 s2, 0xffff, s22
	s_cmp_lg_u32 s2, 0
	s_mov_b32 s4, 0
	s_cselect_b64 s[2:3], -1, 0
.LBB261_666:
	s_andn2_b64 vcc, exec, s[2:3]
	s_cbranch_vccnz .LBB261_668
; %bb.667:
	s_and_b32 s3, s5, 3
	s_flbit_i32_b32 s8, s3
	s_min_u32 s8, s8, 32
	s_sub_i32 s9, s8, 29
	s_lshl_b32 s9, s5, s9
	s_lshl_b32 s2, s5, 24
	s_bfe_u32 s4, s5, 0x50002
	s_sub_i32 s8, 30, s8
	s_and_b32 s9, s9, 3
	s_cmp_eq_u32 s4, 0
	s_cselect_b32 s4, s8, s4
	s_cselect_b32 s3, s9, s3
	s_lshl_b32 s4, s4, 23
	s_and_b32 s2, s2, 0x80000000
	s_add_i32 s4, s4, 0x37800000
	s_lshl_b32 s3, s3, 21
	s_or_b32 s2, s2, s4
	s_or_b32 s4, s2, s3
.LBB261_668:
	s_movk_i32 s2, 0x7f
	s_waitcnt vmcnt(0)
	v_cmp_gt_i16_sdwa s[8:9], v8, s2 src0_sel:BYTE_0 src1_sel:DWORD
	s_mov_b64 s[2:3], 0
	s_and_saveexec_b64 s[22:23], s[8:9]
	s_xor_b64 s[8:9], exec, s[22:23]
	s_cbranch_execnz .LBB261_673
; %bb.669:
	s_or_saveexec_b64 s[8:9], s[8:9]
	v_mov_b32_e32 v9, 0x7f800001
	s_xor_b64 exec, exec, s[8:9]
	s_cbranch_execnz .LBB261_676
.LBB261_670:
	s_or_b64 exec, exec, s[8:9]
	s_and_saveexec_b64 s[8:9], s[2:3]
	s_cbranch_execz .LBB261_672
.LBB261_671:
	v_and_b32_e32 v11, 3, v8
	v_ffbh_u32_e32 v12, v11
	v_min_u32_e32 v12, 32, v12
	v_lshrrev_b16_e32 v10, 2, v8
	v_subrev_u32_e32 v13, 29, v12
	v_and_b32_e32 v10, 31, v10
	v_lshlrev_b32_e32 v13, v13, v8
	v_sub_u32_e32 v12, 30, v12
	v_and_b32_e32 v13, 3, v13
	v_cmp_eq_u32_e32 vcc, 0, v10
	v_lshlrev_b32_e32 v9, 24, v8
	v_cndmask_b32_e32 v10, v10, v12, vcc
	v_cndmask_b32_e32 v11, v11, v13, vcc
	v_mov_b32_e32 v12, 0x37800000
	v_lshlrev_b32_e32 v11, 21, v11
	v_and_b32_e32 v9, 0x80000000, v9
	v_lshl_add_u32 v10, v10, 23, v12
	v_or3_b32 v9, v9, v10, v11
.LBB261_672:
	s_or_b64 exec, exec, s[8:9]
	v_cmp_neq_f32_e64 s[2:3], s4, v9
	s_branch .LBB261_812
.LBB261_673:
	s_movk_i32 s2, 0x80
	v_cmp_eq_u16_sdwa s[24:25], v8, s2 src0_sel:BYTE_0 src1_sel:DWORD
	s_mov_b64 s[2:3], -1
	s_and_saveexec_b64 s[22:23], s[24:25]
; %bb.674:
	s_xor_b64 s[2:3], exec, -1
; %bb.675:
	s_or_b64 exec, exec, s[22:23]
	s_and_b64 s[2:3], s[2:3], exec
	s_or_saveexec_b64 s[8:9], s[8:9]
	v_mov_b32_e32 v9, 0x7f800001
	s_xor_b64 exec, exec, s[8:9]
	s_cbranch_execz .LBB261_670
.LBB261_676:
	v_mov_b32_e32 v9, 0
	v_cmp_ne_u16_sdwa s[22:23], v8, v9 src0_sel:BYTE_0 src1_sel:DWORD
	s_andn2_b64 s[2:3], s[2:3], exec
	s_and_b64 s[22:23], s[22:23], exec
	s_or_b64 s[2:3], s[2:3], s[22:23]
	s_or_b64 exec, exec, s[8:9]
	s_and_saveexec_b64 s[8:9], s[2:3]
	s_cbranch_execnz .LBB261_671
	s_branch .LBB261_672
.LBB261_677:
	s_mov_b64 s[6:7], 0
	s_mov_b32 s4, 0x7f800001
	s_cbranch_execz .LBB261_679
; %bb.678:
	s_and_b32 s6, 0xffff, s12
	s_cmp_lg_u32 s6, 0
	s_mov_b32 s4, 0
	s_cselect_b64 s[6:7], -1, 0
.LBB261_679:
	s_andn2_b64 vcc, exec, s[6:7]
	s_cbranch_vccnz .LBB261_681
; %bb.680:
	s_and_b32 s6, s5, 3
	s_flbit_i32_b32 s10, s6
	s_min_u32 s10, s10, 32
	s_sub_i32 s11, s10, 29
	s_lshl_b32 s11, s5, s11
	s_lshl_b32 s4, s5, 24
	s_bfe_u32 s7, s5, 0x50002
	s_sub_i32 s10, 30, s10
	s_and_b32 s11, s11, 3
	s_cmp_eq_u32 s7, 0
	s_cselect_b32 s7, s10, s7
	s_cselect_b32 s6, s11, s6
	s_lshl_b32 s7, s7, 23
	s_and_b32 s4, s4, 0x80000000
	s_add_i32 s7, s7, 0x37800000
	s_lshl_b32 s6, s6, 21
	s_or_b32 s4, s4, s7
	s_or_b32 s4, s4, s6
.LBB261_681:
	s_movk_i32 s6, 0x7f
	s_waitcnt vmcnt(0)
	v_cmp_gt_i16_sdwa s[10:11], v8, s6 src0_sel:BYTE_0 src1_sel:DWORD
	s_mov_b64 s[6:7], 0
	s_and_saveexec_b64 s[12:13], s[10:11]
	s_xor_b64 s[10:11], exec, s[12:13]
	s_cbranch_execnz .LBB261_691
; %bb.682:
	s_or_saveexec_b64 s[10:11], s[10:11]
	v_mov_b32_e32 v10, 0x7f800001
	s_xor_b64 exec, exec, s[10:11]
	s_cbranch_execnz .LBB261_694
.LBB261_683:
	s_or_b64 exec, exec, s[10:11]
	s_and_saveexec_b64 s[10:11], s[6:7]
	s_cbranch_execz .LBB261_685
.LBB261_684:
	v_and_b32_e32 v14, 3, v8
	v_ffbh_u32_e32 v16, v14
	v_min_u32_e32 v16, 32, v16
	v_lshrrev_b16_e32 v12, 2, v8
	v_subrev_u32_e32 v18, 29, v16
	v_lshlrev_b32_e32 v10, 24, v8
	v_and_b32_e32 v12, 31, v12
	v_lshlrev_b32_e32 v8, v18, v8
	v_sub_u32_e32 v16, 30, v16
	v_and_b32_e32 v8, 3, v8
	v_cmp_eq_u32_e32 vcc, 0, v12
	v_cndmask_b32_e32 v12, v12, v16, vcc
	v_cndmask_b32_e32 v8, v14, v8, vcc
	v_mov_b32_e32 v14, 0x37800000
	v_lshlrev_b32_e32 v8, 21, v8
	v_and_b32_e32 v10, 0x80000000, v10
	v_lshl_add_u32 v12, v12, 23, v14
	v_or3_b32 v10, v10, v12, v8
.LBB261_685:
	s_or_b64 exec, exec, s[10:11]
	v_cmp_eq_f32_e64 s[6:7], s4, v10
	global_load_ubyte v8, v21, s[2:3]
	s_and_b64 vcc, exec, s[8:9]
	s_cbranch_vccnz .LBB261_535
.LBB261_686:
                                        ; implicit-def: $sgpr10_sgpr11
	s_cbranch_execz .LBB261_561
; %bb.687:
	s_and_b32 s14, s5, 0xff
	s_cmpk_lt_i32 s14, 0x80
	s_cbranch_scc1 .LBB261_695
; %bb.688:
	s_and_b32 s4, 0xffff, s14
	s_cmpk_eq_i32 s4, 0x80
	s_mov_b64 s[10:11], -1
	s_cbranch_scc0 .LBB261_690
; %bb.689:
	s_mov_b64 s[10:11], 0
.LBB261_690:
	s_mov_b32 s4, 0x7f800001
	s_branch .LBB261_697
.LBB261_691:
	s_movk_i32 s6, 0x80
	v_cmp_eq_u16_sdwa s[14:15], v8, s6 src0_sel:BYTE_0 src1_sel:DWORD
	s_mov_b64 s[6:7], -1
	s_and_saveexec_b64 s[12:13], s[14:15]
; %bb.692:
	s_xor_b64 s[6:7], exec, -1
; %bb.693:
	s_or_b64 exec, exec, s[12:13]
	s_and_b64 s[6:7], s[6:7], exec
	s_or_saveexec_b64 s[10:11], s[10:11]
	v_mov_b32_e32 v10, 0x7f800001
	s_xor_b64 exec, exec, s[10:11]
	s_cbranch_execz .LBB261_683
.LBB261_694:
	v_mov_b32_e32 v10, 0
	v_cmp_ne_u16_sdwa s[12:13], v8, v10 src0_sel:BYTE_0 src1_sel:DWORD
	s_andn2_b64 s[6:7], s[6:7], exec
	s_and_b64 s[12:13], s[12:13], exec
	s_or_b64 s[6:7], s[6:7], s[12:13]
	s_or_b64 exec, exec, s[10:11]
	s_and_saveexec_b64 s[10:11], s[6:7]
	s_cbranch_execnz .LBB261_684
	s_branch .LBB261_685
.LBB261_695:
	s_mov_b64 s[10:11], 0
	s_mov_b32 s4, 0x7f800001
	s_cbranch_execz .LBB261_697
; %bb.696:
	s_and_b32 s10, 0xffff, s14
	s_cmp_lg_u32 s10, 0
	s_mov_b32 s4, 0
	s_cselect_b64 s[10:11], -1, 0
.LBB261_697:
	s_andn2_b64 vcc, exec, s[10:11]
	s_cbranch_vccnz .LBB261_699
; %bb.698:
	s_and_b32 s10, s5, 3
	s_flbit_i32_b32 s12, s10
	s_min_u32 s12, s12, 32
	s_sub_i32 s13, s12, 29
	s_lshl_b32 s13, s5, s13
	s_lshl_b32 s4, s5, 24
	s_bfe_u32 s11, s5, 0x50002
	s_sub_i32 s12, 30, s12
	s_and_b32 s13, s13, 3
	s_cmp_eq_u32 s11, 0
	s_cselect_b32 s11, s12, s11
	s_cselect_b32 s10, s13, s10
	s_lshl_b32 s11, s11, 23
	s_and_b32 s4, s4, 0x80000000
	s_add_i32 s11, s11, 0x37800000
	s_lshl_b32 s10, s10, 21
	s_or_b32 s4, s4, s11
	s_or_b32 s4, s4, s10
.LBB261_699:
	s_movk_i32 s10, 0x7f
	s_waitcnt vmcnt(0)
	v_cmp_gt_i16_sdwa s[12:13], v8, s10 src0_sel:BYTE_0 src1_sel:DWORD
	s_mov_b64 s[10:11], 0
	s_and_saveexec_b64 s[14:15], s[12:13]
	s_xor_b64 s[12:13], exec, s[14:15]
	s_cbranch_execnz .LBB261_709
; %bb.700:
	s_or_saveexec_b64 s[12:13], s[12:13]
	v_mov_b32_e32 v10, 0x7f800001
	s_xor_b64 exec, exec, s[12:13]
	s_cbranch_execnz .LBB261_712
.LBB261_701:
	s_or_b64 exec, exec, s[12:13]
	s_and_saveexec_b64 s[12:13], s[10:11]
	s_cbranch_execz .LBB261_703
.LBB261_702:
	v_and_b32_e32 v14, 3, v8
	v_ffbh_u32_e32 v16, v14
	v_min_u32_e32 v16, 32, v16
	v_lshrrev_b16_e32 v12, 2, v8
	v_subrev_u32_e32 v18, 29, v16
	v_lshlrev_b32_e32 v10, 24, v8
	v_and_b32_e32 v12, 31, v12
	v_lshlrev_b32_e32 v8, v18, v8
	v_sub_u32_e32 v16, 30, v16
	v_and_b32_e32 v8, 3, v8
	v_cmp_eq_u32_e32 vcc, 0, v12
	v_cndmask_b32_e32 v12, v12, v16, vcc
	v_cndmask_b32_e32 v8, v14, v8, vcc
	v_mov_b32_e32 v14, 0x37800000
	v_lshlrev_b32_e32 v8, 21, v8
	v_and_b32_e32 v10, 0x80000000, v10
	v_lshl_add_u32 v12, v12, 23, v14
	v_or3_b32 v10, v10, v12, v8
.LBB261_703:
	s_or_b64 exec, exec, s[12:13]
	v_cmp_eq_f32_e64 s[10:11], s4, v10
	global_load_ubyte v8, v19, s[2:3]
	s_and_b64 vcc, exec, s[8:9]
	s_cbranch_vccnz .LBB261_562
.LBB261_704:
                                        ; implicit-def: $sgpr12_sgpr13
	s_cbranch_execz .LBB261_583
; %bb.705:
	s_and_b32 s16, s5, 0xff
	s_cmpk_lt_i32 s16, 0x80
	s_cbranch_scc1 .LBB261_713
; %bb.706:
	s_and_b32 s4, 0xffff, s16
	s_cmpk_eq_i32 s4, 0x80
	s_mov_b64 s[12:13], -1
	s_cbranch_scc0 .LBB261_708
; %bb.707:
	s_mov_b64 s[12:13], 0
.LBB261_708:
	s_mov_b32 s4, 0x7f800001
	s_branch .LBB261_715
.LBB261_709:
	s_movk_i32 s10, 0x80
	v_cmp_eq_u16_sdwa s[16:17], v8, s10 src0_sel:BYTE_0 src1_sel:DWORD
	s_mov_b64 s[10:11], -1
	s_and_saveexec_b64 s[14:15], s[16:17]
; %bb.710:
	s_xor_b64 s[10:11], exec, -1
; %bb.711:
	s_or_b64 exec, exec, s[14:15]
	s_and_b64 s[10:11], s[10:11], exec
	s_or_saveexec_b64 s[12:13], s[12:13]
	v_mov_b32_e32 v10, 0x7f800001
	s_xor_b64 exec, exec, s[12:13]
	s_cbranch_execz .LBB261_701
.LBB261_712:
	v_mov_b32_e32 v10, 0
	v_cmp_ne_u16_sdwa s[14:15], v8, v10 src0_sel:BYTE_0 src1_sel:DWORD
	s_andn2_b64 s[10:11], s[10:11], exec
	s_and_b64 s[14:15], s[14:15], exec
	s_or_b64 s[10:11], s[10:11], s[14:15]
	s_or_b64 exec, exec, s[12:13]
	s_and_saveexec_b64 s[12:13], s[10:11]
	s_cbranch_execnz .LBB261_702
	s_branch .LBB261_703
.LBB261_713:
	s_mov_b64 s[12:13], 0
	s_mov_b32 s4, 0x7f800001
	s_cbranch_execz .LBB261_715
; %bb.714:
	s_and_b32 s12, 0xffff, s16
	s_cmp_lg_u32 s12, 0
	s_mov_b32 s4, 0
	s_cselect_b64 s[12:13], -1, 0
.LBB261_715:
	s_andn2_b64 vcc, exec, s[12:13]
	s_cbranch_vccnz .LBB261_717
; %bb.716:
	s_and_b32 s12, s5, 3
	s_flbit_i32_b32 s14, s12
	s_min_u32 s14, s14, 32
	s_sub_i32 s15, s14, 29
	s_lshl_b32 s15, s5, s15
	s_lshl_b32 s4, s5, 24
	s_bfe_u32 s13, s5, 0x50002
	s_sub_i32 s14, 30, s14
	s_and_b32 s15, s15, 3
	s_cmp_eq_u32 s13, 0
	s_cselect_b32 s13, s14, s13
	s_cselect_b32 s12, s15, s12
	s_lshl_b32 s13, s13, 23
	s_and_b32 s4, s4, 0x80000000
	s_add_i32 s13, s13, 0x37800000
	s_lshl_b32 s12, s12, 21
	s_or_b32 s4, s4, s13
	s_or_b32 s4, s4, s12
.LBB261_717:
	s_movk_i32 s12, 0x7f
	s_waitcnt vmcnt(0)
	v_cmp_gt_i16_sdwa s[14:15], v8, s12 src0_sel:BYTE_0 src1_sel:DWORD
	s_mov_b64 s[12:13], 0
	s_and_saveexec_b64 s[16:17], s[14:15]
	s_xor_b64 s[14:15], exec, s[16:17]
	s_cbranch_execnz .LBB261_727
; %bb.718:
	s_or_saveexec_b64 s[14:15], s[14:15]
	v_mov_b32_e32 v10, 0x7f800001
	s_xor_b64 exec, exec, s[14:15]
	s_cbranch_execnz .LBB261_730
.LBB261_719:
	s_or_b64 exec, exec, s[14:15]
	s_and_saveexec_b64 s[14:15], s[12:13]
	s_cbranch_execz .LBB261_721
.LBB261_720:
	v_and_b32_e32 v14, 3, v8
	v_ffbh_u32_e32 v16, v14
	v_min_u32_e32 v16, 32, v16
	v_lshrrev_b16_e32 v12, 2, v8
	v_subrev_u32_e32 v18, 29, v16
	v_lshlrev_b32_e32 v10, 24, v8
	v_and_b32_e32 v12, 31, v12
	v_lshlrev_b32_e32 v8, v18, v8
	v_sub_u32_e32 v16, 30, v16
	v_and_b32_e32 v8, 3, v8
	v_cmp_eq_u32_e32 vcc, 0, v12
	v_cndmask_b32_e32 v12, v12, v16, vcc
	v_cndmask_b32_e32 v8, v14, v8, vcc
	v_mov_b32_e32 v14, 0x37800000
	v_lshlrev_b32_e32 v8, 21, v8
	v_and_b32_e32 v10, 0x80000000, v10
	v_lshl_add_u32 v12, v12, 23, v14
	v_or3_b32 v10, v10, v12, v8
.LBB261_721:
	s_or_b64 exec, exec, s[14:15]
	v_cmp_eq_f32_e64 s[12:13], s4, v10
	global_load_ubyte v8, v17, s[2:3]
	s_and_b64 vcc, exec, s[8:9]
	s_cbranch_vccnz .LBB261_584
.LBB261_722:
                                        ; implicit-def: $sgpr14_sgpr15
	s_cbranch_execz .LBB261_601
; %bb.723:
	s_and_b32 s18, s5, 0xff
	s_cmpk_lt_i32 s18, 0x80
	s_cbranch_scc1 .LBB261_731
; %bb.724:
	s_and_b32 s4, 0xffff, s18
	s_cmpk_eq_i32 s4, 0x80
	s_mov_b64 s[14:15], -1
	s_cbranch_scc0 .LBB261_726
; %bb.725:
	s_mov_b64 s[14:15], 0
.LBB261_726:
	s_mov_b32 s4, 0x7f800001
	s_branch .LBB261_733
.LBB261_727:
	s_movk_i32 s12, 0x80
	v_cmp_eq_u16_sdwa s[18:19], v8, s12 src0_sel:BYTE_0 src1_sel:DWORD
	s_mov_b64 s[12:13], -1
	s_and_saveexec_b64 s[16:17], s[18:19]
; %bb.728:
	s_xor_b64 s[12:13], exec, -1
; %bb.729:
	s_or_b64 exec, exec, s[16:17]
	s_and_b64 s[12:13], s[12:13], exec
	s_or_saveexec_b64 s[14:15], s[14:15]
	v_mov_b32_e32 v10, 0x7f800001
	s_xor_b64 exec, exec, s[14:15]
	s_cbranch_execz .LBB261_719
.LBB261_730:
	v_mov_b32_e32 v10, 0
	v_cmp_ne_u16_sdwa s[16:17], v8, v10 src0_sel:BYTE_0 src1_sel:DWORD
	s_andn2_b64 s[12:13], s[12:13], exec
	s_and_b64 s[16:17], s[16:17], exec
	s_or_b64 s[12:13], s[12:13], s[16:17]
	s_or_b64 exec, exec, s[14:15]
	s_and_saveexec_b64 s[14:15], s[12:13]
	s_cbranch_execnz .LBB261_720
	s_branch .LBB261_721
.LBB261_731:
	s_mov_b64 s[14:15], 0
	s_mov_b32 s4, 0x7f800001
	s_cbranch_execz .LBB261_733
; %bb.732:
	s_and_b32 s14, 0xffff, s18
	s_cmp_lg_u32 s14, 0
	s_mov_b32 s4, 0
	s_cselect_b64 s[14:15], -1, 0
.LBB261_733:
	s_andn2_b64 vcc, exec, s[14:15]
	s_cbranch_vccnz .LBB261_735
; %bb.734:
	s_and_b32 s14, s5, 3
	s_flbit_i32_b32 s16, s14
	s_min_u32 s16, s16, 32
	s_sub_i32 s17, s16, 29
	s_lshl_b32 s17, s5, s17
	s_lshl_b32 s4, s5, 24
	s_bfe_u32 s15, s5, 0x50002
	s_sub_i32 s16, 30, s16
	s_and_b32 s17, s17, 3
	s_cmp_eq_u32 s15, 0
	s_cselect_b32 s15, s16, s15
	s_cselect_b32 s14, s17, s14
	s_lshl_b32 s15, s15, 23
	s_and_b32 s4, s4, 0x80000000
	s_add_i32 s15, s15, 0x37800000
	s_lshl_b32 s14, s14, 21
	s_or_b32 s4, s4, s15
	s_or_b32 s4, s4, s14
.LBB261_735:
	s_movk_i32 s14, 0x7f
	s_waitcnt vmcnt(0)
	v_cmp_gt_i16_sdwa s[16:17], v8, s14 src0_sel:BYTE_0 src1_sel:DWORD
	s_mov_b64 s[14:15], 0
	s_and_saveexec_b64 s[18:19], s[16:17]
	s_xor_b64 s[16:17], exec, s[18:19]
	s_cbranch_execnz .LBB261_745
; %bb.736:
	s_or_saveexec_b64 s[16:17], s[16:17]
	v_mov_b32_e32 v10, 0x7f800001
	s_xor_b64 exec, exec, s[16:17]
	s_cbranch_execnz .LBB261_748
.LBB261_737:
	s_or_b64 exec, exec, s[16:17]
	s_and_saveexec_b64 s[16:17], s[14:15]
	s_cbranch_execz .LBB261_739
.LBB261_738:
	v_and_b32_e32 v14, 3, v8
	v_ffbh_u32_e32 v16, v14
	v_min_u32_e32 v16, 32, v16
	v_lshrrev_b16_e32 v12, 2, v8
	v_subrev_u32_e32 v17, 29, v16
	v_lshlrev_b32_e32 v10, 24, v8
	v_and_b32_e32 v12, 31, v12
	v_lshlrev_b32_e32 v8, v17, v8
	v_sub_u32_e32 v16, 30, v16
	v_and_b32_e32 v8, 3, v8
	v_cmp_eq_u32_e32 vcc, 0, v12
	v_cndmask_b32_e32 v12, v12, v16, vcc
	v_cndmask_b32_e32 v8, v14, v8, vcc
	v_mov_b32_e32 v14, 0x37800000
	v_lshlrev_b32_e32 v8, 21, v8
	v_and_b32_e32 v10, 0x80000000, v10
	v_lshl_add_u32 v12, v12, 23, v14
	v_or3_b32 v10, v10, v12, v8
.LBB261_739:
	s_or_b64 exec, exec, s[16:17]
	v_cmp_eq_f32_e64 s[14:15], s4, v10
	global_load_ubyte v8, v15, s[2:3]
	s_and_b64 vcc, exec, s[8:9]
	s_cbranch_vccnz .LBB261_602
.LBB261_740:
                                        ; implicit-def: $sgpr16_sgpr17
	s_cbranch_execz .LBB261_619
; %bb.741:
	s_and_b32 s20, s5, 0xff
	s_cmpk_lt_i32 s20, 0x80
	s_cbranch_scc1 .LBB261_749
; %bb.742:
	s_and_b32 s4, 0xffff, s20
	s_cmpk_eq_i32 s4, 0x80
	s_mov_b64 s[16:17], -1
	s_cbranch_scc0 .LBB261_744
; %bb.743:
	s_mov_b64 s[16:17], 0
.LBB261_744:
	s_mov_b32 s4, 0x7f800001
	s_branch .LBB261_751
.LBB261_745:
	s_movk_i32 s14, 0x80
	v_cmp_eq_u16_sdwa s[20:21], v8, s14 src0_sel:BYTE_0 src1_sel:DWORD
	s_mov_b64 s[14:15], -1
	s_and_saveexec_b64 s[18:19], s[20:21]
; %bb.746:
	s_xor_b64 s[14:15], exec, -1
; %bb.747:
	s_or_b64 exec, exec, s[18:19]
	s_and_b64 s[14:15], s[14:15], exec
	s_or_saveexec_b64 s[16:17], s[16:17]
	v_mov_b32_e32 v10, 0x7f800001
	s_xor_b64 exec, exec, s[16:17]
	s_cbranch_execz .LBB261_737
.LBB261_748:
	v_mov_b32_e32 v10, 0
	v_cmp_ne_u16_sdwa s[18:19], v8, v10 src0_sel:BYTE_0 src1_sel:DWORD
	s_andn2_b64 s[14:15], s[14:15], exec
	s_and_b64 s[18:19], s[18:19], exec
	s_or_b64 s[14:15], s[14:15], s[18:19]
	s_or_b64 exec, exec, s[16:17]
	s_and_saveexec_b64 s[16:17], s[14:15]
	s_cbranch_execnz .LBB261_738
	s_branch .LBB261_739
.LBB261_749:
	s_mov_b64 s[16:17], 0
	s_mov_b32 s4, 0x7f800001
	s_cbranch_execz .LBB261_751
; %bb.750:
	s_and_b32 s16, 0xffff, s20
	s_cmp_lg_u32 s16, 0
	s_mov_b32 s4, 0
	s_cselect_b64 s[16:17], -1, 0
.LBB261_751:
	s_andn2_b64 vcc, exec, s[16:17]
	s_cbranch_vccnz .LBB261_753
; %bb.752:
	s_and_b32 s16, s5, 3
	s_flbit_i32_b32 s18, s16
	s_min_u32 s18, s18, 32
	s_sub_i32 s19, s18, 29
	s_lshl_b32 s19, s5, s19
	s_lshl_b32 s4, s5, 24
	s_bfe_u32 s17, s5, 0x50002
	s_sub_i32 s18, 30, s18
	s_and_b32 s19, s19, 3
	s_cmp_eq_u32 s17, 0
	s_cselect_b32 s17, s18, s17
	s_cselect_b32 s16, s19, s16
	s_lshl_b32 s17, s17, 23
	s_and_b32 s4, s4, 0x80000000
	s_add_i32 s17, s17, 0x37800000
	s_lshl_b32 s16, s16, 21
	s_or_b32 s4, s4, s17
	s_or_b32 s4, s4, s16
.LBB261_753:
	s_movk_i32 s16, 0x7f
	s_waitcnt vmcnt(0)
	v_cmp_gt_i16_sdwa s[18:19], v8, s16 src0_sel:BYTE_0 src1_sel:DWORD
	s_mov_b64 s[16:17], 0
	s_and_saveexec_b64 s[20:21], s[18:19]
	s_xor_b64 s[18:19], exec, s[20:21]
	s_cbranch_execnz .LBB261_763
; %bb.754:
	s_or_saveexec_b64 s[18:19], s[18:19]
	v_mov_b32_e32 v10, 0x7f800001
	s_xor_b64 exec, exec, s[18:19]
	s_cbranch_execnz .LBB261_766
.LBB261_755:
	s_or_b64 exec, exec, s[18:19]
	s_and_saveexec_b64 s[18:19], s[16:17]
	s_cbranch_execz .LBB261_757
.LBB261_756:
	v_and_b32_e32 v14, 3, v8
	v_ffbh_u32_e32 v15, v14
	v_min_u32_e32 v15, 32, v15
	v_lshrrev_b16_e32 v12, 2, v8
	v_subrev_u32_e32 v16, 29, v15
	v_lshlrev_b32_e32 v10, 24, v8
	v_and_b32_e32 v12, 31, v12
	v_lshlrev_b32_e32 v8, v16, v8
	v_sub_u32_e32 v15, 30, v15
	v_and_b32_e32 v8, 3, v8
	v_cmp_eq_u32_e32 vcc, 0, v12
	v_cndmask_b32_e32 v12, v12, v15, vcc
	v_cndmask_b32_e32 v8, v14, v8, vcc
	v_mov_b32_e32 v14, 0x37800000
	v_lshlrev_b32_e32 v8, 21, v8
	v_and_b32_e32 v10, 0x80000000, v10
	v_lshl_add_u32 v12, v12, 23, v14
	v_or3_b32 v10, v10, v12, v8
.LBB261_757:
	s_or_b64 exec, exec, s[18:19]
	v_cmp_eq_f32_e64 s[16:17], s4, v10
	global_load_ubyte v8, v13, s[2:3]
	s_and_b64 vcc, exec, s[8:9]
	s_cbranch_vccnz .LBB261_620
.LBB261_758:
                                        ; implicit-def: $sgpr18_sgpr19
	s_cbranch_execz .LBB261_637
; %bb.759:
	s_and_b32 s22, s5, 0xff
	s_cmpk_lt_i32 s22, 0x80
	s_cbranch_scc1 .LBB261_767
; %bb.760:
	s_and_b32 s4, 0xffff, s22
	s_cmpk_eq_i32 s4, 0x80
	s_mov_b64 s[18:19], -1
	s_cbranch_scc0 .LBB261_762
; %bb.761:
	s_mov_b64 s[18:19], 0
.LBB261_762:
	s_mov_b32 s4, 0x7f800001
	s_branch .LBB261_769
.LBB261_763:
	s_movk_i32 s16, 0x80
	v_cmp_eq_u16_sdwa s[22:23], v8, s16 src0_sel:BYTE_0 src1_sel:DWORD
	s_mov_b64 s[16:17], -1
	s_and_saveexec_b64 s[20:21], s[22:23]
; %bb.764:
	s_xor_b64 s[16:17], exec, -1
; %bb.765:
	s_or_b64 exec, exec, s[20:21]
	s_and_b64 s[16:17], s[16:17], exec
	s_or_saveexec_b64 s[18:19], s[18:19]
	v_mov_b32_e32 v10, 0x7f800001
	s_xor_b64 exec, exec, s[18:19]
	s_cbranch_execz .LBB261_755
.LBB261_766:
	v_mov_b32_e32 v10, 0
	v_cmp_ne_u16_sdwa s[20:21], v8, v10 src0_sel:BYTE_0 src1_sel:DWORD
	s_andn2_b64 s[16:17], s[16:17], exec
	s_and_b64 s[20:21], s[20:21], exec
	s_or_b64 s[16:17], s[16:17], s[20:21]
	s_or_b64 exec, exec, s[18:19]
	s_and_saveexec_b64 s[18:19], s[16:17]
	s_cbranch_execnz .LBB261_756
	s_branch .LBB261_757
.LBB261_767:
	s_mov_b64 s[18:19], 0
	s_mov_b32 s4, 0x7f800001
	s_cbranch_execz .LBB261_769
; %bb.768:
	s_and_b32 s18, 0xffff, s22
	s_cmp_lg_u32 s18, 0
	s_mov_b32 s4, 0
	s_cselect_b64 s[18:19], -1, 0
.LBB261_769:
	s_andn2_b64 vcc, exec, s[18:19]
	s_cbranch_vccnz .LBB261_771
; %bb.770:
	s_and_b32 s18, s5, 3
	s_flbit_i32_b32 s20, s18
	s_min_u32 s20, s20, 32
	s_sub_i32 s21, s20, 29
	s_lshl_b32 s21, s5, s21
	s_lshl_b32 s4, s5, 24
	s_bfe_u32 s19, s5, 0x50002
	s_sub_i32 s20, 30, s20
	s_and_b32 s21, s21, 3
	s_cmp_eq_u32 s19, 0
	s_cselect_b32 s19, s20, s19
	s_cselect_b32 s18, s21, s18
	s_lshl_b32 s19, s19, 23
	s_and_b32 s4, s4, 0x80000000
	s_add_i32 s19, s19, 0x37800000
	s_lshl_b32 s18, s18, 21
	s_or_b32 s4, s4, s19
	s_or_b32 s4, s4, s18
.LBB261_771:
	s_movk_i32 s18, 0x7f
	s_waitcnt vmcnt(0)
	v_cmp_gt_i16_sdwa s[20:21], v8, s18 src0_sel:BYTE_0 src1_sel:DWORD
	s_mov_b64 s[18:19], 0
	s_and_saveexec_b64 s[22:23], s[20:21]
	s_xor_b64 s[20:21], exec, s[22:23]
	s_cbranch_execnz .LBB261_781
; %bb.772:
	s_or_saveexec_b64 s[20:21], s[20:21]
	v_mov_b32_e32 v10, 0x7f800001
	s_xor_b64 exec, exec, s[20:21]
	s_cbranch_execnz .LBB261_784
.LBB261_773:
	s_or_b64 exec, exec, s[20:21]
	s_and_saveexec_b64 s[20:21], s[18:19]
	s_cbranch_execz .LBB261_775
.LBB261_774:
	v_and_b32_e32 v13, 3, v8
	v_ffbh_u32_e32 v14, v13
	v_min_u32_e32 v14, 32, v14
	v_lshrrev_b16_e32 v12, 2, v8
	v_subrev_u32_e32 v15, 29, v14
	v_lshlrev_b32_e32 v10, 24, v8
	v_and_b32_e32 v12, 31, v12
	v_lshlrev_b32_e32 v8, v15, v8
	v_sub_u32_e32 v14, 30, v14
	v_and_b32_e32 v8, 3, v8
	v_cmp_eq_u32_e32 vcc, 0, v12
	v_cndmask_b32_e32 v12, v12, v14, vcc
	v_cndmask_b32_e32 v8, v13, v8, vcc
	v_mov_b32_e32 v13, 0x37800000
	v_lshlrev_b32_e32 v8, 21, v8
	v_and_b32_e32 v10, 0x80000000, v10
	v_lshl_add_u32 v12, v12, 23, v13
	v_or3_b32 v10, v10, v12, v8
.LBB261_775:
	s_or_b64 exec, exec, s[20:21]
	v_cmp_eq_f32_e64 s[18:19], s4, v10
	global_load_ubyte v8, v11, s[2:3]
	s_and_b64 vcc, exec, s[8:9]
	s_cbranch_vccnz .LBB261_638
.LBB261_776:
                                        ; implicit-def: $sgpr20_sgpr21
	s_cbranch_execz .LBB261_655
; %bb.777:
	s_and_b32 s24, s5, 0xff
	s_cmpk_lt_i32 s24, 0x80
	s_cbranch_scc1 .LBB261_785
; %bb.778:
	s_and_b32 s4, 0xffff, s24
	s_cmpk_eq_i32 s4, 0x80
	s_mov_b64 s[20:21], -1
	s_cbranch_scc0 .LBB261_780
; %bb.779:
	s_mov_b64 s[20:21], 0
.LBB261_780:
	s_mov_b32 s4, 0x7f800001
	s_branch .LBB261_787
.LBB261_781:
	s_movk_i32 s18, 0x80
	v_cmp_eq_u16_sdwa s[24:25], v8, s18 src0_sel:BYTE_0 src1_sel:DWORD
	s_mov_b64 s[18:19], -1
	s_and_saveexec_b64 s[22:23], s[24:25]
; %bb.782:
	s_xor_b64 s[18:19], exec, -1
; %bb.783:
	s_or_b64 exec, exec, s[22:23]
	s_and_b64 s[18:19], s[18:19], exec
	s_or_saveexec_b64 s[20:21], s[20:21]
	v_mov_b32_e32 v10, 0x7f800001
	s_xor_b64 exec, exec, s[20:21]
	s_cbranch_execz .LBB261_773
.LBB261_784:
	v_mov_b32_e32 v10, 0
	v_cmp_ne_u16_sdwa s[22:23], v8, v10 src0_sel:BYTE_0 src1_sel:DWORD
	s_andn2_b64 s[18:19], s[18:19], exec
	s_and_b64 s[22:23], s[22:23], exec
	s_or_b64 s[18:19], s[18:19], s[22:23]
	s_or_b64 exec, exec, s[20:21]
	s_and_saveexec_b64 s[20:21], s[18:19]
	s_cbranch_execnz .LBB261_774
	s_branch .LBB261_775
.LBB261_785:
	s_mov_b64 s[20:21], 0
	s_mov_b32 s4, 0x7f800001
	s_cbranch_execz .LBB261_787
; %bb.786:
	s_and_b32 s20, 0xffff, s24
	s_cmp_lg_u32 s20, 0
	s_mov_b32 s4, 0
	s_cselect_b64 s[20:21], -1, 0
.LBB261_787:
	s_andn2_b64 vcc, exec, s[20:21]
	s_cbranch_vccnz .LBB261_789
; %bb.788:
	s_and_b32 s20, s5, 3
	s_flbit_i32_b32 s22, s20
	s_min_u32 s22, s22, 32
	s_sub_i32 s23, s22, 29
	s_lshl_b32 s23, s5, s23
	s_lshl_b32 s4, s5, 24
	s_bfe_u32 s21, s5, 0x50002
	s_sub_i32 s22, 30, s22
	s_and_b32 s23, s23, 3
	s_cmp_eq_u32 s21, 0
	s_cselect_b32 s21, s22, s21
	s_cselect_b32 s20, s23, s20
	s_lshl_b32 s21, s21, 23
	s_and_b32 s4, s4, 0x80000000
	s_add_i32 s21, s21, 0x37800000
	s_lshl_b32 s20, s20, 21
	s_or_b32 s4, s4, s21
	s_or_b32 s4, s4, s20
.LBB261_789:
	s_movk_i32 s20, 0x7f
	s_waitcnt vmcnt(0)
	v_cmp_gt_i16_sdwa s[22:23], v8, s20 src0_sel:BYTE_0 src1_sel:DWORD
	s_mov_b64 s[20:21], 0
	s_and_saveexec_b64 s[24:25], s[22:23]
	s_xor_b64 s[22:23], exec, s[24:25]
	s_cbranch_execnz .LBB261_799
; %bb.790:
	s_or_saveexec_b64 s[22:23], s[22:23]
	v_mov_b32_e32 v10, 0x7f800001
	s_xor_b64 exec, exec, s[22:23]
	s_cbranch_execnz .LBB261_802
.LBB261_791:
	s_or_b64 exec, exec, s[22:23]
	s_and_saveexec_b64 s[22:23], s[20:21]
	s_cbranch_execz .LBB261_793
.LBB261_792:
	v_and_b32_e32 v12, 3, v8
	v_ffbh_u32_e32 v13, v12
	v_min_u32_e32 v13, 32, v13
	v_lshrrev_b16_e32 v11, 2, v8
	v_subrev_u32_e32 v14, 29, v13
	v_lshlrev_b32_e32 v10, 24, v8
	v_and_b32_e32 v11, 31, v11
	v_lshlrev_b32_e32 v8, v14, v8
	v_sub_u32_e32 v13, 30, v13
	v_and_b32_e32 v8, 3, v8
	v_cmp_eq_u32_e32 vcc, 0, v11
	v_cndmask_b32_e32 v11, v11, v13, vcc
	v_cndmask_b32_e32 v8, v12, v8, vcc
	v_mov_b32_e32 v12, 0x37800000
	v_lshlrev_b32_e32 v8, 21, v8
	v_and_b32_e32 v10, 0x80000000, v10
	v_lshl_add_u32 v11, v11, 23, v12
	v_or3_b32 v10, v10, v11, v8
.LBB261_793:
	s_or_b64 exec, exec, s[22:23]
	v_cmp_eq_f32_e64 s[20:21], s4, v10
	global_load_ubyte v8, v9, s[2:3]
	s_and_b64 vcc, exec, s[8:9]
	s_cbranch_vccnz .LBB261_656
.LBB261_794:
                                        ; implicit-def: $sgpr2_sgpr3
	s_cbranch_execz .LBB261_812
; %bb.795:
	s_and_b32 s4, s5, 0xff
	s_cmpk_lt_i32 s4, 0x80
	s_cbranch_scc1 .LBB261_803
; %bb.796:
	s_and_b32 s2, 0xffff, s4
	s_cmpk_eq_i32 s2, 0x80
	s_mov_b64 s[2:3], -1
	s_cbranch_scc0 .LBB261_798
; %bb.797:
	s_mov_b64 s[2:3], 0
.LBB261_798:
	s_mov_b32 s22, 0x7f800001
	s_branch .LBB261_805
.LBB261_799:
	s_movk_i32 s20, 0x80
	v_cmp_eq_u16_sdwa s[26:27], v8, s20 src0_sel:BYTE_0 src1_sel:DWORD
	s_mov_b64 s[20:21], -1
	s_and_saveexec_b64 s[24:25], s[26:27]
; %bb.800:
	s_xor_b64 s[20:21], exec, -1
; %bb.801:
	s_or_b64 exec, exec, s[24:25]
	s_and_b64 s[20:21], s[20:21], exec
	s_or_saveexec_b64 s[22:23], s[22:23]
	v_mov_b32_e32 v10, 0x7f800001
	s_xor_b64 exec, exec, s[22:23]
	s_cbranch_execz .LBB261_791
.LBB261_802:
	v_mov_b32_e32 v10, 0
	v_cmp_ne_u16_sdwa s[24:25], v8, v10 src0_sel:BYTE_0 src1_sel:DWORD
	s_andn2_b64 s[20:21], s[20:21], exec
	s_and_b64 s[24:25], s[24:25], exec
	s_or_b64 s[20:21], s[20:21], s[24:25]
	s_or_b64 exec, exec, s[22:23]
	s_and_saveexec_b64 s[22:23], s[20:21]
	s_cbranch_execnz .LBB261_792
	s_branch .LBB261_793
.LBB261_803:
	s_mov_b64 s[2:3], 0
	s_mov_b32 s22, 0x7f800001
	s_cbranch_execz .LBB261_805
; %bb.804:
	s_and_b32 s2, 0xffff, s4
	s_cmp_lg_u32 s2, 0
	s_mov_b32 s22, 0
	s_cselect_b64 s[2:3], -1, 0
.LBB261_805:
	s_andn2_b64 vcc, exec, s[2:3]
	s_cbranch_vccnz .LBB261_807
; %bb.806:
	s_and_b32 s3, s5, 3
	s_flbit_i32_b32 s8, s3
	s_min_u32 s8, s8, 32
	s_sub_i32 s9, s8, 29
	s_lshl_b32 s2, s5, 24
	s_bfe_u32 s4, s5, 0x50002
	s_lshl_b32 s5, s5, s9
	s_sub_i32 s8, 30, s8
	s_and_b32 s5, s5, 3
	s_cmp_eq_u32 s4, 0
	s_cselect_b32 s4, s8, s4
	s_cselect_b32 s3, s5, s3
	s_lshl_b32 s4, s4, 23
	s_and_b32 s2, s2, 0x80000000
	s_add_i32 s4, s4, 0x37800000
	s_lshl_b32 s3, s3, 21
	s_or_b32 s2, s2, s4
	s_or_b32 s22, s2, s3
.LBB261_807:
	s_movk_i32 s2, 0x7f
	s_waitcnt vmcnt(0)
	v_cmp_gt_i16_sdwa s[4:5], v8, s2 src0_sel:BYTE_0 src1_sel:DWORD
	s_mov_b64 s[2:3], 0
	s_and_saveexec_b64 s[8:9], s[4:5]
	s_xor_b64 s[4:5], exec, s[8:9]
	s_cbranch_execnz .LBB261_813
; %bb.808:
	s_or_saveexec_b64 s[4:5], s[4:5]
	v_mov_b32_e32 v9, 0x7f800001
	s_xor_b64 exec, exec, s[4:5]
	s_cbranch_execnz .LBB261_816
.LBB261_809:
	s_or_b64 exec, exec, s[4:5]
	s_and_saveexec_b64 s[4:5], s[2:3]
	s_cbranch_execz .LBB261_811
.LBB261_810:
	v_and_b32_e32 v11, 3, v8
	v_ffbh_u32_e32 v12, v11
	v_min_u32_e32 v12, 32, v12
	v_lshrrev_b16_e32 v10, 2, v8
	v_subrev_u32_e32 v13, 29, v12
	v_lshlrev_b32_e32 v9, 24, v8
	v_and_b32_e32 v10, 31, v10
	v_lshlrev_b32_e32 v8, v13, v8
	v_sub_u32_e32 v12, 30, v12
	v_and_b32_e32 v8, 3, v8
	v_cmp_eq_u32_e32 vcc, 0, v10
	v_cndmask_b32_e32 v10, v10, v12, vcc
	v_cndmask_b32_e32 v8, v11, v8, vcc
	v_mov_b32_e32 v11, 0x37800000
	v_lshlrev_b32_e32 v8, 21, v8
	v_and_b32_e32 v9, 0x80000000, v9
	v_lshl_add_u32 v10, v10, 23, v11
	v_or3_b32 v9, v9, v10, v8
.LBB261_811:
	s_or_b64 exec, exec, s[4:5]
	v_cmp_eq_f32_e64 s[2:3], s22, v9
.LBB261_812:
	v_cndmask_b32_e64 v14, 0, 1, s[6:7]
	s_waitcnt vmcnt(0)
	v_cndmask_b32_e64 v8, 0, 1, s[20:21]
	v_cndmask_b32_e64 v9, 0, 1, s[18:19]
	;; [unrolled: 1-line block ×7, first 2 shown]
	global_store_byte v0, v14, s[0:1]
	global_store_byte v1, v13, s[0:1]
	;; [unrolled: 1-line block ×8, first 2 shown]
	s_endpgm
.LBB261_813:
	s_movk_i32 s2, 0x80
	v_cmp_eq_u16_sdwa s[24:25], v8, s2 src0_sel:BYTE_0 src1_sel:DWORD
	s_mov_b64 s[2:3], -1
	s_and_saveexec_b64 s[8:9], s[24:25]
; %bb.814:
	s_xor_b64 s[2:3], exec, -1
; %bb.815:
	s_or_b64 exec, exec, s[8:9]
	s_and_b64 s[2:3], s[2:3], exec
	s_or_saveexec_b64 s[4:5], s[4:5]
	v_mov_b32_e32 v9, 0x7f800001
	s_xor_b64 exec, exec, s[4:5]
	s_cbranch_execz .LBB261_809
.LBB261_816:
	v_mov_b32_e32 v9, 0
	v_cmp_ne_u16_sdwa s[8:9], v8, v9 src0_sel:BYTE_0 src1_sel:DWORD
	s_andn2_b64 s[2:3], s[2:3], exec
	s_and_b64 s[8:9], s[8:9], exec
	s_or_b64 s[2:3], s[2:3], s[8:9]
	s_or_b64 exec, exec, s[4:5]
	s_and_saveexec_b64 s[4:5], s[2:3]
	s_cbranch_execnz .LBB261_810
	s_branch .LBB261_811
.LBB261_817:
	s_movk_i32 s0, 0x80
	v_cmp_eq_u16_sdwa s[8:9], v1, s0 src0_sel:BYTE_0 src1_sel:DWORD
	s_mov_b64 s[0:1], -1
	s_and_saveexec_b64 s[4:5], s[8:9]
; %bb.818:
	s_xor_b64 s[0:1], exec, -1
; %bb.819:
	s_or_b64 exec, exec, s[4:5]
	s_and_b64 s[0:1], s[0:1], exec
	s_or_saveexec_b64 s[2:3], s[2:3]
	v_mov_b32_e32 v2, 0x7f800001
	s_xor_b64 exec, exec, s[2:3]
	s_cbranch_execz .LBB261_409
.LBB261_820:
	v_mov_b32_e32 v2, 0
	v_cmp_ne_u16_sdwa s[4:5], v1, v2 src0_sel:BYTE_0 src1_sel:DWORD
	s_andn2_b64 s[0:1], s[0:1], exec
	s_and_b64 s[4:5], s[4:5], exec
	s_or_b64 s[0:1], s[0:1], s[4:5]
	s_or_b64 exec, exec, s[2:3]
	s_and_saveexec_b64 s[2:3], s[0:1]
	s_cbranch_execnz .LBB261_410
	s_branch .LBB261_411
	.section	.rodata,"a",@progbits
	.p2align	6, 0x0
	.amdhsa_kernel _ZN2at6native32elementwise_kernel_manual_unrollILi128ELi8EZNS0_22gpu_kernel_impl_nocastINS0_13AUnaryFunctorIN3c1015Float8_e5m2fnuzES5_bNS0_12_GLOBAL__N_116CompareEqFunctorIS5_EEEEEEvRNS_18TensorIteratorBaseERKT_EUlibE_EEviT1_
		.amdhsa_group_segment_fixed_size 0
		.amdhsa_private_segment_fixed_size 0
		.amdhsa_kernarg_size 360
		.amdhsa_user_sgpr_count 6
		.amdhsa_user_sgpr_private_segment_buffer 1
		.amdhsa_user_sgpr_dispatch_ptr 0
		.amdhsa_user_sgpr_queue_ptr 0
		.amdhsa_user_sgpr_kernarg_segment_ptr 1
		.amdhsa_user_sgpr_dispatch_id 0
		.amdhsa_user_sgpr_flat_scratch_init 0
		.amdhsa_user_sgpr_private_segment_size 0
		.amdhsa_uses_dynamic_stack 0
		.amdhsa_system_sgpr_private_segment_wavefront_offset 0
		.amdhsa_system_sgpr_workgroup_id_x 1
		.amdhsa_system_sgpr_workgroup_id_y 0
		.amdhsa_system_sgpr_workgroup_id_z 0
		.amdhsa_system_sgpr_workgroup_info 0
		.amdhsa_system_vgpr_workitem_id 0
		.amdhsa_next_free_vgpr 26
		.amdhsa_next_free_sgpr 64
		.amdhsa_reserve_vcc 1
		.amdhsa_reserve_flat_scratch 0
		.amdhsa_float_round_mode_32 0
		.amdhsa_float_round_mode_16_64 0
		.amdhsa_float_denorm_mode_32 3
		.amdhsa_float_denorm_mode_16_64 3
		.amdhsa_dx10_clamp 1
		.amdhsa_ieee_mode 1
		.amdhsa_fp16_overflow 0
		.amdhsa_exception_fp_ieee_invalid_op 0
		.amdhsa_exception_fp_denorm_src 0
		.amdhsa_exception_fp_ieee_div_zero 0
		.amdhsa_exception_fp_ieee_overflow 0
		.amdhsa_exception_fp_ieee_underflow 0
		.amdhsa_exception_fp_ieee_inexact 0
		.amdhsa_exception_int_div_zero 0
	.end_amdhsa_kernel
	.section	.text._ZN2at6native32elementwise_kernel_manual_unrollILi128ELi8EZNS0_22gpu_kernel_impl_nocastINS0_13AUnaryFunctorIN3c1015Float8_e5m2fnuzES5_bNS0_12_GLOBAL__N_116CompareEqFunctorIS5_EEEEEEvRNS_18TensorIteratorBaseERKT_EUlibE_EEviT1_,"axG",@progbits,_ZN2at6native32elementwise_kernel_manual_unrollILi128ELi8EZNS0_22gpu_kernel_impl_nocastINS0_13AUnaryFunctorIN3c1015Float8_e5m2fnuzES5_bNS0_12_GLOBAL__N_116CompareEqFunctorIS5_EEEEEEvRNS_18TensorIteratorBaseERKT_EUlibE_EEviT1_,comdat
.Lfunc_end261:
	.size	_ZN2at6native32elementwise_kernel_manual_unrollILi128ELi8EZNS0_22gpu_kernel_impl_nocastINS0_13AUnaryFunctorIN3c1015Float8_e5m2fnuzES5_bNS0_12_GLOBAL__N_116CompareEqFunctorIS5_EEEEEEvRNS_18TensorIteratorBaseERKT_EUlibE_EEviT1_, .Lfunc_end261-_ZN2at6native32elementwise_kernel_manual_unrollILi128ELi8EZNS0_22gpu_kernel_impl_nocastINS0_13AUnaryFunctorIN3c1015Float8_e5m2fnuzES5_bNS0_12_GLOBAL__N_116CompareEqFunctorIS5_EEEEEEvRNS_18TensorIteratorBaseERKT_EUlibE_EEviT1_
                                        ; -- End function
	.set _ZN2at6native32elementwise_kernel_manual_unrollILi128ELi8EZNS0_22gpu_kernel_impl_nocastINS0_13AUnaryFunctorIN3c1015Float8_e5m2fnuzES5_bNS0_12_GLOBAL__N_116CompareEqFunctorIS5_EEEEEEvRNS_18TensorIteratorBaseERKT_EUlibE_EEviT1_.num_vgpr, 26
	.set _ZN2at6native32elementwise_kernel_manual_unrollILi128ELi8EZNS0_22gpu_kernel_impl_nocastINS0_13AUnaryFunctorIN3c1015Float8_e5m2fnuzES5_bNS0_12_GLOBAL__N_116CompareEqFunctorIS5_EEEEEEvRNS_18TensorIteratorBaseERKT_EUlibE_EEviT1_.num_agpr, 0
	.set _ZN2at6native32elementwise_kernel_manual_unrollILi128ELi8EZNS0_22gpu_kernel_impl_nocastINS0_13AUnaryFunctorIN3c1015Float8_e5m2fnuzES5_bNS0_12_GLOBAL__N_116CompareEqFunctorIS5_EEEEEEvRNS_18TensorIteratorBaseERKT_EUlibE_EEviT1_.numbered_sgpr, 64
	.set _ZN2at6native32elementwise_kernel_manual_unrollILi128ELi8EZNS0_22gpu_kernel_impl_nocastINS0_13AUnaryFunctorIN3c1015Float8_e5m2fnuzES5_bNS0_12_GLOBAL__N_116CompareEqFunctorIS5_EEEEEEvRNS_18TensorIteratorBaseERKT_EUlibE_EEviT1_.num_named_barrier, 0
	.set _ZN2at6native32elementwise_kernel_manual_unrollILi128ELi8EZNS0_22gpu_kernel_impl_nocastINS0_13AUnaryFunctorIN3c1015Float8_e5m2fnuzES5_bNS0_12_GLOBAL__N_116CompareEqFunctorIS5_EEEEEEvRNS_18TensorIteratorBaseERKT_EUlibE_EEviT1_.private_seg_size, 0
	.set _ZN2at6native32elementwise_kernel_manual_unrollILi128ELi8EZNS0_22gpu_kernel_impl_nocastINS0_13AUnaryFunctorIN3c1015Float8_e5m2fnuzES5_bNS0_12_GLOBAL__N_116CompareEqFunctorIS5_EEEEEEvRNS_18TensorIteratorBaseERKT_EUlibE_EEviT1_.uses_vcc, 1
	.set _ZN2at6native32elementwise_kernel_manual_unrollILi128ELi8EZNS0_22gpu_kernel_impl_nocastINS0_13AUnaryFunctorIN3c1015Float8_e5m2fnuzES5_bNS0_12_GLOBAL__N_116CompareEqFunctorIS5_EEEEEEvRNS_18TensorIteratorBaseERKT_EUlibE_EEviT1_.uses_flat_scratch, 0
	.set _ZN2at6native32elementwise_kernel_manual_unrollILi128ELi8EZNS0_22gpu_kernel_impl_nocastINS0_13AUnaryFunctorIN3c1015Float8_e5m2fnuzES5_bNS0_12_GLOBAL__N_116CompareEqFunctorIS5_EEEEEEvRNS_18TensorIteratorBaseERKT_EUlibE_EEviT1_.has_dyn_sized_stack, 0
	.set _ZN2at6native32elementwise_kernel_manual_unrollILi128ELi8EZNS0_22gpu_kernel_impl_nocastINS0_13AUnaryFunctorIN3c1015Float8_e5m2fnuzES5_bNS0_12_GLOBAL__N_116CompareEqFunctorIS5_EEEEEEvRNS_18TensorIteratorBaseERKT_EUlibE_EEviT1_.has_recursion, 0
	.set _ZN2at6native32elementwise_kernel_manual_unrollILi128ELi8EZNS0_22gpu_kernel_impl_nocastINS0_13AUnaryFunctorIN3c1015Float8_e5m2fnuzES5_bNS0_12_GLOBAL__N_116CompareEqFunctorIS5_EEEEEEvRNS_18TensorIteratorBaseERKT_EUlibE_EEviT1_.has_indirect_call, 0
	.section	.AMDGPU.csdata,"",@progbits
; Kernel info:
; codeLenInByte = 24448
; TotalNumSgprs: 68
; NumVgprs: 26
; ScratchSize: 0
; MemoryBound: 0
; FloatMode: 240
; IeeeMode: 1
; LDSByteSize: 0 bytes/workgroup (compile time only)
; SGPRBlocks: 8
; VGPRBlocks: 6
; NumSGPRsForWavesPerEU: 68
; NumVGPRsForWavesPerEU: 26
; Occupancy: 9
; WaveLimiterHint : 1
; COMPUTE_PGM_RSRC2:SCRATCH_EN: 0
; COMPUTE_PGM_RSRC2:USER_SGPR: 6
; COMPUTE_PGM_RSRC2:TRAP_HANDLER: 0
; COMPUTE_PGM_RSRC2:TGID_X_EN: 1
; COMPUTE_PGM_RSRC2:TGID_Y_EN: 0
; COMPUTE_PGM_RSRC2:TGID_Z_EN: 0
; COMPUTE_PGM_RSRC2:TIDIG_COMP_CNT: 0
	.text
	.p2align	2                               ; -- Begin function _ZN2at6native6invokeINS0_13AUnaryFunctorIN3c1015Float8_e5m2fnuzES4_bNS0_12_GLOBAL__N_116CompareEqFunctorIS4_EEEEi15function_traitsIS8_EEENT1_11result_typeERKT_PrKPcPKT0_PKNS3_10ScalarTypeEi
	.type	_ZN2at6native6invokeINS0_13AUnaryFunctorIN3c1015Float8_e5m2fnuzES4_bNS0_12_GLOBAL__N_116CompareEqFunctorIS4_EEEEi15function_traitsIS8_EEENT1_11result_typeERKT_PrKPcPKT0_PKNS3_10ScalarTypeEi,@function
_ZN2at6native6invokeINS0_13AUnaryFunctorIN3c1015Float8_e5m2fnuzES4_bNS0_12_GLOBAL__N_116CompareEqFunctorIS4_EEEEi15function_traitsIS8_EEENT1_11result_typeERKT_PrKPcPKT0_PKNS3_10ScalarTypeEi: ; @_ZN2at6native6invokeINS0_13AUnaryFunctorIN3c1015Float8_e5m2fnuzES4_bNS0_12_GLOBAL__N_116CompareEqFunctorIS4_EEEEi15function_traitsIS8_EEENT1_11result_typeERKT_PrKPcPKT0_PKNS3_10ScalarTypeEi
; %bb.0:
	s_waitcnt vmcnt(0) expcnt(0) lgkmcnt(0)
	v_mul_lo_u32 v4, v6, v4
	s_mov_b64 s[6:7], 0
	v_ashrrev_i32_e32 v6, 31, v4
	v_add_co_u32_e32 v2, vcc, v2, v4
	v_mov_b32_e32 v4, 10
	v_addc_co_u32_e32 v3, vcc, v3, v6, vcc
	v_cmp_gt_i16_sdwa s[4:5], v5, v4 src0_sel:BYTE_0 src1_sel:DWORD
                                        ; implicit-def: $vgpr4
	s_and_saveexec_b64 s[8:9], s[4:5]
	s_xor_b64 s[4:5], exec, s[8:9]
	s_cbranch_execnz .LBB262_4
; %bb.1:
	s_andn2_saveexec_b64 s[4:5], s[4:5]
	s_cbranch_execnz .LBB262_16
.LBB262_2:
	s_or_b64 exec, exec, s[4:5]
                                        ; implicit-def: $sgpr8_sgpr9
	s_and_saveexec_b64 s[4:5], s[6:7]
	s_cbranch_execnz .LBB262_123
.LBB262_3:
	s_or_b64 exec, exec, s[4:5]
	v_cndmask_b32_e64 v0, 0, 1, s[8:9]
	s_waitcnt vmcnt(0) lgkmcnt(0)
	s_setpc_b64 s[30:31]
.LBB262_4:
	v_mov_b32_e32 v4, 25
	v_cmp_gt_i16_sdwa s[8:9], v5, v4 src0_sel:BYTE_0 src1_sel:DWORD
	s_mov_b64 s[12:13], 0
	s_mov_b64 s[10:11], 0
                                        ; implicit-def: $vgpr4
	s_and_saveexec_b64 s[14:15], s[8:9]
	s_xor_b64 s[8:9], exec, s[14:15]
	s_cbranch_execnz .LBB262_143
; %bb.5:
	s_andn2_saveexec_b64 s[8:9], s[8:9]
	s_cbranch_execnz .LBB262_210
.LBB262_6:
	s_or_b64 exec, exec, s[8:9]
	s_and_saveexec_b64 s[8:9], s[12:13]
	s_cbranch_execnz .LBB262_247
.LBB262_7:
	s_or_b64 exec, exec, s[8:9]
	s_and_saveexec_b64 s[8:9], s[6:7]
	s_xor_b64 s[6:7], exec, s[8:9]
	s_cbranch_execz .LBB262_15
.LBB262_8:
	flat_load_ubyte v2, v[2:3]
	s_mov_b32 s8, 0x47800000
	s_waitcnt vmcnt(0) lgkmcnt(0)
	v_mov_b32_e32 v4, 0x80
	v_cmp_ne_u16_e32 vcc, 0, v2
	v_cndmask_b32_e64 v3, 0, 1.0, vcc
	v_cmp_gt_u32_e32 vcc, s8, v3
	s_and_saveexec_b64 s[8:9], vcc
	s_cbranch_execz .LBB262_14
; %bb.9:
	s_mov_b32 s12, 0x37ffffff
	v_cmp_lt_u32_e32 vcc, s12, v3
	s_mov_b64 s[12:13], 0
                                        ; implicit-def: $vgpr2
	s_and_saveexec_b64 s[14:15], vcc
	s_xor_b64 s[14:15], exec, s[14:15]
	s_cbranch_execnz .LBB262_264
; %bb.10:
	s_andn2_saveexec_b64 s[14:15], s[14:15]
	s_cbranch_execnz .LBB262_265
.LBB262_11:
	s_or_b64 exec, exec, s[14:15]
	v_mov_b32_e32 v4, 0
	s_and_saveexec_b64 s[14:15], s[12:13]
.LBB262_12:
	v_mov_b32_e32 v4, v2
.LBB262_13:
	s_or_b64 exec, exec, s[14:15]
.LBB262_14:
	s_or_b64 exec, exec, s[8:9]
	s_or_b64 s[10:11], s[10:11], exec
.LBB262_15:
	s_or_b64 exec, exec, s[6:7]
	s_and_b64 s[6:7], s[10:11], exec
                                        ; implicit-def: $vgpr5
                                        ; implicit-def: $vgpr2_vgpr3
	s_andn2_saveexec_b64 s[4:5], s[4:5]
	s_cbranch_execz .LBB262_2
.LBB262_16:
	s_waitcnt vmcnt(0) lgkmcnt(0)
	v_mov_b32_e32 v4, 4
	v_cmp_gt_i16_sdwa s[8:9], v5, v4 src0_sel:BYTE_0 src1_sel:DWORD
                                        ; implicit-def: $vgpr4
	s_and_saveexec_b64 s[10:11], s[8:9]
	s_xor_b64 s[8:9], exec, s[10:11]
	s_cbranch_execz .LBB262_74
; %bb.17:
	v_mov_b32_e32 v4, 7
	v_cmp_gt_i16_sdwa s[10:11], v5, v4 src0_sel:BYTE_0 src1_sel:DWORD
                                        ; implicit-def: $vgpr4
	s_and_saveexec_b64 s[12:13], s[10:11]
	s_xor_b64 s[10:11], exec, s[12:13]
	s_cbranch_execz .LBB262_45
; %bb.18:
	;; [unrolled: 7-line block ×4, first 2 shown]
	flat_load_dwordx2 v[2:3], v[2:3]
	s_mov_b32 s16, 0x47800000
	v_mov_b32_e32 v4, 0x80
	s_waitcnt vmcnt(0) lgkmcnt(0)
	v_cvt_f32_f64_e32 v2, v[2:3]
	v_and_b32_e32 v3, 0x7fffffff, v2
	v_cmp_gt_u32_e32 vcc, s16, v3
	s_and_saveexec_b64 s[16:17], vcc
	s_cbranch_execz .LBB262_26
; %bb.21:
	s_mov_b32 s18, 0x37ffffff
	v_cmp_lt_u32_e32 vcc, s18, v3
	s_mov_b64 s[18:19], 0
                                        ; implicit-def: $vgpr3
	s_and_saveexec_b64 s[20:21], vcc
	s_xor_b64 s[20:21], exec, s[20:21]
	s_cbranch_execnz .LBB262_284
; %bb.22:
	s_andn2_saveexec_b64 s[20:21], s[20:21]
	s_cbranch_execnz .LBB262_285
.LBB262_23:
	s_or_b64 exec, exec, s[20:21]
	v_mov_b32_e32 v4, 0
	s_and_saveexec_b64 s[20:21], s[18:19]
.LBB262_24:
	v_lshrrev_b32_e32 v2, 24, v2
	s_movk_i32 s18, 0x80
	v_and_or_b32 v4, v2, s18, v3
.LBB262_25:
	s_or_b64 exec, exec, s[20:21]
.LBB262_26:
	s_or_b64 exec, exec, s[16:17]
                                        ; implicit-def: $vgpr2_vgpr3
.LBB262_27:
	s_andn2_saveexec_b64 s[14:15], s[14:15]
	s_cbranch_execz .LBB262_35
; %bb.28:
	flat_load_dword v2, v[2:3]
	s_mov_b32 s16, 0x47800000
	v_mov_b32_e32 v4, 0x80
	s_waitcnt vmcnt(0) lgkmcnt(0)
	v_and_b32_e32 v3, 0x7fffffff, v2
	v_cmp_gt_u32_e32 vcc, s16, v3
	s_and_saveexec_b64 s[16:17], vcc
	s_cbranch_execz .LBB262_34
; %bb.29:
	s_mov_b32 s18, 0x37ffffff
	v_cmp_lt_u32_e32 vcc, s18, v3
	s_mov_b64 s[18:19], 0
                                        ; implicit-def: $vgpr3
	s_and_saveexec_b64 s[20:21], vcc
	s_xor_b64 s[20:21], exec, s[20:21]
	s_cbranch_execnz .LBB262_286
; %bb.30:
	s_andn2_saveexec_b64 s[20:21], s[20:21]
	s_cbranch_execnz .LBB262_287
.LBB262_31:
	s_or_b64 exec, exec, s[20:21]
	v_mov_b32_e32 v4, 0
	s_and_saveexec_b64 s[20:21], s[18:19]
.LBB262_32:
	v_lshrrev_b32_e32 v2, 24, v2
	s_movk_i32 s18, 0x80
	v_and_or_b32 v4, v2, s18, v3
.LBB262_33:
	s_or_b64 exec, exec, s[20:21]
.LBB262_34:
	s_or_b64 exec, exec, s[16:17]
.LBB262_35:
	s_or_b64 exec, exec, s[14:15]
                                        ; implicit-def: $vgpr2_vgpr3
.LBB262_36:
	s_andn2_saveexec_b64 s[12:13], s[12:13]
	s_cbranch_execz .LBB262_44
; %bb.37:
	flat_load_dword v2, v[2:3]
	s_mov_b32 s14, 0x47800000
	v_mov_b32_e32 v4, 0x80
	s_waitcnt vmcnt(0) lgkmcnt(0)
	v_cvt_f32_f16_e32 v2, v2
	v_and_b32_e32 v3, 0x7fffffff, v2
	v_cmp_gt_u32_e32 vcc, s14, v3
	s_and_saveexec_b64 s[14:15], vcc
	s_cbranch_execz .LBB262_43
; %bb.38:
	s_mov_b32 s16, 0x37ffffff
	v_cmp_lt_u32_e32 vcc, s16, v3
	s_mov_b64 s[16:17], 0
                                        ; implicit-def: $vgpr3
	s_and_saveexec_b64 s[18:19], vcc
	s_xor_b64 s[18:19], exec, s[18:19]
	s_cbranch_execnz .LBB262_270
; %bb.39:
	s_andn2_saveexec_b64 s[18:19], s[18:19]
	s_cbranch_execnz .LBB262_271
.LBB262_40:
	s_or_b64 exec, exec, s[18:19]
	v_mov_b32_e32 v4, 0
	s_and_saveexec_b64 s[18:19], s[16:17]
.LBB262_41:
	v_lshrrev_b32_e32 v2, 24, v2
	s_movk_i32 s16, 0x80
	v_and_or_b32 v4, v2, s16, v3
.LBB262_42:
	s_or_b64 exec, exec, s[18:19]
.LBB262_43:
	s_or_b64 exec, exec, s[14:15]
.LBB262_44:
	s_or_b64 exec, exec, s[12:13]
                                        ; implicit-def: $vgpr5
                                        ; implicit-def: $vgpr2_vgpr3
.LBB262_45:
	s_andn2_saveexec_b64 s[10:11], s[10:11]
	s_cbranch_execz .LBB262_73
; %bb.46:
	v_mov_b32_e32 v4, 5
	v_cmp_gt_i16_sdwa s[12:13], v5, v4 src0_sel:BYTE_0 src1_sel:DWORD
                                        ; implicit-def: $vgpr4
	s_and_saveexec_b64 s[14:15], s[12:13]
	s_xor_b64 s[12:13], exec, s[14:15]
	s_cbranch_execz .LBB262_64
; %bb.47:
	v_mov_b32_e32 v4, 6
	v_cmp_gt_i16_sdwa s[14:15], v5, v4 src0_sel:BYTE_0 src1_sel:DWORD
                                        ; implicit-def: $vgpr4
	s_and_saveexec_b64 s[16:17], s[14:15]
	s_xor_b64 s[14:15], exec, s[16:17]
	s_cbranch_execz .LBB262_55
; %bb.48:
	flat_load_dwordx2 v[2:3], v[2:3]
	s_mov_b32 s16, 0x47800000
	v_mov_b32_e32 v4, 0x80
	s_waitcnt vmcnt(0) lgkmcnt(0)
	v_cvt_f32_f64_e32 v2, v[2:3]
	v_and_b32_e32 v3, 0x7fffffff, v2
	v_cmp_gt_u32_e32 vcc, s16, v3
	s_and_saveexec_b64 s[16:17], vcc
	s_cbranch_execz .LBB262_54
; %bb.49:
	s_mov_b32 s18, 0x37ffffff
	v_cmp_lt_u32_e32 vcc, s18, v3
	s_mov_b64 s[18:19], 0
                                        ; implicit-def: $vgpr3
	s_and_saveexec_b64 s[20:21], vcc
	s_xor_b64 s[20:21], exec, s[20:21]
	s_cbranch_execnz .LBB262_288
; %bb.50:
	s_andn2_saveexec_b64 s[20:21], s[20:21]
	s_cbranch_execnz .LBB262_289
.LBB262_51:
	s_or_b64 exec, exec, s[20:21]
	v_mov_b32_e32 v4, 0
	s_and_saveexec_b64 s[20:21], s[18:19]
.LBB262_52:
	v_lshrrev_b32_e32 v2, 24, v2
	s_movk_i32 s18, 0x80
	v_and_or_b32 v4, v2, s18, v3
.LBB262_53:
	s_or_b64 exec, exec, s[20:21]
.LBB262_54:
	s_or_b64 exec, exec, s[16:17]
                                        ; implicit-def: $vgpr2_vgpr3
.LBB262_55:
	s_andn2_saveexec_b64 s[14:15], s[14:15]
	s_cbranch_execz .LBB262_63
; %bb.56:
	flat_load_dword v2, v[2:3]
	s_mov_b32 s16, 0x47800000
	v_mov_b32_e32 v4, 0x80
	s_waitcnt vmcnt(0) lgkmcnt(0)
	v_and_b32_e32 v3, 0x7fffffff, v2
	v_cmp_gt_u32_e32 vcc, s16, v3
	s_and_saveexec_b64 s[16:17], vcc
	s_cbranch_execz .LBB262_62
; %bb.57:
	s_mov_b32 s18, 0x37ffffff
	v_cmp_lt_u32_e32 vcc, s18, v3
	s_mov_b64 s[18:19], 0
                                        ; implicit-def: $vgpr3
	s_and_saveexec_b64 s[20:21], vcc
	s_xor_b64 s[20:21], exec, s[20:21]
	s_cbranch_execnz .LBB262_290
; %bb.58:
	s_andn2_saveexec_b64 s[20:21], s[20:21]
	s_cbranch_execnz .LBB262_291
.LBB262_59:
	s_or_b64 exec, exec, s[20:21]
	v_mov_b32_e32 v4, 0
	s_and_saveexec_b64 s[20:21], s[18:19]
.LBB262_60:
	v_lshrrev_b32_e32 v2, 24, v2
	s_movk_i32 s18, 0x80
	v_and_or_b32 v4, v2, s18, v3
.LBB262_61:
	s_or_b64 exec, exec, s[20:21]
.LBB262_62:
	s_or_b64 exec, exec, s[16:17]
.LBB262_63:
	s_or_b64 exec, exec, s[14:15]
                                        ; implicit-def: $vgpr2_vgpr3
.LBB262_64:
	s_andn2_saveexec_b64 s[12:13], s[12:13]
	s_cbranch_execz .LBB262_72
; %bb.65:
	flat_load_ushort v2, v[2:3]
	s_mov_b32 s14, 0x47800000
	v_mov_b32_e32 v4, 0x80
	s_waitcnt vmcnt(0) lgkmcnt(0)
	v_cvt_f32_f16_e32 v2, v2
	v_and_b32_e32 v3, 0x7fffffff, v2
	v_cmp_gt_u32_e32 vcc, s14, v3
	s_and_saveexec_b64 s[14:15], vcc
	s_cbranch_execz .LBB262_71
; %bb.66:
	s_mov_b32 s16, 0x37ffffff
	v_cmp_lt_u32_e32 vcc, s16, v3
	s_mov_b64 s[16:17], 0
                                        ; implicit-def: $vgpr3
	s_and_saveexec_b64 s[18:19], vcc
	s_xor_b64 s[18:19], exec, s[18:19]
	s_cbranch_execnz .LBB262_272
; %bb.67:
	s_andn2_saveexec_b64 s[18:19], s[18:19]
	s_cbranch_execnz .LBB262_273
.LBB262_68:
	s_or_b64 exec, exec, s[18:19]
	v_mov_b32_e32 v4, 0
	s_and_saveexec_b64 s[18:19], s[16:17]
.LBB262_69:
	v_lshrrev_b32_e32 v2, 24, v2
	s_movk_i32 s16, 0x80
	v_and_or_b32 v4, v2, s16, v3
.LBB262_70:
	s_or_b64 exec, exec, s[18:19]
.LBB262_71:
	s_or_b64 exec, exec, s[14:15]
.LBB262_72:
	s_or_b64 exec, exec, s[12:13]
.LBB262_73:
	s_or_b64 exec, exec, s[10:11]
                                        ; implicit-def: $vgpr5
                                        ; implicit-def: $vgpr2_vgpr3
.LBB262_74:
	s_andn2_saveexec_b64 s[8:9], s[8:9]
	s_cbranch_execz .LBB262_122
; %bb.75:
	v_mov_b32_e32 v4, 1
	v_cmp_gt_i16_sdwa s[10:11], v5, v4 src0_sel:BYTE_0 src1_sel:DWORD
                                        ; implicit-def: $vgpr4
	s_and_saveexec_b64 s[12:13], s[10:11]
	s_xor_b64 s[10:11], exec, s[12:13]
	s_cbranch_execz .LBB262_103
; %bb.76:
	v_mov_b32_e32 v4, 2
	v_cmp_gt_i16_sdwa s[12:13], v5, v4 src0_sel:BYTE_0 src1_sel:DWORD
                                        ; implicit-def: $vgpr4
	s_and_saveexec_b64 s[14:15], s[12:13]
	s_xor_b64 s[12:13], exec, s[14:15]
	;; [unrolled: 7-line block ×3, first 2 shown]
	s_cbranch_execz .LBB262_85
; %bb.78:
	flat_load_dwordx2 v[2:3], v[2:3]
	s_mov_b32 s16, 0x47800000
	s_waitcnt vmcnt(0) lgkmcnt(0)
	v_xor_b32_e32 v5, v2, v3
	v_ffbh_i32_e32 v4, v3
	v_ashrrev_i32_e32 v5, 31, v5
	v_add_u32_e32 v4, -1, v4
	v_add_u32_e32 v5, 32, v5
	v_min_u32_e32 v4, v4, v5
	v_lshlrev_b64 v[2:3], v4, v[2:3]
	v_min_u32_e32 v2, 1, v2
	v_or_b32_e32 v2, v3, v2
	v_cvt_f32_i32_e32 v2, v2
	v_sub_u32_e32 v3, 32, v4
	v_mov_b32_e32 v4, 0x80
	v_ldexp_f32 v2, v2, v3
	v_and_b32_e32 v3, 0x7fffffff, v2
	v_cmp_gt_u32_e32 vcc, s16, v3
	s_and_saveexec_b64 s[16:17], vcc
	s_cbranch_execz .LBB262_84
; %bb.79:
	s_mov_b32 s18, 0x37ffffff
	v_cmp_lt_u32_e32 vcc, s18, v3
	s_mov_b64 s[18:19], 0
                                        ; implicit-def: $vgpr3
	s_and_saveexec_b64 s[20:21], vcc
	s_xor_b64 s[20:21], exec, s[20:21]
	s_cbranch_execnz .LBB262_292
; %bb.80:
	s_andn2_saveexec_b64 s[20:21], s[20:21]
	s_cbranch_execnz .LBB262_293
.LBB262_81:
	s_or_b64 exec, exec, s[20:21]
	v_mov_b32_e32 v4, 0
	s_and_saveexec_b64 s[20:21], s[18:19]
.LBB262_82:
	v_lshrrev_b32_e32 v2, 24, v2
	s_movk_i32 s18, 0x80
	v_and_or_b32 v4, v2, s18, v3
.LBB262_83:
	s_or_b64 exec, exec, s[20:21]
.LBB262_84:
	s_or_b64 exec, exec, s[16:17]
                                        ; implicit-def: $vgpr2_vgpr3
.LBB262_85:
	s_andn2_saveexec_b64 s[14:15], s[14:15]
	s_cbranch_execz .LBB262_93
; %bb.86:
	flat_load_dword v2, v[2:3]
	s_mov_b32 s16, 0x47800000
	v_mov_b32_e32 v4, 0x80
	s_waitcnt vmcnt(0) lgkmcnt(0)
	v_cvt_f32_i32_e32 v2, v2
	v_and_b32_e32 v3, 0x7fffffff, v2
	v_cmp_gt_u32_e32 vcc, s16, v3
	s_and_saveexec_b64 s[16:17], vcc
	s_cbranch_execz .LBB262_92
; %bb.87:
	s_mov_b32 s18, 0x37ffffff
	v_cmp_lt_u32_e32 vcc, s18, v3
	s_mov_b64 s[18:19], 0
                                        ; implicit-def: $vgpr3
	s_and_saveexec_b64 s[20:21], vcc
	s_xor_b64 s[20:21], exec, s[20:21]
	s_cbranch_execnz .LBB262_294
; %bb.88:
	s_andn2_saveexec_b64 s[20:21], s[20:21]
	s_cbranch_execnz .LBB262_295
.LBB262_89:
	s_or_b64 exec, exec, s[20:21]
	v_mov_b32_e32 v4, 0
	s_and_saveexec_b64 s[20:21], s[18:19]
.LBB262_90:
	v_lshrrev_b32_e32 v2, 24, v2
	s_movk_i32 s18, 0x80
	v_and_or_b32 v4, v2, s18, v3
.LBB262_91:
	s_or_b64 exec, exec, s[20:21]
.LBB262_92:
	s_or_b64 exec, exec, s[16:17]
.LBB262_93:
	s_or_b64 exec, exec, s[14:15]
                                        ; implicit-def: $vgpr2_vgpr3
.LBB262_94:
	s_andn2_saveexec_b64 s[12:13], s[12:13]
	s_cbranch_execz .LBB262_102
; %bb.95:
	flat_load_sshort v2, v[2:3]
	s_mov_b32 s14, 0x47800000
	v_mov_b32_e32 v4, 0x80
	s_waitcnt vmcnt(0) lgkmcnt(0)
	v_cvt_f32_i32_e32 v2, v2
	v_and_b32_e32 v3, 0x7fffffff, v2
	v_cmp_gt_u32_e32 vcc, s14, v3
	s_and_saveexec_b64 s[14:15], vcc
	s_cbranch_execz .LBB262_101
; %bb.96:
	s_mov_b32 s16, 0x37ffffff
	v_cmp_lt_u32_e32 vcc, s16, v3
	s_mov_b64 s[16:17], 0
                                        ; implicit-def: $vgpr3
	s_and_saveexec_b64 s[18:19], vcc
	s_xor_b64 s[18:19], exec, s[18:19]
	s_cbranch_execnz .LBB262_274
; %bb.97:
	s_andn2_saveexec_b64 s[18:19], s[18:19]
	s_cbranch_execnz .LBB262_275
.LBB262_98:
	s_or_b64 exec, exec, s[18:19]
	v_mov_b32_e32 v4, 0
	s_and_saveexec_b64 s[18:19], s[16:17]
.LBB262_99:
	v_lshrrev_b32_e32 v2, 24, v2
	s_movk_i32 s16, 0x80
	v_and_or_b32 v4, v2, s16, v3
.LBB262_100:
	s_or_b64 exec, exec, s[18:19]
.LBB262_101:
	s_or_b64 exec, exec, s[14:15]
.LBB262_102:
	s_or_b64 exec, exec, s[12:13]
                                        ; implicit-def: $vgpr5
                                        ; implicit-def: $vgpr2_vgpr3
.LBB262_103:
	s_andn2_saveexec_b64 s[10:11], s[10:11]
	s_cbranch_execz .LBB262_121
; %bb.104:
	v_mov_b32_e32 v4, 0
	v_cmp_gt_i16_sdwa s[12:13], v5, v4 src0_sel:BYTE_0 src1_sel:DWORD
                                        ; implicit-def: $vgpr4
	s_and_saveexec_b64 s[14:15], s[12:13]
	s_xor_b64 s[12:13], exec, s[14:15]
	s_cbranch_execz .LBB262_112
; %bb.105:
	flat_load_sbyte v2, v[2:3]
	s_mov_b32 s14, 0x47800000
	v_mov_b32_e32 v4, 0x80
	s_waitcnt vmcnt(0) lgkmcnt(0)
	v_cvt_f32_i32_e32 v2, v2
	v_and_b32_e32 v3, 0x7fffffff, v2
	v_cmp_gt_u32_e32 vcc, s14, v3
	s_and_saveexec_b64 s[14:15], vcc
	s_cbranch_execz .LBB262_111
; %bb.106:
	s_mov_b32 s16, 0x37ffffff
	v_cmp_lt_u32_e32 vcc, s16, v3
	s_mov_b64 s[16:17], 0
                                        ; implicit-def: $vgpr3
	s_and_saveexec_b64 s[18:19], vcc
	s_xor_b64 s[18:19], exec, s[18:19]
	s_cbranch_execnz .LBB262_276
; %bb.107:
	s_andn2_saveexec_b64 s[18:19], s[18:19]
	s_cbranch_execnz .LBB262_277
.LBB262_108:
	s_or_b64 exec, exec, s[18:19]
	v_mov_b32_e32 v4, 0
	s_and_saveexec_b64 s[18:19], s[16:17]
.LBB262_109:
	v_lshrrev_b32_e32 v2, 24, v2
	s_movk_i32 s16, 0x80
	v_and_or_b32 v4, v2, s16, v3
.LBB262_110:
	s_or_b64 exec, exec, s[18:19]
.LBB262_111:
	s_or_b64 exec, exec, s[14:15]
                                        ; implicit-def: $vgpr2_vgpr3
.LBB262_112:
	s_andn2_saveexec_b64 s[12:13], s[12:13]
	s_cbranch_execz .LBB262_120
; %bb.113:
	flat_load_ubyte v2, v[2:3]
	s_mov_b32 s14, 0x47800000
	v_mov_b32_e32 v4, 0x80
	s_waitcnt vmcnt(0) lgkmcnt(0)
	v_cvt_f32_ubyte0_e32 v3, v2
	v_cmp_gt_u32_e32 vcc, s14, v3
	s_and_saveexec_b64 s[14:15], vcc
	s_cbranch_execz .LBB262_119
; %bb.114:
	s_mov_b32 s16, 0x37ffffff
	v_cmp_lt_u32_e32 vcc, s16, v3
	s_mov_b64 s[16:17], 0
                                        ; implicit-def: $vgpr2
	s_and_saveexec_b64 s[18:19], vcc
	s_xor_b64 s[18:19], exec, s[18:19]
	s_cbranch_execnz .LBB262_278
; %bb.115:
	s_andn2_saveexec_b64 s[18:19], s[18:19]
	s_cbranch_execnz .LBB262_279
.LBB262_116:
	s_or_b64 exec, exec, s[18:19]
	v_mov_b32_e32 v4, 0
	s_and_saveexec_b64 s[18:19], s[16:17]
.LBB262_117:
	v_mov_b32_e32 v4, v2
.LBB262_118:
	s_or_b64 exec, exec, s[18:19]
.LBB262_119:
	s_or_b64 exec, exec, s[14:15]
.LBB262_120:
	s_or_b64 exec, exec, s[12:13]
.LBB262_121:
	s_or_b64 exec, exec, s[10:11]
.LBB262_122:
	s_or_b64 exec, exec, s[8:9]
	s_or_b64 s[6:7], s[6:7], exec
	s_or_b64 exec, exec, s[4:5]
                                        ; implicit-def: $sgpr8_sgpr9
	s_and_saveexec_b64 s[4:5], s[6:7]
	s_cbranch_execz .LBB262_3
.LBB262_123:
	v_cmp_ne_u32_e32 vcc, 0, v0
                                        ; implicit-def: $sgpr8_sgpr9
	s_and_saveexec_b64 s[6:7], vcc
	s_xor_b64 s[6:7], exec, s[6:7]
	s_cbranch_execz .LBB262_133
; %bb.124:
	s_movk_i32 s8, 0x7f
	v_cmp_gt_i16_sdwa s[10:11], v1, s8 src0_sel:BYTE_0 src1_sel:DWORD
	s_mov_b64 s[8:9], 0
	s_and_saveexec_b64 s[12:13], s[10:11]
	s_xor_b64 s[10:11], exec, s[12:13]
	s_cbranch_execnz .LBB262_248
; %bb.125:
	s_or_saveexec_b64 s[10:11], s[10:11]
	v_mov_b32_e32 v0, 0x7f800001
	s_xor_b64 exec, exec, s[10:11]
	s_cbranch_execnz .LBB262_251
.LBB262_126:
	s_or_b64 exec, exec, s[10:11]
	s_and_saveexec_b64 s[10:11], s[8:9]
	s_cbranch_execz .LBB262_128
.LBB262_127:
	v_and_b32_e32 v2, 3, v1
	v_ffbh_u32_e32 v3, v2
	v_min_u32_e32 v3, 32, v3
	v_lshrrev_b16_e32 v0, 2, v1
	v_subrev_u32_e32 v5, 29, v3
	v_and_b32_e32 v0, 31, v0
	v_lshlrev_b32_e32 v5, v5, v1
	v_sub_u32_e32 v3, 30, v3
	v_and_b32_e32 v5, 3, v5
	v_cmp_eq_u32_e32 vcc, 0, v0
	v_cndmask_b32_e32 v0, v0, v3, vcc
	v_cndmask_b32_e32 v2, v2, v5, vcc
	v_lshlrev_b32_e32 v1, 24, v1
	v_mov_b32_e32 v3, 0x37800000
	v_lshlrev_b32_e32 v2, 21, v2
	v_and_b32_e32 v1, 0x80000000, v1
	v_lshl_add_u32 v0, v0, 23, v3
	v_or3_b32 v0, v1, v0, v2
.LBB262_128:
	s_or_b64 exec, exec, s[10:11]
	s_movk_i32 s8, 0x7f
	s_waitcnt vmcnt(0) lgkmcnt(0)
	v_cmp_gt_i16_sdwa s[10:11], v4, s8 src0_sel:BYTE_0 src1_sel:DWORD
	s_mov_b64 s[8:9], 0
	s_and_saveexec_b64 s[12:13], s[10:11]
	s_xor_b64 s[10:11], exec, s[12:13]
	s_cbranch_execnz .LBB262_252
; %bb.129:
	s_or_saveexec_b64 s[10:11], s[10:11]
	v_mov_b32_e32 v1, 0x7f800001
	s_xor_b64 exec, exec, s[10:11]
	s_cbranch_execnz .LBB262_255
.LBB262_130:
	s_or_b64 exec, exec, s[10:11]
	s_and_saveexec_b64 s[10:11], s[8:9]
	s_cbranch_execz .LBB262_132
.LBB262_131:
	v_and_b32_e32 v2, 3, v4
	v_ffbh_u32_e32 v3, v2
	v_min_u32_e32 v3, 32, v3
	v_lshrrev_b16_e32 v1, 2, v4
	v_subrev_u32_e32 v5, 29, v3
	v_and_b32_e32 v1, 31, v1
	v_lshlrev_b32_e32 v5, v5, v4
	v_sub_u32_e32 v3, 30, v3
	v_and_b32_e32 v5, 3, v5
	v_cmp_eq_u32_e32 vcc, 0, v1
	v_cndmask_b32_e32 v1, v1, v3, vcc
	v_cndmask_b32_e32 v2, v2, v5, vcc
	v_lshlrev_b32_e32 v3, 24, v4
	v_mov_b32_e32 v4, 0x37800000
	v_lshlrev_b32_e32 v2, 21, v2
	v_and_b32_e32 v3, 0x80000000, v3
	v_lshl_add_u32 v1, v1, 23, v4
	v_or3_b32 v1, v3, v1, v2
.LBB262_132:
	s_or_b64 exec, exec, s[10:11]
	v_cmp_neq_f32_e64 s[8:9], v0, v1
                                        ; implicit-def: $vgpr4
                                        ; implicit-def: $vgpr1
.LBB262_133:
	s_andn2_saveexec_b64 s[6:7], s[6:7]
	s_cbranch_execz .LBB262_3
; %bb.134:
	s_movk_i32 s6, 0x7f
	v_cmp_gt_i16_sdwa s[10:11], v1, s6 src0_sel:BYTE_0 src1_sel:DWORD
	s_mov_b64 s[6:7], 0
	s_and_saveexec_b64 s[12:13], s[10:11]
	s_xor_b64 s[10:11], exec, s[12:13]
	s_cbranch_execnz .LBB262_256
; %bb.135:
	s_or_saveexec_b64 s[10:11], s[10:11]
	v_mov_b32_e32 v0, 0x7f800001
	s_xor_b64 exec, exec, s[10:11]
	s_cbranch_execnz .LBB262_259
.LBB262_136:
	s_or_b64 exec, exec, s[10:11]
	s_and_saveexec_b64 s[10:11], s[6:7]
	s_cbranch_execz .LBB262_138
.LBB262_137:
	v_and_b32_e32 v2, 3, v1
	v_ffbh_u32_e32 v3, v2
	v_min_u32_e32 v3, 32, v3
	v_lshrrev_b16_e32 v0, 2, v1
	v_subrev_u32_e32 v5, 29, v3
	v_and_b32_e32 v0, 31, v0
	v_lshlrev_b32_e32 v5, v5, v1
	v_sub_u32_e32 v3, 30, v3
	v_and_b32_e32 v5, 3, v5
	v_cmp_eq_u32_e32 vcc, 0, v0
	v_cndmask_b32_e32 v0, v0, v3, vcc
	v_cndmask_b32_e32 v2, v2, v5, vcc
	v_lshlrev_b32_e32 v1, 24, v1
	v_mov_b32_e32 v3, 0x37800000
	v_lshlrev_b32_e32 v2, 21, v2
	v_and_b32_e32 v1, 0x80000000, v1
	v_lshl_add_u32 v0, v0, 23, v3
	v_or3_b32 v0, v1, v0, v2
.LBB262_138:
	s_or_b64 exec, exec, s[10:11]
	s_movk_i32 s6, 0x7f
	s_waitcnt vmcnt(0) lgkmcnt(0)
	v_cmp_gt_i16_sdwa s[10:11], v4, s6 src0_sel:BYTE_0 src1_sel:DWORD
	s_mov_b64 s[6:7], 0
	s_and_saveexec_b64 s[12:13], s[10:11]
	s_xor_b64 s[10:11], exec, s[12:13]
	s_cbranch_execnz .LBB262_260
; %bb.139:
	s_or_saveexec_b64 s[10:11], s[10:11]
	v_mov_b32_e32 v1, 0x7f800001
	s_xor_b64 exec, exec, s[10:11]
	s_cbranch_execnz .LBB262_263
.LBB262_140:
	s_or_b64 exec, exec, s[10:11]
	s_and_saveexec_b64 s[10:11], s[6:7]
	s_cbranch_execz .LBB262_142
.LBB262_141:
	v_and_b32_e32 v2, 3, v4
	v_ffbh_u32_e32 v3, v2
	v_min_u32_e32 v3, 32, v3
	v_lshrrev_b16_e32 v1, 2, v4
	v_subrev_u32_e32 v5, 29, v3
	v_and_b32_e32 v1, 31, v1
	v_lshlrev_b32_e32 v5, v5, v4
	v_sub_u32_e32 v3, 30, v3
	v_and_b32_e32 v5, 3, v5
	v_cmp_eq_u32_e32 vcc, 0, v1
	v_cndmask_b32_e32 v1, v1, v3, vcc
	v_cndmask_b32_e32 v2, v2, v5, vcc
	v_lshlrev_b32_e32 v3, 24, v4
	v_mov_b32_e32 v4, 0x37800000
	v_lshlrev_b32_e32 v2, 21, v2
	v_and_b32_e32 v3, 0x80000000, v3
	v_lshl_add_u32 v1, v1, 23, v4
	v_or3_b32 v1, v3, v1, v2
.LBB262_142:
	s_or_b64 exec, exec, s[10:11]
	v_cmp_eq_f32_e32 vcc, v0, v1
	s_andn2_b64 s[6:7], s[8:9], exec
	s_and_b64 s[8:9], vcc, exec
	s_or_b64 s[8:9], s[6:7], s[8:9]
	s_or_b64 exec, exec, s[4:5]
	v_cndmask_b32_e64 v0, 0, 1, s[8:9]
	s_setpc_b64 s[30:31]
.LBB262_143:
	v_mov_b32_e32 v4, 28
	v_cmp_gt_i16_sdwa s[10:11], v5, v4 src0_sel:BYTE_0 src1_sel:DWORD
	s_mov_b64 s[14:15], 0
                                        ; implicit-def: $vgpr4
	s_and_saveexec_b64 s[16:17], s[10:11]
	s_xor_b64 s[10:11], exec, s[16:17]
	s_cbranch_execz .LBB262_177
; %bb.144:
	v_mov_b32_e32 v4, 43
	v_cmp_gt_i16_sdwa s[12:13], v5, v4 src0_sel:BYTE_0 src1_sel:DWORD
	s_mov_b64 s[16:17], 0
	s_mov_b64 s[18:19], 0
                                        ; implicit-def: $vgpr4
	s_and_saveexec_b64 s[14:15], s[12:13]
	s_xor_b64 s[12:13], exec, s[14:15]
	s_cbranch_execz .LBB262_166
; %bb.145:
	v_mov_b32_e32 v4, 45
	v_cmp_gt_i16_sdwa s[18:19], v5, v4 src0_sel:BYTE_0 src1_sel:DWORD
	s_mov_b64 s[14:15], 0
                                        ; implicit-def: $vgpr4
	s_and_saveexec_b64 s[20:21], s[18:19]
	s_xor_b64 s[18:19], exec, s[20:21]
	s_cbranch_execz .LBB262_155
; %bb.146:
	v_mov_b32_e32 v4, 46
	v_cmp_eq_u16_sdwa s[22:23], v5, v4 src0_sel:BYTE_0 src1_sel:DWORD
	s_mov_b64 s[20:21], -1
                                        ; implicit-def: $vgpr4
	s_and_saveexec_b64 s[14:15], s[22:23]
	s_cbranch_execz .LBB262_154
; %bb.147:
	flat_load_dword v4, v[2:3]
	s_mov_b32 s16, 0x47800000
	s_waitcnt vmcnt(0) lgkmcnt(0)
	v_lshlrev_b32_e32 v5, 16, v4
	v_and_b32_e32 v6, 0x7fffffff, v5
	v_cmp_gt_u32_e32 vcc, s16, v6
	v_mov_b32_e32 v4, 0x80
	s_and_saveexec_b64 s[16:17], vcc
	s_cbranch_execz .LBB262_153
; %bb.148:
	s_mov_b32 s20, 0x37ffffff
	v_cmp_lt_u32_e32 vcc, s20, v6
	s_mov_b64 s[20:21], 0
                                        ; implicit-def: $vgpr6
	s_and_saveexec_b64 s[22:23], vcc
	s_xor_b64 s[22:23], exec, s[22:23]
	s_cbranch_execnz .LBB262_306
; %bb.149:
	s_andn2_saveexec_b64 s[22:23], s[22:23]
	s_cbranch_execnz .LBB262_307
.LBB262_150:
	s_or_b64 exec, exec, s[22:23]
	v_mov_b32_e32 v4, 0
	s_and_saveexec_b64 s[22:23], s[20:21]
.LBB262_151:
	v_lshrrev_b32_e32 v4, 24, v5
	s_movk_i32 s20, 0x80
	v_and_or_b32 v4, v4, s20, v6
.LBB262_152:
	s_or_b64 exec, exec, s[22:23]
.LBB262_153:
	s_or_b64 exec, exec, s[16:17]
	s_mov_b64 s[16:17], exec
	s_xor_b64 s[20:21], exec, -1
.LBB262_154:
	s_or_b64 exec, exec, s[14:15]
	s_and_b64 s[16:17], s[16:17], exec
	s_and_b64 s[14:15], s[20:21], exec
                                        ; implicit-def: $vgpr5
.LBB262_155:
	s_andn2_saveexec_b64 s[18:19], s[18:19]
	s_cbranch_execz .LBB262_165
; %bb.156:
	v_mov_b32_e32 v4, 44
	v_cmp_eq_u16_sdwa s[26:27], v5, v4 src0_sel:BYTE_0 src1_sel:DWORD
	s_mov_b64 s[22:23], -1
	s_mov_b64 s[24:25], s[16:17]
                                        ; implicit-def: $vgpr4
	s_and_saveexec_b64 s[20:21], s[26:27]
	s_cbranch_execz .LBB262_164
; %bb.157:
	flat_load_ubyte v4, v[2:3]
	s_movk_i32 s22, 0xff
	v_mov_b32_e32 v5, 0x7f800001
	v_mov_b32_e32 v6, 0x400000
	s_mov_b32 s23, 0x47800000
	s_waitcnt vmcnt(0) lgkmcnt(0)
	v_lshlrev_b32_e32 v7, 23, v4
	v_cmp_ne_u32_e32 vcc, s22, v4
	v_cndmask_b32_e32 v5, v5, v7, vcc
	v_cmp_ne_u32_e32 vcc, 0, v4
	v_cndmask_b32_e32 v6, v6, v5, vcc
	v_cmp_gt_u32_e32 vcc, s23, v6
	v_mov_b32_e32 v4, 0x80
	s_and_saveexec_b64 s[22:23], vcc
	s_cbranch_execz .LBB262_163
; %bb.158:
	s_mov_b32 s24, 0x37ffffff
	v_cmp_lt_u32_e32 vcc, s24, v6
	s_mov_b64 s[24:25], 0
                                        ; implicit-def: $vgpr5
	s_and_saveexec_b64 s[26:27], vcc
	s_xor_b64 s[26:27], exec, s[26:27]
	s_cbranch_execnz .LBB262_308
; %bb.159:
	s_andn2_saveexec_b64 s[26:27], s[26:27]
	s_cbranch_execnz .LBB262_309
.LBB262_160:
	s_or_b64 exec, exec, s[26:27]
	v_mov_b32_e32 v4, 0
	s_and_saveexec_b64 s[26:27], s[24:25]
.LBB262_161:
	v_mov_b32_e32 v4, v5
.LBB262_162:
	s_or_b64 exec, exec, s[26:27]
.LBB262_163:
	s_or_b64 exec, exec, s[22:23]
	s_or_b64 s[24:25], s[16:17], exec
	s_xor_b64 s[22:23], exec, -1
.LBB262_164:
	s_or_b64 exec, exec, s[20:21]
	s_andn2_b64 s[16:17], s[16:17], exec
	s_and_b64 s[20:21], s[24:25], exec
	s_or_b64 s[16:17], s[16:17], s[20:21]
	s_andn2_b64 s[14:15], s[14:15], exec
	s_and_b64 s[20:21], s[22:23], exec
	s_or_b64 s[14:15], s[14:15], s[20:21]
.LBB262_165:
	s_or_b64 exec, exec, s[18:19]
	s_and_b64 s[18:19], s[16:17], exec
	s_and_b64 s[16:17], s[14:15], exec
                                        ; implicit-def: $vgpr5
.LBB262_166:
	s_andn2_saveexec_b64 s[12:13], s[12:13]
	s_cbranch_execz .LBB262_176
; %bb.167:
	v_mov_b32_e32 v4, 29
	v_cmp_eq_u16_sdwa s[24:25], v5, v4 src0_sel:BYTE_0 src1_sel:DWORD
	s_mov_b64 s[20:21], -1
	s_mov_b64 s[22:23], s[18:19]
                                        ; implicit-def: $vgpr4
	s_and_saveexec_b64 s[14:15], s[24:25]
	s_cbranch_execz .LBB262_175
; %bb.168:
	flat_load_dwordx2 v[4:5], v[2:3]
	s_mov_b32 s20, 0x47800000
	s_waitcnt vmcnt(0) lgkmcnt(0)
	v_ffbh_u32_e32 v6, v5
	v_min_u32_e32 v6, 32, v6
	v_lshlrev_b64 v[4:5], v6, v[4:5]
	v_min_u32_e32 v4, 1, v4
	v_or_b32_e32 v4, v5, v4
	v_cvt_f32_u32_e32 v4, v4
	v_sub_u32_e32 v5, 32, v6
	v_ldexp_f32 v6, v4, v5
	v_cmp_gt_u32_e32 vcc, s20, v6
	v_mov_b32_e32 v4, 0x80
	s_and_saveexec_b64 s[20:21], vcc
	s_cbranch_execz .LBB262_174
; %bb.169:
	s_mov_b32 s22, 0x37ffffff
	v_cmp_lt_u32_e32 vcc, s22, v6
	s_mov_b64 s[22:23], 0
                                        ; implicit-def: $vgpr5
	s_and_saveexec_b64 s[24:25], vcc
	s_xor_b64 s[24:25], exec, s[24:25]
	s_cbranch_execnz .LBB262_296
; %bb.170:
	s_andn2_saveexec_b64 s[24:25], s[24:25]
	s_cbranch_execnz .LBB262_297
.LBB262_171:
	s_or_b64 exec, exec, s[24:25]
	v_mov_b32_e32 v4, 0
	s_and_saveexec_b64 s[24:25], s[22:23]
.LBB262_172:
	v_mov_b32_e32 v4, v5
.LBB262_173:
	s_or_b64 exec, exec, s[24:25]
.LBB262_174:
	s_or_b64 exec, exec, s[20:21]
	s_or_b64 s[22:23], s[18:19], exec
	s_xor_b64 s[20:21], exec, -1
.LBB262_175:
	s_or_b64 exec, exec, s[14:15]
	s_andn2_b64 s[14:15], s[18:19], exec
	s_and_b64 s[18:19], s[22:23], exec
	s_or_b64 s[18:19], s[14:15], s[18:19]
	s_andn2_b64 s[14:15], s[16:17], exec
	s_and_b64 s[16:17], s[20:21], exec
	s_or_b64 s[16:17], s[14:15], s[16:17]
.LBB262_176:
	s_or_b64 exec, exec, s[12:13]
	s_and_b64 s[14:15], s[18:19], exec
	s_and_b64 s[12:13], s[16:17], exec
                                        ; implicit-def: $vgpr5
.LBB262_177:
	s_andn2_saveexec_b64 s[10:11], s[10:11]
	s_cbranch_execz .LBB262_209
; %bb.178:
	v_mov_b32_e32 v4, 26
	v_cmp_gt_i16_sdwa s[16:17], v5, v4 src0_sel:BYTE_0 src1_sel:DWORD
                                        ; implicit-def: $vgpr4
	s_and_saveexec_b64 s[18:19], s[16:17]
	s_xor_b64 s[16:17], exec, s[18:19]
	s_cbranch_execz .LBB262_196
; %bb.179:
	v_mov_b32_e32 v4, 27
	v_cmp_gt_i16_sdwa s[18:19], v5, v4 src0_sel:BYTE_0 src1_sel:DWORD
                                        ; implicit-def: $vgpr4
	s_and_saveexec_b64 s[20:21], s[18:19]
	s_xor_b64 s[18:19], exec, s[20:21]
	s_cbranch_execz .LBB262_187
; %bb.180:
	flat_load_dword v4, v[2:3]
	s_mov_b32 s20, 0x47800000
	s_waitcnt vmcnt(0) lgkmcnt(0)
	v_cvt_f32_u32_e32 v6, v4
	v_mov_b32_e32 v4, 0x80
	v_cmp_gt_u32_e32 vcc, s20, v6
	s_and_saveexec_b64 s[20:21], vcc
	s_cbranch_execz .LBB262_186
; %bb.181:
	s_mov_b32 s22, 0x37ffffff
	v_cmp_lt_u32_e32 vcc, s22, v6
	s_mov_b64 s[22:23], 0
                                        ; implicit-def: $vgpr5
	s_and_saveexec_b64 s[24:25], vcc
	s_xor_b64 s[24:25], exec, s[24:25]
	s_cbranch_execnz .LBB262_298
; %bb.182:
	s_andn2_saveexec_b64 s[24:25], s[24:25]
	s_cbranch_execnz .LBB262_299
.LBB262_183:
	s_or_b64 exec, exec, s[24:25]
	v_mov_b32_e32 v4, 0
	s_and_saveexec_b64 s[24:25], s[22:23]
.LBB262_184:
	v_mov_b32_e32 v4, v5
.LBB262_185:
	s_or_b64 exec, exec, s[24:25]
.LBB262_186:
	s_or_b64 exec, exec, s[20:21]
.LBB262_187:
	s_andn2_saveexec_b64 s[18:19], s[18:19]
	s_cbranch_execz .LBB262_195
; %bb.188:
	flat_load_ushort v4, v[2:3]
	s_mov_b32 s20, 0x47800000
	s_waitcnt vmcnt(0) lgkmcnt(0)
	v_cvt_f32_u32_e32 v6, v4
	v_mov_b32_e32 v4, 0x80
	v_cmp_gt_u32_e32 vcc, s20, v6
	s_and_saveexec_b64 s[20:21], vcc
	s_cbranch_execz .LBB262_194
; %bb.189:
	s_mov_b32 s22, 0x37ffffff
	v_cmp_lt_u32_e32 vcc, s22, v6
	s_mov_b64 s[22:23], 0
                                        ; implicit-def: $vgpr5
	s_and_saveexec_b64 s[24:25], vcc
	s_xor_b64 s[24:25], exec, s[24:25]
	s_cbranch_execnz .LBB262_300
; %bb.190:
	s_andn2_saveexec_b64 s[24:25], s[24:25]
	s_cbranch_execnz .LBB262_301
.LBB262_191:
	s_or_b64 exec, exec, s[24:25]
	v_mov_b32_e32 v4, 0
	s_and_saveexec_b64 s[24:25], s[22:23]
.LBB262_192:
	v_mov_b32_e32 v4, v5
.LBB262_193:
	s_or_b64 exec, exec, s[24:25]
.LBB262_194:
	s_or_b64 exec, exec, s[20:21]
.LBB262_195:
	s_or_b64 exec, exec, s[18:19]
.LBB262_196:
	s_andn2_saveexec_b64 s[16:17], s[16:17]
	s_cbranch_execz .LBB262_208
; %bb.197:
	flat_load_ubyte v4, v[2:3]
	s_movk_i32 s18, 0x7f
	s_waitcnt vmcnt(0) lgkmcnt(0)
	v_cmp_lt_i16_e32 vcc, s18, v4
	s_mov_b64 s[18:19], 0
	s_and_saveexec_b64 s[20:21], vcc
	s_xor_b64 s[20:21], exec, s[20:21]
	s_cbranch_execnz .LBB262_266
; %bb.198:
	s_or_saveexec_b64 s[20:21], s[20:21]
	v_mov_b32_e32 v5, 0x7f800001
	s_xor_b64 exec, exec, s[20:21]
	s_cbranch_execnz .LBB262_269
.LBB262_199:
	s_or_b64 exec, exec, s[20:21]
	s_and_saveexec_b64 s[20:21], s[18:19]
	s_cbranch_execz .LBB262_201
.LBB262_200:
	v_lshlrev_b32_e32 v5, 24, v4
	v_and_b32_e32 v4, 0xffff, v4
	v_and_b32_e32 v6, 7, v4
	v_ffbh_u32_e32 v8, v6
	v_min_u32_e32 v8, 32, v8
	v_subrev_u32_e32 v9, 28, v8
	v_bfe_u32 v7, v4, 3, 4
	v_lshlrev_b32_e32 v4, v9, v4
	v_sub_u32_e32 v8, 29, v8
	v_and_b32_e32 v4, 7, v4
	v_cmp_eq_u32_e32 vcc, 0, v7
	v_cndmask_b32_e32 v7, v7, v8, vcc
	v_cndmask_b32_e32 v4, v6, v4, vcc
	v_mov_b32_e32 v6, 0x3b800000
	v_lshlrev_b32_e32 v4, 20, v4
	v_and_b32_e32 v5, 0x80000000, v5
	v_lshl_add_u32 v6, v7, 23, v6
	v_or3_b32 v5, v5, v6, v4
.LBB262_201:
	s_or_b64 exec, exec, s[20:21]
	v_and_b32_e32 v6, 0x7fffffff, v5
	s_mov_b32 s18, 0x47800000
	v_cmp_gt_u32_e32 vcc, s18, v6
	v_mov_b32_e32 v4, 0x80
	s_and_saveexec_b64 s[18:19], vcc
	s_cbranch_execz .LBB262_207
; %bb.202:
	s_mov_b32 s20, 0x37ffffff
	v_cmp_lt_u32_e32 vcc, s20, v6
	s_mov_b64 s[20:21], 0
                                        ; implicit-def: $vgpr6
	s_and_saveexec_b64 s[22:23], vcc
	s_xor_b64 s[22:23], exec, s[22:23]
	s_cbranch_execnz .LBB262_280
; %bb.203:
	s_andn2_saveexec_b64 s[22:23], s[22:23]
	s_cbranch_execnz .LBB262_281
.LBB262_204:
	s_or_b64 exec, exec, s[22:23]
	v_mov_b32_e32 v4, 0
	s_and_saveexec_b64 s[22:23], s[20:21]
.LBB262_205:
	v_lshrrev_b32_e32 v4, 24, v5
	s_movk_i32 s20, 0x80
	v_and_or_b32 v4, v4, s20, v6
.LBB262_206:
	s_or_b64 exec, exec, s[22:23]
.LBB262_207:
	s_or_b64 exec, exec, s[18:19]
.LBB262_208:
	s_or_b64 exec, exec, s[16:17]
	s_or_b64 s[14:15], s[14:15], exec
.LBB262_209:
	s_or_b64 exec, exec, s[10:11]
	s_and_b64 s[10:11], s[14:15], exec
	s_and_b64 s[12:13], s[12:13], exec
                                        ; implicit-def: $vgpr5
	s_andn2_saveexec_b64 s[8:9], s[8:9]
	s_cbranch_execz .LBB262_6
.LBB262_210:
	v_mov_b32_e32 v4, 22
	v_cmp_gt_i16_sdwa s[6:7], v5, v4 src0_sel:BYTE_0 src1_sel:DWORD
	s_mov_b64 s[14:15], s[10:11]
                                        ; implicit-def: $vgpr4
	s_and_saveexec_b64 s[16:17], s[6:7]
	s_xor_b64 s[6:7], exec, s[16:17]
	s_cbranch_execz .LBB262_232
; %bb.211:
	v_mov_b32_e32 v4, 23
	v_cmp_gt_i16_sdwa s[14:15], v5, v4 src0_sel:BYTE_0 src1_sel:DWORD
                                        ; implicit-def: $vgpr4
	s_and_saveexec_b64 s[16:17], s[14:15]
	s_xor_b64 s[14:15], exec, s[16:17]
	s_cbranch_execz .LBB262_223
; %bb.212:
	v_mov_b32_e32 v4, 24
	v_cmp_gt_i16_sdwa s[16:17], v5, v4 src0_sel:BYTE_0 src1_sel:DWORD
                                        ; implicit-def: $vgpr4
	s_and_saveexec_b64 s[18:19], s[16:17]
	s_xor_b64 s[16:17], exec, s[18:19]
	s_cbranch_execz .LBB262_214
; %bb.213:
	flat_load_ubyte v4, v[2:3]
.LBB262_214:
	s_andn2_saveexec_b64 s[16:17], s[16:17]
	s_cbranch_execz .LBB262_222
; %bb.215:
	s_waitcnt vmcnt(0) lgkmcnt(0)
	flat_load_ubyte v4, v[2:3]
	s_mov_b32 s18, 0x7f800000
	s_brev_b32 s19, 1
	s_mov_b32 s20, 0x47800000
	s_waitcnt vmcnt(0) lgkmcnt(0)
	v_lshlrev_b32_e32 v4, 24, v4
	v_and_b32_e32 v5, 0x7f000000, v4
	v_ffbh_u32_e32 v6, v5
	v_min_u32_e32 v6, 32, v6
	v_sub_u32_e64 v6, v6, 4 clamp
	v_lshlrev_b32_e32 v8, v6, v5
	v_lshlrev_b32_e32 v6, 23, v6
	v_lshrrev_b32_e32 v8, 4, v8
	v_add_u32_e32 v7, 0x1000000, v5
	v_sub_u32_e32 v6, v8, v6
	v_ashrrev_i32_e32 v7, 8, v7
	v_add_u32_e32 v6, 0x3c000000, v6
	v_and_or_b32 v6, v7, s18, v6
	v_cmp_ne_u32_e32 vcc, 0, v5
	v_cndmask_b32_e32 v7, 0, v6, vcc
	v_and_or_b32 v5, v4, s19, v7
	v_and_b32_e32 v6, 0x7fffffff, v5
	v_cmp_gt_u32_e32 vcc, s20, v6
	v_mov_b32_e32 v4, 0x80
	s_and_saveexec_b64 s[18:19], vcc
	s_cbranch_execz .LBB262_221
; %bb.216:
	s_mov_b32 s20, 0x37ffffff
	v_cmp_lt_u32_e32 vcc, s20, v6
	s_mov_b64 s[20:21], 0
                                        ; implicit-def: $vgpr6
	s_and_saveexec_b64 s[22:23], vcc
	s_xor_b64 s[22:23], exec, s[22:23]
	s_cbranch_execnz .LBB262_302
; %bb.217:
	s_andn2_saveexec_b64 s[22:23], s[22:23]
	s_cbranch_execnz .LBB262_303
.LBB262_218:
	s_or_b64 exec, exec, s[22:23]
	v_mov_b32_e32 v4, 0
	s_and_saveexec_b64 s[22:23], s[20:21]
.LBB262_219:
	v_lshrrev_b32_e32 v4, 24, v5
	s_movk_i32 s20, 0x80
	v_and_or_b32 v4, v4, s20, v6
.LBB262_220:
	s_or_b64 exec, exec, s[22:23]
.LBB262_221:
	s_or_b64 exec, exec, s[18:19]
.LBB262_222:
	s_or_b64 exec, exec, s[16:17]
.LBB262_223:
	s_andn2_saveexec_b64 s[14:15], s[14:15]
	s_cbranch_execz .LBB262_231
; %bb.224:
	s_waitcnt vmcnt(0) lgkmcnt(0)
	flat_load_ubyte v4, v[2:3]
	s_movk_i32 s16, 0x7f00
	s_brev_b32 s17, 16
	s_brev_b32 s18, 1
	s_mov_b32 s19, 0x47800000
	s_waitcnt vmcnt(0) lgkmcnt(0)
	v_lshlrev_b16_e32 v5, 8, v4
	v_lshlrev_b32_e32 v4, 25, v4
	v_lshrrev_b32_e32 v6, 4, v4
	v_and_or_b32 v7, v5, s16, 0.5
	v_or_b32_e32 v6, 0x70000000, v6
	v_add_f32_e32 v7, -0.5, v7
	v_mul_f32_e32 v6, 0x7800000, v6
	v_cmp_gt_u32_e32 vcc, s17, v4
	v_bfe_i32 v5, v5, 0, 16
	v_cndmask_b32_e32 v7, v6, v7, vcc
	v_and_or_b32 v5, v5, s18, v7
	v_and_b32_e32 v6, 0x7fffffff, v5
	v_cmp_gt_u32_e32 vcc, s19, v6
	v_mov_b32_e32 v4, 0x80
	s_and_saveexec_b64 s[16:17], vcc
	s_cbranch_execz .LBB262_230
; %bb.225:
	s_mov_b32 s18, 0x37ffffff
	v_cmp_lt_u32_e32 vcc, s18, v6
	s_mov_b64 s[18:19], 0
                                        ; implicit-def: $vgpr6
	s_and_saveexec_b64 s[20:21], vcc
	s_xor_b64 s[20:21], exec, s[20:21]
	s_cbranch_execnz .LBB262_282
; %bb.226:
	s_andn2_saveexec_b64 s[20:21], s[20:21]
	s_cbranch_execnz .LBB262_283
.LBB262_227:
	s_or_b64 exec, exec, s[20:21]
	v_mov_b32_e32 v4, 0
	s_and_saveexec_b64 s[20:21], s[18:19]
.LBB262_228:
	v_lshrrev_b32_e32 v4, 24, v5
	s_movk_i32 s18, 0x80
	v_and_or_b32 v4, v4, s18, v6
.LBB262_229:
	s_or_b64 exec, exec, s[20:21]
.LBB262_230:
	s_or_b64 exec, exec, s[16:17]
.LBB262_231:
	s_or_b64 exec, exec, s[14:15]
	s_or_b64 s[14:15], s[10:11], exec
                                        ; implicit-def: $vgpr5
.LBB262_232:
	s_or_saveexec_b64 s[6:7], s[6:7]
	s_mov_b64 s[16:17], 0
	s_mov_b64 s[18:19], s[12:13]
	s_xor_b64 exec, exec, s[6:7]
	s_cbranch_execz .LBB262_246
; %bb.233:
	s_waitcnt vmcnt(0) lgkmcnt(0)
	v_mov_b32_e32 v4, 14
	v_cmp_gt_i16_sdwa s[16:17], v5, v4 src0_sel:BYTE_0 src1_sel:DWORD
	s_mov_b64 s[18:19], s[12:13]
	s_mov_b64 s[20:21], s[14:15]
                                        ; implicit-def: $vgpr4
	s_and_saveexec_b64 s[22:23], s[16:17]
	s_xor_b64 s[16:17], exec, s[22:23]
	s_cbranch_execz .LBB262_243
; %bb.234:
	v_mov_b32_e32 v4, 15
	v_cmp_eq_u16_sdwa s[24:25], v5, v4 src0_sel:BYTE_0 src1_sel:DWORD
	s_mov_b64 s[22:23], -1
	s_mov_b64 s[20:21], s[14:15]
                                        ; implicit-def: $vgpr4
	s_and_saveexec_b64 s[18:19], s[24:25]
	s_cbranch_execz .LBB262_242
; %bb.235:
	flat_load_ushort v5, v[2:3]
	s_mov_b32 s20, 0x47800000
	v_mov_b32_e32 v4, 0x80
	s_waitcnt vmcnt(0) lgkmcnt(0)
	v_lshlrev_b32_e32 v7, 16, v5
	v_and_b32_e32 v6, 0x7fffffff, v7
	v_cmp_gt_u32_e32 vcc, s20, v6
	s_and_saveexec_b64 s[20:21], vcc
	s_cbranch_execz .LBB262_241
; %bb.236:
	s_mov_b32 s22, 0x37ffffff
	v_cmp_lt_u32_e32 vcc, s22, v6
	s_mov_b64 s[22:23], 0
                                        ; implicit-def: $vgpr6
	s_and_saveexec_b64 s[24:25], vcc
	s_xor_b64 s[24:25], exec, s[24:25]
	s_cbranch_execnz .LBB262_304
; %bb.237:
	s_andn2_saveexec_b64 s[24:25], s[24:25]
	s_cbranch_execnz .LBB262_305
.LBB262_238:
	s_or_b64 exec, exec, s[24:25]
	v_mov_b32_e32 v4, 0
	s_and_saveexec_b64 s[24:25], s[22:23]
.LBB262_239:
	v_lshrrev_b32_e32 v4, 8, v5
	s_movk_i32 s22, 0x80
	v_and_or_b32 v4, v4, s22, v6
.LBB262_240:
	s_or_b64 exec, exec, s[24:25]
.LBB262_241:
	s_or_b64 exec, exec, s[20:21]
	s_or_b64 s[20:21], s[14:15], exec
	s_xor_b64 s[22:23], exec, -1
.LBB262_242:
	s_or_b64 exec, exec, s[18:19]
	s_andn2_b64 s[18:19], s[14:15], exec
	s_and_b64 s[20:21], s[20:21], exec
	s_or_b64 s[20:21], s[18:19], s[20:21]
	s_andn2_b64 s[18:19], s[12:13], exec
	s_and_b64 s[22:23], s[22:23], exec
	s_or_b64 s[18:19], s[18:19], s[22:23]
                                        ; implicit-def: $vgpr5
.LBB262_243:
	s_or_saveexec_b64 s[16:17], s[16:17]
	s_mov_b64 s[22:23], 0
	s_xor_b64 exec, exec, s[16:17]
; %bb.244:
	v_mov_b32_e32 v6, 11
	v_cmp_ne_u16_sdwa s[24:25], v5, v6 src0_sel:BYTE_0 src1_sel:DWORD
	s_andn2_b64 s[18:19], s[18:19], exec
	s_and_b64 s[24:25], s[24:25], exec
	s_mov_b64 s[22:23], exec
	s_or_b64 s[18:19], s[18:19], s[24:25]
; %bb.245:
	s_or_b64 exec, exec, s[16:17]
	s_andn2_b64 s[14:15], s[14:15], exec
	s_and_b64 s[16:17], s[20:21], exec
	s_andn2_b64 s[20:21], s[12:13], exec
	s_and_b64 s[18:19], s[18:19], exec
	s_or_b64 s[14:15], s[14:15], s[16:17]
	s_and_b64 s[16:17], s[22:23], exec
	s_or_b64 s[18:19], s[20:21], s[18:19]
.LBB262_246:
	s_or_b64 exec, exec, s[6:7]
	s_andn2_b64 s[6:7], s[10:11], exec
	s_and_b64 s[10:11], s[14:15], exec
	s_andn2_b64 s[12:13], s[12:13], exec
	s_and_b64 s[14:15], s[18:19], exec
	s_or_b64 s[10:11], s[6:7], s[10:11]
	s_and_b64 s[6:7], s[16:17], exec
	s_or_b64 s[12:13], s[12:13], s[14:15]
	s_or_b64 exec, exec, s[8:9]
	s_and_saveexec_b64 s[8:9], s[12:13]
	s_cbranch_execz .LBB262_7
.LBB262_247:
	s_trap 2
	; divergent unreachable
	s_andn2_b64 s[6:7], s[6:7], exec
	s_or_b64 exec, exec, s[8:9]
	s_and_saveexec_b64 s[8:9], s[6:7]
	s_xor_b64 s[6:7], exec, s[8:9]
	s_cbranch_execnz .LBB262_8
	s_branch .LBB262_15
.LBB262_248:
	s_movk_i32 s8, 0x80
	v_cmp_eq_u16_sdwa s[14:15], v1, s8 src0_sel:BYTE_0 src1_sel:DWORD
	s_mov_b64 s[8:9], -1
	s_and_saveexec_b64 s[12:13], s[14:15]
; %bb.249:
	s_xor_b64 s[8:9], exec, -1
; %bb.250:
	s_or_b64 exec, exec, s[12:13]
	s_and_b64 s[8:9], s[8:9], exec
	s_or_saveexec_b64 s[10:11], s[10:11]
	v_mov_b32_e32 v0, 0x7f800001
	s_xor_b64 exec, exec, s[10:11]
	s_cbranch_execz .LBB262_126
.LBB262_251:
	v_mov_b32_e32 v0, 0
	v_cmp_ne_u16_sdwa s[12:13], v1, v0 src0_sel:BYTE_0 src1_sel:DWORD
	s_andn2_b64 s[8:9], s[8:9], exec
	s_and_b64 s[12:13], s[12:13], exec
	s_or_b64 s[8:9], s[8:9], s[12:13]
	s_or_b64 exec, exec, s[10:11]
	s_and_saveexec_b64 s[10:11], s[8:9]
	s_cbranch_execnz .LBB262_127
	s_branch .LBB262_128
.LBB262_252:
	s_movk_i32 s8, 0x80
	v_cmp_eq_u16_sdwa s[14:15], v4, s8 src0_sel:BYTE_0 src1_sel:DWORD
	s_mov_b64 s[8:9], -1
	s_and_saveexec_b64 s[12:13], s[14:15]
; %bb.253:
	s_xor_b64 s[8:9], exec, -1
; %bb.254:
	s_or_b64 exec, exec, s[12:13]
	s_and_b64 s[8:9], s[8:9], exec
	s_or_saveexec_b64 s[10:11], s[10:11]
	v_mov_b32_e32 v1, 0x7f800001
	s_xor_b64 exec, exec, s[10:11]
	s_cbranch_execz .LBB262_130
.LBB262_255:
	v_mov_b32_e32 v1, 0
	v_cmp_ne_u16_sdwa s[12:13], v4, v1 src0_sel:BYTE_0 src1_sel:DWORD
	s_andn2_b64 s[8:9], s[8:9], exec
	s_and_b64 s[12:13], s[12:13], exec
	s_or_b64 s[8:9], s[8:9], s[12:13]
	s_or_b64 exec, exec, s[10:11]
	s_and_saveexec_b64 s[10:11], s[8:9]
	s_cbranch_execnz .LBB262_131
	s_branch .LBB262_132
.LBB262_256:
	s_movk_i32 s6, 0x80
	v_cmp_eq_u16_sdwa s[14:15], v1, s6 src0_sel:BYTE_0 src1_sel:DWORD
	s_mov_b64 s[6:7], -1
	s_and_saveexec_b64 s[12:13], s[14:15]
; %bb.257:
	s_xor_b64 s[6:7], exec, -1
; %bb.258:
	s_or_b64 exec, exec, s[12:13]
	s_and_b64 s[6:7], s[6:7], exec
	s_or_saveexec_b64 s[10:11], s[10:11]
	v_mov_b32_e32 v0, 0x7f800001
	s_xor_b64 exec, exec, s[10:11]
	s_cbranch_execz .LBB262_136
.LBB262_259:
	v_mov_b32_e32 v0, 0
	v_cmp_ne_u16_sdwa s[12:13], v1, v0 src0_sel:BYTE_0 src1_sel:DWORD
	s_andn2_b64 s[6:7], s[6:7], exec
	s_and_b64 s[12:13], s[12:13], exec
	s_or_b64 s[6:7], s[6:7], s[12:13]
	s_or_b64 exec, exec, s[10:11]
	s_and_saveexec_b64 s[10:11], s[6:7]
	s_cbranch_execnz .LBB262_137
	s_branch .LBB262_138
.LBB262_260:
	s_movk_i32 s6, 0x80
	v_cmp_eq_u16_sdwa s[14:15], v4, s6 src0_sel:BYTE_0 src1_sel:DWORD
	s_mov_b64 s[6:7], -1
	s_and_saveexec_b64 s[12:13], s[14:15]
; %bb.261:
	s_xor_b64 s[6:7], exec, -1
; %bb.262:
	s_or_b64 exec, exec, s[12:13]
	s_and_b64 s[6:7], s[6:7], exec
	s_or_saveexec_b64 s[10:11], s[10:11]
	v_mov_b32_e32 v1, 0x7f800001
	s_xor_b64 exec, exec, s[10:11]
	s_cbranch_execz .LBB262_140
.LBB262_263:
	v_mov_b32_e32 v1, 0
	v_cmp_ne_u16_sdwa s[12:13], v4, v1 src0_sel:BYTE_0 src1_sel:DWORD
	s_andn2_b64 s[6:7], s[6:7], exec
	s_and_b64 s[12:13], s[12:13], exec
	s_or_b64 s[6:7], s[6:7], s[12:13]
	s_or_b64 exec, exec, s[10:11]
	s_and_saveexec_b64 s[10:11], s[6:7]
	s_cbranch_execnz .LBB262_141
	s_branch .LBB262_142
.LBB262_264:
	v_bfe_u32 v2, v3, 21, 1
	s_mov_b32 s16, 0x88fffff
	v_add3_u32 v2, v3, v2, s16
	s_mov_b64 s[12:13], exec
	v_lshrrev_b32_e32 v2, 21, v2
                                        ; implicit-def: $vgpr3
	s_andn2_saveexec_b64 s[14:15], s[14:15]
	s_cbranch_execz .LBB262_11
.LBB262_265:
	v_add_f32_e32 v2, 0x42800000, v3
	v_and_b32_e32 v2, 0xff, v2
	v_cmp_ne_u32_e32 vcc, 0, v2
	s_andn2_b64 s[12:13], s[12:13], exec
	s_and_b64 s[16:17], vcc, exec
	s_or_b64 s[12:13], s[12:13], s[16:17]
	s_or_b64 exec, exec, s[14:15]
	v_mov_b32_e32 v4, 0
	s_and_saveexec_b64 s[14:15], s[12:13]
	s_cbranch_execnz .LBB262_12
	s_branch .LBB262_13
.LBB262_266:
	s_movk_i32 s18, 0x80
	v_cmp_eq_u16_e32 vcc, s18, v4
	s_mov_b64 s[18:19], -1
	s_and_saveexec_b64 s[22:23], vcc
; %bb.267:
	s_xor_b64 s[18:19], exec, -1
; %bb.268:
	s_or_b64 exec, exec, s[22:23]
	s_and_b64 s[18:19], s[18:19], exec
	s_or_saveexec_b64 s[20:21], s[20:21]
	v_mov_b32_e32 v5, 0x7f800001
	s_xor_b64 exec, exec, s[20:21]
	s_cbranch_execz .LBB262_199
.LBB262_269:
	v_cmp_ne_u16_e32 vcc, 0, v4
	s_andn2_b64 s[18:19], s[18:19], exec
	s_and_b64 s[22:23], vcc, exec
	v_mov_b32_e32 v5, 0
	s_or_b64 s[18:19], s[18:19], s[22:23]
	s_or_b64 exec, exec, s[20:21]
	s_and_saveexec_b64 s[20:21], s[18:19]
	s_cbranch_execnz .LBB262_200
	s_branch .LBB262_201
.LBB262_270:
	v_bfe_u32 v3, v2, 21, 1
	s_mov_b32 s20, 0x88fffff
	v_add3_u32 v3, v2, v3, s20
	s_mov_b64 s[16:17], exec
	v_lshrrev_b32_e32 v3, 21, v3
	s_andn2_saveexec_b64 s[18:19], s[18:19]
	s_cbranch_execz .LBB262_40
.LBB262_271:
	s_mov_b32 s20, 0x42800000
	v_add_f32_e64 v3, |v2|, s20
	v_and_b32_e32 v3, 0xff, v3
	v_cmp_ne_u32_e32 vcc, 0, v3
	s_andn2_b64 s[16:17], s[16:17], exec
	s_and_b64 s[20:21], vcc, exec
	s_or_b64 s[16:17], s[16:17], s[20:21]
	s_or_b64 exec, exec, s[18:19]
	v_mov_b32_e32 v4, 0
	s_and_saveexec_b64 s[18:19], s[16:17]
	s_cbranch_execnz .LBB262_41
	s_branch .LBB262_42
.LBB262_272:
	v_bfe_u32 v3, v2, 21, 1
	s_mov_b32 s20, 0x88fffff
	v_add3_u32 v3, v2, v3, s20
	s_mov_b64 s[16:17], exec
	v_lshrrev_b32_e32 v3, 21, v3
	s_andn2_saveexec_b64 s[18:19], s[18:19]
	s_cbranch_execz .LBB262_68
.LBB262_273:
	s_mov_b32 s20, 0x42800000
	v_add_f32_e64 v3, |v2|, s20
	v_and_b32_e32 v3, 0xff, v3
	v_cmp_ne_u32_e32 vcc, 0, v3
	s_andn2_b64 s[16:17], s[16:17], exec
	s_and_b64 s[20:21], vcc, exec
	s_or_b64 s[16:17], s[16:17], s[20:21]
	s_or_b64 exec, exec, s[18:19]
	v_mov_b32_e32 v4, 0
	s_and_saveexec_b64 s[18:19], s[16:17]
	s_cbranch_execnz .LBB262_69
	s_branch .LBB262_70
.LBB262_274:
	v_bfe_u32 v3, v2, 21, 1
	s_mov_b32 s20, 0x88fffff
	v_add3_u32 v3, v2, v3, s20
	s_mov_b64 s[16:17], exec
	v_lshrrev_b32_e32 v3, 21, v3
	s_andn2_saveexec_b64 s[18:19], s[18:19]
	s_cbranch_execz .LBB262_98
.LBB262_275:
	s_mov_b32 s20, 0x42800000
	v_add_f32_e64 v3, |v2|, s20
	v_and_b32_e32 v3, 0xff, v3
	v_cmp_ne_u32_e32 vcc, 0, v3
	s_andn2_b64 s[16:17], s[16:17], exec
	s_and_b64 s[20:21], vcc, exec
	s_or_b64 s[16:17], s[16:17], s[20:21]
	s_or_b64 exec, exec, s[18:19]
	v_mov_b32_e32 v4, 0
	s_and_saveexec_b64 s[18:19], s[16:17]
	s_cbranch_execnz .LBB262_99
	s_branch .LBB262_100
.LBB262_276:
	v_bfe_u32 v3, v2, 21, 1
	s_mov_b32 s20, 0x88fffff
	v_add3_u32 v3, v2, v3, s20
	s_mov_b64 s[16:17], exec
	v_lshrrev_b32_e32 v3, 21, v3
	s_andn2_saveexec_b64 s[18:19], s[18:19]
	s_cbranch_execz .LBB262_108
.LBB262_277:
	s_mov_b32 s20, 0x42800000
	v_add_f32_e64 v3, |v2|, s20
	v_and_b32_e32 v3, 0xff, v3
	v_cmp_ne_u32_e32 vcc, 0, v3
	s_andn2_b64 s[16:17], s[16:17], exec
	s_and_b64 s[20:21], vcc, exec
	s_or_b64 s[16:17], s[16:17], s[20:21]
	s_or_b64 exec, exec, s[18:19]
	v_mov_b32_e32 v4, 0
	s_and_saveexec_b64 s[18:19], s[16:17]
	s_cbranch_execnz .LBB262_109
	s_branch .LBB262_110
.LBB262_278:
	v_bfe_u32 v2, v3, 21, 1
	s_mov_b32 s20, 0x88fffff
	v_add3_u32 v2, v3, v2, s20
	s_mov_b64 s[16:17], exec
	v_lshrrev_b32_e32 v2, 21, v2
                                        ; implicit-def: $vgpr3
	s_andn2_saveexec_b64 s[18:19], s[18:19]
	s_cbranch_execz .LBB262_116
.LBB262_279:
	v_add_f32_e32 v2, 0x42800000, v3
	v_and_b32_e32 v2, 0xff, v2
	v_cmp_ne_u32_e32 vcc, 0, v2
	s_andn2_b64 s[16:17], s[16:17], exec
	s_and_b64 s[20:21], vcc, exec
	s_or_b64 s[16:17], s[16:17], s[20:21]
	s_or_b64 exec, exec, s[18:19]
	v_mov_b32_e32 v4, 0
	s_and_saveexec_b64 s[18:19], s[16:17]
	s_cbranch_execnz .LBB262_117
	s_branch .LBB262_118
.LBB262_280:
	v_bfe_u32 v4, v5, 21, 1
	s_mov_b32 s24, 0x88fffff
	v_add3_u32 v4, v5, v4, s24
	s_mov_b64 s[20:21], exec
	v_lshrrev_b32_e32 v6, 21, v4
	s_andn2_saveexec_b64 s[22:23], s[22:23]
	s_cbranch_execz .LBB262_204
.LBB262_281:
	s_mov_b32 s24, 0x42800000
	v_add_f32_e64 v4, |v5|, s24
	v_and_b32_e32 v6, 0xff, v4
	v_cmp_ne_u32_e32 vcc, 0, v6
	s_andn2_b64 s[20:21], s[20:21], exec
	s_and_b64 s[24:25], vcc, exec
	s_or_b64 s[20:21], s[20:21], s[24:25]
	s_or_b64 exec, exec, s[22:23]
	v_mov_b32_e32 v4, 0
	s_and_saveexec_b64 s[22:23], s[20:21]
	s_cbranch_execnz .LBB262_205
	s_branch .LBB262_206
.LBB262_282:
	v_bfe_u32 v4, v7, 21, 1
	s_mov_b32 s22, 0x88fffff
	v_add3_u32 v4, v5, v4, s22
	s_mov_b64 s[18:19], exec
	v_lshrrev_b32_e32 v6, 21, v4
	s_andn2_saveexec_b64 s[20:21], s[20:21]
	s_cbranch_execz .LBB262_227
.LBB262_283:
	s_mov_b32 s22, 0x42800000
	v_add_f32_e64 v4, |v5|, s22
	v_and_b32_e32 v6, 0xff, v4
	v_cmp_ne_u32_e32 vcc, 0, v6
	s_andn2_b64 s[18:19], s[18:19], exec
	s_and_b64 s[22:23], vcc, exec
	s_or_b64 s[18:19], s[18:19], s[22:23]
	s_or_b64 exec, exec, s[20:21]
	v_mov_b32_e32 v4, 0
	s_and_saveexec_b64 s[20:21], s[18:19]
	s_cbranch_execnz .LBB262_228
	s_branch .LBB262_229
.LBB262_284:
	v_bfe_u32 v3, v2, 21, 1
	s_mov_b32 s22, 0x88fffff
	v_add3_u32 v3, v2, v3, s22
	s_mov_b64 s[18:19], exec
	v_lshrrev_b32_e32 v3, 21, v3
	s_andn2_saveexec_b64 s[20:21], s[20:21]
	s_cbranch_execz .LBB262_23
.LBB262_285:
	s_mov_b32 s22, 0x42800000
	v_add_f32_e64 v3, |v2|, s22
	v_and_b32_e32 v3, 0xff, v3
	v_cmp_ne_u32_e32 vcc, 0, v3
	s_andn2_b64 s[18:19], s[18:19], exec
	s_and_b64 s[22:23], vcc, exec
	s_or_b64 s[18:19], s[18:19], s[22:23]
	s_or_b64 exec, exec, s[20:21]
	v_mov_b32_e32 v4, 0
	s_and_saveexec_b64 s[20:21], s[18:19]
	s_cbranch_execnz .LBB262_24
	s_branch .LBB262_25
.LBB262_286:
	v_bfe_u32 v3, v2, 21, 1
	s_mov_b32 s22, 0x88fffff
	v_add3_u32 v3, v2, v3, s22
	s_mov_b64 s[18:19], exec
	v_lshrrev_b32_e32 v3, 21, v3
	s_andn2_saveexec_b64 s[20:21], s[20:21]
	s_cbranch_execz .LBB262_31
.LBB262_287:
	s_mov_b32 s22, 0x42800000
	v_add_f32_e64 v3, |v2|, s22
	v_and_b32_e32 v3, 0xff, v3
	v_cmp_ne_u32_e32 vcc, 0, v3
	s_andn2_b64 s[18:19], s[18:19], exec
	s_and_b64 s[22:23], vcc, exec
	s_or_b64 s[18:19], s[18:19], s[22:23]
	s_or_b64 exec, exec, s[20:21]
	v_mov_b32_e32 v4, 0
	s_and_saveexec_b64 s[20:21], s[18:19]
	s_cbranch_execnz .LBB262_32
	s_branch .LBB262_33
.LBB262_288:
	v_bfe_u32 v3, v2, 21, 1
	s_mov_b32 s22, 0x88fffff
	v_add3_u32 v3, v2, v3, s22
	s_mov_b64 s[18:19], exec
	v_lshrrev_b32_e32 v3, 21, v3
	s_andn2_saveexec_b64 s[20:21], s[20:21]
	s_cbranch_execz .LBB262_51
.LBB262_289:
	s_mov_b32 s22, 0x42800000
	v_add_f32_e64 v3, |v2|, s22
	v_and_b32_e32 v3, 0xff, v3
	v_cmp_ne_u32_e32 vcc, 0, v3
	s_andn2_b64 s[18:19], s[18:19], exec
	s_and_b64 s[22:23], vcc, exec
	s_or_b64 s[18:19], s[18:19], s[22:23]
	s_or_b64 exec, exec, s[20:21]
	v_mov_b32_e32 v4, 0
	s_and_saveexec_b64 s[20:21], s[18:19]
	s_cbranch_execnz .LBB262_52
	s_branch .LBB262_53
.LBB262_290:
	v_bfe_u32 v3, v2, 21, 1
	s_mov_b32 s22, 0x88fffff
	v_add3_u32 v3, v2, v3, s22
	s_mov_b64 s[18:19], exec
	v_lshrrev_b32_e32 v3, 21, v3
	s_andn2_saveexec_b64 s[20:21], s[20:21]
	s_cbranch_execz .LBB262_59
.LBB262_291:
	s_mov_b32 s22, 0x42800000
	v_add_f32_e64 v3, |v2|, s22
	v_and_b32_e32 v3, 0xff, v3
	v_cmp_ne_u32_e32 vcc, 0, v3
	s_andn2_b64 s[18:19], s[18:19], exec
	s_and_b64 s[22:23], vcc, exec
	s_or_b64 s[18:19], s[18:19], s[22:23]
	s_or_b64 exec, exec, s[20:21]
	v_mov_b32_e32 v4, 0
	s_and_saveexec_b64 s[20:21], s[18:19]
	s_cbranch_execnz .LBB262_60
	s_branch .LBB262_61
.LBB262_292:
	v_bfe_u32 v3, v2, 21, 1
	s_mov_b32 s22, 0x88fffff
	v_add3_u32 v3, v2, v3, s22
	s_mov_b64 s[18:19], exec
	v_lshrrev_b32_e32 v3, 21, v3
	s_andn2_saveexec_b64 s[20:21], s[20:21]
	s_cbranch_execz .LBB262_81
.LBB262_293:
	s_mov_b32 s22, 0x42800000
	v_add_f32_e64 v3, |v2|, s22
	v_and_b32_e32 v3, 0xff, v3
	v_cmp_ne_u32_e32 vcc, 0, v3
	s_andn2_b64 s[18:19], s[18:19], exec
	s_and_b64 s[22:23], vcc, exec
	s_or_b64 s[18:19], s[18:19], s[22:23]
	s_or_b64 exec, exec, s[20:21]
	v_mov_b32_e32 v4, 0
	s_and_saveexec_b64 s[20:21], s[18:19]
	s_cbranch_execnz .LBB262_82
	s_branch .LBB262_83
.LBB262_294:
	v_bfe_u32 v3, v2, 21, 1
	s_mov_b32 s22, 0x88fffff
	v_add3_u32 v3, v2, v3, s22
	s_mov_b64 s[18:19], exec
	v_lshrrev_b32_e32 v3, 21, v3
	s_andn2_saveexec_b64 s[20:21], s[20:21]
	s_cbranch_execz .LBB262_89
.LBB262_295:
	s_mov_b32 s22, 0x42800000
	v_add_f32_e64 v3, |v2|, s22
	v_and_b32_e32 v3, 0xff, v3
	v_cmp_ne_u32_e32 vcc, 0, v3
	s_andn2_b64 s[18:19], s[18:19], exec
	s_and_b64 s[22:23], vcc, exec
	s_or_b64 s[18:19], s[18:19], s[22:23]
	s_or_b64 exec, exec, s[20:21]
	v_mov_b32_e32 v4, 0
	s_and_saveexec_b64 s[20:21], s[18:19]
	s_cbranch_execnz .LBB262_90
	s_branch .LBB262_91
.LBB262_296:
	v_bfe_u32 v4, v6, 21, 1
	s_mov_b32 s26, 0x88fffff
	v_add3_u32 v4, v6, v4, s26
	s_mov_b64 s[22:23], exec
	v_lshrrev_b32_e32 v5, 21, v4
                                        ; implicit-def: $vgpr6
	s_andn2_saveexec_b64 s[24:25], s[24:25]
	s_cbranch_execz .LBB262_171
.LBB262_297:
	v_add_f32_e32 v4, 0x42800000, v6
	v_and_b32_e32 v5, 0xff, v4
	v_cmp_ne_u32_e32 vcc, 0, v5
	s_andn2_b64 s[22:23], s[22:23], exec
	s_and_b64 s[26:27], vcc, exec
	s_or_b64 s[22:23], s[22:23], s[26:27]
	s_or_b64 exec, exec, s[24:25]
	v_mov_b32_e32 v4, 0
	s_and_saveexec_b64 s[24:25], s[22:23]
	s_cbranch_execnz .LBB262_172
	s_branch .LBB262_173
.LBB262_298:
	v_bfe_u32 v4, v6, 21, 1
	s_mov_b32 s26, 0x88fffff
	v_add3_u32 v4, v6, v4, s26
	s_mov_b64 s[22:23], exec
	v_lshrrev_b32_e32 v5, 21, v4
                                        ; implicit-def: $vgpr6
	s_andn2_saveexec_b64 s[24:25], s[24:25]
	s_cbranch_execz .LBB262_183
.LBB262_299:
	v_add_f32_e32 v4, 0x42800000, v6
	v_and_b32_e32 v5, 0xff, v4
	v_cmp_ne_u32_e32 vcc, 0, v5
	s_andn2_b64 s[22:23], s[22:23], exec
	s_and_b64 s[26:27], vcc, exec
	s_or_b64 s[22:23], s[22:23], s[26:27]
	s_or_b64 exec, exec, s[24:25]
	v_mov_b32_e32 v4, 0
	s_and_saveexec_b64 s[24:25], s[22:23]
	s_cbranch_execnz .LBB262_184
	s_branch .LBB262_185
.LBB262_300:
	v_bfe_u32 v4, v6, 21, 1
	s_mov_b32 s26, 0x88fffff
	v_add3_u32 v4, v6, v4, s26
	s_mov_b64 s[22:23], exec
	v_lshrrev_b32_e32 v5, 21, v4
                                        ; implicit-def: $vgpr6
	s_andn2_saveexec_b64 s[24:25], s[24:25]
	s_cbranch_execz .LBB262_191
.LBB262_301:
	v_add_f32_e32 v4, 0x42800000, v6
	v_and_b32_e32 v5, 0xff, v4
	v_cmp_ne_u32_e32 vcc, 0, v5
	s_andn2_b64 s[22:23], s[22:23], exec
	s_and_b64 s[26:27], vcc, exec
	s_or_b64 s[22:23], s[22:23], s[26:27]
	s_or_b64 exec, exec, s[24:25]
	v_mov_b32_e32 v4, 0
	s_and_saveexec_b64 s[24:25], s[22:23]
	s_cbranch_execnz .LBB262_192
	s_branch .LBB262_193
.LBB262_302:
	v_bfe_u32 v4, v7, 21, 1
	s_mov_b32 s24, 0x88fffff
	v_add3_u32 v4, v5, v4, s24
	s_mov_b64 s[20:21], exec
	v_lshrrev_b32_e32 v6, 21, v4
	s_andn2_saveexec_b64 s[22:23], s[22:23]
	s_cbranch_execz .LBB262_218
.LBB262_303:
	s_mov_b32 s24, 0x42800000
	v_add_f32_e64 v4, |v5|, s24
	v_and_b32_e32 v6, 0xff, v4
	v_cmp_ne_u32_e32 vcc, 0, v6
	s_andn2_b64 s[20:21], s[20:21], exec
	s_and_b64 s[24:25], vcc, exec
	s_or_b64 s[20:21], s[20:21], s[24:25]
	s_or_b64 exec, exec, s[22:23]
	v_mov_b32_e32 v4, 0
	s_and_saveexec_b64 s[22:23], s[20:21]
	s_cbranch_execnz .LBB262_219
	s_branch .LBB262_220
.LBB262_304:
	v_bfe_u32 v4, v5, 5, 1
	s_mov_b32 s26, 0x88fffff
	v_add3_u32 v4, v7, v4, s26
	s_mov_b64 s[22:23], exec
	v_lshrrev_b32_e32 v6, 21, v4
                                        ; implicit-def: $vgpr7
	s_andn2_saveexec_b64 s[24:25], s[24:25]
	s_cbranch_execz .LBB262_238
.LBB262_305:
	s_mov_b32 s26, 0x42800000
	v_add_f32_e64 v4, |v7|, s26
	v_and_b32_e32 v6, 0xff, v4
	v_cmp_ne_u32_e32 vcc, 0, v6
	s_andn2_b64 s[22:23], s[22:23], exec
	s_and_b64 s[26:27], vcc, exec
	s_or_b64 s[22:23], s[22:23], s[26:27]
	s_or_b64 exec, exec, s[24:25]
	v_mov_b32_e32 v4, 0
	s_and_saveexec_b64 s[24:25], s[22:23]
	s_cbranch_execnz .LBB262_239
	s_branch .LBB262_240
.LBB262_306:
	v_bfe_u32 v4, v5, 21, 1
	s_mov_b32 s24, 0x88fffff
	v_add3_u32 v4, v5, v4, s24
	s_mov_b64 s[20:21], exec
	v_lshrrev_b32_e32 v6, 21, v4
	s_andn2_saveexec_b64 s[22:23], s[22:23]
	s_cbranch_execz .LBB262_150
.LBB262_307:
	s_mov_b32 s24, 0x42800000
	v_add_f32_e64 v4, |v5|, s24
	v_and_b32_e32 v6, 0xff, v4
	v_cmp_ne_u32_e32 vcc, 0, v6
	s_andn2_b64 s[20:21], s[20:21], exec
	s_and_b64 s[24:25], vcc, exec
	s_or_b64 s[20:21], s[20:21], s[24:25]
	s_or_b64 exec, exec, s[22:23]
	v_mov_b32_e32 v4, 0
	s_and_saveexec_b64 s[22:23], s[20:21]
	s_cbranch_execnz .LBB262_151
	s_branch .LBB262_152
.LBB262_308:
	v_bfe_u32 v4, v6, 21, 1
	s_mov_b32 s28, 0x88fffff
	v_add3_u32 v4, v6, v4, s28
	s_mov_b64 s[24:25], exec
	v_lshrrev_b32_e32 v5, 21, v4
                                        ; implicit-def: $vgpr6
	s_andn2_saveexec_b64 s[26:27], s[26:27]
	s_cbranch_execz .LBB262_160
.LBB262_309:
	v_add_f32_e32 v4, 0x42800000, v6
	v_and_b32_e32 v5, 0xff, v4
	v_cmp_ne_u32_e32 vcc, 0, v5
	s_andn2_b64 s[24:25], s[24:25], exec
	s_and_b64 s[28:29], vcc, exec
	s_or_b64 s[24:25], s[24:25], s[28:29]
	s_or_b64 exec, exec, s[26:27]
	v_mov_b32_e32 v4, 0
	s_and_saveexec_b64 s[26:27], s[24:25]
	s_cbranch_execnz .LBB262_161
	s_branch .LBB262_162
.Lfunc_end262:
	.size	_ZN2at6native6invokeINS0_13AUnaryFunctorIN3c1015Float8_e5m2fnuzES4_bNS0_12_GLOBAL__N_116CompareEqFunctorIS4_EEEEi15function_traitsIS8_EEENT1_11result_typeERKT_PrKPcPKT0_PKNS3_10ScalarTypeEi, .Lfunc_end262-_ZN2at6native6invokeINS0_13AUnaryFunctorIN3c1015Float8_e5m2fnuzES4_bNS0_12_GLOBAL__N_116CompareEqFunctorIS4_EEEEi15function_traitsIS8_EEENT1_11result_typeERKT_PrKPcPKT0_PKNS3_10ScalarTypeEi
                                        ; -- End function
	.set .L_ZN2at6native6invokeINS0_13AUnaryFunctorIN3c1015Float8_e5m2fnuzES4_bNS0_12_GLOBAL__N_116CompareEqFunctorIS4_EEEEi15function_traitsIS8_EEENT1_11result_typeERKT_PrKPcPKT0_PKNS3_10ScalarTypeEi.num_vgpr, 10
	.set .L_ZN2at6native6invokeINS0_13AUnaryFunctorIN3c1015Float8_e5m2fnuzES4_bNS0_12_GLOBAL__N_116CompareEqFunctorIS4_EEEEi15function_traitsIS8_EEENT1_11result_typeERKT_PrKPcPKT0_PKNS3_10ScalarTypeEi.num_agpr, 0
	.set .L_ZN2at6native6invokeINS0_13AUnaryFunctorIN3c1015Float8_e5m2fnuzES4_bNS0_12_GLOBAL__N_116CompareEqFunctorIS4_EEEEi15function_traitsIS8_EEENT1_11result_typeERKT_PrKPcPKT0_PKNS3_10ScalarTypeEi.numbered_sgpr, 32
	.set .L_ZN2at6native6invokeINS0_13AUnaryFunctorIN3c1015Float8_e5m2fnuzES4_bNS0_12_GLOBAL__N_116CompareEqFunctorIS4_EEEEi15function_traitsIS8_EEENT1_11result_typeERKT_PrKPcPKT0_PKNS3_10ScalarTypeEi.num_named_barrier, 0
	.set .L_ZN2at6native6invokeINS0_13AUnaryFunctorIN3c1015Float8_e5m2fnuzES4_bNS0_12_GLOBAL__N_116CompareEqFunctorIS4_EEEEi15function_traitsIS8_EEENT1_11result_typeERKT_PrKPcPKT0_PKNS3_10ScalarTypeEi.private_seg_size, 0
	.set .L_ZN2at6native6invokeINS0_13AUnaryFunctorIN3c1015Float8_e5m2fnuzES4_bNS0_12_GLOBAL__N_116CompareEqFunctorIS4_EEEEi15function_traitsIS8_EEENT1_11result_typeERKT_PrKPcPKT0_PKNS3_10ScalarTypeEi.uses_vcc, 1
	.set .L_ZN2at6native6invokeINS0_13AUnaryFunctorIN3c1015Float8_e5m2fnuzES4_bNS0_12_GLOBAL__N_116CompareEqFunctorIS4_EEEEi15function_traitsIS8_EEENT1_11result_typeERKT_PrKPcPKT0_PKNS3_10ScalarTypeEi.uses_flat_scratch, 0
	.set .L_ZN2at6native6invokeINS0_13AUnaryFunctorIN3c1015Float8_e5m2fnuzES4_bNS0_12_GLOBAL__N_116CompareEqFunctorIS4_EEEEi15function_traitsIS8_EEENT1_11result_typeERKT_PrKPcPKT0_PKNS3_10ScalarTypeEi.has_dyn_sized_stack, 0
	.set .L_ZN2at6native6invokeINS0_13AUnaryFunctorIN3c1015Float8_e5m2fnuzES4_bNS0_12_GLOBAL__N_116CompareEqFunctorIS4_EEEEi15function_traitsIS8_EEENT1_11result_typeERKT_PrKPcPKT0_PKNS3_10ScalarTypeEi.has_recursion, 0
	.set .L_ZN2at6native6invokeINS0_13AUnaryFunctorIN3c1015Float8_e5m2fnuzES4_bNS0_12_GLOBAL__N_116CompareEqFunctorIS4_EEEEi15function_traitsIS8_EEENT1_11result_typeERKT_PrKPcPKT0_PKNS3_10ScalarTypeEi.has_indirect_call, 0
	.section	.AMDGPU.csdata,"",@progbits
; Function info:
; codeLenInByte = 7460
; TotalNumSgprs: 36
; NumVgprs: 10
; ScratchSize: 0
; MemoryBound: 0
	.section	.text._ZN2at6native32elementwise_kernel_manual_unrollILi128ELi4EZNS0_15gpu_kernel_implINS0_13AUnaryFunctorIN3c1015Float8_e5m2fnuzES5_bNS0_12_GLOBAL__N_116CompareEqFunctorIS5_EEEEEEvRNS_18TensorIteratorBaseERKT_EUlibE_EEviT1_,"axG",@progbits,_ZN2at6native32elementwise_kernel_manual_unrollILi128ELi4EZNS0_15gpu_kernel_implINS0_13AUnaryFunctorIN3c1015Float8_e5m2fnuzES5_bNS0_12_GLOBAL__N_116CompareEqFunctorIS5_EEEEEEvRNS_18TensorIteratorBaseERKT_EUlibE_EEviT1_,comdat
	.globl	_ZN2at6native32elementwise_kernel_manual_unrollILi128ELi4EZNS0_15gpu_kernel_implINS0_13AUnaryFunctorIN3c1015Float8_e5m2fnuzES5_bNS0_12_GLOBAL__N_116CompareEqFunctorIS5_EEEEEEvRNS_18TensorIteratorBaseERKT_EUlibE_EEviT1_ ; -- Begin function _ZN2at6native32elementwise_kernel_manual_unrollILi128ELi4EZNS0_15gpu_kernel_implINS0_13AUnaryFunctorIN3c1015Float8_e5m2fnuzES5_bNS0_12_GLOBAL__N_116CompareEqFunctorIS5_EEEEEEvRNS_18TensorIteratorBaseERKT_EUlibE_EEviT1_
	.p2align	8
	.type	_ZN2at6native32elementwise_kernel_manual_unrollILi128ELi4EZNS0_15gpu_kernel_implINS0_13AUnaryFunctorIN3c1015Float8_e5m2fnuzES5_bNS0_12_GLOBAL__N_116CompareEqFunctorIS5_EEEEEEvRNS_18TensorIteratorBaseERKT_EUlibE_EEviT1_,@function
_ZN2at6native32elementwise_kernel_manual_unrollILi128ELi4EZNS0_15gpu_kernel_implINS0_13AUnaryFunctorIN3c1015Float8_e5m2fnuzES5_bNS0_12_GLOBAL__N_116CompareEqFunctorIS5_EEEEEEvRNS_18TensorIteratorBaseERKT_EUlibE_EEviT1_: ; @_ZN2at6native32elementwise_kernel_manual_unrollILi128ELi4EZNS0_15gpu_kernel_implINS0_13AUnaryFunctorIN3c1015Float8_e5m2fnuzES5_bNS0_12_GLOBAL__N_116CompareEqFunctorIS5_EEEEEEvRNS_18TensorIteratorBaseERKT_EUlibE_EEviT1_
; %bb.0:
	s_load_dwordx2 s[48:49], s[4:5], 0x24
	s_load_dword s60, s[4:5], 0x0
	s_load_dwordx8 s[40:47], s[4:5], 0x8
	v_lshl_or_b32 v10, s6, 9, v0
	s_add_u32 s0, s0, s7
	v_or_b32_e32 v11, 0x180, v10
	s_addc_u32 s1, s1, 0
	s_waitcnt lgkmcnt(0)
	s_bfe_u32 s33, s49, 0x80008
	v_cmp_le_i32_e32 vcc, s60, v11
	s_mov_b64 s[34:35], 0
	s_mov_b64 s[50:51], 0
	s_mov_b32 s32, 0
	s_and_saveexec_b64 s[4:5], vcc
	s_xor_b64 s[36:37], exec, s[4:5]
	s_cbranch_execz .LBB263_508
; %bb.1:
	v_cmp_gt_i32_e32 vcc, s60, v10
	s_mov_b64 s[4:5], -1
	s_mov_b64 s[54:55], 0
	s_mov_b64 s[38:39], 0
	s_and_saveexec_b64 s[50:51], vcc
	s_cbranch_execz .LBB263_124
; %bb.2:
	s_getpc_b64 s[4:5]
	s_add_u32 s4, s4, _ZN2at6native6invokeINS0_13AUnaryFunctorIN3c1015Float8_e5m2fnuzES4_bNS0_12_GLOBAL__N_116CompareEqFunctorIS4_EEEEi15function_traitsIS8_EEENT1_11result_typeERKT_PrKPcPKT0_PKNS3_10ScalarTypeEi@rel32@lo+4
	s_addc_u32 s5, s5, _ZN2at6native6invokeINS0_13AUnaryFunctorIN3c1015Float8_e5m2fnuzES4_bNS0_12_GLOBAL__N_116CompareEqFunctorIS4_EEEEi15function_traitsIS8_EEENT1_11result_typeERKT_PrKPcPKT0_PKNS3_10ScalarTypeEi@rel32@hi+12
	v_mov_b32_e32 v0, s46
	v_mov_b32_e32 v1, s48
	;; [unrolled: 1-line block ×7, first 2 shown]
	s_swappc_b64 s[30:31], s[4:5]
	v_and_b32_e32 v0, 1, v0
	v_cmp_eq_u32_e64 s[4:5], 1, v0
	v_mul_lo_u32 v0, v10, s44
	v_mov_b32_e32 v1, s41
	s_and_b32 s14, s49, 0xff
	s_cmp_lt_i32 s14, 11
	v_ashrrev_i32_e32 v2, 31, v0
	v_add_co_u32_e32 v0, vcc, s40, v0
	v_addc_co_u32_e32 v1, vcc, v1, v2, vcc
	s_cbranch_scc1 .LBB263_9
; %bb.3:
	s_and_b32 s15, 0xffff, s14
	s_cmp_gt_i32 s15, 25
	s_cbranch_scc0 .LBB263_12
; %bb.4:
	s_cmp_gt_i32 s15, 28
	s_cbranch_scc0 .LBB263_13
; %bb.5:
	;; [unrolled: 3-line block ×4, first 2 shown]
	s_mov_b64 s[10:11], 0
	s_mov_b64 s[6:7], -1
	s_cmp_eq_u32 s15, 46
	s_mov_b64 s[8:9], 0
	s_cbranch_scc0 .LBB263_16
; %bb.8:
	v_cndmask_b32_e64 v2, 0, 1.0, s[4:5]
	v_bfe_u32 v3, v2, 16, 1
	s_movk_i32 s6, 0x7fff
	v_add3_u32 v2, v2, v3, s6
	v_lshrrev_b32_e32 v2, 16, v2
	global_store_dword v[0:1], v2, off
	s_mov_b64 s[8:9], -1
	s_mov_b64 s[6:7], 0
	s_branch .LBB263_16
.LBB263_9:
	s_mov_b64 s[6:7], 0
	s_mov_b64 s[8:9], 0
	s_cbranch_execnz .LBB263_84
.LBB263_10:
	s_andn2_b64 vcc, exec, s[8:9]
	s_cbranch_vccnz .LBB263_122
.LBB263_11:
	v_add_u32_e32 v10, 0x80, v10
	s_mov_b64 s[4:5], -1
	s_branch .LBB263_123
.LBB263_12:
	s_mov_b64 s[6:7], 0
	s_mov_b64 s[8:9], 0
	s_cbranch_execnz .LBB263_43
	s_branch .LBB263_83
.LBB263_13:
	s_mov_b64 s[10:11], -1
	s_mov_b64 s[6:7], 0
	s_mov_b64 s[8:9], 0
	s_branch .LBB263_26
.LBB263_14:
	s_mov_b64 s[10:11], -1
	s_mov_b64 s[6:7], 0
	s_mov_b64 s[8:9], 0
	s_branch .LBB263_22
.LBB263_15:
	s_mov_b64 s[10:11], -1
	s_mov_b64 s[6:7], 0
	s_mov_b64 s[8:9], 0
.LBB263_16:
	s_and_b64 vcc, exec, s[10:11]
	s_cbranch_vccz .LBB263_21
; %bb.17:
	s_cmp_eq_u32 s15, 44
	s_mov_b64 s[6:7], -1
	s_cbranch_scc0 .LBB263_21
; %bb.18:
	v_cndmask_b32_e64 v3, 0, 1.0, s[4:5]
	v_lshrrev_b32_e32 v2, 23, v3
	s_movk_i32 s6, 0xff
	v_cmp_ne_u32_e32 vcc, s6, v2
	v_mov_b32_e32 v4, 0xff
	s_and_saveexec_b64 s[8:9], vcc
; %bb.19:
	s_mov_b32 s6, 0x3fffff
	v_and_b32_e32 v4, 0x400000, v3
	v_and_or_b32 v3, v3, s6, v2
	v_cmp_ne_u32_e32 vcc, 0, v4
	v_cmp_ne_u32_e64 s[6:7], 0, v3
	s_and_b64 s[6:7], vcc, s[6:7]
	v_cndmask_b32_e64 v3, 0, 1, s[6:7]
	v_add_u32_e32 v4, v2, v3
; %bb.20:
	s_or_b64 exec, exec, s[8:9]
	s_mov_b64 s[8:9], -1
	s_mov_b64 s[6:7], 0
	global_store_byte v[0:1], v4, off
.LBB263_21:
	s_mov_b64 s[10:11], 0
.LBB263_22:
	s_and_b64 vcc, exec, s[10:11]
	s_cbranch_vccz .LBB263_25
; %bb.23:
	s_cmp_eq_u32 s15, 29
	s_mov_b64 s[6:7], -1
	s_cbranch_scc0 .LBB263_25
; %bb.24:
	s_mov_b32 s6, 0
	v_cndmask_b32_e64 v2, 0, 1, s[4:5]
	v_mov_b32_e32 v3, s6
	global_store_dwordx2 v[0:1], v[2:3], off
	s_mov_b64 s[8:9], -1
	s_mov_b64 s[6:7], 0
.LBB263_25:
	s_mov_b64 s[10:11], 0
.LBB263_26:
	s_and_b64 vcc, exec, s[10:11]
	s_cbranch_vccz .LBB263_42
; %bb.27:
	s_cmp_lt_i32 s15, 27
	s_mov_b64 s[8:9], -1
	s_cbranch_scc1 .LBB263_33
; %bb.28:
	s_cmp_gt_i32 s15, 27
	s_cbranch_scc0 .LBB263_30
; %bb.29:
	v_cndmask_b32_e64 v2, 0, 1, s[4:5]
	s_mov_b64 s[8:9], 0
	global_store_dword v[0:1], v2, off
.LBB263_30:
	s_andn2_b64 vcc, exec, s[8:9]
	s_cbranch_vccnz .LBB263_32
; %bb.31:
	v_cndmask_b32_e64 v2, 0, 1, s[4:5]
	global_store_short v[0:1], v2, off
.LBB263_32:
	s_mov_b64 s[8:9], 0
.LBB263_33:
	s_andn2_b64 vcc, exec, s[8:9]
	s_cbranch_vccnz .LBB263_41
; %bb.34:
	v_cndmask_b32_e64 v3, 0, 1.0, s[4:5]
	s_mov_b32 s8, 0x43800000
	v_cmp_gt_u32_e32 vcc, s8, v3
	v_mov_b32_e32 v4, 0x80
	s_and_saveexec_b64 s[8:9], vcc
	s_cbranch_execz .LBB263_40
; %bb.35:
	s_mov_b32 s10, 0x3bffffff
	v_cmp_lt_u32_e32 vcc, s10, v3
	s_mov_b64 s[10:11], 0
                                        ; implicit-def: $vgpr2
	s_and_saveexec_b64 s[12:13], vcc
	s_xor_b64 s[12:13], exec, s[12:13]
	s_cbranch_execz .LBB263_141
; %bb.36:
	v_bfe_u32 v2, v3, 20, 1
	s_mov_b32 s16, 0x487ffff
	v_add3_u32 v2, v3, v2, s16
	s_mov_b64 s[10:11], exec
	v_lshrrev_b32_e32 v2, 20, v2
                                        ; implicit-def: $vgpr3
	s_andn2_saveexec_b64 s[12:13], s[12:13]
	s_cbranch_execnz .LBB263_142
.LBB263_37:
	s_or_b64 exec, exec, s[12:13]
	v_mov_b32_e32 v4, 0
	s_and_saveexec_b64 s[12:13], s[10:11]
.LBB263_38:
	v_mov_b32_e32 v4, v2
.LBB263_39:
	s_or_b64 exec, exec, s[12:13]
.LBB263_40:
	s_or_b64 exec, exec, s[8:9]
	global_store_byte v[0:1], v4, off
.LBB263_41:
	s_mov_b64 s[8:9], -1
.LBB263_42:
	s_branch .LBB263_83
.LBB263_43:
	s_cmp_gt_i32 s15, 22
	s_mov_b64 s[10:11], -1
	s_cbranch_scc0 .LBB263_75
; %bb.44:
	s_cmp_lt_i32 s15, 24
	s_mov_b64 s[8:9], -1
	s_cbranch_scc1 .LBB263_64
; %bb.45:
	s_cmp_gt_i32 s15, 24
	s_cbranch_scc0 .LBB263_53
; %bb.46:
	v_cndmask_b32_e64 v3, 0, 1.0, s[4:5]
	s_mov_b32 s8, 0x47800000
	v_cmp_gt_u32_e32 vcc, s8, v3
	v_mov_b32_e32 v4, 0x80
	s_and_saveexec_b64 s[8:9], vcc
	s_cbranch_execz .LBB263_52
; %bb.47:
	s_mov_b32 s10, 0x37ffffff
	v_cmp_lt_u32_e32 vcc, s10, v3
	s_mov_b64 s[10:11], 0
                                        ; implicit-def: $vgpr2
	s_and_saveexec_b64 s[12:13], vcc
	s_xor_b64 s[12:13], exec, s[12:13]
	s_cbranch_execz .LBB263_144
; %bb.48:
	v_bfe_u32 v2, v3, 21, 1
	s_mov_b32 s16, 0x88fffff
	v_add3_u32 v2, v3, v2, s16
	s_mov_b64 s[10:11], exec
	v_lshrrev_b32_e32 v2, 21, v2
                                        ; implicit-def: $vgpr3
	s_andn2_saveexec_b64 s[12:13], s[12:13]
	s_cbranch_execnz .LBB263_145
.LBB263_49:
	s_or_b64 exec, exec, s[12:13]
	v_mov_b32_e32 v4, 0
	s_and_saveexec_b64 s[12:13], s[10:11]
.LBB263_50:
	v_mov_b32_e32 v4, v2
.LBB263_51:
	s_or_b64 exec, exec, s[12:13]
.LBB263_52:
	s_or_b64 exec, exec, s[8:9]
	s_mov_b64 s[8:9], 0
	global_store_byte v[0:1], v4, off
.LBB263_53:
	s_and_b64 vcc, exec, s[8:9]
	s_cbranch_vccz .LBB263_63
; %bb.54:
	v_cndmask_b32_e64 v2, 0, 1.0, s[4:5]
	s_mov_b32 s8, 0x43f00000
	v_cmp_gt_u32_e32 vcc, s8, v2
                                        ; implicit-def: $vgpr3
	s_and_saveexec_b64 s[8:9], vcc
	s_xor_b64 s[8:9], exec, s[8:9]
	s_cbranch_execz .LBB263_60
; %bb.55:
	s_mov_b32 s10, 0x3c7fffff
	v_cmp_lt_u32_e32 vcc, s10, v2
                                        ; implicit-def: $vgpr3
	s_and_saveexec_b64 s[10:11], vcc
	s_xor_b64 s[10:11], exec, s[10:11]
; %bb.56:
	v_bfe_u32 v3, v2, 20, 1
	s_mov_b32 s12, 0x407ffff
	v_add3_u32 v2, v2, v3, s12
	v_lshrrev_b32_e32 v3, 20, v2
	v_and_b32_e32 v2, 0xff00000, v2
	s_mov_b32 s12, 0x7f00000
	v_mov_b32_e32 v4, 0x7e
	v_cmp_ne_u32_e32 vcc, s12, v2
	v_cndmask_b32_e32 v3, v4, v3, vcc
                                        ; implicit-def: $vgpr2
; %bb.57:
	s_andn2_saveexec_b64 s[10:11], s[10:11]
; %bb.58:
	v_add_f32_e32 v3, 0x46800000, v2
; %bb.59:
	s_or_b64 exec, exec, s[10:11]
                                        ; implicit-def: $vgpr2
.LBB263_60:
	s_andn2_saveexec_b64 s[8:9], s[8:9]
; %bb.61:
	s_mov_b32 s10, 0x7f800000
	v_mov_b32_e32 v3, 0x7e
	v_mov_b32_e32 v4, 0x7f
	v_cmp_lt_u32_e32 vcc, s10, v2
	v_cndmask_b32_e32 v3, v3, v4, vcc
; %bb.62:
	s_or_b64 exec, exec, s[8:9]
	global_store_byte v[0:1], v3, off
.LBB263_63:
	s_mov_b64 s[8:9], 0
.LBB263_64:
	s_andn2_b64 vcc, exec, s[8:9]
	s_cbranch_vccnz .LBB263_74
; %bb.65:
	v_cndmask_b32_e64 v2, 0, 1.0, s[4:5]
	s_mov_b32 s8, 0x47800000
	v_cmp_gt_u32_e32 vcc, s8, v2
                                        ; implicit-def: $vgpr3
	s_and_saveexec_b64 s[8:9], vcc
	s_xor_b64 s[8:9], exec, s[8:9]
	s_cbranch_execz .LBB263_71
; %bb.66:
	s_mov_b32 s10, 0x387fffff
	v_cmp_lt_u32_e32 vcc, s10, v2
                                        ; implicit-def: $vgpr3
	s_and_saveexec_b64 s[10:11], vcc
	s_xor_b64 s[10:11], exec, s[10:11]
; %bb.67:
	v_bfe_u32 v3, v2, 21, 1
	s_mov_b32 s12, 0x80fffff
	v_add3_u32 v2, v2, v3, s12
	v_lshrrev_b32_e32 v3, 21, v2
                                        ; implicit-def: $vgpr2
; %bb.68:
	s_andn2_saveexec_b64 s[10:11], s[10:11]
; %bb.69:
	v_add_f32_e32 v3, 0x43000000, v2
; %bb.70:
	s_or_b64 exec, exec, s[10:11]
                                        ; implicit-def: $vgpr2
.LBB263_71:
	s_andn2_saveexec_b64 s[8:9], s[8:9]
; %bb.72:
	s_mov_b32 s10, 0x7f800000
	v_mov_b32_e32 v3, 0x7c
	v_mov_b32_e32 v4, 0x7f
	v_cmp_lt_u32_e32 vcc, s10, v2
	v_cndmask_b32_e32 v3, v3, v4, vcc
; %bb.73:
	s_or_b64 exec, exec, s[8:9]
	global_store_byte v[0:1], v3, off
.LBB263_74:
	s_mov_b64 s[10:11], 0
	s_mov_b64 s[8:9], -1
.LBB263_75:
	s_andn2_b64 vcc, exec, s[10:11]
	s_cbranch_vccnz .LBB263_83
; %bb.76:
	s_cmp_gt_i32 s15, 14
	s_mov_b64 s[10:11], -1
	s_cbranch_scc0 .LBB263_80
; %bb.77:
	s_cmp_eq_u32 s15, 15
	s_mov_b64 s[6:7], -1
	s_cbranch_scc0 .LBB263_79
; %bb.78:
	v_cndmask_b32_e64 v2, 0, 1.0, s[4:5]
	v_bfe_u32 v3, v2, 16, 1
	s_movk_i32 s6, 0x7fff
	v_add3_u32 v2, v2, v3, s6
	global_store_short_d16_hi v[0:1], v2, off
	s_mov_b64 s[8:9], -1
	s_mov_b64 s[6:7], 0
.LBB263_79:
	s_mov_b64 s[10:11], 0
.LBB263_80:
	s_and_b64 vcc, exec, s[10:11]
	s_cbranch_vccz .LBB263_83
; %bb.81:
	s_cmp_eq_u32 s15, 11
	s_mov_b64 s[6:7], -1
	s_cbranch_scc0 .LBB263_83
; %bb.82:
	v_cndmask_b32_e64 v2, 0, 1, s[4:5]
	s_mov_b64 s[8:9], -1
	s_mov_b64 s[6:7], 0
	global_store_byte v[0:1], v2, off
.LBB263_83:
	s_branch .LBB263_10
.LBB263_84:
	s_and_b32 s10, 0xffff, s14
	s_cmp_lt_i32 s10, 5
	s_mov_b64 s[8:9], -1
	s_cbranch_scc1 .LBB263_105
; %bb.85:
	s_cmp_lt_i32 s10, 8
	s_cbranch_scc1 .LBB263_95
; %bb.86:
	s_cmp_lt_i32 s10, 9
	s_cbranch_scc1 .LBB263_92
; %bb.87:
	s_cmp_gt_i32 s10, 9
	s_cbranch_scc0 .LBB263_89
; %bb.88:
	v_cndmask_b32_e64 v2, 0, 1, s[4:5]
	v_cvt_f64_u32_e32 v[2:3], v2
	v_mov_b32_e32 v4, 0
	v_mov_b32_e32 v5, v4
	s_mov_b64 s[8:9], 0
	global_store_dwordx4 v[0:1], v[2:5], off
.LBB263_89:
	s_andn2_b64 vcc, exec, s[8:9]
	s_cbranch_vccnz .LBB263_91
; %bb.90:
	v_cndmask_b32_e64 v2, 0, 1.0, s[4:5]
	v_mov_b32_e32 v3, 0
	global_store_dwordx2 v[0:1], v[2:3], off
.LBB263_91:
	s_mov_b64 s[8:9], 0
.LBB263_92:
	s_andn2_b64 vcc, exec, s[8:9]
	s_cbranch_vccnz .LBB263_94
; %bb.93:
	v_cndmask_b32_e64 v2, 0, 1.0, s[4:5]
	v_cvt_f16_f32_e32 v2, v2
	global_store_dword v[0:1], v2, off
.LBB263_94:
	s_mov_b64 s[8:9], 0
.LBB263_95:
	s_andn2_b64 vcc, exec, s[8:9]
	s_cbranch_vccnz .LBB263_104
; %bb.96:
	s_cmp_lt_i32 s10, 6
	s_mov_b64 s[8:9], -1
	s_cbranch_scc1 .LBB263_102
; %bb.97:
	s_cmp_gt_i32 s10, 6
	s_cbranch_scc0 .LBB263_99
; %bb.98:
	v_cndmask_b32_e64 v2, 0, 1, s[4:5]
	v_cvt_f64_u32_e32 v[2:3], v2
	s_mov_b64 s[8:9], 0
	global_store_dwordx2 v[0:1], v[2:3], off
.LBB263_99:
	s_andn2_b64 vcc, exec, s[8:9]
	s_cbranch_vccnz .LBB263_101
; %bb.100:
	v_cndmask_b32_e64 v2, 0, 1.0, s[4:5]
	global_store_dword v[0:1], v2, off
.LBB263_101:
	s_mov_b64 s[8:9], 0
.LBB263_102:
	s_andn2_b64 vcc, exec, s[8:9]
	s_cbranch_vccnz .LBB263_104
; %bb.103:
	v_cndmask_b32_e64 v2, 0, 1.0, s[4:5]
	v_cvt_f16_f32_e32 v2, v2
	global_store_short v[0:1], v2, off
.LBB263_104:
	s_mov_b64 s[8:9], 0
.LBB263_105:
	s_andn2_b64 vcc, exec, s[8:9]
	s_cbranch_vccnz .LBB263_121
; %bb.106:
	s_cmp_lt_i32 s10, 2
	s_mov_b64 s[8:9], -1
	s_cbranch_scc1 .LBB263_116
; %bb.107:
	s_cmp_lt_i32 s10, 3
	s_cbranch_scc1 .LBB263_113
; %bb.108:
	s_cmp_gt_i32 s10, 3
	s_cbranch_scc0 .LBB263_110
; %bb.109:
	s_mov_b32 s8, 0
	v_cndmask_b32_e64 v2, 0, 1, s[4:5]
	v_mov_b32_e32 v3, s8
	global_store_dwordx2 v[0:1], v[2:3], off
	s_mov_b64 s[8:9], 0
.LBB263_110:
	s_andn2_b64 vcc, exec, s[8:9]
	s_cbranch_vccnz .LBB263_112
; %bb.111:
	v_cndmask_b32_e64 v2, 0, 1, s[4:5]
	global_store_dword v[0:1], v2, off
.LBB263_112:
	s_mov_b64 s[8:9], 0
.LBB263_113:
	s_andn2_b64 vcc, exec, s[8:9]
	s_cbranch_vccnz .LBB263_115
; %bb.114:
	v_cndmask_b32_e64 v2, 0, 1, s[4:5]
	global_store_short v[0:1], v2, off
.LBB263_115:
	s_mov_b64 s[8:9], 0
.LBB263_116:
	s_andn2_b64 vcc, exec, s[8:9]
	s_cbranch_vccnz .LBB263_121
; %bb.117:
	s_mov_b64 s[8:9], -1
	s_cmp_gt_i32 s10, 0
	v_cndmask_b32_e64 v2, 0, 1, s[4:5]
	s_cbranch_scc0 .LBB263_119
; %bb.118:
	global_store_byte v[0:1], v2, off
	s_mov_b64 s[8:9], 0
.LBB263_119:
	s_andn2_b64 vcc, exec, s[8:9]
	s_cbranch_vccnz .LBB263_121
; %bb.120:
	global_store_byte v[0:1], v2, off
.LBB263_121:
	s_branch .LBB263_11
.LBB263_122:
	s_mov_b64 s[4:5], 0
                                        ; implicit-def: $vgpr10
.LBB263_123:
	s_and_b64 s[38:39], s[6:7], exec
	s_orn2_b64 s[4:5], s[4:5], exec
.LBB263_124:
	s_or_b64 exec, exec, s[50:51]
	s_mov_b64 s[8:9], 0
                                        ; implicit-def: $sgpr6_sgpr7
                                        ; implicit-def: $sgpr16
                                        ; implicit-def: $vgpr0_vgpr1
	s_and_saveexec_b64 s[50:51], s[4:5]
	s_cbranch_execz .LBB263_133
; %bb.125:
	v_cmp_gt_i32_e32 vcc, s60, v10
	s_mov_b64 s[10:11], -1
	s_mov_b64 s[52:53], s[38:39]
	s_and_saveexec_b64 s[54:55], vcc
	s_cbranch_execz .LBB263_256
; %bb.126:
	s_getpc_b64 s[4:5]
	s_add_u32 s4, s4, _ZN2at6native6invokeINS0_13AUnaryFunctorIN3c1015Float8_e5m2fnuzES4_bNS0_12_GLOBAL__N_116CompareEqFunctorIS4_EEEEi15function_traitsIS8_EEENT1_11result_typeERKT_PrKPcPKT0_PKNS3_10ScalarTypeEi@rel32@lo+4
	s_addc_u32 s5, s5, _ZN2at6native6invokeINS0_13AUnaryFunctorIN3c1015Float8_e5m2fnuzES4_bNS0_12_GLOBAL__N_116CompareEqFunctorIS4_EEEEi15function_traitsIS8_EEENT1_11result_typeERKT_PrKPcPKT0_PKNS3_10ScalarTypeEi@rel32@hi+12
	v_mov_b32_e32 v0, s46
	v_mov_b32_e32 v1, s48
	;; [unrolled: 1-line block ×7, first 2 shown]
	s_swappc_b64 s[30:31], s[4:5]
	v_and_b32_e32 v0, 1, v0
	v_cmp_eq_u32_e64 s[4:5], 1, v0
	v_mul_lo_u32 v0, v10, s44
	v_mov_b32_e32 v1, s41
	s_and_b32 s14, s49, 0xff
	s_cmp_lt_i32 s14, 11
	v_ashrrev_i32_e32 v2, 31, v0
	v_add_co_u32_e32 v0, vcc, s40, v0
	v_addc_co_u32_e32 v1, vcc, v1, v2, vcc
	s_cbranch_scc1 .LBB263_136
; %bb.127:
	s_and_b32 s15, 0xffff, s14
	s_cmp_gt_i32 s15, 25
	s_cbranch_scc0 .LBB263_139
; %bb.128:
	s_cmp_gt_i32 s15, 28
	s_cbranch_scc0 .LBB263_140
; %bb.129:
	;; [unrolled: 3-line block ×4, first 2 shown]
	s_mov_b64 s[10:11], 0
	s_mov_b64 s[6:7], -1
	s_cmp_eq_u32 s15, 46
	s_mov_b64 s[8:9], 0
	s_cbranch_scc0 .LBB263_147
; %bb.132:
	v_cndmask_b32_e64 v2, 0, 1.0, s[4:5]
	v_bfe_u32 v3, v2, 16, 1
	s_movk_i32 s6, 0x7fff
	v_add3_u32 v2, v2, v3, s6
	v_lshrrev_b32_e32 v2, 16, v2
	global_store_dword v[0:1], v2, off
	s_mov_b64 s[8:9], -1
	s_mov_b64 s[6:7], 0
	s_branch .LBB263_147
.LBB263_133:
	s_or_b64 exec, exec, s[50:51]
	s_mov_b64 s[4:5], 0
	s_and_saveexec_b64 s[10:11], s[38:39]
	s_cbranch_execnz .LBB263_468
.LBB263_134:
	s_or_b64 exec, exec, s[10:11]
	s_and_saveexec_b64 s[10:11], s[54:55]
	s_xor_b64 s[10:11], exec, s[10:11]
	s_cbranch_execz .LBB263_469
.LBB263_135:
	v_cndmask_b32_e64 v2, 0, 1, s[6:7]
	global_store_byte v[0:1], v2, off
	s_or_b64 exec, exec, s[10:11]
	s_and_saveexec_b64 s[10:11], s[8:9]
	s_xor_b64 s[8:9], exec, s[10:11]
	s_cbranch_execz .LBB263_507
	s_branch .LBB263_470
.LBB263_136:
	s_mov_b64 s[8:9], 0
	s_mov_b64 s[6:7], s[38:39]
	s_cbranch_execnz .LBB263_216
.LBB263_137:
	s_andn2_b64 vcc, exec, s[8:9]
	s_cbranch_vccnz .LBB263_254
.LBB263_138:
	v_add_u32_e32 v10, 0x80, v10
	s_mov_b64 s[4:5], -1
	s_branch .LBB263_255
.LBB263_139:
	s_mov_b64 s[10:11], -1
	s_mov_b64 s[8:9], 0
	s_mov_b64 s[6:7], s[38:39]
	s_branch .LBB263_174
.LBB263_140:
	s_mov_b64 s[10:11], -1
	s_mov_b64 s[8:9], 0
	s_mov_b64 s[6:7], s[38:39]
	s_branch .LBB263_157
.LBB263_141:
	s_andn2_saveexec_b64 s[12:13], s[12:13]
	s_cbranch_execz .LBB263_37
.LBB263_142:
	v_add_f32_e32 v2, 0x46000000, v3
	v_and_b32_e32 v2, 0xff, v2
	v_cmp_ne_u32_e32 vcc, 0, v2
	s_andn2_b64 s[10:11], s[10:11], exec
	s_and_b64 s[16:17], vcc, exec
	s_or_b64 s[10:11], s[10:11], s[16:17]
	s_or_b64 exec, exec, s[12:13]
	v_mov_b32_e32 v4, 0
	s_and_saveexec_b64 s[12:13], s[10:11]
	s_cbranch_execnz .LBB263_38
	s_branch .LBB263_39
.LBB263_143:
	s_mov_b64 s[10:11], -1
	s_mov_b64 s[8:9], 0
	s_mov_b64 s[6:7], s[38:39]
	s_branch .LBB263_153
.LBB263_144:
	s_andn2_saveexec_b64 s[12:13], s[12:13]
	s_cbranch_execz .LBB263_49
.LBB263_145:
	v_add_f32_e32 v2, 0x42800000, v3
	v_and_b32_e32 v2, 0xff, v2
	v_cmp_ne_u32_e32 vcc, 0, v2
	s_andn2_b64 s[10:11], s[10:11], exec
	s_and_b64 s[16:17], vcc, exec
	s_or_b64 s[10:11], s[10:11], s[16:17]
	s_or_b64 exec, exec, s[12:13]
	v_mov_b32_e32 v4, 0
	s_and_saveexec_b64 s[12:13], s[10:11]
	s_cbranch_execnz .LBB263_50
	s_branch .LBB263_51
.LBB263_146:
	s_mov_b64 s[10:11], -1
	s_mov_b64 s[8:9], 0
	s_mov_b64 s[6:7], s[38:39]
.LBB263_147:
	s_and_b64 vcc, exec, s[10:11]
	s_cbranch_vccz .LBB263_152
; %bb.148:
	s_cmp_eq_u32 s15, 44
	s_mov_b64 s[6:7], -1
	s_cbranch_scc0 .LBB263_152
; %bb.149:
	v_cndmask_b32_e64 v3, 0, 1.0, s[4:5]
	v_lshrrev_b32_e32 v2, 23, v3
	s_movk_i32 s6, 0xff
	v_cmp_ne_u32_e32 vcc, s6, v2
	v_mov_b32_e32 v4, 0xff
	s_and_saveexec_b64 s[8:9], vcc
; %bb.150:
	s_mov_b32 s6, 0x3fffff
	v_and_b32_e32 v4, 0x400000, v3
	v_and_or_b32 v3, v3, s6, v2
	v_cmp_ne_u32_e32 vcc, 0, v4
	v_cmp_ne_u32_e64 s[6:7], 0, v3
	s_and_b64 s[6:7], vcc, s[6:7]
	v_cndmask_b32_e64 v3, 0, 1, s[6:7]
	v_add_u32_e32 v4, v2, v3
; %bb.151:
	s_or_b64 exec, exec, s[8:9]
	s_mov_b64 s[8:9], -1
	s_mov_b64 s[6:7], 0
	global_store_byte v[0:1], v4, off
.LBB263_152:
	s_mov_b64 s[10:11], 0
.LBB263_153:
	s_and_b64 vcc, exec, s[10:11]
	s_cbranch_vccz .LBB263_156
; %bb.154:
	s_cmp_eq_u32 s15, 29
	s_mov_b64 s[6:7], -1
	s_cbranch_scc0 .LBB263_156
; %bb.155:
	s_mov_b32 s6, 0
	v_cndmask_b32_e64 v2, 0, 1, s[4:5]
	v_mov_b32_e32 v3, s6
	global_store_dwordx2 v[0:1], v[2:3], off
	s_mov_b64 s[8:9], -1
	s_mov_b64 s[6:7], 0
.LBB263_156:
	s_mov_b64 s[10:11], 0
.LBB263_157:
	s_and_b64 vcc, exec, s[10:11]
	s_cbranch_vccz .LBB263_173
; %bb.158:
	s_cmp_lt_i32 s15, 27
	s_mov_b64 s[8:9], -1
	s_cbranch_scc1 .LBB263_164
; %bb.159:
	s_cmp_gt_i32 s15, 27
	s_cbranch_scc0 .LBB263_161
; %bb.160:
	v_cndmask_b32_e64 v2, 0, 1, s[4:5]
	s_mov_b64 s[8:9], 0
	global_store_dword v[0:1], v2, off
.LBB263_161:
	s_andn2_b64 vcc, exec, s[8:9]
	s_cbranch_vccnz .LBB263_163
; %bb.162:
	v_cndmask_b32_e64 v2, 0, 1, s[4:5]
	global_store_short v[0:1], v2, off
.LBB263_163:
	s_mov_b64 s[8:9], 0
.LBB263_164:
	s_andn2_b64 vcc, exec, s[8:9]
	s_cbranch_vccnz .LBB263_172
; %bb.165:
	v_cndmask_b32_e64 v3, 0, 1.0, s[4:5]
	s_mov_b32 s8, 0x43800000
	v_cmp_gt_u32_e32 vcc, s8, v3
	v_mov_b32_e32 v4, 0x80
	s_and_saveexec_b64 s[8:9], vcc
	s_cbranch_execz .LBB263_171
; %bb.166:
	s_mov_b32 s10, 0x3bffffff
	v_cmp_lt_u32_e32 vcc, s10, v3
	s_mov_b64 s[10:11], 0
                                        ; implicit-def: $vgpr2
	s_and_saveexec_b64 s[12:13], vcc
	s_xor_b64 s[12:13], exec, s[12:13]
	s_cbranch_execz .LBB263_268
; %bb.167:
	v_bfe_u32 v2, v3, 20, 1
	s_mov_b32 s16, 0x487ffff
	v_add3_u32 v2, v3, v2, s16
	s_mov_b64 s[10:11], exec
	v_lshrrev_b32_e32 v2, 20, v2
                                        ; implicit-def: $vgpr3
	s_andn2_saveexec_b64 s[12:13], s[12:13]
	s_cbranch_execnz .LBB263_269
.LBB263_168:
	s_or_b64 exec, exec, s[12:13]
	v_mov_b32_e32 v4, 0
	s_and_saveexec_b64 s[12:13], s[10:11]
.LBB263_169:
	v_mov_b32_e32 v4, v2
.LBB263_170:
	s_or_b64 exec, exec, s[12:13]
.LBB263_171:
	s_or_b64 exec, exec, s[8:9]
	global_store_byte v[0:1], v4, off
.LBB263_172:
	s_mov_b64 s[8:9], -1
.LBB263_173:
	s_mov_b64 s[10:11], 0
.LBB263_174:
	s_and_b64 vcc, exec, s[10:11]
	s_cbranch_vccz .LBB263_215
; %bb.175:
	s_cmp_gt_i32 s15, 22
	s_mov_b64 s[10:11], -1
	s_cbranch_scc0 .LBB263_207
; %bb.176:
	s_cmp_lt_i32 s15, 24
	s_mov_b64 s[8:9], -1
	s_cbranch_scc1 .LBB263_196
; %bb.177:
	s_cmp_gt_i32 s15, 24
	s_cbranch_scc0 .LBB263_185
; %bb.178:
	v_cndmask_b32_e64 v3, 0, 1.0, s[4:5]
	s_mov_b32 s8, 0x47800000
	v_cmp_gt_u32_e32 vcc, s8, v3
	v_mov_b32_e32 v4, 0x80
	s_and_saveexec_b64 s[8:9], vcc
	s_cbranch_execz .LBB263_184
; %bb.179:
	s_mov_b32 s10, 0x37ffffff
	v_cmp_lt_u32_e32 vcc, s10, v3
	s_mov_b64 s[10:11], 0
                                        ; implicit-def: $vgpr2
	s_and_saveexec_b64 s[12:13], vcc
	s_xor_b64 s[12:13], exec, s[12:13]
	s_cbranch_execz .LBB263_271
; %bb.180:
	v_bfe_u32 v2, v3, 21, 1
	s_mov_b32 s16, 0x88fffff
	v_add3_u32 v2, v3, v2, s16
	s_mov_b64 s[10:11], exec
	v_lshrrev_b32_e32 v2, 21, v2
                                        ; implicit-def: $vgpr3
	s_andn2_saveexec_b64 s[12:13], s[12:13]
	s_cbranch_execnz .LBB263_272
.LBB263_181:
	s_or_b64 exec, exec, s[12:13]
	v_mov_b32_e32 v4, 0
	s_and_saveexec_b64 s[12:13], s[10:11]
.LBB263_182:
	v_mov_b32_e32 v4, v2
.LBB263_183:
	s_or_b64 exec, exec, s[12:13]
.LBB263_184:
	s_or_b64 exec, exec, s[8:9]
	s_mov_b64 s[8:9], 0
	global_store_byte v[0:1], v4, off
.LBB263_185:
	s_and_b64 vcc, exec, s[8:9]
	s_cbranch_vccz .LBB263_195
; %bb.186:
	v_cndmask_b32_e64 v2, 0, 1.0, s[4:5]
	s_mov_b32 s8, 0x43f00000
	v_cmp_gt_u32_e32 vcc, s8, v2
                                        ; implicit-def: $vgpr3
	s_and_saveexec_b64 s[8:9], vcc
	s_xor_b64 s[8:9], exec, s[8:9]
	s_cbranch_execz .LBB263_192
; %bb.187:
	s_mov_b32 s10, 0x3c7fffff
	v_cmp_lt_u32_e32 vcc, s10, v2
                                        ; implicit-def: $vgpr3
	s_and_saveexec_b64 s[10:11], vcc
	s_xor_b64 s[10:11], exec, s[10:11]
; %bb.188:
	v_bfe_u32 v3, v2, 20, 1
	s_mov_b32 s12, 0x407ffff
	v_add3_u32 v2, v2, v3, s12
	v_lshrrev_b32_e32 v3, 20, v2
	v_and_b32_e32 v2, 0xff00000, v2
	s_mov_b32 s12, 0x7f00000
	v_mov_b32_e32 v4, 0x7e
	v_cmp_ne_u32_e32 vcc, s12, v2
	v_cndmask_b32_e32 v3, v4, v3, vcc
                                        ; implicit-def: $vgpr2
; %bb.189:
	s_andn2_saveexec_b64 s[10:11], s[10:11]
; %bb.190:
	v_add_f32_e32 v3, 0x46800000, v2
; %bb.191:
	s_or_b64 exec, exec, s[10:11]
                                        ; implicit-def: $vgpr2
.LBB263_192:
	s_andn2_saveexec_b64 s[8:9], s[8:9]
; %bb.193:
	s_mov_b32 s10, 0x7f800000
	v_mov_b32_e32 v3, 0x7e
	v_mov_b32_e32 v4, 0x7f
	v_cmp_lt_u32_e32 vcc, s10, v2
	v_cndmask_b32_e32 v3, v3, v4, vcc
; %bb.194:
	s_or_b64 exec, exec, s[8:9]
	global_store_byte v[0:1], v3, off
.LBB263_195:
	s_mov_b64 s[8:9], 0
.LBB263_196:
	s_andn2_b64 vcc, exec, s[8:9]
	s_cbranch_vccnz .LBB263_206
; %bb.197:
	v_cndmask_b32_e64 v2, 0, 1.0, s[4:5]
	s_mov_b32 s8, 0x47800000
	v_cmp_gt_u32_e32 vcc, s8, v2
                                        ; implicit-def: $vgpr3
	s_and_saveexec_b64 s[8:9], vcc
	s_xor_b64 s[8:9], exec, s[8:9]
	s_cbranch_execz .LBB263_203
; %bb.198:
	s_mov_b32 s10, 0x387fffff
	v_cmp_lt_u32_e32 vcc, s10, v2
                                        ; implicit-def: $vgpr3
	s_and_saveexec_b64 s[10:11], vcc
	s_xor_b64 s[10:11], exec, s[10:11]
; %bb.199:
	v_bfe_u32 v3, v2, 21, 1
	s_mov_b32 s12, 0x80fffff
	v_add3_u32 v2, v2, v3, s12
	v_lshrrev_b32_e32 v3, 21, v2
                                        ; implicit-def: $vgpr2
; %bb.200:
	s_andn2_saveexec_b64 s[10:11], s[10:11]
; %bb.201:
	v_add_f32_e32 v3, 0x43000000, v2
; %bb.202:
	s_or_b64 exec, exec, s[10:11]
                                        ; implicit-def: $vgpr2
.LBB263_203:
	s_andn2_saveexec_b64 s[8:9], s[8:9]
; %bb.204:
	s_mov_b32 s10, 0x7f800000
	v_mov_b32_e32 v3, 0x7c
	v_mov_b32_e32 v4, 0x7f
	v_cmp_lt_u32_e32 vcc, s10, v2
	v_cndmask_b32_e32 v3, v3, v4, vcc
; %bb.205:
	s_or_b64 exec, exec, s[8:9]
	global_store_byte v[0:1], v3, off
.LBB263_206:
	s_mov_b64 s[10:11], 0
	s_mov_b64 s[8:9], -1
.LBB263_207:
	s_andn2_b64 vcc, exec, s[10:11]
	s_cbranch_vccnz .LBB263_215
; %bb.208:
	s_cmp_gt_i32 s15, 14
	s_mov_b64 s[10:11], -1
	s_cbranch_scc0 .LBB263_212
; %bb.209:
	s_cmp_eq_u32 s15, 15
	s_mov_b64 s[6:7], -1
	s_cbranch_scc0 .LBB263_211
; %bb.210:
	v_cndmask_b32_e64 v2, 0, 1.0, s[4:5]
	v_bfe_u32 v3, v2, 16, 1
	s_movk_i32 s6, 0x7fff
	v_add3_u32 v2, v2, v3, s6
	global_store_short_d16_hi v[0:1], v2, off
	s_mov_b64 s[8:9], -1
	s_mov_b64 s[6:7], 0
.LBB263_211:
	s_mov_b64 s[10:11], 0
.LBB263_212:
	s_and_b64 vcc, exec, s[10:11]
	s_cbranch_vccz .LBB263_215
; %bb.213:
	s_cmp_eq_u32 s15, 11
	s_mov_b64 s[6:7], -1
	s_cbranch_scc0 .LBB263_215
; %bb.214:
	v_cndmask_b32_e64 v2, 0, 1, s[4:5]
	s_mov_b64 s[8:9], -1
	s_mov_b64 s[6:7], 0
	global_store_byte v[0:1], v2, off
.LBB263_215:
	s_branch .LBB263_137
.LBB263_216:
	s_and_b32 s10, 0xffff, s14
	s_cmp_lt_i32 s10, 5
	s_mov_b64 s[8:9], -1
	s_cbranch_scc1 .LBB263_237
; %bb.217:
	s_cmp_lt_i32 s10, 8
	s_cbranch_scc1 .LBB263_227
; %bb.218:
	s_cmp_lt_i32 s10, 9
	s_cbranch_scc1 .LBB263_224
; %bb.219:
	s_cmp_gt_i32 s10, 9
	s_cbranch_scc0 .LBB263_221
; %bb.220:
	v_cndmask_b32_e64 v2, 0, 1, s[4:5]
	v_cvt_f64_u32_e32 v[2:3], v2
	v_mov_b32_e32 v4, 0
	v_mov_b32_e32 v5, v4
	s_mov_b64 s[8:9], 0
	global_store_dwordx4 v[0:1], v[2:5], off
.LBB263_221:
	s_andn2_b64 vcc, exec, s[8:9]
	s_cbranch_vccnz .LBB263_223
; %bb.222:
	v_cndmask_b32_e64 v2, 0, 1.0, s[4:5]
	v_mov_b32_e32 v3, 0
	global_store_dwordx2 v[0:1], v[2:3], off
.LBB263_223:
	s_mov_b64 s[8:9], 0
.LBB263_224:
	s_andn2_b64 vcc, exec, s[8:9]
	s_cbranch_vccnz .LBB263_226
; %bb.225:
	v_cndmask_b32_e64 v2, 0, 1.0, s[4:5]
	v_cvt_f16_f32_e32 v2, v2
	global_store_dword v[0:1], v2, off
.LBB263_226:
	s_mov_b64 s[8:9], 0
.LBB263_227:
	s_andn2_b64 vcc, exec, s[8:9]
	s_cbranch_vccnz .LBB263_236
; %bb.228:
	s_cmp_lt_i32 s10, 6
	s_mov_b64 s[8:9], -1
	s_cbranch_scc1 .LBB263_234
; %bb.229:
	s_cmp_gt_i32 s10, 6
	s_cbranch_scc0 .LBB263_231
; %bb.230:
	v_cndmask_b32_e64 v2, 0, 1, s[4:5]
	v_cvt_f64_u32_e32 v[2:3], v2
	s_mov_b64 s[8:9], 0
	global_store_dwordx2 v[0:1], v[2:3], off
.LBB263_231:
	s_andn2_b64 vcc, exec, s[8:9]
	s_cbranch_vccnz .LBB263_233
; %bb.232:
	v_cndmask_b32_e64 v2, 0, 1.0, s[4:5]
	global_store_dword v[0:1], v2, off
.LBB263_233:
	s_mov_b64 s[8:9], 0
.LBB263_234:
	s_andn2_b64 vcc, exec, s[8:9]
	s_cbranch_vccnz .LBB263_236
; %bb.235:
	v_cndmask_b32_e64 v2, 0, 1.0, s[4:5]
	v_cvt_f16_f32_e32 v2, v2
	global_store_short v[0:1], v2, off
.LBB263_236:
	s_mov_b64 s[8:9], 0
.LBB263_237:
	s_andn2_b64 vcc, exec, s[8:9]
	s_cbranch_vccnz .LBB263_253
; %bb.238:
	s_cmp_lt_i32 s10, 2
	s_mov_b64 s[8:9], -1
	s_cbranch_scc1 .LBB263_248
; %bb.239:
	s_cmp_lt_i32 s10, 3
	s_cbranch_scc1 .LBB263_245
; %bb.240:
	s_cmp_gt_i32 s10, 3
	s_cbranch_scc0 .LBB263_242
; %bb.241:
	s_mov_b32 s8, 0
	v_cndmask_b32_e64 v2, 0, 1, s[4:5]
	v_mov_b32_e32 v3, s8
	s_mov_b64 s[8:9], 0
	global_store_dwordx2 v[0:1], v[2:3], off
.LBB263_242:
	s_andn2_b64 vcc, exec, s[8:9]
	s_cbranch_vccnz .LBB263_244
; %bb.243:
	v_cndmask_b32_e64 v2, 0, 1, s[4:5]
	global_store_dword v[0:1], v2, off
.LBB263_244:
	s_mov_b64 s[8:9], 0
.LBB263_245:
	s_andn2_b64 vcc, exec, s[8:9]
	s_cbranch_vccnz .LBB263_247
; %bb.246:
	v_cndmask_b32_e64 v2, 0, 1, s[4:5]
	global_store_short v[0:1], v2, off
.LBB263_247:
	s_mov_b64 s[8:9], 0
.LBB263_248:
	s_andn2_b64 vcc, exec, s[8:9]
	s_cbranch_vccnz .LBB263_253
; %bb.249:
	s_mov_b64 s[8:9], -1
	s_cmp_gt_i32 s10, 0
	v_cndmask_b32_e64 v2, 0, 1, s[4:5]
	s_cbranch_scc0 .LBB263_251
; %bb.250:
	s_mov_b64 s[8:9], 0
	global_store_byte v[0:1], v2, off
.LBB263_251:
	s_andn2_b64 vcc, exec, s[8:9]
	s_cbranch_vccnz .LBB263_253
; %bb.252:
	global_store_byte v[0:1], v2, off
.LBB263_253:
	s_branch .LBB263_138
.LBB263_254:
	s_mov_b64 s[4:5], 0
                                        ; implicit-def: $vgpr10
.LBB263_255:
	s_andn2_b64 s[8:9], s[38:39], exec
	s_and_b64 s[6:7], s[6:7], exec
	s_or_b64 s[52:53], s[8:9], s[6:7]
	s_orn2_b64 s[10:11], s[4:5], exec
.LBB263_256:
	s_or_b64 exec, exec, s[54:55]
	s_mov_b64 s[4:5], 0
	s_mov_b64 s[8:9], 0
                                        ; implicit-def: $sgpr6_sgpr7
                                        ; implicit-def: $sgpr16
                                        ; implicit-def: $vgpr0_vgpr1
	s_and_saveexec_b64 s[54:55], s[10:11]
	s_cbranch_execz .LBB263_467
; %bb.257:
	v_cmp_gt_i32_e32 vcc, s60, v10
	s_mov_b64 s[8:9], -1
	s_mov_b64 s[58:59], s[52:53]
	s_and_saveexec_b64 s[56:57], vcc
	s_cbranch_execz .LBB263_386
; %bb.258:
	s_getpc_b64 s[4:5]
	s_add_u32 s4, s4, _ZN2at6native6invokeINS0_13AUnaryFunctorIN3c1015Float8_e5m2fnuzES4_bNS0_12_GLOBAL__N_116CompareEqFunctorIS4_EEEEi15function_traitsIS8_EEENT1_11result_typeERKT_PrKPcPKT0_PKNS3_10ScalarTypeEi@rel32@lo+4
	s_addc_u32 s5, s5, _ZN2at6native6invokeINS0_13AUnaryFunctorIN3c1015Float8_e5m2fnuzES4_bNS0_12_GLOBAL__N_116CompareEqFunctorIS4_EEEEi15function_traitsIS8_EEENT1_11result_typeERKT_PrKPcPKT0_PKNS3_10ScalarTypeEi@rel32@hi+12
	v_mov_b32_e32 v0, s46
	v_mov_b32_e32 v1, s48
	;; [unrolled: 1-line block ×7, first 2 shown]
	s_swappc_b64 s[30:31], s[4:5]
	v_and_b32_e32 v0, 1, v0
	v_cmp_eq_u32_e64 s[4:5], 1, v0
	v_mul_lo_u32 v0, v10, s44
	v_mov_b32_e32 v1, s41
	s_and_b32 s14, s49, 0xff
	s_cmp_lt_i32 s14, 11
	v_ashrrev_i32_e32 v2, 31, v0
	v_add_co_u32_e32 v0, vcc, s40, v0
	v_addc_co_u32_e32 v1, vcc, v1, v2, vcc
	s_cbranch_scc1 .LBB263_265
; %bb.259:
	s_and_b32 s15, 0xffff, s14
	s_cmp_gt_i32 s15, 25
	s_cbranch_scc0 .LBB263_266
; %bb.260:
	s_cmp_gt_i32 s15, 28
	s_cbranch_scc0 .LBB263_267
; %bb.261:
	;; [unrolled: 3-line block ×4, first 2 shown]
	s_mov_b64 s[10:11], 0
	s_mov_b64 s[6:7], -1
	s_cmp_eq_u32 s15, 46
	s_mov_b64 s[8:9], 0
	s_cbranch_scc0 .LBB263_274
; %bb.264:
	v_cndmask_b32_e64 v2, 0, 1.0, s[4:5]
	v_bfe_u32 v3, v2, 16, 1
	s_movk_i32 s6, 0x7fff
	v_add3_u32 v2, v2, v3, s6
	v_lshrrev_b32_e32 v2, 16, v2
	global_store_dword v[0:1], v2, off
	s_mov_b64 s[8:9], -1
	s_mov_b64 s[6:7], 0
	s_branch .LBB263_274
.LBB263_265:
	s_mov_b64 s[10:11], -1
	s_mov_b64 s[8:9], 0
	s_mov_b64 s[6:7], s[52:53]
	s_branch .LBB263_343
.LBB263_266:
	s_mov_b64 s[10:11], -1
	s_mov_b64 s[8:9], 0
	s_mov_b64 s[6:7], s[52:53]
	s_branch .LBB263_301
.LBB263_267:
	s_mov_b64 s[10:11], -1
	s_mov_b64 s[8:9], 0
	s_mov_b64 s[6:7], s[52:53]
	s_branch .LBB263_284
.LBB263_268:
	s_andn2_saveexec_b64 s[12:13], s[12:13]
	s_cbranch_execz .LBB263_168
.LBB263_269:
	v_add_f32_e32 v2, 0x46000000, v3
	v_and_b32_e32 v2, 0xff, v2
	v_cmp_ne_u32_e32 vcc, 0, v2
	s_andn2_b64 s[10:11], s[10:11], exec
	s_and_b64 s[16:17], vcc, exec
	s_or_b64 s[10:11], s[10:11], s[16:17]
	s_or_b64 exec, exec, s[12:13]
	v_mov_b32_e32 v4, 0
	s_and_saveexec_b64 s[12:13], s[10:11]
	s_cbranch_execnz .LBB263_169
	s_branch .LBB263_170
.LBB263_270:
	s_mov_b64 s[10:11], -1
	s_mov_b64 s[8:9], 0
	s_mov_b64 s[6:7], s[52:53]
	s_branch .LBB263_280
.LBB263_271:
	s_andn2_saveexec_b64 s[12:13], s[12:13]
	s_cbranch_execz .LBB263_181
.LBB263_272:
	v_add_f32_e32 v2, 0x42800000, v3
	v_and_b32_e32 v2, 0xff, v2
	v_cmp_ne_u32_e32 vcc, 0, v2
	s_andn2_b64 s[10:11], s[10:11], exec
	s_and_b64 s[16:17], vcc, exec
	s_or_b64 s[10:11], s[10:11], s[16:17]
	s_or_b64 exec, exec, s[12:13]
	v_mov_b32_e32 v4, 0
	s_and_saveexec_b64 s[12:13], s[10:11]
	s_cbranch_execnz .LBB263_182
	s_branch .LBB263_183
.LBB263_273:
	s_mov_b64 s[10:11], -1
	s_mov_b64 s[8:9], 0
	s_mov_b64 s[6:7], s[52:53]
.LBB263_274:
	s_and_b64 vcc, exec, s[10:11]
	s_cbranch_vccz .LBB263_279
; %bb.275:
	s_cmp_eq_u32 s15, 44
	s_mov_b64 s[6:7], -1
	s_cbranch_scc0 .LBB263_279
; %bb.276:
	v_cndmask_b32_e64 v3, 0, 1.0, s[4:5]
	v_lshrrev_b32_e32 v2, 23, v3
	s_movk_i32 s6, 0xff
	v_cmp_ne_u32_e32 vcc, s6, v2
	v_mov_b32_e32 v4, 0xff
	s_and_saveexec_b64 s[8:9], vcc
; %bb.277:
	s_mov_b32 s6, 0x3fffff
	v_and_b32_e32 v4, 0x400000, v3
	v_and_or_b32 v3, v3, s6, v2
	v_cmp_ne_u32_e32 vcc, 0, v4
	v_cmp_ne_u32_e64 s[6:7], 0, v3
	s_and_b64 s[6:7], vcc, s[6:7]
	v_cndmask_b32_e64 v3, 0, 1, s[6:7]
	v_add_u32_e32 v4, v2, v3
; %bb.278:
	s_or_b64 exec, exec, s[8:9]
	s_mov_b64 s[8:9], -1
	s_mov_b64 s[6:7], 0
	global_store_byte v[0:1], v4, off
.LBB263_279:
	s_mov_b64 s[10:11], 0
.LBB263_280:
	s_and_b64 vcc, exec, s[10:11]
	s_cbranch_vccz .LBB263_283
; %bb.281:
	s_cmp_eq_u32 s15, 29
	s_mov_b64 s[6:7], -1
	s_cbranch_scc0 .LBB263_283
; %bb.282:
	s_mov_b32 s6, 0
	v_cndmask_b32_e64 v2, 0, 1, s[4:5]
	v_mov_b32_e32 v3, s6
	global_store_dwordx2 v[0:1], v[2:3], off
	s_mov_b64 s[8:9], -1
	s_mov_b64 s[6:7], 0
.LBB263_283:
	s_mov_b64 s[10:11], 0
.LBB263_284:
	s_and_b64 vcc, exec, s[10:11]
	s_cbranch_vccz .LBB263_300
; %bb.285:
	s_cmp_lt_i32 s15, 27
	s_mov_b64 s[8:9], -1
	s_cbranch_scc1 .LBB263_291
; %bb.286:
	s_cmp_gt_i32 s15, 27
	s_cbranch_scc0 .LBB263_288
; %bb.287:
	v_cndmask_b32_e64 v2, 0, 1, s[4:5]
	s_mov_b64 s[8:9], 0
	global_store_dword v[0:1], v2, off
.LBB263_288:
	s_andn2_b64 vcc, exec, s[8:9]
	s_cbranch_vccnz .LBB263_290
; %bb.289:
	v_cndmask_b32_e64 v2, 0, 1, s[4:5]
	global_store_short v[0:1], v2, off
.LBB263_290:
	s_mov_b64 s[8:9], 0
.LBB263_291:
	s_andn2_b64 vcc, exec, s[8:9]
	s_cbranch_vccnz .LBB263_299
; %bb.292:
	v_cndmask_b32_e64 v3, 0, 1.0, s[4:5]
	s_mov_b32 s8, 0x43800000
	v_cmp_gt_u32_e32 vcc, s8, v3
	v_mov_b32_e32 v4, 0x80
	s_and_saveexec_b64 s[8:9], vcc
	s_cbranch_execz .LBB263_298
; %bb.293:
	s_mov_b32 s10, 0x3bffffff
	v_cmp_lt_u32_e32 vcc, s10, v3
	s_mov_b64 s[10:11], 0
                                        ; implicit-def: $vgpr2
	s_and_saveexec_b64 s[12:13], vcc
	s_xor_b64 s[12:13], exec, s[12:13]
	s_cbranch_execz .LBB263_998
; %bb.294:
	v_bfe_u32 v2, v3, 20, 1
	s_mov_b32 s16, 0x487ffff
	v_add3_u32 v2, v3, v2, s16
	s_mov_b64 s[10:11], exec
	v_lshrrev_b32_e32 v2, 20, v2
                                        ; implicit-def: $vgpr3
	s_andn2_saveexec_b64 s[12:13], s[12:13]
	s_cbranch_execnz .LBB263_999
.LBB263_295:
	s_or_b64 exec, exec, s[12:13]
	v_mov_b32_e32 v4, 0
	s_and_saveexec_b64 s[12:13], s[10:11]
.LBB263_296:
	v_mov_b32_e32 v4, v2
.LBB263_297:
	s_or_b64 exec, exec, s[12:13]
.LBB263_298:
	s_or_b64 exec, exec, s[8:9]
	global_store_byte v[0:1], v4, off
.LBB263_299:
	s_mov_b64 s[8:9], -1
.LBB263_300:
	s_mov_b64 s[10:11], 0
.LBB263_301:
	s_and_b64 vcc, exec, s[10:11]
	s_cbranch_vccz .LBB263_342
; %bb.302:
	s_cmp_gt_i32 s15, 22
	s_mov_b64 s[10:11], -1
	s_cbranch_scc0 .LBB263_334
; %bb.303:
	s_cmp_lt_i32 s15, 24
	s_mov_b64 s[8:9], -1
	s_cbranch_scc1 .LBB263_323
; %bb.304:
	s_cmp_gt_i32 s15, 24
	s_cbranch_scc0 .LBB263_312
; %bb.305:
	v_cndmask_b32_e64 v3, 0, 1.0, s[4:5]
	s_mov_b32 s8, 0x47800000
	v_cmp_gt_u32_e32 vcc, s8, v3
	v_mov_b32_e32 v4, 0x80
	s_and_saveexec_b64 s[8:9], vcc
	s_cbranch_execz .LBB263_311
; %bb.306:
	s_mov_b32 s10, 0x37ffffff
	v_cmp_lt_u32_e32 vcc, s10, v3
	s_mov_b64 s[10:11], 0
                                        ; implicit-def: $vgpr2
	s_and_saveexec_b64 s[12:13], vcc
	s_xor_b64 s[12:13], exec, s[12:13]
	s_cbranch_execz .LBB263_1005
; %bb.307:
	v_bfe_u32 v2, v3, 21, 1
	s_mov_b32 s16, 0x88fffff
	v_add3_u32 v2, v3, v2, s16
	s_mov_b64 s[10:11], exec
	v_lshrrev_b32_e32 v2, 21, v2
                                        ; implicit-def: $vgpr3
	s_andn2_saveexec_b64 s[12:13], s[12:13]
	s_cbranch_execnz .LBB263_1006
.LBB263_308:
	s_or_b64 exec, exec, s[12:13]
	v_mov_b32_e32 v4, 0
	s_and_saveexec_b64 s[12:13], s[10:11]
.LBB263_309:
	v_mov_b32_e32 v4, v2
.LBB263_310:
	s_or_b64 exec, exec, s[12:13]
.LBB263_311:
	s_or_b64 exec, exec, s[8:9]
	s_mov_b64 s[8:9], 0
	global_store_byte v[0:1], v4, off
.LBB263_312:
	s_and_b64 vcc, exec, s[8:9]
	s_cbranch_vccz .LBB263_322
; %bb.313:
	v_cndmask_b32_e64 v2, 0, 1.0, s[4:5]
	s_mov_b32 s8, 0x43f00000
	v_cmp_gt_u32_e32 vcc, s8, v2
                                        ; implicit-def: $vgpr3
	s_and_saveexec_b64 s[8:9], vcc
	s_xor_b64 s[8:9], exec, s[8:9]
	s_cbranch_execz .LBB263_319
; %bb.314:
	s_mov_b32 s10, 0x3c7fffff
	v_cmp_lt_u32_e32 vcc, s10, v2
                                        ; implicit-def: $vgpr3
	s_and_saveexec_b64 s[10:11], vcc
	s_xor_b64 s[10:11], exec, s[10:11]
; %bb.315:
	v_bfe_u32 v3, v2, 20, 1
	s_mov_b32 s12, 0x407ffff
	v_add3_u32 v2, v2, v3, s12
	v_lshrrev_b32_e32 v3, 20, v2
	v_and_b32_e32 v2, 0xff00000, v2
	s_mov_b32 s12, 0x7f00000
	v_mov_b32_e32 v4, 0x7e
	v_cmp_ne_u32_e32 vcc, s12, v2
	v_cndmask_b32_e32 v3, v4, v3, vcc
                                        ; implicit-def: $vgpr2
; %bb.316:
	s_andn2_saveexec_b64 s[10:11], s[10:11]
; %bb.317:
	v_add_f32_e32 v3, 0x46800000, v2
; %bb.318:
	s_or_b64 exec, exec, s[10:11]
                                        ; implicit-def: $vgpr2
.LBB263_319:
	s_andn2_saveexec_b64 s[8:9], s[8:9]
; %bb.320:
	s_mov_b32 s10, 0x7f800000
	v_mov_b32_e32 v3, 0x7e
	v_mov_b32_e32 v4, 0x7f
	v_cmp_lt_u32_e32 vcc, s10, v2
	v_cndmask_b32_e32 v3, v3, v4, vcc
; %bb.321:
	s_or_b64 exec, exec, s[8:9]
	global_store_byte v[0:1], v3, off
.LBB263_322:
	s_mov_b64 s[8:9], 0
.LBB263_323:
	s_andn2_b64 vcc, exec, s[8:9]
	s_cbranch_vccnz .LBB263_333
; %bb.324:
	v_cndmask_b32_e64 v2, 0, 1.0, s[4:5]
	s_mov_b32 s8, 0x47800000
	v_cmp_gt_u32_e32 vcc, s8, v2
                                        ; implicit-def: $vgpr3
	s_and_saveexec_b64 s[8:9], vcc
	s_xor_b64 s[8:9], exec, s[8:9]
	s_cbranch_execz .LBB263_330
; %bb.325:
	s_mov_b32 s10, 0x387fffff
	v_cmp_lt_u32_e32 vcc, s10, v2
                                        ; implicit-def: $vgpr3
	s_and_saveexec_b64 s[10:11], vcc
	s_xor_b64 s[10:11], exec, s[10:11]
; %bb.326:
	v_bfe_u32 v3, v2, 21, 1
	s_mov_b32 s12, 0x80fffff
	v_add3_u32 v2, v2, v3, s12
	v_lshrrev_b32_e32 v3, 21, v2
                                        ; implicit-def: $vgpr2
; %bb.327:
	s_andn2_saveexec_b64 s[10:11], s[10:11]
; %bb.328:
	v_add_f32_e32 v3, 0x43000000, v2
; %bb.329:
	s_or_b64 exec, exec, s[10:11]
                                        ; implicit-def: $vgpr2
.LBB263_330:
	s_andn2_saveexec_b64 s[8:9], s[8:9]
; %bb.331:
	s_mov_b32 s10, 0x7f800000
	v_mov_b32_e32 v3, 0x7c
	v_mov_b32_e32 v4, 0x7f
	v_cmp_lt_u32_e32 vcc, s10, v2
	v_cndmask_b32_e32 v3, v3, v4, vcc
; %bb.332:
	s_or_b64 exec, exec, s[8:9]
	global_store_byte v[0:1], v3, off
.LBB263_333:
	s_mov_b64 s[10:11], 0
	s_mov_b64 s[8:9], -1
.LBB263_334:
	s_andn2_b64 vcc, exec, s[10:11]
	s_cbranch_vccnz .LBB263_342
; %bb.335:
	s_cmp_gt_i32 s15, 14
	s_mov_b64 s[10:11], -1
	s_cbranch_scc0 .LBB263_339
; %bb.336:
	s_cmp_eq_u32 s15, 15
	s_mov_b64 s[6:7], -1
	s_cbranch_scc0 .LBB263_338
; %bb.337:
	v_cndmask_b32_e64 v2, 0, 1.0, s[4:5]
	v_bfe_u32 v3, v2, 16, 1
	s_movk_i32 s6, 0x7fff
	v_add3_u32 v2, v2, v3, s6
	global_store_short_d16_hi v[0:1], v2, off
	s_mov_b64 s[8:9], -1
	s_mov_b64 s[6:7], 0
.LBB263_338:
	s_mov_b64 s[10:11], 0
.LBB263_339:
	s_and_b64 vcc, exec, s[10:11]
	s_cbranch_vccz .LBB263_342
; %bb.340:
	s_cmp_eq_u32 s15, 11
	s_mov_b64 s[6:7], -1
	s_cbranch_scc0 .LBB263_342
; %bb.341:
	v_cndmask_b32_e64 v2, 0, 1, s[4:5]
	s_mov_b64 s[8:9], -1
	s_mov_b64 s[6:7], 0
	global_store_byte v[0:1], v2, off
.LBB263_342:
	s_mov_b64 s[10:11], 0
.LBB263_343:
	s_and_b64 vcc, exec, s[10:11]
	s_cbranch_vccz .LBB263_382
; %bb.344:
	s_and_b32 s10, 0xffff, s14
	s_cmp_lt_i32 s10, 5
	s_mov_b64 s[8:9], -1
	s_cbranch_scc1 .LBB263_365
; %bb.345:
	s_cmp_lt_i32 s10, 8
	s_cbranch_scc1 .LBB263_355
; %bb.346:
	s_cmp_lt_i32 s10, 9
	s_cbranch_scc1 .LBB263_352
; %bb.347:
	s_cmp_gt_i32 s10, 9
	s_cbranch_scc0 .LBB263_349
; %bb.348:
	v_cndmask_b32_e64 v2, 0, 1, s[4:5]
	v_cvt_f64_u32_e32 v[2:3], v2
	v_mov_b32_e32 v4, 0
	v_mov_b32_e32 v5, v4
	s_mov_b64 s[8:9], 0
	global_store_dwordx4 v[0:1], v[2:5], off
.LBB263_349:
	s_andn2_b64 vcc, exec, s[8:9]
	s_cbranch_vccnz .LBB263_351
; %bb.350:
	v_cndmask_b32_e64 v2, 0, 1.0, s[4:5]
	v_mov_b32_e32 v3, 0
	global_store_dwordx2 v[0:1], v[2:3], off
.LBB263_351:
	s_mov_b64 s[8:9], 0
.LBB263_352:
	s_andn2_b64 vcc, exec, s[8:9]
	s_cbranch_vccnz .LBB263_354
; %bb.353:
	v_cndmask_b32_e64 v2, 0, 1.0, s[4:5]
	v_cvt_f16_f32_e32 v2, v2
	global_store_dword v[0:1], v2, off
.LBB263_354:
	s_mov_b64 s[8:9], 0
.LBB263_355:
	s_andn2_b64 vcc, exec, s[8:9]
	s_cbranch_vccnz .LBB263_364
; %bb.356:
	s_cmp_lt_i32 s10, 6
	s_mov_b64 s[8:9], -1
	s_cbranch_scc1 .LBB263_362
; %bb.357:
	s_cmp_gt_i32 s10, 6
	s_cbranch_scc0 .LBB263_359
; %bb.358:
	v_cndmask_b32_e64 v2, 0, 1, s[4:5]
	v_cvt_f64_u32_e32 v[2:3], v2
	s_mov_b64 s[8:9], 0
	global_store_dwordx2 v[0:1], v[2:3], off
.LBB263_359:
	s_andn2_b64 vcc, exec, s[8:9]
	s_cbranch_vccnz .LBB263_361
; %bb.360:
	v_cndmask_b32_e64 v2, 0, 1.0, s[4:5]
	global_store_dword v[0:1], v2, off
.LBB263_361:
	s_mov_b64 s[8:9], 0
.LBB263_362:
	s_andn2_b64 vcc, exec, s[8:9]
	s_cbranch_vccnz .LBB263_364
; %bb.363:
	v_cndmask_b32_e64 v2, 0, 1.0, s[4:5]
	v_cvt_f16_f32_e32 v2, v2
	global_store_short v[0:1], v2, off
.LBB263_364:
	s_mov_b64 s[8:9], 0
.LBB263_365:
	s_andn2_b64 vcc, exec, s[8:9]
	s_cbranch_vccnz .LBB263_381
; %bb.366:
	s_cmp_lt_i32 s10, 2
	s_mov_b64 s[8:9], -1
	s_cbranch_scc1 .LBB263_376
; %bb.367:
	s_cmp_lt_i32 s10, 3
	s_cbranch_scc1 .LBB263_373
; %bb.368:
	s_cmp_gt_i32 s10, 3
	s_cbranch_scc0 .LBB263_370
; %bb.369:
	s_mov_b32 s8, 0
	v_cndmask_b32_e64 v2, 0, 1, s[4:5]
	v_mov_b32_e32 v3, s8
	s_mov_b64 s[8:9], 0
	global_store_dwordx2 v[0:1], v[2:3], off
.LBB263_370:
	s_andn2_b64 vcc, exec, s[8:9]
	s_cbranch_vccnz .LBB263_372
; %bb.371:
	v_cndmask_b32_e64 v2, 0, 1, s[4:5]
	global_store_dword v[0:1], v2, off
.LBB263_372:
	s_mov_b64 s[8:9], 0
.LBB263_373:
	s_andn2_b64 vcc, exec, s[8:9]
	s_cbranch_vccnz .LBB263_375
; %bb.374:
	v_cndmask_b32_e64 v2, 0, 1, s[4:5]
	global_store_short v[0:1], v2, off
.LBB263_375:
	s_mov_b64 s[8:9], 0
.LBB263_376:
	s_andn2_b64 vcc, exec, s[8:9]
	s_cbranch_vccnz .LBB263_381
; %bb.377:
	s_mov_b64 s[8:9], -1
	s_cmp_gt_i32 s10, 0
	v_cndmask_b32_e64 v2, 0, 1, s[4:5]
	s_cbranch_scc0 .LBB263_379
; %bb.378:
	s_mov_b64 s[8:9], 0
	global_store_byte v[0:1], v2, off
.LBB263_379:
	s_andn2_b64 vcc, exec, s[8:9]
	s_cbranch_vccnz .LBB263_381
; %bb.380:
	global_store_byte v[0:1], v2, off
.LBB263_381:
	s_mov_b64 s[8:9], -1
.LBB263_382:
	s_andn2_b64 vcc, exec, s[8:9]
	s_cbranch_vccnz .LBB263_384
; %bb.383:
	v_add_u32_e32 v10, 0x80, v10
	s_mov_b64 s[4:5], -1
	s_branch .LBB263_385
.LBB263_384:
	s_mov_b64 s[4:5], 0
                                        ; implicit-def: $vgpr10
.LBB263_385:
	s_andn2_b64 s[8:9], s[52:53], exec
	s_and_b64 s[6:7], s[6:7], exec
	s_or_b64 s[58:59], s[8:9], s[6:7]
	s_orn2_b64 s[8:9], s[4:5], exec
.LBB263_386:
	s_or_b64 exec, exec, s[56:57]
	s_mov_b64 s[4:5], 0
	s_mov_b64 s[12:13], 0
                                        ; implicit-def: $sgpr6_sgpr7
                                        ; implicit-def: $sgpr16
                                        ; implicit-def: $vgpr0_vgpr1
	s_and_saveexec_b64 s[56:57], s[8:9]
	s_cbranch_execz .LBB263_466
; %bb.387:
	v_cmp_gt_i32_e32 vcc, s60, v10
	s_mov_b64 s[8:9], 0
	s_mov_b64 s[10:11], s[58:59]
                                        ; implicit-def: $sgpr6_sgpr7
                                        ; implicit-def: $sgpr16
                                        ; implicit-def: $vgpr0_vgpr1
	s_and_saveexec_b64 s[60:61], vcc
	s_cbranch_execz .LBB263_465
; %bb.388:
	s_getpc_b64 s[4:5]
	s_add_u32 s4, s4, _ZN2at6native6invokeINS0_13AUnaryFunctorIN3c1015Float8_e5m2fnuzES4_bNS0_12_GLOBAL__N_116CompareEqFunctorIS4_EEEEi15function_traitsIS8_EEENT1_11result_typeERKT_PrKPcPKT0_PKNS3_10ScalarTypeEi@rel32@lo+4
	s_addc_u32 s5, s5, _ZN2at6native6invokeINS0_13AUnaryFunctorIN3c1015Float8_e5m2fnuzES4_bNS0_12_GLOBAL__N_116CompareEqFunctorIS4_EEEEi15function_traitsIS8_EEENT1_11result_typeERKT_PrKPcPKT0_PKNS3_10ScalarTypeEi@rel32@hi+12
	v_mov_b32_e32 v0, s46
	v_mov_b32_e32 v1, s48
	v_mov_b32_e32 v2, s42
	v_mov_b32_e32 v3, s43
	v_mov_b32_e32 v4, s45
	v_mov_b32_e32 v5, s33
	v_mov_b32_e32 v6, v10
	s_swappc_b64 s[30:31], s[4:5]
	v_and_b32_e32 v0, 1, v0
	v_cmp_eq_u32_e64 s[6:7], 1, v0
	v_mul_lo_u32 v0, v10, s44
	v_mov_b32_e32 v1, s41
	s_and_b32 s16, s49, 0xff
	s_cmp_lt_i32 s16, 11
	v_ashrrev_i32_e32 v2, 31, v0
	v_add_co_u32_e32 v0, vcc, s40, v0
	v_addc_co_u32_e32 v1, vcc, v1, v2, vcc
	s_cbranch_scc1 .LBB263_462
; %bb.389:
	s_and_b32 s17, 0xffff, s16
	s_mov_b64 s[10:11], -1
	s_cmp_gt_i32 s17, 25
	s_mov_b64 s[4:5], s[58:59]
	s_cbranch_scc0 .LBB263_422
; %bb.390:
	s_mov_b64 s[8:9], -1
	s_cmp_gt_i32 s17, 28
	s_mov_b64 s[4:5], s[58:59]
	s_cbranch_scc0 .LBB263_406
; %bb.391:
	s_cmp_gt_i32 s17, 43
	s_mov_b64 s[4:5], s[58:59]
	s_cbranch_scc0 .LBB263_402
; %bb.392:
	;; [unrolled: 4-line block ×3, first 2 shown]
	s_cmp_eq_u32 s17, 46
	s_mov_b64 s[4:5], -1
	s_cbranch_scc0 .LBB263_395
; %bb.394:
	v_cndmask_b32_e64 v2, 0, 1.0, s[6:7]
	v_bfe_u32 v3, v2, 16, 1
	s_movk_i32 s4, 0x7fff
	v_add3_u32 v2, v2, v3, s4
	v_lshrrev_b32_e32 v2, 16, v2
	global_store_dword v[0:1], v2, off
	s_mov_b64 s[4:5], 0
.LBB263_395:
	s_mov_b64 s[8:9], 0
.LBB263_396:
	s_and_b64 vcc, exec, s[8:9]
	s_cbranch_vccz .LBB263_401
; %bb.397:
	s_cmp_eq_u32 s17, 44
	s_mov_b64 s[4:5], -1
	s_cbranch_scc0 .LBB263_401
; %bb.398:
	v_cndmask_b32_e64 v3, 0, 1.0, s[6:7]
	v_lshrrev_b32_e32 v2, 23, v3
	s_movk_i32 s4, 0xff
	v_cmp_ne_u32_e32 vcc, s4, v2
	v_mov_b32_e32 v4, 0xff
	s_and_saveexec_b64 s[8:9], vcc
; %bb.399:
	s_mov_b32 s4, 0x3fffff
	v_and_b32_e32 v4, 0x400000, v3
	v_and_or_b32 v3, v3, s4, v2
	v_cmp_ne_u32_e32 vcc, 0, v4
	v_cmp_ne_u32_e64 s[4:5], 0, v3
	s_and_b64 s[4:5], vcc, s[4:5]
	v_cndmask_b32_e64 v3, 0, 1, s[4:5]
	v_add_u32_e32 v4, v2, v3
; %bb.400:
	s_or_b64 exec, exec, s[8:9]
	s_mov_b64 s[4:5], 0
	global_store_byte v[0:1], v4, off
.LBB263_401:
	s_mov_b64 s[8:9], 0
.LBB263_402:
	s_and_b64 vcc, exec, s[8:9]
	s_cbranch_vccz .LBB263_405
; %bb.403:
	s_cmp_eq_u32 s17, 29
	s_mov_b64 s[4:5], -1
	s_cbranch_scc0 .LBB263_405
; %bb.404:
	s_mov_b32 s4, 0
	v_cndmask_b32_e64 v2, 0, 1, s[6:7]
	v_mov_b32_e32 v3, s4
	global_store_dwordx2 v[0:1], v[2:3], off
	s_mov_b64 s[4:5], 0
.LBB263_405:
	s_mov_b64 s[8:9], 0
.LBB263_406:
	s_and_b64 vcc, exec, s[8:9]
	s_cbranch_vccz .LBB263_421
; %bb.407:
	s_cmp_lt_i32 s17, 27
	s_mov_b64 s[8:9], -1
	s_cbranch_scc1 .LBB263_413
; %bb.408:
	s_cmp_gt_i32 s17, 27
	v_cndmask_b32_e64 v2, 0, 1, s[6:7]
	s_cbranch_scc0 .LBB263_410
; %bb.409:
	s_mov_b64 s[8:9], 0
	global_store_dword v[0:1], v2, off
.LBB263_410:
	s_andn2_b64 vcc, exec, s[8:9]
	s_cbranch_vccnz .LBB263_412
; %bb.411:
	global_store_short v[0:1], v2, off
.LBB263_412:
	s_mov_b64 s[8:9], 0
.LBB263_413:
	s_andn2_b64 vcc, exec, s[8:9]
	s_cbranch_vccnz .LBB263_421
; %bb.414:
	v_cndmask_b32_e64 v3, 0, 1.0, s[6:7]
	s_mov_b32 s8, 0x43800000
	v_cmp_gt_u32_e32 vcc, s8, v3
	v_mov_b32_e32 v4, 0x80
	s_and_saveexec_b64 s[8:9], vcc
	s_cbranch_execz .LBB263_420
; %bb.415:
	s_mov_b32 s10, 0x3bffffff
	v_cmp_lt_u32_e32 vcc, s10, v3
	s_mov_b64 s[10:11], 0
                                        ; implicit-def: $vgpr2
	s_and_saveexec_b64 s[12:13], vcc
	s_xor_b64 s[12:13], exec, s[12:13]
	s_cbranch_execz .LBB263_1007
; %bb.416:
	v_bfe_u32 v2, v3, 20, 1
	s_mov_b32 s14, 0x487ffff
	v_add3_u32 v2, v3, v2, s14
	s_mov_b64 s[10:11], exec
	v_lshrrev_b32_e32 v2, 20, v2
                                        ; implicit-def: $vgpr3
	s_andn2_saveexec_b64 s[12:13], s[12:13]
	s_cbranch_execnz .LBB263_1008
.LBB263_417:
	s_or_b64 exec, exec, s[12:13]
	v_mov_b32_e32 v4, 0
	s_and_saveexec_b64 s[12:13], s[10:11]
.LBB263_418:
	v_mov_b32_e32 v4, v2
.LBB263_419:
	s_or_b64 exec, exec, s[12:13]
.LBB263_420:
	s_or_b64 exec, exec, s[8:9]
	global_store_byte v[0:1], v4, off
.LBB263_421:
	s_mov_b64 s[10:11], 0
.LBB263_422:
	s_mov_b64 s[8:9], 0
	s_and_b64 vcc, exec, s[10:11]
	s_cbranch_vccz .LBB263_463
; %bb.423:
	s_cmp_gt_i32 s17, 22
	s_mov_b64 s[10:11], -1
	s_cbranch_scc0 .LBB263_455
; %bb.424:
	s_cmp_lt_i32 s17, 24
	s_cbranch_scc1 .LBB263_444
; %bb.425:
	s_cmp_gt_i32 s17, 24
	s_cbranch_scc0 .LBB263_433
; %bb.426:
	v_cndmask_b32_e64 v3, 0, 1.0, s[6:7]
	s_mov_b32 s10, 0x47800000
	v_cmp_gt_u32_e32 vcc, s10, v3
	v_mov_b32_e32 v4, 0x80
	s_and_saveexec_b64 s[10:11], vcc
	s_cbranch_execz .LBB263_432
; %bb.427:
	s_mov_b32 s12, 0x37ffffff
	v_cmp_lt_u32_e32 vcc, s12, v3
	s_mov_b64 s[12:13], 0
                                        ; implicit-def: $vgpr2
	s_and_saveexec_b64 s[14:15], vcc
	s_xor_b64 s[14:15], exec, s[14:15]
	s_cbranch_execz .LBB263_1011
; %bb.428:
	v_bfe_u32 v2, v3, 21, 1
	s_mov_b32 s18, 0x88fffff
	v_add3_u32 v2, v3, v2, s18
	s_mov_b64 s[12:13], exec
	v_lshrrev_b32_e32 v2, 21, v2
                                        ; implicit-def: $vgpr3
	s_andn2_saveexec_b64 s[14:15], s[14:15]
	s_cbranch_execnz .LBB263_1012
.LBB263_429:
	s_or_b64 exec, exec, s[14:15]
	v_mov_b32_e32 v4, 0
	s_and_saveexec_b64 s[14:15], s[12:13]
.LBB263_430:
	v_mov_b32_e32 v4, v2
.LBB263_431:
	s_or_b64 exec, exec, s[14:15]
.LBB263_432:
	s_or_b64 exec, exec, s[10:11]
	s_mov_b64 s[10:11], 0
	global_store_byte v[0:1], v4, off
.LBB263_433:
	s_and_b64 vcc, exec, s[10:11]
	s_cbranch_vccz .LBB263_443
; %bb.434:
	v_cndmask_b32_e64 v2, 0, 1.0, s[6:7]
	s_mov_b32 s10, 0x43f00000
	v_cmp_gt_u32_e32 vcc, s10, v2
                                        ; implicit-def: $vgpr3
	s_and_saveexec_b64 s[10:11], vcc
	s_xor_b64 s[10:11], exec, s[10:11]
	s_cbranch_execz .LBB263_440
; %bb.435:
	s_mov_b32 s12, 0x3c7fffff
	v_cmp_lt_u32_e32 vcc, s12, v2
                                        ; implicit-def: $vgpr3
	s_and_saveexec_b64 s[12:13], vcc
	s_xor_b64 s[12:13], exec, s[12:13]
; %bb.436:
	v_bfe_u32 v3, v2, 20, 1
	s_mov_b32 s14, 0x407ffff
	v_add3_u32 v2, v2, v3, s14
	v_lshrrev_b32_e32 v3, 20, v2
	v_and_b32_e32 v2, 0xff00000, v2
	s_mov_b32 s14, 0x7f00000
	v_mov_b32_e32 v4, 0x7e
	v_cmp_ne_u32_e32 vcc, s14, v2
	v_cndmask_b32_e32 v3, v4, v3, vcc
                                        ; implicit-def: $vgpr2
; %bb.437:
	s_andn2_saveexec_b64 s[12:13], s[12:13]
; %bb.438:
	v_add_f32_e32 v3, 0x46800000, v2
; %bb.439:
	s_or_b64 exec, exec, s[12:13]
                                        ; implicit-def: $vgpr2
.LBB263_440:
	s_andn2_saveexec_b64 s[10:11], s[10:11]
; %bb.441:
	s_mov_b32 s12, 0x7f800000
	v_mov_b32_e32 v3, 0x7e
	v_mov_b32_e32 v4, 0x7f
	v_cmp_lt_u32_e32 vcc, s12, v2
	v_cndmask_b32_e32 v3, v3, v4, vcc
; %bb.442:
	s_or_b64 exec, exec, s[10:11]
	global_store_byte v[0:1], v3, off
.LBB263_443:
	s_mov_b64 s[10:11], 0
.LBB263_444:
	s_andn2_b64 vcc, exec, s[10:11]
	s_cbranch_vccnz .LBB263_454
; %bb.445:
	v_cndmask_b32_e64 v2, 0, 1.0, s[6:7]
	s_mov_b32 s10, 0x47800000
	v_cmp_gt_u32_e32 vcc, s10, v2
                                        ; implicit-def: $vgpr3
	s_and_saveexec_b64 s[10:11], vcc
	s_xor_b64 s[10:11], exec, s[10:11]
	s_cbranch_execz .LBB263_451
; %bb.446:
	s_mov_b32 s12, 0x387fffff
	v_cmp_lt_u32_e32 vcc, s12, v2
                                        ; implicit-def: $vgpr3
	s_and_saveexec_b64 s[12:13], vcc
	s_xor_b64 s[12:13], exec, s[12:13]
; %bb.447:
	v_bfe_u32 v3, v2, 21, 1
	s_mov_b32 s14, 0x80fffff
	v_add3_u32 v2, v2, v3, s14
	v_lshrrev_b32_e32 v3, 21, v2
                                        ; implicit-def: $vgpr2
; %bb.448:
	s_andn2_saveexec_b64 s[12:13], s[12:13]
; %bb.449:
	v_add_f32_e32 v3, 0x43000000, v2
; %bb.450:
	s_or_b64 exec, exec, s[12:13]
                                        ; implicit-def: $vgpr2
.LBB263_451:
	s_andn2_saveexec_b64 s[10:11], s[10:11]
; %bb.452:
	s_mov_b32 s12, 0x7f800000
	v_mov_b32_e32 v3, 0x7c
	v_mov_b32_e32 v4, 0x7f
	v_cmp_lt_u32_e32 vcc, s12, v2
	v_cndmask_b32_e32 v3, v3, v4, vcc
; %bb.453:
	s_or_b64 exec, exec, s[10:11]
	global_store_byte v[0:1], v3, off
.LBB263_454:
	s_mov_b64 s[10:11], 0
.LBB263_455:
	s_andn2_b64 vcc, exec, s[10:11]
	s_mov_b64 s[10:11], 0
	s_cbranch_vccnz .LBB263_464
; %bb.456:
	s_cmp_gt_i32 s17, 14
	s_mov_b64 s[12:13], -1
	s_cbranch_scc0 .LBB263_460
; %bb.457:
	s_cmp_eq_u32 s17, 15
	s_mov_b64 s[4:5], -1
	s_cbranch_scc0 .LBB263_459
; %bb.458:
	v_cndmask_b32_e64 v2, 0, 1.0, s[6:7]
	v_bfe_u32 v3, v2, 16, 1
	s_movk_i32 s4, 0x7fff
	v_add3_u32 v2, v2, v3, s4
	global_store_short_d16_hi v[0:1], v2, off
	s_mov_b64 s[4:5], 0
.LBB263_459:
	s_mov_b64 s[12:13], 0
.LBB263_460:
	s_and_b64 vcc, exec, s[12:13]
	s_cbranch_vccz .LBB263_464
; %bb.461:
	s_cmp_lg_u32 s17, 11
	s_cselect_b64 s[12:13], -1, 0
	s_andn2_b64 s[4:5], s[4:5], exec
	s_and_b64 s[12:13], s[12:13], exec
	s_mov_b64 s[10:11], -1
	s_or_b64 s[4:5], s[4:5], s[12:13]
	s_branch .LBB263_464
.LBB263_462:
	s_mov_b64 s[10:11], 0
	s_mov_b64 s[8:9], -1
	s_mov_b64 s[4:5], s[58:59]
	s_branch .LBB263_464
.LBB263_463:
	s_mov_b64 s[10:11], 0
.LBB263_464:
	s_and_b64 s[12:13], s[8:9], exec
	s_and_b64 s[8:9], s[10:11], exec
	s_andn2_b64 s[10:11], s[58:59], exec
	s_and_b64 s[4:5], s[4:5], exec
	s_or_b64 s[10:11], s[10:11], s[4:5]
.LBB263_465:
	s_or_b64 exec, exec, s[60:61]
	s_and_b64 s[4:5], s[8:9], exec
	s_andn2_b64 s[8:9], s[58:59], exec
	s_and_b64 s[10:11], s[10:11], exec
	s_and_b64 s[12:13], s[12:13], exec
	s_or_b64 s[58:59], s[8:9], s[10:11]
.LBB263_466:
	s_or_b64 exec, exec, s[56:57]
	s_and_b64 s[8:9], s[12:13], exec
	s_andn2_b64 s[10:11], s[52:53], exec
	s_and_b64 s[12:13], s[58:59], exec
	s_and_b64 s[4:5], s[4:5], exec
	s_or_b64 s[52:53], s[10:11], s[12:13]
.LBB263_467:
	s_or_b64 exec, exec, s[54:55]
	s_and_b64 s[54:55], s[4:5], exec
	s_andn2_b64 s[4:5], s[38:39], exec
	s_and_b64 s[10:11], s[52:53], exec
	s_and_b64 s[8:9], s[8:9], exec
	s_or_b64 s[38:39], s[4:5], s[10:11]
	s_or_b64 exec, exec, s[50:51]
	s_mov_b64 s[4:5], 0
	s_and_saveexec_b64 s[10:11], s[38:39]
	s_cbranch_execz .LBB263_134
.LBB263_468:
	s_mov_b64 s[4:5], exec
	s_andn2_b64 s[54:55], s[54:55], exec
	s_trap 2
	s_or_b64 exec, exec, s[10:11]
	s_and_saveexec_b64 s[10:11], s[54:55]
	s_xor_b64 s[10:11], exec, s[10:11]
	s_cbranch_execnz .LBB263_135
.LBB263_469:
	s_or_b64 exec, exec, s[10:11]
	s_and_saveexec_b64 s[10:11], s[8:9]
	s_xor_b64 s[8:9], exec, s[10:11]
	s_cbranch_execz .LBB263_507
.LBB263_470:
	s_sext_i32_i16 s12, s16
	s_cmp_lt_i32 s12, 5
	s_mov_b64 s[10:11], -1
	s_cbranch_scc1 .LBB263_491
; %bb.471:
	s_cmp_lt_i32 s12, 8
	s_cbranch_scc1 .LBB263_481
; %bb.472:
	s_cmp_lt_i32 s12, 9
	s_cbranch_scc1 .LBB263_478
; %bb.473:
	s_cmp_gt_i32 s12, 9
	s_cbranch_scc0 .LBB263_475
; %bb.474:
	v_cndmask_b32_e64 v2, 0, 1, s[6:7]
	v_cvt_f64_u32_e32 v[2:3], v2
	v_mov_b32_e32 v4, 0
	v_mov_b32_e32 v5, v4
	s_mov_b64 s[10:11], 0
	global_store_dwordx4 v[0:1], v[2:5], off
.LBB263_475:
	s_andn2_b64 vcc, exec, s[10:11]
	s_cbranch_vccnz .LBB263_477
; %bb.476:
	v_cndmask_b32_e64 v2, 0, 1.0, s[6:7]
	v_mov_b32_e32 v3, 0
	global_store_dwordx2 v[0:1], v[2:3], off
.LBB263_477:
	s_mov_b64 s[10:11], 0
.LBB263_478:
	s_andn2_b64 vcc, exec, s[10:11]
	s_cbranch_vccnz .LBB263_480
; %bb.479:
	v_cndmask_b32_e64 v2, 0, 1.0, s[6:7]
	v_cvt_f16_f32_e32 v2, v2
	global_store_dword v[0:1], v2, off
.LBB263_480:
	s_mov_b64 s[10:11], 0
.LBB263_481:
	s_andn2_b64 vcc, exec, s[10:11]
	s_cbranch_vccnz .LBB263_490
; %bb.482:
	s_sext_i32_i16 s12, s16
	s_cmp_lt_i32 s12, 6
	s_mov_b64 s[10:11], -1
	s_cbranch_scc1 .LBB263_488
; %bb.483:
	s_cmp_gt_i32 s12, 6
	s_cbranch_scc0 .LBB263_485
; %bb.484:
	v_cndmask_b32_e64 v2, 0, 1, s[6:7]
	v_cvt_f64_u32_e32 v[2:3], v2
	s_mov_b64 s[10:11], 0
	global_store_dwordx2 v[0:1], v[2:3], off
.LBB263_485:
	s_andn2_b64 vcc, exec, s[10:11]
	s_cbranch_vccnz .LBB263_487
; %bb.486:
	v_cndmask_b32_e64 v2, 0, 1.0, s[6:7]
	global_store_dword v[0:1], v2, off
.LBB263_487:
	s_mov_b64 s[10:11], 0
.LBB263_488:
	s_andn2_b64 vcc, exec, s[10:11]
	s_cbranch_vccnz .LBB263_490
; %bb.489:
	v_cndmask_b32_e64 v2, 0, 1.0, s[6:7]
	v_cvt_f16_f32_e32 v2, v2
	global_store_short v[0:1], v2, off
.LBB263_490:
	s_mov_b64 s[10:11], 0
.LBB263_491:
	s_andn2_b64 vcc, exec, s[10:11]
	s_cbranch_vccnz .LBB263_507
; %bb.492:
	s_sext_i32_i16 s12, s16
	s_cmp_lt_i32 s12, 2
	s_mov_b64 s[10:11], -1
	s_cbranch_scc1 .LBB263_502
; %bb.493:
	s_cmp_lt_i32 s12, 3
	s_cbranch_scc1 .LBB263_499
; %bb.494:
	s_cmp_gt_i32 s12, 3
	s_cbranch_scc0 .LBB263_496
; %bb.495:
	s_mov_b32 s10, 0
	v_cndmask_b32_e64 v2, 0, 1, s[6:7]
	v_mov_b32_e32 v3, s10
	s_mov_b64 s[10:11], 0
	global_store_dwordx2 v[0:1], v[2:3], off
.LBB263_496:
	s_andn2_b64 vcc, exec, s[10:11]
	s_cbranch_vccnz .LBB263_498
; %bb.497:
	v_cndmask_b32_e64 v2, 0, 1, s[6:7]
	global_store_dword v[0:1], v2, off
.LBB263_498:
	s_mov_b64 s[10:11], 0
.LBB263_499:
	s_andn2_b64 vcc, exec, s[10:11]
	s_cbranch_vccnz .LBB263_501
; %bb.500:
	v_cndmask_b32_e64 v2, 0, 1, s[6:7]
	global_store_short v[0:1], v2, off
.LBB263_501:
	s_mov_b64 s[10:11], 0
.LBB263_502:
	s_andn2_b64 vcc, exec, s[10:11]
	s_cbranch_vccnz .LBB263_507
; %bb.503:
	s_sext_i32_i16 s12, s16
	s_mov_b64 s[10:11], -1
	s_cmp_gt_i32 s12, 0
	v_cndmask_b32_e64 v2, 0, 1, s[6:7]
	s_cbranch_scc0 .LBB263_505
; %bb.504:
	s_mov_b64 s[10:11], 0
	global_store_byte v[0:1], v2, off
.LBB263_505:
	s_andn2_b64 vcc, exec, s[10:11]
	s_cbranch_vccnz .LBB263_507
; %bb.506:
	global_store_byte v[0:1], v2, off
.LBB263_507:
	s_or_b64 exec, exec, s[8:9]
	s_and_b64 s[50:51], s[4:5], exec
                                        ; implicit-def: $vgpr10
                                        ; implicit-def: $vgpr11
.LBB263_508:
	s_or_saveexec_b64 s[52:53], s[36:37]
	s_mov_b64 s[4:5], 0
                                        ; implicit-def: $sgpr6_sgpr7
                                        ; implicit-def: $sgpr18
                                        ; implicit-def: $vgpr0_vgpr1
	s_xor_b64 exec, exec, s[52:53]
	s_cbranch_execz .LBB263_941
; %bb.509:
	s_getpc_b64 s[54:55]
	s_add_u32 s54, s54, _ZN2at6native6invokeINS0_13AUnaryFunctorIN3c1015Float8_e5m2fnuzES4_bNS0_12_GLOBAL__N_116CompareEqFunctorIS4_EEEEi15function_traitsIS8_EEENT1_11result_typeERKT_PrKPcPKT0_PKNS3_10ScalarTypeEi@rel32@lo+4
	s_addc_u32 s55, s55, _ZN2at6native6invokeINS0_13AUnaryFunctorIN3c1015Float8_e5m2fnuzES4_bNS0_12_GLOBAL__N_116CompareEqFunctorIS4_EEEEi15function_traitsIS8_EEENT1_11result_typeERKT_PrKPcPKT0_PKNS3_10ScalarTypeEi@rel32@hi+12
	v_mov_b32_e32 v0, s46
	v_mov_b32_e32 v1, s48
	;; [unrolled: 1-line block ×7, first 2 shown]
	v_add_u32_e32 v12, 0x80, v10
	v_add_u32_e32 v13, 0x100, v10
	s_swappc_b64 s[30:31], s[54:55]
	v_and_b32_e32 v0, 1, v0
	v_cmp_eq_u32_e64 s[38:39], 1, v0
	v_mov_b32_e32 v0, s46
	v_mov_b32_e32 v1, s48
	v_mov_b32_e32 v2, s42
	v_mov_b32_e32 v3, s43
	v_mov_b32_e32 v4, s45
	v_mov_b32_e32 v5, s33
	v_mov_b32_e32 v6, v12
	s_swappc_b64 s[30:31], s[54:55]
	v_and_b32_e32 v0, 1, v0
	v_cmp_eq_u32_e64 s[36:37], 1, v0
	v_mov_b32_e32 v0, s46
	v_mov_b32_e32 v1, s48
	v_mov_b32_e32 v2, s42
	v_mov_b32_e32 v3, s43
	v_mov_b32_e32 v4, s45
	v_mov_b32_e32 v5, s33
	v_mov_b32_e32 v6, v13
	;; [unrolled: 10-line block ×3, first 2 shown]
	s_swappc_b64 s[30:31], s[54:55]
	v_mul_lo_u32 v2, s44, v10
	v_and_b32_e32 v0, 1, v0
	v_cmp_eq_u32_e64 s[6:7], 1, v0
	v_mov_b32_e32 v1, s41
	s_and_b32 s18, s49, 0xff
	v_ashrrev_i32_e32 v3, 31, v2
	v_add_co_u32_e32 v0, vcc, s40, v2
	s_cmp_lt_i32 s18, 11
	v_addc_co_u32_e32 v1, vcc, v1, v3, vcc
	s_cbranch_scc1 .LBB263_588
; %bb.510:
	s_and_b32 s16, 0xffff, s18
	s_mov_b64 s[8:9], -1
	s_mov_b64 s[10:11], 0
	s_cmp_gt_i32 s16, 25
	s_mov_b64 s[12:13], 0
	s_mov_b64 s[4:5], 0
	s_cbranch_scc0 .LBB263_543
; %bb.511:
	s_cmp_gt_i32 s16, 28
	s_cbranch_scc0 .LBB263_526
; %bb.512:
	s_cmp_gt_i32 s16, 43
	;; [unrolled: 3-line block ×3, first 2 shown]
	s_cbranch_scc0 .LBB263_516
; %bb.514:
	s_mov_b64 s[4:5], -1
	s_mov_b64 s[8:9], 0
	s_cmp_eq_u32 s16, 46
	s_cbranch_scc0 .LBB263_516
; %bb.515:
	v_cndmask_b32_e64 v3, 0, 1.0, s[38:39]
	v_bfe_u32 v4, v3, 16, 1
	s_movk_i32 s4, 0x7fff
	v_add3_u32 v3, v3, v4, s4
	v_lshrrev_b32_e32 v3, 16, v3
	global_store_dword v[0:1], v3, off
	s_mov_b64 s[4:5], 0
	s_mov_b64 s[12:13], -1
.LBB263_516:
	s_and_b64 vcc, exec, s[8:9]
	s_cbranch_vccz .LBB263_521
; %bb.517:
	s_cmp_eq_u32 s16, 44
	s_mov_b64 s[4:5], -1
	s_cbranch_scc0 .LBB263_521
; %bb.518:
	v_cndmask_b32_e64 v4, 0, 1.0, s[38:39]
	v_lshrrev_b32_e32 v3, 23, v4
	s_movk_i32 s4, 0xff
	v_cmp_ne_u32_e32 vcc, s4, v3
	v_mov_b32_e32 v5, 0xff
	s_and_saveexec_b64 s[8:9], vcc
; %bb.519:
	s_mov_b32 s4, 0x3fffff
	v_and_b32_e32 v5, 0x400000, v4
	v_and_or_b32 v4, v4, s4, v3
	v_cmp_ne_u32_e32 vcc, 0, v5
	v_cmp_ne_u32_e64 s[4:5], 0, v4
	s_and_b64 s[4:5], vcc, s[4:5]
	v_cndmask_b32_e64 v4, 0, 1, s[4:5]
	v_add_u32_e32 v5, v3, v4
; %bb.520:
	s_or_b64 exec, exec, s[8:9]
	s_mov_b64 s[4:5], 0
	s_mov_b64 s[12:13], -1
	global_store_byte v[0:1], v5, off
.LBB263_521:
	s_mov_b64 s[8:9], 0
.LBB263_522:
	s_and_b64 vcc, exec, s[8:9]
	s_cbranch_vccz .LBB263_525
; %bb.523:
	s_cmp_eq_u32 s16, 29
	s_mov_b64 s[4:5], -1
	s_cbranch_scc0 .LBB263_525
; %bb.524:
	s_mov_b32 s4, 0
	v_cndmask_b32_e64 v3, 0, 1, s[38:39]
	v_mov_b32_e32 v4, s4
	global_store_dwordx2 v[0:1], v[3:4], off
	s_mov_b64 s[4:5], 0
	s_mov_b64 s[12:13], -1
.LBB263_525:
	s_mov_b64 s[8:9], 0
.LBB263_526:
	s_and_b64 vcc, exec, s[8:9]
	s_cbranch_vccz .LBB263_542
; %bb.527:
	s_cmp_lt_i32 s16, 27
	s_mov_b64 s[8:9], -1
	s_cbranch_scc1 .LBB263_533
; %bb.528:
	s_cmp_gt_i32 s16, 27
	s_cbranch_scc0 .LBB263_530
; %bb.529:
	v_cndmask_b32_e64 v3, 0, 1, s[38:39]
	s_mov_b64 s[8:9], 0
	global_store_dword v[0:1], v3, off
.LBB263_530:
	s_andn2_b64 vcc, exec, s[8:9]
	s_cbranch_vccnz .LBB263_532
; %bb.531:
	v_cndmask_b32_e64 v3, 0, 1, s[38:39]
	global_store_short v[0:1], v3, off
.LBB263_532:
	s_mov_b64 s[8:9], 0
.LBB263_533:
	s_andn2_b64 vcc, exec, s[8:9]
	s_cbranch_vccnz .LBB263_541
; %bb.534:
	v_cndmask_b32_e64 v4, 0, 1.0, s[38:39]
	s_mov_b32 s8, 0x43800000
	v_cmp_gt_u32_e32 vcc, s8, v4
	v_mov_b32_e32 v5, 0x80
	s_and_saveexec_b64 s[8:9], vcc
	s_cbranch_execz .LBB263_540
; %bb.535:
	s_mov_b32 s12, 0x3bffffff
	v_cmp_lt_u32_e32 vcc, s12, v4
	s_mov_b64 s[12:13], 0
                                        ; implicit-def: $vgpr3
	s_and_saveexec_b64 s[14:15], vcc
	s_xor_b64 s[14:15], exec, s[14:15]
	s_cbranch_execz .LBB263_985
; %bb.536:
	v_bfe_u32 v3, v4, 20, 1
	s_mov_b32 s17, 0x487ffff
	v_add3_u32 v3, v4, v3, s17
	s_mov_b64 s[12:13], exec
	v_lshrrev_b32_e32 v3, 20, v3
                                        ; implicit-def: $vgpr4
	s_andn2_saveexec_b64 s[14:15], s[14:15]
	s_cbranch_execnz .LBB263_986
.LBB263_537:
	s_or_b64 exec, exec, s[14:15]
	v_mov_b32_e32 v5, 0
	s_and_saveexec_b64 s[14:15], s[12:13]
.LBB263_538:
	v_mov_b32_e32 v5, v3
.LBB263_539:
	s_or_b64 exec, exec, s[14:15]
.LBB263_540:
	s_or_b64 exec, exec, s[8:9]
	global_store_byte v[0:1], v5, off
.LBB263_541:
	s_mov_b64 s[12:13], -1
.LBB263_542:
	s_mov_b64 s[8:9], 0
.LBB263_543:
	s_and_b64 vcc, exec, s[8:9]
	s_cbranch_vccz .LBB263_583
; %bb.544:
	s_cmp_gt_i32 s16, 22
	s_mov_b64 s[8:9], -1
	s_cbranch_scc0 .LBB263_576
; %bb.545:
	s_cmp_lt_i32 s16, 24
	s_cbranch_scc1 .LBB263_565
; %bb.546:
	s_cmp_gt_i32 s16, 24
	s_cbranch_scc0 .LBB263_554
; %bb.547:
	v_cndmask_b32_e64 v4, 0, 1.0, s[38:39]
	s_mov_b32 s8, 0x47800000
	v_cmp_gt_u32_e32 vcc, s8, v4
	v_mov_b32_e32 v5, 0x80
	s_and_saveexec_b64 s[8:9], vcc
	s_cbranch_execz .LBB263_553
; %bb.548:
	s_mov_b32 s10, 0x37ffffff
	v_cmp_lt_u32_e32 vcc, s10, v4
	s_mov_b64 s[10:11], 0
                                        ; implicit-def: $vgpr3
	s_and_saveexec_b64 s[12:13], vcc
	s_xor_b64 s[12:13], exec, s[12:13]
	s_cbranch_execz .LBB263_988
; %bb.549:
	v_bfe_u32 v3, v4, 21, 1
	s_mov_b32 s14, 0x88fffff
	v_add3_u32 v3, v4, v3, s14
	s_mov_b64 s[10:11], exec
	v_lshrrev_b32_e32 v3, 21, v3
                                        ; implicit-def: $vgpr4
	s_andn2_saveexec_b64 s[12:13], s[12:13]
	s_cbranch_execnz .LBB263_989
.LBB263_550:
	s_or_b64 exec, exec, s[12:13]
	v_mov_b32_e32 v5, 0
	s_and_saveexec_b64 s[12:13], s[10:11]
.LBB263_551:
	v_mov_b32_e32 v5, v3
.LBB263_552:
	s_or_b64 exec, exec, s[12:13]
.LBB263_553:
	s_or_b64 exec, exec, s[8:9]
	s_mov_b64 s[8:9], 0
	global_store_byte v[0:1], v5, off
.LBB263_554:
	s_and_b64 vcc, exec, s[8:9]
	s_cbranch_vccz .LBB263_564
; %bb.555:
	v_cndmask_b32_e64 v3, 0, 1.0, s[38:39]
	s_mov_b32 s8, 0x43f00000
	v_cmp_gt_u32_e32 vcc, s8, v3
                                        ; implicit-def: $vgpr4
	s_and_saveexec_b64 s[8:9], vcc
	s_xor_b64 s[8:9], exec, s[8:9]
	s_cbranch_execz .LBB263_561
; %bb.556:
	s_mov_b32 s10, 0x3c7fffff
	v_cmp_lt_u32_e32 vcc, s10, v3
                                        ; implicit-def: $vgpr4
	s_and_saveexec_b64 s[10:11], vcc
	s_xor_b64 s[10:11], exec, s[10:11]
; %bb.557:
	v_bfe_u32 v4, v3, 20, 1
	s_mov_b32 s12, 0x407ffff
	v_add3_u32 v3, v3, v4, s12
	v_lshrrev_b32_e32 v4, 20, v3
	v_and_b32_e32 v3, 0xff00000, v3
	s_mov_b32 s12, 0x7f00000
	v_mov_b32_e32 v5, 0x7e
	v_cmp_ne_u32_e32 vcc, s12, v3
	v_cndmask_b32_e32 v4, v5, v4, vcc
                                        ; implicit-def: $vgpr3
; %bb.558:
	s_andn2_saveexec_b64 s[10:11], s[10:11]
; %bb.559:
	v_add_f32_e32 v4, 0x46800000, v3
; %bb.560:
	s_or_b64 exec, exec, s[10:11]
                                        ; implicit-def: $vgpr3
.LBB263_561:
	s_andn2_saveexec_b64 s[8:9], s[8:9]
; %bb.562:
	s_mov_b32 s10, 0x7f800000
	v_mov_b32_e32 v4, 0x7e
	v_mov_b32_e32 v5, 0x7f
	v_cmp_lt_u32_e32 vcc, s10, v3
	v_cndmask_b32_e32 v4, v4, v5, vcc
; %bb.563:
	s_or_b64 exec, exec, s[8:9]
	global_store_byte v[0:1], v4, off
.LBB263_564:
	s_mov_b64 s[8:9], 0
.LBB263_565:
	s_andn2_b64 vcc, exec, s[8:9]
	s_cbranch_vccnz .LBB263_575
; %bb.566:
	v_cndmask_b32_e64 v3, 0, 1.0, s[38:39]
	s_mov_b32 s8, 0x47800000
	v_cmp_gt_u32_e32 vcc, s8, v3
                                        ; implicit-def: $vgpr4
	s_and_saveexec_b64 s[8:9], vcc
	s_xor_b64 s[8:9], exec, s[8:9]
	s_cbranch_execz .LBB263_572
; %bb.567:
	s_mov_b32 s10, 0x387fffff
	v_cmp_lt_u32_e32 vcc, s10, v3
                                        ; implicit-def: $vgpr4
	s_and_saveexec_b64 s[10:11], vcc
	s_xor_b64 s[10:11], exec, s[10:11]
; %bb.568:
	v_bfe_u32 v4, v3, 21, 1
	s_mov_b32 s12, 0x80fffff
	v_add3_u32 v3, v3, v4, s12
	v_lshrrev_b32_e32 v4, 21, v3
                                        ; implicit-def: $vgpr3
; %bb.569:
	s_andn2_saveexec_b64 s[10:11], s[10:11]
; %bb.570:
	v_add_f32_e32 v4, 0x43000000, v3
; %bb.571:
	s_or_b64 exec, exec, s[10:11]
                                        ; implicit-def: $vgpr3
.LBB263_572:
	s_andn2_saveexec_b64 s[8:9], s[8:9]
; %bb.573:
	s_mov_b32 s10, 0x7f800000
	v_mov_b32_e32 v4, 0x7c
	v_mov_b32_e32 v5, 0x7f
	v_cmp_lt_u32_e32 vcc, s10, v3
	v_cndmask_b32_e32 v4, v4, v5, vcc
; %bb.574:
	s_or_b64 exec, exec, s[8:9]
	global_store_byte v[0:1], v4, off
.LBB263_575:
	s_mov_b64 s[8:9], 0
	s_mov_b64 s[12:13], -1
.LBB263_576:
	s_andn2_b64 vcc, exec, s[8:9]
	s_mov_b64 s[10:11], 0
	s_cbranch_vccnz .LBB263_583
; %bb.577:
	s_cmp_gt_i32 s16, 14
	s_mov_b64 s[8:9], -1
	s_cbranch_scc0 .LBB263_581
; %bb.578:
	s_cmp_eq_u32 s16, 15
	s_mov_b64 s[4:5], -1
	s_cbranch_scc0 .LBB263_580
; %bb.579:
	v_cndmask_b32_e64 v3, 0, 1.0, s[38:39]
	v_bfe_u32 v4, v3, 16, 1
	s_movk_i32 s4, 0x7fff
	v_add3_u32 v3, v3, v4, s4
	global_store_short_d16_hi v[0:1], v3, off
	s_mov_b64 s[4:5], 0
	s_mov_b64 s[12:13], -1
.LBB263_580:
	s_mov_b64 s[8:9], 0
.LBB263_581:
	s_and_b64 vcc, exec, s[8:9]
	s_cbranch_vccz .LBB263_583
; %bb.582:
	s_cmp_lg_u32 s16, 11
	s_mov_b64 s[10:11], -1
	s_cselect_b64 s[4:5], -1, 0
.LBB263_583:
	s_and_b64 vcc, exec, s[4:5]
	s_mov_b64 s[8:9], s[50:51]
	s_cbranch_vccnz .LBB263_987
; %bb.584:
	s_andn2_b64 vcc, exec, s[10:11]
	s_cbranch_vccnz .LBB263_586
.LBB263_585:
	v_cndmask_b32_e64 v3, 0, 1, s[38:39]
	global_store_byte v[0:1], v3, off
	s_mov_b64 s[12:13], -1
.LBB263_586:
.LBB263_587:
	s_andn2_b64 vcc, exec, s[12:13]
	s_cbranch_vccz .LBB263_627
	s_branch .LBB263_939
.LBB263_588:
	s_mov_b64 s[12:13], 0
	s_mov_b64 s[8:9], s[50:51]
	s_cbranch_execz .LBB263_587
; %bb.589:
	s_and_b32 s10, 0xffff, s18
	s_cmp_lt_i32 s10, 5
	s_mov_b64 s[4:5], -1
	s_cbranch_scc1 .LBB263_610
; %bb.590:
	s_cmp_lt_i32 s10, 8
	s_cbranch_scc1 .LBB263_600
; %bb.591:
	s_cmp_lt_i32 s10, 9
	s_cbranch_scc1 .LBB263_597
; %bb.592:
	s_cmp_gt_i32 s10, 9
	s_cbranch_scc0 .LBB263_594
; %bb.593:
	v_cndmask_b32_e64 v3, 0, 1, s[38:39]
	v_cvt_f64_u32_e32 v[3:4], v3
	v_mov_b32_e32 v5, 0
	v_mov_b32_e32 v6, v5
	s_mov_b64 s[4:5], 0
	global_store_dwordx4 v[0:1], v[3:6], off
.LBB263_594:
	s_andn2_b64 vcc, exec, s[4:5]
	s_cbranch_vccnz .LBB263_596
; %bb.595:
	v_cndmask_b32_e64 v3, 0, 1.0, s[38:39]
	v_mov_b32_e32 v4, 0
	global_store_dwordx2 v[0:1], v[3:4], off
.LBB263_596:
	s_mov_b64 s[4:5], 0
.LBB263_597:
	s_andn2_b64 vcc, exec, s[4:5]
	s_cbranch_vccnz .LBB263_599
; %bb.598:
	v_cndmask_b32_e64 v3, 0, 1.0, s[38:39]
	v_cvt_f16_f32_e32 v3, v3
	global_store_dword v[0:1], v3, off
.LBB263_599:
	s_mov_b64 s[4:5], 0
.LBB263_600:
	s_andn2_b64 vcc, exec, s[4:5]
	s_cbranch_vccnz .LBB263_609
; %bb.601:
	s_cmp_lt_i32 s10, 6
	s_mov_b64 s[4:5], -1
	s_cbranch_scc1 .LBB263_607
; %bb.602:
	s_cmp_gt_i32 s10, 6
	s_cbranch_scc0 .LBB263_604
; %bb.603:
	v_cndmask_b32_e64 v3, 0, 1, s[38:39]
	v_cvt_f64_u32_e32 v[3:4], v3
	s_mov_b64 s[4:5], 0
	global_store_dwordx2 v[0:1], v[3:4], off
.LBB263_604:
	s_andn2_b64 vcc, exec, s[4:5]
	s_cbranch_vccnz .LBB263_606
; %bb.605:
	v_cndmask_b32_e64 v3, 0, 1.0, s[38:39]
	global_store_dword v[0:1], v3, off
.LBB263_606:
	s_mov_b64 s[4:5], 0
.LBB263_607:
	s_andn2_b64 vcc, exec, s[4:5]
	s_cbranch_vccnz .LBB263_609
; %bb.608:
	v_cndmask_b32_e64 v3, 0, 1.0, s[38:39]
	v_cvt_f16_f32_e32 v3, v3
	global_store_short v[0:1], v3, off
.LBB263_609:
	s_mov_b64 s[4:5], 0
.LBB263_610:
	s_andn2_b64 vcc, exec, s[4:5]
	s_cbranch_vccnz .LBB263_626
; %bb.611:
	s_cmp_lt_i32 s10, 2
	s_mov_b64 s[4:5], -1
	s_cbranch_scc1 .LBB263_621
; %bb.612:
	s_cmp_lt_i32 s10, 3
	s_cbranch_scc1 .LBB263_618
; %bb.613:
	s_cmp_gt_i32 s10, 3
	s_cbranch_scc0 .LBB263_615
; %bb.614:
	s_mov_b32 s4, 0
	v_cndmask_b32_e64 v3, 0, 1, s[38:39]
	v_mov_b32_e32 v4, s4
	global_store_dwordx2 v[0:1], v[3:4], off
	s_mov_b64 s[4:5], 0
.LBB263_615:
	s_andn2_b64 vcc, exec, s[4:5]
	s_cbranch_vccnz .LBB263_617
; %bb.616:
	v_cndmask_b32_e64 v3, 0, 1, s[38:39]
	global_store_dword v[0:1], v3, off
.LBB263_617:
	s_mov_b64 s[4:5], 0
.LBB263_618:
	s_andn2_b64 vcc, exec, s[4:5]
	s_cbranch_vccnz .LBB263_620
; %bb.619:
	v_cndmask_b32_e64 v3, 0, 1, s[38:39]
	global_store_short v[0:1], v3, off
.LBB263_620:
	s_mov_b64 s[4:5], 0
.LBB263_621:
	s_andn2_b64 vcc, exec, s[4:5]
	s_cbranch_vccnz .LBB263_626
; %bb.622:
	s_mov_b64 s[4:5], -1
	s_cmp_gt_i32 s10, 0
	v_cndmask_b32_e64 v3, 0, 1, s[38:39]
	s_cbranch_scc0 .LBB263_624
; %bb.623:
	global_store_byte v[0:1], v3, off
	s_mov_b64 s[4:5], 0
.LBB263_624:
	s_andn2_b64 vcc, exec, s[4:5]
	s_cbranch_vccnz .LBB263_626
; %bb.625:
	global_store_byte v[0:1], v3, off
.LBB263_626:
.LBB263_627:
	s_lshl_b32 s19, s44, 7
	v_add_u32_e32 v2, s19, v2
	v_ashrrev_i32_e32 v1, 31, v2
	v_mov_b32_e32 v3, s41
	v_add_co_u32_e32 v0, vcc, s40, v2
	s_cmp_lt_i32 s18, 11
	v_addc_co_u32_e32 v1, vcc, v3, v1, vcc
	s_cbranch_scc1 .LBB263_706
; %bb.628:
	s_and_b32 s20, 0xffff, s18
	s_mov_b64 s[14:15], -1
	s_mov_b64 s[10:11], 0
	s_cmp_gt_i32 s20, 25
	s_mov_b64 s[12:13], 0
	s_mov_b64 s[4:5], 0
	s_cbranch_scc0 .LBB263_661
; %bb.629:
	s_cmp_gt_i32 s20, 28
	s_cbranch_scc0 .LBB263_644
; %bb.630:
	s_cmp_gt_i32 s20, 43
	;; [unrolled: 3-line block ×3, first 2 shown]
	s_cbranch_scc0 .LBB263_634
; %bb.632:
	s_mov_b64 s[4:5], -1
	s_mov_b64 s[14:15], 0
	s_cmp_eq_u32 s20, 46
	s_cbranch_scc0 .LBB263_634
; %bb.633:
	v_cndmask_b32_e64 v3, 0, 1.0, s[36:37]
	v_bfe_u32 v4, v3, 16, 1
	s_movk_i32 s4, 0x7fff
	v_add3_u32 v3, v3, v4, s4
	v_lshrrev_b32_e32 v3, 16, v3
	global_store_dword v[0:1], v3, off
	s_mov_b64 s[4:5], 0
	s_mov_b64 s[12:13], -1
.LBB263_634:
	s_and_b64 vcc, exec, s[14:15]
	s_cbranch_vccz .LBB263_639
; %bb.635:
	s_cmp_eq_u32 s20, 44
	s_mov_b64 s[4:5], -1
	s_cbranch_scc0 .LBB263_639
; %bb.636:
	v_cndmask_b32_e64 v4, 0, 1.0, s[36:37]
	v_lshrrev_b32_e32 v3, 23, v4
	s_movk_i32 s4, 0xff
	v_cmp_ne_u32_e32 vcc, s4, v3
	v_mov_b32_e32 v5, 0xff
	s_and_saveexec_b64 s[12:13], vcc
; %bb.637:
	s_mov_b32 s4, 0x3fffff
	v_and_b32_e32 v5, 0x400000, v4
	v_and_or_b32 v4, v4, s4, v3
	v_cmp_ne_u32_e32 vcc, 0, v5
	v_cmp_ne_u32_e64 s[4:5], 0, v4
	s_and_b64 s[4:5], vcc, s[4:5]
	v_cndmask_b32_e64 v4, 0, 1, s[4:5]
	v_add_u32_e32 v5, v3, v4
; %bb.638:
	s_or_b64 exec, exec, s[12:13]
	s_mov_b64 s[4:5], 0
	s_mov_b64 s[12:13], -1
	global_store_byte v[0:1], v5, off
.LBB263_639:
	s_mov_b64 s[14:15], 0
.LBB263_640:
	s_and_b64 vcc, exec, s[14:15]
	s_cbranch_vccz .LBB263_643
; %bb.641:
	s_cmp_eq_u32 s20, 29
	s_mov_b64 s[4:5], -1
	s_cbranch_scc0 .LBB263_643
; %bb.642:
	s_mov_b32 s4, 0
	v_cndmask_b32_e64 v3, 0, 1, s[36:37]
	v_mov_b32_e32 v4, s4
	global_store_dwordx2 v[0:1], v[3:4], off
	s_mov_b64 s[4:5], 0
	s_mov_b64 s[12:13], -1
.LBB263_643:
	s_mov_b64 s[14:15], 0
.LBB263_644:
	s_and_b64 vcc, exec, s[14:15]
	s_cbranch_vccz .LBB263_660
; %bb.645:
	s_cmp_lt_i32 s20, 27
	s_mov_b64 s[12:13], -1
	s_cbranch_scc1 .LBB263_651
; %bb.646:
	s_cmp_gt_i32 s20, 27
	s_cbranch_scc0 .LBB263_648
; %bb.647:
	v_cndmask_b32_e64 v3, 0, 1, s[36:37]
	s_mov_b64 s[12:13], 0
	global_store_dword v[0:1], v3, off
.LBB263_648:
	s_andn2_b64 vcc, exec, s[12:13]
	s_cbranch_vccnz .LBB263_650
; %bb.649:
	v_cndmask_b32_e64 v3, 0, 1, s[36:37]
	global_store_short v[0:1], v3, off
.LBB263_650:
	s_mov_b64 s[12:13], 0
.LBB263_651:
	s_andn2_b64 vcc, exec, s[12:13]
	s_cbranch_vccnz .LBB263_659
; %bb.652:
	v_cndmask_b32_e64 v4, 0, 1.0, s[36:37]
	s_mov_b32 s12, 0x43800000
	v_cmp_gt_u32_e32 vcc, s12, v4
	v_mov_b32_e32 v5, 0x80
	s_and_saveexec_b64 s[12:13], vcc
	s_cbranch_execz .LBB263_658
; %bb.653:
	s_mov_b32 s14, 0x3bffffff
	v_cmp_lt_u32_e32 vcc, s14, v4
	s_mov_b64 s[14:15], 0
                                        ; implicit-def: $vgpr3
	s_and_saveexec_b64 s[16:17], vcc
	s_xor_b64 s[16:17], exec, s[16:17]
	s_cbranch_execz .LBB263_990
; %bb.654:
	v_bfe_u32 v3, v4, 20, 1
	s_mov_b32 s21, 0x487ffff
	v_add3_u32 v3, v4, v3, s21
	s_mov_b64 s[14:15], exec
	v_lshrrev_b32_e32 v3, 20, v3
                                        ; implicit-def: $vgpr4
	s_andn2_saveexec_b64 s[16:17], s[16:17]
	s_cbranch_execnz .LBB263_991
.LBB263_655:
	s_or_b64 exec, exec, s[16:17]
	v_mov_b32_e32 v5, 0
	s_and_saveexec_b64 s[16:17], s[14:15]
.LBB263_656:
	v_mov_b32_e32 v5, v3
.LBB263_657:
	s_or_b64 exec, exec, s[16:17]
.LBB263_658:
	s_or_b64 exec, exec, s[12:13]
	global_store_byte v[0:1], v5, off
.LBB263_659:
	s_mov_b64 s[12:13], -1
.LBB263_660:
	s_mov_b64 s[14:15], 0
.LBB263_661:
	s_and_b64 vcc, exec, s[14:15]
	s_cbranch_vccz .LBB263_701
; %bb.662:
	s_cmp_gt_i32 s20, 22
	s_mov_b64 s[10:11], -1
	s_cbranch_scc0 .LBB263_694
; %bb.663:
	s_cmp_lt_i32 s20, 24
	s_cbranch_scc1 .LBB263_683
; %bb.664:
	s_cmp_gt_i32 s20, 24
	s_cbranch_scc0 .LBB263_672
; %bb.665:
	v_cndmask_b32_e64 v4, 0, 1.0, s[36:37]
	s_mov_b32 s10, 0x47800000
	v_cmp_gt_u32_e32 vcc, s10, v4
	v_mov_b32_e32 v5, 0x80
	s_and_saveexec_b64 s[10:11], vcc
	s_cbranch_execz .LBB263_671
; %bb.666:
	s_mov_b32 s12, 0x37ffffff
	v_cmp_lt_u32_e32 vcc, s12, v4
	s_mov_b64 s[12:13], 0
                                        ; implicit-def: $vgpr3
	s_and_saveexec_b64 s[14:15], vcc
	s_xor_b64 s[14:15], exec, s[14:15]
	s_cbranch_execz .LBB263_993
; %bb.667:
	v_bfe_u32 v3, v4, 21, 1
	s_mov_b32 s16, 0x88fffff
	v_add3_u32 v3, v4, v3, s16
	s_mov_b64 s[12:13], exec
	v_lshrrev_b32_e32 v3, 21, v3
                                        ; implicit-def: $vgpr4
	s_andn2_saveexec_b64 s[14:15], s[14:15]
	s_cbranch_execnz .LBB263_994
.LBB263_668:
	s_or_b64 exec, exec, s[14:15]
	v_mov_b32_e32 v5, 0
	s_and_saveexec_b64 s[14:15], s[12:13]
.LBB263_669:
	v_mov_b32_e32 v5, v3
.LBB263_670:
	s_or_b64 exec, exec, s[14:15]
.LBB263_671:
	s_or_b64 exec, exec, s[10:11]
	s_mov_b64 s[10:11], 0
	global_store_byte v[0:1], v5, off
.LBB263_672:
	s_and_b64 vcc, exec, s[10:11]
	s_cbranch_vccz .LBB263_682
; %bb.673:
	v_cndmask_b32_e64 v3, 0, 1.0, s[36:37]
	s_mov_b32 s10, 0x43f00000
	v_cmp_gt_u32_e32 vcc, s10, v3
                                        ; implicit-def: $vgpr4
	s_and_saveexec_b64 s[10:11], vcc
	s_xor_b64 s[10:11], exec, s[10:11]
	s_cbranch_execz .LBB263_679
; %bb.674:
	s_mov_b32 s12, 0x3c7fffff
	v_cmp_lt_u32_e32 vcc, s12, v3
                                        ; implicit-def: $vgpr4
	s_and_saveexec_b64 s[12:13], vcc
	s_xor_b64 s[12:13], exec, s[12:13]
; %bb.675:
	v_bfe_u32 v4, v3, 20, 1
	s_mov_b32 s14, 0x407ffff
	v_add3_u32 v3, v3, v4, s14
	v_lshrrev_b32_e32 v4, 20, v3
	v_and_b32_e32 v3, 0xff00000, v3
	s_mov_b32 s14, 0x7f00000
	v_mov_b32_e32 v5, 0x7e
	v_cmp_ne_u32_e32 vcc, s14, v3
	v_cndmask_b32_e32 v4, v5, v4, vcc
                                        ; implicit-def: $vgpr3
; %bb.676:
	s_andn2_saveexec_b64 s[12:13], s[12:13]
; %bb.677:
	v_add_f32_e32 v4, 0x46800000, v3
; %bb.678:
	s_or_b64 exec, exec, s[12:13]
                                        ; implicit-def: $vgpr3
.LBB263_679:
	s_andn2_saveexec_b64 s[10:11], s[10:11]
; %bb.680:
	s_mov_b32 s12, 0x7f800000
	v_mov_b32_e32 v4, 0x7e
	v_mov_b32_e32 v5, 0x7f
	v_cmp_lt_u32_e32 vcc, s12, v3
	v_cndmask_b32_e32 v4, v4, v5, vcc
; %bb.681:
	s_or_b64 exec, exec, s[10:11]
	global_store_byte v[0:1], v4, off
.LBB263_682:
	s_mov_b64 s[10:11], 0
.LBB263_683:
	s_andn2_b64 vcc, exec, s[10:11]
	s_cbranch_vccnz .LBB263_693
; %bb.684:
	v_cndmask_b32_e64 v3, 0, 1.0, s[36:37]
	s_mov_b32 s10, 0x47800000
	v_cmp_gt_u32_e32 vcc, s10, v3
                                        ; implicit-def: $vgpr4
	s_and_saveexec_b64 s[10:11], vcc
	s_xor_b64 s[10:11], exec, s[10:11]
	s_cbranch_execz .LBB263_690
; %bb.685:
	s_mov_b32 s12, 0x387fffff
	v_cmp_lt_u32_e32 vcc, s12, v3
                                        ; implicit-def: $vgpr4
	s_and_saveexec_b64 s[12:13], vcc
	s_xor_b64 s[12:13], exec, s[12:13]
; %bb.686:
	v_bfe_u32 v4, v3, 21, 1
	s_mov_b32 s14, 0x80fffff
	v_add3_u32 v3, v3, v4, s14
	v_lshrrev_b32_e32 v4, 21, v3
                                        ; implicit-def: $vgpr3
; %bb.687:
	s_andn2_saveexec_b64 s[12:13], s[12:13]
; %bb.688:
	v_add_f32_e32 v4, 0x43000000, v3
; %bb.689:
	s_or_b64 exec, exec, s[12:13]
                                        ; implicit-def: $vgpr3
.LBB263_690:
	s_andn2_saveexec_b64 s[10:11], s[10:11]
; %bb.691:
	s_mov_b32 s12, 0x7f800000
	v_mov_b32_e32 v4, 0x7c
	v_mov_b32_e32 v5, 0x7f
	v_cmp_lt_u32_e32 vcc, s12, v3
	v_cndmask_b32_e32 v4, v4, v5, vcc
; %bb.692:
	s_or_b64 exec, exec, s[10:11]
	global_store_byte v[0:1], v4, off
.LBB263_693:
	s_mov_b64 s[10:11], 0
	s_mov_b64 s[12:13], -1
.LBB263_694:
	s_andn2_b64 vcc, exec, s[10:11]
	s_mov_b64 s[10:11], 0
	s_cbranch_vccnz .LBB263_701
; %bb.695:
	s_cmp_gt_i32 s20, 14
	s_mov_b64 s[14:15], -1
	s_cbranch_scc0 .LBB263_699
; %bb.696:
	s_cmp_eq_u32 s20, 15
	s_mov_b64 s[4:5], -1
	s_cbranch_scc0 .LBB263_698
; %bb.697:
	v_cndmask_b32_e64 v3, 0, 1.0, s[36:37]
	v_bfe_u32 v4, v3, 16, 1
	s_movk_i32 s4, 0x7fff
	v_add3_u32 v3, v3, v4, s4
	global_store_short_d16_hi v[0:1], v3, off
	s_mov_b64 s[4:5], 0
	s_mov_b64 s[12:13], -1
.LBB263_698:
	s_mov_b64 s[14:15], 0
.LBB263_699:
	s_and_b64 vcc, exec, s[14:15]
	s_cbranch_vccz .LBB263_701
; %bb.700:
	s_cmp_lg_u32 s20, 11
	s_mov_b64 s[10:11], -1
	s_cselect_b64 s[4:5], -1, 0
.LBB263_701:
	s_and_b64 vcc, exec, s[4:5]
	s_cbranch_vccnz .LBB263_992
; %bb.702:
	s_andn2_b64 vcc, exec, s[10:11]
	s_cbranch_vccnz .LBB263_704
.LBB263_703:
	v_cndmask_b32_e64 v3, 0, 1, s[36:37]
	s_mov_b64 s[12:13], -1
	global_store_byte v[0:1], v3, off
.LBB263_704:
.LBB263_705:
	s_andn2_b64 vcc, exec, s[12:13]
	s_cbranch_vccz .LBB263_745
	s_branch .LBB263_939
.LBB263_706:
	s_mov_b64 s[12:13], 0
	s_cbranch_execz .LBB263_705
; %bb.707:
	s_and_b32 s10, 0xffff, s18
	s_cmp_lt_i32 s10, 5
	s_mov_b64 s[4:5], -1
	s_cbranch_scc1 .LBB263_728
; %bb.708:
	s_cmp_lt_i32 s10, 8
	s_cbranch_scc1 .LBB263_718
; %bb.709:
	s_cmp_lt_i32 s10, 9
	s_cbranch_scc1 .LBB263_715
; %bb.710:
	s_cmp_gt_i32 s10, 9
	s_cbranch_scc0 .LBB263_712
; %bb.711:
	v_cndmask_b32_e64 v3, 0, 1, s[36:37]
	v_cvt_f64_u32_e32 v[3:4], v3
	v_mov_b32_e32 v5, 0
	v_mov_b32_e32 v6, v5
	s_mov_b64 s[4:5], 0
	global_store_dwordx4 v[0:1], v[3:6], off
.LBB263_712:
	s_andn2_b64 vcc, exec, s[4:5]
	s_cbranch_vccnz .LBB263_714
; %bb.713:
	v_cndmask_b32_e64 v3, 0, 1.0, s[36:37]
	v_mov_b32_e32 v4, 0
	global_store_dwordx2 v[0:1], v[3:4], off
.LBB263_714:
	s_mov_b64 s[4:5], 0
.LBB263_715:
	s_andn2_b64 vcc, exec, s[4:5]
	s_cbranch_vccnz .LBB263_717
; %bb.716:
	v_cndmask_b32_e64 v3, 0, 1.0, s[36:37]
	v_cvt_f16_f32_e32 v3, v3
	global_store_dword v[0:1], v3, off
.LBB263_717:
	s_mov_b64 s[4:5], 0
.LBB263_718:
	s_andn2_b64 vcc, exec, s[4:5]
	s_cbranch_vccnz .LBB263_727
; %bb.719:
	s_cmp_lt_i32 s10, 6
	s_mov_b64 s[4:5], -1
	s_cbranch_scc1 .LBB263_725
; %bb.720:
	s_cmp_gt_i32 s10, 6
	s_cbranch_scc0 .LBB263_722
; %bb.721:
	v_cndmask_b32_e64 v3, 0, 1, s[36:37]
	v_cvt_f64_u32_e32 v[3:4], v3
	s_mov_b64 s[4:5], 0
	global_store_dwordx2 v[0:1], v[3:4], off
.LBB263_722:
	s_andn2_b64 vcc, exec, s[4:5]
	s_cbranch_vccnz .LBB263_724
; %bb.723:
	v_cndmask_b32_e64 v3, 0, 1.0, s[36:37]
	global_store_dword v[0:1], v3, off
.LBB263_724:
	s_mov_b64 s[4:5], 0
.LBB263_725:
	s_andn2_b64 vcc, exec, s[4:5]
	s_cbranch_vccnz .LBB263_727
; %bb.726:
	v_cndmask_b32_e64 v3, 0, 1.0, s[36:37]
	v_cvt_f16_f32_e32 v3, v3
	global_store_short v[0:1], v3, off
.LBB263_727:
	s_mov_b64 s[4:5], 0
.LBB263_728:
	s_andn2_b64 vcc, exec, s[4:5]
	s_cbranch_vccnz .LBB263_744
; %bb.729:
	s_cmp_lt_i32 s10, 2
	s_mov_b64 s[4:5], -1
	s_cbranch_scc1 .LBB263_739
; %bb.730:
	s_cmp_lt_i32 s10, 3
	s_cbranch_scc1 .LBB263_736
; %bb.731:
	s_cmp_gt_i32 s10, 3
	s_cbranch_scc0 .LBB263_733
; %bb.732:
	s_mov_b32 s4, 0
	v_cndmask_b32_e64 v3, 0, 1, s[36:37]
	v_mov_b32_e32 v4, s4
	global_store_dwordx2 v[0:1], v[3:4], off
	s_mov_b64 s[4:5], 0
.LBB263_733:
	s_andn2_b64 vcc, exec, s[4:5]
	s_cbranch_vccnz .LBB263_735
; %bb.734:
	v_cndmask_b32_e64 v3, 0, 1, s[36:37]
	global_store_dword v[0:1], v3, off
.LBB263_735:
	s_mov_b64 s[4:5], 0
.LBB263_736:
	s_andn2_b64 vcc, exec, s[4:5]
	s_cbranch_vccnz .LBB263_738
; %bb.737:
	v_cndmask_b32_e64 v3, 0, 1, s[36:37]
	global_store_short v[0:1], v3, off
.LBB263_738:
	s_mov_b64 s[4:5], 0
.LBB263_739:
	s_andn2_b64 vcc, exec, s[4:5]
	s_cbranch_vccnz .LBB263_744
; %bb.740:
	s_mov_b64 s[4:5], -1
	s_cmp_gt_i32 s10, 0
	v_cndmask_b32_e64 v3, 0, 1, s[36:37]
	s_cbranch_scc0 .LBB263_742
; %bb.741:
	global_store_byte v[0:1], v3, off
	s_mov_b64 s[4:5], 0
.LBB263_742:
	s_andn2_b64 vcc, exec, s[4:5]
	s_cbranch_vccnz .LBB263_744
; %bb.743:
	global_store_byte v[0:1], v3, off
.LBB263_744:
.LBB263_745:
	v_add_u32_e32 v2, s19, v2
	v_ashrrev_i32_e32 v1, 31, v2
	v_mov_b32_e32 v3, s41
	v_add_co_u32_e32 v0, vcc, s40, v2
	s_cmp_lt_i32 s18, 11
	v_addc_co_u32_e32 v1, vcc, v3, v1, vcc
	s_cbranch_scc1 .LBB263_900
; %bb.746:
	s_and_b32 s20, 0xffff, s18
	s_mov_b64 s[14:15], -1
	s_mov_b64 s[10:11], 0
	s_cmp_gt_i32 s20, 25
	s_mov_b64 s[12:13], 0
	s_mov_b64 s[4:5], 0
	s_cbranch_scc0 .LBB263_779
; %bb.747:
	s_cmp_gt_i32 s20, 28
	s_cbranch_scc0 .LBB263_762
; %bb.748:
	s_cmp_gt_i32 s20, 43
	;; [unrolled: 3-line block ×3, first 2 shown]
	s_cbranch_scc0 .LBB263_752
; %bb.750:
	s_mov_b64 s[4:5], -1
	s_mov_b64 s[14:15], 0
	s_cmp_eq_u32 s20, 46
	s_cbranch_scc0 .LBB263_752
; %bb.751:
	v_cndmask_b32_e64 v3, 0, 1.0, s[34:35]
	v_bfe_u32 v4, v3, 16, 1
	s_movk_i32 s4, 0x7fff
	v_add3_u32 v3, v3, v4, s4
	v_lshrrev_b32_e32 v3, 16, v3
	global_store_dword v[0:1], v3, off
	s_mov_b64 s[4:5], 0
	s_mov_b64 s[12:13], -1
.LBB263_752:
	s_and_b64 vcc, exec, s[14:15]
	s_cbranch_vccz .LBB263_757
; %bb.753:
	s_cmp_eq_u32 s20, 44
	s_mov_b64 s[4:5], -1
	s_cbranch_scc0 .LBB263_757
; %bb.754:
	v_cndmask_b32_e64 v4, 0, 1.0, s[34:35]
	v_lshrrev_b32_e32 v3, 23, v4
	s_movk_i32 s4, 0xff
	v_cmp_ne_u32_e32 vcc, s4, v3
	v_mov_b32_e32 v5, 0xff
	s_and_saveexec_b64 s[12:13], vcc
; %bb.755:
	s_mov_b32 s4, 0x3fffff
	v_and_b32_e32 v5, 0x400000, v4
	v_and_or_b32 v4, v4, s4, v3
	v_cmp_ne_u32_e32 vcc, 0, v5
	v_cmp_ne_u32_e64 s[4:5], 0, v4
	s_and_b64 s[4:5], vcc, s[4:5]
	v_cndmask_b32_e64 v4, 0, 1, s[4:5]
	v_add_u32_e32 v5, v3, v4
; %bb.756:
	s_or_b64 exec, exec, s[12:13]
	s_mov_b64 s[4:5], 0
	s_mov_b64 s[12:13], -1
	global_store_byte v[0:1], v5, off
.LBB263_757:
	s_mov_b64 s[14:15], 0
.LBB263_758:
	s_and_b64 vcc, exec, s[14:15]
	s_cbranch_vccz .LBB263_761
; %bb.759:
	s_cmp_eq_u32 s20, 29
	s_mov_b64 s[4:5], -1
	s_cbranch_scc0 .LBB263_761
; %bb.760:
	s_mov_b32 s4, 0
	v_cndmask_b32_e64 v3, 0, 1, s[34:35]
	v_mov_b32_e32 v4, s4
	global_store_dwordx2 v[0:1], v[3:4], off
	s_mov_b64 s[4:5], 0
	s_mov_b64 s[12:13], -1
.LBB263_761:
	s_mov_b64 s[14:15], 0
.LBB263_762:
	s_and_b64 vcc, exec, s[14:15]
	s_cbranch_vccz .LBB263_778
; %bb.763:
	s_cmp_lt_i32 s20, 27
	s_mov_b64 s[12:13], -1
	s_cbranch_scc1 .LBB263_769
; %bb.764:
	s_cmp_gt_i32 s20, 27
	s_cbranch_scc0 .LBB263_766
; %bb.765:
	v_cndmask_b32_e64 v3, 0, 1, s[34:35]
	s_mov_b64 s[12:13], 0
	global_store_dword v[0:1], v3, off
.LBB263_766:
	s_andn2_b64 vcc, exec, s[12:13]
	s_cbranch_vccnz .LBB263_768
; %bb.767:
	v_cndmask_b32_e64 v3, 0, 1, s[34:35]
	global_store_short v[0:1], v3, off
.LBB263_768:
	s_mov_b64 s[12:13], 0
.LBB263_769:
	s_andn2_b64 vcc, exec, s[12:13]
	s_cbranch_vccnz .LBB263_777
; %bb.770:
	v_cndmask_b32_e64 v4, 0, 1.0, s[34:35]
	s_mov_b32 s12, 0x43800000
	v_cmp_gt_u32_e32 vcc, s12, v4
	v_mov_b32_e32 v5, 0x80
	s_and_saveexec_b64 s[12:13], vcc
	s_cbranch_execz .LBB263_776
; %bb.771:
	s_mov_b32 s14, 0x3bffffff
	v_cmp_lt_u32_e32 vcc, s14, v4
	s_mov_b64 s[14:15], 0
                                        ; implicit-def: $vgpr3
	s_and_saveexec_b64 s[16:17], vcc
	s_xor_b64 s[16:17], exec, s[16:17]
	s_cbranch_execz .LBB263_995
; %bb.772:
	v_bfe_u32 v3, v4, 20, 1
	s_mov_b32 s21, 0x487ffff
	v_add3_u32 v3, v4, v3, s21
	s_mov_b64 s[14:15], exec
	v_lshrrev_b32_e32 v3, 20, v3
                                        ; implicit-def: $vgpr4
	s_andn2_saveexec_b64 s[16:17], s[16:17]
	s_cbranch_execnz .LBB263_996
.LBB263_773:
	s_or_b64 exec, exec, s[16:17]
	v_mov_b32_e32 v5, 0
	s_and_saveexec_b64 s[16:17], s[14:15]
.LBB263_774:
	v_mov_b32_e32 v5, v3
.LBB263_775:
	s_or_b64 exec, exec, s[16:17]
.LBB263_776:
	s_or_b64 exec, exec, s[12:13]
	global_store_byte v[0:1], v5, off
.LBB263_777:
	s_mov_b64 s[12:13], -1
.LBB263_778:
	s_mov_b64 s[14:15], 0
.LBB263_779:
	s_and_b64 vcc, exec, s[14:15]
	s_cbranch_vccz .LBB263_819
; %bb.780:
	s_cmp_gt_i32 s20, 22
	s_mov_b64 s[10:11], -1
	s_cbranch_scc0 .LBB263_812
; %bb.781:
	s_cmp_lt_i32 s20, 24
	s_cbranch_scc1 .LBB263_801
; %bb.782:
	s_cmp_gt_i32 s20, 24
	s_cbranch_scc0 .LBB263_790
; %bb.783:
	v_cndmask_b32_e64 v4, 0, 1.0, s[34:35]
	s_mov_b32 s10, 0x47800000
	v_cmp_gt_u32_e32 vcc, s10, v4
	v_mov_b32_e32 v5, 0x80
	s_and_saveexec_b64 s[10:11], vcc
	s_cbranch_execz .LBB263_789
; %bb.784:
	s_mov_b32 s12, 0x37ffffff
	v_cmp_lt_u32_e32 vcc, s12, v4
	s_mov_b64 s[12:13], 0
                                        ; implicit-def: $vgpr3
	s_and_saveexec_b64 s[14:15], vcc
	s_xor_b64 s[14:15], exec, s[14:15]
	s_cbranch_execz .LBB263_1000
; %bb.785:
	v_bfe_u32 v3, v4, 21, 1
	s_mov_b32 s16, 0x88fffff
	v_add3_u32 v3, v4, v3, s16
	s_mov_b64 s[12:13], exec
	v_lshrrev_b32_e32 v3, 21, v3
                                        ; implicit-def: $vgpr4
	s_andn2_saveexec_b64 s[14:15], s[14:15]
	s_cbranch_execnz .LBB263_1001
.LBB263_786:
	s_or_b64 exec, exec, s[14:15]
	v_mov_b32_e32 v5, 0
	s_and_saveexec_b64 s[14:15], s[12:13]
.LBB263_787:
	v_mov_b32_e32 v5, v3
.LBB263_788:
	s_or_b64 exec, exec, s[14:15]
.LBB263_789:
	s_or_b64 exec, exec, s[10:11]
	s_mov_b64 s[10:11], 0
	global_store_byte v[0:1], v5, off
.LBB263_790:
	s_and_b64 vcc, exec, s[10:11]
	s_cbranch_vccz .LBB263_800
; %bb.791:
	v_cndmask_b32_e64 v3, 0, 1.0, s[34:35]
	s_mov_b32 s10, 0x43f00000
	v_cmp_gt_u32_e32 vcc, s10, v3
                                        ; implicit-def: $vgpr4
	s_and_saveexec_b64 s[10:11], vcc
	s_xor_b64 s[10:11], exec, s[10:11]
	s_cbranch_execz .LBB263_797
; %bb.792:
	s_mov_b32 s12, 0x3c7fffff
	v_cmp_lt_u32_e32 vcc, s12, v3
                                        ; implicit-def: $vgpr4
	s_and_saveexec_b64 s[12:13], vcc
	s_xor_b64 s[12:13], exec, s[12:13]
; %bb.793:
	v_bfe_u32 v4, v3, 20, 1
	s_mov_b32 s14, 0x407ffff
	v_add3_u32 v3, v3, v4, s14
	v_lshrrev_b32_e32 v4, 20, v3
	v_and_b32_e32 v3, 0xff00000, v3
	s_mov_b32 s14, 0x7f00000
	v_mov_b32_e32 v5, 0x7e
	v_cmp_ne_u32_e32 vcc, s14, v3
	v_cndmask_b32_e32 v4, v5, v4, vcc
                                        ; implicit-def: $vgpr3
; %bb.794:
	s_andn2_saveexec_b64 s[12:13], s[12:13]
; %bb.795:
	v_add_f32_e32 v4, 0x46800000, v3
; %bb.796:
	s_or_b64 exec, exec, s[12:13]
                                        ; implicit-def: $vgpr3
.LBB263_797:
	s_andn2_saveexec_b64 s[10:11], s[10:11]
; %bb.798:
	s_mov_b32 s12, 0x7f800000
	v_mov_b32_e32 v4, 0x7e
	v_mov_b32_e32 v5, 0x7f
	v_cmp_lt_u32_e32 vcc, s12, v3
	v_cndmask_b32_e32 v4, v4, v5, vcc
; %bb.799:
	s_or_b64 exec, exec, s[10:11]
	global_store_byte v[0:1], v4, off
.LBB263_800:
	s_mov_b64 s[10:11], 0
.LBB263_801:
	s_andn2_b64 vcc, exec, s[10:11]
	s_cbranch_vccnz .LBB263_811
; %bb.802:
	v_cndmask_b32_e64 v3, 0, 1.0, s[34:35]
	s_mov_b32 s10, 0x47800000
	v_cmp_gt_u32_e32 vcc, s10, v3
                                        ; implicit-def: $vgpr4
	s_and_saveexec_b64 s[10:11], vcc
	s_xor_b64 s[10:11], exec, s[10:11]
	s_cbranch_execz .LBB263_808
; %bb.803:
	s_mov_b32 s12, 0x387fffff
	v_cmp_lt_u32_e32 vcc, s12, v3
                                        ; implicit-def: $vgpr4
	s_and_saveexec_b64 s[12:13], vcc
	s_xor_b64 s[12:13], exec, s[12:13]
; %bb.804:
	v_bfe_u32 v4, v3, 21, 1
	s_mov_b32 s14, 0x80fffff
	v_add3_u32 v3, v3, v4, s14
	v_lshrrev_b32_e32 v4, 21, v3
                                        ; implicit-def: $vgpr3
; %bb.805:
	s_andn2_saveexec_b64 s[12:13], s[12:13]
; %bb.806:
	v_add_f32_e32 v4, 0x43000000, v3
; %bb.807:
	s_or_b64 exec, exec, s[12:13]
                                        ; implicit-def: $vgpr3
.LBB263_808:
	s_andn2_saveexec_b64 s[10:11], s[10:11]
; %bb.809:
	s_mov_b32 s12, 0x7f800000
	v_mov_b32_e32 v4, 0x7c
	v_mov_b32_e32 v5, 0x7f
	v_cmp_lt_u32_e32 vcc, s12, v3
	v_cndmask_b32_e32 v4, v4, v5, vcc
; %bb.810:
	s_or_b64 exec, exec, s[10:11]
	global_store_byte v[0:1], v4, off
.LBB263_811:
	s_mov_b64 s[10:11], 0
	s_mov_b64 s[12:13], -1
.LBB263_812:
	s_andn2_b64 vcc, exec, s[10:11]
	s_mov_b64 s[10:11], 0
	s_cbranch_vccnz .LBB263_819
; %bb.813:
	s_cmp_gt_i32 s20, 14
	s_mov_b64 s[14:15], -1
	s_cbranch_scc0 .LBB263_817
; %bb.814:
	s_cmp_eq_u32 s20, 15
	s_mov_b64 s[4:5], -1
	s_cbranch_scc0 .LBB263_816
; %bb.815:
	v_cndmask_b32_e64 v3, 0, 1.0, s[34:35]
	v_bfe_u32 v4, v3, 16, 1
	s_movk_i32 s4, 0x7fff
	v_add3_u32 v3, v3, v4, s4
	global_store_short_d16_hi v[0:1], v3, off
	s_mov_b64 s[4:5], 0
	s_mov_b64 s[12:13], -1
.LBB263_816:
	s_mov_b64 s[14:15], 0
.LBB263_817:
	s_and_b64 vcc, exec, s[14:15]
	s_cbranch_vccz .LBB263_819
; %bb.818:
	s_cmp_lg_u32 s20, 11
	s_mov_b64 s[10:11], -1
	s_cselect_b64 s[4:5], -1, 0
.LBB263_819:
	s_and_b64 vcc, exec, s[4:5]
	s_cbranch_vccnz .LBB263_997
; %bb.820:
	s_andn2_b64 vcc, exec, s[10:11]
	s_cbranch_vccnz .LBB263_822
.LBB263_821:
	v_cndmask_b32_e64 v3, 0, 1, s[34:35]
	s_mov_b64 s[12:13], -1
	global_store_byte v[0:1], v3, off
.LBB263_822:
.LBB263_823:
	s_andn2_b64 vcc, exec, s[12:13]
	s_cbranch_vccnz .LBB263_939
.LBB263_824:
	v_add_u32_e32 v0, s19, v2
	v_ashrrev_i32_e32 v1, 31, v0
	v_mov_b32_e32 v2, s41
	v_add_co_u32_e32 v0, vcc, s40, v0
	s_cmp_lt_i32 s18, 11
	v_addc_co_u32_e32 v1, vcc, v2, v1, vcc
	s_cbranch_scc1 .LBB263_984
; %bb.825:
	s_and_b32 s19, 0xffff, s18
	s_mov_b64 s[12:13], -1
	s_mov_b64 s[10:11], 0
	s_cmp_gt_i32 s19, 25
	s_mov_b64 s[4:5], 0
	s_cbranch_scc0 .LBB263_858
; %bb.826:
	s_cmp_gt_i32 s19, 28
	s_cbranch_scc0 .LBB263_842
; %bb.827:
	s_cmp_gt_i32 s19, 43
	;; [unrolled: 3-line block ×3, first 2 shown]
	s_cbranch_scc0 .LBB263_832
; %bb.829:
	s_cmp_eq_u32 s19, 46
	s_mov_b64 s[4:5], -1
	s_cbranch_scc0 .LBB263_831
; %bb.830:
	v_cndmask_b32_e64 v2, 0, 1.0, s[6:7]
	v_bfe_u32 v3, v2, 16, 1
	s_movk_i32 s4, 0x7fff
	v_add3_u32 v2, v2, v3, s4
	v_lshrrev_b32_e32 v2, 16, v2
	global_store_dword v[0:1], v2, off
	s_mov_b64 s[4:5], 0
.LBB263_831:
	s_mov_b64 s[12:13], 0
.LBB263_832:
	s_and_b64 vcc, exec, s[12:13]
	s_cbranch_vccz .LBB263_837
; %bb.833:
	s_cmp_eq_u32 s19, 44
	s_mov_b64 s[4:5], -1
	s_cbranch_scc0 .LBB263_837
; %bb.834:
	v_cndmask_b32_e64 v3, 0, 1.0, s[6:7]
	v_lshrrev_b32_e32 v2, 23, v3
	s_movk_i32 s4, 0xff
	v_cmp_ne_u32_e32 vcc, s4, v2
	v_mov_b32_e32 v4, 0xff
	s_and_saveexec_b64 s[12:13], vcc
; %bb.835:
	s_mov_b32 s4, 0x3fffff
	v_and_b32_e32 v4, 0x400000, v3
	v_and_or_b32 v3, v3, s4, v2
	v_cmp_ne_u32_e32 vcc, 0, v4
	v_cmp_ne_u32_e64 s[4:5], 0, v3
	s_and_b64 s[4:5], vcc, s[4:5]
	v_cndmask_b32_e64 v3, 0, 1, s[4:5]
	v_add_u32_e32 v4, v2, v3
; %bb.836:
	s_or_b64 exec, exec, s[12:13]
	s_mov_b64 s[4:5], 0
	global_store_byte v[0:1], v4, off
.LBB263_837:
	s_mov_b64 s[12:13], 0
.LBB263_838:
	s_and_b64 vcc, exec, s[12:13]
	s_cbranch_vccz .LBB263_841
; %bb.839:
	s_cmp_eq_u32 s19, 29
	s_mov_b64 s[4:5], -1
	s_cbranch_scc0 .LBB263_841
; %bb.840:
	s_mov_b32 s4, 0
	v_cndmask_b32_e64 v2, 0, 1, s[6:7]
	v_mov_b32_e32 v3, s4
	global_store_dwordx2 v[0:1], v[2:3], off
	s_mov_b64 s[4:5], 0
.LBB263_841:
	s_mov_b64 s[12:13], 0
.LBB263_842:
	s_and_b64 vcc, exec, s[12:13]
	s_cbranch_vccz .LBB263_857
; %bb.843:
	s_cmp_lt_i32 s19, 27
	s_mov_b64 s[12:13], -1
	s_cbranch_scc1 .LBB263_849
; %bb.844:
	s_cmp_gt_i32 s19, 27
	v_cndmask_b32_e64 v2, 0, 1, s[6:7]
	s_cbranch_scc0 .LBB263_846
; %bb.845:
	global_store_dword v[0:1], v2, off
	s_mov_b64 s[12:13], 0
.LBB263_846:
	s_andn2_b64 vcc, exec, s[12:13]
	s_cbranch_vccnz .LBB263_848
; %bb.847:
	global_store_short v[0:1], v2, off
.LBB263_848:
	s_mov_b64 s[12:13], 0
.LBB263_849:
	s_andn2_b64 vcc, exec, s[12:13]
	s_cbranch_vccnz .LBB263_857
; %bb.850:
	v_cndmask_b32_e64 v3, 0, 1.0, s[6:7]
	s_mov_b32 s12, 0x43800000
	v_cmp_gt_u32_e32 vcc, s12, v3
	v_mov_b32_e32 v4, 0x80
	s_and_saveexec_b64 s[12:13], vcc
	s_cbranch_execz .LBB263_856
; %bb.851:
	s_mov_b32 s14, 0x3bffffff
	v_cmp_lt_u32_e32 vcc, s14, v3
	s_mov_b64 s[14:15], 0
                                        ; implicit-def: $vgpr2
	s_and_saveexec_b64 s[16:17], vcc
	s_xor_b64 s[16:17], exec, s[16:17]
	s_cbranch_execz .LBB263_1002
; %bb.852:
	v_bfe_u32 v2, v3, 20, 1
	s_mov_b32 s20, 0x487ffff
	v_add3_u32 v2, v3, v2, s20
	s_mov_b64 s[14:15], exec
	v_lshrrev_b32_e32 v2, 20, v2
                                        ; implicit-def: $vgpr3
	s_andn2_saveexec_b64 s[16:17], s[16:17]
	s_cbranch_execnz .LBB263_1003
.LBB263_853:
	s_or_b64 exec, exec, s[16:17]
	v_mov_b32_e32 v4, 0
	s_and_saveexec_b64 s[16:17], s[14:15]
.LBB263_854:
	v_mov_b32_e32 v4, v2
.LBB263_855:
	s_or_b64 exec, exec, s[16:17]
.LBB263_856:
	s_or_b64 exec, exec, s[12:13]
	global_store_byte v[0:1], v4, off
.LBB263_857:
	s_mov_b64 s[12:13], 0
.LBB263_858:
	s_and_b64 vcc, exec, s[12:13]
	s_cbranch_vccz .LBB263_898
; %bb.859:
	s_cmp_gt_i32 s19, 22
	s_mov_b64 s[10:11], -1
	s_cbranch_scc0 .LBB263_891
; %bb.860:
	s_cmp_lt_i32 s19, 24
	s_cbranch_scc1 .LBB263_880
; %bb.861:
	s_cmp_gt_i32 s19, 24
	s_cbranch_scc0 .LBB263_869
; %bb.862:
	v_cndmask_b32_e64 v3, 0, 1.0, s[6:7]
	s_mov_b32 s10, 0x47800000
	v_cmp_gt_u32_e32 vcc, s10, v3
	v_mov_b32_e32 v4, 0x80
	s_and_saveexec_b64 s[10:11], vcc
	s_cbranch_execz .LBB263_868
; %bb.863:
	s_mov_b32 s12, 0x37ffffff
	v_cmp_lt_u32_e32 vcc, s12, v3
	s_mov_b64 s[12:13], 0
                                        ; implicit-def: $vgpr2
	s_and_saveexec_b64 s[14:15], vcc
	s_xor_b64 s[14:15], exec, s[14:15]
	s_cbranch_execz .LBB263_1009
; %bb.864:
	v_bfe_u32 v2, v3, 21, 1
	s_mov_b32 s16, 0x88fffff
	v_add3_u32 v2, v3, v2, s16
	s_mov_b64 s[12:13], exec
	v_lshrrev_b32_e32 v2, 21, v2
                                        ; implicit-def: $vgpr3
	s_andn2_saveexec_b64 s[14:15], s[14:15]
	s_cbranch_execnz .LBB263_1010
.LBB263_865:
	s_or_b64 exec, exec, s[14:15]
	v_mov_b32_e32 v4, 0
	s_and_saveexec_b64 s[14:15], s[12:13]
.LBB263_866:
	v_mov_b32_e32 v4, v2
.LBB263_867:
	s_or_b64 exec, exec, s[14:15]
.LBB263_868:
	s_or_b64 exec, exec, s[10:11]
	s_mov_b64 s[10:11], 0
	global_store_byte v[0:1], v4, off
.LBB263_869:
	s_and_b64 vcc, exec, s[10:11]
	s_cbranch_vccz .LBB263_879
; %bb.870:
	v_cndmask_b32_e64 v2, 0, 1.0, s[6:7]
	s_mov_b32 s10, 0x43f00000
	v_cmp_gt_u32_e32 vcc, s10, v2
                                        ; implicit-def: $vgpr3
	s_and_saveexec_b64 s[10:11], vcc
	s_xor_b64 s[10:11], exec, s[10:11]
	s_cbranch_execz .LBB263_876
; %bb.871:
	s_mov_b32 s12, 0x3c7fffff
	v_cmp_lt_u32_e32 vcc, s12, v2
                                        ; implicit-def: $vgpr3
	s_and_saveexec_b64 s[12:13], vcc
	s_xor_b64 s[12:13], exec, s[12:13]
; %bb.872:
	v_bfe_u32 v3, v2, 20, 1
	s_mov_b32 s14, 0x407ffff
	v_add3_u32 v2, v2, v3, s14
	v_lshrrev_b32_e32 v3, 20, v2
	v_and_b32_e32 v2, 0xff00000, v2
	s_mov_b32 s14, 0x7f00000
	v_mov_b32_e32 v4, 0x7e
	v_cmp_ne_u32_e32 vcc, s14, v2
	v_cndmask_b32_e32 v3, v4, v3, vcc
                                        ; implicit-def: $vgpr2
; %bb.873:
	s_andn2_saveexec_b64 s[12:13], s[12:13]
; %bb.874:
	v_add_f32_e32 v3, 0x46800000, v2
; %bb.875:
	s_or_b64 exec, exec, s[12:13]
                                        ; implicit-def: $vgpr2
.LBB263_876:
	s_andn2_saveexec_b64 s[10:11], s[10:11]
; %bb.877:
	s_mov_b32 s12, 0x7f800000
	v_mov_b32_e32 v3, 0x7e
	v_mov_b32_e32 v4, 0x7f
	v_cmp_lt_u32_e32 vcc, s12, v2
	v_cndmask_b32_e32 v3, v3, v4, vcc
; %bb.878:
	s_or_b64 exec, exec, s[10:11]
	global_store_byte v[0:1], v3, off
.LBB263_879:
	s_mov_b64 s[10:11], 0
.LBB263_880:
	s_andn2_b64 vcc, exec, s[10:11]
	s_cbranch_vccnz .LBB263_890
; %bb.881:
	v_cndmask_b32_e64 v2, 0, 1.0, s[6:7]
	s_mov_b32 s10, 0x47800000
	v_cmp_gt_u32_e32 vcc, s10, v2
                                        ; implicit-def: $vgpr3
	s_and_saveexec_b64 s[10:11], vcc
	s_xor_b64 s[10:11], exec, s[10:11]
	s_cbranch_execz .LBB263_887
; %bb.882:
	s_mov_b32 s12, 0x387fffff
	v_cmp_lt_u32_e32 vcc, s12, v2
                                        ; implicit-def: $vgpr3
	s_and_saveexec_b64 s[12:13], vcc
	s_xor_b64 s[12:13], exec, s[12:13]
; %bb.883:
	v_bfe_u32 v3, v2, 21, 1
	s_mov_b32 s14, 0x80fffff
	v_add3_u32 v2, v2, v3, s14
	v_lshrrev_b32_e32 v3, 21, v2
                                        ; implicit-def: $vgpr2
; %bb.884:
	s_andn2_saveexec_b64 s[12:13], s[12:13]
; %bb.885:
	v_add_f32_e32 v3, 0x43000000, v2
; %bb.886:
	s_or_b64 exec, exec, s[12:13]
                                        ; implicit-def: $vgpr2
.LBB263_887:
	s_andn2_saveexec_b64 s[10:11], s[10:11]
; %bb.888:
	s_mov_b32 s12, 0x7f800000
	v_mov_b32_e32 v3, 0x7c
	v_mov_b32_e32 v4, 0x7f
	v_cmp_lt_u32_e32 vcc, s12, v2
	v_cndmask_b32_e32 v3, v3, v4, vcc
; %bb.889:
	s_or_b64 exec, exec, s[10:11]
	global_store_byte v[0:1], v3, off
.LBB263_890:
	s_mov_b64 s[10:11], 0
.LBB263_891:
	s_andn2_b64 vcc, exec, s[10:11]
	s_mov_b64 s[10:11], 0
	s_cbranch_vccnz .LBB263_898
; %bb.892:
	s_cmp_gt_i32 s19, 14
	s_mov_b64 s[12:13], -1
	s_cbranch_scc0 .LBB263_896
; %bb.893:
	s_cmp_eq_u32 s19, 15
	s_mov_b64 s[4:5], -1
	s_cbranch_scc0 .LBB263_895
; %bb.894:
	v_cndmask_b32_e64 v2, 0, 1.0, s[6:7]
	v_bfe_u32 v3, v2, 16, 1
	s_movk_i32 s4, 0x7fff
	v_add3_u32 v2, v2, v3, s4
	global_store_short_d16_hi v[0:1], v2, off
	s_mov_b64 s[4:5], 0
.LBB263_895:
	s_mov_b64 s[12:13], 0
.LBB263_896:
	s_and_b64 vcc, exec, s[12:13]
	s_cbranch_vccz .LBB263_898
; %bb.897:
	s_cmp_lg_u32 s19, 11
	s_mov_b64 s[10:11], -1
	s_cselect_b64 s[4:5], -1, 0
.LBB263_898:
	s_and_b64 vcc, exec, s[4:5]
	s_cbranch_vccnz .LBB263_1004
.LBB263_899:
	s_mov_b64 s[4:5], 0
	s_branch .LBB263_940
.LBB263_900:
	s_mov_b64 s[12:13], 0
	s_cbranch_execz .LBB263_823
; %bb.901:
	s_and_b32 s10, 0xffff, s18
	s_cmp_lt_i32 s10, 5
	s_mov_b64 s[4:5], -1
	s_cbranch_scc1 .LBB263_922
; %bb.902:
	s_cmp_lt_i32 s10, 8
	s_cbranch_scc1 .LBB263_912
; %bb.903:
	s_cmp_lt_i32 s10, 9
	s_cbranch_scc1 .LBB263_909
; %bb.904:
	s_cmp_gt_i32 s10, 9
	s_cbranch_scc0 .LBB263_906
; %bb.905:
	v_cndmask_b32_e64 v3, 0, 1, s[34:35]
	v_cvt_f64_u32_e32 v[3:4], v3
	v_mov_b32_e32 v5, 0
	v_mov_b32_e32 v6, v5
	s_mov_b64 s[4:5], 0
	global_store_dwordx4 v[0:1], v[3:6], off
.LBB263_906:
	s_andn2_b64 vcc, exec, s[4:5]
	s_cbranch_vccnz .LBB263_908
; %bb.907:
	v_cndmask_b32_e64 v3, 0, 1.0, s[34:35]
	v_mov_b32_e32 v4, 0
	global_store_dwordx2 v[0:1], v[3:4], off
.LBB263_908:
	s_mov_b64 s[4:5], 0
.LBB263_909:
	s_andn2_b64 vcc, exec, s[4:5]
	s_cbranch_vccnz .LBB263_911
; %bb.910:
	v_cndmask_b32_e64 v3, 0, 1.0, s[34:35]
	v_cvt_f16_f32_e32 v3, v3
	global_store_dword v[0:1], v3, off
.LBB263_911:
	s_mov_b64 s[4:5], 0
.LBB263_912:
	s_andn2_b64 vcc, exec, s[4:5]
	s_cbranch_vccnz .LBB263_921
; %bb.913:
	s_cmp_lt_i32 s10, 6
	s_mov_b64 s[4:5], -1
	s_cbranch_scc1 .LBB263_919
; %bb.914:
	s_cmp_gt_i32 s10, 6
	s_cbranch_scc0 .LBB263_916
; %bb.915:
	v_cndmask_b32_e64 v3, 0, 1, s[34:35]
	v_cvt_f64_u32_e32 v[3:4], v3
	s_mov_b64 s[4:5], 0
	global_store_dwordx2 v[0:1], v[3:4], off
.LBB263_916:
	s_andn2_b64 vcc, exec, s[4:5]
	s_cbranch_vccnz .LBB263_918
; %bb.917:
	v_cndmask_b32_e64 v3, 0, 1.0, s[34:35]
	global_store_dword v[0:1], v3, off
.LBB263_918:
	s_mov_b64 s[4:5], 0
.LBB263_919:
	s_andn2_b64 vcc, exec, s[4:5]
	s_cbranch_vccnz .LBB263_921
; %bb.920:
	v_cndmask_b32_e64 v3, 0, 1.0, s[34:35]
	v_cvt_f16_f32_e32 v3, v3
	global_store_short v[0:1], v3, off
.LBB263_921:
	s_mov_b64 s[4:5], 0
.LBB263_922:
	s_andn2_b64 vcc, exec, s[4:5]
	s_cbranch_vccnz .LBB263_938
; %bb.923:
	s_cmp_lt_i32 s10, 2
	s_mov_b64 s[4:5], -1
	s_cbranch_scc1 .LBB263_933
; %bb.924:
	s_cmp_lt_i32 s10, 3
	s_cbranch_scc1 .LBB263_930
; %bb.925:
	s_cmp_gt_i32 s10, 3
	s_cbranch_scc0 .LBB263_927
; %bb.926:
	s_mov_b32 s4, 0
	v_cndmask_b32_e64 v3, 0, 1, s[34:35]
	v_mov_b32_e32 v4, s4
	global_store_dwordx2 v[0:1], v[3:4], off
	s_mov_b64 s[4:5], 0
.LBB263_927:
	s_andn2_b64 vcc, exec, s[4:5]
	s_cbranch_vccnz .LBB263_929
; %bb.928:
	v_cndmask_b32_e64 v3, 0, 1, s[34:35]
	global_store_dword v[0:1], v3, off
.LBB263_929:
	s_mov_b64 s[4:5], 0
.LBB263_930:
	s_andn2_b64 vcc, exec, s[4:5]
	s_cbranch_vccnz .LBB263_932
; %bb.931:
	v_cndmask_b32_e64 v3, 0, 1, s[34:35]
	global_store_short v[0:1], v3, off
.LBB263_932:
	s_mov_b64 s[4:5], 0
.LBB263_933:
	s_andn2_b64 vcc, exec, s[4:5]
	s_cbranch_vccnz .LBB263_938
; %bb.934:
	s_mov_b64 s[4:5], -1
	s_cmp_gt_i32 s10, 0
	v_cndmask_b32_e64 v3, 0, 1, s[34:35]
	s_cbranch_scc0 .LBB263_936
; %bb.935:
	global_store_byte v[0:1], v3, off
	s_mov_b64 s[4:5], 0
.LBB263_936:
	s_andn2_b64 vcc, exec, s[4:5]
	s_cbranch_vccnz .LBB263_938
; %bb.937:
	global_store_byte v[0:1], v3, off
.LBB263_938:
	s_branch .LBB263_824
.LBB263_939:
	s_mov_b64 s[4:5], 0
	s_mov_b64 s[10:11], 0
                                        ; implicit-def: $sgpr18
                                        ; implicit-def: $vgpr0_vgpr1
.LBB263_940:
	s_and_b64 s[34:35], s[10:11], exec
	s_andn2_b64 s[10:11], s[50:51], exec
	s_and_b64 s[8:9], s[8:9], exec
	s_and_b64 s[4:5], s[4:5], exec
	s_or_b64 s[50:51], s[10:11], s[8:9]
.LBB263_941:
	s_or_b64 exec, exec, s[52:53]
	s_and_saveexec_b64 s[8:9], s[50:51]
	s_cbranch_execz .LBB263_944
; %bb.942:
	; divergent unreachable
	s_or_b64 exec, exec, s[8:9]
	s_and_saveexec_b64 s[8:9], s[34:35]
	s_xor_b64 s[8:9], exec, s[8:9]
	s_cbranch_execnz .LBB263_945
.LBB263_943:
	s_or_b64 exec, exec, s[8:9]
	s_and_saveexec_b64 s[8:9], s[4:5]
	s_cbranch_execnz .LBB263_946
	s_branch .LBB263_983
.LBB263_944:
	s_or_b64 exec, exec, s[8:9]
	s_and_saveexec_b64 s[8:9], s[34:35]
	s_xor_b64 s[8:9], exec, s[8:9]
	s_cbranch_execz .LBB263_943
.LBB263_945:
	v_cndmask_b32_e64 v2, 0, 1, s[6:7]
	global_store_byte v[0:1], v2, off
	s_or_b64 exec, exec, s[8:9]
	s_and_saveexec_b64 s[8:9], s[4:5]
	s_cbranch_execz .LBB263_983
.LBB263_946:
	s_sext_i32_i16 s8, s18
	s_cmp_lt_i32 s8, 5
	s_mov_b64 s[4:5], -1
	s_cbranch_scc1 .LBB263_967
; %bb.947:
	s_cmp_lt_i32 s8, 8
	s_cbranch_scc1 .LBB263_957
; %bb.948:
	s_cmp_lt_i32 s8, 9
	s_cbranch_scc1 .LBB263_954
; %bb.949:
	s_cmp_gt_i32 s8, 9
	s_cbranch_scc0 .LBB263_951
; %bb.950:
	v_cndmask_b32_e64 v2, 0, 1, s[6:7]
	v_cvt_f64_u32_e32 v[2:3], v2
	v_mov_b32_e32 v4, 0
	v_mov_b32_e32 v5, v4
	s_mov_b64 s[4:5], 0
	global_store_dwordx4 v[0:1], v[2:5], off
.LBB263_951:
	s_andn2_b64 vcc, exec, s[4:5]
	s_cbranch_vccnz .LBB263_953
; %bb.952:
	v_cndmask_b32_e64 v2, 0, 1.0, s[6:7]
	v_mov_b32_e32 v3, 0
	global_store_dwordx2 v[0:1], v[2:3], off
.LBB263_953:
	s_mov_b64 s[4:5], 0
.LBB263_954:
	s_andn2_b64 vcc, exec, s[4:5]
	s_cbranch_vccnz .LBB263_956
; %bb.955:
	v_cndmask_b32_e64 v2, 0, 1.0, s[6:7]
	v_cvt_f16_f32_e32 v2, v2
	global_store_dword v[0:1], v2, off
.LBB263_956:
	s_mov_b64 s[4:5], 0
.LBB263_957:
	s_andn2_b64 vcc, exec, s[4:5]
	s_cbranch_vccnz .LBB263_966
; %bb.958:
	s_sext_i32_i16 s8, s18
	s_cmp_lt_i32 s8, 6
	s_mov_b64 s[4:5], -1
	s_cbranch_scc1 .LBB263_964
; %bb.959:
	s_cmp_gt_i32 s8, 6
	s_cbranch_scc0 .LBB263_961
; %bb.960:
	v_cndmask_b32_e64 v2, 0, 1, s[6:7]
	v_cvt_f64_u32_e32 v[2:3], v2
	s_mov_b64 s[4:5], 0
	global_store_dwordx2 v[0:1], v[2:3], off
.LBB263_961:
	s_andn2_b64 vcc, exec, s[4:5]
	s_cbranch_vccnz .LBB263_963
; %bb.962:
	v_cndmask_b32_e64 v2, 0, 1.0, s[6:7]
	global_store_dword v[0:1], v2, off
.LBB263_963:
	s_mov_b64 s[4:5], 0
.LBB263_964:
	s_andn2_b64 vcc, exec, s[4:5]
	s_cbranch_vccnz .LBB263_966
; %bb.965:
	v_cndmask_b32_e64 v2, 0, 1.0, s[6:7]
	v_cvt_f16_f32_e32 v2, v2
	global_store_short v[0:1], v2, off
.LBB263_966:
	s_mov_b64 s[4:5], 0
.LBB263_967:
	s_andn2_b64 vcc, exec, s[4:5]
	s_cbranch_vccnz .LBB263_983
; %bb.968:
	s_sext_i32_i16 s8, s18
	s_cmp_lt_i32 s8, 2
	s_mov_b64 s[4:5], -1
	s_cbranch_scc1 .LBB263_978
; %bb.969:
	s_cmp_lt_i32 s8, 3
	s_cbranch_scc1 .LBB263_975
; %bb.970:
	s_cmp_gt_i32 s8, 3
	s_cbranch_scc0 .LBB263_972
; %bb.971:
	s_mov_b32 s4, 0
	v_cndmask_b32_e64 v2, 0, 1, s[6:7]
	v_mov_b32_e32 v3, s4
	global_store_dwordx2 v[0:1], v[2:3], off
	s_mov_b64 s[4:5], 0
.LBB263_972:
	s_andn2_b64 vcc, exec, s[4:5]
	s_cbranch_vccnz .LBB263_974
; %bb.973:
	v_cndmask_b32_e64 v2, 0, 1, s[6:7]
	global_store_dword v[0:1], v2, off
.LBB263_974:
	s_mov_b64 s[4:5], 0
.LBB263_975:
	s_andn2_b64 vcc, exec, s[4:5]
	s_cbranch_vccnz .LBB263_977
; %bb.976:
	v_cndmask_b32_e64 v2, 0, 1, s[6:7]
	global_store_short v[0:1], v2, off
.LBB263_977:
	s_mov_b64 s[4:5], 0
.LBB263_978:
	s_andn2_b64 vcc, exec, s[4:5]
	s_cbranch_vccnz .LBB263_983
; %bb.979:
	s_sext_i32_i16 s8, s18
	s_mov_b64 s[4:5], -1
	s_cmp_gt_i32 s8, 0
	v_cndmask_b32_e64 v2, 0, 1, s[6:7]
	s_cbranch_scc0 .LBB263_981
; %bb.980:
	global_store_byte v[0:1], v2, off
	s_mov_b64 s[4:5], 0
.LBB263_981:
	s_andn2_b64 vcc, exec, s[4:5]
	s_cbranch_vccnz .LBB263_983
; %bb.982:
	global_store_byte v[0:1], v2, off
	s_endpgm
.LBB263_983:
	s_endpgm
.LBB263_984:
	s_mov_b64 s[10:11], 0
	s_mov_b64 s[4:5], -1
	s_branch .LBB263_940
.LBB263_985:
	s_andn2_saveexec_b64 s[14:15], s[14:15]
	s_cbranch_execz .LBB263_537
.LBB263_986:
	v_add_f32_e32 v3, 0x46000000, v4
	v_and_b32_e32 v3, 0xff, v3
	v_cmp_ne_u32_e32 vcc, 0, v3
	s_andn2_b64 s[12:13], s[12:13], exec
	s_and_b64 s[20:21], vcc, exec
	s_or_b64 s[12:13], s[12:13], s[20:21]
	s_or_b64 exec, exec, s[14:15]
	v_mov_b32_e32 v5, 0
	s_and_saveexec_b64 s[14:15], s[12:13]
	s_cbranch_execnz .LBB263_538
	s_branch .LBB263_539
.LBB263_987:
	s_or_b64 s[8:9], s[50:51], exec
	s_trap 2
	s_cbranch_execz .LBB263_585
	s_branch .LBB263_586
.LBB263_988:
	s_andn2_saveexec_b64 s[12:13], s[12:13]
	s_cbranch_execz .LBB263_550
.LBB263_989:
	v_add_f32_e32 v3, 0x42800000, v4
	v_and_b32_e32 v3, 0xff, v3
	v_cmp_ne_u32_e32 vcc, 0, v3
	s_andn2_b64 s[10:11], s[10:11], exec
	s_and_b64 s[14:15], vcc, exec
	s_or_b64 s[10:11], s[10:11], s[14:15]
	s_or_b64 exec, exec, s[12:13]
	v_mov_b32_e32 v5, 0
	s_and_saveexec_b64 s[12:13], s[10:11]
	s_cbranch_execnz .LBB263_551
	s_branch .LBB263_552
.LBB263_990:
	s_andn2_saveexec_b64 s[16:17], s[16:17]
	s_cbranch_execz .LBB263_655
.LBB263_991:
	v_add_f32_e32 v3, 0x46000000, v4
	v_and_b32_e32 v3, 0xff, v3
	v_cmp_ne_u32_e32 vcc, 0, v3
	s_andn2_b64 s[14:15], s[14:15], exec
	s_and_b64 s[22:23], vcc, exec
	s_or_b64 s[14:15], s[14:15], s[22:23]
	s_or_b64 exec, exec, s[16:17]
	v_mov_b32_e32 v5, 0
	s_and_saveexec_b64 s[16:17], s[14:15]
	s_cbranch_execnz .LBB263_656
	s_branch .LBB263_657
.LBB263_992:
	s_trap 2
	s_or_b64 s[8:9], s[8:9], exec
	s_cbranch_execz .LBB263_703
	s_branch .LBB263_704
.LBB263_993:
	s_andn2_saveexec_b64 s[14:15], s[14:15]
	s_cbranch_execz .LBB263_668
.LBB263_994:
	v_add_f32_e32 v3, 0x42800000, v4
	v_and_b32_e32 v3, 0xff, v3
	v_cmp_ne_u32_e32 vcc, 0, v3
	s_andn2_b64 s[12:13], s[12:13], exec
	s_and_b64 s[16:17], vcc, exec
	s_or_b64 s[12:13], s[12:13], s[16:17]
	s_or_b64 exec, exec, s[14:15]
	v_mov_b32_e32 v5, 0
	s_and_saveexec_b64 s[14:15], s[12:13]
	s_cbranch_execnz .LBB263_669
	s_branch .LBB263_670
.LBB263_995:
	s_andn2_saveexec_b64 s[16:17], s[16:17]
	s_cbranch_execz .LBB263_773
.LBB263_996:
	v_add_f32_e32 v3, 0x46000000, v4
	v_and_b32_e32 v3, 0xff, v3
	v_cmp_ne_u32_e32 vcc, 0, v3
	s_andn2_b64 s[14:15], s[14:15], exec
	s_and_b64 s[22:23], vcc, exec
	s_or_b64 s[14:15], s[14:15], s[22:23]
	s_or_b64 exec, exec, s[16:17]
	v_mov_b32_e32 v5, 0
	s_and_saveexec_b64 s[16:17], s[14:15]
	s_cbranch_execnz .LBB263_774
	s_branch .LBB263_775
.LBB263_997:
	s_trap 2
	s_or_b64 s[8:9], s[8:9], exec
	s_cbranch_execz .LBB263_821
	s_branch .LBB263_822
.LBB263_998:
	s_andn2_saveexec_b64 s[12:13], s[12:13]
	s_cbranch_execz .LBB263_295
.LBB263_999:
	v_add_f32_e32 v2, 0x46000000, v3
	v_and_b32_e32 v2, 0xff, v2
	v_cmp_ne_u32_e32 vcc, 0, v2
	s_andn2_b64 s[10:11], s[10:11], exec
	s_and_b64 s[16:17], vcc, exec
	s_or_b64 s[10:11], s[10:11], s[16:17]
	s_or_b64 exec, exec, s[12:13]
	v_mov_b32_e32 v4, 0
	s_and_saveexec_b64 s[12:13], s[10:11]
	s_cbranch_execnz .LBB263_296
	s_branch .LBB263_297
.LBB263_1000:
	s_andn2_saveexec_b64 s[14:15], s[14:15]
	s_cbranch_execz .LBB263_786
.LBB263_1001:
	v_add_f32_e32 v3, 0x42800000, v4
	v_and_b32_e32 v3, 0xff, v3
	v_cmp_ne_u32_e32 vcc, 0, v3
	s_andn2_b64 s[12:13], s[12:13], exec
	s_and_b64 s[16:17], vcc, exec
	s_or_b64 s[12:13], s[12:13], s[16:17]
	s_or_b64 exec, exec, s[14:15]
	v_mov_b32_e32 v5, 0
	s_and_saveexec_b64 s[14:15], s[12:13]
	s_cbranch_execnz .LBB263_787
	s_branch .LBB263_788
.LBB263_1002:
	s_andn2_saveexec_b64 s[16:17], s[16:17]
	s_cbranch_execz .LBB263_853
.LBB263_1003:
	v_add_f32_e32 v2, 0x46000000, v3
	v_and_b32_e32 v2, 0xff, v2
	v_cmp_ne_u32_e32 vcc, 0, v2
	s_andn2_b64 s[14:15], s[14:15], exec
	s_and_b64 s[20:21], vcc, exec
	s_or_b64 s[14:15], s[14:15], s[20:21]
	s_or_b64 exec, exec, s[16:17]
	v_mov_b32_e32 v4, 0
	s_and_saveexec_b64 s[16:17], s[14:15]
	s_cbranch_execnz .LBB263_854
	s_branch .LBB263_855
.LBB263_1004:
	s_mov_b64 s[10:11], 0
	s_or_b64 s[8:9], s[8:9], exec
	s_trap 2
	s_branch .LBB263_899
.LBB263_1005:
	s_andn2_saveexec_b64 s[12:13], s[12:13]
	s_cbranch_execz .LBB263_308
.LBB263_1006:
	v_add_f32_e32 v2, 0x42800000, v3
	v_and_b32_e32 v2, 0xff, v2
	v_cmp_ne_u32_e32 vcc, 0, v2
	s_andn2_b64 s[10:11], s[10:11], exec
	s_and_b64 s[16:17], vcc, exec
	s_or_b64 s[10:11], s[10:11], s[16:17]
	s_or_b64 exec, exec, s[12:13]
	v_mov_b32_e32 v4, 0
	s_and_saveexec_b64 s[12:13], s[10:11]
	s_cbranch_execnz .LBB263_309
	s_branch .LBB263_310
.LBB263_1007:
	s_andn2_saveexec_b64 s[12:13], s[12:13]
	s_cbranch_execz .LBB263_417
.LBB263_1008:
	v_add_f32_e32 v2, 0x46000000, v3
	v_and_b32_e32 v2, 0xff, v2
	v_cmp_ne_u32_e32 vcc, 0, v2
	s_andn2_b64 s[10:11], s[10:11], exec
	s_and_b64 s[14:15], vcc, exec
	s_or_b64 s[10:11], s[10:11], s[14:15]
	s_or_b64 exec, exec, s[12:13]
	v_mov_b32_e32 v4, 0
	s_and_saveexec_b64 s[12:13], s[10:11]
	s_cbranch_execnz .LBB263_418
	s_branch .LBB263_419
.LBB263_1009:
	s_andn2_saveexec_b64 s[14:15], s[14:15]
	s_cbranch_execz .LBB263_865
.LBB263_1010:
	v_add_f32_e32 v2, 0x42800000, v3
	v_and_b32_e32 v2, 0xff, v2
	v_cmp_ne_u32_e32 vcc, 0, v2
	s_andn2_b64 s[12:13], s[12:13], exec
	s_and_b64 s[16:17], vcc, exec
	s_or_b64 s[12:13], s[12:13], s[16:17]
	s_or_b64 exec, exec, s[14:15]
	v_mov_b32_e32 v4, 0
	s_and_saveexec_b64 s[14:15], s[12:13]
	s_cbranch_execnz .LBB263_866
	s_branch .LBB263_867
.LBB263_1011:
	s_andn2_saveexec_b64 s[14:15], s[14:15]
	s_cbranch_execz .LBB263_429
.LBB263_1012:
	v_add_f32_e32 v2, 0x42800000, v3
	v_and_b32_e32 v2, 0xff, v2
	v_cmp_ne_u32_e32 vcc, 0, v2
	s_andn2_b64 s[12:13], s[12:13], exec
	s_and_b64 s[18:19], vcc, exec
	s_or_b64 s[12:13], s[12:13], s[18:19]
	s_or_b64 exec, exec, s[14:15]
	v_mov_b32_e32 v4, 0
	s_and_saveexec_b64 s[14:15], s[12:13]
	s_cbranch_execnz .LBB263_430
	s_branch .LBB263_431
	.section	.rodata,"a",@progbits
	.p2align	6, 0x0
	.amdhsa_kernel _ZN2at6native32elementwise_kernel_manual_unrollILi128ELi4EZNS0_15gpu_kernel_implINS0_13AUnaryFunctorIN3c1015Float8_e5m2fnuzES5_bNS0_12_GLOBAL__N_116CompareEqFunctorIS5_EEEEEEvRNS_18TensorIteratorBaseERKT_EUlibE_EEviT1_
		.amdhsa_group_segment_fixed_size 0
		.amdhsa_private_segment_fixed_size 0
		.amdhsa_kernarg_size 48
		.amdhsa_user_sgpr_count 6
		.amdhsa_user_sgpr_private_segment_buffer 1
		.amdhsa_user_sgpr_dispatch_ptr 0
		.amdhsa_user_sgpr_queue_ptr 0
		.amdhsa_user_sgpr_kernarg_segment_ptr 1
		.amdhsa_user_sgpr_dispatch_id 0
		.amdhsa_user_sgpr_flat_scratch_init 0
		.amdhsa_user_sgpr_private_segment_size 0
		.amdhsa_uses_dynamic_stack 0
		.amdhsa_system_sgpr_private_segment_wavefront_offset 0
		.amdhsa_system_sgpr_workgroup_id_x 1
		.amdhsa_system_sgpr_workgroup_id_y 0
		.amdhsa_system_sgpr_workgroup_id_z 0
		.amdhsa_system_sgpr_workgroup_info 0
		.amdhsa_system_vgpr_workitem_id 0
		.amdhsa_next_free_vgpr 14
		.amdhsa_next_free_sgpr 62
		.amdhsa_reserve_vcc 1
		.amdhsa_reserve_flat_scratch 0
		.amdhsa_float_round_mode_32 0
		.amdhsa_float_round_mode_16_64 0
		.amdhsa_float_denorm_mode_32 3
		.amdhsa_float_denorm_mode_16_64 3
		.amdhsa_dx10_clamp 1
		.amdhsa_ieee_mode 1
		.amdhsa_fp16_overflow 0
		.amdhsa_exception_fp_ieee_invalid_op 0
		.amdhsa_exception_fp_denorm_src 0
		.amdhsa_exception_fp_ieee_div_zero 0
		.amdhsa_exception_fp_ieee_overflow 0
		.amdhsa_exception_fp_ieee_underflow 0
		.amdhsa_exception_fp_ieee_inexact 0
		.amdhsa_exception_int_div_zero 0
	.end_amdhsa_kernel
	.section	.text._ZN2at6native32elementwise_kernel_manual_unrollILi128ELi4EZNS0_15gpu_kernel_implINS0_13AUnaryFunctorIN3c1015Float8_e5m2fnuzES5_bNS0_12_GLOBAL__N_116CompareEqFunctorIS5_EEEEEEvRNS_18TensorIteratorBaseERKT_EUlibE_EEviT1_,"axG",@progbits,_ZN2at6native32elementwise_kernel_manual_unrollILi128ELi4EZNS0_15gpu_kernel_implINS0_13AUnaryFunctorIN3c1015Float8_e5m2fnuzES5_bNS0_12_GLOBAL__N_116CompareEqFunctorIS5_EEEEEEvRNS_18TensorIteratorBaseERKT_EUlibE_EEviT1_,comdat
.Lfunc_end263:
	.size	_ZN2at6native32elementwise_kernel_manual_unrollILi128ELi4EZNS0_15gpu_kernel_implINS0_13AUnaryFunctorIN3c1015Float8_e5m2fnuzES5_bNS0_12_GLOBAL__N_116CompareEqFunctorIS5_EEEEEEvRNS_18TensorIteratorBaseERKT_EUlibE_EEviT1_, .Lfunc_end263-_ZN2at6native32elementwise_kernel_manual_unrollILi128ELi4EZNS0_15gpu_kernel_implINS0_13AUnaryFunctorIN3c1015Float8_e5m2fnuzES5_bNS0_12_GLOBAL__N_116CompareEqFunctorIS5_EEEEEEvRNS_18TensorIteratorBaseERKT_EUlibE_EEviT1_
                                        ; -- End function
	.set _ZN2at6native32elementwise_kernel_manual_unrollILi128ELi4EZNS0_15gpu_kernel_implINS0_13AUnaryFunctorIN3c1015Float8_e5m2fnuzES5_bNS0_12_GLOBAL__N_116CompareEqFunctorIS5_EEEEEEvRNS_18TensorIteratorBaseERKT_EUlibE_EEviT1_.num_vgpr, max(14, .L_ZN2at6native6invokeINS0_13AUnaryFunctorIN3c1015Float8_e5m2fnuzES4_bNS0_12_GLOBAL__N_116CompareEqFunctorIS4_EEEEi15function_traitsIS8_EEENT1_11result_typeERKT_PrKPcPKT0_PKNS3_10ScalarTypeEi.num_vgpr)
	.set _ZN2at6native32elementwise_kernel_manual_unrollILi128ELi4EZNS0_15gpu_kernel_implINS0_13AUnaryFunctorIN3c1015Float8_e5m2fnuzES5_bNS0_12_GLOBAL__N_116CompareEqFunctorIS5_EEEEEEvRNS_18TensorIteratorBaseERKT_EUlibE_EEviT1_.num_agpr, max(0, .L_ZN2at6native6invokeINS0_13AUnaryFunctorIN3c1015Float8_e5m2fnuzES4_bNS0_12_GLOBAL__N_116CompareEqFunctorIS4_EEEEi15function_traitsIS8_EEENT1_11result_typeERKT_PrKPcPKT0_PKNS3_10ScalarTypeEi.num_agpr)
	.set _ZN2at6native32elementwise_kernel_manual_unrollILi128ELi4EZNS0_15gpu_kernel_implINS0_13AUnaryFunctorIN3c1015Float8_e5m2fnuzES5_bNS0_12_GLOBAL__N_116CompareEqFunctorIS5_EEEEEEvRNS_18TensorIteratorBaseERKT_EUlibE_EEviT1_.numbered_sgpr, max(62, .L_ZN2at6native6invokeINS0_13AUnaryFunctorIN3c1015Float8_e5m2fnuzES4_bNS0_12_GLOBAL__N_116CompareEqFunctorIS4_EEEEi15function_traitsIS8_EEENT1_11result_typeERKT_PrKPcPKT0_PKNS3_10ScalarTypeEi.numbered_sgpr)
	.set _ZN2at6native32elementwise_kernel_manual_unrollILi128ELi4EZNS0_15gpu_kernel_implINS0_13AUnaryFunctorIN3c1015Float8_e5m2fnuzES5_bNS0_12_GLOBAL__N_116CompareEqFunctorIS5_EEEEEEvRNS_18TensorIteratorBaseERKT_EUlibE_EEviT1_.num_named_barrier, max(0, .L_ZN2at6native6invokeINS0_13AUnaryFunctorIN3c1015Float8_e5m2fnuzES4_bNS0_12_GLOBAL__N_116CompareEqFunctorIS4_EEEEi15function_traitsIS8_EEENT1_11result_typeERKT_PrKPcPKT0_PKNS3_10ScalarTypeEi.num_named_barrier)
	.set _ZN2at6native32elementwise_kernel_manual_unrollILi128ELi4EZNS0_15gpu_kernel_implINS0_13AUnaryFunctorIN3c1015Float8_e5m2fnuzES5_bNS0_12_GLOBAL__N_116CompareEqFunctorIS5_EEEEEEvRNS_18TensorIteratorBaseERKT_EUlibE_EEviT1_.private_seg_size, 0+max(.L_ZN2at6native6invokeINS0_13AUnaryFunctorIN3c1015Float8_e5m2fnuzES4_bNS0_12_GLOBAL__N_116CompareEqFunctorIS4_EEEEi15function_traitsIS8_EEENT1_11result_typeERKT_PrKPcPKT0_PKNS3_10ScalarTypeEi.private_seg_size)
	.set _ZN2at6native32elementwise_kernel_manual_unrollILi128ELi4EZNS0_15gpu_kernel_implINS0_13AUnaryFunctorIN3c1015Float8_e5m2fnuzES5_bNS0_12_GLOBAL__N_116CompareEqFunctorIS5_EEEEEEvRNS_18TensorIteratorBaseERKT_EUlibE_EEviT1_.uses_vcc, or(1, .L_ZN2at6native6invokeINS0_13AUnaryFunctorIN3c1015Float8_e5m2fnuzES4_bNS0_12_GLOBAL__N_116CompareEqFunctorIS4_EEEEi15function_traitsIS8_EEENT1_11result_typeERKT_PrKPcPKT0_PKNS3_10ScalarTypeEi.uses_vcc)
	.set _ZN2at6native32elementwise_kernel_manual_unrollILi128ELi4EZNS0_15gpu_kernel_implINS0_13AUnaryFunctorIN3c1015Float8_e5m2fnuzES5_bNS0_12_GLOBAL__N_116CompareEqFunctorIS5_EEEEEEvRNS_18TensorIteratorBaseERKT_EUlibE_EEviT1_.uses_flat_scratch, or(0, .L_ZN2at6native6invokeINS0_13AUnaryFunctorIN3c1015Float8_e5m2fnuzES4_bNS0_12_GLOBAL__N_116CompareEqFunctorIS4_EEEEi15function_traitsIS8_EEENT1_11result_typeERKT_PrKPcPKT0_PKNS3_10ScalarTypeEi.uses_flat_scratch)
	.set _ZN2at6native32elementwise_kernel_manual_unrollILi128ELi4EZNS0_15gpu_kernel_implINS0_13AUnaryFunctorIN3c1015Float8_e5m2fnuzES5_bNS0_12_GLOBAL__N_116CompareEqFunctorIS5_EEEEEEvRNS_18TensorIteratorBaseERKT_EUlibE_EEviT1_.has_dyn_sized_stack, or(0, .L_ZN2at6native6invokeINS0_13AUnaryFunctorIN3c1015Float8_e5m2fnuzES4_bNS0_12_GLOBAL__N_116CompareEqFunctorIS4_EEEEi15function_traitsIS8_EEENT1_11result_typeERKT_PrKPcPKT0_PKNS3_10ScalarTypeEi.has_dyn_sized_stack)
	.set _ZN2at6native32elementwise_kernel_manual_unrollILi128ELi4EZNS0_15gpu_kernel_implINS0_13AUnaryFunctorIN3c1015Float8_e5m2fnuzES5_bNS0_12_GLOBAL__N_116CompareEqFunctorIS5_EEEEEEvRNS_18TensorIteratorBaseERKT_EUlibE_EEviT1_.has_recursion, or(0, .L_ZN2at6native6invokeINS0_13AUnaryFunctorIN3c1015Float8_e5m2fnuzES4_bNS0_12_GLOBAL__N_116CompareEqFunctorIS4_EEEEi15function_traitsIS8_EEENT1_11result_typeERKT_PrKPcPKT0_PKNS3_10ScalarTypeEi.has_recursion)
	.set _ZN2at6native32elementwise_kernel_manual_unrollILi128ELi4EZNS0_15gpu_kernel_implINS0_13AUnaryFunctorIN3c1015Float8_e5m2fnuzES5_bNS0_12_GLOBAL__N_116CompareEqFunctorIS5_EEEEEEvRNS_18TensorIteratorBaseERKT_EUlibE_EEviT1_.has_indirect_call, or(0, .L_ZN2at6native6invokeINS0_13AUnaryFunctorIN3c1015Float8_e5m2fnuzES4_bNS0_12_GLOBAL__N_116CompareEqFunctorIS4_EEEEi15function_traitsIS8_EEENT1_11result_typeERKT_PrKPcPKT0_PKNS3_10ScalarTypeEi.has_indirect_call)
	.section	.AMDGPU.csdata,"",@progbits
; Kernel info:
; codeLenInByte = 15696
; TotalNumSgprs: 66
; NumVgprs: 14
; ScratchSize: 0
; MemoryBound: 0
; FloatMode: 240
; IeeeMode: 1
; LDSByteSize: 0 bytes/workgroup (compile time only)
; SGPRBlocks: 8
; VGPRBlocks: 3
; NumSGPRsForWavesPerEU: 66
; NumVGPRsForWavesPerEU: 14
; Occupancy: 10
; WaveLimiterHint : 0
; COMPUTE_PGM_RSRC2:SCRATCH_EN: 0
; COMPUTE_PGM_RSRC2:USER_SGPR: 6
; COMPUTE_PGM_RSRC2:TRAP_HANDLER: 0
; COMPUTE_PGM_RSRC2:TGID_X_EN: 1
; COMPUTE_PGM_RSRC2:TGID_Y_EN: 0
; COMPUTE_PGM_RSRC2:TGID_Z_EN: 0
; COMPUTE_PGM_RSRC2:TIDIG_COMP_CNT: 0
	.text
	.p2align	2                               ; -- Begin function _ZN2at6native6invokeINS0_13AUnaryFunctorIN3c1015Float8_e5m2fnuzES4_bNS0_12_GLOBAL__N_116CompareEqFunctorIS4_EEEEj15function_traitsIS8_EEENT1_11result_typeERKT_PrKPcPKT0_PKNS3_10ScalarTypeEi
	.type	_ZN2at6native6invokeINS0_13AUnaryFunctorIN3c1015Float8_e5m2fnuzES4_bNS0_12_GLOBAL__N_116CompareEqFunctorIS4_EEEEj15function_traitsIS8_EEENT1_11result_typeERKT_PrKPcPKT0_PKNS3_10ScalarTypeEi,@function
_ZN2at6native6invokeINS0_13AUnaryFunctorIN3c1015Float8_e5m2fnuzES4_bNS0_12_GLOBAL__N_116CompareEqFunctorIS4_EEEEj15function_traitsIS8_EEENT1_11result_typeERKT_PrKPcPKT0_PKNS3_10ScalarTypeEi: ; @_ZN2at6native6invokeINS0_13AUnaryFunctorIN3c1015Float8_e5m2fnuzES4_bNS0_12_GLOBAL__N_116CompareEqFunctorIS4_EEEEj15function_traitsIS8_EEENT1_11result_typeERKT_PrKPcPKT0_PKNS3_10ScalarTypeEi
; %bb.0:
	s_waitcnt vmcnt(0) expcnt(0) lgkmcnt(0)
	v_add_co_u32_e32 v2, vcc, v2, v4
	v_mov_b32_e32 v4, 10
	v_addc_co_u32_e32 v3, vcc, 0, v3, vcc
	v_cmp_gt_i16_sdwa s[4:5], v5, v4 src0_sel:BYTE_0 src1_sel:DWORD
	s_mov_b64 s[6:7], 0
                                        ; implicit-def: $vgpr4
	s_and_saveexec_b64 s[8:9], s[4:5]
	s_xor_b64 s[4:5], exec, s[8:9]
	s_cbranch_execnz .LBB264_4
; %bb.1:
	s_andn2_saveexec_b64 s[4:5], s[4:5]
	s_cbranch_execnz .LBB264_16
.LBB264_2:
	s_or_b64 exec, exec, s[4:5]
                                        ; implicit-def: $sgpr8_sgpr9
	s_and_saveexec_b64 s[4:5], s[6:7]
	s_cbranch_execnz .LBB264_123
.LBB264_3:
	s_or_b64 exec, exec, s[4:5]
	v_cndmask_b32_e64 v0, 0, 1, s[8:9]
	s_waitcnt vmcnt(0) lgkmcnt(0)
	s_setpc_b64 s[30:31]
.LBB264_4:
	v_mov_b32_e32 v4, 25
	v_cmp_gt_i16_sdwa s[8:9], v5, v4 src0_sel:BYTE_0 src1_sel:DWORD
	s_mov_b64 s[12:13], 0
	s_mov_b64 s[10:11], 0
                                        ; implicit-def: $vgpr4
	s_and_saveexec_b64 s[14:15], s[8:9]
	s_xor_b64 s[8:9], exec, s[14:15]
	s_cbranch_execnz .LBB264_143
; %bb.5:
	s_andn2_saveexec_b64 s[8:9], s[8:9]
	s_cbranch_execnz .LBB264_210
.LBB264_6:
	s_or_b64 exec, exec, s[8:9]
	s_and_saveexec_b64 s[8:9], s[12:13]
	s_cbranch_execnz .LBB264_247
.LBB264_7:
	s_or_b64 exec, exec, s[8:9]
	s_and_saveexec_b64 s[8:9], s[6:7]
	s_xor_b64 s[6:7], exec, s[8:9]
	s_cbranch_execz .LBB264_15
.LBB264_8:
	flat_load_ubyte v2, v[2:3]
	s_mov_b32 s8, 0x47800000
	s_waitcnt vmcnt(0) lgkmcnt(0)
	v_mov_b32_e32 v4, 0x80
	v_cmp_ne_u16_e32 vcc, 0, v2
	v_cndmask_b32_e64 v3, 0, 1.0, vcc
	v_cmp_gt_u32_e32 vcc, s8, v3
	s_and_saveexec_b64 s[8:9], vcc
	s_cbranch_execz .LBB264_14
; %bb.9:
	s_mov_b32 s12, 0x37ffffff
	v_cmp_lt_u32_e32 vcc, s12, v3
	s_mov_b64 s[12:13], 0
                                        ; implicit-def: $vgpr2
	s_and_saveexec_b64 s[14:15], vcc
	s_xor_b64 s[14:15], exec, s[14:15]
	s_cbranch_execnz .LBB264_264
; %bb.10:
	s_andn2_saveexec_b64 s[14:15], s[14:15]
	s_cbranch_execnz .LBB264_265
.LBB264_11:
	s_or_b64 exec, exec, s[14:15]
	v_mov_b32_e32 v4, 0
	s_and_saveexec_b64 s[14:15], s[12:13]
.LBB264_12:
	v_mov_b32_e32 v4, v2
.LBB264_13:
	s_or_b64 exec, exec, s[14:15]
.LBB264_14:
	s_or_b64 exec, exec, s[8:9]
	s_or_b64 s[10:11], s[10:11], exec
.LBB264_15:
	s_or_b64 exec, exec, s[6:7]
	s_and_b64 s[6:7], s[10:11], exec
                                        ; implicit-def: $vgpr5
                                        ; implicit-def: $vgpr2_vgpr3
	s_andn2_saveexec_b64 s[4:5], s[4:5]
	s_cbranch_execz .LBB264_2
.LBB264_16:
	s_waitcnt vmcnt(0) lgkmcnt(0)
	v_mov_b32_e32 v4, 4
	v_cmp_gt_i16_sdwa s[8:9], v5, v4 src0_sel:BYTE_0 src1_sel:DWORD
                                        ; implicit-def: $vgpr4
	s_and_saveexec_b64 s[10:11], s[8:9]
	s_xor_b64 s[8:9], exec, s[10:11]
	s_cbranch_execz .LBB264_74
; %bb.17:
	v_mov_b32_e32 v4, 7
	v_cmp_gt_i16_sdwa s[10:11], v5, v4 src0_sel:BYTE_0 src1_sel:DWORD
                                        ; implicit-def: $vgpr4
	s_and_saveexec_b64 s[12:13], s[10:11]
	s_xor_b64 s[10:11], exec, s[12:13]
	s_cbranch_execz .LBB264_45
; %bb.18:
	;; [unrolled: 7-line block ×4, first 2 shown]
	flat_load_dwordx2 v[2:3], v[2:3]
	s_mov_b32 s16, 0x47800000
	v_mov_b32_e32 v4, 0x80
	s_waitcnt vmcnt(0) lgkmcnt(0)
	v_cvt_f32_f64_e32 v2, v[2:3]
	v_and_b32_e32 v3, 0x7fffffff, v2
	v_cmp_gt_u32_e32 vcc, s16, v3
	s_and_saveexec_b64 s[16:17], vcc
	s_cbranch_execz .LBB264_26
; %bb.21:
	s_mov_b32 s18, 0x37ffffff
	v_cmp_lt_u32_e32 vcc, s18, v3
	s_mov_b64 s[18:19], 0
                                        ; implicit-def: $vgpr3
	s_and_saveexec_b64 s[20:21], vcc
	s_xor_b64 s[20:21], exec, s[20:21]
	s_cbranch_execnz .LBB264_284
; %bb.22:
	s_andn2_saveexec_b64 s[20:21], s[20:21]
	s_cbranch_execnz .LBB264_285
.LBB264_23:
	s_or_b64 exec, exec, s[20:21]
	v_mov_b32_e32 v4, 0
	s_and_saveexec_b64 s[20:21], s[18:19]
.LBB264_24:
	v_lshrrev_b32_e32 v2, 24, v2
	s_movk_i32 s18, 0x80
	v_and_or_b32 v4, v2, s18, v3
.LBB264_25:
	s_or_b64 exec, exec, s[20:21]
.LBB264_26:
	s_or_b64 exec, exec, s[16:17]
                                        ; implicit-def: $vgpr2_vgpr3
.LBB264_27:
	s_andn2_saveexec_b64 s[14:15], s[14:15]
	s_cbranch_execz .LBB264_35
; %bb.28:
	flat_load_dword v2, v[2:3]
	s_mov_b32 s16, 0x47800000
	v_mov_b32_e32 v4, 0x80
	s_waitcnt vmcnt(0) lgkmcnt(0)
	v_and_b32_e32 v3, 0x7fffffff, v2
	v_cmp_gt_u32_e32 vcc, s16, v3
	s_and_saveexec_b64 s[16:17], vcc
	s_cbranch_execz .LBB264_34
; %bb.29:
	s_mov_b32 s18, 0x37ffffff
	v_cmp_lt_u32_e32 vcc, s18, v3
	s_mov_b64 s[18:19], 0
                                        ; implicit-def: $vgpr3
	s_and_saveexec_b64 s[20:21], vcc
	s_xor_b64 s[20:21], exec, s[20:21]
	s_cbranch_execnz .LBB264_286
; %bb.30:
	s_andn2_saveexec_b64 s[20:21], s[20:21]
	s_cbranch_execnz .LBB264_287
.LBB264_31:
	s_or_b64 exec, exec, s[20:21]
	v_mov_b32_e32 v4, 0
	s_and_saveexec_b64 s[20:21], s[18:19]
.LBB264_32:
	v_lshrrev_b32_e32 v2, 24, v2
	s_movk_i32 s18, 0x80
	v_and_or_b32 v4, v2, s18, v3
.LBB264_33:
	s_or_b64 exec, exec, s[20:21]
.LBB264_34:
	s_or_b64 exec, exec, s[16:17]
.LBB264_35:
	s_or_b64 exec, exec, s[14:15]
                                        ; implicit-def: $vgpr2_vgpr3
.LBB264_36:
	s_andn2_saveexec_b64 s[12:13], s[12:13]
	s_cbranch_execz .LBB264_44
; %bb.37:
	flat_load_dword v2, v[2:3]
	s_mov_b32 s14, 0x47800000
	v_mov_b32_e32 v4, 0x80
	s_waitcnt vmcnt(0) lgkmcnt(0)
	v_cvt_f32_f16_e32 v2, v2
	v_and_b32_e32 v3, 0x7fffffff, v2
	v_cmp_gt_u32_e32 vcc, s14, v3
	s_and_saveexec_b64 s[14:15], vcc
	s_cbranch_execz .LBB264_43
; %bb.38:
	s_mov_b32 s16, 0x37ffffff
	v_cmp_lt_u32_e32 vcc, s16, v3
	s_mov_b64 s[16:17], 0
                                        ; implicit-def: $vgpr3
	s_and_saveexec_b64 s[18:19], vcc
	s_xor_b64 s[18:19], exec, s[18:19]
	s_cbranch_execnz .LBB264_270
; %bb.39:
	s_andn2_saveexec_b64 s[18:19], s[18:19]
	s_cbranch_execnz .LBB264_271
.LBB264_40:
	s_or_b64 exec, exec, s[18:19]
	v_mov_b32_e32 v4, 0
	s_and_saveexec_b64 s[18:19], s[16:17]
.LBB264_41:
	v_lshrrev_b32_e32 v2, 24, v2
	s_movk_i32 s16, 0x80
	v_and_or_b32 v4, v2, s16, v3
.LBB264_42:
	s_or_b64 exec, exec, s[18:19]
.LBB264_43:
	s_or_b64 exec, exec, s[14:15]
.LBB264_44:
	s_or_b64 exec, exec, s[12:13]
                                        ; implicit-def: $vgpr5
                                        ; implicit-def: $vgpr2_vgpr3
.LBB264_45:
	s_andn2_saveexec_b64 s[10:11], s[10:11]
	s_cbranch_execz .LBB264_73
; %bb.46:
	v_mov_b32_e32 v4, 5
	v_cmp_gt_i16_sdwa s[12:13], v5, v4 src0_sel:BYTE_0 src1_sel:DWORD
                                        ; implicit-def: $vgpr4
	s_and_saveexec_b64 s[14:15], s[12:13]
	s_xor_b64 s[12:13], exec, s[14:15]
	s_cbranch_execz .LBB264_64
; %bb.47:
	v_mov_b32_e32 v4, 6
	v_cmp_gt_i16_sdwa s[14:15], v5, v4 src0_sel:BYTE_0 src1_sel:DWORD
                                        ; implicit-def: $vgpr4
	s_and_saveexec_b64 s[16:17], s[14:15]
	s_xor_b64 s[14:15], exec, s[16:17]
	s_cbranch_execz .LBB264_55
; %bb.48:
	flat_load_dwordx2 v[2:3], v[2:3]
	s_mov_b32 s16, 0x47800000
	v_mov_b32_e32 v4, 0x80
	s_waitcnt vmcnt(0) lgkmcnt(0)
	v_cvt_f32_f64_e32 v2, v[2:3]
	v_and_b32_e32 v3, 0x7fffffff, v2
	v_cmp_gt_u32_e32 vcc, s16, v3
	s_and_saveexec_b64 s[16:17], vcc
	s_cbranch_execz .LBB264_54
; %bb.49:
	s_mov_b32 s18, 0x37ffffff
	v_cmp_lt_u32_e32 vcc, s18, v3
	s_mov_b64 s[18:19], 0
                                        ; implicit-def: $vgpr3
	s_and_saveexec_b64 s[20:21], vcc
	s_xor_b64 s[20:21], exec, s[20:21]
	s_cbranch_execnz .LBB264_288
; %bb.50:
	s_andn2_saveexec_b64 s[20:21], s[20:21]
	s_cbranch_execnz .LBB264_289
.LBB264_51:
	s_or_b64 exec, exec, s[20:21]
	v_mov_b32_e32 v4, 0
	s_and_saveexec_b64 s[20:21], s[18:19]
.LBB264_52:
	v_lshrrev_b32_e32 v2, 24, v2
	s_movk_i32 s18, 0x80
	v_and_or_b32 v4, v2, s18, v3
.LBB264_53:
	s_or_b64 exec, exec, s[20:21]
.LBB264_54:
	s_or_b64 exec, exec, s[16:17]
                                        ; implicit-def: $vgpr2_vgpr3
.LBB264_55:
	s_andn2_saveexec_b64 s[14:15], s[14:15]
	s_cbranch_execz .LBB264_63
; %bb.56:
	flat_load_dword v2, v[2:3]
	s_mov_b32 s16, 0x47800000
	v_mov_b32_e32 v4, 0x80
	s_waitcnt vmcnt(0) lgkmcnt(0)
	v_and_b32_e32 v3, 0x7fffffff, v2
	v_cmp_gt_u32_e32 vcc, s16, v3
	s_and_saveexec_b64 s[16:17], vcc
	s_cbranch_execz .LBB264_62
; %bb.57:
	s_mov_b32 s18, 0x37ffffff
	v_cmp_lt_u32_e32 vcc, s18, v3
	s_mov_b64 s[18:19], 0
                                        ; implicit-def: $vgpr3
	s_and_saveexec_b64 s[20:21], vcc
	s_xor_b64 s[20:21], exec, s[20:21]
	s_cbranch_execnz .LBB264_290
; %bb.58:
	s_andn2_saveexec_b64 s[20:21], s[20:21]
	s_cbranch_execnz .LBB264_291
.LBB264_59:
	s_or_b64 exec, exec, s[20:21]
	v_mov_b32_e32 v4, 0
	s_and_saveexec_b64 s[20:21], s[18:19]
.LBB264_60:
	v_lshrrev_b32_e32 v2, 24, v2
	s_movk_i32 s18, 0x80
	v_and_or_b32 v4, v2, s18, v3
.LBB264_61:
	s_or_b64 exec, exec, s[20:21]
.LBB264_62:
	s_or_b64 exec, exec, s[16:17]
.LBB264_63:
	s_or_b64 exec, exec, s[14:15]
                                        ; implicit-def: $vgpr2_vgpr3
.LBB264_64:
	s_andn2_saveexec_b64 s[12:13], s[12:13]
	s_cbranch_execz .LBB264_72
; %bb.65:
	flat_load_ushort v2, v[2:3]
	s_mov_b32 s14, 0x47800000
	v_mov_b32_e32 v4, 0x80
	s_waitcnt vmcnt(0) lgkmcnt(0)
	v_cvt_f32_f16_e32 v2, v2
	v_and_b32_e32 v3, 0x7fffffff, v2
	v_cmp_gt_u32_e32 vcc, s14, v3
	s_and_saveexec_b64 s[14:15], vcc
	s_cbranch_execz .LBB264_71
; %bb.66:
	s_mov_b32 s16, 0x37ffffff
	v_cmp_lt_u32_e32 vcc, s16, v3
	s_mov_b64 s[16:17], 0
                                        ; implicit-def: $vgpr3
	s_and_saveexec_b64 s[18:19], vcc
	s_xor_b64 s[18:19], exec, s[18:19]
	s_cbranch_execnz .LBB264_272
; %bb.67:
	s_andn2_saveexec_b64 s[18:19], s[18:19]
	s_cbranch_execnz .LBB264_273
.LBB264_68:
	s_or_b64 exec, exec, s[18:19]
	v_mov_b32_e32 v4, 0
	s_and_saveexec_b64 s[18:19], s[16:17]
.LBB264_69:
	v_lshrrev_b32_e32 v2, 24, v2
	s_movk_i32 s16, 0x80
	v_and_or_b32 v4, v2, s16, v3
.LBB264_70:
	s_or_b64 exec, exec, s[18:19]
.LBB264_71:
	s_or_b64 exec, exec, s[14:15]
.LBB264_72:
	s_or_b64 exec, exec, s[12:13]
.LBB264_73:
	s_or_b64 exec, exec, s[10:11]
                                        ; implicit-def: $vgpr5
                                        ; implicit-def: $vgpr2_vgpr3
.LBB264_74:
	s_andn2_saveexec_b64 s[8:9], s[8:9]
	s_cbranch_execz .LBB264_122
; %bb.75:
	v_mov_b32_e32 v4, 1
	v_cmp_gt_i16_sdwa s[10:11], v5, v4 src0_sel:BYTE_0 src1_sel:DWORD
                                        ; implicit-def: $vgpr4
	s_and_saveexec_b64 s[12:13], s[10:11]
	s_xor_b64 s[10:11], exec, s[12:13]
	s_cbranch_execz .LBB264_103
; %bb.76:
	v_mov_b32_e32 v4, 2
	v_cmp_gt_i16_sdwa s[12:13], v5, v4 src0_sel:BYTE_0 src1_sel:DWORD
                                        ; implicit-def: $vgpr4
	s_and_saveexec_b64 s[14:15], s[12:13]
	s_xor_b64 s[12:13], exec, s[14:15]
	;; [unrolled: 7-line block ×3, first 2 shown]
	s_cbranch_execz .LBB264_85
; %bb.78:
	flat_load_dwordx2 v[2:3], v[2:3]
	s_mov_b32 s16, 0x47800000
	s_waitcnt vmcnt(0) lgkmcnt(0)
	v_xor_b32_e32 v5, v2, v3
	v_ffbh_i32_e32 v4, v3
	v_ashrrev_i32_e32 v5, 31, v5
	v_add_u32_e32 v4, -1, v4
	v_add_u32_e32 v5, 32, v5
	v_min_u32_e32 v4, v4, v5
	v_lshlrev_b64 v[2:3], v4, v[2:3]
	v_min_u32_e32 v2, 1, v2
	v_or_b32_e32 v2, v3, v2
	v_cvt_f32_i32_e32 v2, v2
	v_sub_u32_e32 v3, 32, v4
	v_mov_b32_e32 v4, 0x80
	v_ldexp_f32 v2, v2, v3
	v_and_b32_e32 v3, 0x7fffffff, v2
	v_cmp_gt_u32_e32 vcc, s16, v3
	s_and_saveexec_b64 s[16:17], vcc
	s_cbranch_execz .LBB264_84
; %bb.79:
	s_mov_b32 s18, 0x37ffffff
	v_cmp_lt_u32_e32 vcc, s18, v3
	s_mov_b64 s[18:19], 0
                                        ; implicit-def: $vgpr3
	s_and_saveexec_b64 s[20:21], vcc
	s_xor_b64 s[20:21], exec, s[20:21]
	s_cbranch_execnz .LBB264_292
; %bb.80:
	s_andn2_saveexec_b64 s[20:21], s[20:21]
	s_cbranch_execnz .LBB264_293
.LBB264_81:
	s_or_b64 exec, exec, s[20:21]
	v_mov_b32_e32 v4, 0
	s_and_saveexec_b64 s[20:21], s[18:19]
.LBB264_82:
	v_lshrrev_b32_e32 v2, 24, v2
	s_movk_i32 s18, 0x80
	v_and_or_b32 v4, v2, s18, v3
.LBB264_83:
	s_or_b64 exec, exec, s[20:21]
.LBB264_84:
	s_or_b64 exec, exec, s[16:17]
                                        ; implicit-def: $vgpr2_vgpr3
.LBB264_85:
	s_andn2_saveexec_b64 s[14:15], s[14:15]
	s_cbranch_execz .LBB264_93
; %bb.86:
	flat_load_dword v2, v[2:3]
	s_mov_b32 s16, 0x47800000
	v_mov_b32_e32 v4, 0x80
	s_waitcnt vmcnt(0) lgkmcnt(0)
	v_cvt_f32_i32_e32 v2, v2
	v_and_b32_e32 v3, 0x7fffffff, v2
	v_cmp_gt_u32_e32 vcc, s16, v3
	s_and_saveexec_b64 s[16:17], vcc
	s_cbranch_execz .LBB264_92
; %bb.87:
	s_mov_b32 s18, 0x37ffffff
	v_cmp_lt_u32_e32 vcc, s18, v3
	s_mov_b64 s[18:19], 0
                                        ; implicit-def: $vgpr3
	s_and_saveexec_b64 s[20:21], vcc
	s_xor_b64 s[20:21], exec, s[20:21]
	s_cbranch_execnz .LBB264_294
; %bb.88:
	s_andn2_saveexec_b64 s[20:21], s[20:21]
	s_cbranch_execnz .LBB264_295
.LBB264_89:
	s_or_b64 exec, exec, s[20:21]
	v_mov_b32_e32 v4, 0
	s_and_saveexec_b64 s[20:21], s[18:19]
.LBB264_90:
	v_lshrrev_b32_e32 v2, 24, v2
	s_movk_i32 s18, 0x80
	v_and_or_b32 v4, v2, s18, v3
.LBB264_91:
	s_or_b64 exec, exec, s[20:21]
.LBB264_92:
	s_or_b64 exec, exec, s[16:17]
.LBB264_93:
	s_or_b64 exec, exec, s[14:15]
                                        ; implicit-def: $vgpr2_vgpr3
.LBB264_94:
	s_andn2_saveexec_b64 s[12:13], s[12:13]
	s_cbranch_execz .LBB264_102
; %bb.95:
	flat_load_sshort v2, v[2:3]
	s_mov_b32 s14, 0x47800000
	v_mov_b32_e32 v4, 0x80
	s_waitcnt vmcnt(0) lgkmcnt(0)
	v_cvt_f32_i32_e32 v2, v2
	v_and_b32_e32 v3, 0x7fffffff, v2
	v_cmp_gt_u32_e32 vcc, s14, v3
	s_and_saveexec_b64 s[14:15], vcc
	s_cbranch_execz .LBB264_101
; %bb.96:
	s_mov_b32 s16, 0x37ffffff
	v_cmp_lt_u32_e32 vcc, s16, v3
	s_mov_b64 s[16:17], 0
                                        ; implicit-def: $vgpr3
	s_and_saveexec_b64 s[18:19], vcc
	s_xor_b64 s[18:19], exec, s[18:19]
	s_cbranch_execnz .LBB264_274
; %bb.97:
	s_andn2_saveexec_b64 s[18:19], s[18:19]
	s_cbranch_execnz .LBB264_275
.LBB264_98:
	s_or_b64 exec, exec, s[18:19]
	v_mov_b32_e32 v4, 0
	s_and_saveexec_b64 s[18:19], s[16:17]
.LBB264_99:
	v_lshrrev_b32_e32 v2, 24, v2
	s_movk_i32 s16, 0x80
	v_and_or_b32 v4, v2, s16, v3
.LBB264_100:
	s_or_b64 exec, exec, s[18:19]
.LBB264_101:
	s_or_b64 exec, exec, s[14:15]
.LBB264_102:
	s_or_b64 exec, exec, s[12:13]
                                        ; implicit-def: $vgpr5
                                        ; implicit-def: $vgpr2_vgpr3
.LBB264_103:
	s_andn2_saveexec_b64 s[10:11], s[10:11]
	s_cbranch_execz .LBB264_121
; %bb.104:
	v_mov_b32_e32 v4, 0
	v_cmp_gt_i16_sdwa s[12:13], v5, v4 src0_sel:BYTE_0 src1_sel:DWORD
                                        ; implicit-def: $vgpr4
	s_and_saveexec_b64 s[14:15], s[12:13]
	s_xor_b64 s[12:13], exec, s[14:15]
	s_cbranch_execz .LBB264_112
; %bb.105:
	flat_load_sbyte v2, v[2:3]
	s_mov_b32 s14, 0x47800000
	v_mov_b32_e32 v4, 0x80
	s_waitcnt vmcnt(0) lgkmcnt(0)
	v_cvt_f32_i32_e32 v2, v2
	v_and_b32_e32 v3, 0x7fffffff, v2
	v_cmp_gt_u32_e32 vcc, s14, v3
	s_and_saveexec_b64 s[14:15], vcc
	s_cbranch_execz .LBB264_111
; %bb.106:
	s_mov_b32 s16, 0x37ffffff
	v_cmp_lt_u32_e32 vcc, s16, v3
	s_mov_b64 s[16:17], 0
                                        ; implicit-def: $vgpr3
	s_and_saveexec_b64 s[18:19], vcc
	s_xor_b64 s[18:19], exec, s[18:19]
	s_cbranch_execnz .LBB264_276
; %bb.107:
	s_andn2_saveexec_b64 s[18:19], s[18:19]
	s_cbranch_execnz .LBB264_277
.LBB264_108:
	s_or_b64 exec, exec, s[18:19]
	v_mov_b32_e32 v4, 0
	s_and_saveexec_b64 s[18:19], s[16:17]
.LBB264_109:
	v_lshrrev_b32_e32 v2, 24, v2
	s_movk_i32 s16, 0x80
	v_and_or_b32 v4, v2, s16, v3
.LBB264_110:
	s_or_b64 exec, exec, s[18:19]
.LBB264_111:
	s_or_b64 exec, exec, s[14:15]
                                        ; implicit-def: $vgpr2_vgpr3
.LBB264_112:
	s_andn2_saveexec_b64 s[12:13], s[12:13]
	s_cbranch_execz .LBB264_120
; %bb.113:
	flat_load_ubyte v2, v[2:3]
	s_mov_b32 s14, 0x47800000
	v_mov_b32_e32 v4, 0x80
	s_waitcnt vmcnt(0) lgkmcnt(0)
	v_cvt_f32_ubyte0_e32 v3, v2
	v_cmp_gt_u32_e32 vcc, s14, v3
	s_and_saveexec_b64 s[14:15], vcc
	s_cbranch_execz .LBB264_119
; %bb.114:
	s_mov_b32 s16, 0x37ffffff
	v_cmp_lt_u32_e32 vcc, s16, v3
	s_mov_b64 s[16:17], 0
                                        ; implicit-def: $vgpr2
	s_and_saveexec_b64 s[18:19], vcc
	s_xor_b64 s[18:19], exec, s[18:19]
	s_cbranch_execnz .LBB264_278
; %bb.115:
	s_andn2_saveexec_b64 s[18:19], s[18:19]
	s_cbranch_execnz .LBB264_279
.LBB264_116:
	s_or_b64 exec, exec, s[18:19]
	v_mov_b32_e32 v4, 0
	s_and_saveexec_b64 s[18:19], s[16:17]
.LBB264_117:
	v_mov_b32_e32 v4, v2
.LBB264_118:
	s_or_b64 exec, exec, s[18:19]
.LBB264_119:
	s_or_b64 exec, exec, s[14:15]
.LBB264_120:
	s_or_b64 exec, exec, s[12:13]
.LBB264_121:
	s_or_b64 exec, exec, s[10:11]
.LBB264_122:
	s_or_b64 exec, exec, s[8:9]
	s_or_b64 s[6:7], s[6:7], exec
	s_or_b64 exec, exec, s[4:5]
                                        ; implicit-def: $sgpr8_sgpr9
	s_and_saveexec_b64 s[4:5], s[6:7]
	s_cbranch_execz .LBB264_3
.LBB264_123:
	v_cmp_ne_u32_e32 vcc, 0, v0
                                        ; implicit-def: $sgpr8_sgpr9
	s_and_saveexec_b64 s[6:7], vcc
	s_xor_b64 s[6:7], exec, s[6:7]
	s_cbranch_execz .LBB264_133
; %bb.124:
	s_movk_i32 s8, 0x7f
	v_cmp_gt_i16_sdwa s[10:11], v1, s8 src0_sel:BYTE_0 src1_sel:DWORD
	s_mov_b64 s[8:9], 0
	s_and_saveexec_b64 s[12:13], s[10:11]
	s_xor_b64 s[10:11], exec, s[12:13]
	s_cbranch_execnz .LBB264_248
; %bb.125:
	s_or_saveexec_b64 s[10:11], s[10:11]
	v_mov_b32_e32 v0, 0x7f800001
	s_xor_b64 exec, exec, s[10:11]
	s_cbranch_execnz .LBB264_251
.LBB264_126:
	s_or_b64 exec, exec, s[10:11]
	s_and_saveexec_b64 s[10:11], s[8:9]
	s_cbranch_execz .LBB264_128
.LBB264_127:
	v_and_b32_e32 v2, 3, v1
	v_ffbh_u32_e32 v3, v2
	v_min_u32_e32 v3, 32, v3
	v_lshrrev_b16_e32 v0, 2, v1
	v_subrev_u32_e32 v5, 29, v3
	v_and_b32_e32 v0, 31, v0
	v_lshlrev_b32_e32 v5, v5, v1
	v_sub_u32_e32 v3, 30, v3
	v_and_b32_e32 v5, 3, v5
	v_cmp_eq_u32_e32 vcc, 0, v0
	v_cndmask_b32_e32 v0, v0, v3, vcc
	v_cndmask_b32_e32 v2, v2, v5, vcc
	v_lshlrev_b32_e32 v1, 24, v1
	v_mov_b32_e32 v3, 0x37800000
	v_lshlrev_b32_e32 v2, 21, v2
	v_and_b32_e32 v1, 0x80000000, v1
	v_lshl_add_u32 v0, v0, 23, v3
	v_or3_b32 v0, v1, v0, v2
.LBB264_128:
	s_or_b64 exec, exec, s[10:11]
	s_movk_i32 s8, 0x7f
	s_waitcnt vmcnt(0) lgkmcnt(0)
	v_cmp_gt_i16_sdwa s[10:11], v4, s8 src0_sel:BYTE_0 src1_sel:DWORD
	s_mov_b64 s[8:9], 0
	s_and_saveexec_b64 s[12:13], s[10:11]
	s_xor_b64 s[10:11], exec, s[12:13]
	s_cbranch_execnz .LBB264_252
; %bb.129:
	s_or_saveexec_b64 s[10:11], s[10:11]
	v_mov_b32_e32 v1, 0x7f800001
	s_xor_b64 exec, exec, s[10:11]
	s_cbranch_execnz .LBB264_255
.LBB264_130:
	s_or_b64 exec, exec, s[10:11]
	s_and_saveexec_b64 s[10:11], s[8:9]
	s_cbranch_execz .LBB264_132
.LBB264_131:
	v_and_b32_e32 v2, 3, v4
	v_ffbh_u32_e32 v3, v2
	v_min_u32_e32 v3, 32, v3
	v_lshrrev_b16_e32 v1, 2, v4
	v_subrev_u32_e32 v5, 29, v3
	v_and_b32_e32 v1, 31, v1
	v_lshlrev_b32_e32 v5, v5, v4
	v_sub_u32_e32 v3, 30, v3
	v_and_b32_e32 v5, 3, v5
	v_cmp_eq_u32_e32 vcc, 0, v1
	v_cndmask_b32_e32 v1, v1, v3, vcc
	v_cndmask_b32_e32 v2, v2, v5, vcc
	v_lshlrev_b32_e32 v3, 24, v4
	v_mov_b32_e32 v4, 0x37800000
	v_lshlrev_b32_e32 v2, 21, v2
	v_and_b32_e32 v3, 0x80000000, v3
	v_lshl_add_u32 v1, v1, 23, v4
	v_or3_b32 v1, v3, v1, v2
.LBB264_132:
	s_or_b64 exec, exec, s[10:11]
	v_cmp_neq_f32_e64 s[8:9], v0, v1
                                        ; implicit-def: $vgpr4
                                        ; implicit-def: $vgpr1
.LBB264_133:
	s_andn2_saveexec_b64 s[6:7], s[6:7]
	s_cbranch_execz .LBB264_3
; %bb.134:
	s_movk_i32 s6, 0x7f
	v_cmp_gt_i16_sdwa s[10:11], v1, s6 src0_sel:BYTE_0 src1_sel:DWORD
	s_mov_b64 s[6:7], 0
	s_and_saveexec_b64 s[12:13], s[10:11]
	s_xor_b64 s[10:11], exec, s[12:13]
	s_cbranch_execnz .LBB264_256
; %bb.135:
	s_or_saveexec_b64 s[10:11], s[10:11]
	v_mov_b32_e32 v0, 0x7f800001
	s_xor_b64 exec, exec, s[10:11]
	s_cbranch_execnz .LBB264_259
.LBB264_136:
	s_or_b64 exec, exec, s[10:11]
	s_and_saveexec_b64 s[10:11], s[6:7]
	s_cbranch_execz .LBB264_138
.LBB264_137:
	v_and_b32_e32 v2, 3, v1
	v_ffbh_u32_e32 v3, v2
	v_min_u32_e32 v3, 32, v3
	v_lshrrev_b16_e32 v0, 2, v1
	v_subrev_u32_e32 v5, 29, v3
	v_and_b32_e32 v0, 31, v0
	v_lshlrev_b32_e32 v5, v5, v1
	v_sub_u32_e32 v3, 30, v3
	v_and_b32_e32 v5, 3, v5
	v_cmp_eq_u32_e32 vcc, 0, v0
	v_cndmask_b32_e32 v0, v0, v3, vcc
	v_cndmask_b32_e32 v2, v2, v5, vcc
	v_lshlrev_b32_e32 v1, 24, v1
	v_mov_b32_e32 v3, 0x37800000
	v_lshlrev_b32_e32 v2, 21, v2
	v_and_b32_e32 v1, 0x80000000, v1
	v_lshl_add_u32 v0, v0, 23, v3
	v_or3_b32 v0, v1, v0, v2
.LBB264_138:
	s_or_b64 exec, exec, s[10:11]
	s_movk_i32 s6, 0x7f
	s_waitcnt vmcnt(0) lgkmcnt(0)
	v_cmp_gt_i16_sdwa s[10:11], v4, s6 src0_sel:BYTE_0 src1_sel:DWORD
	s_mov_b64 s[6:7], 0
	s_and_saveexec_b64 s[12:13], s[10:11]
	s_xor_b64 s[10:11], exec, s[12:13]
	s_cbranch_execnz .LBB264_260
; %bb.139:
	s_or_saveexec_b64 s[10:11], s[10:11]
	v_mov_b32_e32 v1, 0x7f800001
	s_xor_b64 exec, exec, s[10:11]
	s_cbranch_execnz .LBB264_263
.LBB264_140:
	s_or_b64 exec, exec, s[10:11]
	s_and_saveexec_b64 s[10:11], s[6:7]
	s_cbranch_execz .LBB264_142
.LBB264_141:
	v_and_b32_e32 v2, 3, v4
	v_ffbh_u32_e32 v3, v2
	v_min_u32_e32 v3, 32, v3
	v_lshrrev_b16_e32 v1, 2, v4
	v_subrev_u32_e32 v5, 29, v3
	v_and_b32_e32 v1, 31, v1
	v_lshlrev_b32_e32 v5, v5, v4
	v_sub_u32_e32 v3, 30, v3
	v_and_b32_e32 v5, 3, v5
	v_cmp_eq_u32_e32 vcc, 0, v1
	v_cndmask_b32_e32 v1, v1, v3, vcc
	v_cndmask_b32_e32 v2, v2, v5, vcc
	v_lshlrev_b32_e32 v3, 24, v4
	v_mov_b32_e32 v4, 0x37800000
	v_lshlrev_b32_e32 v2, 21, v2
	v_and_b32_e32 v3, 0x80000000, v3
	v_lshl_add_u32 v1, v1, 23, v4
	v_or3_b32 v1, v3, v1, v2
.LBB264_142:
	s_or_b64 exec, exec, s[10:11]
	v_cmp_eq_f32_e32 vcc, v0, v1
	s_andn2_b64 s[6:7], s[8:9], exec
	s_and_b64 s[8:9], vcc, exec
	s_or_b64 s[8:9], s[6:7], s[8:9]
	s_or_b64 exec, exec, s[4:5]
	v_cndmask_b32_e64 v0, 0, 1, s[8:9]
	s_setpc_b64 s[30:31]
.LBB264_143:
	v_mov_b32_e32 v4, 28
	v_cmp_gt_i16_sdwa s[10:11], v5, v4 src0_sel:BYTE_0 src1_sel:DWORD
	s_mov_b64 s[14:15], 0
                                        ; implicit-def: $vgpr4
	s_and_saveexec_b64 s[16:17], s[10:11]
	s_xor_b64 s[10:11], exec, s[16:17]
	s_cbranch_execz .LBB264_177
; %bb.144:
	v_mov_b32_e32 v4, 43
	v_cmp_gt_i16_sdwa s[12:13], v5, v4 src0_sel:BYTE_0 src1_sel:DWORD
	s_mov_b64 s[16:17], 0
	s_mov_b64 s[18:19], 0
                                        ; implicit-def: $vgpr4
	s_and_saveexec_b64 s[14:15], s[12:13]
	s_xor_b64 s[12:13], exec, s[14:15]
	s_cbranch_execz .LBB264_166
; %bb.145:
	v_mov_b32_e32 v4, 45
	v_cmp_gt_i16_sdwa s[18:19], v5, v4 src0_sel:BYTE_0 src1_sel:DWORD
	s_mov_b64 s[14:15], 0
                                        ; implicit-def: $vgpr4
	s_and_saveexec_b64 s[20:21], s[18:19]
	s_xor_b64 s[18:19], exec, s[20:21]
	s_cbranch_execz .LBB264_155
; %bb.146:
	v_mov_b32_e32 v4, 46
	v_cmp_eq_u16_sdwa s[22:23], v5, v4 src0_sel:BYTE_0 src1_sel:DWORD
	s_mov_b64 s[20:21], -1
                                        ; implicit-def: $vgpr4
	s_and_saveexec_b64 s[14:15], s[22:23]
	s_cbranch_execz .LBB264_154
; %bb.147:
	flat_load_dword v4, v[2:3]
	s_mov_b32 s16, 0x47800000
	s_waitcnt vmcnt(0) lgkmcnt(0)
	v_lshlrev_b32_e32 v5, 16, v4
	v_and_b32_e32 v6, 0x7fffffff, v5
	v_cmp_gt_u32_e32 vcc, s16, v6
	v_mov_b32_e32 v4, 0x80
	s_and_saveexec_b64 s[16:17], vcc
	s_cbranch_execz .LBB264_153
; %bb.148:
	s_mov_b32 s20, 0x37ffffff
	v_cmp_lt_u32_e32 vcc, s20, v6
	s_mov_b64 s[20:21], 0
                                        ; implicit-def: $vgpr6
	s_and_saveexec_b64 s[22:23], vcc
	s_xor_b64 s[22:23], exec, s[22:23]
	s_cbranch_execnz .LBB264_306
; %bb.149:
	s_andn2_saveexec_b64 s[22:23], s[22:23]
	s_cbranch_execnz .LBB264_307
.LBB264_150:
	s_or_b64 exec, exec, s[22:23]
	v_mov_b32_e32 v4, 0
	s_and_saveexec_b64 s[22:23], s[20:21]
.LBB264_151:
	v_lshrrev_b32_e32 v4, 24, v5
	s_movk_i32 s20, 0x80
	v_and_or_b32 v4, v4, s20, v6
.LBB264_152:
	s_or_b64 exec, exec, s[22:23]
.LBB264_153:
	s_or_b64 exec, exec, s[16:17]
	s_mov_b64 s[16:17], exec
	s_xor_b64 s[20:21], exec, -1
.LBB264_154:
	s_or_b64 exec, exec, s[14:15]
	s_and_b64 s[16:17], s[16:17], exec
	s_and_b64 s[14:15], s[20:21], exec
                                        ; implicit-def: $vgpr5
.LBB264_155:
	s_andn2_saveexec_b64 s[18:19], s[18:19]
	s_cbranch_execz .LBB264_165
; %bb.156:
	v_mov_b32_e32 v4, 44
	v_cmp_eq_u16_sdwa s[26:27], v5, v4 src0_sel:BYTE_0 src1_sel:DWORD
	s_mov_b64 s[22:23], -1
	s_mov_b64 s[24:25], s[16:17]
                                        ; implicit-def: $vgpr4
	s_and_saveexec_b64 s[20:21], s[26:27]
	s_cbranch_execz .LBB264_164
; %bb.157:
	flat_load_ubyte v4, v[2:3]
	s_movk_i32 s22, 0xff
	v_mov_b32_e32 v5, 0x7f800001
	v_mov_b32_e32 v6, 0x400000
	s_mov_b32 s23, 0x47800000
	s_waitcnt vmcnt(0) lgkmcnt(0)
	v_lshlrev_b32_e32 v7, 23, v4
	v_cmp_ne_u32_e32 vcc, s22, v4
	v_cndmask_b32_e32 v5, v5, v7, vcc
	v_cmp_ne_u32_e32 vcc, 0, v4
	v_cndmask_b32_e32 v6, v6, v5, vcc
	v_cmp_gt_u32_e32 vcc, s23, v6
	v_mov_b32_e32 v4, 0x80
	s_and_saveexec_b64 s[22:23], vcc
	s_cbranch_execz .LBB264_163
; %bb.158:
	s_mov_b32 s24, 0x37ffffff
	v_cmp_lt_u32_e32 vcc, s24, v6
	s_mov_b64 s[24:25], 0
                                        ; implicit-def: $vgpr5
	s_and_saveexec_b64 s[26:27], vcc
	s_xor_b64 s[26:27], exec, s[26:27]
	s_cbranch_execnz .LBB264_308
; %bb.159:
	s_andn2_saveexec_b64 s[26:27], s[26:27]
	s_cbranch_execnz .LBB264_309
.LBB264_160:
	s_or_b64 exec, exec, s[26:27]
	v_mov_b32_e32 v4, 0
	s_and_saveexec_b64 s[26:27], s[24:25]
.LBB264_161:
	v_mov_b32_e32 v4, v5
.LBB264_162:
	s_or_b64 exec, exec, s[26:27]
.LBB264_163:
	s_or_b64 exec, exec, s[22:23]
	s_or_b64 s[24:25], s[16:17], exec
	s_xor_b64 s[22:23], exec, -1
.LBB264_164:
	s_or_b64 exec, exec, s[20:21]
	s_andn2_b64 s[16:17], s[16:17], exec
	s_and_b64 s[20:21], s[24:25], exec
	s_or_b64 s[16:17], s[16:17], s[20:21]
	s_andn2_b64 s[14:15], s[14:15], exec
	s_and_b64 s[20:21], s[22:23], exec
	s_or_b64 s[14:15], s[14:15], s[20:21]
.LBB264_165:
	s_or_b64 exec, exec, s[18:19]
	s_and_b64 s[18:19], s[16:17], exec
	s_and_b64 s[16:17], s[14:15], exec
                                        ; implicit-def: $vgpr5
.LBB264_166:
	s_andn2_saveexec_b64 s[12:13], s[12:13]
	s_cbranch_execz .LBB264_176
; %bb.167:
	v_mov_b32_e32 v4, 29
	v_cmp_eq_u16_sdwa s[24:25], v5, v4 src0_sel:BYTE_0 src1_sel:DWORD
	s_mov_b64 s[20:21], -1
	s_mov_b64 s[22:23], s[18:19]
                                        ; implicit-def: $vgpr4
	s_and_saveexec_b64 s[14:15], s[24:25]
	s_cbranch_execz .LBB264_175
; %bb.168:
	flat_load_dwordx2 v[4:5], v[2:3]
	s_mov_b32 s20, 0x47800000
	s_waitcnt vmcnt(0) lgkmcnt(0)
	v_ffbh_u32_e32 v6, v5
	v_min_u32_e32 v6, 32, v6
	v_lshlrev_b64 v[4:5], v6, v[4:5]
	v_min_u32_e32 v4, 1, v4
	v_or_b32_e32 v4, v5, v4
	v_cvt_f32_u32_e32 v4, v4
	v_sub_u32_e32 v5, 32, v6
	v_ldexp_f32 v6, v4, v5
	v_cmp_gt_u32_e32 vcc, s20, v6
	v_mov_b32_e32 v4, 0x80
	s_and_saveexec_b64 s[20:21], vcc
	s_cbranch_execz .LBB264_174
; %bb.169:
	s_mov_b32 s22, 0x37ffffff
	v_cmp_lt_u32_e32 vcc, s22, v6
	s_mov_b64 s[22:23], 0
                                        ; implicit-def: $vgpr5
	s_and_saveexec_b64 s[24:25], vcc
	s_xor_b64 s[24:25], exec, s[24:25]
	s_cbranch_execnz .LBB264_296
; %bb.170:
	s_andn2_saveexec_b64 s[24:25], s[24:25]
	s_cbranch_execnz .LBB264_297
.LBB264_171:
	s_or_b64 exec, exec, s[24:25]
	v_mov_b32_e32 v4, 0
	s_and_saveexec_b64 s[24:25], s[22:23]
.LBB264_172:
	v_mov_b32_e32 v4, v5
.LBB264_173:
	s_or_b64 exec, exec, s[24:25]
.LBB264_174:
	s_or_b64 exec, exec, s[20:21]
	s_or_b64 s[22:23], s[18:19], exec
	s_xor_b64 s[20:21], exec, -1
.LBB264_175:
	s_or_b64 exec, exec, s[14:15]
	s_andn2_b64 s[14:15], s[18:19], exec
	s_and_b64 s[18:19], s[22:23], exec
	s_or_b64 s[18:19], s[14:15], s[18:19]
	s_andn2_b64 s[14:15], s[16:17], exec
	s_and_b64 s[16:17], s[20:21], exec
	s_or_b64 s[16:17], s[14:15], s[16:17]
.LBB264_176:
	s_or_b64 exec, exec, s[12:13]
	s_and_b64 s[14:15], s[18:19], exec
	s_and_b64 s[12:13], s[16:17], exec
                                        ; implicit-def: $vgpr5
.LBB264_177:
	s_andn2_saveexec_b64 s[10:11], s[10:11]
	s_cbranch_execz .LBB264_209
; %bb.178:
	v_mov_b32_e32 v4, 26
	v_cmp_gt_i16_sdwa s[16:17], v5, v4 src0_sel:BYTE_0 src1_sel:DWORD
                                        ; implicit-def: $vgpr4
	s_and_saveexec_b64 s[18:19], s[16:17]
	s_xor_b64 s[16:17], exec, s[18:19]
	s_cbranch_execz .LBB264_196
; %bb.179:
	v_mov_b32_e32 v4, 27
	v_cmp_gt_i16_sdwa s[18:19], v5, v4 src0_sel:BYTE_0 src1_sel:DWORD
                                        ; implicit-def: $vgpr4
	s_and_saveexec_b64 s[20:21], s[18:19]
	s_xor_b64 s[18:19], exec, s[20:21]
	s_cbranch_execz .LBB264_187
; %bb.180:
	flat_load_dword v4, v[2:3]
	s_mov_b32 s20, 0x47800000
	s_waitcnt vmcnt(0) lgkmcnt(0)
	v_cvt_f32_u32_e32 v6, v4
	v_mov_b32_e32 v4, 0x80
	v_cmp_gt_u32_e32 vcc, s20, v6
	s_and_saveexec_b64 s[20:21], vcc
	s_cbranch_execz .LBB264_186
; %bb.181:
	s_mov_b32 s22, 0x37ffffff
	v_cmp_lt_u32_e32 vcc, s22, v6
	s_mov_b64 s[22:23], 0
                                        ; implicit-def: $vgpr5
	s_and_saveexec_b64 s[24:25], vcc
	s_xor_b64 s[24:25], exec, s[24:25]
	s_cbranch_execnz .LBB264_298
; %bb.182:
	s_andn2_saveexec_b64 s[24:25], s[24:25]
	s_cbranch_execnz .LBB264_299
.LBB264_183:
	s_or_b64 exec, exec, s[24:25]
	v_mov_b32_e32 v4, 0
	s_and_saveexec_b64 s[24:25], s[22:23]
.LBB264_184:
	v_mov_b32_e32 v4, v5
.LBB264_185:
	s_or_b64 exec, exec, s[24:25]
.LBB264_186:
	s_or_b64 exec, exec, s[20:21]
.LBB264_187:
	s_andn2_saveexec_b64 s[18:19], s[18:19]
	s_cbranch_execz .LBB264_195
; %bb.188:
	flat_load_ushort v4, v[2:3]
	s_mov_b32 s20, 0x47800000
	s_waitcnt vmcnt(0) lgkmcnt(0)
	v_cvt_f32_u32_e32 v6, v4
	v_mov_b32_e32 v4, 0x80
	v_cmp_gt_u32_e32 vcc, s20, v6
	s_and_saveexec_b64 s[20:21], vcc
	s_cbranch_execz .LBB264_194
; %bb.189:
	s_mov_b32 s22, 0x37ffffff
	v_cmp_lt_u32_e32 vcc, s22, v6
	s_mov_b64 s[22:23], 0
                                        ; implicit-def: $vgpr5
	s_and_saveexec_b64 s[24:25], vcc
	s_xor_b64 s[24:25], exec, s[24:25]
	s_cbranch_execnz .LBB264_300
; %bb.190:
	s_andn2_saveexec_b64 s[24:25], s[24:25]
	s_cbranch_execnz .LBB264_301
.LBB264_191:
	s_or_b64 exec, exec, s[24:25]
	v_mov_b32_e32 v4, 0
	s_and_saveexec_b64 s[24:25], s[22:23]
.LBB264_192:
	v_mov_b32_e32 v4, v5
.LBB264_193:
	s_or_b64 exec, exec, s[24:25]
.LBB264_194:
	s_or_b64 exec, exec, s[20:21]
.LBB264_195:
	s_or_b64 exec, exec, s[18:19]
.LBB264_196:
	s_andn2_saveexec_b64 s[16:17], s[16:17]
	s_cbranch_execz .LBB264_208
; %bb.197:
	flat_load_ubyte v4, v[2:3]
	s_movk_i32 s18, 0x7f
	s_waitcnt vmcnt(0) lgkmcnt(0)
	v_cmp_lt_i16_e32 vcc, s18, v4
	s_mov_b64 s[18:19], 0
	s_and_saveexec_b64 s[20:21], vcc
	s_xor_b64 s[20:21], exec, s[20:21]
	s_cbranch_execnz .LBB264_266
; %bb.198:
	s_or_saveexec_b64 s[20:21], s[20:21]
	v_mov_b32_e32 v5, 0x7f800001
	s_xor_b64 exec, exec, s[20:21]
	s_cbranch_execnz .LBB264_269
.LBB264_199:
	s_or_b64 exec, exec, s[20:21]
	s_and_saveexec_b64 s[20:21], s[18:19]
	s_cbranch_execz .LBB264_201
.LBB264_200:
	v_lshlrev_b32_e32 v5, 24, v4
	v_and_b32_e32 v4, 0xffff, v4
	v_and_b32_e32 v6, 7, v4
	v_ffbh_u32_e32 v8, v6
	v_min_u32_e32 v8, 32, v8
	v_subrev_u32_e32 v9, 28, v8
	v_bfe_u32 v7, v4, 3, 4
	v_lshlrev_b32_e32 v4, v9, v4
	v_sub_u32_e32 v8, 29, v8
	v_and_b32_e32 v4, 7, v4
	v_cmp_eq_u32_e32 vcc, 0, v7
	v_cndmask_b32_e32 v7, v7, v8, vcc
	v_cndmask_b32_e32 v4, v6, v4, vcc
	v_mov_b32_e32 v6, 0x3b800000
	v_lshlrev_b32_e32 v4, 20, v4
	v_and_b32_e32 v5, 0x80000000, v5
	v_lshl_add_u32 v6, v7, 23, v6
	v_or3_b32 v5, v5, v6, v4
.LBB264_201:
	s_or_b64 exec, exec, s[20:21]
	v_and_b32_e32 v6, 0x7fffffff, v5
	s_mov_b32 s18, 0x47800000
	v_cmp_gt_u32_e32 vcc, s18, v6
	v_mov_b32_e32 v4, 0x80
	s_and_saveexec_b64 s[18:19], vcc
	s_cbranch_execz .LBB264_207
; %bb.202:
	s_mov_b32 s20, 0x37ffffff
	v_cmp_lt_u32_e32 vcc, s20, v6
	s_mov_b64 s[20:21], 0
                                        ; implicit-def: $vgpr6
	s_and_saveexec_b64 s[22:23], vcc
	s_xor_b64 s[22:23], exec, s[22:23]
	s_cbranch_execnz .LBB264_280
; %bb.203:
	s_andn2_saveexec_b64 s[22:23], s[22:23]
	s_cbranch_execnz .LBB264_281
.LBB264_204:
	s_or_b64 exec, exec, s[22:23]
	v_mov_b32_e32 v4, 0
	s_and_saveexec_b64 s[22:23], s[20:21]
.LBB264_205:
	v_lshrrev_b32_e32 v4, 24, v5
	s_movk_i32 s20, 0x80
	v_and_or_b32 v4, v4, s20, v6
.LBB264_206:
	s_or_b64 exec, exec, s[22:23]
.LBB264_207:
	s_or_b64 exec, exec, s[18:19]
.LBB264_208:
	s_or_b64 exec, exec, s[16:17]
	s_or_b64 s[14:15], s[14:15], exec
.LBB264_209:
	s_or_b64 exec, exec, s[10:11]
	s_and_b64 s[10:11], s[14:15], exec
	s_and_b64 s[12:13], s[12:13], exec
                                        ; implicit-def: $vgpr5
	s_andn2_saveexec_b64 s[8:9], s[8:9]
	s_cbranch_execz .LBB264_6
.LBB264_210:
	v_mov_b32_e32 v4, 22
	v_cmp_gt_i16_sdwa s[6:7], v5, v4 src0_sel:BYTE_0 src1_sel:DWORD
	s_mov_b64 s[14:15], s[10:11]
                                        ; implicit-def: $vgpr4
	s_and_saveexec_b64 s[16:17], s[6:7]
	s_xor_b64 s[6:7], exec, s[16:17]
	s_cbranch_execz .LBB264_232
; %bb.211:
	v_mov_b32_e32 v4, 23
	v_cmp_gt_i16_sdwa s[14:15], v5, v4 src0_sel:BYTE_0 src1_sel:DWORD
                                        ; implicit-def: $vgpr4
	s_and_saveexec_b64 s[16:17], s[14:15]
	s_xor_b64 s[14:15], exec, s[16:17]
	s_cbranch_execz .LBB264_223
; %bb.212:
	v_mov_b32_e32 v4, 24
	v_cmp_gt_i16_sdwa s[16:17], v5, v4 src0_sel:BYTE_0 src1_sel:DWORD
                                        ; implicit-def: $vgpr4
	s_and_saveexec_b64 s[18:19], s[16:17]
	s_xor_b64 s[16:17], exec, s[18:19]
	s_cbranch_execz .LBB264_214
; %bb.213:
	flat_load_ubyte v4, v[2:3]
.LBB264_214:
	s_andn2_saveexec_b64 s[16:17], s[16:17]
	s_cbranch_execz .LBB264_222
; %bb.215:
	s_waitcnt vmcnt(0) lgkmcnt(0)
	flat_load_ubyte v4, v[2:3]
	s_mov_b32 s18, 0x7f800000
	s_brev_b32 s19, 1
	s_mov_b32 s20, 0x47800000
	s_waitcnt vmcnt(0) lgkmcnt(0)
	v_lshlrev_b32_e32 v4, 24, v4
	v_and_b32_e32 v5, 0x7f000000, v4
	v_ffbh_u32_e32 v6, v5
	v_min_u32_e32 v6, 32, v6
	v_sub_u32_e64 v6, v6, 4 clamp
	v_lshlrev_b32_e32 v8, v6, v5
	v_lshlrev_b32_e32 v6, 23, v6
	v_lshrrev_b32_e32 v8, 4, v8
	v_add_u32_e32 v7, 0x1000000, v5
	v_sub_u32_e32 v6, v8, v6
	v_ashrrev_i32_e32 v7, 8, v7
	v_add_u32_e32 v6, 0x3c000000, v6
	v_and_or_b32 v6, v7, s18, v6
	v_cmp_ne_u32_e32 vcc, 0, v5
	v_cndmask_b32_e32 v7, 0, v6, vcc
	v_and_or_b32 v5, v4, s19, v7
	v_and_b32_e32 v6, 0x7fffffff, v5
	v_cmp_gt_u32_e32 vcc, s20, v6
	v_mov_b32_e32 v4, 0x80
	s_and_saveexec_b64 s[18:19], vcc
	s_cbranch_execz .LBB264_221
; %bb.216:
	s_mov_b32 s20, 0x37ffffff
	v_cmp_lt_u32_e32 vcc, s20, v6
	s_mov_b64 s[20:21], 0
                                        ; implicit-def: $vgpr6
	s_and_saveexec_b64 s[22:23], vcc
	s_xor_b64 s[22:23], exec, s[22:23]
	s_cbranch_execnz .LBB264_302
; %bb.217:
	s_andn2_saveexec_b64 s[22:23], s[22:23]
	s_cbranch_execnz .LBB264_303
.LBB264_218:
	s_or_b64 exec, exec, s[22:23]
	v_mov_b32_e32 v4, 0
	s_and_saveexec_b64 s[22:23], s[20:21]
.LBB264_219:
	v_lshrrev_b32_e32 v4, 24, v5
	s_movk_i32 s20, 0x80
	v_and_or_b32 v4, v4, s20, v6
.LBB264_220:
	s_or_b64 exec, exec, s[22:23]
.LBB264_221:
	s_or_b64 exec, exec, s[18:19]
.LBB264_222:
	s_or_b64 exec, exec, s[16:17]
.LBB264_223:
	s_andn2_saveexec_b64 s[14:15], s[14:15]
	s_cbranch_execz .LBB264_231
; %bb.224:
	s_waitcnt vmcnt(0) lgkmcnt(0)
	flat_load_ubyte v4, v[2:3]
	s_movk_i32 s16, 0x7f00
	s_brev_b32 s17, 16
	s_brev_b32 s18, 1
	s_mov_b32 s19, 0x47800000
	s_waitcnt vmcnt(0) lgkmcnt(0)
	v_lshlrev_b16_e32 v5, 8, v4
	v_lshlrev_b32_e32 v4, 25, v4
	v_lshrrev_b32_e32 v6, 4, v4
	v_and_or_b32 v7, v5, s16, 0.5
	v_or_b32_e32 v6, 0x70000000, v6
	v_add_f32_e32 v7, -0.5, v7
	v_mul_f32_e32 v6, 0x7800000, v6
	v_cmp_gt_u32_e32 vcc, s17, v4
	v_bfe_i32 v5, v5, 0, 16
	v_cndmask_b32_e32 v7, v6, v7, vcc
	v_and_or_b32 v5, v5, s18, v7
	v_and_b32_e32 v6, 0x7fffffff, v5
	v_cmp_gt_u32_e32 vcc, s19, v6
	v_mov_b32_e32 v4, 0x80
	s_and_saveexec_b64 s[16:17], vcc
	s_cbranch_execz .LBB264_230
; %bb.225:
	s_mov_b32 s18, 0x37ffffff
	v_cmp_lt_u32_e32 vcc, s18, v6
	s_mov_b64 s[18:19], 0
                                        ; implicit-def: $vgpr6
	s_and_saveexec_b64 s[20:21], vcc
	s_xor_b64 s[20:21], exec, s[20:21]
	s_cbranch_execnz .LBB264_282
; %bb.226:
	s_andn2_saveexec_b64 s[20:21], s[20:21]
	s_cbranch_execnz .LBB264_283
.LBB264_227:
	s_or_b64 exec, exec, s[20:21]
	v_mov_b32_e32 v4, 0
	s_and_saveexec_b64 s[20:21], s[18:19]
.LBB264_228:
	v_lshrrev_b32_e32 v4, 24, v5
	s_movk_i32 s18, 0x80
	v_and_or_b32 v4, v4, s18, v6
.LBB264_229:
	s_or_b64 exec, exec, s[20:21]
.LBB264_230:
	s_or_b64 exec, exec, s[16:17]
.LBB264_231:
	s_or_b64 exec, exec, s[14:15]
	s_or_b64 s[14:15], s[10:11], exec
                                        ; implicit-def: $vgpr5
.LBB264_232:
	s_or_saveexec_b64 s[6:7], s[6:7]
	s_mov_b64 s[16:17], 0
	s_mov_b64 s[18:19], s[12:13]
	s_xor_b64 exec, exec, s[6:7]
	s_cbranch_execz .LBB264_246
; %bb.233:
	s_waitcnt vmcnt(0) lgkmcnt(0)
	v_mov_b32_e32 v4, 14
	v_cmp_gt_i16_sdwa s[16:17], v5, v4 src0_sel:BYTE_0 src1_sel:DWORD
	s_mov_b64 s[18:19], s[12:13]
	s_mov_b64 s[20:21], s[14:15]
                                        ; implicit-def: $vgpr4
	s_and_saveexec_b64 s[22:23], s[16:17]
	s_xor_b64 s[16:17], exec, s[22:23]
	s_cbranch_execz .LBB264_243
; %bb.234:
	v_mov_b32_e32 v4, 15
	v_cmp_eq_u16_sdwa s[24:25], v5, v4 src0_sel:BYTE_0 src1_sel:DWORD
	s_mov_b64 s[22:23], -1
	s_mov_b64 s[20:21], s[14:15]
                                        ; implicit-def: $vgpr4
	s_and_saveexec_b64 s[18:19], s[24:25]
	s_cbranch_execz .LBB264_242
; %bb.235:
	flat_load_ushort v5, v[2:3]
	s_mov_b32 s20, 0x47800000
	v_mov_b32_e32 v4, 0x80
	s_waitcnt vmcnt(0) lgkmcnt(0)
	v_lshlrev_b32_e32 v7, 16, v5
	v_and_b32_e32 v6, 0x7fffffff, v7
	v_cmp_gt_u32_e32 vcc, s20, v6
	s_and_saveexec_b64 s[20:21], vcc
	s_cbranch_execz .LBB264_241
; %bb.236:
	s_mov_b32 s22, 0x37ffffff
	v_cmp_lt_u32_e32 vcc, s22, v6
	s_mov_b64 s[22:23], 0
                                        ; implicit-def: $vgpr6
	s_and_saveexec_b64 s[24:25], vcc
	s_xor_b64 s[24:25], exec, s[24:25]
	s_cbranch_execnz .LBB264_304
; %bb.237:
	s_andn2_saveexec_b64 s[24:25], s[24:25]
	s_cbranch_execnz .LBB264_305
.LBB264_238:
	s_or_b64 exec, exec, s[24:25]
	v_mov_b32_e32 v4, 0
	s_and_saveexec_b64 s[24:25], s[22:23]
.LBB264_239:
	v_lshrrev_b32_e32 v4, 8, v5
	s_movk_i32 s22, 0x80
	v_and_or_b32 v4, v4, s22, v6
.LBB264_240:
	s_or_b64 exec, exec, s[24:25]
.LBB264_241:
	s_or_b64 exec, exec, s[20:21]
	s_or_b64 s[20:21], s[14:15], exec
	s_xor_b64 s[22:23], exec, -1
.LBB264_242:
	s_or_b64 exec, exec, s[18:19]
	s_andn2_b64 s[18:19], s[14:15], exec
	s_and_b64 s[20:21], s[20:21], exec
	s_or_b64 s[20:21], s[18:19], s[20:21]
	s_andn2_b64 s[18:19], s[12:13], exec
	s_and_b64 s[22:23], s[22:23], exec
	s_or_b64 s[18:19], s[18:19], s[22:23]
                                        ; implicit-def: $vgpr5
.LBB264_243:
	s_or_saveexec_b64 s[16:17], s[16:17]
	s_mov_b64 s[22:23], 0
	s_xor_b64 exec, exec, s[16:17]
; %bb.244:
	v_mov_b32_e32 v6, 11
	v_cmp_ne_u16_sdwa s[24:25], v5, v6 src0_sel:BYTE_0 src1_sel:DWORD
	s_andn2_b64 s[18:19], s[18:19], exec
	s_and_b64 s[24:25], s[24:25], exec
	s_mov_b64 s[22:23], exec
	s_or_b64 s[18:19], s[18:19], s[24:25]
; %bb.245:
	s_or_b64 exec, exec, s[16:17]
	s_andn2_b64 s[14:15], s[14:15], exec
	s_and_b64 s[16:17], s[20:21], exec
	s_andn2_b64 s[20:21], s[12:13], exec
	s_and_b64 s[18:19], s[18:19], exec
	s_or_b64 s[14:15], s[14:15], s[16:17]
	s_and_b64 s[16:17], s[22:23], exec
	s_or_b64 s[18:19], s[20:21], s[18:19]
.LBB264_246:
	s_or_b64 exec, exec, s[6:7]
	s_andn2_b64 s[6:7], s[10:11], exec
	s_and_b64 s[10:11], s[14:15], exec
	s_andn2_b64 s[12:13], s[12:13], exec
	s_and_b64 s[14:15], s[18:19], exec
	s_or_b64 s[10:11], s[6:7], s[10:11]
	s_and_b64 s[6:7], s[16:17], exec
	s_or_b64 s[12:13], s[12:13], s[14:15]
	s_or_b64 exec, exec, s[8:9]
	s_and_saveexec_b64 s[8:9], s[12:13]
	s_cbranch_execz .LBB264_7
.LBB264_247:
	s_trap 2
	; divergent unreachable
	s_andn2_b64 s[6:7], s[6:7], exec
	s_or_b64 exec, exec, s[8:9]
	s_and_saveexec_b64 s[8:9], s[6:7]
	s_xor_b64 s[6:7], exec, s[8:9]
	s_cbranch_execnz .LBB264_8
	s_branch .LBB264_15
.LBB264_248:
	s_movk_i32 s8, 0x80
	v_cmp_eq_u16_sdwa s[14:15], v1, s8 src0_sel:BYTE_0 src1_sel:DWORD
	s_mov_b64 s[8:9], -1
	s_and_saveexec_b64 s[12:13], s[14:15]
; %bb.249:
	s_xor_b64 s[8:9], exec, -1
; %bb.250:
	s_or_b64 exec, exec, s[12:13]
	s_and_b64 s[8:9], s[8:9], exec
	s_or_saveexec_b64 s[10:11], s[10:11]
	v_mov_b32_e32 v0, 0x7f800001
	s_xor_b64 exec, exec, s[10:11]
	s_cbranch_execz .LBB264_126
.LBB264_251:
	v_mov_b32_e32 v0, 0
	v_cmp_ne_u16_sdwa s[12:13], v1, v0 src0_sel:BYTE_0 src1_sel:DWORD
	s_andn2_b64 s[8:9], s[8:9], exec
	s_and_b64 s[12:13], s[12:13], exec
	s_or_b64 s[8:9], s[8:9], s[12:13]
	s_or_b64 exec, exec, s[10:11]
	s_and_saveexec_b64 s[10:11], s[8:9]
	s_cbranch_execnz .LBB264_127
	s_branch .LBB264_128
.LBB264_252:
	s_movk_i32 s8, 0x80
	v_cmp_eq_u16_sdwa s[14:15], v4, s8 src0_sel:BYTE_0 src1_sel:DWORD
	s_mov_b64 s[8:9], -1
	s_and_saveexec_b64 s[12:13], s[14:15]
; %bb.253:
	s_xor_b64 s[8:9], exec, -1
; %bb.254:
	s_or_b64 exec, exec, s[12:13]
	s_and_b64 s[8:9], s[8:9], exec
	s_or_saveexec_b64 s[10:11], s[10:11]
	v_mov_b32_e32 v1, 0x7f800001
	s_xor_b64 exec, exec, s[10:11]
	s_cbranch_execz .LBB264_130
.LBB264_255:
	v_mov_b32_e32 v1, 0
	v_cmp_ne_u16_sdwa s[12:13], v4, v1 src0_sel:BYTE_0 src1_sel:DWORD
	s_andn2_b64 s[8:9], s[8:9], exec
	s_and_b64 s[12:13], s[12:13], exec
	s_or_b64 s[8:9], s[8:9], s[12:13]
	s_or_b64 exec, exec, s[10:11]
	s_and_saveexec_b64 s[10:11], s[8:9]
	s_cbranch_execnz .LBB264_131
	s_branch .LBB264_132
.LBB264_256:
	s_movk_i32 s6, 0x80
	v_cmp_eq_u16_sdwa s[14:15], v1, s6 src0_sel:BYTE_0 src1_sel:DWORD
	s_mov_b64 s[6:7], -1
	s_and_saveexec_b64 s[12:13], s[14:15]
; %bb.257:
	s_xor_b64 s[6:7], exec, -1
; %bb.258:
	s_or_b64 exec, exec, s[12:13]
	s_and_b64 s[6:7], s[6:7], exec
	s_or_saveexec_b64 s[10:11], s[10:11]
	v_mov_b32_e32 v0, 0x7f800001
	s_xor_b64 exec, exec, s[10:11]
	s_cbranch_execz .LBB264_136
.LBB264_259:
	v_mov_b32_e32 v0, 0
	v_cmp_ne_u16_sdwa s[12:13], v1, v0 src0_sel:BYTE_0 src1_sel:DWORD
	s_andn2_b64 s[6:7], s[6:7], exec
	s_and_b64 s[12:13], s[12:13], exec
	s_or_b64 s[6:7], s[6:7], s[12:13]
	s_or_b64 exec, exec, s[10:11]
	s_and_saveexec_b64 s[10:11], s[6:7]
	s_cbranch_execnz .LBB264_137
	s_branch .LBB264_138
.LBB264_260:
	s_movk_i32 s6, 0x80
	v_cmp_eq_u16_sdwa s[14:15], v4, s6 src0_sel:BYTE_0 src1_sel:DWORD
	s_mov_b64 s[6:7], -1
	s_and_saveexec_b64 s[12:13], s[14:15]
; %bb.261:
	s_xor_b64 s[6:7], exec, -1
; %bb.262:
	s_or_b64 exec, exec, s[12:13]
	s_and_b64 s[6:7], s[6:7], exec
	s_or_saveexec_b64 s[10:11], s[10:11]
	v_mov_b32_e32 v1, 0x7f800001
	s_xor_b64 exec, exec, s[10:11]
	s_cbranch_execz .LBB264_140
.LBB264_263:
	v_mov_b32_e32 v1, 0
	v_cmp_ne_u16_sdwa s[12:13], v4, v1 src0_sel:BYTE_0 src1_sel:DWORD
	s_andn2_b64 s[6:7], s[6:7], exec
	s_and_b64 s[12:13], s[12:13], exec
	s_or_b64 s[6:7], s[6:7], s[12:13]
	s_or_b64 exec, exec, s[10:11]
	s_and_saveexec_b64 s[10:11], s[6:7]
	s_cbranch_execnz .LBB264_141
	s_branch .LBB264_142
.LBB264_264:
	v_bfe_u32 v2, v3, 21, 1
	s_mov_b32 s16, 0x88fffff
	v_add3_u32 v2, v3, v2, s16
	s_mov_b64 s[12:13], exec
	v_lshrrev_b32_e32 v2, 21, v2
                                        ; implicit-def: $vgpr3
	s_andn2_saveexec_b64 s[14:15], s[14:15]
	s_cbranch_execz .LBB264_11
.LBB264_265:
	v_add_f32_e32 v2, 0x42800000, v3
	v_and_b32_e32 v2, 0xff, v2
	v_cmp_ne_u32_e32 vcc, 0, v2
	s_andn2_b64 s[12:13], s[12:13], exec
	s_and_b64 s[16:17], vcc, exec
	s_or_b64 s[12:13], s[12:13], s[16:17]
	s_or_b64 exec, exec, s[14:15]
	v_mov_b32_e32 v4, 0
	s_and_saveexec_b64 s[14:15], s[12:13]
	s_cbranch_execnz .LBB264_12
	s_branch .LBB264_13
.LBB264_266:
	s_movk_i32 s18, 0x80
	v_cmp_eq_u16_e32 vcc, s18, v4
	s_mov_b64 s[18:19], -1
	s_and_saveexec_b64 s[22:23], vcc
; %bb.267:
	s_xor_b64 s[18:19], exec, -1
; %bb.268:
	s_or_b64 exec, exec, s[22:23]
	s_and_b64 s[18:19], s[18:19], exec
	s_or_saveexec_b64 s[20:21], s[20:21]
	v_mov_b32_e32 v5, 0x7f800001
	s_xor_b64 exec, exec, s[20:21]
	s_cbranch_execz .LBB264_199
.LBB264_269:
	v_cmp_ne_u16_e32 vcc, 0, v4
	s_andn2_b64 s[18:19], s[18:19], exec
	s_and_b64 s[22:23], vcc, exec
	v_mov_b32_e32 v5, 0
	s_or_b64 s[18:19], s[18:19], s[22:23]
	s_or_b64 exec, exec, s[20:21]
	s_and_saveexec_b64 s[20:21], s[18:19]
	s_cbranch_execnz .LBB264_200
	s_branch .LBB264_201
.LBB264_270:
	v_bfe_u32 v3, v2, 21, 1
	s_mov_b32 s20, 0x88fffff
	v_add3_u32 v3, v2, v3, s20
	s_mov_b64 s[16:17], exec
	v_lshrrev_b32_e32 v3, 21, v3
	s_andn2_saveexec_b64 s[18:19], s[18:19]
	s_cbranch_execz .LBB264_40
.LBB264_271:
	s_mov_b32 s20, 0x42800000
	v_add_f32_e64 v3, |v2|, s20
	v_and_b32_e32 v3, 0xff, v3
	v_cmp_ne_u32_e32 vcc, 0, v3
	s_andn2_b64 s[16:17], s[16:17], exec
	s_and_b64 s[20:21], vcc, exec
	s_or_b64 s[16:17], s[16:17], s[20:21]
	s_or_b64 exec, exec, s[18:19]
	v_mov_b32_e32 v4, 0
	s_and_saveexec_b64 s[18:19], s[16:17]
	s_cbranch_execnz .LBB264_41
	s_branch .LBB264_42
.LBB264_272:
	v_bfe_u32 v3, v2, 21, 1
	s_mov_b32 s20, 0x88fffff
	v_add3_u32 v3, v2, v3, s20
	s_mov_b64 s[16:17], exec
	v_lshrrev_b32_e32 v3, 21, v3
	s_andn2_saveexec_b64 s[18:19], s[18:19]
	s_cbranch_execz .LBB264_68
.LBB264_273:
	s_mov_b32 s20, 0x42800000
	v_add_f32_e64 v3, |v2|, s20
	v_and_b32_e32 v3, 0xff, v3
	v_cmp_ne_u32_e32 vcc, 0, v3
	s_andn2_b64 s[16:17], s[16:17], exec
	s_and_b64 s[20:21], vcc, exec
	s_or_b64 s[16:17], s[16:17], s[20:21]
	s_or_b64 exec, exec, s[18:19]
	v_mov_b32_e32 v4, 0
	s_and_saveexec_b64 s[18:19], s[16:17]
	s_cbranch_execnz .LBB264_69
	s_branch .LBB264_70
.LBB264_274:
	v_bfe_u32 v3, v2, 21, 1
	s_mov_b32 s20, 0x88fffff
	v_add3_u32 v3, v2, v3, s20
	s_mov_b64 s[16:17], exec
	v_lshrrev_b32_e32 v3, 21, v3
	s_andn2_saveexec_b64 s[18:19], s[18:19]
	s_cbranch_execz .LBB264_98
.LBB264_275:
	s_mov_b32 s20, 0x42800000
	v_add_f32_e64 v3, |v2|, s20
	v_and_b32_e32 v3, 0xff, v3
	v_cmp_ne_u32_e32 vcc, 0, v3
	s_andn2_b64 s[16:17], s[16:17], exec
	s_and_b64 s[20:21], vcc, exec
	s_or_b64 s[16:17], s[16:17], s[20:21]
	s_or_b64 exec, exec, s[18:19]
	v_mov_b32_e32 v4, 0
	s_and_saveexec_b64 s[18:19], s[16:17]
	s_cbranch_execnz .LBB264_99
	s_branch .LBB264_100
.LBB264_276:
	v_bfe_u32 v3, v2, 21, 1
	s_mov_b32 s20, 0x88fffff
	v_add3_u32 v3, v2, v3, s20
	s_mov_b64 s[16:17], exec
	v_lshrrev_b32_e32 v3, 21, v3
	s_andn2_saveexec_b64 s[18:19], s[18:19]
	s_cbranch_execz .LBB264_108
.LBB264_277:
	s_mov_b32 s20, 0x42800000
	v_add_f32_e64 v3, |v2|, s20
	v_and_b32_e32 v3, 0xff, v3
	v_cmp_ne_u32_e32 vcc, 0, v3
	s_andn2_b64 s[16:17], s[16:17], exec
	s_and_b64 s[20:21], vcc, exec
	s_or_b64 s[16:17], s[16:17], s[20:21]
	s_or_b64 exec, exec, s[18:19]
	v_mov_b32_e32 v4, 0
	s_and_saveexec_b64 s[18:19], s[16:17]
	s_cbranch_execnz .LBB264_109
	s_branch .LBB264_110
.LBB264_278:
	v_bfe_u32 v2, v3, 21, 1
	s_mov_b32 s20, 0x88fffff
	v_add3_u32 v2, v3, v2, s20
	s_mov_b64 s[16:17], exec
	v_lshrrev_b32_e32 v2, 21, v2
                                        ; implicit-def: $vgpr3
	s_andn2_saveexec_b64 s[18:19], s[18:19]
	s_cbranch_execz .LBB264_116
.LBB264_279:
	v_add_f32_e32 v2, 0x42800000, v3
	v_and_b32_e32 v2, 0xff, v2
	v_cmp_ne_u32_e32 vcc, 0, v2
	s_andn2_b64 s[16:17], s[16:17], exec
	s_and_b64 s[20:21], vcc, exec
	s_or_b64 s[16:17], s[16:17], s[20:21]
	s_or_b64 exec, exec, s[18:19]
	v_mov_b32_e32 v4, 0
	s_and_saveexec_b64 s[18:19], s[16:17]
	s_cbranch_execnz .LBB264_117
	s_branch .LBB264_118
.LBB264_280:
	v_bfe_u32 v4, v5, 21, 1
	s_mov_b32 s24, 0x88fffff
	v_add3_u32 v4, v5, v4, s24
	s_mov_b64 s[20:21], exec
	v_lshrrev_b32_e32 v6, 21, v4
	s_andn2_saveexec_b64 s[22:23], s[22:23]
	s_cbranch_execz .LBB264_204
.LBB264_281:
	s_mov_b32 s24, 0x42800000
	v_add_f32_e64 v4, |v5|, s24
	v_and_b32_e32 v6, 0xff, v4
	v_cmp_ne_u32_e32 vcc, 0, v6
	s_andn2_b64 s[20:21], s[20:21], exec
	s_and_b64 s[24:25], vcc, exec
	s_or_b64 s[20:21], s[20:21], s[24:25]
	s_or_b64 exec, exec, s[22:23]
	v_mov_b32_e32 v4, 0
	s_and_saveexec_b64 s[22:23], s[20:21]
	s_cbranch_execnz .LBB264_205
	s_branch .LBB264_206
.LBB264_282:
	v_bfe_u32 v4, v7, 21, 1
	s_mov_b32 s22, 0x88fffff
	v_add3_u32 v4, v5, v4, s22
	s_mov_b64 s[18:19], exec
	v_lshrrev_b32_e32 v6, 21, v4
	s_andn2_saveexec_b64 s[20:21], s[20:21]
	s_cbranch_execz .LBB264_227
.LBB264_283:
	s_mov_b32 s22, 0x42800000
	v_add_f32_e64 v4, |v5|, s22
	v_and_b32_e32 v6, 0xff, v4
	v_cmp_ne_u32_e32 vcc, 0, v6
	s_andn2_b64 s[18:19], s[18:19], exec
	s_and_b64 s[22:23], vcc, exec
	s_or_b64 s[18:19], s[18:19], s[22:23]
	s_or_b64 exec, exec, s[20:21]
	v_mov_b32_e32 v4, 0
	s_and_saveexec_b64 s[20:21], s[18:19]
	s_cbranch_execnz .LBB264_228
	s_branch .LBB264_229
.LBB264_284:
	v_bfe_u32 v3, v2, 21, 1
	s_mov_b32 s22, 0x88fffff
	v_add3_u32 v3, v2, v3, s22
	s_mov_b64 s[18:19], exec
	v_lshrrev_b32_e32 v3, 21, v3
	s_andn2_saveexec_b64 s[20:21], s[20:21]
	s_cbranch_execz .LBB264_23
.LBB264_285:
	s_mov_b32 s22, 0x42800000
	v_add_f32_e64 v3, |v2|, s22
	v_and_b32_e32 v3, 0xff, v3
	v_cmp_ne_u32_e32 vcc, 0, v3
	s_andn2_b64 s[18:19], s[18:19], exec
	s_and_b64 s[22:23], vcc, exec
	s_or_b64 s[18:19], s[18:19], s[22:23]
	s_or_b64 exec, exec, s[20:21]
	v_mov_b32_e32 v4, 0
	s_and_saveexec_b64 s[20:21], s[18:19]
	s_cbranch_execnz .LBB264_24
	s_branch .LBB264_25
.LBB264_286:
	v_bfe_u32 v3, v2, 21, 1
	s_mov_b32 s22, 0x88fffff
	v_add3_u32 v3, v2, v3, s22
	s_mov_b64 s[18:19], exec
	v_lshrrev_b32_e32 v3, 21, v3
	s_andn2_saveexec_b64 s[20:21], s[20:21]
	s_cbranch_execz .LBB264_31
.LBB264_287:
	s_mov_b32 s22, 0x42800000
	v_add_f32_e64 v3, |v2|, s22
	v_and_b32_e32 v3, 0xff, v3
	v_cmp_ne_u32_e32 vcc, 0, v3
	s_andn2_b64 s[18:19], s[18:19], exec
	s_and_b64 s[22:23], vcc, exec
	s_or_b64 s[18:19], s[18:19], s[22:23]
	s_or_b64 exec, exec, s[20:21]
	v_mov_b32_e32 v4, 0
	s_and_saveexec_b64 s[20:21], s[18:19]
	s_cbranch_execnz .LBB264_32
	s_branch .LBB264_33
.LBB264_288:
	v_bfe_u32 v3, v2, 21, 1
	s_mov_b32 s22, 0x88fffff
	v_add3_u32 v3, v2, v3, s22
	s_mov_b64 s[18:19], exec
	v_lshrrev_b32_e32 v3, 21, v3
	s_andn2_saveexec_b64 s[20:21], s[20:21]
	s_cbranch_execz .LBB264_51
.LBB264_289:
	s_mov_b32 s22, 0x42800000
	v_add_f32_e64 v3, |v2|, s22
	v_and_b32_e32 v3, 0xff, v3
	v_cmp_ne_u32_e32 vcc, 0, v3
	s_andn2_b64 s[18:19], s[18:19], exec
	s_and_b64 s[22:23], vcc, exec
	s_or_b64 s[18:19], s[18:19], s[22:23]
	s_or_b64 exec, exec, s[20:21]
	v_mov_b32_e32 v4, 0
	s_and_saveexec_b64 s[20:21], s[18:19]
	s_cbranch_execnz .LBB264_52
	s_branch .LBB264_53
.LBB264_290:
	v_bfe_u32 v3, v2, 21, 1
	s_mov_b32 s22, 0x88fffff
	v_add3_u32 v3, v2, v3, s22
	s_mov_b64 s[18:19], exec
	v_lshrrev_b32_e32 v3, 21, v3
	s_andn2_saveexec_b64 s[20:21], s[20:21]
	s_cbranch_execz .LBB264_59
.LBB264_291:
	s_mov_b32 s22, 0x42800000
	v_add_f32_e64 v3, |v2|, s22
	v_and_b32_e32 v3, 0xff, v3
	v_cmp_ne_u32_e32 vcc, 0, v3
	s_andn2_b64 s[18:19], s[18:19], exec
	s_and_b64 s[22:23], vcc, exec
	s_or_b64 s[18:19], s[18:19], s[22:23]
	s_or_b64 exec, exec, s[20:21]
	v_mov_b32_e32 v4, 0
	s_and_saveexec_b64 s[20:21], s[18:19]
	s_cbranch_execnz .LBB264_60
	s_branch .LBB264_61
.LBB264_292:
	v_bfe_u32 v3, v2, 21, 1
	s_mov_b32 s22, 0x88fffff
	v_add3_u32 v3, v2, v3, s22
	s_mov_b64 s[18:19], exec
	v_lshrrev_b32_e32 v3, 21, v3
	s_andn2_saveexec_b64 s[20:21], s[20:21]
	s_cbranch_execz .LBB264_81
.LBB264_293:
	s_mov_b32 s22, 0x42800000
	v_add_f32_e64 v3, |v2|, s22
	v_and_b32_e32 v3, 0xff, v3
	v_cmp_ne_u32_e32 vcc, 0, v3
	s_andn2_b64 s[18:19], s[18:19], exec
	s_and_b64 s[22:23], vcc, exec
	s_or_b64 s[18:19], s[18:19], s[22:23]
	s_or_b64 exec, exec, s[20:21]
	v_mov_b32_e32 v4, 0
	s_and_saveexec_b64 s[20:21], s[18:19]
	s_cbranch_execnz .LBB264_82
	s_branch .LBB264_83
.LBB264_294:
	v_bfe_u32 v3, v2, 21, 1
	s_mov_b32 s22, 0x88fffff
	v_add3_u32 v3, v2, v3, s22
	s_mov_b64 s[18:19], exec
	v_lshrrev_b32_e32 v3, 21, v3
	s_andn2_saveexec_b64 s[20:21], s[20:21]
	s_cbranch_execz .LBB264_89
.LBB264_295:
	s_mov_b32 s22, 0x42800000
	v_add_f32_e64 v3, |v2|, s22
	v_and_b32_e32 v3, 0xff, v3
	v_cmp_ne_u32_e32 vcc, 0, v3
	s_andn2_b64 s[18:19], s[18:19], exec
	s_and_b64 s[22:23], vcc, exec
	s_or_b64 s[18:19], s[18:19], s[22:23]
	s_or_b64 exec, exec, s[20:21]
	v_mov_b32_e32 v4, 0
	s_and_saveexec_b64 s[20:21], s[18:19]
	s_cbranch_execnz .LBB264_90
	s_branch .LBB264_91
.LBB264_296:
	v_bfe_u32 v4, v6, 21, 1
	s_mov_b32 s26, 0x88fffff
	v_add3_u32 v4, v6, v4, s26
	s_mov_b64 s[22:23], exec
	v_lshrrev_b32_e32 v5, 21, v4
                                        ; implicit-def: $vgpr6
	s_andn2_saveexec_b64 s[24:25], s[24:25]
	s_cbranch_execz .LBB264_171
.LBB264_297:
	v_add_f32_e32 v4, 0x42800000, v6
	v_and_b32_e32 v5, 0xff, v4
	v_cmp_ne_u32_e32 vcc, 0, v5
	s_andn2_b64 s[22:23], s[22:23], exec
	s_and_b64 s[26:27], vcc, exec
	s_or_b64 s[22:23], s[22:23], s[26:27]
	s_or_b64 exec, exec, s[24:25]
	v_mov_b32_e32 v4, 0
	s_and_saveexec_b64 s[24:25], s[22:23]
	s_cbranch_execnz .LBB264_172
	s_branch .LBB264_173
.LBB264_298:
	v_bfe_u32 v4, v6, 21, 1
	s_mov_b32 s26, 0x88fffff
	v_add3_u32 v4, v6, v4, s26
	s_mov_b64 s[22:23], exec
	v_lshrrev_b32_e32 v5, 21, v4
                                        ; implicit-def: $vgpr6
	s_andn2_saveexec_b64 s[24:25], s[24:25]
	s_cbranch_execz .LBB264_183
.LBB264_299:
	v_add_f32_e32 v4, 0x42800000, v6
	v_and_b32_e32 v5, 0xff, v4
	v_cmp_ne_u32_e32 vcc, 0, v5
	s_andn2_b64 s[22:23], s[22:23], exec
	s_and_b64 s[26:27], vcc, exec
	s_or_b64 s[22:23], s[22:23], s[26:27]
	s_or_b64 exec, exec, s[24:25]
	v_mov_b32_e32 v4, 0
	s_and_saveexec_b64 s[24:25], s[22:23]
	s_cbranch_execnz .LBB264_184
	s_branch .LBB264_185
.LBB264_300:
	v_bfe_u32 v4, v6, 21, 1
	s_mov_b32 s26, 0x88fffff
	v_add3_u32 v4, v6, v4, s26
	s_mov_b64 s[22:23], exec
	v_lshrrev_b32_e32 v5, 21, v4
                                        ; implicit-def: $vgpr6
	s_andn2_saveexec_b64 s[24:25], s[24:25]
	s_cbranch_execz .LBB264_191
.LBB264_301:
	v_add_f32_e32 v4, 0x42800000, v6
	v_and_b32_e32 v5, 0xff, v4
	v_cmp_ne_u32_e32 vcc, 0, v5
	s_andn2_b64 s[22:23], s[22:23], exec
	s_and_b64 s[26:27], vcc, exec
	s_or_b64 s[22:23], s[22:23], s[26:27]
	s_or_b64 exec, exec, s[24:25]
	v_mov_b32_e32 v4, 0
	s_and_saveexec_b64 s[24:25], s[22:23]
	s_cbranch_execnz .LBB264_192
	s_branch .LBB264_193
.LBB264_302:
	v_bfe_u32 v4, v7, 21, 1
	s_mov_b32 s24, 0x88fffff
	v_add3_u32 v4, v5, v4, s24
	s_mov_b64 s[20:21], exec
	v_lshrrev_b32_e32 v6, 21, v4
	s_andn2_saveexec_b64 s[22:23], s[22:23]
	s_cbranch_execz .LBB264_218
.LBB264_303:
	s_mov_b32 s24, 0x42800000
	v_add_f32_e64 v4, |v5|, s24
	v_and_b32_e32 v6, 0xff, v4
	v_cmp_ne_u32_e32 vcc, 0, v6
	s_andn2_b64 s[20:21], s[20:21], exec
	s_and_b64 s[24:25], vcc, exec
	s_or_b64 s[20:21], s[20:21], s[24:25]
	s_or_b64 exec, exec, s[22:23]
	v_mov_b32_e32 v4, 0
	s_and_saveexec_b64 s[22:23], s[20:21]
	s_cbranch_execnz .LBB264_219
	s_branch .LBB264_220
.LBB264_304:
	v_bfe_u32 v4, v5, 5, 1
	s_mov_b32 s26, 0x88fffff
	v_add3_u32 v4, v7, v4, s26
	s_mov_b64 s[22:23], exec
	v_lshrrev_b32_e32 v6, 21, v4
                                        ; implicit-def: $vgpr7
	s_andn2_saveexec_b64 s[24:25], s[24:25]
	s_cbranch_execz .LBB264_238
.LBB264_305:
	s_mov_b32 s26, 0x42800000
	v_add_f32_e64 v4, |v7|, s26
	v_and_b32_e32 v6, 0xff, v4
	v_cmp_ne_u32_e32 vcc, 0, v6
	s_andn2_b64 s[22:23], s[22:23], exec
	s_and_b64 s[26:27], vcc, exec
	s_or_b64 s[22:23], s[22:23], s[26:27]
	s_or_b64 exec, exec, s[24:25]
	v_mov_b32_e32 v4, 0
	s_and_saveexec_b64 s[24:25], s[22:23]
	s_cbranch_execnz .LBB264_239
	s_branch .LBB264_240
.LBB264_306:
	v_bfe_u32 v4, v5, 21, 1
	s_mov_b32 s24, 0x88fffff
	v_add3_u32 v4, v5, v4, s24
	s_mov_b64 s[20:21], exec
	v_lshrrev_b32_e32 v6, 21, v4
	s_andn2_saveexec_b64 s[22:23], s[22:23]
	s_cbranch_execz .LBB264_150
.LBB264_307:
	s_mov_b32 s24, 0x42800000
	v_add_f32_e64 v4, |v5|, s24
	v_and_b32_e32 v6, 0xff, v4
	v_cmp_ne_u32_e32 vcc, 0, v6
	s_andn2_b64 s[20:21], s[20:21], exec
	s_and_b64 s[24:25], vcc, exec
	s_or_b64 s[20:21], s[20:21], s[24:25]
	s_or_b64 exec, exec, s[22:23]
	v_mov_b32_e32 v4, 0
	s_and_saveexec_b64 s[22:23], s[20:21]
	s_cbranch_execnz .LBB264_151
	s_branch .LBB264_152
.LBB264_308:
	v_bfe_u32 v4, v6, 21, 1
	s_mov_b32 s28, 0x88fffff
	v_add3_u32 v4, v6, v4, s28
	s_mov_b64 s[24:25], exec
	v_lshrrev_b32_e32 v5, 21, v4
                                        ; implicit-def: $vgpr6
	s_andn2_saveexec_b64 s[26:27], s[26:27]
	s_cbranch_execz .LBB264_160
.LBB264_309:
	v_add_f32_e32 v4, 0x42800000, v6
	v_and_b32_e32 v5, 0xff, v4
	v_cmp_ne_u32_e32 vcc, 0, v5
	s_andn2_b64 s[24:25], s[24:25], exec
	s_and_b64 s[28:29], vcc, exec
	s_or_b64 s[24:25], s[24:25], s[28:29]
	s_or_b64 exec, exec, s[26:27]
	v_mov_b32_e32 v4, 0
	s_and_saveexec_b64 s[26:27], s[24:25]
	s_cbranch_execnz .LBB264_161
	s_branch .LBB264_162
.Lfunc_end264:
	.size	_ZN2at6native6invokeINS0_13AUnaryFunctorIN3c1015Float8_e5m2fnuzES4_bNS0_12_GLOBAL__N_116CompareEqFunctorIS4_EEEEj15function_traitsIS8_EEENT1_11result_typeERKT_PrKPcPKT0_PKNS3_10ScalarTypeEi, .Lfunc_end264-_ZN2at6native6invokeINS0_13AUnaryFunctorIN3c1015Float8_e5m2fnuzES4_bNS0_12_GLOBAL__N_116CompareEqFunctorIS4_EEEEj15function_traitsIS8_EEENT1_11result_typeERKT_PrKPcPKT0_PKNS3_10ScalarTypeEi
                                        ; -- End function
	.set .L_ZN2at6native6invokeINS0_13AUnaryFunctorIN3c1015Float8_e5m2fnuzES4_bNS0_12_GLOBAL__N_116CompareEqFunctorIS4_EEEEj15function_traitsIS8_EEENT1_11result_typeERKT_PrKPcPKT0_PKNS3_10ScalarTypeEi.num_vgpr, 10
	.set .L_ZN2at6native6invokeINS0_13AUnaryFunctorIN3c1015Float8_e5m2fnuzES4_bNS0_12_GLOBAL__N_116CompareEqFunctorIS4_EEEEj15function_traitsIS8_EEENT1_11result_typeERKT_PrKPcPKT0_PKNS3_10ScalarTypeEi.num_agpr, 0
	.set .L_ZN2at6native6invokeINS0_13AUnaryFunctorIN3c1015Float8_e5m2fnuzES4_bNS0_12_GLOBAL__N_116CompareEqFunctorIS4_EEEEj15function_traitsIS8_EEENT1_11result_typeERKT_PrKPcPKT0_PKNS3_10ScalarTypeEi.numbered_sgpr, 32
	.set .L_ZN2at6native6invokeINS0_13AUnaryFunctorIN3c1015Float8_e5m2fnuzES4_bNS0_12_GLOBAL__N_116CompareEqFunctorIS4_EEEEj15function_traitsIS8_EEENT1_11result_typeERKT_PrKPcPKT0_PKNS3_10ScalarTypeEi.num_named_barrier, 0
	.set .L_ZN2at6native6invokeINS0_13AUnaryFunctorIN3c1015Float8_e5m2fnuzES4_bNS0_12_GLOBAL__N_116CompareEqFunctorIS4_EEEEj15function_traitsIS8_EEENT1_11result_typeERKT_PrKPcPKT0_PKNS3_10ScalarTypeEi.private_seg_size, 0
	.set .L_ZN2at6native6invokeINS0_13AUnaryFunctorIN3c1015Float8_e5m2fnuzES4_bNS0_12_GLOBAL__N_116CompareEqFunctorIS4_EEEEj15function_traitsIS8_EEENT1_11result_typeERKT_PrKPcPKT0_PKNS3_10ScalarTypeEi.uses_vcc, 1
	.set .L_ZN2at6native6invokeINS0_13AUnaryFunctorIN3c1015Float8_e5m2fnuzES4_bNS0_12_GLOBAL__N_116CompareEqFunctorIS4_EEEEj15function_traitsIS8_EEENT1_11result_typeERKT_PrKPcPKT0_PKNS3_10ScalarTypeEi.uses_flat_scratch, 0
	.set .L_ZN2at6native6invokeINS0_13AUnaryFunctorIN3c1015Float8_e5m2fnuzES4_bNS0_12_GLOBAL__N_116CompareEqFunctorIS4_EEEEj15function_traitsIS8_EEENT1_11result_typeERKT_PrKPcPKT0_PKNS3_10ScalarTypeEi.has_dyn_sized_stack, 0
	.set .L_ZN2at6native6invokeINS0_13AUnaryFunctorIN3c1015Float8_e5m2fnuzES4_bNS0_12_GLOBAL__N_116CompareEqFunctorIS4_EEEEj15function_traitsIS8_EEENT1_11result_typeERKT_PrKPcPKT0_PKNS3_10ScalarTypeEi.has_recursion, 0
	.set .L_ZN2at6native6invokeINS0_13AUnaryFunctorIN3c1015Float8_e5m2fnuzES4_bNS0_12_GLOBAL__N_116CompareEqFunctorIS4_EEEEj15function_traitsIS8_EEENT1_11result_typeERKT_PrKPcPKT0_PKNS3_10ScalarTypeEi.has_indirect_call, 0
	.section	.AMDGPU.csdata,"",@progbits
; Function info:
; codeLenInByte = 7448
; TotalNumSgprs: 36
; NumVgprs: 10
; ScratchSize: 0
; MemoryBound: 0
	.section	.text._ZN2at6native32elementwise_kernel_manual_unrollILi128ELi4EZNS0_15gpu_kernel_implINS0_13AUnaryFunctorIN3c1015Float8_e5m2fnuzES5_bNS0_12_GLOBAL__N_116CompareEqFunctorIS5_EEEEEEvRNS_18TensorIteratorBaseERKT_EUlibE0_EEviT1_,"axG",@progbits,_ZN2at6native32elementwise_kernel_manual_unrollILi128ELi4EZNS0_15gpu_kernel_implINS0_13AUnaryFunctorIN3c1015Float8_e5m2fnuzES5_bNS0_12_GLOBAL__N_116CompareEqFunctorIS5_EEEEEEvRNS_18TensorIteratorBaseERKT_EUlibE0_EEviT1_,comdat
	.globl	_ZN2at6native32elementwise_kernel_manual_unrollILi128ELi4EZNS0_15gpu_kernel_implINS0_13AUnaryFunctorIN3c1015Float8_e5m2fnuzES5_bNS0_12_GLOBAL__N_116CompareEqFunctorIS5_EEEEEEvRNS_18TensorIteratorBaseERKT_EUlibE0_EEviT1_ ; -- Begin function _ZN2at6native32elementwise_kernel_manual_unrollILi128ELi4EZNS0_15gpu_kernel_implINS0_13AUnaryFunctorIN3c1015Float8_e5m2fnuzES5_bNS0_12_GLOBAL__N_116CompareEqFunctorIS5_EEEEEEvRNS_18TensorIteratorBaseERKT_EUlibE0_EEviT1_
	.p2align	8
	.type	_ZN2at6native32elementwise_kernel_manual_unrollILi128ELi4EZNS0_15gpu_kernel_implINS0_13AUnaryFunctorIN3c1015Float8_e5m2fnuzES5_bNS0_12_GLOBAL__N_116CompareEqFunctorIS5_EEEEEEvRNS_18TensorIteratorBaseERKT_EUlibE0_EEviT1_,@function
_ZN2at6native32elementwise_kernel_manual_unrollILi128ELi4EZNS0_15gpu_kernel_implINS0_13AUnaryFunctorIN3c1015Float8_e5m2fnuzES5_bNS0_12_GLOBAL__N_116CompareEqFunctorIS5_EEEEEEvRNS_18TensorIteratorBaseERKT_EUlibE0_EEviT1_: ; @_ZN2at6native32elementwise_kernel_manual_unrollILi128ELi4EZNS0_15gpu_kernel_implINS0_13AUnaryFunctorIN3c1015Float8_e5m2fnuzES5_bNS0_12_GLOBAL__N_116CompareEqFunctorIS5_EEEEEEvRNS_18TensorIteratorBaseERKT_EUlibE0_EEviT1_
; %bb.0:
	s_load_dword s78, s[4:5], 0x0
	s_load_dword s33, s[4:5], 0x8
	s_add_u32 s0, s0, s7
	s_addc_u32 s1, s1, 0
	s_mov_b64 s[34:35], s[4:5]
	s_add_u32 s48, s34, 8
	s_addc_u32 s49, s35, 0
	v_lshl_or_b32 v12, s6, 9, v0
	s_waitcnt lgkmcnt(0)
	s_add_i32 s80, s33, -1
	v_or_b32_e32 v2, 0x180, v12
	s_cmp_gt_u32 s80, 1
	v_cmp_le_i32_e32 vcc, s78, v2
	s_cselect_b64 s[52:53], -1, 0
	s_mov_b64 s[50:51], 0
	s_mov_b64 s[44:45], 0
	s_mov_b32 s32, 0
	s_and_saveexec_b64 s[4:5], vcc
	s_xor_b64 s[54:55], exec, s[4:5]
	s_cbranch_execz .LBB265_566
; %bb.1:
	s_load_dwordx4 s[40:43], s[48:49], 0x4
	s_load_dwordx2 s[58:59], s[48:49], 0x14
	s_load_dwordx2 s[56:57], s[48:49], 0x158
	s_load_dword s81, s[48:49], 0x160
	s_cmp_lg_u32 s33, 0
	s_load_dwordx4 s[44:47], s[48:49], 0xc4
	s_load_dwordx4 s[36:39], s[48:49], 0x148
	s_cselect_b64 s[64:65], -1, 0
	s_add_u32 s62, s48, 0xc4
	s_addc_u32 s63, s49, 0
	s_min_u32 s83, s80, 15
	s_cmp_gt_u32 s33, 1
	s_cselect_b64 s[60:61], -1, 0
	s_waitcnt lgkmcnt(0)
	s_bfe_u32 s82, s81, 0x80008
	v_cmp_gt_i32_e32 vcc, s78, v12
	s_mov_b64 s[4:5], -1
	s_mov_b64 s[72:73], 0
	s_mov_b64 s[66:67], 0
	s_and_saveexec_b64 s[68:69], vcc
	s_cbranch_execz .LBB265_138
; %bb.2:
	s_andn2_b64 vcc, exec, s[52:53]
	s_cbranch_vccnz .LBB265_7
; %bb.3:
	s_andn2_b64 vcc, exec, s[64:65]
	s_cbranch_vccnz .LBB265_8
; %bb.4:
	s_add_i32 s29, s83, 1
	s_cmp_eq_u32 s80, 2
	s_cbranch_scc1 .LBB265_9
; %bb.5:
	s_and_b32 s28, s29, 28
	v_mov_b32_e32 v4, 0
	s_mov_b32 s30, 0
	s_mov_b64 s[24:25], s[48:49]
	s_mov_b64 s[26:27], s[62:63]
	v_mov_b32_e32 v10, 0
	v_mov_b32_e32 v0, v12
.LBB265_6:                              ; =>This Inner Loop Header: Depth=1
	s_load_dwordx8 s[12:19], s[24:25], 0x4
	s_load_dwordx4 s[20:23], s[24:25], 0x24
	s_load_dwordx8 s[4:11], s[26:27], 0x0
	s_add_u32 s24, s24, 48
	s_addc_u32 s25, s25, 0
	s_waitcnt lgkmcnt(0)
	v_mul_hi_u32 v1, s13, v0
	s_add_i32 s30, s30, 4
	s_add_u32 s26, s26, 32
	s_addc_u32 s27, s27, 0
	v_add_u32_e32 v1, v0, v1
	v_lshrrev_b32_e32 v1, s14, v1
	v_mul_lo_u32 v2, v1, s12
	v_mul_hi_u32 v3, s16, v1
	s_cmp_lg_u32 s28, s30
	v_sub_u32_e32 v0, v0, v2
	v_add_u32_e32 v2, v1, v3
	v_mul_lo_u32 v3, v0, s4
	v_mul_lo_u32 v5, v0, s5
	v_lshrrev_b32_e32 v0, s17, v2
	v_mul_lo_u32 v2, v0, s15
	v_mul_hi_u32 v6, s19, v0
	v_sub_u32_e32 v1, v1, v2
	v_add_u32_e32 v2, v0, v6
	v_lshrrev_b32_e32 v2, s20, v2
	v_mul_hi_u32 v7, s22, v2
	v_mul_lo_u32 v8, v2, s18
	v_mul_lo_u32 v6, v1, s6
	;; [unrolled: 1-line block ×3, first 2 shown]
	v_sub_u32_e32 v8, v0, v8
	v_add_u32_e32 v0, v2, v7
	v_lshrrev_b32_e32 v0, s23, v0
	v_mul_lo_u32 v7, v0, s21
	v_mul_lo_u32 v9, v8, s8
	;; [unrolled: 1-line block ×3, first 2 shown]
	v_add3_u32 v3, v3, v10, v6
	v_sub_u32_e32 v2, v2, v7
	v_mul_lo_u32 v7, v2, s10
	v_mul_lo_u32 v2, v2, s11
	v_add3_u32 v1, v5, v4, v1
	v_add3_u32 v10, v9, v3, v7
	;; [unrolled: 1-line block ×3, first 2 shown]
	s_cbranch_scc1 .LBB265_6
	s_branch .LBB265_10
.LBB265_7:
                                        ; implicit-def: $vgpr10
                                        ; implicit-def: $vgpr4
	s_andn2_b64 vcc, exec, s[4:5]
	s_cbranch_vccz .LBB265_14
	s_branch .LBB265_16
.LBB265_8:
	v_mov_b32_e32 v10, 0
	v_mov_b32_e32 v4, 0
	s_branch .LBB265_13
.LBB265_9:
	s_mov_b32 s28, 0
	v_mov_b32_e32 v10, 0
	v_mov_b32_e32 v4, 0
	;; [unrolled: 1-line block ×3, first 2 shown]
.LBB265_10:
	s_and_b32 s8, s29, 3
	s_cmp_eq_u32 s8, 0
	s_cbranch_scc1 .LBB265_13
; %bb.11:
	s_lshl_b32 s4, s28, 3
	s_add_u32 s4, s48, s4
	s_addc_u32 s5, s49, 0
	s_add_u32 s4, s4, 0xc4
	s_addc_u32 s5, s5, 0
	s_mul_i32 s6, s28, 12
	s_add_u32 s6, s48, s6
	s_addc_u32 s7, s49, 0
.LBB265_12:                             ; =>This Inner Loop Header: Depth=1
	s_load_dwordx2 s[10:11], s[6:7], 0x4
	s_load_dword s9, s[6:7], 0xc
	s_load_dwordx2 s[12:13], s[4:5], 0x0
	s_add_u32 s6, s6, 12
	s_addc_u32 s7, s7, 0
	s_waitcnt lgkmcnt(0)
	v_mul_hi_u32 v1, s11, v0
	s_add_u32 s4, s4, 8
	s_addc_u32 s5, s5, 0
	s_add_i32 s8, s8, -1
	v_add_u32_e32 v1, v0, v1
	v_lshrrev_b32_e32 v1, s9, v1
	v_mul_lo_u32 v2, v1, s10
	s_cmp_lg_u32 s8, 0
	v_sub_u32_e32 v0, v0, v2
	v_mad_u64_u32 v[10:11], s[10:11], v0, s12, v[10:11]
	v_mad_u64_u32 v[4:5], s[10:11], v0, s13, v[4:5]
	v_mov_b32_e32 v0, v1
	s_cbranch_scc1 .LBB265_12
.LBB265_13:
	s_cbranch_execnz .LBB265_16
.LBB265_14:
	v_mul_hi_u32 v0, s41, v12
	s_andn2_b64 vcc, exec, s[60:61]
	v_add_u32_e32 v0, v12, v0
	v_lshrrev_b32_e32 v0, s42, v0
	v_mul_lo_u32 v1, v0, s40
	v_sub_u32_e32 v1, v12, v1
	v_mul_lo_u32 v10, v1, s44
	v_mul_lo_u32 v4, v1, s45
	s_cbranch_vccnz .LBB265_16
; %bb.15:
	v_mul_hi_u32 v1, s58, v0
	v_add_u32_e32 v1, v0, v1
	v_lshrrev_b32_e32 v1, s59, v1
	v_mul_lo_u32 v1, v1, s43
	v_sub_u32_e32 v0, v0, v1
	v_mad_u64_u32 v[10:11], s[4:5], v0, s46, v[10:11]
	v_mad_u64_u32 v[4:5], s[4:5], v0, s47, v[4:5]
.LBB265_16:
	s_getpc_b64 s[4:5]
	s_add_u32 s4, s4, _ZN2at6native6invokeINS0_13AUnaryFunctorIN3c1015Float8_e5m2fnuzES4_bNS0_12_GLOBAL__N_116CompareEqFunctorIS4_EEEEj15function_traitsIS8_EEENT1_11result_typeERKT_PrKPcPKT0_PKNS3_10ScalarTypeEi@rel32@lo+4
	s_addc_u32 s5, s5, _ZN2at6native6invokeINS0_13AUnaryFunctorIN3c1015Float8_e5m2fnuzES4_bNS0_12_GLOBAL__N_116CompareEqFunctorIS4_EEEEj15function_traitsIS8_EEENT1_11result_typeERKT_PrKPcPKT0_PKNS3_10ScalarTypeEi@rel32@hi+12
	v_mov_b32_e32 v0, s56
	v_mov_b32_e32 v1, s57
	v_mov_b32_e32 v2, s38
	v_mov_b32_e32 v3, s39
	v_mov_b32_e32 v5, s82
	s_swappc_b64 s[30:31], s[4:5]
	v_and_b32_e32 v0, 1, v0
	v_cmp_eq_u32_e64 s[4:5], 1, v0
	v_mov_b32_e32 v1, s37
	s_and_b32 s14, s81, 0xff
	v_add_co_u32_e32 v0, vcc, s36, v10
	s_cmp_lt_i32 s14, 11
	v_addc_co_u32_e32 v1, vcc, 0, v1, vcc
	s_cbranch_scc1 .LBB265_23
; %bb.17:
	s_and_b32 s15, 0xffff, s14
	s_cmp_gt_i32 s15, 25
	s_cbranch_scc0 .LBB265_26
; %bb.18:
	s_cmp_gt_i32 s15, 28
	s_cbranch_scc0 .LBB265_27
; %bb.19:
	;; [unrolled: 3-line block ×4, first 2 shown]
	s_mov_b64 s[10:11], 0
	s_mov_b64 s[6:7], -1
	s_cmp_eq_u32 s15, 46
	s_mov_b64 s[8:9], 0
	s_cbranch_scc0 .LBB265_30
; %bb.22:
	v_cndmask_b32_e64 v2, 0, 1.0, s[4:5]
	v_bfe_u32 v3, v2, 16, 1
	s_movk_i32 s6, 0x7fff
	v_add3_u32 v2, v2, v3, s6
	v_lshrrev_b32_e32 v2, 16, v2
	global_store_dword v[0:1], v2, off
	s_mov_b64 s[8:9], -1
	s_mov_b64 s[6:7], 0
	s_branch .LBB265_30
.LBB265_23:
	s_mov_b64 s[6:7], 0
	s_mov_b64 s[8:9], 0
	s_cbranch_execnz .LBB265_98
.LBB265_24:
	s_andn2_b64 vcc, exec, s[8:9]
	s_cbranch_vccnz .LBB265_136
.LBB265_25:
	v_add_u32_e32 v12, 0x80, v12
	s_mov_b64 s[4:5], -1
	s_branch .LBB265_137
.LBB265_26:
	s_mov_b64 s[6:7], 0
	s_mov_b64 s[8:9], 0
	s_cbranch_execnz .LBB265_57
	s_branch .LBB265_97
.LBB265_27:
	s_mov_b64 s[10:11], -1
	s_mov_b64 s[6:7], 0
	s_mov_b64 s[8:9], 0
	s_branch .LBB265_40
.LBB265_28:
	s_mov_b64 s[10:11], -1
	s_mov_b64 s[6:7], 0
	s_mov_b64 s[8:9], 0
	s_branch .LBB265_36
.LBB265_29:
	s_mov_b64 s[10:11], -1
	s_mov_b64 s[6:7], 0
	s_mov_b64 s[8:9], 0
.LBB265_30:
	s_and_b64 vcc, exec, s[10:11]
	s_cbranch_vccz .LBB265_35
; %bb.31:
	s_cmp_eq_u32 s15, 44
	s_mov_b64 s[6:7], -1
	s_cbranch_scc0 .LBB265_35
; %bb.32:
	v_cndmask_b32_e64 v3, 0, 1.0, s[4:5]
	v_lshrrev_b32_e32 v2, 23, v3
	s_movk_i32 s6, 0xff
	v_cmp_ne_u32_e32 vcc, s6, v2
	v_mov_b32_e32 v4, 0xff
	s_and_saveexec_b64 s[8:9], vcc
; %bb.33:
	s_mov_b32 s6, 0x3fffff
	v_and_b32_e32 v4, 0x400000, v3
	v_and_or_b32 v3, v3, s6, v2
	v_cmp_ne_u32_e32 vcc, 0, v4
	v_cmp_ne_u32_e64 s[6:7], 0, v3
	s_and_b64 s[6:7], vcc, s[6:7]
	v_cndmask_b32_e64 v3, 0, 1, s[6:7]
	v_add_u32_e32 v4, v2, v3
; %bb.34:
	s_or_b64 exec, exec, s[8:9]
	s_mov_b64 s[8:9], -1
	s_mov_b64 s[6:7], 0
	global_store_byte v[0:1], v4, off
.LBB265_35:
	s_mov_b64 s[10:11], 0
.LBB265_36:
	s_and_b64 vcc, exec, s[10:11]
	s_cbranch_vccz .LBB265_39
; %bb.37:
	s_cmp_eq_u32 s15, 29
	s_mov_b64 s[6:7], -1
	s_cbranch_scc0 .LBB265_39
; %bb.38:
	s_mov_b32 s6, 0
	v_cndmask_b32_e64 v2, 0, 1, s[4:5]
	v_mov_b32_e32 v3, s6
	global_store_dwordx2 v[0:1], v[2:3], off
	s_mov_b64 s[8:9], -1
	s_mov_b64 s[6:7], 0
.LBB265_39:
	s_mov_b64 s[10:11], 0
.LBB265_40:
	s_and_b64 vcc, exec, s[10:11]
	s_cbranch_vccz .LBB265_56
; %bb.41:
	s_cmp_lt_i32 s15, 27
	s_mov_b64 s[8:9], -1
	s_cbranch_scc1 .LBB265_47
; %bb.42:
	s_cmp_gt_i32 s15, 27
	s_cbranch_scc0 .LBB265_44
; %bb.43:
	v_cndmask_b32_e64 v2, 0, 1, s[4:5]
	s_mov_b64 s[8:9], 0
	global_store_dword v[0:1], v2, off
.LBB265_44:
	s_andn2_b64 vcc, exec, s[8:9]
	s_cbranch_vccnz .LBB265_46
; %bb.45:
	v_cndmask_b32_e64 v2, 0, 1, s[4:5]
	global_store_short v[0:1], v2, off
.LBB265_46:
	s_mov_b64 s[8:9], 0
.LBB265_47:
	s_andn2_b64 vcc, exec, s[8:9]
	s_cbranch_vccnz .LBB265_55
; %bb.48:
	v_cndmask_b32_e64 v3, 0, 1.0, s[4:5]
	s_mov_b32 s8, 0x43800000
	v_cmp_gt_u32_e32 vcc, s8, v3
	v_mov_b32_e32 v4, 0x80
	s_and_saveexec_b64 s[8:9], vcc
	s_cbranch_execz .LBB265_54
; %bb.49:
	s_mov_b32 s10, 0x3bffffff
	v_cmp_lt_u32_e32 vcc, s10, v3
	s_mov_b64 s[10:11], 0
                                        ; implicit-def: $vgpr2
	s_and_saveexec_b64 s[12:13], vcc
	s_xor_b64 s[12:13], exec, s[12:13]
	s_cbranch_execz .LBB265_169
; %bb.50:
	v_bfe_u32 v2, v3, 20, 1
	s_mov_b32 s16, 0x487ffff
	v_add3_u32 v2, v3, v2, s16
	s_mov_b64 s[10:11], exec
	v_lshrrev_b32_e32 v2, 20, v2
                                        ; implicit-def: $vgpr3
	s_andn2_saveexec_b64 s[12:13], s[12:13]
	s_cbranch_execnz .LBB265_170
.LBB265_51:
	s_or_b64 exec, exec, s[12:13]
	v_mov_b32_e32 v4, 0
	s_and_saveexec_b64 s[12:13], s[10:11]
.LBB265_52:
	v_mov_b32_e32 v4, v2
.LBB265_53:
	s_or_b64 exec, exec, s[12:13]
.LBB265_54:
	s_or_b64 exec, exec, s[8:9]
	global_store_byte v[0:1], v4, off
.LBB265_55:
	s_mov_b64 s[8:9], -1
.LBB265_56:
	s_branch .LBB265_97
.LBB265_57:
	s_cmp_gt_i32 s15, 22
	s_mov_b64 s[10:11], -1
	s_cbranch_scc0 .LBB265_89
; %bb.58:
	s_cmp_lt_i32 s15, 24
	s_mov_b64 s[8:9], -1
	s_cbranch_scc1 .LBB265_78
; %bb.59:
	s_cmp_gt_i32 s15, 24
	s_cbranch_scc0 .LBB265_67
; %bb.60:
	v_cndmask_b32_e64 v3, 0, 1.0, s[4:5]
	s_mov_b32 s8, 0x47800000
	v_cmp_gt_u32_e32 vcc, s8, v3
	v_mov_b32_e32 v4, 0x80
	s_and_saveexec_b64 s[8:9], vcc
	s_cbranch_execz .LBB265_66
; %bb.61:
	s_mov_b32 s10, 0x37ffffff
	v_cmp_lt_u32_e32 vcc, s10, v3
	s_mov_b64 s[10:11], 0
                                        ; implicit-def: $vgpr2
	s_and_saveexec_b64 s[12:13], vcc
	s_xor_b64 s[12:13], exec, s[12:13]
	s_cbranch_execz .LBB265_172
; %bb.62:
	v_bfe_u32 v2, v3, 21, 1
	s_mov_b32 s16, 0x88fffff
	v_add3_u32 v2, v3, v2, s16
	s_mov_b64 s[10:11], exec
	v_lshrrev_b32_e32 v2, 21, v2
                                        ; implicit-def: $vgpr3
	s_andn2_saveexec_b64 s[12:13], s[12:13]
	s_cbranch_execnz .LBB265_173
.LBB265_63:
	s_or_b64 exec, exec, s[12:13]
	v_mov_b32_e32 v4, 0
	s_and_saveexec_b64 s[12:13], s[10:11]
.LBB265_64:
	v_mov_b32_e32 v4, v2
.LBB265_65:
	s_or_b64 exec, exec, s[12:13]
.LBB265_66:
	s_or_b64 exec, exec, s[8:9]
	s_mov_b64 s[8:9], 0
	global_store_byte v[0:1], v4, off
.LBB265_67:
	s_and_b64 vcc, exec, s[8:9]
	s_cbranch_vccz .LBB265_77
; %bb.68:
	v_cndmask_b32_e64 v2, 0, 1.0, s[4:5]
	s_mov_b32 s8, 0x43f00000
	v_cmp_gt_u32_e32 vcc, s8, v2
                                        ; implicit-def: $vgpr3
	s_and_saveexec_b64 s[8:9], vcc
	s_xor_b64 s[8:9], exec, s[8:9]
	s_cbranch_execz .LBB265_74
; %bb.69:
	s_mov_b32 s10, 0x3c7fffff
	v_cmp_lt_u32_e32 vcc, s10, v2
                                        ; implicit-def: $vgpr3
	s_and_saveexec_b64 s[10:11], vcc
	s_xor_b64 s[10:11], exec, s[10:11]
; %bb.70:
	v_bfe_u32 v3, v2, 20, 1
	s_mov_b32 s12, 0x407ffff
	v_add3_u32 v2, v2, v3, s12
	v_lshrrev_b32_e32 v3, 20, v2
	v_and_b32_e32 v2, 0xff00000, v2
	s_mov_b32 s12, 0x7f00000
	v_mov_b32_e32 v4, 0x7e
	v_cmp_ne_u32_e32 vcc, s12, v2
	v_cndmask_b32_e32 v3, v4, v3, vcc
                                        ; implicit-def: $vgpr2
; %bb.71:
	s_andn2_saveexec_b64 s[10:11], s[10:11]
; %bb.72:
	v_add_f32_e32 v3, 0x46800000, v2
; %bb.73:
	s_or_b64 exec, exec, s[10:11]
                                        ; implicit-def: $vgpr2
.LBB265_74:
	s_andn2_saveexec_b64 s[8:9], s[8:9]
; %bb.75:
	s_mov_b32 s10, 0x7f800000
	v_mov_b32_e32 v3, 0x7e
	v_mov_b32_e32 v4, 0x7f
	v_cmp_lt_u32_e32 vcc, s10, v2
	v_cndmask_b32_e32 v3, v3, v4, vcc
; %bb.76:
	s_or_b64 exec, exec, s[8:9]
	global_store_byte v[0:1], v3, off
.LBB265_77:
	s_mov_b64 s[8:9], 0
.LBB265_78:
	s_andn2_b64 vcc, exec, s[8:9]
	s_cbranch_vccnz .LBB265_88
; %bb.79:
	v_cndmask_b32_e64 v2, 0, 1.0, s[4:5]
	s_mov_b32 s8, 0x47800000
	v_cmp_gt_u32_e32 vcc, s8, v2
                                        ; implicit-def: $vgpr3
	s_and_saveexec_b64 s[8:9], vcc
	s_xor_b64 s[8:9], exec, s[8:9]
	s_cbranch_execz .LBB265_85
; %bb.80:
	s_mov_b32 s10, 0x387fffff
	v_cmp_lt_u32_e32 vcc, s10, v2
                                        ; implicit-def: $vgpr3
	s_and_saveexec_b64 s[10:11], vcc
	s_xor_b64 s[10:11], exec, s[10:11]
; %bb.81:
	v_bfe_u32 v3, v2, 21, 1
	s_mov_b32 s12, 0x80fffff
	v_add3_u32 v2, v2, v3, s12
	v_lshrrev_b32_e32 v3, 21, v2
                                        ; implicit-def: $vgpr2
; %bb.82:
	s_andn2_saveexec_b64 s[10:11], s[10:11]
; %bb.83:
	v_add_f32_e32 v3, 0x43000000, v2
; %bb.84:
	s_or_b64 exec, exec, s[10:11]
                                        ; implicit-def: $vgpr2
.LBB265_85:
	s_andn2_saveexec_b64 s[8:9], s[8:9]
; %bb.86:
	s_mov_b32 s10, 0x7f800000
	v_mov_b32_e32 v3, 0x7c
	v_mov_b32_e32 v4, 0x7f
	v_cmp_lt_u32_e32 vcc, s10, v2
	v_cndmask_b32_e32 v3, v3, v4, vcc
; %bb.87:
	s_or_b64 exec, exec, s[8:9]
	global_store_byte v[0:1], v3, off
.LBB265_88:
	s_mov_b64 s[10:11], 0
	s_mov_b64 s[8:9], -1
.LBB265_89:
	s_andn2_b64 vcc, exec, s[10:11]
	s_cbranch_vccnz .LBB265_97
; %bb.90:
	s_cmp_gt_i32 s15, 14
	s_mov_b64 s[10:11], -1
	s_cbranch_scc0 .LBB265_94
; %bb.91:
	s_cmp_eq_u32 s15, 15
	s_mov_b64 s[6:7], -1
	s_cbranch_scc0 .LBB265_93
; %bb.92:
	v_cndmask_b32_e64 v2, 0, 1.0, s[4:5]
	v_bfe_u32 v3, v2, 16, 1
	s_movk_i32 s6, 0x7fff
	v_add3_u32 v2, v2, v3, s6
	global_store_short_d16_hi v[0:1], v2, off
	s_mov_b64 s[8:9], -1
	s_mov_b64 s[6:7], 0
.LBB265_93:
	s_mov_b64 s[10:11], 0
.LBB265_94:
	s_and_b64 vcc, exec, s[10:11]
	s_cbranch_vccz .LBB265_97
; %bb.95:
	s_cmp_eq_u32 s15, 11
	s_mov_b64 s[6:7], -1
	s_cbranch_scc0 .LBB265_97
; %bb.96:
	v_cndmask_b32_e64 v2, 0, 1, s[4:5]
	s_mov_b64 s[8:9], -1
	s_mov_b64 s[6:7], 0
	global_store_byte v[0:1], v2, off
.LBB265_97:
	s_branch .LBB265_24
.LBB265_98:
	s_and_b32 s10, 0xffff, s14
	s_cmp_lt_i32 s10, 5
	s_mov_b64 s[8:9], -1
	s_cbranch_scc1 .LBB265_119
; %bb.99:
	s_cmp_lt_i32 s10, 8
	s_cbranch_scc1 .LBB265_109
; %bb.100:
	s_cmp_lt_i32 s10, 9
	s_cbranch_scc1 .LBB265_106
; %bb.101:
	s_cmp_gt_i32 s10, 9
	s_cbranch_scc0 .LBB265_103
; %bb.102:
	v_cndmask_b32_e64 v2, 0, 1, s[4:5]
	v_cvt_f64_u32_e32 v[2:3], v2
	v_mov_b32_e32 v4, 0
	v_mov_b32_e32 v5, v4
	s_mov_b64 s[8:9], 0
	global_store_dwordx4 v[0:1], v[2:5], off
.LBB265_103:
	s_andn2_b64 vcc, exec, s[8:9]
	s_cbranch_vccnz .LBB265_105
; %bb.104:
	v_cndmask_b32_e64 v2, 0, 1.0, s[4:5]
	v_mov_b32_e32 v3, 0
	global_store_dwordx2 v[0:1], v[2:3], off
.LBB265_105:
	s_mov_b64 s[8:9], 0
.LBB265_106:
	s_andn2_b64 vcc, exec, s[8:9]
	s_cbranch_vccnz .LBB265_108
; %bb.107:
	v_cndmask_b32_e64 v2, 0, 1.0, s[4:5]
	v_cvt_f16_f32_e32 v2, v2
	global_store_dword v[0:1], v2, off
.LBB265_108:
	s_mov_b64 s[8:9], 0
.LBB265_109:
	s_andn2_b64 vcc, exec, s[8:9]
	s_cbranch_vccnz .LBB265_118
; %bb.110:
	s_cmp_lt_i32 s10, 6
	s_mov_b64 s[8:9], -1
	s_cbranch_scc1 .LBB265_116
; %bb.111:
	s_cmp_gt_i32 s10, 6
	s_cbranch_scc0 .LBB265_113
; %bb.112:
	v_cndmask_b32_e64 v2, 0, 1, s[4:5]
	v_cvt_f64_u32_e32 v[2:3], v2
	s_mov_b64 s[8:9], 0
	global_store_dwordx2 v[0:1], v[2:3], off
.LBB265_113:
	s_andn2_b64 vcc, exec, s[8:9]
	s_cbranch_vccnz .LBB265_115
; %bb.114:
	v_cndmask_b32_e64 v2, 0, 1.0, s[4:5]
	global_store_dword v[0:1], v2, off
.LBB265_115:
	s_mov_b64 s[8:9], 0
.LBB265_116:
	s_andn2_b64 vcc, exec, s[8:9]
	s_cbranch_vccnz .LBB265_118
; %bb.117:
	v_cndmask_b32_e64 v2, 0, 1.0, s[4:5]
	v_cvt_f16_f32_e32 v2, v2
	global_store_short v[0:1], v2, off
.LBB265_118:
	s_mov_b64 s[8:9], 0
.LBB265_119:
	s_andn2_b64 vcc, exec, s[8:9]
	s_cbranch_vccnz .LBB265_135
; %bb.120:
	s_cmp_lt_i32 s10, 2
	s_mov_b64 s[8:9], -1
	s_cbranch_scc1 .LBB265_130
; %bb.121:
	s_cmp_lt_i32 s10, 3
	s_cbranch_scc1 .LBB265_127
; %bb.122:
	s_cmp_gt_i32 s10, 3
	s_cbranch_scc0 .LBB265_124
; %bb.123:
	s_mov_b32 s8, 0
	v_cndmask_b32_e64 v2, 0, 1, s[4:5]
	v_mov_b32_e32 v3, s8
	global_store_dwordx2 v[0:1], v[2:3], off
	s_mov_b64 s[8:9], 0
.LBB265_124:
	s_andn2_b64 vcc, exec, s[8:9]
	s_cbranch_vccnz .LBB265_126
; %bb.125:
	v_cndmask_b32_e64 v2, 0, 1, s[4:5]
	global_store_dword v[0:1], v2, off
.LBB265_126:
	s_mov_b64 s[8:9], 0
.LBB265_127:
	s_andn2_b64 vcc, exec, s[8:9]
	s_cbranch_vccnz .LBB265_129
; %bb.128:
	v_cndmask_b32_e64 v2, 0, 1, s[4:5]
	global_store_short v[0:1], v2, off
.LBB265_129:
	s_mov_b64 s[8:9], 0
.LBB265_130:
	s_andn2_b64 vcc, exec, s[8:9]
	s_cbranch_vccnz .LBB265_135
; %bb.131:
	s_cmp_gt_i32 s10, 0
	s_mov_b64 s[8:9], -1
	s_cbranch_scc0 .LBB265_133
; %bb.132:
	v_cndmask_b32_e64 v2, 0, 1, s[4:5]
	global_store_byte v[0:1], v2, off
	s_mov_b64 s[8:9], 0
.LBB265_133:
	s_andn2_b64 vcc, exec, s[8:9]
	s_cbranch_vccnz .LBB265_135
; %bb.134:
	v_cndmask_b32_e64 v2, 0, 1, s[4:5]
	global_store_byte v[0:1], v2, off
.LBB265_135:
	s_branch .LBB265_25
.LBB265_136:
	s_mov_b64 s[4:5], 0
                                        ; implicit-def: $vgpr12
.LBB265_137:
	s_and_b64 s[66:67], s[6:7], exec
	s_orn2_b64 s[4:5], s[4:5], exec
.LBB265_138:
	s_or_b64 exec, exec, s[68:69]
	s_mov_b64 s[8:9], 0
                                        ; implicit-def: $sgpr6_sgpr7
                                        ; implicit-def: $sgpr16
                                        ; implicit-def: $vgpr0_vgpr1
	s_and_saveexec_b64 s[68:69], s[4:5]
	s_cbranch_execz .LBB265_145
; %bb.139:
	v_cmp_gt_i32_e32 vcc, s78, v12
	s_mov_b64 s[10:11], -1
	s_mov_b64 s[70:71], s[66:67]
	s_and_saveexec_b64 s[72:73], vcc
	s_cbranch_execz .LBB265_284
; %bb.140:
	s_andn2_b64 vcc, exec, s[52:53]
	s_cbranch_vccnz .LBB265_148
; %bb.141:
	s_andn2_b64 vcc, exec, s[64:65]
	s_cbranch_vccnz .LBB265_149
; %bb.142:
	s_add_i32 s29, s83, 1
	s_cmp_eq_u32 s80, 2
	s_cbranch_scc1 .LBB265_150
; %bb.143:
	s_and_b32 s28, s29, 28
	v_mov_b32_e32 v4, 0
	s_mov_b32 s30, 0
	s_mov_b64 s[24:25], s[48:49]
	s_mov_b64 s[26:27], s[62:63]
	v_mov_b32_e32 v10, 0
	v_mov_b32_e32 v0, v12
.LBB265_144:                            ; =>This Inner Loop Header: Depth=1
	s_load_dwordx8 s[12:19], s[24:25], 0x4
	s_load_dwordx4 s[20:23], s[24:25], 0x24
	s_load_dwordx8 s[4:11], s[26:27], 0x0
	s_add_u32 s24, s24, 48
	s_addc_u32 s25, s25, 0
	s_waitcnt lgkmcnt(0)
	v_mul_hi_u32 v1, s13, v0
	s_add_i32 s30, s30, 4
	s_add_u32 s26, s26, 32
	s_addc_u32 s27, s27, 0
	v_add_u32_e32 v1, v0, v1
	v_lshrrev_b32_e32 v1, s14, v1
	v_mul_lo_u32 v2, v1, s12
	v_mul_hi_u32 v3, s16, v1
	s_cmp_eq_u32 s28, s30
	v_sub_u32_e32 v0, v0, v2
	v_add_u32_e32 v2, v1, v3
	v_mul_lo_u32 v3, v0, s4
	v_mul_lo_u32 v5, v0, s5
	v_lshrrev_b32_e32 v0, s17, v2
	v_mul_lo_u32 v2, v0, s15
	v_mul_hi_u32 v6, s19, v0
	v_sub_u32_e32 v1, v1, v2
	v_add_u32_e32 v2, v0, v6
	v_lshrrev_b32_e32 v2, s20, v2
	v_mul_hi_u32 v7, s22, v2
	v_mul_lo_u32 v8, v2, s18
	v_mul_lo_u32 v6, v1, s6
	;; [unrolled: 1-line block ×3, first 2 shown]
	v_sub_u32_e32 v8, v0, v8
	v_add_u32_e32 v0, v2, v7
	v_lshrrev_b32_e32 v0, s23, v0
	v_mul_lo_u32 v7, v0, s21
	v_mul_lo_u32 v9, v8, s8
	;; [unrolled: 1-line block ×3, first 2 shown]
	v_add3_u32 v3, v3, v10, v6
	v_sub_u32_e32 v2, v2, v7
	v_mul_lo_u32 v7, v2, s10
	v_mul_lo_u32 v2, v2, s11
	v_add3_u32 v1, v5, v4, v1
	v_add3_u32 v10, v9, v3, v7
	;; [unrolled: 1-line block ×3, first 2 shown]
	s_cbranch_scc0 .LBB265_144
	s_branch .LBB265_151
.LBB265_145:
	s_or_b64 exec, exec, s[68:69]
	s_mov_b64 s[4:5], 0
	s_and_saveexec_b64 s[10:11], s[66:67]
	s_cbranch_execnz .LBB265_526
.LBB265_146:
	s_or_b64 exec, exec, s[10:11]
	s_and_saveexec_b64 s[10:11], s[72:73]
	s_xor_b64 s[10:11], exec, s[10:11]
	s_cbranch_execz .LBB265_527
.LBB265_147:
	v_cndmask_b32_e64 v2, 0, 1, s[6:7]
	global_store_byte v[0:1], v2, off
	s_or_b64 exec, exec, s[10:11]
	s_and_saveexec_b64 s[10:11], s[8:9]
	s_xor_b64 s[8:9], exec, s[10:11]
	s_cbranch_execz .LBB265_565
	s_branch .LBB265_528
.LBB265_148:
                                        ; implicit-def: $vgpr10
                                        ; implicit-def: $vgpr4
	s_branch .LBB265_155
.LBB265_149:
	v_mov_b32_e32 v10, 0
	v_mov_b32_e32 v4, 0
	s_branch .LBB265_154
.LBB265_150:
	s_mov_b32 s28, 0
	v_mov_b32_e32 v10, 0
	v_mov_b32_e32 v4, 0
	;; [unrolled: 1-line block ×3, first 2 shown]
.LBB265_151:
	s_and_b32 s8, s29, 3
	s_cmp_eq_u32 s8, 0
	s_cbranch_scc1 .LBB265_154
; %bb.152:
	s_lshl_b32 s4, s28, 3
	s_add_u32 s4, s48, s4
	s_addc_u32 s5, s49, 0
	s_add_u32 s4, s4, 0xc4
	s_addc_u32 s5, s5, 0
	s_mul_i32 s6, s28, 12
	s_add_u32 s6, s48, s6
	s_addc_u32 s7, s49, 0
.LBB265_153:                            ; =>This Inner Loop Header: Depth=1
	s_load_dwordx2 s[10:11], s[6:7], 0x4
	s_load_dword s9, s[6:7], 0xc
	s_load_dwordx2 s[12:13], s[4:5], 0x0
	s_add_u32 s6, s6, 12
	s_addc_u32 s7, s7, 0
	s_waitcnt lgkmcnt(0)
	v_mul_hi_u32 v1, s11, v0
	s_add_u32 s4, s4, 8
	s_addc_u32 s5, s5, 0
	s_add_i32 s8, s8, -1
	v_add_u32_e32 v1, v0, v1
	v_lshrrev_b32_e32 v1, s9, v1
	v_mul_lo_u32 v2, v1, s10
	s_cmp_lg_u32 s8, 0
	v_sub_u32_e32 v0, v0, v2
	v_mad_u64_u32 v[10:11], s[10:11], v0, s12, v[10:11]
	v_mad_u64_u32 v[4:5], s[10:11], v0, s13, v[4:5]
	v_mov_b32_e32 v0, v1
	s_cbranch_scc1 .LBB265_153
.LBB265_154:
	s_cbranch_execnz .LBB265_157
.LBB265_155:
	v_mul_hi_u32 v0, s41, v12
	s_andn2_b64 vcc, exec, s[60:61]
	v_add_u32_e32 v0, v12, v0
	v_lshrrev_b32_e32 v0, s42, v0
	v_mul_lo_u32 v1, v0, s40
	v_sub_u32_e32 v1, v12, v1
	v_mul_lo_u32 v10, v1, s44
	v_mul_lo_u32 v4, v1, s45
	s_cbranch_vccnz .LBB265_157
; %bb.156:
	v_mul_hi_u32 v1, s58, v0
	v_add_u32_e32 v1, v0, v1
	v_lshrrev_b32_e32 v1, s59, v1
	v_mul_lo_u32 v1, v1, s43
	v_sub_u32_e32 v0, v0, v1
	v_mad_u64_u32 v[10:11], s[4:5], v0, s46, v[10:11]
	v_mad_u64_u32 v[4:5], s[4:5], v0, s47, v[4:5]
.LBB265_157:
	s_getpc_b64 s[4:5]
	s_add_u32 s4, s4, _ZN2at6native6invokeINS0_13AUnaryFunctorIN3c1015Float8_e5m2fnuzES4_bNS0_12_GLOBAL__N_116CompareEqFunctorIS4_EEEEj15function_traitsIS8_EEENT1_11result_typeERKT_PrKPcPKT0_PKNS3_10ScalarTypeEi@rel32@lo+4
	s_addc_u32 s5, s5, _ZN2at6native6invokeINS0_13AUnaryFunctorIN3c1015Float8_e5m2fnuzES4_bNS0_12_GLOBAL__N_116CompareEqFunctorIS4_EEEEj15function_traitsIS8_EEENT1_11result_typeERKT_PrKPcPKT0_PKNS3_10ScalarTypeEi@rel32@hi+12
	v_mov_b32_e32 v0, s56
	v_mov_b32_e32 v1, s57
	;; [unrolled: 1-line block ×5, first 2 shown]
	s_swappc_b64 s[30:31], s[4:5]
	v_and_b32_e32 v0, 1, v0
	v_cmp_eq_u32_e64 s[4:5], 1, v0
	v_mov_b32_e32 v1, s37
	s_and_b32 s14, s81, 0xff
	v_add_co_u32_e32 v0, vcc, s36, v10
	s_cmp_lt_i32 s14, 11
	v_addc_co_u32_e32 v1, vcc, 0, v1, vcc
	s_cbranch_scc1 .LBB265_164
; %bb.158:
	s_and_b32 s15, 0xffff, s14
	s_cmp_gt_i32 s15, 25
	s_cbranch_scc0 .LBB265_167
; %bb.159:
	s_cmp_gt_i32 s15, 28
	s_cbranch_scc0 .LBB265_168
; %bb.160:
	;; [unrolled: 3-line block ×4, first 2 shown]
	s_mov_b64 s[10:11], 0
	s_mov_b64 s[6:7], -1
	s_cmp_eq_u32 s15, 46
	s_mov_b64 s[8:9], 0
	s_cbranch_scc0 .LBB265_175
; %bb.163:
	v_cndmask_b32_e64 v2, 0, 1.0, s[4:5]
	v_bfe_u32 v3, v2, 16, 1
	s_movk_i32 s6, 0x7fff
	v_add3_u32 v2, v2, v3, s6
	v_lshrrev_b32_e32 v2, 16, v2
	global_store_dword v[0:1], v2, off
	s_mov_b64 s[8:9], -1
	s_mov_b64 s[6:7], 0
	s_branch .LBB265_175
.LBB265_164:
	s_mov_b64 s[8:9], 0
	s_mov_b64 s[6:7], s[66:67]
	s_cbranch_execnz .LBB265_244
.LBB265_165:
	s_andn2_b64 vcc, exec, s[8:9]
	s_cbranch_vccnz .LBB265_282
.LBB265_166:
	v_add_u32_e32 v12, 0x80, v12
	s_mov_b64 s[4:5], -1
	s_branch .LBB265_283
.LBB265_167:
	s_mov_b64 s[10:11], -1
	s_mov_b64 s[8:9], 0
	s_mov_b64 s[6:7], s[66:67]
	s_branch .LBB265_202
.LBB265_168:
	s_mov_b64 s[10:11], -1
	s_mov_b64 s[8:9], 0
	s_mov_b64 s[6:7], s[66:67]
	s_branch .LBB265_185
.LBB265_169:
	s_andn2_saveexec_b64 s[12:13], s[12:13]
	s_cbranch_execz .LBB265_51
.LBB265_170:
	v_add_f32_e32 v2, 0x46000000, v3
	v_and_b32_e32 v2, 0xff, v2
	v_cmp_ne_u32_e32 vcc, 0, v2
	s_andn2_b64 s[10:11], s[10:11], exec
	s_and_b64 s[16:17], vcc, exec
	s_or_b64 s[10:11], s[10:11], s[16:17]
	s_or_b64 exec, exec, s[12:13]
	v_mov_b32_e32 v4, 0
	s_and_saveexec_b64 s[12:13], s[10:11]
	s_cbranch_execnz .LBB265_52
	s_branch .LBB265_53
.LBB265_171:
	s_mov_b64 s[10:11], -1
	s_mov_b64 s[8:9], 0
	s_mov_b64 s[6:7], s[66:67]
	s_branch .LBB265_181
.LBB265_172:
	s_andn2_saveexec_b64 s[12:13], s[12:13]
	s_cbranch_execz .LBB265_63
.LBB265_173:
	v_add_f32_e32 v2, 0x42800000, v3
	v_and_b32_e32 v2, 0xff, v2
	v_cmp_ne_u32_e32 vcc, 0, v2
	s_andn2_b64 s[10:11], s[10:11], exec
	s_and_b64 s[16:17], vcc, exec
	s_or_b64 s[10:11], s[10:11], s[16:17]
	s_or_b64 exec, exec, s[12:13]
	v_mov_b32_e32 v4, 0
	s_and_saveexec_b64 s[12:13], s[10:11]
	s_cbranch_execnz .LBB265_64
	s_branch .LBB265_65
.LBB265_174:
	s_mov_b64 s[10:11], -1
	s_mov_b64 s[8:9], 0
	s_mov_b64 s[6:7], s[66:67]
.LBB265_175:
	s_and_b64 vcc, exec, s[10:11]
	s_cbranch_vccz .LBB265_180
; %bb.176:
	s_cmp_eq_u32 s15, 44
	s_mov_b64 s[6:7], -1
	s_cbranch_scc0 .LBB265_180
; %bb.177:
	v_cndmask_b32_e64 v3, 0, 1.0, s[4:5]
	v_lshrrev_b32_e32 v2, 23, v3
	s_movk_i32 s6, 0xff
	v_cmp_ne_u32_e32 vcc, s6, v2
	v_mov_b32_e32 v4, 0xff
	s_and_saveexec_b64 s[8:9], vcc
; %bb.178:
	s_mov_b32 s6, 0x3fffff
	v_and_b32_e32 v4, 0x400000, v3
	v_and_or_b32 v3, v3, s6, v2
	v_cmp_ne_u32_e32 vcc, 0, v4
	v_cmp_ne_u32_e64 s[6:7], 0, v3
	s_and_b64 s[6:7], vcc, s[6:7]
	v_cndmask_b32_e64 v3, 0, 1, s[6:7]
	v_add_u32_e32 v4, v2, v3
; %bb.179:
	s_or_b64 exec, exec, s[8:9]
	s_mov_b64 s[8:9], -1
	s_mov_b64 s[6:7], 0
	global_store_byte v[0:1], v4, off
.LBB265_180:
	s_mov_b64 s[10:11], 0
.LBB265_181:
	s_and_b64 vcc, exec, s[10:11]
	s_cbranch_vccz .LBB265_184
; %bb.182:
	s_cmp_eq_u32 s15, 29
	s_mov_b64 s[6:7], -1
	s_cbranch_scc0 .LBB265_184
; %bb.183:
	s_mov_b32 s6, 0
	v_cndmask_b32_e64 v2, 0, 1, s[4:5]
	v_mov_b32_e32 v3, s6
	global_store_dwordx2 v[0:1], v[2:3], off
	s_mov_b64 s[8:9], -1
	s_mov_b64 s[6:7], 0
.LBB265_184:
	s_mov_b64 s[10:11], 0
.LBB265_185:
	s_and_b64 vcc, exec, s[10:11]
	s_cbranch_vccz .LBB265_201
; %bb.186:
	s_cmp_lt_i32 s15, 27
	s_mov_b64 s[8:9], -1
	s_cbranch_scc1 .LBB265_192
; %bb.187:
	s_cmp_gt_i32 s15, 27
	s_cbranch_scc0 .LBB265_189
; %bb.188:
	v_cndmask_b32_e64 v2, 0, 1, s[4:5]
	s_mov_b64 s[8:9], 0
	global_store_dword v[0:1], v2, off
.LBB265_189:
	s_andn2_b64 vcc, exec, s[8:9]
	s_cbranch_vccnz .LBB265_191
; %bb.190:
	v_cndmask_b32_e64 v2, 0, 1, s[4:5]
	global_store_short v[0:1], v2, off
.LBB265_191:
	s_mov_b64 s[8:9], 0
.LBB265_192:
	s_andn2_b64 vcc, exec, s[8:9]
	s_cbranch_vccnz .LBB265_200
; %bb.193:
	v_cndmask_b32_e64 v3, 0, 1.0, s[4:5]
	s_mov_b32 s8, 0x43800000
	v_cmp_gt_u32_e32 vcc, s8, v3
	v_mov_b32_e32 v4, 0x80
	s_and_saveexec_b64 s[8:9], vcc
	s_cbranch_execz .LBB265_199
; %bb.194:
	s_mov_b32 s10, 0x3bffffff
	v_cmp_lt_u32_e32 vcc, s10, v3
	s_mov_b64 s[10:11], 0
                                        ; implicit-def: $vgpr2
	s_and_saveexec_b64 s[12:13], vcc
	s_xor_b64 s[12:13], exec, s[12:13]
	s_cbranch_execz .LBB265_311
; %bb.195:
	v_bfe_u32 v2, v3, 20, 1
	s_mov_b32 s16, 0x487ffff
	v_add3_u32 v2, v3, v2, s16
	s_mov_b64 s[10:11], exec
	v_lshrrev_b32_e32 v2, 20, v2
                                        ; implicit-def: $vgpr3
	s_andn2_saveexec_b64 s[12:13], s[12:13]
	s_cbranch_execnz .LBB265_312
.LBB265_196:
	s_or_b64 exec, exec, s[12:13]
	v_mov_b32_e32 v4, 0
	s_and_saveexec_b64 s[12:13], s[10:11]
.LBB265_197:
	v_mov_b32_e32 v4, v2
.LBB265_198:
	s_or_b64 exec, exec, s[12:13]
.LBB265_199:
	s_or_b64 exec, exec, s[8:9]
	global_store_byte v[0:1], v4, off
.LBB265_200:
	s_mov_b64 s[8:9], -1
.LBB265_201:
	s_mov_b64 s[10:11], 0
.LBB265_202:
	s_and_b64 vcc, exec, s[10:11]
	s_cbranch_vccz .LBB265_243
; %bb.203:
	s_cmp_gt_i32 s15, 22
	s_mov_b64 s[10:11], -1
	s_cbranch_scc0 .LBB265_235
; %bb.204:
	s_cmp_lt_i32 s15, 24
	s_mov_b64 s[8:9], -1
	s_cbranch_scc1 .LBB265_224
; %bb.205:
	s_cmp_gt_i32 s15, 24
	s_cbranch_scc0 .LBB265_213
; %bb.206:
	v_cndmask_b32_e64 v3, 0, 1.0, s[4:5]
	s_mov_b32 s8, 0x47800000
	v_cmp_gt_u32_e32 vcc, s8, v3
	v_mov_b32_e32 v4, 0x80
	s_and_saveexec_b64 s[8:9], vcc
	s_cbranch_execz .LBB265_212
; %bb.207:
	s_mov_b32 s10, 0x37ffffff
	v_cmp_lt_u32_e32 vcc, s10, v3
	s_mov_b64 s[10:11], 0
                                        ; implicit-def: $vgpr2
	s_and_saveexec_b64 s[12:13], vcc
	s_xor_b64 s[12:13], exec, s[12:13]
	s_cbranch_execz .LBB265_314
; %bb.208:
	v_bfe_u32 v2, v3, 21, 1
	s_mov_b32 s16, 0x88fffff
	v_add3_u32 v2, v3, v2, s16
	s_mov_b64 s[10:11], exec
	v_lshrrev_b32_e32 v2, 21, v2
                                        ; implicit-def: $vgpr3
	s_andn2_saveexec_b64 s[12:13], s[12:13]
	s_cbranch_execnz .LBB265_315
.LBB265_209:
	s_or_b64 exec, exec, s[12:13]
	v_mov_b32_e32 v4, 0
	s_and_saveexec_b64 s[12:13], s[10:11]
.LBB265_210:
	v_mov_b32_e32 v4, v2
.LBB265_211:
	s_or_b64 exec, exec, s[12:13]
.LBB265_212:
	s_or_b64 exec, exec, s[8:9]
	s_mov_b64 s[8:9], 0
	global_store_byte v[0:1], v4, off
.LBB265_213:
	s_and_b64 vcc, exec, s[8:9]
	s_cbranch_vccz .LBB265_223
; %bb.214:
	v_cndmask_b32_e64 v2, 0, 1.0, s[4:5]
	s_mov_b32 s8, 0x43f00000
	v_cmp_gt_u32_e32 vcc, s8, v2
                                        ; implicit-def: $vgpr3
	s_and_saveexec_b64 s[8:9], vcc
	s_xor_b64 s[8:9], exec, s[8:9]
	s_cbranch_execz .LBB265_220
; %bb.215:
	s_mov_b32 s10, 0x3c7fffff
	v_cmp_lt_u32_e32 vcc, s10, v2
                                        ; implicit-def: $vgpr3
	s_and_saveexec_b64 s[10:11], vcc
	s_xor_b64 s[10:11], exec, s[10:11]
; %bb.216:
	v_bfe_u32 v3, v2, 20, 1
	s_mov_b32 s12, 0x407ffff
	v_add3_u32 v2, v2, v3, s12
	v_lshrrev_b32_e32 v3, 20, v2
	v_and_b32_e32 v2, 0xff00000, v2
	s_mov_b32 s12, 0x7f00000
	v_mov_b32_e32 v4, 0x7e
	v_cmp_ne_u32_e32 vcc, s12, v2
	v_cndmask_b32_e32 v3, v4, v3, vcc
                                        ; implicit-def: $vgpr2
; %bb.217:
	s_andn2_saveexec_b64 s[10:11], s[10:11]
; %bb.218:
	v_add_f32_e32 v3, 0x46800000, v2
; %bb.219:
	s_or_b64 exec, exec, s[10:11]
                                        ; implicit-def: $vgpr2
.LBB265_220:
	s_andn2_saveexec_b64 s[8:9], s[8:9]
; %bb.221:
	s_mov_b32 s10, 0x7f800000
	v_mov_b32_e32 v3, 0x7e
	v_mov_b32_e32 v4, 0x7f
	v_cmp_lt_u32_e32 vcc, s10, v2
	v_cndmask_b32_e32 v3, v3, v4, vcc
; %bb.222:
	s_or_b64 exec, exec, s[8:9]
	global_store_byte v[0:1], v3, off
.LBB265_223:
	s_mov_b64 s[8:9], 0
.LBB265_224:
	s_andn2_b64 vcc, exec, s[8:9]
	s_cbranch_vccnz .LBB265_234
; %bb.225:
	v_cndmask_b32_e64 v2, 0, 1.0, s[4:5]
	s_mov_b32 s8, 0x47800000
	v_cmp_gt_u32_e32 vcc, s8, v2
                                        ; implicit-def: $vgpr3
	s_and_saveexec_b64 s[8:9], vcc
	s_xor_b64 s[8:9], exec, s[8:9]
	s_cbranch_execz .LBB265_231
; %bb.226:
	s_mov_b32 s10, 0x387fffff
	v_cmp_lt_u32_e32 vcc, s10, v2
                                        ; implicit-def: $vgpr3
	s_and_saveexec_b64 s[10:11], vcc
	s_xor_b64 s[10:11], exec, s[10:11]
; %bb.227:
	v_bfe_u32 v3, v2, 21, 1
	s_mov_b32 s12, 0x80fffff
	v_add3_u32 v2, v2, v3, s12
	v_lshrrev_b32_e32 v3, 21, v2
                                        ; implicit-def: $vgpr2
; %bb.228:
	s_andn2_saveexec_b64 s[10:11], s[10:11]
; %bb.229:
	v_add_f32_e32 v3, 0x43000000, v2
; %bb.230:
	s_or_b64 exec, exec, s[10:11]
                                        ; implicit-def: $vgpr2
.LBB265_231:
	s_andn2_saveexec_b64 s[8:9], s[8:9]
; %bb.232:
	s_mov_b32 s10, 0x7f800000
	v_mov_b32_e32 v3, 0x7c
	v_mov_b32_e32 v4, 0x7f
	v_cmp_lt_u32_e32 vcc, s10, v2
	v_cndmask_b32_e32 v3, v3, v4, vcc
; %bb.233:
	s_or_b64 exec, exec, s[8:9]
	global_store_byte v[0:1], v3, off
.LBB265_234:
	s_mov_b64 s[10:11], 0
	s_mov_b64 s[8:9], -1
.LBB265_235:
	s_andn2_b64 vcc, exec, s[10:11]
	s_cbranch_vccnz .LBB265_243
; %bb.236:
	s_cmp_gt_i32 s15, 14
	s_mov_b64 s[10:11], -1
	s_cbranch_scc0 .LBB265_240
; %bb.237:
	s_cmp_eq_u32 s15, 15
	s_mov_b64 s[6:7], -1
	s_cbranch_scc0 .LBB265_239
; %bb.238:
	v_cndmask_b32_e64 v2, 0, 1.0, s[4:5]
	v_bfe_u32 v3, v2, 16, 1
	s_movk_i32 s6, 0x7fff
	v_add3_u32 v2, v2, v3, s6
	global_store_short_d16_hi v[0:1], v2, off
	s_mov_b64 s[8:9], -1
	s_mov_b64 s[6:7], 0
.LBB265_239:
	s_mov_b64 s[10:11], 0
.LBB265_240:
	s_and_b64 vcc, exec, s[10:11]
	s_cbranch_vccz .LBB265_243
; %bb.241:
	s_cmp_eq_u32 s15, 11
	s_mov_b64 s[6:7], -1
	s_cbranch_scc0 .LBB265_243
; %bb.242:
	v_cndmask_b32_e64 v2, 0, 1, s[4:5]
	s_mov_b64 s[8:9], -1
	s_mov_b64 s[6:7], 0
	global_store_byte v[0:1], v2, off
.LBB265_243:
	s_branch .LBB265_165
.LBB265_244:
	s_and_b32 s10, 0xffff, s14
	s_cmp_lt_i32 s10, 5
	s_mov_b64 s[8:9], -1
	s_cbranch_scc1 .LBB265_265
; %bb.245:
	s_cmp_lt_i32 s10, 8
	s_cbranch_scc1 .LBB265_255
; %bb.246:
	s_cmp_lt_i32 s10, 9
	s_cbranch_scc1 .LBB265_252
; %bb.247:
	s_cmp_gt_i32 s10, 9
	s_cbranch_scc0 .LBB265_249
; %bb.248:
	v_cndmask_b32_e64 v2, 0, 1, s[4:5]
	v_cvt_f64_u32_e32 v[2:3], v2
	v_mov_b32_e32 v4, 0
	v_mov_b32_e32 v5, v4
	s_mov_b64 s[8:9], 0
	global_store_dwordx4 v[0:1], v[2:5], off
.LBB265_249:
	s_andn2_b64 vcc, exec, s[8:9]
	s_cbranch_vccnz .LBB265_251
; %bb.250:
	v_cndmask_b32_e64 v2, 0, 1.0, s[4:5]
	v_mov_b32_e32 v3, 0
	global_store_dwordx2 v[0:1], v[2:3], off
.LBB265_251:
	s_mov_b64 s[8:9], 0
.LBB265_252:
	s_andn2_b64 vcc, exec, s[8:9]
	s_cbranch_vccnz .LBB265_254
; %bb.253:
	v_cndmask_b32_e64 v2, 0, 1.0, s[4:5]
	v_cvt_f16_f32_e32 v2, v2
	global_store_dword v[0:1], v2, off
.LBB265_254:
	s_mov_b64 s[8:9], 0
.LBB265_255:
	s_andn2_b64 vcc, exec, s[8:9]
	s_cbranch_vccnz .LBB265_264
; %bb.256:
	s_cmp_lt_i32 s10, 6
	s_mov_b64 s[8:9], -1
	s_cbranch_scc1 .LBB265_262
; %bb.257:
	s_cmp_gt_i32 s10, 6
	s_cbranch_scc0 .LBB265_259
; %bb.258:
	v_cndmask_b32_e64 v2, 0, 1, s[4:5]
	v_cvt_f64_u32_e32 v[2:3], v2
	s_mov_b64 s[8:9], 0
	global_store_dwordx2 v[0:1], v[2:3], off
.LBB265_259:
	s_andn2_b64 vcc, exec, s[8:9]
	s_cbranch_vccnz .LBB265_261
; %bb.260:
	v_cndmask_b32_e64 v2, 0, 1.0, s[4:5]
	global_store_dword v[0:1], v2, off
.LBB265_261:
	s_mov_b64 s[8:9], 0
.LBB265_262:
	s_andn2_b64 vcc, exec, s[8:9]
	s_cbranch_vccnz .LBB265_264
; %bb.263:
	v_cndmask_b32_e64 v2, 0, 1.0, s[4:5]
	v_cvt_f16_f32_e32 v2, v2
	global_store_short v[0:1], v2, off
.LBB265_264:
	s_mov_b64 s[8:9], 0
.LBB265_265:
	s_andn2_b64 vcc, exec, s[8:9]
	s_cbranch_vccnz .LBB265_281
; %bb.266:
	s_cmp_lt_i32 s10, 2
	s_mov_b64 s[8:9], -1
	s_cbranch_scc1 .LBB265_276
; %bb.267:
	s_cmp_lt_i32 s10, 3
	s_cbranch_scc1 .LBB265_273
; %bb.268:
	s_cmp_gt_i32 s10, 3
	s_cbranch_scc0 .LBB265_270
; %bb.269:
	s_mov_b32 s8, 0
	v_cndmask_b32_e64 v2, 0, 1, s[4:5]
	v_mov_b32_e32 v3, s8
	s_mov_b64 s[8:9], 0
	global_store_dwordx2 v[0:1], v[2:3], off
.LBB265_270:
	s_andn2_b64 vcc, exec, s[8:9]
	s_cbranch_vccnz .LBB265_272
; %bb.271:
	v_cndmask_b32_e64 v2, 0, 1, s[4:5]
	global_store_dword v[0:1], v2, off
.LBB265_272:
	s_mov_b64 s[8:9], 0
.LBB265_273:
	s_andn2_b64 vcc, exec, s[8:9]
	s_cbranch_vccnz .LBB265_275
; %bb.274:
	v_cndmask_b32_e64 v2, 0, 1, s[4:5]
	global_store_short v[0:1], v2, off
.LBB265_275:
	s_mov_b64 s[8:9], 0
.LBB265_276:
	s_andn2_b64 vcc, exec, s[8:9]
	s_cbranch_vccnz .LBB265_281
; %bb.277:
	s_cmp_gt_i32 s10, 0
	s_mov_b64 s[8:9], -1
	s_cbranch_scc0 .LBB265_279
; %bb.278:
	v_cndmask_b32_e64 v2, 0, 1, s[4:5]
	s_mov_b64 s[8:9], 0
	global_store_byte v[0:1], v2, off
.LBB265_279:
	s_andn2_b64 vcc, exec, s[8:9]
	s_cbranch_vccnz .LBB265_281
; %bb.280:
	v_cndmask_b32_e64 v2, 0, 1, s[4:5]
	global_store_byte v[0:1], v2, off
.LBB265_281:
	s_branch .LBB265_166
.LBB265_282:
	s_mov_b64 s[4:5], 0
                                        ; implicit-def: $vgpr12
.LBB265_283:
	s_andn2_b64 s[8:9], s[66:67], exec
	s_and_b64 s[6:7], s[6:7], exec
	s_or_b64 s[70:71], s[8:9], s[6:7]
	s_orn2_b64 s[10:11], s[4:5], exec
.LBB265_284:
	s_or_b64 exec, exec, s[72:73]
	s_mov_b64 s[4:5], 0
	s_mov_b64 s[8:9], 0
                                        ; implicit-def: $sgpr6_sgpr7
                                        ; implicit-def: $sgpr16
                                        ; implicit-def: $vgpr0_vgpr1
	s_and_saveexec_b64 s[72:73], s[10:11]
	s_cbranch_execz .LBB265_525
; %bb.285:
	v_cmp_gt_i32_e32 vcc, s78, v12
	s_mov_b64 s[8:9], -1
	s_mov_b64 s[76:77], s[70:71]
	s_and_saveexec_b64 s[74:75], vcc
	s_cbranch_execz .LBB265_429
; %bb.286:
	s_andn2_b64 vcc, exec, s[52:53]
	s_cbranch_vccnz .LBB265_291
; %bb.287:
	s_andn2_b64 vcc, exec, s[64:65]
	s_cbranch_vccnz .LBB265_292
; %bb.288:
	s_add_i32 s29, s83, 1
	s_cmp_eq_u32 s80, 2
	s_cbranch_scc1 .LBB265_293
; %bb.289:
	s_and_b32 s28, s29, 28
	v_mov_b32_e32 v4, 0
	s_mov_b32 s30, 0
	s_mov_b64 s[24:25], s[48:49]
	s_mov_b64 s[26:27], s[62:63]
	v_mov_b32_e32 v10, 0
	v_mov_b32_e32 v0, v12
.LBB265_290:                            ; =>This Inner Loop Header: Depth=1
	s_load_dwordx8 s[12:19], s[24:25], 0x4
	s_load_dwordx4 s[20:23], s[24:25], 0x24
	s_load_dwordx8 s[4:11], s[26:27], 0x0
	s_add_u32 s24, s24, 48
	s_addc_u32 s25, s25, 0
	s_waitcnt lgkmcnt(0)
	v_mul_hi_u32 v1, s13, v0
	s_add_i32 s30, s30, 4
	s_add_u32 s26, s26, 32
	s_addc_u32 s27, s27, 0
	v_add_u32_e32 v1, v0, v1
	v_lshrrev_b32_e32 v1, s14, v1
	v_mul_lo_u32 v2, v1, s12
	v_mul_hi_u32 v3, s16, v1
	s_cmp_eq_u32 s28, s30
	v_sub_u32_e32 v0, v0, v2
	v_add_u32_e32 v2, v1, v3
	v_mul_lo_u32 v3, v0, s4
	v_mul_lo_u32 v5, v0, s5
	v_lshrrev_b32_e32 v0, s17, v2
	v_mul_lo_u32 v2, v0, s15
	v_mul_hi_u32 v6, s19, v0
	v_sub_u32_e32 v1, v1, v2
	v_add_u32_e32 v2, v0, v6
	v_lshrrev_b32_e32 v2, s20, v2
	v_mul_hi_u32 v7, s22, v2
	v_mul_lo_u32 v8, v2, s18
	v_mul_lo_u32 v6, v1, s6
	;; [unrolled: 1-line block ×3, first 2 shown]
	v_sub_u32_e32 v8, v0, v8
	v_add_u32_e32 v0, v2, v7
	v_lshrrev_b32_e32 v0, s23, v0
	v_mul_lo_u32 v7, v0, s21
	v_mul_lo_u32 v9, v8, s8
	;; [unrolled: 1-line block ×3, first 2 shown]
	v_add3_u32 v3, v3, v10, v6
	v_sub_u32_e32 v2, v2, v7
	v_mul_lo_u32 v7, v2, s10
	v_mul_lo_u32 v2, v2, s11
	v_add3_u32 v1, v5, v4, v1
	v_add3_u32 v10, v9, v3, v7
	;; [unrolled: 1-line block ×3, first 2 shown]
	s_cbranch_scc0 .LBB265_290
	s_branch .LBB265_294
.LBB265_291:
	s_mov_b64 s[4:5], -1
                                        ; implicit-def: $vgpr10
                                        ; implicit-def: $vgpr4
	s_branch .LBB265_298
.LBB265_292:
	v_mov_b32_e32 v10, 0
	v_mov_b32_e32 v4, 0
	s_branch .LBB265_297
.LBB265_293:
	s_mov_b32 s28, 0
	v_mov_b32_e32 v10, 0
	v_mov_b32_e32 v4, 0
	;; [unrolled: 1-line block ×3, first 2 shown]
.LBB265_294:
	s_and_b32 s8, s29, 3
	s_cmp_eq_u32 s8, 0
	s_cbranch_scc1 .LBB265_297
; %bb.295:
	s_lshl_b32 s4, s28, 3
	s_add_u32 s4, s48, s4
	s_addc_u32 s5, s49, 0
	s_add_u32 s4, s4, 0xc4
	s_addc_u32 s5, s5, 0
	s_mul_i32 s6, s28, 12
	s_add_u32 s6, s48, s6
	s_addc_u32 s7, s49, 0
.LBB265_296:                            ; =>This Inner Loop Header: Depth=1
	s_load_dwordx2 s[10:11], s[6:7], 0x4
	s_load_dword s9, s[6:7], 0xc
	s_load_dwordx2 s[12:13], s[4:5], 0x0
	s_add_u32 s6, s6, 12
	s_addc_u32 s7, s7, 0
	s_waitcnt lgkmcnt(0)
	v_mul_hi_u32 v1, s11, v0
	s_add_u32 s4, s4, 8
	s_addc_u32 s5, s5, 0
	s_add_i32 s8, s8, -1
	v_add_u32_e32 v1, v0, v1
	v_lshrrev_b32_e32 v1, s9, v1
	v_mul_lo_u32 v2, v1, s10
	s_cmp_lg_u32 s8, 0
	v_sub_u32_e32 v0, v0, v2
	v_mad_u64_u32 v[10:11], s[10:11], v0, s12, v[10:11]
	v_mad_u64_u32 v[4:5], s[10:11], v0, s13, v[4:5]
	v_mov_b32_e32 v0, v1
	s_cbranch_scc1 .LBB265_296
.LBB265_297:
	s_mov_b64 s[4:5], 0
.LBB265_298:
	s_andn2_b64 vcc, exec, s[4:5]
	s_cbranch_vccnz .LBB265_301
; %bb.299:
	v_mul_hi_u32 v0, s41, v12
	s_andn2_b64 vcc, exec, s[60:61]
	v_add_u32_e32 v0, v12, v0
	v_lshrrev_b32_e32 v0, s42, v0
	v_mul_lo_u32 v1, v0, s40
	v_sub_u32_e32 v1, v12, v1
	v_mul_lo_u32 v10, v1, s44
	v_mul_lo_u32 v4, v1, s45
	s_cbranch_vccnz .LBB265_301
; %bb.300:
	v_mul_hi_u32 v1, s58, v0
	v_add_u32_e32 v1, v0, v1
	v_lshrrev_b32_e32 v1, s59, v1
	v_mul_lo_u32 v1, v1, s43
	v_sub_u32_e32 v0, v0, v1
	v_mad_u64_u32 v[10:11], s[4:5], v0, s46, v[10:11]
	v_mad_u64_u32 v[4:5], s[4:5], v0, s47, v[4:5]
.LBB265_301:
	s_getpc_b64 s[4:5]
	s_add_u32 s4, s4, _ZN2at6native6invokeINS0_13AUnaryFunctorIN3c1015Float8_e5m2fnuzES4_bNS0_12_GLOBAL__N_116CompareEqFunctorIS4_EEEEj15function_traitsIS8_EEENT1_11result_typeERKT_PrKPcPKT0_PKNS3_10ScalarTypeEi@rel32@lo+4
	s_addc_u32 s5, s5, _ZN2at6native6invokeINS0_13AUnaryFunctorIN3c1015Float8_e5m2fnuzES4_bNS0_12_GLOBAL__N_116CompareEqFunctorIS4_EEEEj15function_traitsIS8_EEENT1_11result_typeERKT_PrKPcPKT0_PKNS3_10ScalarTypeEi@rel32@hi+12
	v_mov_b32_e32 v0, s56
	v_mov_b32_e32 v1, s57
	;; [unrolled: 1-line block ×5, first 2 shown]
	s_swappc_b64 s[30:31], s[4:5]
	v_and_b32_e32 v0, 1, v0
	v_cmp_eq_u32_e64 s[4:5], 1, v0
	v_mov_b32_e32 v1, s37
	s_and_b32 s14, s81, 0xff
	v_add_co_u32_e32 v0, vcc, s36, v10
	s_cmp_lt_i32 s14, 11
	v_addc_co_u32_e32 v1, vcc, 0, v1, vcc
	s_cbranch_scc1 .LBB265_308
; %bb.302:
	s_and_b32 s15, 0xffff, s14
	s_cmp_gt_i32 s15, 25
	s_cbranch_scc0 .LBB265_309
; %bb.303:
	s_cmp_gt_i32 s15, 28
	s_cbranch_scc0 .LBB265_310
; %bb.304:
	s_cmp_gt_i32 s15, 43
	s_cbranch_scc0 .LBB265_313
; %bb.305:
	s_cmp_gt_i32 s15, 45
	s_cbranch_scc0 .LBB265_316
; %bb.306:
	s_mov_b64 s[10:11], 0
	s_mov_b64 s[6:7], -1
	s_cmp_eq_u32 s15, 46
	s_mov_b64 s[8:9], 0
	s_cbranch_scc0 .LBB265_317
; %bb.307:
	v_cndmask_b32_e64 v2, 0, 1.0, s[4:5]
	v_bfe_u32 v3, v2, 16, 1
	s_movk_i32 s6, 0x7fff
	v_add3_u32 v2, v2, v3, s6
	v_lshrrev_b32_e32 v2, 16, v2
	global_store_dword v[0:1], v2, off
	s_mov_b64 s[8:9], -1
	s_mov_b64 s[6:7], 0
	s_branch .LBB265_317
.LBB265_308:
	s_mov_b64 s[10:11], -1
	s_mov_b64 s[8:9], 0
	s_mov_b64 s[6:7], s[70:71]
	s_branch .LBB265_386
.LBB265_309:
	s_mov_b64 s[10:11], -1
	s_mov_b64 s[8:9], 0
	s_mov_b64 s[6:7], s[70:71]
	s_branch .LBB265_344
.LBB265_310:
	s_mov_b64 s[10:11], -1
	s_mov_b64 s[8:9], 0
	s_mov_b64 s[6:7], s[70:71]
	s_branch .LBB265_327
.LBB265_311:
	s_andn2_saveexec_b64 s[12:13], s[12:13]
	s_cbranch_execz .LBB265_196
.LBB265_312:
	v_add_f32_e32 v2, 0x46000000, v3
	v_and_b32_e32 v2, 0xff, v2
	v_cmp_ne_u32_e32 vcc, 0, v2
	s_andn2_b64 s[10:11], s[10:11], exec
	s_and_b64 s[16:17], vcc, exec
	s_or_b64 s[10:11], s[10:11], s[16:17]
	s_or_b64 exec, exec, s[12:13]
	v_mov_b32_e32 v4, 0
	s_and_saveexec_b64 s[12:13], s[10:11]
	s_cbranch_execnz .LBB265_197
	s_branch .LBB265_198
.LBB265_313:
	s_mov_b64 s[10:11], -1
	s_mov_b64 s[8:9], 0
	s_mov_b64 s[6:7], s[70:71]
	s_branch .LBB265_323
.LBB265_314:
	s_andn2_saveexec_b64 s[12:13], s[12:13]
	s_cbranch_execz .LBB265_209
.LBB265_315:
	v_add_f32_e32 v2, 0x42800000, v3
	v_and_b32_e32 v2, 0xff, v2
	v_cmp_ne_u32_e32 vcc, 0, v2
	s_andn2_b64 s[10:11], s[10:11], exec
	s_and_b64 s[16:17], vcc, exec
	s_or_b64 s[10:11], s[10:11], s[16:17]
	s_or_b64 exec, exec, s[12:13]
	v_mov_b32_e32 v4, 0
	s_and_saveexec_b64 s[12:13], s[10:11]
	s_cbranch_execnz .LBB265_210
	s_branch .LBB265_211
.LBB265_316:
	s_mov_b64 s[10:11], -1
	s_mov_b64 s[8:9], 0
	s_mov_b64 s[6:7], s[70:71]
.LBB265_317:
	s_and_b64 vcc, exec, s[10:11]
	s_cbranch_vccz .LBB265_322
; %bb.318:
	s_cmp_eq_u32 s15, 44
	s_mov_b64 s[6:7], -1
	s_cbranch_scc0 .LBB265_322
; %bb.319:
	v_cndmask_b32_e64 v3, 0, 1.0, s[4:5]
	v_lshrrev_b32_e32 v2, 23, v3
	s_movk_i32 s6, 0xff
	v_cmp_ne_u32_e32 vcc, s6, v2
	v_mov_b32_e32 v4, 0xff
	s_and_saveexec_b64 s[8:9], vcc
; %bb.320:
	s_mov_b32 s6, 0x3fffff
	v_and_b32_e32 v4, 0x400000, v3
	v_and_or_b32 v3, v3, s6, v2
	v_cmp_ne_u32_e32 vcc, 0, v4
	v_cmp_ne_u32_e64 s[6:7], 0, v3
	s_and_b64 s[6:7], vcc, s[6:7]
	v_cndmask_b32_e64 v3, 0, 1, s[6:7]
	v_add_u32_e32 v4, v2, v3
; %bb.321:
	s_or_b64 exec, exec, s[8:9]
	s_mov_b64 s[8:9], -1
	s_mov_b64 s[6:7], 0
	global_store_byte v[0:1], v4, off
.LBB265_322:
	s_mov_b64 s[10:11], 0
.LBB265_323:
	s_and_b64 vcc, exec, s[10:11]
	s_cbranch_vccz .LBB265_326
; %bb.324:
	s_cmp_eq_u32 s15, 29
	s_mov_b64 s[6:7], -1
	s_cbranch_scc0 .LBB265_326
; %bb.325:
	s_mov_b32 s6, 0
	v_cndmask_b32_e64 v2, 0, 1, s[4:5]
	v_mov_b32_e32 v3, s6
	global_store_dwordx2 v[0:1], v[2:3], off
	s_mov_b64 s[8:9], -1
	s_mov_b64 s[6:7], 0
.LBB265_326:
	s_mov_b64 s[10:11], 0
.LBB265_327:
	s_and_b64 vcc, exec, s[10:11]
	s_cbranch_vccz .LBB265_343
; %bb.328:
	s_cmp_lt_i32 s15, 27
	s_mov_b64 s[8:9], -1
	s_cbranch_scc1 .LBB265_334
; %bb.329:
	s_cmp_gt_i32 s15, 27
	s_cbranch_scc0 .LBB265_331
; %bb.330:
	v_cndmask_b32_e64 v2, 0, 1, s[4:5]
	s_mov_b64 s[8:9], 0
	global_store_dword v[0:1], v2, off
.LBB265_331:
	s_andn2_b64 vcc, exec, s[8:9]
	s_cbranch_vccnz .LBB265_333
; %bb.332:
	v_cndmask_b32_e64 v2, 0, 1, s[4:5]
	global_store_short v[0:1], v2, off
.LBB265_333:
	s_mov_b64 s[8:9], 0
.LBB265_334:
	s_andn2_b64 vcc, exec, s[8:9]
	s_cbranch_vccnz .LBB265_342
; %bb.335:
	v_cndmask_b32_e64 v3, 0, 1.0, s[4:5]
	s_mov_b32 s8, 0x43800000
	v_cmp_gt_u32_e32 vcc, s8, v3
	v_mov_b32_e32 v4, 0x80
	s_and_saveexec_b64 s[8:9], vcc
	s_cbranch_execz .LBB265_341
; %bb.336:
	s_mov_b32 s10, 0x3bffffff
	v_cmp_lt_u32_e32 vcc, s10, v3
	s_mov_b64 s[10:11], 0
                                        ; implicit-def: $vgpr2
	s_and_saveexec_b64 s[12:13], vcc
	s_xor_b64 s[12:13], exec, s[12:13]
	s_cbranch_execz .LBB265_1112
; %bb.337:
	v_bfe_u32 v2, v3, 20, 1
	s_mov_b32 s16, 0x487ffff
	v_add3_u32 v2, v3, v2, s16
	s_mov_b64 s[10:11], exec
	v_lshrrev_b32_e32 v2, 20, v2
                                        ; implicit-def: $vgpr3
	s_andn2_saveexec_b64 s[12:13], s[12:13]
	s_cbranch_execnz .LBB265_1113
.LBB265_338:
	s_or_b64 exec, exec, s[12:13]
	v_mov_b32_e32 v4, 0
	s_and_saveexec_b64 s[12:13], s[10:11]
.LBB265_339:
	v_mov_b32_e32 v4, v2
.LBB265_340:
	s_or_b64 exec, exec, s[12:13]
.LBB265_341:
	s_or_b64 exec, exec, s[8:9]
	global_store_byte v[0:1], v4, off
.LBB265_342:
	s_mov_b64 s[8:9], -1
.LBB265_343:
	s_mov_b64 s[10:11], 0
.LBB265_344:
	s_and_b64 vcc, exec, s[10:11]
	s_cbranch_vccz .LBB265_385
; %bb.345:
	s_cmp_gt_i32 s15, 22
	s_mov_b64 s[10:11], -1
	s_cbranch_scc0 .LBB265_377
; %bb.346:
	s_cmp_lt_i32 s15, 24
	s_mov_b64 s[8:9], -1
	s_cbranch_scc1 .LBB265_366
; %bb.347:
	s_cmp_gt_i32 s15, 24
	s_cbranch_scc0 .LBB265_355
; %bb.348:
	v_cndmask_b32_e64 v3, 0, 1.0, s[4:5]
	s_mov_b32 s8, 0x47800000
	v_cmp_gt_u32_e32 vcc, s8, v3
	v_mov_b32_e32 v4, 0x80
	s_and_saveexec_b64 s[8:9], vcc
	s_cbranch_execz .LBB265_354
; %bb.349:
	s_mov_b32 s10, 0x37ffffff
	v_cmp_lt_u32_e32 vcc, s10, v3
	s_mov_b64 s[10:11], 0
                                        ; implicit-def: $vgpr2
	s_and_saveexec_b64 s[12:13], vcc
	s_xor_b64 s[12:13], exec, s[12:13]
	s_cbranch_execz .LBB265_1119
; %bb.350:
	v_bfe_u32 v2, v3, 21, 1
	s_mov_b32 s16, 0x88fffff
	v_add3_u32 v2, v3, v2, s16
	s_mov_b64 s[10:11], exec
	v_lshrrev_b32_e32 v2, 21, v2
                                        ; implicit-def: $vgpr3
	s_andn2_saveexec_b64 s[12:13], s[12:13]
	s_cbranch_execnz .LBB265_1120
.LBB265_351:
	s_or_b64 exec, exec, s[12:13]
	v_mov_b32_e32 v4, 0
	s_and_saveexec_b64 s[12:13], s[10:11]
.LBB265_352:
	v_mov_b32_e32 v4, v2
.LBB265_353:
	s_or_b64 exec, exec, s[12:13]
.LBB265_354:
	s_or_b64 exec, exec, s[8:9]
	s_mov_b64 s[8:9], 0
	global_store_byte v[0:1], v4, off
.LBB265_355:
	s_and_b64 vcc, exec, s[8:9]
	s_cbranch_vccz .LBB265_365
; %bb.356:
	v_cndmask_b32_e64 v2, 0, 1.0, s[4:5]
	s_mov_b32 s8, 0x43f00000
	v_cmp_gt_u32_e32 vcc, s8, v2
                                        ; implicit-def: $vgpr3
	s_and_saveexec_b64 s[8:9], vcc
	s_xor_b64 s[8:9], exec, s[8:9]
	s_cbranch_execz .LBB265_362
; %bb.357:
	s_mov_b32 s10, 0x3c7fffff
	v_cmp_lt_u32_e32 vcc, s10, v2
                                        ; implicit-def: $vgpr3
	s_and_saveexec_b64 s[10:11], vcc
	s_xor_b64 s[10:11], exec, s[10:11]
; %bb.358:
	v_bfe_u32 v3, v2, 20, 1
	s_mov_b32 s12, 0x407ffff
	v_add3_u32 v2, v2, v3, s12
	v_lshrrev_b32_e32 v3, 20, v2
	v_and_b32_e32 v2, 0xff00000, v2
	s_mov_b32 s12, 0x7f00000
	v_mov_b32_e32 v4, 0x7e
	v_cmp_ne_u32_e32 vcc, s12, v2
	v_cndmask_b32_e32 v3, v4, v3, vcc
                                        ; implicit-def: $vgpr2
; %bb.359:
	s_andn2_saveexec_b64 s[10:11], s[10:11]
; %bb.360:
	v_add_f32_e32 v3, 0x46800000, v2
; %bb.361:
	s_or_b64 exec, exec, s[10:11]
                                        ; implicit-def: $vgpr2
.LBB265_362:
	s_andn2_saveexec_b64 s[8:9], s[8:9]
; %bb.363:
	s_mov_b32 s10, 0x7f800000
	v_mov_b32_e32 v3, 0x7e
	v_mov_b32_e32 v4, 0x7f
	v_cmp_lt_u32_e32 vcc, s10, v2
	v_cndmask_b32_e32 v3, v3, v4, vcc
; %bb.364:
	s_or_b64 exec, exec, s[8:9]
	global_store_byte v[0:1], v3, off
.LBB265_365:
	s_mov_b64 s[8:9], 0
.LBB265_366:
	s_andn2_b64 vcc, exec, s[8:9]
	s_cbranch_vccnz .LBB265_376
; %bb.367:
	v_cndmask_b32_e64 v2, 0, 1.0, s[4:5]
	s_mov_b32 s8, 0x47800000
	v_cmp_gt_u32_e32 vcc, s8, v2
                                        ; implicit-def: $vgpr3
	s_and_saveexec_b64 s[8:9], vcc
	s_xor_b64 s[8:9], exec, s[8:9]
	s_cbranch_execz .LBB265_373
; %bb.368:
	s_mov_b32 s10, 0x387fffff
	v_cmp_lt_u32_e32 vcc, s10, v2
                                        ; implicit-def: $vgpr3
	s_and_saveexec_b64 s[10:11], vcc
	s_xor_b64 s[10:11], exec, s[10:11]
; %bb.369:
	v_bfe_u32 v3, v2, 21, 1
	s_mov_b32 s12, 0x80fffff
	v_add3_u32 v2, v2, v3, s12
	v_lshrrev_b32_e32 v3, 21, v2
                                        ; implicit-def: $vgpr2
; %bb.370:
	s_andn2_saveexec_b64 s[10:11], s[10:11]
; %bb.371:
	v_add_f32_e32 v3, 0x43000000, v2
; %bb.372:
	s_or_b64 exec, exec, s[10:11]
                                        ; implicit-def: $vgpr2
.LBB265_373:
	s_andn2_saveexec_b64 s[8:9], s[8:9]
; %bb.374:
	s_mov_b32 s10, 0x7f800000
	v_mov_b32_e32 v3, 0x7c
	v_mov_b32_e32 v4, 0x7f
	v_cmp_lt_u32_e32 vcc, s10, v2
	v_cndmask_b32_e32 v3, v3, v4, vcc
; %bb.375:
	s_or_b64 exec, exec, s[8:9]
	global_store_byte v[0:1], v3, off
.LBB265_376:
	s_mov_b64 s[10:11], 0
	s_mov_b64 s[8:9], -1
.LBB265_377:
	s_andn2_b64 vcc, exec, s[10:11]
	s_cbranch_vccnz .LBB265_385
; %bb.378:
	s_cmp_gt_i32 s15, 14
	s_mov_b64 s[10:11], -1
	s_cbranch_scc0 .LBB265_382
; %bb.379:
	s_cmp_eq_u32 s15, 15
	s_mov_b64 s[6:7], -1
	s_cbranch_scc0 .LBB265_381
; %bb.380:
	v_cndmask_b32_e64 v2, 0, 1.0, s[4:5]
	v_bfe_u32 v3, v2, 16, 1
	s_movk_i32 s6, 0x7fff
	v_add3_u32 v2, v2, v3, s6
	global_store_short_d16_hi v[0:1], v2, off
	s_mov_b64 s[8:9], -1
	s_mov_b64 s[6:7], 0
.LBB265_381:
	s_mov_b64 s[10:11], 0
.LBB265_382:
	s_and_b64 vcc, exec, s[10:11]
	s_cbranch_vccz .LBB265_385
; %bb.383:
	s_cmp_eq_u32 s15, 11
	s_mov_b64 s[6:7], -1
	s_cbranch_scc0 .LBB265_385
; %bb.384:
	v_cndmask_b32_e64 v2, 0, 1, s[4:5]
	s_mov_b64 s[8:9], -1
	s_mov_b64 s[6:7], 0
	global_store_byte v[0:1], v2, off
.LBB265_385:
	s_mov_b64 s[10:11], 0
.LBB265_386:
	s_and_b64 vcc, exec, s[10:11]
	s_cbranch_vccz .LBB265_425
; %bb.387:
	s_and_b32 s10, 0xffff, s14
	s_cmp_lt_i32 s10, 5
	s_mov_b64 s[8:9], -1
	s_cbranch_scc1 .LBB265_408
; %bb.388:
	s_cmp_lt_i32 s10, 8
	s_cbranch_scc1 .LBB265_398
; %bb.389:
	s_cmp_lt_i32 s10, 9
	s_cbranch_scc1 .LBB265_395
; %bb.390:
	s_cmp_gt_i32 s10, 9
	s_cbranch_scc0 .LBB265_392
; %bb.391:
	v_cndmask_b32_e64 v2, 0, 1, s[4:5]
	v_cvt_f64_u32_e32 v[2:3], v2
	v_mov_b32_e32 v4, 0
	v_mov_b32_e32 v5, v4
	s_mov_b64 s[8:9], 0
	global_store_dwordx4 v[0:1], v[2:5], off
.LBB265_392:
	s_andn2_b64 vcc, exec, s[8:9]
	s_cbranch_vccnz .LBB265_394
; %bb.393:
	v_cndmask_b32_e64 v2, 0, 1.0, s[4:5]
	v_mov_b32_e32 v3, 0
	global_store_dwordx2 v[0:1], v[2:3], off
.LBB265_394:
	s_mov_b64 s[8:9], 0
.LBB265_395:
	s_andn2_b64 vcc, exec, s[8:9]
	s_cbranch_vccnz .LBB265_397
; %bb.396:
	v_cndmask_b32_e64 v2, 0, 1.0, s[4:5]
	v_cvt_f16_f32_e32 v2, v2
	global_store_dword v[0:1], v2, off
.LBB265_397:
	s_mov_b64 s[8:9], 0
.LBB265_398:
	s_andn2_b64 vcc, exec, s[8:9]
	s_cbranch_vccnz .LBB265_407
; %bb.399:
	s_cmp_lt_i32 s10, 6
	s_mov_b64 s[8:9], -1
	s_cbranch_scc1 .LBB265_405
; %bb.400:
	s_cmp_gt_i32 s10, 6
	s_cbranch_scc0 .LBB265_402
; %bb.401:
	v_cndmask_b32_e64 v2, 0, 1, s[4:5]
	v_cvt_f64_u32_e32 v[2:3], v2
	s_mov_b64 s[8:9], 0
	global_store_dwordx2 v[0:1], v[2:3], off
.LBB265_402:
	s_andn2_b64 vcc, exec, s[8:9]
	s_cbranch_vccnz .LBB265_404
; %bb.403:
	v_cndmask_b32_e64 v2, 0, 1.0, s[4:5]
	global_store_dword v[0:1], v2, off
.LBB265_404:
	s_mov_b64 s[8:9], 0
.LBB265_405:
	s_andn2_b64 vcc, exec, s[8:9]
	s_cbranch_vccnz .LBB265_407
; %bb.406:
	v_cndmask_b32_e64 v2, 0, 1.0, s[4:5]
	v_cvt_f16_f32_e32 v2, v2
	global_store_short v[0:1], v2, off
.LBB265_407:
	s_mov_b64 s[8:9], 0
.LBB265_408:
	s_andn2_b64 vcc, exec, s[8:9]
	s_cbranch_vccnz .LBB265_424
; %bb.409:
	s_cmp_lt_i32 s10, 2
	s_mov_b64 s[8:9], -1
	s_cbranch_scc1 .LBB265_419
; %bb.410:
	s_cmp_lt_i32 s10, 3
	s_cbranch_scc1 .LBB265_416
; %bb.411:
	s_cmp_gt_i32 s10, 3
	s_cbranch_scc0 .LBB265_413
; %bb.412:
	s_mov_b32 s8, 0
	v_cndmask_b32_e64 v2, 0, 1, s[4:5]
	v_mov_b32_e32 v3, s8
	s_mov_b64 s[8:9], 0
	global_store_dwordx2 v[0:1], v[2:3], off
.LBB265_413:
	s_andn2_b64 vcc, exec, s[8:9]
	s_cbranch_vccnz .LBB265_415
; %bb.414:
	v_cndmask_b32_e64 v2, 0, 1, s[4:5]
	global_store_dword v[0:1], v2, off
.LBB265_415:
	s_mov_b64 s[8:9], 0
.LBB265_416:
	s_andn2_b64 vcc, exec, s[8:9]
	s_cbranch_vccnz .LBB265_418
; %bb.417:
	v_cndmask_b32_e64 v2, 0, 1, s[4:5]
	global_store_short v[0:1], v2, off
.LBB265_418:
	s_mov_b64 s[8:9], 0
.LBB265_419:
	s_andn2_b64 vcc, exec, s[8:9]
	s_cbranch_vccnz .LBB265_424
; %bb.420:
	s_mov_b64 s[8:9], -1
	s_cmp_gt_i32 s10, 0
	v_cndmask_b32_e64 v2, 0, 1, s[4:5]
	s_cbranch_scc0 .LBB265_422
; %bb.421:
	s_mov_b64 s[8:9], 0
	global_store_byte v[0:1], v2, off
.LBB265_422:
	s_andn2_b64 vcc, exec, s[8:9]
	s_cbranch_vccnz .LBB265_424
; %bb.423:
	global_store_byte v[0:1], v2, off
.LBB265_424:
	s_mov_b64 s[8:9], -1
.LBB265_425:
	s_andn2_b64 vcc, exec, s[8:9]
	s_cbranch_vccnz .LBB265_427
; %bb.426:
	v_add_u32_e32 v12, 0x80, v12
	s_mov_b64 s[4:5], -1
	s_branch .LBB265_428
.LBB265_427:
	s_mov_b64 s[4:5], 0
                                        ; implicit-def: $vgpr12
.LBB265_428:
	s_andn2_b64 s[8:9], s[70:71], exec
	s_and_b64 s[6:7], s[6:7], exec
	s_or_b64 s[76:77], s[8:9], s[6:7]
	s_orn2_b64 s[8:9], s[4:5], exec
.LBB265_429:
	s_or_b64 exec, exec, s[74:75]
	s_mov_b64 s[4:5], 0
	s_mov_b64 s[12:13], 0
                                        ; implicit-def: $sgpr6_sgpr7
                                        ; implicit-def: $sgpr16
                                        ; implicit-def: $vgpr0_vgpr1
	s_and_saveexec_b64 s[74:75], s[8:9]
	s_cbranch_execz .LBB265_524
; %bb.430:
	v_cmp_gt_i32_e32 vcc, s78, v12
	s_mov_b64 s[8:9], 0
	s_mov_b64 s[10:11], s[76:77]
                                        ; implicit-def: $sgpr6_sgpr7
                                        ; implicit-def: $sgpr16
                                        ; implicit-def: $vgpr0_vgpr1
	s_and_saveexec_b64 s[78:79], vcc
	s_cbranch_execz .LBB265_523
; %bb.431:
	s_andn2_b64 vcc, exec, s[52:53]
	s_cbranch_vccnz .LBB265_436
; %bb.432:
	s_andn2_b64 vcc, exec, s[64:65]
	s_cbranch_vccnz .LBB265_437
; %bb.433:
	s_add_i32 s83, s83, 1
	s_cmp_eq_u32 s80, 2
	s_cbranch_scc1 .LBB265_438
; %bb.434:
	s_and_b32 s26, s83, 28
	v_mov_b32_e32 v4, 0
	s_mov_b32 s27, 0
	s_mov_b64 s[24:25], s[48:49]
	v_mov_b32_e32 v10, 0
	v_mov_b32_e32 v0, v12
.LBB265_435:                            ; =>This Inner Loop Header: Depth=1
	s_load_dwordx8 s[12:19], s[24:25], 0x4
	s_load_dwordx4 s[20:23], s[24:25], 0x24
	s_load_dwordx8 s[4:11], s[62:63], 0x0
	s_add_u32 s24, s24, 48
	s_addc_u32 s25, s25, 0
	s_waitcnt lgkmcnt(0)
	v_mul_hi_u32 v1, s13, v0
	s_add_i32 s27, s27, 4
	s_add_u32 s62, s62, 32
	s_addc_u32 s63, s63, 0
	v_add_u32_e32 v1, v0, v1
	v_lshrrev_b32_e32 v1, s14, v1
	v_mul_lo_u32 v2, v1, s12
	v_mul_hi_u32 v3, s16, v1
	s_cmp_eq_u32 s26, s27
	v_sub_u32_e32 v0, v0, v2
	v_add_u32_e32 v2, v1, v3
	v_mul_lo_u32 v3, v0, s4
	v_mul_lo_u32 v5, v0, s5
	v_lshrrev_b32_e32 v0, s17, v2
	v_mul_lo_u32 v2, v0, s15
	v_mul_hi_u32 v6, s19, v0
	v_sub_u32_e32 v1, v1, v2
	v_add_u32_e32 v2, v0, v6
	v_lshrrev_b32_e32 v2, s20, v2
	v_mul_hi_u32 v7, s22, v2
	v_mul_lo_u32 v8, v2, s18
	v_mul_lo_u32 v6, v1, s6
	;; [unrolled: 1-line block ×3, first 2 shown]
	v_sub_u32_e32 v8, v0, v8
	v_add_u32_e32 v0, v2, v7
	v_lshrrev_b32_e32 v0, s23, v0
	v_mul_lo_u32 v7, v0, s21
	v_mul_lo_u32 v9, v8, s8
	;; [unrolled: 1-line block ×3, first 2 shown]
	v_add3_u32 v3, v3, v10, v6
	v_sub_u32_e32 v2, v2, v7
	v_mul_lo_u32 v7, v2, s10
	v_mul_lo_u32 v2, v2, s11
	v_add3_u32 v1, v5, v4, v1
	v_add3_u32 v10, v9, v3, v7
	;; [unrolled: 1-line block ×3, first 2 shown]
	s_cbranch_scc0 .LBB265_435
	s_branch .LBB265_439
.LBB265_436:
	s_mov_b64 s[4:5], -1
                                        ; implicit-def: $vgpr10
                                        ; implicit-def: $vgpr4
	s_branch .LBB265_443
.LBB265_437:
	v_mov_b32_e32 v10, 0
	v_mov_b32_e32 v4, 0
	s_branch .LBB265_442
.LBB265_438:
	s_mov_b32 s26, 0
	v_mov_b32_e32 v10, 0
	v_mov_b32_e32 v4, 0
	;; [unrolled: 1-line block ×3, first 2 shown]
.LBB265_439:
	s_and_b32 s8, s83, 3
	s_cmp_eq_u32 s8, 0
	s_cbranch_scc1 .LBB265_442
; %bb.440:
	s_lshl_b32 s4, s26, 3
	s_add_u32 s4, s48, s4
	s_addc_u32 s5, s49, 0
	s_add_u32 s4, s4, 0xc4
	s_addc_u32 s5, s5, 0
	s_mul_i32 s6, s26, 12
	s_add_u32 s6, s48, s6
	s_addc_u32 s7, s49, 0
.LBB265_441:                            ; =>This Inner Loop Header: Depth=1
	s_load_dwordx2 s[10:11], s[6:7], 0x4
	s_load_dword s9, s[6:7], 0xc
	s_load_dwordx2 s[12:13], s[4:5], 0x0
	s_add_u32 s6, s6, 12
	s_addc_u32 s7, s7, 0
	s_waitcnt lgkmcnt(0)
	v_mul_hi_u32 v1, s11, v0
	s_add_u32 s4, s4, 8
	s_addc_u32 s5, s5, 0
	s_add_i32 s8, s8, -1
	v_add_u32_e32 v1, v0, v1
	v_lshrrev_b32_e32 v1, s9, v1
	v_mul_lo_u32 v2, v1, s10
	s_cmp_lg_u32 s8, 0
	v_sub_u32_e32 v0, v0, v2
	v_mad_u64_u32 v[10:11], s[10:11], v0, s12, v[10:11]
	v_mad_u64_u32 v[4:5], s[10:11], v0, s13, v[4:5]
	v_mov_b32_e32 v0, v1
	s_cbranch_scc1 .LBB265_441
.LBB265_442:
	s_mov_b64 s[4:5], 0
.LBB265_443:
	s_andn2_b64 vcc, exec, s[4:5]
	s_cbranch_vccnz .LBB265_446
; %bb.444:
	v_mul_hi_u32 v0, s41, v12
	s_andn2_b64 vcc, exec, s[60:61]
	v_add_u32_e32 v0, v12, v0
	v_lshrrev_b32_e32 v0, s42, v0
	v_mul_lo_u32 v1, v0, s40
	v_sub_u32_e32 v1, v12, v1
	v_mul_lo_u32 v10, v1, s44
	v_mul_lo_u32 v4, v1, s45
	s_cbranch_vccnz .LBB265_446
; %bb.445:
	v_mul_hi_u32 v1, s58, v0
	v_add_u32_e32 v1, v0, v1
	v_lshrrev_b32_e32 v1, s59, v1
	v_mul_lo_u32 v1, v1, s43
	v_sub_u32_e32 v0, v0, v1
	v_mad_u64_u32 v[10:11], s[4:5], v0, s46, v[10:11]
	v_mad_u64_u32 v[4:5], s[4:5], v0, s47, v[4:5]
.LBB265_446:
	s_getpc_b64 s[4:5]
	s_add_u32 s4, s4, _ZN2at6native6invokeINS0_13AUnaryFunctorIN3c1015Float8_e5m2fnuzES4_bNS0_12_GLOBAL__N_116CompareEqFunctorIS4_EEEEj15function_traitsIS8_EEENT1_11result_typeERKT_PrKPcPKT0_PKNS3_10ScalarTypeEi@rel32@lo+4
	s_addc_u32 s5, s5, _ZN2at6native6invokeINS0_13AUnaryFunctorIN3c1015Float8_e5m2fnuzES4_bNS0_12_GLOBAL__N_116CompareEqFunctorIS4_EEEEj15function_traitsIS8_EEENT1_11result_typeERKT_PrKPcPKT0_PKNS3_10ScalarTypeEi@rel32@hi+12
	v_mov_b32_e32 v0, s56
	v_mov_b32_e32 v1, s57
	;; [unrolled: 1-line block ×5, first 2 shown]
	s_swappc_b64 s[30:31], s[4:5]
	v_and_b32_e32 v0, 1, v0
	v_cmp_eq_u32_e64 s[6:7], 1, v0
	v_mov_b32_e32 v1, s37
	s_and_b32 s16, s81, 0xff
	v_add_co_u32_e32 v0, vcc, s36, v10
	s_cmp_lt_i32 s16, 11
	v_addc_co_u32_e32 v1, vcc, 0, v1, vcc
	s_cbranch_scc1 .LBB265_520
; %bb.447:
	s_and_b32 s17, 0xffff, s16
	s_mov_b64 s[10:11], -1
	s_cmp_gt_i32 s17, 25
	s_mov_b64 s[4:5], s[76:77]
	s_cbranch_scc0 .LBB265_480
; %bb.448:
	s_mov_b64 s[8:9], -1
	s_cmp_gt_i32 s17, 28
	s_mov_b64 s[4:5], s[76:77]
	s_cbranch_scc0 .LBB265_464
; %bb.449:
	s_cmp_gt_i32 s17, 43
	s_mov_b64 s[4:5], s[76:77]
	s_cbranch_scc0 .LBB265_460
; %bb.450:
	;; [unrolled: 4-line block ×3, first 2 shown]
	s_cmp_eq_u32 s17, 46
	s_mov_b64 s[4:5], -1
	s_cbranch_scc0 .LBB265_453
; %bb.452:
	v_cndmask_b32_e64 v2, 0, 1.0, s[6:7]
	v_bfe_u32 v3, v2, 16, 1
	s_movk_i32 s4, 0x7fff
	v_add3_u32 v2, v2, v3, s4
	v_lshrrev_b32_e32 v2, 16, v2
	global_store_dword v[0:1], v2, off
	s_mov_b64 s[4:5], 0
.LBB265_453:
	s_mov_b64 s[8:9], 0
.LBB265_454:
	s_and_b64 vcc, exec, s[8:9]
	s_cbranch_vccz .LBB265_459
; %bb.455:
	s_cmp_eq_u32 s17, 44
	s_mov_b64 s[4:5], -1
	s_cbranch_scc0 .LBB265_459
; %bb.456:
	v_cndmask_b32_e64 v3, 0, 1.0, s[6:7]
	v_lshrrev_b32_e32 v2, 23, v3
	s_movk_i32 s4, 0xff
	v_cmp_ne_u32_e32 vcc, s4, v2
	v_mov_b32_e32 v4, 0xff
	s_and_saveexec_b64 s[8:9], vcc
; %bb.457:
	s_mov_b32 s4, 0x3fffff
	v_and_b32_e32 v4, 0x400000, v3
	v_and_or_b32 v3, v3, s4, v2
	v_cmp_ne_u32_e32 vcc, 0, v4
	v_cmp_ne_u32_e64 s[4:5], 0, v3
	s_and_b64 s[4:5], vcc, s[4:5]
	v_cndmask_b32_e64 v3, 0, 1, s[4:5]
	v_add_u32_e32 v4, v2, v3
; %bb.458:
	s_or_b64 exec, exec, s[8:9]
	s_mov_b64 s[4:5], 0
	global_store_byte v[0:1], v4, off
.LBB265_459:
	s_mov_b64 s[8:9], 0
.LBB265_460:
	s_and_b64 vcc, exec, s[8:9]
	s_cbranch_vccz .LBB265_463
; %bb.461:
	s_cmp_eq_u32 s17, 29
	s_mov_b64 s[4:5], -1
	s_cbranch_scc0 .LBB265_463
; %bb.462:
	s_mov_b32 s4, 0
	v_cndmask_b32_e64 v2, 0, 1, s[6:7]
	v_mov_b32_e32 v3, s4
	global_store_dwordx2 v[0:1], v[2:3], off
	s_mov_b64 s[4:5], 0
.LBB265_463:
	s_mov_b64 s[8:9], 0
.LBB265_464:
	s_and_b64 vcc, exec, s[8:9]
	s_cbranch_vccz .LBB265_479
; %bb.465:
	s_cmp_lt_i32 s17, 27
	s_mov_b64 s[8:9], -1
	s_cbranch_scc1 .LBB265_471
; %bb.466:
	s_cmp_gt_i32 s17, 27
	v_cndmask_b32_e64 v2, 0, 1, s[6:7]
	s_cbranch_scc0 .LBB265_468
; %bb.467:
	s_mov_b64 s[8:9], 0
	global_store_dword v[0:1], v2, off
.LBB265_468:
	s_andn2_b64 vcc, exec, s[8:9]
	s_cbranch_vccnz .LBB265_470
; %bb.469:
	global_store_short v[0:1], v2, off
.LBB265_470:
	s_mov_b64 s[8:9], 0
.LBB265_471:
	s_andn2_b64 vcc, exec, s[8:9]
	s_cbranch_vccnz .LBB265_479
; %bb.472:
	v_cndmask_b32_e64 v3, 0, 1.0, s[6:7]
	s_mov_b32 s8, 0x43800000
	v_cmp_gt_u32_e32 vcc, s8, v3
	v_mov_b32_e32 v4, 0x80
	s_and_saveexec_b64 s[8:9], vcc
	s_cbranch_execz .LBB265_478
; %bb.473:
	s_mov_b32 s10, 0x3bffffff
	v_cmp_lt_u32_e32 vcc, s10, v3
	s_mov_b64 s[10:11], 0
                                        ; implicit-def: $vgpr2
	s_and_saveexec_b64 s[12:13], vcc
	s_xor_b64 s[12:13], exec, s[12:13]
	s_cbranch_execz .LBB265_1121
; %bb.474:
	v_bfe_u32 v2, v3, 20, 1
	s_mov_b32 s14, 0x487ffff
	v_add3_u32 v2, v3, v2, s14
	s_mov_b64 s[10:11], exec
	v_lshrrev_b32_e32 v2, 20, v2
                                        ; implicit-def: $vgpr3
	s_andn2_saveexec_b64 s[12:13], s[12:13]
	s_cbranch_execnz .LBB265_1122
.LBB265_475:
	s_or_b64 exec, exec, s[12:13]
	v_mov_b32_e32 v4, 0
	s_and_saveexec_b64 s[12:13], s[10:11]
.LBB265_476:
	v_mov_b32_e32 v4, v2
.LBB265_477:
	s_or_b64 exec, exec, s[12:13]
.LBB265_478:
	s_or_b64 exec, exec, s[8:9]
	global_store_byte v[0:1], v4, off
.LBB265_479:
	s_mov_b64 s[10:11], 0
.LBB265_480:
	s_mov_b64 s[8:9], 0
	s_and_b64 vcc, exec, s[10:11]
	s_cbranch_vccz .LBB265_521
; %bb.481:
	s_cmp_gt_i32 s17, 22
	s_mov_b64 s[10:11], -1
	s_cbranch_scc0 .LBB265_513
; %bb.482:
	s_cmp_lt_i32 s17, 24
	s_cbranch_scc1 .LBB265_502
; %bb.483:
	s_cmp_gt_i32 s17, 24
	s_cbranch_scc0 .LBB265_491
; %bb.484:
	v_cndmask_b32_e64 v3, 0, 1.0, s[6:7]
	s_mov_b32 s10, 0x47800000
	v_cmp_gt_u32_e32 vcc, s10, v3
	v_mov_b32_e32 v4, 0x80
	s_and_saveexec_b64 s[10:11], vcc
	s_cbranch_execz .LBB265_490
; %bb.485:
	s_mov_b32 s12, 0x37ffffff
	v_cmp_lt_u32_e32 vcc, s12, v3
	s_mov_b64 s[12:13], 0
                                        ; implicit-def: $vgpr2
	s_and_saveexec_b64 s[14:15], vcc
	s_xor_b64 s[14:15], exec, s[14:15]
	s_cbranch_execz .LBB265_1125
; %bb.486:
	v_bfe_u32 v2, v3, 21, 1
	s_mov_b32 s18, 0x88fffff
	v_add3_u32 v2, v3, v2, s18
	s_mov_b64 s[12:13], exec
	v_lshrrev_b32_e32 v2, 21, v2
                                        ; implicit-def: $vgpr3
	s_andn2_saveexec_b64 s[14:15], s[14:15]
	s_cbranch_execnz .LBB265_1126
.LBB265_487:
	s_or_b64 exec, exec, s[14:15]
	v_mov_b32_e32 v4, 0
	s_and_saveexec_b64 s[14:15], s[12:13]
.LBB265_488:
	v_mov_b32_e32 v4, v2
.LBB265_489:
	s_or_b64 exec, exec, s[14:15]
.LBB265_490:
	s_or_b64 exec, exec, s[10:11]
	s_mov_b64 s[10:11], 0
	global_store_byte v[0:1], v4, off
.LBB265_491:
	s_and_b64 vcc, exec, s[10:11]
	s_cbranch_vccz .LBB265_501
; %bb.492:
	v_cndmask_b32_e64 v2, 0, 1.0, s[6:7]
	s_mov_b32 s10, 0x43f00000
	v_cmp_gt_u32_e32 vcc, s10, v2
                                        ; implicit-def: $vgpr3
	s_and_saveexec_b64 s[10:11], vcc
	s_xor_b64 s[10:11], exec, s[10:11]
	s_cbranch_execz .LBB265_498
; %bb.493:
	s_mov_b32 s12, 0x3c7fffff
	v_cmp_lt_u32_e32 vcc, s12, v2
                                        ; implicit-def: $vgpr3
	s_and_saveexec_b64 s[12:13], vcc
	s_xor_b64 s[12:13], exec, s[12:13]
; %bb.494:
	v_bfe_u32 v3, v2, 20, 1
	s_mov_b32 s14, 0x407ffff
	v_add3_u32 v2, v2, v3, s14
	v_lshrrev_b32_e32 v3, 20, v2
	v_and_b32_e32 v2, 0xff00000, v2
	s_mov_b32 s14, 0x7f00000
	v_mov_b32_e32 v4, 0x7e
	v_cmp_ne_u32_e32 vcc, s14, v2
	v_cndmask_b32_e32 v3, v4, v3, vcc
                                        ; implicit-def: $vgpr2
; %bb.495:
	s_andn2_saveexec_b64 s[12:13], s[12:13]
; %bb.496:
	v_add_f32_e32 v3, 0x46800000, v2
; %bb.497:
	s_or_b64 exec, exec, s[12:13]
                                        ; implicit-def: $vgpr2
.LBB265_498:
	s_andn2_saveexec_b64 s[10:11], s[10:11]
; %bb.499:
	s_mov_b32 s12, 0x7f800000
	v_mov_b32_e32 v3, 0x7e
	v_mov_b32_e32 v4, 0x7f
	v_cmp_lt_u32_e32 vcc, s12, v2
	v_cndmask_b32_e32 v3, v3, v4, vcc
; %bb.500:
	s_or_b64 exec, exec, s[10:11]
	global_store_byte v[0:1], v3, off
.LBB265_501:
	s_mov_b64 s[10:11], 0
.LBB265_502:
	s_andn2_b64 vcc, exec, s[10:11]
	s_cbranch_vccnz .LBB265_512
; %bb.503:
	v_cndmask_b32_e64 v2, 0, 1.0, s[6:7]
	s_mov_b32 s10, 0x47800000
	v_cmp_gt_u32_e32 vcc, s10, v2
                                        ; implicit-def: $vgpr3
	s_and_saveexec_b64 s[10:11], vcc
	s_xor_b64 s[10:11], exec, s[10:11]
	s_cbranch_execz .LBB265_509
; %bb.504:
	s_mov_b32 s12, 0x387fffff
	v_cmp_lt_u32_e32 vcc, s12, v2
                                        ; implicit-def: $vgpr3
	s_and_saveexec_b64 s[12:13], vcc
	s_xor_b64 s[12:13], exec, s[12:13]
; %bb.505:
	v_bfe_u32 v3, v2, 21, 1
	s_mov_b32 s14, 0x80fffff
	v_add3_u32 v2, v2, v3, s14
	v_lshrrev_b32_e32 v3, 21, v2
                                        ; implicit-def: $vgpr2
; %bb.506:
	s_andn2_saveexec_b64 s[12:13], s[12:13]
; %bb.507:
	v_add_f32_e32 v3, 0x43000000, v2
; %bb.508:
	s_or_b64 exec, exec, s[12:13]
                                        ; implicit-def: $vgpr2
.LBB265_509:
	s_andn2_saveexec_b64 s[10:11], s[10:11]
; %bb.510:
	s_mov_b32 s12, 0x7f800000
	v_mov_b32_e32 v3, 0x7c
	v_mov_b32_e32 v4, 0x7f
	v_cmp_lt_u32_e32 vcc, s12, v2
	v_cndmask_b32_e32 v3, v3, v4, vcc
; %bb.511:
	s_or_b64 exec, exec, s[10:11]
	global_store_byte v[0:1], v3, off
.LBB265_512:
	s_mov_b64 s[10:11], 0
.LBB265_513:
	s_andn2_b64 vcc, exec, s[10:11]
	s_mov_b64 s[10:11], 0
	s_cbranch_vccnz .LBB265_522
; %bb.514:
	s_cmp_gt_i32 s17, 14
	s_mov_b64 s[12:13], -1
	s_cbranch_scc0 .LBB265_518
; %bb.515:
	s_cmp_eq_u32 s17, 15
	s_mov_b64 s[4:5], -1
	s_cbranch_scc0 .LBB265_517
; %bb.516:
	v_cndmask_b32_e64 v2, 0, 1.0, s[6:7]
	v_bfe_u32 v3, v2, 16, 1
	s_movk_i32 s4, 0x7fff
	v_add3_u32 v2, v2, v3, s4
	global_store_short_d16_hi v[0:1], v2, off
	s_mov_b64 s[4:5], 0
.LBB265_517:
	s_mov_b64 s[12:13], 0
.LBB265_518:
	s_and_b64 vcc, exec, s[12:13]
	s_cbranch_vccz .LBB265_522
; %bb.519:
	s_cmp_lg_u32 s17, 11
	s_cselect_b64 s[12:13], -1, 0
	s_andn2_b64 s[4:5], s[4:5], exec
	s_and_b64 s[12:13], s[12:13], exec
	s_mov_b64 s[10:11], -1
	s_or_b64 s[4:5], s[4:5], s[12:13]
	s_branch .LBB265_522
.LBB265_520:
	s_mov_b64 s[10:11], 0
	s_mov_b64 s[8:9], -1
	s_mov_b64 s[4:5], s[76:77]
	s_branch .LBB265_522
.LBB265_521:
	s_mov_b64 s[10:11], 0
.LBB265_522:
	s_and_b64 s[12:13], s[8:9], exec
	s_and_b64 s[8:9], s[10:11], exec
	s_andn2_b64 s[10:11], s[76:77], exec
	s_and_b64 s[4:5], s[4:5], exec
	s_or_b64 s[10:11], s[10:11], s[4:5]
.LBB265_523:
	s_or_b64 exec, exec, s[78:79]
	s_and_b64 s[4:5], s[8:9], exec
	s_andn2_b64 s[8:9], s[76:77], exec
	s_and_b64 s[10:11], s[10:11], exec
	s_and_b64 s[12:13], s[12:13], exec
	s_or_b64 s[76:77], s[8:9], s[10:11]
.LBB265_524:
	s_or_b64 exec, exec, s[74:75]
	s_and_b64 s[8:9], s[12:13], exec
	s_andn2_b64 s[10:11], s[70:71], exec
	s_and_b64 s[12:13], s[76:77], exec
	s_and_b64 s[4:5], s[4:5], exec
	s_or_b64 s[70:71], s[10:11], s[12:13]
.LBB265_525:
	s_or_b64 exec, exec, s[72:73]
	s_and_b64 s[72:73], s[4:5], exec
	s_andn2_b64 s[4:5], s[66:67], exec
	s_and_b64 s[10:11], s[70:71], exec
	s_and_b64 s[8:9], s[8:9], exec
	s_or_b64 s[66:67], s[4:5], s[10:11]
	s_or_b64 exec, exec, s[68:69]
	s_mov_b64 s[4:5], 0
	s_and_saveexec_b64 s[10:11], s[66:67]
	s_cbranch_execz .LBB265_146
.LBB265_526:
	s_mov_b64 s[4:5], exec
	s_andn2_b64 s[72:73], s[72:73], exec
	s_trap 2
	s_or_b64 exec, exec, s[10:11]
	s_and_saveexec_b64 s[10:11], s[72:73]
	s_xor_b64 s[10:11], exec, s[10:11]
	s_cbranch_execnz .LBB265_147
.LBB265_527:
	s_or_b64 exec, exec, s[10:11]
	s_and_saveexec_b64 s[10:11], s[8:9]
	s_xor_b64 s[8:9], exec, s[10:11]
	s_cbranch_execz .LBB265_565
.LBB265_528:
	s_sext_i32_i16 s12, s16
	s_cmp_lt_i32 s12, 5
	s_mov_b64 s[10:11], -1
	s_cbranch_scc1 .LBB265_549
; %bb.529:
	s_cmp_lt_i32 s12, 8
	s_cbranch_scc1 .LBB265_539
; %bb.530:
	s_cmp_lt_i32 s12, 9
	s_cbranch_scc1 .LBB265_536
; %bb.531:
	s_cmp_gt_i32 s12, 9
	s_cbranch_scc0 .LBB265_533
; %bb.532:
	v_cndmask_b32_e64 v2, 0, 1, s[6:7]
	v_cvt_f64_u32_e32 v[2:3], v2
	v_mov_b32_e32 v4, 0
	v_mov_b32_e32 v5, v4
	s_mov_b64 s[10:11], 0
	global_store_dwordx4 v[0:1], v[2:5], off
.LBB265_533:
	s_andn2_b64 vcc, exec, s[10:11]
	s_cbranch_vccnz .LBB265_535
; %bb.534:
	v_cndmask_b32_e64 v2, 0, 1.0, s[6:7]
	v_mov_b32_e32 v3, 0
	global_store_dwordx2 v[0:1], v[2:3], off
.LBB265_535:
	s_mov_b64 s[10:11], 0
.LBB265_536:
	s_andn2_b64 vcc, exec, s[10:11]
	s_cbranch_vccnz .LBB265_538
; %bb.537:
	v_cndmask_b32_e64 v2, 0, 1.0, s[6:7]
	v_cvt_f16_f32_e32 v2, v2
	global_store_dword v[0:1], v2, off
.LBB265_538:
	s_mov_b64 s[10:11], 0
.LBB265_539:
	s_andn2_b64 vcc, exec, s[10:11]
	s_cbranch_vccnz .LBB265_548
; %bb.540:
	s_sext_i32_i16 s12, s16
	s_cmp_lt_i32 s12, 6
	s_mov_b64 s[10:11], -1
	s_cbranch_scc1 .LBB265_546
; %bb.541:
	s_cmp_gt_i32 s12, 6
	s_cbranch_scc0 .LBB265_543
; %bb.542:
	v_cndmask_b32_e64 v2, 0, 1, s[6:7]
	v_cvt_f64_u32_e32 v[2:3], v2
	s_mov_b64 s[10:11], 0
	global_store_dwordx2 v[0:1], v[2:3], off
.LBB265_543:
	s_andn2_b64 vcc, exec, s[10:11]
	s_cbranch_vccnz .LBB265_545
; %bb.544:
	v_cndmask_b32_e64 v2, 0, 1.0, s[6:7]
	global_store_dword v[0:1], v2, off
.LBB265_545:
	s_mov_b64 s[10:11], 0
.LBB265_546:
	s_andn2_b64 vcc, exec, s[10:11]
	s_cbranch_vccnz .LBB265_548
; %bb.547:
	v_cndmask_b32_e64 v2, 0, 1.0, s[6:7]
	v_cvt_f16_f32_e32 v2, v2
	global_store_short v[0:1], v2, off
.LBB265_548:
	s_mov_b64 s[10:11], 0
.LBB265_549:
	s_andn2_b64 vcc, exec, s[10:11]
	s_cbranch_vccnz .LBB265_565
; %bb.550:
	s_sext_i32_i16 s12, s16
	s_cmp_lt_i32 s12, 2
	s_mov_b64 s[10:11], -1
	s_cbranch_scc1 .LBB265_560
; %bb.551:
	s_cmp_lt_i32 s12, 3
	s_cbranch_scc1 .LBB265_557
; %bb.552:
	s_cmp_gt_i32 s12, 3
	s_cbranch_scc0 .LBB265_554
; %bb.553:
	s_mov_b32 s10, 0
	v_cndmask_b32_e64 v2, 0, 1, s[6:7]
	v_mov_b32_e32 v3, s10
	s_mov_b64 s[10:11], 0
	global_store_dwordx2 v[0:1], v[2:3], off
.LBB265_554:
	s_andn2_b64 vcc, exec, s[10:11]
	s_cbranch_vccnz .LBB265_556
; %bb.555:
	v_cndmask_b32_e64 v2, 0, 1, s[6:7]
	global_store_dword v[0:1], v2, off
.LBB265_556:
	s_mov_b64 s[10:11], 0
.LBB265_557:
	s_andn2_b64 vcc, exec, s[10:11]
	s_cbranch_vccnz .LBB265_559
; %bb.558:
	v_cndmask_b32_e64 v2, 0, 1, s[6:7]
	global_store_short v[0:1], v2, off
.LBB265_559:
	s_mov_b64 s[10:11], 0
.LBB265_560:
	s_andn2_b64 vcc, exec, s[10:11]
	s_cbranch_vccnz .LBB265_565
; %bb.561:
	s_sext_i32_i16 s10, s16
	s_cmp_gt_i32 s10, 0
	s_mov_b64 s[10:11], -1
	s_cbranch_scc0 .LBB265_563
; %bb.562:
	v_cndmask_b32_e64 v2, 0, 1, s[6:7]
	s_mov_b64 s[10:11], 0
	global_store_byte v[0:1], v2, off
.LBB265_563:
	s_andn2_b64 vcc, exec, s[10:11]
	s_cbranch_vccnz .LBB265_565
; %bb.564:
	v_cndmask_b32_e64 v2, 0, 1, s[6:7]
	global_store_byte v[0:1], v2, off
.LBB265_565:
	s_or_b64 exec, exec, s[8:9]
	s_and_b64 s[44:45], s[4:5], exec
                                        ; implicit-def: $vgpr2
                                        ; implicit-def: $vgpr12
.LBB265_566:
	s_or_saveexec_b64 s[46:47], s[54:55]
	s_mov_b64 s[4:5], 0
                                        ; implicit-def: $sgpr6_sgpr7
                                        ; implicit-def: $sgpr18
                                        ; implicit-def: $vgpr0_vgpr1
	s_xor_b64 exec, exec, s[46:47]
	s_cbranch_execz .LBB265_1055
; %bb.567:
	v_cndmask_b32_e64 v0, 0, 1, s[52:53]
	v_cmp_ne_u32_e64 s[4:5], 1, v0
	s_andn2_b64 vcc, exec, s[52:53]
	s_cbranch_vccnz .LBB265_573
; %bb.568:
	s_cmp_lg_u32 s33, 0
	s_mov_b32 s30, 0
	s_cbranch_scc0 .LBB265_574
; %bb.569:
	s_min_u32 s31, s80, 15
	s_add_i32 s31, s31, 1
	s_cmp_eq_u32 s80, 2
	s_cbranch_scc1 .LBB265_575
; %bb.570:
	s_and_b32 s30, s31, 28
	s_add_u32 s6, s48, 0xc4
	s_addc_u32 s7, s49, 0
	v_mov_b32_e32 v4, 0
	s_mov_b32 s36, 0
	s_mov_b64 s[28:29], s[48:49]
	v_mov_b32_e32 v20, 0
	v_mov_b32_e32 v0, v12
.LBB265_571:                            ; =>This Inner Loop Header: Depth=1
	s_load_dwordx8 s[16:23], s[28:29], 0x4
	s_load_dwordx4 s[24:27], s[28:29], 0x24
	s_load_dwordx8 s[8:15], s[6:7], 0x0
	s_add_u32 s28, s28, 48
	s_addc_u32 s29, s29, 0
	s_waitcnt lgkmcnt(0)
	v_mul_hi_u32 v1, s17, v0
	s_add_i32 s36, s36, 4
	s_add_u32 s6, s6, 32
	s_addc_u32 s7, s7, 0
	v_add_u32_e32 v1, v0, v1
	v_lshrrev_b32_e32 v1, s18, v1
	v_mul_lo_u32 v3, v1, s16
	v_mul_hi_u32 v5, s20, v1
	s_cmp_lg_u32 s30, s36
	v_sub_u32_e32 v0, v0, v3
	v_add_u32_e32 v3, v1, v5
	v_mul_lo_u32 v5, v0, s8
	v_mul_lo_u32 v6, v0, s9
	v_lshrrev_b32_e32 v0, s21, v3
	v_mul_lo_u32 v3, v0, s19
	v_mul_hi_u32 v7, s23, v0
	v_sub_u32_e32 v1, v1, v3
	v_add_u32_e32 v3, v0, v7
	v_lshrrev_b32_e32 v3, s24, v3
	v_mul_hi_u32 v8, s26, v3
	v_mul_lo_u32 v9, v3, s22
	v_mul_lo_u32 v7, v1, s10
	v_mul_lo_u32 v1, v1, s11
	v_sub_u32_e32 v9, v0, v9
	v_add_u32_e32 v0, v3, v8
	v_lshrrev_b32_e32 v0, s27, v0
	v_mul_lo_u32 v8, v0, s25
	v_mul_lo_u32 v10, v9, s12
	;; [unrolled: 1-line block ×3, first 2 shown]
	v_add3_u32 v5, v5, v20, v7
	v_sub_u32_e32 v3, v3, v8
	v_mul_lo_u32 v8, v3, s14
	v_mul_lo_u32 v3, v3, s15
	v_add3_u32 v1, v6, v4, v1
	v_add3_u32 v20, v10, v5, v8
	;; [unrolled: 1-line block ×3, first 2 shown]
	s_cbranch_scc1 .LBB265_571
; %bb.572:
	s_and_b32 s10, s31, 3
	s_cmp_eq_u32 s10, 0
	s_cbranch_scc0 .LBB265_576
	s_branch .LBB265_578
.LBB265_573:
                                        ; implicit-def: $vgpr20
                                        ; implicit-def: $vgpr4
	s_branch .LBB265_579
.LBB265_574:
	v_mov_b32_e32 v20, 0
	v_mov_b32_e32 v4, 0
	s_branch .LBB265_578
.LBB265_575:
	v_mov_b32_e32 v20, 0
	v_mov_b32_e32 v4, 0
	;; [unrolled: 1-line block ×3, first 2 shown]
	s_and_b32 s10, s31, 3
	s_cmp_eq_u32 s10, 0
	s_cbranch_scc1 .LBB265_578
.LBB265_576:
	s_lshl_b32 s6, s30, 3
	s_add_u32 s6, s48, s6
	s_addc_u32 s7, s49, 0
	s_add_u32 s6, s6, 0xc4
	s_addc_u32 s7, s7, 0
	s_mul_i32 s8, s30, 12
	s_add_u32 s8, s48, s8
	s_addc_u32 s9, s49, 0
.LBB265_577:                            ; =>This Inner Loop Header: Depth=1
	s_load_dwordx2 s[12:13], s[8:9], 0x4
	s_load_dword s11, s[8:9], 0xc
	s_load_dwordx2 s[14:15], s[6:7], 0x0
	s_add_u32 s8, s8, 12
	s_addc_u32 s9, s9, 0
	s_waitcnt lgkmcnt(0)
	v_mul_hi_u32 v1, s13, v0
	s_add_u32 s6, s6, 8
	s_addc_u32 s7, s7, 0
	s_add_i32 s10, s10, -1
	v_add_u32_e32 v1, v0, v1
	v_lshrrev_b32_e32 v1, s11, v1
	v_mul_lo_u32 v3, v1, s12
	s_cmp_lg_u32 s10, 0
	v_sub_u32_e32 v0, v0, v3
	v_mad_u64_u32 v[20:21], s[12:13], v0, s14, v[20:21]
	v_mad_u64_u32 v[4:5], s[12:13], v0, s15, v[4:5]
	v_mov_b32_e32 v0, v1
	s_cbranch_scc1 .LBB265_577
.LBB265_578:
	s_cbranch_execnz .LBB265_581
.LBB265_579:
	s_load_dwordx4 s[8:11], s[48:49], 0x4
	s_load_dwordx2 s[6:7], s[48:49], 0xc4
	s_cmp_lt_u32 s33, 2
	s_waitcnt lgkmcnt(0)
	v_mul_hi_u32 v0, s9, v12
	v_add_u32_e32 v0, v12, v0
	v_lshrrev_b32_e32 v0, s10, v0
	v_mul_lo_u32 v1, v0, s8
	v_sub_u32_e32 v1, v12, v1
	v_mul_lo_u32 v20, v1, s6
	v_mul_lo_u32 v4, v1, s7
	s_cbranch_scc1 .LBB265_581
; %bb.580:
	s_load_dwordx4 s[8:11], s[48:49], 0x10
	s_load_dwordx2 s[6:7], s[48:49], 0xcc
	s_waitcnt lgkmcnt(0)
	v_mul_hi_u32 v1, s9, v0
	v_add_u32_e32 v1, v0, v1
	v_lshrrev_b32_e32 v1, s10, v1
	v_mul_lo_u32 v1, v1, s8
	v_sub_u32_e32 v0, v0, v1
	v_mad_u64_u32 v[20:21], s[8:9], v0, s6, v[20:21]
	v_mad_u64_u32 v[4:5], s[6:7], v0, s7, v[4:5]
.LBB265_581:
	s_and_b64 vcc, exec, s[4:5]
	v_add_u32_e32 v0, 0x80, v12
	s_cbranch_vccnz .LBB265_587
; %bb.582:
	s_cmp_lg_u32 s33, 0
	s_mov_b32 s30, 0
	s_cbranch_scc0 .LBB265_588
; %bb.583:
	s_min_u32 s31, s80, 15
	s_add_i32 s31, s31, 1
	s_cmp_eq_u32 s80, 2
	s_cbranch_scc1 .LBB265_589
; %bb.584:
	s_and_b32 s30, s31, 28
	s_add_u32 s6, s48, 0xc4
	s_addc_u32 s7, s49, 0
	v_mov_b32_e32 v10, 0
	s_mov_b32 s36, 0
	s_mov_b64 s[28:29], s[48:49]
	v_mov_b32_e32 v18, 0
	v_mov_b32_e32 v1, v0
.LBB265_585:                            ; =>This Inner Loop Header: Depth=1
	s_load_dwordx8 s[16:23], s[28:29], 0x4
	s_load_dwordx4 s[24:27], s[28:29], 0x24
	s_load_dwordx8 s[8:15], s[6:7], 0x0
	s_add_u32 s28, s28, 48
	s_addc_u32 s29, s29, 0
	s_waitcnt lgkmcnt(0)
	v_mul_hi_u32 v3, s17, v1
	s_add_i32 s36, s36, 4
	s_add_u32 s6, s6, 32
	s_addc_u32 s7, s7, 0
	v_add_u32_e32 v3, v1, v3
	v_lshrrev_b32_e32 v3, s18, v3
	v_mul_lo_u32 v5, v3, s16
	v_mul_hi_u32 v6, s20, v3
	s_cmp_lg_u32 s30, s36
	v_sub_u32_e32 v1, v1, v5
	v_add_u32_e32 v5, v3, v6
	v_mul_lo_u32 v6, v1, s8
	v_mul_lo_u32 v7, v1, s9
	v_lshrrev_b32_e32 v1, s21, v5
	v_mul_lo_u32 v5, v1, s19
	v_mul_hi_u32 v8, s23, v1
	v_sub_u32_e32 v3, v3, v5
	v_add_u32_e32 v5, v1, v8
	v_lshrrev_b32_e32 v5, s24, v5
	v_mul_hi_u32 v9, s26, v5
	v_mul_lo_u32 v11, v5, s22
	v_mul_lo_u32 v8, v3, s10
	;; [unrolled: 1-line block ×3, first 2 shown]
	v_sub_u32_e32 v11, v1, v11
	v_add_u32_e32 v1, v5, v9
	v_lshrrev_b32_e32 v1, s27, v1
	v_mul_lo_u32 v9, v1, s25
	v_mul_lo_u32 v13, v11, s12
	v_mul_lo_u32 v11, v11, s13
	v_add3_u32 v6, v6, v18, v8
	v_sub_u32_e32 v5, v5, v9
	v_mul_lo_u32 v9, v5, s14
	v_mul_lo_u32 v5, v5, s15
	v_add3_u32 v3, v7, v10, v3
	v_add3_u32 v18, v13, v6, v9
	;; [unrolled: 1-line block ×3, first 2 shown]
	s_cbranch_scc1 .LBB265_585
; %bb.586:
	s_and_b32 s10, s31, 3
	s_cmp_eq_u32 s10, 0
	s_cbranch_scc0 .LBB265_590
	s_branch .LBB265_592
.LBB265_587:
                                        ; implicit-def: $vgpr18
                                        ; implicit-def: $vgpr10
	s_branch .LBB265_593
.LBB265_588:
	v_mov_b32_e32 v18, 0
	v_mov_b32_e32 v10, 0
	s_branch .LBB265_592
.LBB265_589:
	v_mov_b32_e32 v18, 0
	v_mov_b32_e32 v10, 0
	;; [unrolled: 1-line block ×3, first 2 shown]
	s_and_b32 s10, s31, 3
	s_cmp_eq_u32 s10, 0
	s_cbranch_scc1 .LBB265_592
.LBB265_590:
	s_lshl_b32 s6, s30, 3
	s_add_u32 s6, s48, s6
	s_addc_u32 s7, s49, 0
	s_add_u32 s6, s6, 0xc4
	s_addc_u32 s7, s7, 0
	s_mul_i32 s8, s30, 12
	s_add_u32 s8, s48, s8
	s_addc_u32 s9, s49, 0
.LBB265_591:                            ; =>This Inner Loop Header: Depth=1
	s_load_dwordx2 s[12:13], s[8:9], 0x4
	s_load_dword s11, s[8:9], 0xc
	s_load_dwordx2 s[14:15], s[6:7], 0x0
	s_add_u32 s8, s8, 12
	s_addc_u32 s9, s9, 0
	s_waitcnt lgkmcnt(0)
	v_mul_hi_u32 v3, s13, v1
	s_add_u32 s6, s6, 8
	s_addc_u32 s7, s7, 0
	s_add_i32 s10, s10, -1
	v_add_u32_e32 v3, v1, v3
	v_lshrrev_b32_e32 v3, s11, v3
	v_mul_lo_u32 v5, v3, s12
	s_cmp_lg_u32 s10, 0
	v_sub_u32_e32 v1, v1, v5
	v_mad_u64_u32 v[18:19], s[12:13], v1, s14, v[18:19]
	v_mad_u64_u32 v[10:11], s[12:13], v1, s15, v[10:11]
	v_mov_b32_e32 v1, v3
	s_cbranch_scc1 .LBB265_591
.LBB265_592:
	s_cbranch_execnz .LBB265_595
.LBB265_593:
	s_load_dwordx4 s[8:11], s[48:49], 0x4
	s_load_dwordx2 s[6:7], s[48:49], 0xc4
	s_cmp_lt_u32 s33, 2
	s_waitcnt lgkmcnt(0)
	v_mul_hi_u32 v1, s9, v0
	v_add_u32_e32 v1, v0, v1
	v_lshrrev_b32_e32 v1, s10, v1
	v_mul_lo_u32 v3, v1, s8
	v_sub_u32_e32 v0, v0, v3
	v_mul_lo_u32 v18, v0, s6
	v_mul_lo_u32 v10, v0, s7
	s_cbranch_scc1 .LBB265_595
; %bb.594:
	s_load_dwordx4 s[8:11], s[48:49], 0x10
	s_load_dwordx2 s[6:7], s[48:49], 0xcc
	s_waitcnt lgkmcnt(0)
	v_mul_hi_u32 v0, s9, v1
	v_add_u32_e32 v0, v1, v0
	v_lshrrev_b32_e32 v0, s10, v0
	v_mul_lo_u32 v0, v0, s8
	v_sub_u32_e32 v0, v1, v0
	v_mad_u64_u32 v[18:19], s[8:9], v0, s6, v[18:19]
	v_mad_u64_u32 v[10:11], s[6:7], v0, s7, v[10:11]
.LBB265_595:
	s_and_b64 vcc, exec, s[4:5]
	v_add_u32_e32 v0, 0x100, v12
	s_cbranch_vccnz .LBB265_601
; %bb.596:
	s_cmp_lg_u32 s33, 0
	s_mov_b32 s30, 0
	s_cbranch_scc0 .LBB265_602
; %bb.597:
	s_min_u32 s31, s80, 15
	s_add_i32 s31, s31, 1
	s_cmp_eq_u32 s80, 2
	s_cbranch_scc1 .LBB265_603
; %bb.598:
	s_and_b32 s30, s31, 28
	s_add_u32 s6, s48, 0xc4
	s_addc_u32 s7, s49, 0
	v_mov_b32_e32 v11, 0
	s_mov_b32 s36, 0
	s_mov_b64 s[28:29], s[48:49]
	v_mov_b32_e32 v16, 0
	v_mov_b32_e32 v1, v0
.LBB265_599:                            ; =>This Inner Loop Header: Depth=1
	s_load_dwordx8 s[16:23], s[28:29], 0x4
	s_load_dwordx4 s[24:27], s[28:29], 0x24
	s_load_dwordx8 s[8:15], s[6:7], 0x0
	s_add_u32 s28, s28, 48
	s_addc_u32 s29, s29, 0
	s_waitcnt lgkmcnt(0)
	v_mul_hi_u32 v3, s17, v1
	s_add_i32 s36, s36, 4
	s_add_u32 s6, s6, 32
	s_addc_u32 s7, s7, 0
	v_add_u32_e32 v3, v1, v3
	v_lshrrev_b32_e32 v3, s18, v3
	v_mul_lo_u32 v5, v3, s16
	v_mul_hi_u32 v6, s20, v3
	s_cmp_lg_u32 s30, s36
	v_sub_u32_e32 v1, v1, v5
	v_add_u32_e32 v5, v3, v6
	v_mul_lo_u32 v6, v1, s8
	v_mul_lo_u32 v7, v1, s9
	v_lshrrev_b32_e32 v1, s21, v5
	v_mul_lo_u32 v5, v1, s19
	v_mul_hi_u32 v8, s23, v1
	v_sub_u32_e32 v3, v3, v5
	v_add_u32_e32 v5, v1, v8
	v_lshrrev_b32_e32 v5, s24, v5
	v_mul_hi_u32 v9, s26, v5
	v_mul_lo_u32 v12, v5, s22
	v_mul_lo_u32 v8, v3, s10
	;; [unrolled: 1-line block ×3, first 2 shown]
	v_sub_u32_e32 v12, v1, v12
	v_add_u32_e32 v1, v5, v9
	v_lshrrev_b32_e32 v1, s27, v1
	v_mul_lo_u32 v9, v1, s25
	v_mul_lo_u32 v13, v12, s12
	;; [unrolled: 1-line block ×3, first 2 shown]
	v_add3_u32 v6, v6, v16, v8
	v_sub_u32_e32 v5, v5, v9
	v_mul_lo_u32 v9, v5, s14
	v_mul_lo_u32 v5, v5, s15
	v_add3_u32 v3, v7, v11, v3
	v_add3_u32 v16, v13, v6, v9
	;; [unrolled: 1-line block ×3, first 2 shown]
	s_cbranch_scc1 .LBB265_599
; %bb.600:
	s_and_b32 s10, s31, 3
	s_cmp_eq_u32 s10, 0
	s_cbranch_scc0 .LBB265_604
	s_branch .LBB265_606
.LBB265_601:
                                        ; implicit-def: $vgpr16
                                        ; implicit-def: $vgpr11
	s_branch .LBB265_607
.LBB265_602:
	v_mov_b32_e32 v16, 0
	v_mov_b32_e32 v11, 0
	s_branch .LBB265_606
.LBB265_603:
	v_mov_b32_e32 v16, 0
	v_mov_b32_e32 v11, 0
	;; [unrolled: 1-line block ×3, first 2 shown]
	s_and_b32 s10, s31, 3
	s_cmp_eq_u32 s10, 0
	s_cbranch_scc1 .LBB265_606
.LBB265_604:
	s_lshl_b32 s6, s30, 3
	s_add_u32 s6, s48, s6
	s_addc_u32 s7, s49, 0
	s_add_u32 s6, s6, 0xc4
	s_addc_u32 s7, s7, 0
	s_mul_i32 s8, s30, 12
	s_add_u32 s8, s48, s8
	s_addc_u32 s9, s49, 0
.LBB265_605:                            ; =>This Inner Loop Header: Depth=1
	s_load_dwordx2 s[12:13], s[8:9], 0x4
	s_load_dword s11, s[8:9], 0xc
	s_load_dwordx2 s[14:15], s[6:7], 0x0
	s_add_u32 s8, s8, 12
	s_addc_u32 s9, s9, 0
	s_waitcnt lgkmcnt(0)
	v_mul_hi_u32 v3, s13, v1
	s_add_u32 s6, s6, 8
	s_addc_u32 s7, s7, 0
	s_add_i32 s10, s10, -1
	v_add_u32_e32 v3, v1, v3
	v_lshrrev_b32_e32 v3, s11, v3
	v_mul_lo_u32 v5, v3, s12
	s_cmp_lg_u32 s10, 0
	v_sub_u32_e32 v1, v1, v5
	v_mad_u64_u32 v[16:17], s[12:13], v1, s14, v[16:17]
	v_mad_u64_u32 v[11:12], s[12:13], v1, s15, v[11:12]
	v_mov_b32_e32 v1, v3
	s_cbranch_scc1 .LBB265_605
.LBB265_606:
	s_cbranch_execnz .LBB265_609
.LBB265_607:
	s_load_dwordx4 s[8:11], s[48:49], 0x4
	s_load_dwordx2 s[6:7], s[48:49], 0xc4
	s_cmp_lt_u32 s33, 2
	s_waitcnt lgkmcnt(0)
	v_mul_hi_u32 v1, s9, v0
	v_add_u32_e32 v1, v0, v1
	v_lshrrev_b32_e32 v1, s10, v1
	v_mul_lo_u32 v3, v1, s8
	v_sub_u32_e32 v0, v0, v3
	v_mul_lo_u32 v16, v0, s6
	v_mul_lo_u32 v11, v0, s7
	s_cbranch_scc1 .LBB265_609
; %bb.608:
	s_load_dwordx4 s[8:11], s[48:49], 0x10
	s_load_dwordx2 s[6:7], s[48:49], 0xcc
	s_waitcnt lgkmcnt(0)
	v_mul_hi_u32 v0, s9, v1
	v_add_u32_e32 v0, v1, v0
	v_lshrrev_b32_e32 v0, s10, v0
	v_mul_lo_u32 v0, v0, s8
	v_sub_u32_e32 v0, v1, v0
	v_mad_u64_u32 v[16:17], s[8:9], v0, s6, v[16:17]
	v_mad_u64_u32 v[11:12], s[6:7], v0, s7, v[11:12]
.LBB265_609:
	s_and_b64 vcc, exec, s[4:5]
	s_cbranch_vccnz .LBB265_615
; %bb.610:
	s_cmp_lg_u32 s33, 0
	s_mov_b32 s28, 0
	s_cbranch_scc0 .LBB265_616
; %bb.611:
	s_min_u32 s29, s80, 15
	s_add_i32 s29, s29, 1
	s_cmp_eq_u32 s80, 2
	s_cbranch_scc1 .LBB265_617
; %bb.612:
	s_and_b32 s28, s29, 28
	s_add_u32 s24, s48, 0xc4
	s_addc_u32 s25, s49, 0
	v_mov_b32_e32 v12, 0
	s_mov_b32 s30, 0
	s_mov_b64 s[26:27], s[48:49]
	v_mov_b32_e32 v14, 0
	v_mov_b32_e32 v0, v2
.LBB265_613:                            ; =>This Inner Loop Header: Depth=1
	s_load_dwordx8 s[12:19], s[26:27], 0x4
	s_load_dwordx4 s[20:23], s[26:27], 0x24
	s_load_dwordx8 s[4:11], s[24:25], 0x0
	s_add_u32 s26, s26, 48
	s_addc_u32 s27, s27, 0
	s_waitcnt lgkmcnt(0)
	v_mul_hi_u32 v1, s13, v0
	s_add_i32 s30, s30, 4
	s_add_u32 s24, s24, 32
	s_addc_u32 s25, s25, 0
	v_add_u32_e32 v1, v0, v1
	v_lshrrev_b32_e32 v1, s14, v1
	v_mul_lo_u32 v3, v1, s12
	v_mul_hi_u32 v5, s16, v1
	s_cmp_lg_u32 s28, s30
	v_sub_u32_e32 v0, v0, v3
	v_add_u32_e32 v3, v1, v5
	v_mul_lo_u32 v5, v0, s4
	v_mul_lo_u32 v6, v0, s5
	v_lshrrev_b32_e32 v0, s17, v3
	v_mul_lo_u32 v3, v0, s15
	v_mul_hi_u32 v7, s19, v0
	v_sub_u32_e32 v1, v1, v3
	v_add_u32_e32 v3, v0, v7
	v_lshrrev_b32_e32 v3, s20, v3
	v_mul_hi_u32 v8, s22, v3
	v_mul_lo_u32 v9, v3, s18
	v_mul_lo_u32 v7, v1, s6
	;; [unrolled: 1-line block ×3, first 2 shown]
	v_sub_u32_e32 v9, v0, v9
	v_add_u32_e32 v0, v3, v8
	v_lshrrev_b32_e32 v0, s23, v0
	v_mul_lo_u32 v8, v0, s21
	v_mul_lo_u32 v13, v9, s8
	;; [unrolled: 1-line block ×3, first 2 shown]
	v_add3_u32 v5, v5, v14, v7
	v_sub_u32_e32 v3, v3, v8
	v_mul_lo_u32 v8, v3, s10
	v_mul_lo_u32 v3, v3, s11
	v_add3_u32 v1, v6, v12, v1
	v_add3_u32 v14, v13, v5, v8
	;; [unrolled: 1-line block ×3, first 2 shown]
	s_cbranch_scc1 .LBB265_613
; %bb.614:
	s_and_b32 s8, s29, 3
	s_cmp_eq_u32 s8, 0
	s_cbranch_scc0 .LBB265_618
	s_branch .LBB265_620
.LBB265_615:
                                        ; implicit-def: $vgpr14
                                        ; implicit-def: $vgpr12
	s_branch .LBB265_621
.LBB265_616:
	v_mov_b32_e32 v14, 0
	v_mov_b32_e32 v12, 0
	s_branch .LBB265_620
.LBB265_617:
	v_mov_b32_e32 v14, 0
	v_mov_b32_e32 v12, 0
	;; [unrolled: 1-line block ×3, first 2 shown]
	s_and_b32 s8, s29, 3
	s_cmp_eq_u32 s8, 0
	s_cbranch_scc1 .LBB265_620
.LBB265_618:
	s_lshl_b32 s4, s28, 3
	s_add_u32 s4, s48, s4
	s_addc_u32 s5, s49, 0
	s_add_u32 s4, s4, 0xc4
	s_addc_u32 s5, s5, 0
	s_mul_i32 s6, s28, 12
	s_add_u32 s6, s48, s6
	s_addc_u32 s7, s49, 0
.LBB265_619:                            ; =>This Inner Loop Header: Depth=1
	s_load_dwordx2 s[10:11], s[6:7], 0x4
	s_load_dword s9, s[6:7], 0xc
	s_load_dwordx2 s[12:13], s[4:5], 0x0
	s_add_u32 s6, s6, 12
	s_addc_u32 s7, s7, 0
	s_waitcnt lgkmcnt(0)
	v_mul_hi_u32 v1, s11, v0
	s_add_u32 s4, s4, 8
	s_addc_u32 s5, s5, 0
	s_add_i32 s8, s8, -1
	v_add_u32_e32 v1, v0, v1
	v_lshrrev_b32_e32 v1, s9, v1
	v_mul_lo_u32 v3, v1, s10
	s_cmp_lg_u32 s8, 0
	v_sub_u32_e32 v0, v0, v3
	v_mad_u64_u32 v[14:15], s[10:11], v0, s12, v[14:15]
	v_mad_u64_u32 v[12:13], s[10:11], v0, s13, v[12:13]
	v_mov_b32_e32 v0, v1
	s_cbranch_scc1 .LBB265_619
.LBB265_620:
	s_cbranch_execnz .LBB265_623
.LBB265_621:
	s_load_dwordx4 s[4:7], s[48:49], 0x4
	s_load_dwordx2 s[8:9], s[48:49], 0xc4
	s_cmp_lt_u32 s33, 2
	s_waitcnt lgkmcnt(0)
	v_mul_hi_u32 v0, s5, v2
	v_add_u32_e32 v0, v2, v0
	v_lshrrev_b32_e32 v0, s6, v0
	v_mul_lo_u32 v1, v0, s4
	v_sub_u32_e32 v1, v2, v1
	v_mul_lo_u32 v14, v1, s8
	v_mul_lo_u32 v12, v1, s9
	s_cbranch_scc1 .LBB265_623
; %bb.622:
	s_load_dwordx4 s[4:7], s[48:49], 0x10
	s_load_dwordx2 s[8:9], s[48:49], 0xcc
	s_waitcnt lgkmcnt(0)
	v_mul_hi_u32 v1, s5, v0
	v_add_u32_e32 v1, v0, v1
	v_lshrrev_b32_e32 v1, s6, v1
	v_mul_lo_u32 v1, v1, s4
	v_sub_u32_e32 v0, v0, v1
	v_mad_u64_u32 v[14:15], s[4:5], v0, s8, v[14:15]
	v_mad_u64_u32 v[12:13], s[4:5], v0, s9, v[12:13]
.LBB265_623:
	s_load_dword s4, s[34:35], 0x168
	s_load_dwordx2 s[50:51], s[48:49], 0x158
	s_load_dwordx4 s[40:43], s[48:49], 0x148
	s_getpc_b64 s[52:53]
	s_add_u32 s52, s52, _ZN2at6native6invokeINS0_13AUnaryFunctorIN3c1015Float8_e5m2fnuzES4_bNS0_12_GLOBAL__N_116CompareEqFunctorIS4_EEEEj15function_traitsIS8_EEENT1_11result_typeERKT_PrKPcPKT0_PKNS3_10ScalarTypeEi@rel32@lo+4
	s_addc_u32 s53, s53, _ZN2at6native6invokeINS0_13AUnaryFunctorIN3c1015Float8_e5m2fnuzES4_bNS0_12_GLOBAL__N_116CompareEqFunctorIS4_EEEEj15function_traitsIS8_EEENT1_11result_typeERKT_PrKPcPKT0_PKNS3_10ScalarTypeEi@rel32@hi+12
	s_waitcnt lgkmcnt(0)
	s_lshr_b32 s33, s4, 8
	v_mov_b32_e32 v0, s50
	v_mov_b32_e32 v1, s51
	v_mov_b32_e32 v2, s42
	v_mov_b32_e32 v3, s43
	v_mov_b32_e32 v5, s33
	s_swappc_b64 s[30:31], s[52:53]
	v_and_b32_e32 v0, 1, v0
	v_cmp_eq_u32_e64 s[38:39], 1, v0
	v_mov_b32_e32 v0, s50
	v_mov_b32_e32 v1, s51
	v_mov_b32_e32 v2, s42
	v_mov_b32_e32 v3, s43
	v_mov_b32_e32 v4, v10
	v_mov_b32_e32 v5, s33
	s_swappc_b64 s[30:31], s[52:53]
	v_and_b32_e32 v0, 1, v0
	v_cmp_eq_u32_e64 s[36:37], 1, v0
	v_mov_b32_e32 v0, s50
	;; [unrolled: 9-line block ×3, first 2 shown]
	v_mov_b32_e32 v1, s51
	v_mov_b32_e32 v2, s42
	;; [unrolled: 1-line block ×5, first 2 shown]
	s_swappc_b64 s[30:31], s[52:53]
	s_load_dword s4, s[48:49], 0x160
	v_and_b32_e32 v0, 1, v0
	v_cmp_eq_u32_e64 s[6:7], 1, v0
	v_mov_b32_e32 v1, s41
	v_add_co_u32_e32 v0, vcc, s40, v20
	s_waitcnt lgkmcnt(0)
	s_and_b32 s18, s4, 0xff
	s_cmp_lt_i32 s18, 11
	v_addc_co_u32_e32 v1, vcc, 0, v1, vcc
	s_cbranch_scc1 .LBB265_702
; %bb.624:
	s_and_b32 s16, 0xffff, s18
	s_mov_b64 s[8:9], -1
	s_mov_b64 s[10:11], 0
	s_cmp_gt_i32 s16, 25
	s_mov_b64 s[12:13], 0
	s_mov_b64 s[4:5], 0
	s_cbranch_scc0 .LBB265_657
; %bb.625:
	s_cmp_gt_i32 s16, 28
	s_cbranch_scc0 .LBB265_640
; %bb.626:
	s_cmp_gt_i32 s16, 43
	;; [unrolled: 3-line block ×3, first 2 shown]
	s_cbranch_scc0 .LBB265_630
; %bb.628:
	s_mov_b64 s[4:5], -1
	s_mov_b64 s[8:9], 0
	s_cmp_eq_u32 s16, 46
	s_cbranch_scc0 .LBB265_630
; %bb.629:
	v_cndmask_b32_e64 v2, 0, 1.0, s[38:39]
	v_bfe_u32 v3, v2, 16, 1
	s_movk_i32 s4, 0x7fff
	v_add3_u32 v2, v2, v3, s4
	v_lshrrev_b32_e32 v2, 16, v2
	global_store_dword v[0:1], v2, off
	s_mov_b64 s[4:5], 0
	s_mov_b64 s[12:13], -1
.LBB265_630:
	s_and_b64 vcc, exec, s[8:9]
	s_cbranch_vccz .LBB265_635
; %bb.631:
	s_cmp_eq_u32 s16, 44
	s_mov_b64 s[4:5], -1
	s_cbranch_scc0 .LBB265_635
; %bb.632:
	v_cndmask_b32_e64 v3, 0, 1.0, s[38:39]
	v_lshrrev_b32_e32 v2, 23, v3
	s_movk_i32 s4, 0xff
	v_cmp_ne_u32_e32 vcc, s4, v2
	v_mov_b32_e32 v4, 0xff
	s_and_saveexec_b64 s[8:9], vcc
; %bb.633:
	s_mov_b32 s4, 0x3fffff
	v_and_b32_e32 v4, 0x400000, v3
	v_and_or_b32 v3, v3, s4, v2
	v_cmp_ne_u32_e32 vcc, 0, v4
	v_cmp_ne_u32_e64 s[4:5], 0, v3
	s_and_b64 s[4:5], vcc, s[4:5]
	v_cndmask_b32_e64 v3, 0, 1, s[4:5]
	v_add_u32_e32 v4, v2, v3
; %bb.634:
	s_or_b64 exec, exec, s[8:9]
	s_mov_b64 s[4:5], 0
	s_mov_b64 s[12:13], -1
	global_store_byte v[0:1], v4, off
.LBB265_635:
	s_mov_b64 s[8:9], 0
.LBB265_636:
	s_and_b64 vcc, exec, s[8:9]
	s_cbranch_vccz .LBB265_639
; %bb.637:
	s_cmp_eq_u32 s16, 29
	s_mov_b64 s[4:5], -1
	s_cbranch_scc0 .LBB265_639
; %bb.638:
	s_mov_b32 s4, 0
	v_cndmask_b32_e64 v2, 0, 1, s[38:39]
	v_mov_b32_e32 v3, s4
	global_store_dwordx2 v[0:1], v[2:3], off
	s_mov_b64 s[4:5], 0
	s_mov_b64 s[12:13], -1
.LBB265_639:
	s_mov_b64 s[8:9], 0
.LBB265_640:
	s_and_b64 vcc, exec, s[8:9]
	s_cbranch_vccz .LBB265_656
; %bb.641:
	s_cmp_lt_i32 s16, 27
	s_mov_b64 s[8:9], -1
	s_cbranch_scc1 .LBB265_647
; %bb.642:
	s_cmp_gt_i32 s16, 27
	s_cbranch_scc0 .LBB265_644
; %bb.643:
	v_cndmask_b32_e64 v2, 0, 1, s[38:39]
	s_mov_b64 s[8:9], 0
	global_store_dword v[0:1], v2, off
.LBB265_644:
	s_andn2_b64 vcc, exec, s[8:9]
	s_cbranch_vccnz .LBB265_646
; %bb.645:
	v_cndmask_b32_e64 v2, 0, 1, s[38:39]
	global_store_short v[0:1], v2, off
.LBB265_646:
	s_mov_b64 s[8:9], 0
.LBB265_647:
	s_andn2_b64 vcc, exec, s[8:9]
	s_cbranch_vccnz .LBB265_655
; %bb.648:
	v_cndmask_b32_e64 v3, 0, 1.0, s[38:39]
	s_mov_b32 s8, 0x43800000
	v_cmp_gt_u32_e32 vcc, s8, v3
	v_mov_b32_e32 v4, 0x80
	s_and_saveexec_b64 s[8:9], vcc
	s_cbranch_execz .LBB265_654
; %bb.649:
	s_mov_b32 s12, 0x3bffffff
	v_cmp_lt_u32_e32 vcc, s12, v3
	s_mov_b64 s[12:13], 0
                                        ; implicit-def: $vgpr2
	s_and_saveexec_b64 s[14:15], vcc
	s_xor_b64 s[14:15], exec, s[14:15]
	s_cbranch_execz .LBB265_1099
; %bb.650:
	v_bfe_u32 v2, v3, 20, 1
	s_mov_b32 s17, 0x487ffff
	v_add3_u32 v2, v3, v2, s17
	s_mov_b64 s[12:13], exec
	v_lshrrev_b32_e32 v2, 20, v2
                                        ; implicit-def: $vgpr3
	s_andn2_saveexec_b64 s[14:15], s[14:15]
	s_cbranch_execnz .LBB265_1100
.LBB265_651:
	s_or_b64 exec, exec, s[14:15]
	v_mov_b32_e32 v4, 0
	s_and_saveexec_b64 s[14:15], s[12:13]
.LBB265_652:
	v_mov_b32_e32 v4, v2
.LBB265_653:
	s_or_b64 exec, exec, s[14:15]
.LBB265_654:
	s_or_b64 exec, exec, s[8:9]
	global_store_byte v[0:1], v4, off
.LBB265_655:
	s_mov_b64 s[12:13], -1
.LBB265_656:
	s_mov_b64 s[8:9], 0
.LBB265_657:
	s_and_b64 vcc, exec, s[8:9]
	s_cbranch_vccz .LBB265_697
; %bb.658:
	s_cmp_gt_i32 s16, 22
	s_mov_b64 s[8:9], -1
	s_cbranch_scc0 .LBB265_690
; %bb.659:
	s_cmp_lt_i32 s16, 24
	s_cbranch_scc1 .LBB265_679
; %bb.660:
	s_cmp_gt_i32 s16, 24
	s_cbranch_scc0 .LBB265_668
; %bb.661:
	v_cndmask_b32_e64 v3, 0, 1.0, s[38:39]
	s_mov_b32 s8, 0x47800000
	v_cmp_gt_u32_e32 vcc, s8, v3
	v_mov_b32_e32 v4, 0x80
	s_and_saveexec_b64 s[8:9], vcc
	s_cbranch_execz .LBB265_667
; %bb.662:
	s_mov_b32 s10, 0x37ffffff
	v_cmp_lt_u32_e32 vcc, s10, v3
	s_mov_b64 s[10:11], 0
                                        ; implicit-def: $vgpr2
	s_and_saveexec_b64 s[12:13], vcc
	s_xor_b64 s[12:13], exec, s[12:13]
	s_cbranch_execz .LBB265_1102
; %bb.663:
	v_bfe_u32 v2, v3, 21, 1
	s_mov_b32 s14, 0x88fffff
	v_add3_u32 v2, v3, v2, s14
	s_mov_b64 s[10:11], exec
	v_lshrrev_b32_e32 v2, 21, v2
                                        ; implicit-def: $vgpr3
	s_andn2_saveexec_b64 s[12:13], s[12:13]
	s_cbranch_execnz .LBB265_1103
.LBB265_664:
	s_or_b64 exec, exec, s[12:13]
	v_mov_b32_e32 v4, 0
	s_and_saveexec_b64 s[12:13], s[10:11]
.LBB265_665:
	v_mov_b32_e32 v4, v2
.LBB265_666:
	s_or_b64 exec, exec, s[12:13]
.LBB265_667:
	s_or_b64 exec, exec, s[8:9]
	s_mov_b64 s[8:9], 0
	global_store_byte v[0:1], v4, off
.LBB265_668:
	s_and_b64 vcc, exec, s[8:9]
	s_cbranch_vccz .LBB265_678
; %bb.669:
	v_cndmask_b32_e64 v2, 0, 1.0, s[38:39]
	s_mov_b32 s8, 0x43f00000
	v_cmp_gt_u32_e32 vcc, s8, v2
                                        ; implicit-def: $vgpr3
	s_and_saveexec_b64 s[8:9], vcc
	s_xor_b64 s[8:9], exec, s[8:9]
	s_cbranch_execz .LBB265_675
; %bb.670:
	s_mov_b32 s10, 0x3c7fffff
	v_cmp_lt_u32_e32 vcc, s10, v2
                                        ; implicit-def: $vgpr3
	s_and_saveexec_b64 s[10:11], vcc
	s_xor_b64 s[10:11], exec, s[10:11]
; %bb.671:
	v_bfe_u32 v3, v2, 20, 1
	s_mov_b32 s12, 0x407ffff
	v_add3_u32 v2, v2, v3, s12
	v_lshrrev_b32_e32 v3, 20, v2
	v_and_b32_e32 v2, 0xff00000, v2
	s_mov_b32 s12, 0x7f00000
	v_mov_b32_e32 v4, 0x7e
	v_cmp_ne_u32_e32 vcc, s12, v2
	v_cndmask_b32_e32 v3, v4, v3, vcc
                                        ; implicit-def: $vgpr2
; %bb.672:
	s_andn2_saveexec_b64 s[10:11], s[10:11]
; %bb.673:
	v_add_f32_e32 v3, 0x46800000, v2
; %bb.674:
	s_or_b64 exec, exec, s[10:11]
                                        ; implicit-def: $vgpr2
.LBB265_675:
	s_andn2_saveexec_b64 s[8:9], s[8:9]
; %bb.676:
	s_mov_b32 s10, 0x7f800000
	v_mov_b32_e32 v3, 0x7e
	v_mov_b32_e32 v4, 0x7f
	v_cmp_lt_u32_e32 vcc, s10, v2
	v_cndmask_b32_e32 v3, v3, v4, vcc
; %bb.677:
	s_or_b64 exec, exec, s[8:9]
	global_store_byte v[0:1], v3, off
.LBB265_678:
	s_mov_b64 s[8:9], 0
.LBB265_679:
	s_andn2_b64 vcc, exec, s[8:9]
	s_cbranch_vccnz .LBB265_689
; %bb.680:
	v_cndmask_b32_e64 v2, 0, 1.0, s[38:39]
	s_mov_b32 s8, 0x47800000
	v_cmp_gt_u32_e32 vcc, s8, v2
                                        ; implicit-def: $vgpr3
	s_and_saveexec_b64 s[8:9], vcc
	s_xor_b64 s[8:9], exec, s[8:9]
	s_cbranch_execz .LBB265_686
; %bb.681:
	s_mov_b32 s10, 0x387fffff
	v_cmp_lt_u32_e32 vcc, s10, v2
                                        ; implicit-def: $vgpr3
	s_and_saveexec_b64 s[10:11], vcc
	s_xor_b64 s[10:11], exec, s[10:11]
; %bb.682:
	v_bfe_u32 v3, v2, 21, 1
	s_mov_b32 s12, 0x80fffff
	v_add3_u32 v2, v2, v3, s12
	v_lshrrev_b32_e32 v3, 21, v2
                                        ; implicit-def: $vgpr2
; %bb.683:
	s_andn2_saveexec_b64 s[10:11], s[10:11]
; %bb.684:
	v_add_f32_e32 v3, 0x43000000, v2
; %bb.685:
	s_or_b64 exec, exec, s[10:11]
                                        ; implicit-def: $vgpr2
.LBB265_686:
	s_andn2_saveexec_b64 s[8:9], s[8:9]
; %bb.687:
	s_mov_b32 s10, 0x7f800000
	v_mov_b32_e32 v3, 0x7c
	v_mov_b32_e32 v4, 0x7f
	v_cmp_lt_u32_e32 vcc, s10, v2
	v_cndmask_b32_e32 v3, v3, v4, vcc
; %bb.688:
	s_or_b64 exec, exec, s[8:9]
	global_store_byte v[0:1], v3, off
.LBB265_689:
	s_mov_b64 s[8:9], 0
	s_mov_b64 s[12:13], -1
.LBB265_690:
	s_andn2_b64 vcc, exec, s[8:9]
	s_mov_b64 s[10:11], 0
	s_cbranch_vccnz .LBB265_697
; %bb.691:
	s_cmp_gt_i32 s16, 14
	s_mov_b64 s[8:9], -1
	s_cbranch_scc0 .LBB265_695
; %bb.692:
	s_cmp_eq_u32 s16, 15
	s_mov_b64 s[4:5], -1
	s_cbranch_scc0 .LBB265_694
; %bb.693:
	v_cndmask_b32_e64 v2, 0, 1.0, s[38:39]
	v_bfe_u32 v3, v2, 16, 1
	s_movk_i32 s4, 0x7fff
	v_add3_u32 v2, v2, v3, s4
	global_store_short_d16_hi v[0:1], v2, off
	s_mov_b64 s[4:5], 0
	s_mov_b64 s[12:13], -1
.LBB265_694:
	s_mov_b64 s[8:9], 0
.LBB265_695:
	s_and_b64 vcc, exec, s[8:9]
	s_cbranch_vccz .LBB265_697
; %bb.696:
	s_cmp_lg_u32 s16, 11
	s_mov_b64 s[10:11], -1
	s_cselect_b64 s[4:5], -1, 0
.LBB265_697:
	s_and_b64 vcc, exec, s[4:5]
	s_mov_b64 s[8:9], s[44:45]
	s_cbranch_vccnz .LBB265_1101
; %bb.698:
	s_andn2_b64 vcc, exec, s[10:11]
	s_cbranch_vccnz .LBB265_700
.LBB265_699:
	v_cndmask_b32_e64 v2, 0, 1, s[38:39]
	global_store_byte v[0:1], v2, off
	s_mov_b64 s[12:13], -1
.LBB265_700:
.LBB265_701:
	s_andn2_b64 vcc, exec, s[12:13]
	s_cbranch_vccz .LBB265_741
	s_branch .LBB265_1053
.LBB265_702:
	s_mov_b64 s[12:13], 0
	s_mov_b64 s[8:9], s[44:45]
	s_cbranch_execz .LBB265_701
; %bb.703:
	s_and_b32 s10, 0xffff, s18
	s_cmp_lt_i32 s10, 5
	s_mov_b64 s[4:5], -1
	s_cbranch_scc1 .LBB265_724
; %bb.704:
	s_cmp_lt_i32 s10, 8
	s_cbranch_scc1 .LBB265_714
; %bb.705:
	s_cmp_lt_i32 s10, 9
	s_cbranch_scc1 .LBB265_711
; %bb.706:
	s_cmp_gt_i32 s10, 9
	s_cbranch_scc0 .LBB265_708
; %bb.707:
	v_cndmask_b32_e64 v2, 0, 1, s[38:39]
	v_cvt_f64_u32_e32 v[2:3], v2
	v_mov_b32_e32 v4, 0
	v_mov_b32_e32 v5, v4
	s_mov_b64 s[4:5], 0
	global_store_dwordx4 v[0:1], v[2:5], off
.LBB265_708:
	s_andn2_b64 vcc, exec, s[4:5]
	s_cbranch_vccnz .LBB265_710
; %bb.709:
	v_cndmask_b32_e64 v2, 0, 1.0, s[38:39]
	v_mov_b32_e32 v3, 0
	global_store_dwordx2 v[0:1], v[2:3], off
.LBB265_710:
	s_mov_b64 s[4:5], 0
.LBB265_711:
	s_andn2_b64 vcc, exec, s[4:5]
	s_cbranch_vccnz .LBB265_713
; %bb.712:
	v_cndmask_b32_e64 v2, 0, 1.0, s[38:39]
	v_cvt_f16_f32_e32 v2, v2
	global_store_dword v[0:1], v2, off
.LBB265_713:
	s_mov_b64 s[4:5], 0
.LBB265_714:
	s_andn2_b64 vcc, exec, s[4:5]
	s_cbranch_vccnz .LBB265_723
; %bb.715:
	s_cmp_lt_i32 s10, 6
	s_mov_b64 s[4:5], -1
	s_cbranch_scc1 .LBB265_721
; %bb.716:
	s_cmp_gt_i32 s10, 6
	s_cbranch_scc0 .LBB265_718
; %bb.717:
	v_cndmask_b32_e64 v2, 0, 1, s[38:39]
	v_cvt_f64_u32_e32 v[2:3], v2
	s_mov_b64 s[4:5], 0
	global_store_dwordx2 v[0:1], v[2:3], off
.LBB265_718:
	s_andn2_b64 vcc, exec, s[4:5]
	s_cbranch_vccnz .LBB265_720
; %bb.719:
	v_cndmask_b32_e64 v2, 0, 1.0, s[38:39]
	global_store_dword v[0:1], v2, off
.LBB265_720:
	s_mov_b64 s[4:5], 0
.LBB265_721:
	s_andn2_b64 vcc, exec, s[4:5]
	s_cbranch_vccnz .LBB265_723
; %bb.722:
	v_cndmask_b32_e64 v2, 0, 1.0, s[38:39]
	v_cvt_f16_f32_e32 v2, v2
	global_store_short v[0:1], v2, off
.LBB265_723:
	s_mov_b64 s[4:5], 0
.LBB265_724:
	s_andn2_b64 vcc, exec, s[4:5]
	s_cbranch_vccnz .LBB265_740
; %bb.725:
	s_cmp_lt_i32 s10, 2
	s_mov_b64 s[4:5], -1
	s_cbranch_scc1 .LBB265_735
; %bb.726:
	s_cmp_lt_i32 s10, 3
	s_cbranch_scc1 .LBB265_732
; %bb.727:
	s_cmp_gt_i32 s10, 3
	s_cbranch_scc0 .LBB265_729
; %bb.728:
	s_mov_b32 s4, 0
	v_cndmask_b32_e64 v2, 0, 1, s[38:39]
	v_mov_b32_e32 v3, s4
	global_store_dwordx2 v[0:1], v[2:3], off
	s_mov_b64 s[4:5], 0
.LBB265_729:
	s_andn2_b64 vcc, exec, s[4:5]
	s_cbranch_vccnz .LBB265_731
; %bb.730:
	v_cndmask_b32_e64 v2, 0, 1, s[38:39]
	global_store_dword v[0:1], v2, off
.LBB265_731:
	s_mov_b64 s[4:5], 0
.LBB265_732:
	s_andn2_b64 vcc, exec, s[4:5]
	s_cbranch_vccnz .LBB265_734
; %bb.733:
	v_cndmask_b32_e64 v2, 0, 1, s[38:39]
	global_store_short v[0:1], v2, off
.LBB265_734:
	s_mov_b64 s[4:5], 0
.LBB265_735:
	s_andn2_b64 vcc, exec, s[4:5]
	s_cbranch_vccnz .LBB265_740
; %bb.736:
	s_cmp_gt_i32 s10, 0
	s_mov_b64 s[4:5], -1
	s_cbranch_scc0 .LBB265_738
; %bb.737:
	v_cndmask_b32_e64 v2, 0, 1, s[38:39]
	global_store_byte v[0:1], v2, off
	s_mov_b64 s[4:5], 0
.LBB265_738:
	s_andn2_b64 vcc, exec, s[4:5]
	s_cbranch_vccnz .LBB265_740
; %bb.739:
	v_cndmask_b32_e64 v2, 0, 1, s[38:39]
	global_store_byte v[0:1], v2, off
.LBB265_740:
.LBB265_741:
	v_mov_b32_e32 v1, s41
	s_and_b32 s19, 0xffff, s18
	v_add_co_u32_e32 v0, vcc, s40, v18
	s_cmp_lt_i32 s19, 11
	v_addc_co_u32_e32 v1, vcc, 0, v1, vcc
	s_cbranch_scc1 .LBB265_820
; %bb.742:
	s_mov_b64 s[14:15], -1
	s_mov_b64 s[10:11], 0
	s_cmp_gt_i32 s19, 25
	s_mov_b64 s[12:13], 0
	s_mov_b64 s[4:5], 0
	s_cbranch_scc0 .LBB265_775
; %bb.743:
	s_cmp_gt_i32 s19, 28
	s_cbranch_scc0 .LBB265_758
; %bb.744:
	s_cmp_gt_i32 s19, 43
	;; [unrolled: 3-line block ×3, first 2 shown]
	s_cbranch_scc0 .LBB265_748
; %bb.746:
	s_mov_b64 s[4:5], -1
	s_mov_b64 s[14:15], 0
	s_cmp_eq_u32 s19, 46
	s_cbranch_scc0 .LBB265_748
; %bb.747:
	v_cndmask_b32_e64 v2, 0, 1.0, s[36:37]
	v_bfe_u32 v3, v2, 16, 1
	s_movk_i32 s4, 0x7fff
	v_add3_u32 v2, v2, v3, s4
	v_lshrrev_b32_e32 v2, 16, v2
	global_store_dword v[0:1], v2, off
	s_mov_b64 s[4:5], 0
	s_mov_b64 s[12:13], -1
.LBB265_748:
	s_and_b64 vcc, exec, s[14:15]
	s_cbranch_vccz .LBB265_753
; %bb.749:
	s_cmp_eq_u32 s19, 44
	s_mov_b64 s[4:5], -1
	s_cbranch_scc0 .LBB265_753
; %bb.750:
	v_cndmask_b32_e64 v3, 0, 1.0, s[36:37]
	v_lshrrev_b32_e32 v2, 23, v3
	s_movk_i32 s4, 0xff
	v_cmp_ne_u32_e32 vcc, s4, v2
	v_mov_b32_e32 v4, 0xff
	s_and_saveexec_b64 s[12:13], vcc
; %bb.751:
	s_mov_b32 s4, 0x3fffff
	v_and_b32_e32 v4, 0x400000, v3
	v_and_or_b32 v3, v3, s4, v2
	v_cmp_ne_u32_e32 vcc, 0, v4
	v_cmp_ne_u32_e64 s[4:5], 0, v3
	s_and_b64 s[4:5], vcc, s[4:5]
	v_cndmask_b32_e64 v3, 0, 1, s[4:5]
	v_add_u32_e32 v4, v2, v3
; %bb.752:
	s_or_b64 exec, exec, s[12:13]
	s_mov_b64 s[4:5], 0
	s_mov_b64 s[12:13], -1
	global_store_byte v[0:1], v4, off
.LBB265_753:
	s_mov_b64 s[14:15], 0
.LBB265_754:
	s_and_b64 vcc, exec, s[14:15]
	s_cbranch_vccz .LBB265_757
; %bb.755:
	s_cmp_eq_u32 s19, 29
	s_mov_b64 s[4:5], -1
	s_cbranch_scc0 .LBB265_757
; %bb.756:
	s_mov_b32 s4, 0
	v_cndmask_b32_e64 v2, 0, 1, s[36:37]
	v_mov_b32_e32 v3, s4
	global_store_dwordx2 v[0:1], v[2:3], off
	s_mov_b64 s[4:5], 0
	s_mov_b64 s[12:13], -1
.LBB265_757:
	s_mov_b64 s[14:15], 0
.LBB265_758:
	s_and_b64 vcc, exec, s[14:15]
	s_cbranch_vccz .LBB265_774
; %bb.759:
	s_cmp_lt_i32 s19, 27
	s_mov_b64 s[12:13], -1
	s_cbranch_scc1 .LBB265_765
; %bb.760:
	s_cmp_gt_i32 s19, 27
	s_cbranch_scc0 .LBB265_762
; %bb.761:
	v_cndmask_b32_e64 v2, 0, 1, s[36:37]
	s_mov_b64 s[12:13], 0
	global_store_dword v[0:1], v2, off
.LBB265_762:
	s_andn2_b64 vcc, exec, s[12:13]
	s_cbranch_vccnz .LBB265_764
; %bb.763:
	v_cndmask_b32_e64 v2, 0, 1, s[36:37]
	global_store_short v[0:1], v2, off
.LBB265_764:
	s_mov_b64 s[12:13], 0
.LBB265_765:
	s_andn2_b64 vcc, exec, s[12:13]
	s_cbranch_vccnz .LBB265_773
; %bb.766:
	v_cndmask_b32_e64 v3, 0, 1.0, s[36:37]
	s_mov_b32 s12, 0x43800000
	v_cmp_gt_u32_e32 vcc, s12, v3
	v_mov_b32_e32 v4, 0x80
	s_and_saveexec_b64 s[12:13], vcc
	s_cbranch_execz .LBB265_772
; %bb.767:
	s_mov_b32 s14, 0x3bffffff
	v_cmp_lt_u32_e32 vcc, s14, v3
	s_mov_b64 s[14:15], 0
                                        ; implicit-def: $vgpr2
	s_and_saveexec_b64 s[16:17], vcc
	s_xor_b64 s[16:17], exec, s[16:17]
	s_cbranch_execz .LBB265_1104
; %bb.768:
	v_bfe_u32 v2, v3, 20, 1
	s_mov_b32 s20, 0x487ffff
	v_add3_u32 v2, v3, v2, s20
	s_mov_b64 s[14:15], exec
	v_lshrrev_b32_e32 v2, 20, v2
                                        ; implicit-def: $vgpr3
	s_andn2_saveexec_b64 s[16:17], s[16:17]
	s_cbranch_execnz .LBB265_1105
.LBB265_769:
	s_or_b64 exec, exec, s[16:17]
	v_mov_b32_e32 v4, 0
	s_and_saveexec_b64 s[16:17], s[14:15]
.LBB265_770:
	v_mov_b32_e32 v4, v2
.LBB265_771:
	s_or_b64 exec, exec, s[16:17]
.LBB265_772:
	s_or_b64 exec, exec, s[12:13]
	global_store_byte v[0:1], v4, off
.LBB265_773:
	s_mov_b64 s[12:13], -1
.LBB265_774:
	s_mov_b64 s[14:15], 0
.LBB265_775:
	s_and_b64 vcc, exec, s[14:15]
	s_cbranch_vccz .LBB265_815
; %bb.776:
	s_cmp_gt_i32 s19, 22
	s_mov_b64 s[10:11], -1
	s_cbranch_scc0 .LBB265_808
; %bb.777:
	s_cmp_lt_i32 s19, 24
	s_cbranch_scc1 .LBB265_797
; %bb.778:
	s_cmp_gt_i32 s19, 24
	s_cbranch_scc0 .LBB265_786
; %bb.779:
	v_cndmask_b32_e64 v3, 0, 1.0, s[36:37]
	s_mov_b32 s10, 0x47800000
	v_cmp_gt_u32_e32 vcc, s10, v3
	v_mov_b32_e32 v4, 0x80
	s_and_saveexec_b64 s[10:11], vcc
	s_cbranch_execz .LBB265_785
; %bb.780:
	s_mov_b32 s12, 0x37ffffff
	v_cmp_lt_u32_e32 vcc, s12, v3
	s_mov_b64 s[12:13], 0
                                        ; implicit-def: $vgpr2
	s_and_saveexec_b64 s[14:15], vcc
	s_xor_b64 s[14:15], exec, s[14:15]
	s_cbranch_execz .LBB265_1107
; %bb.781:
	v_bfe_u32 v2, v3, 21, 1
	s_mov_b32 s16, 0x88fffff
	v_add3_u32 v2, v3, v2, s16
	s_mov_b64 s[12:13], exec
	v_lshrrev_b32_e32 v2, 21, v2
                                        ; implicit-def: $vgpr3
	s_andn2_saveexec_b64 s[14:15], s[14:15]
	s_cbranch_execnz .LBB265_1108
.LBB265_782:
	s_or_b64 exec, exec, s[14:15]
	v_mov_b32_e32 v4, 0
	s_and_saveexec_b64 s[14:15], s[12:13]
.LBB265_783:
	v_mov_b32_e32 v4, v2
.LBB265_784:
	s_or_b64 exec, exec, s[14:15]
.LBB265_785:
	s_or_b64 exec, exec, s[10:11]
	s_mov_b64 s[10:11], 0
	global_store_byte v[0:1], v4, off
.LBB265_786:
	s_and_b64 vcc, exec, s[10:11]
	s_cbranch_vccz .LBB265_796
; %bb.787:
	v_cndmask_b32_e64 v2, 0, 1.0, s[36:37]
	s_mov_b32 s10, 0x43f00000
	v_cmp_gt_u32_e32 vcc, s10, v2
                                        ; implicit-def: $vgpr3
	s_and_saveexec_b64 s[10:11], vcc
	s_xor_b64 s[10:11], exec, s[10:11]
	s_cbranch_execz .LBB265_793
; %bb.788:
	s_mov_b32 s12, 0x3c7fffff
	v_cmp_lt_u32_e32 vcc, s12, v2
                                        ; implicit-def: $vgpr3
	s_and_saveexec_b64 s[12:13], vcc
	s_xor_b64 s[12:13], exec, s[12:13]
; %bb.789:
	v_bfe_u32 v3, v2, 20, 1
	s_mov_b32 s14, 0x407ffff
	v_add3_u32 v2, v2, v3, s14
	v_lshrrev_b32_e32 v3, 20, v2
	v_and_b32_e32 v2, 0xff00000, v2
	s_mov_b32 s14, 0x7f00000
	v_mov_b32_e32 v4, 0x7e
	v_cmp_ne_u32_e32 vcc, s14, v2
	v_cndmask_b32_e32 v3, v4, v3, vcc
                                        ; implicit-def: $vgpr2
; %bb.790:
	s_andn2_saveexec_b64 s[12:13], s[12:13]
; %bb.791:
	v_add_f32_e32 v3, 0x46800000, v2
; %bb.792:
	s_or_b64 exec, exec, s[12:13]
                                        ; implicit-def: $vgpr2
.LBB265_793:
	s_andn2_saveexec_b64 s[10:11], s[10:11]
; %bb.794:
	s_mov_b32 s12, 0x7f800000
	v_mov_b32_e32 v3, 0x7e
	v_mov_b32_e32 v4, 0x7f
	v_cmp_lt_u32_e32 vcc, s12, v2
	v_cndmask_b32_e32 v3, v3, v4, vcc
; %bb.795:
	s_or_b64 exec, exec, s[10:11]
	global_store_byte v[0:1], v3, off
.LBB265_796:
	s_mov_b64 s[10:11], 0
.LBB265_797:
	s_andn2_b64 vcc, exec, s[10:11]
	s_cbranch_vccnz .LBB265_807
; %bb.798:
	v_cndmask_b32_e64 v2, 0, 1.0, s[36:37]
	s_mov_b32 s10, 0x47800000
	v_cmp_gt_u32_e32 vcc, s10, v2
                                        ; implicit-def: $vgpr3
	s_and_saveexec_b64 s[10:11], vcc
	s_xor_b64 s[10:11], exec, s[10:11]
	s_cbranch_execz .LBB265_804
; %bb.799:
	s_mov_b32 s12, 0x387fffff
	v_cmp_lt_u32_e32 vcc, s12, v2
                                        ; implicit-def: $vgpr3
	s_and_saveexec_b64 s[12:13], vcc
	s_xor_b64 s[12:13], exec, s[12:13]
; %bb.800:
	v_bfe_u32 v3, v2, 21, 1
	s_mov_b32 s14, 0x80fffff
	v_add3_u32 v2, v2, v3, s14
	v_lshrrev_b32_e32 v3, 21, v2
                                        ; implicit-def: $vgpr2
; %bb.801:
	s_andn2_saveexec_b64 s[12:13], s[12:13]
; %bb.802:
	v_add_f32_e32 v3, 0x43000000, v2
; %bb.803:
	s_or_b64 exec, exec, s[12:13]
                                        ; implicit-def: $vgpr2
.LBB265_804:
	s_andn2_saveexec_b64 s[10:11], s[10:11]
; %bb.805:
	s_mov_b32 s12, 0x7f800000
	v_mov_b32_e32 v3, 0x7c
	v_mov_b32_e32 v4, 0x7f
	v_cmp_lt_u32_e32 vcc, s12, v2
	v_cndmask_b32_e32 v3, v3, v4, vcc
; %bb.806:
	s_or_b64 exec, exec, s[10:11]
	global_store_byte v[0:1], v3, off
.LBB265_807:
	s_mov_b64 s[10:11], 0
	s_mov_b64 s[12:13], -1
.LBB265_808:
	s_andn2_b64 vcc, exec, s[10:11]
	s_mov_b64 s[10:11], 0
	s_cbranch_vccnz .LBB265_815
; %bb.809:
	s_cmp_gt_i32 s19, 14
	s_mov_b64 s[14:15], -1
	s_cbranch_scc0 .LBB265_813
; %bb.810:
	s_cmp_eq_u32 s19, 15
	s_mov_b64 s[4:5], -1
	s_cbranch_scc0 .LBB265_812
; %bb.811:
	v_cndmask_b32_e64 v2, 0, 1.0, s[36:37]
	v_bfe_u32 v3, v2, 16, 1
	s_movk_i32 s4, 0x7fff
	v_add3_u32 v2, v2, v3, s4
	global_store_short_d16_hi v[0:1], v2, off
	s_mov_b64 s[4:5], 0
	s_mov_b64 s[12:13], -1
.LBB265_812:
	s_mov_b64 s[14:15], 0
.LBB265_813:
	s_and_b64 vcc, exec, s[14:15]
	s_cbranch_vccz .LBB265_815
; %bb.814:
	s_cmp_lg_u32 s19, 11
	s_mov_b64 s[10:11], -1
	s_cselect_b64 s[4:5], -1, 0
.LBB265_815:
	s_and_b64 vcc, exec, s[4:5]
	s_cbranch_vccnz .LBB265_1106
; %bb.816:
	s_andn2_b64 vcc, exec, s[10:11]
	s_cbranch_vccnz .LBB265_818
.LBB265_817:
	v_cndmask_b32_e64 v2, 0, 1, s[36:37]
	s_mov_b64 s[12:13], -1
	global_store_byte v[0:1], v2, off
.LBB265_818:
.LBB265_819:
	s_andn2_b64 vcc, exec, s[12:13]
	s_cbranch_vccz .LBB265_859
	s_branch .LBB265_1053
.LBB265_820:
	s_mov_b64 s[12:13], 0
	s_cbranch_execz .LBB265_819
; %bb.821:
	s_cmp_lt_i32 s19, 5
	s_mov_b64 s[4:5], -1
	s_cbranch_scc1 .LBB265_842
; %bb.822:
	s_cmp_lt_i32 s19, 8
	s_cbranch_scc1 .LBB265_832
; %bb.823:
	s_cmp_lt_i32 s19, 9
	s_cbranch_scc1 .LBB265_829
; %bb.824:
	s_cmp_gt_i32 s19, 9
	s_cbranch_scc0 .LBB265_826
; %bb.825:
	v_cndmask_b32_e64 v2, 0, 1, s[36:37]
	v_cvt_f64_u32_e32 v[2:3], v2
	v_mov_b32_e32 v4, 0
	v_mov_b32_e32 v5, v4
	s_mov_b64 s[4:5], 0
	global_store_dwordx4 v[0:1], v[2:5], off
.LBB265_826:
	s_andn2_b64 vcc, exec, s[4:5]
	s_cbranch_vccnz .LBB265_828
; %bb.827:
	v_cndmask_b32_e64 v2, 0, 1.0, s[36:37]
	v_mov_b32_e32 v3, 0
	global_store_dwordx2 v[0:1], v[2:3], off
.LBB265_828:
	s_mov_b64 s[4:5], 0
.LBB265_829:
	s_andn2_b64 vcc, exec, s[4:5]
	s_cbranch_vccnz .LBB265_831
; %bb.830:
	v_cndmask_b32_e64 v2, 0, 1.0, s[36:37]
	v_cvt_f16_f32_e32 v2, v2
	global_store_dword v[0:1], v2, off
.LBB265_831:
	s_mov_b64 s[4:5], 0
.LBB265_832:
	s_andn2_b64 vcc, exec, s[4:5]
	s_cbranch_vccnz .LBB265_841
; %bb.833:
	s_cmp_lt_i32 s19, 6
	s_mov_b64 s[4:5], -1
	s_cbranch_scc1 .LBB265_839
; %bb.834:
	s_cmp_gt_i32 s19, 6
	s_cbranch_scc0 .LBB265_836
; %bb.835:
	v_cndmask_b32_e64 v2, 0, 1, s[36:37]
	v_cvt_f64_u32_e32 v[2:3], v2
	s_mov_b64 s[4:5], 0
	global_store_dwordx2 v[0:1], v[2:3], off
.LBB265_836:
	s_andn2_b64 vcc, exec, s[4:5]
	s_cbranch_vccnz .LBB265_838
; %bb.837:
	v_cndmask_b32_e64 v2, 0, 1.0, s[36:37]
	global_store_dword v[0:1], v2, off
.LBB265_838:
	s_mov_b64 s[4:5], 0
.LBB265_839:
	s_andn2_b64 vcc, exec, s[4:5]
	s_cbranch_vccnz .LBB265_841
; %bb.840:
	v_cndmask_b32_e64 v2, 0, 1.0, s[36:37]
	v_cvt_f16_f32_e32 v2, v2
	global_store_short v[0:1], v2, off
.LBB265_841:
	s_mov_b64 s[4:5], 0
.LBB265_842:
	s_andn2_b64 vcc, exec, s[4:5]
	s_cbranch_vccnz .LBB265_858
; %bb.843:
	s_cmp_lt_i32 s19, 2
	s_mov_b64 s[4:5], -1
	s_cbranch_scc1 .LBB265_853
; %bb.844:
	s_cmp_lt_i32 s19, 3
	s_cbranch_scc1 .LBB265_850
; %bb.845:
	s_cmp_gt_i32 s19, 3
	s_cbranch_scc0 .LBB265_847
; %bb.846:
	s_mov_b32 s4, 0
	v_cndmask_b32_e64 v2, 0, 1, s[36:37]
	v_mov_b32_e32 v3, s4
	global_store_dwordx2 v[0:1], v[2:3], off
	s_mov_b64 s[4:5], 0
.LBB265_847:
	s_andn2_b64 vcc, exec, s[4:5]
	s_cbranch_vccnz .LBB265_849
; %bb.848:
	v_cndmask_b32_e64 v2, 0, 1, s[36:37]
	global_store_dword v[0:1], v2, off
.LBB265_849:
	s_mov_b64 s[4:5], 0
.LBB265_850:
	s_andn2_b64 vcc, exec, s[4:5]
	s_cbranch_vccnz .LBB265_852
; %bb.851:
	v_cndmask_b32_e64 v2, 0, 1, s[36:37]
	global_store_short v[0:1], v2, off
.LBB265_852:
	s_mov_b64 s[4:5], 0
.LBB265_853:
	s_andn2_b64 vcc, exec, s[4:5]
	s_cbranch_vccnz .LBB265_858
; %bb.854:
	s_cmp_gt_i32 s19, 0
	s_mov_b64 s[4:5], -1
	s_cbranch_scc0 .LBB265_856
; %bb.855:
	v_cndmask_b32_e64 v2, 0, 1, s[36:37]
	global_store_byte v[0:1], v2, off
	s_mov_b64 s[4:5], 0
.LBB265_856:
	s_andn2_b64 vcc, exec, s[4:5]
	s_cbranch_vccnz .LBB265_858
; %bb.857:
	v_cndmask_b32_e64 v2, 0, 1, s[36:37]
	global_store_byte v[0:1], v2, off
.LBB265_858:
.LBB265_859:
	v_mov_b32_e32 v1, s41
	v_add_co_u32_e32 v0, vcc, s40, v16
	s_cmp_lt_i32 s19, 11
	v_addc_co_u32_e32 v1, vcc, 0, v1, vcc
	s_cbranch_scc1 .LBB265_1014
; %bb.860:
	s_mov_b64 s[14:15], -1
	s_mov_b64 s[10:11], 0
	s_cmp_gt_i32 s19, 25
	s_mov_b64 s[12:13], 0
	s_mov_b64 s[4:5], 0
	s_cbranch_scc0 .LBB265_893
; %bb.861:
	s_cmp_gt_i32 s19, 28
	s_cbranch_scc0 .LBB265_876
; %bb.862:
	s_cmp_gt_i32 s19, 43
	;; [unrolled: 3-line block ×3, first 2 shown]
	s_cbranch_scc0 .LBB265_866
; %bb.864:
	s_mov_b64 s[4:5], -1
	s_mov_b64 s[14:15], 0
	s_cmp_eq_u32 s19, 46
	s_cbranch_scc0 .LBB265_866
; %bb.865:
	v_cndmask_b32_e64 v2, 0, 1.0, s[34:35]
	v_bfe_u32 v3, v2, 16, 1
	s_movk_i32 s4, 0x7fff
	v_add3_u32 v2, v2, v3, s4
	v_lshrrev_b32_e32 v2, 16, v2
	global_store_dword v[0:1], v2, off
	s_mov_b64 s[4:5], 0
	s_mov_b64 s[12:13], -1
.LBB265_866:
	s_and_b64 vcc, exec, s[14:15]
	s_cbranch_vccz .LBB265_871
; %bb.867:
	s_cmp_eq_u32 s19, 44
	s_mov_b64 s[4:5], -1
	s_cbranch_scc0 .LBB265_871
; %bb.868:
	v_cndmask_b32_e64 v3, 0, 1.0, s[34:35]
	v_lshrrev_b32_e32 v2, 23, v3
	s_movk_i32 s4, 0xff
	v_cmp_ne_u32_e32 vcc, s4, v2
	v_mov_b32_e32 v4, 0xff
	s_and_saveexec_b64 s[12:13], vcc
; %bb.869:
	s_mov_b32 s4, 0x3fffff
	v_and_b32_e32 v4, 0x400000, v3
	v_and_or_b32 v3, v3, s4, v2
	v_cmp_ne_u32_e32 vcc, 0, v4
	v_cmp_ne_u32_e64 s[4:5], 0, v3
	s_and_b64 s[4:5], vcc, s[4:5]
	v_cndmask_b32_e64 v3, 0, 1, s[4:5]
	v_add_u32_e32 v4, v2, v3
; %bb.870:
	s_or_b64 exec, exec, s[12:13]
	s_mov_b64 s[4:5], 0
	s_mov_b64 s[12:13], -1
	global_store_byte v[0:1], v4, off
.LBB265_871:
	s_mov_b64 s[14:15], 0
.LBB265_872:
	s_and_b64 vcc, exec, s[14:15]
	s_cbranch_vccz .LBB265_875
; %bb.873:
	s_cmp_eq_u32 s19, 29
	s_mov_b64 s[4:5], -1
	s_cbranch_scc0 .LBB265_875
; %bb.874:
	s_mov_b32 s4, 0
	v_cndmask_b32_e64 v2, 0, 1, s[34:35]
	v_mov_b32_e32 v3, s4
	global_store_dwordx2 v[0:1], v[2:3], off
	s_mov_b64 s[4:5], 0
	s_mov_b64 s[12:13], -1
.LBB265_875:
	s_mov_b64 s[14:15], 0
.LBB265_876:
	s_and_b64 vcc, exec, s[14:15]
	s_cbranch_vccz .LBB265_892
; %bb.877:
	s_cmp_lt_i32 s19, 27
	s_mov_b64 s[12:13], -1
	s_cbranch_scc1 .LBB265_883
; %bb.878:
	s_cmp_gt_i32 s19, 27
	s_cbranch_scc0 .LBB265_880
; %bb.879:
	v_cndmask_b32_e64 v2, 0, 1, s[34:35]
	s_mov_b64 s[12:13], 0
	global_store_dword v[0:1], v2, off
.LBB265_880:
	s_andn2_b64 vcc, exec, s[12:13]
	s_cbranch_vccnz .LBB265_882
; %bb.881:
	v_cndmask_b32_e64 v2, 0, 1, s[34:35]
	global_store_short v[0:1], v2, off
.LBB265_882:
	s_mov_b64 s[12:13], 0
.LBB265_883:
	s_andn2_b64 vcc, exec, s[12:13]
	s_cbranch_vccnz .LBB265_891
; %bb.884:
	v_cndmask_b32_e64 v3, 0, 1.0, s[34:35]
	s_mov_b32 s12, 0x43800000
	v_cmp_gt_u32_e32 vcc, s12, v3
	v_mov_b32_e32 v4, 0x80
	s_and_saveexec_b64 s[12:13], vcc
	s_cbranch_execz .LBB265_890
; %bb.885:
	s_mov_b32 s14, 0x3bffffff
	v_cmp_lt_u32_e32 vcc, s14, v3
	s_mov_b64 s[14:15], 0
                                        ; implicit-def: $vgpr2
	s_and_saveexec_b64 s[16:17], vcc
	s_xor_b64 s[16:17], exec, s[16:17]
	s_cbranch_execz .LBB265_1109
; %bb.886:
	v_bfe_u32 v2, v3, 20, 1
	s_mov_b32 s20, 0x487ffff
	v_add3_u32 v2, v3, v2, s20
	s_mov_b64 s[14:15], exec
	v_lshrrev_b32_e32 v2, 20, v2
                                        ; implicit-def: $vgpr3
	s_andn2_saveexec_b64 s[16:17], s[16:17]
	s_cbranch_execnz .LBB265_1110
.LBB265_887:
	s_or_b64 exec, exec, s[16:17]
	v_mov_b32_e32 v4, 0
	s_and_saveexec_b64 s[16:17], s[14:15]
.LBB265_888:
	v_mov_b32_e32 v4, v2
.LBB265_889:
	s_or_b64 exec, exec, s[16:17]
.LBB265_890:
	s_or_b64 exec, exec, s[12:13]
	global_store_byte v[0:1], v4, off
.LBB265_891:
	s_mov_b64 s[12:13], -1
.LBB265_892:
	s_mov_b64 s[14:15], 0
.LBB265_893:
	s_and_b64 vcc, exec, s[14:15]
	s_cbranch_vccz .LBB265_933
; %bb.894:
	s_cmp_gt_i32 s19, 22
	s_mov_b64 s[10:11], -1
	s_cbranch_scc0 .LBB265_926
; %bb.895:
	s_cmp_lt_i32 s19, 24
	s_cbranch_scc1 .LBB265_915
; %bb.896:
	s_cmp_gt_i32 s19, 24
	s_cbranch_scc0 .LBB265_904
; %bb.897:
	v_cndmask_b32_e64 v3, 0, 1.0, s[34:35]
	s_mov_b32 s10, 0x47800000
	v_cmp_gt_u32_e32 vcc, s10, v3
	v_mov_b32_e32 v4, 0x80
	s_and_saveexec_b64 s[10:11], vcc
	s_cbranch_execz .LBB265_903
; %bb.898:
	s_mov_b32 s12, 0x37ffffff
	v_cmp_lt_u32_e32 vcc, s12, v3
	s_mov_b64 s[12:13], 0
                                        ; implicit-def: $vgpr2
	s_and_saveexec_b64 s[14:15], vcc
	s_xor_b64 s[14:15], exec, s[14:15]
	s_cbranch_execz .LBB265_1114
; %bb.899:
	v_bfe_u32 v2, v3, 21, 1
	s_mov_b32 s16, 0x88fffff
	v_add3_u32 v2, v3, v2, s16
	s_mov_b64 s[12:13], exec
	v_lshrrev_b32_e32 v2, 21, v2
                                        ; implicit-def: $vgpr3
	s_andn2_saveexec_b64 s[14:15], s[14:15]
	s_cbranch_execnz .LBB265_1115
.LBB265_900:
	s_or_b64 exec, exec, s[14:15]
	v_mov_b32_e32 v4, 0
	s_and_saveexec_b64 s[14:15], s[12:13]
.LBB265_901:
	v_mov_b32_e32 v4, v2
.LBB265_902:
	s_or_b64 exec, exec, s[14:15]
.LBB265_903:
	s_or_b64 exec, exec, s[10:11]
	s_mov_b64 s[10:11], 0
	global_store_byte v[0:1], v4, off
.LBB265_904:
	s_and_b64 vcc, exec, s[10:11]
	s_cbranch_vccz .LBB265_914
; %bb.905:
	v_cndmask_b32_e64 v2, 0, 1.0, s[34:35]
	s_mov_b32 s10, 0x43f00000
	v_cmp_gt_u32_e32 vcc, s10, v2
                                        ; implicit-def: $vgpr3
	s_and_saveexec_b64 s[10:11], vcc
	s_xor_b64 s[10:11], exec, s[10:11]
	s_cbranch_execz .LBB265_911
; %bb.906:
	s_mov_b32 s12, 0x3c7fffff
	v_cmp_lt_u32_e32 vcc, s12, v2
                                        ; implicit-def: $vgpr3
	s_and_saveexec_b64 s[12:13], vcc
	s_xor_b64 s[12:13], exec, s[12:13]
; %bb.907:
	v_bfe_u32 v3, v2, 20, 1
	s_mov_b32 s14, 0x407ffff
	v_add3_u32 v2, v2, v3, s14
	v_lshrrev_b32_e32 v3, 20, v2
	v_and_b32_e32 v2, 0xff00000, v2
	s_mov_b32 s14, 0x7f00000
	v_mov_b32_e32 v4, 0x7e
	v_cmp_ne_u32_e32 vcc, s14, v2
	v_cndmask_b32_e32 v3, v4, v3, vcc
                                        ; implicit-def: $vgpr2
; %bb.908:
	s_andn2_saveexec_b64 s[12:13], s[12:13]
; %bb.909:
	v_add_f32_e32 v3, 0x46800000, v2
; %bb.910:
	s_or_b64 exec, exec, s[12:13]
                                        ; implicit-def: $vgpr2
.LBB265_911:
	s_andn2_saveexec_b64 s[10:11], s[10:11]
; %bb.912:
	s_mov_b32 s12, 0x7f800000
	v_mov_b32_e32 v3, 0x7e
	v_mov_b32_e32 v4, 0x7f
	v_cmp_lt_u32_e32 vcc, s12, v2
	v_cndmask_b32_e32 v3, v3, v4, vcc
; %bb.913:
	s_or_b64 exec, exec, s[10:11]
	global_store_byte v[0:1], v3, off
.LBB265_914:
	s_mov_b64 s[10:11], 0
.LBB265_915:
	s_andn2_b64 vcc, exec, s[10:11]
	s_cbranch_vccnz .LBB265_925
; %bb.916:
	v_cndmask_b32_e64 v2, 0, 1.0, s[34:35]
	s_mov_b32 s10, 0x47800000
	v_cmp_gt_u32_e32 vcc, s10, v2
                                        ; implicit-def: $vgpr3
	s_and_saveexec_b64 s[10:11], vcc
	s_xor_b64 s[10:11], exec, s[10:11]
	s_cbranch_execz .LBB265_922
; %bb.917:
	s_mov_b32 s12, 0x387fffff
	v_cmp_lt_u32_e32 vcc, s12, v2
                                        ; implicit-def: $vgpr3
	s_and_saveexec_b64 s[12:13], vcc
	s_xor_b64 s[12:13], exec, s[12:13]
; %bb.918:
	v_bfe_u32 v3, v2, 21, 1
	s_mov_b32 s14, 0x80fffff
	v_add3_u32 v2, v2, v3, s14
	v_lshrrev_b32_e32 v3, 21, v2
                                        ; implicit-def: $vgpr2
; %bb.919:
	s_andn2_saveexec_b64 s[12:13], s[12:13]
; %bb.920:
	v_add_f32_e32 v3, 0x43000000, v2
; %bb.921:
	s_or_b64 exec, exec, s[12:13]
                                        ; implicit-def: $vgpr2
.LBB265_922:
	s_andn2_saveexec_b64 s[10:11], s[10:11]
; %bb.923:
	s_mov_b32 s12, 0x7f800000
	v_mov_b32_e32 v3, 0x7c
	v_mov_b32_e32 v4, 0x7f
	v_cmp_lt_u32_e32 vcc, s12, v2
	v_cndmask_b32_e32 v3, v3, v4, vcc
; %bb.924:
	s_or_b64 exec, exec, s[10:11]
	global_store_byte v[0:1], v3, off
.LBB265_925:
	s_mov_b64 s[10:11], 0
	s_mov_b64 s[12:13], -1
.LBB265_926:
	s_andn2_b64 vcc, exec, s[10:11]
	s_mov_b64 s[10:11], 0
	s_cbranch_vccnz .LBB265_933
; %bb.927:
	s_cmp_gt_i32 s19, 14
	s_mov_b64 s[14:15], -1
	s_cbranch_scc0 .LBB265_931
; %bb.928:
	s_cmp_eq_u32 s19, 15
	s_mov_b64 s[4:5], -1
	s_cbranch_scc0 .LBB265_930
; %bb.929:
	v_cndmask_b32_e64 v2, 0, 1.0, s[34:35]
	v_bfe_u32 v3, v2, 16, 1
	s_movk_i32 s4, 0x7fff
	v_add3_u32 v2, v2, v3, s4
	global_store_short_d16_hi v[0:1], v2, off
	s_mov_b64 s[4:5], 0
	s_mov_b64 s[12:13], -1
.LBB265_930:
	s_mov_b64 s[14:15], 0
.LBB265_931:
	s_and_b64 vcc, exec, s[14:15]
	s_cbranch_vccz .LBB265_933
; %bb.932:
	s_cmp_lg_u32 s19, 11
	s_mov_b64 s[10:11], -1
	s_cselect_b64 s[4:5], -1, 0
.LBB265_933:
	s_and_b64 vcc, exec, s[4:5]
	s_cbranch_vccnz .LBB265_1111
; %bb.934:
	s_andn2_b64 vcc, exec, s[10:11]
	s_cbranch_vccnz .LBB265_936
.LBB265_935:
	v_cndmask_b32_e64 v2, 0, 1, s[34:35]
	s_mov_b64 s[12:13], -1
	global_store_byte v[0:1], v2, off
.LBB265_936:
.LBB265_937:
	s_andn2_b64 vcc, exec, s[12:13]
	s_cbranch_vccnz .LBB265_1053
.LBB265_938:
	v_mov_b32_e32 v1, s41
	v_add_co_u32_e32 v0, vcc, s40, v14
	s_cmp_lt_i32 s19, 11
	v_addc_co_u32_e32 v1, vcc, 0, v1, vcc
	s_cbranch_scc1 .LBB265_1098
; %bb.939:
	s_mov_b64 s[12:13], -1
	s_mov_b64 s[10:11], 0
	s_cmp_gt_i32 s19, 25
	s_mov_b64 s[4:5], 0
	s_cbranch_scc0 .LBB265_972
; %bb.940:
	s_cmp_gt_i32 s19, 28
	s_cbranch_scc0 .LBB265_956
; %bb.941:
	s_cmp_gt_i32 s19, 43
	;; [unrolled: 3-line block ×3, first 2 shown]
	s_cbranch_scc0 .LBB265_946
; %bb.943:
	s_cmp_eq_u32 s19, 46
	s_mov_b64 s[4:5], -1
	s_cbranch_scc0 .LBB265_945
; %bb.944:
	v_cndmask_b32_e64 v2, 0, 1.0, s[6:7]
	v_bfe_u32 v3, v2, 16, 1
	s_movk_i32 s4, 0x7fff
	v_add3_u32 v2, v2, v3, s4
	v_lshrrev_b32_e32 v2, 16, v2
	global_store_dword v[0:1], v2, off
	s_mov_b64 s[4:5], 0
.LBB265_945:
	s_mov_b64 s[12:13], 0
.LBB265_946:
	s_and_b64 vcc, exec, s[12:13]
	s_cbranch_vccz .LBB265_951
; %bb.947:
	s_cmp_eq_u32 s19, 44
	s_mov_b64 s[4:5], -1
	s_cbranch_scc0 .LBB265_951
; %bb.948:
	v_cndmask_b32_e64 v3, 0, 1.0, s[6:7]
	v_lshrrev_b32_e32 v2, 23, v3
	s_movk_i32 s4, 0xff
	v_cmp_ne_u32_e32 vcc, s4, v2
	v_mov_b32_e32 v4, 0xff
	s_and_saveexec_b64 s[12:13], vcc
; %bb.949:
	s_mov_b32 s4, 0x3fffff
	v_and_b32_e32 v4, 0x400000, v3
	v_and_or_b32 v3, v3, s4, v2
	v_cmp_ne_u32_e32 vcc, 0, v4
	v_cmp_ne_u32_e64 s[4:5], 0, v3
	s_and_b64 s[4:5], vcc, s[4:5]
	v_cndmask_b32_e64 v3, 0, 1, s[4:5]
	v_add_u32_e32 v4, v2, v3
; %bb.950:
	s_or_b64 exec, exec, s[12:13]
	s_mov_b64 s[4:5], 0
	global_store_byte v[0:1], v4, off
.LBB265_951:
	s_mov_b64 s[12:13], 0
.LBB265_952:
	s_and_b64 vcc, exec, s[12:13]
	s_cbranch_vccz .LBB265_955
; %bb.953:
	s_cmp_eq_u32 s19, 29
	s_mov_b64 s[4:5], -1
	s_cbranch_scc0 .LBB265_955
; %bb.954:
	s_mov_b32 s4, 0
	v_cndmask_b32_e64 v2, 0, 1, s[6:7]
	v_mov_b32_e32 v3, s4
	global_store_dwordx2 v[0:1], v[2:3], off
	s_mov_b64 s[4:5], 0
.LBB265_955:
	s_mov_b64 s[12:13], 0
.LBB265_956:
	s_and_b64 vcc, exec, s[12:13]
	s_cbranch_vccz .LBB265_971
; %bb.957:
	s_cmp_lt_i32 s19, 27
	s_mov_b64 s[12:13], -1
	s_cbranch_scc1 .LBB265_963
; %bb.958:
	s_cmp_gt_i32 s19, 27
	v_cndmask_b32_e64 v2, 0, 1, s[6:7]
	s_cbranch_scc0 .LBB265_960
; %bb.959:
	global_store_dword v[0:1], v2, off
	s_mov_b64 s[12:13], 0
.LBB265_960:
	s_andn2_b64 vcc, exec, s[12:13]
	s_cbranch_vccnz .LBB265_962
; %bb.961:
	global_store_short v[0:1], v2, off
.LBB265_962:
	s_mov_b64 s[12:13], 0
.LBB265_963:
	s_andn2_b64 vcc, exec, s[12:13]
	s_cbranch_vccnz .LBB265_971
; %bb.964:
	v_cndmask_b32_e64 v3, 0, 1.0, s[6:7]
	s_mov_b32 s12, 0x43800000
	v_cmp_gt_u32_e32 vcc, s12, v3
	v_mov_b32_e32 v4, 0x80
	s_and_saveexec_b64 s[12:13], vcc
	s_cbranch_execz .LBB265_970
; %bb.965:
	s_mov_b32 s14, 0x3bffffff
	v_cmp_lt_u32_e32 vcc, s14, v3
	s_mov_b64 s[14:15], 0
                                        ; implicit-def: $vgpr2
	s_and_saveexec_b64 s[16:17], vcc
	s_xor_b64 s[16:17], exec, s[16:17]
	s_cbranch_execz .LBB265_1116
; %bb.966:
	v_bfe_u32 v2, v3, 20, 1
	s_mov_b32 s20, 0x487ffff
	v_add3_u32 v2, v3, v2, s20
	s_mov_b64 s[14:15], exec
	v_lshrrev_b32_e32 v2, 20, v2
                                        ; implicit-def: $vgpr3
	s_andn2_saveexec_b64 s[16:17], s[16:17]
	s_cbranch_execnz .LBB265_1117
.LBB265_967:
	s_or_b64 exec, exec, s[16:17]
	v_mov_b32_e32 v4, 0
	s_and_saveexec_b64 s[16:17], s[14:15]
.LBB265_968:
	v_mov_b32_e32 v4, v2
.LBB265_969:
	s_or_b64 exec, exec, s[16:17]
.LBB265_970:
	s_or_b64 exec, exec, s[12:13]
	global_store_byte v[0:1], v4, off
.LBB265_971:
	s_mov_b64 s[12:13], 0
.LBB265_972:
	s_and_b64 vcc, exec, s[12:13]
	s_cbranch_vccz .LBB265_1012
; %bb.973:
	s_cmp_gt_i32 s19, 22
	s_mov_b64 s[10:11], -1
	s_cbranch_scc0 .LBB265_1005
; %bb.974:
	s_cmp_lt_i32 s19, 24
	s_cbranch_scc1 .LBB265_994
; %bb.975:
	s_cmp_gt_i32 s19, 24
	s_cbranch_scc0 .LBB265_983
; %bb.976:
	v_cndmask_b32_e64 v3, 0, 1.0, s[6:7]
	s_mov_b32 s10, 0x47800000
	v_cmp_gt_u32_e32 vcc, s10, v3
	v_mov_b32_e32 v4, 0x80
	s_and_saveexec_b64 s[10:11], vcc
	s_cbranch_execz .LBB265_982
; %bb.977:
	s_mov_b32 s12, 0x37ffffff
	v_cmp_lt_u32_e32 vcc, s12, v3
	s_mov_b64 s[12:13], 0
                                        ; implicit-def: $vgpr2
	s_and_saveexec_b64 s[14:15], vcc
	s_xor_b64 s[14:15], exec, s[14:15]
	s_cbranch_execz .LBB265_1123
; %bb.978:
	v_bfe_u32 v2, v3, 21, 1
	s_mov_b32 s16, 0x88fffff
	v_add3_u32 v2, v3, v2, s16
	s_mov_b64 s[12:13], exec
	v_lshrrev_b32_e32 v2, 21, v2
                                        ; implicit-def: $vgpr3
	s_andn2_saveexec_b64 s[14:15], s[14:15]
	s_cbranch_execnz .LBB265_1124
.LBB265_979:
	s_or_b64 exec, exec, s[14:15]
	v_mov_b32_e32 v4, 0
	s_and_saveexec_b64 s[14:15], s[12:13]
.LBB265_980:
	v_mov_b32_e32 v4, v2
.LBB265_981:
	s_or_b64 exec, exec, s[14:15]
.LBB265_982:
	s_or_b64 exec, exec, s[10:11]
	s_mov_b64 s[10:11], 0
	global_store_byte v[0:1], v4, off
.LBB265_983:
	s_and_b64 vcc, exec, s[10:11]
	s_cbranch_vccz .LBB265_993
; %bb.984:
	v_cndmask_b32_e64 v2, 0, 1.0, s[6:7]
	s_mov_b32 s10, 0x43f00000
	v_cmp_gt_u32_e32 vcc, s10, v2
                                        ; implicit-def: $vgpr3
	s_and_saveexec_b64 s[10:11], vcc
	s_xor_b64 s[10:11], exec, s[10:11]
	s_cbranch_execz .LBB265_990
; %bb.985:
	s_mov_b32 s12, 0x3c7fffff
	v_cmp_lt_u32_e32 vcc, s12, v2
                                        ; implicit-def: $vgpr3
	s_and_saveexec_b64 s[12:13], vcc
	s_xor_b64 s[12:13], exec, s[12:13]
; %bb.986:
	v_bfe_u32 v3, v2, 20, 1
	s_mov_b32 s14, 0x407ffff
	v_add3_u32 v2, v2, v3, s14
	v_lshrrev_b32_e32 v3, 20, v2
	v_and_b32_e32 v2, 0xff00000, v2
	s_mov_b32 s14, 0x7f00000
	v_mov_b32_e32 v4, 0x7e
	v_cmp_ne_u32_e32 vcc, s14, v2
	v_cndmask_b32_e32 v3, v4, v3, vcc
                                        ; implicit-def: $vgpr2
; %bb.987:
	s_andn2_saveexec_b64 s[12:13], s[12:13]
; %bb.988:
	v_add_f32_e32 v3, 0x46800000, v2
; %bb.989:
	s_or_b64 exec, exec, s[12:13]
                                        ; implicit-def: $vgpr2
.LBB265_990:
	s_andn2_saveexec_b64 s[10:11], s[10:11]
; %bb.991:
	s_mov_b32 s12, 0x7f800000
	v_mov_b32_e32 v3, 0x7e
	v_mov_b32_e32 v4, 0x7f
	v_cmp_lt_u32_e32 vcc, s12, v2
	v_cndmask_b32_e32 v3, v3, v4, vcc
; %bb.992:
	s_or_b64 exec, exec, s[10:11]
	global_store_byte v[0:1], v3, off
.LBB265_993:
	s_mov_b64 s[10:11], 0
.LBB265_994:
	s_andn2_b64 vcc, exec, s[10:11]
	s_cbranch_vccnz .LBB265_1004
; %bb.995:
	v_cndmask_b32_e64 v2, 0, 1.0, s[6:7]
	s_mov_b32 s10, 0x47800000
	v_cmp_gt_u32_e32 vcc, s10, v2
                                        ; implicit-def: $vgpr3
	s_and_saveexec_b64 s[10:11], vcc
	s_xor_b64 s[10:11], exec, s[10:11]
	s_cbranch_execz .LBB265_1001
; %bb.996:
	s_mov_b32 s12, 0x387fffff
	v_cmp_lt_u32_e32 vcc, s12, v2
                                        ; implicit-def: $vgpr3
	s_and_saveexec_b64 s[12:13], vcc
	s_xor_b64 s[12:13], exec, s[12:13]
; %bb.997:
	v_bfe_u32 v3, v2, 21, 1
	s_mov_b32 s14, 0x80fffff
	v_add3_u32 v2, v2, v3, s14
	v_lshrrev_b32_e32 v3, 21, v2
                                        ; implicit-def: $vgpr2
; %bb.998:
	s_andn2_saveexec_b64 s[12:13], s[12:13]
; %bb.999:
	v_add_f32_e32 v3, 0x43000000, v2
; %bb.1000:
	s_or_b64 exec, exec, s[12:13]
                                        ; implicit-def: $vgpr2
.LBB265_1001:
	s_andn2_saveexec_b64 s[10:11], s[10:11]
; %bb.1002:
	s_mov_b32 s12, 0x7f800000
	v_mov_b32_e32 v3, 0x7c
	v_mov_b32_e32 v4, 0x7f
	v_cmp_lt_u32_e32 vcc, s12, v2
	v_cndmask_b32_e32 v3, v3, v4, vcc
; %bb.1003:
	s_or_b64 exec, exec, s[10:11]
	global_store_byte v[0:1], v3, off
.LBB265_1004:
	s_mov_b64 s[10:11], 0
.LBB265_1005:
	s_andn2_b64 vcc, exec, s[10:11]
	s_mov_b64 s[10:11], 0
	s_cbranch_vccnz .LBB265_1012
; %bb.1006:
	s_cmp_gt_i32 s19, 14
	s_mov_b64 s[12:13], -1
	s_cbranch_scc0 .LBB265_1010
; %bb.1007:
	s_cmp_eq_u32 s19, 15
	s_mov_b64 s[4:5], -1
	s_cbranch_scc0 .LBB265_1009
; %bb.1008:
	v_cndmask_b32_e64 v2, 0, 1.0, s[6:7]
	v_bfe_u32 v3, v2, 16, 1
	s_movk_i32 s4, 0x7fff
	v_add3_u32 v2, v2, v3, s4
	global_store_short_d16_hi v[0:1], v2, off
	s_mov_b64 s[4:5], 0
.LBB265_1009:
	s_mov_b64 s[12:13], 0
.LBB265_1010:
	s_and_b64 vcc, exec, s[12:13]
	s_cbranch_vccz .LBB265_1012
; %bb.1011:
	s_cmp_lg_u32 s19, 11
	s_mov_b64 s[10:11], -1
	s_cselect_b64 s[4:5], -1, 0
.LBB265_1012:
	s_and_b64 vcc, exec, s[4:5]
	s_cbranch_vccnz .LBB265_1118
.LBB265_1013:
	s_mov_b64 s[4:5], 0
	s_branch .LBB265_1054
.LBB265_1014:
	s_mov_b64 s[12:13], 0
	s_cbranch_execz .LBB265_937
; %bb.1015:
	s_cmp_lt_i32 s19, 5
	s_mov_b64 s[4:5], -1
	s_cbranch_scc1 .LBB265_1036
; %bb.1016:
	s_cmp_lt_i32 s19, 8
	s_cbranch_scc1 .LBB265_1026
; %bb.1017:
	s_cmp_lt_i32 s19, 9
	s_cbranch_scc1 .LBB265_1023
; %bb.1018:
	s_cmp_gt_i32 s19, 9
	s_cbranch_scc0 .LBB265_1020
; %bb.1019:
	v_cndmask_b32_e64 v2, 0, 1, s[34:35]
	v_cvt_f64_u32_e32 v[2:3], v2
	v_mov_b32_e32 v4, 0
	v_mov_b32_e32 v5, v4
	s_mov_b64 s[4:5], 0
	global_store_dwordx4 v[0:1], v[2:5], off
.LBB265_1020:
	s_andn2_b64 vcc, exec, s[4:5]
	s_cbranch_vccnz .LBB265_1022
; %bb.1021:
	v_cndmask_b32_e64 v2, 0, 1.0, s[34:35]
	v_mov_b32_e32 v3, 0
	global_store_dwordx2 v[0:1], v[2:3], off
.LBB265_1022:
	s_mov_b64 s[4:5], 0
.LBB265_1023:
	s_andn2_b64 vcc, exec, s[4:5]
	s_cbranch_vccnz .LBB265_1025
; %bb.1024:
	v_cndmask_b32_e64 v2, 0, 1.0, s[34:35]
	v_cvt_f16_f32_e32 v2, v2
	global_store_dword v[0:1], v2, off
.LBB265_1025:
	s_mov_b64 s[4:5], 0
.LBB265_1026:
	s_andn2_b64 vcc, exec, s[4:5]
	s_cbranch_vccnz .LBB265_1035
; %bb.1027:
	s_cmp_lt_i32 s19, 6
	s_mov_b64 s[4:5], -1
	s_cbranch_scc1 .LBB265_1033
; %bb.1028:
	s_cmp_gt_i32 s19, 6
	s_cbranch_scc0 .LBB265_1030
; %bb.1029:
	v_cndmask_b32_e64 v2, 0, 1, s[34:35]
	v_cvt_f64_u32_e32 v[2:3], v2
	s_mov_b64 s[4:5], 0
	global_store_dwordx2 v[0:1], v[2:3], off
.LBB265_1030:
	s_andn2_b64 vcc, exec, s[4:5]
	s_cbranch_vccnz .LBB265_1032
; %bb.1031:
	v_cndmask_b32_e64 v2, 0, 1.0, s[34:35]
	global_store_dword v[0:1], v2, off
.LBB265_1032:
	s_mov_b64 s[4:5], 0
.LBB265_1033:
	s_andn2_b64 vcc, exec, s[4:5]
	s_cbranch_vccnz .LBB265_1035
; %bb.1034:
	v_cndmask_b32_e64 v2, 0, 1.0, s[34:35]
	v_cvt_f16_f32_e32 v2, v2
	global_store_short v[0:1], v2, off
.LBB265_1035:
	s_mov_b64 s[4:5], 0
.LBB265_1036:
	s_andn2_b64 vcc, exec, s[4:5]
	s_cbranch_vccnz .LBB265_1052
; %bb.1037:
	s_cmp_lt_i32 s19, 2
	s_mov_b64 s[4:5], -1
	s_cbranch_scc1 .LBB265_1047
; %bb.1038:
	s_cmp_lt_i32 s19, 3
	s_cbranch_scc1 .LBB265_1044
; %bb.1039:
	s_cmp_gt_i32 s19, 3
	s_cbranch_scc0 .LBB265_1041
; %bb.1040:
	s_mov_b32 s4, 0
	v_cndmask_b32_e64 v2, 0, 1, s[34:35]
	v_mov_b32_e32 v3, s4
	global_store_dwordx2 v[0:1], v[2:3], off
	s_mov_b64 s[4:5], 0
.LBB265_1041:
	s_andn2_b64 vcc, exec, s[4:5]
	s_cbranch_vccnz .LBB265_1043
; %bb.1042:
	v_cndmask_b32_e64 v2, 0, 1, s[34:35]
	global_store_dword v[0:1], v2, off
.LBB265_1043:
	s_mov_b64 s[4:5], 0
.LBB265_1044:
	s_andn2_b64 vcc, exec, s[4:5]
	s_cbranch_vccnz .LBB265_1046
; %bb.1045:
	v_cndmask_b32_e64 v2, 0, 1, s[34:35]
	global_store_short v[0:1], v2, off
.LBB265_1046:
	s_mov_b64 s[4:5], 0
.LBB265_1047:
	s_andn2_b64 vcc, exec, s[4:5]
	s_cbranch_vccnz .LBB265_1052
; %bb.1048:
	s_cmp_gt_i32 s19, 0
	s_mov_b64 s[4:5], -1
	s_cbranch_scc0 .LBB265_1050
; %bb.1049:
	v_cndmask_b32_e64 v2, 0, 1, s[34:35]
	global_store_byte v[0:1], v2, off
	s_mov_b64 s[4:5], 0
.LBB265_1050:
	s_andn2_b64 vcc, exec, s[4:5]
	s_cbranch_vccnz .LBB265_1052
; %bb.1051:
	v_cndmask_b32_e64 v2, 0, 1, s[34:35]
	global_store_byte v[0:1], v2, off
.LBB265_1052:
	s_branch .LBB265_938
.LBB265_1053:
	s_mov_b64 s[4:5], 0
	s_mov_b64 s[10:11], 0
                                        ; implicit-def: $sgpr18
                                        ; implicit-def: $vgpr0_vgpr1
.LBB265_1054:
	s_and_b64 s[50:51], s[10:11], exec
	s_andn2_b64 s[10:11], s[44:45], exec
	s_and_b64 s[8:9], s[8:9], exec
	s_and_b64 s[4:5], s[4:5], exec
	s_or_b64 s[44:45], s[10:11], s[8:9]
.LBB265_1055:
	s_or_b64 exec, exec, s[46:47]
	s_and_saveexec_b64 s[8:9], s[44:45]
	s_cbranch_execz .LBB265_1058
; %bb.1056:
	; divergent unreachable
	s_or_b64 exec, exec, s[8:9]
	s_and_saveexec_b64 s[8:9], s[50:51]
	s_xor_b64 s[8:9], exec, s[8:9]
	s_cbranch_execnz .LBB265_1059
.LBB265_1057:
	s_or_b64 exec, exec, s[8:9]
	s_and_saveexec_b64 s[8:9], s[4:5]
	s_cbranch_execnz .LBB265_1060
	s_branch .LBB265_1097
.LBB265_1058:
	s_or_b64 exec, exec, s[8:9]
	s_and_saveexec_b64 s[8:9], s[50:51]
	s_xor_b64 s[8:9], exec, s[8:9]
	s_cbranch_execz .LBB265_1057
.LBB265_1059:
	v_cndmask_b32_e64 v2, 0, 1, s[6:7]
	global_store_byte v[0:1], v2, off
	s_or_b64 exec, exec, s[8:9]
	s_and_saveexec_b64 s[8:9], s[4:5]
	s_cbranch_execz .LBB265_1097
.LBB265_1060:
	s_sext_i32_i16 s8, s18
	s_cmp_lt_i32 s8, 5
	s_mov_b64 s[4:5], -1
	s_cbranch_scc1 .LBB265_1081
; %bb.1061:
	s_cmp_lt_i32 s8, 8
	s_cbranch_scc1 .LBB265_1071
; %bb.1062:
	s_cmp_lt_i32 s8, 9
	s_cbranch_scc1 .LBB265_1068
; %bb.1063:
	s_cmp_gt_i32 s8, 9
	s_cbranch_scc0 .LBB265_1065
; %bb.1064:
	v_cndmask_b32_e64 v2, 0, 1, s[6:7]
	v_cvt_f64_u32_e32 v[2:3], v2
	v_mov_b32_e32 v4, 0
	v_mov_b32_e32 v5, v4
	s_mov_b64 s[4:5], 0
	global_store_dwordx4 v[0:1], v[2:5], off
.LBB265_1065:
	s_andn2_b64 vcc, exec, s[4:5]
	s_cbranch_vccnz .LBB265_1067
; %bb.1066:
	v_cndmask_b32_e64 v2, 0, 1.0, s[6:7]
	v_mov_b32_e32 v3, 0
	global_store_dwordx2 v[0:1], v[2:3], off
.LBB265_1067:
	s_mov_b64 s[4:5], 0
.LBB265_1068:
	s_andn2_b64 vcc, exec, s[4:5]
	s_cbranch_vccnz .LBB265_1070
; %bb.1069:
	v_cndmask_b32_e64 v2, 0, 1.0, s[6:7]
	v_cvt_f16_f32_e32 v2, v2
	global_store_dword v[0:1], v2, off
.LBB265_1070:
	s_mov_b64 s[4:5], 0
.LBB265_1071:
	s_andn2_b64 vcc, exec, s[4:5]
	s_cbranch_vccnz .LBB265_1080
; %bb.1072:
	s_sext_i32_i16 s8, s18
	s_cmp_lt_i32 s8, 6
	s_mov_b64 s[4:5], -1
	s_cbranch_scc1 .LBB265_1078
; %bb.1073:
	s_cmp_gt_i32 s8, 6
	s_cbranch_scc0 .LBB265_1075
; %bb.1074:
	v_cndmask_b32_e64 v2, 0, 1, s[6:7]
	v_cvt_f64_u32_e32 v[2:3], v2
	s_mov_b64 s[4:5], 0
	global_store_dwordx2 v[0:1], v[2:3], off
.LBB265_1075:
	s_andn2_b64 vcc, exec, s[4:5]
	s_cbranch_vccnz .LBB265_1077
; %bb.1076:
	v_cndmask_b32_e64 v2, 0, 1.0, s[6:7]
	global_store_dword v[0:1], v2, off
.LBB265_1077:
	s_mov_b64 s[4:5], 0
.LBB265_1078:
	s_andn2_b64 vcc, exec, s[4:5]
	s_cbranch_vccnz .LBB265_1080
; %bb.1079:
	v_cndmask_b32_e64 v2, 0, 1.0, s[6:7]
	v_cvt_f16_f32_e32 v2, v2
	global_store_short v[0:1], v2, off
.LBB265_1080:
	s_mov_b64 s[4:5], 0
.LBB265_1081:
	s_andn2_b64 vcc, exec, s[4:5]
	s_cbranch_vccnz .LBB265_1097
; %bb.1082:
	s_sext_i32_i16 s8, s18
	s_cmp_lt_i32 s8, 2
	s_mov_b64 s[4:5], -1
	s_cbranch_scc1 .LBB265_1092
; %bb.1083:
	s_cmp_lt_i32 s8, 3
	s_cbranch_scc1 .LBB265_1089
; %bb.1084:
	s_cmp_gt_i32 s8, 3
	s_cbranch_scc0 .LBB265_1086
; %bb.1085:
	s_mov_b32 s4, 0
	v_cndmask_b32_e64 v2, 0, 1, s[6:7]
	v_mov_b32_e32 v3, s4
	global_store_dwordx2 v[0:1], v[2:3], off
	s_mov_b64 s[4:5], 0
.LBB265_1086:
	s_andn2_b64 vcc, exec, s[4:5]
	s_cbranch_vccnz .LBB265_1088
; %bb.1087:
	v_cndmask_b32_e64 v2, 0, 1, s[6:7]
	global_store_dword v[0:1], v2, off
.LBB265_1088:
	s_mov_b64 s[4:5], 0
.LBB265_1089:
	s_andn2_b64 vcc, exec, s[4:5]
	s_cbranch_vccnz .LBB265_1091
; %bb.1090:
	v_cndmask_b32_e64 v2, 0, 1, s[6:7]
	global_store_short v[0:1], v2, off
.LBB265_1091:
	s_mov_b64 s[4:5], 0
.LBB265_1092:
	s_andn2_b64 vcc, exec, s[4:5]
	s_cbranch_vccnz .LBB265_1097
; %bb.1093:
	s_sext_i32_i16 s4, s18
	s_cmp_gt_i32 s4, 0
	s_mov_b64 s[4:5], -1
	s_cbranch_scc0 .LBB265_1095
; %bb.1094:
	v_cndmask_b32_e64 v2, 0, 1, s[6:7]
	global_store_byte v[0:1], v2, off
	s_mov_b64 s[4:5], 0
.LBB265_1095:
	s_andn2_b64 vcc, exec, s[4:5]
	s_cbranch_vccnz .LBB265_1097
; %bb.1096:
	v_cndmask_b32_e64 v2, 0, 1, s[6:7]
	global_store_byte v[0:1], v2, off
	s_endpgm
.LBB265_1097:
	s_endpgm
.LBB265_1098:
	s_mov_b64 s[10:11], 0
	s_mov_b64 s[4:5], -1
	s_branch .LBB265_1054
.LBB265_1099:
	s_andn2_saveexec_b64 s[14:15], s[14:15]
	s_cbranch_execz .LBB265_651
.LBB265_1100:
	v_add_f32_e32 v2, 0x46000000, v3
	v_and_b32_e32 v2, 0xff, v2
	v_cmp_ne_u32_e32 vcc, 0, v2
	s_andn2_b64 s[12:13], s[12:13], exec
	s_and_b64 s[20:21], vcc, exec
	s_or_b64 s[12:13], s[12:13], s[20:21]
	s_or_b64 exec, exec, s[14:15]
	v_mov_b32_e32 v4, 0
	s_and_saveexec_b64 s[14:15], s[12:13]
	s_cbranch_execnz .LBB265_652
	s_branch .LBB265_653
.LBB265_1101:
	s_or_b64 s[8:9], s[44:45], exec
	s_trap 2
	s_cbranch_execz .LBB265_699
	s_branch .LBB265_700
.LBB265_1102:
	s_andn2_saveexec_b64 s[12:13], s[12:13]
	s_cbranch_execz .LBB265_664
.LBB265_1103:
	v_add_f32_e32 v2, 0x42800000, v3
	v_and_b32_e32 v2, 0xff, v2
	v_cmp_ne_u32_e32 vcc, 0, v2
	s_andn2_b64 s[10:11], s[10:11], exec
	s_and_b64 s[14:15], vcc, exec
	s_or_b64 s[10:11], s[10:11], s[14:15]
	s_or_b64 exec, exec, s[12:13]
	v_mov_b32_e32 v4, 0
	s_and_saveexec_b64 s[12:13], s[10:11]
	s_cbranch_execnz .LBB265_665
	s_branch .LBB265_666
.LBB265_1104:
	s_andn2_saveexec_b64 s[16:17], s[16:17]
	s_cbranch_execz .LBB265_769
.LBB265_1105:
	v_add_f32_e32 v2, 0x46000000, v3
	v_and_b32_e32 v2, 0xff, v2
	v_cmp_ne_u32_e32 vcc, 0, v2
	s_andn2_b64 s[14:15], s[14:15], exec
	s_and_b64 s[20:21], vcc, exec
	s_or_b64 s[14:15], s[14:15], s[20:21]
	s_or_b64 exec, exec, s[16:17]
	v_mov_b32_e32 v4, 0
	s_and_saveexec_b64 s[16:17], s[14:15]
	s_cbranch_execnz .LBB265_770
	s_branch .LBB265_771
.LBB265_1106:
	s_trap 2
	s_or_b64 s[8:9], s[8:9], exec
	s_cbranch_execz .LBB265_817
	s_branch .LBB265_818
.LBB265_1107:
	s_andn2_saveexec_b64 s[14:15], s[14:15]
	s_cbranch_execz .LBB265_782
.LBB265_1108:
	v_add_f32_e32 v2, 0x42800000, v3
	v_and_b32_e32 v2, 0xff, v2
	v_cmp_ne_u32_e32 vcc, 0, v2
	s_andn2_b64 s[12:13], s[12:13], exec
	s_and_b64 s[16:17], vcc, exec
	s_or_b64 s[12:13], s[12:13], s[16:17]
	s_or_b64 exec, exec, s[14:15]
	v_mov_b32_e32 v4, 0
	s_and_saveexec_b64 s[14:15], s[12:13]
	s_cbranch_execnz .LBB265_783
	s_branch .LBB265_784
.LBB265_1109:
	s_andn2_saveexec_b64 s[16:17], s[16:17]
	s_cbranch_execz .LBB265_887
.LBB265_1110:
	v_add_f32_e32 v2, 0x46000000, v3
	v_and_b32_e32 v2, 0xff, v2
	v_cmp_ne_u32_e32 vcc, 0, v2
	s_andn2_b64 s[14:15], s[14:15], exec
	s_and_b64 s[20:21], vcc, exec
	s_or_b64 s[14:15], s[14:15], s[20:21]
	s_or_b64 exec, exec, s[16:17]
	v_mov_b32_e32 v4, 0
	s_and_saveexec_b64 s[16:17], s[14:15]
	s_cbranch_execnz .LBB265_888
	s_branch .LBB265_889
.LBB265_1111:
	s_trap 2
	s_or_b64 s[8:9], s[8:9], exec
	s_cbranch_execz .LBB265_935
	s_branch .LBB265_936
.LBB265_1112:
	s_andn2_saveexec_b64 s[12:13], s[12:13]
	s_cbranch_execz .LBB265_338
.LBB265_1113:
	v_add_f32_e32 v2, 0x46000000, v3
	v_and_b32_e32 v2, 0xff, v2
	v_cmp_ne_u32_e32 vcc, 0, v2
	s_andn2_b64 s[10:11], s[10:11], exec
	s_and_b64 s[16:17], vcc, exec
	s_or_b64 s[10:11], s[10:11], s[16:17]
	s_or_b64 exec, exec, s[12:13]
	v_mov_b32_e32 v4, 0
	s_and_saveexec_b64 s[12:13], s[10:11]
	s_cbranch_execnz .LBB265_339
	s_branch .LBB265_340
.LBB265_1114:
	s_andn2_saveexec_b64 s[14:15], s[14:15]
	s_cbranch_execz .LBB265_900
.LBB265_1115:
	v_add_f32_e32 v2, 0x42800000, v3
	v_and_b32_e32 v2, 0xff, v2
	v_cmp_ne_u32_e32 vcc, 0, v2
	s_andn2_b64 s[12:13], s[12:13], exec
	s_and_b64 s[16:17], vcc, exec
	s_or_b64 s[12:13], s[12:13], s[16:17]
	s_or_b64 exec, exec, s[14:15]
	v_mov_b32_e32 v4, 0
	s_and_saveexec_b64 s[14:15], s[12:13]
	s_cbranch_execnz .LBB265_901
	s_branch .LBB265_902
.LBB265_1116:
	s_andn2_saveexec_b64 s[16:17], s[16:17]
	s_cbranch_execz .LBB265_967
.LBB265_1117:
	v_add_f32_e32 v2, 0x46000000, v3
	v_and_b32_e32 v2, 0xff, v2
	v_cmp_ne_u32_e32 vcc, 0, v2
	s_andn2_b64 s[14:15], s[14:15], exec
	s_and_b64 s[20:21], vcc, exec
	s_or_b64 s[14:15], s[14:15], s[20:21]
	s_or_b64 exec, exec, s[16:17]
	v_mov_b32_e32 v4, 0
	s_and_saveexec_b64 s[16:17], s[14:15]
	s_cbranch_execnz .LBB265_968
	s_branch .LBB265_969
.LBB265_1118:
	s_mov_b64 s[10:11], 0
	s_or_b64 s[8:9], s[8:9], exec
	s_trap 2
	s_branch .LBB265_1013
.LBB265_1119:
	s_andn2_saveexec_b64 s[12:13], s[12:13]
	s_cbranch_execz .LBB265_351
.LBB265_1120:
	v_add_f32_e32 v2, 0x42800000, v3
	v_and_b32_e32 v2, 0xff, v2
	v_cmp_ne_u32_e32 vcc, 0, v2
	s_andn2_b64 s[10:11], s[10:11], exec
	s_and_b64 s[16:17], vcc, exec
	s_or_b64 s[10:11], s[10:11], s[16:17]
	s_or_b64 exec, exec, s[12:13]
	v_mov_b32_e32 v4, 0
	s_and_saveexec_b64 s[12:13], s[10:11]
	s_cbranch_execnz .LBB265_352
	s_branch .LBB265_353
.LBB265_1121:
	s_andn2_saveexec_b64 s[12:13], s[12:13]
	s_cbranch_execz .LBB265_475
.LBB265_1122:
	v_add_f32_e32 v2, 0x46000000, v3
	v_and_b32_e32 v2, 0xff, v2
	v_cmp_ne_u32_e32 vcc, 0, v2
	s_andn2_b64 s[10:11], s[10:11], exec
	s_and_b64 s[14:15], vcc, exec
	s_or_b64 s[10:11], s[10:11], s[14:15]
	s_or_b64 exec, exec, s[12:13]
	v_mov_b32_e32 v4, 0
	s_and_saveexec_b64 s[12:13], s[10:11]
	s_cbranch_execnz .LBB265_476
	s_branch .LBB265_477
.LBB265_1123:
	s_andn2_saveexec_b64 s[14:15], s[14:15]
	s_cbranch_execz .LBB265_979
.LBB265_1124:
	v_add_f32_e32 v2, 0x42800000, v3
	v_and_b32_e32 v2, 0xff, v2
	v_cmp_ne_u32_e32 vcc, 0, v2
	s_andn2_b64 s[12:13], s[12:13], exec
	s_and_b64 s[16:17], vcc, exec
	s_or_b64 s[12:13], s[12:13], s[16:17]
	s_or_b64 exec, exec, s[14:15]
	v_mov_b32_e32 v4, 0
	s_and_saveexec_b64 s[14:15], s[12:13]
	s_cbranch_execnz .LBB265_980
	s_branch .LBB265_981
.LBB265_1125:
	s_andn2_saveexec_b64 s[14:15], s[14:15]
	s_cbranch_execz .LBB265_487
.LBB265_1126:
	v_add_f32_e32 v2, 0x42800000, v3
	v_and_b32_e32 v2, 0xff, v2
	v_cmp_ne_u32_e32 vcc, 0, v2
	s_andn2_b64 s[12:13], s[12:13], exec
	s_and_b64 s[18:19], vcc, exec
	s_or_b64 s[12:13], s[12:13], s[18:19]
	s_or_b64 exec, exec, s[14:15]
	v_mov_b32_e32 v4, 0
	s_and_saveexec_b64 s[14:15], s[12:13]
	s_cbranch_execnz .LBB265_488
	s_branch .LBB265_489
	.section	.rodata,"a",@progbits
	.p2align	6, 0x0
	.amdhsa_kernel _ZN2at6native32elementwise_kernel_manual_unrollILi128ELi4EZNS0_15gpu_kernel_implINS0_13AUnaryFunctorIN3c1015Float8_e5m2fnuzES5_bNS0_12_GLOBAL__N_116CompareEqFunctorIS5_EEEEEEvRNS_18TensorIteratorBaseERKT_EUlibE0_EEviT1_
		.amdhsa_group_segment_fixed_size 0
		.amdhsa_private_segment_fixed_size 0
		.amdhsa_kernarg_size 368
		.amdhsa_user_sgpr_count 6
		.amdhsa_user_sgpr_private_segment_buffer 1
		.amdhsa_user_sgpr_dispatch_ptr 0
		.amdhsa_user_sgpr_queue_ptr 0
		.amdhsa_user_sgpr_kernarg_segment_ptr 1
		.amdhsa_user_sgpr_dispatch_id 0
		.amdhsa_user_sgpr_flat_scratch_init 0
		.amdhsa_user_sgpr_private_segment_size 0
		.amdhsa_uses_dynamic_stack 0
		.amdhsa_system_sgpr_private_segment_wavefront_offset 0
		.amdhsa_system_sgpr_workgroup_id_x 1
		.amdhsa_system_sgpr_workgroup_id_y 0
		.amdhsa_system_sgpr_workgroup_id_z 0
		.amdhsa_system_sgpr_workgroup_info 0
		.amdhsa_system_vgpr_workitem_id 0
		.amdhsa_next_free_vgpr 22
		.amdhsa_next_free_sgpr 84
		.amdhsa_reserve_vcc 1
		.amdhsa_reserve_flat_scratch 0
		.amdhsa_float_round_mode_32 0
		.amdhsa_float_round_mode_16_64 0
		.amdhsa_float_denorm_mode_32 3
		.amdhsa_float_denorm_mode_16_64 3
		.amdhsa_dx10_clamp 1
		.amdhsa_ieee_mode 1
		.amdhsa_fp16_overflow 0
		.amdhsa_exception_fp_ieee_invalid_op 0
		.amdhsa_exception_fp_denorm_src 0
		.amdhsa_exception_fp_ieee_div_zero 0
		.amdhsa_exception_fp_ieee_overflow 0
		.amdhsa_exception_fp_ieee_underflow 0
		.amdhsa_exception_fp_ieee_inexact 0
		.amdhsa_exception_int_div_zero 0
	.end_amdhsa_kernel
	.section	.text._ZN2at6native32elementwise_kernel_manual_unrollILi128ELi4EZNS0_15gpu_kernel_implINS0_13AUnaryFunctorIN3c1015Float8_e5m2fnuzES5_bNS0_12_GLOBAL__N_116CompareEqFunctorIS5_EEEEEEvRNS_18TensorIteratorBaseERKT_EUlibE0_EEviT1_,"axG",@progbits,_ZN2at6native32elementwise_kernel_manual_unrollILi128ELi4EZNS0_15gpu_kernel_implINS0_13AUnaryFunctorIN3c1015Float8_e5m2fnuzES5_bNS0_12_GLOBAL__N_116CompareEqFunctorIS5_EEEEEEvRNS_18TensorIteratorBaseERKT_EUlibE0_EEviT1_,comdat
.Lfunc_end265:
	.size	_ZN2at6native32elementwise_kernel_manual_unrollILi128ELi4EZNS0_15gpu_kernel_implINS0_13AUnaryFunctorIN3c1015Float8_e5m2fnuzES5_bNS0_12_GLOBAL__N_116CompareEqFunctorIS5_EEEEEEvRNS_18TensorIteratorBaseERKT_EUlibE0_EEviT1_, .Lfunc_end265-_ZN2at6native32elementwise_kernel_manual_unrollILi128ELi4EZNS0_15gpu_kernel_implINS0_13AUnaryFunctorIN3c1015Float8_e5m2fnuzES5_bNS0_12_GLOBAL__N_116CompareEqFunctorIS5_EEEEEEvRNS_18TensorIteratorBaseERKT_EUlibE0_EEviT1_
                                        ; -- End function
	.set _ZN2at6native32elementwise_kernel_manual_unrollILi128ELi4EZNS0_15gpu_kernel_implINS0_13AUnaryFunctorIN3c1015Float8_e5m2fnuzES5_bNS0_12_GLOBAL__N_116CompareEqFunctorIS5_EEEEEEvRNS_18TensorIteratorBaseERKT_EUlibE0_EEviT1_.num_vgpr, max(22, .L_ZN2at6native6invokeINS0_13AUnaryFunctorIN3c1015Float8_e5m2fnuzES4_bNS0_12_GLOBAL__N_116CompareEqFunctorIS4_EEEEj15function_traitsIS8_EEENT1_11result_typeERKT_PrKPcPKT0_PKNS3_10ScalarTypeEi.num_vgpr)
	.set _ZN2at6native32elementwise_kernel_manual_unrollILi128ELi4EZNS0_15gpu_kernel_implINS0_13AUnaryFunctorIN3c1015Float8_e5m2fnuzES5_bNS0_12_GLOBAL__N_116CompareEqFunctorIS5_EEEEEEvRNS_18TensorIteratorBaseERKT_EUlibE0_EEviT1_.num_agpr, max(0, .L_ZN2at6native6invokeINS0_13AUnaryFunctorIN3c1015Float8_e5m2fnuzES4_bNS0_12_GLOBAL__N_116CompareEqFunctorIS4_EEEEj15function_traitsIS8_EEENT1_11result_typeERKT_PrKPcPKT0_PKNS3_10ScalarTypeEi.num_agpr)
	.set _ZN2at6native32elementwise_kernel_manual_unrollILi128ELi4EZNS0_15gpu_kernel_implINS0_13AUnaryFunctorIN3c1015Float8_e5m2fnuzES5_bNS0_12_GLOBAL__N_116CompareEqFunctorIS5_EEEEEEvRNS_18TensorIteratorBaseERKT_EUlibE0_EEviT1_.numbered_sgpr, max(84, .L_ZN2at6native6invokeINS0_13AUnaryFunctorIN3c1015Float8_e5m2fnuzES4_bNS0_12_GLOBAL__N_116CompareEqFunctorIS4_EEEEj15function_traitsIS8_EEENT1_11result_typeERKT_PrKPcPKT0_PKNS3_10ScalarTypeEi.numbered_sgpr)
	.set _ZN2at6native32elementwise_kernel_manual_unrollILi128ELi4EZNS0_15gpu_kernel_implINS0_13AUnaryFunctorIN3c1015Float8_e5m2fnuzES5_bNS0_12_GLOBAL__N_116CompareEqFunctorIS5_EEEEEEvRNS_18TensorIteratorBaseERKT_EUlibE0_EEviT1_.num_named_barrier, max(0, .L_ZN2at6native6invokeINS0_13AUnaryFunctorIN3c1015Float8_e5m2fnuzES4_bNS0_12_GLOBAL__N_116CompareEqFunctorIS4_EEEEj15function_traitsIS8_EEENT1_11result_typeERKT_PrKPcPKT0_PKNS3_10ScalarTypeEi.num_named_barrier)
	.set _ZN2at6native32elementwise_kernel_manual_unrollILi128ELi4EZNS0_15gpu_kernel_implINS0_13AUnaryFunctorIN3c1015Float8_e5m2fnuzES5_bNS0_12_GLOBAL__N_116CompareEqFunctorIS5_EEEEEEvRNS_18TensorIteratorBaseERKT_EUlibE0_EEviT1_.private_seg_size, 0+max(.L_ZN2at6native6invokeINS0_13AUnaryFunctorIN3c1015Float8_e5m2fnuzES4_bNS0_12_GLOBAL__N_116CompareEqFunctorIS4_EEEEj15function_traitsIS8_EEENT1_11result_typeERKT_PrKPcPKT0_PKNS3_10ScalarTypeEi.private_seg_size)
	.set _ZN2at6native32elementwise_kernel_manual_unrollILi128ELi4EZNS0_15gpu_kernel_implINS0_13AUnaryFunctorIN3c1015Float8_e5m2fnuzES5_bNS0_12_GLOBAL__N_116CompareEqFunctorIS5_EEEEEEvRNS_18TensorIteratorBaseERKT_EUlibE0_EEviT1_.uses_vcc, or(1, .L_ZN2at6native6invokeINS0_13AUnaryFunctorIN3c1015Float8_e5m2fnuzES4_bNS0_12_GLOBAL__N_116CompareEqFunctorIS4_EEEEj15function_traitsIS8_EEENT1_11result_typeERKT_PrKPcPKT0_PKNS3_10ScalarTypeEi.uses_vcc)
	.set _ZN2at6native32elementwise_kernel_manual_unrollILi128ELi4EZNS0_15gpu_kernel_implINS0_13AUnaryFunctorIN3c1015Float8_e5m2fnuzES5_bNS0_12_GLOBAL__N_116CompareEqFunctorIS5_EEEEEEvRNS_18TensorIteratorBaseERKT_EUlibE0_EEviT1_.uses_flat_scratch, or(0, .L_ZN2at6native6invokeINS0_13AUnaryFunctorIN3c1015Float8_e5m2fnuzES4_bNS0_12_GLOBAL__N_116CompareEqFunctorIS4_EEEEj15function_traitsIS8_EEENT1_11result_typeERKT_PrKPcPKT0_PKNS3_10ScalarTypeEi.uses_flat_scratch)
	.set _ZN2at6native32elementwise_kernel_manual_unrollILi128ELi4EZNS0_15gpu_kernel_implINS0_13AUnaryFunctorIN3c1015Float8_e5m2fnuzES5_bNS0_12_GLOBAL__N_116CompareEqFunctorIS5_EEEEEEvRNS_18TensorIteratorBaseERKT_EUlibE0_EEviT1_.has_dyn_sized_stack, or(0, .L_ZN2at6native6invokeINS0_13AUnaryFunctorIN3c1015Float8_e5m2fnuzES4_bNS0_12_GLOBAL__N_116CompareEqFunctorIS4_EEEEj15function_traitsIS8_EEENT1_11result_typeERKT_PrKPcPKT0_PKNS3_10ScalarTypeEi.has_dyn_sized_stack)
	.set _ZN2at6native32elementwise_kernel_manual_unrollILi128ELi4EZNS0_15gpu_kernel_implINS0_13AUnaryFunctorIN3c1015Float8_e5m2fnuzES5_bNS0_12_GLOBAL__N_116CompareEqFunctorIS5_EEEEEEvRNS_18TensorIteratorBaseERKT_EUlibE0_EEviT1_.has_recursion, or(0, .L_ZN2at6native6invokeINS0_13AUnaryFunctorIN3c1015Float8_e5m2fnuzES4_bNS0_12_GLOBAL__N_116CompareEqFunctorIS4_EEEEj15function_traitsIS8_EEENT1_11result_typeERKT_PrKPcPKT0_PKNS3_10ScalarTypeEi.has_recursion)
	.set _ZN2at6native32elementwise_kernel_manual_unrollILi128ELi4EZNS0_15gpu_kernel_implINS0_13AUnaryFunctorIN3c1015Float8_e5m2fnuzES5_bNS0_12_GLOBAL__N_116CompareEqFunctorIS5_EEEEEEvRNS_18TensorIteratorBaseERKT_EUlibE0_EEviT1_.has_indirect_call, or(0, .L_ZN2at6native6invokeINS0_13AUnaryFunctorIN3c1015Float8_e5m2fnuzES4_bNS0_12_GLOBAL__N_116CompareEqFunctorIS4_EEEEj15function_traitsIS8_EEENT1_11result_typeERKT_PrKPcPKT0_PKNS3_10ScalarTypeEi.has_indirect_call)
	.section	.AMDGPU.csdata,"",@progbits
; Kernel info:
; codeLenInByte = 20888
; TotalNumSgprs: 88
; NumVgprs: 22
; ScratchSize: 0
; MemoryBound: 0
; FloatMode: 240
; IeeeMode: 1
; LDSByteSize: 0 bytes/workgroup (compile time only)
; SGPRBlocks: 10
; VGPRBlocks: 5
; NumSGPRsForWavesPerEU: 88
; NumVGPRsForWavesPerEU: 22
; Occupancy: 9
; WaveLimiterHint : 1
; COMPUTE_PGM_RSRC2:SCRATCH_EN: 0
; COMPUTE_PGM_RSRC2:USER_SGPR: 6
; COMPUTE_PGM_RSRC2:TRAP_HANDLER: 0
; COMPUTE_PGM_RSRC2:TGID_X_EN: 1
; COMPUTE_PGM_RSRC2:TGID_Y_EN: 0
; COMPUTE_PGM_RSRC2:TGID_Z_EN: 0
; COMPUTE_PGM_RSRC2:TIDIG_COMP_CNT: 0
	.text
	.p2align	2                               ; -- Begin function _ZN2at6native25elementwise_kernel_helperILb0ENS0_13BinaryFunctorIN3c1013Float8_e4m3fnES4_bNS0_12_GLOBAL__N_116CompareEqFunctorIS4_EEEENS0_6memory8policies11unroll_baseILi256ESt5arrayIPcLm3EE23TrivialOffsetCalculatorILi2EjESF_ILi1EjENS9_15LoadWithoutCastENS9_16StoreWithoutCastELi16ELi1EEEEEvT0_T1_
	.type	_ZN2at6native25elementwise_kernel_helperILb0ENS0_13BinaryFunctorIN3c1013Float8_e4m3fnES4_bNS0_12_GLOBAL__N_116CompareEqFunctorIS4_EEEENS0_6memory8policies11unroll_baseILi256ESt5arrayIPcLm3EE23TrivialOffsetCalculatorILi2EjESF_ILi1EjENS9_15LoadWithoutCastENS9_16StoreWithoutCastELi16ELi1EEEEEvT0_T1_,@function
_ZN2at6native25elementwise_kernel_helperILb0ENS0_13BinaryFunctorIN3c1013Float8_e4m3fnES4_bNS0_12_GLOBAL__N_116CompareEqFunctorIS4_EEEENS0_6memory8policies11unroll_baseILi256ESt5arrayIPcLm3EE23TrivialOffsetCalculatorILi2EjESF_ILi1EjENS9_15LoadWithoutCastENS9_16StoreWithoutCastELi16ELi1EEEEEvT0_T1_: ; @_ZN2at6native25elementwise_kernel_helperILb0ENS0_13BinaryFunctorIN3c1013Float8_e4m3fnES4_bNS0_12_GLOBAL__N_116CompareEqFunctorIS4_EEEENS0_6memory8policies11unroll_baseILi256ESt5arrayIPcLm3EE23TrivialOffsetCalculatorILi2EjESF_ILi1EjENS9_15LoadWithoutCastENS9_16StoreWithoutCastELi16ELi1EEEEEvT0_T1_
; %bb.0:
	s_waitcnt vmcnt(0) expcnt(0) lgkmcnt(0)
	v_and_b32_e32 v12, 0x3ff, v31
	s_lshl_b32 s56, s12, 12
	v_cmp_lt_i32_e32 vcc, v12, v7
	v_mov_b32_e32 v18, 0
	v_mov_b32_e32 v13, 0
	v_or_b32_e32 v14, s56, v12
	v_mov_b32_e32 v16, 0
	v_mov_b32_e32 v15, 0
	;; [unrolled: 1-line block ×31, first 2 shown]
	s_and_saveexec_b64 s[6:7], vcc
	s_cbranch_execz .LBB266_32
; %bb.1:
	v_add_co_u32_e64 v8, s[4:5], v3, v14
	v_addc_co_u32_e64 v9, s[4:5], 0, v4, s[4:5]
	flat_load_ubyte v54, v[8:9]
	v_add_co_u32_e64 v8, s[4:5], v5, v14
	v_addc_co_u32_e64 v9, s[4:5], 0, v6, s[4:5]
	flat_load_ubyte v53, v[8:9]
	v_add_u32_e32 v8, 0x100, v12
	v_mov_b32_e32 v51, 0
	v_cmp_lt_u32_e64 s[4:5], v8, v7
	v_mov_b32_e32 v52, 0
	v_mov_b32_e32 v49, 0
	;; [unrolled: 1-line block ×29, first 2 shown]
	s_and_saveexec_b64 s[8:9], s[4:5]
	s_cbranch_execz .LBB266_31
; %bb.2:
	v_add_u32_e32 v10, s56, v12
	v_add_co_u32_e64 v8, s[4:5], v3, v10
	v_addc_co_u32_e64 v9, s[4:5], 0, v4, s[4:5]
	v_add_co_u32_e64 v10, s[4:5], v5, v10
	v_addc_co_u32_e64 v11, s[4:5], 0, v6, s[4:5]
	flat_load_ubyte v52, v[8:9] offset:256
	flat_load_ubyte v51, v[10:11] offset:256
	v_add_u32_e32 v15, 0x200, v12
	v_mov_b32_e32 v49, 0
	v_cmp_lt_u32_e64 s[4:5], v15, v7
	v_mov_b32_e32 v50, 0
	v_mov_b32_e32 v39, 0
	;; [unrolled: 1-line block ×27, first 2 shown]
	s_and_saveexec_b64 s[10:11], s[4:5]
	s_cbranch_execz .LBB266_30
; %bb.3:
	flat_load_ubyte v50, v[8:9] offset:512
	flat_load_ubyte v49, v[10:11] offset:512
	v_add_u32_e32 v15, 0x300, v12
	v_cmp_lt_u32_e64 s[4:5], v15, v7
	v_mov_b32_e32 v15, 0
	v_mov_b32_e32 v39, 0
	;; [unrolled: 1-line block ×26, first 2 shown]
	s_and_saveexec_b64 s[12:13], s[4:5]
	s_cbranch_execz .LBB266_29
; %bb.4:
	flat_load_ubyte v48, v[8:9] offset:768
	flat_load_ubyte v39, v[10:11] offset:768
	v_or_b32_e32 v15, 0x400, v12
	v_cmp_lt_u32_e64 s[4:5], v15, v7
	v_mov_b32_e32 v15, 0
	v_mov_b32_e32 v37, 0
	;; [unrolled: 1-line block ×24, first 2 shown]
	s_and_saveexec_b64 s[14:15], s[4:5]
	s_cbranch_execz .LBB266_28
; %bb.5:
	flat_load_ubyte v38, v[8:9] offset:1024
	flat_load_ubyte v37, v[10:11] offset:1024
	v_add_u32_e32 v15, 0x500, v12
	v_cmp_lt_u32_e64 s[4:5], v15, v7
	v_mov_b32_e32 v15, 0
	v_mov_b32_e32 v35, 0
	;; [unrolled: 1-line block ×22, first 2 shown]
	s_and_saveexec_b64 s[16:17], s[4:5]
	s_cbranch_execz .LBB266_27
; %bb.6:
	flat_load_ubyte v36, v[8:9] offset:1280
	flat_load_ubyte v35, v[10:11] offset:1280
	v_add_u32_e32 v15, 0x600, v12
	v_cmp_lt_u32_e64 s[4:5], v15, v7
	v_mov_b32_e32 v15, 0
	v_mov_b32_e32 v33, 0
	;; [unrolled: 1-line block ×20, first 2 shown]
	s_and_saveexec_b64 s[18:19], s[4:5]
	s_cbranch_execz .LBB266_26
; %bb.7:
	flat_load_ubyte v34, v[8:9] offset:1536
	flat_load_ubyte v33, v[10:11] offset:1536
	v_add_u32_e32 v15, 0x700, v12
	v_cmp_lt_u32_e64 s[4:5], v15, v7
	v_mov_b32_e32 v15, 0
	v_mov_b32_e32 v31, 0
	;; [unrolled: 1-line block ×18, first 2 shown]
	s_and_saveexec_b64 s[20:21], s[4:5]
	s_cbranch_execz .LBB266_25
; %bb.8:
	flat_load_ubyte v32, v[8:9] offset:1792
	flat_load_ubyte v31, v[10:11] offset:1792
	v_or_b32_e32 v15, 0x800, v12
	v_cmp_lt_u32_e64 s[4:5], v15, v7
	v_mov_b32_e32 v15, 0
	v_mov_b32_e32 v29, 0
	;; [unrolled: 1-line block ×16, first 2 shown]
	s_and_saveexec_b64 s[22:23], s[4:5]
	s_cbranch_execz .LBB266_24
; %bb.9:
	flat_load_ubyte v30, v[8:9] offset:2048
	flat_load_ubyte v29, v[10:11] offset:2048
	v_add_u32_e32 v15, 0x900, v12
	v_cmp_lt_u32_e64 s[4:5], v15, v7
	v_mov_b32_e32 v15, 0
	v_mov_b32_e32 v27, 0
	;; [unrolled: 1-line block ×14, first 2 shown]
	s_and_saveexec_b64 s[24:25], s[4:5]
	s_cbranch_execz .LBB266_23
; %bb.10:
	flat_load_ubyte v28, v[8:9] offset:2304
	flat_load_ubyte v27, v[10:11] offset:2304
	v_add_u32_e32 v15, 0xa00, v12
	v_cmp_lt_u32_e64 s[4:5], v15, v7
	v_mov_b32_e32 v15, 0
	v_mov_b32_e32 v25, 0
	;; [unrolled: 1-line block ×12, first 2 shown]
	s_and_saveexec_b64 s[26:27], s[4:5]
	s_cbranch_execz .LBB266_22
; %bb.11:
	flat_load_ubyte v26, v[8:9] offset:2560
	flat_load_ubyte v25, v[10:11] offset:2560
	v_add_u32_e32 v15, 0xb00, v12
	v_cmp_lt_u32_e64 s[4:5], v15, v7
	v_mov_b32_e32 v15, 0
	v_mov_b32_e32 v23, 0
	;; [unrolled: 1-line block ×10, first 2 shown]
	s_and_saveexec_b64 s[28:29], s[4:5]
	s_cbranch_execz .LBB266_21
; %bb.12:
	flat_load_ubyte v24, v[8:9] offset:2816
	flat_load_ubyte v23, v[10:11] offset:2816
	v_or_b32_e32 v15, 0xc00, v12
	v_cmp_lt_u32_e64 s[4:5], v15, v7
	v_mov_b32_e32 v15, 0
	v_mov_b32_e32 v20, 0
	;; [unrolled: 1-line block ×8, first 2 shown]
	s_and_saveexec_b64 s[40:41], s[4:5]
	s_cbranch_execz .LBB266_20
; %bb.13:
	flat_load_ubyte v22, v[8:9] offset:3072
	flat_load_ubyte v20, v[10:11] offset:3072
	v_add_u32_e32 v8, 0xd00, v12
	v_cmp_lt_u32_e64 s[4:5], v8, v7
	v_mov_b32_e32 v15, 0
	v_mov_b32_e32 v19, 0
	;; [unrolled: 1-line block ×6, first 2 shown]
	s_and_saveexec_b64 s[42:43], s[4:5]
	s_cbranch_execz .LBB266_19
; %bb.14:
	v_add_u32_e32 v10, s56, v8
	v_add_co_u32_e64 v8, s[4:5], v3, v10
	v_addc_co_u32_e64 v9, s[4:5], 0, v4, s[4:5]
	flat_load_ubyte v21, v[8:9]
	v_add_co_u32_e64 v8, s[4:5], v5, v10
	v_addc_co_u32_e64 v9, s[4:5], 0, v6, s[4:5]
	flat_load_ubyte v19, v[8:9]
	v_add_u32_e32 v8, 0xe00, v12
	v_mov_b32_e32 v17, 0
	v_cmp_lt_u32_e64 s[4:5], v8, v7
	v_mov_b32_e32 v18, 0
	v_mov_b32_e32 v15, 0
	;; [unrolled: 1-line block ×3, first 2 shown]
	s_and_saveexec_b64 s[44:45], s[4:5]
	s_cbranch_execz .LBB266_18
; %bb.15:
	v_add_u32_e32 v10, s56, v8
	v_add_co_u32_e64 v8, s[4:5], v3, v10
	v_addc_co_u32_e64 v9, s[4:5], 0, v4, s[4:5]
	flat_load_ubyte v18, v[8:9]
	v_add_co_u32_e64 v8, s[4:5], v5, v10
	v_addc_co_u32_e64 v9, s[4:5], 0, v6, s[4:5]
	flat_load_ubyte v17, v[8:9]
	v_add_u32_e32 v8, 0xf00, v12
	v_mov_b32_e32 v15, 0
	v_cmp_lt_u32_e64 s[4:5], v8, v7
	v_mov_b32_e32 v16, 0
	s_and_saveexec_b64 s[46:47], s[4:5]
	s_cbranch_execz .LBB266_17
; %bb.16:
	v_add_u32_e32 v8, s56, v8
	v_add_co_u32_e64 v5, s[4:5], v5, v8
	v_addc_co_u32_e64 v6, s[4:5], 0, v6, s[4:5]
	v_add_co_u32_e64 v3, s[4:5], v3, v8
	v_addc_co_u32_e64 v4, s[4:5], 0, v4, s[4:5]
	flat_load_ubyte v8, v[3:4]
	flat_load_ubyte v9, v[5:6]
	s_waitcnt vmcnt(0) lgkmcnt(0)
	v_lshlrev_b32_e32 v16, 24, v8
	v_lshlrev_b32_e32 v15, 24, v9
.LBB266_17:
	s_or_b64 exec, exec, s[46:47]
.LBB266_18:
	s_or_b64 exec, exec, s[44:45]
.LBB266_19:
	s_or_b64 exec, exec, s[42:43]
.LBB266_20:
	s_or_b64 exec, exec, s[40:41]
.LBB266_21:
	s_or_b64 exec, exec, s[28:29]
.LBB266_22:
	s_or_b64 exec, exec, s[26:27]
.LBB266_23:
	s_or_b64 exec, exec, s[24:25]
.LBB266_24:
	s_or_b64 exec, exec, s[22:23]
.LBB266_25:
	s_or_b64 exec, exec, s[20:21]
.LBB266_26:
	s_or_b64 exec, exec, s[18:19]
.LBB266_27:
	s_or_b64 exec, exec, s[16:17]
.LBB266_28:
	s_or_b64 exec, exec, s[14:15]
.LBB266_29:
	s_or_b64 exec, exec, s[12:13]
.LBB266_30:
	s_or_b64 exec, exec, s[10:11]
.LBB266_31:
	s_or_b64 exec, exec, s[8:9]
.LBB266_32:
	s_or_b64 exec, exec, s[6:7]
	v_cmp_eq_u32_e64 s[4:5], 0, v0
	v_mov_b32_e32 v4, v13
	v_mov_b32_e32 v3, v13
	;; [unrolled: 1-line block ×3, first 2 shown]
	s_and_saveexec_b64 s[8:9], vcc
	s_cbranch_execz .LBB266_34
; %bb.33:
	s_waitcnt vmcnt(0) lgkmcnt(0)
	v_lshlrev_b32_e32 v0, 24, v54
	v_and_b32_e32 v3, 0x7f000000, v0
	v_ffbh_u32_e32 v4, v3
	v_min_u32_e32 v4, 32, v4
	v_sub_u32_e64 v4, v4, 4 clamp
	v_lshlrev_b32_e32 v6, v4, v3
	v_lshrrev_b32_e32 v6, 4, v6
	v_lshlrev_b32_e32 v4, 23, v4
	v_add_u32_e32 v5, 0x1000000, v3
	v_sub_u32_e32 v4, v6, v4
	v_ashrrev_i32_e32 v5, 8, v5
	v_add_u32_e32 v4, 0x3c000000, v4
	s_mov_b32 s10, 0x7f800000
	v_and_or_b32 v4, v5, s10, v4
	v_cmp_ne_u32_e64 s[6:7], 0, v3
	v_cndmask_b32_e64 v3, 0, v4, s[6:7]
	s_brev_b32 s11, 1
	v_and_or_b32 v0, v0, s11, v3
	v_lshlrev_b32_e32 v3, 24, v53
	v_and_b32_e32 v4, 0x7f000000, v3
	v_ffbh_u32_e32 v5, v4
	v_min_u32_e32 v5, 32, v5
	v_sub_u32_e64 v5, v5, 4 clamp
	v_lshlrev_b32_e32 v8, v5, v4
	v_lshrrev_b32_e32 v8, 4, v8
	v_lshlrev_b32_e32 v5, 23, v5
	v_add_u32_e32 v6, 0x1000000, v4
	v_sub_u32_e32 v5, v8, v5
	v_ashrrev_i32_e32 v6, 8, v6
	v_add_u32_e32 v5, 0x3c000000, v5
	v_and_or_b32 v5, v6, s10, v5
	v_cmp_ne_u32_e64 s[6:7], 0, v4
	v_cndmask_b32_e64 v4, 0, v5, s[6:7]
	v_and_or_b32 v3, v3, s11, v4
	v_cmp_eq_f32_e64 s[6:7], v0, v3
	v_cndmask_b32_e64 v4, 0, 1, s[6:7]
	v_cmp_neq_f32_e64 s[6:7], v0, v3
	v_cndmask_b32_e64 v0, 0, 1, s[6:7]
	v_cndmask_b32_e64 v0, v0, v4, s[4:5]
	v_and_b32_e32 v0, 1, v0
	v_mov_b32_e32 v4, 0
	v_and_b32_e32 v13, 0xffff, v0
	v_mov_b32_e32 v3, v4
	v_mov_b32_e32 v0, v4
.LBB266_34:
	s_or_b64 exec, exec, s[8:9]
	v_add_u32_e32 v5, 0x100, v12
	v_cmp_lt_i32_e64 s[6:7], v5, v7
	s_and_saveexec_b64 s[8:9], s[6:7]
	s_cbranch_execz .LBB266_36
; %bb.35:
	s_waitcnt vmcnt(0) lgkmcnt(0)
	v_lshlrev_b32_e32 v6, 24, v52
	v_and_b32_e32 v8, 0x7f000000, v6
	v_ffbh_u32_e32 v9, v8
	v_min_u32_e32 v9, 32, v9
	v_sub_u32_e64 v9, v9, 4 clamp
	v_lshlrev_b32_e32 v11, v9, v8
	v_lshrrev_b32_e32 v11, 4, v11
	v_lshlrev_b32_e32 v9, 23, v9
	v_add_u32_e32 v10, 0x1000000, v8
	v_sub_u32_e32 v9, v11, v9
	v_ashrrev_i32_e32 v10, 8, v10
	v_add_u32_e32 v9, 0x3c000000, v9
	s_mov_b32 s10, 0x7f800000
	v_and_or_b32 v9, v10, s10, v9
	v_cmp_ne_u32_e64 s[6:7], 0, v8
	v_cndmask_b32_e64 v8, 0, v9, s[6:7]
	s_brev_b32 s11, 1
	v_and_or_b32 v6, v6, s11, v8
	v_lshlrev_b32_e32 v8, 24, v51
	v_and_b32_e32 v9, 0x7f000000, v8
	v_ffbh_u32_e32 v10, v9
	v_min_u32_e32 v10, 32, v10
	v_sub_u32_e64 v10, v10, 4 clamp
	v_lshlrev_b32_e32 v51, v10, v9
	v_lshrrev_b32_e32 v51, 4, v51
	v_lshlrev_b32_e32 v10, 23, v10
	v_add_u32_e32 v11, 0x1000000, v9
	v_sub_u32_e32 v10, v51, v10
	v_ashrrev_i32_e32 v11, 8, v11
	v_add_u32_e32 v10, 0x3c000000, v10
	v_and_or_b32 v10, v11, s10, v10
	v_cmp_ne_u32_e64 s[6:7], 0, v9
	v_cndmask_b32_e64 v9, 0, v10, s[6:7]
	v_and_or_b32 v8, v8, s11, v9
	v_cmp_eq_f32_e64 s[6:7], v6, v8
	v_cndmask_b32_e64 v9, 0, 1, s[6:7]
	v_cmp_neq_f32_e64 s[6:7], v6, v8
	v_cndmask_b32_e64 v6, 0, 1, s[6:7]
	v_cndmask_b32_e64 v6, v6, v9, s[4:5]
	v_mov_b32_e32 v8, 1
	v_and_b32_sdwa v6, v6, v8 dst_sel:BYTE_1 dst_unused:UNUSED_PAD src0_sel:DWORD src1_sel:DWORD
	v_or_b32_sdwa v6, v13, v6 dst_sel:DWORD dst_unused:UNUSED_PAD src0_sel:BYTE_0 src1_sel:DWORD
	v_and_b32_e32 v6, 0xffff, v6
	s_mov_b32 s6, 0xffff0000
	v_and_or_b32 v13, v13, s6, v6
.LBB266_36:
	s_or_b64 exec, exec, s[8:9]
	v_add_u32_e32 v6, 0x200, v12
	v_cmp_lt_i32_e64 s[6:7], v6, v7
	s_and_saveexec_b64 s[8:9], s[6:7]
	s_cbranch_execz .LBB266_38
; %bb.37:
	s_waitcnt vmcnt(0) lgkmcnt(0)
	v_lshlrev_b32_e32 v8, 24, v50
	v_and_b32_e32 v9, 0x7f000000, v8
	v_ffbh_u32_e32 v10, v9
	v_min_u32_e32 v10, 32, v10
	v_sub_u32_e64 v10, v10, 4 clamp
	v_lshlrev_b32_e32 v50, v10, v9
	v_lshrrev_b32_e32 v50, 4, v50
	v_lshlrev_b32_e32 v10, 23, v10
	v_add_u32_e32 v11, 0x1000000, v9
	v_sub_u32_e32 v10, v50, v10
	s_movk_i32 s6, 0xff00
	v_ashrrev_i32_e32 v11, 8, v11
	v_add_u32_e32 v10, 0x3c000000, v10
	s_mov_b32 s10, 0x7f800000
	v_and_b32_sdwa v6, v13, s6 dst_sel:DWORD dst_unused:UNUSED_PAD src0_sel:WORD_1 src1_sel:DWORD
	v_and_or_b32 v10, v11, s10, v10
	v_cmp_ne_u32_e64 s[6:7], 0, v9
	v_cndmask_b32_e64 v9, 0, v10, s[6:7]
	s_brev_b32 s11, 1
	v_and_or_b32 v8, v8, s11, v9
	v_lshlrev_b32_e32 v9, 24, v49
	v_and_b32_e32 v10, 0x7f000000, v9
	v_ffbh_u32_e32 v11, v10
	v_min_u32_e32 v11, 32, v11
	v_sub_u32_e64 v11, v11, 4 clamp
	v_lshlrev_b32_e32 v50, v11, v10
	v_lshrrev_b32_e32 v50, 4, v50
	v_lshlrev_b32_e32 v11, 23, v11
	v_add_u32_e32 v49, 0x1000000, v10
	v_sub_u32_e32 v11, v50, v11
	v_ashrrev_i32_e32 v49, 8, v49
	v_add_u32_e32 v11, 0x3c000000, v11
	v_and_or_b32 v11, v49, s10, v11
	v_cmp_ne_u32_e64 s[6:7], 0, v10
	v_cndmask_b32_e64 v10, 0, v11, s[6:7]
	v_and_or_b32 v9, v9, s11, v10
	v_cmp_eq_f32_e64 s[6:7], v8, v9
	v_cndmask_b32_e64 v10, 0, 1, s[6:7]
	v_cmp_neq_f32_e64 s[6:7], v8, v9
	v_cndmask_b32_e64 v8, 0, 1, s[6:7]
	v_cndmask_b32_e64 v8, v8, v10, s[4:5]
	v_and_b32_e32 v8, 1, v8
	v_or_b32_sdwa v6, v8, v6 dst_sel:WORD_1 dst_unused:UNUSED_PAD src0_sel:DWORD src1_sel:DWORD
	s_mov_b32 s6, 0xffff
	v_and_or_b32 v13, v13, s6, v6
.LBB266_38:
	s_or_b64 exec, exec, s[8:9]
	v_add_u32_e32 v6, 0x300, v12
	v_cmp_lt_i32_e64 s[6:7], v6, v7
	s_and_saveexec_b64 s[8:9], s[6:7]
	s_cbranch_execz .LBB266_40
; %bb.39:
	s_waitcnt vmcnt(0) lgkmcnt(0)
	v_lshlrev_b32_e32 v8, 24, v48
	v_and_b32_e32 v9, 0x7f000000, v8
	v_ffbh_u32_e32 v10, v9
	v_min_u32_e32 v10, 32, v10
	v_sub_u32_e64 v10, v10, 4 clamp
	v_lshlrev_b32_e32 v48, v10, v9
	v_lshrrev_b32_e32 v48, 4, v48
	v_lshlrev_b32_e32 v10, 23, v10
	v_add_u32_e32 v11, 0x1000000, v9
	v_sub_u32_e32 v10, v48, v10
	s_movk_i32 s6, 0xff
	v_ashrrev_i32_e32 v11, 8, v11
	v_add_u32_e32 v10, 0x3c000000, v10
	s_mov_b32 s10, 0x7f800000
	v_and_b32_sdwa v6, v13, s6 dst_sel:DWORD dst_unused:UNUSED_PAD src0_sel:WORD_1 src1_sel:DWORD
	v_and_or_b32 v10, v11, s10, v10
	v_cmp_ne_u32_e64 s[6:7], 0, v9
	v_cndmask_b32_e64 v9, 0, v10, s[6:7]
	s_brev_b32 s11, 1
	v_and_or_b32 v8, v8, s11, v9
	v_lshlrev_b32_e32 v9, 24, v39
	v_and_b32_e32 v10, 0x7f000000, v9
	v_ffbh_u32_e32 v11, v10
	v_min_u32_e32 v11, 32, v11
	v_sub_u32_e64 v11, v11, 4 clamp
	v_lshlrev_b32_e32 v48, v11, v10
	v_lshrrev_b32_e32 v48, 4, v48
	v_lshlrev_b32_e32 v11, 23, v11
	v_add_u32_e32 v39, 0x1000000, v10
	v_sub_u32_e32 v11, v48, v11
	v_ashrrev_i32_e32 v39, 8, v39
	v_add_u32_e32 v11, 0x3c000000, v11
	v_and_or_b32 v11, v39, s10, v11
	v_cmp_ne_u32_e64 s[6:7], 0, v10
	v_cndmask_b32_e64 v10, 0, v11, s[6:7]
	v_and_or_b32 v9, v9, s11, v10
	v_cmp_eq_f32_e64 s[6:7], v8, v9
	v_cndmask_b32_e64 v10, 0, 1, s[6:7]
	v_cmp_neq_f32_e64 s[6:7], v8, v9
	v_cndmask_b32_e64 v8, 0, 1, s[6:7]
	v_cndmask_b32_e64 v8, v8, v10, s[4:5]
	v_mov_b32_e32 v9, 1
	v_and_b32_sdwa v8, v8, v9 dst_sel:BYTE_1 dst_unused:UNUSED_PAD src0_sel:DWORD src1_sel:DWORD
	v_or_b32_sdwa v6, v6, v8 dst_sel:WORD_1 dst_unused:UNUSED_PAD src0_sel:DWORD src1_sel:DWORD
	s_mov_b32 s6, 0xffff
	v_and_or_b32 v13, v13, s6, v6
.LBB266_40:
	s_or_b64 exec, exec, s[8:9]
	v_or_b32_e32 v6, 0x400, v12
	v_cmp_lt_i32_e64 s[6:7], v6, v7
	s_and_saveexec_b64 s[8:9], s[6:7]
	s_cbranch_execz .LBB266_42
; %bb.41:
	s_waitcnt vmcnt(0) lgkmcnt(0)
	v_lshlrev_b32_e32 v8, 24, v38
	v_and_b32_e32 v9, 0x7f000000, v8
	v_ffbh_u32_e32 v10, v9
	v_min_u32_e32 v10, 32, v10
	v_sub_u32_e64 v10, v10, 4 clamp
	v_lshlrev_b32_e32 v38, v10, v9
	v_lshrrev_b32_e32 v38, 4, v38
	v_lshlrev_b32_e32 v10, 23, v10
	v_add_u32_e32 v11, 0x1000000, v9
	v_sub_u32_e32 v10, v38, v10
	v_ashrrev_i32_e32 v11, 8, v11
	v_add_u32_e32 v10, 0x3c000000, v10
	s_mov_b32 s10, 0x7f800000
	v_and_or_b32 v10, v11, s10, v10
	v_cmp_ne_u32_e64 s[6:7], 0, v9
	v_cndmask_b32_e64 v9, 0, v10, s[6:7]
	s_brev_b32 s11, 1
	v_and_or_b32 v8, v8, s11, v9
	v_lshlrev_b32_e32 v9, 24, v37
	v_and_b32_e32 v10, 0x7f000000, v9
	v_ffbh_u32_e32 v11, v10
	v_min_u32_e32 v11, 32, v11
	v_sub_u32_e64 v11, v11, 4 clamp
	v_lshlrev_b32_e32 v38, v11, v10
	v_lshrrev_b32_e32 v38, 4, v38
	v_lshlrev_b32_e32 v11, 23, v11
	v_add_u32_e32 v37, 0x1000000, v10
	v_sub_u32_e32 v11, v38, v11
	v_ashrrev_i32_e32 v37, 8, v37
	v_add_u32_e32 v11, 0x3c000000, v11
	v_and_or_b32 v11, v37, s10, v11
	v_cmp_ne_u32_e64 s[6:7], 0, v10
	v_cndmask_b32_e64 v10, 0, v11, s[6:7]
	v_and_or_b32 v9, v9, s11, v10
	v_cmp_eq_f32_e64 s[6:7], v8, v9
	v_cndmask_b32_e64 v10, 0, 1, s[6:7]
	v_cmp_neq_f32_e64 s[6:7], v8, v9
	v_cndmask_b32_e64 v8, 0, 1, s[6:7]
	v_cndmask_b32_e64 v8, v8, v10, s[4:5]
	v_and_b32_e32 v6, 0xffffff00, v4
	v_and_b32_e32 v8, 1, v8
	v_or_b32_e32 v6, v8, v6
	v_and_b32_e32 v6, 0xffff, v6
	s_mov_b32 s6, 0xffff0000
	v_and_or_b32 v4, v4, s6, v6
.LBB266_42:
	s_or_b64 exec, exec, s[8:9]
	v_add_u32_e32 v6, 0x500, v12
	v_cmp_lt_i32_e64 s[6:7], v6, v7
	s_and_saveexec_b64 s[8:9], s[6:7]
	s_cbranch_execz .LBB266_44
; %bb.43:
	s_waitcnt vmcnt(0) lgkmcnt(0)
	v_lshlrev_b32_e32 v6, 24, v36
	v_and_b32_e32 v8, 0x7f000000, v6
	v_ffbh_u32_e32 v9, v8
	v_min_u32_e32 v9, 32, v9
	v_sub_u32_e64 v9, v9, 4 clamp
	v_lshlrev_b32_e32 v11, v9, v8
	v_lshrrev_b32_e32 v11, 4, v11
	v_lshlrev_b32_e32 v9, 23, v9
	v_add_u32_e32 v10, 0x1000000, v8
	v_sub_u32_e32 v9, v11, v9
	v_ashrrev_i32_e32 v10, 8, v10
	v_add_u32_e32 v9, 0x3c000000, v9
	s_mov_b32 s10, 0x7f800000
	v_and_or_b32 v9, v10, s10, v9
	v_cmp_ne_u32_e64 s[6:7], 0, v8
	v_cndmask_b32_e64 v8, 0, v9, s[6:7]
	s_brev_b32 s11, 1
	v_and_or_b32 v6, v6, s11, v8
	v_lshlrev_b32_e32 v8, 24, v35
	v_and_b32_e32 v9, 0x7f000000, v8
	v_ffbh_u32_e32 v10, v9
	v_min_u32_e32 v10, 32, v10
	v_sub_u32_e64 v10, v10, 4 clamp
	v_lshlrev_b32_e32 v35, v10, v9
	v_lshrrev_b32_e32 v35, 4, v35
	v_lshlrev_b32_e32 v10, 23, v10
	v_add_u32_e32 v11, 0x1000000, v9
	v_sub_u32_e32 v10, v35, v10
	v_ashrrev_i32_e32 v11, 8, v11
	v_add_u32_e32 v10, 0x3c000000, v10
	v_and_or_b32 v10, v11, s10, v10
	v_cmp_ne_u32_e64 s[6:7], 0, v9
	v_cndmask_b32_e64 v9, 0, v10, s[6:7]
	v_and_or_b32 v8, v8, s11, v9
	v_cmp_eq_f32_e64 s[6:7], v6, v8
	v_cndmask_b32_e64 v9, 0, 1, s[6:7]
	v_cmp_neq_f32_e64 s[6:7], v6, v8
	v_cndmask_b32_e64 v6, 0, 1, s[6:7]
	v_cndmask_b32_e64 v6, v6, v9, s[4:5]
	v_mov_b32_e32 v8, 1
	v_and_b32_sdwa v6, v6, v8 dst_sel:BYTE_1 dst_unused:UNUSED_PAD src0_sel:DWORD src1_sel:DWORD
	v_or_b32_sdwa v6, v4, v6 dst_sel:DWORD dst_unused:UNUSED_PAD src0_sel:BYTE_0 src1_sel:DWORD
	v_and_b32_e32 v6, 0xffff, v6
	s_mov_b32 s6, 0xffff0000
	v_and_or_b32 v4, v4, s6, v6
.LBB266_44:
	s_or_b64 exec, exec, s[8:9]
	v_add_u32_e32 v6, 0x600, v12
	v_cmp_lt_i32_e64 s[6:7], v6, v7
	s_and_saveexec_b64 s[8:9], s[6:7]
	s_cbranch_execz .LBB266_46
; %bb.45:
	s_waitcnt vmcnt(0) lgkmcnt(0)
	v_lshlrev_b32_e32 v8, 24, v34
	v_and_b32_e32 v9, 0x7f000000, v8
	v_ffbh_u32_e32 v10, v9
	v_min_u32_e32 v10, 32, v10
	v_sub_u32_e64 v10, v10, 4 clamp
	v_lshlrev_b32_e32 v34, v10, v9
	v_lshrrev_b32_e32 v34, 4, v34
	v_lshlrev_b32_e32 v10, 23, v10
	v_add_u32_e32 v11, 0x1000000, v9
	v_sub_u32_e32 v10, v34, v10
	s_movk_i32 s6, 0xff00
	v_ashrrev_i32_e32 v11, 8, v11
	v_add_u32_e32 v10, 0x3c000000, v10
	s_mov_b32 s10, 0x7f800000
	v_and_b32_sdwa v6, v4, s6 dst_sel:DWORD dst_unused:UNUSED_PAD src0_sel:WORD_1 src1_sel:DWORD
	v_and_or_b32 v10, v11, s10, v10
	v_cmp_ne_u32_e64 s[6:7], 0, v9
	v_cndmask_b32_e64 v9, 0, v10, s[6:7]
	s_brev_b32 s11, 1
	v_and_or_b32 v8, v8, s11, v9
	v_lshlrev_b32_e32 v9, 24, v33
	v_and_b32_e32 v10, 0x7f000000, v9
	v_ffbh_u32_e32 v11, v10
	v_min_u32_e32 v11, 32, v11
	v_sub_u32_e64 v11, v11, 4 clamp
	v_lshlrev_b32_e32 v34, v11, v10
	v_lshrrev_b32_e32 v34, 4, v34
	v_lshlrev_b32_e32 v11, 23, v11
	v_add_u32_e32 v33, 0x1000000, v10
	v_sub_u32_e32 v11, v34, v11
	v_ashrrev_i32_e32 v33, 8, v33
	v_add_u32_e32 v11, 0x3c000000, v11
	v_and_or_b32 v11, v33, s10, v11
	v_cmp_ne_u32_e64 s[6:7], 0, v10
	v_cndmask_b32_e64 v10, 0, v11, s[6:7]
	v_and_or_b32 v9, v9, s11, v10
	v_cmp_eq_f32_e64 s[6:7], v8, v9
	v_cndmask_b32_e64 v10, 0, 1, s[6:7]
	v_cmp_neq_f32_e64 s[6:7], v8, v9
	v_cndmask_b32_e64 v8, 0, 1, s[6:7]
	v_cndmask_b32_e64 v8, v8, v10, s[4:5]
	v_and_b32_e32 v8, 1, v8
	v_or_b32_sdwa v6, v8, v6 dst_sel:WORD_1 dst_unused:UNUSED_PAD src0_sel:DWORD src1_sel:DWORD
	s_mov_b32 s6, 0xffff
	v_and_or_b32 v4, v4, s6, v6
.LBB266_46:
	s_or_b64 exec, exec, s[8:9]
	v_add_u32_e32 v6, 0x700, v12
	v_cmp_lt_i32_e64 s[6:7], v6, v7
	s_and_saveexec_b64 s[8:9], s[6:7]
	s_cbranch_execz .LBB266_48
; %bb.47:
	s_waitcnt vmcnt(0) lgkmcnt(0)
	v_lshlrev_b32_e32 v8, 24, v32
	v_and_b32_e32 v9, 0x7f000000, v8
	v_ffbh_u32_e32 v10, v9
	v_min_u32_e32 v10, 32, v10
	v_sub_u32_e64 v10, v10, 4 clamp
	v_lshlrev_b32_e32 v32, v10, v9
	v_lshrrev_b32_e32 v32, 4, v32
	v_lshlrev_b32_e32 v10, 23, v10
	v_add_u32_e32 v11, 0x1000000, v9
	v_sub_u32_e32 v10, v32, v10
	s_movk_i32 s6, 0xff
	v_ashrrev_i32_e32 v11, 8, v11
	v_add_u32_e32 v10, 0x3c000000, v10
	s_mov_b32 s10, 0x7f800000
	v_and_b32_sdwa v6, v4, s6 dst_sel:DWORD dst_unused:UNUSED_PAD src0_sel:WORD_1 src1_sel:DWORD
	v_and_or_b32 v10, v11, s10, v10
	v_cmp_ne_u32_e64 s[6:7], 0, v9
	v_cndmask_b32_e64 v9, 0, v10, s[6:7]
	s_brev_b32 s11, 1
	v_and_or_b32 v8, v8, s11, v9
	v_lshlrev_b32_e32 v9, 24, v31
	v_and_b32_e32 v10, 0x7f000000, v9
	v_ffbh_u32_e32 v11, v10
	v_min_u32_e32 v11, 32, v11
	v_sub_u32_e64 v11, v11, 4 clamp
	v_lshlrev_b32_e32 v32, v11, v10
	v_lshrrev_b32_e32 v32, 4, v32
	v_lshlrev_b32_e32 v11, 23, v11
	v_add_u32_e32 v31, 0x1000000, v10
	v_sub_u32_e32 v11, v32, v11
	v_ashrrev_i32_e32 v31, 8, v31
	v_add_u32_e32 v11, 0x3c000000, v11
	v_and_or_b32 v11, v31, s10, v11
	v_cmp_ne_u32_e64 s[6:7], 0, v10
	v_cndmask_b32_e64 v10, 0, v11, s[6:7]
	v_and_or_b32 v9, v9, s11, v10
	v_cmp_eq_f32_e64 s[6:7], v8, v9
	v_cndmask_b32_e64 v10, 0, 1, s[6:7]
	v_cmp_neq_f32_e64 s[6:7], v8, v9
	v_cndmask_b32_e64 v8, 0, 1, s[6:7]
	v_cndmask_b32_e64 v8, v8, v10, s[4:5]
	v_mov_b32_e32 v9, 1
	v_and_b32_sdwa v8, v8, v9 dst_sel:BYTE_1 dst_unused:UNUSED_PAD src0_sel:DWORD src1_sel:DWORD
	v_or_b32_sdwa v6, v6, v8 dst_sel:WORD_1 dst_unused:UNUSED_PAD src0_sel:DWORD src1_sel:DWORD
	s_mov_b32 s6, 0xffff
	v_and_or_b32 v4, v4, s6, v6
.LBB266_48:
	s_or_b64 exec, exec, s[8:9]
	v_or_b32_e32 v6, 0x800, v12
	v_cmp_lt_i32_e64 s[6:7], v6, v7
	s_and_saveexec_b64 s[8:9], s[6:7]
	s_cbranch_execz .LBB266_50
; %bb.49:
	s_waitcnt vmcnt(0) lgkmcnt(0)
	v_lshlrev_b32_e32 v8, 24, v30
	v_and_b32_e32 v9, 0x7f000000, v8
	v_ffbh_u32_e32 v10, v9
	v_min_u32_e32 v10, 32, v10
	v_sub_u32_e64 v10, v10, 4 clamp
	v_lshlrev_b32_e32 v30, v10, v9
	v_lshrrev_b32_e32 v30, 4, v30
	v_lshlrev_b32_e32 v10, 23, v10
	v_add_u32_e32 v11, 0x1000000, v9
	v_sub_u32_e32 v10, v30, v10
	v_ashrrev_i32_e32 v11, 8, v11
	v_add_u32_e32 v10, 0x3c000000, v10
	s_mov_b32 s10, 0x7f800000
	v_and_or_b32 v10, v11, s10, v10
	v_cmp_ne_u32_e64 s[6:7], 0, v9
	v_cndmask_b32_e64 v9, 0, v10, s[6:7]
	s_brev_b32 s11, 1
	v_and_or_b32 v8, v8, s11, v9
	v_lshlrev_b32_e32 v9, 24, v29
	v_and_b32_e32 v10, 0x7f000000, v9
	v_ffbh_u32_e32 v11, v10
	v_min_u32_e32 v11, 32, v11
	v_sub_u32_e64 v11, v11, 4 clamp
	v_lshlrev_b32_e32 v30, v11, v10
	v_lshrrev_b32_e32 v30, 4, v30
	v_lshlrev_b32_e32 v11, 23, v11
	v_add_u32_e32 v29, 0x1000000, v10
	v_sub_u32_e32 v11, v30, v11
	v_ashrrev_i32_e32 v29, 8, v29
	v_add_u32_e32 v11, 0x3c000000, v11
	v_and_or_b32 v11, v29, s10, v11
	v_cmp_ne_u32_e64 s[6:7], 0, v10
	v_cndmask_b32_e64 v10, 0, v11, s[6:7]
	v_and_or_b32 v9, v9, s11, v10
	v_cmp_eq_f32_e64 s[6:7], v8, v9
	v_cndmask_b32_e64 v10, 0, 1, s[6:7]
	v_cmp_neq_f32_e64 s[6:7], v8, v9
	v_cndmask_b32_e64 v8, 0, 1, s[6:7]
	v_cndmask_b32_e64 v8, v8, v10, s[4:5]
	v_and_b32_e32 v6, 0xffffff00, v3
	v_and_b32_e32 v8, 1, v8
	v_or_b32_e32 v6, v8, v6
	v_and_b32_e32 v6, 0xffff, v6
	s_mov_b32 s6, 0xffff0000
	v_and_or_b32 v3, v3, s6, v6
.LBB266_50:
	s_or_b64 exec, exec, s[8:9]
	v_add_u32_e32 v6, 0x900, v12
	v_cmp_lt_i32_e64 s[6:7], v6, v7
	s_and_saveexec_b64 s[8:9], s[6:7]
	s_cbranch_execz .LBB266_52
; %bb.51:
	s_waitcnt vmcnt(0) lgkmcnt(0)
	v_lshlrev_b32_e32 v6, 24, v28
	v_and_b32_e32 v8, 0x7f000000, v6
	v_ffbh_u32_e32 v9, v8
	v_min_u32_e32 v9, 32, v9
	v_sub_u32_e64 v9, v9, 4 clamp
	v_lshlrev_b32_e32 v11, v9, v8
	v_lshrrev_b32_e32 v11, 4, v11
	v_lshlrev_b32_e32 v9, 23, v9
	v_add_u32_e32 v10, 0x1000000, v8
	v_sub_u32_e32 v9, v11, v9
	v_ashrrev_i32_e32 v10, 8, v10
	v_add_u32_e32 v9, 0x3c000000, v9
	s_mov_b32 s10, 0x7f800000
	v_and_or_b32 v9, v10, s10, v9
	v_cmp_ne_u32_e64 s[6:7], 0, v8
	v_cndmask_b32_e64 v8, 0, v9, s[6:7]
	s_brev_b32 s11, 1
	v_and_or_b32 v6, v6, s11, v8
	v_lshlrev_b32_e32 v8, 24, v27
	v_and_b32_e32 v9, 0x7f000000, v8
	v_ffbh_u32_e32 v10, v9
	v_min_u32_e32 v10, 32, v10
	v_sub_u32_e64 v10, v10, 4 clamp
	v_lshlrev_b32_e32 v27, v10, v9
	v_lshrrev_b32_e32 v27, 4, v27
	v_lshlrev_b32_e32 v10, 23, v10
	v_add_u32_e32 v11, 0x1000000, v9
	v_sub_u32_e32 v10, v27, v10
	v_ashrrev_i32_e32 v11, 8, v11
	v_add_u32_e32 v10, 0x3c000000, v10
	v_and_or_b32 v10, v11, s10, v10
	v_cmp_ne_u32_e64 s[6:7], 0, v9
	v_cndmask_b32_e64 v9, 0, v10, s[6:7]
	v_and_or_b32 v8, v8, s11, v9
	v_cmp_eq_f32_e64 s[6:7], v6, v8
	v_cndmask_b32_e64 v9, 0, 1, s[6:7]
	v_cmp_neq_f32_e64 s[6:7], v6, v8
	v_cndmask_b32_e64 v6, 0, 1, s[6:7]
	v_cndmask_b32_e64 v6, v6, v9, s[4:5]
	v_mov_b32_e32 v8, 1
	v_and_b32_sdwa v6, v6, v8 dst_sel:BYTE_1 dst_unused:UNUSED_PAD src0_sel:DWORD src1_sel:DWORD
	v_or_b32_sdwa v6, v3, v6 dst_sel:DWORD dst_unused:UNUSED_PAD src0_sel:BYTE_0 src1_sel:DWORD
	v_and_b32_e32 v6, 0xffff, v6
	s_mov_b32 s6, 0xffff0000
	v_and_or_b32 v3, v3, s6, v6
.LBB266_52:
	s_or_b64 exec, exec, s[8:9]
	v_add_u32_e32 v6, 0xa00, v12
	v_cmp_lt_i32_e64 s[6:7], v6, v7
	s_and_saveexec_b64 s[8:9], s[6:7]
	s_cbranch_execz .LBB266_54
; %bb.53:
	s_waitcnt vmcnt(0) lgkmcnt(0)
	v_lshlrev_b32_e32 v8, 24, v26
	v_and_b32_e32 v9, 0x7f000000, v8
	v_ffbh_u32_e32 v10, v9
	v_min_u32_e32 v10, 32, v10
	v_sub_u32_e64 v10, v10, 4 clamp
	v_lshlrev_b32_e32 v26, v10, v9
	v_lshrrev_b32_e32 v26, 4, v26
	v_lshlrev_b32_e32 v10, 23, v10
	v_add_u32_e32 v11, 0x1000000, v9
	v_sub_u32_e32 v10, v26, v10
	s_movk_i32 s6, 0xff00
	v_ashrrev_i32_e32 v11, 8, v11
	v_add_u32_e32 v10, 0x3c000000, v10
	s_mov_b32 s10, 0x7f800000
	v_and_b32_sdwa v6, v3, s6 dst_sel:DWORD dst_unused:UNUSED_PAD src0_sel:WORD_1 src1_sel:DWORD
	v_and_or_b32 v10, v11, s10, v10
	v_cmp_ne_u32_e64 s[6:7], 0, v9
	v_cndmask_b32_e64 v9, 0, v10, s[6:7]
	s_brev_b32 s11, 1
	v_and_or_b32 v8, v8, s11, v9
	v_lshlrev_b32_e32 v9, 24, v25
	v_and_b32_e32 v10, 0x7f000000, v9
	v_ffbh_u32_e32 v11, v10
	v_min_u32_e32 v11, 32, v11
	v_sub_u32_e64 v11, v11, 4 clamp
	v_lshlrev_b32_e32 v26, v11, v10
	v_lshrrev_b32_e32 v26, 4, v26
	v_lshlrev_b32_e32 v11, 23, v11
	v_add_u32_e32 v25, 0x1000000, v10
	v_sub_u32_e32 v11, v26, v11
	v_ashrrev_i32_e32 v25, 8, v25
	v_add_u32_e32 v11, 0x3c000000, v11
	v_and_or_b32 v11, v25, s10, v11
	v_cmp_ne_u32_e64 s[6:7], 0, v10
	v_cndmask_b32_e64 v10, 0, v11, s[6:7]
	v_and_or_b32 v9, v9, s11, v10
	v_cmp_eq_f32_e64 s[6:7], v8, v9
	v_cndmask_b32_e64 v10, 0, 1, s[6:7]
	v_cmp_neq_f32_e64 s[6:7], v8, v9
	v_cndmask_b32_e64 v8, 0, 1, s[6:7]
	v_cndmask_b32_e64 v8, v8, v10, s[4:5]
	v_and_b32_e32 v8, 1, v8
	v_or_b32_sdwa v6, v8, v6 dst_sel:WORD_1 dst_unused:UNUSED_PAD src0_sel:DWORD src1_sel:DWORD
	s_mov_b32 s6, 0xffff
	v_and_or_b32 v3, v3, s6, v6
.LBB266_54:
	s_or_b64 exec, exec, s[8:9]
	v_add_u32_e32 v6, 0xb00, v12
	v_cmp_lt_i32_e64 s[6:7], v6, v7
	s_and_saveexec_b64 s[8:9], s[6:7]
	s_cbranch_execz .LBB266_56
; %bb.55:
	s_waitcnt vmcnt(0) lgkmcnt(0)
	v_lshlrev_b32_e32 v8, 24, v24
	v_and_b32_e32 v9, 0x7f000000, v8
	v_ffbh_u32_e32 v10, v9
	v_min_u32_e32 v10, 32, v10
	v_sub_u32_e64 v10, v10, 4 clamp
	v_lshlrev_b32_e32 v24, v10, v9
	v_lshrrev_b32_e32 v24, 4, v24
	v_lshlrev_b32_e32 v10, 23, v10
	v_add_u32_e32 v11, 0x1000000, v9
	v_sub_u32_e32 v10, v24, v10
	s_movk_i32 s6, 0xff
	v_ashrrev_i32_e32 v11, 8, v11
	v_add_u32_e32 v10, 0x3c000000, v10
	s_mov_b32 s10, 0x7f800000
	v_and_b32_sdwa v6, v3, s6 dst_sel:DWORD dst_unused:UNUSED_PAD src0_sel:WORD_1 src1_sel:DWORD
	v_and_or_b32 v10, v11, s10, v10
	v_cmp_ne_u32_e64 s[6:7], 0, v9
	v_cndmask_b32_e64 v9, 0, v10, s[6:7]
	s_brev_b32 s11, 1
	v_and_or_b32 v8, v8, s11, v9
	v_lshlrev_b32_e32 v9, 24, v23
	v_and_b32_e32 v10, 0x7f000000, v9
	v_ffbh_u32_e32 v11, v10
	v_min_u32_e32 v11, 32, v11
	v_sub_u32_e64 v11, v11, 4 clamp
	v_lshlrev_b32_e32 v24, v11, v10
	v_lshrrev_b32_e32 v24, 4, v24
	v_lshlrev_b32_e32 v11, 23, v11
	v_add_u32_e32 v23, 0x1000000, v10
	v_sub_u32_e32 v11, v24, v11
	v_ashrrev_i32_e32 v23, 8, v23
	v_add_u32_e32 v11, 0x3c000000, v11
	v_and_or_b32 v11, v23, s10, v11
	v_cmp_ne_u32_e64 s[6:7], 0, v10
	v_cndmask_b32_e64 v10, 0, v11, s[6:7]
	v_and_or_b32 v9, v9, s11, v10
	v_cmp_eq_f32_e64 s[6:7], v8, v9
	v_cndmask_b32_e64 v10, 0, 1, s[6:7]
	v_cmp_neq_f32_e64 s[6:7], v8, v9
	v_cndmask_b32_e64 v8, 0, 1, s[6:7]
	v_cndmask_b32_e64 v8, v8, v10, s[4:5]
	v_mov_b32_e32 v9, 1
	v_and_b32_sdwa v8, v8, v9 dst_sel:BYTE_1 dst_unused:UNUSED_PAD src0_sel:DWORD src1_sel:DWORD
	v_or_b32_sdwa v6, v6, v8 dst_sel:WORD_1 dst_unused:UNUSED_PAD src0_sel:DWORD src1_sel:DWORD
	s_mov_b32 s6, 0xffff
	v_and_or_b32 v3, v3, s6, v6
.LBB266_56:
	s_or_b64 exec, exec, s[8:9]
	v_or_b32_e32 v6, 0xc00, v12
	v_cmp_lt_i32_e64 s[6:7], v6, v7
	s_and_saveexec_b64 s[8:9], s[6:7]
	s_cbranch_execz .LBB266_58
; %bb.57:
	s_waitcnt vmcnt(0) lgkmcnt(0)
	v_lshlrev_b32_e32 v8, 24, v22
	v_and_b32_e32 v9, 0x7f000000, v8
	v_ffbh_u32_e32 v10, v9
	v_min_u32_e32 v10, 32, v10
	v_sub_u32_e64 v10, v10, 4 clamp
	v_lshlrev_b32_e32 v22, v10, v9
	v_lshrrev_b32_e32 v22, 4, v22
	v_lshlrev_b32_e32 v10, 23, v10
	v_add_u32_e32 v11, 0x1000000, v9
	v_sub_u32_e32 v10, v22, v10
	v_ashrrev_i32_e32 v11, 8, v11
	v_add_u32_e32 v10, 0x3c000000, v10
	s_mov_b32 s10, 0x7f800000
	v_and_or_b32 v10, v11, s10, v10
	v_cmp_ne_u32_e64 s[6:7], 0, v9
	v_cndmask_b32_e64 v9, 0, v10, s[6:7]
	s_brev_b32 s11, 1
	v_and_or_b32 v8, v8, s11, v9
	v_lshlrev_b32_e32 v9, 24, v20
	v_and_b32_e32 v10, 0x7f000000, v9
	v_ffbh_u32_e32 v11, v10
	v_min_u32_e32 v11, 32, v11
	v_sub_u32_e64 v11, v11, 4 clamp
	v_lshlrev_b32_e32 v22, v11, v10
	v_lshrrev_b32_e32 v22, 4, v22
	v_lshlrev_b32_e32 v11, 23, v11
	v_add_u32_e32 v20, 0x1000000, v10
	v_sub_u32_e32 v11, v22, v11
	v_ashrrev_i32_e32 v20, 8, v20
	v_add_u32_e32 v11, 0x3c000000, v11
	v_and_or_b32 v11, v20, s10, v11
	v_cmp_ne_u32_e64 s[6:7], 0, v10
	v_cndmask_b32_e64 v10, 0, v11, s[6:7]
	v_and_or_b32 v9, v9, s11, v10
	v_cmp_eq_f32_e64 s[6:7], v8, v9
	v_cndmask_b32_e64 v10, 0, 1, s[6:7]
	v_cmp_neq_f32_e64 s[6:7], v8, v9
	v_cndmask_b32_e64 v8, 0, 1, s[6:7]
	v_cndmask_b32_e64 v8, v8, v10, s[4:5]
	v_and_b32_e32 v6, 0xffffff00, v0
	v_and_b32_e32 v8, 1, v8
	v_or_b32_e32 v6, v8, v6
	v_and_b32_e32 v6, 0xffff, v6
	s_mov_b32 s6, 0xffff0000
	v_and_or_b32 v0, v0, s6, v6
.LBB266_58:
	s_or_b64 exec, exec, s[8:9]
	v_add_u32_e32 v6, 0xd00, v12
	v_cmp_lt_i32_e64 s[6:7], v6, v7
	s_and_saveexec_b64 s[8:9], s[6:7]
	s_cbranch_execz .LBB266_60
; %bb.59:
	s_waitcnt vmcnt(0) lgkmcnt(0)
	v_lshlrev_b32_e32 v6, 24, v21
	v_and_b32_e32 v8, 0x7f000000, v6
	v_ffbh_u32_e32 v9, v8
	v_min_u32_e32 v9, 32, v9
	v_sub_u32_e64 v9, v9, 4 clamp
	v_lshlrev_b32_e32 v11, v9, v8
	v_lshrrev_b32_e32 v11, 4, v11
	v_lshlrev_b32_e32 v9, 23, v9
	v_add_u32_e32 v10, 0x1000000, v8
	v_sub_u32_e32 v9, v11, v9
	v_ashrrev_i32_e32 v10, 8, v10
	v_add_u32_e32 v9, 0x3c000000, v9
	s_mov_b32 s10, 0x7f800000
	v_and_or_b32 v9, v10, s10, v9
	v_cmp_ne_u32_e64 s[6:7], 0, v8
	v_cndmask_b32_e64 v8, 0, v9, s[6:7]
	s_brev_b32 s11, 1
	v_and_or_b32 v6, v6, s11, v8
	v_lshlrev_b32_e32 v8, 24, v19
	v_and_b32_e32 v9, 0x7f000000, v8
	v_ffbh_u32_e32 v10, v9
	v_min_u32_e32 v10, 32, v10
	v_sub_u32_e64 v10, v10, 4 clamp
	v_lshlrev_b32_e32 v19, v10, v9
	v_lshrrev_b32_e32 v19, 4, v19
	v_lshlrev_b32_e32 v10, 23, v10
	v_add_u32_e32 v11, 0x1000000, v9
	v_sub_u32_e32 v10, v19, v10
	v_ashrrev_i32_e32 v11, 8, v11
	v_add_u32_e32 v10, 0x3c000000, v10
	v_and_or_b32 v10, v11, s10, v10
	v_cmp_ne_u32_e64 s[6:7], 0, v9
	v_cndmask_b32_e64 v9, 0, v10, s[6:7]
	v_and_or_b32 v8, v8, s11, v9
	v_cmp_eq_f32_e64 s[6:7], v6, v8
	v_cndmask_b32_e64 v9, 0, 1, s[6:7]
	v_cmp_neq_f32_e64 s[6:7], v6, v8
	v_cndmask_b32_e64 v6, 0, 1, s[6:7]
	v_cndmask_b32_e64 v6, v6, v9, s[4:5]
	v_mov_b32_e32 v8, 1
	v_and_b32_sdwa v6, v6, v8 dst_sel:BYTE_1 dst_unused:UNUSED_PAD src0_sel:DWORD src1_sel:DWORD
	v_or_b32_sdwa v6, v0, v6 dst_sel:DWORD dst_unused:UNUSED_PAD src0_sel:BYTE_0 src1_sel:DWORD
	v_and_b32_e32 v6, 0xffff, v6
	s_mov_b32 s6, 0xffff0000
	v_and_or_b32 v0, v0, s6, v6
.LBB266_60:
	s_or_b64 exec, exec, s[8:9]
	v_add_u32_e32 v6, 0xe00, v12
	v_cmp_lt_i32_e64 s[6:7], v6, v7
	s_and_saveexec_b64 s[8:9], s[6:7]
	s_cbranch_execz .LBB266_62
; %bb.61:
	s_waitcnt vmcnt(0) lgkmcnt(0)
	v_lshlrev_b32_e32 v8, 24, v18
	v_and_b32_e32 v9, 0x7f000000, v8
	v_ffbh_u32_e32 v10, v9
	v_min_u32_e32 v10, 32, v10
	v_sub_u32_e64 v10, v10, 4 clamp
	v_lshlrev_b32_e32 v18, v10, v9
	v_lshrrev_b32_e32 v18, 4, v18
	v_lshlrev_b32_e32 v10, 23, v10
	v_add_u32_e32 v11, 0x1000000, v9
	v_sub_u32_e32 v10, v18, v10
	s_movk_i32 s6, 0xff00
	v_ashrrev_i32_e32 v11, 8, v11
	v_add_u32_e32 v10, 0x3c000000, v10
	s_mov_b32 s10, 0x7f800000
	v_and_b32_sdwa v6, v0, s6 dst_sel:DWORD dst_unused:UNUSED_PAD src0_sel:WORD_1 src1_sel:DWORD
	v_and_or_b32 v10, v11, s10, v10
	v_cmp_ne_u32_e64 s[6:7], 0, v9
	v_cndmask_b32_e64 v9, 0, v10, s[6:7]
	s_brev_b32 s11, 1
	v_and_or_b32 v8, v8, s11, v9
	v_lshlrev_b32_e32 v9, 24, v17
	v_and_b32_e32 v10, 0x7f000000, v9
	v_ffbh_u32_e32 v11, v10
	v_min_u32_e32 v11, 32, v11
	v_sub_u32_e64 v11, v11, 4 clamp
	v_lshlrev_b32_e32 v18, v11, v10
	v_lshrrev_b32_e32 v18, 4, v18
	v_lshlrev_b32_e32 v11, 23, v11
	v_add_u32_e32 v17, 0x1000000, v10
	v_sub_u32_e32 v11, v18, v11
	v_ashrrev_i32_e32 v17, 8, v17
	v_add_u32_e32 v11, 0x3c000000, v11
	v_and_or_b32 v11, v17, s10, v11
	v_cmp_ne_u32_e64 s[6:7], 0, v10
	v_cndmask_b32_e64 v10, 0, v11, s[6:7]
	v_and_or_b32 v9, v9, s11, v10
	v_cmp_eq_f32_e64 s[6:7], v8, v9
	v_cndmask_b32_e64 v10, 0, 1, s[6:7]
	v_cmp_neq_f32_e64 s[6:7], v8, v9
	v_cndmask_b32_e64 v8, 0, 1, s[6:7]
	v_cndmask_b32_e64 v8, v8, v10, s[4:5]
	v_and_b32_e32 v8, 1, v8
	v_or_b32_sdwa v6, v8, v6 dst_sel:WORD_1 dst_unused:UNUSED_PAD src0_sel:DWORD src1_sel:DWORD
	s_mov_b32 s6, 0xffff
	v_and_or_b32 v0, v0, s6, v6
.LBB266_62:
	s_or_b64 exec, exec, s[8:9]
	v_add_u32_e32 v6, 0xf00, v12
	v_cmp_lt_i32_e64 s[6:7], v6, v7
	s_and_saveexec_b64 s[8:9], s[6:7]
	s_cbranch_execnz .LBB266_80
; %bb.63:
	s_or_b64 exec, exec, s[8:9]
	s_and_saveexec_b64 s[4:5], vcc
	s_xor_b64 s[4:5], exec, s[4:5]
	s_cbranch_execnz .LBB266_81
.LBB266_64:
	s_or_b64 exec, exec, s[4:5]
	v_cmp_lt_i32_e32 vcc, v12, v7
	s_and_saveexec_b64 s[4:5], vcc
	s_cbranch_execnz .LBB266_82
.LBB266_65:
	s_or_b64 exec, exec, s[4:5]
	v_cmp_lt_i32_e32 vcc, v12, v7
	s_and_saveexec_b64 s[4:5], vcc
	s_cbranch_execnz .LBB266_83
.LBB266_66:
	s_or_b64 exec, exec, s[4:5]
	v_cmp_lt_i32_e32 vcc, v12, v7
	s_and_saveexec_b64 s[4:5], vcc
	s_cbranch_execnz .LBB266_84
.LBB266_67:
	s_or_b64 exec, exec, s[4:5]
	v_cmp_lt_i32_e32 vcc, v12, v7
	s_and_saveexec_b64 s[4:5], vcc
	s_cbranch_execnz .LBB266_85
.LBB266_68:
	s_or_b64 exec, exec, s[4:5]
	v_cmp_lt_i32_e32 vcc, v12, v7
	s_and_saveexec_b64 s[4:5], vcc
	s_cbranch_execnz .LBB266_86
.LBB266_69:
	s_or_b64 exec, exec, s[4:5]
	v_cmp_lt_i32_e32 vcc, v12, v7
	s_and_saveexec_b64 s[4:5], vcc
	s_cbranch_execnz .LBB266_87
.LBB266_70:
	s_or_b64 exec, exec, s[4:5]
	v_cmp_lt_i32_e32 vcc, v12, v7
	s_and_saveexec_b64 s[4:5], vcc
	s_cbranch_execnz .LBB266_88
.LBB266_71:
	s_or_b64 exec, exec, s[4:5]
	v_cmp_lt_i32_e32 vcc, v12, v7
	s_and_saveexec_b64 s[4:5], vcc
	s_cbranch_execnz .LBB266_89
.LBB266_72:
	s_or_b64 exec, exec, s[4:5]
	v_cmp_lt_i32_e32 vcc, v12, v7
	s_and_saveexec_b64 s[4:5], vcc
	s_cbranch_execnz .LBB266_90
.LBB266_73:
	s_or_b64 exec, exec, s[4:5]
	v_cmp_lt_i32_e32 vcc, v12, v7
	s_and_saveexec_b64 s[4:5], vcc
	s_cbranch_execnz .LBB266_91
.LBB266_74:
	s_or_b64 exec, exec, s[4:5]
	v_cmp_lt_i32_e32 vcc, v12, v7
	s_and_saveexec_b64 s[4:5], vcc
	s_cbranch_execnz .LBB266_92
.LBB266_75:
	s_or_b64 exec, exec, s[4:5]
	v_cmp_lt_i32_e32 vcc, v12, v7
	s_and_saveexec_b64 s[4:5], vcc
	s_cbranch_execnz .LBB266_93
.LBB266_76:
	s_or_b64 exec, exec, s[4:5]
	v_cmp_lt_i32_e32 vcc, v12, v7
	s_and_saveexec_b64 s[4:5], vcc
	s_cbranch_execnz .LBB266_94
.LBB266_77:
	s_or_b64 exec, exec, s[4:5]
	v_cmp_lt_i32_e32 vcc, v12, v7
	s_and_saveexec_b64 s[4:5], vcc
	s_cbranch_execnz .LBB266_95
.LBB266_78:
	s_or_b64 exec, exec, s[4:5]
	v_cmp_lt_i32_e32 vcc, v12, v7
	s_and_saveexec_b64 s[4:5], vcc
	s_cbranch_execnz .LBB266_96
.LBB266_79:
	s_or_b64 exec, exec, s[4:5]
	s_waitcnt vmcnt(0) lgkmcnt(0)
	s_setpc_b64 s[30:31]
.LBB266_80:
	v_and_b32_e32 v8, 0x7f000000, v16
	v_ffbh_u32_e32 v9, v8
	v_min_u32_e32 v9, 32, v9
	v_sub_u32_e64 v9, v9, 4 clamp
	v_lshlrev_b32_e32 v11, v9, v8
	v_lshrrev_b32_e32 v11, 4, v11
	v_lshlrev_b32_e32 v9, 23, v9
	v_add_u32_e32 v10, 0x1000000, v8
	v_sub_u32_e32 v9, v11, v9
	s_movk_i32 s6, 0xff
	v_ashrrev_i32_e32 v10, 8, v10
	v_add_u32_e32 v9, 0x3c000000, v9
	s_mov_b32 s10, 0x7f800000
	v_and_b32_sdwa v6, v0, s6 dst_sel:DWORD dst_unused:UNUSED_PAD src0_sel:WORD_1 src1_sel:DWORD
	v_and_or_b32 v9, v10, s10, v9
	v_cmp_ne_u32_e64 s[6:7], 0, v8
	v_cndmask_b32_e64 v8, 0, v9, s[6:7]
	v_and_b32_e32 v9, 0x7f000000, v15
	v_ffbh_u32_e32 v10, v9
	v_min_u32_e32 v10, 32, v10
	s_brev_b32 s11, 1
	v_sub_u32_e64 v10, v10, 4 clamp
	v_and_or_b32 v8, v16, s11, v8
	v_lshlrev_b32_e32 v16, v10, v9
	v_lshrrev_b32_e32 v16, 4, v16
	v_lshlrev_b32_e32 v10, 23, v10
	v_add_u32_e32 v11, 0x1000000, v9
	v_sub_u32_e32 v10, v16, v10
	v_ashrrev_i32_e32 v11, 8, v11
	v_add_u32_e32 v10, 0x3c000000, v10
	v_and_or_b32 v10, v11, s10, v10
	v_cmp_ne_u32_e64 s[6:7], 0, v9
	v_cndmask_b32_e64 v9, 0, v10, s[6:7]
	v_and_or_b32 v9, v15, s11, v9
	v_cmp_eq_f32_e64 s[6:7], v8, v9
	v_cndmask_b32_e64 v10, 0, 1, s[6:7]
	v_cmp_neq_f32_e64 s[6:7], v8, v9
	v_cndmask_b32_e64 v8, 0, 1, s[6:7]
	v_cndmask_b32_e64 v8, v8, v10, s[4:5]
	v_mov_b32_e32 v9, 1
	v_and_b32_sdwa v8, v8, v9 dst_sel:BYTE_1 dst_unused:UNUSED_PAD src0_sel:DWORD src1_sel:DWORD
	v_or_b32_sdwa v6, v6, v8 dst_sel:WORD_1 dst_unused:UNUSED_PAD src0_sel:DWORD src1_sel:DWORD
	s_mov_b32 s4, 0xffff
	v_and_or_b32 v0, v0, s4, v6
	s_or_b64 exec, exec, s[8:9]
	s_and_saveexec_b64 s[4:5], vcc
	s_xor_b64 s[4:5], exec, s[4:5]
	s_cbranch_execz .LBB266_64
.LBB266_81:
	v_add_co_u32_e32 v8, vcc, v1, v14
	v_addc_co_u32_e32 v9, vcc, 0, v2, vcc
	v_mov_b32_e32 v12, v5
	flat_store_byte v[8:9], v13
	s_or_b64 exec, exec, s[4:5]
	v_cmp_lt_i32_e32 vcc, v12, v7
	s_and_saveexec_b64 s[4:5], vcc
	s_cbranch_execz .LBB266_65
.LBB266_82:
	v_add_u32_e32 v5, s56, v12
	v_add_co_u32_e32 v5, vcc, v1, v5
	v_lshrrev_b32_e32 v8, 8, v13
	v_addc_co_u32_e32 v6, vcc, 0, v2, vcc
	v_add_u32_e32 v12, 0x100, v12
	flat_store_byte v[5:6], v8
	s_or_b64 exec, exec, s[4:5]
	v_cmp_lt_i32_e32 vcc, v12, v7
	s_and_saveexec_b64 s[4:5], vcc
	s_cbranch_execz .LBB266_66
.LBB266_83:
	v_add_u32_e32 v5, s56, v12
	v_add_co_u32_e32 v5, vcc, v1, v5
	v_addc_co_u32_e32 v6, vcc, 0, v2, vcc
	v_add_u32_e32 v12, 0x100, v12
	flat_store_byte_d16_hi v[5:6], v13
	s_or_b64 exec, exec, s[4:5]
	v_cmp_lt_i32_e32 vcc, v12, v7
	s_and_saveexec_b64 s[4:5], vcc
	s_cbranch_execz .LBB266_67
.LBB266_84:
	v_add_u32_e32 v5, s56, v12
	v_add_co_u32_e32 v5, vcc, v1, v5
	v_lshrrev_b32_e32 v8, 24, v13
	v_addc_co_u32_e32 v6, vcc, 0, v2, vcc
	v_add_u32_e32 v12, 0x100, v12
	flat_store_byte v[5:6], v8
	s_or_b64 exec, exec, s[4:5]
	v_cmp_lt_i32_e32 vcc, v12, v7
	s_and_saveexec_b64 s[4:5], vcc
	s_cbranch_execz .LBB266_68
.LBB266_85:
	v_add_u32_e32 v5, s56, v12
	v_add_co_u32_e32 v5, vcc, v1, v5
	v_addc_co_u32_e32 v6, vcc, 0, v2, vcc
	v_add_u32_e32 v12, 0x100, v12
	flat_store_byte v[5:6], v4
	s_or_b64 exec, exec, s[4:5]
	v_cmp_lt_i32_e32 vcc, v12, v7
	s_and_saveexec_b64 s[4:5], vcc
	s_cbranch_execz .LBB266_69
.LBB266_86:
	v_add_u32_e32 v5, s56, v12
	v_add_co_u32_e32 v5, vcc, v1, v5
	v_lshrrev_b32_e32 v8, 8, v4
	v_addc_co_u32_e32 v6, vcc, 0, v2, vcc
	v_add_u32_e32 v12, 0x100, v12
	flat_store_byte v[5:6], v8
	s_or_b64 exec, exec, s[4:5]
	v_cmp_lt_i32_e32 vcc, v12, v7
	s_and_saveexec_b64 s[4:5], vcc
	s_cbranch_execz .LBB266_70
.LBB266_87:
	v_add_u32_e32 v5, s56, v12
	v_add_co_u32_e32 v5, vcc, v1, v5
	v_addc_co_u32_e32 v6, vcc, 0, v2, vcc
	v_add_u32_e32 v12, 0x100, v12
	flat_store_byte_d16_hi v[5:6], v4
	s_or_b64 exec, exec, s[4:5]
	v_cmp_lt_i32_e32 vcc, v12, v7
	s_and_saveexec_b64 s[4:5], vcc
	s_cbranch_execz .LBB266_71
.LBB266_88:
	v_lshrrev_b32_e32 v6, 24, v4
	v_add_u32_e32 v4, s56, v12
	v_add_co_u32_e32 v4, vcc, v1, v4
	v_addc_co_u32_e32 v5, vcc, 0, v2, vcc
	v_add_u32_e32 v12, 0x100, v12
	flat_store_byte v[4:5], v6
	s_or_b64 exec, exec, s[4:5]
	v_cmp_lt_i32_e32 vcc, v12, v7
	s_and_saveexec_b64 s[4:5], vcc
	s_cbranch_execz .LBB266_72
.LBB266_89:
	v_add_u32_e32 v4, s56, v12
	v_add_co_u32_e32 v4, vcc, v1, v4
	v_addc_co_u32_e32 v5, vcc, 0, v2, vcc
	v_add_u32_e32 v12, 0x100, v12
	flat_store_byte v[4:5], v3
	s_or_b64 exec, exec, s[4:5]
	v_cmp_lt_i32_e32 vcc, v12, v7
	s_and_saveexec_b64 s[4:5], vcc
	s_cbranch_execz .LBB266_73
.LBB266_90:
	v_add_u32_e32 v4, s56, v12
	v_add_co_u32_e32 v4, vcc, v1, v4
	v_lshrrev_b32_e32 v6, 8, v3
	v_addc_co_u32_e32 v5, vcc, 0, v2, vcc
	v_add_u32_e32 v12, 0x100, v12
	flat_store_byte v[4:5], v6
	s_or_b64 exec, exec, s[4:5]
	v_cmp_lt_i32_e32 vcc, v12, v7
	s_and_saveexec_b64 s[4:5], vcc
	s_cbranch_execz .LBB266_74
.LBB266_91:
	v_add_u32_e32 v4, s56, v12
	v_add_co_u32_e32 v4, vcc, v1, v4
	v_addc_co_u32_e32 v5, vcc, 0, v2, vcc
	v_add_u32_e32 v12, 0x100, v12
	flat_store_byte_d16_hi v[4:5], v3
	s_or_b64 exec, exec, s[4:5]
	v_cmp_lt_i32_e32 vcc, v12, v7
	s_and_saveexec_b64 s[4:5], vcc
	s_cbranch_execz .LBB266_75
.LBB266_92:
	v_lshrrev_b32_e32 v5, 24, v3
	v_add_u32_e32 v3, s56, v12
	v_add_co_u32_e32 v3, vcc, v1, v3
	v_addc_co_u32_e32 v4, vcc, 0, v2, vcc
	v_add_u32_e32 v12, 0x100, v12
	flat_store_byte v[3:4], v5
	s_or_b64 exec, exec, s[4:5]
	v_cmp_lt_i32_e32 vcc, v12, v7
	s_and_saveexec_b64 s[4:5], vcc
	s_cbranch_execz .LBB266_76
.LBB266_93:
	v_add_u32_e32 v3, s56, v12
	v_add_co_u32_e32 v3, vcc, v1, v3
	v_addc_co_u32_e32 v4, vcc, 0, v2, vcc
	v_add_u32_e32 v12, 0x100, v12
	flat_store_byte v[3:4], v0
	s_or_b64 exec, exec, s[4:5]
	v_cmp_lt_i32_e32 vcc, v12, v7
	s_and_saveexec_b64 s[4:5], vcc
	s_cbranch_execz .LBB266_77
.LBB266_94:
	v_add_u32_e32 v3, s56, v12
	v_add_co_u32_e32 v3, vcc, v1, v3
	v_lshrrev_b32_e32 v5, 8, v0
	v_addc_co_u32_e32 v4, vcc, 0, v2, vcc
	v_add_u32_e32 v12, 0x100, v12
	flat_store_byte v[3:4], v5
	s_or_b64 exec, exec, s[4:5]
	v_cmp_lt_i32_e32 vcc, v12, v7
	s_and_saveexec_b64 s[4:5], vcc
	s_cbranch_execz .LBB266_78
.LBB266_95:
	v_add_u32_e32 v3, s56, v12
	v_add_co_u32_e32 v3, vcc, v1, v3
	v_addc_co_u32_e32 v4, vcc, 0, v2, vcc
	v_add_u32_e32 v12, 0x100, v12
	flat_store_byte_d16_hi v[3:4], v0
	s_or_b64 exec, exec, s[4:5]
	v_cmp_lt_i32_e32 vcc, v12, v7
	s_and_saveexec_b64 s[4:5], vcc
	s_cbranch_execz .LBB266_79
.LBB266_96:
	v_lshrrev_b32_e32 v3, 24, v0
	v_add_u32_e32 v0, s56, v12
	v_add_co_u32_e32 v0, vcc, v1, v0
	v_addc_co_u32_e32 v1, vcc, 0, v2, vcc
	flat_store_byte v[0:1], v3
	s_or_b64 exec, exec, s[4:5]
	s_waitcnt vmcnt(0) lgkmcnt(0)
	s_setpc_b64 s[30:31]
.Lfunc_end266:
	.size	_ZN2at6native25elementwise_kernel_helperILb0ENS0_13BinaryFunctorIN3c1013Float8_e4m3fnES4_bNS0_12_GLOBAL__N_116CompareEqFunctorIS4_EEEENS0_6memory8policies11unroll_baseILi256ESt5arrayIPcLm3EE23TrivialOffsetCalculatorILi2EjESF_ILi1EjENS9_15LoadWithoutCastENS9_16StoreWithoutCastELi16ELi1EEEEEvT0_T1_, .Lfunc_end266-_ZN2at6native25elementwise_kernel_helperILb0ENS0_13BinaryFunctorIN3c1013Float8_e4m3fnES4_bNS0_12_GLOBAL__N_116CompareEqFunctorIS4_EEEENS0_6memory8policies11unroll_baseILi256ESt5arrayIPcLm3EE23TrivialOffsetCalculatorILi2EjESF_ILi1EjENS9_15LoadWithoutCastENS9_16StoreWithoutCastELi16ELi1EEEEEvT0_T1_
                                        ; -- End function
	.set .L_ZN2at6native25elementwise_kernel_helperILb0ENS0_13BinaryFunctorIN3c1013Float8_e4m3fnES4_bNS0_12_GLOBAL__N_116CompareEqFunctorIS4_EEEENS0_6memory8policies11unroll_baseILi256ESt5arrayIPcLm3EE23TrivialOffsetCalculatorILi2EjESF_ILi1EjENS9_15LoadWithoutCastENS9_16StoreWithoutCastELi16ELi1EEEEEvT0_T1_.num_vgpr, 55
	.set .L_ZN2at6native25elementwise_kernel_helperILb0ENS0_13BinaryFunctorIN3c1013Float8_e4m3fnES4_bNS0_12_GLOBAL__N_116CompareEqFunctorIS4_EEEENS0_6memory8policies11unroll_baseILi256ESt5arrayIPcLm3EE23TrivialOffsetCalculatorILi2EjESF_ILi1EjENS9_15LoadWithoutCastENS9_16StoreWithoutCastELi16ELi1EEEEEvT0_T1_.num_agpr, 0
	.set .L_ZN2at6native25elementwise_kernel_helperILb0ENS0_13BinaryFunctorIN3c1013Float8_e4m3fnES4_bNS0_12_GLOBAL__N_116CompareEqFunctorIS4_EEEENS0_6memory8policies11unroll_baseILi256ESt5arrayIPcLm3EE23TrivialOffsetCalculatorILi2EjESF_ILi1EjENS9_15LoadWithoutCastENS9_16StoreWithoutCastELi16ELi1EEEEEvT0_T1_.numbered_sgpr, 57
	.set .L_ZN2at6native25elementwise_kernel_helperILb0ENS0_13BinaryFunctorIN3c1013Float8_e4m3fnES4_bNS0_12_GLOBAL__N_116CompareEqFunctorIS4_EEEENS0_6memory8policies11unroll_baseILi256ESt5arrayIPcLm3EE23TrivialOffsetCalculatorILi2EjESF_ILi1EjENS9_15LoadWithoutCastENS9_16StoreWithoutCastELi16ELi1EEEEEvT0_T1_.num_named_barrier, 0
	.set .L_ZN2at6native25elementwise_kernel_helperILb0ENS0_13BinaryFunctorIN3c1013Float8_e4m3fnES4_bNS0_12_GLOBAL__N_116CompareEqFunctorIS4_EEEENS0_6memory8policies11unroll_baseILi256ESt5arrayIPcLm3EE23TrivialOffsetCalculatorILi2EjESF_ILi1EjENS9_15LoadWithoutCastENS9_16StoreWithoutCastELi16ELi1EEEEEvT0_T1_.private_seg_size, 0
	.set .L_ZN2at6native25elementwise_kernel_helperILb0ENS0_13BinaryFunctorIN3c1013Float8_e4m3fnES4_bNS0_12_GLOBAL__N_116CompareEqFunctorIS4_EEEENS0_6memory8policies11unroll_baseILi256ESt5arrayIPcLm3EE23TrivialOffsetCalculatorILi2EjESF_ILi1EjENS9_15LoadWithoutCastENS9_16StoreWithoutCastELi16ELi1EEEEEvT0_T1_.uses_vcc, 1
	.set .L_ZN2at6native25elementwise_kernel_helperILb0ENS0_13BinaryFunctorIN3c1013Float8_e4m3fnES4_bNS0_12_GLOBAL__N_116CompareEqFunctorIS4_EEEENS0_6memory8policies11unroll_baseILi256ESt5arrayIPcLm3EE23TrivialOffsetCalculatorILi2EjESF_ILi1EjENS9_15LoadWithoutCastENS9_16StoreWithoutCastELi16ELi1EEEEEvT0_T1_.uses_flat_scratch, 0
	.set .L_ZN2at6native25elementwise_kernel_helperILb0ENS0_13BinaryFunctorIN3c1013Float8_e4m3fnES4_bNS0_12_GLOBAL__N_116CompareEqFunctorIS4_EEEENS0_6memory8policies11unroll_baseILi256ESt5arrayIPcLm3EE23TrivialOffsetCalculatorILi2EjESF_ILi1EjENS9_15LoadWithoutCastENS9_16StoreWithoutCastELi16ELi1EEEEEvT0_T1_.has_dyn_sized_stack, 0
	.set .L_ZN2at6native25elementwise_kernel_helperILb0ENS0_13BinaryFunctorIN3c1013Float8_e4m3fnES4_bNS0_12_GLOBAL__N_116CompareEqFunctorIS4_EEEENS0_6memory8policies11unroll_baseILi256ESt5arrayIPcLm3EE23TrivialOffsetCalculatorILi2EjESF_ILi1EjENS9_15LoadWithoutCastENS9_16StoreWithoutCastELi16ELi1EEEEEvT0_T1_.has_recursion, 0
	.set .L_ZN2at6native25elementwise_kernel_helperILb0ENS0_13BinaryFunctorIN3c1013Float8_e4m3fnES4_bNS0_12_GLOBAL__N_116CompareEqFunctorIS4_EEEENS0_6memory8policies11unroll_baseILi256ESt5arrayIPcLm3EE23TrivialOffsetCalculatorILi2EjESF_ILi1EjENS9_15LoadWithoutCastENS9_16StoreWithoutCastELi16ELi1EEEEEvT0_T1_.has_indirect_call, 0
	.section	.AMDGPU.csdata,"",@progbits
; Function info:
; codeLenInByte = 8068
; TotalNumSgprs: 61
; NumVgprs: 55
; ScratchSize: 0
; MemoryBound: 0
	.section	.text._ZN2at6native29vectorized_elementwise_kernelILi16ENS0_13BinaryFunctorIN3c1013Float8_e4m3fnES4_bNS0_12_GLOBAL__N_116CompareEqFunctorIS4_EEEESt5arrayIPcLm3EEEEviT0_T1_,"axG",@progbits,_ZN2at6native29vectorized_elementwise_kernelILi16ENS0_13BinaryFunctorIN3c1013Float8_e4m3fnES4_bNS0_12_GLOBAL__N_116CompareEqFunctorIS4_EEEESt5arrayIPcLm3EEEEviT0_T1_,comdat
	.globl	_ZN2at6native29vectorized_elementwise_kernelILi16ENS0_13BinaryFunctorIN3c1013Float8_e4m3fnES4_bNS0_12_GLOBAL__N_116CompareEqFunctorIS4_EEEESt5arrayIPcLm3EEEEviT0_T1_ ; -- Begin function _ZN2at6native29vectorized_elementwise_kernelILi16ENS0_13BinaryFunctorIN3c1013Float8_e4m3fnES4_bNS0_12_GLOBAL__N_116CompareEqFunctorIS4_EEEESt5arrayIPcLm3EEEEviT0_T1_
	.p2align	8
	.type	_ZN2at6native29vectorized_elementwise_kernelILi16ENS0_13BinaryFunctorIN3c1013Float8_e4m3fnES4_bNS0_12_GLOBAL__N_116CompareEqFunctorIS4_EEEESt5arrayIPcLm3EEEEviT0_T1_,@function
_ZN2at6native29vectorized_elementwise_kernelILi16ENS0_13BinaryFunctorIN3c1013Float8_e4m3fnES4_bNS0_12_GLOBAL__N_116CompareEqFunctorIS4_EEEESt5arrayIPcLm3EEEEviT0_T1_: ; @_ZN2at6native29vectorized_elementwise_kernelILi16ENS0_13BinaryFunctorIN3c1013Float8_e4m3fnES4_bNS0_12_GLOBAL__N_116CompareEqFunctorIS4_EEEESt5arrayIPcLm3EEEEviT0_T1_
; %bb.0:
	s_load_dwordx2 s[28:29], s[4:5], 0x0
	s_load_dwordx4 s[24:27], s[4:5], 0x8
	s_load_dwordx2 s[22:23], s[4:5], 0x18
	s_add_u32 s0, s0, s7
	s_addc_u32 s1, s1, 0
	s_lshl_b32 s30, s6, 12
	s_waitcnt lgkmcnt(0)
	s_sub_i32 s13, s28, s30
	s_mov_b32 s12, s6
	s_cmpk_gt_i32 s13, 0xfff
	s_mov_b64 s[4:5], -1
	s_mov_b32 s32, 0
	s_cbranch_scc1 .LBB267_3
; %bb.1:
	s_andn2_b64 vcc, exec, s[4:5]
	s_cbranch_vccz .LBB267_4
.LBB267_2:
	s_endpgm
.LBB267_3:
	s_ashr_i32 s28, s30, 31
	s_add_u32 s4, s26, s30
	s_addc_u32 s5, s27, s28
	v_lshlrev_b32_e32 v9, 4, v0
	global_load_dwordx4 v[5:8], v9, s[4:5]
	s_add_u32 s4, s22, s30
	s_addc_u32 s5, s23, s28
	global_load_dwordx4 v[1:4], v9, s[4:5]
	s_mov_b32 s31, 0x7f800000
	s_cmp_eq_u32 s29, 0
	s_waitcnt vmcnt(1)
	v_and_b32_e32 v13, 0x7f000000, v5
	v_lshlrev_b32_e32 v11, 24, v5
	v_ffbh_u32_e32 v16, v13
	v_and_b32_e32 v15, 0x7f000000, v11
	v_min_u32_e32 v16, 32, v16
	v_lshlrev_b32_e32 v12, 8, v5
	v_ffbh_u32_e32 v17, v15
	v_sub_u32_e64 v16, v16, 4 clamp
	v_and_b32_e32 v14, 0x7f000000, v12
	v_min_u32_e32 v17, 32, v17
	v_lshlrev_b32_e32 v19, v16, v13
	v_ffbh_u32_e32 v18, v14
	v_sub_u32_e64 v17, v17, 4 clamp
	v_lshlrev_b32_e32 v16, 23, v16
	v_lshrrev_b32_e32 v19, 4, v19
	v_min_u32_e32 v18, 32, v18
	v_sub_u32_e32 v16, v19, v16
	v_lshlrev_b32_e32 v19, v17, v15
	v_sub_u32_e64 v18, v18, 4 clamp
	v_lshlrev_b32_e32 v17, 23, v17
	v_lshrrev_b32_e32 v19, 4, v19
	v_lshrrev_b16_e32 v10, 8, v5
	v_sub_u32_e32 v17, v19, v17
	v_lshlrev_b32_e32 v19, v18, v14
	v_lshlrev_b32_e32 v10, 24, v10
	;; [unrolled: 1-line block ×3, first 2 shown]
	v_lshrrev_b32_e32 v19, 4, v19
	v_sub_u32_e32 v18, v19, v18
	v_and_b32_e32 v19, 0x7f000000, v10
	v_ffbh_u32_e32 v20, v19
	v_min_u32_e32 v20, 32, v20
	v_sub_u32_e64 v20, v20, 4 clamp
	v_lshlrev_b32_e32 v21, v20, v19
	v_lshlrev_b32_e32 v20, 23, v20
	v_lshrrev_b32_e32 v21, 4, v21
	v_sub_u32_e32 v20, v21, v20
	v_add_u32_e32 v21, 0x1000000, v13
	v_cmp_ne_u32_e32 vcc, 0, v13
	v_add_u32_e32 v13, 0x1000000, v15
	v_ashrrev_i32_e32 v13, 8, v13
	v_add_u32_e32 v17, 0x3c000000, v17
	v_and_or_b32 v13, v13, s31, v17
	v_add_u32_e32 v17, 0x1000000, v14
	v_cmp_ne_u32_e64 s[4:5], 0, v14
	s_waitcnt vmcnt(0)
	v_lshlrev_b32_e32 v14, 24, v1
	v_ashrrev_i32_e32 v17, 8, v17
	v_add_u32_e32 v18, 0x3c000000, v18
	v_cmp_ne_u32_e64 s[6:7], 0, v15
	v_and_b32_e32 v15, 0x7f000000, v14
	v_and_or_b32 v17, v17, s31, v18
	v_ffbh_u32_e32 v18, v15
	v_min_u32_e32 v18, 32, v18
	v_ashrrev_i32_e32 v21, 8, v21
	v_add_u32_e32 v16, 0x3c000000, v16
	v_sub_u32_e64 v18, v18, 4 clamp
	v_and_or_b32 v16, v21, s31, v16
	v_lshlrev_b32_e32 v21, v18, v15
	v_lshlrev_b32_e32 v18, 23, v18
	v_lshrrev_b32_e32 v21, 4, v21
	v_sub_u32_e32 v18, v21, v18
	v_lshlrev_b32_e32 v21, 8, v1
	v_and_b32_e32 v22, 0x7f000000, v21
	v_ffbh_u32_e32 v23, v22
	v_min_u32_e32 v23, 32, v23
	v_sub_u32_e64 v23, v23, 4 clamp
	v_lshlrev_b32_e32 v24, v23, v22
	v_lshlrev_b32_e32 v23, 23, v23
	v_lshrrev_b32_e32 v24, 4, v24
	v_sub_u32_e32 v23, v24, v23
	v_add_u32_e32 v24, 0x1000000, v19
	v_cmp_ne_u32_e64 s[8:9], 0, v19
	v_lshrrev_b16_e32 v19, 8, v1
	v_ashrrev_i32_e32 v24, 8, v24
	v_add_u32_e32 v20, 0x3c000000, v20
	v_lshlrev_b32_e32 v19, 24, v19
	v_and_or_b32 v20, v24, s31, v20
	v_and_b32_e32 v24, 0x7f000000, v19
	v_ffbh_u32_e32 v25, v24
	v_min_u32_e32 v25, 32, v25
	v_sub_u32_e64 v25, v25, 4 clamp
	v_lshlrev_b32_e32 v26, v25, v24
	v_lshlrev_b32_e32 v25, 23, v25
	v_lshrrev_b32_e32 v26, 4, v26
	v_sub_u32_e32 v25, v26, v25
	v_and_b32_e32 v26, 0x7f000000, v1
	v_ffbh_u32_e32 v27, v26
	v_min_u32_e32 v27, 32, v27
	v_sub_u32_e64 v27, v27, 4 clamp
	v_lshlrev_b32_e32 v28, v27, v26
	v_lshrrev_b32_e32 v28, 4, v28
	v_lshlrev_b32_e32 v27, 23, v27
	v_sub_u32_e32 v27, v28, v27
	v_add_u32_e32 v28, 0x1000000, v24
	v_ashrrev_i32_e32 v28, 8, v28
	v_add_u32_e32 v25, 0x3c000000, v25
	v_and_or_b32 v25, v28, s31, v25
	v_add_u32_e32 v28, 0x1000000, v15
	v_ashrrev_i32_e32 v28, 8, v28
	v_add_u32_e32 v18, 0x3c000000, v18
	v_and_or_b32 v18, v28, s31, v18
	;; [unrolled: 4-line block ×3, first 2 shown]
	v_add_u32_e32 v28, 0x1000000, v26
	v_ashrrev_i32_e32 v28, 8, v28
	v_add_u32_e32 v27, 0x3c000000, v27
	v_cmp_ne_u32_e64 s[14:15], 0, v15
	v_and_or_b32 v27, v28, s31, v27
	v_and_b32_e32 v14, 0x80000000, v14
	v_cndmask_b32_e64 v18, 0, v18, s[14:15]
	v_and_b32_e32 v11, 0x80000000, v11
	v_cndmask_b32_e64 v13, 0, v13, s[6:7]
	v_cmp_ne_u32_e64 s[6:7], 0, v26
	v_cmp_ne_u32_e64 s[10:11], 0, v22
	v_or_b32_e32 v14, v18, v14
	v_and_b32_e32 v10, 0x80000000, v10
	v_cndmask_b32_e64 v18, 0, v20, s[8:9]
	v_or_b32_e32 v11, v13, v11
	v_cndmask_b32_e64 v13, 0, v27, s[6:7]
	v_and_b32_e32 v1, 0x80000000, v1
	v_or_b32_e32 v10, v18, v10
	v_or_b32_e32 v1, v13, v1
	v_and_b32_e32 v13, 0x80000000, v21
	v_cndmask_b32_e64 v18, 0, v23, s[10:11]
	v_and_b32_e32 v5, 0x80000000, v5
	v_cndmask_b32_e32 v16, 0, v16, vcc
	v_and_b32_e32 v12, 0x80000000, v12
	v_cndmask_b32_e64 v17, 0, v17, s[4:5]
	v_cmp_ne_u32_e64 s[16:17], 0, v24
	v_or_b32_e32 v13, v18, v13
	v_or_b32_e32 v5, v16, v5
	;; [unrolled: 1-line block ×3, first 2 shown]
	v_and_b32_e32 v15, 0x80000000, v19
	v_cndmask_b32_e64 v19, 0, v25, s[16:17]
	v_cmp_eq_f32_e32 vcc, v5, v1
	v_cmp_eq_f32_e64 s[4:5], v12, v13
	v_or_b32_e32 v15, v19, v15
	v_cndmask_b32_e64 v17, 0, 1, vcc
	v_cmp_neq_f32_e32 vcc, v5, v1
	v_cndmask_b32_e64 v5, 0, 1, s[4:5]
	v_cmp_neq_f32_e64 s[4:5], v12, v13
	v_cndmask_b32_e64 v1, 0, 1, vcc
	s_cselect_b64 vcc, -1, 0
	v_cndmask_b32_e64 v12, 0, 1, s[4:5]
	v_cmp_eq_f32_e64 s[4:5], v10, v15
	v_cndmask_b32_e32 v12, v12, v5, vcc
	v_cndmask_b32_e64 v5, 0, 1, s[4:5]
	v_cmp_neq_f32_e64 s[4:5], v10, v15
	v_cndmask_b32_e64 v10, 0, 1, s[4:5]
	v_cmp_eq_f32_e64 s[4:5], v11, v14
	v_cndmask_b32_e32 v10, v10, v5, vcc
	v_cndmask_b32_e64 v5, 0, 1, s[4:5]
	v_cmp_neq_f32_e64 s[4:5], v11, v14
	v_cndmask_b32_e64 v11, 0, 1, s[4:5]
	v_cndmask_b32_e32 v5, v11, v5, vcc
	v_and_b32_e32 v11, 1, v5
	v_mov_b32_e32 v5, 1
	v_lshrrev_b16_e32 v16, 8, v6
	v_and_b32_sdwa v10, v10, v5 dst_sel:BYTE_1 dst_unused:UNUSED_PAD src0_sel:DWORD src1_sel:DWORD
	v_and_b32_e32 v13, 0x7f000000, v6
	v_or_b32_e32 v10, v11, v10
	v_and_b32_e32 v11, 1, v12
	v_lshlrev_b32_e32 v12, 24, v16
	v_ffbh_u32_e32 v16, v13
	v_min_u32_e32 v16, 32, v16
	v_sub_u32_e64 v16, v16, 4 clamp
	v_cndmask_b32_e32 v1, v1, v17, vcc
	v_lshlrev_b32_e32 v17, v16, v13
	v_and_b32_e32 v15, 0x7f000000, v2
	v_lshrrev_b32_e32 v17, 4, v17
	v_lshlrev_b32_e32 v16, 23, v16
	v_sub_u32_e32 v16, v17, v16
	v_add_u32_e32 v17, 0x1000000, v13
	v_cmp_ne_u32_e64 s[4:5], 0, v13
	v_ffbh_u32_e32 v13, v15
	v_min_u32_e32 v13, 32, v13
	v_ashrrev_i32_e32 v17, 8, v17
	v_add_u32_e32 v16, 0x3c000000, v16
	v_sub_u32_e64 v13, v13, 4 clamp
	v_and_or_b32 v16, v17, s31, v16
	v_lshlrev_b32_e32 v17, v13, v15
	v_lshrrev_b32_e32 v17, 4, v17
	v_lshlrev_b32_e32 v13, 23, v13
	v_sub_u32_e32 v13, v17, v13
	v_add_u32_e32 v17, 0x1000000, v15
	v_ashrrev_i32_e32 v17, 8, v17
	v_add_u32_e32 v13, 0x3c000000, v13
	v_and_or_b32 v13, v17, s31, v13
	v_cmp_ne_u32_e64 s[6:7], 0, v15
	v_and_b32_e32 v15, 0x80000000, v2
	v_cndmask_b32_e64 v13, 0, v13, s[6:7]
	v_and_b32_sdwa v1, v1, v5 dst_sel:BYTE_1 dst_unused:UNUSED_PAD src0_sel:DWORD src1_sel:DWORD
	v_or_b32_e32 v13, v13, v15
	v_and_b32_e32 v15, 0x80000000, v6
	v_cndmask_b32_e64 v16, 0, v16, s[4:5]
	v_or_b32_sdwa v1, v11, v1 dst_sel:WORD_1 dst_unused:UNUSED_PAD src0_sel:DWORD src1_sel:DWORD
	v_lshlrev_b32_e32 v11, 24, v6
	v_and_b32_e32 v14, 0x7f000000, v12
	v_or_b32_e32 v15, v16, v15
	v_and_b32_e32 v17, 0x7f000000, v11
	v_cmp_eq_f32_e64 s[6:7], v15, v13
	v_cmp_neq_f32_e64 s[4:5], v15, v13
	v_ffbh_u32_e32 v13, v14
	v_ffbh_u32_e32 v16, v17
	v_min_u32_e32 v13, 32, v13
	v_min_u32_e32 v16, 32, v16
	v_sub_u32_e64 v13, v13, 4 clamp
	v_sub_u32_e64 v15, v16, 4 clamp
	v_lshlrev_b32_e32 v16, v13, v14
	v_lshrrev_b32_e32 v16, 4, v16
	v_lshlrev_b32_e32 v13, 23, v13
	v_sub_u32_e32 v13, v16, v13
	v_lshlrev_b32_e32 v16, v15, v17
	v_lshrrev_b32_e32 v16, 4, v16
	v_lshlrev_b32_e32 v15, 23, v15
	v_lshlrev_b32_e32 v6, 8, v6
	v_sub_u32_e32 v15, v16, v15
	v_and_b32_e32 v16, 0x7f000000, v6
	v_ffbh_u32_e32 v18, v16
	v_min_u32_e32 v18, 32, v18
	v_sub_u32_e64 v18, v18, 4 clamp
	v_lshlrev_b32_e32 v19, v18, v16
	v_lshrrev_b32_e32 v19, 4, v19
	v_lshlrev_b32_e32 v18, 23, v18
	v_sub_u32_e32 v18, v19, v18
	v_add_u32_e32 v19, 0x1000000, v14
	v_ashrrev_i32_e32 v19, 8, v19
	v_add_u32_e32 v13, 0x3c000000, v13
	v_and_or_b32 v13, v19, s31, v13
	v_add_u32_e32 v19, 0x1000000, v17
	v_cmp_ne_u32_e64 s[14:15], 0, v14
	v_lshrrev_b16_e32 v14, 8, v2
	v_ashrrev_i32_e32 v19, 8, v19
	v_add_u32_e32 v15, 0x3c000000, v15
	v_lshlrev_b32_e32 v14, 24, v14
	v_and_or_b32 v15, v19, s31, v15
	v_add_u32_e32 v19, 0x1000000, v16
	v_cmp_ne_u32_e64 s[8:9], 0, v16
	v_and_b32_e32 v16, 0x7f000000, v14
	v_cmp_ne_u32_e64 s[10:11], 0, v17
	v_ffbh_u32_e32 v17, v16
	v_min_u32_e32 v17, 32, v17
	v_ashrrev_i32_e32 v19, 8, v19
	v_add_u32_e32 v18, 0x3c000000, v18
	v_sub_u32_e64 v17, v17, 4 clamp
	v_and_or_b32 v18, v19, s31, v18
	v_lshlrev_b32_e32 v19, v17, v16
	v_lshrrev_b32_e32 v19, 4, v19
	v_lshlrev_b32_e32 v17, 23, v17
	v_sub_u32_e32 v17, v19, v17
	v_lshlrev_b32_e32 v19, 24, v2
	v_and_b32_e32 v20, 0x7f000000, v19
	v_ffbh_u32_e32 v21, v20
	v_min_u32_e32 v21, 32, v21
	v_sub_u32_e64 v21, v21, 4 clamp
	v_lshlrev_b32_e32 v22, v21, v20
	v_lshrrev_b32_e32 v22, 4, v22
	v_lshlrev_b32_e32 v21, 23, v21
	v_lshlrev_b32_e32 v2, 8, v2
	v_sub_u32_e32 v21, v22, v21
	v_and_b32_e32 v22, 0x7f000000, v2
	v_ffbh_u32_e32 v23, v22
	v_min_u32_e32 v23, 32, v23
	v_sub_u32_e64 v23, v23, 4 clamp
	v_lshlrev_b32_e32 v24, v23, v22
	v_lshrrev_b32_e32 v24, 4, v24
	v_lshlrev_b32_e32 v23, 23, v23
	v_sub_u32_e32 v23, v24, v23
	v_add_u32_e32 v24, 0x1000000, v16
	v_ashrrev_i32_e32 v24, 8, v24
	v_add_u32_e32 v17, 0x3c000000, v17
	v_and_or_b32 v17, v24, s31, v17
	v_add_u32_e32 v24, 0x1000000, v20
	v_ashrrev_i32_e32 v24, 8, v24
	v_add_u32_e32 v21, 0x3c000000, v21
	v_and_or_b32 v21, v24, s31, v21
	v_add_u32_e32 v24, 0x1000000, v22
	v_ashrrev_i32_e32 v24, 8, v24
	v_add_u32_e32 v23, 0x3c000000, v23
	v_and_b32_e32 v12, 0x80000000, v12
	v_cndmask_b32_e64 v13, 0, v13, s[14:15]
	v_and_or_b32 v23, v24, s31, v23
	v_cmp_ne_u32_e64 s[16:17], 0, v22
	v_or_b32_e32 v12, v13, v12
	v_and_b32_e32 v11, 0x80000000, v11
	v_cndmask_b32_e64 v13, 0, v15, s[10:11]
	v_or_b32_e32 v11, v13, v11
	v_and_b32_e32 v2, 0x80000000, v2
	v_cndmask_b32_e64 v13, 0, v23, s[16:17]
	v_cmp_ne_u32_e64 s[20:21], 0, v16
	v_or_b32_e32 v2, v13, v2
	v_and_b32_e32 v6, 0x80000000, v6
	v_cndmask_b32_e64 v13, 0, v18, s[8:9]
	v_cmp_ne_u32_e64 s[18:19], 0, v20
	v_and_b32_e32 v14, 0x80000000, v14
	v_cndmask_b32_e64 v16, 0, v17, s[20:21]
	v_or_b32_e32 v6, v13, v6
	v_or_b32_e32 v14, v16, v14
	v_and_b32_e32 v16, 0x80000000, v19
	v_cndmask_b32_e64 v17, 0, v21, s[18:19]
	v_cndmask_b32_e64 v13, 0, 1, s[6:7]
	;; [unrolled: 1-line block ×3, first 2 shown]
	v_cmp_neq_f32_e64 s[4:5], v6, v2
	v_cmp_eq_f32_e64 s[6:7], v6, v2
	v_or_b32_e32 v16, v17, v16
	v_cndmask_b32_e64 v2, 0, 1, s[6:7]
	v_cndmask_b32_e64 v6, 0, 1, s[4:5]
	v_cmp_neq_f32_e64 s[4:5], v12, v14
	v_cmp_eq_f32_e64 s[6:7], v12, v14
	v_cndmask_b32_e64 v12, 0, 1, s[6:7]
	v_cndmask_b32_e64 v14, 0, 1, s[4:5]
	v_cmp_eq_f32_e64 s[4:5], v11, v16
	v_cndmask_b32_e32 v12, v14, v12, vcc
	v_cndmask_b32_e64 v14, 0, 1, s[4:5]
	v_cmp_neq_f32_e64 s[4:5], v11, v16
	v_cndmask_b32_e64 v11, 0, 1, s[4:5]
	v_cndmask_b32_e32 v11, v11, v14, vcc
	v_cndmask_b32_e32 v13, v15, v13, vcc
	;; [unrolled: 1-line block ×3, first 2 shown]
	v_lshrrev_b16_e32 v6, 8, v7
	v_or_b32_sdwa v1, v10, v1 dst_sel:DWORD dst_unused:UNUSED_PAD src0_sel:WORD_0 src1_sel:DWORD
	v_and_b32_e32 v10, 1, v11
	v_and_b32_sdwa v11, v12, v5 dst_sel:BYTE_1 dst_unused:UNUSED_PAD src0_sel:DWORD src1_sel:DWORD
	v_or_b32_e32 v10, v10, v11
	v_and_b32_e32 v2, 1, v2
	v_and_b32_sdwa v11, v13, v5 dst_sel:BYTE_1 dst_unused:UNUSED_PAD src0_sel:DWORD src1_sel:DWORD
	v_lshlrev_b32_e32 v6, 24, v6
	v_or_b32_sdwa v2, v2, v11 dst_sel:WORD_1 dst_unused:UNUSED_PAD src0_sel:DWORD src1_sel:DWORD
	v_and_b32_e32 v11, 0x7f000000, v6
	v_ffbh_u32_e32 v12, v11
	v_min_u32_e32 v12, 32, v12
	v_sub_u32_e64 v12, v12, 4 clamp
	v_lshlrev_b32_e32 v13, v12, v11
	v_or_b32_sdwa v2, v10, v2 dst_sel:DWORD dst_unused:UNUSED_PAD src0_sel:WORD_0 src1_sel:DWORD
	v_and_b32_e32 v10, 0x7f000000, v7
	v_lshrrev_b32_e32 v13, 4, v13
	v_lshlrev_b32_e32 v12, 23, v12
	v_sub_u32_e32 v12, v13, v12
	v_ffbh_u32_e32 v13, v10
	v_min_u32_e32 v13, 32, v13
	v_sub_u32_e64 v13, v13, 4 clamp
	v_lshlrev_b32_e32 v14, v13, v10
	v_lshrrev_b32_e32 v14, 4, v14
	v_lshlrev_b32_e32 v13, 23, v13
	v_sub_u32_e32 v13, v14, v13
	v_add_u32_e32 v14, 0x1000000, v11
	v_ashrrev_i32_e32 v14, 8, v14
	v_add_u32_e32 v12, 0x3c000000, v12
	v_and_or_b32 v12, v14, s31, v12
	v_add_u32_e32 v14, 0x1000000, v10
	v_cmp_ne_u32_e64 s[4:5], 0, v10
	v_lshrrev_b16_e32 v10, 8, v3
	v_lshlrev_b32_e32 v10, 24, v10
	v_ashrrev_i32_e32 v14, 8, v14
	v_add_u32_e32 v13, 0x3c000000, v13
	v_cmp_ne_u32_e64 s[6:7], 0, v11
	v_and_b32_e32 v11, 0x7f000000, v10
	v_and_or_b32 v13, v14, s31, v13
	v_ffbh_u32_e32 v14, v11
	v_min_u32_e32 v14, 32, v14
	v_sub_u32_e64 v14, v14, 4 clamp
	v_lshlrev_b32_e32 v15, v14, v11
	v_lshrrev_b32_e32 v15, 4, v15
	v_lshlrev_b32_e32 v14, 23, v14
	v_sub_u32_e32 v14, v15, v14
	v_add_u32_e32 v15, 0x1000000, v11
	v_ashrrev_i32_e32 v15, 8, v15
	v_add_u32_e32 v14, 0x3c000000, v14
	v_and_or_b32 v14, v15, s31, v14
	v_cmp_ne_u32_e64 s[8:9], 0, v11
	v_and_b32_e32 v10, 0x80000000, v10
	v_cndmask_b32_e64 v11, 0, v14, s[8:9]
	v_and_b32_e32 v6, 0x80000000, v6
	v_cndmask_b32_e64 v12, 0, v12, s[6:7]
	v_or_b32_e32 v10, v11, v10
	v_or_b32_e32 v6, v12, v6
	v_and_b32_e32 v12, 0x7f000000, v3
	v_cmp_eq_f32_e64 s[8:9], v6, v10
	v_cmp_neq_f32_e64 s[6:7], v6, v10
	v_ffbh_u32_e32 v6, v12
	v_min_u32_e32 v6, 32, v6
	v_sub_u32_e64 v6, v6, 4 clamp
	v_lshlrev_b32_e32 v10, v6, v12
	v_lshrrev_b32_e32 v10, 4, v10
	v_lshlrev_b32_e32 v6, 23, v6
	v_sub_u32_e32 v6, v10, v6
	v_add_u32_e32 v10, 0x1000000, v12
	v_ashrrev_i32_e32 v10, 8, v10
	v_add_u32_e32 v6, 0x3c000000, v6
	v_and_or_b32 v6, v10, s31, v6
	v_cmp_ne_u32_e64 s[10:11], 0, v12
	v_and_b32_e32 v12, 0x80000000, v3
	v_cndmask_b32_e64 v6, 0, v6, s[10:11]
	v_lshlrev_b32_e32 v11, 24, v7
	v_lshlrev_b32_e32 v10, 8, v7
	v_or_b32_e32 v6, v6, v12
	v_and_b32_e32 v7, 0x80000000, v7
	v_cndmask_b32_e64 v12, 0, v13, s[4:5]
	v_or_b32_e32 v7, v12, v7
	v_and_b32_e32 v12, 0x7f000000, v11
	v_cmp_eq_f32_e64 s[4:5], v7, v6
	v_cmp_neq_f32_e64 s[10:11], v7, v6
	v_ffbh_u32_e32 v6, v12
	v_min_u32_e32 v6, 32, v6
	v_sub_u32_e64 v6, v6, 4 clamp
	v_lshlrev_b32_e32 v7, v6, v12
	v_lshrrev_b32_e32 v7, 4, v7
	v_lshlrev_b32_e32 v6, 23, v6
	v_sub_u32_e32 v6, v7, v6
	v_and_b32_e32 v7, 0x7f000000, v10
	v_ffbh_u32_e32 v13, v7
	v_min_u32_e32 v13, 32, v13
	v_sub_u32_e64 v13, v13, 4 clamp
	v_lshlrev_b32_e32 v14, v13, v7
	v_lshrrev_b32_e32 v14, 4, v14
	v_lshlrev_b32_e32 v13, 23, v13
	v_sub_u32_e32 v13, v14, v13
	v_add_u32_e32 v14, 0x1000000, v12
	v_ashrrev_i32_e32 v14, 8, v14
	v_add_u32_e32 v6, 0x3c000000, v6
	v_and_or_b32 v6, v14, s31, v6
	v_add_u32_e32 v14, 0x1000000, v7
	v_cmp_ne_u32_e64 s[14:15], 0, v7
	v_lshlrev_b32_e32 v7, 24, v3
	v_ashrrev_i32_e32 v14, 8, v14
	v_add_u32_e32 v13, 0x3c000000, v13
	v_cmp_ne_u32_e64 s[16:17], 0, v12
	v_and_b32_e32 v12, 0x7f000000, v7
	v_and_or_b32 v13, v14, s31, v13
	v_ffbh_u32_e32 v14, v12
	v_min_u32_e32 v14, 32, v14
	v_sub_u32_e64 v14, v14, 4 clamp
	v_lshlrev_b32_e32 v15, v14, v12
	v_lshrrev_b32_e32 v15, 4, v15
	v_lshlrev_b32_e32 v14, 23, v14
	v_lshlrev_b32_e32 v3, 8, v3
	v_sub_u32_e32 v14, v15, v14
	v_and_b32_e32 v15, 0x7f000000, v3
	v_ffbh_u32_e32 v16, v15
	v_min_u32_e32 v16, 32, v16
	v_sub_u32_e64 v16, v16, 4 clamp
	v_lshlrev_b32_e32 v17, v16, v15
	v_lshrrev_b32_e32 v17, 4, v17
	v_lshlrev_b32_e32 v16, 23, v16
	v_sub_u32_e32 v16, v17, v16
	v_add_u32_e32 v17, 0x1000000, v12
	v_ashrrev_i32_e32 v17, 8, v17
	v_add_u32_e32 v14, 0x3c000000, v14
	v_and_or_b32 v14, v17, s31, v14
	v_add_u32_e32 v17, 0x1000000, v15
	v_ashrrev_i32_e32 v17, 8, v17
	v_add_u32_e32 v16, 0x3c000000, v16
	v_and_or_b32 v16, v17, s31, v16
	v_cmp_ne_u32_e64 s[18:19], 0, v15
	v_and_b32_e32 v11, 0x80000000, v11
	v_cndmask_b32_e64 v6, 0, v6, s[16:17]
	v_or_b32_e32 v6, v6, v11
	v_and_b32_e32 v3, 0x80000000, v3
	v_cndmask_b32_e64 v11, 0, v16, s[18:19]
	v_cmp_ne_u32_e64 s[20:21], 0, v12
	v_or_b32_e32 v3, v11, v3
	v_and_b32_e32 v10, 0x80000000, v10
	v_cndmask_b32_e64 v11, 0, v13, s[14:15]
	v_and_b32_e32 v7, 0x80000000, v7
	v_cndmask_b32_e64 v12, 0, v14, s[20:21]
	v_or_b32_e32 v10, v11, v10
	v_or_b32_e32 v7, v12, v7
	v_cndmask_b32_e64 v11, 0, 1, s[4:5]
	v_cndmask_b32_e64 v12, 0, 1, s[10:11]
	v_cmp_neq_f32_e64 s[4:5], v10, v3
	v_cmp_eq_f32_e64 s[10:11], v10, v3
	v_cndmask_b32_e32 v11, v12, v11, vcc
	v_cndmask_b32_e64 v3, 0, 1, s[10:11]
	v_cndmask_b32_e64 v10, 0, 1, s[4:5]
	;; [unrolled: 1-line block ×3, first 2 shown]
	v_cmp_neq_f32_e64 s[4:5], v6, v7
	v_cmp_eq_f32_e64 s[6:7], v6, v7
	v_cndmask_b32_e32 v3, v10, v3, vcc
	v_cndmask_b32_e64 v10, 0, 1, s[8:9]
	v_cndmask_b32_e64 v6, 0, 1, s[6:7]
	v_cndmask_b32_e64 v7, 0, 1, s[4:5]
	v_cndmask_b32_e32 v10, v12, v10, vcc
	v_cndmask_b32_e32 v6, v7, v6, vcc
	v_lshrrev_b16_e32 v12, 8, v8
	v_and_b32_e32 v6, 1, v6
	v_and_b32_sdwa v7, v10, v5 dst_sel:BYTE_1 dst_unused:UNUSED_PAD src0_sel:DWORD src1_sel:DWORD
	v_or_b32_e32 v6, v6, v7
	v_and_b32_sdwa v7, v11, v5 dst_sel:BYTE_1 dst_unused:UNUSED_PAD src0_sel:DWORD src1_sel:DWORD
	v_lshlrev_b32_e32 v11, 24, v12
	v_and_b32_e32 v16, 0x7f000000, v11
	v_ffbh_u32_e32 v17, v16
	v_min_u32_e32 v17, 32, v17
	v_sub_u32_e64 v17, v17, 4 clamp
	v_and_b32_e32 v3, 1, v3
	v_lshlrev_b32_e32 v18, v17, v16
	v_or_b32_sdwa v3, v3, v7 dst_sel:WORD_1 dst_unused:UNUSED_PAD src0_sel:DWORD src1_sel:DWORD
	v_lshlrev_b32_e32 v7, 24, v8
	v_lshrrev_b32_e32 v18, 4, v18
	v_lshlrev_b32_e32 v17, 23, v17
	v_sub_u32_e32 v17, v18, v17
	v_and_b32_e32 v18, 0x7f000000, v7
	v_ffbh_u32_e32 v19, v18
	v_min_u32_e32 v19, 32, v19
	v_sub_u32_e64 v19, v19, 4 clamp
	v_lshlrev_b32_e32 v20, v19, v18
	v_lshlrev_b32_e32 v10, 8, v8
	v_lshrrev_b32_e32 v20, 4, v20
	v_lshlrev_b32_e32 v19, 23, v19
	v_sub_u32_e32 v19, v20, v19
	v_and_b32_e32 v20, 0x7f000000, v10
	v_ffbh_u32_e32 v21, v20
	v_min_u32_e32 v21, 32, v21
	v_sub_u32_e64 v21, v21, 4 clamp
	v_lshlrev_b32_e32 v22, v21, v20
	v_and_b32_e32 v15, 0x7f000000, v8
	v_lshrrev_b32_e32 v22, 4, v22
	v_lshlrev_b32_e32 v21, 23, v21
	v_sub_u32_e32 v21, v22, v21
	v_ffbh_u32_e32 v22, v15
	v_min_u32_e32 v22, 32, v22
	v_sub_u32_e64 v22, v22, 4 clamp
	v_lshlrev_b32_e32 v23, v22, v15
	v_lshrrev_b32_e32 v23, 4, v23
	v_lshlrev_b32_e32 v22, 23, v22
	v_sub_u32_e32 v22, v23, v22
	v_add_u32_e32 v23, 0x1000000, v16
	v_ashrrev_i32_e32 v23, 8, v23
	v_add_u32_e32 v17, 0x3c000000, v17
	v_and_or_b32 v17, v23, s31, v17
	v_add_u32_e32 v23, 0x1000000, v18
	v_ashrrev_i32_e32 v23, 8, v23
	v_add_u32_e32 v19, 0x3c000000, v19
	v_lshrrev_b16_e32 v14, 8, v4
	v_and_or_b32 v19, v23, s31, v19
	v_add_u32_e32 v23, 0x1000000, v20
	v_ashrrev_i32_e32 v23, 8, v23
	v_add_u32_e32 v21, 0x3c000000, v21
	v_lshlrev_b32_e32 v14, 24, v14
	v_and_or_b32 v21, v23, s31, v21
	v_add_u32_e32 v23, 0x1000000, v15
	v_cmp_ne_u32_e64 s[8:9], 0, v15
	v_and_b32_e32 v15, 0x7f000000, v14
	v_cmp_ne_u32_e64 s[10:11], 0, v16
	v_ffbh_u32_e32 v16, v15
	v_min_u32_e32 v16, 32, v16
	v_sub_u32_e64 v16, v16, 4 clamp
	v_cmp_ne_u32_e64 s[4:5], 0, v18
	v_lshlrev_b32_e32 v18, v16, v15
	v_lshlrev_b32_e32 v12, 24, v4
	v_lshrrev_b32_e32 v18, 4, v18
	v_lshlrev_b32_e32 v16, 23, v16
	v_sub_u32_e32 v16, v18, v16
	v_and_b32_e32 v18, 0x7f000000, v12
	v_cmp_ne_u32_e64 s[6:7], 0, v20
	v_ffbh_u32_e32 v20, v18
	v_min_u32_e32 v20, 32, v20
	v_ashrrev_i32_e32 v23, 8, v23
	v_add_u32_e32 v22, 0x3c000000, v22
	v_sub_u32_e64 v20, v20, 4 clamp
	v_and_or_b32 v22, v23, s31, v22
	v_lshlrev_b32_e32 v23, v20, v18
	v_or_b32_sdwa v3, v6, v3 dst_sel:DWORD dst_unused:UNUSED_PAD src0_sel:WORD_0 src1_sel:DWORD
	v_and_b32_e32 v6, 0x80000000, v8
	v_lshlrev_b32_e32 v8, 8, v4
	v_lshrrev_b32_e32 v23, 4, v23
	v_lshlrev_b32_e32 v20, 23, v20
	v_sub_u32_e32 v20, v23, v20
	v_and_b32_e32 v23, 0x7f000000, v8
	v_ffbh_u32_e32 v24, v23
	v_min_u32_e32 v24, 32, v24
	v_sub_u32_e64 v24, v24, 4 clamp
	v_lshlrev_b32_e32 v25, v24, v23
	v_and_b32_e32 v13, 0x7f000000, v4
	v_lshrrev_b32_e32 v25, 4, v25
	v_lshlrev_b32_e32 v24, 23, v24
	v_sub_u32_e32 v24, v25, v24
	v_ffbh_u32_e32 v25, v13
	v_min_u32_e32 v25, 32, v25
	v_sub_u32_e64 v25, v25, 4 clamp
	v_lshlrev_b32_e32 v26, v25, v13
	v_lshrrev_b32_e32 v26, 4, v26
	v_lshlrev_b32_e32 v25, 23, v25
	v_sub_u32_e32 v25, v26, v25
	v_add_u32_e32 v26, 0x1000000, v15
	v_ashrrev_i32_e32 v26, 8, v26
	v_add_u32_e32 v16, 0x3c000000, v16
	v_and_or_b32 v16, v26, s31, v16
	v_add_u32_e32 v26, 0x1000000, v18
	v_ashrrev_i32_e32 v26, 8, v26
	v_add_u32_e32 v20, 0x3c000000, v20
	v_and_or_b32 v20, v26, s31, v20
	v_add_u32_e32 v26, 0x1000000, v23
	v_ashrrev_i32_e32 v26, 8, v26
	v_add_u32_e32 v24, 0x3c000000, v24
	v_cmp_ne_u32_e64 s[20:21], 0, v15
	v_and_or_b32 v24, v26, s31, v24
	v_add_u32_e32 v26, 0x1000000, v13
	v_cmp_ne_u32_e64 s[14:15], 0, v13
	v_cmp_ne_u32_e64 s[18:19], 0, v18
	v_and_b32_e32 v13, 0x80000000, v14
	v_cndmask_b32_e64 v14, 0, v16, s[20:21]
	v_ashrrev_i32_e32 v26, 8, v26
	v_add_u32_e32 v25, 0x3c000000, v25
	v_or_b32_e32 v13, v14, v13
	v_and_b32_e32 v12, 0x80000000, v12
	v_cndmask_b32_e64 v14, 0, v20, s[18:19]
	v_and_or_b32 v25, v26, s31, v25
	v_or_b32_e32 v12, v14, v12
	v_and_b32_e32 v11, 0x80000000, v11
	v_cndmask_b32_e64 v14, 0, v17, s[10:11]
	v_and_b32_e32 v4, 0x80000000, v4
	v_or_b32_e32 v11, v14, v11
	v_cndmask_b32_e64 v14, 0, v22, s[8:9]
	v_cndmask_b32_e64 v17, 0, v25, s[14:15]
	v_cmp_ne_u32_e64 s[16:17], 0, v23
	v_or_b32_e32 v4, v17, v4
	v_or_b32_e32 v6, v14, v6
	v_and_b32_e32 v10, 0x80000000, v10
	v_cndmask_b32_e64 v15, 0, v21, s[6:7]
	v_cndmask_b32_e64 v16, 0, v19, s[4:5]
	v_and_b32_e32 v8, 0x80000000, v8
	v_cndmask_b32_e64 v18, 0, v24, s[16:17]
	v_cmp_eq_f32_e64 s[4:5], v6, v4
	v_or_b32_e32 v8, v18, v8
	v_or_b32_e32 v10, v15, v10
	v_cndmask_b32_e64 v14, 0, 1, s[4:5]
	v_cmp_neq_f32_e64 s[4:5], v6, v4
	v_cndmask_b32_e64 v4, 0, 1, s[4:5]
	v_cmp_eq_f32_e64 s[4:5], v10, v8
	v_cndmask_b32_e64 v6, 0, 1, s[4:5]
	v_cmp_neq_f32_e64 s[4:5], v10, v8
	v_and_b32_e32 v7, 0x80000000, v7
	v_cndmask_b32_e64 v8, 0, 1, s[4:5]
	v_cmp_eq_f32_e64 s[4:5], v11, v13
	v_or_b32_e32 v7, v16, v7
	v_cndmask_b32_e32 v6, v8, v6, vcc
	v_cndmask_b32_e64 v8, 0, 1, s[4:5]
	v_cmp_neq_f32_e64 s[4:5], v11, v13
	v_cndmask_b32_e64 v10, 0, 1, s[4:5]
	v_cmp_eq_f32_e64 s[4:5], v7, v12
	v_cndmask_b32_e32 v8, v10, v8, vcc
	v_cndmask_b32_e64 v10, 0, 1, s[4:5]
	v_cmp_neq_f32_e64 s[4:5], v7, v12
	v_cndmask_b32_e64 v7, 0, 1, s[4:5]
	v_cndmask_b32_e32 v4, v4, v14, vcc
	v_cndmask_b32_e32 v7, v7, v10, vcc
	v_and_b32_e32 v7, 1, v7
	v_and_b32_sdwa v8, v8, v5 dst_sel:BYTE_1 dst_unused:UNUSED_PAD src0_sel:DWORD src1_sel:DWORD
	v_and_b32_e32 v6, 1, v6
	v_and_b32_sdwa v4, v4, v5 dst_sel:BYTE_1 dst_unused:UNUSED_PAD src0_sel:DWORD src1_sel:DWORD
	s_add_u32 s10, s24, s30
	v_or_b32_e32 v7, v7, v8
	v_or_b32_sdwa v4, v6, v4 dst_sel:WORD_1 dst_unused:UNUSED_PAD src0_sel:DWORD src1_sel:DWORD
	s_addc_u32 s11, s25, s28
	v_or_b32_sdwa v4, v7, v4 dst_sel:DWORD dst_unused:UNUSED_PAD src0_sel:WORD_0 src1_sel:DWORD
	global_store_dwordx4 v9, v[1:4], s[10:11]
	s_cbranch_execnz .LBB267_2
.LBB267_4:
	s_getpc_b64 s[4:5]
	s_add_u32 s4, s4, _ZN2at6native25elementwise_kernel_helperILb0ENS0_13BinaryFunctorIN3c1013Float8_e4m3fnES4_bNS0_12_GLOBAL__N_116CompareEqFunctorIS4_EEEENS0_6memory8policies11unroll_baseILi256ESt5arrayIPcLm3EE23TrivialOffsetCalculatorILi2EjESF_ILi1EjENS9_15LoadWithoutCastENS9_16StoreWithoutCastELi16ELi1EEEEEvT0_T1_@rel32@lo+4
	s_addc_u32 s5, s5, _ZN2at6native25elementwise_kernel_helperILb0ENS0_13BinaryFunctorIN3c1013Float8_e4m3fnES4_bNS0_12_GLOBAL__N_116CompareEqFunctorIS4_EEEENS0_6memory8policies11unroll_baseILi256ESt5arrayIPcLm3EE23TrivialOffsetCalculatorILi2EjESF_ILi1EjENS9_15LoadWithoutCastENS9_16StoreWithoutCastELi16ELi1EEEEEvT0_T1_@rel32@hi+12
	v_mov_b32_e32 v31, v0
	v_mov_b32_e32 v0, s29
	;; [unrolled: 1-line block ×9, first 2 shown]
	s_swappc_b64 s[30:31], s[4:5]
	s_endpgm
	.section	.rodata,"a",@progbits
	.p2align	6, 0x0
	.amdhsa_kernel _ZN2at6native29vectorized_elementwise_kernelILi16ENS0_13BinaryFunctorIN3c1013Float8_e4m3fnES4_bNS0_12_GLOBAL__N_116CompareEqFunctorIS4_EEEESt5arrayIPcLm3EEEEviT0_T1_
		.amdhsa_group_segment_fixed_size 0
		.amdhsa_private_segment_fixed_size 0
		.amdhsa_kernarg_size 32
		.amdhsa_user_sgpr_count 6
		.amdhsa_user_sgpr_private_segment_buffer 1
		.amdhsa_user_sgpr_dispatch_ptr 0
		.amdhsa_user_sgpr_queue_ptr 0
		.amdhsa_user_sgpr_kernarg_segment_ptr 1
		.amdhsa_user_sgpr_dispatch_id 0
		.amdhsa_user_sgpr_flat_scratch_init 0
		.amdhsa_user_sgpr_private_segment_size 0
		.amdhsa_uses_dynamic_stack 0
		.amdhsa_system_sgpr_private_segment_wavefront_offset 0
		.amdhsa_system_sgpr_workgroup_id_x 1
		.amdhsa_system_sgpr_workgroup_id_y 0
		.amdhsa_system_sgpr_workgroup_id_z 0
		.amdhsa_system_sgpr_workgroup_info 0
		.amdhsa_system_vgpr_workitem_id 0
		.amdhsa_next_free_vgpr 55
		.amdhsa_next_free_sgpr 57
		.amdhsa_reserve_vcc 1
		.amdhsa_reserve_flat_scratch 0
		.amdhsa_float_round_mode_32 0
		.amdhsa_float_round_mode_16_64 0
		.amdhsa_float_denorm_mode_32 3
		.amdhsa_float_denorm_mode_16_64 3
		.amdhsa_dx10_clamp 1
		.amdhsa_ieee_mode 1
		.amdhsa_fp16_overflow 0
		.amdhsa_exception_fp_ieee_invalid_op 0
		.amdhsa_exception_fp_denorm_src 0
		.amdhsa_exception_fp_ieee_div_zero 0
		.amdhsa_exception_fp_ieee_overflow 0
		.amdhsa_exception_fp_ieee_underflow 0
		.amdhsa_exception_fp_ieee_inexact 0
		.amdhsa_exception_int_div_zero 0
	.end_amdhsa_kernel
	.section	.text._ZN2at6native29vectorized_elementwise_kernelILi16ENS0_13BinaryFunctorIN3c1013Float8_e4m3fnES4_bNS0_12_GLOBAL__N_116CompareEqFunctorIS4_EEEESt5arrayIPcLm3EEEEviT0_T1_,"axG",@progbits,_ZN2at6native29vectorized_elementwise_kernelILi16ENS0_13BinaryFunctorIN3c1013Float8_e4m3fnES4_bNS0_12_GLOBAL__N_116CompareEqFunctorIS4_EEEESt5arrayIPcLm3EEEEviT0_T1_,comdat
.Lfunc_end267:
	.size	_ZN2at6native29vectorized_elementwise_kernelILi16ENS0_13BinaryFunctorIN3c1013Float8_e4m3fnES4_bNS0_12_GLOBAL__N_116CompareEqFunctorIS4_EEEESt5arrayIPcLm3EEEEviT0_T1_, .Lfunc_end267-_ZN2at6native29vectorized_elementwise_kernelILi16ENS0_13BinaryFunctorIN3c1013Float8_e4m3fnES4_bNS0_12_GLOBAL__N_116CompareEqFunctorIS4_EEEESt5arrayIPcLm3EEEEviT0_T1_
                                        ; -- End function
	.set _ZN2at6native29vectorized_elementwise_kernelILi16ENS0_13BinaryFunctorIN3c1013Float8_e4m3fnES4_bNS0_12_GLOBAL__N_116CompareEqFunctorIS4_EEEESt5arrayIPcLm3EEEEviT0_T1_.num_vgpr, max(32, .L_ZN2at6native25elementwise_kernel_helperILb0ENS0_13BinaryFunctorIN3c1013Float8_e4m3fnES4_bNS0_12_GLOBAL__N_116CompareEqFunctorIS4_EEEENS0_6memory8policies11unroll_baseILi256ESt5arrayIPcLm3EE23TrivialOffsetCalculatorILi2EjESF_ILi1EjENS9_15LoadWithoutCastENS9_16StoreWithoutCastELi16ELi1EEEEEvT0_T1_.num_vgpr)
	.set _ZN2at6native29vectorized_elementwise_kernelILi16ENS0_13BinaryFunctorIN3c1013Float8_e4m3fnES4_bNS0_12_GLOBAL__N_116CompareEqFunctorIS4_EEEESt5arrayIPcLm3EEEEviT0_T1_.num_agpr, max(0, .L_ZN2at6native25elementwise_kernel_helperILb0ENS0_13BinaryFunctorIN3c1013Float8_e4m3fnES4_bNS0_12_GLOBAL__N_116CompareEqFunctorIS4_EEEENS0_6memory8policies11unroll_baseILi256ESt5arrayIPcLm3EE23TrivialOffsetCalculatorILi2EjESF_ILi1EjENS9_15LoadWithoutCastENS9_16StoreWithoutCastELi16ELi1EEEEEvT0_T1_.num_agpr)
	.set _ZN2at6native29vectorized_elementwise_kernelILi16ENS0_13BinaryFunctorIN3c1013Float8_e4m3fnES4_bNS0_12_GLOBAL__N_116CompareEqFunctorIS4_EEEESt5arrayIPcLm3EEEEviT0_T1_.numbered_sgpr, max(33, .L_ZN2at6native25elementwise_kernel_helperILb0ENS0_13BinaryFunctorIN3c1013Float8_e4m3fnES4_bNS0_12_GLOBAL__N_116CompareEqFunctorIS4_EEEENS0_6memory8policies11unroll_baseILi256ESt5arrayIPcLm3EE23TrivialOffsetCalculatorILi2EjESF_ILi1EjENS9_15LoadWithoutCastENS9_16StoreWithoutCastELi16ELi1EEEEEvT0_T1_.numbered_sgpr)
	.set _ZN2at6native29vectorized_elementwise_kernelILi16ENS0_13BinaryFunctorIN3c1013Float8_e4m3fnES4_bNS0_12_GLOBAL__N_116CompareEqFunctorIS4_EEEESt5arrayIPcLm3EEEEviT0_T1_.num_named_barrier, max(0, .L_ZN2at6native25elementwise_kernel_helperILb0ENS0_13BinaryFunctorIN3c1013Float8_e4m3fnES4_bNS0_12_GLOBAL__N_116CompareEqFunctorIS4_EEEENS0_6memory8policies11unroll_baseILi256ESt5arrayIPcLm3EE23TrivialOffsetCalculatorILi2EjESF_ILi1EjENS9_15LoadWithoutCastENS9_16StoreWithoutCastELi16ELi1EEEEEvT0_T1_.num_named_barrier)
	.set _ZN2at6native29vectorized_elementwise_kernelILi16ENS0_13BinaryFunctorIN3c1013Float8_e4m3fnES4_bNS0_12_GLOBAL__N_116CompareEqFunctorIS4_EEEESt5arrayIPcLm3EEEEviT0_T1_.private_seg_size, 0+max(.L_ZN2at6native25elementwise_kernel_helperILb0ENS0_13BinaryFunctorIN3c1013Float8_e4m3fnES4_bNS0_12_GLOBAL__N_116CompareEqFunctorIS4_EEEENS0_6memory8policies11unroll_baseILi256ESt5arrayIPcLm3EE23TrivialOffsetCalculatorILi2EjESF_ILi1EjENS9_15LoadWithoutCastENS9_16StoreWithoutCastELi16ELi1EEEEEvT0_T1_.private_seg_size)
	.set _ZN2at6native29vectorized_elementwise_kernelILi16ENS0_13BinaryFunctorIN3c1013Float8_e4m3fnES4_bNS0_12_GLOBAL__N_116CompareEqFunctorIS4_EEEESt5arrayIPcLm3EEEEviT0_T1_.uses_vcc, or(1, .L_ZN2at6native25elementwise_kernel_helperILb0ENS0_13BinaryFunctorIN3c1013Float8_e4m3fnES4_bNS0_12_GLOBAL__N_116CompareEqFunctorIS4_EEEENS0_6memory8policies11unroll_baseILi256ESt5arrayIPcLm3EE23TrivialOffsetCalculatorILi2EjESF_ILi1EjENS9_15LoadWithoutCastENS9_16StoreWithoutCastELi16ELi1EEEEEvT0_T1_.uses_vcc)
	.set _ZN2at6native29vectorized_elementwise_kernelILi16ENS0_13BinaryFunctorIN3c1013Float8_e4m3fnES4_bNS0_12_GLOBAL__N_116CompareEqFunctorIS4_EEEESt5arrayIPcLm3EEEEviT0_T1_.uses_flat_scratch, or(0, .L_ZN2at6native25elementwise_kernel_helperILb0ENS0_13BinaryFunctorIN3c1013Float8_e4m3fnES4_bNS0_12_GLOBAL__N_116CompareEqFunctorIS4_EEEENS0_6memory8policies11unroll_baseILi256ESt5arrayIPcLm3EE23TrivialOffsetCalculatorILi2EjESF_ILi1EjENS9_15LoadWithoutCastENS9_16StoreWithoutCastELi16ELi1EEEEEvT0_T1_.uses_flat_scratch)
	.set _ZN2at6native29vectorized_elementwise_kernelILi16ENS0_13BinaryFunctorIN3c1013Float8_e4m3fnES4_bNS0_12_GLOBAL__N_116CompareEqFunctorIS4_EEEESt5arrayIPcLm3EEEEviT0_T1_.has_dyn_sized_stack, or(0, .L_ZN2at6native25elementwise_kernel_helperILb0ENS0_13BinaryFunctorIN3c1013Float8_e4m3fnES4_bNS0_12_GLOBAL__N_116CompareEqFunctorIS4_EEEENS0_6memory8policies11unroll_baseILi256ESt5arrayIPcLm3EE23TrivialOffsetCalculatorILi2EjESF_ILi1EjENS9_15LoadWithoutCastENS9_16StoreWithoutCastELi16ELi1EEEEEvT0_T1_.has_dyn_sized_stack)
	.set _ZN2at6native29vectorized_elementwise_kernelILi16ENS0_13BinaryFunctorIN3c1013Float8_e4m3fnES4_bNS0_12_GLOBAL__N_116CompareEqFunctorIS4_EEEESt5arrayIPcLm3EEEEviT0_T1_.has_recursion, or(0, .L_ZN2at6native25elementwise_kernel_helperILb0ENS0_13BinaryFunctorIN3c1013Float8_e4m3fnES4_bNS0_12_GLOBAL__N_116CompareEqFunctorIS4_EEEENS0_6memory8policies11unroll_baseILi256ESt5arrayIPcLm3EE23TrivialOffsetCalculatorILi2EjESF_ILi1EjENS9_15LoadWithoutCastENS9_16StoreWithoutCastELi16ELi1EEEEEvT0_T1_.has_recursion)
	.set _ZN2at6native29vectorized_elementwise_kernelILi16ENS0_13BinaryFunctorIN3c1013Float8_e4m3fnES4_bNS0_12_GLOBAL__N_116CompareEqFunctorIS4_EEEESt5arrayIPcLm3EEEEviT0_T1_.has_indirect_call, or(0, .L_ZN2at6native25elementwise_kernel_helperILb0ENS0_13BinaryFunctorIN3c1013Float8_e4m3fnES4_bNS0_12_GLOBAL__N_116CompareEqFunctorIS4_EEEENS0_6memory8policies11unroll_baseILi256ESt5arrayIPcLm3EE23TrivialOffsetCalculatorILi2EjESF_ILi1EjENS9_15LoadWithoutCastENS9_16StoreWithoutCastELi16ELi1EEEEEvT0_T1_.has_indirect_call)
	.section	.AMDGPU.csdata,"",@progbits
; Kernel info:
; codeLenInByte = 4164
; TotalNumSgprs: 61
; NumVgprs: 55
; ScratchSize: 0
; MemoryBound: 0
; FloatMode: 240
; IeeeMode: 1
; LDSByteSize: 0 bytes/workgroup (compile time only)
; SGPRBlocks: 7
; VGPRBlocks: 13
; NumSGPRsForWavesPerEU: 61
; NumVGPRsForWavesPerEU: 55
; Occupancy: 4
; WaveLimiterHint : 0
; COMPUTE_PGM_RSRC2:SCRATCH_EN: 0
; COMPUTE_PGM_RSRC2:USER_SGPR: 6
; COMPUTE_PGM_RSRC2:TRAP_HANDLER: 0
; COMPUTE_PGM_RSRC2:TGID_X_EN: 1
; COMPUTE_PGM_RSRC2:TGID_Y_EN: 0
; COMPUTE_PGM_RSRC2:TGID_Z_EN: 0
; COMPUTE_PGM_RSRC2:TIDIG_COMP_CNT: 0
	.section	.text._ZN2at6native29vectorized_elementwise_kernelILi8ENS0_13BinaryFunctorIN3c1013Float8_e4m3fnES4_bNS0_12_GLOBAL__N_116CompareEqFunctorIS4_EEEESt5arrayIPcLm3EEEEviT0_T1_,"axG",@progbits,_ZN2at6native29vectorized_elementwise_kernelILi8ENS0_13BinaryFunctorIN3c1013Float8_e4m3fnES4_bNS0_12_GLOBAL__N_116CompareEqFunctorIS4_EEEESt5arrayIPcLm3EEEEviT0_T1_,comdat
	.globl	_ZN2at6native29vectorized_elementwise_kernelILi8ENS0_13BinaryFunctorIN3c1013Float8_e4m3fnES4_bNS0_12_GLOBAL__N_116CompareEqFunctorIS4_EEEESt5arrayIPcLm3EEEEviT0_T1_ ; -- Begin function _ZN2at6native29vectorized_elementwise_kernelILi8ENS0_13BinaryFunctorIN3c1013Float8_e4m3fnES4_bNS0_12_GLOBAL__N_116CompareEqFunctorIS4_EEEESt5arrayIPcLm3EEEEviT0_T1_
	.p2align	8
	.type	_ZN2at6native29vectorized_elementwise_kernelILi8ENS0_13BinaryFunctorIN3c1013Float8_e4m3fnES4_bNS0_12_GLOBAL__N_116CompareEqFunctorIS4_EEEESt5arrayIPcLm3EEEEviT0_T1_,@function
_ZN2at6native29vectorized_elementwise_kernelILi8ENS0_13BinaryFunctorIN3c1013Float8_e4m3fnES4_bNS0_12_GLOBAL__N_116CompareEqFunctorIS4_EEEESt5arrayIPcLm3EEEEviT0_T1_: ; @_ZN2at6native29vectorized_elementwise_kernelILi8ENS0_13BinaryFunctorIN3c1013Float8_e4m3fnES4_bNS0_12_GLOBAL__N_116CompareEqFunctorIS4_EEEESt5arrayIPcLm3EEEEviT0_T1_
; %bb.0:
	s_load_dwordx2 s[20:21], s[4:5], 0x0
	s_load_dwordx4 s[16:19], s[4:5], 0x8
	s_load_dwordx2 s[14:15], s[4:5], 0x18
	s_add_u32 s0, s0, s7
	s_addc_u32 s1, s1, 0
	s_lshl_b32 s22, s6, 12
	s_waitcnt lgkmcnt(0)
	s_sub_i32 s7, s20, s22
	s_cmpk_gt_i32 s7, 0xfff
	s_mov_b64 s[4:5], -1
	s_mov_b32 s32, 0
	s_cbranch_scc1 .LBB268_3
; %bb.1:
	s_andn2_b64 vcc, exec, s[4:5]
	s_cbranch_vccz .LBB268_4
.LBB268_2:
	s_endpgm
.LBB268_3:
	s_ashr_i32 s20, s22, 31
	s_add_u32 s4, s18, s22
	s_addc_u32 s5, s19, s20
	v_lshlrev_b32_e32 v9, 3, v0
	global_load_dwordx2 v[7:8], v9, s[4:5]
	s_add_u32 s8, s14, s22
	s_addc_u32 s9, s15, s20
	global_load_dwordx2 v[5:6], v9, s[8:9]
	s_mov_b32 s23, 0x7f800000
	s_brev_b32 s24, 1
	global_load_dwordx2 v[3:4], v9, s[4:5] offset:2048
	global_load_dwordx2 v[1:2], v9, s[8:9] offset:2048
	s_cmp_eq_u32 s21, 0
	s_waitcnt vmcnt(3)
	v_lshlrev_b32_e32 v10, 24, v7
	v_and_b32_e32 v13, 0x7f000000, v10
	v_lshlrev_b32_e32 v11, 16, v7
	v_ffbh_u32_e32 v16, v13
	v_and_b32_e32 v14, 0x7f000000, v11
	v_min_u32_e32 v16, 32, v16
	v_lshlrev_b32_e32 v12, 8, v7
	v_ffbh_u32_e32 v17, v14
	v_sub_u32_e64 v16, v16, 4 clamp
	v_and_b32_e32 v15, 0x7f000000, v12
	v_min_u32_e32 v17, 32, v17
	v_lshlrev_b32_e32 v19, v16, v13
	v_ffbh_u32_e32 v18, v15
	v_sub_u32_e64 v17, v17, 4 clamp
	v_lshlrev_b32_e32 v16, 23, v16
	v_lshrrev_b32_e32 v19, 4, v19
	v_min_u32_e32 v18, 32, v18
	v_sub_u32_e32 v16, v19, v16
	v_lshlrev_b32_e32 v19, v17, v14
	v_sub_u32_e64 v18, v18, 4 clamp
	v_lshlrev_b32_e32 v17, 23, v17
	v_lshrrev_b32_e32 v19, 4, v19
	v_sub_u32_e32 v17, v19, v17
	v_lshlrev_b32_e32 v19, v18, v15
	v_lshlrev_b32_e32 v18, 23, v18
	v_lshrrev_b32_e32 v19, 4, v19
	v_sub_u32_e32 v18, v19, v18
	v_add_u32_e32 v19, 0x1000000, v13
	v_ashrrev_i32_e32 v19, 8, v19
	v_add_u32_e32 v16, 0x3c000000, v16
	v_and_or_b32 v16, v19, s23, v16
	s_waitcnt vmcnt(2)
	v_lshlrev_b32_e32 v19, 24, v5
	v_cmp_ne_u32_e32 vcc, 0, v13
	v_and_b32_e32 v13, 0x7f000000, v19
	v_ffbh_u32_e32 v20, v13
	v_min_u32_e32 v20, 32, v20
	v_sub_u32_e64 v20, v20, 4 clamp
	v_lshlrev_b32_e32 v21, v20, v13
	v_lshlrev_b32_e32 v20, 23, v20
	v_lshrrev_b32_e32 v21, 4, v21
	v_sub_u32_e32 v20, v21, v20
	v_add_u32_e32 v21, 0x1000000, v14
	v_ashrrev_i32_e32 v21, 8, v21
	v_add_u32_e32 v17, 0x3c000000, v17
	v_and_or_b32 v17, v21, s23, v17
	v_lshlrev_b32_e32 v21, 16, v5
	v_and_b32_e32 v22, 0x7f000000, v21
	v_ffbh_u32_e32 v23, v22
	v_min_u32_e32 v23, 32, v23
	v_sub_u32_e64 v23, v23, 4 clamp
	v_cndmask_b32_e32 v16, 0, v16, vcc
	v_lshlrev_b32_e32 v24, v23, v22
	v_and_or_b32 v10, v10, s24, v16
	v_add_u32_e32 v16, 0x1000000, v13
	v_cmp_ne_u32_e64 s[4:5], 0, v14
	v_lshlrev_b32_e32 v23, 23, v23
	v_lshrrev_b32_e32 v24, 4, v24
	v_ashrrev_i32_e32 v16, 8, v16
	v_add_u32_e32 v20, 0x3c000000, v20
	v_cmp_ne_u32_e32 vcc, 0, v13
	v_cndmask_b32_e64 v13, 0, v17, s[4:5]
	v_sub_u32_e32 v23, v24, v23
	v_and_or_b32 v16, v16, s23, v20
	v_and_or_b32 v11, v11, s24, v13
	v_add_u32_e32 v13, 0x1000000, v22
	v_ashrrev_i32_e32 v13, 8, v13
	v_add_u32_e32 v14, 0x3c000000, v23
	v_cndmask_b32_e32 v16, 0, v16, vcc
	v_and_or_b32 v13, v13, s23, v14
	v_cmp_ne_u32_e64 s[4:5], 0, v22
	v_and_or_b32 v16, v19, s24, v16
	v_cndmask_b32_e64 v13, 0, v13, s[4:5]
	v_cmp_eq_f32_e32 vcc, v10, v16
	v_and_or_b32 v13, v21, s24, v13
	v_cndmask_b32_e64 v17, 0, 1, vcc
	v_cmp_neq_f32_e32 vcc, v10, v16
	v_cndmask_b32_e64 v10, 0, 1, vcc
	v_cmp_eq_f32_e32 vcc, v11, v13
	v_cndmask_b32_e64 v16, 0, 1, vcc
	v_cmp_neq_f32_e32 vcc, v11, v13
	v_add_u32_e32 v14, 0x1000000, v15
	v_cndmask_b32_e64 v13, 0, 1, vcc
	s_cselect_b64 vcc, -1, 0
	v_ashrrev_i32_e32 v14, 8, v14
	v_cndmask_b32_e32 v11, v10, v17, vcc
	v_cndmask_b32_e32 v10, v13, v16, vcc
	v_add_u32_e32 v13, 0x3c000000, v18
	v_and_or_b32 v13, v14, s23, v13
	v_cmp_ne_u32_e64 s[4:5], 0, v15
	v_cndmask_b32_e64 v13, 0, v13, s[4:5]
	v_and_or_b32 v12, v12, s24, v13
	v_lshlrev_b32_e32 v13, 8, v5
	v_and_b32_e32 v14, 0x7f000000, v13
	v_ffbh_u32_e32 v15, v14
	v_min_u32_e32 v15, 32, v15
	v_sub_u32_e64 v15, v15, 4 clamp
	v_lshlrev_b32_e32 v17, v15, v14
	v_lshrrev_b32_e32 v17, 4, v17
	v_lshlrev_b32_e32 v15, 23, v15
	v_add_u32_e32 v16, 0x1000000, v14
	v_sub_u32_e32 v15, v17, v15
	v_ashrrev_i32_e32 v16, 8, v16
	v_add_u32_e32 v15, 0x3c000000, v15
	v_and_or_b32 v15, v16, s23, v15
	v_cmp_ne_u32_e64 s[4:5], 0, v14
	v_cndmask_b32_e64 v14, 0, v15, s[4:5]
	v_and_or_b32 v13, v13, s24, v14
	v_cmp_eq_f32_e64 s[4:5], v12, v13
	v_cndmask_b32_e64 v14, 0, 1, s[4:5]
	v_cmp_neq_f32_e64 s[4:5], v12, v13
	v_cndmask_b32_e64 v12, 0, 1, s[4:5]
	v_and_b32_e32 v13, 0x7f000000, v7
	v_cndmask_b32_e32 v12, v12, v14, vcc
	v_ffbh_u32_e32 v14, v13
	v_min_u32_e32 v14, 32, v14
	v_sub_u32_e64 v14, v14, 4 clamp
	v_lshlrev_b32_e32 v16, v14, v13
	v_lshrrev_b32_e32 v16, 4, v16
	v_lshlrev_b32_e32 v14, 23, v14
	v_add_u32_e32 v15, 0x1000000, v13
	v_sub_u32_e32 v14, v16, v14
	v_ashrrev_i32_e32 v15, 8, v15
	v_add_u32_e32 v14, 0x3c000000, v14
	v_and_or_b32 v14, v15, s23, v14
	v_cmp_ne_u32_e64 s[4:5], 0, v13
	v_cndmask_b32_e64 v13, 0, v14, s[4:5]
	v_and_or_b32 v7, v7, s24, v13
	v_and_b32_e32 v13, 0x7f000000, v5
	v_ffbh_u32_e32 v14, v13
	v_min_u32_e32 v14, 32, v14
	v_sub_u32_e64 v14, v14, 4 clamp
	v_lshlrev_b32_e32 v16, v14, v13
	v_lshrrev_b32_e32 v16, 4, v16
	v_lshlrev_b32_e32 v14, 23, v14
	v_add_u32_e32 v15, 0x1000000, v13
	v_sub_u32_e32 v14, v16, v14
	v_ashrrev_i32_e32 v15, 8, v15
	v_add_u32_e32 v14, 0x3c000000, v14
	v_and_or_b32 v14, v15, s23, v14
	v_cmp_ne_u32_e64 s[4:5], 0, v13
	v_cndmask_b32_e64 v13, 0, v14, s[4:5]
	v_and_or_b32 v5, v5, s24, v13
	v_cmp_eq_f32_e64 s[4:5], v7, v5
	v_cndmask_b32_e64 v13, 0, 1, s[4:5]
	v_cmp_neq_f32_e64 s[4:5], v7, v5
	v_cndmask_b32_e64 v5, 0, 1, s[4:5]
	v_lshlrev_b32_e32 v7, 24, v8
	v_cndmask_b32_e32 v5, v5, v13, vcc
	v_and_b32_e32 v13, 0x7f000000, v7
	v_ffbh_u32_e32 v14, v13
	v_min_u32_e32 v14, 32, v14
	v_sub_u32_e64 v14, v14, 4 clamp
	v_lshlrev_b32_e32 v16, v14, v13
	v_lshrrev_b32_e32 v16, 4, v16
	v_lshlrev_b32_e32 v14, 23, v14
	v_add_u32_e32 v15, 0x1000000, v13
	v_sub_u32_e32 v14, v16, v14
	v_ashrrev_i32_e32 v15, 8, v15
	v_add_u32_e32 v14, 0x3c000000, v14
	v_and_or_b32 v14, v15, s23, v14
	v_cmp_ne_u32_e64 s[4:5], 0, v13
	v_cndmask_b32_e64 v13, 0, v14, s[4:5]
	v_and_or_b32 v7, v7, s24, v13
	v_lshlrev_b32_e32 v13, 24, v6
	v_and_b32_e32 v14, 0x7f000000, v13
	v_ffbh_u32_e32 v15, v14
	v_min_u32_e32 v15, 32, v15
	v_sub_u32_e64 v15, v15, 4 clamp
	v_lshlrev_b32_e32 v17, v15, v14
	v_lshrrev_b32_e32 v17, 4, v17
	v_lshlrev_b32_e32 v15, 23, v15
	v_add_u32_e32 v16, 0x1000000, v14
	v_sub_u32_e32 v15, v17, v15
	v_ashrrev_i32_e32 v16, 8, v16
	v_add_u32_e32 v15, 0x3c000000, v15
	v_and_or_b32 v15, v16, s23, v15
	v_cmp_ne_u32_e64 s[4:5], 0, v14
	v_cndmask_b32_e64 v14, 0, v15, s[4:5]
	v_and_or_b32 v13, v13, s24, v14
	v_cmp_eq_f32_e64 s[4:5], v7, v13
	v_cndmask_b32_e64 v14, 0, 1, s[4:5]
	v_cmp_neq_f32_e64 s[4:5], v7, v13
	v_cndmask_b32_e64 v7, 0, 1, s[4:5]
	v_lshlrev_b32_e32 v13, 16, v8
	v_cndmask_b32_e32 v7, v7, v14, vcc
	v_and_b32_e32 v14, 0x7f000000, v13
	v_ffbh_u32_e32 v15, v14
	v_min_u32_e32 v15, 32, v15
	v_sub_u32_e64 v15, v15, 4 clamp
	v_lshlrev_b32_e32 v17, v15, v14
	v_lshrrev_b32_e32 v17, 4, v17
	v_lshlrev_b32_e32 v15, 23, v15
	v_add_u32_e32 v16, 0x1000000, v14
	v_sub_u32_e32 v15, v17, v15
	v_ashrrev_i32_e32 v16, 8, v16
	v_add_u32_e32 v15, 0x3c000000, v15
	v_and_or_b32 v15, v16, s23, v15
	v_cmp_ne_u32_e64 s[4:5], 0, v14
	v_cndmask_b32_e64 v14, 0, v15, s[4:5]
	v_and_or_b32 v13, v13, s24, v14
	v_lshlrev_b32_e32 v14, 16, v6
	v_and_b32_e32 v15, 0x7f000000, v14
	v_ffbh_u32_e32 v16, v15
	v_min_u32_e32 v16, 32, v16
	v_sub_u32_e64 v16, v16, 4 clamp
	v_lshlrev_b32_e32 v17, v16, v15
	v_lshrrev_b32_e32 v17, 4, v17
	v_lshlrev_b32_e32 v16, 23, v16
	v_sub_u32_e32 v16, v17, v16
	v_add_u32_e32 v17, 0x1000000, v15
	v_ashrrev_i32_e32 v17, 8, v17
	v_add_u32_e32 v16, 0x3c000000, v16
	v_and_or_b32 v16, v17, s23, v16
	v_cmp_ne_u32_e64 s[4:5], 0, v15
	v_cndmask_b32_e64 v15, 0, v16, s[4:5]
	v_and_or_b32 v14, v14, s24, v15
	v_cmp_eq_f32_e64 s[4:5], v13, v14
	v_cndmask_b32_e64 v15, 0, 1, s[4:5]
	v_cmp_neq_f32_e64 s[4:5], v13, v14
	v_cndmask_b32_e64 v13, 0, 1, s[4:5]
	v_lshlrev_b32_e32 v14, 8, v8
	v_cndmask_b32_e32 v13, v13, v15, vcc
	v_and_b32_e32 v15, 0x7f000000, v14
	v_ffbh_u32_e32 v16, v15
	v_min_u32_e32 v16, 32, v16
	v_sub_u32_e64 v16, v16, 4 clamp
	v_lshlrev_b32_e32 v17, v16, v15
	v_lshrrev_b32_e32 v17, 4, v17
	v_lshlrev_b32_e32 v16, 23, v16
	v_sub_u32_e32 v16, v17, v16
	v_add_u32_e32 v17, 0x1000000, v15
	v_ashrrev_i32_e32 v17, 8, v17
	v_add_u32_e32 v16, 0x3c000000, v16
	v_and_or_b32 v16, v17, s23, v16
	v_cmp_ne_u32_e64 s[4:5], 0, v15
	v_cndmask_b32_e64 v15, 0, v16, s[4:5]
	v_and_or_b32 v14, v14, s24, v15
	v_lshlrev_b32_e32 v15, 8, v6
	v_and_b32_e32 v16, 0x7f000000, v15
	v_ffbh_u32_e32 v17, v16
	v_min_u32_e32 v17, 32, v17
	v_sub_u32_e64 v17, v17, 4 clamp
	v_lshlrev_b32_e32 v18, v17, v16
	v_lshrrev_b32_e32 v18, 4, v18
	v_lshlrev_b32_e32 v17, 23, v17
	v_sub_u32_e32 v17, v18, v17
	v_add_u32_e32 v18, 0x1000000, v16
	v_ashrrev_i32_e32 v18, 8, v18
	v_add_u32_e32 v17, 0x3c000000, v17
	v_and_or_b32 v17, v18, s23, v17
	v_cmp_ne_u32_e64 s[4:5], 0, v16
	v_cndmask_b32_e64 v16, 0, v17, s[4:5]
	v_and_or_b32 v15, v15, s24, v16
	v_cmp_eq_f32_e64 s[4:5], v14, v15
	v_cndmask_b32_e64 v16, 0, 1, s[4:5]
	v_cmp_neq_f32_e64 s[4:5], v14, v15
	v_cndmask_b32_e64 v14, 0, 1, s[4:5]
	v_and_b32_e32 v15, 0x7f000000, v8
	v_cndmask_b32_e32 v14, v14, v16, vcc
	v_ffbh_u32_e32 v16, v15
	v_min_u32_e32 v16, 32, v16
	v_sub_u32_e64 v16, v16, 4 clamp
	v_lshlrev_b32_e32 v17, v16, v15
	v_lshrrev_b32_e32 v17, 4, v17
	v_lshlrev_b32_e32 v16, 23, v16
	v_sub_u32_e32 v16, v17, v16
	v_add_u32_e32 v17, 0x1000000, v15
	v_ashrrev_i32_e32 v17, 8, v17
	v_add_u32_e32 v16, 0x3c000000, v16
	v_and_or_b32 v16, v17, s23, v16
	v_cmp_ne_u32_e64 s[4:5], 0, v15
	v_cndmask_b32_e64 v15, 0, v16, s[4:5]
	v_and_or_b32 v8, v8, s24, v15
	v_and_b32_e32 v15, 0x7f000000, v6
	v_ffbh_u32_e32 v16, v15
	v_min_u32_e32 v16, 32, v16
	v_sub_u32_e64 v16, v16, 4 clamp
	v_lshlrev_b32_e32 v18, v16, v15
	v_lshrrev_b32_e32 v18, 4, v18
	v_lshlrev_b32_e32 v16, 23, v16
	v_add_u32_e32 v17, 0x1000000, v15
	v_sub_u32_e32 v16, v18, v16
	v_ashrrev_i32_e32 v17, 8, v17
	v_add_u32_e32 v16, 0x3c000000, v16
	v_and_or_b32 v16, v17, s23, v16
	v_cmp_ne_u32_e64 s[4:5], 0, v15
	v_cndmask_b32_e64 v15, 0, v16, s[4:5]
	v_and_or_b32 v6, v6, s24, v15
	v_cmp_eq_f32_e64 s[4:5], v8, v6
	v_cndmask_b32_e64 v15, 0, 1, s[4:5]
	v_cmp_neq_f32_e64 s[4:5], v8, v6
	v_cndmask_b32_e64 v6, 0, 1, s[4:5]
	s_waitcnt vmcnt(1)
	v_lshlrev_b32_e32 v8, 24, v3
	v_cndmask_b32_e32 v6, v6, v15, vcc
	v_and_b32_e32 v15, 0x7f000000, v8
	v_ffbh_u32_e32 v16, v15
	v_min_u32_e32 v16, 32, v16
	v_sub_u32_e64 v16, v16, 4 clamp
	v_lshlrev_b32_e32 v18, v16, v15
	v_lshrrev_b32_e32 v18, 4, v18
	v_lshlrev_b32_e32 v16, 23, v16
	v_add_u32_e32 v17, 0x1000000, v15
	v_sub_u32_e32 v16, v18, v16
	v_ashrrev_i32_e32 v17, 8, v17
	v_add_u32_e32 v16, 0x3c000000, v16
	v_and_or_b32 v16, v17, s23, v16
	v_cmp_ne_u32_e64 s[4:5], 0, v15
	v_cndmask_b32_e64 v15, 0, v16, s[4:5]
	v_and_or_b32 v8, v8, s24, v15
	s_waitcnt vmcnt(0)
	v_lshlrev_b32_e32 v15, 24, v1
	v_and_b32_e32 v16, 0x7f000000, v15
	v_ffbh_u32_e32 v17, v16
	v_min_u32_e32 v17, 32, v17
	v_sub_u32_e64 v17, v17, 4 clamp
	v_lshlrev_b32_e32 v19, v17, v16
	v_lshrrev_b32_e32 v19, 4, v19
	v_lshlrev_b32_e32 v17, 23, v17
	v_add_u32_e32 v18, 0x1000000, v16
	v_sub_u32_e32 v17, v19, v17
	v_ashrrev_i32_e32 v18, 8, v18
	v_add_u32_e32 v17, 0x3c000000, v17
	v_and_or_b32 v17, v18, s23, v17
	v_cmp_ne_u32_e64 s[4:5], 0, v16
	v_cndmask_b32_e64 v16, 0, v17, s[4:5]
	v_and_or_b32 v15, v15, s24, v16
	v_cmp_eq_f32_e64 s[4:5], v8, v15
	v_cndmask_b32_e64 v16, 0, 1, s[4:5]
	v_cmp_neq_f32_e64 s[4:5], v8, v15
	v_cndmask_b32_e64 v8, 0, 1, s[4:5]
	v_lshlrev_b32_e32 v15, 16, v3
	v_cndmask_b32_e32 v8, v8, v16, vcc
	v_and_b32_e32 v16, 0x7f000000, v15
	v_ffbh_u32_e32 v17, v16
	v_min_u32_e32 v17, 32, v17
	v_sub_u32_e64 v17, v17, 4 clamp
	v_lshlrev_b32_e32 v19, v17, v16
	v_lshrrev_b32_e32 v19, 4, v19
	v_lshlrev_b32_e32 v17, 23, v17
	v_add_u32_e32 v18, 0x1000000, v16
	v_sub_u32_e32 v17, v19, v17
	v_ashrrev_i32_e32 v18, 8, v18
	v_add_u32_e32 v17, 0x3c000000, v17
	v_and_or_b32 v17, v18, s23, v17
	v_cmp_ne_u32_e64 s[4:5], 0, v16
	v_cndmask_b32_e64 v16, 0, v17, s[4:5]
	v_and_or_b32 v15, v15, s24, v16
	v_lshlrev_b32_e32 v16, 16, v1
	v_and_b32_e32 v17, 0x7f000000, v16
	v_ffbh_u32_e32 v18, v17
	v_min_u32_e32 v18, 32, v18
	v_sub_u32_e64 v18, v18, 4 clamp
	v_lshlrev_b32_e32 v19, v18, v17
	v_lshrrev_b32_e32 v19, 4, v19
	v_lshlrev_b32_e32 v18, 23, v18
	v_sub_u32_e32 v18, v19, v18
	v_add_u32_e32 v19, 0x1000000, v17
	v_ashrrev_i32_e32 v19, 8, v19
	v_add_u32_e32 v18, 0x3c000000, v18
	v_and_or_b32 v18, v19, s23, v18
	v_cmp_ne_u32_e64 s[4:5], 0, v17
	v_cndmask_b32_e64 v17, 0, v18, s[4:5]
	v_and_or_b32 v16, v16, s24, v17
	v_cmp_eq_f32_e64 s[4:5], v15, v16
	v_cndmask_b32_e64 v17, 0, 1, s[4:5]
	v_cmp_neq_f32_e64 s[4:5], v15, v16
	v_cndmask_b32_e64 v15, 0, 1, s[4:5]
	v_lshlrev_b32_e32 v16, 8, v3
	v_cndmask_b32_e32 v15, v15, v17, vcc
	v_and_b32_e32 v17, 0x7f000000, v16
	v_ffbh_u32_e32 v18, v17
	v_min_u32_e32 v18, 32, v18
	v_sub_u32_e64 v18, v18, 4 clamp
	v_lshlrev_b32_e32 v19, v18, v17
	v_lshrrev_b32_e32 v19, 4, v19
	v_lshlrev_b32_e32 v18, 23, v18
	v_sub_u32_e32 v18, v19, v18
	v_add_u32_e32 v19, 0x1000000, v17
	v_ashrrev_i32_e32 v19, 8, v19
	v_add_u32_e32 v18, 0x3c000000, v18
	v_and_or_b32 v18, v19, s23, v18
	v_cmp_ne_u32_e64 s[4:5], 0, v17
	v_cndmask_b32_e64 v17, 0, v18, s[4:5]
	v_and_or_b32 v16, v16, s24, v17
	v_lshlrev_b32_e32 v17, 8, v1
	v_and_b32_e32 v18, 0x7f000000, v17
	v_ffbh_u32_e32 v19, v18
	v_min_u32_e32 v19, 32, v19
	v_sub_u32_e64 v19, v19, 4 clamp
	v_lshlrev_b32_e32 v20, v19, v18
	v_lshrrev_b32_e32 v20, 4, v20
	v_lshlrev_b32_e32 v19, 23, v19
	v_sub_u32_e32 v19, v20, v19
	v_add_u32_e32 v20, 0x1000000, v18
	v_ashrrev_i32_e32 v20, 8, v20
	v_add_u32_e32 v19, 0x3c000000, v19
	v_and_or_b32 v19, v20, s23, v19
	v_cmp_ne_u32_e64 s[4:5], 0, v18
	v_cndmask_b32_e64 v18, 0, v19, s[4:5]
	v_and_or_b32 v17, v17, s24, v18
	v_cmp_eq_f32_e64 s[4:5], v16, v17
	v_cndmask_b32_e64 v18, 0, 1, s[4:5]
	v_cmp_neq_f32_e64 s[4:5], v16, v17
	v_cndmask_b32_e64 v16, 0, 1, s[4:5]
	v_and_b32_e32 v17, 0x7f000000, v3
	v_cndmask_b32_e32 v16, v16, v18, vcc
	v_ffbh_u32_e32 v18, v17
	v_min_u32_e32 v18, 32, v18
	v_sub_u32_e64 v18, v18, 4 clamp
	v_lshlrev_b32_e32 v19, v18, v17
	v_lshrrev_b32_e32 v19, 4, v19
	v_lshlrev_b32_e32 v18, 23, v18
	v_sub_u32_e32 v18, v19, v18
	v_add_u32_e32 v19, 0x1000000, v17
	v_ashrrev_i32_e32 v19, 8, v19
	v_add_u32_e32 v18, 0x3c000000, v18
	v_and_or_b32 v18, v19, s23, v18
	v_and_b32_e32 v19, 0x7f000000, v1
	v_ffbh_u32_e32 v20, v19
	v_min_u32_e32 v20, 32, v20
	v_sub_u32_e64 v20, v20, 4 clamp
	v_lshlrev_b32_e32 v21, v20, v19
	v_lshrrev_b32_e32 v21, 4, v21
	v_lshlrev_b32_e32 v20, 23, v20
	v_sub_u32_e32 v20, v21, v20
	v_add_u32_e32 v21, 0x1000000, v19
	v_ashrrev_i32_e32 v21, 8, v21
	v_add_u32_e32 v20, 0x3c000000, v20
	v_cmp_ne_u32_e64 s[4:5], 0, v17
	v_and_or_b32 v20, v21, s23, v20
	v_cndmask_b32_e64 v17, 0, v18, s[4:5]
	v_cmp_ne_u32_e64 s[4:5], 0, v19
	v_and_or_b32 v3, v3, s24, v17
	v_cndmask_b32_e64 v17, 0, v20, s[4:5]
	v_and_or_b32 v1, v1, s24, v17
	v_cmp_eq_f32_e64 s[4:5], v3, v1
	v_cndmask_b32_e64 v17, 0, 1, s[4:5]
	v_cmp_neq_f32_e64 s[4:5], v3, v1
	v_cndmask_b32_e64 v1, 0, 1, s[4:5]
	v_lshlrev_b32_e32 v3, 16, v4
	v_cndmask_b32_e32 v1, v1, v17, vcc
	v_and_b32_e32 v17, 0x7f000000, v3
	v_ffbh_u32_e32 v18, v17
	v_min_u32_e32 v18, 32, v18
	v_sub_u32_e64 v18, v18, 4 clamp
	v_lshlrev_b32_e32 v19, v18, v17
	v_lshrrev_b32_e32 v19, 4, v19
	v_lshlrev_b32_e32 v18, 23, v18
	v_sub_u32_e32 v18, v19, v18
	v_add_u32_e32 v19, 0x1000000, v17
	v_ashrrev_i32_e32 v19, 8, v19
	v_add_u32_e32 v18, 0x3c000000, v18
	v_and_or_b32 v18, v19, s23, v18
	v_cmp_ne_u32_e64 s[4:5], 0, v17
	v_cndmask_b32_e64 v17, 0, v18, s[4:5]
	v_and_or_b32 v3, v3, s24, v17
	v_lshlrev_b32_e32 v17, 16, v2
	v_and_b32_e32 v18, 0x7f000000, v17
	v_ffbh_u32_e32 v19, v18
	v_min_u32_e32 v19, 32, v19
	v_sub_u32_e64 v19, v19, 4 clamp
	v_lshlrev_b32_e32 v20, v19, v18
	v_lshrrev_b32_e32 v20, 4, v20
	v_lshlrev_b32_e32 v19, 23, v19
	v_sub_u32_e32 v19, v20, v19
	v_add_u32_e32 v20, 0x1000000, v18
	v_ashrrev_i32_e32 v20, 8, v20
	v_add_u32_e32 v19, 0x3c000000, v19
	v_and_or_b32 v19, v20, s23, v19
	v_cmp_ne_u32_e64 s[4:5], 0, v18
	v_cndmask_b32_e64 v18, 0, v19, s[4:5]
	v_and_or_b32 v17, v17, s24, v18
	v_cmp_eq_f32_e64 s[4:5], v3, v17
	v_cmp_neq_f32_e64 s[8:9], v3, v17
	v_lshlrev_b32_e32 v3, 24, v4
	v_and_b32_e32 v17, 0x7f000000, v3
	v_ffbh_u32_e32 v18, v17
	v_min_u32_e32 v18, 32, v18
	v_sub_u32_e64 v18, v18, 4 clamp
	v_lshlrev_b32_e32 v19, v18, v17
	v_lshrrev_b32_e32 v19, 4, v19
	v_lshlrev_b32_e32 v18, 23, v18
	v_sub_u32_e32 v18, v19, v18
	v_add_u32_e32 v19, 0x1000000, v17
	v_ashrrev_i32_e32 v19, 8, v19
	v_add_u32_e32 v18, 0x3c000000, v18
	v_and_or_b32 v18, v19, s23, v18
	v_cmp_ne_u32_e64 s[10:11], 0, v17
	v_cndmask_b32_e64 v17, 0, v18, s[10:11]
	v_and_or_b32 v3, v3, s24, v17
	v_lshlrev_b32_e32 v17, 24, v2
	v_and_b32_e32 v18, 0x7f000000, v17
	v_ffbh_u32_e32 v19, v18
	v_min_u32_e32 v19, 32, v19
	v_sub_u32_e64 v19, v19, 4 clamp
	v_lshlrev_b32_e32 v20, v19, v18
	v_lshrrev_b32_e32 v20, 4, v20
	v_lshlrev_b32_e32 v19, 23, v19
	v_sub_u32_e32 v19, v20, v19
	v_add_u32_e32 v20, 0x1000000, v18
	v_ashrrev_i32_e32 v20, 8, v20
	v_add_u32_e32 v19, 0x3c000000, v19
	v_and_or_b32 v19, v20, s23, v19
	v_cmp_ne_u32_e64 s[10:11], 0, v18
	v_cndmask_b32_e64 v18, 0, v19, s[10:11]
	v_and_or_b32 v17, v17, s24, v18
	v_cmp_neq_f32_e64 s[10:11], v3, v17
	v_cmp_eq_f32_e64 s[12:13], v3, v17
	v_cndmask_b32_e64 v3, 0, 1, s[12:13]
	v_cndmask_b32_e64 v17, 0, 1, s[10:11]
	v_cndmask_b32_e32 v3, v17, v3, vcc
	v_cndmask_b32_e64 v17, 0, 1, s[4:5]
	v_cndmask_b32_e64 v18, 0, 1, s[8:9]
	v_cndmask_b32_e32 v17, v18, v17, vcc
	v_and_b32_e32 v18, 0x7f000000, v4
	v_ffbh_u32_e32 v19, v18
	v_min_u32_e32 v19, 32, v19
	v_sub_u32_e64 v19, v19, 4 clamp
	v_lshlrev_b32_e32 v20, v19, v18
	v_lshrrev_b32_e32 v20, 4, v20
	v_lshlrev_b32_e32 v19, 23, v19
	v_sub_u32_e32 v19, v20, v19
	v_add_u32_e32 v20, 0x1000000, v18
	v_ashrrev_i32_e32 v20, 8, v20
	v_add_u32_e32 v19, 0x3c000000, v19
	v_and_or_b32 v19, v20, s23, v19
	v_cmp_ne_u32_e64 s[4:5], 0, v18
	v_cndmask_b32_e64 v18, 0, v19, s[4:5]
	v_and_or_b32 v18, v4, s24, v18
	v_lshlrev_b32_e32 v4, 8, v4
	v_and_b32_e32 v19, 0x7f000000, v4
	v_ffbh_u32_e32 v20, v19
	v_min_u32_e32 v20, 32, v20
	v_sub_u32_e64 v20, v20, 4 clamp
	v_lshlrev_b32_e32 v21, v20, v19
	v_lshrrev_b32_e32 v21, 4, v21
	v_lshlrev_b32_e32 v20, 23, v20
	v_sub_u32_e32 v20, v21, v20
	v_add_u32_e32 v21, 0x1000000, v19
	v_ashrrev_i32_e32 v21, 8, v21
	v_add_u32_e32 v20, 0x3c000000, v20
	v_and_or_b32 v20, v21, s23, v20
	v_cmp_ne_u32_e64 s[4:5], 0, v19
	v_cndmask_b32_e64 v19, 0, v20, s[4:5]
	v_and_or_b32 v4, v4, s24, v19
	v_and_b32_e32 v19, 0x7f000000, v2
	v_ffbh_u32_e32 v20, v19
	v_min_u32_e32 v20, 32, v20
	v_sub_u32_e64 v20, v20, 4 clamp
	v_lshlrev_b32_e32 v21, v20, v19
	v_lshrrev_b32_e32 v21, 4, v21
	v_lshlrev_b32_e32 v20, 23, v20
	v_sub_u32_e32 v20, v21, v20
	v_add_u32_e32 v21, 0x1000000, v19
	v_ashrrev_i32_e32 v21, 8, v21
	v_add_u32_e32 v20, 0x3c000000, v20
	v_and_or_b32 v20, v21, s23, v20
	v_cmp_ne_u32_e64 s[4:5], 0, v19
	v_cndmask_b32_e64 v19, 0, v20, s[4:5]
	v_and_or_b32 v19, v2, s24, v19
	v_lshlrev_b32_e32 v2, 8, v2
	v_and_b32_e32 v20, 0x7f000000, v2
	v_ffbh_u32_e32 v21, v20
	v_min_u32_e32 v21, 32, v21
	v_sub_u32_e64 v21, v21, 4 clamp
	v_lshlrev_b32_e32 v22, v21, v20
	v_lshrrev_b32_e32 v22, 4, v22
	v_lshlrev_b32_e32 v21, 23, v21
	v_sub_u32_e32 v21, v22, v21
	v_add_u32_e32 v22, 0x1000000, v20
	v_ashrrev_i32_e32 v22, 8, v22
	v_add_u32_e32 v21, 0x3c000000, v21
	v_and_or_b32 v21, v22, s23, v21
	v_cmp_ne_u32_e64 s[4:5], 0, v20
	v_cndmask_b32_e64 v20, 0, v21, s[4:5]
	v_and_or_b32 v2, v2, s24, v20
	v_cmp_neq_f32_e64 s[4:5], v4, v2
	v_cmp_eq_f32_e64 s[8:9], v4, v2
	v_cndmask_b32_e64 v2, 0, 1, s[8:9]
	v_cndmask_b32_e64 v4, 0, 1, s[4:5]
	v_cmp_neq_f32_e64 s[4:5], v18, v19
	v_cmp_eq_f32_e64 s[8:9], v18, v19
	v_cndmask_b32_e64 v18, 0, 1, s[8:9]
	v_cndmask_b32_e64 v19, 0, 1, s[4:5]
	v_cndmask_b32_e32 v2, v4, v2, vcc
	v_mov_b32_e32 v4, 1
	v_cndmask_b32_e32 v18, v19, v18, vcc
	v_and_b32_sdwa v10, v10, v4 dst_sel:BYTE_1 dst_unused:UNUSED_PAD src0_sel:DWORD src1_sel:DWORD
	v_and_b32_sdwa v5, v5, v4 dst_sel:BYTE_1 dst_unused:UNUSED_PAD src0_sel:DWORD src1_sel:DWORD
	;; [unrolled: 1-line block ×6, first 2 shown]
	v_and_b32_e32 v3, 1, v3
	v_and_b32_sdwa v17, v17, v4 dst_sel:BYTE_1 dst_unused:UNUSED_PAD src0_sel:DWORD src1_sel:DWORD
	v_and_b32_e32 v2, 1, v2
	v_and_b32_sdwa v4, v18, v4 dst_sel:BYTE_1 dst_unused:UNUSED_PAD src0_sel:DWORD src1_sel:DWORD
	v_and_b32_e32 v8, 1, v8
	v_and_b32_e32 v16, 1, v16
	v_or_b32_e32 v3, v3, v17
	v_or_b32_sdwa v2, v2, v4 dst_sel:WORD_1 dst_unused:UNUSED_PAD src0_sel:DWORD src1_sel:DWORD
	v_and_b32_e32 v7, 1, v7
	v_and_b32_e32 v14, 1, v14
	v_or_b32_sdwa v2, v3, v2 dst_sel:DWORD dst_unused:UNUSED_PAD src0_sel:WORD_0 src1_sel:DWORD
	v_or_b32_e32 v3, v8, v15
	v_or_b32_sdwa v1, v16, v1 dst_sel:WORD_1 dst_unused:UNUSED_PAD src0_sel:DWORD src1_sel:DWORD
	v_and_b32_e32 v11, 1, v11
	v_and_b32_e32 v12, 1, v12
	v_or_b32_sdwa v1, v3, v1 dst_sel:DWORD dst_unused:UNUSED_PAD src0_sel:WORD_0 src1_sel:DWORD
	v_or_b32_e32 v3, v7, v13
	v_or_b32_sdwa v4, v14, v6 dst_sel:WORD_1 dst_unused:UNUSED_PAD src0_sel:DWORD src1_sel:DWORD
	v_or_b32_sdwa v4, v3, v4 dst_sel:DWORD dst_unused:UNUSED_PAD src0_sel:WORD_0 src1_sel:DWORD
	v_or_b32_e32 v3, v11, v10
	v_or_b32_sdwa v5, v12, v5 dst_sel:WORD_1 dst_unused:UNUSED_PAD src0_sel:DWORD src1_sel:DWORD
	s_add_u32 s4, s16, s22
	v_or_b32_sdwa v3, v3, v5 dst_sel:DWORD dst_unused:UNUSED_PAD src0_sel:WORD_0 src1_sel:DWORD
	s_addc_u32 s5, s17, s20
	global_store_dwordx2 v9, v[3:4], s[4:5]
	global_store_dwordx2 v9, v[1:2], s[4:5] offset:2048
	s_cbranch_execnz .LBB268_2
.LBB268_4:
	s_getpc_b64 s[4:5]
	s_add_u32 s4, s4, _ZN2at6native25elementwise_kernel_helperILb0ENS0_13BinaryFunctorIN3c1013Float8_e4m3fnES4_bNS0_12_GLOBAL__N_116CompareEqFunctorIS4_EEEENS0_6memory8policies11unroll_baseILi256ESt5arrayIPcLm3EE23TrivialOffsetCalculatorILi2EjESF_ILi1EjENS9_15LoadWithoutCastENS9_16StoreWithoutCastELi16ELi1EEEEEvT0_T1_@rel32@lo+4
	s_addc_u32 s5, s5, _ZN2at6native25elementwise_kernel_helperILb0ENS0_13BinaryFunctorIN3c1013Float8_e4m3fnES4_bNS0_12_GLOBAL__N_116CompareEqFunctorIS4_EEEENS0_6memory8policies11unroll_baseILi256ESt5arrayIPcLm3EE23TrivialOffsetCalculatorILi2EjESF_ILi1EjENS9_15LoadWithoutCastENS9_16StoreWithoutCastELi16ELi1EEEEEvT0_T1_@rel32@hi+12
	s_mov_b32 s12, s6
	v_mov_b32_e32 v31, v0
	v_mov_b32_e32 v0, s21
	;; [unrolled: 1-line block ×9, first 2 shown]
	s_swappc_b64 s[30:31], s[4:5]
	s_endpgm
	.section	.rodata,"a",@progbits
	.p2align	6, 0x0
	.amdhsa_kernel _ZN2at6native29vectorized_elementwise_kernelILi8ENS0_13BinaryFunctorIN3c1013Float8_e4m3fnES4_bNS0_12_GLOBAL__N_116CompareEqFunctorIS4_EEEESt5arrayIPcLm3EEEEviT0_T1_
		.amdhsa_group_segment_fixed_size 0
		.amdhsa_private_segment_fixed_size 0
		.amdhsa_kernarg_size 32
		.amdhsa_user_sgpr_count 6
		.amdhsa_user_sgpr_private_segment_buffer 1
		.amdhsa_user_sgpr_dispatch_ptr 0
		.amdhsa_user_sgpr_queue_ptr 0
		.amdhsa_user_sgpr_kernarg_segment_ptr 1
		.amdhsa_user_sgpr_dispatch_id 0
		.amdhsa_user_sgpr_flat_scratch_init 0
		.amdhsa_user_sgpr_private_segment_size 0
		.amdhsa_uses_dynamic_stack 0
		.amdhsa_system_sgpr_private_segment_wavefront_offset 0
		.amdhsa_system_sgpr_workgroup_id_x 1
		.amdhsa_system_sgpr_workgroup_id_y 0
		.amdhsa_system_sgpr_workgroup_id_z 0
		.amdhsa_system_sgpr_workgroup_info 0
		.amdhsa_system_vgpr_workitem_id 0
		.amdhsa_next_free_vgpr 55
		.amdhsa_next_free_sgpr 57
		.amdhsa_reserve_vcc 1
		.amdhsa_reserve_flat_scratch 0
		.amdhsa_float_round_mode_32 0
		.amdhsa_float_round_mode_16_64 0
		.amdhsa_float_denorm_mode_32 3
		.amdhsa_float_denorm_mode_16_64 3
		.amdhsa_dx10_clamp 1
		.amdhsa_ieee_mode 1
		.amdhsa_fp16_overflow 0
		.amdhsa_exception_fp_ieee_invalid_op 0
		.amdhsa_exception_fp_denorm_src 0
		.amdhsa_exception_fp_ieee_div_zero 0
		.amdhsa_exception_fp_ieee_overflow 0
		.amdhsa_exception_fp_ieee_underflow 0
		.amdhsa_exception_fp_ieee_inexact 0
		.amdhsa_exception_int_div_zero 0
	.end_amdhsa_kernel
	.section	.text._ZN2at6native29vectorized_elementwise_kernelILi8ENS0_13BinaryFunctorIN3c1013Float8_e4m3fnES4_bNS0_12_GLOBAL__N_116CompareEqFunctorIS4_EEEESt5arrayIPcLm3EEEEviT0_T1_,"axG",@progbits,_ZN2at6native29vectorized_elementwise_kernelILi8ENS0_13BinaryFunctorIN3c1013Float8_e4m3fnES4_bNS0_12_GLOBAL__N_116CompareEqFunctorIS4_EEEESt5arrayIPcLm3EEEEviT0_T1_,comdat
.Lfunc_end268:
	.size	_ZN2at6native29vectorized_elementwise_kernelILi8ENS0_13BinaryFunctorIN3c1013Float8_e4m3fnES4_bNS0_12_GLOBAL__N_116CompareEqFunctorIS4_EEEESt5arrayIPcLm3EEEEviT0_T1_, .Lfunc_end268-_ZN2at6native29vectorized_elementwise_kernelILi8ENS0_13BinaryFunctorIN3c1013Float8_e4m3fnES4_bNS0_12_GLOBAL__N_116CompareEqFunctorIS4_EEEESt5arrayIPcLm3EEEEviT0_T1_
                                        ; -- End function
	.set _ZN2at6native29vectorized_elementwise_kernelILi8ENS0_13BinaryFunctorIN3c1013Float8_e4m3fnES4_bNS0_12_GLOBAL__N_116CompareEqFunctorIS4_EEEESt5arrayIPcLm3EEEEviT0_T1_.num_vgpr, max(32, .L_ZN2at6native25elementwise_kernel_helperILb0ENS0_13BinaryFunctorIN3c1013Float8_e4m3fnES4_bNS0_12_GLOBAL__N_116CompareEqFunctorIS4_EEEENS0_6memory8policies11unroll_baseILi256ESt5arrayIPcLm3EE23TrivialOffsetCalculatorILi2EjESF_ILi1EjENS9_15LoadWithoutCastENS9_16StoreWithoutCastELi16ELi1EEEEEvT0_T1_.num_vgpr)
	.set _ZN2at6native29vectorized_elementwise_kernelILi8ENS0_13BinaryFunctorIN3c1013Float8_e4m3fnES4_bNS0_12_GLOBAL__N_116CompareEqFunctorIS4_EEEESt5arrayIPcLm3EEEEviT0_T1_.num_agpr, max(0, .L_ZN2at6native25elementwise_kernel_helperILb0ENS0_13BinaryFunctorIN3c1013Float8_e4m3fnES4_bNS0_12_GLOBAL__N_116CompareEqFunctorIS4_EEEENS0_6memory8policies11unroll_baseILi256ESt5arrayIPcLm3EE23TrivialOffsetCalculatorILi2EjESF_ILi1EjENS9_15LoadWithoutCastENS9_16StoreWithoutCastELi16ELi1EEEEEvT0_T1_.num_agpr)
	.set _ZN2at6native29vectorized_elementwise_kernelILi8ENS0_13BinaryFunctorIN3c1013Float8_e4m3fnES4_bNS0_12_GLOBAL__N_116CompareEqFunctorIS4_EEEESt5arrayIPcLm3EEEEviT0_T1_.numbered_sgpr, max(33, .L_ZN2at6native25elementwise_kernel_helperILb0ENS0_13BinaryFunctorIN3c1013Float8_e4m3fnES4_bNS0_12_GLOBAL__N_116CompareEqFunctorIS4_EEEENS0_6memory8policies11unroll_baseILi256ESt5arrayIPcLm3EE23TrivialOffsetCalculatorILi2EjESF_ILi1EjENS9_15LoadWithoutCastENS9_16StoreWithoutCastELi16ELi1EEEEEvT0_T1_.numbered_sgpr)
	.set _ZN2at6native29vectorized_elementwise_kernelILi8ENS0_13BinaryFunctorIN3c1013Float8_e4m3fnES4_bNS0_12_GLOBAL__N_116CompareEqFunctorIS4_EEEESt5arrayIPcLm3EEEEviT0_T1_.num_named_barrier, max(0, .L_ZN2at6native25elementwise_kernel_helperILb0ENS0_13BinaryFunctorIN3c1013Float8_e4m3fnES4_bNS0_12_GLOBAL__N_116CompareEqFunctorIS4_EEEENS0_6memory8policies11unroll_baseILi256ESt5arrayIPcLm3EE23TrivialOffsetCalculatorILi2EjESF_ILi1EjENS9_15LoadWithoutCastENS9_16StoreWithoutCastELi16ELi1EEEEEvT0_T1_.num_named_barrier)
	.set _ZN2at6native29vectorized_elementwise_kernelILi8ENS0_13BinaryFunctorIN3c1013Float8_e4m3fnES4_bNS0_12_GLOBAL__N_116CompareEqFunctorIS4_EEEESt5arrayIPcLm3EEEEviT0_T1_.private_seg_size, 0+max(.L_ZN2at6native25elementwise_kernel_helperILb0ENS0_13BinaryFunctorIN3c1013Float8_e4m3fnES4_bNS0_12_GLOBAL__N_116CompareEqFunctorIS4_EEEENS0_6memory8policies11unroll_baseILi256ESt5arrayIPcLm3EE23TrivialOffsetCalculatorILi2EjESF_ILi1EjENS9_15LoadWithoutCastENS9_16StoreWithoutCastELi16ELi1EEEEEvT0_T1_.private_seg_size)
	.set _ZN2at6native29vectorized_elementwise_kernelILi8ENS0_13BinaryFunctorIN3c1013Float8_e4m3fnES4_bNS0_12_GLOBAL__N_116CompareEqFunctorIS4_EEEESt5arrayIPcLm3EEEEviT0_T1_.uses_vcc, or(1, .L_ZN2at6native25elementwise_kernel_helperILb0ENS0_13BinaryFunctorIN3c1013Float8_e4m3fnES4_bNS0_12_GLOBAL__N_116CompareEqFunctorIS4_EEEENS0_6memory8policies11unroll_baseILi256ESt5arrayIPcLm3EE23TrivialOffsetCalculatorILi2EjESF_ILi1EjENS9_15LoadWithoutCastENS9_16StoreWithoutCastELi16ELi1EEEEEvT0_T1_.uses_vcc)
	.set _ZN2at6native29vectorized_elementwise_kernelILi8ENS0_13BinaryFunctorIN3c1013Float8_e4m3fnES4_bNS0_12_GLOBAL__N_116CompareEqFunctorIS4_EEEESt5arrayIPcLm3EEEEviT0_T1_.uses_flat_scratch, or(0, .L_ZN2at6native25elementwise_kernel_helperILb0ENS0_13BinaryFunctorIN3c1013Float8_e4m3fnES4_bNS0_12_GLOBAL__N_116CompareEqFunctorIS4_EEEENS0_6memory8policies11unroll_baseILi256ESt5arrayIPcLm3EE23TrivialOffsetCalculatorILi2EjESF_ILi1EjENS9_15LoadWithoutCastENS9_16StoreWithoutCastELi16ELi1EEEEEvT0_T1_.uses_flat_scratch)
	.set _ZN2at6native29vectorized_elementwise_kernelILi8ENS0_13BinaryFunctorIN3c1013Float8_e4m3fnES4_bNS0_12_GLOBAL__N_116CompareEqFunctorIS4_EEEESt5arrayIPcLm3EEEEviT0_T1_.has_dyn_sized_stack, or(0, .L_ZN2at6native25elementwise_kernel_helperILb0ENS0_13BinaryFunctorIN3c1013Float8_e4m3fnES4_bNS0_12_GLOBAL__N_116CompareEqFunctorIS4_EEEENS0_6memory8policies11unroll_baseILi256ESt5arrayIPcLm3EE23TrivialOffsetCalculatorILi2EjESF_ILi1EjENS9_15LoadWithoutCastENS9_16StoreWithoutCastELi16ELi1EEEEEvT0_T1_.has_dyn_sized_stack)
	.set _ZN2at6native29vectorized_elementwise_kernelILi8ENS0_13BinaryFunctorIN3c1013Float8_e4m3fnES4_bNS0_12_GLOBAL__N_116CompareEqFunctorIS4_EEEESt5arrayIPcLm3EEEEviT0_T1_.has_recursion, or(0, .L_ZN2at6native25elementwise_kernel_helperILb0ENS0_13BinaryFunctorIN3c1013Float8_e4m3fnES4_bNS0_12_GLOBAL__N_116CompareEqFunctorIS4_EEEENS0_6memory8policies11unroll_baseILi256ESt5arrayIPcLm3EE23TrivialOffsetCalculatorILi2EjESF_ILi1EjENS9_15LoadWithoutCastENS9_16StoreWithoutCastELi16ELi1EEEEEvT0_T1_.has_recursion)
	.set _ZN2at6native29vectorized_elementwise_kernelILi8ENS0_13BinaryFunctorIN3c1013Float8_e4m3fnES4_bNS0_12_GLOBAL__N_116CompareEqFunctorIS4_EEEESt5arrayIPcLm3EEEEviT0_T1_.has_indirect_call, or(0, .L_ZN2at6native25elementwise_kernel_helperILb0ENS0_13BinaryFunctorIN3c1013Float8_e4m3fnES4_bNS0_12_GLOBAL__N_116CompareEqFunctorIS4_EEEENS0_6memory8policies11unroll_baseILi256ESt5arrayIPcLm3EE23TrivialOffsetCalculatorILi2EjESF_ILi1EjENS9_15LoadWithoutCastENS9_16StoreWithoutCastELi16ELi1EEEEEvT0_T1_.has_indirect_call)
	.section	.AMDGPU.csdata,"",@progbits
; Kernel info:
; codeLenInByte = 4024
; TotalNumSgprs: 61
; NumVgprs: 55
; ScratchSize: 0
; MemoryBound: 0
; FloatMode: 240
; IeeeMode: 1
; LDSByteSize: 0 bytes/workgroup (compile time only)
; SGPRBlocks: 7
; VGPRBlocks: 13
; NumSGPRsForWavesPerEU: 61
; NumVGPRsForWavesPerEU: 55
; Occupancy: 4
; WaveLimiterHint : 1
; COMPUTE_PGM_RSRC2:SCRATCH_EN: 0
; COMPUTE_PGM_RSRC2:USER_SGPR: 6
; COMPUTE_PGM_RSRC2:TRAP_HANDLER: 0
; COMPUTE_PGM_RSRC2:TGID_X_EN: 1
; COMPUTE_PGM_RSRC2:TGID_Y_EN: 0
; COMPUTE_PGM_RSRC2:TGID_Z_EN: 0
; COMPUTE_PGM_RSRC2:TIDIG_COMP_CNT: 0
	.section	.text._ZN2at6native29vectorized_elementwise_kernelILi4ENS0_13BinaryFunctorIN3c1013Float8_e4m3fnES4_bNS0_12_GLOBAL__N_116CompareEqFunctorIS4_EEEESt5arrayIPcLm3EEEEviT0_T1_,"axG",@progbits,_ZN2at6native29vectorized_elementwise_kernelILi4ENS0_13BinaryFunctorIN3c1013Float8_e4m3fnES4_bNS0_12_GLOBAL__N_116CompareEqFunctorIS4_EEEESt5arrayIPcLm3EEEEviT0_T1_,comdat
	.globl	_ZN2at6native29vectorized_elementwise_kernelILi4ENS0_13BinaryFunctorIN3c1013Float8_e4m3fnES4_bNS0_12_GLOBAL__N_116CompareEqFunctorIS4_EEEESt5arrayIPcLm3EEEEviT0_T1_ ; -- Begin function _ZN2at6native29vectorized_elementwise_kernelILi4ENS0_13BinaryFunctorIN3c1013Float8_e4m3fnES4_bNS0_12_GLOBAL__N_116CompareEqFunctorIS4_EEEESt5arrayIPcLm3EEEEviT0_T1_
	.p2align	8
	.type	_ZN2at6native29vectorized_elementwise_kernelILi4ENS0_13BinaryFunctorIN3c1013Float8_e4m3fnES4_bNS0_12_GLOBAL__N_116CompareEqFunctorIS4_EEEESt5arrayIPcLm3EEEEviT0_T1_,@function
_ZN2at6native29vectorized_elementwise_kernelILi4ENS0_13BinaryFunctorIN3c1013Float8_e4m3fnES4_bNS0_12_GLOBAL__N_116CompareEqFunctorIS4_EEEESt5arrayIPcLm3EEEEviT0_T1_: ; @_ZN2at6native29vectorized_elementwise_kernelILi4ENS0_13BinaryFunctorIN3c1013Float8_e4m3fnES4_bNS0_12_GLOBAL__N_116CompareEqFunctorIS4_EEEESt5arrayIPcLm3EEEEviT0_T1_
; %bb.0:
	s_load_dwordx2 s[12:13], s[4:5], 0x0
	s_load_dwordx4 s[16:19], s[4:5], 0x8
	s_load_dwordx2 s[10:11], s[4:5], 0x18
	s_add_u32 s0, s0, s7
	s_addc_u32 s1, s1, 0
	s_lshl_b32 s14, s6, 12
	s_waitcnt lgkmcnt(0)
	s_sub_i32 s7, s12, s14
	s_cmpk_gt_i32 s7, 0xfff
	s_mov_b64 s[4:5], -1
	s_mov_b32 s32, 0
	s_cbranch_scc1 .LBB269_3
; %bb.1:
	s_andn2_b64 vcc, exec, s[4:5]
	s_cbranch_vccz .LBB269_4
.LBB269_2:
	s_endpgm
.LBB269_3:
	s_ashr_i32 s12, s14, 31
	s_add_u32 s4, s18, s14
	s_addc_u32 s5, s19, s12
	v_lshlrev_b32_e32 v1, 2, v0
	global_load_dword v8, v1, s[4:5]
	s_add_u32 s8, s10, s14
	s_addc_u32 s9, s11, s12
	global_load_dword v9, v1, s[8:9]
	global_load_dword v10, v1, s[4:5] offset:1024
	global_load_dword v11, v1, s[4:5] offset:2048
	;; [unrolled: 1-line block ×6, first 2 shown]
	s_mov_b32 s15, 0x7f800000
	s_brev_b32 s20, 1
	s_cmp_eq_u32 s13, 0
	s_waitcnt vmcnt(7)
	v_lshlrev_b32_e32 v4, 24, v8
	v_and_b32_e32 v6, 0x7f000000, v4
	v_lshlrev_b32_e32 v5, 16, v8
	v_ffbh_u32_e32 v14, v6
	v_and_b32_e32 v13, 0x7f000000, v5
	v_min_u32_e32 v14, 32, v14
	v_ffbh_u32_e32 v17, v13
	v_sub_u32_e64 v14, v14, 4 clamp
	v_min_u32_e32 v17, 32, v17
	v_lshlrev_b32_e32 v19, v14, v6
	v_sub_u32_e64 v17, v17, 4 clamp
	v_lshlrev_b32_e32 v14, 23, v14
	v_lshrrev_b32_e32 v19, 4, v19
	v_sub_u32_e32 v14, v19, v14
	v_lshlrev_b32_e32 v19, v17, v13
	v_add_u32_e32 v15, 0x1000000, v6
	s_waitcnt vmcnt(6)
	v_lshlrev_b32_e32 v16, 24, v9
	v_lshlrev_b32_e32 v17, 23, v17
	v_lshrrev_b32_e32 v19, 4, v19
	v_ashrrev_i32_e32 v15, 8, v15
	v_sub_u32_e32 v17, v19, v17
	v_and_b32_e32 v19, 0x7f000000, v16
	v_add_u32_e32 v14, 0x3c000000, v14
	v_and_or_b32 v14, v15, s15, v14
	v_ffbh_u32_e32 v15, v19
	v_min_u32_e32 v15, 32, v15
	v_sub_u32_e64 v15, v15, 4 clamp
	v_cmp_ne_u32_e32 vcc, 0, v6
	v_lshlrev_b32_e32 v6, v15, v19
	v_add_u32_e32 v18, 0x1000000, v13
	v_lshlrev_b32_e32 v15, 23, v15
	v_lshrrev_b32_e32 v6, 4, v6
	v_sub_u32_e32 v6, v6, v15
	v_lshlrev_b32_e32 v15, 16, v9
	v_ashrrev_i32_e32 v18, 8, v18
	v_add_u32_e32 v17, 0x3c000000, v17
	v_and_or_b32 v17, v18, s15, v17
	v_and_b32_e32 v18, 0x7f000000, v15
	v_cmp_ne_u32_e64 s[4:5], 0, v13
	v_ffbh_u32_e32 v13, v18
	v_min_u32_e32 v13, 32, v13
	v_sub_u32_e64 v13, v13, 4 clamp
	v_cndmask_b32_e32 v14, 0, v14, vcc
	v_lshlrev_b32_e32 v20, v13, v18
	v_and_or_b32 v4, v4, s20, v14
	v_add_u32_e32 v14, 0x1000000, v19
	v_lshlrev_b32_e32 v13, 23, v13
	v_lshrrev_b32_e32 v20, 4, v20
	v_ashrrev_i32_e32 v14, 8, v14
	v_add_u32_e32 v6, 0x3c000000, v6
	v_cndmask_b32_e64 v17, 0, v17, s[4:5]
	v_sub_u32_e32 v13, v20, v13
	v_and_or_b32 v6, v14, s15, v6
	v_cmp_ne_u32_e32 vcc, 0, v19
	v_and_or_b32 v5, v5, s20, v17
	v_add_u32_e32 v17, 0x1000000, v18
	v_ashrrev_i32_e32 v17, 8, v17
	v_add_u32_e32 v13, 0x3c000000, v13
	v_cndmask_b32_e32 v6, 0, v6, vcc
	v_and_or_b32 v13, v17, s15, v13
	v_cmp_ne_u32_e64 s[4:5], 0, v18
	v_and_or_b32 v6, v16, s20, v6
	v_lshlrev_b32_e32 v14, 8, v8
	v_cndmask_b32_e64 v13, 0, v13, s[4:5]
	v_cmp_eq_f32_e32 vcc, v4, v6
	v_and_b32_e32 v19, 0x7f000000, v14
	v_and_or_b32 v13, v15, s20, v13
	v_cndmask_b32_e64 v15, 0, 1, vcc
	v_cmp_neq_f32_e32 vcc, v4, v6
	v_ffbh_u32_e32 v17, v19
	v_cndmask_b32_e64 v4, 0, 1, vcc
	v_cmp_eq_f32_e32 vcc, v5, v13
	v_min_u32_e32 v17, 32, v17
	v_cndmask_b32_e64 v6, 0, 1, vcc
	v_cmp_neq_f32_e32 vcc, v5, v13
	v_sub_u32_e64 v17, v17, 4 clamp
	v_cndmask_b32_e64 v13, 0, 1, vcc
	s_cselect_b64 vcc, -1, 0
	v_cndmask_b32_e32 v5, v4, v15, vcc
	v_cndmask_b32_e32 v4, v13, v6, vcc
	v_lshlrev_b32_e32 v6, v17, v19
	v_lshrrev_b32_e32 v6, 4, v6
	v_lshlrev_b32_e32 v13, 23, v17
	v_add_u32_e32 v18, 0x1000000, v19
	v_sub_u32_e32 v6, v6, v13
	v_ashrrev_i32_e32 v18, 8, v18
	v_add_u32_e32 v6, 0x3c000000, v6
	v_and_or_b32 v6, v18, s15, v6
	v_cmp_ne_u32_e64 s[4:5], 0, v19
	v_cndmask_b32_e64 v6, 0, v6, s[4:5]
	v_lshlrev_b32_e32 v13, 8, v9
	v_and_or_b32 v6, v14, s20, v6
	v_and_b32_e32 v14, 0x7f000000, v13
	v_ffbh_u32_e32 v15, v14
	v_min_u32_e32 v15, 32, v15
	v_sub_u32_e64 v15, v15, 4 clamp
	v_lshlrev_b32_e32 v17, v15, v14
	v_lshrrev_b32_e32 v17, 4, v17
	v_lshlrev_b32_e32 v15, 23, v15
	v_add_u32_e32 v16, 0x1000000, v14
	v_sub_u32_e32 v15, v17, v15
	v_ashrrev_i32_e32 v16, 8, v16
	v_add_u32_e32 v15, 0x3c000000, v15
	v_and_or_b32 v15, v16, s15, v15
	v_cmp_ne_u32_e64 s[4:5], 0, v14
	v_cndmask_b32_e64 v14, 0, v15, s[4:5]
	v_and_or_b32 v13, v13, s20, v14
	v_cmp_eq_f32_e64 s[4:5], v6, v13
	v_cndmask_b32_e64 v14, 0, 1, s[4:5]
	v_cmp_neq_f32_e64 s[4:5], v6, v13
	v_cndmask_b32_e64 v6, 0, 1, s[4:5]
	v_and_b32_e32 v13, 0x7f000000, v8
	v_cndmask_b32_e32 v6, v6, v14, vcc
	v_ffbh_u32_e32 v14, v13
	v_min_u32_e32 v14, 32, v14
	v_sub_u32_e64 v14, v14, 4 clamp
	v_lshlrev_b32_e32 v16, v14, v13
	v_lshrrev_b32_e32 v16, 4, v16
	v_lshlrev_b32_e32 v14, 23, v14
	v_add_u32_e32 v15, 0x1000000, v13
	v_sub_u32_e32 v14, v16, v14
	v_ashrrev_i32_e32 v15, 8, v15
	v_add_u32_e32 v14, 0x3c000000, v14
	v_and_or_b32 v14, v15, s15, v14
	v_cmp_ne_u32_e64 s[4:5], 0, v13
	v_cndmask_b32_e64 v13, 0, v14, s[4:5]
	v_and_or_b32 v8, v8, s20, v13
	v_and_b32_e32 v13, 0x7f000000, v9
	v_ffbh_u32_e32 v14, v13
	v_min_u32_e32 v14, 32, v14
	v_sub_u32_e64 v14, v14, 4 clamp
	v_lshlrev_b32_e32 v16, v14, v13
	v_lshrrev_b32_e32 v16, 4, v16
	v_lshlrev_b32_e32 v14, 23, v14
	v_add_u32_e32 v15, 0x1000000, v13
	v_sub_u32_e32 v14, v16, v14
	v_ashrrev_i32_e32 v15, 8, v15
	v_add_u32_e32 v14, 0x3c000000, v14
	v_and_or_b32 v14, v15, s15, v14
	v_cmp_ne_u32_e64 s[4:5], 0, v13
	v_cndmask_b32_e64 v13, 0, v14, s[4:5]
	v_and_or_b32 v9, v9, s20, v13
	v_cmp_eq_f32_e64 s[4:5], v8, v9
	v_cndmask_b32_e64 v13, 0, 1, s[4:5]
	v_cmp_neq_f32_e64 s[4:5], v8, v9
	v_cndmask_b32_e64 v8, 0, 1, s[4:5]
	s_waitcnt vmcnt(5)
	v_lshlrev_b32_e32 v9, 24, v10
	v_cndmask_b32_e32 v8, v8, v13, vcc
	v_and_b32_e32 v13, 0x7f000000, v9
	v_ffbh_u32_e32 v14, v13
	v_min_u32_e32 v14, 32, v14
	v_sub_u32_e64 v14, v14, 4 clamp
	v_lshlrev_b32_e32 v16, v14, v13
	v_lshrrev_b32_e32 v16, 4, v16
	v_lshlrev_b32_e32 v14, 23, v14
	v_add_u32_e32 v15, 0x1000000, v13
	v_sub_u32_e32 v14, v16, v14
	v_ashrrev_i32_e32 v15, 8, v15
	v_add_u32_e32 v14, 0x3c000000, v14
	v_and_or_b32 v14, v15, s15, v14
	v_cmp_ne_u32_e64 s[4:5], 0, v13
	v_cndmask_b32_e64 v13, 0, v14, s[4:5]
	v_and_or_b32 v9, v9, s20, v13
	s_waitcnt vmcnt(2)
	v_lshlrev_b32_e32 v13, 24, v12
	v_and_b32_e32 v14, 0x7f000000, v13
	v_ffbh_u32_e32 v15, v14
	v_min_u32_e32 v15, 32, v15
	v_sub_u32_e64 v15, v15, 4 clamp
	v_lshlrev_b32_e32 v17, v15, v14
	v_lshrrev_b32_e32 v17, 4, v17
	v_lshlrev_b32_e32 v15, 23, v15
	v_add_u32_e32 v16, 0x1000000, v14
	v_sub_u32_e32 v15, v17, v15
	v_ashrrev_i32_e32 v16, 8, v16
	v_add_u32_e32 v15, 0x3c000000, v15
	v_and_or_b32 v15, v16, s15, v15
	v_cmp_ne_u32_e64 s[4:5], 0, v14
	v_cndmask_b32_e64 v14, 0, v15, s[4:5]
	v_and_or_b32 v13, v13, s20, v14
	v_cmp_eq_f32_e64 s[4:5], v9, v13
	v_cndmask_b32_e64 v14, 0, 1, s[4:5]
	v_cmp_neq_f32_e64 s[4:5], v9, v13
	v_cndmask_b32_e64 v9, 0, 1, s[4:5]
	v_lshlrev_b32_e32 v13, 16, v10
	v_cndmask_b32_e32 v9, v9, v14, vcc
	v_and_b32_e32 v14, 0x7f000000, v13
	v_ffbh_u32_e32 v15, v14
	v_min_u32_e32 v15, 32, v15
	v_sub_u32_e64 v15, v15, 4 clamp
	v_lshlrev_b32_e32 v17, v15, v14
	v_lshrrev_b32_e32 v17, 4, v17
	v_lshlrev_b32_e32 v15, 23, v15
	v_add_u32_e32 v16, 0x1000000, v14
	v_sub_u32_e32 v15, v17, v15
	v_ashrrev_i32_e32 v16, 8, v16
	v_add_u32_e32 v15, 0x3c000000, v15
	v_and_or_b32 v15, v16, s15, v15
	v_cmp_ne_u32_e64 s[4:5], 0, v14
	v_cndmask_b32_e64 v14, 0, v15, s[4:5]
	v_and_or_b32 v13, v13, s20, v14
	v_lshlrev_b32_e32 v14, 16, v12
	v_and_b32_e32 v15, 0x7f000000, v14
	v_ffbh_u32_e32 v16, v15
	v_min_u32_e32 v16, 32, v16
	v_sub_u32_e64 v16, v16, 4 clamp
	v_lshlrev_b32_e32 v18, v16, v15
	v_lshrrev_b32_e32 v18, 4, v18
	v_lshlrev_b32_e32 v16, 23, v16
	v_add_u32_e32 v17, 0x1000000, v15
	v_sub_u32_e32 v16, v18, v16
	v_ashrrev_i32_e32 v17, 8, v17
	v_add_u32_e32 v16, 0x3c000000, v16
	v_and_or_b32 v16, v17, s15, v16
	v_cmp_ne_u32_e64 s[4:5], 0, v15
	v_cndmask_b32_e64 v15, 0, v16, s[4:5]
	v_and_or_b32 v14, v14, s20, v15
	v_cmp_eq_f32_e64 s[4:5], v13, v14
	v_cndmask_b32_e64 v15, 0, 1, s[4:5]
	v_cmp_neq_f32_e64 s[4:5], v13, v14
	v_cndmask_b32_e64 v13, 0, 1, s[4:5]
	v_lshlrev_b32_e32 v14, 8, v10
	v_cndmask_b32_e32 v13, v13, v15, vcc
	v_and_b32_e32 v15, 0x7f000000, v14
	v_ffbh_u32_e32 v16, v15
	v_min_u32_e32 v16, 32, v16
	v_sub_u32_e64 v16, v16, 4 clamp
	v_lshlrev_b32_e32 v18, v16, v15
	v_lshrrev_b32_e32 v18, 4, v18
	v_lshlrev_b32_e32 v16, 23, v16
	v_add_u32_e32 v17, 0x1000000, v15
	v_sub_u32_e32 v16, v18, v16
	v_ashrrev_i32_e32 v17, 8, v17
	v_add_u32_e32 v16, 0x3c000000, v16
	v_and_or_b32 v16, v17, s15, v16
	v_cmp_ne_u32_e64 s[4:5], 0, v15
	v_cndmask_b32_e64 v15, 0, v16, s[4:5]
	v_and_or_b32 v14, v14, s20, v15
	v_lshlrev_b32_e32 v15, 8, v12
	v_and_b32_e32 v16, 0x7f000000, v15
	v_ffbh_u32_e32 v17, v16
	v_min_u32_e32 v17, 32, v17
	v_sub_u32_e64 v17, v17, 4 clamp
	v_lshlrev_b32_e32 v19, v17, v16
	v_lshrrev_b32_e32 v19, 4, v19
	v_lshlrev_b32_e32 v17, 23, v17
	v_add_u32_e32 v18, 0x1000000, v16
	v_sub_u32_e32 v17, v19, v17
	v_ashrrev_i32_e32 v18, 8, v18
	v_add_u32_e32 v17, 0x3c000000, v17
	v_and_or_b32 v17, v18, s15, v17
	v_cmp_ne_u32_e64 s[4:5], 0, v16
	v_cndmask_b32_e64 v16, 0, v17, s[4:5]
	v_and_or_b32 v15, v15, s20, v16
	v_cmp_eq_f32_e64 s[4:5], v14, v15
	v_cndmask_b32_e64 v16, 0, 1, s[4:5]
	v_cmp_neq_f32_e64 s[4:5], v14, v15
	v_cndmask_b32_e64 v14, 0, 1, s[4:5]
	v_and_b32_e32 v15, 0x7f000000, v10
	v_cndmask_b32_e32 v14, v14, v16, vcc
	v_ffbh_u32_e32 v16, v15
	v_min_u32_e32 v16, 32, v16
	v_sub_u32_e64 v16, v16, 4 clamp
	v_lshlrev_b32_e32 v18, v16, v15
	v_lshrrev_b32_e32 v18, 4, v18
	v_lshlrev_b32_e32 v16, 23, v16
	v_add_u32_e32 v17, 0x1000000, v15
	v_sub_u32_e32 v16, v18, v16
	v_ashrrev_i32_e32 v17, 8, v17
	v_add_u32_e32 v16, 0x3c000000, v16
	v_and_or_b32 v16, v17, s15, v16
	v_cmp_ne_u32_e64 s[4:5], 0, v15
	v_cndmask_b32_e64 v15, 0, v16, s[4:5]
	v_and_or_b32 v10, v10, s20, v15
	v_and_b32_e32 v15, 0x7f000000, v12
	v_ffbh_u32_e32 v16, v15
	v_min_u32_e32 v16, 32, v16
	v_sub_u32_e64 v16, v16, 4 clamp
	v_lshlrev_b32_e32 v18, v16, v15
	v_lshrrev_b32_e32 v18, 4, v18
	v_lshlrev_b32_e32 v16, 23, v16
	v_add_u32_e32 v17, 0x1000000, v15
	v_sub_u32_e32 v16, v18, v16
	v_ashrrev_i32_e32 v17, 8, v17
	v_add_u32_e32 v16, 0x3c000000, v16
	v_and_or_b32 v16, v17, s15, v16
	v_cmp_ne_u32_e64 s[4:5], 0, v15
	v_cndmask_b32_e64 v15, 0, v16, s[4:5]
	v_and_or_b32 v12, v12, s20, v15
	v_cmp_eq_f32_e64 s[4:5], v10, v12
	v_cndmask_b32_e64 v15, 0, 1, s[4:5]
	v_cmp_neq_f32_e64 s[4:5], v10, v12
	v_cndmask_b32_e64 v10, 0, 1, s[4:5]
	v_lshlrev_b32_e32 v12, 24, v11
	v_cndmask_b32_e32 v10, v10, v15, vcc
	v_and_b32_e32 v15, 0x7f000000, v12
	v_ffbh_u32_e32 v16, v15
	v_min_u32_e32 v16, 32, v16
	v_sub_u32_e64 v16, v16, 4 clamp
	v_lshlrev_b32_e32 v18, v16, v15
	v_lshrrev_b32_e32 v18, 4, v18
	v_lshlrev_b32_e32 v16, 23, v16
	v_add_u32_e32 v17, 0x1000000, v15
	v_sub_u32_e32 v16, v18, v16
	v_ashrrev_i32_e32 v17, 8, v17
	v_add_u32_e32 v16, 0x3c000000, v16
	v_and_or_b32 v16, v17, s15, v16
	v_cmp_ne_u32_e64 s[4:5], 0, v15
	v_cndmask_b32_e64 v15, 0, v16, s[4:5]
	v_and_or_b32 v12, v12, s20, v15
	s_waitcnt vmcnt(1)
	v_lshlrev_b32_e32 v15, 24, v7
	v_and_b32_e32 v16, 0x7f000000, v15
	v_ffbh_u32_e32 v17, v16
	v_min_u32_e32 v17, 32, v17
	v_sub_u32_e64 v17, v17, 4 clamp
	v_lshlrev_b32_e32 v19, v17, v16
	v_lshrrev_b32_e32 v19, 4, v19
	v_lshlrev_b32_e32 v17, 23, v17
	v_add_u32_e32 v18, 0x1000000, v16
	v_sub_u32_e32 v17, v19, v17
	v_ashrrev_i32_e32 v18, 8, v18
	v_add_u32_e32 v17, 0x3c000000, v17
	v_and_or_b32 v17, v18, s15, v17
	v_cmp_ne_u32_e64 s[4:5], 0, v16
	v_cndmask_b32_e64 v16, 0, v17, s[4:5]
	v_and_or_b32 v15, v15, s20, v16
	v_cmp_eq_f32_e64 s[4:5], v12, v15
	v_cndmask_b32_e64 v16, 0, 1, s[4:5]
	v_cmp_neq_f32_e64 s[4:5], v12, v15
	v_cndmask_b32_e64 v12, 0, 1, s[4:5]
	v_lshlrev_b32_e32 v15, 16, v11
	v_cndmask_b32_e32 v12, v12, v16, vcc
	v_and_b32_e32 v16, 0x7f000000, v15
	v_ffbh_u32_e32 v17, v16
	v_min_u32_e32 v17, 32, v17
	v_sub_u32_e64 v17, v17, 4 clamp
	v_lshlrev_b32_e32 v19, v17, v16
	v_lshrrev_b32_e32 v19, 4, v19
	v_lshlrev_b32_e32 v17, 23, v17
	v_add_u32_e32 v18, 0x1000000, v16
	v_sub_u32_e32 v17, v19, v17
	v_ashrrev_i32_e32 v18, 8, v18
	v_add_u32_e32 v17, 0x3c000000, v17
	v_and_or_b32 v17, v18, s15, v17
	v_cmp_ne_u32_e64 s[4:5], 0, v16
	v_cndmask_b32_e64 v16, 0, v17, s[4:5]
	v_and_or_b32 v15, v15, s20, v16
	v_lshlrev_b32_e32 v16, 16, v7
	v_and_b32_e32 v17, 0x7f000000, v16
	v_ffbh_u32_e32 v18, v17
	v_min_u32_e32 v18, 32, v18
	v_sub_u32_e64 v18, v18, 4 clamp
	v_lshlrev_b32_e32 v19, v18, v17
	v_lshrrev_b32_e32 v19, 4, v19
	v_lshlrev_b32_e32 v18, 23, v18
	v_sub_u32_e32 v18, v19, v18
	v_add_u32_e32 v19, 0x1000000, v17
	v_ashrrev_i32_e32 v19, 8, v19
	v_add_u32_e32 v18, 0x3c000000, v18
	v_and_or_b32 v18, v19, s15, v18
	v_cmp_ne_u32_e64 s[4:5], 0, v17
	v_cndmask_b32_e64 v17, 0, v18, s[4:5]
	v_and_or_b32 v16, v16, s20, v17
	v_cmp_eq_f32_e64 s[4:5], v15, v16
	v_cndmask_b32_e64 v17, 0, 1, s[4:5]
	v_cmp_neq_f32_e64 s[4:5], v15, v16
	v_cndmask_b32_e64 v15, 0, 1, s[4:5]
	v_lshlrev_b32_e32 v16, 8, v11
	v_cndmask_b32_e32 v15, v15, v17, vcc
	v_and_b32_e32 v17, 0x7f000000, v16
	v_ffbh_u32_e32 v18, v17
	v_min_u32_e32 v18, 32, v18
	v_sub_u32_e64 v18, v18, 4 clamp
	v_lshlrev_b32_e32 v19, v18, v17
	v_lshrrev_b32_e32 v19, 4, v19
	v_lshlrev_b32_e32 v18, 23, v18
	v_sub_u32_e32 v18, v19, v18
	v_add_u32_e32 v19, 0x1000000, v17
	v_ashrrev_i32_e32 v19, 8, v19
	v_add_u32_e32 v18, 0x3c000000, v18
	v_and_or_b32 v18, v19, s15, v18
	v_cmp_ne_u32_e64 s[4:5], 0, v17
	v_cndmask_b32_e64 v17, 0, v18, s[4:5]
	v_and_or_b32 v16, v16, s20, v17
	v_lshlrev_b32_e32 v17, 8, v7
	v_and_b32_e32 v18, 0x7f000000, v17
	v_ffbh_u32_e32 v19, v18
	v_min_u32_e32 v19, 32, v19
	v_sub_u32_e64 v19, v19, 4 clamp
	v_lshlrev_b32_e32 v20, v19, v18
	v_lshrrev_b32_e32 v20, 4, v20
	v_lshlrev_b32_e32 v19, 23, v19
	v_sub_u32_e32 v19, v20, v19
	v_add_u32_e32 v20, 0x1000000, v18
	v_ashrrev_i32_e32 v20, 8, v20
	v_add_u32_e32 v19, 0x3c000000, v19
	v_and_or_b32 v19, v20, s15, v19
	v_cmp_ne_u32_e64 s[4:5], 0, v18
	v_cndmask_b32_e64 v18, 0, v19, s[4:5]
	v_and_or_b32 v17, v17, s20, v18
	v_cmp_eq_f32_e64 s[4:5], v16, v17
	v_cndmask_b32_e64 v18, 0, 1, s[4:5]
	v_cmp_neq_f32_e64 s[4:5], v16, v17
	v_cndmask_b32_e64 v16, 0, 1, s[4:5]
	v_and_b32_e32 v17, 0x7f000000, v11
	v_cndmask_b32_e32 v16, v16, v18, vcc
	v_ffbh_u32_e32 v18, v17
	v_min_u32_e32 v18, 32, v18
	v_sub_u32_e64 v18, v18, 4 clamp
	v_lshlrev_b32_e32 v19, v18, v17
	v_lshrrev_b32_e32 v19, 4, v19
	v_lshlrev_b32_e32 v18, 23, v18
	v_sub_u32_e32 v18, v19, v18
	v_add_u32_e32 v19, 0x1000000, v17
	v_ashrrev_i32_e32 v19, 8, v19
	v_add_u32_e32 v18, 0x3c000000, v18
	v_and_or_b32 v18, v19, s15, v18
	v_cmp_ne_u32_e64 s[4:5], 0, v17
	v_cndmask_b32_e64 v17, 0, v18, s[4:5]
	v_and_or_b32 v11, v11, s20, v17
	v_and_b32_e32 v17, 0x7f000000, v7
	v_ffbh_u32_e32 v18, v17
	v_min_u32_e32 v18, 32, v18
	v_sub_u32_e64 v18, v18, 4 clamp
	v_lshlrev_b32_e32 v19, v18, v17
	v_lshrrev_b32_e32 v19, 4, v19
	v_lshlrev_b32_e32 v18, 23, v18
	v_sub_u32_e32 v18, v19, v18
	v_add_u32_e32 v19, 0x1000000, v17
	v_ashrrev_i32_e32 v19, 8, v19
	v_add_u32_e32 v18, 0x3c000000, v18
	v_and_or_b32 v18, v19, s15, v18
	v_cmp_ne_u32_e64 s[4:5], 0, v17
	v_cndmask_b32_e64 v17, 0, v18, s[4:5]
	v_and_or_b32 v7, v7, s20, v17
	v_cmp_eq_f32_e64 s[4:5], v11, v7
	v_cndmask_b32_e64 v17, 0, 1, s[4:5]
	v_cmp_neq_f32_e64 s[4:5], v11, v7
	v_cndmask_b32_e64 v7, 0, 1, s[4:5]
	v_lshlrev_b32_e32 v11, 24, v3
	v_cndmask_b32_e32 v7, v7, v17, vcc
	v_and_b32_e32 v17, 0x7f000000, v11
	v_ffbh_u32_e32 v18, v17
	v_min_u32_e32 v18, 32, v18
	v_sub_u32_e64 v18, v18, 4 clamp
	v_lshlrev_b32_e32 v19, v18, v17
	v_lshrrev_b32_e32 v19, 4, v19
	v_lshlrev_b32_e32 v18, 23, v18
	v_sub_u32_e32 v18, v19, v18
	v_add_u32_e32 v19, 0x1000000, v17
	v_ashrrev_i32_e32 v19, 8, v19
	v_add_u32_e32 v18, 0x3c000000, v18
	v_and_or_b32 v18, v19, s15, v18
	v_cmp_ne_u32_e64 s[4:5], 0, v17
	v_cndmask_b32_e64 v17, 0, v18, s[4:5]
	v_and_or_b32 v11, v11, s20, v17
	s_waitcnt vmcnt(0)
	v_lshlrev_b32_e32 v17, 24, v2
	v_and_b32_e32 v18, 0x7f000000, v17
	v_ffbh_u32_e32 v19, v18
	v_min_u32_e32 v19, 32, v19
	v_sub_u32_e64 v19, v19, 4 clamp
	v_lshlrev_b32_e32 v20, v19, v18
	v_lshrrev_b32_e32 v20, 4, v20
	v_lshlrev_b32_e32 v19, 23, v19
	v_sub_u32_e32 v19, v20, v19
	v_add_u32_e32 v20, 0x1000000, v18
	v_ashrrev_i32_e32 v20, 8, v20
	v_add_u32_e32 v19, 0x3c000000, v19
	v_and_or_b32 v19, v20, s15, v19
	v_cmp_ne_u32_e64 s[4:5], 0, v18
	v_cndmask_b32_e64 v18, 0, v19, s[4:5]
	v_and_or_b32 v17, v17, s20, v18
	v_cmp_eq_f32_e64 s[4:5], v11, v17
	v_cndmask_b32_e64 v18, 0, 1, s[4:5]
	v_cmp_neq_f32_e64 s[4:5], v11, v17
	v_cndmask_b32_e64 v11, 0, 1, s[4:5]
	v_lshlrev_b32_e32 v17, 16, v3
	v_cndmask_b32_e32 v11, v11, v18, vcc
	v_and_b32_e32 v18, 0x7f000000, v17
	v_ffbh_u32_e32 v19, v18
	v_min_u32_e32 v19, 32, v19
	v_sub_u32_e64 v19, v19, 4 clamp
	v_lshlrev_b32_e32 v20, v19, v18
	v_lshrrev_b32_e32 v20, 4, v20
	v_lshlrev_b32_e32 v19, 23, v19
	v_sub_u32_e32 v19, v20, v19
	v_add_u32_e32 v20, 0x1000000, v18
	v_ashrrev_i32_e32 v20, 8, v20
	v_add_u32_e32 v19, 0x3c000000, v19
	v_and_or_b32 v19, v20, s15, v19
	v_cmp_ne_u32_e64 s[4:5], 0, v18
	v_cndmask_b32_e64 v18, 0, v19, s[4:5]
	v_and_or_b32 v17, v17, s20, v18
	v_lshlrev_b32_e32 v18, 16, v2
	v_and_b32_e32 v19, 0x7f000000, v18
	v_ffbh_u32_e32 v20, v19
	v_min_u32_e32 v20, 32, v20
	v_sub_u32_e64 v20, v20, 4 clamp
	v_lshlrev_b32_e32 v21, v20, v19
	v_lshrrev_b32_e32 v21, 4, v21
	v_lshlrev_b32_e32 v20, 23, v20
	v_sub_u32_e32 v20, v21, v20
	v_add_u32_e32 v21, 0x1000000, v19
	v_ashrrev_i32_e32 v21, 8, v21
	v_add_u32_e32 v20, 0x3c000000, v20
	v_and_or_b32 v20, v21, s15, v20
	v_cmp_ne_u32_e64 s[4:5], 0, v19
	v_cndmask_b32_e64 v19, 0, v20, s[4:5]
	v_and_or_b32 v18, v18, s20, v19
	v_cmp_eq_f32_e64 s[4:5], v17, v18
	v_cndmask_b32_e64 v19, 0, 1, s[4:5]
	v_cmp_neq_f32_e64 s[4:5], v17, v18
	v_cndmask_b32_e64 v17, 0, 1, s[4:5]
	v_lshlrev_b32_e32 v18, 8, v3
	v_cndmask_b32_e32 v17, v17, v19, vcc
	v_and_b32_e32 v19, 0x7f000000, v18
	v_ffbh_u32_e32 v20, v19
	v_min_u32_e32 v20, 32, v20
	v_sub_u32_e64 v20, v20, 4 clamp
	v_lshlrev_b32_e32 v21, v20, v19
	v_lshrrev_b32_e32 v21, 4, v21
	v_lshlrev_b32_e32 v20, 23, v20
	v_sub_u32_e32 v20, v21, v20
	v_add_u32_e32 v21, 0x1000000, v19
	v_ashrrev_i32_e32 v21, 8, v21
	v_add_u32_e32 v20, 0x3c000000, v20
	v_and_or_b32 v20, v21, s15, v20
	v_cmp_ne_u32_e64 s[4:5], 0, v19
	v_cndmask_b32_e64 v19, 0, v20, s[4:5]
	v_and_or_b32 v18, v18, s20, v19
	v_lshlrev_b32_e32 v19, 8, v2
	v_and_b32_e32 v20, 0x7f000000, v19
	v_ffbh_u32_e32 v21, v20
	v_min_u32_e32 v21, 32, v21
	v_sub_u32_e64 v21, v21, 4 clamp
	v_lshlrev_b32_e32 v22, v21, v20
	v_lshrrev_b32_e32 v22, 4, v22
	v_lshlrev_b32_e32 v21, 23, v21
	v_sub_u32_e32 v21, v22, v21
	v_add_u32_e32 v22, 0x1000000, v20
	v_ashrrev_i32_e32 v22, 8, v22
	v_add_u32_e32 v21, 0x3c000000, v21
	v_and_or_b32 v21, v22, s15, v21
	v_cmp_ne_u32_e64 s[4:5], 0, v20
	v_cndmask_b32_e64 v20, 0, v21, s[4:5]
	v_and_or_b32 v19, v19, s20, v20
	v_cmp_neq_f32_e64 s[4:5], v18, v19
	v_cmp_eq_f32_e64 s[8:9], v18, v19
	v_cndmask_b32_e64 v18, 0, 1, s[8:9]
	v_cndmask_b32_e64 v19, 0, 1, s[4:5]
	v_cndmask_b32_e32 v18, v19, v18, vcc
	v_and_b32_e32 v19, 0x7f000000, v3
	v_ffbh_u32_e32 v20, v19
	v_min_u32_e32 v20, 32, v20
	v_sub_u32_e64 v20, v20, 4 clamp
	v_lshlrev_b32_e32 v21, v20, v19
	v_lshrrev_b32_e32 v21, 4, v21
	v_lshlrev_b32_e32 v20, 23, v20
	v_sub_u32_e32 v20, v21, v20
	v_add_u32_e32 v21, 0x1000000, v19
	v_ashrrev_i32_e32 v21, 8, v21
	v_add_u32_e32 v20, 0x3c000000, v20
	v_and_or_b32 v20, v21, s15, v20
	v_cmp_ne_u32_e64 s[4:5], 0, v19
	v_cndmask_b32_e64 v19, 0, v20, s[4:5]
	v_and_or_b32 v3, v3, s20, v19
	v_and_b32_e32 v19, 0x7f000000, v2
	v_ffbh_u32_e32 v20, v19
	v_min_u32_e32 v20, 32, v20
	v_sub_u32_e64 v20, v20, 4 clamp
	v_lshlrev_b32_e32 v21, v20, v19
	v_lshrrev_b32_e32 v21, 4, v21
	v_lshlrev_b32_e32 v20, 23, v20
	v_sub_u32_e32 v20, v21, v20
	v_add_u32_e32 v21, 0x1000000, v19
	v_ashrrev_i32_e32 v21, 8, v21
	v_add_u32_e32 v20, 0x3c000000, v20
	v_and_or_b32 v20, v21, s15, v20
	v_cmp_ne_u32_e64 s[4:5], 0, v19
	v_cndmask_b32_e64 v19, 0, v20, s[4:5]
	v_and_or_b32 v2, v2, s20, v19
	v_cmp_neq_f32_e64 s[4:5], v3, v2
	v_cmp_eq_f32_e64 s[8:9], v3, v2
	v_cndmask_b32_e64 v2, 0, 1, s[8:9]
	v_cndmask_b32_e64 v3, 0, 1, s[4:5]
	v_mov_b32_e32 v19, 1
	v_cndmask_b32_e32 v2, v3, v2, vcc
	v_and_b32_e32 v11, 1, v11
	v_and_b32_sdwa v17, v17, v19 dst_sel:BYTE_1 dst_unused:UNUSED_PAD src0_sel:DWORD src1_sel:DWORD
	v_and_b32_e32 v18, 1, v18
	v_and_b32_sdwa v2, v2, v19 dst_sel:BYTE_1 dst_unused:UNUSED_PAD src0_sel:DWORD src1_sel:DWORD
	;; [unrolled: 2-line block ×6, first 2 shown]
	v_or_b32_e32 v3, v11, v17
	v_or_b32_sdwa v2, v18, v2 dst_sel:WORD_1 dst_unused:UNUSED_PAD src0_sel:DWORD src1_sel:DWORD
	v_and_b32_e32 v9, 1, v9
	v_and_b32_sdwa v13, v13, v19 dst_sel:BYTE_1 dst_unused:UNUSED_PAD src0_sel:DWORD src1_sel:DWORD
	v_and_b32_e32 v14, 1, v14
	v_and_b32_sdwa v10, v10, v19 dst_sel:BYTE_1 dst_unused:UNUSED_PAD src0_sel:DWORD src1_sel:DWORD
	v_or_b32_sdwa v2, v3, v2 dst_sel:DWORD dst_unused:UNUSED_PAD src0_sel:WORD_0 src1_sel:DWORD
	v_or_b32_e32 v3, v12, v15
	v_or_b32_sdwa v7, v16, v7 dst_sel:WORD_1 dst_unused:UNUSED_PAD src0_sel:DWORD src1_sel:DWORD
	v_or_b32_e32 v4, v5, v4
	v_or_b32_sdwa v5, v6, v8 dst_sel:WORD_1 dst_unused:UNUSED_PAD src0_sel:DWORD src1_sel:DWORD
	s_add_u32 s4, s16, s14
	v_or_b32_sdwa v3, v3, v7 dst_sel:DWORD dst_unused:UNUSED_PAD src0_sel:WORD_0 src1_sel:DWORD
	v_or_b32_e32 v7, v9, v13
	v_or_b32_sdwa v9, v14, v10 dst_sel:WORD_1 dst_unused:UNUSED_PAD src0_sel:DWORD src1_sel:DWORD
	v_or_b32_sdwa v4, v4, v5 dst_sel:DWORD dst_unused:UNUSED_PAD src0_sel:WORD_0 src1_sel:DWORD
	s_addc_u32 s5, s17, s12
	v_or_b32_sdwa v7, v7, v9 dst_sel:DWORD dst_unused:UNUSED_PAD src0_sel:WORD_0 src1_sel:DWORD
	global_store_dword v1, v4, s[4:5]
	global_store_dword v1, v7, s[4:5] offset:1024
	global_store_dword v1, v3, s[4:5] offset:2048
	global_store_dword v1, v2, s[4:5] offset:3072
	s_cbranch_execnz .LBB269_2
.LBB269_4:
	s_getpc_b64 s[4:5]
	s_add_u32 s4, s4, _ZN2at6native25elementwise_kernel_helperILb0ENS0_13BinaryFunctorIN3c1013Float8_e4m3fnES4_bNS0_12_GLOBAL__N_116CompareEqFunctorIS4_EEEENS0_6memory8policies11unroll_baseILi256ESt5arrayIPcLm3EE23TrivialOffsetCalculatorILi2EjESF_ILi1EjENS9_15LoadWithoutCastENS9_16StoreWithoutCastELi16ELi1EEEEEvT0_T1_@rel32@lo+4
	s_addc_u32 s5, s5, _ZN2at6native25elementwise_kernel_helperILb0ENS0_13BinaryFunctorIN3c1013Float8_e4m3fnES4_bNS0_12_GLOBAL__N_116CompareEqFunctorIS4_EEEENS0_6memory8policies11unroll_baseILi256ESt5arrayIPcLm3EE23TrivialOffsetCalculatorILi2EjESF_ILi1EjENS9_15LoadWithoutCastENS9_16StoreWithoutCastELi16ELi1EEEEEvT0_T1_@rel32@hi+12
	s_mov_b32 s12, s6
	v_mov_b32_e32 v31, v0
	v_mov_b32_e32 v0, s13
	;; [unrolled: 1-line block ×9, first 2 shown]
	s_swappc_b64 s[30:31], s[4:5]
	s_endpgm
	.section	.rodata,"a",@progbits
	.p2align	6, 0x0
	.amdhsa_kernel _ZN2at6native29vectorized_elementwise_kernelILi4ENS0_13BinaryFunctorIN3c1013Float8_e4m3fnES4_bNS0_12_GLOBAL__N_116CompareEqFunctorIS4_EEEESt5arrayIPcLm3EEEEviT0_T1_
		.amdhsa_group_segment_fixed_size 0
		.amdhsa_private_segment_fixed_size 0
		.amdhsa_kernarg_size 32
		.amdhsa_user_sgpr_count 6
		.amdhsa_user_sgpr_private_segment_buffer 1
		.amdhsa_user_sgpr_dispatch_ptr 0
		.amdhsa_user_sgpr_queue_ptr 0
		.amdhsa_user_sgpr_kernarg_segment_ptr 1
		.amdhsa_user_sgpr_dispatch_id 0
		.amdhsa_user_sgpr_flat_scratch_init 0
		.amdhsa_user_sgpr_private_segment_size 0
		.amdhsa_uses_dynamic_stack 0
		.amdhsa_system_sgpr_private_segment_wavefront_offset 0
		.amdhsa_system_sgpr_workgroup_id_x 1
		.amdhsa_system_sgpr_workgroup_id_y 0
		.amdhsa_system_sgpr_workgroup_id_z 0
		.amdhsa_system_sgpr_workgroup_info 0
		.amdhsa_system_vgpr_workitem_id 0
		.amdhsa_next_free_vgpr 55
		.amdhsa_next_free_sgpr 57
		.amdhsa_reserve_vcc 1
		.amdhsa_reserve_flat_scratch 0
		.amdhsa_float_round_mode_32 0
		.amdhsa_float_round_mode_16_64 0
		.amdhsa_float_denorm_mode_32 3
		.amdhsa_float_denorm_mode_16_64 3
		.amdhsa_dx10_clamp 1
		.amdhsa_ieee_mode 1
		.amdhsa_fp16_overflow 0
		.amdhsa_exception_fp_ieee_invalid_op 0
		.amdhsa_exception_fp_denorm_src 0
		.amdhsa_exception_fp_ieee_div_zero 0
		.amdhsa_exception_fp_ieee_overflow 0
		.amdhsa_exception_fp_ieee_underflow 0
		.amdhsa_exception_fp_ieee_inexact 0
		.amdhsa_exception_int_div_zero 0
	.end_amdhsa_kernel
	.section	.text._ZN2at6native29vectorized_elementwise_kernelILi4ENS0_13BinaryFunctorIN3c1013Float8_e4m3fnES4_bNS0_12_GLOBAL__N_116CompareEqFunctorIS4_EEEESt5arrayIPcLm3EEEEviT0_T1_,"axG",@progbits,_ZN2at6native29vectorized_elementwise_kernelILi4ENS0_13BinaryFunctorIN3c1013Float8_e4m3fnES4_bNS0_12_GLOBAL__N_116CompareEqFunctorIS4_EEEESt5arrayIPcLm3EEEEviT0_T1_,comdat
.Lfunc_end269:
	.size	_ZN2at6native29vectorized_elementwise_kernelILi4ENS0_13BinaryFunctorIN3c1013Float8_e4m3fnES4_bNS0_12_GLOBAL__N_116CompareEqFunctorIS4_EEEESt5arrayIPcLm3EEEEviT0_T1_, .Lfunc_end269-_ZN2at6native29vectorized_elementwise_kernelILi4ENS0_13BinaryFunctorIN3c1013Float8_e4m3fnES4_bNS0_12_GLOBAL__N_116CompareEqFunctorIS4_EEEESt5arrayIPcLm3EEEEviT0_T1_
                                        ; -- End function
	.set _ZN2at6native29vectorized_elementwise_kernelILi4ENS0_13BinaryFunctorIN3c1013Float8_e4m3fnES4_bNS0_12_GLOBAL__N_116CompareEqFunctorIS4_EEEESt5arrayIPcLm3EEEEviT0_T1_.num_vgpr, max(32, .L_ZN2at6native25elementwise_kernel_helperILb0ENS0_13BinaryFunctorIN3c1013Float8_e4m3fnES4_bNS0_12_GLOBAL__N_116CompareEqFunctorIS4_EEEENS0_6memory8policies11unroll_baseILi256ESt5arrayIPcLm3EE23TrivialOffsetCalculatorILi2EjESF_ILi1EjENS9_15LoadWithoutCastENS9_16StoreWithoutCastELi16ELi1EEEEEvT0_T1_.num_vgpr)
	.set _ZN2at6native29vectorized_elementwise_kernelILi4ENS0_13BinaryFunctorIN3c1013Float8_e4m3fnES4_bNS0_12_GLOBAL__N_116CompareEqFunctorIS4_EEEESt5arrayIPcLm3EEEEviT0_T1_.num_agpr, max(0, .L_ZN2at6native25elementwise_kernel_helperILb0ENS0_13BinaryFunctorIN3c1013Float8_e4m3fnES4_bNS0_12_GLOBAL__N_116CompareEqFunctorIS4_EEEENS0_6memory8policies11unroll_baseILi256ESt5arrayIPcLm3EE23TrivialOffsetCalculatorILi2EjESF_ILi1EjENS9_15LoadWithoutCastENS9_16StoreWithoutCastELi16ELi1EEEEEvT0_T1_.num_agpr)
	.set _ZN2at6native29vectorized_elementwise_kernelILi4ENS0_13BinaryFunctorIN3c1013Float8_e4m3fnES4_bNS0_12_GLOBAL__N_116CompareEqFunctorIS4_EEEESt5arrayIPcLm3EEEEviT0_T1_.numbered_sgpr, max(33, .L_ZN2at6native25elementwise_kernel_helperILb0ENS0_13BinaryFunctorIN3c1013Float8_e4m3fnES4_bNS0_12_GLOBAL__N_116CompareEqFunctorIS4_EEEENS0_6memory8policies11unroll_baseILi256ESt5arrayIPcLm3EE23TrivialOffsetCalculatorILi2EjESF_ILi1EjENS9_15LoadWithoutCastENS9_16StoreWithoutCastELi16ELi1EEEEEvT0_T1_.numbered_sgpr)
	.set _ZN2at6native29vectorized_elementwise_kernelILi4ENS0_13BinaryFunctorIN3c1013Float8_e4m3fnES4_bNS0_12_GLOBAL__N_116CompareEqFunctorIS4_EEEESt5arrayIPcLm3EEEEviT0_T1_.num_named_barrier, max(0, .L_ZN2at6native25elementwise_kernel_helperILb0ENS0_13BinaryFunctorIN3c1013Float8_e4m3fnES4_bNS0_12_GLOBAL__N_116CompareEqFunctorIS4_EEEENS0_6memory8policies11unroll_baseILi256ESt5arrayIPcLm3EE23TrivialOffsetCalculatorILi2EjESF_ILi1EjENS9_15LoadWithoutCastENS9_16StoreWithoutCastELi16ELi1EEEEEvT0_T1_.num_named_barrier)
	.set _ZN2at6native29vectorized_elementwise_kernelILi4ENS0_13BinaryFunctorIN3c1013Float8_e4m3fnES4_bNS0_12_GLOBAL__N_116CompareEqFunctorIS4_EEEESt5arrayIPcLm3EEEEviT0_T1_.private_seg_size, 0+max(.L_ZN2at6native25elementwise_kernel_helperILb0ENS0_13BinaryFunctorIN3c1013Float8_e4m3fnES4_bNS0_12_GLOBAL__N_116CompareEqFunctorIS4_EEEENS0_6memory8policies11unroll_baseILi256ESt5arrayIPcLm3EE23TrivialOffsetCalculatorILi2EjESF_ILi1EjENS9_15LoadWithoutCastENS9_16StoreWithoutCastELi16ELi1EEEEEvT0_T1_.private_seg_size)
	.set _ZN2at6native29vectorized_elementwise_kernelILi4ENS0_13BinaryFunctorIN3c1013Float8_e4m3fnES4_bNS0_12_GLOBAL__N_116CompareEqFunctorIS4_EEEESt5arrayIPcLm3EEEEviT0_T1_.uses_vcc, or(1, .L_ZN2at6native25elementwise_kernel_helperILb0ENS0_13BinaryFunctorIN3c1013Float8_e4m3fnES4_bNS0_12_GLOBAL__N_116CompareEqFunctorIS4_EEEENS0_6memory8policies11unroll_baseILi256ESt5arrayIPcLm3EE23TrivialOffsetCalculatorILi2EjESF_ILi1EjENS9_15LoadWithoutCastENS9_16StoreWithoutCastELi16ELi1EEEEEvT0_T1_.uses_vcc)
	.set _ZN2at6native29vectorized_elementwise_kernelILi4ENS0_13BinaryFunctorIN3c1013Float8_e4m3fnES4_bNS0_12_GLOBAL__N_116CompareEqFunctorIS4_EEEESt5arrayIPcLm3EEEEviT0_T1_.uses_flat_scratch, or(0, .L_ZN2at6native25elementwise_kernel_helperILb0ENS0_13BinaryFunctorIN3c1013Float8_e4m3fnES4_bNS0_12_GLOBAL__N_116CompareEqFunctorIS4_EEEENS0_6memory8policies11unroll_baseILi256ESt5arrayIPcLm3EE23TrivialOffsetCalculatorILi2EjESF_ILi1EjENS9_15LoadWithoutCastENS9_16StoreWithoutCastELi16ELi1EEEEEvT0_T1_.uses_flat_scratch)
	.set _ZN2at6native29vectorized_elementwise_kernelILi4ENS0_13BinaryFunctorIN3c1013Float8_e4m3fnES4_bNS0_12_GLOBAL__N_116CompareEqFunctorIS4_EEEESt5arrayIPcLm3EEEEviT0_T1_.has_dyn_sized_stack, or(0, .L_ZN2at6native25elementwise_kernel_helperILb0ENS0_13BinaryFunctorIN3c1013Float8_e4m3fnES4_bNS0_12_GLOBAL__N_116CompareEqFunctorIS4_EEEENS0_6memory8policies11unroll_baseILi256ESt5arrayIPcLm3EE23TrivialOffsetCalculatorILi2EjESF_ILi1EjENS9_15LoadWithoutCastENS9_16StoreWithoutCastELi16ELi1EEEEEvT0_T1_.has_dyn_sized_stack)
	.set _ZN2at6native29vectorized_elementwise_kernelILi4ENS0_13BinaryFunctorIN3c1013Float8_e4m3fnES4_bNS0_12_GLOBAL__N_116CompareEqFunctorIS4_EEEESt5arrayIPcLm3EEEEviT0_T1_.has_recursion, or(0, .L_ZN2at6native25elementwise_kernel_helperILb0ENS0_13BinaryFunctorIN3c1013Float8_e4m3fnES4_bNS0_12_GLOBAL__N_116CompareEqFunctorIS4_EEEENS0_6memory8policies11unroll_baseILi256ESt5arrayIPcLm3EE23TrivialOffsetCalculatorILi2EjESF_ILi1EjENS9_15LoadWithoutCastENS9_16StoreWithoutCastELi16ELi1EEEEEvT0_T1_.has_recursion)
	.set _ZN2at6native29vectorized_elementwise_kernelILi4ENS0_13BinaryFunctorIN3c1013Float8_e4m3fnES4_bNS0_12_GLOBAL__N_116CompareEqFunctorIS4_EEEESt5arrayIPcLm3EEEEviT0_T1_.has_indirect_call, or(0, .L_ZN2at6native25elementwise_kernel_helperILb0ENS0_13BinaryFunctorIN3c1013Float8_e4m3fnES4_bNS0_12_GLOBAL__N_116CompareEqFunctorIS4_EEEENS0_6memory8policies11unroll_baseILi256ESt5arrayIPcLm3EE23TrivialOffsetCalculatorILi2EjESF_ILi1EjENS9_15LoadWithoutCastENS9_16StoreWithoutCastELi16ELi1EEEEEvT0_T1_.has_indirect_call)
	.section	.AMDGPU.csdata,"",@progbits
; Kernel info:
; codeLenInByte = 4080
; TotalNumSgprs: 61
; NumVgprs: 55
; ScratchSize: 0
; MemoryBound: 0
; FloatMode: 240
; IeeeMode: 1
; LDSByteSize: 0 bytes/workgroup (compile time only)
; SGPRBlocks: 7
; VGPRBlocks: 13
; NumSGPRsForWavesPerEU: 61
; NumVGPRsForWavesPerEU: 55
; Occupancy: 4
; WaveLimiterHint : 1
; COMPUTE_PGM_RSRC2:SCRATCH_EN: 0
; COMPUTE_PGM_RSRC2:USER_SGPR: 6
; COMPUTE_PGM_RSRC2:TRAP_HANDLER: 0
; COMPUTE_PGM_RSRC2:TGID_X_EN: 1
; COMPUTE_PGM_RSRC2:TGID_Y_EN: 0
; COMPUTE_PGM_RSRC2:TGID_Z_EN: 0
; COMPUTE_PGM_RSRC2:TIDIG_COMP_CNT: 0
	.section	.text._ZN2at6native29vectorized_elementwise_kernelILi2ENS0_13BinaryFunctorIN3c1013Float8_e4m3fnES4_bNS0_12_GLOBAL__N_116CompareEqFunctorIS4_EEEESt5arrayIPcLm3EEEEviT0_T1_,"axG",@progbits,_ZN2at6native29vectorized_elementwise_kernelILi2ENS0_13BinaryFunctorIN3c1013Float8_e4m3fnES4_bNS0_12_GLOBAL__N_116CompareEqFunctorIS4_EEEESt5arrayIPcLm3EEEEviT0_T1_,comdat
	.globl	_ZN2at6native29vectorized_elementwise_kernelILi2ENS0_13BinaryFunctorIN3c1013Float8_e4m3fnES4_bNS0_12_GLOBAL__N_116CompareEqFunctorIS4_EEEESt5arrayIPcLm3EEEEviT0_T1_ ; -- Begin function _ZN2at6native29vectorized_elementwise_kernelILi2ENS0_13BinaryFunctorIN3c1013Float8_e4m3fnES4_bNS0_12_GLOBAL__N_116CompareEqFunctorIS4_EEEESt5arrayIPcLm3EEEEviT0_T1_
	.p2align	8
	.type	_ZN2at6native29vectorized_elementwise_kernelILi2ENS0_13BinaryFunctorIN3c1013Float8_e4m3fnES4_bNS0_12_GLOBAL__N_116CompareEqFunctorIS4_EEEESt5arrayIPcLm3EEEEviT0_T1_,@function
_ZN2at6native29vectorized_elementwise_kernelILi2ENS0_13BinaryFunctorIN3c1013Float8_e4m3fnES4_bNS0_12_GLOBAL__N_116CompareEqFunctorIS4_EEEESt5arrayIPcLm3EEEEviT0_T1_: ; @_ZN2at6native29vectorized_elementwise_kernelILi2ENS0_13BinaryFunctorIN3c1013Float8_e4m3fnES4_bNS0_12_GLOBAL__N_116CompareEqFunctorIS4_EEEESt5arrayIPcLm3EEEEviT0_T1_
; %bb.0:
	s_load_dwordx2 s[14:15], s[4:5], 0x0
	s_load_dwordx4 s[16:19], s[4:5], 0x8
	s_load_dwordx2 s[10:11], s[4:5], 0x18
	s_add_u32 s0, s0, s7
	s_addc_u32 s1, s1, 0
	s_lshl_b32 s20, s6, 12
	s_waitcnt lgkmcnt(0)
	s_sub_i32 s13, s14, s20
	s_mov_b32 s12, s6
	s_cmpk_gt_i32 s13, 0xfff
	s_mov_b64 s[4:5], -1
	s_mov_b32 s32, 0
	s_cbranch_scc1 .LBB270_3
; %bb.1:
	s_andn2_b64 vcc, exec, s[4:5]
	s_cbranch_vccz .LBB270_4
.LBB270_2:
	s_endpgm
.LBB270_3:
	s_ashr_i32 s14, s20, 31
	s_add_u32 s4, s18, s20
	s_addc_u32 s5, s19, s14
	v_lshlrev_b32_e32 v1, 1, v0
	global_load_ushort v4, v1, s[4:5]
	s_add_u32 s6, s10, s20
	s_addc_u32 s7, s11, s14
	global_load_ushort v5, v1, s[6:7]
	global_load_ushort v9, v1, s[4:5] offset:512
	global_load_ushort v13, v1, s[4:5] offset:1024
	;; [unrolled: 1-line block ×7, first 2 shown]
	s_mov_b32 s21, 0x5040100
	s_cmp_eq_u32 s15, 0
	s_waitcnt vmcnt(8)
	v_lshlrev_b32_e32 v11, 24, v4
	v_and_b32_e32 v15, 0x7f000000, v11
	v_ffbh_u32_e32 v3, v15
	v_min_u32_e32 v3, 32, v3
	v_sub_u32_e64 v3, v3, 4 clamp
	v_lshlrev_b32_e32 v7, v3, v15
	v_lshlrev_b32_e32 v3, 23, v3
	v_lshrrev_b32_e32 v7, 4, v7
	v_sub_u32_e32 v18, v7, v3
	global_load_ushort v19, v1, s[6:7] offset:512
	global_load_ushort v20, v1, s[6:7] offset:1024
	;; [unrolled: 1-line block ×7, first 2 shown]
	s_waitcnt vmcnt(14)
	v_perm_b32 v4, v5, v4, s21
	v_lshlrev_b32_e32 v5, 24, v5
	v_and_b32_e32 v21, 0x7f000000, v5
	v_ffbh_u32_e32 v22, v21
	v_min_u32_e32 v22, 32, v22
	v_sub_u32_e64 v22, v22, 4 clamp
	v_lshlrev_b32_e32 v23, v22, v21
	v_lshlrev_b32_e32 v22, 23, v22
	v_lshrrev_b32_e32 v23, 4, v23
	v_sub_u32_e32 v22, v23, v22
	v_add_u32_e32 v23, 0x1000000, v15
	v_cmp_ne_u32_e32 vcc, 0, v15
	v_add_u32_e32 v15, 0x1000000, v21
	v_ashrrev_i32_e32 v23, 8, v23
	v_ashrrev_i32_e32 v15, 8, v15
	v_and_b32_e32 v23, 0x7f800000, v23
	v_add_u32_e32 v18, 0x3c000000, v18
	v_and_b32_e32 v15, 0x7f800000, v15
	v_add_u32_e32 v22, 0x3c000000, v22
	v_or_b32_e32 v18, v18, v23
	v_or_b32_e32 v15, v22, v15
	v_cmp_ne_u32_e64 s[4:5], 0, v21
	v_and_b32_e32 v11, 0x80000000, v11
	v_cndmask_b32_e32 v18, 0, v18, vcc
	v_and_b32_e32 v5, 0x80000000, v5
	v_pk_lshrrev_b16 v4, 8, v4 op_sel_hi:[0,1]
	v_cndmask_b32_e64 v15, 0, v15, s[4:5]
	v_or_b32_e32 v11, v18, v11
	v_or_b32_e32 v5, v15, v5
	v_lshlrev_b32_e32 v15, 24, v4
	v_cmp_eq_f32_e32 vcc, v11, v5
	v_cmp_neq_f32_e64 s[4:5], v11, v5
	v_and_b32_e32 v5, 0x7f000000, v15
	v_ffbh_u32_e32 v11, v5
	v_min_u32_e32 v11, 32, v11
	v_sub_u32_e64 v11, v11, 4 clamp
	v_lshlrev_b32_e32 v18, v11, v5
	v_lshlrev_b32_e32 v11, 23, v11
	v_lshrrev_b32_e32 v18, 4, v18
	v_lshlrev_b32_e32 v4, 8, v4
	v_sub_u32_e32 v11, v18, v11
	v_and_b32_e32 v18, 0xff000000, v4
	v_and_b32_e32 v4, 0x7f000000, v18
	v_ffbh_u32_e32 v21, v4
	v_min_u32_e32 v21, 32, v21
	v_sub_u32_e64 v21, v21, 4 clamp
	v_lshlrev_b32_e32 v22, v21, v4
	v_lshlrev_b32_e32 v21, 23, v21
	v_lshrrev_b32_e32 v22, 4, v22
	v_sub_u32_e32 v21, v22, v21
	v_add_u32_e32 v22, 0x1000000, v5
	v_cmp_ne_u32_e64 s[6:7], 0, v5
	v_add_u32_e32 v5, 0x1000000, v4
	v_ashrrev_i32_e32 v22, 8, v22
	v_ashrrev_i32_e32 v5, 8, v5
	v_and_b32_e32 v22, 0x7f800000, v22
	v_add_u32_e32 v11, 0x3c000000, v11
	v_and_b32_e32 v5, 0x7f800000, v5
	v_add_u32_e32 v21, 0x3c000000, v21
	v_or_b32_e32 v11, v11, v22
	v_or_b32_e32 v5, v21, v5
	v_cmp_ne_u32_e64 s[8:9], 0, v4
	v_and_b32_e32 v18, 0x80000000, v18
	v_cndmask_b32_e64 v5, 0, v5, s[8:9]
	v_and_b32_e32 v15, 0x80000000, v15
	v_cndmask_b32_e64 v11, 0, v11, s[6:7]
	v_or_b32_e32 v5, v5, v18
	v_or_b32_e32 v11, v11, v15
	v_cndmask_b32_e64 v21, 0, 1, s[4:5]
	v_cmp_eq_f32_e64 s[4:5], v11, v5
	v_cndmask_b32_e64 v15, 0, 1, s[4:5]
	v_cmp_neq_f32_e64 s[4:5], v11, v5
	v_cndmask_b32_e64 v4, 0, 1, vcc
	s_cselect_b64 vcc, -1, 0
	v_cndmask_b32_e64 v5, 0, 1, s[4:5]
	s_waitcnt vmcnt(13)
	v_lshlrev_b32_e32 v11, 24, v9
	v_cndmask_b32_e32 v5, v5, v15, vcc
	v_and_b32_e32 v15, 0x7f000000, v11
	v_ffbh_u32_e32 v18, v15
	v_min_u32_e32 v18, 32, v18
	v_sub_u32_e64 v18, v18, 4 clamp
	v_cndmask_b32_e32 v4, v21, v4, vcc
	v_lshlrev_b32_e32 v21, v18, v15
	v_lshrrev_b32_e32 v21, 4, v21
	v_lshlrev_b32_e32 v18, 23, v18
	v_sub_u32_e32 v18, v21, v18
	s_waitcnt vmcnt(6)
	v_perm_b32 v21, v19, v9, s21
	v_lshlrev_b32_e32 v9, 24, v19
	v_and_b32_e32 v19, 0x7f000000, v9
	v_ffbh_u32_e32 v22, v19
	v_min_u32_e32 v22, 32, v22
	v_sub_u32_e64 v22, v22, 4 clamp
	v_lshlrev_b32_e32 v23, v22, v19
	v_lshrrev_b32_e32 v23, 4, v23
	v_lshlrev_b32_e32 v22, 23, v22
	v_sub_u32_e32 v22, v23, v22
	v_add_u32_e32 v23, 0x1000000, v19
	v_ashrrev_i32_e32 v23, 8, v23
	v_and_b32_e32 v23, 0x7f800000, v23
	v_add_u32_e32 v22, 0x3c000000, v22
	v_or_b32_e32 v22, v22, v23
	v_add_u32_e32 v23, 0x1000000, v15
	v_ashrrev_i32_e32 v23, 8, v23
	v_and_b32_e32 v23, 0x7f800000, v23
	v_add_u32_e32 v18, 0x3c000000, v18
	v_cmp_ne_u32_e64 s[4:5], 0, v19
	v_or_b32_e32 v18, v18, v23
	v_cmp_ne_u32_e64 s[6:7], 0, v15
	v_and_b32_e32 v9, 0x80000000, v9
	v_cndmask_b32_e64 v15, 0, v22, s[4:5]
	v_or_b32_e32 v9, v15, v9
	v_and_b32_e32 v11, 0x80000000, v11
	v_cndmask_b32_e64 v15, 0, v18, s[6:7]
	v_or_b32_e32 v11, v15, v11
	v_cmp_eq_f32_e64 s[4:5], v11, v9
	v_cndmask_b32_e64 v15, 0, 1, s[4:5]
	v_cmp_neq_f32_e64 s[4:5], v11, v9
	v_cndmask_b32_e64 v9, 0, 1, s[4:5]
	v_pk_lshrrev_b16 v11, 8, v21 op_sel_hi:[0,1]
	v_cndmask_b32_e32 v9, v9, v15, vcc
	v_lshlrev_b32_e32 v15, 24, v11
	v_and_b32_e32 v18, 0x7f000000, v15
	v_ffbh_u32_e32 v19, v18
	v_min_u32_e32 v19, 32, v19
	v_sub_u32_e64 v19, v19, 4 clamp
	v_lshlrev_b32_e32 v21, v19, v18
	v_lshlrev_b32_e32 v11, 8, v11
	v_lshrrev_b32_e32 v21, 4, v21
	v_lshlrev_b32_e32 v19, 23, v19
	v_and_b32_e32 v11, 0xff000000, v11
	v_sub_u32_e32 v19, v21, v19
	v_and_b32_e32 v21, 0x7f000000, v11
	v_ffbh_u32_e32 v22, v21
	v_min_u32_e32 v22, 32, v22
	v_sub_u32_e64 v22, v22, 4 clamp
	v_lshlrev_b32_e32 v23, v22, v21
	v_lshrrev_b32_e32 v23, 4, v23
	v_lshlrev_b32_e32 v22, 23, v22
	v_sub_u32_e32 v22, v23, v22
	v_add_u32_e32 v23, 0x1000000, v21
	v_ashrrev_i32_e32 v23, 8, v23
	v_and_b32_e32 v23, 0x7f800000, v23
	v_add_u32_e32 v22, 0x3c000000, v22
	v_or_b32_e32 v22, v22, v23
	v_add_u32_e32 v23, 0x1000000, v18
	v_ashrrev_i32_e32 v23, 8, v23
	v_and_b32_e32 v23, 0x7f800000, v23
	v_add_u32_e32 v19, 0x3c000000, v19
	v_cmp_ne_u32_e64 s[4:5], 0, v21
	v_or_b32_e32 v19, v19, v23
	v_cmp_ne_u32_e64 s[6:7], 0, v18
	v_and_b32_e32 v11, 0x80000000, v11
	v_cndmask_b32_e64 v18, 0, v22, s[4:5]
	v_or_b32_e32 v11, v18, v11
	v_and_b32_e32 v15, 0x80000000, v15
	v_cndmask_b32_e64 v18, 0, v19, s[6:7]
	v_or_b32_e32 v15, v18, v15
	v_cmp_eq_f32_e64 s[4:5], v15, v11
	v_cndmask_b32_e64 v18, 0, 1, s[4:5]
	v_cmp_neq_f32_e64 s[4:5], v15, v11
	v_cndmask_b32_e64 v11, 0, 1, s[4:5]
	v_lshlrev_b32_e32 v15, 24, v13
	v_cndmask_b32_e32 v11, v11, v18, vcc
	v_and_b32_e32 v18, 0x7f000000, v15
	v_ffbh_u32_e32 v19, v18
	v_min_u32_e32 v19, 32, v19
	v_sub_u32_e64 v19, v19, 4 clamp
	v_lshlrev_b32_e32 v21, v19, v18
	v_lshrrev_b32_e32 v21, 4, v21
	v_lshlrev_b32_e32 v19, 23, v19
	v_sub_u32_e32 v19, v21, v19
	s_waitcnt vmcnt(5)
	v_perm_b32 v21, v20, v13, s21
	v_lshlrev_b32_e32 v13, 24, v20
	v_and_b32_e32 v20, 0x7f000000, v13
	v_ffbh_u32_e32 v22, v20
	v_min_u32_e32 v22, 32, v22
	v_sub_u32_e64 v22, v22, 4 clamp
	v_lshlrev_b32_e32 v23, v22, v20
	v_lshrrev_b32_e32 v23, 4, v23
	v_lshlrev_b32_e32 v22, 23, v22
	v_sub_u32_e32 v22, v23, v22
	v_add_u32_e32 v23, 0x1000000, v20
	v_ashrrev_i32_e32 v23, 8, v23
	v_and_b32_e32 v23, 0x7f800000, v23
	v_add_u32_e32 v22, 0x3c000000, v22
	v_or_b32_e32 v22, v22, v23
	v_add_u32_e32 v23, 0x1000000, v18
	v_ashrrev_i32_e32 v23, 8, v23
	v_and_b32_e32 v23, 0x7f800000, v23
	v_add_u32_e32 v19, 0x3c000000, v19
	v_cmp_ne_u32_e64 s[4:5], 0, v20
	v_or_b32_e32 v19, v19, v23
	v_cmp_ne_u32_e64 s[6:7], 0, v18
	v_and_b32_e32 v13, 0x80000000, v13
	v_cndmask_b32_e64 v18, 0, v22, s[4:5]
	v_or_b32_e32 v13, v18, v13
	v_and_b32_e32 v15, 0x80000000, v15
	v_cndmask_b32_e64 v18, 0, v19, s[6:7]
	v_or_b32_e32 v15, v18, v15
	v_cmp_eq_f32_e64 s[4:5], v15, v13
	v_cndmask_b32_e64 v18, 0, 1, s[4:5]
	v_cmp_neq_f32_e64 s[4:5], v15, v13
	v_cndmask_b32_e64 v13, 0, 1, s[4:5]
	v_pk_lshrrev_b16 v15, 8, v21 op_sel_hi:[0,1]
	v_cndmask_b32_e32 v13, v13, v18, vcc
	v_lshlrev_b32_e32 v18, 24, v15
	v_and_b32_e32 v19, 0x7f000000, v18
	v_ffbh_u32_e32 v20, v19
	v_min_u32_e32 v20, 32, v20
	v_sub_u32_e64 v20, v20, 4 clamp
	v_lshlrev_b32_e32 v21, v20, v19
	v_lshlrev_b32_e32 v15, 8, v15
	v_lshrrev_b32_e32 v21, 4, v21
	v_lshlrev_b32_e32 v20, 23, v20
	v_and_b32_e32 v15, 0xff000000, v15
	v_sub_u32_e32 v20, v21, v20
	v_and_b32_e32 v21, 0x7f000000, v15
	v_ffbh_u32_e32 v22, v21
	v_min_u32_e32 v22, 32, v22
	v_sub_u32_e64 v22, v22, 4 clamp
	v_lshlrev_b32_e32 v23, v22, v21
	v_lshrrev_b32_e32 v23, 4, v23
	v_lshlrev_b32_e32 v22, 23, v22
	v_sub_u32_e32 v22, v23, v22
	v_add_u32_e32 v23, 0x1000000, v21
	v_ashrrev_i32_e32 v23, 8, v23
	v_and_b32_e32 v23, 0x7f800000, v23
	v_add_u32_e32 v22, 0x3c000000, v22
	v_or_b32_e32 v22, v22, v23
	v_add_u32_e32 v23, 0x1000000, v19
	v_ashrrev_i32_e32 v23, 8, v23
	v_and_b32_e32 v23, 0x7f800000, v23
	v_add_u32_e32 v20, 0x3c000000, v20
	v_cmp_ne_u32_e64 s[4:5], 0, v21
	v_or_b32_e32 v20, v20, v23
	v_cmp_ne_u32_e64 s[6:7], 0, v19
	v_and_b32_e32 v15, 0x80000000, v15
	v_cndmask_b32_e64 v19, 0, v22, s[4:5]
	v_or_b32_e32 v15, v19, v15
	v_and_b32_e32 v18, 0x80000000, v18
	v_cndmask_b32_e64 v19, 0, v20, s[6:7]
	v_or_b32_e32 v18, v19, v18
	v_cmp_eq_f32_e64 s[4:5], v18, v15
	v_cndmask_b32_e64 v19, 0, 1, s[4:5]
	v_cmp_neq_f32_e64 s[4:5], v18, v15
	v_cndmask_b32_e64 v15, 0, 1, s[4:5]
	v_lshlrev_b32_e32 v18, 24, v16
	v_cndmask_b32_e32 v15, v15, v19, vcc
	v_and_b32_e32 v19, 0x7f000000, v18
	v_ffbh_u32_e32 v20, v19
	v_min_u32_e32 v20, 32, v20
	v_sub_u32_e64 v20, v20, 4 clamp
	v_lshlrev_b32_e32 v21, v20, v19
	v_lshrrev_b32_e32 v21, 4, v21
	v_lshlrev_b32_e32 v20, 23, v20
	v_sub_u32_e32 v20, v21, v20
	s_waitcnt vmcnt(4)
	v_perm_b32 v21, v17, v16, s21
	v_lshlrev_b32_e32 v16, 24, v17
	v_and_b32_e32 v17, 0x7f000000, v16
	v_ffbh_u32_e32 v22, v17
	v_min_u32_e32 v22, 32, v22
	v_sub_u32_e64 v22, v22, 4 clamp
	v_lshlrev_b32_e32 v23, v22, v17
	v_lshrrev_b32_e32 v23, 4, v23
	v_lshlrev_b32_e32 v22, 23, v22
	v_sub_u32_e32 v22, v23, v22
	v_add_u32_e32 v23, 0x1000000, v17
	v_ashrrev_i32_e32 v23, 8, v23
	v_and_b32_e32 v23, 0x7f800000, v23
	v_add_u32_e32 v22, 0x3c000000, v22
	v_or_b32_e32 v22, v22, v23
	v_add_u32_e32 v23, 0x1000000, v19
	v_ashrrev_i32_e32 v23, 8, v23
	v_and_b32_e32 v23, 0x7f800000, v23
	v_add_u32_e32 v20, 0x3c000000, v20
	v_cmp_ne_u32_e64 s[4:5], 0, v17
	v_or_b32_e32 v20, v20, v23
	v_cmp_ne_u32_e64 s[6:7], 0, v19
	v_and_b32_e32 v16, 0x80000000, v16
	v_cndmask_b32_e64 v17, 0, v22, s[4:5]
	v_or_b32_e32 v16, v17, v16
	v_and_b32_e32 v17, 0x80000000, v18
	v_cndmask_b32_e64 v18, 0, v20, s[6:7]
	v_or_b32_e32 v17, v18, v17
	v_cmp_eq_f32_e64 s[4:5], v17, v16
	v_cndmask_b32_e64 v18, 0, 1, s[4:5]
	v_cmp_neq_f32_e64 s[4:5], v17, v16
	v_cndmask_b32_e64 v16, 0, 1, s[4:5]
	v_pk_lshrrev_b16 v17, 8, v21 op_sel_hi:[0,1]
	v_cndmask_b32_e32 v16, v16, v18, vcc
	v_lshlrev_b32_e32 v18, 24, v17
	v_and_b32_e32 v19, 0x7f000000, v18
	v_ffbh_u32_e32 v20, v19
	v_min_u32_e32 v20, 32, v20
	v_sub_u32_e64 v20, v20, 4 clamp
	v_lshlrev_b32_e32 v21, v20, v19
	v_lshlrev_b32_e32 v17, 8, v17
	v_lshrrev_b32_e32 v21, 4, v21
	v_lshlrev_b32_e32 v20, 23, v20
	v_and_b32_e32 v17, 0xff000000, v17
	v_sub_u32_e32 v20, v21, v20
	v_and_b32_e32 v21, 0x7f000000, v17
	v_ffbh_u32_e32 v22, v21
	v_min_u32_e32 v22, 32, v22
	v_sub_u32_e64 v22, v22, 4 clamp
	v_lshlrev_b32_e32 v23, v22, v21
	v_lshrrev_b32_e32 v23, 4, v23
	v_lshlrev_b32_e32 v22, 23, v22
	v_sub_u32_e32 v22, v23, v22
	v_add_u32_e32 v23, 0x1000000, v21
	v_ashrrev_i32_e32 v23, 8, v23
	v_and_b32_e32 v23, 0x7f800000, v23
	v_add_u32_e32 v22, 0x3c000000, v22
	v_or_b32_e32 v22, v22, v23
	v_add_u32_e32 v23, 0x1000000, v19
	v_ashrrev_i32_e32 v23, 8, v23
	v_and_b32_e32 v23, 0x7f800000, v23
	v_add_u32_e32 v20, 0x3c000000, v20
	v_cmp_ne_u32_e64 s[4:5], 0, v21
	v_or_b32_e32 v20, v20, v23
	v_cmp_ne_u32_e64 s[6:7], 0, v19
	v_and_b32_e32 v17, 0x80000000, v17
	v_cndmask_b32_e64 v19, 0, v22, s[4:5]
	v_or_b32_e32 v17, v19, v17
	v_and_b32_e32 v18, 0x80000000, v18
	v_cndmask_b32_e64 v19, 0, v20, s[6:7]
	v_or_b32_e32 v18, v19, v18
	v_cmp_eq_f32_e64 s[4:5], v18, v17
	v_cndmask_b32_e64 v19, 0, 1, s[4:5]
	v_cmp_neq_f32_e64 s[4:5], v18, v17
	v_cndmask_b32_e64 v17, 0, 1, s[4:5]
	v_lshlrev_b32_e32 v18, 24, v12
	v_cndmask_b32_e32 v17, v17, v19, vcc
	v_and_b32_e32 v19, 0x7f000000, v18
	v_ffbh_u32_e32 v20, v19
	v_min_u32_e32 v20, 32, v20
	v_sub_u32_e64 v20, v20, 4 clamp
	v_lshlrev_b32_e32 v21, v20, v19
	v_lshrrev_b32_e32 v21, 4, v21
	v_lshlrev_b32_e32 v20, 23, v20
	s_waitcnt vmcnt(3)
	v_perm_b32 v12, v14, v12, s21
	v_lshlrev_b32_e32 v14, 24, v14
	v_sub_u32_e32 v20, v21, v20
	v_and_b32_e32 v21, 0x7f000000, v14
	v_ffbh_u32_e32 v22, v21
	v_min_u32_e32 v22, 32, v22
	v_sub_u32_e64 v22, v22, 4 clamp
	v_lshlrev_b32_e32 v23, v22, v21
	v_lshrrev_b32_e32 v23, 4, v23
	v_lshlrev_b32_e32 v22, 23, v22
	v_sub_u32_e32 v22, v23, v22
	v_add_u32_e32 v23, 0x1000000, v21
	v_ashrrev_i32_e32 v23, 8, v23
	v_and_b32_e32 v23, 0x7f800000, v23
	v_add_u32_e32 v22, 0x3c000000, v22
	v_or_b32_e32 v22, v22, v23
	v_add_u32_e32 v23, 0x1000000, v19
	v_ashrrev_i32_e32 v23, 8, v23
	v_and_b32_e32 v23, 0x7f800000, v23
	v_add_u32_e32 v20, 0x3c000000, v20
	v_cmp_ne_u32_e64 s[4:5], 0, v21
	v_or_b32_e32 v20, v20, v23
	v_cmp_ne_u32_e64 s[6:7], 0, v19
	v_and_b32_e32 v14, 0x80000000, v14
	v_cndmask_b32_e64 v19, 0, v22, s[4:5]
	v_or_b32_e32 v14, v19, v14
	v_and_b32_e32 v18, 0x80000000, v18
	v_cndmask_b32_e64 v19, 0, v20, s[6:7]
	v_or_b32_e32 v18, v19, v18
	v_cmp_eq_f32_e64 s[4:5], v18, v14
	v_cndmask_b32_e64 v19, 0, 1, s[4:5]
	v_cmp_neq_f32_e64 s[4:5], v18, v14
	v_pk_lshrrev_b16 v12, 8, v12 op_sel_hi:[0,1]
	v_cndmask_b32_e64 v14, 0, 1, s[4:5]
	v_lshlrev_b32_e32 v18, 24, v12
	v_cndmask_b32_e32 v14, v14, v19, vcc
	v_and_b32_e32 v19, 0x7f000000, v18
	v_ffbh_u32_e32 v20, v19
	v_min_u32_e32 v20, 32, v20
	v_sub_u32_e64 v20, v20, 4 clamp
	v_lshlrev_b32_e32 v21, v20, v19
	v_lshlrev_b32_e32 v12, 8, v12
	v_lshrrev_b32_e32 v21, 4, v21
	v_lshlrev_b32_e32 v20, 23, v20
	v_and_b32_e32 v12, 0xff000000, v12
	v_sub_u32_e32 v20, v21, v20
	v_and_b32_e32 v21, 0x7f000000, v12
	v_ffbh_u32_e32 v22, v21
	v_min_u32_e32 v22, 32, v22
	v_sub_u32_e64 v22, v22, 4 clamp
	v_lshlrev_b32_e32 v23, v22, v21
	v_lshrrev_b32_e32 v23, 4, v23
	v_lshlrev_b32_e32 v22, 23, v22
	v_sub_u32_e32 v22, v23, v22
	v_add_u32_e32 v23, 0x1000000, v21
	v_ashrrev_i32_e32 v23, 8, v23
	v_and_b32_e32 v23, 0x7f800000, v23
	v_add_u32_e32 v22, 0x3c000000, v22
	v_or_b32_e32 v22, v22, v23
	v_add_u32_e32 v23, 0x1000000, v19
	v_ashrrev_i32_e32 v23, 8, v23
	v_and_b32_e32 v23, 0x7f800000, v23
	v_add_u32_e32 v20, 0x3c000000, v20
	v_cmp_ne_u32_e64 s[4:5], 0, v21
	v_or_b32_e32 v20, v20, v23
	v_cmp_ne_u32_e64 s[6:7], 0, v19
	v_and_b32_e32 v12, 0x80000000, v12
	v_cndmask_b32_e64 v19, 0, v22, s[4:5]
	v_or_b32_e32 v12, v19, v12
	v_and_b32_e32 v18, 0x80000000, v18
	v_cndmask_b32_e64 v19, 0, v20, s[6:7]
	v_or_b32_e32 v18, v19, v18
	v_cmp_eq_f32_e64 s[4:5], v18, v12
	v_cndmask_b32_e64 v19, 0, 1, s[4:5]
	v_cmp_neq_f32_e64 s[4:5], v18, v12
	v_cndmask_b32_e64 v12, 0, 1, s[4:5]
	v_lshlrev_b32_e32 v18, 24, v8
	v_cndmask_b32_e32 v12, v12, v19, vcc
	v_and_b32_e32 v19, 0x7f000000, v18
	v_ffbh_u32_e32 v20, v19
	v_min_u32_e32 v20, 32, v20
	v_sub_u32_e64 v20, v20, 4 clamp
	v_lshlrev_b32_e32 v21, v20, v19
	v_lshrrev_b32_e32 v21, 4, v21
	v_lshlrev_b32_e32 v20, 23, v20
	s_waitcnt vmcnt(2)
	v_perm_b32 v8, v10, v8, s21
	v_lshlrev_b32_e32 v10, 24, v10
	v_sub_u32_e32 v20, v21, v20
	v_and_b32_e32 v21, 0x7f000000, v10
	v_ffbh_u32_e32 v22, v21
	v_min_u32_e32 v22, 32, v22
	v_sub_u32_e64 v22, v22, 4 clamp
	v_lshlrev_b32_e32 v23, v22, v21
	v_lshrrev_b32_e32 v23, 4, v23
	v_lshlrev_b32_e32 v22, 23, v22
	v_sub_u32_e32 v22, v23, v22
	v_add_u32_e32 v23, 0x1000000, v21
	v_ashrrev_i32_e32 v23, 8, v23
	v_and_b32_e32 v23, 0x7f800000, v23
	v_add_u32_e32 v22, 0x3c000000, v22
	v_or_b32_e32 v22, v22, v23
	v_add_u32_e32 v23, 0x1000000, v19
	v_ashrrev_i32_e32 v23, 8, v23
	v_and_b32_e32 v23, 0x7f800000, v23
	v_add_u32_e32 v20, 0x3c000000, v20
	v_cmp_ne_u32_e64 s[4:5], 0, v21
	v_or_b32_e32 v20, v20, v23
	v_cmp_ne_u32_e64 s[6:7], 0, v19
	v_and_b32_e32 v10, 0x80000000, v10
	v_cndmask_b32_e64 v19, 0, v22, s[4:5]
	v_or_b32_e32 v10, v19, v10
	v_and_b32_e32 v18, 0x80000000, v18
	v_cndmask_b32_e64 v19, 0, v20, s[6:7]
	v_or_b32_e32 v18, v19, v18
	v_cmp_eq_f32_e64 s[4:5], v18, v10
	v_cndmask_b32_e64 v19, 0, 1, s[4:5]
	v_cmp_neq_f32_e64 s[4:5], v18, v10
	v_pk_lshrrev_b16 v8, 8, v8 op_sel_hi:[0,1]
	v_cndmask_b32_e64 v10, 0, 1, s[4:5]
	v_lshlrev_b32_e32 v18, 24, v8
	v_cndmask_b32_e32 v10, v10, v19, vcc
	v_and_b32_e32 v19, 0x7f000000, v18
	v_ffbh_u32_e32 v20, v19
	v_min_u32_e32 v20, 32, v20
	v_sub_u32_e64 v20, v20, 4 clamp
	v_lshlrev_b32_e32 v21, v20, v19
	v_lshlrev_b32_e32 v8, 8, v8
	v_lshrrev_b32_e32 v21, 4, v21
	v_lshlrev_b32_e32 v20, 23, v20
	v_and_b32_e32 v8, 0xff000000, v8
	v_sub_u32_e32 v20, v21, v20
	v_and_b32_e32 v21, 0x7f000000, v8
	v_ffbh_u32_e32 v22, v21
	v_min_u32_e32 v22, 32, v22
	v_sub_u32_e64 v22, v22, 4 clamp
	v_lshlrev_b32_e32 v23, v22, v21
	v_lshrrev_b32_e32 v23, 4, v23
	v_lshlrev_b32_e32 v22, 23, v22
	v_sub_u32_e32 v22, v23, v22
	v_add_u32_e32 v23, 0x1000000, v21
	v_ashrrev_i32_e32 v23, 8, v23
	v_and_b32_e32 v23, 0x7f800000, v23
	v_add_u32_e32 v22, 0x3c000000, v22
	v_or_b32_e32 v22, v22, v23
	v_add_u32_e32 v23, 0x1000000, v19
	v_ashrrev_i32_e32 v23, 8, v23
	v_and_b32_e32 v23, 0x7f800000, v23
	v_add_u32_e32 v20, 0x3c000000, v20
	v_cmp_ne_u32_e64 s[4:5], 0, v21
	v_or_b32_e32 v20, v20, v23
	v_cmp_ne_u32_e64 s[6:7], 0, v19
	v_and_b32_e32 v8, 0x80000000, v8
	v_cndmask_b32_e64 v19, 0, v22, s[4:5]
	v_or_b32_e32 v8, v19, v8
	v_and_b32_e32 v18, 0x80000000, v18
	v_cndmask_b32_e64 v19, 0, v20, s[6:7]
	v_or_b32_e32 v18, v19, v18
	v_cmp_eq_f32_e64 s[4:5], v18, v8
	v_cndmask_b32_e64 v19, 0, 1, s[4:5]
	v_cmp_neq_f32_e64 s[4:5], v18, v8
	v_cndmask_b32_e64 v8, 0, 1, s[4:5]
	v_lshlrev_b32_e32 v18, 24, v6
	v_cndmask_b32_e32 v8, v8, v19, vcc
	v_and_b32_e32 v19, 0x7f000000, v18
	v_ffbh_u32_e32 v20, v19
	v_min_u32_e32 v20, 32, v20
	v_sub_u32_e64 v20, v20, 4 clamp
	v_lshlrev_b32_e32 v21, v20, v19
	v_lshrrev_b32_e32 v21, 4, v21
	v_lshlrev_b32_e32 v20, 23, v20
	s_waitcnt vmcnt(1)
	v_perm_b32 v6, v7, v6, s21
	v_lshlrev_b32_e32 v7, 24, v7
	v_sub_u32_e32 v20, v21, v20
	v_and_b32_e32 v21, 0x7f000000, v7
	v_ffbh_u32_e32 v22, v21
	v_min_u32_e32 v22, 32, v22
	v_sub_u32_e64 v22, v22, 4 clamp
	v_lshlrev_b32_e32 v23, v22, v21
	v_lshrrev_b32_e32 v23, 4, v23
	v_lshlrev_b32_e32 v22, 23, v22
	v_sub_u32_e32 v22, v23, v22
	v_add_u32_e32 v23, 0x1000000, v21
	v_ashrrev_i32_e32 v23, 8, v23
	v_and_b32_e32 v23, 0x7f800000, v23
	v_add_u32_e32 v22, 0x3c000000, v22
	v_or_b32_e32 v22, v22, v23
	v_add_u32_e32 v23, 0x1000000, v19
	v_ashrrev_i32_e32 v23, 8, v23
	v_and_b32_e32 v23, 0x7f800000, v23
	v_add_u32_e32 v20, 0x3c000000, v20
	v_cmp_ne_u32_e64 s[4:5], 0, v21
	v_or_b32_e32 v20, v20, v23
	v_cmp_ne_u32_e64 s[6:7], 0, v19
	v_and_b32_e32 v7, 0x80000000, v7
	v_cndmask_b32_e64 v19, 0, v22, s[4:5]
	v_or_b32_e32 v7, v19, v7
	v_and_b32_e32 v18, 0x80000000, v18
	v_cndmask_b32_e64 v19, 0, v20, s[6:7]
	v_or_b32_e32 v18, v19, v18
	v_cmp_eq_f32_e64 s[4:5], v18, v7
	v_cndmask_b32_e64 v19, 0, 1, s[4:5]
	v_cmp_neq_f32_e64 s[4:5], v18, v7
	v_pk_lshrrev_b16 v6, 8, v6 op_sel_hi:[0,1]
	v_cndmask_b32_e64 v7, 0, 1, s[4:5]
	v_lshlrev_b32_e32 v18, 24, v6
	v_cndmask_b32_e32 v7, v7, v19, vcc
	v_and_b32_e32 v19, 0x7f000000, v18
	v_ffbh_u32_e32 v20, v19
	v_min_u32_e32 v20, 32, v20
	v_sub_u32_e64 v20, v20, 4 clamp
	v_lshlrev_b32_e32 v21, v20, v19
	v_lshlrev_b32_e32 v6, 8, v6
	v_lshrrev_b32_e32 v21, 4, v21
	v_lshlrev_b32_e32 v20, 23, v20
	v_and_b32_e32 v6, 0xff000000, v6
	v_sub_u32_e32 v20, v21, v20
	v_and_b32_e32 v21, 0x7f000000, v6
	v_ffbh_u32_e32 v22, v21
	v_min_u32_e32 v22, 32, v22
	v_sub_u32_e64 v22, v22, 4 clamp
	v_lshlrev_b32_e32 v23, v22, v21
	v_lshrrev_b32_e32 v23, 4, v23
	v_lshlrev_b32_e32 v22, 23, v22
	v_sub_u32_e32 v22, v23, v22
	v_add_u32_e32 v23, 0x1000000, v21
	v_ashrrev_i32_e32 v23, 8, v23
	v_and_b32_e32 v23, 0x7f800000, v23
	v_add_u32_e32 v22, 0x3c000000, v22
	v_or_b32_e32 v22, v22, v23
	v_add_u32_e32 v23, 0x1000000, v19
	v_ashrrev_i32_e32 v23, 8, v23
	v_and_b32_e32 v23, 0x7f800000, v23
	v_add_u32_e32 v20, 0x3c000000, v20
	v_cmp_ne_u32_e64 s[4:5], 0, v21
	v_or_b32_e32 v20, v20, v23
	v_cmp_ne_u32_e64 s[6:7], 0, v19
	v_and_b32_e32 v6, 0x80000000, v6
	v_cndmask_b32_e64 v19, 0, v22, s[4:5]
	v_or_b32_e32 v6, v19, v6
	v_and_b32_e32 v18, 0x80000000, v18
	v_cndmask_b32_e64 v19, 0, v20, s[6:7]
	v_or_b32_e32 v18, v19, v18
	v_cmp_eq_f32_e64 s[4:5], v18, v6
	v_cndmask_b32_e64 v19, 0, 1, s[4:5]
	v_cmp_neq_f32_e64 s[4:5], v18, v6
	v_cndmask_b32_e64 v6, 0, 1, s[4:5]
	v_lshlrev_b32_e32 v18, 24, v2
	v_cndmask_b32_e32 v6, v6, v19, vcc
	v_and_b32_e32 v19, 0x7f000000, v18
	v_ffbh_u32_e32 v20, v19
	v_min_u32_e32 v20, 32, v20
	v_sub_u32_e64 v20, v20, 4 clamp
	v_lshlrev_b32_e32 v21, v20, v19
	v_lshrrev_b32_e32 v21, 4, v21
	v_lshlrev_b32_e32 v20, 23, v20
	s_waitcnt vmcnt(0)
	v_perm_b32 v2, v3, v2, s21
	v_lshlrev_b32_e32 v3, 24, v3
	v_sub_u32_e32 v20, v21, v20
	v_and_b32_e32 v21, 0x7f000000, v3
	v_ffbh_u32_e32 v22, v21
	v_min_u32_e32 v22, 32, v22
	v_sub_u32_e64 v22, v22, 4 clamp
	v_lshlrev_b32_e32 v23, v22, v21
	v_lshrrev_b32_e32 v23, 4, v23
	v_lshlrev_b32_e32 v22, 23, v22
	v_sub_u32_e32 v22, v23, v22
	v_add_u32_e32 v23, 0x1000000, v21
	v_ashrrev_i32_e32 v23, 8, v23
	v_and_b32_e32 v23, 0x7f800000, v23
	v_add_u32_e32 v22, 0x3c000000, v22
	v_or_b32_e32 v22, v22, v23
	v_add_u32_e32 v23, 0x1000000, v19
	v_ashrrev_i32_e32 v23, 8, v23
	v_and_b32_e32 v23, 0x7f800000, v23
	v_add_u32_e32 v20, 0x3c000000, v20
	v_cmp_ne_u32_e64 s[4:5], 0, v21
	v_or_b32_e32 v20, v20, v23
	v_cmp_ne_u32_e64 s[6:7], 0, v19
	v_and_b32_e32 v3, 0x80000000, v3
	v_cndmask_b32_e64 v19, 0, v22, s[4:5]
	v_or_b32_e32 v3, v19, v3
	v_and_b32_e32 v18, 0x80000000, v18
	v_cndmask_b32_e64 v19, 0, v20, s[6:7]
	v_or_b32_e32 v18, v19, v18
	v_cmp_eq_f32_e64 s[4:5], v18, v3
	v_cndmask_b32_e64 v19, 0, 1, s[4:5]
	v_cmp_neq_f32_e64 s[4:5], v18, v3
	v_pk_lshrrev_b16 v2, 8, v2 op_sel_hi:[0,1]
	v_cndmask_b32_e64 v3, 0, 1, s[4:5]
	v_lshlrev_b32_e32 v18, 24, v2
	v_cndmask_b32_e32 v3, v3, v19, vcc
	v_and_b32_e32 v19, 0x7f000000, v18
	v_ffbh_u32_e32 v20, v19
	v_min_u32_e32 v20, 32, v20
	v_sub_u32_e64 v20, v20, 4 clamp
	v_lshlrev_b32_e32 v21, v20, v19
	v_lshlrev_b32_e32 v2, 8, v2
	v_lshrrev_b32_e32 v21, 4, v21
	v_lshlrev_b32_e32 v20, 23, v20
	v_and_b32_e32 v2, 0xff000000, v2
	v_sub_u32_e32 v20, v21, v20
	v_and_b32_e32 v21, 0x7f000000, v2
	v_ffbh_u32_e32 v22, v21
	v_min_u32_e32 v22, 32, v22
	v_sub_u32_e64 v22, v22, 4 clamp
	v_lshlrev_b32_e32 v23, v22, v21
	v_lshrrev_b32_e32 v23, 4, v23
	v_lshlrev_b32_e32 v22, 23, v22
	v_sub_u32_e32 v22, v23, v22
	v_add_u32_e32 v23, 0x1000000, v21
	v_ashrrev_i32_e32 v23, 8, v23
	v_and_b32_e32 v23, 0x7f800000, v23
	v_add_u32_e32 v22, 0x3c000000, v22
	v_or_b32_e32 v22, v22, v23
	v_add_u32_e32 v23, 0x1000000, v19
	v_ashrrev_i32_e32 v23, 8, v23
	v_and_b32_e32 v23, 0x7f800000, v23
	v_add_u32_e32 v20, 0x3c000000, v20
	v_cmp_ne_u32_e64 s[4:5], 0, v21
	v_or_b32_e32 v20, v20, v23
	v_cmp_ne_u32_e64 s[6:7], 0, v19
	v_and_b32_e32 v2, 0x80000000, v2
	v_cndmask_b32_e64 v19, 0, v22, s[4:5]
	v_or_b32_e32 v2, v19, v2
	v_and_b32_e32 v18, 0x80000000, v18
	v_cndmask_b32_e64 v19, 0, v20, s[6:7]
	v_or_b32_e32 v18, v19, v18
	v_cmp_neq_f32_e64 s[4:5], v18, v2
	v_cmp_eq_f32_e64 s[6:7], v18, v2
	v_mov_b32_e32 v19, 1
	v_cndmask_b32_e64 v2, 0, 1, s[6:7]
	v_cndmask_b32_e64 v18, 0, 1, s[4:5]
	v_and_b32_e32 v4, 1, v4
	v_and_b32_sdwa v5, v5, v19 dst_sel:BYTE_1 dst_unused:UNUSED_PAD src0_sel:DWORD src1_sel:DWORD
	v_cndmask_b32_e32 v2, v18, v2, vcc
	s_add_u32 s4, s16, s20
	v_and_b32_e32 v9, 1, v9
	v_and_b32_sdwa v11, v11, v19 dst_sel:BYTE_1 dst_unused:UNUSED_PAD src0_sel:DWORD src1_sel:DWORD
	v_and_b32_e32 v13, 1, v13
	v_and_b32_sdwa v15, v15, v19 dst_sel:BYTE_1 dst_unused:UNUSED_PAD src0_sel:DWORD src1_sel:DWORD
	;; [unrolled: 2-line block ×7, first 2 shown]
	v_or_b32_e32 v4, v4, v5
	s_addc_u32 s5, s17, s14
	v_or_b32_e32 v2, v3, v2
	v_or_b32_e32 v3, v7, v6
	;; [unrolled: 1-line block ×7, first 2 shown]
	global_store_short v1, v4, s[4:5]
	global_store_short v1, v9, s[4:5] offset:512
	global_store_short v1, v10, s[4:5] offset:1024
	;; [unrolled: 1-line block ×7, first 2 shown]
	s_cbranch_execnz .LBB270_2
.LBB270_4:
	s_getpc_b64 s[4:5]
	s_add_u32 s4, s4, _ZN2at6native25elementwise_kernel_helperILb0ENS0_13BinaryFunctorIN3c1013Float8_e4m3fnES4_bNS0_12_GLOBAL__N_116CompareEqFunctorIS4_EEEENS0_6memory8policies11unroll_baseILi256ESt5arrayIPcLm3EE23TrivialOffsetCalculatorILi2EjESF_ILi1EjENS9_15LoadWithoutCastENS9_16StoreWithoutCastELi16ELi1EEEEEvT0_T1_@rel32@lo+4
	s_addc_u32 s5, s5, _ZN2at6native25elementwise_kernel_helperILb0ENS0_13BinaryFunctorIN3c1013Float8_e4m3fnES4_bNS0_12_GLOBAL__N_116CompareEqFunctorIS4_EEEENS0_6memory8policies11unroll_baseILi256ESt5arrayIPcLm3EE23TrivialOffsetCalculatorILi2EjESF_ILi1EjENS9_15LoadWithoutCastENS9_16StoreWithoutCastELi16ELi1EEEEEvT0_T1_@rel32@hi+12
	v_mov_b32_e32 v31, v0
	v_mov_b32_e32 v0, s15
	;; [unrolled: 1-line block ×9, first 2 shown]
	s_swappc_b64 s[30:31], s[4:5]
	s_endpgm
	.section	.rodata,"a",@progbits
	.p2align	6, 0x0
	.amdhsa_kernel _ZN2at6native29vectorized_elementwise_kernelILi2ENS0_13BinaryFunctorIN3c1013Float8_e4m3fnES4_bNS0_12_GLOBAL__N_116CompareEqFunctorIS4_EEEESt5arrayIPcLm3EEEEviT0_T1_
		.amdhsa_group_segment_fixed_size 0
		.amdhsa_private_segment_fixed_size 0
		.amdhsa_kernarg_size 32
		.amdhsa_user_sgpr_count 6
		.amdhsa_user_sgpr_private_segment_buffer 1
		.amdhsa_user_sgpr_dispatch_ptr 0
		.amdhsa_user_sgpr_queue_ptr 0
		.amdhsa_user_sgpr_kernarg_segment_ptr 1
		.amdhsa_user_sgpr_dispatch_id 0
		.amdhsa_user_sgpr_flat_scratch_init 0
		.amdhsa_user_sgpr_private_segment_size 0
		.amdhsa_uses_dynamic_stack 0
		.amdhsa_system_sgpr_private_segment_wavefront_offset 0
		.amdhsa_system_sgpr_workgroup_id_x 1
		.amdhsa_system_sgpr_workgroup_id_y 0
		.amdhsa_system_sgpr_workgroup_id_z 0
		.amdhsa_system_sgpr_workgroup_info 0
		.amdhsa_system_vgpr_workitem_id 0
		.amdhsa_next_free_vgpr 55
		.amdhsa_next_free_sgpr 57
		.amdhsa_reserve_vcc 1
		.amdhsa_reserve_flat_scratch 0
		.amdhsa_float_round_mode_32 0
		.amdhsa_float_round_mode_16_64 0
		.amdhsa_float_denorm_mode_32 3
		.amdhsa_float_denorm_mode_16_64 3
		.amdhsa_dx10_clamp 1
		.amdhsa_ieee_mode 1
		.amdhsa_fp16_overflow 0
		.amdhsa_exception_fp_ieee_invalid_op 0
		.amdhsa_exception_fp_denorm_src 0
		.amdhsa_exception_fp_ieee_div_zero 0
		.amdhsa_exception_fp_ieee_overflow 0
		.amdhsa_exception_fp_ieee_underflow 0
		.amdhsa_exception_fp_ieee_inexact 0
		.amdhsa_exception_int_div_zero 0
	.end_amdhsa_kernel
	.section	.text._ZN2at6native29vectorized_elementwise_kernelILi2ENS0_13BinaryFunctorIN3c1013Float8_e4m3fnES4_bNS0_12_GLOBAL__N_116CompareEqFunctorIS4_EEEESt5arrayIPcLm3EEEEviT0_T1_,"axG",@progbits,_ZN2at6native29vectorized_elementwise_kernelILi2ENS0_13BinaryFunctorIN3c1013Float8_e4m3fnES4_bNS0_12_GLOBAL__N_116CompareEqFunctorIS4_EEEESt5arrayIPcLm3EEEEviT0_T1_,comdat
.Lfunc_end270:
	.size	_ZN2at6native29vectorized_elementwise_kernelILi2ENS0_13BinaryFunctorIN3c1013Float8_e4m3fnES4_bNS0_12_GLOBAL__N_116CompareEqFunctorIS4_EEEESt5arrayIPcLm3EEEEviT0_T1_, .Lfunc_end270-_ZN2at6native29vectorized_elementwise_kernelILi2ENS0_13BinaryFunctorIN3c1013Float8_e4m3fnES4_bNS0_12_GLOBAL__N_116CompareEqFunctorIS4_EEEESt5arrayIPcLm3EEEEviT0_T1_
                                        ; -- End function
	.set _ZN2at6native29vectorized_elementwise_kernelILi2ENS0_13BinaryFunctorIN3c1013Float8_e4m3fnES4_bNS0_12_GLOBAL__N_116CompareEqFunctorIS4_EEEESt5arrayIPcLm3EEEEviT0_T1_.num_vgpr, max(32, .L_ZN2at6native25elementwise_kernel_helperILb0ENS0_13BinaryFunctorIN3c1013Float8_e4m3fnES4_bNS0_12_GLOBAL__N_116CompareEqFunctorIS4_EEEENS0_6memory8policies11unroll_baseILi256ESt5arrayIPcLm3EE23TrivialOffsetCalculatorILi2EjESF_ILi1EjENS9_15LoadWithoutCastENS9_16StoreWithoutCastELi16ELi1EEEEEvT0_T1_.num_vgpr)
	.set _ZN2at6native29vectorized_elementwise_kernelILi2ENS0_13BinaryFunctorIN3c1013Float8_e4m3fnES4_bNS0_12_GLOBAL__N_116CompareEqFunctorIS4_EEEESt5arrayIPcLm3EEEEviT0_T1_.num_agpr, max(0, .L_ZN2at6native25elementwise_kernel_helperILb0ENS0_13BinaryFunctorIN3c1013Float8_e4m3fnES4_bNS0_12_GLOBAL__N_116CompareEqFunctorIS4_EEEENS0_6memory8policies11unroll_baseILi256ESt5arrayIPcLm3EE23TrivialOffsetCalculatorILi2EjESF_ILi1EjENS9_15LoadWithoutCastENS9_16StoreWithoutCastELi16ELi1EEEEEvT0_T1_.num_agpr)
	.set _ZN2at6native29vectorized_elementwise_kernelILi2ENS0_13BinaryFunctorIN3c1013Float8_e4m3fnES4_bNS0_12_GLOBAL__N_116CompareEqFunctorIS4_EEEESt5arrayIPcLm3EEEEviT0_T1_.numbered_sgpr, max(33, .L_ZN2at6native25elementwise_kernel_helperILb0ENS0_13BinaryFunctorIN3c1013Float8_e4m3fnES4_bNS0_12_GLOBAL__N_116CompareEqFunctorIS4_EEEENS0_6memory8policies11unroll_baseILi256ESt5arrayIPcLm3EE23TrivialOffsetCalculatorILi2EjESF_ILi1EjENS9_15LoadWithoutCastENS9_16StoreWithoutCastELi16ELi1EEEEEvT0_T1_.numbered_sgpr)
	.set _ZN2at6native29vectorized_elementwise_kernelILi2ENS0_13BinaryFunctorIN3c1013Float8_e4m3fnES4_bNS0_12_GLOBAL__N_116CompareEqFunctorIS4_EEEESt5arrayIPcLm3EEEEviT0_T1_.num_named_barrier, max(0, .L_ZN2at6native25elementwise_kernel_helperILb0ENS0_13BinaryFunctorIN3c1013Float8_e4m3fnES4_bNS0_12_GLOBAL__N_116CompareEqFunctorIS4_EEEENS0_6memory8policies11unroll_baseILi256ESt5arrayIPcLm3EE23TrivialOffsetCalculatorILi2EjESF_ILi1EjENS9_15LoadWithoutCastENS9_16StoreWithoutCastELi16ELi1EEEEEvT0_T1_.num_named_barrier)
	.set _ZN2at6native29vectorized_elementwise_kernelILi2ENS0_13BinaryFunctorIN3c1013Float8_e4m3fnES4_bNS0_12_GLOBAL__N_116CompareEqFunctorIS4_EEEESt5arrayIPcLm3EEEEviT0_T1_.private_seg_size, 0+max(.L_ZN2at6native25elementwise_kernel_helperILb0ENS0_13BinaryFunctorIN3c1013Float8_e4m3fnES4_bNS0_12_GLOBAL__N_116CompareEqFunctorIS4_EEEENS0_6memory8policies11unroll_baseILi256ESt5arrayIPcLm3EE23TrivialOffsetCalculatorILi2EjESF_ILi1EjENS9_15LoadWithoutCastENS9_16StoreWithoutCastELi16ELi1EEEEEvT0_T1_.private_seg_size)
	.set _ZN2at6native29vectorized_elementwise_kernelILi2ENS0_13BinaryFunctorIN3c1013Float8_e4m3fnES4_bNS0_12_GLOBAL__N_116CompareEqFunctorIS4_EEEESt5arrayIPcLm3EEEEviT0_T1_.uses_vcc, or(1, .L_ZN2at6native25elementwise_kernel_helperILb0ENS0_13BinaryFunctorIN3c1013Float8_e4m3fnES4_bNS0_12_GLOBAL__N_116CompareEqFunctorIS4_EEEENS0_6memory8policies11unroll_baseILi256ESt5arrayIPcLm3EE23TrivialOffsetCalculatorILi2EjESF_ILi1EjENS9_15LoadWithoutCastENS9_16StoreWithoutCastELi16ELi1EEEEEvT0_T1_.uses_vcc)
	.set _ZN2at6native29vectorized_elementwise_kernelILi2ENS0_13BinaryFunctorIN3c1013Float8_e4m3fnES4_bNS0_12_GLOBAL__N_116CompareEqFunctorIS4_EEEESt5arrayIPcLm3EEEEviT0_T1_.uses_flat_scratch, or(0, .L_ZN2at6native25elementwise_kernel_helperILb0ENS0_13BinaryFunctorIN3c1013Float8_e4m3fnES4_bNS0_12_GLOBAL__N_116CompareEqFunctorIS4_EEEENS0_6memory8policies11unroll_baseILi256ESt5arrayIPcLm3EE23TrivialOffsetCalculatorILi2EjESF_ILi1EjENS9_15LoadWithoutCastENS9_16StoreWithoutCastELi16ELi1EEEEEvT0_T1_.uses_flat_scratch)
	.set _ZN2at6native29vectorized_elementwise_kernelILi2ENS0_13BinaryFunctorIN3c1013Float8_e4m3fnES4_bNS0_12_GLOBAL__N_116CompareEqFunctorIS4_EEEESt5arrayIPcLm3EEEEviT0_T1_.has_dyn_sized_stack, or(0, .L_ZN2at6native25elementwise_kernel_helperILb0ENS0_13BinaryFunctorIN3c1013Float8_e4m3fnES4_bNS0_12_GLOBAL__N_116CompareEqFunctorIS4_EEEENS0_6memory8policies11unroll_baseILi256ESt5arrayIPcLm3EE23TrivialOffsetCalculatorILi2EjESF_ILi1EjENS9_15LoadWithoutCastENS9_16StoreWithoutCastELi16ELi1EEEEEvT0_T1_.has_dyn_sized_stack)
	.set _ZN2at6native29vectorized_elementwise_kernelILi2ENS0_13BinaryFunctorIN3c1013Float8_e4m3fnES4_bNS0_12_GLOBAL__N_116CompareEqFunctorIS4_EEEESt5arrayIPcLm3EEEEviT0_T1_.has_recursion, or(0, .L_ZN2at6native25elementwise_kernel_helperILb0ENS0_13BinaryFunctorIN3c1013Float8_e4m3fnES4_bNS0_12_GLOBAL__N_116CompareEqFunctorIS4_EEEENS0_6memory8policies11unroll_baseILi256ESt5arrayIPcLm3EE23TrivialOffsetCalculatorILi2EjESF_ILi1EjENS9_15LoadWithoutCastENS9_16StoreWithoutCastELi16ELi1EEEEEvT0_T1_.has_recursion)
	.set _ZN2at6native29vectorized_elementwise_kernelILi2ENS0_13BinaryFunctorIN3c1013Float8_e4m3fnES4_bNS0_12_GLOBAL__N_116CompareEqFunctorIS4_EEEESt5arrayIPcLm3EEEEviT0_T1_.has_indirect_call, or(0, .L_ZN2at6native25elementwise_kernel_helperILb0ENS0_13BinaryFunctorIN3c1013Float8_e4m3fnES4_bNS0_12_GLOBAL__N_116CompareEqFunctorIS4_EEEENS0_6memory8policies11unroll_baseILi256ESt5arrayIPcLm3EE23TrivialOffsetCalculatorILi2EjESF_ILi1EjENS9_15LoadWithoutCastENS9_16StoreWithoutCastELi16ELi1EEEEEvT0_T1_.has_indirect_call)
	.section	.AMDGPU.csdata,"",@progbits
; Kernel info:
; codeLenInByte = 4640
; TotalNumSgprs: 61
; NumVgprs: 55
; ScratchSize: 0
; MemoryBound: 0
; FloatMode: 240
; IeeeMode: 1
; LDSByteSize: 0 bytes/workgroup (compile time only)
; SGPRBlocks: 7
; VGPRBlocks: 13
; NumSGPRsForWavesPerEU: 61
; NumVGPRsForWavesPerEU: 55
; Occupancy: 4
; WaveLimiterHint : 1
; COMPUTE_PGM_RSRC2:SCRATCH_EN: 0
; COMPUTE_PGM_RSRC2:USER_SGPR: 6
; COMPUTE_PGM_RSRC2:TRAP_HANDLER: 0
; COMPUTE_PGM_RSRC2:TGID_X_EN: 1
; COMPUTE_PGM_RSRC2:TGID_Y_EN: 0
; COMPUTE_PGM_RSRC2:TGID_Z_EN: 0
; COMPUTE_PGM_RSRC2:TIDIG_COMP_CNT: 0
	.section	.text._ZN2at6native27unrolled_elementwise_kernelINS0_13BinaryFunctorIN3c1013Float8_e4m3fnES4_bNS0_12_GLOBAL__N_116CompareEqFunctorIS4_EEEESt5arrayIPcLm3EELi4E23TrivialOffsetCalculatorILi2EjESC_ILi1EjENS0_6memory15LoadWithoutCastENSF_16StoreWithoutCastEEEviT_T0_T2_T3_T4_T5_,"axG",@progbits,_ZN2at6native27unrolled_elementwise_kernelINS0_13BinaryFunctorIN3c1013Float8_e4m3fnES4_bNS0_12_GLOBAL__N_116CompareEqFunctorIS4_EEEESt5arrayIPcLm3EELi4E23TrivialOffsetCalculatorILi2EjESC_ILi1EjENS0_6memory15LoadWithoutCastENSF_16StoreWithoutCastEEEviT_T0_T2_T3_T4_T5_,comdat
	.globl	_ZN2at6native27unrolled_elementwise_kernelINS0_13BinaryFunctorIN3c1013Float8_e4m3fnES4_bNS0_12_GLOBAL__N_116CompareEqFunctorIS4_EEEESt5arrayIPcLm3EELi4E23TrivialOffsetCalculatorILi2EjESC_ILi1EjENS0_6memory15LoadWithoutCastENSF_16StoreWithoutCastEEEviT_T0_T2_T3_T4_T5_ ; -- Begin function _ZN2at6native27unrolled_elementwise_kernelINS0_13BinaryFunctorIN3c1013Float8_e4m3fnES4_bNS0_12_GLOBAL__N_116CompareEqFunctorIS4_EEEESt5arrayIPcLm3EELi4E23TrivialOffsetCalculatorILi2EjESC_ILi1EjENS0_6memory15LoadWithoutCastENSF_16StoreWithoutCastEEEviT_T0_T2_T3_T4_T5_
	.p2align	8
	.type	_ZN2at6native27unrolled_elementwise_kernelINS0_13BinaryFunctorIN3c1013Float8_e4m3fnES4_bNS0_12_GLOBAL__N_116CompareEqFunctorIS4_EEEESt5arrayIPcLm3EELi4E23TrivialOffsetCalculatorILi2EjESC_ILi1EjENS0_6memory15LoadWithoutCastENSF_16StoreWithoutCastEEEviT_T0_T2_T3_T4_T5_,@function
_ZN2at6native27unrolled_elementwise_kernelINS0_13BinaryFunctorIN3c1013Float8_e4m3fnES4_bNS0_12_GLOBAL__N_116CompareEqFunctorIS4_EEEESt5arrayIPcLm3EELi4E23TrivialOffsetCalculatorILi2EjESC_ILi1EjENS0_6memory15LoadWithoutCastENSF_16StoreWithoutCastEEEviT_T0_T2_T3_T4_T5_: ; @_ZN2at6native27unrolled_elementwise_kernelINS0_13BinaryFunctorIN3c1013Float8_e4m3fnES4_bNS0_12_GLOBAL__N_116CompareEqFunctorIS4_EEEESt5arrayIPcLm3EELi4E23TrivialOffsetCalculatorILi2EjESC_ILi1EjENS0_6memory15LoadWithoutCastENSF_16StoreWithoutCastEEEviT_T0_T2_T3_T4_T5_
; %bb.0:
	s_load_dwordx2 s[2:3], s[4:5], 0x0
	s_load_dwordx4 s[8:11], s[4:5], 0x8
	s_load_dwordx2 s[12:13], s[4:5], 0x18
	s_lshl_b32 s18, s6, 10
	v_mov_b32_e32 v6, 0
	s_waitcnt lgkmcnt(0)
	s_sub_i32 s19, s2, s18
	v_cmp_gt_i32_e32 vcc, s19, v0
	v_mov_b32_e32 v1, 0
	v_or_b32_e32 v2, s18, v0
	v_mov_b32_e32 v4, 0
	v_mov_b32_e32 v3, 0
	;; [unrolled: 1-line block ×7, first 2 shown]
	s_and_saveexec_b64 s[4:5], vcc
	s_cbranch_execz .LBB271_8
; %bb.1:
	global_load_ubyte v10, v2, s[10:11]
	global_load_ubyte v8, v2, s[12:13]
	v_or_b32_e32 v11, 0x100, v0
	v_cmp_gt_u32_e64 s[0:1], s19, v11
	v_mov_b32_e32 v3, 0
	v_mov_b32_e32 v7, 0
	;; [unrolled: 1-line block ×6, first 2 shown]
	s_and_saveexec_b64 s[6:7], s[0:1]
	s_cbranch_execz .LBB271_7
; %bb.2:
	v_add_u32_e32 v3, s18, v11
	global_load_ubyte v9, v3, s[10:11]
	global_load_ubyte v7, v3, s[12:13]
	v_or_b32_e32 v11, 0x200, v0
	v_cmp_gt_u32_e64 s[0:1], s19, v11
	v_mov_b32_e32 v3, 0
	v_mov_b32_e32 v5, 0
	;; [unrolled: 1-line block ×4, first 2 shown]
	s_and_saveexec_b64 s[14:15], s[0:1]
	s_cbranch_execz .LBB271_6
; %bb.3:
	v_add_u32_e32 v3, s18, v11
	global_load_ubyte v6, v3, s[10:11]
	global_load_ubyte v5, v3, s[12:13]
	v_or_b32_e32 v11, 0x300, v0
	v_cmp_gt_u32_e64 s[0:1], s19, v11
	v_mov_b32_e32 v3, 0
	v_mov_b32_e32 v4, 0
	s_and_saveexec_b64 s[16:17], s[0:1]
	s_cbranch_execz .LBB271_5
; %bb.4:
	v_add_u32_e32 v3, s18, v11
	global_load_ubyte v4, v3, s[10:11]
	global_load_ubyte v11, v3, s[12:13]
	s_waitcnt vmcnt(1)
	v_lshlrev_b32_e32 v4, 24, v4
	s_waitcnt vmcnt(0)
	v_lshlrev_b32_e32 v3, 24, v11
.LBB271_5:
	s_or_b64 exec, exec, s[16:17]
.LBB271_6:
	s_or_b64 exec, exec, s[14:15]
.LBB271_7:
	s_or_b64 exec, exec, s[6:7]
.LBB271_8:
	s_or_b64 exec, exec, s[4:5]
	s_cmp_eq_u32 s3, 0
	s_cselect_b64 s[0:1], -1, 0
	s_and_saveexec_b64 s[4:5], vcc
	s_cbranch_execz .LBB271_10
; %bb.9:
	s_waitcnt vmcnt(1)
	v_lshlrev_b32_e32 v1, 24, v10
	v_and_b32_e32 v10, 0x7f000000, v1
	v_ffbh_u32_e32 v11, v10
	v_min_u32_e32 v11, 32, v11
	v_sub_u32_e64 v11, v11, 4 clamp
	v_lshlrev_b32_e32 v13, v11, v10
	v_lshrrev_b32_e32 v13, 4, v13
	v_lshlrev_b32_e32 v11, 23, v11
	v_add_u32_e32 v12, 0x1000000, v10
	v_sub_u32_e32 v11, v13, v11
	v_ashrrev_i32_e32 v12, 8, v12
	v_add_u32_e32 v11, 0x3c000000, v11
	s_mov_b32 s6, 0x7f800000
	v_and_or_b32 v11, v12, s6, v11
	v_cmp_ne_u32_e64 s[2:3], 0, v10
	v_cndmask_b32_e64 v10, 0, v11, s[2:3]
	s_brev_b32 s7, 1
	s_waitcnt vmcnt(0)
	v_lshlrev_b32_e32 v8, 24, v8
	v_and_or_b32 v1, v1, s7, v10
	v_and_b32_e32 v10, 0x7f000000, v8
	v_ffbh_u32_e32 v11, v10
	v_min_u32_e32 v11, 32, v11
	v_sub_u32_e64 v11, v11, 4 clamp
	v_lshlrev_b32_e32 v13, v11, v10
	v_lshrrev_b32_e32 v13, 4, v13
	v_lshlrev_b32_e32 v11, 23, v11
	v_add_u32_e32 v12, 0x1000000, v10
	v_sub_u32_e32 v11, v13, v11
	v_ashrrev_i32_e32 v12, 8, v12
	v_add_u32_e32 v11, 0x3c000000, v11
	v_and_or_b32 v11, v12, s6, v11
	v_cmp_ne_u32_e64 s[2:3], 0, v10
	v_cndmask_b32_e64 v10, 0, v11, s[2:3]
	v_and_or_b32 v8, v8, s7, v10
	v_cmp_eq_f32_e64 s[2:3], v1, v8
	v_cndmask_b32_e64 v10, 0, 1, s[2:3]
	v_cmp_neq_f32_e64 s[2:3], v1, v8
	v_cndmask_b32_e64 v1, 0, 1, s[2:3]
	v_cndmask_b32_e64 v1, v1, v10, s[0:1]
	v_and_b32_e32 v1, 1, v1
.LBB271_10:
	s_or_b64 exec, exec, s[4:5]
	s_waitcnt vmcnt(0)
	v_or_b32_e32 v8, 0x100, v0
	v_cmp_gt_i32_e64 s[2:3], s19, v8
	s_and_saveexec_b64 s[4:5], s[2:3]
	s_cbranch_execz .LBB271_12
; %bb.11:
	v_lshlrev_b32_e32 v9, 24, v9
	v_and_b32_e32 v10, 0x7f000000, v9
	v_ffbh_u32_e32 v11, v10
	v_min_u32_e32 v11, 32, v11
	v_sub_u32_e64 v11, v11, 4 clamp
	v_lshlrev_b32_e32 v13, v11, v10
	v_lshrrev_b32_e32 v13, 4, v13
	v_lshlrev_b32_e32 v11, 23, v11
	v_add_u32_e32 v12, 0x1000000, v10
	v_sub_u32_e32 v11, v13, v11
	v_ashrrev_i32_e32 v12, 8, v12
	v_add_u32_e32 v11, 0x3c000000, v11
	s_mov_b32 s6, 0x7f800000
	v_and_or_b32 v11, v12, s6, v11
	v_cmp_ne_u32_e64 s[2:3], 0, v10
	v_cndmask_b32_e64 v10, 0, v11, s[2:3]
	s_brev_b32 s7, 1
	v_lshlrev_b32_e32 v7, 24, v7
	v_and_or_b32 v9, v9, s7, v10
	v_and_b32_e32 v10, 0x7f000000, v7
	v_ffbh_u32_e32 v11, v10
	v_min_u32_e32 v11, 32, v11
	v_sub_u32_e64 v11, v11, 4 clamp
	v_lshlrev_b32_e32 v13, v11, v10
	v_lshrrev_b32_e32 v13, 4, v13
	v_lshlrev_b32_e32 v11, 23, v11
	v_add_u32_e32 v12, 0x1000000, v10
	v_sub_u32_e32 v11, v13, v11
	v_ashrrev_i32_e32 v12, 8, v12
	v_add_u32_e32 v11, 0x3c000000, v11
	v_and_or_b32 v11, v12, s6, v11
	v_cmp_ne_u32_e64 s[2:3], 0, v10
	v_cndmask_b32_e64 v10, 0, v11, s[2:3]
	v_and_or_b32 v7, v7, s7, v10
	v_cmp_eq_f32_e64 s[2:3], v9, v7
	v_cndmask_b32_e64 v10, 0, 1, s[2:3]
	v_cmp_neq_f32_e64 s[2:3], v9, v7
	v_cndmask_b32_e64 v7, 0, 1, s[2:3]
	v_cndmask_b32_e64 v7, v7, v10, s[0:1]
	v_mov_b32_e32 v9, 1
	v_and_b32_sdwa v7, v7, v9 dst_sel:BYTE_1 dst_unused:UNUSED_PAD src0_sel:DWORD src1_sel:DWORD
	v_or_b32_e32 v1, v1, v7
	v_and_b32_e32 v1, 0xffff, v1
.LBB271_12:
	s_or_b64 exec, exec, s[4:5]
	v_or_b32_e32 v7, 0x200, v0
	v_cmp_gt_i32_e64 s[2:3], s19, v7
	s_and_saveexec_b64 s[4:5], s[2:3]
	s_cbranch_execz .LBB271_14
; %bb.13:
	v_lshlrev_b32_e32 v6, 24, v6
	v_and_b32_e32 v7, 0x7f000000, v6
	v_ffbh_u32_e32 v9, v7
	v_min_u32_e32 v9, 32, v9
	v_sub_u32_e64 v9, v9, 4 clamp
	v_lshlrev_b32_e32 v11, v9, v7
	v_lshrrev_b32_e32 v11, 4, v11
	v_lshlrev_b32_e32 v9, 23, v9
	v_add_u32_e32 v10, 0x1000000, v7
	v_sub_u32_e32 v9, v11, v9
	v_ashrrev_i32_e32 v10, 8, v10
	v_add_u32_e32 v9, 0x3c000000, v9
	s_mov_b32 s6, 0x7f800000
	v_and_or_b32 v9, v10, s6, v9
	v_cmp_ne_u32_e64 s[2:3], 0, v7
	v_cndmask_b32_e64 v7, 0, v9, s[2:3]
	s_brev_b32 s7, 1
	v_lshlrev_b32_e32 v5, 24, v5
	v_and_or_b32 v6, v6, s7, v7
	v_and_b32_e32 v7, 0x7f000000, v5
	v_ffbh_u32_e32 v9, v7
	v_min_u32_e32 v9, 32, v9
	v_sub_u32_e64 v9, v9, 4 clamp
	v_lshlrev_b32_e32 v11, v9, v7
	v_lshrrev_b32_e32 v11, 4, v11
	v_lshlrev_b32_e32 v9, 23, v9
	v_add_u32_e32 v10, 0x1000000, v7
	v_sub_u32_e32 v9, v11, v9
	v_ashrrev_i32_e32 v10, 8, v10
	v_add_u32_e32 v9, 0x3c000000, v9
	v_and_or_b32 v9, v10, s6, v9
	v_cmp_ne_u32_e64 s[2:3], 0, v7
	v_cndmask_b32_e64 v7, 0, v9, s[2:3]
	v_and_or_b32 v5, v5, s7, v7
	v_cmp_eq_f32_e64 s[2:3], v6, v5
	v_cndmask_b32_e64 v7, 0, 1, s[2:3]
	v_cmp_neq_f32_e64 s[2:3], v6, v5
	v_cndmask_b32_e64 v5, 0, 1, s[2:3]
	v_cndmask_b32_e64 v5, v5, v7, s[0:1]
	v_and_b32_e32 v5, 1, v5
	v_lshl_or_b32 v1, v5, 16, v1
.LBB271_14:
	s_or_b64 exec, exec, s[4:5]
	v_or_b32_e32 v5, 0x300, v0
	v_cmp_gt_i32_e64 s[2:3], s19, v5
	s_and_saveexec_b64 s[4:5], s[2:3]
	s_cbranch_execnz .LBB271_20
; %bb.15:
	s_or_b64 exec, exec, s[4:5]
	s_and_saveexec_b64 s[0:1], vcc
	s_xor_b64 s[0:1], exec, s[0:1]
	s_cbranch_execnz .LBB271_21
.LBB271_16:
	s_or_b64 exec, exec, s[0:1]
	v_cmp_gt_i32_e32 vcc, s19, v0
	s_and_saveexec_b64 s[0:1], vcc
	s_cbranch_execnz .LBB271_22
.LBB271_17:
	s_or_b64 exec, exec, s[0:1]
	v_cmp_gt_i32_e32 vcc, s19, v0
	s_and_saveexec_b64 s[0:1], vcc
	s_cbranch_execnz .LBB271_23
.LBB271_18:
	s_or_b64 exec, exec, s[0:1]
	v_cmp_gt_i32_e32 vcc, s19, v0
	s_and_saveexec_b64 s[0:1], vcc
	s_cbranch_execnz .LBB271_24
.LBB271_19:
	s_endpgm
.LBB271_20:
	v_and_b32_e32 v5, 0x7f000000, v4
	v_ffbh_u32_e32 v6, v5
	v_min_u32_e32 v6, 32, v6
	v_sub_u32_e64 v6, v6, 4 clamp
	v_lshlrev_b32_e32 v9, v6, v5
	v_lshrrev_b32_e32 v9, 4, v9
	v_lshlrev_b32_e32 v6, 23, v6
	v_add_u32_e32 v7, 0x1000000, v5
	v_sub_u32_e32 v6, v9, v6
	v_ashrrev_i32_e32 v7, 8, v7
	v_add_u32_e32 v6, 0x3c000000, v6
	s_mov_b32 s6, 0x7f800000
	v_and_or_b32 v6, v7, s6, v6
	v_cmp_ne_u32_e64 s[2:3], 0, v5
	v_cndmask_b32_e64 v5, 0, v6, s[2:3]
	s_brev_b32 s7, 1
	v_and_or_b32 v4, v4, s7, v5
	v_and_b32_e32 v5, 0x7f000000, v3
	v_ffbh_u32_e32 v6, v5
	v_min_u32_e32 v6, 32, v6
	v_sub_u32_e64 v6, v6, 4 clamp
	v_lshlrev_b32_e32 v9, v6, v5
	v_lshrrev_b32_e32 v9, 4, v9
	v_lshlrev_b32_e32 v6, 23, v6
	v_add_u32_e32 v7, 0x1000000, v5
	v_sub_u32_e32 v6, v9, v6
	v_ashrrev_i32_e32 v7, 8, v7
	v_add_u32_e32 v6, 0x3c000000, v6
	v_and_or_b32 v6, v7, s6, v6
	v_cmp_ne_u32_e64 s[2:3], 0, v5
	v_cndmask_b32_e64 v5, 0, v6, s[2:3]
	v_and_or_b32 v3, v3, s7, v5
	v_cmp_eq_f32_e64 s[2:3], v4, v3
	v_cndmask_b32_e64 v5, 0, 1, s[2:3]
	v_cmp_neq_f32_e64 s[2:3], v4, v3
	v_cndmask_b32_e64 v3, 0, 1, s[2:3]
	v_cndmask_b32_e64 v3, v3, v5, s[0:1]
	v_mov_b32_e32 v4, 1
	v_and_b32_sdwa v3, v3, v4 dst_sel:BYTE_1 dst_unused:UNUSED_PAD src0_sel:DWORD src1_sel:DWORD
	v_or_b32_sdwa v3, v1, v3 dst_sel:WORD_1 dst_unused:UNUSED_PAD src0_sel:WORD_1 src1_sel:DWORD
	s_mov_b32 s0, 0xffff
	v_and_or_b32 v1, v1, s0, v3
	s_or_b64 exec, exec, s[4:5]
	s_and_saveexec_b64 s[0:1], vcc
	s_xor_b64 s[0:1], exec, s[0:1]
	s_cbranch_execz .LBB271_16
.LBB271_21:
	v_mov_b32_e32 v0, v8
	global_store_byte v2, v1, s[8:9]
	s_or_b64 exec, exec, s[0:1]
	v_cmp_gt_i32_e32 vcc, s19, v0
	s_and_saveexec_b64 s[0:1], vcc
	s_cbranch_execz .LBB271_17
.LBB271_22:
	v_add_u32_e32 v2, 0x100, v0
	v_add_u32_e32 v0, s18, v0
	v_lshrrev_b32_e32 v3, 8, v1
	global_store_byte v0, v3, s[8:9]
	v_mov_b32_e32 v0, v2
	s_or_b64 exec, exec, s[0:1]
	v_cmp_gt_i32_e32 vcc, s19, v0
	s_and_saveexec_b64 s[0:1], vcc
	s_cbranch_execz .LBB271_18
.LBB271_23:
	v_add_u32_e32 v2, 0x100, v0
	v_add_u32_e32 v0, s18, v0
	global_store_byte_d16_hi v0, v1, s[8:9]
	v_mov_b32_e32 v0, v2
	s_or_b64 exec, exec, s[0:1]
	v_cmp_gt_i32_e32 vcc, s19, v0
	s_and_saveexec_b64 s[0:1], vcc
	s_cbranch_execz .LBB271_19
.LBB271_24:
	v_add_u32_e32 v0, s18, v0
	v_lshrrev_b32_e32 v1, 24, v1
	global_store_byte v0, v1, s[8:9]
	s_endpgm
	.section	.rodata,"a",@progbits
	.p2align	6, 0x0
	.amdhsa_kernel _ZN2at6native27unrolled_elementwise_kernelINS0_13BinaryFunctorIN3c1013Float8_e4m3fnES4_bNS0_12_GLOBAL__N_116CompareEqFunctorIS4_EEEESt5arrayIPcLm3EELi4E23TrivialOffsetCalculatorILi2EjESC_ILi1EjENS0_6memory15LoadWithoutCastENSF_16StoreWithoutCastEEEviT_T0_T2_T3_T4_T5_
		.amdhsa_group_segment_fixed_size 0
		.amdhsa_private_segment_fixed_size 0
		.amdhsa_kernarg_size 36
		.amdhsa_user_sgpr_count 6
		.amdhsa_user_sgpr_private_segment_buffer 1
		.amdhsa_user_sgpr_dispatch_ptr 0
		.amdhsa_user_sgpr_queue_ptr 0
		.amdhsa_user_sgpr_kernarg_segment_ptr 1
		.amdhsa_user_sgpr_dispatch_id 0
		.amdhsa_user_sgpr_flat_scratch_init 0
		.amdhsa_user_sgpr_private_segment_size 0
		.amdhsa_uses_dynamic_stack 0
		.amdhsa_system_sgpr_private_segment_wavefront_offset 0
		.amdhsa_system_sgpr_workgroup_id_x 1
		.amdhsa_system_sgpr_workgroup_id_y 0
		.amdhsa_system_sgpr_workgroup_id_z 0
		.amdhsa_system_sgpr_workgroup_info 0
		.amdhsa_system_vgpr_workitem_id 0
		.amdhsa_next_free_vgpr 14
		.amdhsa_next_free_sgpr 20
		.amdhsa_reserve_vcc 1
		.amdhsa_reserve_flat_scratch 0
		.amdhsa_float_round_mode_32 0
		.amdhsa_float_round_mode_16_64 0
		.amdhsa_float_denorm_mode_32 3
		.amdhsa_float_denorm_mode_16_64 3
		.amdhsa_dx10_clamp 1
		.amdhsa_ieee_mode 1
		.amdhsa_fp16_overflow 0
		.amdhsa_exception_fp_ieee_invalid_op 0
		.amdhsa_exception_fp_denorm_src 0
		.amdhsa_exception_fp_ieee_div_zero 0
		.amdhsa_exception_fp_ieee_overflow 0
		.amdhsa_exception_fp_ieee_underflow 0
		.amdhsa_exception_fp_ieee_inexact 0
		.amdhsa_exception_int_div_zero 0
	.end_amdhsa_kernel
	.section	.text._ZN2at6native27unrolled_elementwise_kernelINS0_13BinaryFunctorIN3c1013Float8_e4m3fnES4_bNS0_12_GLOBAL__N_116CompareEqFunctorIS4_EEEESt5arrayIPcLm3EELi4E23TrivialOffsetCalculatorILi2EjESC_ILi1EjENS0_6memory15LoadWithoutCastENSF_16StoreWithoutCastEEEviT_T0_T2_T3_T4_T5_,"axG",@progbits,_ZN2at6native27unrolled_elementwise_kernelINS0_13BinaryFunctorIN3c1013Float8_e4m3fnES4_bNS0_12_GLOBAL__N_116CompareEqFunctorIS4_EEEESt5arrayIPcLm3EELi4E23TrivialOffsetCalculatorILi2EjESC_ILi1EjENS0_6memory15LoadWithoutCastENSF_16StoreWithoutCastEEEviT_T0_T2_T3_T4_T5_,comdat
.Lfunc_end271:
	.size	_ZN2at6native27unrolled_elementwise_kernelINS0_13BinaryFunctorIN3c1013Float8_e4m3fnES4_bNS0_12_GLOBAL__N_116CompareEqFunctorIS4_EEEESt5arrayIPcLm3EELi4E23TrivialOffsetCalculatorILi2EjESC_ILi1EjENS0_6memory15LoadWithoutCastENSF_16StoreWithoutCastEEEviT_T0_T2_T3_T4_T5_, .Lfunc_end271-_ZN2at6native27unrolled_elementwise_kernelINS0_13BinaryFunctorIN3c1013Float8_e4m3fnES4_bNS0_12_GLOBAL__N_116CompareEqFunctorIS4_EEEESt5arrayIPcLm3EELi4E23TrivialOffsetCalculatorILi2EjESC_ILi1EjENS0_6memory15LoadWithoutCastENSF_16StoreWithoutCastEEEviT_T0_T2_T3_T4_T5_
                                        ; -- End function
	.set _ZN2at6native27unrolled_elementwise_kernelINS0_13BinaryFunctorIN3c1013Float8_e4m3fnES4_bNS0_12_GLOBAL__N_116CompareEqFunctorIS4_EEEESt5arrayIPcLm3EELi4E23TrivialOffsetCalculatorILi2EjESC_ILi1EjENS0_6memory15LoadWithoutCastENSF_16StoreWithoutCastEEEviT_T0_T2_T3_T4_T5_.num_vgpr, 14
	.set _ZN2at6native27unrolled_elementwise_kernelINS0_13BinaryFunctorIN3c1013Float8_e4m3fnES4_bNS0_12_GLOBAL__N_116CompareEqFunctorIS4_EEEESt5arrayIPcLm3EELi4E23TrivialOffsetCalculatorILi2EjESC_ILi1EjENS0_6memory15LoadWithoutCastENSF_16StoreWithoutCastEEEviT_T0_T2_T3_T4_T5_.num_agpr, 0
	.set _ZN2at6native27unrolled_elementwise_kernelINS0_13BinaryFunctorIN3c1013Float8_e4m3fnES4_bNS0_12_GLOBAL__N_116CompareEqFunctorIS4_EEEESt5arrayIPcLm3EELi4E23TrivialOffsetCalculatorILi2EjESC_ILi1EjENS0_6memory15LoadWithoutCastENSF_16StoreWithoutCastEEEviT_T0_T2_T3_T4_T5_.numbered_sgpr, 20
	.set _ZN2at6native27unrolled_elementwise_kernelINS0_13BinaryFunctorIN3c1013Float8_e4m3fnES4_bNS0_12_GLOBAL__N_116CompareEqFunctorIS4_EEEESt5arrayIPcLm3EELi4E23TrivialOffsetCalculatorILi2EjESC_ILi1EjENS0_6memory15LoadWithoutCastENSF_16StoreWithoutCastEEEviT_T0_T2_T3_T4_T5_.num_named_barrier, 0
	.set _ZN2at6native27unrolled_elementwise_kernelINS0_13BinaryFunctorIN3c1013Float8_e4m3fnES4_bNS0_12_GLOBAL__N_116CompareEqFunctorIS4_EEEESt5arrayIPcLm3EELi4E23TrivialOffsetCalculatorILi2EjESC_ILi1EjENS0_6memory15LoadWithoutCastENSF_16StoreWithoutCastEEEviT_T0_T2_T3_T4_T5_.private_seg_size, 0
	.set _ZN2at6native27unrolled_elementwise_kernelINS0_13BinaryFunctorIN3c1013Float8_e4m3fnES4_bNS0_12_GLOBAL__N_116CompareEqFunctorIS4_EEEESt5arrayIPcLm3EELi4E23TrivialOffsetCalculatorILi2EjESC_ILi1EjENS0_6memory15LoadWithoutCastENSF_16StoreWithoutCastEEEviT_T0_T2_T3_T4_T5_.uses_vcc, 1
	.set _ZN2at6native27unrolled_elementwise_kernelINS0_13BinaryFunctorIN3c1013Float8_e4m3fnES4_bNS0_12_GLOBAL__N_116CompareEqFunctorIS4_EEEESt5arrayIPcLm3EELi4E23TrivialOffsetCalculatorILi2EjESC_ILi1EjENS0_6memory15LoadWithoutCastENSF_16StoreWithoutCastEEEviT_T0_T2_T3_T4_T5_.uses_flat_scratch, 0
	.set _ZN2at6native27unrolled_elementwise_kernelINS0_13BinaryFunctorIN3c1013Float8_e4m3fnES4_bNS0_12_GLOBAL__N_116CompareEqFunctorIS4_EEEESt5arrayIPcLm3EELi4E23TrivialOffsetCalculatorILi2EjESC_ILi1EjENS0_6memory15LoadWithoutCastENSF_16StoreWithoutCastEEEviT_T0_T2_T3_T4_T5_.has_dyn_sized_stack, 0
	.set _ZN2at6native27unrolled_elementwise_kernelINS0_13BinaryFunctorIN3c1013Float8_e4m3fnES4_bNS0_12_GLOBAL__N_116CompareEqFunctorIS4_EEEESt5arrayIPcLm3EELi4E23TrivialOffsetCalculatorILi2EjESC_ILi1EjENS0_6memory15LoadWithoutCastENSF_16StoreWithoutCastEEEviT_T0_T2_T3_T4_T5_.has_recursion, 0
	.set _ZN2at6native27unrolled_elementwise_kernelINS0_13BinaryFunctorIN3c1013Float8_e4m3fnES4_bNS0_12_GLOBAL__N_116CompareEqFunctorIS4_EEEESt5arrayIPcLm3EELi4E23TrivialOffsetCalculatorILi2EjESC_ILi1EjENS0_6memory15LoadWithoutCastENSF_16StoreWithoutCastEEEviT_T0_T2_T3_T4_T5_.has_indirect_call, 0
	.section	.AMDGPU.csdata,"",@progbits
; Kernel info:
; codeLenInByte = 1688
; TotalNumSgprs: 24
; NumVgprs: 14
; ScratchSize: 0
; MemoryBound: 0
; FloatMode: 240
; IeeeMode: 1
; LDSByteSize: 0 bytes/workgroup (compile time only)
; SGPRBlocks: 2
; VGPRBlocks: 3
; NumSGPRsForWavesPerEU: 24
; NumVGPRsForWavesPerEU: 14
; Occupancy: 10
; WaveLimiterHint : 0
; COMPUTE_PGM_RSRC2:SCRATCH_EN: 0
; COMPUTE_PGM_RSRC2:USER_SGPR: 6
; COMPUTE_PGM_RSRC2:TRAP_HANDLER: 0
; COMPUTE_PGM_RSRC2:TGID_X_EN: 1
; COMPUTE_PGM_RSRC2:TGID_Y_EN: 0
; COMPUTE_PGM_RSRC2:TGID_Z_EN: 0
; COMPUTE_PGM_RSRC2:TIDIG_COMP_CNT: 0
	.section	.text._ZN2at6native32elementwise_kernel_manual_unrollILi128ELi8EZNS0_22gpu_kernel_impl_nocastINS0_13BinaryFunctorIN3c1013Float8_e4m3fnES5_bNS0_12_GLOBAL__N_116CompareEqFunctorIS5_EEEEEEvRNS_18TensorIteratorBaseERKT_EUlibE_EEviT1_,"axG",@progbits,_ZN2at6native32elementwise_kernel_manual_unrollILi128ELi8EZNS0_22gpu_kernel_impl_nocastINS0_13BinaryFunctorIN3c1013Float8_e4m3fnES5_bNS0_12_GLOBAL__N_116CompareEqFunctorIS5_EEEEEEvRNS_18TensorIteratorBaseERKT_EUlibE_EEviT1_,comdat
	.globl	_ZN2at6native32elementwise_kernel_manual_unrollILi128ELi8EZNS0_22gpu_kernel_impl_nocastINS0_13BinaryFunctorIN3c1013Float8_e4m3fnES5_bNS0_12_GLOBAL__N_116CompareEqFunctorIS5_EEEEEEvRNS_18TensorIteratorBaseERKT_EUlibE_EEviT1_ ; -- Begin function _ZN2at6native32elementwise_kernel_manual_unrollILi128ELi8EZNS0_22gpu_kernel_impl_nocastINS0_13BinaryFunctorIN3c1013Float8_e4m3fnES5_bNS0_12_GLOBAL__N_116CompareEqFunctorIS5_EEEEEEvRNS_18TensorIteratorBaseERKT_EUlibE_EEviT1_
	.p2align	8
	.type	_ZN2at6native32elementwise_kernel_manual_unrollILi128ELi8EZNS0_22gpu_kernel_impl_nocastINS0_13BinaryFunctorIN3c1013Float8_e4m3fnES5_bNS0_12_GLOBAL__N_116CompareEqFunctorIS5_EEEEEEvRNS_18TensorIteratorBaseERKT_EUlibE_EEviT1_,@function
_ZN2at6native32elementwise_kernel_manual_unrollILi128ELi8EZNS0_22gpu_kernel_impl_nocastINS0_13BinaryFunctorIN3c1013Float8_e4m3fnES5_bNS0_12_GLOBAL__N_116CompareEqFunctorIS5_EEEEEEvRNS_18TensorIteratorBaseERKT_EUlibE_EEviT1_: ; @_ZN2at6native32elementwise_kernel_manual_unrollILi128ELi8EZNS0_22gpu_kernel_impl_nocastINS0_13BinaryFunctorIN3c1013Float8_e4m3fnES5_bNS0_12_GLOBAL__N_116CompareEqFunctorIS5_EEEEEEvRNS_18TensorIteratorBaseERKT_EUlibE_EEviT1_
; %bb.0:
	s_load_dword s38, s[4:5], 0x0
	s_load_dword s33, s[4:5], 0x8
	s_add_u32 s16, s4, 8
	s_addc_u32 s17, s5, 0
	v_lshl_or_b32 v26, s6, 10, v0
	v_or_b32_e32 v39, 0x380, v26
	s_waitcnt lgkmcnt(0)
	s_add_i32 s36, s33, -1
	s_cmp_gt_u32 s36, 1
	v_cmp_le_i32_e32 vcc, s38, v39
	s_cselect_b64 s[2:3], -1, 0
	s_and_saveexec_b64 s[0:1], vcc
	s_xor_b64 s[18:19], exec, s[0:1]
	s_cbranch_execz .LBB272_106
; %bb.1:
	s_load_dwordx4 s[12:15], s[16:17], 0x4
	s_load_dwordx2 s[24:25], s[16:17], 0x14
	s_load_dwordx4 s[8:11], s[16:17], 0xc4
	s_load_dwordx2 s[22:23], s[16:17], 0xd4
	s_load_dword s0, s[16:17], 0x1a0
	s_cmp_lg_u32 s33, 0
	s_load_dwordx2 s[20:21], s[16:17], 0x198
	s_load_dwordx4 s[4:7], s[16:17], 0x188
	s_cselect_b64 s[28:29], -1, 0
	s_min_u32 s37, s36, 15
	s_cmp_gt_u32 s33, 1
	s_cselect_b64 s[26:27], -1, 0
	s_waitcnt lgkmcnt(0)
	s_cmp_eq_u32 s0, 0
	s_cselect_b64 s[0:1], -1, 0
	v_cmp_gt_i32_e32 vcc, s38, v26
	s_and_saveexec_b64 s[30:31], vcc
	s_cbranch_execnz .LBB272_9
; %bb.2:
	s_or_b64 exec, exec, s[30:31]
	v_cmp_gt_i32_e32 vcc, s38, v26
	s_and_saveexec_b64 s[30:31], vcc
	s_cbranch_execnz .LBB272_21
.LBB272_3:
	s_or_b64 exec, exec, s[30:31]
	v_cmp_gt_i32_e32 vcc, s38, v26
	s_and_saveexec_b64 s[30:31], vcc
	s_cbranch_execnz .LBB272_33
.LBB272_4:
	s_or_b64 exec, exec, s[30:31]
	v_cmp_gt_i32_e32 vcc, s38, v26
	s_and_saveexec_b64 s[30:31], vcc
	s_cbranch_execnz .LBB272_45
.LBB272_5:
	s_or_b64 exec, exec, s[30:31]
	v_cmp_gt_i32_e32 vcc, s38, v26
	s_and_saveexec_b64 s[30:31], vcc
	s_cbranch_execnz .LBB272_57
.LBB272_6:
	s_or_b64 exec, exec, s[30:31]
	v_cmp_gt_i32_e32 vcc, s38, v26
	s_and_saveexec_b64 s[30:31], vcc
	s_cbranch_execnz .LBB272_69
.LBB272_7:
	s_or_b64 exec, exec, s[30:31]
	v_cmp_gt_i32_e32 vcc, s38, v26
	s_and_saveexec_b64 s[30:31], vcc
	s_cbranch_execnz .LBB272_81
.LBB272_8:
	s_or_b64 exec, exec, s[30:31]
	v_cmp_gt_i32_e32 vcc, s38, v26
	s_and_saveexec_b64 s[30:31], vcc
	s_cbranch_execnz .LBB272_93
	s_branch .LBB272_105
.LBB272_9:
	s_andn2_b64 vcc, exec, s[2:3]
	s_cbranch_vccnz .LBB272_15
; %bb.10:
	s_andn2_b64 vcc, exec, s[28:29]
	s_cbranch_vccnz .LBB272_16
; %bb.11:
	s_add_i32 s34, s37, 1
	s_and_b32 s39, s34, 30
	s_add_u32 s34, s16, 0xffffffe8
	s_addc_u32 s35, s17, -1
	v_mov_b32_e32 v2, 0
	v_mov_b32_e32 v4, 0
	;; [unrolled: 1-line block ×4, first 2 shown]
.LBB272_12:                             ; =>This Inner Loop Header: Depth=1
	s_load_dwordx4 s[40:43], s[34:35], 0x1c
	s_load_dwordx2 s[48:49], s[34:35], 0x2c
	s_load_dwordx2 s[50:51], s[34:35], 0xec
	s_load_dwordx4 s[44:47], s[34:35], 0xdc
	s_add_u32 s34, s34, 24
	s_waitcnt lgkmcnt(0)
	v_mul_hi_u32 v3, s41, v1
	s_addc_u32 s35, s35, 0
	s_add_i32 s39, s39, -2
	s_cmp_lg_u32 s39, 0
	v_add_u32_e32 v3, v1, v3
	v_lshrrev_b32_e32 v3, s42, v3
	v_mul_lo_u32 v5, v3, s40
	v_mul_hi_u32 v6, s48, v3
	v_sub_u32_e32 v5, v1, v5
	v_add_u32_e32 v1, v3, v6
	v_lshrrev_b32_e32 v1, s49, v1
	v_mul_lo_u32 v8, v1, s43
	v_mul_lo_u32 v6, v5, s44
	;; [unrolled: 1-line block ×4, first 2 shown]
	v_sub_u32_e32 v3, v3, v8
	v_mul_lo_u32 v8, v3, s47
	v_mul_lo_u32 v9, v3, s50
	;; [unrolled: 1-line block ×3, first 2 shown]
	v_add3_u32 v0, v6, v0, v8
	v_add3_u32 v4, v7, v4, v9
	v_add3_u32 v2, v5, v2, v3
	s_cbranch_scc1 .LBB272_12
; %bb.13:
	s_bitcmp1_b32 s37, 0
	s_cselect_b64 s[40:41], -1, 0
	s_and_b64 vcc, exec, s[40:41]
	s_cbranch_vccnz .LBB272_17
; %bb.14:
	s_load_dwordx2 s[40:41], s[34:35], 0x1c
	s_load_dword s39, s[34:35], 0x24
	s_load_dwordx2 s[42:43], s[34:35], 0xdc
	s_waitcnt lgkmcnt(0)
	v_mul_hi_u32 v3, s41, v1
	v_add_u32_e32 v3, v1, v3
	v_lshrrev_b32_e32 v3, s39, v3
	v_mul_lo_u32 v3, v3, s40
	s_load_dword s39, s[34:35], 0xe4
	v_sub_u32_e32 v3, v1, v3
	v_mad_u64_u32 v[0:1], s[34:35], v3, s42, v[0:1]
	v_mad_u64_u32 v[4:5], s[34:35], v3, s43, v[4:5]
	s_waitcnt lgkmcnt(0)
	v_mad_u64_u32 v[2:3], s[34:35], v3, s39, v[2:3]
	s_cbranch_execz .LBB272_18
	s_branch .LBB272_20
.LBB272_15:
                                        ; implicit-def: $vgpr0
                                        ; implicit-def: $vgpr4
                                        ; implicit-def: $vgpr2
	s_branch .LBB272_18
.LBB272_16:
	v_mov_b32_e32 v0, 0
	v_mov_b32_e32 v4, 0
	;; [unrolled: 1-line block ×3, first 2 shown]
.LBB272_17:
	s_cbranch_execnz .LBB272_20
.LBB272_18:
	v_mul_hi_u32 v0, s13, v26
	s_andn2_b64 vcc, exec, s[26:27]
	v_add_u32_e32 v0, v26, v0
	v_lshrrev_b32_e32 v1, s14, v0
	v_mul_lo_u32 v0, v1, s12
	v_sub_u32_e32 v2, v26, v0
	v_mul_lo_u32 v0, v2, s8
	v_mul_lo_u32 v4, v2, s9
	;; [unrolled: 1-line block ×3, first 2 shown]
	s_cbranch_vccnz .LBB272_20
; %bb.19:
	v_mul_hi_u32 v3, s24, v1
	v_add_u32_e32 v3, v1, v3
	v_lshrrev_b32_e32 v3, s25, v3
	v_mul_lo_u32 v3, v3, s15
	v_sub_u32_e32 v3, v1, v3
	v_mad_u64_u32 v[0:1], s[34:35], v3, s11, v[0:1]
	v_mad_u64_u32 v[4:5], s[34:35], v3, s22, v[4:5]
	v_mad_u64_u32 v[2:3], s[34:35], v3, s23, v[2:3]
.LBB272_20:
	global_load_ubyte v1, v4, s[6:7]
	global_load_ubyte v3, v2, s[20:21]
	s_mov_b32 s34, 0x7f800000
	s_brev_b32 s35, 1
	v_add_u32_e32 v26, 0x80, v26
	s_waitcnt vmcnt(1)
	v_lshlrev_b32_e32 v1, 24, v1
	s_waitcnt vmcnt(0)
	v_lshlrev_b32_e32 v2, 24, v3
	v_and_b32_e32 v3, 0x7f000000, v1
	v_and_b32_e32 v4, 0x7f000000, v2
	v_ffbh_u32_e32 v5, v3
	v_ffbh_u32_e32 v7, v4
	v_min_u32_e32 v5, 32, v5
	v_min_u32_e32 v7, 32, v7
	v_sub_u32_e64 v5, v5, 4 clamp
	v_sub_u32_e64 v7, v7, 4 clamp
	v_lshlrev_b32_e32 v9, v5, v3
	v_lshlrev_b32_e32 v5, 23, v5
	;; [unrolled: 1-line block ×3, first 2 shown]
	v_lshrrev_b32_e32 v9, 4, v9
	v_add_u32_e32 v6, 0x1000000, v3
	v_lshlrev_b32_e32 v7, 23, v7
	v_lshrrev_b32_e32 v10, 4, v10
	v_sub_u32_e32 v5, v9, v5
	v_add_u32_e32 v8, 0x1000000, v4
	v_ashrrev_i32_e32 v6, 8, v6
	v_sub_u32_e32 v7, v10, v7
	v_add_u32_e32 v5, 0x3c000000, v5
	v_ashrrev_i32_e32 v8, 8, v8
	v_add_u32_e32 v7, 0x3c000000, v7
	v_and_or_b32 v5, v6, s34, v5
	v_cmp_ne_u32_e32 vcc, 0, v3
	v_and_or_b32 v6, v8, s34, v7
	v_cndmask_b32_e32 v3, 0, v5, vcc
	v_cmp_ne_u32_e32 vcc, 0, v4
	v_cndmask_b32_e32 v4, 0, v6, vcc
	v_and_or_b32 v1, v1, s35, v3
	v_and_or_b32 v2, v2, s35, v4
	v_cmp_eq_f32_e32 vcc, v1, v2
	v_cndmask_b32_e64 v3, 0, 1, vcc
	v_cmp_neq_f32_e32 vcc, v1, v2
	v_cndmask_b32_e64 v1, 0, 1, vcc
	v_cndmask_b32_e64 v1, v1, v3, s[0:1]
	v_and_b32_e32 v1, 1, v1
	global_store_byte v0, v1, s[4:5]
	s_or_b64 exec, exec, s[30:31]
	v_cmp_gt_i32_e32 vcc, s38, v26
	s_and_saveexec_b64 s[30:31], vcc
	s_cbranch_execz .LBB272_3
.LBB272_21:
	s_andn2_b64 vcc, exec, s[2:3]
	s_cbranch_vccnz .LBB272_27
; %bb.22:
	s_andn2_b64 vcc, exec, s[28:29]
	s_cbranch_vccnz .LBB272_28
; %bb.23:
	s_add_i32 s34, s37, 1
	s_and_b32 s39, s34, 30
	s_add_u32 s34, s16, 0xffffffe8
	s_addc_u32 s35, s17, -1
	v_mov_b32_e32 v2, 0
	v_mov_b32_e32 v4, 0
	;; [unrolled: 1-line block ×4, first 2 shown]
.LBB272_24:                             ; =>This Inner Loop Header: Depth=1
	s_load_dwordx4 s[40:43], s[34:35], 0x1c
	s_load_dwordx2 s[48:49], s[34:35], 0x2c
	s_load_dwordx2 s[50:51], s[34:35], 0xec
	s_load_dwordx4 s[44:47], s[34:35], 0xdc
	s_add_u32 s34, s34, 24
	s_waitcnt lgkmcnt(0)
	v_mul_hi_u32 v3, s41, v1
	s_addc_u32 s35, s35, 0
	s_add_i32 s39, s39, -2
	s_cmp_eq_u32 s39, 0
	v_add_u32_e32 v3, v1, v3
	v_lshrrev_b32_e32 v3, s42, v3
	v_mul_lo_u32 v5, v3, s40
	v_mul_hi_u32 v6, s48, v3
	v_sub_u32_e32 v5, v1, v5
	v_add_u32_e32 v1, v3, v6
	v_lshrrev_b32_e32 v1, s49, v1
	v_mul_lo_u32 v8, v1, s43
	v_mul_lo_u32 v6, v5, s44
	;; [unrolled: 1-line block ×4, first 2 shown]
	v_sub_u32_e32 v3, v3, v8
	v_mul_lo_u32 v8, v3, s47
	v_mul_lo_u32 v9, v3, s50
	;; [unrolled: 1-line block ×3, first 2 shown]
	v_add3_u32 v0, v6, v0, v8
	v_add3_u32 v4, v7, v4, v9
	;; [unrolled: 1-line block ×3, first 2 shown]
	s_cbranch_scc0 .LBB272_24
; %bb.25:
	s_bitcmp1_b32 s37, 0
	s_cselect_b64 s[40:41], -1, 0
	s_and_b64 vcc, exec, s[40:41]
	s_cbranch_vccnz .LBB272_29
; %bb.26:
	s_load_dwordx2 s[40:41], s[34:35], 0x1c
	s_load_dword s39, s[34:35], 0x24
	s_load_dwordx2 s[42:43], s[34:35], 0xdc
	s_waitcnt lgkmcnt(0)
	v_mul_hi_u32 v3, s41, v1
	v_add_u32_e32 v3, v1, v3
	v_lshrrev_b32_e32 v3, s39, v3
	v_mul_lo_u32 v3, v3, s40
	s_load_dword s39, s[34:35], 0xe4
	v_sub_u32_e32 v3, v1, v3
	v_mad_u64_u32 v[0:1], s[34:35], v3, s42, v[0:1]
	v_mad_u64_u32 v[4:5], s[34:35], v3, s43, v[4:5]
	s_waitcnt lgkmcnt(0)
	v_mad_u64_u32 v[2:3], s[34:35], v3, s39, v[2:3]
	s_branch .LBB272_29
.LBB272_27:
                                        ; implicit-def: $vgpr0
                                        ; implicit-def: $vgpr4
                                        ; implicit-def: $vgpr2
	s_branch .LBB272_30
.LBB272_28:
	v_mov_b32_e32 v0, 0
	v_mov_b32_e32 v4, 0
	;; [unrolled: 1-line block ×3, first 2 shown]
.LBB272_29:
	s_cbranch_execnz .LBB272_32
.LBB272_30:
	v_mul_hi_u32 v0, s13, v26
	s_andn2_b64 vcc, exec, s[26:27]
	v_add_u32_e32 v0, v26, v0
	v_lshrrev_b32_e32 v1, s14, v0
	v_mul_lo_u32 v0, v1, s12
	v_sub_u32_e32 v2, v26, v0
	v_mul_lo_u32 v0, v2, s8
	v_mul_lo_u32 v4, v2, s9
	;; [unrolled: 1-line block ×3, first 2 shown]
	s_cbranch_vccnz .LBB272_32
; %bb.31:
	v_mul_hi_u32 v3, s24, v1
	v_add_u32_e32 v3, v1, v3
	v_lshrrev_b32_e32 v3, s25, v3
	v_mul_lo_u32 v3, v3, s15
	v_sub_u32_e32 v3, v1, v3
	v_mad_u64_u32 v[0:1], s[34:35], v3, s11, v[0:1]
	v_mad_u64_u32 v[4:5], s[34:35], v3, s22, v[4:5]
	;; [unrolled: 1-line block ×3, first 2 shown]
.LBB272_32:
	global_load_ubyte v1, v4, s[6:7]
	global_load_ubyte v3, v2, s[20:21]
	s_mov_b32 s34, 0x7f800000
	s_brev_b32 s35, 1
	v_add_u32_e32 v26, 0x80, v26
	s_waitcnt vmcnt(1)
	v_lshlrev_b32_e32 v1, 24, v1
	s_waitcnt vmcnt(0)
	v_lshlrev_b32_e32 v2, 24, v3
	v_and_b32_e32 v3, 0x7f000000, v1
	v_and_b32_e32 v4, 0x7f000000, v2
	v_ffbh_u32_e32 v5, v3
	v_ffbh_u32_e32 v7, v4
	v_min_u32_e32 v5, 32, v5
	v_min_u32_e32 v7, 32, v7
	v_sub_u32_e64 v5, v5, 4 clamp
	v_sub_u32_e64 v7, v7, 4 clamp
	v_lshlrev_b32_e32 v9, v5, v3
	v_lshlrev_b32_e32 v5, 23, v5
	;; [unrolled: 1-line block ×3, first 2 shown]
	v_lshrrev_b32_e32 v9, 4, v9
	v_add_u32_e32 v6, 0x1000000, v3
	v_lshlrev_b32_e32 v7, 23, v7
	v_lshrrev_b32_e32 v10, 4, v10
	v_sub_u32_e32 v5, v9, v5
	v_add_u32_e32 v8, 0x1000000, v4
	v_ashrrev_i32_e32 v6, 8, v6
	v_sub_u32_e32 v7, v10, v7
	v_add_u32_e32 v5, 0x3c000000, v5
	v_ashrrev_i32_e32 v8, 8, v8
	v_add_u32_e32 v7, 0x3c000000, v7
	v_and_or_b32 v5, v6, s34, v5
	v_cmp_ne_u32_e32 vcc, 0, v3
	v_and_or_b32 v6, v8, s34, v7
	v_cndmask_b32_e32 v3, 0, v5, vcc
	v_cmp_ne_u32_e32 vcc, 0, v4
	v_cndmask_b32_e32 v4, 0, v6, vcc
	v_and_or_b32 v1, v1, s35, v3
	v_and_or_b32 v2, v2, s35, v4
	v_cmp_eq_f32_e32 vcc, v1, v2
	v_cndmask_b32_e64 v3, 0, 1, vcc
	v_cmp_neq_f32_e32 vcc, v1, v2
	v_cndmask_b32_e64 v1, 0, 1, vcc
	v_cndmask_b32_e64 v1, v1, v3, s[0:1]
	v_and_b32_e32 v1, 1, v1
	global_store_byte v0, v1, s[4:5]
	s_or_b64 exec, exec, s[30:31]
	v_cmp_gt_i32_e32 vcc, s38, v26
	s_and_saveexec_b64 s[30:31], vcc
	s_cbranch_execz .LBB272_4
.LBB272_33:
	s_andn2_b64 vcc, exec, s[2:3]
	s_cbranch_vccnz .LBB272_39
; %bb.34:
	s_andn2_b64 vcc, exec, s[28:29]
	s_cbranch_vccnz .LBB272_40
; %bb.35:
	s_add_i32 s34, s37, 1
	s_and_b32 s39, s34, 30
	s_add_u32 s34, s16, 0xffffffe8
	s_addc_u32 s35, s17, -1
	v_mov_b32_e32 v2, 0
	v_mov_b32_e32 v4, 0
	;; [unrolled: 1-line block ×4, first 2 shown]
.LBB272_36:                             ; =>This Inner Loop Header: Depth=1
	s_load_dwordx4 s[40:43], s[34:35], 0x1c
	s_load_dwordx2 s[48:49], s[34:35], 0x2c
	s_load_dwordx2 s[50:51], s[34:35], 0xec
	s_load_dwordx4 s[44:47], s[34:35], 0xdc
	s_add_u32 s34, s34, 24
	s_waitcnt lgkmcnt(0)
	v_mul_hi_u32 v3, s41, v1
	s_addc_u32 s35, s35, 0
	s_add_i32 s39, s39, -2
	s_cmp_eq_u32 s39, 0
	v_add_u32_e32 v3, v1, v3
	v_lshrrev_b32_e32 v3, s42, v3
	v_mul_lo_u32 v5, v3, s40
	v_mul_hi_u32 v6, s48, v3
	v_sub_u32_e32 v5, v1, v5
	v_add_u32_e32 v1, v3, v6
	v_lshrrev_b32_e32 v1, s49, v1
	v_mul_lo_u32 v8, v1, s43
	v_mul_lo_u32 v6, v5, s44
	;; [unrolled: 1-line block ×4, first 2 shown]
	v_sub_u32_e32 v3, v3, v8
	v_mul_lo_u32 v8, v3, s47
	v_mul_lo_u32 v9, v3, s50
	v_mul_lo_u32 v3, v3, s51
	v_add3_u32 v0, v6, v0, v8
	v_add3_u32 v4, v7, v4, v9
	;; [unrolled: 1-line block ×3, first 2 shown]
	s_cbranch_scc0 .LBB272_36
; %bb.37:
	s_bitcmp1_b32 s37, 0
	s_cselect_b64 s[40:41], -1, 0
	s_and_b64 vcc, exec, s[40:41]
	s_cbranch_vccnz .LBB272_41
; %bb.38:
	s_load_dwordx2 s[40:41], s[34:35], 0x1c
	s_load_dword s39, s[34:35], 0x24
	s_load_dwordx2 s[42:43], s[34:35], 0xdc
	s_waitcnt lgkmcnt(0)
	v_mul_hi_u32 v3, s41, v1
	v_add_u32_e32 v3, v1, v3
	v_lshrrev_b32_e32 v3, s39, v3
	v_mul_lo_u32 v3, v3, s40
	s_load_dword s39, s[34:35], 0xe4
	v_sub_u32_e32 v3, v1, v3
	v_mad_u64_u32 v[0:1], s[34:35], v3, s42, v[0:1]
	v_mad_u64_u32 v[4:5], s[34:35], v3, s43, v[4:5]
	s_waitcnt lgkmcnt(0)
	v_mad_u64_u32 v[2:3], s[34:35], v3, s39, v[2:3]
	s_branch .LBB272_41
.LBB272_39:
                                        ; implicit-def: $vgpr0
                                        ; implicit-def: $vgpr4
                                        ; implicit-def: $vgpr2
	s_branch .LBB272_42
.LBB272_40:
	v_mov_b32_e32 v0, 0
	v_mov_b32_e32 v4, 0
	;; [unrolled: 1-line block ×3, first 2 shown]
.LBB272_41:
	s_cbranch_execnz .LBB272_44
.LBB272_42:
	v_mul_hi_u32 v0, s13, v26
	s_andn2_b64 vcc, exec, s[26:27]
	v_add_u32_e32 v0, v26, v0
	v_lshrrev_b32_e32 v1, s14, v0
	v_mul_lo_u32 v0, v1, s12
	v_sub_u32_e32 v2, v26, v0
	v_mul_lo_u32 v0, v2, s8
	v_mul_lo_u32 v4, v2, s9
	;; [unrolled: 1-line block ×3, first 2 shown]
	s_cbranch_vccnz .LBB272_44
; %bb.43:
	v_mul_hi_u32 v3, s24, v1
	v_add_u32_e32 v3, v1, v3
	v_lshrrev_b32_e32 v3, s25, v3
	v_mul_lo_u32 v3, v3, s15
	v_sub_u32_e32 v3, v1, v3
	v_mad_u64_u32 v[0:1], s[34:35], v3, s11, v[0:1]
	v_mad_u64_u32 v[4:5], s[34:35], v3, s22, v[4:5]
	;; [unrolled: 1-line block ×3, first 2 shown]
.LBB272_44:
	global_load_ubyte v1, v4, s[6:7]
	global_load_ubyte v3, v2, s[20:21]
	s_mov_b32 s34, 0x7f800000
	s_brev_b32 s35, 1
	v_add_u32_e32 v26, 0x80, v26
	s_waitcnt vmcnt(1)
	v_lshlrev_b32_e32 v1, 24, v1
	s_waitcnt vmcnt(0)
	v_lshlrev_b32_e32 v2, 24, v3
	v_and_b32_e32 v3, 0x7f000000, v1
	v_and_b32_e32 v4, 0x7f000000, v2
	v_ffbh_u32_e32 v5, v3
	v_ffbh_u32_e32 v7, v4
	v_min_u32_e32 v5, 32, v5
	v_min_u32_e32 v7, 32, v7
	v_sub_u32_e64 v5, v5, 4 clamp
	v_sub_u32_e64 v7, v7, 4 clamp
	v_lshlrev_b32_e32 v9, v5, v3
	v_lshlrev_b32_e32 v5, 23, v5
	;; [unrolled: 1-line block ×3, first 2 shown]
	v_lshrrev_b32_e32 v9, 4, v9
	v_add_u32_e32 v6, 0x1000000, v3
	v_lshlrev_b32_e32 v7, 23, v7
	v_lshrrev_b32_e32 v10, 4, v10
	v_sub_u32_e32 v5, v9, v5
	v_add_u32_e32 v8, 0x1000000, v4
	v_ashrrev_i32_e32 v6, 8, v6
	v_sub_u32_e32 v7, v10, v7
	v_add_u32_e32 v5, 0x3c000000, v5
	v_ashrrev_i32_e32 v8, 8, v8
	v_add_u32_e32 v7, 0x3c000000, v7
	v_and_or_b32 v5, v6, s34, v5
	v_cmp_ne_u32_e32 vcc, 0, v3
	v_and_or_b32 v6, v8, s34, v7
	v_cndmask_b32_e32 v3, 0, v5, vcc
	v_cmp_ne_u32_e32 vcc, 0, v4
	v_cndmask_b32_e32 v4, 0, v6, vcc
	v_and_or_b32 v1, v1, s35, v3
	v_and_or_b32 v2, v2, s35, v4
	v_cmp_eq_f32_e32 vcc, v1, v2
	v_cndmask_b32_e64 v3, 0, 1, vcc
	v_cmp_neq_f32_e32 vcc, v1, v2
	v_cndmask_b32_e64 v1, 0, 1, vcc
	v_cndmask_b32_e64 v1, v1, v3, s[0:1]
	v_and_b32_e32 v1, 1, v1
	global_store_byte v0, v1, s[4:5]
	s_or_b64 exec, exec, s[30:31]
	v_cmp_gt_i32_e32 vcc, s38, v26
	s_and_saveexec_b64 s[30:31], vcc
	s_cbranch_execz .LBB272_5
.LBB272_45:
	s_andn2_b64 vcc, exec, s[2:3]
	s_cbranch_vccnz .LBB272_51
; %bb.46:
	s_andn2_b64 vcc, exec, s[28:29]
	s_cbranch_vccnz .LBB272_52
; %bb.47:
	s_add_i32 s34, s37, 1
	s_and_b32 s39, s34, 30
	s_add_u32 s34, s16, 0xffffffe8
	s_addc_u32 s35, s17, -1
	v_mov_b32_e32 v2, 0
	v_mov_b32_e32 v4, 0
	;; [unrolled: 1-line block ×4, first 2 shown]
.LBB272_48:                             ; =>This Inner Loop Header: Depth=1
	s_load_dwordx4 s[40:43], s[34:35], 0x1c
	s_load_dwordx2 s[48:49], s[34:35], 0x2c
	s_load_dwordx2 s[50:51], s[34:35], 0xec
	s_load_dwordx4 s[44:47], s[34:35], 0xdc
	s_add_u32 s34, s34, 24
	s_waitcnt lgkmcnt(0)
	v_mul_hi_u32 v3, s41, v1
	s_addc_u32 s35, s35, 0
	s_add_i32 s39, s39, -2
	s_cmp_eq_u32 s39, 0
	v_add_u32_e32 v3, v1, v3
	v_lshrrev_b32_e32 v3, s42, v3
	v_mul_lo_u32 v5, v3, s40
	v_mul_hi_u32 v6, s48, v3
	v_sub_u32_e32 v5, v1, v5
	v_add_u32_e32 v1, v3, v6
	v_lshrrev_b32_e32 v1, s49, v1
	v_mul_lo_u32 v8, v1, s43
	v_mul_lo_u32 v6, v5, s44
	;; [unrolled: 1-line block ×4, first 2 shown]
	v_sub_u32_e32 v3, v3, v8
	v_mul_lo_u32 v8, v3, s47
	v_mul_lo_u32 v9, v3, s50
	;; [unrolled: 1-line block ×3, first 2 shown]
	v_add3_u32 v0, v6, v0, v8
	v_add3_u32 v4, v7, v4, v9
	;; [unrolled: 1-line block ×3, first 2 shown]
	s_cbranch_scc0 .LBB272_48
; %bb.49:
	s_bitcmp1_b32 s37, 0
	s_cselect_b64 s[40:41], -1, 0
	s_and_b64 vcc, exec, s[40:41]
	s_cbranch_vccnz .LBB272_53
; %bb.50:
	s_load_dwordx2 s[40:41], s[34:35], 0x1c
	s_load_dword s39, s[34:35], 0x24
	s_load_dwordx2 s[42:43], s[34:35], 0xdc
	s_waitcnt lgkmcnt(0)
	v_mul_hi_u32 v3, s41, v1
	v_add_u32_e32 v3, v1, v3
	v_lshrrev_b32_e32 v3, s39, v3
	v_mul_lo_u32 v3, v3, s40
	s_load_dword s39, s[34:35], 0xe4
	v_sub_u32_e32 v3, v1, v3
	v_mad_u64_u32 v[0:1], s[34:35], v3, s42, v[0:1]
	v_mad_u64_u32 v[4:5], s[34:35], v3, s43, v[4:5]
	s_waitcnt lgkmcnt(0)
	v_mad_u64_u32 v[2:3], s[34:35], v3, s39, v[2:3]
	s_branch .LBB272_53
.LBB272_51:
                                        ; implicit-def: $vgpr0
                                        ; implicit-def: $vgpr4
                                        ; implicit-def: $vgpr2
	s_branch .LBB272_54
.LBB272_52:
	v_mov_b32_e32 v0, 0
	v_mov_b32_e32 v4, 0
	;; [unrolled: 1-line block ×3, first 2 shown]
.LBB272_53:
	s_cbranch_execnz .LBB272_56
.LBB272_54:
	v_mul_hi_u32 v0, s13, v26
	s_andn2_b64 vcc, exec, s[26:27]
	v_add_u32_e32 v0, v26, v0
	v_lshrrev_b32_e32 v1, s14, v0
	v_mul_lo_u32 v0, v1, s12
	v_sub_u32_e32 v2, v26, v0
	v_mul_lo_u32 v0, v2, s8
	v_mul_lo_u32 v4, v2, s9
	;; [unrolled: 1-line block ×3, first 2 shown]
	s_cbranch_vccnz .LBB272_56
; %bb.55:
	v_mul_hi_u32 v3, s24, v1
	v_add_u32_e32 v3, v1, v3
	v_lshrrev_b32_e32 v3, s25, v3
	v_mul_lo_u32 v3, v3, s15
	v_sub_u32_e32 v3, v1, v3
	v_mad_u64_u32 v[0:1], s[34:35], v3, s11, v[0:1]
	v_mad_u64_u32 v[4:5], s[34:35], v3, s22, v[4:5]
	;; [unrolled: 1-line block ×3, first 2 shown]
.LBB272_56:
	global_load_ubyte v1, v4, s[6:7]
	global_load_ubyte v3, v2, s[20:21]
	s_mov_b32 s34, 0x7f800000
	s_brev_b32 s35, 1
	v_add_u32_e32 v26, 0x80, v26
	s_waitcnt vmcnt(1)
	v_lshlrev_b32_e32 v1, 24, v1
	s_waitcnt vmcnt(0)
	v_lshlrev_b32_e32 v2, 24, v3
	v_and_b32_e32 v3, 0x7f000000, v1
	v_and_b32_e32 v4, 0x7f000000, v2
	v_ffbh_u32_e32 v5, v3
	v_ffbh_u32_e32 v7, v4
	v_min_u32_e32 v5, 32, v5
	v_min_u32_e32 v7, 32, v7
	v_sub_u32_e64 v5, v5, 4 clamp
	v_sub_u32_e64 v7, v7, 4 clamp
	v_lshlrev_b32_e32 v9, v5, v3
	v_lshlrev_b32_e32 v5, 23, v5
	;; [unrolled: 1-line block ×3, first 2 shown]
	v_lshrrev_b32_e32 v9, 4, v9
	v_add_u32_e32 v6, 0x1000000, v3
	v_lshlrev_b32_e32 v7, 23, v7
	v_lshrrev_b32_e32 v10, 4, v10
	v_sub_u32_e32 v5, v9, v5
	v_add_u32_e32 v8, 0x1000000, v4
	v_ashrrev_i32_e32 v6, 8, v6
	v_sub_u32_e32 v7, v10, v7
	v_add_u32_e32 v5, 0x3c000000, v5
	v_ashrrev_i32_e32 v8, 8, v8
	v_add_u32_e32 v7, 0x3c000000, v7
	v_and_or_b32 v5, v6, s34, v5
	v_cmp_ne_u32_e32 vcc, 0, v3
	v_and_or_b32 v6, v8, s34, v7
	v_cndmask_b32_e32 v3, 0, v5, vcc
	v_cmp_ne_u32_e32 vcc, 0, v4
	v_cndmask_b32_e32 v4, 0, v6, vcc
	v_and_or_b32 v1, v1, s35, v3
	v_and_or_b32 v2, v2, s35, v4
	v_cmp_eq_f32_e32 vcc, v1, v2
	v_cndmask_b32_e64 v3, 0, 1, vcc
	v_cmp_neq_f32_e32 vcc, v1, v2
	v_cndmask_b32_e64 v1, 0, 1, vcc
	v_cndmask_b32_e64 v1, v1, v3, s[0:1]
	v_and_b32_e32 v1, 1, v1
	global_store_byte v0, v1, s[4:5]
	s_or_b64 exec, exec, s[30:31]
	v_cmp_gt_i32_e32 vcc, s38, v26
	s_and_saveexec_b64 s[30:31], vcc
	s_cbranch_execz .LBB272_6
.LBB272_57:
	s_andn2_b64 vcc, exec, s[2:3]
	s_cbranch_vccnz .LBB272_63
; %bb.58:
	s_andn2_b64 vcc, exec, s[28:29]
	s_cbranch_vccnz .LBB272_64
; %bb.59:
	s_add_i32 s34, s37, 1
	s_and_b32 s39, s34, 30
	s_add_u32 s34, s16, 0xffffffe8
	s_addc_u32 s35, s17, -1
	v_mov_b32_e32 v2, 0
	v_mov_b32_e32 v4, 0
	;; [unrolled: 1-line block ×4, first 2 shown]
.LBB272_60:                             ; =>This Inner Loop Header: Depth=1
	s_load_dwordx4 s[40:43], s[34:35], 0x1c
	s_load_dwordx2 s[48:49], s[34:35], 0x2c
	s_load_dwordx2 s[50:51], s[34:35], 0xec
	s_load_dwordx4 s[44:47], s[34:35], 0xdc
	s_add_u32 s34, s34, 24
	s_waitcnt lgkmcnt(0)
	v_mul_hi_u32 v3, s41, v1
	s_addc_u32 s35, s35, 0
	s_add_i32 s39, s39, -2
	s_cmp_eq_u32 s39, 0
	v_add_u32_e32 v3, v1, v3
	v_lshrrev_b32_e32 v3, s42, v3
	v_mul_lo_u32 v5, v3, s40
	v_mul_hi_u32 v6, s48, v3
	v_sub_u32_e32 v5, v1, v5
	v_add_u32_e32 v1, v3, v6
	v_lshrrev_b32_e32 v1, s49, v1
	v_mul_lo_u32 v8, v1, s43
	v_mul_lo_u32 v6, v5, s44
	;; [unrolled: 1-line block ×4, first 2 shown]
	v_sub_u32_e32 v3, v3, v8
	v_mul_lo_u32 v8, v3, s47
	v_mul_lo_u32 v9, v3, s50
	v_mul_lo_u32 v3, v3, s51
	v_add3_u32 v0, v6, v0, v8
	v_add3_u32 v4, v7, v4, v9
	;; [unrolled: 1-line block ×3, first 2 shown]
	s_cbranch_scc0 .LBB272_60
; %bb.61:
	s_bitcmp1_b32 s37, 0
	s_cselect_b64 s[40:41], -1, 0
	s_and_b64 vcc, exec, s[40:41]
	s_cbranch_vccnz .LBB272_65
; %bb.62:
	s_load_dwordx2 s[40:41], s[34:35], 0x1c
	s_load_dword s39, s[34:35], 0x24
	s_load_dwordx2 s[42:43], s[34:35], 0xdc
	s_waitcnt lgkmcnt(0)
	v_mul_hi_u32 v3, s41, v1
	v_add_u32_e32 v3, v1, v3
	v_lshrrev_b32_e32 v3, s39, v3
	v_mul_lo_u32 v3, v3, s40
	s_load_dword s39, s[34:35], 0xe4
	v_sub_u32_e32 v3, v1, v3
	v_mad_u64_u32 v[0:1], s[34:35], v3, s42, v[0:1]
	v_mad_u64_u32 v[4:5], s[34:35], v3, s43, v[4:5]
	s_waitcnt lgkmcnt(0)
	v_mad_u64_u32 v[2:3], s[34:35], v3, s39, v[2:3]
	s_branch .LBB272_65
.LBB272_63:
                                        ; implicit-def: $vgpr0
                                        ; implicit-def: $vgpr4
                                        ; implicit-def: $vgpr2
	s_branch .LBB272_66
.LBB272_64:
	v_mov_b32_e32 v0, 0
	v_mov_b32_e32 v4, 0
	;; [unrolled: 1-line block ×3, first 2 shown]
.LBB272_65:
	s_cbranch_execnz .LBB272_68
.LBB272_66:
	v_mul_hi_u32 v0, s13, v26
	s_andn2_b64 vcc, exec, s[26:27]
	v_add_u32_e32 v0, v26, v0
	v_lshrrev_b32_e32 v1, s14, v0
	v_mul_lo_u32 v0, v1, s12
	v_sub_u32_e32 v2, v26, v0
	v_mul_lo_u32 v0, v2, s8
	v_mul_lo_u32 v4, v2, s9
	;; [unrolled: 1-line block ×3, first 2 shown]
	s_cbranch_vccnz .LBB272_68
; %bb.67:
	v_mul_hi_u32 v3, s24, v1
	v_add_u32_e32 v3, v1, v3
	v_lshrrev_b32_e32 v3, s25, v3
	v_mul_lo_u32 v3, v3, s15
	v_sub_u32_e32 v3, v1, v3
	v_mad_u64_u32 v[0:1], s[34:35], v3, s11, v[0:1]
	v_mad_u64_u32 v[4:5], s[34:35], v3, s22, v[4:5]
	v_mad_u64_u32 v[2:3], s[34:35], v3, s23, v[2:3]
.LBB272_68:
	global_load_ubyte v1, v4, s[6:7]
	global_load_ubyte v3, v2, s[20:21]
	s_mov_b32 s34, 0x7f800000
	s_brev_b32 s35, 1
	v_add_u32_e32 v26, 0x80, v26
	s_waitcnt vmcnt(1)
	v_lshlrev_b32_e32 v1, 24, v1
	s_waitcnt vmcnt(0)
	v_lshlrev_b32_e32 v2, 24, v3
	v_and_b32_e32 v3, 0x7f000000, v1
	v_and_b32_e32 v4, 0x7f000000, v2
	v_ffbh_u32_e32 v5, v3
	v_ffbh_u32_e32 v7, v4
	v_min_u32_e32 v5, 32, v5
	v_min_u32_e32 v7, 32, v7
	v_sub_u32_e64 v5, v5, 4 clamp
	v_sub_u32_e64 v7, v7, 4 clamp
	v_lshlrev_b32_e32 v9, v5, v3
	v_lshlrev_b32_e32 v5, 23, v5
	v_lshlrev_b32_e32 v10, v7, v4
	v_lshrrev_b32_e32 v9, 4, v9
	v_add_u32_e32 v6, 0x1000000, v3
	v_lshlrev_b32_e32 v7, 23, v7
	v_lshrrev_b32_e32 v10, 4, v10
	v_sub_u32_e32 v5, v9, v5
	v_add_u32_e32 v8, 0x1000000, v4
	v_ashrrev_i32_e32 v6, 8, v6
	v_sub_u32_e32 v7, v10, v7
	v_add_u32_e32 v5, 0x3c000000, v5
	v_ashrrev_i32_e32 v8, 8, v8
	v_add_u32_e32 v7, 0x3c000000, v7
	v_and_or_b32 v5, v6, s34, v5
	v_cmp_ne_u32_e32 vcc, 0, v3
	v_and_or_b32 v6, v8, s34, v7
	v_cndmask_b32_e32 v3, 0, v5, vcc
	v_cmp_ne_u32_e32 vcc, 0, v4
	v_cndmask_b32_e32 v4, 0, v6, vcc
	v_and_or_b32 v1, v1, s35, v3
	v_and_or_b32 v2, v2, s35, v4
	v_cmp_eq_f32_e32 vcc, v1, v2
	v_cndmask_b32_e64 v3, 0, 1, vcc
	v_cmp_neq_f32_e32 vcc, v1, v2
	v_cndmask_b32_e64 v1, 0, 1, vcc
	v_cndmask_b32_e64 v1, v1, v3, s[0:1]
	v_and_b32_e32 v1, 1, v1
	global_store_byte v0, v1, s[4:5]
	s_or_b64 exec, exec, s[30:31]
	v_cmp_gt_i32_e32 vcc, s38, v26
	s_and_saveexec_b64 s[30:31], vcc
	s_cbranch_execz .LBB272_7
.LBB272_69:
	s_andn2_b64 vcc, exec, s[2:3]
	s_cbranch_vccnz .LBB272_75
; %bb.70:
	s_andn2_b64 vcc, exec, s[28:29]
	s_cbranch_vccnz .LBB272_76
; %bb.71:
	s_add_i32 s34, s37, 1
	s_and_b32 s39, s34, 30
	s_add_u32 s34, s16, 0xffffffe8
	s_addc_u32 s35, s17, -1
	v_mov_b32_e32 v2, 0
	v_mov_b32_e32 v4, 0
	;; [unrolled: 1-line block ×4, first 2 shown]
.LBB272_72:                             ; =>This Inner Loop Header: Depth=1
	s_load_dwordx4 s[40:43], s[34:35], 0x1c
	s_load_dwordx2 s[48:49], s[34:35], 0x2c
	s_load_dwordx2 s[50:51], s[34:35], 0xec
	s_load_dwordx4 s[44:47], s[34:35], 0xdc
	s_add_u32 s34, s34, 24
	s_waitcnt lgkmcnt(0)
	v_mul_hi_u32 v3, s41, v1
	s_addc_u32 s35, s35, 0
	s_add_i32 s39, s39, -2
	s_cmp_eq_u32 s39, 0
	v_add_u32_e32 v3, v1, v3
	v_lshrrev_b32_e32 v3, s42, v3
	v_mul_lo_u32 v5, v3, s40
	v_mul_hi_u32 v6, s48, v3
	v_sub_u32_e32 v5, v1, v5
	v_add_u32_e32 v1, v3, v6
	v_lshrrev_b32_e32 v1, s49, v1
	v_mul_lo_u32 v8, v1, s43
	v_mul_lo_u32 v6, v5, s44
	v_mul_lo_u32 v7, v5, s45
	v_mul_lo_u32 v5, v5, s46
	v_sub_u32_e32 v3, v3, v8
	v_mul_lo_u32 v8, v3, s47
	v_mul_lo_u32 v9, v3, s50
	;; [unrolled: 1-line block ×3, first 2 shown]
	v_add3_u32 v0, v6, v0, v8
	v_add3_u32 v4, v7, v4, v9
	;; [unrolled: 1-line block ×3, first 2 shown]
	s_cbranch_scc0 .LBB272_72
; %bb.73:
	s_bitcmp1_b32 s37, 0
	s_cselect_b64 s[40:41], -1, 0
	s_and_b64 vcc, exec, s[40:41]
	s_cbranch_vccnz .LBB272_77
; %bb.74:
	s_load_dwordx2 s[40:41], s[34:35], 0x1c
	s_load_dword s39, s[34:35], 0x24
	s_load_dwordx2 s[42:43], s[34:35], 0xdc
	s_waitcnt lgkmcnt(0)
	v_mul_hi_u32 v3, s41, v1
	v_add_u32_e32 v3, v1, v3
	v_lshrrev_b32_e32 v3, s39, v3
	v_mul_lo_u32 v3, v3, s40
	s_load_dword s39, s[34:35], 0xe4
	v_sub_u32_e32 v3, v1, v3
	v_mad_u64_u32 v[0:1], s[34:35], v3, s42, v[0:1]
	v_mad_u64_u32 v[4:5], s[34:35], v3, s43, v[4:5]
	s_waitcnt lgkmcnt(0)
	v_mad_u64_u32 v[2:3], s[34:35], v3, s39, v[2:3]
	s_branch .LBB272_77
.LBB272_75:
                                        ; implicit-def: $vgpr0
                                        ; implicit-def: $vgpr4
                                        ; implicit-def: $vgpr2
	s_branch .LBB272_78
.LBB272_76:
	v_mov_b32_e32 v0, 0
	v_mov_b32_e32 v4, 0
	v_mov_b32_e32 v2, 0
.LBB272_77:
	s_cbranch_execnz .LBB272_80
.LBB272_78:
	v_mul_hi_u32 v0, s13, v26
	s_andn2_b64 vcc, exec, s[26:27]
	v_add_u32_e32 v0, v26, v0
	v_lshrrev_b32_e32 v1, s14, v0
	v_mul_lo_u32 v0, v1, s12
	v_sub_u32_e32 v2, v26, v0
	v_mul_lo_u32 v0, v2, s8
	v_mul_lo_u32 v4, v2, s9
	;; [unrolled: 1-line block ×3, first 2 shown]
	s_cbranch_vccnz .LBB272_80
; %bb.79:
	v_mul_hi_u32 v3, s24, v1
	v_add_u32_e32 v3, v1, v3
	v_lshrrev_b32_e32 v3, s25, v3
	v_mul_lo_u32 v3, v3, s15
	v_sub_u32_e32 v3, v1, v3
	v_mad_u64_u32 v[0:1], s[34:35], v3, s11, v[0:1]
	v_mad_u64_u32 v[4:5], s[34:35], v3, s22, v[4:5]
	;; [unrolled: 1-line block ×3, first 2 shown]
.LBB272_80:
	global_load_ubyte v1, v4, s[6:7]
	global_load_ubyte v3, v2, s[20:21]
	s_mov_b32 s34, 0x7f800000
	s_brev_b32 s35, 1
	v_add_u32_e32 v26, 0x80, v26
	s_waitcnt vmcnt(1)
	v_lshlrev_b32_e32 v1, 24, v1
	s_waitcnt vmcnt(0)
	v_lshlrev_b32_e32 v2, 24, v3
	v_and_b32_e32 v3, 0x7f000000, v1
	v_and_b32_e32 v4, 0x7f000000, v2
	v_ffbh_u32_e32 v5, v3
	v_ffbh_u32_e32 v7, v4
	v_min_u32_e32 v5, 32, v5
	v_min_u32_e32 v7, 32, v7
	v_sub_u32_e64 v5, v5, 4 clamp
	v_sub_u32_e64 v7, v7, 4 clamp
	v_lshlrev_b32_e32 v9, v5, v3
	v_lshlrev_b32_e32 v5, 23, v5
	;; [unrolled: 1-line block ×3, first 2 shown]
	v_lshrrev_b32_e32 v9, 4, v9
	v_add_u32_e32 v6, 0x1000000, v3
	v_lshlrev_b32_e32 v7, 23, v7
	v_lshrrev_b32_e32 v10, 4, v10
	v_sub_u32_e32 v5, v9, v5
	v_add_u32_e32 v8, 0x1000000, v4
	v_ashrrev_i32_e32 v6, 8, v6
	v_sub_u32_e32 v7, v10, v7
	v_add_u32_e32 v5, 0x3c000000, v5
	v_ashrrev_i32_e32 v8, 8, v8
	v_add_u32_e32 v7, 0x3c000000, v7
	v_and_or_b32 v5, v6, s34, v5
	v_cmp_ne_u32_e32 vcc, 0, v3
	v_and_or_b32 v6, v8, s34, v7
	v_cndmask_b32_e32 v3, 0, v5, vcc
	v_cmp_ne_u32_e32 vcc, 0, v4
	v_cndmask_b32_e32 v4, 0, v6, vcc
	v_and_or_b32 v1, v1, s35, v3
	v_and_or_b32 v2, v2, s35, v4
	v_cmp_eq_f32_e32 vcc, v1, v2
	v_cndmask_b32_e64 v3, 0, 1, vcc
	v_cmp_neq_f32_e32 vcc, v1, v2
	v_cndmask_b32_e64 v1, 0, 1, vcc
	v_cndmask_b32_e64 v1, v1, v3, s[0:1]
	v_and_b32_e32 v1, 1, v1
	global_store_byte v0, v1, s[4:5]
	s_or_b64 exec, exec, s[30:31]
	v_cmp_gt_i32_e32 vcc, s38, v26
	s_and_saveexec_b64 s[30:31], vcc
	s_cbranch_execz .LBB272_8
.LBB272_81:
	s_andn2_b64 vcc, exec, s[2:3]
	s_cbranch_vccnz .LBB272_87
; %bb.82:
	s_andn2_b64 vcc, exec, s[28:29]
	s_cbranch_vccnz .LBB272_88
; %bb.83:
	s_add_i32 s34, s37, 1
	s_and_b32 s39, s34, 30
	s_add_u32 s34, s16, 0xffffffe8
	s_addc_u32 s35, s17, -1
	v_mov_b32_e32 v2, 0
	v_mov_b32_e32 v4, 0
	;; [unrolled: 1-line block ×4, first 2 shown]
.LBB272_84:                             ; =>This Inner Loop Header: Depth=1
	s_load_dwordx4 s[40:43], s[34:35], 0x1c
	s_load_dwordx2 s[48:49], s[34:35], 0x2c
	s_load_dwordx2 s[50:51], s[34:35], 0xec
	s_load_dwordx4 s[44:47], s[34:35], 0xdc
	s_add_u32 s34, s34, 24
	s_waitcnt lgkmcnt(0)
	v_mul_hi_u32 v3, s41, v1
	s_addc_u32 s35, s35, 0
	s_add_i32 s39, s39, -2
	s_cmp_eq_u32 s39, 0
	v_add_u32_e32 v3, v1, v3
	v_lshrrev_b32_e32 v3, s42, v3
	v_mul_lo_u32 v5, v3, s40
	v_mul_hi_u32 v6, s48, v3
	v_sub_u32_e32 v5, v1, v5
	v_add_u32_e32 v1, v3, v6
	v_lshrrev_b32_e32 v1, s49, v1
	v_mul_lo_u32 v8, v1, s43
	v_mul_lo_u32 v6, v5, s44
	;; [unrolled: 1-line block ×4, first 2 shown]
	v_sub_u32_e32 v3, v3, v8
	v_mul_lo_u32 v8, v3, s47
	v_mul_lo_u32 v9, v3, s50
	;; [unrolled: 1-line block ×3, first 2 shown]
	v_add3_u32 v0, v6, v0, v8
	v_add3_u32 v4, v7, v4, v9
	;; [unrolled: 1-line block ×3, first 2 shown]
	s_cbranch_scc0 .LBB272_84
; %bb.85:
	s_bitcmp1_b32 s37, 0
	s_cselect_b64 s[40:41], -1, 0
	s_and_b64 vcc, exec, s[40:41]
	s_cbranch_vccnz .LBB272_89
; %bb.86:
	s_load_dwordx2 s[40:41], s[34:35], 0x1c
	s_load_dword s39, s[34:35], 0x24
	s_load_dwordx2 s[42:43], s[34:35], 0xdc
	s_waitcnt lgkmcnt(0)
	v_mul_hi_u32 v3, s41, v1
	v_add_u32_e32 v3, v1, v3
	v_lshrrev_b32_e32 v3, s39, v3
	v_mul_lo_u32 v3, v3, s40
	s_load_dword s39, s[34:35], 0xe4
	v_sub_u32_e32 v3, v1, v3
	v_mad_u64_u32 v[0:1], s[34:35], v3, s42, v[0:1]
	v_mad_u64_u32 v[4:5], s[34:35], v3, s43, v[4:5]
	s_waitcnt lgkmcnt(0)
	v_mad_u64_u32 v[2:3], s[34:35], v3, s39, v[2:3]
	s_branch .LBB272_89
.LBB272_87:
                                        ; implicit-def: $vgpr0
                                        ; implicit-def: $vgpr4
                                        ; implicit-def: $vgpr2
	s_branch .LBB272_90
.LBB272_88:
	v_mov_b32_e32 v0, 0
	v_mov_b32_e32 v4, 0
	;; [unrolled: 1-line block ×3, first 2 shown]
.LBB272_89:
	s_cbranch_execnz .LBB272_92
.LBB272_90:
	v_mul_hi_u32 v0, s13, v26
	s_andn2_b64 vcc, exec, s[26:27]
	v_add_u32_e32 v0, v26, v0
	v_lshrrev_b32_e32 v1, s14, v0
	v_mul_lo_u32 v0, v1, s12
	v_sub_u32_e32 v2, v26, v0
	v_mul_lo_u32 v0, v2, s8
	v_mul_lo_u32 v4, v2, s9
	;; [unrolled: 1-line block ×3, first 2 shown]
	s_cbranch_vccnz .LBB272_92
; %bb.91:
	v_mul_hi_u32 v3, s24, v1
	v_add_u32_e32 v3, v1, v3
	v_lshrrev_b32_e32 v3, s25, v3
	v_mul_lo_u32 v3, v3, s15
	v_sub_u32_e32 v3, v1, v3
	v_mad_u64_u32 v[0:1], s[34:35], v3, s11, v[0:1]
	v_mad_u64_u32 v[4:5], s[34:35], v3, s22, v[4:5]
	;; [unrolled: 1-line block ×3, first 2 shown]
.LBB272_92:
	global_load_ubyte v1, v4, s[6:7]
	global_load_ubyte v3, v2, s[20:21]
	s_mov_b32 s34, 0x7f800000
	s_brev_b32 s35, 1
	v_add_u32_e32 v26, 0x80, v26
	s_waitcnt vmcnt(1)
	v_lshlrev_b32_e32 v1, 24, v1
	s_waitcnt vmcnt(0)
	v_lshlrev_b32_e32 v2, 24, v3
	v_and_b32_e32 v3, 0x7f000000, v1
	v_and_b32_e32 v4, 0x7f000000, v2
	v_ffbh_u32_e32 v5, v3
	v_ffbh_u32_e32 v7, v4
	v_min_u32_e32 v5, 32, v5
	v_min_u32_e32 v7, 32, v7
	v_sub_u32_e64 v5, v5, 4 clamp
	v_sub_u32_e64 v7, v7, 4 clamp
	v_lshlrev_b32_e32 v9, v5, v3
	v_lshlrev_b32_e32 v5, 23, v5
	v_lshlrev_b32_e32 v10, v7, v4
	v_lshrrev_b32_e32 v9, 4, v9
	v_add_u32_e32 v6, 0x1000000, v3
	v_lshlrev_b32_e32 v7, 23, v7
	v_lshrrev_b32_e32 v10, 4, v10
	v_sub_u32_e32 v5, v9, v5
	v_add_u32_e32 v8, 0x1000000, v4
	v_ashrrev_i32_e32 v6, 8, v6
	v_sub_u32_e32 v7, v10, v7
	v_add_u32_e32 v5, 0x3c000000, v5
	v_ashrrev_i32_e32 v8, 8, v8
	v_add_u32_e32 v7, 0x3c000000, v7
	v_and_or_b32 v5, v6, s34, v5
	v_cmp_ne_u32_e32 vcc, 0, v3
	v_and_or_b32 v6, v8, s34, v7
	v_cndmask_b32_e32 v3, 0, v5, vcc
	v_cmp_ne_u32_e32 vcc, 0, v4
	v_cndmask_b32_e32 v4, 0, v6, vcc
	v_and_or_b32 v1, v1, s35, v3
	v_and_or_b32 v2, v2, s35, v4
	v_cmp_eq_f32_e32 vcc, v1, v2
	v_cndmask_b32_e64 v3, 0, 1, vcc
	v_cmp_neq_f32_e32 vcc, v1, v2
	v_cndmask_b32_e64 v1, 0, 1, vcc
	v_cndmask_b32_e64 v1, v1, v3, s[0:1]
	v_and_b32_e32 v1, 1, v1
	global_store_byte v0, v1, s[4:5]
	s_or_b64 exec, exec, s[30:31]
	v_cmp_gt_i32_e32 vcc, s38, v26
	s_and_saveexec_b64 s[30:31], vcc
	s_cbranch_execz .LBB272_105
.LBB272_93:
	s_andn2_b64 vcc, exec, s[2:3]
	s_cbranch_vccnz .LBB272_99
; %bb.94:
	s_andn2_b64 vcc, exec, s[28:29]
	s_cbranch_vccnz .LBB272_100
; %bb.95:
	s_add_i32 s28, s37, 1
	s_and_b32 s34, s28, 30
	s_add_u32 s28, s16, 0xffffffe8
	s_addc_u32 s29, s17, -1
	v_mov_b32_e32 v2, 0
	v_mov_b32_e32 v4, 0
	;; [unrolled: 1-line block ×4, first 2 shown]
.LBB272_96:                             ; =>This Inner Loop Header: Depth=1
	s_load_dwordx4 s[40:43], s[28:29], 0x1c
	s_load_dwordx2 s[38:39], s[28:29], 0x2c
	s_load_dwordx2 s[48:49], s[28:29], 0xec
	s_load_dwordx4 s[44:47], s[28:29], 0xdc
	s_add_u32 s28, s28, 24
	s_waitcnt lgkmcnt(0)
	v_mul_hi_u32 v3, s41, v1
	s_addc_u32 s29, s29, 0
	s_add_i32 s34, s34, -2
	s_cmp_eq_u32 s34, 0
	v_add_u32_e32 v3, v1, v3
	v_lshrrev_b32_e32 v3, s42, v3
	v_mul_lo_u32 v5, v3, s40
	v_mul_hi_u32 v6, s38, v3
	v_sub_u32_e32 v5, v1, v5
	v_add_u32_e32 v1, v3, v6
	v_lshrrev_b32_e32 v1, s39, v1
	v_mul_lo_u32 v8, v1, s43
	v_mul_lo_u32 v6, v5, s44
	;; [unrolled: 1-line block ×4, first 2 shown]
	v_sub_u32_e32 v3, v3, v8
	v_mul_lo_u32 v8, v3, s47
	v_mul_lo_u32 v9, v3, s48
	;; [unrolled: 1-line block ×3, first 2 shown]
	v_add3_u32 v0, v6, v0, v8
	v_add3_u32 v4, v7, v4, v9
	;; [unrolled: 1-line block ×3, first 2 shown]
	s_cbranch_scc0 .LBB272_96
; %bb.97:
	s_bitcmp1_b32 s37, 0
	s_cselect_b64 s[34:35], -1, 0
	s_and_b64 vcc, exec, s[34:35]
	s_cbranch_vccnz .LBB272_101
; %bb.98:
	s_load_dwordx2 s[34:35], s[28:29], 0x1c
	s_load_dword s37, s[28:29], 0x24
	s_load_dwordx2 s[38:39], s[28:29], 0xdc
	s_waitcnt lgkmcnt(0)
	v_mul_hi_u32 v3, s35, v1
	v_add_u32_e32 v3, v1, v3
	v_lshrrev_b32_e32 v3, s37, v3
	v_mul_lo_u32 v3, v3, s34
	s_load_dword s34, s[28:29], 0xe4
	v_sub_u32_e32 v3, v1, v3
	v_mad_u64_u32 v[0:1], s[28:29], v3, s38, v[0:1]
	v_mad_u64_u32 v[4:5], s[28:29], v3, s39, v[4:5]
	s_waitcnt lgkmcnt(0)
	v_mad_u64_u32 v[2:3], s[28:29], v3, s34, v[2:3]
	s_branch .LBB272_101
.LBB272_99:
                                        ; implicit-def: $vgpr0
                                        ; implicit-def: $vgpr4
                                        ; implicit-def: $vgpr2
	s_branch .LBB272_102
.LBB272_100:
	v_mov_b32_e32 v0, 0
	v_mov_b32_e32 v4, 0
	;; [unrolled: 1-line block ×3, first 2 shown]
.LBB272_101:
	s_cbranch_execnz .LBB272_104
.LBB272_102:
	v_mul_hi_u32 v0, s13, v26
	s_andn2_b64 vcc, exec, s[26:27]
	v_add_u32_e32 v0, v26, v0
	v_lshrrev_b32_e32 v1, s14, v0
	v_mul_lo_u32 v0, v1, s12
	v_sub_u32_e32 v2, v26, v0
	v_mul_lo_u32 v0, v2, s8
	v_mul_lo_u32 v4, v2, s9
	;; [unrolled: 1-line block ×3, first 2 shown]
	s_cbranch_vccnz .LBB272_104
; %bb.103:
	v_mul_hi_u32 v3, s24, v1
	v_add_u32_e32 v3, v1, v3
	v_lshrrev_b32_e32 v3, s25, v3
	v_mul_lo_u32 v3, v3, s15
	v_sub_u32_e32 v3, v1, v3
	v_mad_u64_u32 v[0:1], s[8:9], v3, s11, v[0:1]
	v_mad_u64_u32 v[4:5], s[8:9], v3, s22, v[4:5]
	;; [unrolled: 1-line block ×3, first 2 shown]
.LBB272_104:
	global_load_ubyte v1, v4, s[6:7]
	global_load_ubyte v3, v2, s[20:21]
	s_mov_b32 s6, 0x7f800000
	s_brev_b32 s7, 1
	s_waitcnt vmcnt(1)
	v_lshlrev_b32_e32 v1, 24, v1
	s_waitcnt vmcnt(0)
	v_lshlrev_b32_e32 v2, 24, v3
	v_and_b32_e32 v3, 0x7f000000, v1
	v_and_b32_e32 v4, 0x7f000000, v2
	v_ffbh_u32_e32 v5, v3
	v_ffbh_u32_e32 v7, v4
	v_min_u32_e32 v5, 32, v5
	v_min_u32_e32 v7, 32, v7
	v_sub_u32_e64 v5, v5, 4 clamp
	v_sub_u32_e64 v7, v7, 4 clamp
	v_lshlrev_b32_e32 v9, v5, v3
	v_lshlrev_b32_e32 v5, 23, v5
	;; [unrolled: 1-line block ×3, first 2 shown]
	v_lshrrev_b32_e32 v9, 4, v9
	v_add_u32_e32 v6, 0x1000000, v3
	v_lshlrev_b32_e32 v7, 23, v7
	v_lshrrev_b32_e32 v10, 4, v10
	v_sub_u32_e32 v5, v9, v5
	v_add_u32_e32 v8, 0x1000000, v4
	v_ashrrev_i32_e32 v6, 8, v6
	v_sub_u32_e32 v7, v10, v7
	v_add_u32_e32 v5, 0x3c000000, v5
	v_ashrrev_i32_e32 v8, 8, v8
	v_add_u32_e32 v7, 0x3c000000, v7
	v_and_or_b32 v5, v6, s6, v5
	v_cmp_ne_u32_e32 vcc, 0, v3
	v_and_or_b32 v6, v8, s6, v7
	v_cndmask_b32_e32 v3, 0, v5, vcc
	v_cmp_ne_u32_e32 vcc, 0, v4
	v_cndmask_b32_e32 v4, 0, v6, vcc
	v_and_or_b32 v1, v1, s7, v3
	v_and_or_b32 v2, v2, s7, v4
	v_cmp_eq_f32_e32 vcc, v1, v2
	v_cndmask_b32_e64 v3, 0, 1, vcc
	v_cmp_neq_f32_e32 vcc, v1, v2
	v_cndmask_b32_e64 v1, 0, 1, vcc
	v_cndmask_b32_e64 v1, v1, v3, s[0:1]
	v_and_b32_e32 v1, 1, v1
	global_store_byte v0, v1, s[4:5]
.LBB272_105:
	s_or_b64 exec, exec, s[30:31]
                                        ; implicit-def: $vgpr39
                                        ; implicit-def: $vgpr26
.LBB272_106:
	s_andn2_saveexec_b64 s[0:1], s[18:19]
	s_cbranch_execz .LBB272_113
; %bb.107:
	v_cndmask_b32_e64 v0, 0, 1, s[2:3]
	v_cmp_ne_u32_e64 s[0:1], 1, v0
	s_andn2_b64 vcc, exec, s[2:3]
	s_cbranch_vccnz .LBB272_114
; %bb.108:
	s_cmp_lg_u32 s33, 0
	s_cbranch_scc0 .LBB272_115
; %bb.109:
	s_min_u32 s4, s36, 15
	s_add_i32 s2, s4, 1
	s_and_b32 s5, s2, 30
	s_add_u32 s2, s16, 0xffffffe8
	s_addc_u32 s3, s17, -1
	v_mov_b32_e32 v4, 0
	v_mov_b32_e32 v6, 0
	;; [unrolled: 1-line block ×4, first 2 shown]
.LBB272_110:                            ; =>This Inner Loop Header: Depth=1
	s_load_dwordx4 s[8:11], s[2:3], 0x1c
	s_load_dwordx2 s[6:7], s[2:3], 0x2c
	s_load_dwordx2 s[18:19], s[2:3], 0xec
	s_load_dwordx4 s[12:15], s[2:3], 0xdc
	s_add_u32 s2, s2, 24
	s_waitcnt lgkmcnt(0)
	v_mul_hi_u32 v2, s9, v1
	s_addc_u32 s3, s3, 0
	s_add_i32 s5, s5, -2
	s_cmp_lg_u32 s5, 0
	v_add_u32_e32 v2, v1, v2
	v_lshrrev_b32_e32 v2, s10, v2
	v_mul_lo_u32 v3, v2, s8
	v_mul_hi_u32 v5, s6, v2
	v_sub_u32_e32 v3, v1, v3
	v_add_u32_e32 v1, v2, v5
	v_lshrrev_b32_e32 v1, s7, v1
	v_mul_lo_u32 v8, v1, s11
	v_mul_lo_u32 v5, v3, s12
	;; [unrolled: 1-line block ×4, first 2 shown]
	v_sub_u32_e32 v2, v2, v8
	v_mul_lo_u32 v8, v2, s15
	v_mul_lo_u32 v9, v2, s18
	;; [unrolled: 1-line block ×3, first 2 shown]
	v_add3_u32 v0, v5, v0, v8
	v_add3_u32 v6, v7, v6, v9
	;; [unrolled: 1-line block ×3, first 2 shown]
	s_cbranch_scc1 .LBB272_110
; %bb.111:
	s_bitcmp1_b32 s4, 0
	s_cselect_b64 s[4:5], -1, 0
	s_and_b64 vcc, exec, s[4:5]
	s_cbranch_vccnz .LBB272_116
; %bb.112:
	s_load_dwordx2 s[4:5], s[2:3], 0x1c
	s_load_dword s8, s[2:3], 0x24
	s_load_dwordx2 s[6:7], s[2:3], 0xdc
	s_waitcnt lgkmcnt(0)
	v_mul_hi_u32 v2, s5, v1
	v_add_u32_e32 v2, v1, v2
	v_lshrrev_b32_e32 v2, s8, v2
	v_mul_lo_u32 v2, v2, s4
	s_load_dword s4, s[2:3], 0xe4
	v_sub_u32_e32 v2, v1, v2
	v_mad_u64_u32 v[0:1], s[2:3], v2, s6, v[0:1]
	v_mad_u64_u32 v[6:7], s[2:3], v2, s7, v[6:7]
	s_waitcnt lgkmcnt(0)
	v_mad_u64_u32 v[4:5], s[2:3], v2, s4, v[4:5]
	s_cbranch_execz .LBB272_117
	s_branch .LBB272_119
.LBB272_113:
	s_endpgm
.LBB272_114:
                                        ; implicit-def: $vgpr0
                                        ; implicit-def: $vgpr6
                                        ; implicit-def: $vgpr4
	s_branch .LBB272_117
.LBB272_115:
	v_mov_b32_e32 v0, 0
	v_mov_b32_e32 v6, 0
	;; [unrolled: 1-line block ×3, first 2 shown]
.LBB272_116:
	s_cbranch_execnz .LBB272_119
.LBB272_117:
	s_load_dwordx4 s[4:7], s[16:17], 0x4
	s_load_dwordx4 s[8:11], s[16:17], 0xc4
	s_cmp_lt_u32 s33, 2
	s_waitcnt lgkmcnt(0)
	v_mul_hi_u32 v0, s5, v26
	v_add_u32_e32 v0, v26, v0
	v_lshrrev_b32_e32 v1, s6, v0
	v_mul_lo_u32 v0, v1, s4
	v_sub_u32_e32 v2, v26, v0
	v_mul_lo_u32 v0, v2, s8
	v_mul_lo_u32 v6, v2, s9
	;; [unrolled: 1-line block ×3, first 2 shown]
	s_cbranch_scc1 .LBB272_119
; %bb.118:
	s_load_dwordx4 s[4:7], s[16:17], 0x10
	s_load_dwordx4 s[8:11], s[16:17], 0xd0
	s_waitcnt lgkmcnt(0)
	v_mul_hi_u32 v2, s5, v1
	v_add_u32_e32 v2, v1, v2
	v_lshrrev_b32_e32 v2, s6, v2
	v_mul_lo_u32 v2, v2, s4
	v_sub_u32_e32 v2, v1, v2
	v_mad_u64_u32 v[0:1], s[2:3], v2, s8, v[0:1]
	v_mad_u64_u32 v[6:7], s[2:3], v2, s9, v[6:7]
	;; [unrolled: 1-line block ×3, first 2 shown]
.LBB272_119:
	s_and_b64 vcc, exec, s[0:1]
	v_add_u32_e32 v3, 0x80, v26
	s_cbranch_vccnz .LBB272_125
; %bb.120:
	s_cmp_lg_u32 s33, 0
	s_cbranch_scc0 .LBB272_126
; %bb.121:
	s_min_u32 s4, s36, 15
	s_add_i32 s2, s4, 1
	s_and_b32 s5, s2, 30
	s_add_u32 s2, s16, 0xffffffe8
	s_addc_u32 s3, s17, -1
	v_mov_b32_e32 v9, 0
	v_mov_b32_e32 v11, 0
	;; [unrolled: 1-line block ×4, first 2 shown]
.LBB272_122:                            ; =>This Inner Loop Header: Depth=1
	s_load_dwordx4 s[8:11], s[2:3], 0x1c
	s_load_dwordx2 s[6:7], s[2:3], 0x2c
	s_load_dwordx2 s[18:19], s[2:3], 0xec
	s_load_dwordx4 s[12:15], s[2:3], 0xdc
	s_add_u32 s2, s2, 24
	s_waitcnt lgkmcnt(0)
	v_mul_hi_u32 v5, s9, v2
	s_addc_u32 s3, s3, 0
	s_add_i32 s5, s5, -2
	s_cmp_lg_u32 s5, 0
	v_add_u32_e32 v5, v2, v5
	v_lshrrev_b32_e32 v5, s10, v5
	v_mul_lo_u32 v7, v5, s8
	v_mul_hi_u32 v8, s6, v5
	v_sub_u32_e32 v7, v2, v7
	v_add_u32_e32 v2, v5, v8
	v_lshrrev_b32_e32 v2, s7, v2
	v_mul_lo_u32 v12, v2, s11
	v_mul_lo_u32 v8, v7, s12
	;; [unrolled: 1-line block ×4, first 2 shown]
	v_sub_u32_e32 v5, v5, v12
	v_mul_lo_u32 v12, v5, s15
	v_mul_lo_u32 v13, v5, s18
	;; [unrolled: 1-line block ×3, first 2 shown]
	v_add3_u32 v1, v8, v1, v12
	v_add3_u32 v11, v10, v11, v13
	;; [unrolled: 1-line block ×3, first 2 shown]
	s_cbranch_scc1 .LBB272_122
; %bb.123:
	s_bitcmp1_b32 s4, 0
	s_cselect_b64 s[4:5], -1, 0
	s_and_b64 vcc, exec, s[4:5]
	s_cbranch_vccnz .LBB272_127
; %bb.124:
	s_load_dwordx2 s[4:5], s[2:3], 0x1c
	s_load_dword s8, s[2:3], 0x24
	s_load_dwordx2 s[6:7], s[2:3], 0xdc
	s_waitcnt lgkmcnt(0)
	v_mul_hi_u32 v5, s5, v2
	v_add_u32_e32 v5, v2, v5
	v_lshrrev_b32_e32 v5, s8, v5
	v_mul_lo_u32 v5, v5, s4
	s_load_dword s4, s[2:3], 0xe4
	v_sub_u32_e32 v5, v2, v5
	v_mad_u64_u32 v[1:2], s[2:3], v5, s6, v[1:2]
	v_mad_u64_u32 v[11:12], s[2:3], v5, s7, v[11:12]
	s_waitcnt lgkmcnt(0)
	v_mad_u64_u32 v[9:10], s[2:3], v5, s4, v[9:10]
	s_cbranch_execz .LBB272_128
	s_branch .LBB272_130
.LBB272_125:
                                        ; implicit-def: $vgpr1
                                        ; implicit-def: $vgpr11
                                        ; implicit-def: $vgpr9
	s_branch .LBB272_128
.LBB272_126:
	v_mov_b32_e32 v1, 0
	v_mov_b32_e32 v11, 0
	;; [unrolled: 1-line block ×3, first 2 shown]
.LBB272_127:
	s_cbranch_execnz .LBB272_130
.LBB272_128:
	s_load_dwordx4 s[4:7], s[16:17], 0x4
	s_load_dwordx4 s[8:11], s[16:17], 0xc4
	s_cmp_lt_u32 s33, 2
	s_waitcnt lgkmcnt(0)
	v_mul_hi_u32 v1, s5, v3
	v_add_u32_e32 v1, v3, v1
	v_lshrrev_b32_e32 v2, s6, v1
	v_mul_lo_u32 v1, v2, s4
	v_sub_u32_e32 v3, v3, v1
	v_mul_lo_u32 v1, v3, s8
	v_mul_lo_u32 v11, v3, s9
	;; [unrolled: 1-line block ×3, first 2 shown]
	s_cbranch_scc1 .LBB272_130
; %bb.129:
	s_load_dwordx4 s[4:7], s[16:17], 0x10
	s_load_dwordx4 s[8:11], s[16:17], 0xd0
	s_waitcnt lgkmcnt(0)
	v_mul_hi_u32 v3, s5, v2
	v_add_u32_e32 v3, v2, v3
	v_lshrrev_b32_e32 v3, s6, v3
	v_mul_lo_u32 v3, v3, s4
	v_sub_u32_e32 v3, v2, v3
	v_mad_u64_u32 v[1:2], s[2:3], v3, s8, v[1:2]
	v_mad_u64_u32 v[11:12], s[2:3], v3, s9, v[11:12]
	;; [unrolled: 1-line block ×3, first 2 shown]
.LBB272_130:
	s_and_b64 vcc, exec, s[0:1]
	v_add_u32_e32 v5, 0x100, v26
	s_cbranch_vccnz .LBB272_136
; %bb.131:
	s_cmp_lg_u32 s33, 0
	s_cbranch_scc0 .LBB272_137
; %bb.132:
	s_min_u32 s4, s36, 15
	s_add_i32 s2, s4, 1
	s_and_b32 s5, s2, 30
	s_add_u32 s2, s16, 0xffffffe8
	s_addc_u32 s3, s17, -1
	v_mov_b32_e32 v12, 0
	v_mov_b32_e32 v14, 0
	;; [unrolled: 1-line block ×4, first 2 shown]
.LBB272_133:                            ; =>This Inner Loop Header: Depth=1
	s_load_dwordx4 s[8:11], s[2:3], 0x1c
	s_load_dwordx2 s[6:7], s[2:3], 0x2c
	s_load_dwordx2 s[18:19], s[2:3], 0xec
	s_load_dwordx4 s[12:15], s[2:3], 0xdc
	s_add_u32 s2, s2, 24
	s_waitcnt lgkmcnt(0)
	v_mul_hi_u32 v7, s9, v3
	s_addc_u32 s3, s3, 0
	s_add_i32 s5, s5, -2
	s_cmp_lg_u32 s5, 0
	v_add_u32_e32 v7, v3, v7
	v_lshrrev_b32_e32 v7, s10, v7
	v_mul_lo_u32 v8, v7, s8
	v_mul_hi_u32 v10, s6, v7
	v_sub_u32_e32 v8, v3, v8
	v_add_u32_e32 v3, v7, v10
	v_lshrrev_b32_e32 v3, s7, v3
	v_mul_lo_u32 v15, v3, s11
	v_mul_lo_u32 v10, v8, s12
	;; [unrolled: 1-line block ×4, first 2 shown]
	v_sub_u32_e32 v7, v7, v15
	v_mul_lo_u32 v15, v7, s15
	v_mul_lo_u32 v16, v7, s18
	;; [unrolled: 1-line block ×3, first 2 shown]
	v_add3_u32 v2, v10, v2, v15
	v_add3_u32 v14, v13, v14, v16
	;; [unrolled: 1-line block ×3, first 2 shown]
	s_cbranch_scc1 .LBB272_133
; %bb.134:
	s_bitcmp1_b32 s4, 0
	s_cselect_b64 s[4:5], -1, 0
	s_and_b64 vcc, exec, s[4:5]
	s_cbranch_vccnz .LBB272_138
; %bb.135:
	s_load_dwordx2 s[4:5], s[2:3], 0x1c
	s_load_dword s8, s[2:3], 0x24
	s_load_dwordx2 s[6:7], s[2:3], 0xdc
	s_waitcnt lgkmcnt(0)
	v_mul_hi_u32 v7, s5, v3
	v_add_u32_e32 v7, v3, v7
	v_lshrrev_b32_e32 v7, s8, v7
	v_mul_lo_u32 v7, v7, s4
	s_load_dword s4, s[2:3], 0xe4
	v_sub_u32_e32 v7, v3, v7
	v_mad_u64_u32 v[2:3], s[2:3], v7, s6, v[2:3]
	v_mad_u64_u32 v[14:15], s[2:3], v7, s7, v[14:15]
	s_waitcnt lgkmcnt(0)
	v_mad_u64_u32 v[12:13], s[2:3], v7, s4, v[12:13]
	s_cbranch_execz .LBB272_139
	s_branch .LBB272_141
.LBB272_136:
                                        ; implicit-def: $vgpr2
                                        ; implicit-def: $vgpr14
                                        ; implicit-def: $vgpr12
	s_branch .LBB272_139
.LBB272_137:
	v_mov_b32_e32 v2, 0
	v_mov_b32_e32 v14, 0
	;; [unrolled: 1-line block ×3, first 2 shown]
.LBB272_138:
	s_cbranch_execnz .LBB272_141
.LBB272_139:
	s_load_dwordx4 s[4:7], s[16:17], 0x4
	s_load_dwordx4 s[8:11], s[16:17], 0xc4
	s_cmp_lt_u32 s33, 2
	s_waitcnt lgkmcnt(0)
	v_mul_hi_u32 v2, s5, v5
	v_add_u32_e32 v2, v5, v2
	v_lshrrev_b32_e32 v3, s6, v2
	v_mul_lo_u32 v2, v3, s4
	v_sub_u32_e32 v5, v5, v2
	v_mul_lo_u32 v2, v5, s8
	v_mul_lo_u32 v14, v5, s9
	v_mul_lo_u32 v12, v5, s10
	s_cbranch_scc1 .LBB272_141
; %bb.140:
	s_load_dwordx4 s[4:7], s[16:17], 0x10
	s_load_dwordx4 s[8:11], s[16:17], 0xd0
	s_waitcnt lgkmcnt(0)
	v_mul_hi_u32 v5, s5, v3
	v_add_u32_e32 v5, v3, v5
	v_lshrrev_b32_e32 v5, s6, v5
	v_mul_lo_u32 v5, v5, s4
	v_sub_u32_e32 v5, v3, v5
	v_mad_u64_u32 v[2:3], s[2:3], v5, s8, v[2:3]
	v_mad_u64_u32 v[14:15], s[2:3], v5, s9, v[14:15]
	;; [unrolled: 1-line block ×3, first 2 shown]
.LBB272_141:
	s_and_b64 vcc, exec, s[0:1]
	v_add_u32_e32 v3, 0x180, v26
	s_cbranch_vccnz .LBB272_147
; %bb.142:
	s_cmp_lg_u32 s33, 0
	s_cbranch_scc0 .LBB272_148
; %bb.143:
	s_min_u32 s4, s36, 15
	s_add_i32 s2, s4, 1
	s_and_b32 s5, s2, 30
	s_add_u32 s2, s16, 0xffffffe8
	s_addc_u32 s3, s17, -1
	v_mov_b32_e32 v17, 0
	v_mov_b32_e32 v19, 0
	;; [unrolled: 1-line block ×4, first 2 shown]
.LBB272_144:                            ; =>This Inner Loop Header: Depth=1
	s_load_dwordx4 s[8:11], s[2:3], 0x1c
	s_load_dwordx2 s[6:7], s[2:3], 0x2c
	s_load_dwordx2 s[18:19], s[2:3], 0xec
	s_load_dwordx4 s[12:15], s[2:3], 0xdc
	s_add_u32 s2, s2, 24
	s_waitcnt lgkmcnt(0)
	v_mul_hi_u32 v8, s9, v5
	s_addc_u32 s3, s3, 0
	s_add_i32 s5, s5, -2
	s_cmp_lg_u32 s5, 0
	v_add_u32_e32 v8, v5, v8
	v_lshrrev_b32_e32 v8, s10, v8
	v_mul_lo_u32 v10, v8, s8
	v_mul_hi_u32 v13, s6, v8
	v_sub_u32_e32 v10, v5, v10
	v_add_u32_e32 v5, v8, v13
	v_lshrrev_b32_e32 v5, s7, v5
	v_mul_lo_u32 v16, v5, s11
	v_mul_lo_u32 v13, v10, s12
	;; [unrolled: 1-line block ×4, first 2 shown]
	v_sub_u32_e32 v8, v8, v16
	v_mul_lo_u32 v16, v8, s15
	v_mul_lo_u32 v18, v8, s18
	;; [unrolled: 1-line block ×3, first 2 shown]
	v_add3_u32 v7, v13, v7, v16
	v_add3_u32 v19, v15, v19, v18
	v_add3_u32 v17, v10, v17, v8
	s_cbranch_scc1 .LBB272_144
; %bb.145:
	s_bitcmp1_b32 s4, 0
	s_cselect_b64 s[4:5], -1, 0
	s_and_b64 vcc, exec, s[4:5]
	s_cbranch_vccnz .LBB272_149
; %bb.146:
	s_load_dwordx2 s[4:5], s[2:3], 0x1c
	s_load_dword s8, s[2:3], 0x24
	s_load_dwordx2 s[6:7], s[2:3], 0xdc
	s_waitcnt lgkmcnt(0)
	v_mul_hi_u32 v8, s5, v5
	v_add_u32_e32 v8, v5, v8
	v_lshrrev_b32_e32 v8, s8, v8
	v_mul_lo_u32 v8, v8, s4
	s_load_dword s4, s[2:3], 0xe4
	v_sub_u32_e32 v5, v5, v8
	v_mad_u64_u32 v[7:8], s[2:3], v5, s6, v[7:8]
	v_mad_u64_u32 v[19:20], s[2:3], v5, s7, v[19:20]
	s_waitcnt lgkmcnt(0)
	v_mad_u64_u32 v[17:18], s[2:3], v5, s4, v[17:18]
	s_cbranch_execz .LBB272_150
	s_branch .LBB272_152
.LBB272_147:
                                        ; implicit-def: $vgpr7
                                        ; implicit-def: $vgpr19
                                        ; implicit-def: $vgpr17
	s_branch .LBB272_150
.LBB272_148:
	v_mov_b32_e32 v7, 0
	v_mov_b32_e32 v19, 0
	;; [unrolled: 1-line block ×3, first 2 shown]
.LBB272_149:
	s_cbranch_execnz .LBB272_152
.LBB272_150:
	s_load_dwordx4 s[4:7], s[16:17], 0x4
	s_load_dwordx4 s[8:11], s[16:17], 0xc4
	s_cmp_lt_u32 s33, 2
	s_waitcnt lgkmcnt(0)
	v_mul_hi_u32 v5, s5, v3
	v_add_u32_e32 v5, v3, v5
	v_lshrrev_b32_e32 v5, s6, v5
	v_mul_lo_u32 v7, v5, s4
	v_sub_u32_e32 v3, v3, v7
	v_mul_lo_u32 v7, v3, s8
	v_mul_lo_u32 v19, v3, s9
	;; [unrolled: 1-line block ×3, first 2 shown]
	s_cbranch_scc1 .LBB272_152
; %bb.151:
	s_load_dwordx4 s[4:7], s[16:17], 0x10
	s_load_dwordx4 s[8:11], s[16:17], 0xd0
	s_waitcnt lgkmcnt(0)
	v_mul_hi_u32 v3, s5, v5
	v_add_u32_e32 v3, v5, v3
	v_lshrrev_b32_e32 v3, s6, v3
	v_mul_lo_u32 v3, v3, s4
	v_sub_u32_e32 v3, v5, v3
	v_mad_u64_u32 v[7:8], s[2:3], v3, s8, v[7:8]
	v_mad_u64_u32 v[19:20], s[2:3], v3, s9, v[19:20]
	;; [unrolled: 1-line block ×3, first 2 shown]
.LBB272_152:
	s_and_b64 vcc, exec, s[0:1]
	v_add_u32_e32 v3, 0x200, v26
	s_cbranch_vccnz .LBB272_158
; %bb.153:
	s_cmp_lg_u32 s33, 0
	s_cbranch_scc0 .LBB272_159
; %bb.154:
	s_min_u32 s4, s36, 15
	s_add_i32 s2, s4, 1
	s_and_b32 s5, s2, 30
	s_add_u32 s2, s16, 0xffffffe8
	s_addc_u32 s3, s17, -1
	v_mov_b32_e32 v22, 0
	v_mov_b32_e32 v24, 0
	v_mov_b32_e32 v15, 0
	v_mov_b32_e32 v5, v3
.LBB272_155:                            ; =>This Inner Loop Header: Depth=1
	s_load_dwordx4 s[8:11], s[2:3], 0x1c
	s_load_dwordx2 s[6:7], s[2:3], 0x2c
	s_load_dwordx2 s[18:19], s[2:3], 0xec
	s_load_dwordx4 s[12:15], s[2:3], 0xdc
	s_add_u32 s2, s2, 24
	s_waitcnt lgkmcnt(0)
	v_mul_hi_u32 v8, s9, v5
	s_addc_u32 s3, s3, 0
	s_add_i32 s5, s5, -2
	s_cmp_lg_u32 s5, 0
	v_add_u32_e32 v8, v5, v8
	v_lshrrev_b32_e32 v8, s10, v8
	v_mul_lo_u32 v10, v8, s8
	v_mul_hi_u32 v13, s6, v8
	v_sub_u32_e32 v10, v5, v10
	v_add_u32_e32 v5, v8, v13
	v_lshrrev_b32_e32 v5, s7, v5
	v_mul_lo_u32 v18, v5, s11
	v_mul_lo_u32 v13, v10, s12
	;; [unrolled: 1-line block ×4, first 2 shown]
	v_sub_u32_e32 v8, v8, v18
	v_mul_lo_u32 v18, v8, s15
	v_mul_lo_u32 v20, v8, s18
	v_mul_lo_u32 v8, v8, s19
	v_add3_u32 v15, v13, v15, v18
	v_add3_u32 v24, v16, v24, v20
	;; [unrolled: 1-line block ×3, first 2 shown]
	s_cbranch_scc1 .LBB272_155
; %bb.156:
	s_bitcmp1_b32 s4, 0
	s_cselect_b64 s[4:5], -1, 0
	s_and_b64 vcc, exec, s[4:5]
	s_cbranch_vccnz .LBB272_160
; %bb.157:
	s_load_dwordx2 s[4:5], s[2:3], 0x1c
	s_load_dword s8, s[2:3], 0x24
	s_load_dwordx2 s[6:7], s[2:3], 0xdc
	s_waitcnt lgkmcnt(0)
	v_mul_hi_u32 v8, s5, v5
	v_add_u32_e32 v8, v5, v8
	v_lshrrev_b32_e32 v8, s8, v8
	v_mul_lo_u32 v8, v8, s4
	s_load_dword s4, s[2:3], 0xe4
	v_sub_u32_e32 v5, v5, v8
	v_mad_u64_u32 v[15:16], s[2:3], v5, s6, v[15:16]
	v_mad_u64_u32 v[24:25], s[2:3], v5, s7, v[24:25]
	s_waitcnt lgkmcnt(0)
	v_mad_u64_u32 v[22:23], s[2:3], v5, s4, v[22:23]
	s_cbranch_execz .LBB272_161
	s_branch .LBB272_163
.LBB272_158:
                                        ; implicit-def: $vgpr15
                                        ; implicit-def: $vgpr24
                                        ; implicit-def: $vgpr22
	s_branch .LBB272_161
.LBB272_159:
	v_mov_b32_e32 v15, 0
	v_mov_b32_e32 v24, 0
	;; [unrolled: 1-line block ×3, first 2 shown]
.LBB272_160:
	s_cbranch_execnz .LBB272_163
.LBB272_161:
	s_load_dwordx4 s[4:7], s[16:17], 0x4
	s_load_dwordx4 s[8:11], s[16:17], 0xc4
	s_cmp_lt_u32 s33, 2
	s_waitcnt lgkmcnt(0)
	v_mul_hi_u32 v5, s5, v3
	v_add_u32_e32 v5, v3, v5
	v_lshrrev_b32_e32 v5, s6, v5
	v_mul_lo_u32 v8, v5, s4
	v_sub_u32_e32 v3, v3, v8
	v_mul_lo_u32 v15, v3, s8
	v_mul_lo_u32 v24, v3, s9
	v_mul_lo_u32 v22, v3, s10
	s_cbranch_scc1 .LBB272_163
; %bb.162:
	s_load_dwordx4 s[4:7], s[16:17], 0x10
	s_load_dwordx4 s[8:11], s[16:17], 0xd0
	s_waitcnt lgkmcnt(0)
	v_mul_hi_u32 v3, s5, v5
	v_add_u32_e32 v3, v5, v3
	v_lshrrev_b32_e32 v3, s6, v3
	v_mul_lo_u32 v3, v3, s4
	v_sub_u32_e32 v3, v5, v3
	v_mad_u64_u32 v[15:16], s[2:3], v3, s8, v[15:16]
	v_mad_u64_u32 v[24:25], s[2:3], v3, s9, v[24:25]
	;; [unrolled: 1-line block ×3, first 2 shown]
.LBB272_163:
	s_and_b64 vcc, exec, s[0:1]
	v_add_u32_e32 v3, 0x280, v26
	s_cbranch_vccnz .LBB272_169
; %bb.164:
	s_cmp_lg_u32 s33, 0
	s_cbranch_scc0 .LBB272_170
; %bb.165:
	s_min_u32 s4, s36, 15
	s_add_i32 s2, s4, 1
	s_and_b32 s5, s2, 30
	s_add_u32 s2, s16, 0xffffffe8
	s_addc_u32 s3, s17, -1
	v_mov_b32_e32 v27, 0
	v_mov_b32_e32 v29, 0
	;; [unrolled: 1-line block ×4, first 2 shown]
.LBB272_166:                            ; =>This Inner Loop Header: Depth=1
	s_load_dwordx4 s[8:11], s[2:3], 0x1c
	s_load_dwordx2 s[6:7], s[2:3], 0x2c
	s_load_dwordx2 s[18:19], s[2:3], 0xec
	s_load_dwordx4 s[12:15], s[2:3], 0xdc
	s_add_u32 s2, s2, 24
	s_waitcnt lgkmcnt(0)
	v_mul_hi_u32 v8, s9, v5
	s_addc_u32 s3, s3, 0
	s_add_i32 s5, s5, -2
	s_cmp_lg_u32 s5, 0
	v_add_u32_e32 v8, v5, v8
	v_lshrrev_b32_e32 v8, s10, v8
	v_mul_lo_u32 v10, v8, s8
	v_mul_hi_u32 v13, s6, v8
	v_sub_u32_e32 v10, v5, v10
	v_add_u32_e32 v5, v8, v13
	v_lshrrev_b32_e32 v5, s7, v5
	v_mul_lo_u32 v18, v5, s11
	v_mul_lo_u32 v13, v10, s12
	v_mul_lo_u32 v16, v10, s13
	v_mul_lo_u32 v10, v10, s14
	v_sub_u32_e32 v8, v8, v18
	v_mul_lo_u32 v18, v8, s15
	v_mul_lo_u32 v21, v8, s18
	;; [unrolled: 1-line block ×3, first 2 shown]
	v_add3_u32 v20, v13, v20, v18
	v_add3_u32 v29, v16, v29, v21
	;; [unrolled: 1-line block ×3, first 2 shown]
	s_cbranch_scc1 .LBB272_166
; %bb.167:
	s_bitcmp1_b32 s4, 0
	s_cselect_b64 s[4:5], -1, 0
	s_and_b64 vcc, exec, s[4:5]
	s_cbranch_vccnz .LBB272_171
; %bb.168:
	s_load_dwordx2 s[4:5], s[2:3], 0x1c
	s_load_dword s8, s[2:3], 0x24
	s_load_dwordx2 s[6:7], s[2:3], 0xdc
	s_waitcnt lgkmcnt(0)
	v_mul_hi_u32 v8, s5, v5
	v_add_u32_e32 v8, v5, v8
	v_lshrrev_b32_e32 v8, s8, v8
	v_mul_lo_u32 v8, v8, s4
	s_load_dword s4, s[2:3], 0xe4
	v_sub_u32_e32 v5, v5, v8
	v_mad_u64_u32 v[20:21], s[2:3], v5, s6, v[20:21]
	v_mad_u64_u32 v[29:30], s[2:3], v5, s7, v[29:30]
	s_waitcnt lgkmcnt(0)
	v_mad_u64_u32 v[27:28], s[2:3], v5, s4, v[27:28]
	s_cbranch_execz .LBB272_172
	s_branch .LBB272_174
.LBB272_169:
                                        ; implicit-def: $vgpr20
                                        ; implicit-def: $vgpr29
                                        ; implicit-def: $vgpr27
	s_branch .LBB272_172
.LBB272_170:
	v_mov_b32_e32 v20, 0
	v_mov_b32_e32 v29, 0
	;; [unrolled: 1-line block ×3, first 2 shown]
.LBB272_171:
	s_cbranch_execnz .LBB272_174
.LBB272_172:
	s_load_dwordx4 s[4:7], s[16:17], 0x4
	s_load_dwordx4 s[8:11], s[16:17], 0xc4
	s_cmp_lt_u32 s33, 2
	s_waitcnt lgkmcnt(0)
	v_mul_hi_u32 v5, s5, v3
	v_add_u32_e32 v5, v3, v5
	v_lshrrev_b32_e32 v5, s6, v5
	v_mul_lo_u32 v8, v5, s4
	v_sub_u32_e32 v3, v3, v8
	v_mul_lo_u32 v20, v3, s8
	v_mul_lo_u32 v29, v3, s9
	v_mul_lo_u32 v27, v3, s10
	s_cbranch_scc1 .LBB272_174
; %bb.173:
	s_load_dwordx4 s[4:7], s[16:17], 0x10
	s_load_dwordx4 s[8:11], s[16:17], 0xd0
	s_waitcnt lgkmcnt(0)
	v_mul_hi_u32 v3, s5, v5
	v_add_u32_e32 v3, v5, v3
	v_lshrrev_b32_e32 v3, s6, v3
	v_mul_lo_u32 v3, v3, s4
	v_sub_u32_e32 v3, v5, v3
	v_mad_u64_u32 v[20:21], s[2:3], v3, s8, v[20:21]
	v_mad_u64_u32 v[29:30], s[2:3], v3, s9, v[29:30]
	;; [unrolled: 1-line block ×3, first 2 shown]
.LBB272_174:
	s_and_b64 vcc, exec, s[0:1]
	v_add_u32_e32 v3, 0x300, v26
	s_cbranch_vccnz .LBB272_180
; %bb.175:
	s_cmp_lg_u32 s33, 0
	s_cbranch_scc0 .LBB272_181
; %bb.176:
	s_min_u32 s4, s36, 15
	s_add_i32 s2, s4, 1
	s_and_b32 s5, s2, 30
	s_add_u32 s2, s16, 0xffffffe8
	s_addc_u32 s3, s17, -1
	v_mov_b32_e32 v30, 0
	v_mov_b32_e32 v32, 0
	;; [unrolled: 1-line block ×4, first 2 shown]
.LBB272_177:                            ; =>This Inner Loop Header: Depth=1
	s_load_dwordx4 s[8:11], s[2:3], 0x1c
	s_load_dwordx2 s[6:7], s[2:3], 0x2c
	s_load_dwordx2 s[18:19], s[2:3], 0xec
	s_load_dwordx4 s[12:15], s[2:3], 0xdc
	s_add_u32 s2, s2, 24
	s_waitcnt lgkmcnt(0)
	v_mul_hi_u32 v8, s9, v5
	s_addc_u32 s3, s3, 0
	s_add_i32 s5, s5, -2
	s_cmp_lg_u32 s5, 0
	v_add_u32_e32 v8, v5, v8
	v_lshrrev_b32_e32 v8, s10, v8
	v_mul_lo_u32 v10, v8, s8
	v_mul_hi_u32 v13, s6, v8
	v_sub_u32_e32 v10, v5, v10
	v_add_u32_e32 v5, v8, v13
	v_lshrrev_b32_e32 v5, s7, v5
	v_mul_lo_u32 v18, v5, s11
	v_mul_lo_u32 v13, v10, s12
	;; [unrolled: 1-line block ×4, first 2 shown]
	v_sub_u32_e32 v8, v8, v18
	v_mul_lo_u32 v18, v8, s15
	v_mul_lo_u32 v21, v8, s18
	;; [unrolled: 1-line block ×3, first 2 shown]
	v_add3_u32 v25, v13, v25, v18
	v_add3_u32 v32, v16, v32, v21
	;; [unrolled: 1-line block ×3, first 2 shown]
	s_cbranch_scc1 .LBB272_177
; %bb.178:
	s_bitcmp1_b32 s4, 0
	s_cselect_b64 s[4:5], -1, 0
	s_and_b64 vcc, exec, s[4:5]
	s_cbranch_vccnz .LBB272_182
; %bb.179:
	s_load_dwordx2 s[4:5], s[2:3], 0x1c
	s_load_dword s8, s[2:3], 0x24
	s_load_dwordx2 s[6:7], s[2:3], 0xdc
	s_waitcnt lgkmcnt(0)
	v_mul_hi_u32 v8, s5, v5
	v_add_u32_e32 v8, v5, v8
	v_lshrrev_b32_e32 v8, s8, v8
	v_mul_lo_u32 v8, v8, s4
	s_load_dword s4, s[2:3], 0xe4
	v_sub_u32_e32 v5, v5, v8
	v_mad_u64_u32 v[25:26], s[2:3], v5, s6, v[25:26]
	v_mad_u64_u32 v[32:33], s[2:3], v5, s7, v[32:33]
	s_waitcnt lgkmcnt(0)
	v_mad_u64_u32 v[30:31], s[2:3], v5, s4, v[30:31]
	s_cbranch_execz .LBB272_183
	s_branch .LBB272_185
.LBB272_180:
                                        ; implicit-def: $vgpr25
                                        ; implicit-def: $vgpr32
                                        ; implicit-def: $vgpr30
	s_branch .LBB272_183
.LBB272_181:
	v_mov_b32_e32 v25, 0
	v_mov_b32_e32 v32, 0
	;; [unrolled: 1-line block ×3, first 2 shown]
.LBB272_182:
	s_cbranch_execnz .LBB272_185
.LBB272_183:
	s_load_dwordx4 s[4:7], s[16:17], 0x4
	s_load_dwordx4 s[8:11], s[16:17], 0xc4
	s_cmp_lt_u32 s33, 2
	s_waitcnt lgkmcnt(0)
	v_mul_hi_u32 v5, s5, v3
	v_add_u32_e32 v5, v3, v5
	v_lshrrev_b32_e32 v5, s6, v5
	v_mul_lo_u32 v8, v5, s4
	v_sub_u32_e32 v3, v3, v8
	v_mul_lo_u32 v25, v3, s8
	v_mul_lo_u32 v32, v3, s9
	;; [unrolled: 1-line block ×3, first 2 shown]
	s_cbranch_scc1 .LBB272_185
; %bb.184:
	s_load_dwordx4 s[4:7], s[16:17], 0x10
	s_load_dwordx4 s[8:11], s[16:17], 0xd0
	s_waitcnt lgkmcnt(0)
	v_mul_hi_u32 v3, s5, v5
	v_add_u32_e32 v3, v5, v3
	v_lshrrev_b32_e32 v3, s6, v3
	v_mul_lo_u32 v3, v3, s4
	v_sub_u32_e32 v3, v5, v3
	v_mad_u64_u32 v[25:26], s[2:3], v3, s8, v[25:26]
	v_mad_u64_u32 v[32:33], s[2:3], v3, s9, v[32:33]
	;; [unrolled: 1-line block ×3, first 2 shown]
.LBB272_185:
	s_and_b64 vcc, exec, s[0:1]
	s_cbranch_vccnz .LBB272_191
; %bb.186:
	s_cmp_lg_u32 s33, 0
	s_cbranch_scc0 .LBB272_192
; %bb.187:
	s_min_u32 s2, s36, 15
	s_add_i32 s0, s2, 1
	s_and_b32 s3, s0, 30
	s_add_u32 s0, s16, 0xffffffe8
	s_addc_u32 s1, s17, -1
	v_mov_b32_e32 v35, 0
	v_mov_b32_e32 v37, 0
	;; [unrolled: 1-line block ×4, first 2 shown]
.LBB272_188:                            ; =>This Inner Loop Header: Depth=1
	s_load_dwordx4 s[4:7], s[0:1], 0x1c
	s_load_dwordx2 s[12:13], s[0:1], 0x2c
	s_load_dwordx2 s[14:15], s[0:1], 0xec
	s_load_dwordx4 s[8:11], s[0:1], 0xdc
	s_add_u32 s0, s0, 24
	s_waitcnt lgkmcnt(0)
	v_mul_hi_u32 v5, s5, v3
	s_addc_u32 s1, s1, 0
	s_add_i32 s3, s3, -2
	s_cmp_lg_u32 s3, 0
	v_add_u32_e32 v5, v3, v5
	v_lshrrev_b32_e32 v5, s6, v5
	v_mul_lo_u32 v8, v5, s4
	v_mul_hi_u32 v10, s12, v5
	v_sub_u32_e32 v8, v3, v8
	v_add_u32_e32 v3, v5, v10
	v_lshrrev_b32_e32 v3, s13, v3
	v_mul_lo_u32 v16, v3, s7
	v_mul_lo_u32 v10, v8, s8
	;; [unrolled: 1-line block ×4, first 2 shown]
	v_sub_u32_e32 v5, v5, v16
	v_mul_lo_u32 v16, v5, s11
	v_mul_lo_u32 v18, v5, s14
	;; [unrolled: 1-line block ×3, first 2 shown]
	v_add3_u32 v33, v10, v33, v16
	v_add3_u32 v37, v13, v37, v18
	;; [unrolled: 1-line block ×3, first 2 shown]
	s_cbranch_scc1 .LBB272_188
; %bb.189:
	s_bitcmp1_b32 s2, 0
	s_cselect_b64 s[2:3], -1, 0
	s_and_b64 vcc, exec, s[2:3]
	s_cbranch_vccnz .LBB272_193
; %bb.190:
	s_load_dwordx2 s[2:3], s[0:1], 0x1c
	s_load_dword s6, s[0:1], 0x24
	s_load_dwordx2 s[4:5], s[0:1], 0xdc
	s_waitcnt lgkmcnt(0)
	v_mul_hi_u32 v5, s3, v3
	v_add_u32_e32 v5, v3, v5
	v_lshrrev_b32_e32 v5, s6, v5
	v_mul_lo_u32 v5, v5, s2
	s_load_dword s2, s[0:1], 0xe4
	v_sub_u32_e32 v3, v3, v5
	v_mad_u64_u32 v[33:34], s[0:1], v3, s4, v[33:34]
	v_mad_u64_u32 v[37:38], s[0:1], v3, s5, v[37:38]
	s_waitcnt lgkmcnt(0)
	v_mad_u64_u32 v[35:36], s[0:1], v3, s2, v[35:36]
	s_cbranch_execz .LBB272_194
	s_branch .LBB272_196
.LBB272_191:
                                        ; implicit-def: $vgpr33
                                        ; implicit-def: $vgpr37
                                        ; implicit-def: $vgpr35
	s_branch .LBB272_194
.LBB272_192:
	v_mov_b32_e32 v33, 0
	v_mov_b32_e32 v37, 0
	;; [unrolled: 1-line block ×3, first 2 shown]
.LBB272_193:
	s_cbranch_execnz .LBB272_196
.LBB272_194:
	s_load_dwordx4 s[0:3], s[16:17], 0x4
	s_load_dwordx4 s[4:7], s[16:17], 0xc4
	s_cmp_lt_u32 s33, 2
	s_waitcnt lgkmcnt(0)
	v_mul_hi_u32 v3, s1, v39
	v_add_u32_e32 v3, v39, v3
	v_lshrrev_b32_e32 v3, s2, v3
	v_mul_lo_u32 v5, v3, s0
	v_sub_u32_e32 v5, v39, v5
	v_mul_lo_u32 v33, v5, s4
	v_mul_lo_u32 v37, v5, s5
	;; [unrolled: 1-line block ×3, first 2 shown]
	s_cbranch_scc1 .LBB272_196
; %bb.195:
	s_load_dwordx4 s[0:3], s[16:17], 0x10
	s_load_dwordx4 s[4:7], s[16:17], 0xd0
	s_waitcnt lgkmcnt(0)
	v_mul_hi_u32 v5, s1, v3
	v_add_u32_e32 v5, v3, v5
	v_lshrrev_b32_e32 v5, s2, v5
	v_mul_lo_u32 v5, v5, s0
	v_sub_u32_e32 v3, v3, v5
	v_mad_u64_u32 v[33:34], s[0:1], v3, s4, v[33:34]
	v_mad_u64_u32 v[37:38], s[0:1], v3, s5, v[37:38]
	;; [unrolled: 1-line block ×3, first 2 shown]
.LBB272_196:
	s_load_dwordx4 s[12:15], s[16:17], 0x188
	s_load_dwordx2 s[10:11], s[16:17], 0x198
	s_mov_b32 s18, 0x7f800000
	s_brev_b32 s19, 1
	s_load_dword s16, s[16:17], 0x1a0
	s_waitcnt lgkmcnt(0)
	global_load_ubyte v3, v6, s[14:15]
	global_load_ubyte v5, v4, s[10:11]
	s_cmp_eq_u32 s16, 0
	s_waitcnt vmcnt(1)
	v_lshlrev_b32_e32 v3, 24, v3
	v_and_b32_e32 v4, 0x7f000000, v3
	v_ffbh_u32_e32 v6, v4
	v_min_u32_e32 v6, 32, v6
	v_sub_u32_e64 v6, v6, 4 clamp
	v_lshlrev_b32_e32 v8, v6, v4
	v_lshlrev_b32_e32 v6, 23, v6
	v_lshrrev_b32_e32 v8, 4, v8
	s_waitcnt vmcnt(0)
	v_lshlrev_b32_e32 v5, 24, v5
	v_sub_u32_e32 v6, v8, v6
	v_and_b32_e32 v8, 0x7f000000, v5
	v_ffbh_u32_e32 v10, v8
	v_min_u32_e32 v10, 32, v10
	v_sub_u32_e64 v10, v10, 4 clamp
	v_lshlrev_b32_e32 v13, v10, v8
	v_lshlrev_b32_e32 v10, 23, v10
	v_lshrrev_b32_e32 v13, 4, v13
	v_sub_u32_e32 v10, v13, v10
	v_add_u32_e32 v13, 0x1000000, v4
	v_ashrrev_i32_e32 v13, 8, v13
	v_add_u32_e32 v6, 0x3c000000, v6
	v_cmp_ne_u32_e32 vcc, 0, v4
	v_add_u32_e32 v4, 0x1000000, v8
	v_and_or_b32 v6, v13, s18, v6
	v_ashrrev_i32_e32 v4, 8, v4
	v_add_u32_e32 v10, 0x3c000000, v10
	v_and_or_b32 v4, v4, s18, v10
	v_cndmask_b32_e32 v6, 0, v6, vcc
	v_cmp_ne_u32_e32 vcc, 0, v8
	v_cndmask_b32_e32 v4, 0, v4, vcc
	v_and_or_b32 v3, v3, s19, v6
	v_and_or_b32 v4, v5, s19, v4
	v_cmp_eq_f32_e32 vcc, v3, v4
	v_cmp_neq_f32_e64 s[0:1], v3, v4
	global_load_ubyte v3, v11, s[14:15]
	global_load_ubyte v4, v9, s[10:11]
	s_waitcnt vmcnt(1)
	v_lshlrev_b32_e32 v3, 24, v3
	v_and_b32_e32 v5, 0x7f000000, v3
	v_ffbh_u32_e32 v6, v5
	v_min_u32_e32 v6, 32, v6
	v_sub_u32_e64 v6, v6, 4 clamp
	v_lshlrev_b32_e32 v8, v6, v5
	v_lshlrev_b32_e32 v6, 23, v6
	v_lshrrev_b32_e32 v8, 4, v8
	s_waitcnt vmcnt(0)
	v_lshlrev_b32_e32 v4, 24, v4
	v_sub_u32_e32 v6, v8, v6
	v_and_b32_e32 v8, 0x7f000000, v4
	v_ffbh_u32_e32 v9, v8
	v_min_u32_e32 v9, 32, v9
	v_sub_u32_e64 v9, v9, 4 clamp
	v_lshlrev_b32_e32 v10, v9, v8
	v_lshlrev_b32_e32 v9, 23, v9
	v_lshrrev_b32_e32 v10, 4, v10
	v_sub_u32_e32 v9, v10, v9
	v_add_u32_e32 v10, 0x1000000, v5
	v_ashrrev_i32_e32 v10, 8, v10
	v_add_u32_e32 v6, 0x3c000000, v6
	v_and_or_b32 v6, v10, s18, v6
	v_add_u32_e32 v10, 0x1000000, v8
	v_ashrrev_i32_e32 v10, 8, v10
	v_add_u32_e32 v9, 0x3c000000, v9
	v_cmp_ne_u32_e64 s[2:3], 0, v5
	v_and_or_b32 v9, v10, s18, v9
	v_cndmask_b32_e64 v5, 0, v6, s[2:3]
	v_cmp_ne_u32_e64 s[2:3], 0, v8
	v_and_or_b32 v3, v3, s19, v5
	v_cndmask_b32_e64 v5, 0, v9, s[2:3]
	v_and_or_b32 v4, v4, s19, v5
	v_cmp_eq_f32_e64 s[2:3], v3, v4
	v_cmp_neq_f32_e64 s[4:5], v3, v4
	global_load_ubyte v3, v19, s[14:15]
	global_load_ubyte v4, v17, s[10:11]
	s_waitcnt vmcnt(1)
	v_lshlrev_b32_e32 v3, 24, v3
	v_and_b32_e32 v5, 0x7f000000, v3
	v_ffbh_u32_e32 v6, v5
	v_min_u32_e32 v6, 32, v6
	v_sub_u32_e64 v6, v6, 4 clamp
	v_lshlrev_b32_e32 v8, v6, v5
	v_lshlrev_b32_e32 v6, 23, v6
	v_lshrrev_b32_e32 v8, 4, v8
	v_sub_u32_e32 v6, v8, v6
	v_add_u32_e32 v8, 0x1000000, v5
	v_ashrrev_i32_e32 v8, 8, v8
	v_add_u32_e32 v6, 0x3c000000, v6
	v_and_or_b32 v6, v8, s18, v6
	v_cmp_ne_u32_e64 s[6:7], 0, v5
	v_cndmask_b32_e64 v5, 0, v6, s[6:7]
	s_waitcnt vmcnt(0)
	v_lshlrev_b32_e32 v4, 24, v4
	v_and_or_b32 v3, v3, s19, v5
	v_and_b32_e32 v5, 0x7f000000, v4
	v_ffbh_u32_e32 v6, v5
	v_min_u32_e32 v6, 32, v6
	v_sub_u32_e64 v6, v6, 4 clamp
	v_lshlrev_b32_e32 v8, v6, v5
	v_lshrrev_b32_e32 v8, 4, v8
	v_lshlrev_b32_e32 v6, 23, v6
	v_sub_u32_e32 v6, v8, v6
	v_add_u32_e32 v8, 0x1000000, v5
	v_ashrrev_i32_e32 v8, 8, v8
	v_add_u32_e32 v6, 0x3c000000, v6
	v_and_or_b32 v6, v8, s18, v6
	v_cmp_ne_u32_e64 s[6:7], 0, v5
	v_cndmask_b32_e64 v5, 0, v6, s[6:7]
	v_and_or_b32 v4, v4, s19, v5
	global_load_ubyte v6, v14, s[14:15]
	global_load_ubyte v10, v12, s[10:11]
	;; [unrolled: 1-line block ×4, first 2 shown]
	v_cmp_eq_f32_e64 s[6:7], v3, v4
	v_cmp_neq_f32_e64 s[8:9], v3, v4
	v_cndmask_b32_e64 v3, 0, 1, vcc
	v_cndmask_b32_e64 v4, 0, 1, s[0:1]
	s_cselect_b64 vcc, -1, 0
	v_cndmask_b32_e32 v3, v4, v3, vcc
	v_cndmask_b32_e64 v4, 0, 1, s[2:3]
	v_cndmask_b32_e64 v8, 0, 1, s[4:5]
	v_cndmask_b32_e32 v4, v8, v4, vcc
	global_load_ubyte v8, v29, s[14:15]
	v_and_b32_e32 v3, 1, v3
	v_and_b32_e32 v4, 1, v4
	s_waitcnt vmcnt(4)
	v_lshlrev_b32_e32 v6, 24, v6
	v_and_b32_e32 v9, 0x7f000000, v6
	v_ffbh_u32_e32 v12, v9
	v_min_u32_e32 v12, 32, v12
	v_sub_u32_e64 v12, v12, 4 clamp
	v_lshlrev_b32_e32 v13, v12, v9
	v_lshrrev_b32_e32 v13, 4, v13
	v_lshlrev_b32_e32 v12, 23, v12
	v_sub_u32_e32 v12, v13, v12
	v_add_u32_e32 v13, 0x1000000, v9
	v_ashrrev_i32_e32 v13, 8, v13
	v_add_u32_e32 v12, 0x3c000000, v12
	v_and_or_b32 v12, v13, s18, v12
	v_cmp_ne_u32_e64 s[0:1], 0, v9
	s_waitcnt vmcnt(3)
	v_lshlrev_b32_e32 v10, 24, v10
	v_cndmask_b32_e64 v9, 0, v12, s[0:1]
	v_and_b32_e32 v12, 0x7f000000, v10
	v_and_or_b32 v6, v6, s19, v9
	global_load_ubyte v9, v27, s[10:11]
	v_ffbh_u32_e32 v13, v12
	v_min_u32_e32 v13, 32, v13
	v_sub_u32_e64 v13, v13, 4 clamp
	v_lshlrev_b32_e32 v14, v13, v12
	v_lshrrev_b32_e32 v14, 4, v14
	v_lshlrev_b32_e32 v13, 23, v13
	v_sub_u32_e32 v13, v14, v13
	v_add_u32_e32 v14, 0x1000000, v12
	v_ashrrev_i32_e32 v14, 8, v14
	v_add_u32_e32 v13, 0x3c000000, v13
	v_and_or_b32 v13, v14, s18, v13
	v_cmp_ne_u32_e64 s[0:1], 0, v12
	v_cndmask_b32_e64 v12, 0, v13, s[0:1]
	v_and_or_b32 v10, v10, s19, v12
	v_cmp_neq_f32_e64 s[0:1], v6, v10
	v_cmp_eq_f32_e64 s[2:3], v6, v10
	v_cndmask_b32_e64 v6, 0, 1, s[2:3]
	v_cndmask_b32_e64 v10, 0, 1, s[0:1]
	v_cndmask_b32_e32 v6, v10, v6, vcc
	v_cndmask_b32_e64 v10, 0, 1, s[6:7]
	v_cndmask_b32_e64 v12, 0, 1, s[8:9]
	v_cndmask_b32_e32 v10, v12, v10, vcc
	s_waitcnt vmcnt(3)
	v_lshlrev_b32_e32 v12, 24, v11
	global_load_ubyte v11, v32, s[14:15]
	v_and_b32_e32 v13, 0x7f000000, v12
	v_ffbh_u32_e32 v14, v13
	v_min_u32_e32 v14, 32, v14
	v_sub_u32_e64 v14, v14, 4 clamp
	v_lshlrev_b32_e32 v16, v14, v13
	v_lshrrev_b32_e32 v16, 4, v16
	v_lshlrev_b32_e32 v14, 23, v14
	v_sub_u32_e32 v14, v16, v14
	v_add_u32_e32 v16, 0x1000000, v13
	v_ashrrev_i32_e32 v16, 8, v16
	v_add_u32_e32 v14, 0x3c000000, v14
	v_and_or_b32 v14, v16, s18, v14
	v_cmp_ne_u32_e64 s[0:1], 0, v13
	v_cndmask_b32_e64 v13, 0, v14, s[0:1]
	v_and_or_b32 v12, v12, s19, v13
	s_waitcnt vmcnt(3)
	v_lshlrev_b32_e32 v13, 24, v5
	global_load_ubyte v16, v30, s[10:11]
	v_and_b32_e32 v14, 0x7f000000, v13
	v_ffbh_u32_e32 v5, v14
	v_min_u32_e32 v5, 32, v5
	v_sub_u32_e64 v5, v5, 4 clamp
	v_lshlrev_b32_e32 v17, v5, v14
	v_lshrrev_b32_e32 v17, 4, v17
	v_lshlrev_b32_e32 v5, 23, v5
	v_sub_u32_e32 v5, v17, v5
	v_add_u32_e32 v17, 0x1000000, v14
	v_ashrrev_i32_e32 v17, 8, v17
	v_add_u32_e32 v5, 0x3c000000, v5
	v_and_or_b32 v17, v17, s18, v5
	v_cmp_ne_u32_e64 s[0:1], 0, v14
	v_and_b32_e32 v5, 1, v6
	v_and_b32_e32 v6, 1, v10
	v_cndmask_b32_e64 v10, 0, v17, s[0:1]
	v_and_or_b32 v10, v13, s19, v10
	v_cmp_eq_f32_e64 s[0:1], v12, v10
	v_cndmask_b32_e64 v13, 0, 1, s[0:1]
	v_cmp_neq_f32_e64 s[0:1], v12, v10
	global_load_ubyte v12, v37, s[14:15]
	v_cndmask_b32_e64 v10, 0, 1, s[0:1]
	s_waitcnt vmcnt(4)
	v_lshlrev_b32_e32 v8, 24, v8
	v_cndmask_b32_e32 v10, v10, v13, vcc
	v_and_b32_e32 v13, 0x7f000000, v8
	v_ffbh_u32_e32 v14, v13
	v_min_u32_e32 v14, 32, v14
	v_sub_u32_e64 v14, v14, 4 clamp
	v_lshlrev_b32_e32 v18, v14, v13
	v_lshrrev_b32_e32 v18, 4, v18
	v_lshlrev_b32_e32 v14, 23, v14
	v_add_u32_e32 v17, 0x1000000, v13
	v_sub_u32_e32 v14, v18, v14
	v_ashrrev_i32_e32 v17, 8, v17
	v_add_u32_e32 v14, 0x3c000000, v14
	v_and_or_b32 v14, v17, s18, v14
	global_load_ubyte v17, v35, s[10:11]
	v_cmp_ne_u32_e64 s[0:1], 0, v13
	v_cndmask_b32_e64 v13, 0, v14, s[0:1]
	s_waitcnt vmcnt(4)
	v_lshlrev_b32_e32 v9, 24, v9
	v_and_or_b32 v8, v8, s19, v13
	v_and_b32_e32 v13, 0x7f000000, v9
	v_ffbh_u32_e32 v14, v13
	v_min_u32_e32 v14, 32, v14
	v_sub_u32_e64 v14, v14, 4 clamp
	v_lshlrev_b32_e32 v19, v14, v13
	v_lshrrev_b32_e32 v19, 4, v19
	v_lshlrev_b32_e32 v14, 23, v14
	v_add_u32_e32 v18, 0x1000000, v13
	v_sub_u32_e32 v14, v19, v14
	v_ashrrev_i32_e32 v18, 8, v18
	v_add_u32_e32 v14, 0x3c000000, v14
	v_and_or_b32 v14, v18, s18, v14
	v_cmp_ne_u32_e64 s[0:1], 0, v13
	v_cndmask_b32_e64 v13, 0, v14, s[0:1]
	v_and_or_b32 v9, v9, s19, v13
	v_cmp_eq_f32_e64 s[0:1], v8, v9
	v_cndmask_b32_e64 v13, 0, 1, s[0:1]
	v_cmp_neq_f32_e64 s[0:1], v8, v9
	v_cndmask_b32_e64 v8, 0, 1, s[0:1]
	v_cndmask_b32_e32 v8, v8, v13, vcc
	v_and_b32_e32 v10, 1, v10
	s_waitcnt vmcnt(3)
	v_lshlrev_b32_e32 v9, 24, v11
	v_and_b32_e32 v11, 0x7f000000, v9
	v_ffbh_u32_e32 v13, v11
	v_min_u32_e32 v13, 32, v13
	v_sub_u32_e64 v13, v13, 4 clamp
	v_lshlrev_b32_e32 v18, v13, v11
	v_lshrrev_b32_e32 v18, 4, v18
	v_lshlrev_b32_e32 v13, 23, v13
	v_add_u32_e32 v14, 0x1000000, v11
	v_sub_u32_e32 v13, v18, v13
	v_ashrrev_i32_e32 v14, 8, v14
	v_add_u32_e32 v13, 0x3c000000, v13
	v_and_or_b32 v13, v14, s18, v13
	v_cmp_ne_u32_e64 s[0:1], 0, v11
	v_cndmask_b32_e64 v11, 0, v13, s[0:1]
	v_and_or_b32 v9, v9, s19, v11
	v_and_b32_e32 v8, 1, v8
	s_waitcnt vmcnt(2)
	v_lshlrev_b32_e32 v11, 24, v16
	v_and_b32_e32 v13, 0x7f000000, v11
	v_ffbh_u32_e32 v14, v13
	v_min_u32_e32 v14, 32, v14
	v_sub_u32_e64 v14, v14, 4 clamp
	v_lshlrev_b32_e32 v18, v14, v13
	v_lshrrev_b32_e32 v18, 4, v18
	v_lshlrev_b32_e32 v14, 23, v14
	v_add_u32_e32 v16, 0x1000000, v13
	v_sub_u32_e32 v14, v18, v14
	v_ashrrev_i32_e32 v16, 8, v16
	v_add_u32_e32 v14, 0x3c000000, v14
	v_and_or_b32 v14, v16, s18, v14
	v_cmp_ne_u32_e64 s[0:1], 0, v13
	v_cndmask_b32_e64 v13, 0, v14, s[0:1]
	v_and_or_b32 v11, v11, s19, v13
	v_cmp_eq_f32_e64 s[0:1], v9, v11
	v_cndmask_b32_e64 v13, 0, 1, s[0:1]
	v_cmp_neq_f32_e64 s[0:1], v9, v11
	v_cndmask_b32_e64 v9, 0, 1, s[0:1]
	v_cndmask_b32_e32 v9, v9, v13, vcc
	s_waitcnt vmcnt(1)
	v_lshlrev_b32_e32 v11, 24, v12
	v_and_b32_e32 v12, 0x7f000000, v11
	v_ffbh_u32_e32 v13, v12
	v_min_u32_e32 v13, 32, v13
	v_sub_u32_e64 v13, v13, 4 clamp
	v_lshlrev_b32_e32 v16, v13, v12
	v_lshrrev_b32_e32 v16, 4, v16
	v_lshlrev_b32_e32 v13, 23, v13
	v_add_u32_e32 v14, 0x1000000, v12
	v_sub_u32_e32 v13, v16, v13
	v_ashrrev_i32_e32 v14, 8, v14
	v_add_u32_e32 v13, 0x3c000000, v13
	v_and_or_b32 v13, v14, s18, v13
	v_cmp_ne_u32_e64 s[0:1], 0, v12
	v_cndmask_b32_e64 v12, 0, v13, s[0:1]
	v_and_or_b32 v11, v11, s19, v12
	s_waitcnt vmcnt(0)
	v_lshlrev_b32_e32 v12, 24, v17
	v_and_b32_e32 v13, 0x7f000000, v12
	v_ffbh_u32_e32 v14, v13
	v_min_u32_e32 v14, 32, v14
	v_sub_u32_e64 v14, v14, 4 clamp
	v_lshlrev_b32_e32 v17, v14, v13
	v_lshrrev_b32_e32 v17, 4, v17
	v_lshlrev_b32_e32 v14, 23, v14
	v_add_u32_e32 v16, 0x1000000, v13
	v_sub_u32_e32 v14, v17, v14
	v_ashrrev_i32_e32 v16, 8, v16
	v_add_u32_e32 v14, 0x3c000000, v14
	v_and_or_b32 v14, v16, s18, v14
	v_cmp_ne_u32_e64 s[0:1], 0, v13
	v_cndmask_b32_e64 v13, 0, v14, s[0:1]
	v_and_or_b32 v12, v12, s19, v13
	v_cmp_eq_f32_e64 s[0:1], v11, v12
	v_cndmask_b32_e64 v13, 0, 1, s[0:1]
	v_cmp_neq_f32_e64 s[0:1], v11, v12
	v_cndmask_b32_e64 v11, 0, 1, s[0:1]
	v_cndmask_b32_e32 v11, v11, v13, vcc
	v_and_b32_e32 v9, 1, v9
	v_and_b32_e32 v11, 1, v11
	global_store_byte v0, v3, s[12:13]
	global_store_byte v1, v4, s[12:13]
	;; [unrolled: 1-line block ×8, first 2 shown]
	s_endpgm
	.section	.rodata,"a",@progbits
	.p2align	6, 0x0
	.amdhsa_kernel _ZN2at6native32elementwise_kernel_manual_unrollILi128ELi8EZNS0_22gpu_kernel_impl_nocastINS0_13BinaryFunctorIN3c1013Float8_e4m3fnES5_bNS0_12_GLOBAL__N_116CompareEqFunctorIS5_EEEEEEvRNS_18TensorIteratorBaseERKT_EUlibE_EEviT1_
		.amdhsa_group_segment_fixed_size 0
		.amdhsa_private_segment_fixed_size 0
		.amdhsa_kernarg_size 432
		.amdhsa_user_sgpr_count 6
		.amdhsa_user_sgpr_private_segment_buffer 1
		.amdhsa_user_sgpr_dispatch_ptr 0
		.amdhsa_user_sgpr_queue_ptr 0
		.amdhsa_user_sgpr_kernarg_segment_ptr 1
		.amdhsa_user_sgpr_dispatch_id 0
		.amdhsa_user_sgpr_flat_scratch_init 0
		.amdhsa_user_sgpr_private_segment_size 0
		.amdhsa_uses_dynamic_stack 0
		.amdhsa_system_sgpr_private_segment_wavefront_offset 0
		.amdhsa_system_sgpr_workgroup_id_x 1
		.amdhsa_system_sgpr_workgroup_id_y 0
		.amdhsa_system_sgpr_workgroup_id_z 0
		.amdhsa_system_sgpr_workgroup_info 0
		.amdhsa_system_vgpr_workitem_id 0
		.amdhsa_next_free_vgpr 40
		.amdhsa_next_free_sgpr 52
		.amdhsa_reserve_vcc 1
		.amdhsa_reserve_flat_scratch 0
		.amdhsa_float_round_mode_32 0
		.amdhsa_float_round_mode_16_64 0
		.amdhsa_float_denorm_mode_32 3
		.amdhsa_float_denorm_mode_16_64 3
		.amdhsa_dx10_clamp 1
		.amdhsa_ieee_mode 1
		.amdhsa_fp16_overflow 0
		.amdhsa_exception_fp_ieee_invalid_op 0
		.amdhsa_exception_fp_denorm_src 0
		.amdhsa_exception_fp_ieee_div_zero 0
		.amdhsa_exception_fp_ieee_overflow 0
		.amdhsa_exception_fp_ieee_underflow 0
		.amdhsa_exception_fp_ieee_inexact 0
		.amdhsa_exception_int_div_zero 0
	.end_amdhsa_kernel
	.section	.text._ZN2at6native32elementwise_kernel_manual_unrollILi128ELi8EZNS0_22gpu_kernel_impl_nocastINS0_13BinaryFunctorIN3c1013Float8_e4m3fnES5_bNS0_12_GLOBAL__N_116CompareEqFunctorIS5_EEEEEEvRNS_18TensorIteratorBaseERKT_EUlibE_EEviT1_,"axG",@progbits,_ZN2at6native32elementwise_kernel_manual_unrollILi128ELi8EZNS0_22gpu_kernel_impl_nocastINS0_13BinaryFunctorIN3c1013Float8_e4m3fnES5_bNS0_12_GLOBAL__N_116CompareEqFunctorIS5_EEEEEEvRNS_18TensorIteratorBaseERKT_EUlibE_EEviT1_,comdat
.Lfunc_end272:
	.size	_ZN2at6native32elementwise_kernel_manual_unrollILi128ELi8EZNS0_22gpu_kernel_impl_nocastINS0_13BinaryFunctorIN3c1013Float8_e4m3fnES5_bNS0_12_GLOBAL__N_116CompareEqFunctorIS5_EEEEEEvRNS_18TensorIteratorBaseERKT_EUlibE_EEviT1_, .Lfunc_end272-_ZN2at6native32elementwise_kernel_manual_unrollILi128ELi8EZNS0_22gpu_kernel_impl_nocastINS0_13BinaryFunctorIN3c1013Float8_e4m3fnES5_bNS0_12_GLOBAL__N_116CompareEqFunctorIS5_EEEEEEvRNS_18TensorIteratorBaseERKT_EUlibE_EEviT1_
                                        ; -- End function
	.set _ZN2at6native32elementwise_kernel_manual_unrollILi128ELi8EZNS0_22gpu_kernel_impl_nocastINS0_13BinaryFunctorIN3c1013Float8_e4m3fnES5_bNS0_12_GLOBAL__N_116CompareEqFunctorIS5_EEEEEEvRNS_18TensorIteratorBaseERKT_EUlibE_EEviT1_.num_vgpr, 40
	.set _ZN2at6native32elementwise_kernel_manual_unrollILi128ELi8EZNS0_22gpu_kernel_impl_nocastINS0_13BinaryFunctorIN3c1013Float8_e4m3fnES5_bNS0_12_GLOBAL__N_116CompareEqFunctorIS5_EEEEEEvRNS_18TensorIteratorBaseERKT_EUlibE_EEviT1_.num_agpr, 0
	.set _ZN2at6native32elementwise_kernel_manual_unrollILi128ELi8EZNS0_22gpu_kernel_impl_nocastINS0_13BinaryFunctorIN3c1013Float8_e4m3fnES5_bNS0_12_GLOBAL__N_116CompareEqFunctorIS5_EEEEEEvRNS_18TensorIteratorBaseERKT_EUlibE_EEviT1_.numbered_sgpr, 52
	.set _ZN2at6native32elementwise_kernel_manual_unrollILi128ELi8EZNS0_22gpu_kernel_impl_nocastINS0_13BinaryFunctorIN3c1013Float8_e4m3fnES5_bNS0_12_GLOBAL__N_116CompareEqFunctorIS5_EEEEEEvRNS_18TensorIteratorBaseERKT_EUlibE_EEviT1_.num_named_barrier, 0
	.set _ZN2at6native32elementwise_kernel_manual_unrollILi128ELi8EZNS0_22gpu_kernel_impl_nocastINS0_13BinaryFunctorIN3c1013Float8_e4m3fnES5_bNS0_12_GLOBAL__N_116CompareEqFunctorIS5_EEEEEEvRNS_18TensorIteratorBaseERKT_EUlibE_EEviT1_.private_seg_size, 0
	.set _ZN2at6native32elementwise_kernel_manual_unrollILi128ELi8EZNS0_22gpu_kernel_impl_nocastINS0_13BinaryFunctorIN3c1013Float8_e4m3fnES5_bNS0_12_GLOBAL__N_116CompareEqFunctorIS5_EEEEEEvRNS_18TensorIteratorBaseERKT_EUlibE_EEviT1_.uses_vcc, 1
	.set _ZN2at6native32elementwise_kernel_manual_unrollILi128ELi8EZNS0_22gpu_kernel_impl_nocastINS0_13BinaryFunctorIN3c1013Float8_e4m3fnES5_bNS0_12_GLOBAL__N_116CompareEqFunctorIS5_EEEEEEvRNS_18TensorIteratorBaseERKT_EUlibE_EEviT1_.uses_flat_scratch, 0
	.set _ZN2at6native32elementwise_kernel_manual_unrollILi128ELi8EZNS0_22gpu_kernel_impl_nocastINS0_13BinaryFunctorIN3c1013Float8_e4m3fnES5_bNS0_12_GLOBAL__N_116CompareEqFunctorIS5_EEEEEEvRNS_18TensorIteratorBaseERKT_EUlibE_EEviT1_.has_dyn_sized_stack, 0
	.set _ZN2at6native32elementwise_kernel_manual_unrollILi128ELi8EZNS0_22gpu_kernel_impl_nocastINS0_13BinaryFunctorIN3c1013Float8_e4m3fnES5_bNS0_12_GLOBAL__N_116CompareEqFunctorIS5_EEEEEEvRNS_18TensorIteratorBaseERKT_EUlibE_EEviT1_.has_recursion, 0
	.set _ZN2at6native32elementwise_kernel_manual_unrollILi128ELi8EZNS0_22gpu_kernel_impl_nocastINS0_13BinaryFunctorIN3c1013Float8_e4m3fnES5_bNS0_12_GLOBAL__N_116CompareEqFunctorIS5_EEEEEEvRNS_18TensorIteratorBaseERKT_EUlibE_EEviT1_.has_indirect_call, 0
	.section	.AMDGPU.csdata,"",@progbits
; Kernel info:
; codeLenInByte = 12796
; TotalNumSgprs: 56
; NumVgprs: 40
; ScratchSize: 0
; MemoryBound: 0
; FloatMode: 240
; IeeeMode: 1
; LDSByteSize: 0 bytes/workgroup (compile time only)
; SGPRBlocks: 6
; VGPRBlocks: 9
; NumSGPRsForWavesPerEU: 56
; NumVGPRsForWavesPerEU: 40
; Occupancy: 6
; WaveLimiterHint : 1
; COMPUTE_PGM_RSRC2:SCRATCH_EN: 0
; COMPUTE_PGM_RSRC2:USER_SGPR: 6
; COMPUTE_PGM_RSRC2:TRAP_HANDLER: 0
; COMPUTE_PGM_RSRC2:TGID_X_EN: 1
; COMPUTE_PGM_RSRC2:TGID_Y_EN: 0
; COMPUTE_PGM_RSRC2:TGID_Z_EN: 0
; COMPUTE_PGM_RSRC2:TIDIG_COMP_CNT: 0
	.text
	.p2align	2                               ; -- Begin function _ZN2at6native6invokeINS0_13BinaryFunctorIN3c1013Float8_e4m3fnES4_bNS0_12_GLOBAL__N_116CompareEqFunctorIS4_EEEEi15function_traitsIS8_EEENT1_11result_typeERKT_PrKPcPKT0_PKNS3_10ScalarTypeEi
	.type	_ZN2at6native6invokeINS0_13BinaryFunctorIN3c1013Float8_e4m3fnES4_bNS0_12_GLOBAL__N_116CompareEqFunctorIS4_EEEEi15function_traitsIS8_EEENT1_11result_typeERKT_PrKPcPKT0_PKNS3_10ScalarTypeEi,@function
_ZN2at6native6invokeINS0_13BinaryFunctorIN3c1013Float8_e4m3fnES4_bNS0_12_GLOBAL__N_116CompareEqFunctorIS4_EEEEi15function_traitsIS8_EEENT1_11result_typeERKT_PrKPcPKT0_PKNS3_10ScalarTypeEi: ; @_ZN2at6native6invokeINS0_13BinaryFunctorIN3c1013Float8_e4m3fnES4_bNS0_12_GLOBAL__N_116CompareEqFunctorIS4_EEEEi15function_traitsIS8_EEENT1_11result_typeERKT_PrKPcPKT0_PKNS3_10ScalarTypeEi
; %bb.0:
	s_waitcnt vmcnt(0) expcnt(0) lgkmcnt(0)
	flat_load_dword v10, v[3:4]
	flat_load_ubyte v11, v[5:6]
	flat_load_dwordx2 v[8:9], v[1:2]
	s_mov_b64 s[10:11], 0
	s_mov_b64 s[6:7], 0
	s_waitcnt vmcnt(0) lgkmcnt(0)
	v_mul_lo_u32 v10, v10, v7
	v_cmp_lt_i16_e32 vcc, 10, v11
	v_ashrrev_i32_e32 v12, 31, v10
	v_add_co_u32_e64 v8, s[4:5], v8, v10
	v_addc_co_u32_e64 v9, s[4:5], v9, v12, s[4:5]
                                        ; implicit-def: $vgpr10
	s_and_saveexec_b64 s[4:5], vcc
	s_xor_b64 s[4:5], exec, s[4:5]
	s_cbranch_execz .LBB273_95
; %bb.1:
	v_cmp_lt_i16_e32 vcc, 25, v11
	s_mov_b64 s[12:13], 0
                                        ; implicit-def: $vgpr10
	s_and_saveexec_b64 s[8:9], vcc
	s_xor_b64 s[8:9], exec, s[8:9]
	s_cbranch_execz .LBB273_457
; %bb.2:
	v_cmp_lt_i16_e32 vcc, 28, v11
	s_mov_b64 s[14:15], 0
                                        ; implicit-def: $vgpr10
	s_and_saveexec_b64 s[10:11], vcc
	s_xor_b64 s[10:11], exec, s[10:11]
	s_cbranch_execz .LBB273_42
; %bb.3:
	v_cmp_lt_i16_e32 vcc, 43, v11
	s_mov_b64 s[16:17], 0
	s_mov_b64 s[18:19], 0
                                        ; implicit-def: $vgpr10
	s_and_saveexec_b64 s[12:13], vcc
	s_xor_b64 s[12:13], exec, s[12:13]
	s_cbranch_execz .LBB273_29
; %bb.4:
	v_cmp_lt_i16_e32 vcc, 45, v11
                                        ; implicit-def: $vgpr10
	s_and_saveexec_b64 s[18:19], vcc
	s_xor_b64 s[18:19], exec, s[18:19]
	s_cbranch_execz .LBB273_16
; %bb.5:
	v_cmp_eq_u16_e32 vcc, 46, v11
	s_mov_b64 s[20:21], -1
                                        ; implicit-def: $vgpr10
	s_and_saveexec_b64 s[14:15], vcc
	s_cbranch_execz .LBB273_15
; %bb.6:
	flat_load_dword v10, v[8:9]
	s_mov_b32 s16, 0x43f00000
                                        ; implicit-def: $vgpr11
	s_waitcnt vmcnt(0) lgkmcnt(0)
	v_lshlrev_b32_e32 v10, 16, v10
	v_and_b32_e32 v12, 0x7fffffff, v10
	v_cmp_gt_u32_e32 vcc, s16, v12
	s_and_saveexec_b64 s[16:17], vcc
	s_xor_b64 s[16:17], exec, s[16:17]
	s_cbranch_execz .LBB273_12
; %bb.7:
	s_mov_b32 s20, 0x3c7fffff
	v_cmp_lt_u32_e32 vcc, s20, v12
                                        ; implicit-def: $vgpr11
	s_and_saveexec_b64 s[20:21], vcc
	s_xor_b64 s[20:21], exec, s[20:21]
; %bb.8:
	v_bfe_u32 v11, v10, 20, 1
	s_mov_b32 s22, 0x407ffff
	v_add3_u32 v11, v10, v11, s22
	v_lshrrev_b32_e32 v12, 20, v11
	v_and_b32_e32 v11, 0xff00000, v11
	s_mov_b32 s22, 0x7f00000
	v_mov_b32_e32 v13, 0x7e
	v_cmp_ne_u32_e32 vcc, s22, v11
	v_cndmask_b32_e32 v11, v13, v12, vcc
; %bb.9:
	s_andn2_saveexec_b64 s[20:21], s[20:21]
; %bb.10:
	s_mov_b32 s22, 0x46800000
	v_add_f32_e64 v11, |v10|, s22
; %bb.11:
	s_or_b64 exec, exec, s[20:21]
                                        ; implicit-def: $vgpr12
.LBB273_12:
	s_andn2_saveexec_b64 s[16:17], s[16:17]
; %bb.13:
	s_mov_b32 s20, 0x7f800000
	v_mov_b32_e32 v11, 0x7e
	v_mov_b32_e32 v13, 0x7f
	v_cmp_lt_u32_e32 vcc, s20, v12
	v_cndmask_b32_e32 v11, v11, v13, vcc
; %bb.14:
	s_or_b64 exec, exec, s[16:17]
	v_lshrrev_b32_e32 v10, 24, v10
	s_movk_i32 s20, 0x80
	s_mov_b64 s[16:17], exec
	v_and_or_b32 v10, v10, s20, v11
	s_xor_b64 s[20:21], exec, -1
.LBB273_15:
	s_or_b64 exec, exec, s[14:15]
	s_and_b64 s[16:17], s[16:17], exec
	s_and_b64 s[14:15], s[20:21], exec
                                        ; implicit-def: $vgpr11
.LBB273_16:
	s_andn2_saveexec_b64 s[18:19], s[18:19]
	s_cbranch_execz .LBB273_28
; %bb.17:
	v_cmp_eq_u16_e32 vcc, 44, v11
	s_mov_b64 s[22:23], -1
	s_mov_b64 s[24:25], s[16:17]
                                        ; implicit-def: $vgpr10
	s_and_saveexec_b64 s[20:21], vcc
	s_cbranch_execz .LBB273_27
; %bb.18:
	flat_load_ubyte v10, v[8:9]
	s_movk_i32 s22, 0xff
	v_mov_b32_e32 v11, 0x7f800001
	v_mov_b32_e32 v12, 0x400000
	s_waitcnt vmcnt(0) lgkmcnt(0)
	v_lshlrev_b32_e32 v13, 23, v10
	v_cmp_ne_u32_e32 vcc, s22, v10
	v_cndmask_b32_e32 v11, v11, v13, vcc
	v_cmp_ne_u32_e32 vcc, 0, v10
	v_cndmask_b32_e32 v11, v12, v11, vcc
	s_mov_b32 s22, 0x43f00000
	v_cmp_gt_u32_e32 vcc, s22, v11
                                        ; implicit-def: $vgpr10
	s_and_saveexec_b64 s[22:23], vcc
	s_xor_b64 s[22:23], exec, s[22:23]
	s_cbranch_execz .LBB273_24
; %bb.19:
	s_mov_b32 s24, 0x3c7fffff
	v_cmp_lt_u32_e32 vcc, s24, v11
                                        ; implicit-def: $vgpr10
	s_and_saveexec_b64 s[24:25], vcc
	s_xor_b64 s[24:25], exec, s[24:25]
; %bb.20:
	v_bfe_u32 v10, v11, 20, 1
	s_mov_b32 s26, 0x407ffff
	v_add3_u32 v10, v11, v10, s26
	v_lshrrev_b32_e32 v11, 20, v10
	v_and_b32_e32 v10, 0xff00000, v10
	s_mov_b32 s26, 0x7f00000
	v_mov_b32_e32 v12, 0x7e
	v_cmp_ne_u32_e32 vcc, s26, v10
	v_cndmask_b32_e32 v10, v12, v11, vcc
                                        ; implicit-def: $vgpr11
; %bb.21:
	s_andn2_saveexec_b64 s[24:25], s[24:25]
; %bb.22:
	v_add_f32_e32 v10, 0x46800000, v11
; %bb.23:
	s_or_b64 exec, exec, s[24:25]
                                        ; implicit-def: $vgpr11
.LBB273_24:
	s_andn2_saveexec_b64 s[22:23], s[22:23]
; %bb.25:
	s_mov_b32 s24, 0x7f800000
	v_mov_b32_e32 v10, 0x7e
	v_mov_b32_e32 v12, 0x7f
	v_cmp_lt_u32_e32 vcc, s24, v11
	v_cndmask_b32_e32 v10, v10, v12, vcc
; %bb.26:
	s_or_b64 exec, exec, s[22:23]
	s_or_b64 s[24:25], s[16:17], exec
	s_xor_b64 s[22:23], exec, -1
.LBB273_27:
	s_or_b64 exec, exec, s[20:21]
	s_andn2_b64 s[16:17], s[16:17], exec
	s_and_b64 s[20:21], s[24:25], exec
	s_or_b64 s[16:17], s[16:17], s[20:21]
	s_andn2_b64 s[14:15], s[14:15], exec
	s_and_b64 s[20:21], s[22:23], exec
	s_or_b64 s[14:15], s[14:15], s[20:21]
.LBB273_28:
	s_or_b64 exec, exec, s[18:19]
	s_and_b64 s[18:19], s[16:17], exec
	s_and_b64 s[16:17], s[14:15], exec
                                        ; implicit-def: $vgpr11
.LBB273_29:
	s_andn2_saveexec_b64 s[12:13], s[12:13]
	s_cbranch_execz .LBB273_41
; %bb.30:
	v_cmp_eq_u16_e32 vcc, 29, v11
	s_mov_b64 s[20:21], -1
	s_mov_b64 s[22:23], s[18:19]
                                        ; implicit-def: $vgpr10
	s_and_saveexec_b64 s[14:15], vcc
	s_cbranch_execz .LBB273_40
; %bb.31:
	flat_load_dwordx2 v[10:11], v[8:9]
	s_mov_b32 s20, 0x43f00000
	s_waitcnt vmcnt(0) lgkmcnt(0)
	v_ffbh_u32_e32 v12, v11
	v_min_u32_e32 v12, 32, v12
	v_lshlrev_b64 v[10:11], v12, v[10:11]
	v_min_u32_e32 v10, 1, v10
	v_or_b32_e32 v10, v11, v10
	v_cvt_f32_u32_e32 v10, v10
	v_sub_u32_e32 v11, 32, v12
	v_ldexp_f32 v11, v10, v11
	v_cmp_gt_u32_e32 vcc, s20, v11
                                        ; implicit-def: $vgpr10
	s_and_saveexec_b64 s[20:21], vcc
	s_xor_b64 s[20:21], exec, s[20:21]
	s_cbranch_execz .LBB273_37
; %bb.32:
	s_mov_b32 s22, 0x3c7fffff
	v_cmp_lt_u32_e32 vcc, s22, v11
                                        ; implicit-def: $vgpr10
	s_and_saveexec_b64 s[22:23], vcc
	s_xor_b64 s[22:23], exec, s[22:23]
; %bb.33:
	v_bfe_u32 v10, v11, 20, 1
	s_mov_b32 s24, 0x407ffff
	v_add3_u32 v10, v11, v10, s24
	v_lshrrev_b32_e32 v11, 20, v10
	v_and_b32_e32 v10, 0xff00000, v10
	s_mov_b32 s24, 0x7f00000
	v_mov_b32_e32 v12, 0x7e
	v_cmp_ne_u32_e32 vcc, s24, v10
	v_cndmask_b32_e32 v10, v12, v11, vcc
                                        ; implicit-def: $vgpr11
; %bb.34:
	s_andn2_saveexec_b64 s[22:23], s[22:23]
; %bb.35:
	v_add_f32_e32 v10, 0x46800000, v11
; %bb.36:
	s_or_b64 exec, exec, s[22:23]
                                        ; implicit-def: $vgpr11
.LBB273_37:
	s_andn2_saveexec_b64 s[20:21], s[20:21]
; %bb.38:
	s_mov_b32 s22, 0x7f800000
	v_mov_b32_e32 v10, 0x7e
	v_mov_b32_e32 v12, 0x7f
	v_cmp_lt_u32_e32 vcc, s22, v11
	v_cndmask_b32_e32 v10, v10, v12, vcc
; %bb.39:
	s_or_b64 exec, exec, s[20:21]
	s_or_b64 s[22:23], s[18:19], exec
	s_xor_b64 s[20:21], exec, -1
.LBB273_40:
	s_or_b64 exec, exec, s[14:15]
	s_andn2_b64 s[14:15], s[18:19], exec
	s_and_b64 s[18:19], s[22:23], exec
	s_or_b64 s[18:19], s[14:15], s[18:19]
	s_andn2_b64 s[14:15], s[16:17], exec
	s_and_b64 s[16:17], s[20:21], exec
	s_or_b64 s[16:17], s[14:15], s[16:17]
.LBB273_41:
	s_or_b64 exec, exec, s[12:13]
	s_and_b64 s[14:15], s[18:19], exec
	s_and_b64 s[12:13], s[16:17], exec
                                        ; implicit-def: $vgpr11
.LBB273_42:
	s_andn2_saveexec_b64 s[10:11], s[10:11]
	s_cbranch_execz .LBB273_82
; %bb.43:
	v_cmp_lt_i16_e32 vcc, 26, v11
                                        ; implicit-def: $vgpr10
	s_and_saveexec_b64 s[16:17], vcc
	s_xor_b64 s[16:17], exec, s[16:17]
	s_cbranch_execz .LBB273_65
; %bb.44:
	v_cmp_lt_i16_e32 vcc, 27, v11
                                        ; implicit-def: $vgpr10
	s_and_saveexec_b64 s[18:19], vcc
	s_xor_b64 s[18:19], exec, s[18:19]
	s_cbranch_execz .LBB273_54
; %bb.45:
	flat_load_dword v10, v[8:9]
	s_mov_b32 s20, 0x43f00000
	s_waitcnt vmcnt(0) lgkmcnt(0)
	v_cvt_f32_u32_e32 v11, v10
                                        ; implicit-def: $vgpr10
	v_cmp_gt_u32_e32 vcc, s20, v11
	s_and_saveexec_b64 s[20:21], vcc
	s_xor_b64 s[20:21], exec, s[20:21]
	s_cbranch_execz .LBB273_51
; %bb.46:
	s_mov_b32 s22, 0x3c7fffff
	v_cmp_lt_u32_e32 vcc, s22, v11
                                        ; implicit-def: $vgpr10
	s_and_saveexec_b64 s[22:23], vcc
	s_xor_b64 s[22:23], exec, s[22:23]
; %bb.47:
	v_bfe_u32 v10, v11, 20, 1
	s_mov_b32 s24, 0x407ffff
	v_add3_u32 v10, v11, v10, s24
	v_lshrrev_b32_e32 v11, 20, v10
	v_and_b32_e32 v10, 0xff00000, v10
	s_mov_b32 s24, 0x7f00000
	v_mov_b32_e32 v12, 0x7e
	v_cmp_ne_u32_e32 vcc, s24, v10
	v_cndmask_b32_e32 v10, v12, v11, vcc
                                        ; implicit-def: $vgpr11
; %bb.48:
	s_andn2_saveexec_b64 s[22:23], s[22:23]
; %bb.49:
	v_add_f32_e32 v10, 0x46800000, v11
; %bb.50:
	s_or_b64 exec, exec, s[22:23]
                                        ; implicit-def: $vgpr11
.LBB273_51:
	s_andn2_saveexec_b64 s[20:21], s[20:21]
; %bb.52:
	s_mov_b32 s22, 0x7f800000
	v_mov_b32_e32 v10, 0x7e
	v_mov_b32_e32 v12, 0x7f
	v_cmp_lt_u32_e32 vcc, s22, v11
	v_cndmask_b32_e32 v10, v10, v12, vcc
; %bb.53:
	s_or_b64 exec, exec, s[20:21]
.LBB273_54:
	s_andn2_saveexec_b64 s[18:19], s[18:19]
	s_cbranch_execz .LBB273_64
; %bb.55:
	flat_load_ushort v10, v[8:9]
	s_mov_b32 s20, 0x43f00000
	s_waitcnt vmcnt(0) lgkmcnt(0)
	v_cvt_f32_u32_e32 v11, v10
                                        ; implicit-def: $vgpr10
	v_cmp_gt_u32_e32 vcc, s20, v11
	s_and_saveexec_b64 s[20:21], vcc
	s_xor_b64 s[20:21], exec, s[20:21]
	s_cbranch_execz .LBB273_61
; %bb.56:
	s_mov_b32 s22, 0x3c7fffff
	v_cmp_lt_u32_e32 vcc, s22, v11
                                        ; implicit-def: $vgpr10
	s_and_saveexec_b64 s[22:23], vcc
	s_xor_b64 s[22:23], exec, s[22:23]
; %bb.57:
	v_bfe_u32 v10, v11, 20, 1
	s_mov_b32 s24, 0x407ffff
	v_add3_u32 v10, v11, v10, s24
	v_lshrrev_b32_e32 v11, 20, v10
	v_and_b32_e32 v10, 0xff00000, v10
	s_mov_b32 s24, 0x7f00000
	v_mov_b32_e32 v12, 0x7e
	v_cmp_ne_u32_e32 vcc, s24, v10
	v_cndmask_b32_e32 v10, v12, v11, vcc
                                        ; implicit-def: $vgpr11
; %bb.58:
	s_andn2_saveexec_b64 s[22:23], s[22:23]
; %bb.59:
	v_add_f32_e32 v10, 0x46800000, v11
; %bb.60:
	s_or_b64 exec, exec, s[22:23]
                                        ; implicit-def: $vgpr11
.LBB273_61:
	s_andn2_saveexec_b64 s[20:21], s[20:21]
; %bb.62:
	s_mov_b32 s22, 0x7f800000
	v_mov_b32_e32 v10, 0x7e
	v_mov_b32_e32 v12, 0x7f
	v_cmp_lt_u32_e32 vcc, s22, v11
	v_cndmask_b32_e32 v10, v10, v12, vcc
; %bb.63:
	s_or_b64 exec, exec, s[20:21]
.LBB273_64:
	s_or_b64 exec, exec, s[18:19]
.LBB273_65:
	s_andn2_saveexec_b64 s[16:17], s[16:17]
	s_cbranch_execz .LBB273_81
; %bb.66:
	flat_load_ubyte v11, v[8:9]
	s_movk_i32 s18, 0x7f
	s_waitcnt vmcnt(0) lgkmcnt(0)
	v_cmp_lt_i16_e32 vcc, s18, v11
	s_mov_b64 s[18:19], 0
	s_and_saveexec_b64 s[20:21], vcc
	s_xor_b64 s[20:21], exec, s[20:21]
	s_cbranch_execz .LBB273_559
; %bb.67:
	s_movk_i32 s18, 0x80
	v_cmp_eq_u16_e32 vcc, s18, v11
	s_mov_b64 s[18:19], -1
	s_and_saveexec_b64 s[22:23], vcc
; %bb.68:
	s_xor_b64 s[18:19], exec, -1
; %bb.69:
	s_or_b64 exec, exec, s[22:23]
	s_and_b64 s[18:19], s[18:19], exec
	s_or_saveexec_b64 s[20:21], s[20:21]
	v_mov_b32_e32 v10, 0x7f800001
	s_xor_b64 exec, exec, s[20:21]
	s_cbranch_execnz .LBB273_560
.LBB273_70:
	s_or_b64 exec, exec, s[20:21]
	s_and_saveexec_b64 s[20:21], s[18:19]
	s_cbranch_execz .LBB273_72
.LBB273_71:
	v_lshlrev_b32_e32 v10, 24, v11
	v_and_b32_e32 v11, 0xffff, v11
	v_and_b32_e32 v12, 7, v11
	v_ffbh_u32_e32 v14, v12
	v_min_u32_e32 v14, 32, v14
	v_subrev_u32_e32 v15, 28, v14
	v_bfe_u32 v13, v11, 3, 4
	v_lshlrev_b32_e32 v11, v15, v11
	v_sub_u32_e32 v14, 29, v14
	v_and_b32_e32 v11, 7, v11
	v_cmp_eq_u32_e32 vcc, 0, v13
	v_cndmask_b32_e32 v13, v13, v14, vcc
	v_cndmask_b32_e32 v11, v12, v11, vcc
	v_mov_b32_e32 v12, 0x3b800000
	v_lshlrev_b32_e32 v11, 20, v11
	v_and_b32_e32 v10, 0x80000000, v10
	v_lshl_add_u32 v12, v13, 23, v12
	v_or3_b32 v10, v10, v12, v11
.LBB273_72:
	s_or_b64 exec, exec, s[20:21]
	v_and_b32_e32 v12, 0x7fffffff, v10
	s_mov_b32 s18, 0x43f00000
	v_cmp_gt_u32_e32 vcc, s18, v12
                                        ; implicit-def: $vgpr11
	s_and_saveexec_b64 s[18:19], vcc
	s_xor_b64 s[18:19], exec, s[18:19]
	s_cbranch_execz .LBB273_78
; %bb.73:
	s_mov_b32 s20, 0x3c7fffff
	v_cmp_lt_u32_e32 vcc, s20, v12
                                        ; implicit-def: $vgpr11
	s_and_saveexec_b64 s[20:21], vcc
	s_xor_b64 s[20:21], exec, s[20:21]
; %bb.74:
	v_bfe_u32 v11, v10, 20, 1
	s_mov_b32 s22, 0x407ffff
	v_add3_u32 v11, v10, v11, s22
	v_lshrrev_b32_e32 v12, 20, v11
	v_and_b32_e32 v11, 0xff00000, v11
	s_mov_b32 s22, 0x7f00000
	v_mov_b32_e32 v13, 0x7e
	v_cmp_ne_u32_e32 vcc, s22, v11
	v_cndmask_b32_e32 v11, v13, v12, vcc
; %bb.75:
	s_andn2_saveexec_b64 s[20:21], s[20:21]
; %bb.76:
	s_mov_b32 s22, 0x46800000
	v_add_f32_e64 v11, |v10|, s22
; %bb.77:
	s_or_b64 exec, exec, s[20:21]
                                        ; implicit-def: $vgpr12
.LBB273_78:
	s_andn2_saveexec_b64 s[18:19], s[18:19]
; %bb.79:
	s_mov_b32 s20, 0x7f800000
	v_mov_b32_e32 v11, 0x7e
	v_mov_b32_e32 v13, 0x7f
	v_cmp_lt_u32_e32 vcc, s20, v12
	v_cndmask_b32_e32 v11, v11, v13, vcc
; %bb.80:
	s_or_b64 exec, exec, s[18:19]
	v_lshrrev_b32_e32 v10, 24, v10
	s_movk_i32 s18, 0x80
	v_and_or_b32 v10, v10, s18, v11
.LBB273_81:
	s_or_b64 exec, exec, s[16:17]
	s_or_b64 s[14:15], s[14:15], exec
.LBB273_82:
	s_or_b64 exec, exec, s[10:11]
	s_and_b64 s[10:11], s[14:15], exec
	s_and_b64 s[12:13], s[12:13], exec
                                        ; implicit-def: $vgpr11
	s_andn2_saveexec_b64 s[8:9], s[8:9]
	s_cbranch_execnz .LBB273_458
.LBB273_83:
	s_or_b64 exec, exec, s[8:9]
	s_mov_b64 s[8:9], 0
	s_and_saveexec_b64 s[14:15], s[12:13]
	s_cbranch_execnz .LBB273_507
.LBB273_84:
	s_or_b64 exec, exec, s[14:15]
	s_and_saveexec_b64 s[12:13], s[6:7]
	s_cbranch_execz .LBB273_94
.LBB273_85:
	flat_load_ubyte v8, v[8:9]
	s_mov_b32 s6, 0x43f00000
                                        ; implicit-def: $vgpr10
	s_waitcnt vmcnt(0) lgkmcnt(0)
	v_cmp_ne_u16_e32 vcc, 0, v8
	v_cndmask_b32_e64 v8, 0, 1.0, vcc
	v_cmp_gt_u32_e32 vcc, s6, v8
	s_and_saveexec_b64 s[6:7], vcc
	s_xor_b64 s[6:7], exec, s[6:7]
	s_cbranch_execz .LBB273_91
; %bb.86:
	s_mov_b32 s14, 0x3c7fffff
	v_cmp_lt_u32_e32 vcc, s14, v8
                                        ; implicit-def: $vgpr10
	s_and_saveexec_b64 s[14:15], vcc
	s_xor_b64 s[14:15], exec, s[14:15]
; %bb.87:
	v_bfe_u32 v9, v8, 20, 1
	s_mov_b32 s16, 0x407ffff
	v_add3_u32 v8, v8, v9, s16
	v_lshrrev_b32_e32 v9, 20, v8
	v_and_b32_e32 v8, 0xff00000, v8
	s_mov_b32 s16, 0x7f00000
	v_mov_b32_e32 v10, 0x7e
	v_cmp_ne_u32_e32 vcc, s16, v8
	v_cndmask_b32_e32 v10, v10, v9, vcc
                                        ; implicit-def: $vgpr8
; %bb.88:
	s_andn2_saveexec_b64 s[14:15], s[14:15]
; %bb.89:
	v_add_f32_e32 v10, 0x46800000, v8
; %bb.90:
	s_or_b64 exec, exec, s[14:15]
                                        ; implicit-def: $vgpr8
.LBB273_91:
	s_andn2_saveexec_b64 s[6:7], s[6:7]
; %bb.92:
	s_mov_b32 s14, 0x7f800000
	v_mov_b32_e32 v9, 0x7e
	v_mov_b32_e32 v10, 0x7f
	v_cmp_lt_u32_e32 vcc, s14, v8
	v_cndmask_b32_e32 v10, v9, v10, vcc
; %bb.93:
	s_or_b64 exec, exec, s[6:7]
	s_or_b64 s[10:11], s[10:11], exec
.LBB273_94:
	s_or_b64 exec, exec, s[12:13]
	s_and_b64 s[6:7], s[8:9], exec
	s_and_b64 s[10:11], s[10:11], exec
                                        ; implicit-def: $vgpr11
                                        ; implicit-def: $vgpr8_vgpr9
.LBB273_95:
	s_andn2_saveexec_b64 s[4:5], s[4:5]
	s_cbranch_execz .LBB273_225
; %bb.96:
	v_cmp_lt_i16_e32 vcc, 4, v11
                                        ; implicit-def: $vgpr10
	s_and_saveexec_b64 s[8:9], vcc
	s_xor_b64 s[8:9], exec, s[8:9]
	s_cbranch_execz .LBB273_166
; %bb.97:
	v_cmp_lt_i16_e32 vcc, 7, v11
                                        ; implicit-def: $vgpr10
	s_and_saveexec_b64 s[12:13], vcc
	s_xor_b64 s[12:13], exec, s[12:13]
	;; [unrolled: 6-line block ×4, first 2 shown]
	s_cbranch_execz .LBB273_109
; %bb.100:
	flat_load_dwordx2 v[8:9], v[8:9]
	s_mov_b32 s18, 0x43f00000
	s_waitcnt vmcnt(0) lgkmcnt(0)
	v_cvt_f32_f64_e32 v8, v[8:9]
                                        ; implicit-def: $vgpr9
	v_and_b32_e32 v10, 0x7fffffff, v8
	v_cmp_gt_u32_e32 vcc, s18, v10
	s_and_saveexec_b64 s[18:19], vcc
	s_xor_b64 s[18:19], exec, s[18:19]
	s_cbranch_execz .LBB273_106
; %bb.101:
	s_mov_b32 s20, 0x3c7fffff
	v_cmp_lt_u32_e32 vcc, s20, v10
                                        ; implicit-def: $vgpr9
	s_and_saveexec_b64 s[20:21], vcc
	s_xor_b64 s[20:21], exec, s[20:21]
; %bb.102:
	v_bfe_u32 v9, v8, 20, 1
	s_mov_b32 s22, 0x407ffff
	v_add3_u32 v9, v8, v9, s22
	v_lshrrev_b32_e32 v10, 20, v9
	v_and_b32_e32 v9, 0xff00000, v9
	s_mov_b32 s22, 0x7f00000
	v_mov_b32_e32 v11, 0x7e
	v_cmp_ne_u32_e32 vcc, s22, v9
	v_cndmask_b32_e32 v9, v11, v10, vcc
; %bb.103:
	s_andn2_saveexec_b64 s[20:21], s[20:21]
; %bb.104:
	s_mov_b32 s22, 0x46800000
	v_add_f32_e64 v9, |v8|, s22
; %bb.105:
	s_or_b64 exec, exec, s[20:21]
                                        ; implicit-def: $vgpr10
.LBB273_106:
	s_andn2_saveexec_b64 s[18:19], s[18:19]
; %bb.107:
	s_mov_b32 s20, 0x7f800000
	v_mov_b32_e32 v9, 0x7e
	v_mov_b32_e32 v11, 0x7f
	v_cmp_lt_u32_e32 vcc, s20, v10
	v_cndmask_b32_e32 v9, v9, v11, vcc
; %bb.108:
	s_or_b64 exec, exec, s[18:19]
	v_lshrrev_b32_e32 v8, 24, v8
	s_movk_i32 s18, 0x80
	v_and_or_b32 v10, v8, s18, v9
                                        ; implicit-def: $vgpr8_vgpr9
.LBB273_109:
	s_andn2_saveexec_b64 s[16:17], s[16:17]
	s_cbranch_execz .LBB273_119
; %bb.110:
	flat_load_dword v8, v[8:9]
	s_mov_b32 s18, 0x43f00000
                                        ; implicit-def: $vgpr9
	s_waitcnt vmcnt(0) lgkmcnt(0)
	v_and_b32_e32 v10, 0x7fffffff, v8
	v_cmp_gt_u32_e32 vcc, s18, v10
	s_and_saveexec_b64 s[18:19], vcc
	s_xor_b64 s[18:19], exec, s[18:19]
	s_cbranch_execz .LBB273_116
; %bb.111:
	s_mov_b32 s20, 0x3c7fffff
	v_cmp_lt_u32_e32 vcc, s20, v10
                                        ; implicit-def: $vgpr9
	s_and_saveexec_b64 s[20:21], vcc
	s_xor_b64 s[20:21], exec, s[20:21]
; %bb.112:
	v_bfe_u32 v9, v8, 20, 1
	s_mov_b32 s22, 0x407ffff
	v_add3_u32 v9, v8, v9, s22
	v_lshrrev_b32_e32 v10, 20, v9
	v_and_b32_e32 v9, 0xff00000, v9
	s_mov_b32 s22, 0x7f00000
	v_mov_b32_e32 v11, 0x7e
	v_cmp_ne_u32_e32 vcc, s22, v9
	v_cndmask_b32_e32 v9, v11, v10, vcc
; %bb.113:
	s_andn2_saveexec_b64 s[20:21], s[20:21]
; %bb.114:
	s_mov_b32 s22, 0x46800000
	v_add_f32_e64 v9, |v8|, s22
; %bb.115:
	s_or_b64 exec, exec, s[20:21]
                                        ; implicit-def: $vgpr10
.LBB273_116:
	s_andn2_saveexec_b64 s[18:19], s[18:19]
; %bb.117:
	s_mov_b32 s20, 0x7f800000
	v_mov_b32_e32 v9, 0x7e
	v_mov_b32_e32 v11, 0x7f
	v_cmp_lt_u32_e32 vcc, s20, v10
	v_cndmask_b32_e32 v9, v9, v11, vcc
; %bb.118:
	s_or_b64 exec, exec, s[18:19]
	v_lshrrev_b32_e32 v8, 24, v8
	s_movk_i32 s18, 0x80
	v_and_or_b32 v10, v8, s18, v9
.LBB273_119:
	s_or_b64 exec, exec, s[16:17]
                                        ; implicit-def: $vgpr8_vgpr9
.LBB273_120:
	s_andn2_saveexec_b64 s[14:15], s[14:15]
	s_cbranch_execz .LBB273_130
; %bb.121:
	flat_load_dword v8, v[8:9]
	s_mov_b32 s16, 0x43f00000
                                        ; implicit-def: $vgpr9
	s_waitcnt vmcnt(0) lgkmcnt(0)
	v_cvt_f32_f16_e32 v8, v8
	v_and_b32_e32 v10, 0x7fffffff, v8
	v_cmp_gt_u32_e32 vcc, s16, v10
	s_and_saveexec_b64 s[16:17], vcc
	s_xor_b64 s[16:17], exec, s[16:17]
	s_cbranch_execz .LBB273_127
; %bb.122:
	s_mov_b32 s18, 0x3c7fffff
	v_cmp_lt_u32_e32 vcc, s18, v10
                                        ; implicit-def: $vgpr9
	s_and_saveexec_b64 s[18:19], vcc
	s_xor_b64 s[18:19], exec, s[18:19]
; %bb.123:
	v_bfe_u32 v9, v8, 20, 1
	s_mov_b32 s20, 0x407ffff
	v_add3_u32 v9, v8, v9, s20
	v_lshrrev_b32_e32 v10, 20, v9
	v_and_b32_e32 v9, 0xff00000, v9
	s_mov_b32 s20, 0x7f00000
	v_mov_b32_e32 v11, 0x7e
	v_cmp_ne_u32_e32 vcc, s20, v9
	v_cndmask_b32_e32 v9, v11, v10, vcc
; %bb.124:
	s_andn2_saveexec_b64 s[18:19], s[18:19]
; %bb.125:
	s_mov_b32 s20, 0x46800000
	v_add_f32_e64 v9, |v8|, s20
; %bb.126:
	s_or_b64 exec, exec, s[18:19]
                                        ; implicit-def: $vgpr10
.LBB273_127:
	s_andn2_saveexec_b64 s[16:17], s[16:17]
; %bb.128:
	s_mov_b32 s18, 0x7f800000
	v_mov_b32_e32 v9, 0x7e
	v_mov_b32_e32 v11, 0x7f
	v_cmp_lt_u32_e32 vcc, s18, v10
	v_cndmask_b32_e32 v9, v9, v11, vcc
; %bb.129:
	s_or_b64 exec, exec, s[16:17]
	v_lshrrev_b32_e32 v8, 24, v8
	s_movk_i32 s16, 0x80
	v_and_or_b32 v10, v8, s16, v9
.LBB273_130:
	s_or_b64 exec, exec, s[14:15]
                                        ; implicit-def: $vgpr11
                                        ; implicit-def: $vgpr8_vgpr9
.LBB273_131:
	s_andn2_saveexec_b64 s[12:13], s[12:13]
	s_cbranch_execz .LBB273_165
; %bb.132:
	v_cmp_lt_i16_e32 vcc, 5, v11
                                        ; implicit-def: $vgpr10
	s_and_saveexec_b64 s[14:15], vcc
	s_xor_b64 s[14:15], exec, s[14:15]
	s_cbranch_execz .LBB273_154
; %bb.133:
	v_cmp_lt_i16_e32 vcc, 6, v11
                                        ; implicit-def: $vgpr10
	s_and_saveexec_b64 s[16:17], vcc
	s_xor_b64 s[16:17], exec, s[16:17]
	s_cbranch_execz .LBB273_143
; %bb.134:
	flat_load_dwordx2 v[8:9], v[8:9]
	s_mov_b32 s18, 0x43f00000
	s_waitcnt vmcnt(0) lgkmcnt(0)
	v_cvt_f32_f64_e32 v8, v[8:9]
                                        ; implicit-def: $vgpr9
	v_and_b32_e32 v10, 0x7fffffff, v8
	v_cmp_gt_u32_e32 vcc, s18, v10
	s_and_saveexec_b64 s[18:19], vcc
	s_xor_b64 s[18:19], exec, s[18:19]
	s_cbranch_execz .LBB273_140
; %bb.135:
	s_mov_b32 s20, 0x3c7fffff
	v_cmp_lt_u32_e32 vcc, s20, v10
                                        ; implicit-def: $vgpr9
	s_and_saveexec_b64 s[20:21], vcc
	s_xor_b64 s[20:21], exec, s[20:21]
; %bb.136:
	v_bfe_u32 v9, v8, 20, 1
	s_mov_b32 s22, 0x407ffff
	v_add3_u32 v9, v8, v9, s22
	v_lshrrev_b32_e32 v10, 20, v9
	v_and_b32_e32 v9, 0xff00000, v9
	s_mov_b32 s22, 0x7f00000
	v_mov_b32_e32 v11, 0x7e
	v_cmp_ne_u32_e32 vcc, s22, v9
	v_cndmask_b32_e32 v9, v11, v10, vcc
; %bb.137:
	s_andn2_saveexec_b64 s[20:21], s[20:21]
; %bb.138:
	s_mov_b32 s22, 0x46800000
	v_add_f32_e64 v9, |v8|, s22
; %bb.139:
	s_or_b64 exec, exec, s[20:21]
                                        ; implicit-def: $vgpr10
.LBB273_140:
	s_andn2_saveexec_b64 s[18:19], s[18:19]
; %bb.141:
	s_mov_b32 s20, 0x7f800000
	v_mov_b32_e32 v9, 0x7e
	v_mov_b32_e32 v11, 0x7f
	v_cmp_lt_u32_e32 vcc, s20, v10
	v_cndmask_b32_e32 v9, v9, v11, vcc
; %bb.142:
	s_or_b64 exec, exec, s[18:19]
	v_lshrrev_b32_e32 v8, 24, v8
	s_movk_i32 s18, 0x80
	v_and_or_b32 v10, v8, s18, v9
                                        ; implicit-def: $vgpr8_vgpr9
.LBB273_143:
	s_andn2_saveexec_b64 s[16:17], s[16:17]
	s_cbranch_execz .LBB273_153
; %bb.144:
	flat_load_dword v8, v[8:9]
	s_mov_b32 s18, 0x43f00000
                                        ; implicit-def: $vgpr9
	s_waitcnt vmcnt(0) lgkmcnt(0)
	v_and_b32_e32 v10, 0x7fffffff, v8
	v_cmp_gt_u32_e32 vcc, s18, v10
	s_and_saveexec_b64 s[18:19], vcc
	s_xor_b64 s[18:19], exec, s[18:19]
	s_cbranch_execz .LBB273_150
; %bb.145:
	s_mov_b32 s20, 0x3c7fffff
	v_cmp_lt_u32_e32 vcc, s20, v10
                                        ; implicit-def: $vgpr9
	s_and_saveexec_b64 s[20:21], vcc
	s_xor_b64 s[20:21], exec, s[20:21]
; %bb.146:
	v_bfe_u32 v9, v8, 20, 1
	s_mov_b32 s22, 0x407ffff
	v_add3_u32 v9, v8, v9, s22
	v_lshrrev_b32_e32 v10, 20, v9
	v_and_b32_e32 v9, 0xff00000, v9
	s_mov_b32 s22, 0x7f00000
	v_mov_b32_e32 v11, 0x7e
	v_cmp_ne_u32_e32 vcc, s22, v9
	v_cndmask_b32_e32 v9, v11, v10, vcc
; %bb.147:
	s_andn2_saveexec_b64 s[20:21], s[20:21]
; %bb.148:
	s_mov_b32 s22, 0x46800000
	v_add_f32_e64 v9, |v8|, s22
; %bb.149:
	s_or_b64 exec, exec, s[20:21]
                                        ; implicit-def: $vgpr10
.LBB273_150:
	s_andn2_saveexec_b64 s[18:19], s[18:19]
; %bb.151:
	s_mov_b32 s20, 0x7f800000
	v_mov_b32_e32 v9, 0x7e
	v_mov_b32_e32 v11, 0x7f
	v_cmp_lt_u32_e32 vcc, s20, v10
	v_cndmask_b32_e32 v9, v9, v11, vcc
; %bb.152:
	s_or_b64 exec, exec, s[18:19]
	v_lshrrev_b32_e32 v8, 24, v8
	s_movk_i32 s18, 0x80
	v_and_or_b32 v10, v8, s18, v9
.LBB273_153:
	s_or_b64 exec, exec, s[16:17]
                                        ; implicit-def: $vgpr8_vgpr9
.LBB273_154:
	s_andn2_saveexec_b64 s[14:15], s[14:15]
	s_cbranch_execz .LBB273_164
; %bb.155:
	flat_load_ushort v8, v[8:9]
	s_mov_b32 s16, 0x43f00000
                                        ; implicit-def: $vgpr9
	s_waitcnt vmcnt(0) lgkmcnt(0)
	v_cvt_f32_f16_e32 v8, v8
	v_and_b32_e32 v10, 0x7fffffff, v8
	v_cmp_gt_u32_e32 vcc, s16, v10
	s_and_saveexec_b64 s[16:17], vcc
	s_xor_b64 s[16:17], exec, s[16:17]
	s_cbranch_execz .LBB273_161
; %bb.156:
	s_mov_b32 s18, 0x3c7fffff
	v_cmp_lt_u32_e32 vcc, s18, v10
                                        ; implicit-def: $vgpr9
	s_and_saveexec_b64 s[18:19], vcc
	s_xor_b64 s[18:19], exec, s[18:19]
; %bb.157:
	v_bfe_u32 v9, v8, 20, 1
	s_mov_b32 s20, 0x407ffff
	v_add3_u32 v9, v8, v9, s20
	v_lshrrev_b32_e32 v10, 20, v9
	v_and_b32_e32 v9, 0xff00000, v9
	s_mov_b32 s20, 0x7f00000
	v_mov_b32_e32 v11, 0x7e
	v_cmp_ne_u32_e32 vcc, s20, v9
	v_cndmask_b32_e32 v9, v11, v10, vcc
; %bb.158:
	s_andn2_saveexec_b64 s[18:19], s[18:19]
; %bb.159:
	s_mov_b32 s20, 0x46800000
	v_add_f32_e64 v9, |v8|, s20
; %bb.160:
	s_or_b64 exec, exec, s[18:19]
                                        ; implicit-def: $vgpr10
.LBB273_161:
	s_andn2_saveexec_b64 s[16:17], s[16:17]
; %bb.162:
	s_mov_b32 s18, 0x7f800000
	v_mov_b32_e32 v9, 0x7e
	v_mov_b32_e32 v11, 0x7f
	v_cmp_lt_u32_e32 vcc, s18, v10
	v_cndmask_b32_e32 v9, v9, v11, vcc
; %bb.163:
	s_or_b64 exec, exec, s[16:17]
	v_lshrrev_b32_e32 v8, 24, v8
	s_movk_i32 s16, 0x80
	v_and_or_b32 v10, v8, s16, v9
.LBB273_164:
	s_or_b64 exec, exec, s[14:15]
.LBB273_165:
	s_or_b64 exec, exec, s[12:13]
                                        ; implicit-def: $vgpr11
                                        ; implicit-def: $vgpr8_vgpr9
.LBB273_166:
	s_andn2_saveexec_b64 s[8:9], s[8:9]
	s_cbranch_execz .LBB273_224
; %bb.167:
	v_cmp_lt_i16_e32 vcc, 1, v11
                                        ; implicit-def: $vgpr10
	s_and_saveexec_b64 s[12:13], vcc
	s_xor_b64 s[12:13], exec, s[12:13]
	s_cbranch_execz .LBB273_201
; %bb.168:
	v_cmp_lt_i16_e32 vcc, 2, v11
                                        ; implicit-def: $vgpr10
	s_and_saveexec_b64 s[14:15], vcc
	s_xor_b64 s[14:15], exec, s[14:15]
	;; [unrolled: 6-line block ×3, first 2 shown]
	s_cbranch_execz .LBB273_179
; %bb.170:
	flat_load_dwordx2 v[8:9], v[8:9]
	s_mov_b32 s18, 0x43f00000
	s_waitcnt vmcnt(0) lgkmcnt(0)
	v_xor_b32_e32 v11, v8, v9
	v_ffbh_i32_e32 v10, v9
	v_ashrrev_i32_e32 v11, 31, v11
	v_add_u32_e32 v10, -1, v10
	v_add_u32_e32 v11, 32, v11
	v_min_u32_e32 v10, v10, v11
	v_lshlrev_b64 v[8:9], v10, v[8:9]
	v_min_u32_e32 v8, 1, v8
	v_or_b32_e32 v8, v9, v8
	v_cvt_f32_i32_e32 v8, v8
	v_sub_u32_e32 v9, 32, v10
	v_ldexp_f32 v8, v8, v9
	v_and_b32_e32 v10, 0x7fffffff, v8
	v_cmp_gt_u32_e32 vcc, s18, v10
                                        ; implicit-def: $vgpr9
	s_and_saveexec_b64 s[18:19], vcc
	s_xor_b64 s[18:19], exec, s[18:19]
	s_cbranch_execz .LBB273_176
; %bb.171:
	s_mov_b32 s20, 0x3c7fffff
	v_cmp_lt_u32_e32 vcc, s20, v10
                                        ; implicit-def: $vgpr9
	s_and_saveexec_b64 s[20:21], vcc
	s_xor_b64 s[20:21], exec, s[20:21]
; %bb.172:
	v_bfe_u32 v9, v8, 20, 1
	s_mov_b32 s22, 0x407ffff
	v_add3_u32 v9, v8, v9, s22
	v_lshrrev_b32_e32 v10, 20, v9
	v_and_b32_e32 v9, 0xff00000, v9
	s_mov_b32 s22, 0x7f00000
	v_mov_b32_e32 v11, 0x7e
	v_cmp_ne_u32_e32 vcc, s22, v9
	v_cndmask_b32_e32 v9, v11, v10, vcc
; %bb.173:
	s_andn2_saveexec_b64 s[20:21], s[20:21]
; %bb.174:
	s_mov_b32 s22, 0x46800000
	v_add_f32_e64 v9, |v8|, s22
; %bb.175:
	s_or_b64 exec, exec, s[20:21]
                                        ; implicit-def: $vgpr10
.LBB273_176:
	s_andn2_saveexec_b64 s[18:19], s[18:19]
; %bb.177:
	s_mov_b32 s20, 0x7f800000
	v_mov_b32_e32 v9, 0x7e
	v_mov_b32_e32 v11, 0x7f
	v_cmp_lt_u32_e32 vcc, s20, v10
	v_cndmask_b32_e32 v9, v9, v11, vcc
; %bb.178:
	s_or_b64 exec, exec, s[18:19]
	v_lshrrev_b32_e32 v8, 24, v8
	s_movk_i32 s18, 0x80
	v_and_or_b32 v10, v8, s18, v9
                                        ; implicit-def: $vgpr8_vgpr9
.LBB273_179:
	s_andn2_saveexec_b64 s[16:17], s[16:17]
	s_cbranch_execz .LBB273_189
; %bb.180:
	flat_load_dword v8, v[8:9]
	s_mov_b32 s18, 0x43f00000
                                        ; implicit-def: $vgpr9
	s_waitcnt vmcnt(0) lgkmcnt(0)
	v_cvt_f32_i32_e32 v8, v8
	v_and_b32_e32 v10, 0x7fffffff, v8
	v_cmp_gt_u32_e32 vcc, s18, v10
	s_and_saveexec_b64 s[18:19], vcc
	s_xor_b64 s[18:19], exec, s[18:19]
	s_cbranch_execz .LBB273_186
; %bb.181:
	s_mov_b32 s20, 0x3c7fffff
	v_cmp_lt_u32_e32 vcc, s20, v10
                                        ; implicit-def: $vgpr9
	s_and_saveexec_b64 s[20:21], vcc
	s_xor_b64 s[20:21], exec, s[20:21]
; %bb.182:
	v_bfe_u32 v9, v8, 20, 1
	s_mov_b32 s22, 0x407ffff
	v_add3_u32 v9, v8, v9, s22
	v_lshrrev_b32_e32 v10, 20, v9
	v_and_b32_e32 v9, 0xff00000, v9
	s_mov_b32 s22, 0x7f00000
	v_mov_b32_e32 v11, 0x7e
	v_cmp_ne_u32_e32 vcc, s22, v9
	v_cndmask_b32_e32 v9, v11, v10, vcc
; %bb.183:
	s_andn2_saveexec_b64 s[20:21], s[20:21]
; %bb.184:
	s_mov_b32 s22, 0x46800000
	v_add_f32_e64 v9, |v8|, s22
; %bb.185:
	s_or_b64 exec, exec, s[20:21]
                                        ; implicit-def: $vgpr10
.LBB273_186:
	s_andn2_saveexec_b64 s[18:19], s[18:19]
; %bb.187:
	s_mov_b32 s20, 0x7f800000
	v_mov_b32_e32 v9, 0x7e
	v_mov_b32_e32 v11, 0x7f
	v_cmp_lt_u32_e32 vcc, s20, v10
	v_cndmask_b32_e32 v9, v9, v11, vcc
; %bb.188:
	s_or_b64 exec, exec, s[18:19]
	v_lshrrev_b32_e32 v8, 24, v8
	s_movk_i32 s18, 0x80
	v_and_or_b32 v10, v8, s18, v9
.LBB273_189:
	s_or_b64 exec, exec, s[16:17]
                                        ; implicit-def: $vgpr8_vgpr9
.LBB273_190:
	s_andn2_saveexec_b64 s[14:15], s[14:15]
	s_cbranch_execz .LBB273_200
; %bb.191:
	flat_load_sshort v8, v[8:9]
	s_mov_b32 s16, 0x43f00000
                                        ; implicit-def: $vgpr9
	s_waitcnt vmcnt(0) lgkmcnt(0)
	v_cvt_f32_i32_e32 v8, v8
	v_and_b32_e32 v10, 0x7fffffff, v8
	v_cmp_gt_u32_e32 vcc, s16, v10
	s_and_saveexec_b64 s[16:17], vcc
	s_xor_b64 s[16:17], exec, s[16:17]
	s_cbranch_execz .LBB273_197
; %bb.192:
	s_mov_b32 s18, 0x3c7fffff
	v_cmp_lt_u32_e32 vcc, s18, v10
                                        ; implicit-def: $vgpr9
	s_and_saveexec_b64 s[18:19], vcc
	s_xor_b64 s[18:19], exec, s[18:19]
; %bb.193:
	v_bfe_u32 v9, v8, 20, 1
	s_mov_b32 s20, 0x407ffff
	v_add3_u32 v9, v8, v9, s20
	v_lshrrev_b32_e32 v10, 20, v9
	v_and_b32_e32 v9, 0xff00000, v9
	s_mov_b32 s20, 0x7f00000
	v_mov_b32_e32 v11, 0x7e
	v_cmp_ne_u32_e32 vcc, s20, v9
	v_cndmask_b32_e32 v9, v11, v10, vcc
; %bb.194:
	s_andn2_saveexec_b64 s[18:19], s[18:19]
; %bb.195:
	s_mov_b32 s20, 0x46800000
	v_add_f32_e64 v9, |v8|, s20
; %bb.196:
	s_or_b64 exec, exec, s[18:19]
                                        ; implicit-def: $vgpr10
.LBB273_197:
	s_andn2_saveexec_b64 s[16:17], s[16:17]
; %bb.198:
	s_mov_b32 s18, 0x7f800000
	v_mov_b32_e32 v9, 0x7e
	v_mov_b32_e32 v11, 0x7f
	v_cmp_lt_u32_e32 vcc, s18, v10
	v_cndmask_b32_e32 v9, v9, v11, vcc
; %bb.199:
	s_or_b64 exec, exec, s[16:17]
	v_lshrrev_b32_e32 v8, 24, v8
	s_movk_i32 s16, 0x80
	v_and_or_b32 v10, v8, s16, v9
.LBB273_200:
	s_or_b64 exec, exec, s[14:15]
                                        ; implicit-def: $vgpr11
                                        ; implicit-def: $vgpr8_vgpr9
.LBB273_201:
	s_andn2_saveexec_b64 s[12:13], s[12:13]
	s_cbranch_execz .LBB273_223
; %bb.202:
	v_cmp_lt_i16_e32 vcc, 0, v11
                                        ; implicit-def: $vgpr10
	s_and_saveexec_b64 s[14:15], vcc
	s_xor_b64 s[14:15], exec, s[14:15]
	s_cbranch_execz .LBB273_212
; %bb.203:
	flat_load_sbyte v8, v[8:9]
	s_mov_b32 s16, 0x43f00000
                                        ; implicit-def: $vgpr9
	s_waitcnt vmcnt(0) lgkmcnt(0)
	v_cvt_f32_i32_e32 v8, v8
	v_and_b32_e32 v10, 0x7fffffff, v8
	v_cmp_gt_u32_e32 vcc, s16, v10
	s_and_saveexec_b64 s[16:17], vcc
	s_xor_b64 s[16:17], exec, s[16:17]
	s_cbranch_execz .LBB273_209
; %bb.204:
	s_mov_b32 s18, 0x3c7fffff
	v_cmp_lt_u32_e32 vcc, s18, v10
                                        ; implicit-def: $vgpr9
	s_and_saveexec_b64 s[18:19], vcc
	s_xor_b64 s[18:19], exec, s[18:19]
; %bb.205:
	v_bfe_u32 v9, v8, 20, 1
	s_mov_b32 s20, 0x407ffff
	v_add3_u32 v9, v8, v9, s20
	v_lshrrev_b32_e32 v10, 20, v9
	v_and_b32_e32 v9, 0xff00000, v9
	s_mov_b32 s20, 0x7f00000
	v_mov_b32_e32 v11, 0x7e
	v_cmp_ne_u32_e32 vcc, s20, v9
	v_cndmask_b32_e32 v9, v11, v10, vcc
; %bb.206:
	s_andn2_saveexec_b64 s[18:19], s[18:19]
; %bb.207:
	s_mov_b32 s20, 0x46800000
	v_add_f32_e64 v9, |v8|, s20
; %bb.208:
	s_or_b64 exec, exec, s[18:19]
                                        ; implicit-def: $vgpr10
.LBB273_209:
	s_andn2_saveexec_b64 s[16:17], s[16:17]
; %bb.210:
	s_mov_b32 s18, 0x7f800000
	v_mov_b32_e32 v9, 0x7e
	v_mov_b32_e32 v11, 0x7f
	v_cmp_lt_u32_e32 vcc, s18, v10
	v_cndmask_b32_e32 v9, v9, v11, vcc
; %bb.211:
	s_or_b64 exec, exec, s[16:17]
	v_lshrrev_b32_e32 v8, 24, v8
	s_movk_i32 s16, 0x80
	v_and_or_b32 v10, v8, s16, v9
                                        ; implicit-def: $vgpr8_vgpr9
.LBB273_212:
	s_andn2_saveexec_b64 s[14:15], s[14:15]
	s_cbranch_execz .LBB273_222
; %bb.213:
	flat_load_ubyte v8, v[8:9]
	s_mov_b32 s16, 0x43f00000
                                        ; implicit-def: $vgpr10
	s_waitcnt vmcnt(0) lgkmcnt(0)
	v_cvt_f32_ubyte0_e32 v8, v8
	v_cmp_gt_u32_e32 vcc, s16, v8
	s_and_saveexec_b64 s[16:17], vcc
	s_xor_b64 s[16:17], exec, s[16:17]
	s_cbranch_execz .LBB273_219
; %bb.214:
	s_mov_b32 s18, 0x3c7fffff
	v_cmp_lt_u32_e32 vcc, s18, v8
                                        ; implicit-def: $vgpr10
	s_and_saveexec_b64 s[18:19], vcc
	s_xor_b64 s[18:19], exec, s[18:19]
; %bb.215:
	v_bfe_u32 v9, v8, 20, 1
	s_mov_b32 s20, 0x407ffff
	v_add3_u32 v8, v8, v9, s20
	v_lshrrev_b32_e32 v9, 20, v8
	v_and_b32_e32 v8, 0xff00000, v8
	s_mov_b32 s20, 0x7f00000
	v_mov_b32_e32 v10, 0x7e
	v_cmp_ne_u32_e32 vcc, s20, v8
	v_cndmask_b32_e32 v10, v10, v9, vcc
                                        ; implicit-def: $vgpr8
; %bb.216:
	s_andn2_saveexec_b64 s[18:19], s[18:19]
; %bb.217:
	v_add_f32_e32 v10, 0x46800000, v8
; %bb.218:
	s_or_b64 exec, exec, s[18:19]
                                        ; implicit-def: $vgpr8
.LBB273_219:
	s_andn2_saveexec_b64 s[16:17], s[16:17]
; %bb.220:
	s_mov_b32 s18, 0x7f800000
	v_mov_b32_e32 v9, 0x7e
	v_mov_b32_e32 v10, 0x7f
	v_cmp_lt_u32_e32 vcc, s18, v8
	v_cndmask_b32_e32 v10, v9, v10, vcc
; %bb.221:
	s_or_b64 exec, exec, s[16:17]
.LBB273_222:
	s_or_b64 exec, exec, s[14:15]
.LBB273_223:
	s_or_b64 exec, exec, s[12:13]
.LBB273_224:
	s_or_b64 exec, exec, s[8:9]
	s_or_b64 s[10:11], s[10:11], exec
.LBB273_225:
	s_or_b64 exec, exec, s[4:5]
	s_mov_b64 s[14:15], 0
	s_mov_b64 s[12:13], 0
	;; [unrolled: 1-line block ×3, first 2 shown]
                                        ; implicit-def: $vgpr11
                                        ; implicit-def: $vgpr8_vgpr9
                                        ; implicit-def: $vgpr12
	s_and_saveexec_b64 s[8:9], s[10:11]
	s_cbranch_execz .LBB273_324
; %bb.226:
	flat_load_dword v12, v[3:4] offset:4
	flat_load_ubyte v11, v[5:6] offset:1
	flat_load_dwordx2 v[8:9], v[1:2] offset:8
	s_mov_b64 s[12:13], -1
	s_mov_b64 s[10:11], 0
	s_mov_b64 s[16:17], s[6:7]
	s_waitcnt vmcnt(0) lgkmcnt(0)
	v_mul_lo_u32 v1, v12, v7
	v_cmp_lt_i16_e32 vcc, 10, v11
                                        ; implicit-def: $vgpr12
	v_ashrrev_i32_e32 v2, 31, v1
	v_add_co_u32_e64 v8, s[4:5], v8, v1
	v_addc_co_u32_e64 v9, s[4:5], v9, v2, s[4:5]
	s_and_saveexec_b64 s[4:5], vcc
	s_cbranch_execz .LBB273_311
; %bb.227:
	v_cmp_lt_i16_e32 vcc, 25, v11
	s_mov_b64 s[16:17], 0
                                        ; implicit-def: $vgpr12
	s_and_saveexec_b64 s[12:13], vcc
	s_xor_b64 s[12:13], exec, s[12:13]
	s_cbranch_execz .LBB273_508
; %bb.228:
	v_cmp_lt_i16_e32 vcc, 28, v11
	s_mov_b64 s[18:19], 0
                                        ; implicit-def: $vgpr12
	s_and_saveexec_b64 s[14:15], vcc
	s_xor_b64 s[14:15], exec, s[14:15]
	s_cbranch_execz .LBB273_268
; %bb.229:
	v_cmp_lt_i16_e32 vcc, 43, v11
	s_mov_b64 s[20:21], 0
	s_mov_b64 s[22:23], 0
                                        ; implicit-def: $vgpr12
	s_and_saveexec_b64 s[16:17], vcc
	s_xor_b64 s[16:17], exec, s[16:17]
	s_cbranch_execz .LBB273_255
; %bb.230:
	v_cmp_lt_i16_e32 vcc, 45, v11
                                        ; implicit-def: $vgpr12
	s_and_saveexec_b64 s[22:23], vcc
	s_xor_b64 s[22:23], exec, s[22:23]
	s_cbranch_execz .LBB273_242
; %bb.231:
	v_cmp_eq_u16_e32 vcc, 46, v11
	s_mov_b64 s[24:25], -1
                                        ; implicit-def: $vgpr12
	s_and_saveexec_b64 s[18:19], vcc
	s_cbranch_execz .LBB273_241
; %bb.232:
	flat_load_dword v1, v[8:9]
	s_mov_b32 s20, 0x43f00000
                                        ; implicit-def: $vgpr2
	s_waitcnt vmcnt(0) lgkmcnt(0)
	v_lshlrev_b32_e32 v1, 16, v1
	v_and_b32_e32 v3, 0x7fffffff, v1
	v_cmp_gt_u32_e32 vcc, s20, v3
	s_and_saveexec_b64 s[20:21], vcc
	s_xor_b64 s[20:21], exec, s[20:21]
	s_cbranch_execz .LBB273_238
; %bb.233:
	s_mov_b32 s24, 0x3c7fffff
	v_cmp_lt_u32_e32 vcc, s24, v3
                                        ; implicit-def: $vgpr2
	s_and_saveexec_b64 s[24:25], vcc
	s_xor_b64 s[24:25], exec, s[24:25]
; %bb.234:
	v_bfe_u32 v2, v1, 20, 1
	s_mov_b32 s26, 0x407ffff
	v_add3_u32 v2, v1, v2, s26
	v_lshrrev_b32_e32 v3, 20, v2
	v_and_b32_e32 v2, 0xff00000, v2
	s_mov_b32 s26, 0x7f00000
	v_mov_b32_e32 v4, 0x7e
	v_cmp_ne_u32_e32 vcc, s26, v2
	v_cndmask_b32_e32 v2, v4, v3, vcc
; %bb.235:
	s_andn2_saveexec_b64 s[24:25], s[24:25]
; %bb.236:
	s_mov_b32 s26, 0x46800000
	v_add_f32_e64 v2, |v1|, s26
; %bb.237:
	s_or_b64 exec, exec, s[24:25]
                                        ; implicit-def: $vgpr3
.LBB273_238:
	s_andn2_saveexec_b64 s[20:21], s[20:21]
; %bb.239:
	s_mov_b32 s24, 0x7f800000
	v_mov_b32_e32 v2, 0x7e
	v_mov_b32_e32 v4, 0x7f
	v_cmp_lt_u32_e32 vcc, s24, v3
	v_cndmask_b32_e32 v2, v2, v4, vcc
; %bb.240:
	s_or_b64 exec, exec, s[20:21]
	v_lshrrev_b32_e32 v1, 24, v1
	s_movk_i32 s24, 0x80
	s_mov_b64 s[20:21], exec
	v_and_or_b32 v12, v1, s24, v2
	s_xor_b64 s[24:25], exec, -1
.LBB273_241:
	s_or_b64 exec, exec, s[18:19]
	s_and_b64 s[20:21], s[20:21], exec
	s_and_b64 s[18:19], s[24:25], exec
.LBB273_242:
	s_andn2_saveexec_b64 s[22:23], s[22:23]
	s_cbranch_execz .LBB273_254
; %bb.243:
	v_cmp_eq_u16_e32 vcc, 44, v11
	s_mov_b64 s[26:27], -1
	s_mov_b64 s[28:29], s[20:21]
                                        ; implicit-def: $vgpr12
	s_and_saveexec_b64 s[24:25], vcc
	s_cbranch_execz .LBB273_253
; %bb.244:
	flat_load_ubyte v1, v[8:9]
	s_movk_i32 s26, 0xff
	v_mov_b32_e32 v2, 0x7f800001
	v_mov_b32_e32 v3, 0x400000
                                        ; implicit-def: $vgpr12
	s_waitcnt vmcnt(0) lgkmcnt(0)
	v_lshlrev_b32_e32 v4, 23, v1
	v_cmp_ne_u32_e32 vcc, s26, v1
	v_cndmask_b32_e32 v2, v2, v4, vcc
	v_cmp_ne_u32_e32 vcc, 0, v1
	v_cndmask_b32_e32 v1, v3, v2, vcc
	s_mov_b32 s26, 0x43f00000
	v_cmp_gt_u32_e32 vcc, s26, v1
	s_and_saveexec_b64 s[26:27], vcc
	s_xor_b64 s[26:27], exec, s[26:27]
	s_cbranch_execz .LBB273_250
; %bb.245:
	s_mov_b32 s28, 0x3c7fffff
	v_cmp_lt_u32_e32 vcc, s28, v1
                                        ; implicit-def: $vgpr12
	s_and_saveexec_b64 s[28:29], vcc
	s_xor_b64 s[28:29], exec, s[28:29]
; %bb.246:
	v_bfe_u32 v2, v1, 20, 1
	s_mov_b32 s40, 0x407ffff
	v_add3_u32 v1, v1, v2, s40
	v_lshrrev_b32_e32 v2, 20, v1
	v_and_b32_e32 v1, 0xff00000, v1
	s_mov_b32 s40, 0x7f00000
	v_mov_b32_e32 v3, 0x7e
	v_cmp_ne_u32_e32 vcc, s40, v1
	v_cndmask_b32_e32 v12, v3, v2, vcc
                                        ; implicit-def: $vgpr1
; %bb.247:
	s_andn2_saveexec_b64 s[28:29], s[28:29]
; %bb.248:
	v_add_f32_e32 v12, 0x46800000, v1
; %bb.249:
	s_or_b64 exec, exec, s[28:29]
                                        ; implicit-def: $vgpr1
.LBB273_250:
	s_andn2_saveexec_b64 s[26:27], s[26:27]
; %bb.251:
	s_mov_b32 s28, 0x7f800000
	v_mov_b32_e32 v2, 0x7e
	v_mov_b32_e32 v3, 0x7f
	v_cmp_lt_u32_e32 vcc, s28, v1
	v_cndmask_b32_e32 v12, v2, v3, vcc
; %bb.252:
	s_or_b64 exec, exec, s[26:27]
	s_or_b64 s[28:29], s[20:21], exec
	s_xor_b64 s[26:27], exec, -1
.LBB273_253:
	s_or_b64 exec, exec, s[24:25]
	s_andn2_b64 s[20:21], s[20:21], exec
	s_and_b64 s[24:25], s[28:29], exec
	s_or_b64 s[20:21], s[20:21], s[24:25]
	s_andn2_b64 s[18:19], s[18:19], exec
	s_and_b64 s[24:25], s[26:27], exec
	s_or_b64 s[18:19], s[18:19], s[24:25]
.LBB273_254:
	s_or_b64 exec, exec, s[22:23]
	s_and_b64 s[22:23], s[20:21], exec
	s_and_b64 s[20:21], s[18:19], exec
.LBB273_255:
	s_andn2_saveexec_b64 s[16:17], s[16:17]
	s_cbranch_execz .LBB273_267
; %bb.256:
	v_cmp_eq_u16_e32 vcc, 29, v11
	s_mov_b64 s[24:25], -1
	s_mov_b64 s[26:27], s[22:23]
                                        ; implicit-def: $vgpr12
	s_and_saveexec_b64 s[18:19], vcc
	s_cbranch_execz .LBB273_266
; %bb.257:
	flat_load_dwordx2 v[1:2], v[8:9]
	s_mov_b32 s24, 0x43f00000
                                        ; implicit-def: $vgpr12
	s_waitcnt vmcnt(0) lgkmcnt(0)
	v_ffbh_u32_e32 v3, v2
	v_min_u32_e32 v3, 32, v3
	v_lshlrev_b64 v[1:2], v3, v[1:2]
	v_min_u32_e32 v1, 1, v1
	v_or_b32_e32 v1, v2, v1
	v_cvt_f32_u32_e32 v1, v1
	v_sub_u32_e32 v2, 32, v3
	v_ldexp_f32 v1, v1, v2
	v_cmp_gt_u32_e32 vcc, s24, v1
	s_and_saveexec_b64 s[24:25], vcc
	s_xor_b64 s[24:25], exec, s[24:25]
	s_cbranch_execz .LBB273_263
; %bb.258:
	s_mov_b32 s26, 0x3c7fffff
	v_cmp_lt_u32_e32 vcc, s26, v1
                                        ; implicit-def: $vgpr12
	s_and_saveexec_b64 s[26:27], vcc
	s_xor_b64 s[26:27], exec, s[26:27]
; %bb.259:
	v_bfe_u32 v2, v1, 20, 1
	s_mov_b32 s28, 0x407ffff
	v_add3_u32 v1, v1, v2, s28
	v_lshrrev_b32_e32 v2, 20, v1
	v_and_b32_e32 v1, 0xff00000, v1
	s_mov_b32 s28, 0x7f00000
	v_mov_b32_e32 v3, 0x7e
	v_cmp_ne_u32_e32 vcc, s28, v1
	v_cndmask_b32_e32 v12, v3, v2, vcc
                                        ; implicit-def: $vgpr1
; %bb.260:
	s_andn2_saveexec_b64 s[26:27], s[26:27]
; %bb.261:
	v_add_f32_e32 v12, 0x46800000, v1
; %bb.262:
	s_or_b64 exec, exec, s[26:27]
                                        ; implicit-def: $vgpr1
.LBB273_263:
	s_andn2_saveexec_b64 s[24:25], s[24:25]
; %bb.264:
	s_mov_b32 s26, 0x7f800000
	v_mov_b32_e32 v2, 0x7e
	v_mov_b32_e32 v3, 0x7f
	v_cmp_lt_u32_e32 vcc, s26, v1
	v_cndmask_b32_e32 v12, v2, v3, vcc
; %bb.265:
	s_or_b64 exec, exec, s[24:25]
	s_or_b64 s[26:27], s[22:23], exec
	s_xor_b64 s[24:25], exec, -1
.LBB273_266:
	s_or_b64 exec, exec, s[18:19]
	s_andn2_b64 s[18:19], s[22:23], exec
	s_and_b64 s[22:23], s[26:27], exec
	s_or_b64 s[22:23], s[18:19], s[22:23]
	s_andn2_b64 s[18:19], s[20:21], exec
	s_and_b64 s[20:21], s[24:25], exec
	s_or_b64 s[20:21], s[18:19], s[20:21]
.LBB273_267:
	s_or_b64 exec, exec, s[16:17]
	s_and_b64 s[18:19], s[22:23], exec
	s_and_b64 s[16:17], s[20:21], exec
.LBB273_268:
	s_andn2_saveexec_b64 s[14:15], s[14:15]
	s_cbranch_execz .LBB273_308
; %bb.269:
	v_cmp_lt_i16_e32 vcc, 26, v11
                                        ; implicit-def: $vgpr12
	s_and_saveexec_b64 s[20:21], vcc
	s_xor_b64 s[20:21], exec, s[20:21]
	s_cbranch_execz .LBB273_291
; %bb.270:
	v_cmp_lt_i16_e32 vcc, 27, v11
                                        ; implicit-def: $vgpr12
	s_and_saveexec_b64 s[22:23], vcc
	s_xor_b64 s[22:23], exec, s[22:23]
	s_cbranch_execz .LBB273_280
; %bb.271:
	flat_load_dword v1, v[8:9]
	s_mov_b32 s24, 0x43f00000
                                        ; implicit-def: $vgpr12
	s_waitcnt vmcnt(0) lgkmcnt(0)
	v_cvt_f32_u32_e32 v1, v1
	v_cmp_gt_u32_e32 vcc, s24, v1
	s_and_saveexec_b64 s[24:25], vcc
	s_xor_b64 s[24:25], exec, s[24:25]
	s_cbranch_execz .LBB273_277
; %bb.272:
	s_mov_b32 s26, 0x3c7fffff
	v_cmp_lt_u32_e32 vcc, s26, v1
                                        ; implicit-def: $vgpr12
	s_and_saveexec_b64 s[26:27], vcc
	s_xor_b64 s[26:27], exec, s[26:27]
; %bb.273:
	v_bfe_u32 v2, v1, 20, 1
	s_mov_b32 s28, 0x407ffff
	v_add3_u32 v1, v1, v2, s28
	v_lshrrev_b32_e32 v2, 20, v1
	v_and_b32_e32 v1, 0xff00000, v1
	s_mov_b32 s28, 0x7f00000
	v_mov_b32_e32 v3, 0x7e
	v_cmp_ne_u32_e32 vcc, s28, v1
	v_cndmask_b32_e32 v12, v3, v2, vcc
                                        ; implicit-def: $vgpr1
; %bb.274:
	s_andn2_saveexec_b64 s[26:27], s[26:27]
; %bb.275:
	v_add_f32_e32 v12, 0x46800000, v1
; %bb.276:
	s_or_b64 exec, exec, s[26:27]
                                        ; implicit-def: $vgpr1
.LBB273_277:
	s_andn2_saveexec_b64 s[24:25], s[24:25]
; %bb.278:
	s_mov_b32 s26, 0x7f800000
	v_mov_b32_e32 v2, 0x7e
	v_mov_b32_e32 v3, 0x7f
	v_cmp_lt_u32_e32 vcc, s26, v1
	v_cndmask_b32_e32 v12, v2, v3, vcc
; %bb.279:
	s_or_b64 exec, exec, s[24:25]
.LBB273_280:
	s_andn2_saveexec_b64 s[22:23], s[22:23]
	s_cbranch_execz .LBB273_290
; %bb.281:
	flat_load_ushort v1, v[8:9]
	s_mov_b32 s24, 0x43f00000
                                        ; implicit-def: $vgpr12
	s_waitcnt vmcnt(0) lgkmcnt(0)
	v_cvt_f32_u32_e32 v1, v1
	v_cmp_gt_u32_e32 vcc, s24, v1
	s_and_saveexec_b64 s[24:25], vcc
	s_xor_b64 s[24:25], exec, s[24:25]
	s_cbranch_execz .LBB273_287
; %bb.282:
	s_mov_b32 s26, 0x3c7fffff
	v_cmp_lt_u32_e32 vcc, s26, v1
                                        ; implicit-def: $vgpr12
	s_and_saveexec_b64 s[26:27], vcc
	s_xor_b64 s[26:27], exec, s[26:27]
; %bb.283:
	v_bfe_u32 v2, v1, 20, 1
	s_mov_b32 s28, 0x407ffff
	v_add3_u32 v1, v1, v2, s28
	v_lshrrev_b32_e32 v2, 20, v1
	v_and_b32_e32 v1, 0xff00000, v1
	s_mov_b32 s28, 0x7f00000
	v_mov_b32_e32 v3, 0x7e
	v_cmp_ne_u32_e32 vcc, s28, v1
	v_cndmask_b32_e32 v12, v3, v2, vcc
                                        ; implicit-def: $vgpr1
; %bb.284:
	s_andn2_saveexec_b64 s[26:27], s[26:27]
; %bb.285:
	v_add_f32_e32 v12, 0x46800000, v1
; %bb.286:
	s_or_b64 exec, exec, s[26:27]
                                        ; implicit-def: $vgpr1
.LBB273_287:
	s_andn2_saveexec_b64 s[24:25], s[24:25]
; %bb.288:
	s_mov_b32 s26, 0x7f800000
	v_mov_b32_e32 v2, 0x7e
	v_mov_b32_e32 v3, 0x7f
	v_cmp_lt_u32_e32 vcc, s26, v1
	v_cndmask_b32_e32 v12, v2, v3, vcc
; %bb.289:
	s_or_b64 exec, exec, s[24:25]
.LBB273_290:
	s_or_b64 exec, exec, s[22:23]
.LBB273_291:
	s_andn2_saveexec_b64 s[20:21], s[20:21]
	s_cbranch_execz .LBB273_307
; %bb.292:
	flat_load_ubyte v2, v[8:9]
	s_movk_i32 s22, 0x7f
	s_waitcnt vmcnt(0) lgkmcnt(0)
	v_cmp_lt_i16_e32 vcc, s22, v2
	s_mov_b64 s[22:23], 0
	s_and_saveexec_b64 s[24:25], vcc
	s_xor_b64 s[24:25], exec, s[24:25]
	s_cbranch_execz .LBB273_561
; %bb.293:
	s_movk_i32 s22, 0x80
	v_cmp_eq_u16_e32 vcc, s22, v2
	s_mov_b64 s[22:23], -1
	s_and_saveexec_b64 s[26:27], vcc
; %bb.294:
	s_xor_b64 s[22:23], exec, -1
; %bb.295:
	s_or_b64 exec, exec, s[26:27]
	s_and_b64 s[22:23], s[22:23], exec
	s_or_saveexec_b64 s[24:25], s[24:25]
	v_mov_b32_e32 v1, 0x7f800001
	s_xor_b64 exec, exec, s[24:25]
	s_cbranch_execnz .LBB273_562
.LBB273_296:
	s_or_b64 exec, exec, s[24:25]
	s_and_saveexec_b64 s[24:25], s[22:23]
	s_cbranch_execz .LBB273_298
.LBB273_297:
	v_lshlrev_b32_e32 v1, 24, v2
	v_and_b32_e32 v2, 0xffff, v2
	v_and_b32_e32 v3, 7, v2
	v_ffbh_u32_e32 v5, v3
	v_min_u32_e32 v5, 32, v5
	v_subrev_u32_e32 v6, 28, v5
	v_bfe_u32 v4, v2, 3, 4
	v_lshlrev_b32_e32 v2, v6, v2
	v_sub_u32_e32 v5, 29, v5
	v_and_b32_e32 v2, 7, v2
	v_cmp_eq_u32_e32 vcc, 0, v4
	v_cndmask_b32_e32 v4, v4, v5, vcc
	v_cndmask_b32_e32 v2, v3, v2, vcc
	v_mov_b32_e32 v3, 0x3b800000
	v_lshlrev_b32_e32 v2, 20, v2
	v_and_b32_e32 v1, 0x80000000, v1
	v_lshl_add_u32 v3, v4, 23, v3
	v_or3_b32 v1, v1, v3, v2
.LBB273_298:
	s_or_b64 exec, exec, s[24:25]
	v_and_b32_e32 v3, 0x7fffffff, v1
	s_mov_b32 s22, 0x43f00000
	v_cmp_gt_u32_e32 vcc, s22, v3
                                        ; implicit-def: $vgpr2
	s_and_saveexec_b64 s[22:23], vcc
	s_xor_b64 s[22:23], exec, s[22:23]
	s_cbranch_execz .LBB273_304
; %bb.299:
	s_mov_b32 s24, 0x3c7fffff
	v_cmp_lt_u32_e32 vcc, s24, v3
                                        ; implicit-def: $vgpr2
	s_and_saveexec_b64 s[24:25], vcc
	s_xor_b64 s[24:25], exec, s[24:25]
; %bb.300:
	v_bfe_u32 v2, v1, 20, 1
	s_mov_b32 s26, 0x407ffff
	v_add3_u32 v2, v1, v2, s26
	v_lshrrev_b32_e32 v3, 20, v2
	v_and_b32_e32 v2, 0xff00000, v2
	s_mov_b32 s26, 0x7f00000
	v_mov_b32_e32 v4, 0x7e
	v_cmp_ne_u32_e32 vcc, s26, v2
	v_cndmask_b32_e32 v2, v4, v3, vcc
; %bb.301:
	s_andn2_saveexec_b64 s[24:25], s[24:25]
; %bb.302:
	s_mov_b32 s26, 0x46800000
	v_add_f32_e64 v2, |v1|, s26
; %bb.303:
	s_or_b64 exec, exec, s[24:25]
                                        ; implicit-def: $vgpr3
.LBB273_304:
	s_andn2_saveexec_b64 s[22:23], s[22:23]
; %bb.305:
	s_mov_b32 s24, 0x7f800000
	v_mov_b32_e32 v2, 0x7e
	v_mov_b32_e32 v4, 0x7f
	v_cmp_lt_u32_e32 vcc, s24, v3
	v_cndmask_b32_e32 v2, v2, v4, vcc
; %bb.306:
	s_or_b64 exec, exec, s[22:23]
	v_lshrrev_b32_e32 v1, 24, v1
	s_movk_i32 s22, 0x80
	v_and_or_b32 v12, v1, s22, v2
.LBB273_307:
	s_or_b64 exec, exec, s[20:21]
	s_or_b64 s[18:19], s[18:19], exec
.LBB273_308:
	s_or_b64 exec, exec, s[14:15]
	s_and_b64 s[14:15], s[18:19], exec
	s_and_b64 s[16:17], s[16:17], exec
	s_andn2_saveexec_b64 s[12:13], s[12:13]
	s_cbranch_execnz .LBB273_509
.LBB273_309:
	s_or_b64 exec, exec, s[12:13]
	s_mov_b64 s[18:19], s[6:7]
	s_and_saveexec_b64 s[12:13], s[16:17]
	s_cbranch_execnz .LBB273_558
.LBB273_310:
	s_or_b64 exec, exec, s[12:13]
	s_andn2_b64 s[16:17], s[6:7], exec
	s_and_b64 s[18:19], s[18:19], exec
	s_and_b64 s[14:15], s[14:15], exec
	s_xor_b64 s[12:13], exec, -1
	s_and_b64 s[10:11], s[10:11], exec
	s_or_b64 s[16:17], s[16:17], s[18:19]
.LBB273_311:
	s_or_b64 exec, exec, s[4:5]
	s_and_b64 s[4:5], s[14:15], exec
	s_and_b64 s[14:15], s[10:11], exec
	s_andn2_b64 s[6:7], s[6:7], exec
	s_and_b64 s[10:11], s[16:17], exec
	s_and_b64 s[12:13], s[12:13], exec
	s_or_b64 s[6:7], s[6:7], s[10:11]
	s_or_b64 exec, exec, s[8:9]
	s_and_saveexec_b64 s[8:9], s[6:7]
	s_cbranch_execnz .LBB273_325
.LBB273_312:
	s_or_b64 exec, exec, s[8:9]
	s_and_saveexec_b64 s[6:7], s[14:15]
	s_cbranch_execz .LBB273_326
.LBB273_313:
	flat_load_ubyte v1, v[8:9]
	s_mov_b32 s8, 0x43f00000
                                        ; implicit-def: $vgpr12
	s_waitcnt vmcnt(0) lgkmcnt(0)
	v_cmp_ne_u16_e32 vcc, 0, v1
	v_cndmask_b32_e64 v1, 0, 1.0, vcc
	v_cmp_gt_u32_e32 vcc, s8, v1
	s_and_saveexec_b64 s[8:9], vcc
	s_xor_b64 s[8:9], exec, s[8:9]
	s_cbranch_execz .LBB273_319
; %bb.314:
	s_mov_b32 s10, 0x3c7fffff
	v_cmp_lt_u32_e32 vcc, s10, v1
                                        ; implicit-def: $vgpr12
	s_and_saveexec_b64 s[10:11], vcc
	s_xor_b64 s[10:11], exec, s[10:11]
; %bb.315:
	v_bfe_u32 v2, v1, 20, 1
	s_mov_b32 s14, 0x407ffff
	v_add3_u32 v1, v1, v2, s14
	v_lshrrev_b32_e32 v2, 20, v1
	v_and_b32_e32 v1, 0xff00000, v1
	s_mov_b32 s14, 0x7f00000
	v_mov_b32_e32 v3, 0x7e
	v_cmp_ne_u32_e32 vcc, s14, v1
	v_cndmask_b32_e32 v12, v3, v2, vcc
                                        ; implicit-def: $vgpr1
; %bb.316:
	s_andn2_saveexec_b64 s[10:11], s[10:11]
; %bb.317:
	v_add_f32_e32 v12, 0x46800000, v1
; %bb.318:
	s_or_b64 exec, exec, s[10:11]
                                        ; implicit-def: $vgpr1
.LBB273_319:
	s_andn2_saveexec_b64 s[8:9], s[8:9]
; %bb.320:
	s_mov_b32 s10, 0x7f800000
	v_mov_b32_e32 v2, 0x7e
	v_mov_b32_e32 v3, 0x7f
	v_cmp_lt_u32_e32 vcc, s10, v1
	v_cndmask_b32_e32 v12, v2, v3, vcc
; %bb.321:
	s_or_b64 exec, exec, s[8:9]
	s_or_b64 s[4:5], s[4:5], exec
	s_or_b64 exec, exec, s[6:7]
	s_and_saveexec_b64 s[6:7], s[12:13]
	s_cbranch_execnz .LBB273_327
.LBB273_322:
	s_or_b64 exec, exec, s[6:7]
                                        ; implicit-def: $sgpr8_sgpr9
	s_and_saveexec_b64 s[6:7], s[4:5]
	s_cbranch_execz .LBB273_456
.LBB273_323:
	s_waitcnt vmcnt(0) lgkmcnt(0)
	v_lshlrev_b32_e32 v1, 24, v10
	v_and_b32_e32 v2, 0x7f000000, v1
	v_ffbh_u32_e32 v3, v2
	v_min_u32_e32 v3, 32, v3
	v_sub_u32_e64 v3, v3, 4 clamp
	v_lshlrev_b32_e32 v5, v3, v2
	v_lshrrev_b32_e32 v5, 4, v5
	v_lshlrev_b32_e32 v3, 23, v3
	v_add_u32_e32 v4, 0x1000000, v2
	v_sub_u32_e32 v3, v5, v3
	v_ashrrev_i32_e32 v4, 8, v4
	v_add_u32_e32 v3, 0x3c000000, v3
	s_mov_b32 s4, 0x7f800000
	v_and_or_b32 v3, v4, s4, v3
	v_cmp_ne_u32_e32 vcc, 0, v2
	v_cndmask_b32_e32 v2, 0, v3, vcc
	s_brev_b32 s5, 1
	v_and_or_b32 v1, v1, s5, v2
	v_lshlrev_b32_e32 v2, 24, v12
	v_and_b32_e32 v3, 0x7f000000, v2
	v_ffbh_u32_e32 v4, v3
	v_min_u32_e32 v4, 32, v4
	v_sub_u32_e64 v4, v4, 4 clamp
	v_lshlrev_b32_e32 v6, v4, v3
	v_lshrrev_b32_e32 v6, 4, v6
	v_lshlrev_b32_e32 v4, 23, v4
	v_add_u32_e32 v5, 0x1000000, v3
	v_sub_u32_e32 v4, v6, v4
	v_ashrrev_i32_e32 v5, 8, v5
	v_add_u32_e32 v4, 0x3c000000, v4
	v_and_or_b32 v4, v5, s4, v4
	v_cmp_ne_u32_e32 vcc, 0, v3
	v_cndmask_b32_e32 v3, 0, v4, vcc
	v_and_or_b32 v2, v2, s5, v3
	v_cmp_eq_f32_e32 vcc, v1, v2
	v_cndmask_b32_e64 v3, 0, 1, vcc
	v_cmp_neq_f32_e32 vcc, v1, v2
	v_cndmask_b32_e64 v1, 0, 1, vcc
	v_cmp_eq_u32_e32 vcc, 0, v0
	v_cndmask_b32_e32 v0, v1, v3, vcc
	v_and_b32_e32 v0, 1, v0
	v_cmp_eq_u32_e64 s[8:9], 1, v0
	s_or_b64 exec, exec, s[6:7]
	v_cndmask_b32_e64 v0, 0, 1, s[8:9]
	s_setpc_b64 s[30:31]
.LBB273_324:
	s_or_b64 exec, exec, s[8:9]
	s_and_saveexec_b64 s[8:9], s[6:7]
	s_cbranch_execz .LBB273_312
.LBB273_325:
	; divergent unreachable
	s_or_b64 exec, exec, s[8:9]
	s_and_saveexec_b64 s[6:7], s[14:15]
	s_cbranch_execnz .LBB273_313
.LBB273_326:
	s_or_b64 exec, exec, s[6:7]
	s_and_saveexec_b64 s[6:7], s[12:13]
	s_cbranch_execz .LBB273_322
.LBB273_327:
	v_cmp_lt_i16_e32 vcc, 4, v11
                                        ; implicit-def: $vgpr12
	s_and_saveexec_b64 s[8:9], vcc
	s_xor_b64 s[8:9], exec, s[8:9]
	s_cbranch_execz .LBB273_397
; %bb.328:
	v_cmp_lt_i16_e32 vcc, 7, v11
                                        ; implicit-def: $vgpr12
	s_and_saveexec_b64 s[10:11], vcc
	s_xor_b64 s[10:11], exec, s[10:11]
	s_cbranch_execz .LBB273_362
; %bb.329:
	;; [unrolled: 6-line block ×4, first 2 shown]
	flat_load_dwordx2 v[1:2], v[8:9]
	s_mov_b32 s16, 0x43f00000
	s_waitcnt vmcnt(0) lgkmcnt(0)
	v_cvt_f32_f64_e32 v1, v[1:2]
                                        ; implicit-def: $vgpr2
	v_and_b32_e32 v3, 0x7fffffff, v1
	v_cmp_gt_u32_e32 vcc, s16, v3
	s_and_saveexec_b64 s[16:17], vcc
	s_xor_b64 s[16:17], exec, s[16:17]
	s_cbranch_execz .LBB273_337
; %bb.332:
	s_mov_b32 s18, 0x3c7fffff
	v_cmp_lt_u32_e32 vcc, s18, v3
                                        ; implicit-def: $vgpr2
	s_and_saveexec_b64 s[18:19], vcc
	s_xor_b64 s[18:19], exec, s[18:19]
; %bb.333:
	v_bfe_u32 v2, v1, 20, 1
	s_mov_b32 s20, 0x407ffff
	v_add3_u32 v2, v1, v2, s20
	v_lshrrev_b32_e32 v3, 20, v2
	v_and_b32_e32 v2, 0xff00000, v2
	s_mov_b32 s20, 0x7f00000
	v_mov_b32_e32 v4, 0x7e
	v_cmp_ne_u32_e32 vcc, s20, v2
	v_cndmask_b32_e32 v2, v4, v3, vcc
; %bb.334:
	s_andn2_saveexec_b64 s[18:19], s[18:19]
; %bb.335:
	s_mov_b32 s20, 0x46800000
	v_add_f32_e64 v2, |v1|, s20
; %bb.336:
	s_or_b64 exec, exec, s[18:19]
                                        ; implicit-def: $vgpr3
.LBB273_337:
	s_andn2_saveexec_b64 s[16:17], s[16:17]
; %bb.338:
	s_mov_b32 s18, 0x7f800000
	v_mov_b32_e32 v2, 0x7e
	v_mov_b32_e32 v4, 0x7f
	v_cmp_lt_u32_e32 vcc, s18, v3
	v_cndmask_b32_e32 v2, v2, v4, vcc
; %bb.339:
	s_or_b64 exec, exec, s[16:17]
	v_lshrrev_b32_e32 v1, 24, v1
	s_movk_i32 s16, 0x80
	v_and_or_b32 v12, v1, s16, v2
                                        ; implicit-def: $vgpr8_vgpr9
.LBB273_340:
	s_andn2_saveexec_b64 s[14:15], s[14:15]
	s_cbranch_execz .LBB273_350
; %bb.341:
	flat_load_dword v1, v[8:9]
	s_mov_b32 s16, 0x43f00000
                                        ; implicit-def: $vgpr2
	s_waitcnt vmcnt(0) lgkmcnt(0)
	v_and_b32_e32 v3, 0x7fffffff, v1
	v_cmp_gt_u32_e32 vcc, s16, v3
	s_and_saveexec_b64 s[16:17], vcc
	s_xor_b64 s[16:17], exec, s[16:17]
	s_cbranch_execz .LBB273_347
; %bb.342:
	s_mov_b32 s18, 0x3c7fffff
	v_cmp_lt_u32_e32 vcc, s18, v3
                                        ; implicit-def: $vgpr2
	s_and_saveexec_b64 s[18:19], vcc
	s_xor_b64 s[18:19], exec, s[18:19]
; %bb.343:
	v_bfe_u32 v2, v1, 20, 1
	s_mov_b32 s20, 0x407ffff
	v_add3_u32 v2, v1, v2, s20
	v_lshrrev_b32_e32 v3, 20, v2
	v_and_b32_e32 v2, 0xff00000, v2
	s_mov_b32 s20, 0x7f00000
	v_mov_b32_e32 v4, 0x7e
	v_cmp_ne_u32_e32 vcc, s20, v2
	v_cndmask_b32_e32 v2, v4, v3, vcc
; %bb.344:
	s_andn2_saveexec_b64 s[18:19], s[18:19]
; %bb.345:
	s_mov_b32 s20, 0x46800000
	v_add_f32_e64 v2, |v1|, s20
; %bb.346:
	s_or_b64 exec, exec, s[18:19]
                                        ; implicit-def: $vgpr3
.LBB273_347:
	s_andn2_saveexec_b64 s[16:17], s[16:17]
; %bb.348:
	s_mov_b32 s18, 0x7f800000
	v_mov_b32_e32 v2, 0x7e
	v_mov_b32_e32 v4, 0x7f
	v_cmp_lt_u32_e32 vcc, s18, v3
	v_cndmask_b32_e32 v2, v2, v4, vcc
; %bb.349:
	s_or_b64 exec, exec, s[16:17]
	v_lshrrev_b32_e32 v1, 24, v1
	s_movk_i32 s16, 0x80
	v_and_or_b32 v12, v1, s16, v2
.LBB273_350:
	s_or_b64 exec, exec, s[14:15]
                                        ; implicit-def: $vgpr8_vgpr9
.LBB273_351:
	s_andn2_saveexec_b64 s[12:13], s[12:13]
	s_cbranch_execz .LBB273_361
; %bb.352:
	flat_load_dword v1, v[8:9]
	s_mov_b32 s14, 0x43f00000
                                        ; implicit-def: $vgpr2
	s_waitcnt vmcnt(0) lgkmcnt(0)
	v_cvt_f32_f16_e32 v1, v1
	v_and_b32_e32 v3, 0x7fffffff, v1
	v_cmp_gt_u32_e32 vcc, s14, v3
	s_and_saveexec_b64 s[14:15], vcc
	s_xor_b64 s[14:15], exec, s[14:15]
	s_cbranch_execz .LBB273_358
; %bb.353:
	s_mov_b32 s16, 0x3c7fffff
	v_cmp_lt_u32_e32 vcc, s16, v3
                                        ; implicit-def: $vgpr2
	s_and_saveexec_b64 s[16:17], vcc
	s_xor_b64 s[16:17], exec, s[16:17]
; %bb.354:
	v_bfe_u32 v2, v1, 20, 1
	s_mov_b32 s18, 0x407ffff
	v_add3_u32 v2, v1, v2, s18
	v_lshrrev_b32_e32 v3, 20, v2
	v_and_b32_e32 v2, 0xff00000, v2
	s_mov_b32 s18, 0x7f00000
	v_mov_b32_e32 v4, 0x7e
	v_cmp_ne_u32_e32 vcc, s18, v2
	v_cndmask_b32_e32 v2, v4, v3, vcc
; %bb.355:
	s_andn2_saveexec_b64 s[16:17], s[16:17]
; %bb.356:
	s_mov_b32 s18, 0x46800000
	v_add_f32_e64 v2, |v1|, s18
; %bb.357:
	s_or_b64 exec, exec, s[16:17]
                                        ; implicit-def: $vgpr3
.LBB273_358:
	s_andn2_saveexec_b64 s[14:15], s[14:15]
; %bb.359:
	s_mov_b32 s16, 0x7f800000
	v_mov_b32_e32 v2, 0x7e
	v_mov_b32_e32 v4, 0x7f
	v_cmp_lt_u32_e32 vcc, s16, v3
	v_cndmask_b32_e32 v2, v2, v4, vcc
; %bb.360:
	s_or_b64 exec, exec, s[14:15]
	v_lshrrev_b32_e32 v1, 24, v1
	s_movk_i32 s14, 0x80
	v_and_or_b32 v12, v1, s14, v2
.LBB273_361:
	s_or_b64 exec, exec, s[12:13]
                                        ; implicit-def: $vgpr8_vgpr9
.LBB273_362:
	s_andn2_saveexec_b64 s[10:11], s[10:11]
	s_cbranch_execz .LBB273_396
; %bb.363:
	v_cmp_lt_i16_e32 vcc, 5, v11
                                        ; implicit-def: $vgpr12
	s_and_saveexec_b64 s[12:13], vcc
	s_xor_b64 s[12:13], exec, s[12:13]
	s_cbranch_execz .LBB273_385
; %bb.364:
	v_cmp_lt_i16_e32 vcc, 6, v11
                                        ; implicit-def: $vgpr12
	s_and_saveexec_b64 s[14:15], vcc
	s_xor_b64 s[14:15], exec, s[14:15]
	s_cbranch_execz .LBB273_374
; %bb.365:
	flat_load_dwordx2 v[1:2], v[8:9]
	s_mov_b32 s16, 0x43f00000
	s_waitcnt vmcnt(0) lgkmcnt(0)
	v_cvt_f32_f64_e32 v1, v[1:2]
                                        ; implicit-def: $vgpr2
	v_and_b32_e32 v3, 0x7fffffff, v1
	v_cmp_gt_u32_e32 vcc, s16, v3
	s_and_saveexec_b64 s[16:17], vcc
	s_xor_b64 s[16:17], exec, s[16:17]
	s_cbranch_execz .LBB273_371
; %bb.366:
	s_mov_b32 s18, 0x3c7fffff
	v_cmp_lt_u32_e32 vcc, s18, v3
                                        ; implicit-def: $vgpr2
	s_and_saveexec_b64 s[18:19], vcc
	s_xor_b64 s[18:19], exec, s[18:19]
; %bb.367:
	v_bfe_u32 v2, v1, 20, 1
	s_mov_b32 s20, 0x407ffff
	v_add3_u32 v2, v1, v2, s20
	v_lshrrev_b32_e32 v3, 20, v2
	v_and_b32_e32 v2, 0xff00000, v2
	s_mov_b32 s20, 0x7f00000
	v_mov_b32_e32 v4, 0x7e
	v_cmp_ne_u32_e32 vcc, s20, v2
	v_cndmask_b32_e32 v2, v4, v3, vcc
; %bb.368:
	s_andn2_saveexec_b64 s[18:19], s[18:19]
; %bb.369:
	s_mov_b32 s20, 0x46800000
	v_add_f32_e64 v2, |v1|, s20
; %bb.370:
	s_or_b64 exec, exec, s[18:19]
                                        ; implicit-def: $vgpr3
.LBB273_371:
	s_andn2_saveexec_b64 s[16:17], s[16:17]
; %bb.372:
	s_mov_b32 s18, 0x7f800000
	v_mov_b32_e32 v2, 0x7e
	v_mov_b32_e32 v4, 0x7f
	v_cmp_lt_u32_e32 vcc, s18, v3
	v_cndmask_b32_e32 v2, v2, v4, vcc
; %bb.373:
	s_or_b64 exec, exec, s[16:17]
	v_lshrrev_b32_e32 v1, 24, v1
	s_movk_i32 s16, 0x80
	v_and_or_b32 v12, v1, s16, v2
                                        ; implicit-def: $vgpr8_vgpr9
.LBB273_374:
	s_andn2_saveexec_b64 s[14:15], s[14:15]
	s_cbranch_execz .LBB273_384
; %bb.375:
	flat_load_dword v1, v[8:9]
	s_mov_b32 s16, 0x43f00000
                                        ; implicit-def: $vgpr2
	s_waitcnt vmcnt(0) lgkmcnt(0)
	v_and_b32_e32 v3, 0x7fffffff, v1
	v_cmp_gt_u32_e32 vcc, s16, v3
	s_and_saveexec_b64 s[16:17], vcc
	s_xor_b64 s[16:17], exec, s[16:17]
	s_cbranch_execz .LBB273_381
; %bb.376:
	s_mov_b32 s18, 0x3c7fffff
	v_cmp_lt_u32_e32 vcc, s18, v3
                                        ; implicit-def: $vgpr2
	s_and_saveexec_b64 s[18:19], vcc
	s_xor_b64 s[18:19], exec, s[18:19]
; %bb.377:
	v_bfe_u32 v2, v1, 20, 1
	s_mov_b32 s20, 0x407ffff
	v_add3_u32 v2, v1, v2, s20
	v_lshrrev_b32_e32 v3, 20, v2
	v_and_b32_e32 v2, 0xff00000, v2
	s_mov_b32 s20, 0x7f00000
	v_mov_b32_e32 v4, 0x7e
	v_cmp_ne_u32_e32 vcc, s20, v2
	v_cndmask_b32_e32 v2, v4, v3, vcc
; %bb.378:
	s_andn2_saveexec_b64 s[18:19], s[18:19]
; %bb.379:
	s_mov_b32 s20, 0x46800000
	v_add_f32_e64 v2, |v1|, s20
; %bb.380:
	s_or_b64 exec, exec, s[18:19]
                                        ; implicit-def: $vgpr3
.LBB273_381:
	s_andn2_saveexec_b64 s[16:17], s[16:17]
; %bb.382:
	s_mov_b32 s18, 0x7f800000
	v_mov_b32_e32 v2, 0x7e
	v_mov_b32_e32 v4, 0x7f
	v_cmp_lt_u32_e32 vcc, s18, v3
	v_cndmask_b32_e32 v2, v2, v4, vcc
; %bb.383:
	s_or_b64 exec, exec, s[16:17]
	v_lshrrev_b32_e32 v1, 24, v1
	s_movk_i32 s16, 0x80
	v_and_or_b32 v12, v1, s16, v2
.LBB273_384:
	s_or_b64 exec, exec, s[14:15]
                                        ; implicit-def: $vgpr8_vgpr9
.LBB273_385:
	s_andn2_saveexec_b64 s[12:13], s[12:13]
	s_cbranch_execz .LBB273_395
; %bb.386:
	flat_load_ushort v1, v[8:9]
	s_mov_b32 s14, 0x43f00000
                                        ; implicit-def: $vgpr2
	s_waitcnt vmcnt(0) lgkmcnt(0)
	v_cvt_f32_f16_e32 v1, v1
	v_and_b32_e32 v3, 0x7fffffff, v1
	v_cmp_gt_u32_e32 vcc, s14, v3
	s_and_saveexec_b64 s[14:15], vcc
	s_xor_b64 s[14:15], exec, s[14:15]
	s_cbranch_execz .LBB273_392
; %bb.387:
	s_mov_b32 s16, 0x3c7fffff
	v_cmp_lt_u32_e32 vcc, s16, v3
                                        ; implicit-def: $vgpr2
	s_and_saveexec_b64 s[16:17], vcc
	s_xor_b64 s[16:17], exec, s[16:17]
; %bb.388:
	v_bfe_u32 v2, v1, 20, 1
	s_mov_b32 s18, 0x407ffff
	v_add3_u32 v2, v1, v2, s18
	v_lshrrev_b32_e32 v3, 20, v2
	v_and_b32_e32 v2, 0xff00000, v2
	s_mov_b32 s18, 0x7f00000
	v_mov_b32_e32 v4, 0x7e
	v_cmp_ne_u32_e32 vcc, s18, v2
	v_cndmask_b32_e32 v2, v4, v3, vcc
; %bb.389:
	s_andn2_saveexec_b64 s[16:17], s[16:17]
; %bb.390:
	s_mov_b32 s18, 0x46800000
	v_add_f32_e64 v2, |v1|, s18
; %bb.391:
	s_or_b64 exec, exec, s[16:17]
                                        ; implicit-def: $vgpr3
.LBB273_392:
	s_andn2_saveexec_b64 s[14:15], s[14:15]
; %bb.393:
	s_mov_b32 s16, 0x7f800000
	v_mov_b32_e32 v2, 0x7e
	v_mov_b32_e32 v4, 0x7f
	v_cmp_lt_u32_e32 vcc, s16, v3
	v_cndmask_b32_e32 v2, v2, v4, vcc
; %bb.394:
	s_or_b64 exec, exec, s[14:15]
	v_lshrrev_b32_e32 v1, 24, v1
	s_movk_i32 s14, 0x80
	v_and_or_b32 v12, v1, s14, v2
.LBB273_395:
	s_or_b64 exec, exec, s[12:13]
.LBB273_396:
	s_or_b64 exec, exec, s[10:11]
                                        ; implicit-def: $vgpr8_vgpr9
.LBB273_397:
	s_andn2_saveexec_b64 s[8:9], s[8:9]
	s_cbranch_execz .LBB273_455
; %bb.398:
	v_cmp_lt_i16_e32 vcc, 1, v11
                                        ; implicit-def: $vgpr12
	s_and_saveexec_b64 s[10:11], vcc
	s_xor_b64 s[10:11], exec, s[10:11]
	s_cbranch_execz .LBB273_432
; %bb.399:
	v_cmp_lt_i16_e32 vcc, 2, v11
                                        ; implicit-def: $vgpr12
	s_and_saveexec_b64 s[12:13], vcc
	s_xor_b64 s[12:13], exec, s[12:13]
	;; [unrolled: 6-line block ×3, first 2 shown]
	s_cbranch_execz .LBB273_410
; %bb.401:
	flat_load_dwordx2 v[1:2], v[8:9]
	s_mov_b32 s16, 0x43f00000
	s_waitcnt vmcnt(0) lgkmcnt(0)
	v_xor_b32_e32 v4, v1, v2
	v_ffbh_i32_e32 v3, v2
	v_ashrrev_i32_e32 v4, 31, v4
	v_add_u32_e32 v3, -1, v3
	v_add_u32_e32 v4, 32, v4
	v_min_u32_e32 v3, v3, v4
	v_lshlrev_b64 v[1:2], v3, v[1:2]
	v_min_u32_e32 v1, 1, v1
	v_or_b32_e32 v1, v2, v1
	v_cvt_f32_i32_e32 v1, v1
	v_sub_u32_e32 v2, 32, v3
	v_ldexp_f32 v1, v1, v2
	v_and_b32_e32 v3, 0x7fffffff, v1
	v_cmp_gt_u32_e32 vcc, s16, v3
                                        ; implicit-def: $vgpr2
	s_and_saveexec_b64 s[16:17], vcc
	s_xor_b64 s[16:17], exec, s[16:17]
	s_cbranch_execz .LBB273_407
; %bb.402:
	s_mov_b32 s18, 0x3c7fffff
	v_cmp_lt_u32_e32 vcc, s18, v3
                                        ; implicit-def: $vgpr2
	s_and_saveexec_b64 s[18:19], vcc
	s_xor_b64 s[18:19], exec, s[18:19]
; %bb.403:
	v_bfe_u32 v2, v1, 20, 1
	s_mov_b32 s20, 0x407ffff
	v_add3_u32 v2, v1, v2, s20
	v_lshrrev_b32_e32 v3, 20, v2
	v_and_b32_e32 v2, 0xff00000, v2
	s_mov_b32 s20, 0x7f00000
	v_mov_b32_e32 v4, 0x7e
	v_cmp_ne_u32_e32 vcc, s20, v2
	v_cndmask_b32_e32 v2, v4, v3, vcc
; %bb.404:
	s_andn2_saveexec_b64 s[18:19], s[18:19]
; %bb.405:
	s_mov_b32 s20, 0x46800000
	v_add_f32_e64 v2, |v1|, s20
; %bb.406:
	s_or_b64 exec, exec, s[18:19]
                                        ; implicit-def: $vgpr3
.LBB273_407:
	s_andn2_saveexec_b64 s[16:17], s[16:17]
; %bb.408:
	s_mov_b32 s18, 0x7f800000
	v_mov_b32_e32 v2, 0x7e
	v_mov_b32_e32 v4, 0x7f
	v_cmp_lt_u32_e32 vcc, s18, v3
	v_cndmask_b32_e32 v2, v2, v4, vcc
; %bb.409:
	s_or_b64 exec, exec, s[16:17]
	v_lshrrev_b32_e32 v1, 24, v1
	s_movk_i32 s16, 0x80
	v_and_or_b32 v12, v1, s16, v2
                                        ; implicit-def: $vgpr8_vgpr9
.LBB273_410:
	s_andn2_saveexec_b64 s[14:15], s[14:15]
	s_cbranch_execz .LBB273_420
; %bb.411:
	flat_load_dword v1, v[8:9]
	s_mov_b32 s16, 0x43f00000
                                        ; implicit-def: $vgpr2
	s_waitcnt vmcnt(0) lgkmcnt(0)
	v_cvt_f32_i32_e32 v1, v1
	v_and_b32_e32 v3, 0x7fffffff, v1
	v_cmp_gt_u32_e32 vcc, s16, v3
	s_and_saveexec_b64 s[16:17], vcc
	s_xor_b64 s[16:17], exec, s[16:17]
	s_cbranch_execz .LBB273_417
; %bb.412:
	s_mov_b32 s18, 0x3c7fffff
	v_cmp_lt_u32_e32 vcc, s18, v3
                                        ; implicit-def: $vgpr2
	s_and_saveexec_b64 s[18:19], vcc
	s_xor_b64 s[18:19], exec, s[18:19]
; %bb.413:
	v_bfe_u32 v2, v1, 20, 1
	s_mov_b32 s20, 0x407ffff
	v_add3_u32 v2, v1, v2, s20
	v_lshrrev_b32_e32 v3, 20, v2
	v_and_b32_e32 v2, 0xff00000, v2
	s_mov_b32 s20, 0x7f00000
	v_mov_b32_e32 v4, 0x7e
	v_cmp_ne_u32_e32 vcc, s20, v2
	v_cndmask_b32_e32 v2, v4, v3, vcc
; %bb.414:
	s_andn2_saveexec_b64 s[18:19], s[18:19]
; %bb.415:
	s_mov_b32 s20, 0x46800000
	v_add_f32_e64 v2, |v1|, s20
; %bb.416:
	s_or_b64 exec, exec, s[18:19]
                                        ; implicit-def: $vgpr3
.LBB273_417:
	s_andn2_saveexec_b64 s[16:17], s[16:17]
; %bb.418:
	s_mov_b32 s18, 0x7f800000
	v_mov_b32_e32 v2, 0x7e
	v_mov_b32_e32 v4, 0x7f
	v_cmp_lt_u32_e32 vcc, s18, v3
	v_cndmask_b32_e32 v2, v2, v4, vcc
; %bb.419:
	s_or_b64 exec, exec, s[16:17]
	v_lshrrev_b32_e32 v1, 24, v1
	s_movk_i32 s16, 0x80
	v_and_or_b32 v12, v1, s16, v2
.LBB273_420:
	s_or_b64 exec, exec, s[14:15]
                                        ; implicit-def: $vgpr8_vgpr9
.LBB273_421:
	s_andn2_saveexec_b64 s[12:13], s[12:13]
	s_cbranch_execz .LBB273_431
; %bb.422:
	flat_load_sshort v1, v[8:9]
	s_mov_b32 s14, 0x43f00000
                                        ; implicit-def: $vgpr2
	s_waitcnt vmcnt(0) lgkmcnt(0)
	v_cvt_f32_i32_e32 v1, v1
	v_and_b32_e32 v3, 0x7fffffff, v1
	v_cmp_gt_u32_e32 vcc, s14, v3
	s_and_saveexec_b64 s[14:15], vcc
	s_xor_b64 s[14:15], exec, s[14:15]
	s_cbranch_execz .LBB273_428
; %bb.423:
	s_mov_b32 s16, 0x3c7fffff
	v_cmp_lt_u32_e32 vcc, s16, v3
                                        ; implicit-def: $vgpr2
	s_and_saveexec_b64 s[16:17], vcc
	s_xor_b64 s[16:17], exec, s[16:17]
; %bb.424:
	v_bfe_u32 v2, v1, 20, 1
	s_mov_b32 s18, 0x407ffff
	v_add3_u32 v2, v1, v2, s18
	v_lshrrev_b32_e32 v3, 20, v2
	v_and_b32_e32 v2, 0xff00000, v2
	s_mov_b32 s18, 0x7f00000
	v_mov_b32_e32 v4, 0x7e
	v_cmp_ne_u32_e32 vcc, s18, v2
	v_cndmask_b32_e32 v2, v4, v3, vcc
; %bb.425:
	s_andn2_saveexec_b64 s[16:17], s[16:17]
; %bb.426:
	s_mov_b32 s18, 0x46800000
	v_add_f32_e64 v2, |v1|, s18
; %bb.427:
	s_or_b64 exec, exec, s[16:17]
                                        ; implicit-def: $vgpr3
.LBB273_428:
	s_andn2_saveexec_b64 s[14:15], s[14:15]
; %bb.429:
	s_mov_b32 s16, 0x7f800000
	v_mov_b32_e32 v2, 0x7e
	v_mov_b32_e32 v4, 0x7f
	v_cmp_lt_u32_e32 vcc, s16, v3
	v_cndmask_b32_e32 v2, v2, v4, vcc
; %bb.430:
	s_or_b64 exec, exec, s[14:15]
	v_lshrrev_b32_e32 v1, 24, v1
	s_movk_i32 s14, 0x80
	v_and_or_b32 v12, v1, s14, v2
.LBB273_431:
	s_or_b64 exec, exec, s[12:13]
                                        ; implicit-def: $vgpr8_vgpr9
.LBB273_432:
	s_andn2_saveexec_b64 s[10:11], s[10:11]
	s_cbranch_execz .LBB273_454
; %bb.433:
	v_cmp_lt_i16_e32 vcc, 0, v11
                                        ; implicit-def: $vgpr12
	s_and_saveexec_b64 s[12:13], vcc
	s_xor_b64 s[12:13], exec, s[12:13]
	s_cbranch_execz .LBB273_443
; %bb.434:
	flat_load_sbyte v1, v[8:9]
	s_mov_b32 s14, 0x43f00000
                                        ; implicit-def: $vgpr2
	s_waitcnt vmcnt(0) lgkmcnt(0)
	v_cvt_f32_i32_e32 v1, v1
	v_and_b32_e32 v3, 0x7fffffff, v1
	v_cmp_gt_u32_e32 vcc, s14, v3
	s_and_saveexec_b64 s[14:15], vcc
	s_xor_b64 s[14:15], exec, s[14:15]
	s_cbranch_execz .LBB273_440
; %bb.435:
	s_mov_b32 s16, 0x3c7fffff
	v_cmp_lt_u32_e32 vcc, s16, v3
                                        ; implicit-def: $vgpr2
	s_and_saveexec_b64 s[16:17], vcc
	s_xor_b64 s[16:17], exec, s[16:17]
; %bb.436:
	v_bfe_u32 v2, v1, 20, 1
	s_mov_b32 s18, 0x407ffff
	v_add3_u32 v2, v1, v2, s18
	v_lshrrev_b32_e32 v3, 20, v2
	v_and_b32_e32 v2, 0xff00000, v2
	s_mov_b32 s18, 0x7f00000
	v_mov_b32_e32 v4, 0x7e
	v_cmp_ne_u32_e32 vcc, s18, v2
	v_cndmask_b32_e32 v2, v4, v3, vcc
; %bb.437:
	s_andn2_saveexec_b64 s[16:17], s[16:17]
; %bb.438:
	s_mov_b32 s18, 0x46800000
	v_add_f32_e64 v2, |v1|, s18
; %bb.439:
	s_or_b64 exec, exec, s[16:17]
                                        ; implicit-def: $vgpr3
.LBB273_440:
	s_andn2_saveexec_b64 s[14:15], s[14:15]
; %bb.441:
	s_mov_b32 s16, 0x7f800000
	v_mov_b32_e32 v2, 0x7e
	v_mov_b32_e32 v4, 0x7f
	v_cmp_lt_u32_e32 vcc, s16, v3
	v_cndmask_b32_e32 v2, v2, v4, vcc
; %bb.442:
	s_or_b64 exec, exec, s[14:15]
	v_lshrrev_b32_e32 v1, 24, v1
	s_movk_i32 s14, 0x80
	v_and_or_b32 v12, v1, s14, v2
                                        ; implicit-def: $vgpr8_vgpr9
.LBB273_443:
	s_andn2_saveexec_b64 s[12:13], s[12:13]
	s_cbranch_execz .LBB273_453
; %bb.444:
	flat_load_ubyte v1, v[8:9]
	s_mov_b32 s14, 0x43f00000
                                        ; implicit-def: $vgpr12
	s_waitcnt vmcnt(0) lgkmcnt(0)
	v_cvt_f32_ubyte0_e32 v1, v1
	v_cmp_gt_u32_e32 vcc, s14, v1
	s_and_saveexec_b64 s[14:15], vcc
	s_xor_b64 s[14:15], exec, s[14:15]
	s_cbranch_execz .LBB273_450
; %bb.445:
	s_mov_b32 s16, 0x3c7fffff
	v_cmp_lt_u32_e32 vcc, s16, v1
                                        ; implicit-def: $vgpr12
	s_and_saveexec_b64 s[16:17], vcc
	s_xor_b64 s[16:17], exec, s[16:17]
; %bb.446:
	v_bfe_u32 v2, v1, 20, 1
	s_mov_b32 s18, 0x407ffff
	v_add3_u32 v1, v1, v2, s18
	v_lshrrev_b32_e32 v2, 20, v1
	v_and_b32_e32 v1, 0xff00000, v1
	s_mov_b32 s18, 0x7f00000
	v_mov_b32_e32 v3, 0x7e
	v_cmp_ne_u32_e32 vcc, s18, v1
	v_cndmask_b32_e32 v12, v3, v2, vcc
                                        ; implicit-def: $vgpr1
; %bb.447:
	s_andn2_saveexec_b64 s[16:17], s[16:17]
; %bb.448:
	v_add_f32_e32 v12, 0x46800000, v1
; %bb.449:
	s_or_b64 exec, exec, s[16:17]
                                        ; implicit-def: $vgpr1
.LBB273_450:
	s_andn2_saveexec_b64 s[14:15], s[14:15]
; %bb.451:
	s_mov_b32 s16, 0x7f800000
	v_mov_b32_e32 v2, 0x7e
	v_mov_b32_e32 v3, 0x7f
	v_cmp_lt_u32_e32 vcc, s16, v1
	v_cndmask_b32_e32 v12, v2, v3, vcc
; %bb.452:
	s_or_b64 exec, exec, s[14:15]
.LBB273_453:
	s_or_b64 exec, exec, s[12:13]
.LBB273_454:
	s_or_b64 exec, exec, s[10:11]
.LBB273_455:
	s_or_b64 exec, exec, s[8:9]
	s_or_b64 s[4:5], s[4:5], exec
	s_or_b64 exec, exec, s[6:7]
                                        ; implicit-def: $sgpr8_sgpr9
	s_and_saveexec_b64 s[6:7], s[4:5]
	s_cbranch_execnz .LBB273_323
.LBB273_456:
	s_or_b64 exec, exec, s[6:7]
	v_cndmask_b32_e64 v0, 0, 1, s[8:9]
	s_waitcnt vmcnt(0) lgkmcnt(0)
	s_setpc_b64 s[30:31]
.LBB273_457:
	s_andn2_saveexec_b64 s[8:9], s[8:9]
	s_cbranch_execz .LBB273_83
.LBB273_458:
	v_cmp_lt_i16_e32 vcc, 22, v11
	s_mov_b64 s[14:15], s[10:11]
                                        ; implicit-def: $vgpr10
	s_and_saveexec_b64 s[6:7], vcc
	s_xor_b64 s[6:7], exec, s[6:7]
	s_cbranch_execz .LBB273_490
; %bb.459:
	v_cmp_lt_i16_e32 vcc, 23, v11
                                        ; implicit-def: $vgpr10
	s_and_saveexec_b64 s[14:15], vcc
	s_xor_b64 s[14:15], exec, s[14:15]
	s_cbranch_execz .LBB273_479
; %bb.460:
	v_cmp_lt_i16_e32 vcc, 24, v11
                                        ; implicit-def: $vgpr10
	s_and_saveexec_b64 s[16:17], vcc
	s_xor_b64 s[16:17], exec, s[16:17]
	s_cbranch_execz .LBB273_476
; %bb.461:
	flat_load_ubyte v11, v[8:9]
	s_movk_i32 s18, 0x7f
	s_waitcnt vmcnt(0) lgkmcnt(0)
	v_cmp_lt_i16_e32 vcc, s18, v11
	s_mov_b64 s[18:19], 0
	s_and_saveexec_b64 s[20:21], vcc
	s_xor_b64 s[20:21], exec, s[20:21]
	s_cbranch_execz .LBB273_563
; %bb.462:
	s_movk_i32 s18, 0x80
	v_cmp_eq_u16_e32 vcc, s18, v11
	s_mov_b64 s[18:19], -1
	s_and_saveexec_b64 s[22:23], vcc
; %bb.463:
	s_xor_b64 s[18:19], exec, -1
; %bb.464:
	s_or_b64 exec, exec, s[22:23]
	s_and_b64 s[18:19], s[18:19], exec
	s_or_saveexec_b64 s[20:21], s[20:21]
	v_mov_b32_e32 v10, 0x7f800001
	s_xor_b64 exec, exec, s[20:21]
	s_cbranch_execnz .LBB273_564
.LBB273_465:
	s_or_b64 exec, exec, s[20:21]
	s_and_saveexec_b64 s[20:21], s[18:19]
	s_cbranch_execz .LBB273_467
.LBB273_466:
	v_lshlrev_b32_e32 v10, 24, v11
	v_and_b32_e32 v11, 0xffff, v11
	v_and_b32_e32 v12, 3, v11
	v_ffbh_u32_e32 v14, v12
	v_min_u32_e32 v14, 32, v14
	v_subrev_u32_e32 v15, 29, v14
	v_bfe_u32 v13, v11, 2, 5
	v_lshlrev_b32_e32 v11, v15, v11
	v_sub_u32_e32 v14, 30, v14
	v_and_b32_e32 v11, 3, v11
	v_cmp_eq_u32_e32 vcc, 0, v13
	v_cndmask_b32_e32 v13, v13, v14, vcc
	v_cndmask_b32_e32 v11, v12, v11, vcc
	v_mov_b32_e32 v12, 0x37800000
	v_lshlrev_b32_e32 v11, 21, v11
	v_and_b32_e32 v10, 0x80000000, v10
	v_lshl_add_u32 v12, v13, 23, v12
	v_or3_b32 v10, v10, v12, v11
.LBB273_467:
	s_or_b64 exec, exec, s[20:21]
	v_and_b32_e32 v12, 0x7fffffff, v10
	s_mov_b32 s18, 0x43f00000
	v_cmp_gt_u32_e32 vcc, s18, v12
                                        ; implicit-def: $vgpr11
	s_and_saveexec_b64 s[18:19], vcc
	s_xor_b64 s[18:19], exec, s[18:19]
	s_cbranch_execz .LBB273_473
; %bb.468:
	s_mov_b32 s20, 0x3c7fffff
	v_cmp_lt_u32_e32 vcc, s20, v12
                                        ; implicit-def: $vgpr11
	s_and_saveexec_b64 s[20:21], vcc
	s_xor_b64 s[20:21], exec, s[20:21]
; %bb.469:
	v_bfe_u32 v11, v10, 20, 1
	s_mov_b32 s22, 0x407ffff
	v_add3_u32 v11, v10, v11, s22
	v_lshrrev_b32_e32 v12, 20, v11
	v_and_b32_e32 v11, 0xff00000, v11
	s_mov_b32 s22, 0x7f00000
	v_mov_b32_e32 v13, 0x7e
	v_cmp_ne_u32_e32 vcc, s22, v11
	v_cndmask_b32_e32 v11, v13, v12, vcc
; %bb.470:
	s_andn2_saveexec_b64 s[20:21], s[20:21]
; %bb.471:
	s_mov_b32 s22, 0x46800000
	v_add_f32_e64 v11, |v10|, s22
; %bb.472:
	s_or_b64 exec, exec, s[20:21]
                                        ; implicit-def: $vgpr12
.LBB273_473:
	s_andn2_saveexec_b64 s[18:19], s[18:19]
; %bb.474:
	s_mov_b32 s20, 0x7f800000
	v_mov_b32_e32 v11, 0x7e
	v_mov_b32_e32 v13, 0x7f
	v_cmp_lt_u32_e32 vcc, s20, v12
	v_cndmask_b32_e32 v11, v11, v13, vcc
; %bb.475:
	s_or_b64 exec, exec, s[18:19]
	v_lshrrev_b32_e32 v10, 24, v10
	s_movk_i32 s18, 0x80
	v_and_or_b32 v10, v10, s18, v11
.LBB273_476:
	s_andn2_saveexec_b64 s[16:17], s[16:17]
	s_cbranch_execz .LBB273_478
; %bb.477:
	flat_load_ubyte v10, v[8:9]
.LBB273_478:
	s_or_b64 exec, exec, s[16:17]
.LBB273_479:
	s_andn2_saveexec_b64 s[14:15], s[14:15]
	s_cbranch_execz .LBB273_489
; %bb.480:
	s_waitcnt vmcnt(0) lgkmcnt(0)
	flat_load_ubyte v10, v[8:9]
	s_movk_i32 s16, 0x7f00
	s_brev_b32 s17, 16
	s_brev_b32 s18, 1
	s_waitcnt vmcnt(0) lgkmcnt(0)
	v_lshlrev_b16_e32 v11, 8, v10
	v_lshlrev_b32_e32 v10, 25, v10
	v_lshrrev_b32_e32 v12, 4, v10
	v_and_or_b32 v13, v11, s16, 0.5
	v_or_b32_e32 v12, 0x70000000, v12
	v_add_f32_e32 v13, -0.5, v13
	v_mul_f32_e32 v12, 0x7800000, v12
	v_cmp_gt_u32_e32 vcc, s17, v10
	v_bfe_i32 v11, v11, 0, 16
	v_cndmask_b32_e32 v13, v12, v13, vcc
	v_and_or_b32 v10, v11, s18, v13
	v_and_b32_e32 v12, 0x7fffffff, v10
	s_mov_b32 s16, 0x43f00000
	v_cmp_gt_u32_e32 vcc, s16, v12
                                        ; implicit-def: $vgpr11
	s_and_saveexec_b64 s[16:17], vcc
	s_xor_b64 s[16:17], exec, s[16:17]
	s_cbranch_execz .LBB273_486
; %bb.481:
	s_mov_b32 s18, 0x3c7fffff
	v_cmp_lt_u32_e32 vcc, s18, v12
                                        ; implicit-def: $vgpr11
	s_and_saveexec_b64 s[18:19], vcc
	s_xor_b64 s[18:19], exec, s[18:19]
; %bb.482:
	v_bfe_u32 v11, v13, 20, 1
	s_mov_b32 s20, 0x407ffff
	v_add3_u32 v11, v10, v11, s20
	v_lshrrev_b32_e32 v12, 20, v11
	v_and_b32_e32 v11, 0xff00000, v11
	s_mov_b32 s20, 0x7f00000
	v_mov_b32_e32 v13, 0x7e
	v_cmp_ne_u32_e32 vcc, s20, v11
	v_cndmask_b32_e32 v11, v13, v12, vcc
; %bb.483:
	s_andn2_saveexec_b64 s[18:19], s[18:19]
; %bb.484:
	s_mov_b32 s20, 0x46800000
	v_add_f32_e64 v11, |v10|, s20
; %bb.485:
	s_or_b64 exec, exec, s[18:19]
                                        ; implicit-def: $vgpr12
.LBB273_486:
	s_andn2_saveexec_b64 s[16:17], s[16:17]
; %bb.487:
	s_mov_b32 s18, 0x7f800000
	v_mov_b32_e32 v11, 0x7e
	v_mov_b32_e32 v13, 0x7f
	v_cmp_lt_u32_e32 vcc, s18, v12
	v_cndmask_b32_e32 v11, v11, v13, vcc
; %bb.488:
	s_or_b64 exec, exec, s[16:17]
	v_lshrrev_b32_e32 v10, 24, v10
	s_movk_i32 s16, 0x80
	v_and_or_b32 v10, v10, s16, v11
.LBB273_489:
	s_or_b64 exec, exec, s[14:15]
	s_or_b64 s[14:15], s[10:11], exec
                                        ; implicit-def: $vgpr11
.LBB273_490:
	s_or_saveexec_b64 s[6:7], s[6:7]
	s_mov_b64 s[16:17], 0
	s_mov_b64 s[18:19], s[12:13]
	s_xor_b64 exec, exec, s[6:7]
	s_cbranch_execz .LBB273_506
; %bb.491:
	v_cmp_lt_i16_e32 vcc, 14, v11
	s_mov_b64 s[18:19], s[12:13]
	s_mov_b64 s[20:21], s[14:15]
                                        ; implicit-def: $vgpr10
	s_and_saveexec_b64 s[16:17], vcc
	s_xor_b64 s[16:17], exec, s[16:17]
	s_cbranch_execz .LBB273_503
; %bb.492:
	v_cmp_eq_u16_e32 vcc, 15, v11
	s_mov_b64 s[22:23], -1
	s_mov_b64 s[20:21], s[14:15]
                                        ; implicit-def: $vgpr10
	s_and_saveexec_b64 s[18:19], vcc
	s_cbranch_execz .LBB273_502
; %bb.493:
	s_waitcnt vmcnt(0) lgkmcnt(0)
	flat_load_ushort v10, v[8:9]
	s_mov_b32 s20, 0x43f00000
                                        ; implicit-def: $vgpr11
	s_waitcnt vmcnt(0) lgkmcnt(0)
	v_lshlrev_b32_e32 v12, 16, v10
	v_and_b32_e32 v13, 0x7fffffff, v12
	v_cmp_gt_u32_e32 vcc, s20, v13
	s_and_saveexec_b64 s[20:21], vcc
	s_xor_b64 s[20:21], exec, s[20:21]
	s_cbranch_execz .LBB273_499
; %bb.494:
	s_mov_b32 s22, 0x3c7fffff
	v_cmp_lt_u32_e32 vcc, s22, v13
                                        ; implicit-def: $vgpr11
	s_and_saveexec_b64 s[22:23], vcc
	s_xor_b64 s[22:23], exec, s[22:23]
; %bb.495:
	v_bfe_u32 v11, v10, 4, 1
	s_mov_b32 s24, 0x407ffff
	v_add3_u32 v11, v12, v11, s24
	v_lshrrev_b32_e32 v12, 20, v11
	v_and_b32_e32 v11, 0xff00000, v11
	s_mov_b32 s24, 0x7f00000
	v_mov_b32_e32 v13, 0x7e
	v_cmp_ne_u32_e32 vcc, s24, v11
	v_cndmask_b32_e32 v11, v13, v12, vcc
                                        ; implicit-def: $vgpr12
; %bb.496:
	s_andn2_saveexec_b64 s[22:23], s[22:23]
; %bb.497:
	s_mov_b32 s24, 0x46800000
	v_add_f32_e64 v11, |v12|, s24
; %bb.498:
	s_or_b64 exec, exec, s[22:23]
                                        ; implicit-def: $vgpr13
.LBB273_499:
	s_andn2_saveexec_b64 s[20:21], s[20:21]
; %bb.500:
	s_mov_b32 s22, 0x7f800000
	v_mov_b32_e32 v11, 0x7e
	v_mov_b32_e32 v12, 0x7f
	v_cmp_lt_u32_e32 vcc, s22, v13
	v_cndmask_b32_e32 v11, v11, v12, vcc
; %bb.501:
	s_or_b64 exec, exec, s[20:21]
	v_lshrrev_b32_e32 v10, 8, v10
	s_movk_i32 s20, 0x80
	v_and_or_b32 v10, v10, s20, v11
	s_or_b64 s[20:21], s[14:15], exec
	s_xor_b64 s[22:23], exec, -1
.LBB273_502:
	s_or_b64 exec, exec, s[18:19]
	s_andn2_b64 s[18:19], s[14:15], exec
	s_and_b64 s[20:21], s[20:21], exec
	s_or_b64 s[20:21], s[18:19], s[20:21]
	s_andn2_b64 s[18:19], s[12:13], exec
	s_and_b64 s[22:23], s[22:23], exec
	s_or_b64 s[18:19], s[18:19], s[22:23]
                                        ; implicit-def: $vgpr11
.LBB273_503:
	s_or_saveexec_b64 s[16:17], s[16:17]
	s_mov_b64 s[22:23], 0
	s_xor_b64 exec, exec, s[16:17]
; %bb.504:
	v_cmp_ne_u16_e32 vcc, 11, v11
	s_andn2_b64 s[18:19], s[18:19], exec
	s_and_b64 s[24:25], vcc, exec
	s_mov_b64 s[22:23], exec
	s_or_b64 s[18:19], s[18:19], s[24:25]
; %bb.505:
	s_or_b64 exec, exec, s[16:17]
	s_andn2_b64 s[14:15], s[14:15], exec
	s_and_b64 s[16:17], s[20:21], exec
	s_andn2_b64 s[20:21], s[12:13], exec
	s_and_b64 s[18:19], s[18:19], exec
	s_or_b64 s[14:15], s[14:15], s[16:17]
	s_and_b64 s[16:17], s[22:23], exec
	s_or_b64 s[18:19], s[20:21], s[18:19]
.LBB273_506:
	s_or_b64 exec, exec, s[6:7]
	s_andn2_b64 s[6:7], s[10:11], exec
	s_and_b64 s[10:11], s[14:15], exec
	s_andn2_b64 s[12:13], s[12:13], exec
	s_and_b64 s[14:15], s[18:19], exec
	s_or_b64 s[10:11], s[6:7], s[10:11]
	s_and_b64 s[6:7], s[16:17], exec
	s_or_b64 s[12:13], s[12:13], s[14:15]
	s_or_b64 exec, exec, s[8:9]
	s_mov_b64 s[8:9], 0
	s_and_saveexec_b64 s[14:15], s[12:13]
	s_cbranch_execz .LBB273_84
.LBB273_507:
	s_mov_b64 s[8:9], exec
	s_trap 2
	s_andn2_b64 s[6:7], s[6:7], exec
	s_or_b64 exec, exec, s[14:15]
	s_and_saveexec_b64 s[12:13], s[6:7]
	s_cbranch_execnz .LBB273_85
	s_branch .LBB273_94
.LBB273_508:
	s_andn2_saveexec_b64 s[12:13], s[12:13]
	s_cbranch_execz .LBB273_309
.LBB273_509:
	v_cmp_lt_i16_e32 vcc, 22, v11
	s_mov_b64 s[18:19], s[14:15]
                                        ; implicit-def: $vgpr12
	s_and_saveexec_b64 s[10:11], vcc
	s_xor_b64 s[10:11], exec, s[10:11]
	s_cbranch_execz .LBB273_541
; %bb.510:
	v_cmp_lt_i16_e32 vcc, 23, v11
                                        ; implicit-def: $vgpr12
	s_and_saveexec_b64 s[18:19], vcc
	s_xor_b64 s[18:19], exec, s[18:19]
	s_cbranch_execz .LBB273_530
; %bb.511:
	v_cmp_lt_i16_e32 vcc, 24, v11
                                        ; implicit-def: $vgpr12
	s_and_saveexec_b64 s[20:21], vcc
	s_xor_b64 s[20:21], exec, s[20:21]
	s_cbranch_execz .LBB273_527
; %bb.512:
	flat_load_ubyte v2, v[8:9]
	s_movk_i32 s22, 0x7f
	s_waitcnt vmcnt(0) lgkmcnt(0)
	v_cmp_lt_i16_e32 vcc, s22, v2
	s_mov_b64 s[22:23], 0
	s_and_saveexec_b64 s[24:25], vcc
	s_xor_b64 s[24:25], exec, s[24:25]
	s_cbranch_execz .LBB273_565
; %bb.513:
	s_movk_i32 s22, 0x80
	v_cmp_eq_u16_e32 vcc, s22, v2
	s_mov_b64 s[22:23], -1
	s_and_saveexec_b64 s[26:27], vcc
; %bb.514:
	s_xor_b64 s[22:23], exec, -1
; %bb.515:
	s_or_b64 exec, exec, s[26:27]
	s_and_b64 s[22:23], s[22:23], exec
	s_or_saveexec_b64 s[24:25], s[24:25]
	v_mov_b32_e32 v1, 0x7f800001
	s_xor_b64 exec, exec, s[24:25]
	s_cbranch_execnz .LBB273_566
.LBB273_516:
	s_or_b64 exec, exec, s[24:25]
	s_and_saveexec_b64 s[24:25], s[22:23]
	s_cbranch_execz .LBB273_518
.LBB273_517:
	v_lshlrev_b32_e32 v1, 24, v2
	v_and_b32_e32 v2, 0xffff, v2
	v_and_b32_e32 v3, 3, v2
	v_ffbh_u32_e32 v5, v3
	v_min_u32_e32 v5, 32, v5
	v_subrev_u32_e32 v6, 29, v5
	v_bfe_u32 v4, v2, 2, 5
	v_lshlrev_b32_e32 v2, v6, v2
	v_sub_u32_e32 v5, 30, v5
	v_and_b32_e32 v2, 3, v2
	v_cmp_eq_u32_e32 vcc, 0, v4
	v_cndmask_b32_e32 v4, v4, v5, vcc
	v_cndmask_b32_e32 v2, v3, v2, vcc
	v_mov_b32_e32 v3, 0x37800000
	v_lshlrev_b32_e32 v2, 21, v2
	v_and_b32_e32 v1, 0x80000000, v1
	v_lshl_add_u32 v3, v4, 23, v3
	v_or3_b32 v1, v1, v3, v2
.LBB273_518:
	s_or_b64 exec, exec, s[24:25]
	v_and_b32_e32 v3, 0x7fffffff, v1
	s_mov_b32 s22, 0x43f00000
	v_cmp_gt_u32_e32 vcc, s22, v3
                                        ; implicit-def: $vgpr2
	s_and_saveexec_b64 s[22:23], vcc
	s_xor_b64 s[22:23], exec, s[22:23]
	s_cbranch_execz .LBB273_524
; %bb.519:
	s_mov_b32 s24, 0x3c7fffff
	v_cmp_lt_u32_e32 vcc, s24, v3
                                        ; implicit-def: $vgpr2
	s_and_saveexec_b64 s[24:25], vcc
	s_xor_b64 s[24:25], exec, s[24:25]
; %bb.520:
	v_bfe_u32 v2, v1, 20, 1
	s_mov_b32 s26, 0x407ffff
	v_add3_u32 v2, v1, v2, s26
	v_lshrrev_b32_e32 v3, 20, v2
	v_and_b32_e32 v2, 0xff00000, v2
	s_mov_b32 s26, 0x7f00000
	v_mov_b32_e32 v4, 0x7e
	v_cmp_ne_u32_e32 vcc, s26, v2
	v_cndmask_b32_e32 v2, v4, v3, vcc
; %bb.521:
	s_andn2_saveexec_b64 s[24:25], s[24:25]
; %bb.522:
	s_mov_b32 s26, 0x46800000
	v_add_f32_e64 v2, |v1|, s26
; %bb.523:
	s_or_b64 exec, exec, s[24:25]
                                        ; implicit-def: $vgpr3
.LBB273_524:
	s_andn2_saveexec_b64 s[22:23], s[22:23]
; %bb.525:
	s_mov_b32 s24, 0x7f800000
	v_mov_b32_e32 v2, 0x7e
	v_mov_b32_e32 v4, 0x7f
	v_cmp_lt_u32_e32 vcc, s24, v3
	v_cndmask_b32_e32 v2, v2, v4, vcc
; %bb.526:
	s_or_b64 exec, exec, s[22:23]
	v_lshrrev_b32_e32 v1, 24, v1
	s_movk_i32 s22, 0x80
	v_and_or_b32 v12, v1, s22, v2
.LBB273_527:
	s_andn2_saveexec_b64 s[20:21], s[20:21]
	s_cbranch_execz .LBB273_529
; %bb.528:
	flat_load_ubyte v12, v[8:9]
.LBB273_529:
	s_or_b64 exec, exec, s[20:21]
.LBB273_530:
	s_andn2_saveexec_b64 s[18:19], s[18:19]
	s_cbranch_execz .LBB273_540
; %bb.531:
	flat_load_ubyte v1, v[8:9]
	s_movk_i32 s20, 0x7f00
	s_brev_b32 s21, 16
	s_brev_b32 s22, 1
	s_waitcnt vmcnt(0) lgkmcnt(0)
	v_lshlrev_b16_e32 v2, 8, v1
	v_lshlrev_b32_e32 v1, 25, v1
	v_lshrrev_b32_e32 v3, 4, v1
	v_and_or_b32 v4, v2, s20, 0.5
	v_or_b32_e32 v3, 0x70000000, v3
	v_add_f32_e32 v4, -0.5, v4
	v_mul_f32_e32 v3, 0x7800000, v3
	v_cmp_gt_u32_e32 vcc, s21, v1
	v_bfe_i32 v2, v2, 0, 16
	v_cndmask_b32_e32 v4, v3, v4, vcc
	v_and_or_b32 v1, v2, s22, v4
	v_and_b32_e32 v3, 0x7fffffff, v1
	s_mov_b32 s20, 0x43f00000
	v_cmp_gt_u32_e32 vcc, s20, v3
                                        ; implicit-def: $vgpr2
	s_and_saveexec_b64 s[20:21], vcc
	s_xor_b64 s[20:21], exec, s[20:21]
	s_cbranch_execz .LBB273_537
; %bb.532:
	s_mov_b32 s22, 0x3c7fffff
	v_cmp_lt_u32_e32 vcc, s22, v3
                                        ; implicit-def: $vgpr2
	s_and_saveexec_b64 s[22:23], vcc
	s_xor_b64 s[22:23], exec, s[22:23]
; %bb.533:
	v_bfe_u32 v2, v4, 20, 1
	s_mov_b32 s24, 0x407ffff
	v_add3_u32 v2, v1, v2, s24
	v_lshrrev_b32_e32 v3, 20, v2
	v_and_b32_e32 v2, 0xff00000, v2
	s_mov_b32 s24, 0x7f00000
	v_mov_b32_e32 v4, 0x7e
	v_cmp_ne_u32_e32 vcc, s24, v2
	v_cndmask_b32_e32 v2, v4, v3, vcc
; %bb.534:
	s_andn2_saveexec_b64 s[22:23], s[22:23]
; %bb.535:
	s_mov_b32 s24, 0x46800000
	v_add_f32_e64 v2, |v1|, s24
; %bb.536:
	s_or_b64 exec, exec, s[22:23]
                                        ; implicit-def: $vgpr3
.LBB273_537:
	s_andn2_saveexec_b64 s[20:21], s[20:21]
; %bb.538:
	s_mov_b32 s22, 0x7f800000
	v_mov_b32_e32 v2, 0x7e
	v_mov_b32_e32 v4, 0x7f
	v_cmp_lt_u32_e32 vcc, s22, v3
	v_cndmask_b32_e32 v2, v2, v4, vcc
; %bb.539:
	s_or_b64 exec, exec, s[20:21]
	v_lshrrev_b32_e32 v1, 24, v1
	s_movk_i32 s20, 0x80
	v_and_or_b32 v12, v1, s20, v2
.LBB273_540:
	s_or_b64 exec, exec, s[18:19]
	s_or_b64 s[18:19], s[14:15], exec
.LBB273_541:
	s_or_saveexec_b64 s[10:11], s[10:11]
	s_mov_b64 s[20:21], 0
	s_mov_b64 s[22:23], s[16:17]
	s_xor_b64 exec, exec, s[10:11]
	s_cbranch_execz .LBB273_557
; %bb.542:
	v_cmp_lt_i16_e32 vcc, 14, v11
	s_mov_b64 s[22:23], s[16:17]
	s_mov_b64 s[24:25], s[18:19]
                                        ; implicit-def: $vgpr12
	s_and_saveexec_b64 s[20:21], vcc
	s_xor_b64 s[20:21], exec, s[20:21]
	s_cbranch_execz .LBB273_554
; %bb.543:
	v_cmp_eq_u16_e32 vcc, 15, v11
	s_mov_b64 s[26:27], -1
	s_mov_b64 s[24:25], s[18:19]
                                        ; implicit-def: $vgpr12
	s_and_saveexec_b64 s[22:23], vcc
	s_cbranch_execz .LBB273_553
; %bb.544:
	flat_load_ushort v1, v[8:9]
	s_mov_b32 s24, 0x43f00000
                                        ; implicit-def: $vgpr2
	s_waitcnt vmcnt(0) lgkmcnt(0)
	v_lshlrev_b32_e32 v3, 16, v1
	v_and_b32_e32 v4, 0x7fffffff, v3
	v_cmp_gt_u32_e32 vcc, s24, v4
	s_and_saveexec_b64 s[24:25], vcc
	s_xor_b64 s[24:25], exec, s[24:25]
	s_cbranch_execz .LBB273_550
; %bb.545:
	s_mov_b32 s26, 0x3c7fffff
	v_cmp_lt_u32_e32 vcc, s26, v4
                                        ; implicit-def: $vgpr2
	s_and_saveexec_b64 s[26:27], vcc
	s_xor_b64 s[26:27], exec, s[26:27]
; %bb.546:
	v_bfe_u32 v2, v1, 4, 1
	s_mov_b32 s28, 0x407ffff
	v_add3_u32 v2, v3, v2, s28
	v_lshrrev_b32_e32 v3, 20, v2
	v_and_b32_e32 v2, 0xff00000, v2
	s_mov_b32 s28, 0x7f00000
	v_mov_b32_e32 v4, 0x7e
	v_cmp_ne_u32_e32 vcc, s28, v2
	v_cndmask_b32_e32 v2, v4, v3, vcc
                                        ; implicit-def: $vgpr3
; %bb.547:
	s_andn2_saveexec_b64 s[26:27], s[26:27]
; %bb.548:
	s_mov_b32 s28, 0x46800000
	v_add_f32_e64 v2, |v3|, s28
; %bb.549:
	s_or_b64 exec, exec, s[26:27]
                                        ; implicit-def: $vgpr4
.LBB273_550:
	s_andn2_saveexec_b64 s[24:25], s[24:25]
; %bb.551:
	s_mov_b32 s26, 0x7f800000
	v_mov_b32_e32 v2, 0x7e
	v_mov_b32_e32 v3, 0x7f
	v_cmp_lt_u32_e32 vcc, s26, v4
	v_cndmask_b32_e32 v2, v2, v3, vcc
; %bb.552:
	s_or_b64 exec, exec, s[24:25]
	v_lshrrev_b32_e32 v1, 8, v1
	s_movk_i32 s24, 0x80
	v_and_or_b32 v12, v1, s24, v2
	s_or_b64 s[24:25], s[18:19], exec
	s_xor_b64 s[26:27], exec, -1
.LBB273_553:
	s_or_b64 exec, exec, s[22:23]
	s_andn2_b64 s[22:23], s[18:19], exec
	s_and_b64 s[24:25], s[24:25], exec
	s_or_b64 s[24:25], s[22:23], s[24:25]
	s_andn2_b64 s[22:23], s[16:17], exec
	s_and_b64 s[26:27], s[26:27], exec
	s_or_b64 s[22:23], s[22:23], s[26:27]
.LBB273_554:
	s_or_saveexec_b64 s[20:21], s[20:21]
	s_mov_b64 s[26:27], 0
	s_xor_b64 exec, exec, s[20:21]
; %bb.555:
	v_cmp_ne_u16_e32 vcc, 11, v11
	s_andn2_b64 s[22:23], s[22:23], exec
	s_and_b64 s[28:29], vcc, exec
	s_mov_b64 s[26:27], exec
	s_or_b64 s[22:23], s[22:23], s[28:29]
; %bb.556:
	s_or_b64 exec, exec, s[20:21]
	s_andn2_b64 s[18:19], s[18:19], exec
	s_and_b64 s[20:21], s[24:25], exec
	s_andn2_b64 s[24:25], s[16:17], exec
	s_and_b64 s[22:23], s[22:23], exec
	s_or_b64 s[18:19], s[18:19], s[20:21]
	s_and_b64 s[20:21], s[26:27], exec
	s_or_b64 s[22:23], s[24:25], s[22:23]
.LBB273_557:
	s_or_b64 exec, exec, s[10:11]
	s_andn2_b64 s[10:11], s[14:15], exec
	s_and_b64 s[14:15], s[18:19], exec
	s_andn2_b64 s[16:17], s[16:17], exec
	s_and_b64 s[18:19], s[22:23], exec
	s_or_b64 s[14:15], s[10:11], s[14:15]
	s_and_b64 s[10:11], s[20:21], exec
	s_or_b64 s[16:17], s[16:17], s[18:19]
	s_or_b64 exec, exec, s[12:13]
	s_mov_b64 s[18:19], s[6:7]
	s_and_saveexec_b64 s[12:13], s[16:17]
	s_cbranch_execz .LBB273_310
.LBB273_558:
	s_andn2_b64 s[10:11], s[10:11], exec
	s_or_b64 s[18:19], s[6:7], exec
	s_trap 2
	s_branch .LBB273_310
.LBB273_559:
	s_or_saveexec_b64 s[20:21], s[20:21]
	v_mov_b32_e32 v10, 0x7f800001
	s_xor_b64 exec, exec, s[20:21]
	s_cbranch_execz .LBB273_70
.LBB273_560:
	v_cmp_ne_u16_e32 vcc, 0, v11
	s_andn2_b64 s[18:19], s[18:19], exec
	s_and_b64 s[22:23], vcc, exec
	v_mov_b32_e32 v10, 0
	s_or_b64 s[18:19], s[18:19], s[22:23]
	s_or_b64 exec, exec, s[20:21]
	s_and_saveexec_b64 s[20:21], s[18:19]
	s_cbranch_execnz .LBB273_71
	s_branch .LBB273_72
.LBB273_561:
	s_or_saveexec_b64 s[24:25], s[24:25]
	v_mov_b32_e32 v1, 0x7f800001
	s_xor_b64 exec, exec, s[24:25]
	s_cbranch_execz .LBB273_296
.LBB273_562:
	v_cmp_ne_u16_e32 vcc, 0, v2
	s_andn2_b64 s[22:23], s[22:23], exec
	s_and_b64 s[26:27], vcc, exec
	v_mov_b32_e32 v1, 0
	s_or_b64 s[22:23], s[22:23], s[26:27]
	s_or_b64 exec, exec, s[24:25]
	s_and_saveexec_b64 s[24:25], s[22:23]
	s_cbranch_execnz .LBB273_297
	s_branch .LBB273_298
.LBB273_563:
	s_or_saveexec_b64 s[20:21], s[20:21]
	v_mov_b32_e32 v10, 0x7f800001
	s_xor_b64 exec, exec, s[20:21]
	s_cbranch_execz .LBB273_465
.LBB273_564:
	v_cmp_ne_u16_e32 vcc, 0, v11
	s_andn2_b64 s[18:19], s[18:19], exec
	s_and_b64 s[22:23], vcc, exec
	v_mov_b32_e32 v10, 0
	s_or_b64 s[18:19], s[18:19], s[22:23]
	s_or_b64 exec, exec, s[20:21]
	s_and_saveexec_b64 s[20:21], s[18:19]
	s_cbranch_execnz .LBB273_466
	s_branch .LBB273_467
.LBB273_565:
	s_or_saveexec_b64 s[24:25], s[24:25]
	v_mov_b32_e32 v1, 0x7f800001
	s_xor_b64 exec, exec, s[24:25]
	s_cbranch_execz .LBB273_516
.LBB273_566:
	v_cmp_ne_u16_e32 vcc, 0, v2
	s_andn2_b64 s[22:23], s[22:23], exec
	s_and_b64 s[26:27], vcc, exec
	v_mov_b32_e32 v1, 0
	s_or_b64 s[22:23], s[22:23], s[26:27]
	s_or_b64 exec, exec, s[24:25]
	s_and_saveexec_b64 s[24:25], s[22:23]
	s_cbranch_execnz .LBB273_517
	s_branch .LBB273_518
.Lfunc_end273:
	.size	_ZN2at6native6invokeINS0_13BinaryFunctorIN3c1013Float8_e4m3fnES4_bNS0_12_GLOBAL__N_116CompareEqFunctorIS4_EEEEi15function_traitsIS8_EEENT1_11result_typeERKT_PrKPcPKT0_PKNS3_10ScalarTypeEi, .Lfunc_end273-_ZN2at6native6invokeINS0_13BinaryFunctorIN3c1013Float8_e4m3fnES4_bNS0_12_GLOBAL__N_116CompareEqFunctorIS4_EEEEi15function_traitsIS8_EEENT1_11result_typeERKT_PrKPcPKT0_PKNS3_10ScalarTypeEi
                                        ; -- End function
	.set .L_ZN2at6native6invokeINS0_13BinaryFunctorIN3c1013Float8_e4m3fnES4_bNS0_12_GLOBAL__N_116CompareEqFunctorIS4_EEEEi15function_traitsIS8_EEENT1_11result_typeERKT_PrKPcPKT0_PKNS3_10ScalarTypeEi.num_vgpr, 16
	.set .L_ZN2at6native6invokeINS0_13BinaryFunctorIN3c1013Float8_e4m3fnES4_bNS0_12_GLOBAL__N_116CompareEqFunctorIS4_EEEEi15function_traitsIS8_EEENT1_11result_typeERKT_PrKPcPKT0_PKNS3_10ScalarTypeEi.num_agpr, 0
	.set .L_ZN2at6native6invokeINS0_13BinaryFunctorIN3c1013Float8_e4m3fnES4_bNS0_12_GLOBAL__N_116CompareEqFunctorIS4_EEEEi15function_traitsIS8_EEENT1_11result_typeERKT_PrKPcPKT0_PKNS3_10ScalarTypeEi.numbered_sgpr, 41
	.set .L_ZN2at6native6invokeINS0_13BinaryFunctorIN3c1013Float8_e4m3fnES4_bNS0_12_GLOBAL__N_116CompareEqFunctorIS4_EEEEi15function_traitsIS8_EEENT1_11result_typeERKT_PrKPcPKT0_PKNS3_10ScalarTypeEi.num_named_barrier, 0
	.set .L_ZN2at6native6invokeINS0_13BinaryFunctorIN3c1013Float8_e4m3fnES4_bNS0_12_GLOBAL__N_116CompareEqFunctorIS4_EEEEi15function_traitsIS8_EEENT1_11result_typeERKT_PrKPcPKT0_PKNS3_10ScalarTypeEi.private_seg_size, 0
	.set .L_ZN2at6native6invokeINS0_13BinaryFunctorIN3c1013Float8_e4m3fnES4_bNS0_12_GLOBAL__N_116CompareEqFunctorIS4_EEEEi15function_traitsIS8_EEENT1_11result_typeERKT_PrKPcPKT0_PKNS3_10ScalarTypeEi.uses_vcc, 1
	.set .L_ZN2at6native6invokeINS0_13BinaryFunctorIN3c1013Float8_e4m3fnES4_bNS0_12_GLOBAL__N_116CompareEqFunctorIS4_EEEEi15function_traitsIS8_EEENT1_11result_typeERKT_PrKPcPKT0_PKNS3_10ScalarTypeEi.uses_flat_scratch, 0
	.set .L_ZN2at6native6invokeINS0_13BinaryFunctorIN3c1013Float8_e4m3fnES4_bNS0_12_GLOBAL__N_116CompareEqFunctorIS4_EEEEi15function_traitsIS8_EEENT1_11result_typeERKT_PrKPcPKT0_PKNS3_10ScalarTypeEi.has_dyn_sized_stack, 0
	.set .L_ZN2at6native6invokeINS0_13BinaryFunctorIN3c1013Float8_e4m3fnES4_bNS0_12_GLOBAL__N_116CompareEqFunctorIS4_EEEEi15function_traitsIS8_EEENT1_11result_typeERKT_PrKPcPKT0_PKNS3_10ScalarTypeEi.has_recursion, 0
	.set .L_ZN2at6native6invokeINS0_13BinaryFunctorIN3c1013Float8_e4m3fnES4_bNS0_12_GLOBAL__N_116CompareEqFunctorIS4_EEEEi15function_traitsIS8_EEENT1_11result_typeERKT_PrKPcPKT0_PKNS3_10ScalarTypeEi.has_indirect_call, 0
	.section	.AMDGPU.csdata,"",@progbits
; Function info:
; codeLenInByte = 12320
; TotalNumSgprs: 45
; NumVgprs: 16
; ScratchSize: 0
; MemoryBound: 0
	.section	.text._ZN2at6native32elementwise_kernel_manual_unrollILi128ELi4EZNS0_15gpu_kernel_implINS0_13BinaryFunctorIN3c1013Float8_e4m3fnES5_bNS0_12_GLOBAL__N_116CompareEqFunctorIS5_EEEEEEvRNS_18TensorIteratorBaseERKT_EUlibE_EEviT1_,"axG",@progbits,_ZN2at6native32elementwise_kernel_manual_unrollILi128ELi4EZNS0_15gpu_kernel_implINS0_13BinaryFunctorIN3c1013Float8_e4m3fnES5_bNS0_12_GLOBAL__N_116CompareEqFunctorIS5_EEEEEEvRNS_18TensorIteratorBaseERKT_EUlibE_EEviT1_,comdat
	.globl	_ZN2at6native32elementwise_kernel_manual_unrollILi128ELi4EZNS0_15gpu_kernel_implINS0_13BinaryFunctorIN3c1013Float8_e4m3fnES5_bNS0_12_GLOBAL__N_116CompareEqFunctorIS5_EEEEEEvRNS_18TensorIteratorBaseERKT_EUlibE_EEviT1_ ; -- Begin function _ZN2at6native32elementwise_kernel_manual_unrollILi128ELi4EZNS0_15gpu_kernel_implINS0_13BinaryFunctorIN3c1013Float8_e4m3fnES5_bNS0_12_GLOBAL__N_116CompareEqFunctorIS5_EEEEEEvRNS_18TensorIteratorBaseERKT_EUlibE_EEviT1_
	.p2align	8
	.type	_ZN2at6native32elementwise_kernel_manual_unrollILi128ELi4EZNS0_15gpu_kernel_implINS0_13BinaryFunctorIN3c1013Float8_e4m3fnES5_bNS0_12_GLOBAL__N_116CompareEqFunctorIS5_EEEEEEvRNS_18TensorIteratorBaseERKT_EUlibE_EEviT1_,@function
_ZN2at6native32elementwise_kernel_manual_unrollILi128ELi4EZNS0_15gpu_kernel_implINS0_13BinaryFunctorIN3c1013Float8_e4m3fnES5_bNS0_12_GLOBAL__N_116CompareEqFunctorIS5_EEEEEEvRNS_18TensorIteratorBaseERKT_EUlibE_EEviT1_: ; @_ZN2at6native32elementwise_kernel_manual_unrollILi128ELi4EZNS0_15gpu_kernel_implINS0_13BinaryFunctorIN3c1013Float8_e4m3fnES5_bNS0_12_GLOBAL__N_116CompareEqFunctorIS5_EEEEEEvRNS_18TensorIteratorBaseERKT_EUlibE_EEviT1_
; %bb.0:
	s_add_u32 flat_scratch_lo, s6, s9
	s_load_dwordx8 s[12:19], s[4:5], 0x8
	s_load_dword s33, s[4:5], 0x0
	s_load_dwordx4 s[20:23], s[4:5], 0x28
	s_addc_u32 flat_scratch_hi, s7, 0
	s_add_u32 s0, s0, s9
	s_addc_u32 s1, s1, 0
	s_waitcnt lgkmcnt(0)
	v_mov_b32_e32 v1, s15
	buffer_store_dword v1, off, s[0:3], 0 offset:12
	v_mov_b32_e32 v1, s14
	buffer_store_dword v1, off, s[0:3], 0 offset:8
	;; [unrolled: 2-line block ×3, first 2 shown]
	v_mov_b32_e32 v1, s12
	buffer_store_dword v1, off, s[0:3], 0
	v_mov_b32_e32 v1, s19
	buffer_store_dword v1, off, s[0:3], 0 offset:28
	v_mov_b32_e32 v1, s18
	buffer_store_dword v1, off, s[0:3], 0 offset:24
	;; [unrolled: 2-line block ×5, first 2 shown]
	v_mov_b32_e32 v1, s22
	v_lshl_or_b32 v7, s8, 9, v0
	buffer_store_dword v1, off, s[0:3], 0 offset:40
	v_mov_b32_e32 v1, s21
	v_or_b32_e32 v0, 0x180, v7
	buffer_store_dword v1, off, s[0:3], 0 offset:36
	v_mov_b32_e32 v1, s20
	v_cmp_le_i32_e32 vcc, s33, v0
	s_mov_b64 s[38:39], 0
	s_mov_b64 s[34:35], 0
	s_movk_i32 s32, 0x1000
	buffer_store_dword v1, off, s[0:3], 0 offset:32
	s_and_saveexec_b64 s[4:5], vcc
	s_xor_b64 s[36:37], exec, s[4:5]
	s_cbranch_execz .LBB274_394
; %bb.1:
	buffer_load_dword v18, off, s[0:3], 0
	buffer_load_dword v19, off, s[0:3], 0 offset:4
	buffer_load_dword v20, off, s[0:3], 0 offset:24
	;; [unrolled: 1-line block ×3, first 2 shown]
	buffer_load_ubyte v17, off, s[0:3], 0 offset:40
	s_mov_b64 s[4:5], src_private_base
	s_add_u32 s41, 0, 8
	s_addc_u32 s54, s5, 0
	s_add_u32 s55, 0, 28
	s_addc_u32 s56, s5, 0
	;; [unrolled: 2-line block ×3, first 2 shown]
	v_cmp_gt_i32_e32 vcc, s33, v7
	s_mov_b64 s[4:5], -1
	s_mov_b64 s[46:47], 0
	s_and_saveexec_b64 s[42:43], vcc
	s_cbranch_execz .LBB274_87
; %bb.2:
	s_getpc_b64 s[4:5]
	s_add_u32 s4, s4, _ZN2at6native6invokeINS0_13BinaryFunctorIN3c1013Float8_e4m3fnES4_bNS0_12_GLOBAL__N_116CompareEqFunctorIS4_EEEEi15function_traitsIS8_EEENT1_11result_typeERKT_PrKPcPKT0_PKNS3_10ScalarTypeEi@rel32@lo+4
	s_addc_u32 s5, s5, _ZN2at6native6invokeINS0_13BinaryFunctorIN3c1013Float8_e4m3fnES4_bNS0_12_GLOBAL__N_116CompareEqFunctorIS4_EEEEi15function_traitsIS8_EEENT1_11result_typeERKT_PrKPcPKT0_PKNS3_10ScalarTypeEi@rel32@hi+12
	s_waitcnt vmcnt(1)
	v_mov_b32_e32 v0, v16
	v_mov_b32_e32 v1, s41
	;; [unrolled: 1-line block ×7, first 2 shown]
	s_swappc_b64 s[30:31], s[4:5]
	v_and_b32_e32 v0, 1, v0
	v_cmp_eq_u32_e32 vcc, 1, v0
	v_mul_lo_u32 v0, v20, v7
	v_mov_b32_e32 v2, 10
	v_cmp_gt_i16_sdwa s[8:9], v17, v2 src0_sel:BYTE_0 src1_sel:DWORD
	s_mov_b64 s[6:7], 0
	v_ashrrev_i32_e32 v1, 31, v0
	v_add_co_u32_e64 v0, s[4:5], v18, v0
	v_addc_co_u32_e64 v1, s[4:5], v19, v1, s[4:5]
	s_mov_b64 s[4:5], 0
	s_and_saveexec_b64 s[10:11], s[8:9]
	s_xor_b64 s[8:9], exec, s[10:11]
	s_cbranch_execz .LBB274_2096
; %bb.3:
	v_mov_b32_e32 v2, 25
	v_cmp_gt_i16_sdwa s[4:5], v17, v2 src0_sel:BYTE_0 src1_sel:DWORD
	s_mov_b64 s[10:11], 0
	s_and_saveexec_b64 s[12:13], s[4:5]
	s_xor_b64 s[12:13], exec, s[12:13]
	s_cbranch_execz .LBB274_39
; %bb.4:
	v_mov_b32_e32 v2, 28
	v_cmp_gt_i16_sdwa s[4:5], v17, v2 src0_sel:BYTE_0 src1_sel:DWORD
	;; [unrolled: 7-line block ×4, first 2 shown]
	s_mov_b64 s[16:17], 0
	s_mov_b64 s[18:19], 0
	s_and_saveexec_b64 s[6:7], s[4:5]
	s_xor_b64 s[4:5], exec, s[6:7]
	s_cbranch_execz .LBB274_10
; %bb.7:
	v_mov_b32_e32 v2, 46
	v_cmp_eq_u16_sdwa s[20:21], v17, v2 src0_sel:BYTE_0 src1_sel:DWORD
	s_mov_b64 s[6:7], 0
	s_mov_b64 s[18:19], -1
	s_and_saveexec_b64 s[16:17], s[20:21]
	s_cbranch_execz .LBB274_9
; %bb.8:
	v_cndmask_b32_e64 v2, 0, 1.0, vcc
	v_bfe_u32 v3, v2, 16, 1
	s_movk_i32 s18, 0x7fff
	v_add3_u32 v2, v2, v3, s18
	v_lshrrev_b32_e32 v2, 16, v2
	s_mov_b64 s[6:7], exec
	flat_store_dword v[0:1], v2
	s_xor_b64 s[18:19], exec, -1
.LBB274_9:
	s_or_b64 exec, exec, s[16:17]
	s_and_b64 s[18:19], s[18:19], exec
	s_and_b64 s[16:17], s[6:7], exec
                                        ; implicit-def: $vgpr0_vgpr1
.LBB274_10:
	s_andn2_saveexec_b64 s[20:21], s[4:5]
	s_cbranch_execz .LBB274_16
; %bb.11:
	v_mov_b32_e32 v2, 44
	v_cmp_eq_u16_sdwa s[24:25], v17, v2 src0_sel:BYTE_0 src1_sel:DWORD
	s_mov_b64 s[6:7], -1
	s_mov_b64 s[4:5], s[16:17]
	s_and_saveexec_b64 s[22:23], s[24:25]
	s_cbranch_execz .LBB274_15
; %bb.12:
	v_cndmask_b32_e64 v3, 0, 1.0, vcc
	v_lshrrev_b32_e32 v2, 23, v3
	s_movk_i32 s4, 0xff
	v_cmp_ne_u32_e64 s[4:5], s4, v2
	v_mov_b32_e32 v4, 0xff
	s_and_saveexec_b64 s[24:25], s[4:5]
; %bb.13:
	s_mov_b32 s6, 0x3fffff
	v_and_b32_e32 v4, 0x400000, v3
	v_and_or_b32 v3, v3, s6, v2
	v_cmp_ne_u32_e64 s[4:5], 0, v4
	v_cmp_ne_u32_e64 s[6:7], 0, v3
	s_and_b64 s[4:5], s[4:5], s[6:7]
	v_cndmask_b32_e64 v3, 0, 1, s[4:5]
	v_add_u32_e32 v4, v2, v3
; %bb.14:
	s_or_b64 exec, exec, s[24:25]
	s_xor_b64 s[6:7], exec, -1
	s_or_b64 s[4:5], s[16:17], exec
	flat_store_byte v[0:1], v4
.LBB274_15:
	s_or_b64 exec, exec, s[22:23]
	s_andn2_b64 s[18:19], s[18:19], exec
	s_and_b64 s[6:7], s[6:7], exec
	s_or_b64 s[18:19], s[18:19], s[6:7]
	s_andn2_b64 s[6:7], s[16:17], exec
	s_and_b64 s[4:5], s[4:5], exec
	s_or_b64 s[16:17], s[6:7], s[4:5]
.LBB274_16:
	s_or_b64 exec, exec, s[20:21]
	s_and_b64 s[6:7], s[18:19], exec
	s_and_b64 s[4:5], s[16:17], exec
                                        ; implicit-def: $vgpr0_vgpr1
.LBB274_17:
	s_andn2_saveexec_b64 s[14:15], s[14:15]
	s_cbranch_execz .LBB274_21
; %bb.18:
	v_mov_b32_e32 v2, 29
	v_cmp_eq_u16_sdwa s[22:23], v17, v2 src0_sel:BYTE_0 src1_sel:DWORD
	s_mov_b64 s[18:19], -1
	s_mov_b64 s[16:17], s[4:5]
	s_and_saveexec_b64 s[20:21], s[22:23]
	s_cbranch_execz .LBB274_20
; %bb.19:
	s_mov_b32 s16, 0
	v_cndmask_b32_e64 v2, 0, 1, vcc
	v_mov_b32_e32 v3, s16
	flat_store_dwordx2 v[0:1], v[2:3]
	s_xor_b64 s[18:19], exec, -1
	s_or_b64 s[16:17], s[4:5], exec
.LBB274_20:
	s_or_b64 exec, exec, s[20:21]
	s_andn2_b64 s[6:7], s[6:7], exec
	s_and_b64 s[18:19], s[18:19], exec
	s_andn2_b64 s[4:5], s[4:5], exec
	s_and_b64 s[16:17], s[16:17], exec
	s_or_b64 s[6:7], s[6:7], s[18:19]
	s_or_b64 s[4:5], s[4:5], s[16:17]
.LBB274_21:
	s_or_b64 exec, exec, s[14:15]
	s_and_b64 s[14:15], s[6:7], exec
	s_and_b64 s[6:7], s[4:5], exec
                                        ; implicit-def: $vgpr0_vgpr1
.LBB274_22:
	s_andn2_saveexec_b64 s[10:11], s[10:11]
	s_cbranch_execz .LBB274_38
; %bb.23:
	v_mov_b32_e32 v2, 26
	v_cmp_gt_i16_sdwa s[4:5], v17, v2 src0_sel:BYTE_0 src1_sel:DWORD
	s_and_saveexec_b64 s[16:17], s[4:5]
	s_xor_b64 s[4:5], exec, s[16:17]
	s_cbranch_execz .LBB274_29
; %bb.24:
	v_mov_b32_e32 v2, 27
	v_cmp_gt_i16_sdwa s[16:17], v17, v2 src0_sel:BYTE_0 src1_sel:DWORD
	s_and_saveexec_b64 s[18:19], s[16:17]
	s_xor_b64 s[16:17], exec, s[18:19]
	s_cbranch_execz .LBB274_26
; %bb.25:
	v_cndmask_b32_e64 v2, 0, 1, vcc
	flat_store_dword v[0:1], v2
                                        ; implicit-def: $vgpr0_vgpr1
.LBB274_26:
	s_andn2_saveexec_b64 s[16:17], s[16:17]
	s_cbranch_execz .LBB274_28
; %bb.27:
	v_cndmask_b32_e64 v2, 0, 1, vcc
	flat_store_short v[0:1], v2
.LBB274_28:
	s_or_b64 exec, exec, s[16:17]
                                        ; implicit-def: $vgpr0_vgpr1
.LBB274_29:
	s_andn2_saveexec_b64 s[16:17], s[4:5]
	s_cbranch_execz .LBB274_37
; %bb.30:
	v_cndmask_b32_e64 v3, 0, 1.0, vcc
	s_mov_b32 s4, 0x43800000
	v_cmp_gt_u32_e64 s[4:5], s4, v3
	v_mov_b32_e32 v4, 0x80
	s_and_saveexec_b64 s[18:19], s[4:5]
	s_cbranch_execz .LBB274_36
; %bb.31:
	s_mov_b32 s4, 0x3bffffff
	v_cmp_lt_u32_e64 s[4:5], s4, v3
	s_mov_b64 s[20:21], 0
                                        ; implicit-def: $vgpr2
	s_and_saveexec_b64 s[22:23], s[4:5]
	s_xor_b64 s[4:5], exec, s[22:23]
	s_cbranch_execz .LBB274_2483
; %bb.32:
	v_bfe_u32 v2, v3, 20, 1
	s_mov_b32 s22, 0x487ffff
	v_add3_u32 v2, v3, v2, s22
	s_mov_b64 s[20:21], exec
	v_lshrrev_b32_e32 v2, 20, v2
                                        ; implicit-def: $vgpr3
	s_andn2_saveexec_b64 s[22:23], s[4:5]
	s_cbranch_execnz .LBB274_2484
.LBB274_33:
	s_or_b64 exec, exec, s[22:23]
	v_mov_b32_e32 v4, 0
	s_and_saveexec_b64 s[4:5], s[20:21]
.LBB274_34:
	v_mov_b32_e32 v4, v2
.LBB274_35:
	s_or_b64 exec, exec, s[4:5]
.LBB274_36:
	s_or_b64 exec, exec, s[18:19]
	flat_store_byte v[0:1], v4
.LBB274_37:
	s_or_b64 exec, exec, s[16:17]
	s_or_b64 s[6:7], s[6:7], exec
.LBB274_38:
	s_or_b64 exec, exec, s[10:11]
	s_and_b64 s[10:11], s[14:15], exec
	s_and_b64 s[6:7], s[6:7], exec
                                        ; implicit-def: $vgpr0_vgpr1
.LBB274_39:
	s_andn2_saveexec_b64 s[12:13], s[12:13]
	s_cbranch_execz .LBB274_83
; %bb.40:
	v_mov_b32_e32 v2, 22
	v_cmp_gt_i16_sdwa s[14:15], v17, v2 src0_sel:BYTE_0 src1_sel:DWORD
	s_mov_b64 s[4:5], s[6:7]
	s_and_saveexec_b64 s[16:17], s[14:15]
	s_xor_b64 s[14:15], exec, s[16:17]
	s_cbranch_execz .LBB274_72
; %bb.41:
	v_mov_b32_e32 v2, 23
	v_cmp_gt_i16_sdwa s[4:5], v17, v2 src0_sel:BYTE_0 src1_sel:DWORD
	s_and_saveexec_b64 s[16:17], s[4:5]
	s_xor_b64 s[16:17], exec, s[16:17]
	s_cbranch_execz .LBB274_61
; %bb.42:
	v_mov_b32_e32 v2, 24
	v_cmp_gt_i16_sdwa s[4:5], v17, v2 src0_sel:BYTE_0 src1_sel:DWORD
	s_and_saveexec_b64 s[18:19], s[4:5]
	s_xor_b64 s[18:19], exec, s[18:19]
	s_cbranch_execz .LBB274_50
; %bb.43:
	v_cndmask_b32_e64 v3, 0, 1.0, vcc
	s_mov_b32 s4, 0x47800000
	v_cmp_gt_u32_e64 s[4:5], s4, v3
	v_mov_b32_e32 v4, 0x80
	s_and_saveexec_b64 s[20:21], s[4:5]
	s_cbranch_execz .LBB274_49
; %bb.44:
	s_mov_b32 s4, 0x37ffffff
	v_cmp_lt_u32_e64 s[4:5], s4, v3
	s_mov_b64 s[22:23], 0
                                        ; implicit-def: $vgpr2
	s_and_saveexec_b64 s[24:25], s[4:5]
	s_xor_b64 s[4:5], exec, s[24:25]
	s_cbranch_execz .LBB274_2540
; %bb.45:
	v_bfe_u32 v2, v3, 21, 1
	s_mov_b32 s24, 0x88fffff
	v_add3_u32 v2, v3, v2, s24
	s_mov_b64 s[22:23], exec
	v_lshrrev_b32_e32 v2, 21, v2
                                        ; implicit-def: $vgpr3
	s_andn2_saveexec_b64 s[24:25], s[4:5]
	s_cbranch_execnz .LBB274_2541
.LBB274_46:
	s_or_b64 exec, exec, s[24:25]
	v_mov_b32_e32 v4, 0
	s_and_saveexec_b64 s[4:5], s[22:23]
.LBB274_47:
	v_mov_b32_e32 v4, v2
.LBB274_48:
	s_or_b64 exec, exec, s[4:5]
.LBB274_49:
	s_or_b64 exec, exec, s[20:21]
	flat_store_byte v[0:1], v4
                                        ; implicit-def: $vgpr0_vgpr1
.LBB274_50:
	s_andn2_saveexec_b64 s[18:19], s[18:19]
	s_cbranch_execz .LBB274_60
; %bb.51:
	v_cndmask_b32_e64 v2, 0, 1.0, vcc
	s_mov_b32 s4, 0x43f00000
	v_cmp_gt_u32_e64 s[4:5], s4, v2
                                        ; implicit-def: $vgpr3
	s_and_saveexec_b64 s[20:21], s[4:5]
	s_xor_b64 s[20:21], exec, s[20:21]
	s_cbranch_execz .LBB274_57
; %bb.52:
	s_mov_b32 s4, 0x3c7fffff
	v_cmp_lt_u32_e64 s[4:5], s4, v2
                                        ; implicit-def: $vgpr3
	s_and_saveexec_b64 s[22:23], s[4:5]
	s_xor_b64 s[22:23], exec, s[22:23]
; %bb.53:
	v_bfe_u32 v3, v2, 20, 1
	s_mov_b32 s4, 0x407ffff
	v_add3_u32 v2, v2, v3, s4
	v_lshrrev_b32_e32 v3, 20, v2
	v_and_b32_e32 v2, 0xff00000, v2
	s_mov_b32 s4, 0x7f00000
	v_mov_b32_e32 v4, 0x7e
	v_cmp_ne_u32_e64 s[4:5], s4, v2
	v_cndmask_b32_e64 v3, v4, v3, s[4:5]
                                        ; implicit-def: $vgpr2
; %bb.54:
	s_andn2_saveexec_b64 s[4:5], s[22:23]
; %bb.55:
	v_add_f32_e32 v3, 0x46800000, v2
; %bb.56:
	s_or_b64 exec, exec, s[4:5]
                                        ; implicit-def: $vgpr2
.LBB274_57:
	s_andn2_saveexec_b64 s[20:21], s[20:21]
; %bb.58:
	s_mov_b32 s4, 0x7f800000
	v_mov_b32_e32 v3, 0x7e
	v_mov_b32_e32 v4, 0x7f
	v_cmp_lt_u32_e64 s[4:5], s4, v2
	v_cndmask_b32_e64 v3, v3, v4, s[4:5]
; %bb.59:
	s_or_b64 exec, exec, s[20:21]
	flat_store_byte v[0:1], v3
.LBB274_60:
	s_or_b64 exec, exec, s[18:19]
                                        ; implicit-def: $vgpr0_vgpr1
.LBB274_61:
	s_andn2_saveexec_b64 s[16:17], s[16:17]
	s_cbranch_execz .LBB274_71
; %bb.62:
	v_cndmask_b32_e64 v2, 0, 1.0, vcc
	s_mov_b32 s4, 0x47800000
	v_cmp_gt_u32_e64 s[4:5], s4, v2
                                        ; implicit-def: $vgpr3
	s_and_saveexec_b64 s[18:19], s[4:5]
	s_xor_b64 s[18:19], exec, s[18:19]
	s_cbranch_execz .LBB274_68
; %bb.63:
	s_mov_b32 s4, 0x387fffff
	v_cmp_lt_u32_e64 s[4:5], s4, v2
                                        ; implicit-def: $vgpr3
	s_and_saveexec_b64 s[20:21], s[4:5]
	s_xor_b64 s[4:5], exec, s[20:21]
; %bb.64:
	v_bfe_u32 v3, v2, 21, 1
	s_mov_b32 s20, 0x80fffff
	v_add3_u32 v2, v2, v3, s20
	v_lshrrev_b32_e32 v3, 21, v2
                                        ; implicit-def: $vgpr2
; %bb.65:
	s_andn2_saveexec_b64 s[4:5], s[4:5]
; %bb.66:
	v_add_f32_e32 v3, 0x43000000, v2
; %bb.67:
	s_or_b64 exec, exec, s[4:5]
                                        ; implicit-def: $vgpr2
.LBB274_68:
	s_andn2_saveexec_b64 s[18:19], s[18:19]
; %bb.69:
	s_mov_b32 s4, 0x7f800000
	v_mov_b32_e32 v3, 0x7c
	v_mov_b32_e32 v4, 0x7f
	v_cmp_lt_u32_e64 s[4:5], s4, v2
	v_cndmask_b32_e64 v3, v3, v4, s[4:5]
; %bb.70:
	s_or_b64 exec, exec, s[18:19]
	flat_store_byte v[0:1], v3
.LBB274_71:
	s_or_b64 exec, exec, s[16:17]
	s_or_b64 s[4:5], s[6:7], exec
                                        ; implicit-def: $vgpr0_vgpr1
.LBB274_72:
	s_or_saveexec_b64 s[14:15], s[14:15]
	s_mov_b64 s[18:19], s[10:11]
	s_xor_b64 exec, exec, s[14:15]
	s_cbranch_execz .LBB274_82
; %bb.73:
	v_mov_b32_e32 v2, 14
	v_cmp_gt_i16_sdwa s[20:21], v17, v2 src0_sel:BYTE_0 src1_sel:DWORD
	s_mov_b64 s[16:17], s[4:5]
	s_mov_b64 s[18:19], s[10:11]
	s_and_saveexec_b64 s[22:23], s[20:21]
	s_xor_b64 s[20:21], exec, s[22:23]
	s_cbranch_execz .LBB274_77
; %bb.74:
	v_mov_b32_e32 v2, 15
	v_cmp_eq_u16_sdwa s[24:25], v17, v2 src0_sel:BYTE_0 src1_sel:DWORD
	s_mov_b64 s[18:19], -1
	s_mov_b64 s[16:17], s[4:5]
	s_and_saveexec_b64 s[22:23], s[24:25]
	s_cbranch_execz .LBB274_76
; %bb.75:
	v_cndmask_b32_e64 v2, 0, 1.0, vcc
	v_bfe_u32 v3, v2, 16, 1
	s_movk_i32 s16, 0x7fff
	v_add3_u32 v2, v2, v3, s16
	flat_store_short_d16_hi v[0:1], v2
	s_xor_b64 s[18:19], exec, -1
	s_or_b64 s[16:17], s[4:5], exec
.LBB274_76:
	s_or_b64 exec, exec, s[22:23]
	s_andn2_b64 s[22:23], s[10:11], exec
	s_and_b64 s[18:19], s[18:19], exec
	s_or_b64 s[18:19], s[22:23], s[18:19]
	s_andn2_b64 s[22:23], s[4:5], exec
	s_and_b64 s[16:17], s[16:17], exec
	s_or_b64 s[16:17], s[22:23], s[16:17]
                                        ; implicit-def: $vgpr0_vgpr1
.LBB274_77:
	s_andn2_saveexec_b64 s[20:21], s[20:21]
	s_cbranch_execz .LBB274_81
; %bb.78:
	v_mov_b32_e32 v2, 11
	v_cmp_eq_u16_sdwa s[28:29], v17, v2 src0_sel:BYTE_0 src1_sel:DWORD
	s_mov_b64 s[24:25], -1
	s_mov_b64 s[22:23], s[16:17]
	s_and_saveexec_b64 s[26:27], s[28:29]
	s_cbranch_execz .LBB274_80
; %bb.79:
	v_cndmask_b32_e64 v2, 0, 1, vcc
	flat_store_byte v[0:1], v2
	s_xor_b64 s[24:25], exec, -1
	s_or_b64 s[22:23], s[16:17], exec
.LBB274_80:
	s_or_b64 exec, exec, s[26:27]
	s_andn2_b64 s[18:19], s[18:19], exec
	s_and_b64 s[24:25], s[24:25], exec
	s_andn2_b64 s[16:17], s[16:17], exec
	s_and_b64 s[22:23], s[22:23], exec
	s_or_b64 s[18:19], s[18:19], s[24:25]
	s_or_b64 s[16:17], s[16:17], s[22:23]
.LBB274_81:
	s_or_b64 exec, exec, s[20:21]
	s_andn2_b64 s[20:21], s[10:11], exec
	s_and_b64 s[18:19], s[18:19], exec
	s_andn2_b64 s[4:5], s[4:5], exec
	s_and_b64 s[16:17], s[16:17], exec
	s_or_b64 s[18:19], s[20:21], s[18:19]
	s_or_b64 s[4:5], s[4:5], s[16:17]
.LBB274_82:
	s_or_b64 exec, exec, s[14:15]
	s_andn2_b64 s[10:11], s[10:11], exec
	s_and_b64 s[14:15], s[18:19], exec
	s_andn2_b64 s[6:7], s[6:7], exec
	s_and_b64 s[4:5], s[4:5], exec
	s_or_b64 s[10:11], s[10:11], s[14:15]
	s_or_b64 s[6:7], s[6:7], s[4:5]
.LBB274_83:
	s_or_b64 exec, exec, s[12:13]
	s_and_b64 s[4:5], s[10:11], exec
	s_and_b64 s[6:7], s[6:7], exec
                                        ; implicit-def: $vgpr0_vgpr1
	s_andn2_saveexec_b64 s[8:9], s[8:9]
	s_cbranch_execnz .LBB274_2097
.LBB274_84:
	s_or_b64 exec, exec, s[8:9]
	s_mov_b64 s[8:9], 0
	s_and_saveexec_b64 s[10:11], s[6:7]
.LBB274_85:
	s_mov_b64 s[8:9], exec
	v_add_u32_e32 v7, 0x80, v7
.LBB274_86:
	s_or_b64 exec, exec, s[10:11]
	s_and_b64 s[34:35], s[4:5], exec
	s_orn2_b64 s[4:5], s[8:9], exec
.LBB274_87:
	s_or_b64 exec, exec, s[42:43]
	s_mov_b64 s[8:9], 0
                                        ; implicit-def: $sgpr6_sgpr7
                                        ; implicit-def: $vgpr2
                                        ; implicit-def: $vgpr0_vgpr1
	s_and_saveexec_b64 s[42:43], s[4:5]
	s_cbranch_execz .LBB274_349
; %bb.88:
	v_cmp_gt_i32_e32 vcc, s33, v7
	s_mov_b64 s[10:11], -1
	s_mov_b64 s[44:45], s[34:35]
	s_and_saveexec_b64 s[46:47], vcc
	s_cbranch_execz .LBB274_174
; %bb.89:
	s_getpc_b64 s[4:5]
	s_add_u32 s4, s4, _ZN2at6native6invokeINS0_13BinaryFunctorIN3c1013Float8_e4m3fnES4_bNS0_12_GLOBAL__N_116CompareEqFunctorIS4_EEEEi15function_traitsIS8_EEENT1_11result_typeERKT_PrKPcPKT0_PKNS3_10ScalarTypeEi@rel32@lo+4
	s_addc_u32 s5, s5, _ZN2at6native6invokeINS0_13BinaryFunctorIN3c1013Float8_e4m3fnES4_bNS0_12_GLOBAL__N_116CompareEqFunctorIS4_EEEEi15function_traitsIS8_EEENT1_11result_typeERKT_PrKPcPKT0_PKNS3_10ScalarTypeEi@rel32@hi+12
	s_waitcnt vmcnt(0)
	v_mov_b32_e32 v0, v16
	v_mov_b32_e32 v1, s41
	;; [unrolled: 1-line block ×7, first 2 shown]
	s_swappc_b64 s[30:31], s[4:5]
	v_and_b32_e32 v0, 1, v0
	v_cmp_eq_u32_e32 vcc, 1, v0
	v_mul_lo_u32 v0, v20, v7
	v_mov_b32_e32 v2, 10
	v_cmp_gt_i16_sdwa s[8:9], v17, v2 src0_sel:BYTE_0 src1_sel:DWORD
	s_mov_b64 s[6:7], 0
	v_ashrrev_i32_e32 v1, 31, v0
	v_add_co_u32_e64 v0, s[4:5], v18, v0
	v_addc_co_u32_e64 v1, s[4:5], v19, v1, s[4:5]
	s_mov_b64 s[4:5], s[34:35]
	s_and_saveexec_b64 s[10:11], s[8:9]
	s_xor_b64 s[8:9], exec, s[10:11]
	s_cbranch_execz .LBB274_2189
; %bb.90:
	v_mov_b32_e32 v2, 25
	v_cmp_gt_i16_sdwa s[4:5], v17, v2 src0_sel:BYTE_0 src1_sel:DWORD
	s_mov_b64 s[10:11], s[34:35]
	s_and_saveexec_b64 s[12:13], s[4:5]
	s_xor_b64 s[12:13], exec, s[12:13]
	s_cbranch_execz .LBB274_126
; %bb.91:
	v_mov_b32_e32 v2, 28
	v_cmp_gt_i16_sdwa s[4:5], v17, v2 src0_sel:BYTE_0 src1_sel:DWORD
	;; [unrolled: 7-line block ×3, first 2 shown]
	s_mov_b64 s[4:5], 0
	s_mov_b64 s[6:7], s[34:35]
	s_and_saveexec_b64 s[16:17], s[14:15]
	s_xor_b64 s[14:15], exec, s[16:17]
	s_cbranch_execz .LBB274_104
; %bb.93:
	v_mov_b32_e32 v2, 45
	v_cmp_gt_i16_sdwa s[4:5], v17, v2 src0_sel:BYTE_0 src1_sel:DWORD
	s_mov_b64 s[16:17], 0
	s_mov_b64 s[18:19], s[34:35]
	s_and_saveexec_b64 s[6:7], s[4:5]
	s_xor_b64 s[4:5], exec, s[6:7]
	s_cbranch_execz .LBB274_97
; %bb.94:
	v_mov_b32_e32 v2, 46
	v_cmp_eq_u16_sdwa s[20:21], v17, v2 src0_sel:BYTE_0 src1_sel:DWORD
	s_mov_b64 s[6:7], 0
	s_mov_b64 s[18:19], -1
	s_and_saveexec_b64 s[16:17], s[20:21]
	s_cbranch_execz .LBB274_96
; %bb.95:
	v_cndmask_b32_e64 v2, 0, 1.0, vcc
	v_bfe_u32 v3, v2, 16, 1
	s_movk_i32 s18, 0x7fff
	v_add3_u32 v2, v2, v3, s18
	v_lshrrev_b32_e32 v2, 16, v2
	s_mov_b64 s[6:7], exec
	flat_store_dword v[0:1], v2
	s_xor_b64 s[18:19], exec, -1
.LBB274_96:
	s_or_b64 exec, exec, s[16:17]
	s_andn2_b64 s[16:17], s[34:35], exec
	s_and_b64 s[18:19], s[18:19], exec
	s_or_b64 s[18:19], s[16:17], s[18:19]
	s_and_b64 s[16:17], s[6:7], exec
                                        ; implicit-def: $vgpr0_vgpr1
.LBB274_97:
	s_andn2_saveexec_b64 s[20:21], s[4:5]
	s_cbranch_execz .LBB274_103
; %bb.98:
	v_mov_b32_e32 v2, 44
	v_cmp_eq_u16_sdwa s[24:25], v17, v2 src0_sel:BYTE_0 src1_sel:DWORD
	s_mov_b64 s[6:7], -1
	s_mov_b64 s[4:5], s[16:17]
	s_and_saveexec_b64 s[22:23], s[24:25]
	s_cbranch_execz .LBB274_102
; %bb.99:
	v_cndmask_b32_e64 v3, 0, 1.0, vcc
	v_lshrrev_b32_e32 v2, 23, v3
	s_movk_i32 s4, 0xff
	v_cmp_ne_u32_e64 s[4:5], s4, v2
	v_mov_b32_e32 v4, 0xff
	s_and_saveexec_b64 s[24:25], s[4:5]
; %bb.100:
	s_mov_b32 s6, 0x3fffff
	v_and_b32_e32 v4, 0x400000, v3
	v_and_or_b32 v3, v3, s6, v2
	v_cmp_ne_u32_e64 s[4:5], 0, v4
	v_cmp_ne_u32_e64 s[6:7], 0, v3
	s_and_b64 s[4:5], s[4:5], s[6:7]
	v_cndmask_b32_e64 v3, 0, 1, s[4:5]
	v_add_u32_e32 v4, v2, v3
; %bb.101:
	s_or_b64 exec, exec, s[24:25]
	s_xor_b64 s[6:7], exec, -1
	s_or_b64 s[4:5], s[16:17], exec
	flat_store_byte v[0:1], v4
.LBB274_102:
	s_or_b64 exec, exec, s[22:23]
	s_andn2_b64 s[18:19], s[18:19], exec
	s_and_b64 s[6:7], s[6:7], exec
	s_or_b64 s[18:19], s[18:19], s[6:7]
	s_andn2_b64 s[6:7], s[16:17], exec
	s_and_b64 s[4:5], s[4:5], exec
	s_or_b64 s[16:17], s[6:7], s[4:5]
.LBB274_103:
	s_or_b64 exec, exec, s[20:21]
	s_andn2_b64 s[4:5], s[34:35], exec
	s_and_b64 s[6:7], s[18:19], exec
	s_or_b64 s[6:7], s[4:5], s[6:7]
	s_and_b64 s[4:5], s[16:17], exec
                                        ; implicit-def: $vgpr0_vgpr1
.LBB274_104:
	s_andn2_saveexec_b64 s[14:15], s[14:15]
	s_cbranch_execz .LBB274_108
; %bb.105:
	v_mov_b32_e32 v2, 29
	v_cmp_eq_u16_sdwa s[22:23], v17, v2 src0_sel:BYTE_0 src1_sel:DWORD
	s_mov_b64 s[18:19], -1
	s_mov_b64 s[16:17], s[4:5]
	s_and_saveexec_b64 s[20:21], s[22:23]
	s_cbranch_execz .LBB274_107
; %bb.106:
	s_mov_b32 s16, 0
	v_cndmask_b32_e64 v2, 0, 1, vcc
	v_mov_b32_e32 v3, s16
	flat_store_dwordx2 v[0:1], v[2:3]
	s_xor_b64 s[18:19], exec, -1
	s_or_b64 s[16:17], s[4:5], exec
.LBB274_107:
	s_or_b64 exec, exec, s[20:21]
	s_andn2_b64 s[6:7], s[6:7], exec
	s_and_b64 s[18:19], s[18:19], exec
	s_andn2_b64 s[4:5], s[4:5], exec
	s_and_b64 s[16:17], s[16:17], exec
	s_or_b64 s[6:7], s[6:7], s[18:19]
	s_or_b64 s[4:5], s[4:5], s[16:17]
.LBB274_108:
	s_or_b64 exec, exec, s[14:15]
	s_andn2_b64 s[14:15], s[34:35], exec
	s_and_b64 s[6:7], s[6:7], exec
	s_or_b64 s[14:15], s[14:15], s[6:7]
	s_and_b64 s[6:7], s[4:5], exec
                                        ; implicit-def: $vgpr0_vgpr1
.LBB274_109:
	s_andn2_saveexec_b64 s[10:11], s[10:11]
	s_cbranch_execz .LBB274_125
; %bb.110:
	v_mov_b32_e32 v2, 26
	v_cmp_gt_i16_sdwa s[4:5], v17, v2 src0_sel:BYTE_0 src1_sel:DWORD
	s_and_saveexec_b64 s[16:17], s[4:5]
	s_xor_b64 s[4:5], exec, s[16:17]
	s_cbranch_execz .LBB274_116
; %bb.111:
	v_mov_b32_e32 v2, 27
	v_cmp_gt_i16_sdwa s[16:17], v17, v2 src0_sel:BYTE_0 src1_sel:DWORD
	s_and_saveexec_b64 s[18:19], s[16:17]
	s_xor_b64 s[16:17], exec, s[18:19]
	s_cbranch_execz .LBB274_113
; %bb.112:
	v_cndmask_b32_e64 v2, 0, 1, vcc
	flat_store_dword v[0:1], v2
                                        ; implicit-def: $vgpr0_vgpr1
.LBB274_113:
	s_andn2_saveexec_b64 s[16:17], s[16:17]
	s_cbranch_execz .LBB274_115
; %bb.114:
	v_cndmask_b32_e64 v2, 0, 1, vcc
	flat_store_short v[0:1], v2
.LBB274_115:
	s_or_b64 exec, exec, s[16:17]
                                        ; implicit-def: $vgpr0_vgpr1
.LBB274_116:
	s_andn2_saveexec_b64 s[16:17], s[4:5]
	s_cbranch_execz .LBB274_124
; %bb.117:
	v_cndmask_b32_e64 v3, 0, 1.0, vcc
	s_mov_b32 s4, 0x43800000
	v_cmp_gt_u32_e64 s[4:5], s4, v3
	v_mov_b32_e32 v4, 0x80
	s_and_saveexec_b64 s[18:19], s[4:5]
	s_cbranch_execz .LBB274_123
; %bb.118:
	s_mov_b32 s4, 0x3bffffff
	v_cmp_lt_u32_e64 s[4:5], s4, v3
	s_mov_b64 s[20:21], 0
                                        ; implicit-def: $vgpr2
	s_and_saveexec_b64 s[22:23], s[4:5]
	s_xor_b64 s[4:5], exec, s[22:23]
	s_cbranch_execz .LBB274_2542
; %bb.119:
	v_bfe_u32 v2, v3, 20, 1
	s_mov_b32 s22, 0x487ffff
	v_add3_u32 v2, v3, v2, s22
	s_mov_b64 s[20:21], exec
	v_lshrrev_b32_e32 v2, 20, v2
                                        ; implicit-def: $vgpr3
	s_andn2_saveexec_b64 s[22:23], s[4:5]
	s_cbranch_execnz .LBB274_2543
.LBB274_120:
	s_or_b64 exec, exec, s[22:23]
	v_mov_b32_e32 v4, 0
	s_and_saveexec_b64 s[4:5], s[20:21]
.LBB274_121:
	v_mov_b32_e32 v4, v2
.LBB274_122:
	s_or_b64 exec, exec, s[4:5]
.LBB274_123:
	s_or_b64 exec, exec, s[18:19]
	flat_store_byte v[0:1], v4
.LBB274_124:
	s_or_b64 exec, exec, s[16:17]
	s_or_b64 s[6:7], s[6:7], exec
.LBB274_125:
	s_or_b64 exec, exec, s[10:11]
	s_andn2_b64 s[4:5], s[34:35], exec
	s_and_b64 s[10:11], s[14:15], exec
	s_or_b64 s[10:11], s[4:5], s[10:11]
	s_and_b64 s[6:7], s[6:7], exec
                                        ; implicit-def: $vgpr0_vgpr1
.LBB274_126:
	s_andn2_saveexec_b64 s[12:13], s[12:13]
	s_cbranch_execz .LBB274_170
; %bb.127:
	v_mov_b32_e32 v2, 22
	v_cmp_gt_i16_sdwa s[14:15], v17, v2 src0_sel:BYTE_0 src1_sel:DWORD
	s_mov_b64 s[4:5], s[6:7]
	s_and_saveexec_b64 s[16:17], s[14:15]
	s_xor_b64 s[14:15], exec, s[16:17]
	s_cbranch_execz .LBB274_159
; %bb.128:
	v_mov_b32_e32 v2, 23
	v_cmp_gt_i16_sdwa s[4:5], v17, v2 src0_sel:BYTE_0 src1_sel:DWORD
	s_and_saveexec_b64 s[16:17], s[4:5]
	s_xor_b64 s[16:17], exec, s[16:17]
	s_cbranch_execz .LBB274_148
; %bb.129:
	v_mov_b32_e32 v2, 24
	v_cmp_gt_i16_sdwa s[4:5], v17, v2 src0_sel:BYTE_0 src1_sel:DWORD
	s_and_saveexec_b64 s[18:19], s[4:5]
	s_xor_b64 s[18:19], exec, s[18:19]
	s_cbranch_execz .LBB274_137
; %bb.130:
	v_cndmask_b32_e64 v3, 0, 1.0, vcc
	s_mov_b32 s4, 0x47800000
	v_cmp_gt_u32_e64 s[4:5], s4, v3
	v_mov_b32_e32 v4, 0x80
	s_and_saveexec_b64 s[20:21], s[4:5]
	s_cbranch_execz .LBB274_136
; %bb.131:
	s_mov_b32 s4, 0x37ffffff
	v_cmp_lt_u32_e64 s[4:5], s4, v3
	s_mov_b64 s[22:23], 0
                                        ; implicit-def: $vgpr2
	s_and_saveexec_b64 s[24:25], s[4:5]
	s_xor_b64 s[4:5], exec, s[24:25]
	s_cbranch_execz .LBB274_2591
; %bb.132:
	v_bfe_u32 v2, v3, 21, 1
	s_mov_b32 s24, 0x88fffff
	v_add3_u32 v2, v3, v2, s24
	s_mov_b64 s[22:23], exec
	v_lshrrev_b32_e32 v2, 21, v2
                                        ; implicit-def: $vgpr3
	s_andn2_saveexec_b64 s[24:25], s[4:5]
	s_cbranch_execnz .LBB274_2592
.LBB274_133:
	s_or_b64 exec, exec, s[24:25]
	v_mov_b32_e32 v4, 0
	s_and_saveexec_b64 s[4:5], s[22:23]
.LBB274_134:
	v_mov_b32_e32 v4, v2
.LBB274_135:
	s_or_b64 exec, exec, s[4:5]
.LBB274_136:
	s_or_b64 exec, exec, s[20:21]
	flat_store_byte v[0:1], v4
                                        ; implicit-def: $vgpr0_vgpr1
.LBB274_137:
	s_andn2_saveexec_b64 s[18:19], s[18:19]
	s_cbranch_execz .LBB274_147
; %bb.138:
	v_cndmask_b32_e64 v2, 0, 1.0, vcc
	s_mov_b32 s4, 0x43f00000
	v_cmp_gt_u32_e64 s[4:5], s4, v2
                                        ; implicit-def: $vgpr3
	s_and_saveexec_b64 s[20:21], s[4:5]
	s_xor_b64 s[20:21], exec, s[20:21]
	s_cbranch_execz .LBB274_144
; %bb.139:
	s_mov_b32 s4, 0x3c7fffff
	v_cmp_lt_u32_e64 s[4:5], s4, v2
                                        ; implicit-def: $vgpr3
	s_and_saveexec_b64 s[22:23], s[4:5]
	s_xor_b64 s[22:23], exec, s[22:23]
; %bb.140:
	v_bfe_u32 v3, v2, 20, 1
	s_mov_b32 s4, 0x407ffff
	v_add3_u32 v2, v2, v3, s4
	v_lshrrev_b32_e32 v3, 20, v2
	v_and_b32_e32 v2, 0xff00000, v2
	s_mov_b32 s4, 0x7f00000
	v_mov_b32_e32 v4, 0x7e
	v_cmp_ne_u32_e64 s[4:5], s4, v2
	v_cndmask_b32_e64 v3, v4, v3, s[4:5]
                                        ; implicit-def: $vgpr2
; %bb.141:
	s_andn2_saveexec_b64 s[4:5], s[22:23]
; %bb.142:
	v_add_f32_e32 v3, 0x46800000, v2
; %bb.143:
	s_or_b64 exec, exec, s[4:5]
                                        ; implicit-def: $vgpr2
.LBB274_144:
	s_andn2_saveexec_b64 s[20:21], s[20:21]
; %bb.145:
	s_mov_b32 s4, 0x7f800000
	v_mov_b32_e32 v3, 0x7e
	v_mov_b32_e32 v4, 0x7f
	v_cmp_lt_u32_e64 s[4:5], s4, v2
	v_cndmask_b32_e64 v3, v3, v4, s[4:5]
; %bb.146:
	s_or_b64 exec, exec, s[20:21]
	flat_store_byte v[0:1], v3
.LBB274_147:
	s_or_b64 exec, exec, s[18:19]
                                        ; implicit-def: $vgpr0_vgpr1
.LBB274_148:
	s_andn2_saveexec_b64 s[16:17], s[16:17]
	s_cbranch_execz .LBB274_158
; %bb.149:
	v_cndmask_b32_e64 v2, 0, 1.0, vcc
	s_mov_b32 s4, 0x47800000
	v_cmp_gt_u32_e64 s[4:5], s4, v2
                                        ; implicit-def: $vgpr3
	s_and_saveexec_b64 s[18:19], s[4:5]
	s_xor_b64 s[18:19], exec, s[18:19]
	s_cbranch_execz .LBB274_155
; %bb.150:
	s_mov_b32 s4, 0x387fffff
	v_cmp_lt_u32_e64 s[4:5], s4, v2
                                        ; implicit-def: $vgpr3
	s_and_saveexec_b64 s[20:21], s[4:5]
	s_xor_b64 s[4:5], exec, s[20:21]
; %bb.151:
	v_bfe_u32 v3, v2, 21, 1
	s_mov_b32 s20, 0x80fffff
	v_add3_u32 v2, v2, v3, s20
	v_lshrrev_b32_e32 v3, 21, v2
                                        ; implicit-def: $vgpr2
; %bb.152:
	s_andn2_saveexec_b64 s[4:5], s[4:5]
; %bb.153:
	v_add_f32_e32 v3, 0x43000000, v2
; %bb.154:
	s_or_b64 exec, exec, s[4:5]
                                        ; implicit-def: $vgpr2
.LBB274_155:
	s_andn2_saveexec_b64 s[18:19], s[18:19]
; %bb.156:
	s_mov_b32 s4, 0x7f800000
	v_mov_b32_e32 v3, 0x7c
	v_mov_b32_e32 v4, 0x7f
	v_cmp_lt_u32_e64 s[4:5], s4, v2
	v_cndmask_b32_e64 v3, v3, v4, s[4:5]
; %bb.157:
	s_or_b64 exec, exec, s[18:19]
	flat_store_byte v[0:1], v3
.LBB274_158:
	s_or_b64 exec, exec, s[16:17]
	s_or_b64 s[4:5], s[6:7], exec
                                        ; implicit-def: $vgpr0_vgpr1
.LBB274_159:
	s_or_saveexec_b64 s[14:15], s[14:15]
	s_mov_b64 s[18:19], s[10:11]
	s_xor_b64 exec, exec, s[14:15]
	s_cbranch_execz .LBB274_169
; %bb.160:
	v_mov_b32_e32 v2, 14
	v_cmp_gt_i16_sdwa s[20:21], v17, v2 src0_sel:BYTE_0 src1_sel:DWORD
	s_mov_b64 s[16:17], s[4:5]
	s_mov_b64 s[18:19], s[10:11]
	s_and_saveexec_b64 s[22:23], s[20:21]
	s_xor_b64 s[20:21], exec, s[22:23]
	s_cbranch_execz .LBB274_164
; %bb.161:
	v_mov_b32_e32 v2, 15
	v_cmp_eq_u16_sdwa s[24:25], v17, v2 src0_sel:BYTE_0 src1_sel:DWORD
	s_mov_b64 s[18:19], -1
	s_mov_b64 s[16:17], s[4:5]
	s_and_saveexec_b64 s[22:23], s[24:25]
	s_cbranch_execz .LBB274_163
; %bb.162:
	v_cndmask_b32_e64 v2, 0, 1.0, vcc
	v_bfe_u32 v3, v2, 16, 1
	s_movk_i32 s16, 0x7fff
	v_add3_u32 v2, v2, v3, s16
	flat_store_short_d16_hi v[0:1], v2
	s_xor_b64 s[18:19], exec, -1
	s_or_b64 s[16:17], s[4:5], exec
.LBB274_163:
	s_or_b64 exec, exec, s[22:23]
	s_andn2_b64 s[22:23], s[10:11], exec
	s_and_b64 s[18:19], s[18:19], exec
	s_or_b64 s[18:19], s[22:23], s[18:19]
	s_andn2_b64 s[22:23], s[4:5], exec
	s_and_b64 s[16:17], s[16:17], exec
	s_or_b64 s[16:17], s[22:23], s[16:17]
                                        ; implicit-def: $vgpr0_vgpr1
.LBB274_164:
	s_andn2_saveexec_b64 s[20:21], s[20:21]
	s_cbranch_execz .LBB274_168
; %bb.165:
	v_mov_b32_e32 v2, 11
	v_cmp_eq_u16_sdwa s[28:29], v17, v2 src0_sel:BYTE_0 src1_sel:DWORD
	s_mov_b64 s[24:25], -1
	s_mov_b64 s[22:23], s[16:17]
	s_and_saveexec_b64 s[26:27], s[28:29]
	s_cbranch_execz .LBB274_167
; %bb.166:
	v_cndmask_b32_e64 v2, 0, 1, vcc
	flat_store_byte v[0:1], v2
	s_xor_b64 s[24:25], exec, -1
	s_or_b64 s[22:23], s[16:17], exec
.LBB274_167:
	s_or_b64 exec, exec, s[26:27]
	s_andn2_b64 s[18:19], s[18:19], exec
	s_and_b64 s[24:25], s[24:25], exec
	s_andn2_b64 s[16:17], s[16:17], exec
	s_and_b64 s[22:23], s[22:23], exec
	s_or_b64 s[18:19], s[18:19], s[24:25]
	s_or_b64 s[16:17], s[16:17], s[22:23]
.LBB274_168:
	s_or_b64 exec, exec, s[20:21]
	s_andn2_b64 s[20:21], s[10:11], exec
	s_and_b64 s[18:19], s[18:19], exec
	s_andn2_b64 s[4:5], s[4:5], exec
	s_and_b64 s[16:17], s[16:17], exec
	s_or_b64 s[18:19], s[20:21], s[18:19]
	s_or_b64 s[4:5], s[4:5], s[16:17]
.LBB274_169:
	s_or_b64 exec, exec, s[14:15]
	s_andn2_b64 s[10:11], s[10:11], exec
	s_and_b64 s[14:15], s[18:19], exec
	s_andn2_b64 s[6:7], s[6:7], exec
	s_and_b64 s[4:5], s[4:5], exec
	s_or_b64 s[10:11], s[10:11], s[14:15]
	s_or_b64 s[6:7], s[6:7], s[4:5]
.LBB274_170:
	s_or_b64 exec, exec, s[12:13]
	s_andn2_b64 s[4:5], s[34:35], exec
	s_and_b64 s[10:11], s[10:11], exec
	s_or_b64 s[4:5], s[4:5], s[10:11]
	s_and_b64 s[6:7], s[6:7], exec
                                        ; implicit-def: $vgpr0_vgpr1
	s_andn2_saveexec_b64 s[8:9], s[8:9]
	s_cbranch_execnz .LBB274_2190
.LBB274_171:
	s_or_b64 exec, exec, s[8:9]
	s_mov_b64 s[8:9], 0
	s_and_saveexec_b64 s[10:11], s[6:7]
.LBB274_172:
	s_mov_b64 s[8:9], exec
	v_add_u32_e32 v7, 0x80, v7
.LBB274_173:
	s_or_b64 exec, exec, s[10:11]
	s_andn2_b64 s[6:7], s[34:35], exec
	s_and_b64 s[4:5], s[4:5], exec
	s_or_b64 s[44:45], s[6:7], s[4:5]
	s_orn2_b64 s[10:11], s[8:9], exec
.LBB274_174:
	s_or_b64 exec, exec, s[46:47]
	s_mov_b64 s[4:5], 0
	s_mov_b64 s[8:9], 0
                                        ; implicit-def: $sgpr6_sgpr7
                                        ; implicit-def: $vgpr2
                                        ; implicit-def: $vgpr0_vgpr1
	s_and_saveexec_b64 s[46:47], s[10:11]
	s_cbranch_execz .LBB274_346
; %bb.175:
	v_cmp_gt_i32_e32 vcc, s33, v7
	s_mov_b64 s[8:9], -1
	s_mov_b64 s[50:51], s[44:45]
	s_and_saveexec_b64 s[48:49], vcc
	s_cbranch_execz .LBB274_261
; %bb.176:
	s_getpc_b64 s[4:5]
	s_add_u32 s4, s4, _ZN2at6native6invokeINS0_13BinaryFunctorIN3c1013Float8_e4m3fnES4_bNS0_12_GLOBAL__N_116CompareEqFunctorIS4_EEEEi15function_traitsIS8_EEENT1_11result_typeERKT_PrKPcPKT0_PKNS3_10ScalarTypeEi@rel32@lo+4
	s_addc_u32 s5, s5, _ZN2at6native6invokeINS0_13BinaryFunctorIN3c1013Float8_e4m3fnES4_bNS0_12_GLOBAL__N_116CompareEqFunctorIS4_EEEEi15function_traitsIS8_EEENT1_11result_typeERKT_PrKPcPKT0_PKNS3_10ScalarTypeEi@rel32@hi+12
	s_waitcnt vmcnt(0)
	v_mov_b32_e32 v0, v16
	v_mov_b32_e32 v1, s41
	;; [unrolled: 1-line block ×7, first 2 shown]
	s_swappc_b64 s[30:31], s[4:5]
	v_and_b32_e32 v0, 1, v0
	v_cmp_eq_u32_e32 vcc, 1, v0
	v_mul_lo_u32 v0, v20, v7
	v_mov_b32_e32 v2, 10
	v_cmp_gt_i16_sdwa s[8:9], v17, v2 src0_sel:BYTE_0 src1_sel:DWORD
	s_mov_b64 s[6:7], 0
	v_ashrrev_i32_e32 v1, 31, v0
	v_add_co_u32_e64 v0, s[4:5], v18, v0
	v_addc_co_u32_e64 v1, s[4:5], v19, v1, s[4:5]
	s_mov_b64 s[4:5], s[44:45]
	s_and_saveexec_b64 s[10:11], s[8:9]
	s_xor_b64 s[8:9], exec, s[10:11]
	s_cbranch_execz .LBB274_2282
; %bb.177:
	v_mov_b32_e32 v2, 25
	v_cmp_gt_i16_sdwa s[4:5], v17, v2 src0_sel:BYTE_0 src1_sel:DWORD
	s_mov_b64 s[10:11], s[44:45]
	s_and_saveexec_b64 s[12:13], s[4:5]
	s_xor_b64 s[12:13], exec, s[12:13]
	s_cbranch_execz .LBB274_213
; %bb.178:
	v_mov_b32_e32 v2, 28
	v_cmp_gt_i16_sdwa s[4:5], v17, v2 src0_sel:BYTE_0 src1_sel:DWORD
	;; [unrolled: 7-line block ×3, first 2 shown]
	s_mov_b64 s[4:5], 0
	s_mov_b64 s[6:7], s[44:45]
	s_and_saveexec_b64 s[16:17], s[14:15]
	s_xor_b64 s[14:15], exec, s[16:17]
	s_cbranch_execz .LBB274_191
; %bb.180:
	v_mov_b32_e32 v2, 45
	v_cmp_gt_i16_sdwa s[4:5], v17, v2 src0_sel:BYTE_0 src1_sel:DWORD
	s_mov_b64 s[16:17], 0
	s_mov_b64 s[18:19], s[44:45]
	s_and_saveexec_b64 s[6:7], s[4:5]
	s_xor_b64 s[4:5], exec, s[6:7]
	s_cbranch_execz .LBB274_184
; %bb.181:
	v_mov_b32_e32 v2, 46
	v_cmp_eq_u16_sdwa s[20:21], v17, v2 src0_sel:BYTE_0 src1_sel:DWORD
	s_mov_b64 s[6:7], 0
	s_mov_b64 s[18:19], -1
	s_and_saveexec_b64 s[16:17], s[20:21]
	s_cbranch_execz .LBB274_183
; %bb.182:
	v_cndmask_b32_e64 v2, 0, 1.0, vcc
	v_bfe_u32 v3, v2, 16, 1
	s_movk_i32 s18, 0x7fff
	v_add3_u32 v2, v2, v3, s18
	v_lshrrev_b32_e32 v2, 16, v2
	s_mov_b64 s[6:7], exec
	flat_store_dword v[0:1], v2
	s_xor_b64 s[18:19], exec, -1
.LBB274_183:
	s_or_b64 exec, exec, s[16:17]
	s_andn2_b64 s[16:17], s[44:45], exec
	s_and_b64 s[18:19], s[18:19], exec
	s_or_b64 s[18:19], s[16:17], s[18:19]
	s_and_b64 s[16:17], s[6:7], exec
                                        ; implicit-def: $vgpr0_vgpr1
.LBB274_184:
	s_andn2_saveexec_b64 s[20:21], s[4:5]
	s_cbranch_execz .LBB274_190
; %bb.185:
	v_mov_b32_e32 v2, 44
	v_cmp_eq_u16_sdwa s[24:25], v17, v2 src0_sel:BYTE_0 src1_sel:DWORD
	s_mov_b64 s[6:7], -1
	s_mov_b64 s[4:5], s[16:17]
	s_and_saveexec_b64 s[22:23], s[24:25]
	s_cbranch_execz .LBB274_189
; %bb.186:
	v_cndmask_b32_e64 v3, 0, 1.0, vcc
	v_lshrrev_b32_e32 v2, 23, v3
	s_movk_i32 s4, 0xff
	v_cmp_ne_u32_e64 s[4:5], s4, v2
	v_mov_b32_e32 v4, 0xff
	s_and_saveexec_b64 s[24:25], s[4:5]
; %bb.187:
	s_mov_b32 s6, 0x3fffff
	v_and_b32_e32 v4, 0x400000, v3
	v_and_or_b32 v3, v3, s6, v2
	v_cmp_ne_u32_e64 s[4:5], 0, v4
	v_cmp_ne_u32_e64 s[6:7], 0, v3
	s_and_b64 s[4:5], s[4:5], s[6:7]
	v_cndmask_b32_e64 v3, 0, 1, s[4:5]
	v_add_u32_e32 v4, v2, v3
; %bb.188:
	s_or_b64 exec, exec, s[24:25]
	s_xor_b64 s[6:7], exec, -1
	s_or_b64 s[4:5], s[16:17], exec
	flat_store_byte v[0:1], v4
.LBB274_189:
	s_or_b64 exec, exec, s[22:23]
	s_andn2_b64 s[18:19], s[18:19], exec
	s_and_b64 s[6:7], s[6:7], exec
	s_or_b64 s[18:19], s[18:19], s[6:7]
	s_andn2_b64 s[6:7], s[16:17], exec
	s_and_b64 s[4:5], s[4:5], exec
	s_or_b64 s[16:17], s[6:7], s[4:5]
.LBB274_190:
	s_or_b64 exec, exec, s[20:21]
	s_andn2_b64 s[4:5], s[44:45], exec
	s_and_b64 s[6:7], s[18:19], exec
	s_or_b64 s[6:7], s[4:5], s[6:7]
	s_and_b64 s[4:5], s[16:17], exec
                                        ; implicit-def: $vgpr0_vgpr1
.LBB274_191:
	s_andn2_saveexec_b64 s[14:15], s[14:15]
	s_cbranch_execz .LBB274_195
; %bb.192:
	v_mov_b32_e32 v2, 29
	v_cmp_eq_u16_sdwa s[22:23], v17, v2 src0_sel:BYTE_0 src1_sel:DWORD
	s_mov_b64 s[18:19], -1
	s_mov_b64 s[16:17], s[4:5]
	s_and_saveexec_b64 s[20:21], s[22:23]
	s_cbranch_execz .LBB274_194
; %bb.193:
	s_mov_b32 s16, 0
	v_cndmask_b32_e64 v2, 0, 1, vcc
	v_mov_b32_e32 v3, s16
	flat_store_dwordx2 v[0:1], v[2:3]
	s_xor_b64 s[18:19], exec, -1
	s_or_b64 s[16:17], s[4:5], exec
.LBB274_194:
	s_or_b64 exec, exec, s[20:21]
	s_andn2_b64 s[6:7], s[6:7], exec
	s_and_b64 s[18:19], s[18:19], exec
	s_andn2_b64 s[4:5], s[4:5], exec
	s_and_b64 s[16:17], s[16:17], exec
	s_or_b64 s[6:7], s[6:7], s[18:19]
	s_or_b64 s[4:5], s[4:5], s[16:17]
.LBB274_195:
	s_or_b64 exec, exec, s[14:15]
	s_andn2_b64 s[14:15], s[44:45], exec
	s_and_b64 s[6:7], s[6:7], exec
	s_or_b64 s[14:15], s[14:15], s[6:7]
	s_and_b64 s[6:7], s[4:5], exec
                                        ; implicit-def: $vgpr0_vgpr1
.LBB274_196:
	s_andn2_saveexec_b64 s[10:11], s[10:11]
	s_cbranch_execz .LBB274_212
; %bb.197:
	v_mov_b32_e32 v2, 26
	v_cmp_gt_i16_sdwa s[4:5], v17, v2 src0_sel:BYTE_0 src1_sel:DWORD
	s_and_saveexec_b64 s[16:17], s[4:5]
	s_xor_b64 s[4:5], exec, s[16:17]
	s_cbranch_execz .LBB274_203
; %bb.198:
	v_mov_b32_e32 v2, 27
	v_cmp_gt_i16_sdwa s[16:17], v17, v2 src0_sel:BYTE_0 src1_sel:DWORD
	s_and_saveexec_b64 s[18:19], s[16:17]
	s_xor_b64 s[16:17], exec, s[18:19]
	s_cbranch_execz .LBB274_200
; %bb.199:
	v_cndmask_b32_e64 v2, 0, 1, vcc
	flat_store_dword v[0:1], v2
                                        ; implicit-def: $vgpr0_vgpr1
.LBB274_200:
	s_andn2_saveexec_b64 s[16:17], s[16:17]
	s_cbranch_execz .LBB274_202
; %bb.201:
	v_cndmask_b32_e64 v2, 0, 1, vcc
	flat_store_short v[0:1], v2
.LBB274_202:
	s_or_b64 exec, exec, s[16:17]
                                        ; implicit-def: $vgpr0_vgpr1
.LBB274_203:
	s_andn2_saveexec_b64 s[16:17], s[4:5]
	s_cbranch_execz .LBB274_211
; %bb.204:
	v_cndmask_b32_e64 v3, 0, 1.0, vcc
	s_mov_b32 s4, 0x43800000
	v_cmp_gt_u32_e64 s[4:5], s4, v3
	v_mov_b32_e32 v4, 0x80
	s_and_saveexec_b64 s[18:19], s[4:5]
	s_cbranch_execz .LBB274_210
; %bb.205:
	s_mov_b32 s4, 0x3bffffff
	v_cmp_lt_u32_e64 s[4:5], s4, v3
	s_mov_b64 s[20:21], 0
                                        ; implicit-def: $vgpr2
	s_and_saveexec_b64 s[22:23], s[4:5]
	s_xor_b64 s[4:5], exec, s[22:23]
	s_cbranch_execz .LBB274_2593
; %bb.206:
	v_bfe_u32 v2, v3, 20, 1
	s_mov_b32 s22, 0x487ffff
	v_add3_u32 v2, v3, v2, s22
	s_mov_b64 s[20:21], exec
	v_lshrrev_b32_e32 v2, 20, v2
                                        ; implicit-def: $vgpr3
	s_andn2_saveexec_b64 s[22:23], s[4:5]
	s_cbranch_execnz .LBB274_2594
.LBB274_207:
	s_or_b64 exec, exec, s[22:23]
	v_mov_b32_e32 v4, 0
	s_and_saveexec_b64 s[4:5], s[20:21]
.LBB274_208:
	v_mov_b32_e32 v4, v2
.LBB274_209:
	s_or_b64 exec, exec, s[4:5]
.LBB274_210:
	s_or_b64 exec, exec, s[18:19]
	flat_store_byte v[0:1], v4
.LBB274_211:
	s_or_b64 exec, exec, s[16:17]
	s_or_b64 s[6:7], s[6:7], exec
.LBB274_212:
	s_or_b64 exec, exec, s[10:11]
	s_andn2_b64 s[4:5], s[44:45], exec
	s_and_b64 s[10:11], s[14:15], exec
	s_or_b64 s[10:11], s[4:5], s[10:11]
	s_and_b64 s[6:7], s[6:7], exec
                                        ; implicit-def: $vgpr0_vgpr1
.LBB274_213:
	s_andn2_saveexec_b64 s[12:13], s[12:13]
	s_cbranch_execz .LBB274_257
; %bb.214:
	v_mov_b32_e32 v2, 22
	v_cmp_gt_i16_sdwa s[14:15], v17, v2 src0_sel:BYTE_0 src1_sel:DWORD
	s_mov_b64 s[4:5], s[6:7]
	s_and_saveexec_b64 s[16:17], s[14:15]
	s_xor_b64 s[14:15], exec, s[16:17]
	s_cbranch_execz .LBB274_246
; %bb.215:
	v_mov_b32_e32 v2, 23
	v_cmp_gt_i16_sdwa s[4:5], v17, v2 src0_sel:BYTE_0 src1_sel:DWORD
	s_and_saveexec_b64 s[16:17], s[4:5]
	s_xor_b64 s[16:17], exec, s[16:17]
	s_cbranch_execz .LBB274_235
; %bb.216:
	v_mov_b32_e32 v2, 24
	v_cmp_gt_i16_sdwa s[4:5], v17, v2 src0_sel:BYTE_0 src1_sel:DWORD
	s_and_saveexec_b64 s[18:19], s[4:5]
	s_xor_b64 s[18:19], exec, s[18:19]
	s_cbranch_execz .LBB274_224
; %bb.217:
	v_cndmask_b32_e64 v3, 0, 1.0, vcc
	s_mov_b32 s4, 0x47800000
	v_cmp_gt_u32_e64 s[4:5], s4, v3
	v_mov_b32_e32 v4, 0x80
	s_and_saveexec_b64 s[20:21], s[4:5]
	s_cbranch_execz .LBB274_223
; %bb.218:
	s_mov_b32 s4, 0x37ffffff
	v_cmp_lt_u32_e64 s[4:5], s4, v3
	s_mov_b64 s[22:23], 0
                                        ; implicit-def: $vgpr2
	s_and_saveexec_b64 s[24:25], s[4:5]
	s_xor_b64 s[4:5], exec, s[24:25]
	s_cbranch_execz .LBB274_2642
; %bb.219:
	v_bfe_u32 v2, v3, 21, 1
	s_mov_b32 s24, 0x88fffff
	v_add3_u32 v2, v3, v2, s24
	s_mov_b64 s[22:23], exec
	v_lshrrev_b32_e32 v2, 21, v2
                                        ; implicit-def: $vgpr3
	s_andn2_saveexec_b64 s[24:25], s[4:5]
	s_cbranch_execnz .LBB274_2643
.LBB274_220:
	s_or_b64 exec, exec, s[24:25]
	v_mov_b32_e32 v4, 0
	s_and_saveexec_b64 s[4:5], s[22:23]
.LBB274_221:
	v_mov_b32_e32 v4, v2
.LBB274_222:
	s_or_b64 exec, exec, s[4:5]
.LBB274_223:
	s_or_b64 exec, exec, s[20:21]
	flat_store_byte v[0:1], v4
                                        ; implicit-def: $vgpr0_vgpr1
.LBB274_224:
	s_andn2_saveexec_b64 s[18:19], s[18:19]
	s_cbranch_execz .LBB274_234
; %bb.225:
	v_cndmask_b32_e64 v2, 0, 1.0, vcc
	s_mov_b32 s4, 0x43f00000
	v_cmp_gt_u32_e64 s[4:5], s4, v2
                                        ; implicit-def: $vgpr3
	s_and_saveexec_b64 s[20:21], s[4:5]
	s_xor_b64 s[20:21], exec, s[20:21]
	s_cbranch_execz .LBB274_231
; %bb.226:
	s_mov_b32 s4, 0x3c7fffff
	v_cmp_lt_u32_e64 s[4:5], s4, v2
                                        ; implicit-def: $vgpr3
	s_and_saveexec_b64 s[22:23], s[4:5]
	s_xor_b64 s[22:23], exec, s[22:23]
; %bb.227:
	v_bfe_u32 v3, v2, 20, 1
	s_mov_b32 s4, 0x407ffff
	v_add3_u32 v2, v2, v3, s4
	v_lshrrev_b32_e32 v3, 20, v2
	v_and_b32_e32 v2, 0xff00000, v2
	s_mov_b32 s4, 0x7f00000
	v_mov_b32_e32 v4, 0x7e
	v_cmp_ne_u32_e64 s[4:5], s4, v2
	v_cndmask_b32_e64 v3, v4, v3, s[4:5]
                                        ; implicit-def: $vgpr2
; %bb.228:
	s_andn2_saveexec_b64 s[4:5], s[22:23]
; %bb.229:
	v_add_f32_e32 v3, 0x46800000, v2
; %bb.230:
	s_or_b64 exec, exec, s[4:5]
                                        ; implicit-def: $vgpr2
.LBB274_231:
	s_andn2_saveexec_b64 s[20:21], s[20:21]
; %bb.232:
	s_mov_b32 s4, 0x7f800000
	v_mov_b32_e32 v3, 0x7e
	v_mov_b32_e32 v4, 0x7f
	v_cmp_lt_u32_e64 s[4:5], s4, v2
	v_cndmask_b32_e64 v3, v3, v4, s[4:5]
; %bb.233:
	s_or_b64 exec, exec, s[20:21]
	flat_store_byte v[0:1], v3
.LBB274_234:
	s_or_b64 exec, exec, s[18:19]
                                        ; implicit-def: $vgpr0_vgpr1
.LBB274_235:
	s_andn2_saveexec_b64 s[16:17], s[16:17]
	s_cbranch_execz .LBB274_245
; %bb.236:
	v_cndmask_b32_e64 v2, 0, 1.0, vcc
	s_mov_b32 s4, 0x47800000
	v_cmp_gt_u32_e64 s[4:5], s4, v2
                                        ; implicit-def: $vgpr3
	s_and_saveexec_b64 s[18:19], s[4:5]
	s_xor_b64 s[18:19], exec, s[18:19]
	s_cbranch_execz .LBB274_242
; %bb.237:
	s_mov_b32 s4, 0x387fffff
	v_cmp_lt_u32_e64 s[4:5], s4, v2
                                        ; implicit-def: $vgpr3
	s_and_saveexec_b64 s[20:21], s[4:5]
	s_xor_b64 s[4:5], exec, s[20:21]
; %bb.238:
	v_bfe_u32 v3, v2, 21, 1
	s_mov_b32 s20, 0x80fffff
	v_add3_u32 v2, v2, v3, s20
	v_lshrrev_b32_e32 v3, 21, v2
                                        ; implicit-def: $vgpr2
; %bb.239:
	s_andn2_saveexec_b64 s[4:5], s[4:5]
; %bb.240:
	v_add_f32_e32 v3, 0x43000000, v2
; %bb.241:
	s_or_b64 exec, exec, s[4:5]
                                        ; implicit-def: $vgpr2
.LBB274_242:
	s_andn2_saveexec_b64 s[18:19], s[18:19]
; %bb.243:
	s_mov_b32 s4, 0x7f800000
	v_mov_b32_e32 v3, 0x7c
	v_mov_b32_e32 v4, 0x7f
	v_cmp_lt_u32_e64 s[4:5], s4, v2
	v_cndmask_b32_e64 v3, v3, v4, s[4:5]
; %bb.244:
	s_or_b64 exec, exec, s[18:19]
	flat_store_byte v[0:1], v3
.LBB274_245:
	s_or_b64 exec, exec, s[16:17]
	s_or_b64 s[4:5], s[6:7], exec
                                        ; implicit-def: $vgpr0_vgpr1
.LBB274_246:
	s_or_saveexec_b64 s[14:15], s[14:15]
	s_mov_b64 s[18:19], s[10:11]
	s_xor_b64 exec, exec, s[14:15]
	s_cbranch_execz .LBB274_256
; %bb.247:
	v_mov_b32_e32 v2, 14
	v_cmp_gt_i16_sdwa s[20:21], v17, v2 src0_sel:BYTE_0 src1_sel:DWORD
	s_mov_b64 s[16:17], s[4:5]
	s_mov_b64 s[18:19], s[10:11]
	s_and_saveexec_b64 s[22:23], s[20:21]
	s_xor_b64 s[20:21], exec, s[22:23]
	s_cbranch_execz .LBB274_251
; %bb.248:
	v_mov_b32_e32 v2, 15
	v_cmp_eq_u16_sdwa s[24:25], v17, v2 src0_sel:BYTE_0 src1_sel:DWORD
	s_mov_b64 s[18:19], -1
	s_mov_b64 s[16:17], s[4:5]
	s_and_saveexec_b64 s[22:23], s[24:25]
	s_cbranch_execz .LBB274_250
; %bb.249:
	v_cndmask_b32_e64 v2, 0, 1.0, vcc
	v_bfe_u32 v3, v2, 16, 1
	s_movk_i32 s16, 0x7fff
	v_add3_u32 v2, v2, v3, s16
	flat_store_short_d16_hi v[0:1], v2
	s_xor_b64 s[18:19], exec, -1
	s_or_b64 s[16:17], s[4:5], exec
.LBB274_250:
	s_or_b64 exec, exec, s[22:23]
	s_andn2_b64 s[22:23], s[10:11], exec
	s_and_b64 s[18:19], s[18:19], exec
	s_or_b64 s[18:19], s[22:23], s[18:19]
	s_andn2_b64 s[22:23], s[4:5], exec
	s_and_b64 s[16:17], s[16:17], exec
	s_or_b64 s[16:17], s[22:23], s[16:17]
                                        ; implicit-def: $vgpr0_vgpr1
.LBB274_251:
	s_andn2_saveexec_b64 s[20:21], s[20:21]
	s_cbranch_execz .LBB274_255
; %bb.252:
	v_mov_b32_e32 v2, 11
	v_cmp_eq_u16_sdwa s[28:29], v17, v2 src0_sel:BYTE_0 src1_sel:DWORD
	s_mov_b64 s[24:25], -1
	s_mov_b64 s[22:23], s[16:17]
	s_and_saveexec_b64 s[26:27], s[28:29]
	s_cbranch_execz .LBB274_254
; %bb.253:
	v_cndmask_b32_e64 v2, 0, 1, vcc
	flat_store_byte v[0:1], v2
	s_xor_b64 s[24:25], exec, -1
	s_or_b64 s[22:23], s[16:17], exec
.LBB274_254:
	s_or_b64 exec, exec, s[26:27]
	s_andn2_b64 s[18:19], s[18:19], exec
	s_and_b64 s[24:25], s[24:25], exec
	s_andn2_b64 s[16:17], s[16:17], exec
	s_and_b64 s[22:23], s[22:23], exec
	s_or_b64 s[18:19], s[18:19], s[24:25]
	s_or_b64 s[16:17], s[16:17], s[22:23]
.LBB274_255:
	s_or_b64 exec, exec, s[20:21]
	s_andn2_b64 s[20:21], s[10:11], exec
	s_and_b64 s[18:19], s[18:19], exec
	s_andn2_b64 s[4:5], s[4:5], exec
	s_and_b64 s[16:17], s[16:17], exec
	s_or_b64 s[18:19], s[20:21], s[18:19]
	s_or_b64 s[4:5], s[4:5], s[16:17]
.LBB274_256:
	s_or_b64 exec, exec, s[14:15]
	s_andn2_b64 s[10:11], s[10:11], exec
	s_and_b64 s[14:15], s[18:19], exec
	s_andn2_b64 s[6:7], s[6:7], exec
	s_and_b64 s[4:5], s[4:5], exec
	s_or_b64 s[10:11], s[10:11], s[14:15]
	s_or_b64 s[6:7], s[6:7], s[4:5]
.LBB274_257:
	s_or_b64 exec, exec, s[12:13]
	s_andn2_b64 s[4:5], s[44:45], exec
	s_and_b64 s[10:11], s[10:11], exec
	s_or_b64 s[4:5], s[4:5], s[10:11]
	s_and_b64 s[6:7], s[6:7], exec
                                        ; implicit-def: $vgpr0_vgpr1
	s_andn2_saveexec_b64 s[8:9], s[8:9]
	s_cbranch_execnz .LBB274_2283
.LBB274_258:
	s_or_b64 exec, exec, s[8:9]
	s_mov_b64 s[8:9], 0
	s_and_saveexec_b64 s[10:11], s[6:7]
.LBB274_259:
	s_mov_b64 s[8:9], exec
	v_add_u32_e32 v7, 0x80, v7
.LBB274_260:
	s_or_b64 exec, exec, s[10:11]
	s_andn2_b64 s[6:7], s[44:45], exec
	s_and_b64 s[4:5], s[4:5], exec
	s_or_b64 s[50:51], s[6:7], s[4:5]
	s_orn2_b64 s[8:9], s[8:9], exec
.LBB274_261:
	s_or_b64 exec, exec, s[48:49]
	s_mov_b64 s[4:5], 0
	s_mov_b64 s[10:11], 0
                                        ; implicit-def: $sgpr6_sgpr7
                                        ; implicit-def: $vgpr2
                                        ; implicit-def: $vgpr0_vgpr1
	s_and_saveexec_b64 s[48:49], s[8:9]
	s_cbranch_execz .LBB274_345
; %bb.262:
	v_cmp_gt_i32_e32 vcc, s33, v7
	s_mov_b64 s[8:9], s[50:51]
                                        ; implicit-def: $sgpr6_sgpr7
                                        ; implicit-def: $vgpr2
                                        ; implicit-def: $vgpr0_vgpr1
	s_and_saveexec_b64 s[52:53], vcc
	s_cbranch_execz .LBB274_344
; %bb.263:
	s_getpc_b64 s[4:5]
	s_add_u32 s4, s4, _ZN2at6native6invokeINS0_13BinaryFunctorIN3c1013Float8_e4m3fnES4_bNS0_12_GLOBAL__N_116CompareEqFunctorIS4_EEEEi15function_traitsIS8_EEENT1_11result_typeERKT_PrKPcPKT0_PKNS3_10ScalarTypeEi@rel32@lo+4
	s_addc_u32 s5, s5, _ZN2at6native6invokeINS0_13BinaryFunctorIN3c1013Float8_e4m3fnES4_bNS0_12_GLOBAL__N_116CompareEqFunctorIS4_EEEEi15function_traitsIS8_EEENT1_11result_typeERKT_PrKPcPKT0_PKNS3_10ScalarTypeEi@rel32@hi+12
	s_waitcnt vmcnt(0)
	v_mov_b32_e32 v0, v16
	v_mov_b32_e32 v1, s41
	;; [unrolled: 1-line block ×7, first 2 shown]
	s_swappc_b64 s[30:31], s[4:5]
	v_and_b32_e32 v0, 1, v0
	v_cmp_eq_u32_e64 s[6:7], 1, v0
	v_mul_lo_u32 v0, v20, v7
	v_and_b32_e32 v2, 0xff, v17
	s_mov_b64 s[12:13], 0
	s_mov_b64 s[10:11], -1
	v_ashrrev_i32_e32 v1, 31, v0
	v_add_co_u32_e32 v0, vcc, v18, v0
	v_addc_co_u32_e32 v1, vcc, v19, v1, vcc
	v_cmp_lt_i16_e32 vcc, 10, v2
	s_mov_b64 s[14:15], s[50:51]
	s_and_saveexec_b64 s[8:9], vcc
	s_cbranch_execz .LBB274_343
; %bb.264:
	v_cmp_lt_i16_e32 vcc, 25, v2
	s_mov_b64 s[4:5], s[50:51]
	s_and_saveexec_b64 s[10:11], vcc
	s_xor_b64 s[10:11], exec, s[10:11]
	s_cbranch_execz .LBB274_300
; %bb.265:
	v_cmp_lt_i16_e32 vcc, 28, v2
	s_mov_b64 s[4:5], s[50:51]
	s_and_saveexec_b64 s[12:13], vcc
	s_xor_b64 s[12:13], exec, s[12:13]
	;; [unrolled: 6-line block ×4, first 2 shown]
	s_cbranch_execz .LBB274_271
; %bb.268:
	v_cmp_eq_u16_e32 vcc, 46, v2
	s_mov_b64 s[18:19], -1
	s_and_saveexec_b64 s[16:17], vcc
	s_cbranch_execz .LBB274_270
; %bb.269:
	v_cndmask_b32_e64 v3, 0, 1.0, s[6:7]
	v_bfe_u32 v4, v3, 16, 1
	s_movk_i32 s18, 0x7fff
	v_add3_u32 v3, v3, v4, s18
	v_lshrrev_b32_e32 v3, 16, v3
	flat_store_dword v[0:1], v3
	s_xor_b64 s[18:19], exec, -1
.LBB274_270:
	s_or_b64 exec, exec, s[16:17]
	s_andn2_b64 s[16:17], s[50:51], exec
	s_and_b64 s[18:19], s[18:19], exec
	s_or_b64 s[16:17], s[16:17], s[18:19]
.LBB274_271:
	s_andn2_saveexec_b64 s[18:19], s[4:5]
	s_cbranch_execz .LBB274_277
; %bb.272:
	v_cmp_eq_u16_e32 vcc, 44, v2
	s_mov_b64 s[4:5], -1
	s_and_saveexec_b64 s[20:21], vcc
	s_cbranch_execz .LBB274_276
; %bb.273:
	v_cndmask_b32_e64 v4, 0, 1.0, s[6:7]
	v_lshrrev_b32_e32 v3, 23, v4
	s_movk_i32 s4, 0xff
	v_cmp_ne_u32_e32 vcc, s4, v3
	v_mov_b32_e32 v5, 0xff
	s_and_saveexec_b64 s[22:23], vcc
; %bb.274:
	s_mov_b32 s4, 0x3fffff
	v_and_b32_e32 v5, 0x400000, v4
	v_and_or_b32 v4, v4, s4, v3
	v_cmp_ne_u32_e32 vcc, 0, v5
	v_cmp_ne_u32_e64 s[4:5], 0, v4
	s_and_b64 s[4:5], vcc, s[4:5]
	v_cndmask_b32_e64 v4, 0, 1, s[4:5]
	v_add_u32_e32 v5, v3, v4
; %bb.275:
	s_or_b64 exec, exec, s[22:23]
	s_xor_b64 s[4:5], exec, -1
	flat_store_byte v[0:1], v5
.LBB274_276:
	s_or_b64 exec, exec, s[20:21]
	s_andn2_b64 s[16:17], s[16:17], exec
	s_and_b64 s[4:5], s[4:5], exec
	s_or_b64 s[16:17], s[16:17], s[4:5]
.LBB274_277:
	s_or_b64 exec, exec, s[18:19]
	s_andn2_b64 s[4:5], s[50:51], exec
	s_and_b64 s[16:17], s[16:17], exec
	s_or_b64 s[4:5], s[4:5], s[16:17]
.LBB274_278:
	s_andn2_saveexec_b64 s[14:15], s[14:15]
	s_cbranch_execz .LBB274_282
; %bb.279:
	v_cmp_eq_u16_e32 vcc, 29, v2
	s_mov_b64 s[18:19], -1
	s_and_saveexec_b64 s[16:17], vcc
	s_cbranch_execz .LBB274_281
; %bb.280:
	s_mov_b32 s18, 0
	v_cndmask_b32_e64 v3, 0, 1, s[6:7]
	v_mov_b32_e32 v4, s18
	flat_store_dwordx2 v[0:1], v[3:4]
	s_xor_b64 s[18:19], exec, -1
.LBB274_281:
	s_or_b64 exec, exec, s[16:17]
	s_andn2_b64 s[4:5], s[4:5], exec
	s_and_b64 s[16:17], s[18:19], exec
	s_or_b64 s[4:5], s[4:5], s[16:17]
.LBB274_282:
	s_or_b64 exec, exec, s[14:15]
	s_andn2_b64 s[14:15], s[50:51], exec
	s_and_b64 s[4:5], s[4:5], exec
	s_or_b64 s[4:5], s[14:15], s[4:5]
.LBB274_283:
	s_andn2_saveexec_b64 s[12:13], s[12:13]
	s_cbranch_execz .LBB274_299
; %bb.284:
	v_cmp_lt_i16_e32 vcc, 26, v2
	s_and_saveexec_b64 s[14:15], vcc
	s_xor_b64 s[14:15], exec, s[14:15]
	s_cbranch_execz .LBB274_290
; %bb.285:
	v_cmp_lt_i16_e32 vcc, 27, v2
	v_cndmask_b32_e64 v3, 0, 1, s[6:7]
	s_and_saveexec_b64 s[16:17], vcc
	s_xor_b64 s[16:17], exec, s[16:17]
	s_cbranch_execz .LBB274_287
; %bb.286:
	flat_store_dword v[0:1], v3
                                        ; implicit-def: $vgpr3
.LBB274_287:
	s_andn2_saveexec_b64 s[16:17], s[16:17]
	s_cbranch_execz .LBB274_289
; %bb.288:
	flat_store_short v[0:1], v3
.LBB274_289:
	s_or_b64 exec, exec, s[16:17]
.LBB274_290:
	s_andn2_saveexec_b64 s[14:15], s[14:15]
	s_cbranch_execz .LBB274_298
; %bb.291:
	v_cndmask_b32_e64 v4, 0, 1.0, s[6:7]
	s_mov_b32 s16, 0x43800000
	v_cmp_gt_u32_e32 vcc, s16, v4
	v_mov_b32_e32 v5, 0x80
	s_and_saveexec_b64 s[16:17], vcc
	s_cbranch_execz .LBB274_297
; %bb.292:
	s_mov_b32 s18, 0x3bffffff
	v_cmp_lt_u32_e32 vcc, s18, v4
	s_mov_b64 s[18:19], 0
                                        ; implicit-def: $vgpr3
	s_and_saveexec_b64 s[20:21], vcc
	s_xor_b64 s[20:21], exec, s[20:21]
	s_cbranch_execz .LBB274_2644
; %bb.293:
	v_bfe_u32 v3, v4, 20, 1
	s_mov_b32 s22, 0x487ffff
	v_add3_u32 v3, v4, v3, s22
	s_mov_b64 s[18:19], exec
	v_lshrrev_b32_e32 v3, 20, v3
                                        ; implicit-def: $vgpr4
	s_andn2_saveexec_b64 s[20:21], s[20:21]
	s_cbranch_execnz .LBB274_2645
.LBB274_294:
	s_or_b64 exec, exec, s[20:21]
	v_mov_b32_e32 v5, 0
	s_and_saveexec_b64 s[20:21], s[18:19]
.LBB274_295:
	v_mov_b32_e32 v5, v3
.LBB274_296:
	s_or_b64 exec, exec, s[20:21]
.LBB274_297:
	s_or_b64 exec, exec, s[16:17]
	flat_store_byte v[0:1], v5
.LBB274_298:
	s_or_b64 exec, exec, s[14:15]
.LBB274_299:
	s_or_b64 exec, exec, s[12:13]
	s_andn2_b64 s[12:13], s[50:51], exec
	s_and_b64 s[4:5], s[4:5], exec
	s_or_b64 s[4:5], s[12:13], s[4:5]
.LBB274_300:
	s_or_saveexec_b64 s[10:11], s[10:11]
	s_mov_b64 s[12:13], 0
	s_xor_b64 exec, exec, s[10:11]
	s_cbranch_execz .LBB274_342
; %bb.301:
	v_cmp_lt_i16_e32 vcc, 22, v2
	s_and_saveexec_b64 s[12:13], vcc
	s_xor_b64 s[12:13], exec, s[12:13]
	s_cbranch_execz .LBB274_333
; %bb.302:
	v_cmp_lt_i16_e32 vcc, 23, v2
	s_and_saveexec_b64 s[14:15], vcc
	s_xor_b64 s[14:15], exec, s[14:15]
	;; [unrolled: 5-line block ×3, first 2 shown]
	s_cbranch_execz .LBB274_311
; %bb.304:
	v_cndmask_b32_e64 v4, 0, 1.0, s[6:7]
	s_mov_b32 s18, 0x47800000
	v_cmp_gt_u32_e32 vcc, s18, v4
	v_mov_b32_e32 v5, 0x80
	s_and_saveexec_b64 s[18:19], vcc
	s_cbranch_execz .LBB274_310
; %bb.305:
	s_mov_b32 s20, 0x37ffffff
	v_cmp_lt_u32_e32 vcc, s20, v4
	s_mov_b64 s[20:21], 0
                                        ; implicit-def: $vgpr3
	s_and_saveexec_b64 s[22:23], vcc
	s_xor_b64 s[22:23], exec, s[22:23]
	s_cbranch_execz .LBB274_2693
; %bb.306:
	v_bfe_u32 v3, v4, 21, 1
	s_mov_b32 s24, 0x88fffff
	v_add3_u32 v3, v4, v3, s24
	s_mov_b64 s[20:21], exec
	v_lshrrev_b32_e32 v3, 21, v3
                                        ; implicit-def: $vgpr4
	s_andn2_saveexec_b64 s[22:23], s[22:23]
	s_cbranch_execnz .LBB274_2694
.LBB274_307:
	s_or_b64 exec, exec, s[22:23]
	v_mov_b32_e32 v5, 0
	s_and_saveexec_b64 s[22:23], s[20:21]
.LBB274_308:
	v_mov_b32_e32 v5, v3
.LBB274_309:
	s_or_b64 exec, exec, s[22:23]
.LBB274_310:
	s_or_b64 exec, exec, s[18:19]
	flat_store_byte v[0:1], v5
.LBB274_311:
	s_andn2_saveexec_b64 s[16:17], s[16:17]
	s_cbranch_execz .LBB274_321
; %bb.312:
	v_cndmask_b32_e64 v3, 0, 1.0, s[6:7]
	s_mov_b32 s18, 0x43f00000
	v_cmp_gt_u32_e32 vcc, s18, v3
                                        ; implicit-def: $vgpr4
	s_and_saveexec_b64 s[18:19], vcc
	s_xor_b64 s[18:19], exec, s[18:19]
	s_cbranch_execz .LBB274_318
; %bb.313:
	s_mov_b32 s20, 0x3c7fffff
	v_cmp_lt_u32_e32 vcc, s20, v3
                                        ; implicit-def: $vgpr4
	s_and_saveexec_b64 s[20:21], vcc
	s_xor_b64 s[20:21], exec, s[20:21]
; %bb.314:
	v_bfe_u32 v4, v3, 20, 1
	s_mov_b32 s22, 0x407ffff
	v_add3_u32 v3, v3, v4, s22
	v_lshrrev_b32_e32 v4, 20, v3
	v_and_b32_e32 v3, 0xff00000, v3
	s_mov_b32 s22, 0x7f00000
	v_mov_b32_e32 v5, 0x7e
	v_cmp_ne_u32_e32 vcc, s22, v3
	v_cndmask_b32_e32 v4, v5, v4, vcc
                                        ; implicit-def: $vgpr3
; %bb.315:
	s_andn2_saveexec_b64 s[20:21], s[20:21]
; %bb.316:
	v_add_f32_e32 v4, 0x46800000, v3
; %bb.317:
	s_or_b64 exec, exec, s[20:21]
                                        ; implicit-def: $vgpr3
.LBB274_318:
	s_andn2_saveexec_b64 s[18:19], s[18:19]
; %bb.319:
	s_mov_b32 s20, 0x7f800000
	v_mov_b32_e32 v4, 0x7e
	v_mov_b32_e32 v5, 0x7f
	v_cmp_lt_u32_e32 vcc, s20, v3
	v_cndmask_b32_e32 v4, v4, v5, vcc
; %bb.320:
	s_or_b64 exec, exec, s[18:19]
	flat_store_byte v[0:1], v4
.LBB274_321:
	s_or_b64 exec, exec, s[16:17]
.LBB274_322:
	s_andn2_saveexec_b64 s[14:15], s[14:15]
	s_cbranch_execz .LBB274_332
; %bb.323:
	v_cndmask_b32_e64 v3, 0, 1.0, s[6:7]
	s_mov_b32 s16, 0x47800000
	v_cmp_gt_u32_e32 vcc, s16, v3
                                        ; implicit-def: $vgpr4
	s_and_saveexec_b64 s[16:17], vcc
	s_xor_b64 s[16:17], exec, s[16:17]
	s_cbranch_execz .LBB274_329
; %bb.324:
	s_mov_b32 s18, 0x387fffff
	v_cmp_lt_u32_e32 vcc, s18, v3
                                        ; implicit-def: $vgpr4
	s_and_saveexec_b64 s[18:19], vcc
	s_xor_b64 s[18:19], exec, s[18:19]
; %bb.325:
	v_bfe_u32 v4, v3, 21, 1
	s_mov_b32 s20, 0x80fffff
	v_add3_u32 v3, v3, v4, s20
	v_lshrrev_b32_e32 v4, 21, v3
                                        ; implicit-def: $vgpr3
; %bb.326:
	s_andn2_saveexec_b64 s[18:19], s[18:19]
; %bb.327:
	v_add_f32_e32 v4, 0x43000000, v3
; %bb.328:
	s_or_b64 exec, exec, s[18:19]
                                        ; implicit-def: $vgpr3
.LBB274_329:
	s_andn2_saveexec_b64 s[16:17], s[16:17]
; %bb.330:
	s_mov_b32 s18, 0x7f800000
	v_mov_b32_e32 v4, 0x7c
	v_mov_b32_e32 v5, 0x7f
	v_cmp_lt_u32_e32 vcc, s18, v3
	v_cndmask_b32_e32 v4, v4, v5, vcc
; %bb.331:
	s_or_b64 exec, exec, s[16:17]
	flat_store_byte v[0:1], v4
.LBB274_332:
	s_or_b64 exec, exec, s[14:15]
.LBB274_333:
	s_or_saveexec_b64 s[12:13], s[12:13]
	s_mov_b64 s[16:17], 0
	s_mov_b64 s[14:15], s[4:5]
	s_xor_b64 exec, exec, s[12:13]
	s_cbranch_execz .LBB274_341
; %bb.334:
	v_cmp_lt_i16_e32 vcc, 14, v2
	s_mov_b64 s[14:15], s[4:5]
	s_and_saveexec_b64 s[16:17], vcc
	s_xor_b64 s[16:17], exec, s[16:17]
	s_cbranch_execz .LBB274_338
; %bb.335:
	v_cmp_eq_u16_e32 vcc, 15, v2
	s_mov_b64 s[18:19], -1
	s_and_saveexec_b64 s[14:15], vcc
	s_cbranch_execz .LBB274_337
; %bb.336:
	v_cndmask_b32_e64 v3, 0, 1.0, s[6:7]
	v_bfe_u32 v4, v3, 16, 1
	s_movk_i32 s18, 0x7fff
	v_add3_u32 v3, v3, v4, s18
	flat_store_short_d16_hi v[0:1], v3
	s_xor_b64 s[18:19], exec, -1
.LBB274_337:
	s_or_b64 exec, exec, s[14:15]
	s_andn2_b64 s[14:15], s[4:5], exec
	s_and_b64 s[18:19], s[18:19], exec
	s_or_b64 s[14:15], s[14:15], s[18:19]
.LBB274_338:
	s_or_saveexec_b64 s[16:17], s[16:17]
	s_mov_b64 s[18:19], 0
	s_xor_b64 exec, exec, s[16:17]
; %bb.339:
	v_cmp_ne_u16_e32 vcc, 11, v2
	s_andn2_b64 s[14:15], s[14:15], exec
	s_and_b64 s[20:21], vcc, exec
	s_mov_b64 s[18:19], exec
	s_or_b64 s[14:15], s[14:15], s[20:21]
; %bb.340:
	s_or_b64 exec, exec, s[16:17]
	s_and_b64 s[16:17], s[18:19], exec
	s_andn2_b64 s[18:19], s[4:5], exec
	s_and_b64 s[14:15], s[14:15], exec
	s_or_b64 s[14:15], s[18:19], s[14:15]
.LBB274_341:
	s_or_b64 exec, exec, s[12:13]
	s_andn2_b64 s[4:5], s[4:5], exec
	s_and_b64 s[14:15], s[14:15], exec
	s_and_b64 s[12:13], s[16:17], exec
	s_or_b64 s[4:5], s[4:5], s[14:15]
.LBB274_342:
	s_or_b64 exec, exec, s[10:11]
	s_andn2_b64 s[14:15], s[50:51], exec
	s_and_b64 s[4:5], s[4:5], exec
	s_xor_b64 s[10:11], exec, -1
	s_and_b64 s[12:13], s[12:13], exec
	s_or_b64 s[14:15], s[14:15], s[4:5]
.LBB274_343:
	s_or_b64 exec, exec, s[8:9]
	s_and_b64 s[4:5], s[12:13], exec
	s_andn2_b64 s[8:9], s[50:51], exec
	s_and_b64 s[12:13], s[14:15], exec
	s_and_b64 s[10:11], s[10:11], exec
	s_or_b64 s[8:9], s[8:9], s[12:13]
.LBB274_344:
	s_or_b64 exec, exec, s[52:53]
	s_andn2_b64 s[12:13], s[50:51], exec
	s_and_b64 s[8:9], s[8:9], exec
	s_and_b64 s[10:11], s[10:11], exec
	;; [unrolled: 1-line block ×3, first 2 shown]
	s_or_b64 s[50:51], s[12:13], s[8:9]
.LBB274_345:
	s_or_b64 exec, exec, s[48:49]
	s_and_b64 s[8:9], s[10:11], exec
	s_andn2_b64 s[10:11], s[44:45], exec
	s_and_b64 s[12:13], s[50:51], exec
	s_and_b64 s[4:5], s[4:5], exec
	s_or_b64 s[44:45], s[10:11], s[12:13]
.LBB274_346:
	s_or_b64 exec, exec, s[46:47]
	s_and_b64 s[46:47], s[4:5], exec
	s_andn2_b64 s[4:5], s[34:35], exec
	s_and_b64 s[10:11], s[44:45], exec
	s_and_b64 s[8:9], s[8:9], exec
	s_or_b64 s[34:35], s[4:5], s[10:11]
	s_or_b64 exec, exec, s[42:43]
	s_mov_b64 s[4:5], 0
	s_and_saveexec_b64 s[10:11], s[34:35]
	s_cbranch_execz .LBB274_350
.LBB274_347:
	s_mov_b64 s[4:5], exec
	s_andn2_b64 s[46:47], s[46:47], exec
	s_trap 2
	s_or_b64 exec, exec, s[10:11]
	s_and_saveexec_b64 s[10:11], s[46:47]
	s_xor_b64 s[10:11], exec, s[10:11]
	s_cbranch_execnz .LBB274_351
.LBB274_348:
	s_or_b64 exec, exec, s[10:11]
	s_and_saveexec_b64 s[10:11], s[8:9]
	s_xor_b64 s[8:9], exec, s[10:11]
	s_cbranch_execnz .LBB274_352
	s_branch .LBB274_393
.LBB274_349:
	s_or_b64 exec, exec, s[42:43]
	s_mov_b64 s[4:5], 0
	s_and_saveexec_b64 s[10:11], s[34:35]
	s_cbranch_execnz .LBB274_347
.LBB274_350:
	s_or_b64 exec, exec, s[10:11]
	s_and_saveexec_b64 s[10:11], s[46:47]
	s_xor_b64 s[10:11], exec, s[10:11]
	s_cbranch_execz .LBB274_348
.LBB274_351:
	v_cndmask_b32_e64 v3, 0, 1, s[6:7]
	flat_store_byte v[0:1], v3
	s_or_b64 exec, exec, s[10:11]
	s_and_saveexec_b64 s[10:11], s[8:9]
	s_xor_b64 s[8:9], exec, s[10:11]
	s_cbranch_execz .LBB274_393
.LBB274_352:
	v_cmp_lt_i16_e32 vcc, 4, v2
	s_and_saveexec_b64 s[10:11], vcc
	s_xor_b64 s[10:11], exec, s[10:11]
	s_cbranch_execz .LBB274_374
; %bb.353:
	v_cmp_lt_i16_e32 vcc, 7, v2
	s_and_saveexec_b64 s[12:13], vcc
	s_xor_b64 s[12:13], exec, s[12:13]
	s_cbranch_execz .LBB274_363
; %bb.354:
	;; [unrolled: 5-line block ×4, first 2 shown]
	v_cndmask_b32_e64 v3, 0, 1, s[6:7]
	v_cvt_f64_u32_e32 v[3:4], v3
	v_mov_b32_e32 v5, 0
	v_mov_b32_e32 v6, v5
	flat_store_dwordx4 v[0:1], v[3:6]
.LBB274_357:
	s_andn2_saveexec_b64 s[16:17], s[16:17]
	s_cbranch_execz .LBB274_359
; %bb.358:
	v_cndmask_b32_e64 v3, 0, 1.0, s[6:7]
	v_mov_b32_e32 v4, 0
	flat_store_dwordx2 v[0:1], v[3:4]
.LBB274_359:
	s_or_b64 exec, exec, s[16:17]
.LBB274_360:
	s_andn2_saveexec_b64 s[14:15], s[14:15]
	s_cbranch_execz .LBB274_362
; %bb.361:
	v_cndmask_b32_e64 v3, 0, 1.0, s[6:7]
	v_cvt_f16_f32_e32 v3, v3
	flat_store_dword v[0:1], v3
.LBB274_362:
	s_or_b64 exec, exec, s[14:15]
.LBB274_363:
	s_andn2_saveexec_b64 s[12:13], s[12:13]
	s_cbranch_execz .LBB274_373
; %bb.364:
	v_cmp_lt_i16_e32 vcc, 5, v2
	s_and_saveexec_b64 s[14:15], vcc
	s_xor_b64 s[14:15], exec, s[14:15]
	s_cbranch_execz .LBB274_370
; %bb.365:
	v_cmp_lt_i16_e32 vcc, 6, v2
	s_and_saveexec_b64 s[16:17], vcc
	s_xor_b64 s[16:17], exec, s[16:17]
	s_cbranch_execz .LBB274_367
; %bb.366:
	v_cndmask_b32_e64 v3, 0, 1, s[6:7]
	v_cvt_f64_u32_e32 v[3:4], v3
	flat_store_dwordx2 v[0:1], v[3:4]
.LBB274_367:
	s_andn2_saveexec_b64 s[16:17], s[16:17]
	s_cbranch_execz .LBB274_369
; %bb.368:
	v_cndmask_b32_e64 v3, 0, 1.0, s[6:7]
	flat_store_dword v[0:1], v3
.LBB274_369:
	s_or_b64 exec, exec, s[16:17]
.LBB274_370:
	s_andn2_saveexec_b64 s[14:15], s[14:15]
	s_cbranch_execz .LBB274_372
; %bb.371:
	v_cndmask_b32_e64 v3, 0, 1.0, s[6:7]
	v_cvt_f16_f32_e32 v3, v3
	flat_store_short v[0:1], v3
.LBB274_372:
	s_or_b64 exec, exec, s[14:15]
.LBB274_373:
	s_or_b64 exec, exec, s[12:13]
.LBB274_374:
	s_andn2_saveexec_b64 s[10:11], s[10:11]
	s_cbranch_execz .LBB274_392
; %bb.375:
	v_cmp_lt_i16_e32 vcc, 1, v2
	s_and_saveexec_b64 s[12:13], vcc
	s_xor_b64 s[12:13], exec, s[12:13]
	s_cbranch_execz .LBB274_385
; %bb.376:
	v_cmp_lt_i16_e32 vcc, 2, v2
	s_and_saveexec_b64 s[14:15], vcc
	s_xor_b64 s[14:15], exec, s[14:15]
	;; [unrolled: 5-line block ×3, first 2 shown]
	s_cbranch_execz .LBB274_379
; %bb.378:
	s_mov_b32 s18, 0
	v_cndmask_b32_e64 v3, 0, 1, s[6:7]
	v_mov_b32_e32 v4, s18
	flat_store_dwordx2 v[0:1], v[3:4]
                                        ; implicit-def: $vgpr0_vgpr1
.LBB274_379:
	s_andn2_saveexec_b64 s[16:17], s[16:17]
	s_cbranch_execz .LBB274_381
; %bb.380:
	v_cndmask_b32_e64 v3, 0, 1, s[6:7]
	flat_store_dword v[0:1], v3
.LBB274_381:
	s_or_b64 exec, exec, s[16:17]
                                        ; implicit-def: $vgpr0_vgpr1
.LBB274_382:
	s_andn2_saveexec_b64 s[14:15], s[14:15]
	s_cbranch_execz .LBB274_384
; %bb.383:
	v_cndmask_b32_e64 v3, 0, 1, s[6:7]
	flat_store_short v[0:1], v3
.LBB274_384:
	s_or_b64 exec, exec, s[14:15]
                                        ; implicit-def: $vgpr0_vgpr1
.LBB274_385:
	s_andn2_saveexec_b64 s[12:13], s[12:13]
	s_cbranch_execz .LBB274_391
; %bb.386:
	v_cmp_lt_i16_e32 vcc, 0, v2
	v_cndmask_b32_e64 v2, 0, 1, s[6:7]
	s_and_saveexec_b64 s[6:7], vcc
	s_xor_b64 s[6:7], exec, s[6:7]
	s_cbranch_execz .LBB274_388
; %bb.387:
	flat_store_byte v[0:1], v2
                                        ; implicit-def: $vgpr0_vgpr1
                                        ; implicit-def: $vgpr2
.LBB274_388:
	s_andn2_saveexec_b64 s[6:7], s[6:7]
	s_cbranch_execz .LBB274_390
; %bb.389:
	flat_store_byte v[0:1], v2
.LBB274_390:
	s_or_b64 exec, exec, s[6:7]
.LBB274_391:
	s_or_b64 exec, exec, s[12:13]
.LBB274_392:
	s_or_b64 exec, exec, s[10:11]
.LBB274_393:
	s_or_b64 exec, exec, s[8:9]
	s_and_b64 s[34:35], s[4:5], exec
                                        ; implicit-def: $vgpr7
.LBB274_394:
	s_or_saveexec_b64 s[36:37], s[36:37]
	s_mov_b64 s[4:5], 0
                                        ; implicit-def: $sgpr6_sgpr7
                                        ; implicit-def: $vgpr0_vgpr1
                                        ; implicit-def: $vgpr21
	s_xor_b64 exec, exec, s[36:37]
	s_cbranch_execz .LBB274_2054
; %bb.395:
	buffer_load_dword v16, off, s[0:3], 0 offset:36
	s_mov_b64 s[4:5], src_private_base
	s_mov_b32 s33, 8
	s_mov_b32 s39, 28
	;; [unrolled: 1-line block ×3, first 2 shown]
	s_getpc_b64 s[6:7]
	s_add_u32 s6, s6, _ZN2at6native6invokeINS0_13BinaryFunctorIN3c1013Float8_e4m3fnES4_bNS0_12_GLOBAL__N_116CompareEqFunctorIS4_EEEEi15function_traitsIS8_EEENT1_11result_typeERKT_PrKPcPKT0_PKNS3_10ScalarTypeEi@rel32@lo+4
	s_addc_u32 s7, s7, _ZN2at6native6invokeINS0_13BinaryFunctorIN3c1013Float8_e4m3fnES4_bNS0_12_GLOBAL__N_116CompareEqFunctorIS4_EEEEi15function_traitsIS8_EEENT1_11result_typeERKT_PrKPcPKT0_PKNS3_10ScalarTypeEi@rel32@hi+12
	v_mov_b32_e32 v1, s33
	v_mov_b32_e32 v2, s5
	;; [unrolled: 1-line block ×6, first 2 shown]
	s_waitcnt vmcnt(0)
	v_mov_b32_e32 v0, v16
	s_swappc_b64 s[30:31], s[6:7]
	v_and_b32_e32 v0, 1, v0
	v_cmp_eq_u32_e32 vcc, 1, v0
	v_mov_b32_e32 v0, s39
	buffer_load_dword v8, v0, s[0:3], 0 offen
	v_mov_b32_e32 v0, s38
	buffer_load_ubyte v10, v0, s[0:3], 0 offen
	v_mov_b32_e32 v0, s33
	buffer_load_dword v13, v0, s[0:3], 0 offen
	buffer_load_dword v14, v0, s[0:3], 0 offen offset:4
                                        ; kill: killed $vgpr0
	buffer_load_dword v2, off, s[0:3], 0
	buffer_load_dword v3, off, s[0:3], 0 offset:4
	buffer_load_dword v4, off, s[0:3], 0 offset:24
	v_add_u32_e32 v6, 0x80, v7
	s_mov_b64 s[8:9], 0
	s_mov_b64 s[10:11], s[34:35]
                                        ; implicit-def: $vgpr5
	s_waitcnt vmcnt(6)
	v_mul_lo_u32 v15, v8, v6
	s_waitcnt vmcnt(5)
	v_cmp_lt_i16_e64 s[4:5], 10, v10
	v_ashrrev_i32_e32 v1, 31, v15
	s_waitcnt vmcnt(4)
	v_add_co_u32_e64 v0, s[6:7], v13, v15
	s_waitcnt vmcnt(3)
	v_addc_co_u32_e64 v1, s[6:7], v14, v1, s[6:7]
	s_and_saveexec_b64 s[6:7], s[4:5]
	s_xor_b64 s[6:7], exec, s[6:7]
	s_cbranch_execz .LBB274_490
; %bb.396:
	v_cmp_lt_i16_e64 s[4:5], 25, v10
	s_mov_b64 s[14:15], 0
	s_mov_b64 s[12:13], 0
                                        ; implicit-def: $vgpr5
	s_and_saveexec_b64 s[10:11], s[4:5]
	s_xor_b64 s[10:11], exec, s[10:11]
	s_cbranch_execz .LBB274_2138
; %bb.397:
	v_cmp_lt_i16_e64 s[4:5], 28, v10
	s_mov_b64 s[16:17], 0
                                        ; implicit-def: $vgpr5
	s_and_saveexec_b64 s[12:13], s[4:5]
	s_xor_b64 s[12:13], exec, s[12:13]
	s_cbranch_execz .LBB274_437
; %bb.398:
	v_cmp_lt_i16_e64 s[4:5], 43, v10
	s_mov_b64 s[18:19], 0
	s_mov_b64 s[20:21], 0
                                        ; implicit-def: $vgpr5
	s_and_saveexec_b64 s[14:15], s[4:5]
	s_xor_b64 s[14:15], exec, s[14:15]
	s_cbranch_execz .LBB274_424
; %bb.399:
	v_cmp_lt_i16_e64 s[4:5], 45, v10
                                        ; implicit-def: $vgpr5
	s_and_saveexec_b64 s[20:21], s[4:5]
	s_xor_b64 s[20:21], exec, s[20:21]
	s_cbranch_execz .LBB274_411
; %bb.400:
	v_cmp_eq_u16_e64 s[4:5], 46, v10
	s_mov_b64 s[22:23], -1
                                        ; implicit-def: $vgpr5
	s_and_saveexec_b64 s[16:17], s[4:5]
	s_cbranch_execz .LBB274_410
; %bb.401:
	flat_load_dword v5, v[0:1]
	s_mov_b32 s4, 0x43f00000
                                        ; implicit-def: $vgpr9
	s_waitcnt vmcnt(0) lgkmcnt(0)
	v_lshlrev_b32_e32 v5, 16, v5
	v_and_b32_e32 v11, 0x7fffffff, v5
	v_cmp_gt_u32_e64 s[4:5], s4, v11
	s_and_saveexec_b64 s[18:19], s[4:5]
	s_xor_b64 s[18:19], exec, s[18:19]
	s_cbranch_execz .LBB274_407
; %bb.402:
	s_mov_b32 s4, 0x3c7fffff
	v_cmp_lt_u32_e64 s[4:5], s4, v11
                                        ; implicit-def: $vgpr9
	s_and_saveexec_b64 s[22:23], s[4:5]
	s_xor_b64 s[22:23], exec, s[22:23]
; %bb.403:
	v_bfe_u32 v9, v5, 20, 1
	s_mov_b32 s4, 0x407ffff
	v_add3_u32 v9, v5, v9, s4
	v_lshrrev_b32_e32 v11, 20, v9
	v_and_b32_e32 v9, 0xff00000, v9
	s_mov_b32 s4, 0x7f00000
	v_mov_b32_e32 v12, 0x7e
	v_cmp_ne_u32_e64 s[4:5], s4, v9
	v_cndmask_b32_e64 v9, v12, v11, s[4:5]
; %bb.404:
	s_andn2_saveexec_b64 s[4:5], s[22:23]
; %bb.405:
	s_mov_b32 s22, 0x46800000
	v_add_f32_e64 v9, |v5|, s22
; %bb.406:
	s_or_b64 exec, exec, s[4:5]
                                        ; implicit-def: $vgpr11
.LBB274_407:
	s_andn2_saveexec_b64 s[18:19], s[18:19]
; %bb.408:
	s_mov_b32 s4, 0x7f800000
	v_mov_b32_e32 v9, 0x7e
	v_mov_b32_e32 v12, 0x7f
	v_cmp_lt_u32_e64 s[4:5], s4, v11
	v_cndmask_b32_e64 v9, v9, v12, s[4:5]
; %bb.409:
	s_or_b64 exec, exec, s[18:19]
	v_lshrrev_b32_e32 v5, 24, v5
	s_movk_i32 s4, 0x80
	s_mov_b64 s[18:19], exec
	v_and_or_b32 v5, v5, s4, v9
	s_xor_b64 s[22:23], exec, -1
.LBB274_410:
	s_or_b64 exec, exec, s[16:17]
	s_and_b64 s[18:19], s[18:19], exec
	s_and_b64 s[16:17], s[22:23], exec
.LBB274_411:
	s_andn2_saveexec_b64 s[20:21], s[20:21]
	s_cbranch_execz .LBB274_423
; %bb.412:
	v_cmp_eq_u16_e64 s[4:5], 44, v10
	s_mov_b64 s[24:25], -1
	s_mov_b64 s[26:27], s[18:19]
                                        ; implicit-def: $vgpr5
	s_and_saveexec_b64 s[22:23], s[4:5]
	s_cbranch_execz .LBB274_422
; %bb.413:
	flat_load_ubyte v5, v[0:1]
	s_movk_i32 s4, 0xff
	v_mov_b32_e32 v9, 0x7f800001
	v_mov_b32_e32 v11, 0x400000
	s_waitcnt vmcnt(0) lgkmcnt(0)
	v_lshlrev_b32_e32 v12, 23, v5
	v_cmp_ne_u32_e64 s[4:5], s4, v5
	v_cndmask_b32_e64 v9, v9, v12, s[4:5]
	v_cmp_ne_u32_e64 s[4:5], 0, v5
	v_cndmask_b32_e64 v9, v11, v9, s[4:5]
	s_mov_b32 s4, 0x43f00000
	v_cmp_gt_u32_e64 s[4:5], s4, v9
                                        ; implicit-def: $vgpr5
	s_and_saveexec_b64 s[24:25], s[4:5]
	s_xor_b64 s[24:25], exec, s[24:25]
	s_cbranch_execz .LBB274_419
; %bb.414:
	s_mov_b32 s4, 0x3c7fffff
	v_cmp_lt_u32_e64 s[4:5], s4, v9
                                        ; implicit-def: $vgpr5
	s_and_saveexec_b64 s[26:27], s[4:5]
	s_xor_b64 s[26:27], exec, s[26:27]
; %bb.415:
	v_bfe_u32 v5, v9, 20, 1
	s_mov_b32 s4, 0x407ffff
	v_add3_u32 v5, v9, v5, s4
	v_lshrrev_b32_e32 v9, 20, v5
	v_and_b32_e32 v5, 0xff00000, v5
	s_mov_b32 s4, 0x7f00000
	v_mov_b32_e32 v11, 0x7e
	v_cmp_ne_u32_e64 s[4:5], s4, v5
	v_cndmask_b32_e64 v5, v11, v9, s[4:5]
                                        ; implicit-def: $vgpr9
; %bb.416:
	s_andn2_saveexec_b64 s[4:5], s[26:27]
; %bb.417:
	v_add_f32_e32 v5, 0x46800000, v9
; %bb.418:
	s_or_b64 exec, exec, s[4:5]
                                        ; implicit-def: $vgpr9
.LBB274_419:
	s_andn2_saveexec_b64 s[24:25], s[24:25]
; %bb.420:
	s_mov_b32 s4, 0x7f800000
	v_mov_b32_e32 v5, 0x7e
	v_mov_b32_e32 v11, 0x7f
	v_cmp_lt_u32_e64 s[4:5], s4, v9
	v_cndmask_b32_e64 v5, v5, v11, s[4:5]
; %bb.421:
	s_or_b64 exec, exec, s[24:25]
	s_or_b64 s[26:27], s[18:19], exec
	s_xor_b64 s[24:25], exec, -1
.LBB274_422:
	s_or_b64 exec, exec, s[22:23]
	s_andn2_b64 s[4:5], s[18:19], exec
	s_and_b64 s[18:19], s[26:27], exec
	s_or_b64 s[18:19], s[4:5], s[18:19]
	s_andn2_b64 s[4:5], s[16:17], exec
	s_and_b64 s[16:17], s[24:25], exec
	s_or_b64 s[16:17], s[4:5], s[16:17]
.LBB274_423:
	s_or_b64 exec, exec, s[20:21]
	s_and_b64 s[20:21], s[18:19], exec
	s_and_b64 s[18:19], s[16:17], exec
.LBB274_424:
	s_andn2_saveexec_b64 s[14:15], s[14:15]
	s_cbranch_execz .LBB274_436
; %bb.425:
	v_cmp_eq_u16_e64 s[4:5], 29, v10
	s_mov_b64 s[22:23], -1
	s_mov_b64 s[24:25], s[20:21]
                                        ; implicit-def: $vgpr5
	s_and_saveexec_b64 s[16:17], s[4:5]
	s_cbranch_execz .LBB274_435
; %bb.426:
	flat_load_dwordx2 v[11:12], v[0:1]
	s_mov_b32 s4, 0x43f00000
	s_waitcnt vmcnt(0) lgkmcnt(0)
	v_ffbh_u32_e32 v5, v12
	v_min_u32_e32 v5, 32, v5
	v_lshlrev_b64 v[11:12], v5, v[11:12]
	v_sub_u32_e32 v5, 32, v5
	v_min_u32_e32 v9, 1, v11
	v_or_b32_e32 v9, v12, v9
	v_cvt_f32_u32_e32 v9, v9
	v_ldexp_f32 v9, v9, v5
	v_cmp_gt_u32_e64 s[4:5], s4, v9
                                        ; implicit-def: $vgpr5
	s_and_saveexec_b64 s[22:23], s[4:5]
	s_xor_b64 s[22:23], exec, s[22:23]
	s_cbranch_execz .LBB274_432
; %bb.427:
	s_mov_b32 s4, 0x3c7fffff
	v_cmp_lt_u32_e64 s[4:5], s4, v9
                                        ; implicit-def: $vgpr5
	s_and_saveexec_b64 s[24:25], s[4:5]
	s_xor_b64 s[24:25], exec, s[24:25]
; %bb.428:
	v_bfe_u32 v5, v9, 20, 1
	s_mov_b32 s4, 0x407ffff
	v_add3_u32 v5, v9, v5, s4
	v_lshrrev_b32_e32 v9, 20, v5
	v_and_b32_e32 v5, 0xff00000, v5
	s_mov_b32 s4, 0x7f00000
	v_mov_b32_e32 v11, 0x7e
	v_cmp_ne_u32_e64 s[4:5], s4, v5
	v_cndmask_b32_e64 v5, v11, v9, s[4:5]
                                        ; implicit-def: $vgpr9
; %bb.429:
	s_andn2_saveexec_b64 s[4:5], s[24:25]
; %bb.430:
	v_add_f32_e32 v5, 0x46800000, v9
; %bb.431:
	s_or_b64 exec, exec, s[4:5]
                                        ; implicit-def: $vgpr9
.LBB274_432:
	s_andn2_saveexec_b64 s[22:23], s[22:23]
; %bb.433:
	s_mov_b32 s4, 0x7f800000
	v_mov_b32_e32 v5, 0x7e
	v_mov_b32_e32 v11, 0x7f
	v_cmp_lt_u32_e64 s[4:5], s4, v9
	v_cndmask_b32_e64 v5, v5, v11, s[4:5]
; %bb.434:
	s_or_b64 exec, exec, s[22:23]
	s_or_b64 s[24:25], s[20:21], exec
	s_xor_b64 s[22:23], exec, -1
.LBB274_435:
	s_or_b64 exec, exec, s[16:17]
	s_andn2_b64 s[4:5], s[20:21], exec
	s_and_b64 s[16:17], s[24:25], exec
	s_or_b64 s[20:21], s[4:5], s[16:17]
	s_andn2_b64 s[4:5], s[18:19], exec
	s_and_b64 s[16:17], s[22:23], exec
	s_or_b64 s[18:19], s[4:5], s[16:17]
.LBB274_436:
	s_or_b64 exec, exec, s[14:15]
	s_and_b64 s[16:17], s[20:21], exec
	s_and_b64 s[14:15], s[18:19], exec
.LBB274_437:
	s_andn2_saveexec_b64 s[12:13], s[12:13]
	s_cbranch_execz .LBB274_477
; %bb.438:
	v_cmp_lt_i16_e64 s[4:5], 26, v10
                                        ; implicit-def: $vgpr5
	s_and_saveexec_b64 s[18:19], s[4:5]
	s_xor_b64 s[18:19], exec, s[18:19]
	s_cbranch_execz .LBB274_460
; %bb.439:
	v_cmp_lt_i16_e64 s[4:5], 27, v10
                                        ; implicit-def: $vgpr5
	s_and_saveexec_b64 s[20:21], s[4:5]
	s_xor_b64 s[20:21], exec, s[20:21]
	s_cbranch_execz .LBB274_449
; %bb.440:
	flat_load_dword v5, v[0:1]
	s_mov_b32 s4, 0x43f00000
	s_waitcnt vmcnt(0) lgkmcnt(0)
	v_cvt_f32_u32_e32 v9, v5
                                        ; implicit-def: $vgpr5
	v_cmp_gt_u32_e64 s[4:5], s4, v9
	s_and_saveexec_b64 s[22:23], s[4:5]
	s_xor_b64 s[22:23], exec, s[22:23]
	s_cbranch_execz .LBB274_446
; %bb.441:
	s_mov_b32 s4, 0x3c7fffff
	v_cmp_lt_u32_e64 s[4:5], s4, v9
                                        ; implicit-def: $vgpr5
	s_and_saveexec_b64 s[24:25], s[4:5]
	s_xor_b64 s[24:25], exec, s[24:25]
; %bb.442:
	v_bfe_u32 v5, v9, 20, 1
	s_mov_b32 s4, 0x407ffff
	v_add3_u32 v5, v9, v5, s4
	v_lshrrev_b32_e32 v9, 20, v5
	v_and_b32_e32 v5, 0xff00000, v5
	s_mov_b32 s4, 0x7f00000
	v_mov_b32_e32 v11, 0x7e
	v_cmp_ne_u32_e64 s[4:5], s4, v5
	v_cndmask_b32_e64 v5, v11, v9, s[4:5]
                                        ; implicit-def: $vgpr9
; %bb.443:
	s_andn2_saveexec_b64 s[4:5], s[24:25]
; %bb.444:
	v_add_f32_e32 v5, 0x46800000, v9
; %bb.445:
	s_or_b64 exec, exec, s[4:5]
                                        ; implicit-def: $vgpr9
.LBB274_446:
	s_andn2_saveexec_b64 s[22:23], s[22:23]
; %bb.447:
	s_mov_b32 s4, 0x7f800000
	v_mov_b32_e32 v5, 0x7e
	v_mov_b32_e32 v11, 0x7f
	v_cmp_lt_u32_e64 s[4:5], s4, v9
	v_cndmask_b32_e64 v5, v5, v11, s[4:5]
; %bb.448:
	s_or_b64 exec, exec, s[22:23]
.LBB274_449:
	s_andn2_saveexec_b64 s[20:21], s[20:21]
	s_cbranch_execz .LBB274_459
; %bb.450:
	flat_load_ushort v5, v[0:1]
	s_mov_b32 s4, 0x43f00000
	s_waitcnt vmcnt(0) lgkmcnt(0)
	v_cvt_f32_u32_e32 v9, v5
                                        ; implicit-def: $vgpr5
	v_cmp_gt_u32_e64 s[4:5], s4, v9
	s_and_saveexec_b64 s[22:23], s[4:5]
	s_xor_b64 s[22:23], exec, s[22:23]
	s_cbranch_execz .LBB274_456
; %bb.451:
	s_mov_b32 s4, 0x3c7fffff
	v_cmp_lt_u32_e64 s[4:5], s4, v9
                                        ; implicit-def: $vgpr5
	s_and_saveexec_b64 s[24:25], s[4:5]
	s_xor_b64 s[24:25], exec, s[24:25]
; %bb.452:
	v_bfe_u32 v5, v9, 20, 1
	s_mov_b32 s4, 0x407ffff
	v_add3_u32 v5, v9, v5, s4
	v_lshrrev_b32_e32 v9, 20, v5
	v_and_b32_e32 v5, 0xff00000, v5
	s_mov_b32 s4, 0x7f00000
	v_mov_b32_e32 v11, 0x7e
	v_cmp_ne_u32_e64 s[4:5], s4, v5
	v_cndmask_b32_e64 v5, v11, v9, s[4:5]
                                        ; implicit-def: $vgpr9
; %bb.453:
	s_andn2_saveexec_b64 s[4:5], s[24:25]
; %bb.454:
	v_add_f32_e32 v5, 0x46800000, v9
; %bb.455:
	s_or_b64 exec, exec, s[4:5]
                                        ; implicit-def: $vgpr9
.LBB274_456:
	s_andn2_saveexec_b64 s[22:23], s[22:23]
; %bb.457:
	s_mov_b32 s4, 0x7f800000
	v_mov_b32_e32 v5, 0x7e
	v_mov_b32_e32 v11, 0x7f
	v_cmp_lt_u32_e64 s[4:5], s4, v9
	v_cndmask_b32_e64 v5, v5, v11, s[4:5]
; %bb.458:
	s_or_b64 exec, exec, s[22:23]
.LBB274_459:
	s_or_b64 exec, exec, s[20:21]
.LBB274_460:
	s_andn2_saveexec_b64 s[18:19], s[18:19]
	s_cbranch_execz .LBB274_476
; %bb.461:
	flat_load_ubyte v9, v[0:1]
	s_movk_i32 s4, 0x7f
	s_mov_b64 s[20:21], 0
	s_waitcnt vmcnt(0) lgkmcnt(0)
	v_cmp_lt_i16_e64 s[4:5], s4, v9
	s_and_saveexec_b64 s[22:23], s[4:5]
	s_xor_b64 s[22:23], exec, s[22:23]
	s_cbranch_execz .LBB274_2375
; %bb.462:
	s_movk_i32 s4, 0x80
	v_cmp_eq_u16_e64 s[4:5], s4, v9
	s_mov_b64 s[20:21], -1
	s_and_saveexec_b64 s[24:25], s[4:5]
; %bb.463:
	s_xor_b64 s[20:21], exec, -1
; %bb.464:
	s_or_b64 exec, exec, s[24:25]
	s_and_b64 s[20:21], s[20:21], exec
	s_or_saveexec_b64 s[22:23], s[22:23]
	v_mov_b32_e32 v5, 0x7f800001
	s_xor_b64 exec, exec, s[22:23]
	s_cbranch_execnz .LBB274_2376
.LBB274_465:
	s_or_b64 exec, exec, s[22:23]
	s_and_saveexec_b64 s[22:23], s[20:21]
	s_cbranch_execz .LBB274_467
.LBB274_466:
	v_lshlrev_b32_e32 v5, 24, v9
	v_and_b32_e32 v9, 0xffff, v9
	v_and_b32_e32 v11, 7, v9
	v_ffbh_u32_e32 v17, v11
	v_min_u32_e32 v17, 32, v17
	v_subrev_u32_e32 v18, 28, v17
	v_bfe_u32 v12, v9, 3, 4
	v_lshlrev_b32_e32 v9, v18, v9
	v_sub_u32_e32 v17, 29, v17
	v_and_b32_e32 v9, 7, v9
	v_cmp_eq_u32_e64 s[4:5], 0, v12
	v_cndmask_b32_e64 v12, v12, v17, s[4:5]
	v_cndmask_b32_e64 v9, v11, v9, s[4:5]
	v_mov_b32_e32 v11, 0x3b800000
	v_lshlrev_b32_e32 v9, 20, v9
	v_and_b32_e32 v5, 0x80000000, v5
	v_lshl_add_u32 v11, v12, 23, v11
	v_or3_b32 v5, v5, v11, v9
.LBB274_467:
	s_or_b64 exec, exec, s[22:23]
	v_and_b32_e32 v11, 0x7fffffff, v5
	s_mov_b32 s4, 0x43f00000
	v_cmp_gt_u32_e64 s[4:5], s4, v11
                                        ; implicit-def: $vgpr9
	s_and_saveexec_b64 s[20:21], s[4:5]
	s_xor_b64 s[20:21], exec, s[20:21]
	s_cbranch_execz .LBB274_473
; %bb.468:
	s_mov_b32 s4, 0x3c7fffff
	v_cmp_lt_u32_e64 s[4:5], s4, v11
                                        ; implicit-def: $vgpr9
	s_and_saveexec_b64 s[22:23], s[4:5]
	s_xor_b64 s[22:23], exec, s[22:23]
; %bb.469:
	v_bfe_u32 v9, v5, 20, 1
	s_mov_b32 s4, 0x407ffff
	v_add3_u32 v9, v5, v9, s4
	v_lshrrev_b32_e32 v11, 20, v9
	v_and_b32_e32 v9, 0xff00000, v9
	s_mov_b32 s4, 0x7f00000
	v_mov_b32_e32 v12, 0x7e
	v_cmp_ne_u32_e64 s[4:5], s4, v9
	v_cndmask_b32_e64 v9, v12, v11, s[4:5]
; %bb.470:
	s_andn2_saveexec_b64 s[4:5], s[22:23]
; %bb.471:
	s_mov_b32 s22, 0x46800000
	v_add_f32_e64 v9, |v5|, s22
; %bb.472:
	s_or_b64 exec, exec, s[4:5]
                                        ; implicit-def: $vgpr11
.LBB274_473:
	s_andn2_saveexec_b64 s[20:21], s[20:21]
; %bb.474:
	s_mov_b32 s4, 0x7f800000
	v_mov_b32_e32 v9, 0x7e
	v_mov_b32_e32 v12, 0x7f
	v_cmp_lt_u32_e64 s[4:5], s4, v11
	v_cndmask_b32_e64 v9, v9, v12, s[4:5]
; %bb.475:
	s_or_b64 exec, exec, s[20:21]
	v_lshrrev_b32_e32 v5, 24, v5
	s_movk_i32 s4, 0x80
	v_and_or_b32 v5, v5, s4, v9
.LBB274_476:
	s_or_b64 exec, exec, s[18:19]
	s_or_b64 s[16:17], s[16:17], exec
.LBB274_477:
	s_or_b64 exec, exec, s[12:13]
	s_and_b64 s[12:13], s[16:17], exec
	s_and_b64 s[14:15], s[14:15], exec
	s_andn2_saveexec_b64 s[10:11], s[10:11]
	s_cbranch_execnz .LBB274_2139
.LBB274_478:
	s_or_b64 exec, exec, s[10:11]
	s_mov_b64 s[10:11], s[34:35]
	s_and_saveexec_b64 s[4:5], s[14:15]
	s_cbranch_execnz .LBB274_2188
.LBB274_479:
	s_or_b64 exec, exec, s[4:5]
	s_and_saveexec_b64 s[14:15], s[8:9]
	s_cbranch_execz .LBB274_489
.LBB274_480:
	flat_load_ubyte v0, v[0:1]
                                        ; implicit-def: $vgpr5
	s_waitcnt vmcnt(0) lgkmcnt(0)
	v_cmp_ne_u16_e64 s[4:5], 0, v0
	v_cndmask_b32_e64 v0, 0, 1.0, s[4:5]
	s_mov_b32 s4, 0x43f00000
	v_cmp_gt_u32_e64 s[4:5], s4, v0
	s_and_saveexec_b64 s[8:9], s[4:5]
	s_xor_b64 s[8:9], exec, s[8:9]
	s_cbranch_execz .LBB274_486
; %bb.481:
	s_mov_b32 s4, 0x3c7fffff
	v_cmp_lt_u32_e64 s[4:5], s4, v0
                                        ; implicit-def: $vgpr5
	s_and_saveexec_b64 s[16:17], s[4:5]
	s_xor_b64 s[16:17], exec, s[16:17]
; %bb.482:
	v_bfe_u32 v1, v0, 20, 1
	s_mov_b32 s4, 0x407ffff
	v_add3_u32 v0, v0, v1, s4
	v_lshrrev_b32_e32 v1, 20, v0
	v_and_b32_e32 v0, 0xff00000, v0
	s_mov_b32 s4, 0x7f00000
	v_mov_b32_e32 v5, 0x7e
	v_cmp_ne_u32_e64 s[4:5], s4, v0
	v_cndmask_b32_e64 v5, v5, v1, s[4:5]
                                        ; implicit-def: $vgpr0
; %bb.483:
	s_andn2_saveexec_b64 s[4:5], s[16:17]
; %bb.484:
	v_add_f32_e32 v5, 0x46800000, v0
; %bb.485:
	s_or_b64 exec, exec, s[4:5]
                                        ; implicit-def: $vgpr0
.LBB274_486:
	s_andn2_saveexec_b64 s[8:9], s[8:9]
; %bb.487:
	s_mov_b32 s4, 0x7f800000
	v_mov_b32_e32 v1, 0x7e
	v_mov_b32_e32 v5, 0x7f
	v_cmp_lt_u32_e64 s[4:5], s4, v0
	v_cndmask_b32_e64 v5, v1, v5, s[4:5]
; %bb.488:
	s_or_b64 exec, exec, s[8:9]
	s_or_b64 s[12:13], s[12:13], exec
.LBB274_489:
	s_or_b64 exec, exec, s[14:15]
	s_andn2_b64 s[4:5], s[34:35], exec
	s_and_b64 s[8:9], s[10:11], exec
	s_or_b64 s[10:11], s[4:5], s[8:9]
	s_and_b64 s[8:9], s[12:13], exec
                                        ; implicit-def: $vgpr0_vgpr1
.LBB274_490:
	s_andn2_saveexec_b64 s[6:7], s[6:7]
	s_cbranch_execz .LBB274_620
; %bb.491:
	v_cmp_lt_i16_e64 s[4:5], 4, v10
                                        ; implicit-def: $vgpr5
	s_and_saveexec_b64 s[12:13], s[4:5]
	s_xor_b64 s[12:13], exec, s[12:13]
	s_cbranch_execz .LBB274_561
; %bb.492:
	v_cmp_lt_i16_e64 s[4:5], 7, v10
                                        ; implicit-def: $vgpr5
	s_and_saveexec_b64 s[14:15], s[4:5]
	s_xor_b64 s[14:15], exec, s[14:15]
	;; [unrolled: 6-line block ×4, first 2 shown]
	s_cbranch_execz .LBB274_504
; %bb.495:
	flat_load_dwordx2 v[0:1], v[0:1]
	s_mov_b32 s4, 0x43f00000
	s_waitcnt vmcnt(0) lgkmcnt(0)
	v_cvt_f32_f64_e32 v0, v[0:1]
                                        ; implicit-def: $vgpr1
	v_and_b32_e32 v5, 0x7fffffff, v0
	v_cmp_gt_u32_e64 s[4:5], s4, v5
	s_and_saveexec_b64 s[20:21], s[4:5]
	s_xor_b64 s[20:21], exec, s[20:21]
	s_cbranch_execz .LBB274_501
; %bb.496:
	s_mov_b32 s4, 0x3c7fffff
	v_cmp_lt_u32_e64 s[4:5], s4, v5
                                        ; implicit-def: $vgpr1
	s_and_saveexec_b64 s[22:23], s[4:5]
	s_xor_b64 s[22:23], exec, s[22:23]
; %bb.497:
	v_bfe_u32 v1, v0, 20, 1
	s_mov_b32 s4, 0x407ffff
	v_add3_u32 v1, v0, v1, s4
	v_lshrrev_b32_e32 v5, 20, v1
	v_and_b32_e32 v1, 0xff00000, v1
	s_mov_b32 s4, 0x7f00000
	v_mov_b32_e32 v9, 0x7e
	v_cmp_ne_u32_e64 s[4:5], s4, v1
	v_cndmask_b32_e64 v1, v9, v5, s[4:5]
; %bb.498:
	s_andn2_saveexec_b64 s[4:5], s[22:23]
; %bb.499:
	s_mov_b32 s22, 0x46800000
	v_add_f32_e64 v1, |v0|, s22
; %bb.500:
	s_or_b64 exec, exec, s[4:5]
                                        ; implicit-def: $vgpr5
.LBB274_501:
	s_andn2_saveexec_b64 s[20:21], s[20:21]
; %bb.502:
	s_mov_b32 s4, 0x7f800000
	v_mov_b32_e32 v1, 0x7e
	v_mov_b32_e32 v9, 0x7f
	v_cmp_lt_u32_e64 s[4:5], s4, v5
	v_cndmask_b32_e64 v1, v1, v9, s[4:5]
; %bb.503:
	s_or_b64 exec, exec, s[20:21]
	v_lshrrev_b32_e32 v0, 24, v0
	s_movk_i32 s4, 0x80
	v_and_or_b32 v5, v0, s4, v1
                                        ; implicit-def: $vgpr0_vgpr1
.LBB274_504:
	s_andn2_saveexec_b64 s[18:19], s[18:19]
	s_cbranch_execz .LBB274_514
; %bb.505:
	flat_load_dword v0, v[0:1]
	s_mov_b32 s4, 0x43f00000
                                        ; implicit-def: $vgpr1
	s_waitcnt vmcnt(0) lgkmcnt(0)
	v_and_b32_e32 v5, 0x7fffffff, v0
	v_cmp_gt_u32_e64 s[4:5], s4, v5
	s_and_saveexec_b64 s[20:21], s[4:5]
	s_xor_b64 s[20:21], exec, s[20:21]
	s_cbranch_execz .LBB274_511
; %bb.506:
	s_mov_b32 s4, 0x3c7fffff
	v_cmp_lt_u32_e64 s[4:5], s4, v5
                                        ; implicit-def: $vgpr1
	s_and_saveexec_b64 s[22:23], s[4:5]
	s_xor_b64 s[22:23], exec, s[22:23]
; %bb.507:
	v_bfe_u32 v1, v0, 20, 1
	s_mov_b32 s4, 0x407ffff
	v_add3_u32 v1, v0, v1, s4
	v_lshrrev_b32_e32 v5, 20, v1
	v_and_b32_e32 v1, 0xff00000, v1
	s_mov_b32 s4, 0x7f00000
	v_mov_b32_e32 v9, 0x7e
	v_cmp_ne_u32_e64 s[4:5], s4, v1
	v_cndmask_b32_e64 v1, v9, v5, s[4:5]
; %bb.508:
	s_andn2_saveexec_b64 s[4:5], s[22:23]
; %bb.509:
	s_mov_b32 s22, 0x46800000
	v_add_f32_e64 v1, |v0|, s22
; %bb.510:
	s_or_b64 exec, exec, s[4:5]
                                        ; implicit-def: $vgpr5
.LBB274_511:
	s_andn2_saveexec_b64 s[20:21], s[20:21]
; %bb.512:
	s_mov_b32 s4, 0x7f800000
	v_mov_b32_e32 v1, 0x7e
	v_mov_b32_e32 v9, 0x7f
	v_cmp_lt_u32_e64 s[4:5], s4, v5
	v_cndmask_b32_e64 v1, v1, v9, s[4:5]
; %bb.513:
	s_or_b64 exec, exec, s[20:21]
	v_lshrrev_b32_e32 v0, 24, v0
	s_movk_i32 s4, 0x80
	v_and_or_b32 v5, v0, s4, v1
.LBB274_514:
	s_or_b64 exec, exec, s[18:19]
                                        ; implicit-def: $vgpr0_vgpr1
.LBB274_515:
	s_andn2_saveexec_b64 s[16:17], s[16:17]
	s_cbranch_execz .LBB274_525
; %bb.516:
	flat_load_dword v0, v[0:1]
	s_mov_b32 s4, 0x43f00000
                                        ; implicit-def: $vgpr1
	s_waitcnt vmcnt(0) lgkmcnt(0)
	v_cvt_f32_f16_e32 v0, v0
	v_and_b32_e32 v5, 0x7fffffff, v0
	v_cmp_gt_u32_e64 s[4:5], s4, v5
	s_and_saveexec_b64 s[18:19], s[4:5]
	s_xor_b64 s[18:19], exec, s[18:19]
	s_cbranch_execz .LBB274_522
; %bb.517:
	s_mov_b32 s4, 0x3c7fffff
	v_cmp_lt_u32_e64 s[4:5], s4, v5
                                        ; implicit-def: $vgpr1
	s_and_saveexec_b64 s[20:21], s[4:5]
	s_xor_b64 s[20:21], exec, s[20:21]
; %bb.518:
	v_bfe_u32 v1, v0, 20, 1
	s_mov_b32 s4, 0x407ffff
	v_add3_u32 v1, v0, v1, s4
	v_lshrrev_b32_e32 v5, 20, v1
	v_and_b32_e32 v1, 0xff00000, v1
	s_mov_b32 s4, 0x7f00000
	v_mov_b32_e32 v9, 0x7e
	v_cmp_ne_u32_e64 s[4:5], s4, v1
	v_cndmask_b32_e64 v1, v9, v5, s[4:5]
; %bb.519:
	s_andn2_saveexec_b64 s[4:5], s[20:21]
; %bb.520:
	s_mov_b32 s20, 0x46800000
	v_add_f32_e64 v1, |v0|, s20
; %bb.521:
	s_or_b64 exec, exec, s[4:5]
                                        ; implicit-def: $vgpr5
.LBB274_522:
	s_andn2_saveexec_b64 s[18:19], s[18:19]
; %bb.523:
	s_mov_b32 s4, 0x7f800000
	v_mov_b32_e32 v1, 0x7e
	v_mov_b32_e32 v9, 0x7f
	v_cmp_lt_u32_e64 s[4:5], s4, v5
	v_cndmask_b32_e64 v1, v1, v9, s[4:5]
; %bb.524:
	s_or_b64 exec, exec, s[18:19]
	v_lshrrev_b32_e32 v0, 24, v0
	s_movk_i32 s4, 0x80
	v_and_or_b32 v5, v0, s4, v1
.LBB274_525:
	s_or_b64 exec, exec, s[16:17]
                                        ; implicit-def: $vgpr0_vgpr1
.LBB274_526:
	s_andn2_saveexec_b64 s[14:15], s[14:15]
	s_cbranch_execz .LBB274_560
; %bb.527:
	v_cmp_lt_i16_e64 s[4:5], 5, v10
                                        ; implicit-def: $vgpr5
	s_and_saveexec_b64 s[16:17], s[4:5]
	s_xor_b64 s[16:17], exec, s[16:17]
	s_cbranch_execz .LBB274_549
; %bb.528:
	v_cmp_lt_i16_e64 s[4:5], 6, v10
                                        ; implicit-def: $vgpr5
	s_and_saveexec_b64 s[18:19], s[4:5]
	s_xor_b64 s[18:19], exec, s[18:19]
	s_cbranch_execz .LBB274_538
; %bb.529:
	flat_load_dwordx2 v[0:1], v[0:1]
	s_mov_b32 s4, 0x43f00000
	s_waitcnt vmcnt(0) lgkmcnt(0)
	v_cvt_f32_f64_e32 v0, v[0:1]
                                        ; implicit-def: $vgpr1
	v_and_b32_e32 v5, 0x7fffffff, v0
	v_cmp_gt_u32_e64 s[4:5], s4, v5
	s_and_saveexec_b64 s[20:21], s[4:5]
	s_xor_b64 s[20:21], exec, s[20:21]
	s_cbranch_execz .LBB274_535
; %bb.530:
	s_mov_b32 s4, 0x3c7fffff
	v_cmp_lt_u32_e64 s[4:5], s4, v5
                                        ; implicit-def: $vgpr1
	s_and_saveexec_b64 s[22:23], s[4:5]
	s_xor_b64 s[22:23], exec, s[22:23]
; %bb.531:
	v_bfe_u32 v1, v0, 20, 1
	s_mov_b32 s4, 0x407ffff
	v_add3_u32 v1, v0, v1, s4
	v_lshrrev_b32_e32 v5, 20, v1
	v_and_b32_e32 v1, 0xff00000, v1
	s_mov_b32 s4, 0x7f00000
	v_mov_b32_e32 v9, 0x7e
	v_cmp_ne_u32_e64 s[4:5], s4, v1
	v_cndmask_b32_e64 v1, v9, v5, s[4:5]
; %bb.532:
	s_andn2_saveexec_b64 s[4:5], s[22:23]
; %bb.533:
	s_mov_b32 s22, 0x46800000
	v_add_f32_e64 v1, |v0|, s22
; %bb.534:
	s_or_b64 exec, exec, s[4:5]
                                        ; implicit-def: $vgpr5
.LBB274_535:
	s_andn2_saveexec_b64 s[20:21], s[20:21]
; %bb.536:
	s_mov_b32 s4, 0x7f800000
	v_mov_b32_e32 v1, 0x7e
	v_mov_b32_e32 v9, 0x7f
	v_cmp_lt_u32_e64 s[4:5], s4, v5
	v_cndmask_b32_e64 v1, v1, v9, s[4:5]
; %bb.537:
	s_or_b64 exec, exec, s[20:21]
	v_lshrrev_b32_e32 v0, 24, v0
	s_movk_i32 s4, 0x80
	v_and_or_b32 v5, v0, s4, v1
                                        ; implicit-def: $vgpr0_vgpr1
.LBB274_538:
	s_andn2_saveexec_b64 s[18:19], s[18:19]
	s_cbranch_execz .LBB274_548
; %bb.539:
	flat_load_dword v0, v[0:1]
	s_mov_b32 s4, 0x43f00000
                                        ; implicit-def: $vgpr1
	s_waitcnt vmcnt(0) lgkmcnt(0)
	v_and_b32_e32 v5, 0x7fffffff, v0
	v_cmp_gt_u32_e64 s[4:5], s4, v5
	s_and_saveexec_b64 s[20:21], s[4:5]
	s_xor_b64 s[20:21], exec, s[20:21]
	s_cbranch_execz .LBB274_545
; %bb.540:
	s_mov_b32 s4, 0x3c7fffff
	v_cmp_lt_u32_e64 s[4:5], s4, v5
                                        ; implicit-def: $vgpr1
	s_and_saveexec_b64 s[22:23], s[4:5]
	s_xor_b64 s[22:23], exec, s[22:23]
; %bb.541:
	v_bfe_u32 v1, v0, 20, 1
	s_mov_b32 s4, 0x407ffff
	v_add3_u32 v1, v0, v1, s4
	v_lshrrev_b32_e32 v5, 20, v1
	v_and_b32_e32 v1, 0xff00000, v1
	s_mov_b32 s4, 0x7f00000
	v_mov_b32_e32 v9, 0x7e
	v_cmp_ne_u32_e64 s[4:5], s4, v1
	v_cndmask_b32_e64 v1, v9, v5, s[4:5]
; %bb.542:
	s_andn2_saveexec_b64 s[4:5], s[22:23]
; %bb.543:
	s_mov_b32 s22, 0x46800000
	v_add_f32_e64 v1, |v0|, s22
; %bb.544:
	s_or_b64 exec, exec, s[4:5]
                                        ; implicit-def: $vgpr5
.LBB274_545:
	s_andn2_saveexec_b64 s[20:21], s[20:21]
; %bb.546:
	s_mov_b32 s4, 0x7f800000
	v_mov_b32_e32 v1, 0x7e
	v_mov_b32_e32 v9, 0x7f
	v_cmp_lt_u32_e64 s[4:5], s4, v5
	v_cndmask_b32_e64 v1, v1, v9, s[4:5]
; %bb.547:
	s_or_b64 exec, exec, s[20:21]
	v_lshrrev_b32_e32 v0, 24, v0
	s_movk_i32 s4, 0x80
	v_and_or_b32 v5, v0, s4, v1
.LBB274_548:
	s_or_b64 exec, exec, s[18:19]
                                        ; implicit-def: $vgpr0_vgpr1
.LBB274_549:
	s_andn2_saveexec_b64 s[16:17], s[16:17]
	s_cbranch_execz .LBB274_559
; %bb.550:
	flat_load_ushort v0, v[0:1]
	s_mov_b32 s4, 0x43f00000
                                        ; implicit-def: $vgpr1
	s_waitcnt vmcnt(0) lgkmcnt(0)
	v_cvt_f32_f16_e32 v0, v0
	v_and_b32_e32 v5, 0x7fffffff, v0
	v_cmp_gt_u32_e64 s[4:5], s4, v5
	s_and_saveexec_b64 s[18:19], s[4:5]
	s_xor_b64 s[18:19], exec, s[18:19]
	s_cbranch_execz .LBB274_556
; %bb.551:
	s_mov_b32 s4, 0x3c7fffff
	v_cmp_lt_u32_e64 s[4:5], s4, v5
                                        ; implicit-def: $vgpr1
	s_and_saveexec_b64 s[20:21], s[4:5]
	s_xor_b64 s[20:21], exec, s[20:21]
; %bb.552:
	v_bfe_u32 v1, v0, 20, 1
	s_mov_b32 s4, 0x407ffff
	v_add3_u32 v1, v0, v1, s4
	v_lshrrev_b32_e32 v5, 20, v1
	v_and_b32_e32 v1, 0xff00000, v1
	s_mov_b32 s4, 0x7f00000
	v_mov_b32_e32 v9, 0x7e
	v_cmp_ne_u32_e64 s[4:5], s4, v1
	v_cndmask_b32_e64 v1, v9, v5, s[4:5]
; %bb.553:
	s_andn2_saveexec_b64 s[4:5], s[20:21]
; %bb.554:
	s_mov_b32 s20, 0x46800000
	v_add_f32_e64 v1, |v0|, s20
; %bb.555:
	s_or_b64 exec, exec, s[4:5]
                                        ; implicit-def: $vgpr5
.LBB274_556:
	s_andn2_saveexec_b64 s[18:19], s[18:19]
; %bb.557:
	s_mov_b32 s4, 0x7f800000
	v_mov_b32_e32 v1, 0x7e
	v_mov_b32_e32 v9, 0x7f
	v_cmp_lt_u32_e64 s[4:5], s4, v5
	v_cndmask_b32_e64 v1, v1, v9, s[4:5]
; %bb.558:
	s_or_b64 exec, exec, s[18:19]
	v_lshrrev_b32_e32 v0, 24, v0
	s_movk_i32 s4, 0x80
	v_and_or_b32 v5, v0, s4, v1
.LBB274_559:
	s_or_b64 exec, exec, s[16:17]
.LBB274_560:
	s_or_b64 exec, exec, s[14:15]
                                        ; implicit-def: $vgpr0_vgpr1
.LBB274_561:
	s_andn2_saveexec_b64 s[12:13], s[12:13]
	s_cbranch_execz .LBB274_619
; %bb.562:
	v_cmp_lt_i16_e64 s[4:5], 1, v10
                                        ; implicit-def: $vgpr5
	s_and_saveexec_b64 s[14:15], s[4:5]
	s_xor_b64 s[14:15], exec, s[14:15]
	s_cbranch_execz .LBB274_596
; %bb.563:
	v_cmp_lt_i16_e64 s[4:5], 2, v10
                                        ; implicit-def: $vgpr5
	s_and_saveexec_b64 s[16:17], s[4:5]
	s_xor_b64 s[16:17], exec, s[16:17]
	;; [unrolled: 6-line block ×3, first 2 shown]
	s_cbranch_execz .LBB274_574
; %bb.565:
	flat_load_dwordx2 v[0:1], v[0:1]
	s_mov_b32 s4, 0x43f00000
	s_waitcnt vmcnt(0) lgkmcnt(0)
	v_xor_b32_e32 v9, v0, v1
	v_ffbh_i32_e32 v5, v1
	v_ashrrev_i32_e32 v9, 31, v9
	v_add_u32_e32 v5, -1, v5
	v_add_u32_e32 v9, 32, v9
	v_min_u32_e32 v5, v5, v9
	v_lshlrev_b64 v[0:1], v5, v[0:1]
	v_min_u32_e32 v0, 1, v0
	v_or_b32_e32 v0, v1, v0
	v_cvt_f32_i32_e32 v0, v0
	v_sub_u32_e32 v1, 32, v5
	v_ldexp_f32 v0, v0, v1
	v_and_b32_e32 v5, 0x7fffffff, v0
	v_cmp_gt_u32_e64 s[4:5], s4, v5
                                        ; implicit-def: $vgpr1
	s_and_saveexec_b64 s[20:21], s[4:5]
	s_xor_b64 s[20:21], exec, s[20:21]
	s_cbranch_execz .LBB274_571
; %bb.566:
	s_mov_b32 s4, 0x3c7fffff
	v_cmp_lt_u32_e64 s[4:5], s4, v5
                                        ; implicit-def: $vgpr1
	s_and_saveexec_b64 s[22:23], s[4:5]
	s_xor_b64 s[22:23], exec, s[22:23]
; %bb.567:
	v_bfe_u32 v1, v0, 20, 1
	s_mov_b32 s4, 0x407ffff
	v_add3_u32 v1, v0, v1, s4
	v_lshrrev_b32_e32 v5, 20, v1
	v_and_b32_e32 v1, 0xff00000, v1
	s_mov_b32 s4, 0x7f00000
	v_mov_b32_e32 v9, 0x7e
	v_cmp_ne_u32_e64 s[4:5], s4, v1
	v_cndmask_b32_e64 v1, v9, v5, s[4:5]
; %bb.568:
	s_andn2_saveexec_b64 s[4:5], s[22:23]
; %bb.569:
	s_mov_b32 s22, 0x46800000
	v_add_f32_e64 v1, |v0|, s22
; %bb.570:
	s_or_b64 exec, exec, s[4:5]
                                        ; implicit-def: $vgpr5
.LBB274_571:
	s_andn2_saveexec_b64 s[20:21], s[20:21]
; %bb.572:
	s_mov_b32 s4, 0x7f800000
	v_mov_b32_e32 v1, 0x7e
	v_mov_b32_e32 v9, 0x7f
	v_cmp_lt_u32_e64 s[4:5], s4, v5
	v_cndmask_b32_e64 v1, v1, v9, s[4:5]
; %bb.573:
	s_or_b64 exec, exec, s[20:21]
	v_lshrrev_b32_e32 v0, 24, v0
	s_movk_i32 s4, 0x80
	v_and_or_b32 v5, v0, s4, v1
                                        ; implicit-def: $vgpr0_vgpr1
.LBB274_574:
	s_andn2_saveexec_b64 s[18:19], s[18:19]
	s_cbranch_execz .LBB274_584
; %bb.575:
	flat_load_dword v0, v[0:1]
	s_mov_b32 s4, 0x43f00000
                                        ; implicit-def: $vgpr1
	s_waitcnt vmcnt(0) lgkmcnt(0)
	v_cvt_f32_i32_e32 v0, v0
	v_and_b32_e32 v5, 0x7fffffff, v0
	v_cmp_gt_u32_e64 s[4:5], s4, v5
	s_and_saveexec_b64 s[20:21], s[4:5]
	s_xor_b64 s[20:21], exec, s[20:21]
	s_cbranch_execz .LBB274_581
; %bb.576:
	s_mov_b32 s4, 0x3c7fffff
	v_cmp_lt_u32_e64 s[4:5], s4, v5
                                        ; implicit-def: $vgpr1
	s_and_saveexec_b64 s[22:23], s[4:5]
	s_xor_b64 s[22:23], exec, s[22:23]
; %bb.577:
	v_bfe_u32 v1, v0, 20, 1
	s_mov_b32 s4, 0x407ffff
	v_add3_u32 v1, v0, v1, s4
	v_lshrrev_b32_e32 v5, 20, v1
	v_and_b32_e32 v1, 0xff00000, v1
	s_mov_b32 s4, 0x7f00000
	v_mov_b32_e32 v9, 0x7e
	v_cmp_ne_u32_e64 s[4:5], s4, v1
	v_cndmask_b32_e64 v1, v9, v5, s[4:5]
; %bb.578:
	s_andn2_saveexec_b64 s[4:5], s[22:23]
; %bb.579:
	s_mov_b32 s22, 0x46800000
	v_add_f32_e64 v1, |v0|, s22
; %bb.580:
	s_or_b64 exec, exec, s[4:5]
                                        ; implicit-def: $vgpr5
.LBB274_581:
	s_andn2_saveexec_b64 s[20:21], s[20:21]
; %bb.582:
	s_mov_b32 s4, 0x7f800000
	v_mov_b32_e32 v1, 0x7e
	v_mov_b32_e32 v9, 0x7f
	v_cmp_lt_u32_e64 s[4:5], s4, v5
	v_cndmask_b32_e64 v1, v1, v9, s[4:5]
; %bb.583:
	s_or_b64 exec, exec, s[20:21]
	v_lshrrev_b32_e32 v0, 24, v0
	s_movk_i32 s4, 0x80
	v_and_or_b32 v5, v0, s4, v1
.LBB274_584:
	s_or_b64 exec, exec, s[18:19]
                                        ; implicit-def: $vgpr0_vgpr1
.LBB274_585:
	s_andn2_saveexec_b64 s[16:17], s[16:17]
	s_cbranch_execz .LBB274_595
; %bb.586:
	flat_load_sshort v0, v[0:1]
	s_mov_b32 s4, 0x43f00000
                                        ; implicit-def: $vgpr1
	s_waitcnt vmcnt(0) lgkmcnt(0)
	v_cvt_f32_i32_e32 v0, v0
	v_and_b32_e32 v5, 0x7fffffff, v0
	v_cmp_gt_u32_e64 s[4:5], s4, v5
	s_and_saveexec_b64 s[18:19], s[4:5]
	s_xor_b64 s[18:19], exec, s[18:19]
	s_cbranch_execz .LBB274_592
; %bb.587:
	s_mov_b32 s4, 0x3c7fffff
	v_cmp_lt_u32_e64 s[4:5], s4, v5
                                        ; implicit-def: $vgpr1
	s_and_saveexec_b64 s[20:21], s[4:5]
	s_xor_b64 s[20:21], exec, s[20:21]
; %bb.588:
	v_bfe_u32 v1, v0, 20, 1
	s_mov_b32 s4, 0x407ffff
	v_add3_u32 v1, v0, v1, s4
	v_lshrrev_b32_e32 v5, 20, v1
	v_and_b32_e32 v1, 0xff00000, v1
	s_mov_b32 s4, 0x7f00000
	v_mov_b32_e32 v9, 0x7e
	v_cmp_ne_u32_e64 s[4:5], s4, v1
	v_cndmask_b32_e64 v1, v9, v5, s[4:5]
; %bb.589:
	s_andn2_saveexec_b64 s[4:5], s[20:21]
; %bb.590:
	s_mov_b32 s20, 0x46800000
	v_add_f32_e64 v1, |v0|, s20
; %bb.591:
	s_or_b64 exec, exec, s[4:5]
                                        ; implicit-def: $vgpr5
.LBB274_592:
	s_andn2_saveexec_b64 s[18:19], s[18:19]
; %bb.593:
	s_mov_b32 s4, 0x7f800000
	v_mov_b32_e32 v1, 0x7e
	v_mov_b32_e32 v9, 0x7f
	v_cmp_lt_u32_e64 s[4:5], s4, v5
	v_cndmask_b32_e64 v1, v1, v9, s[4:5]
; %bb.594:
	s_or_b64 exec, exec, s[18:19]
	v_lshrrev_b32_e32 v0, 24, v0
	s_movk_i32 s4, 0x80
	v_and_or_b32 v5, v0, s4, v1
.LBB274_595:
	s_or_b64 exec, exec, s[16:17]
                                        ; implicit-def: $vgpr0_vgpr1
.LBB274_596:
	s_andn2_saveexec_b64 s[14:15], s[14:15]
	s_cbranch_execz .LBB274_618
; %bb.597:
	v_cmp_lt_i16_e64 s[4:5], 0, v10
                                        ; implicit-def: $vgpr5
	s_and_saveexec_b64 s[16:17], s[4:5]
	s_xor_b64 s[16:17], exec, s[16:17]
	s_cbranch_execz .LBB274_607
; %bb.598:
	flat_load_sbyte v0, v[0:1]
	s_mov_b32 s4, 0x43f00000
                                        ; implicit-def: $vgpr1
	s_waitcnt vmcnt(0) lgkmcnt(0)
	v_cvt_f32_i32_e32 v0, v0
	v_and_b32_e32 v5, 0x7fffffff, v0
	v_cmp_gt_u32_e64 s[4:5], s4, v5
	s_and_saveexec_b64 s[18:19], s[4:5]
	s_xor_b64 s[18:19], exec, s[18:19]
	s_cbranch_execz .LBB274_604
; %bb.599:
	s_mov_b32 s4, 0x3c7fffff
	v_cmp_lt_u32_e64 s[4:5], s4, v5
                                        ; implicit-def: $vgpr1
	s_and_saveexec_b64 s[20:21], s[4:5]
	s_xor_b64 s[20:21], exec, s[20:21]
; %bb.600:
	v_bfe_u32 v1, v0, 20, 1
	s_mov_b32 s4, 0x407ffff
	v_add3_u32 v1, v0, v1, s4
	v_lshrrev_b32_e32 v5, 20, v1
	v_and_b32_e32 v1, 0xff00000, v1
	s_mov_b32 s4, 0x7f00000
	v_mov_b32_e32 v9, 0x7e
	v_cmp_ne_u32_e64 s[4:5], s4, v1
	v_cndmask_b32_e64 v1, v9, v5, s[4:5]
; %bb.601:
	s_andn2_saveexec_b64 s[4:5], s[20:21]
; %bb.602:
	s_mov_b32 s20, 0x46800000
	v_add_f32_e64 v1, |v0|, s20
; %bb.603:
	s_or_b64 exec, exec, s[4:5]
                                        ; implicit-def: $vgpr5
.LBB274_604:
	s_andn2_saveexec_b64 s[18:19], s[18:19]
; %bb.605:
	s_mov_b32 s4, 0x7f800000
	v_mov_b32_e32 v1, 0x7e
	v_mov_b32_e32 v9, 0x7f
	v_cmp_lt_u32_e64 s[4:5], s4, v5
	v_cndmask_b32_e64 v1, v1, v9, s[4:5]
; %bb.606:
	s_or_b64 exec, exec, s[18:19]
	v_lshrrev_b32_e32 v0, 24, v0
	s_movk_i32 s4, 0x80
	v_and_or_b32 v5, v0, s4, v1
                                        ; implicit-def: $vgpr0_vgpr1
.LBB274_607:
	s_andn2_saveexec_b64 s[16:17], s[16:17]
	s_cbranch_execz .LBB274_617
; %bb.608:
	flat_load_ubyte v0, v[0:1]
	s_mov_b32 s4, 0x43f00000
                                        ; implicit-def: $vgpr5
	s_waitcnt vmcnt(0) lgkmcnt(0)
	v_cvt_f32_ubyte0_e32 v0, v0
	v_cmp_gt_u32_e64 s[4:5], s4, v0
	s_and_saveexec_b64 s[18:19], s[4:5]
	s_xor_b64 s[18:19], exec, s[18:19]
	s_cbranch_execz .LBB274_614
; %bb.609:
	s_mov_b32 s4, 0x3c7fffff
	v_cmp_lt_u32_e64 s[4:5], s4, v0
                                        ; implicit-def: $vgpr5
	s_and_saveexec_b64 s[20:21], s[4:5]
	s_xor_b64 s[20:21], exec, s[20:21]
; %bb.610:
	v_bfe_u32 v1, v0, 20, 1
	s_mov_b32 s4, 0x407ffff
	v_add3_u32 v0, v0, v1, s4
	v_lshrrev_b32_e32 v1, 20, v0
	v_and_b32_e32 v0, 0xff00000, v0
	s_mov_b32 s4, 0x7f00000
	v_mov_b32_e32 v5, 0x7e
	v_cmp_ne_u32_e64 s[4:5], s4, v0
	v_cndmask_b32_e64 v5, v5, v1, s[4:5]
                                        ; implicit-def: $vgpr0
; %bb.611:
	s_andn2_saveexec_b64 s[4:5], s[20:21]
; %bb.612:
	v_add_f32_e32 v5, 0x46800000, v0
; %bb.613:
	s_or_b64 exec, exec, s[4:5]
                                        ; implicit-def: $vgpr0
.LBB274_614:
	s_andn2_saveexec_b64 s[18:19], s[18:19]
; %bb.615:
	s_mov_b32 s4, 0x7f800000
	v_mov_b32_e32 v1, 0x7e
	v_mov_b32_e32 v5, 0x7f
	v_cmp_lt_u32_e64 s[4:5], s4, v0
	v_cndmask_b32_e64 v5, v1, v5, s[4:5]
; %bb.616:
	s_or_b64 exec, exec, s[18:19]
.LBB274_617:
	s_or_b64 exec, exec, s[16:17]
.LBB274_618:
	s_or_b64 exec, exec, s[14:15]
.LBB274_619:
	s_or_b64 exec, exec, s[12:13]
	s_or_b64 s[8:9], s[8:9], exec
.LBB274_620:
	s_or_b64 exec, exec, s[6:7]
	s_mov_b64 s[16:17], 0
	s_mov_b64 s[18:19], 0
                                        ; implicit-def: $sgpr6_sgpr7
                                        ; implicit-def: $vgpr0_vgpr1
                                        ; implicit-def: $vgpr21
	s_and_saveexec_b64 s[12:13], s[8:9]
	s_cbranch_execz .LBB274_2051
; %bb.621:
	buffer_load_dword v17, off, s[0:3], 0 offset:32
	buffer_load_ubyte v9, off, s[0:3], 0 offset:42
	buffer_load_dword v11, off, s[0:3], 0 offset:16
	buffer_load_dword v12, off, s[0:3], 0 offset:20
	s_mov_b64 s[8:9], 0
	s_mov_b64 s[14:15], s[10:11]
	s_waitcnt vmcnt(0)
	v_mul_lo_u32 v18, v17, v6
	v_cmp_lt_i16_e64 s[4:5], 10, v9
                                        ; implicit-def: $vgpr6
	v_ashrrev_i32_e32 v1, 31, v18
	v_add_co_u32_e64 v0, s[6:7], v11, v18
	v_addc_co_u32_e64 v1, s[6:7], v12, v1, s[6:7]
	s_and_saveexec_b64 s[6:7], s[4:5]
	s_xor_b64 s[6:7], exec, s[6:7]
	s_cbranch_execz .LBB274_716
; %bb.622:
	v_cmp_lt_i16_e64 s[4:5], 25, v9
                                        ; implicit-def: $vgpr6
	s_and_saveexec_b64 s[14:15], s[4:5]
	s_xor_b64 s[14:15], exec, s[14:15]
	s_cbranch_execz .LBB274_2231
; %bb.623:
	v_cmp_lt_i16_e64 s[4:5], 28, v9
	s_mov_b64 s[20:21], 0
                                        ; implicit-def: $vgpr6
	s_and_saveexec_b64 s[16:17], s[4:5]
	s_xor_b64 s[16:17], exec, s[16:17]
	s_cbranch_execz .LBB274_663
; %bb.624:
	v_cmp_lt_i16_e64 s[4:5], 43, v9
	s_mov_b64 s[22:23], 0
	s_mov_b64 s[24:25], 0
                                        ; implicit-def: $vgpr6
	s_and_saveexec_b64 s[18:19], s[4:5]
	s_xor_b64 s[18:19], exec, s[18:19]
	s_cbranch_execz .LBB274_650
; %bb.625:
	v_cmp_lt_i16_e64 s[4:5], 45, v9
                                        ; implicit-def: $vgpr6
	s_and_saveexec_b64 s[24:25], s[4:5]
	s_xor_b64 s[24:25], exec, s[24:25]
	s_cbranch_execz .LBB274_637
; %bb.626:
	v_cmp_eq_u16_e64 s[4:5], 46, v9
	s_mov_b64 s[26:27], -1
                                        ; implicit-def: $vgpr6
	s_and_saveexec_b64 s[20:21], s[4:5]
	s_cbranch_execz .LBB274_636
; %bb.627:
	flat_load_dword v6, v[0:1]
	s_mov_b32 s4, 0x43f00000
                                        ; implicit-def: $vgpr19
	s_waitcnt vmcnt(0) lgkmcnt(0)
	v_lshlrev_b32_e32 v6, 16, v6
	v_and_b32_e32 v20, 0x7fffffff, v6
	v_cmp_gt_u32_e64 s[4:5], s4, v20
	s_and_saveexec_b64 s[22:23], s[4:5]
	s_xor_b64 s[22:23], exec, s[22:23]
	s_cbranch_execz .LBB274_633
; %bb.628:
	s_mov_b32 s4, 0x3c7fffff
	v_cmp_lt_u32_e64 s[4:5], s4, v20
                                        ; implicit-def: $vgpr19
	s_and_saveexec_b64 s[26:27], s[4:5]
	s_xor_b64 s[26:27], exec, s[26:27]
; %bb.629:
	v_bfe_u32 v19, v6, 20, 1
	s_mov_b32 s4, 0x407ffff
	v_add3_u32 v19, v6, v19, s4
	v_lshrrev_b32_e32 v20, 20, v19
	v_and_b32_e32 v19, 0xff00000, v19
	s_mov_b32 s4, 0x7f00000
	v_mov_b32_e32 v21, 0x7e
	v_cmp_ne_u32_e64 s[4:5], s4, v19
	v_cndmask_b32_e64 v19, v21, v20, s[4:5]
; %bb.630:
	s_andn2_saveexec_b64 s[4:5], s[26:27]
; %bb.631:
	s_mov_b32 s26, 0x46800000
	v_add_f32_e64 v19, |v6|, s26
; %bb.632:
	s_or_b64 exec, exec, s[4:5]
                                        ; implicit-def: $vgpr20
.LBB274_633:
	s_andn2_saveexec_b64 s[22:23], s[22:23]
; %bb.634:
	s_mov_b32 s4, 0x7f800000
	v_mov_b32_e32 v19, 0x7e
	v_mov_b32_e32 v21, 0x7f
	v_cmp_lt_u32_e64 s[4:5], s4, v20
	v_cndmask_b32_e64 v19, v19, v21, s[4:5]
; %bb.635:
	s_or_b64 exec, exec, s[22:23]
	v_lshrrev_b32_e32 v6, 24, v6
	s_movk_i32 s4, 0x80
	s_mov_b64 s[22:23], exec
	v_and_or_b32 v6, v6, s4, v19
	s_xor_b64 s[26:27], exec, -1
.LBB274_636:
	s_or_b64 exec, exec, s[20:21]
	s_and_b64 s[22:23], s[22:23], exec
	s_and_b64 s[20:21], s[26:27], exec
.LBB274_637:
	s_andn2_saveexec_b64 s[24:25], s[24:25]
	s_cbranch_execz .LBB274_649
; %bb.638:
	v_cmp_eq_u16_e64 s[4:5], 44, v9
	s_mov_b64 s[28:29], -1
	s_mov_b64 s[30:31], s[22:23]
                                        ; implicit-def: $vgpr6
	s_and_saveexec_b64 s[26:27], s[4:5]
	s_cbranch_execz .LBB274_648
; %bb.639:
	flat_load_ubyte v6, v[0:1]
	s_movk_i32 s4, 0xff
	v_mov_b32_e32 v19, 0x7f800001
	v_mov_b32_e32 v20, 0x400000
	s_waitcnt vmcnt(0) lgkmcnt(0)
	v_lshlrev_b32_e32 v21, 23, v6
	v_cmp_ne_u32_e64 s[4:5], s4, v6
	v_cndmask_b32_e64 v19, v19, v21, s[4:5]
	v_cmp_ne_u32_e64 s[4:5], 0, v6
	v_cndmask_b32_e64 v19, v20, v19, s[4:5]
	s_mov_b32 s4, 0x43f00000
	v_cmp_gt_u32_e64 s[4:5], s4, v19
                                        ; implicit-def: $vgpr6
	s_and_saveexec_b64 s[28:29], s[4:5]
	s_xor_b64 s[28:29], exec, s[28:29]
	s_cbranch_execz .LBB274_645
; %bb.640:
	s_mov_b32 s4, 0x3c7fffff
	v_cmp_lt_u32_e64 s[4:5], s4, v19
                                        ; implicit-def: $vgpr6
	s_and_saveexec_b64 s[30:31], s[4:5]
	s_xor_b64 s[30:31], exec, s[30:31]
; %bb.641:
	v_bfe_u32 v6, v19, 20, 1
	s_mov_b32 s4, 0x407ffff
	v_add3_u32 v6, v19, v6, s4
	v_lshrrev_b32_e32 v19, 20, v6
	v_and_b32_e32 v6, 0xff00000, v6
	s_mov_b32 s4, 0x7f00000
	v_mov_b32_e32 v20, 0x7e
	v_cmp_ne_u32_e64 s[4:5], s4, v6
	v_cndmask_b32_e64 v6, v20, v19, s[4:5]
                                        ; implicit-def: $vgpr19
; %bb.642:
	s_andn2_saveexec_b64 s[4:5], s[30:31]
; %bb.643:
	v_add_f32_e32 v6, 0x46800000, v19
; %bb.644:
	s_or_b64 exec, exec, s[4:5]
                                        ; implicit-def: $vgpr19
.LBB274_645:
	s_andn2_saveexec_b64 s[28:29], s[28:29]
; %bb.646:
	s_mov_b32 s4, 0x7f800000
	v_mov_b32_e32 v6, 0x7e
	v_mov_b32_e32 v20, 0x7f
	v_cmp_lt_u32_e64 s[4:5], s4, v19
	v_cndmask_b32_e64 v6, v6, v20, s[4:5]
; %bb.647:
	s_or_b64 exec, exec, s[28:29]
	s_or_b64 s[30:31], s[22:23], exec
	s_xor_b64 s[28:29], exec, -1
.LBB274_648:
	s_or_b64 exec, exec, s[26:27]
	s_andn2_b64 s[4:5], s[22:23], exec
	s_and_b64 s[22:23], s[30:31], exec
	s_or_b64 s[22:23], s[4:5], s[22:23]
	s_andn2_b64 s[4:5], s[20:21], exec
	s_and_b64 s[20:21], s[28:29], exec
	s_or_b64 s[20:21], s[4:5], s[20:21]
.LBB274_649:
	s_or_b64 exec, exec, s[24:25]
	s_and_b64 s[24:25], s[22:23], exec
	s_and_b64 s[22:23], s[20:21], exec
.LBB274_650:
	s_andn2_saveexec_b64 s[18:19], s[18:19]
	s_cbranch_execz .LBB274_662
; %bb.651:
	v_cmp_eq_u16_e64 s[4:5], 29, v9
	s_mov_b64 s[26:27], -1
	s_mov_b64 s[28:29], s[24:25]
                                        ; implicit-def: $vgpr6
	s_and_saveexec_b64 s[20:21], s[4:5]
	s_cbranch_execz .LBB274_661
; %bb.652:
	flat_load_dwordx2 v[19:20], v[0:1]
	s_mov_b32 s4, 0x43f00000
	s_waitcnt vmcnt(0) lgkmcnt(0)
	v_ffbh_u32_e32 v6, v20
	v_min_u32_e32 v6, 32, v6
	v_lshlrev_b64 v[19:20], v6, v[19:20]
	v_sub_u32_e32 v6, 32, v6
	v_min_u32_e32 v19, 1, v19
	v_or_b32_e32 v19, v20, v19
	v_cvt_f32_u32_e32 v19, v19
	v_ldexp_f32 v19, v19, v6
	v_cmp_gt_u32_e64 s[4:5], s4, v19
                                        ; implicit-def: $vgpr6
	s_and_saveexec_b64 s[26:27], s[4:5]
	s_xor_b64 s[26:27], exec, s[26:27]
	s_cbranch_execz .LBB274_658
; %bb.653:
	s_mov_b32 s4, 0x3c7fffff
	v_cmp_lt_u32_e64 s[4:5], s4, v19
                                        ; implicit-def: $vgpr6
	s_and_saveexec_b64 s[28:29], s[4:5]
	s_xor_b64 s[28:29], exec, s[28:29]
; %bb.654:
	v_bfe_u32 v6, v19, 20, 1
	s_mov_b32 s4, 0x407ffff
	v_add3_u32 v6, v19, v6, s4
	v_lshrrev_b32_e32 v19, 20, v6
	v_and_b32_e32 v6, 0xff00000, v6
	s_mov_b32 s4, 0x7f00000
	v_mov_b32_e32 v20, 0x7e
	v_cmp_ne_u32_e64 s[4:5], s4, v6
	v_cndmask_b32_e64 v6, v20, v19, s[4:5]
                                        ; implicit-def: $vgpr19
; %bb.655:
	s_andn2_saveexec_b64 s[4:5], s[28:29]
; %bb.656:
	v_add_f32_e32 v6, 0x46800000, v19
; %bb.657:
	s_or_b64 exec, exec, s[4:5]
                                        ; implicit-def: $vgpr19
.LBB274_658:
	s_andn2_saveexec_b64 s[26:27], s[26:27]
; %bb.659:
	s_mov_b32 s4, 0x7f800000
	v_mov_b32_e32 v6, 0x7e
	v_mov_b32_e32 v20, 0x7f
	v_cmp_lt_u32_e64 s[4:5], s4, v19
	v_cndmask_b32_e64 v6, v6, v20, s[4:5]
; %bb.660:
	s_or_b64 exec, exec, s[26:27]
	s_or_b64 s[28:29], s[24:25], exec
	s_xor_b64 s[26:27], exec, -1
.LBB274_661:
	s_or_b64 exec, exec, s[20:21]
	s_andn2_b64 s[4:5], s[24:25], exec
	s_and_b64 s[20:21], s[28:29], exec
	s_or_b64 s[24:25], s[4:5], s[20:21]
	s_andn2_b64 s[4:5], s[22:23], exec
	s_and_b64 s[20:21], s[26:27], exec
	s_or_b64 s[22:23], s[4:5], s[20:21]
.LBB274_662:
	s_or_b64 exec, exec, s[18:19]
	s_and_b64 s[20:21], s[24:25], exec
	s_and_b64 s[18:19], s[22:23], exec
.LBB274_663:
	s_andn2_saveexec_b64 s[16:17], s[16:17]
	s_cbranch_execz .LBB274_703
; %bb.664:
	v_cmp_lt_i16_e64 s[4:5], 26, v9
                                        ; implicit-def: $vgpr6
	s_and_saveexec_b64 s[22:23], s[4:5]
	s_xor_b64 s[22:23], exec, s[22:23]
	s_cbranch_execz .LBB274_686
; %bb.665:
	v_cmp_lt_i16_e64 s[4:5], 27, v9
                                        ; implicit-def: $vgpr6
	s_and_saveexec_b64 s[24:25], s[4:5]
	s_xor_b64 s[24:25], exec, s[24:25]
	s_cbranch_execz .LBB274_675
; %bb.666:
	flat_load_dword v6, v[0:1]
	s_mov_b32 s4, 0x43f00000
	s_waitcnt vmcnt(0) lgkmcnt(0)
	v_cvt_f32_u32_e32 v19, v6
                                        ; implicit-def: $vgpr6
	v_cmp_gt_u32_e64 s[4:5], s4, v19
	s_and_saveexec_b64 s[26:27], s[4:5]
	s_xor_b64 s[26:27], exec, s[26:27]
	s_cbranch_execz .LBB274_672
; %bb.667:
	s_mov_b32 s4, 0x3c7fffff
	v_cmp_lt_u32_e64 s[4:5], s4, v19
                                        ; implicit-def: $vgpr6
	s_and_saveexec_b64 s[28:29], s[4:5]
	s_xor_b64 s[28:29], exec, s[28:29]
; %bb.668:
	v_bfe_u32 v6, v19, 20, 1
	s_mov_b32 s4, 0x407ffff
	v_add3_u32 v6, v19, v6, s4
	v_lshrrev_b32_e32 v19, 20, v6
	v_and_b32_e32 v6, 0xff00000, v6
	s_mov_b32 s4, 0x7f00000
	v_mov_b32_e32 v20, 0x7e
	v_cmp_ne_u32_e64 s[4:5], s4, v6
	v_cndmask_b32_e64 v6, v20, v19, s[4:5]
                                        ; implicit-def: $vgpr19
; %bb.669:
	s_andn2_saveexec_b64 s[4:5], s[28:29]
; %bb.670:
	v_add_f32_e32 v6, 0x46800000, v19
; %bb.671:
	s_or_b64 exec, exec, s[4:5]
                                        ; implicit-def: $vgpr19
.LBB274_672:
	s_andn2_saveexec_b64 s[26:27], s[26:27]
; %bb.673:
	s_mov_b32 s4, 0x7f800000
	v_mov_b32_e32 v6, 0x7e
	v_mov_b32_e32 v20, 0x7f
	v_cmp_lt_u32_e64 s[4:5], s4, v19
	v_cndmask_b32_e64 v6, v6, v20, s[4:5]
; %bb.674:
	s_or_b64 exec, exec, s[26:27]
.LBB274_675:
	s_andn2_saveexec_b64 s[24:25], s[24:25]
	s_cbranch_execz .LBB274_685
; %bb.676:
	flat_load_ushort v6, v[0:1]
	s_mov_b32 s4, 0x43f00000
	s_waitcnt vmcnt(0) lgkmcnt(0)
	v_cvt_f32_u32_e32 v19, v6
                                        ; implicit-def: $vgpr6
	v_cmp_gt_u32_e64 s[4:5], s4, v19
	s_and_saveexec_b64 s[26:27], s[4:5]
	s_xor_b64 s[26:27], exec, s[26:27]
	s_cbranch_execz .LBB274_682
; %bb.677:
	s_mov_b32 s4, 0x3c7fffff
	v_cmp_lt_u32_e64 s[4:5], s4, v19
                                        ; implicit-def: $vgpr6
	s_and_saveexec_b64 s[28:29], s[4:5]
	s_xor_b64 s[28:29], exec, s[28:29]
; %bb.678:
	v_bfe_u32 v6, v19, 20, 1
	s_mov_b32 s4, 0x407ffff
	v_add3_u32 v6, v19, v6, s4
	v_lshrrev_b32_e32 v19, 20, v6
	v_and_b32_e32 v6, 0xff00000, v6
	s_mov_b32 s4, 0x7f00000
	v_mov_b32_e32 v20, 0x7e
	v_cmp_ne_u32_e64 s[4:5], s4, v6
	v_cndmask_b32_e64 v6, v20, v19, s[4:5]
                                        ; implicit-def: $vgpr19
; %bb.679:
	s_andn2_saveexec_b64 s[4:5], s[28:29]
; %bb.680:
	v_add_f32_e32 v6, 0x46800000, v19
; %bb.681:
	s_or_b64 exec, exec, s[4:5]
                                        ; implicit-def: $vgpr19
.LBB274_682:
	s_andn2_saveexec_b64 s[26:27], s[26:27]
; %bb.683:
	s_mov_b32 s4, 0x7f800000
	v_mov_b32_e32 v6, 0x7e
	v_mov_b32_e32 v20, 0x7f
	v_cmp_lt_u32_e64 s[4:5], s4, v19
	v_cndmask_b32_e64 v6, v6, v20, s[4:5]
; %bb.684:
	s_or_b64 exec, exec, s[26:27]
.LBB274_685:
	s_or_b64 exec, exec, s[24:25]
.LBB274_686:
	s_andn2_saveexec_b64 s[22:23], s[22:23]
	s_cbranch_execz .LBB274_702
; %bb.687:
	flat_load_ubyte v19, v[0:1]
	s_movk_i32 s4, 0x7f
	s_mov_b64 s[24:25], 0
	s_waitcnt vmcnt(0) lgkmcnt(0)
	v_cmp_lt_i16_e64 s[4:5], s4, v19
	s_and_saveexec_b64 s[26:27], s[4:5]
	s_xor_b64 s[26:27], exec, s[26:27]
	s_cbranch_execz .LBB274_2428
; %bb.688:
	s_movk_i32 s4, 0x80
	v_cmp_eq_u16_e64 s[4:5], s4, v19
	s_mov_b64 s[24:25], -1
	s_and_saveexec_b64 s[28:29], s[4:5]
; %bb.689:
	s_xor_b64 s[24:25], exec, -1
; %bb.690:
	s_or_b64 exec, exec, s[28:29]
	s_and_b64 s[24:25], s[24:25], exec
	s_or_saveexec_b64 s[26:27], s[26:27]
	v_mov_b32_e32 v6, 0x7f800001
	s_xor_b64 exec, exec, s[26:27]
	s_cbranch_execnz .LBB274_2429
.LBB274_691:
	s_or_b64 exec, exec, s[26:27]
	s_and_saveexec_b64 s[26:27], s[24:25]
	s_cbranch_execz .LBB274_693
.LBB274_692:
	v_lshlrev_b32_e32 v6, 24, v19
	v_and_b32_e32 v19, 0xffff, v19
	v_and_b32_e32 v20, 7, v19
	v_ffbh_u32_e32 v22, v20
	v_min_u32_e32 v22, 32, v22
	v_subrev_u32_e32 v23, 28, v22
	v_bfe_u32 v21, v19, 3, 4
	v_lshlrev_b32_e32 v19, v23, v19
	v_sub_u32_e32 v22, 29, v22
	v_and_b32_e32 v19, 7, v19
	v_cmp_eq_u32_e64 s[4:5], 0, v21
	v_cndmask_b32_e64 v21, v21, v22, s[4:5]
	v_cndmask_b32_e64 v19, v20, v19, s[4:5]
	v_mov_b32_e32 v20, 0x3b800000
	v_lshlrev_b32_e32 v19, 20, v19
	v_and_b32_e32 v6, 0x80000000, v6
	v_lshl_add_u32 v20, v21, 23, v20
	v_or3_b32 v6, v6, v20, v19
.LBB274_693:
	s_or_b64 exec, exec, s[26:27]
	v_and_b32_e32 v20, 0x7fffffff, v6
	s_mov_b32 s4, 0x43f00000
	v_cmp_gt_u32_e64 s[4:5], s4, v20
                                        ; implicit-def: $vgpr19
	s_and_saveexec_b64 s[24:25], s[4:5]
	s_xor_b64 s[24:25], exec, s[24:25]
	s_cbranch_execz .LBB274_699
; %bb.694:
	s_mov_b32 s4, 0x3c7fffff
	v_cmp_lt_u32_e64 s[4:5], s4, v20
                                        ; implicit-def: $vgpr19
	s_and_saveexec_b64 s[26:27], s[4:5]
	s_xor_b64 s[26:27], exec, s[26:27]
; %bb.695:
	v_bfe_u32 v19, v6, 20, 1
	s_mov_b32 s4, 0x407ffff
	v_add3_u32 v19, v6, v19, s4
	v_lshrrev_b32_e32 v20, 20, v19
	v_and_b32_e32 v19, 0xff00000, v19
	s_mov_b32 s4, 0x7f00000
	v_mov_b32_e32 v21, 0x7e
	v_cmp_ne_u32_e64 s[4:5], s4, v19
	v_cndmask_b32_e64 v19, v21, v20, s[4:5]
; %bb.696:
	s_andn2_saveexec_b64 s[4:5], s[26:27]
; %bb.697:
	s_mov_b32 s26, 0x46800000
	v_add_f32_e64 v19, |v6|, s26
; %bb.698:
	s_or_b64 exec, exec, s[4:5]
                                        ; implicit-def: $vgpr20
.LBB274_699:
	s_andn2_saveexec_b64 s[24:25], s[24:25]
; %bb.700:
	s_mov_b32 s4, 0x7f800000
	v_mov_b32_e32 v19, 0x7e
	v_mov_b32_e32 v21, 0x7f
	v_cmp_lt_u32_e64 s[4:5], s4, v20
	v_cndmask_b32_e64 v19, v19, v21, s[4:5]
; %bb.701:
	s_or_b64 exec, exec, s[24:25]
	v_lshrrev_b32_e32 v6, 24, v6
	s_movk_i32 s4, 0x80
	v_and_or_b32 v6, v6, s4, v19
.LBB274_702:
	s_or_b64 exec, exec, s[22:23]
	s_or_b64 s[20:21], s[20:21], exec
.LBB274_703:
	s_or_b64 exec, exec, s[16:17]
	s_and_b64 s[16:17], s[20:21], exec
	s_and_b64 s[18:19], s[18:19], exec
	s_andn2_saveexec_b64 s[14:15], s[14:15]
	s_cbranch_execnz .LBB274_2232
.LBB274_704:
	s_or_b64 exec, exec, s[14:15]
	s_mov_b64 s[14:15], s[10:11]
	s_and_saveexec_b64 s[4:5], s[18:19]
	s_cbranch_execnz .LBB274_2281
.LBB274_705:
	s_or_b64 exec, exec, s[4:5]
	s_and_saveexec_b64 s[18:19], s[8:9]
	s_cbranch_execz .LBB274_715
.LBB274_706:
	flat_load_ubyte v0, v[0:1]
                                        ; implicit-def: $vgpr6
	s_waitcnt vmcnt(0) lgkmcnt(0)
	v_cmp_ne_u16_e64 s[4:5], 0, v0
	v_cndmask_b32_e64 v0, 0, 1.0, s[4:5]
	s_mov_b32 s4, 0x43f00000
	v_cmp_gt_u32_e64 s[4:5], s4, v0
	s_and_saveexec_b64 s[8:9], s[4:5]
	s_xor_b64 s[8:9], exec, s[8:9]
	s_cbranch_execz .LBB274_712
; %bb.707:
	s_mov_b32 s4, 0x3c7fffff
	v_cmp_lt_u32_e64 s[4:5], s4, v0
                                        ; implicit-def: $vgpr6
	s_and_saveexec_b64 s[20:21], s[4:5]
	s_xor_b64 s[20:21], exec, s[20:21]
; %bb.708:
	v_bfe_u32 v1, v0, 20, 1
	s_mov_b32 s4, 0x407ffff
	v_add3_u32 v0, v0, v1, s4
	v_lshrrev_b32_e32 v1, 20, v0
	v_and_b32_e32 v0, 0xff00000, v0
	s_mov_b32 s4, 0x7f00000
	v_mov_b32_e32 v6, 0x7e
	v_cmp_ne_u32_e64 s[4:5], s4, v0
	v_cndmask_b32_e64 v6, v6, v1, s[4:5]
                                        ; implicit-def: $vgpr0
; %bb.709:
	s_andn2_saveexec_b64 s[4:5], s[20:21]
; %bb.710:
	v_add_f32_e32 v6, 0x46800000, v0
; %bb.711:
	s_or_b64 exec, exec, s[4:5]
                                        ; implicit-def: $vgpr0
.LBB274_712:
	s_andn2_saveexec_b64 s[8:9], s[8:9]
; %bb.713:
	s_mov_b32 s4, 0x7f800000
	v_mov_b32_e32 v1, 0x7e
	v_mov_b32_e32 v6, 0x7f
	v_cmp_lt_u32_e64 s[4:5], s4, v0
	v_cndmask_b32_e64 v6, v1, v6, s[4:5]
; %bb.714:
	s_or_b64 exec, exec, s[8:9]
	s_or_b64 s[16:17], s[16:17], exec
.LBB274_715:
	s_or_b64 exec, exec, s[18:19]
	s_andn2_b64 s[4:5], s[10:11], exec
	s_and_b64 s[8:9], s[14:15], exec
	s_or_b64 s[14:15], s[4:5], s[8:9]
	s_and_b64 s[8:9], s[16:17], exec
                                        ; implicit-def: $vgpr0_vgpr1
.LBB274_716:
	s_andn2_saveexec_b64 s[6:7], s[6:7]
	s_cbranch_execz .LBB274_846
; %bb.717:
	v_cmp_lt_i16_e64 s[4:5], 4, v9
                                        ; implicit-def: $vgpr6
	s_and_saveexec_b64 s[16:17], s[4:5]
	s_xor_b64 s[16:17], exec, s[16:17]
	s_cbranch_execz .LBB274_787
; %bb.718:
	v_cmp_lt_i16_e64 s[4:5], 7, v9
                                        ; implicit-def: $vgpr6
	s_and_saveexec_b64 s[18:19], s[4:5]
	s_xor_b64 s[18:19], exec, s[18:19]
	;; [unrolled: 6-line block ×4, first 2 shown]
	s_cbranch_execz .LBB274_730
; %bb.721:
	flat_load_dwordx2 v[0:1], v[0:1]
	s_mov_b32 s4, 0x43f00000
	s_waitcnt vmcnt(0) lgkmcnt(0)
	v_cvt_f32_f64_e32 v0, v[0:1]
                                        ; implicit-def: $vgpr1
	v_and_b32_e32 v6, 0x7fffffff, v0
	v_cmp_gt_u32_e64 s[4:5], s4, v6
	s_and_saveexec_b64 s[24:25], s[4:5]
	s_xor_b64 s[24:25], exec, s[24:25]
	s_cbranch_execz .LBB274_727
; %bb.722:
	s_mov_b32 s4, 0x3c7fffff
	v_cmp_lt_u32_e64 s[4:5], s4, v6
                                        ; implicit-def: $vgpr1
	s_and_saveexec_b64 s[26:27], s[4:5]
	s_xor_b64 s[26:27], exec, s[26:27]
; %bb.723:
	v_bfe_u32 v1, v0, 20, 1
	s_mov_b32 s4, 0x407ffff
	v_add3_u32 v1, v0, v1, s4
	v_lshrrev_b32_e32 v6, 20, v1
	v_and_b32_e32 v1, 0xff00000, v1
	s_mov_b32 s4, 0x7f00000
	v_mov_b32_e32 v19, 0x7e
	v_cmp_ne_u32_e64 s[4:5], s4, v1
	v_cndmask_b32_e64 v1, v19, v6, s[4:5]
; %bb.724:
	s_andn2_saveexec_b64 s[4:5], s[26:27]
; %bb.725:
	s_mov_b32 s26, 0x46800000
	v_add_f32_e64 v1, |v0|, s26
; %bb.726:
	s_or_b64 exec, exec, s[4:5]
                                        ; implicit-def: $vgpr6
.LBB274_727:
	s_andn2_saveexec_b64 s[24:25], s[24:25]
; %bb.728:
	s_mov_b32 s4, 0x7f800000
	v_mov_b32_e32 v1, 0x7e
	v_mov_b32_e32 v19, 0x7f
	v_cmp_lt_u32_e64 s[4:5], s4, v6
	v_cndmask_b32_e64 v1, v1, v19, s[4:5]
; %bb.729:
	s_or_b64 exec, exec, s[24:25]
	v_lshrrev_b32_e32 v0, 24, v0
	s_movk_i32 s4, 0x80
	v_and_or_b32 v6, v0, s4, v1
                                        ; implicit-def: $vgpr0_vgpr1
.LBB274_730:
	s_andn2_saveexec_b64 s[22:23], s[22:23]
	s_cbranch_execz .LBB274_740
; %bb.731:
	flat_load_dword v0, v[0:1]
	s_mov_b32 s4, 0x43f00000
                                        ; implicit-def: $vgpr1
	s_waitcnt vmcnt(0) lgkmcnt(0)
	v_and_b32_e32 v6, 0x7fffffff, v0
	v_cmp_gt_u32_e64 s[4:5], s4, v6
	s_and_saveexec_b64 s[24:25], s[4:5]
	s_xor_b64 s[24:25], exec, s[24:25]
	s_cbranch_execz .LBB274_737
; %bb.732:
	s_mov_b32 s4, 0x3c7fffff
	v_cmp_lt_u32_e64 s[4:5], s4, v6
                                        ; implicit-def: $vgpr1
	s_and_saveexec_b64 s[26:27], s[4:5]
	s_xor_b64 s[26:27], exec, s[26:27]
; %bb.733:
	v_bfe_u32 v1, v0, 20, 1
	s_mov_b32 s4, 0x407ffff
	v_add3_u32 v1, v0, v1, s4
	v_lshrrev_b32_e32 v6, 20, v1
	v_and_b32_e32 v1, 0xff00000, v1
	s_mov_b32 s4, 0x7f00000
	v_mov_b32_e32 v19, 0x7e
	v_cmp_ne_u32_e64 s[4:5], s4, v1
	v_cndmask_b32_e64 v1, v19, v6, s[4:5]
; %bb.734:
	s_andn2_saveexec_b64 s[4:5], s[26:27]
; %bb.735:
	s_mov_b32 s26, 0x46800000
	v_add_f32_e64 v1, |v0|, s26
; %bb.736:
	s_or_b64 exec, exec, s[4:5]
                                        ; implicit-def: $vgpr6
.LBB274_737:
	s_andn2_saveexec_b64 s[24:25], s[24:25]
; %bb.738:
	s_mov_b32 s4, 0x7f800000
	v_mov_b32_e32 v1, 0x7e
	v_mov_b32_e32 v19, 0x7f
	v_cmp_lt_u32_e64 s[4:5], s4, v6
	v_cndmask_b32_e64 v1, v1, v19, s[4:5]
; %bb.739:
	s_or_b64 exec, exec, s[24:25]
	v_lshrrev_b32_e32 v0, 24, v0
	s_movk_i32 s4, 0x80
	v_and_or_b32 v6, v0, s4, v1
.LBB274_740:
	s_or_b64 exec, exec, s[22:23]
                                        ; implicit-def: $vgpr0_vgpr1
.LBB274_741:
	s_andn2_saveexec_b64 s[20:21], s[20:21]
	s_cbranch_execz .LBB274_751
; %bb.742:
	flat_load_dword v0, v[0:1]
	s_mov_b32 s4, 0x43f00000
                                        ; implicit-def: $vgpr1
	s_waitcnt vmcnt(0) lgkmcnt(0)
	v_cvt_f32_f16_e32 v0, v0
	v_and_b32_e32 v6, 0x7fffffff, v0
	v_cmp_gt_u32_e64 s[4:5], s4, v6
	s_and_saveexec_b64 s[22:23], s[4:5]
	s_xor_b64 s[22:23], exec, s[22:23]
	s_cbranch_execz .LBB274_748
; %bb.743:
	s_mov_b32 s4, 0x3c7fffff
	v_cmp_lt_u32_e64 s[4:5], s4, v6
                                        ; implicit-def: $vgpr1
	s_and_saveexec_b64 s[24:25], s[4:5]
	s_xor_b64 s[24:25], exec, s[24:25]
; %bb.744:
	v_bfe_u32 v1, v0, 20, 1
	s_mov_b32 s4, 0x407ffff
	v_add3_u32 v1, v0, v1, s4
	v_lshrrev_b32_e32 v6, 20, v1
	v_and_b32_e32 v1, 0xff00000, v1
	s_mov_b32 s4, 0x7f00000
	v_mov_b32_e32 v19, 0x7e
	v_cmp_ne_u32_e64 s[4:5], s4, v1
	v_cndmask_b32_e64 v1, v19, v6, s[4:5]
; %bb.745:
	s_andn2_saveexec_b64 s[4:5], s[24:25]
; %bb.746:
	s_mov_b32 s24, 0x46800000
	v_add_f32_e64 v1, |v0|, s24
; %bb.747:
	s_or_b64 exec, exec, s[4:5]
                                        ; implicit-def: $vgpr6
.LBB274_748:
	s_andn2_saveexec_b64 s[22:23], s[22:23]
; %bb.749:
	s_mov_b32 s4, 0x7f800000
	v_mov_b32_e32 v1, 0x7e
	v_mov_b32_e32 v19, 0x7f
	v_cmp_lt_u32_e64 s[4:5], s4, v6
	v_cndmask_b32_e64 v1, v1, v19, s[4:5]
; %bb.750:
	s_or_b64 exec, exec, s[22:23]
	v_lshrrev_b32_e32 v0, 24, v0
	s_movk_i32 s4, 0x80
	v_and_or_b32 v6, v0, s4, v1
.LBB274_751:
	s_or_b64 exec, exec, s[20:21]
                                        ; implicit-def: $vgpr0_vgpr1
.LBB274_752:
	s_andn2_saveexec_b64 s[18:19], s[18:19]
	s_cbranch_execz .LBB274_786
; %bb.753:
	v_cmp_lt_i16_e64 s[4:5], 5, v9
                                        ; implicit-def: $vgpr6
	s_and_saveexec_b64 s[20:21], s[4:5]
	s_xor_b64 s[20:21], exec, s[20:21]
	s_cbranch_execz .LBB274_775
; %bb.754:
	v_cmp_lt_i16_e64 s[4:5], 6, v9
                                        ; implicit-def: $vgpr6
	s_and_saveexec_b64 s[22:23], s[4:5]
	s_xor_b64 s[22:23], exec, s[22:23]
	s_cbranch_execz .LBB274_764
; %bb.755:
	flat_load_dwordx2 v[0:1], v[0:1]
	s_mov_b32 s4, 0x43f00000
	s_waitcnt vmcnt(0) lgkmcnt(0)
	v_cvt_f32_f64_e32 v0, v[0:1]
                                        ; implicit-def: $vgpr1
	v_and_b32_e32 v6, 0x7fffffff, v0
	v_cmp_gt_u32_e64 s[4:5], s4, v6
	s_and_saveexec_b64 s[24:25], s[4:5]
	s_xor_b64 s[24:25], exec, s[24:25]
	s_cbranch_execz .LBB274_761
; %bb.756:
	s_mov_b32 s4, 0x3c7fffff
	v_cmp_lt_u32_e64 s[4:5], s4, v6
                                        ; implicit-def: $vgpr1
	s_and_saveexec_b64 s[26:27], s[4:5]
	s_xor_b64 s[26:27], exec, s[26:27]
; %bb.757:
	v_bfe_u32 v1, v0, 20, 1
	s_mov_b32 s4, 0x407ffff
	v_add3_u32 v1, v0, v1, s4
	v_lshrrev_b32_e32 v6, 20, v1
	v_and_b32_e32 v1, 0xff00000, v1
	s_mov_b32 s4, 0x7f00000
	v_mov_b32_e32 v19, 0x7e
	v_cmp_ne_u32_e64 s[4:5], s4, v1
	v_cndmask_b32_e64 v1, v19, v6, s[4:5]
; %bb.758:
	s_andn2_saveexec_b64 s[4:5], s[26:27]
; %bb.759:
	s_mov_b32 s26, 0x46800000
	v_add_f32_e64 v1, |v0|, s26
; %bb.760:
	s_or_b64 exec, exec, s[4:5]
                                        ; implicit-def: $vgpr6
.LBB274_761:
	s_andn2_saveexec_b64 s[24:25], s[24:25]
; %bb.762:
	s_mov_b32 s4, 0x7f800000
	v_mov_b32_e32 v1, 0x7e
	v_mov_b32_e32 v19, 0x7f
	v_cmp_lt_u32_e64 s[4:5], s4, v6
	v_cndmask_b32_e64 v1, v1, v19, s[4:5]
; %bb.763:
	s_or_b64 exec, exec, s[24:25]
	v_lshrrev_b32_e32 v0, 24, v0
	s_movk_i32 s4, 0x80
	v_and_or_b32 v6, v0, s4, v1
                                        ; implicit-def: $vgpr0_vgpr1
.LBB274_764:
	s_andn2_saveexec_b64 s[22:23], s[22:23]
	s_cbranch_execz .LBB274_774
; %bb.765:
	flat_load_dword v0, v[0:1]
	s_mov_b32 s4, 0x43f00000
                                        ; implicit-def: $vgpr1
	s_waitcnt vmcnt(0) lgkmcnt(0)
	v_and_b32_e32 v6, 0x7fffffff, v0
	v_cmp_gt_u32_e64 s[4:5], s4, v6
	s_and_saveexec_b64 s[24:25], s[4:5]
	s_xor_b64 s[24:25], exec, s[24:25]
	s_cbranch_execz .LBB274_771
; %bb.766:
	s_mov_b32 s4, 0x3c7fffff
	v_cmp_lt_u32_e64 s[4:5], s4, v6
                                        ; implicit-def: $vgpr1
	s_and_saveexec_b64 s[26:27], s[4:5]
	s_xor_b64 s[26:27], exec, s[26:27]
; %bb.767:
	v_bfe_u32 v1, v0, 20, 1
	s_mov_b32 s4, 0x407ffff
	v_add3_u32 v1, v0, v1, s4
	v_lshrrev_b32_e32 v6, 20, v1
	v_and_b32_e32 v1, 0xff00000, v1
	s_mov_b32 s4, 0x7f00000
	v_mov_b32_e32 v19, 0x7e
	v_cmp_ne_u32_e64 s[4:5], s4, v1
	v_cndmask_b32_e64 v1, v19, v6, s[4:5]
; %bb.768:
	s_andn2_saveexec_b64 s[4:5], s[26:27]
; %bb.769:
	s_mov_b32 s26, 0x46800000
	v_add_f32_e64 v1, |v0|, s26
; %bb.770:
	s_or_b64 exec, exec, s[4:5]
                                        ; implicit-def: $vgpr6
.LBB274_771:
	s_andn2_saveexec_b64 s[24:25], s[24:25]
; %bb.772:
	s_mov_b32 s4, 0x7f800000
	v_mov_b32_e32 v1, 0x7e
	v_mov_b32_e32 v19, 0x7f
	v_cmp_lt_u32_e64 s[4:5], s4, v6
	v_cndmask_b32_e64 v1, v1, v19, s[4:5]
; %bb.773:
	s_or_b64 exec, exec, s[24:25]
	v_lshrrev_b32_e32 v0, 24, v0
	s_movk_i32 s4, 0x80
	v_and_or_b32 v6, v0, s4, v1
.LBB274_774:
	s_or_b64 exec, exec, s[22:23]
                                        ; implicit-def: $vgpr0_vgpr1
.LBB274_775:
	s_andn2_saveexec_b64 s[20:21], s[20:21]
	s_cbranch_execz .LBB274_785
; %bb.776:
	flat_load_ushort v0, v[0:1]
	s_mov_b32 s4, 0x43f00000
                                        ; implicit-def: $vgpr1
	s_waitcnt vmcnt(0) lgkmcnt(0)
	v_cvt_f32_f16_e32 v0, v0
	v_and_b32_e32 v6, 0x7fffffff, v0
	v_cmp_gt_u32_e64 s[4:5], s4, v6
	s_and_saveexec_b64 s[22:23], s[4:5]
	s_xor_b64 s[22:23], exec, s[22:23]
	s_cbranch_execz .LBB274_782
; %bb.777:
	s_mov_b32 s4, 0x3c7fffff
	v_cmp_lt_u32_e64 s[4:5], s4, v6
                                        ; implicit-def: $vgpr1
	s_and_saveexec_b64 s[24:25], s[4:5]
	s_xor_b64 s[24:25], exec, s[24:25]
; %bb.778:
	v_bfe_u32 v1, v0, 20, 1
	s_mov_b32 s4, 0x407ffff
	v_add3_u32 v1, v0, v1, s4
	v_lshrrev_b32_e32 v6, 20, v1
	v_and_b32_e32 v1, 0xff00000, v1
	s_mov_b32 s4, 0x7f00000
	v_mov_b32_e32 v19, 0x7e
	v_cmp_ne_u32_e64 s[4:5], s4, v1
	v_cndmask_b32_e64 v1, v19, v6, s[4:5]
; %bb.779:
	s_andn2_saveexec_b64 s[4:5], s[24:25]
; %bb.780:
	s_mov_b32 s24, 0x46800000
	v_add_f32_e64 v1, |v0|, s24
; %bb.781:
	s_or_b64 exec, exec, s[4:5]
                                        ; implicit-def: $vgpr6
.LBB274_782:
	s_andn2_saveexec_b64 s[22:23], s[22:23]
; %bb.783:
	s_mov_b32 s4, 0x7f800000
	v_mov_b32_e32 v1, 0x7e
	v_mov_b32_e32 v19, 0x7f
	v_cmp_lt_u32_e64 s[4:5], s4, v6
	v_cndmask_b32_e64 v1, v1, v19, s[4:5]
; %bb.784:
	s_or_b64 exec, exec, s[22:23]
	v_lshrrev_b32_e32 v0, 24, v0
	s_movk_i32 s4, 0x80
	v_and_or_b32 v6, v0, s4, v1
.LBB274_785:
	s_or_b64 exec, exec, s[20:21]
.LBB274_786:
	s_or_b64 exec, exec, s[18:19]
                                        ; implicit-def: $vgpr0_vgpr1
.LBB274_787:
	s_andn2_saveexec_b64 s[16:17], s[16:17]
	s_cbranch_execz .LBB274_845
; %bb.788:
	v_cmp_lt_i16_e64 s[4:5], 1, v9
                                        ; implicit-def: $vgpr6
	s_and_saveexec_b64 s[18:19], s[4:5]
	s_xor_b64 s[18:19], exec, s[18:19]
	s_cbranch_execz .LBB274_822
; %bb.789:
	v_cmp_lt_i16_e64 s[4:5], 2, v9
                                        ; implicit-def: $vgpr6
	s_and_saveexec_b64 s[20:21], s[4:5]
	s_xor_b64 s[20:21], exec, s[20:21]
	;; [unrolled: 6-line block ×3, first 2 shown]
	s_cbranch_execz .LBB274_800
; %bb.791:
	flat_load_dwordx2 v[0:1], v[0:1]
	s_mov_b32 s4, 0x43f00000
	s_waitcnt vmcnt(0) lgkmcnt(0)
	v_xor_b32_e32 v19, v0, v1
	v_ffbh_i32_e32 v6, v1
	v_ashrrev_i32_e32 v19, 31, v19
	v_add_u32_e32 v6, -1, v6
	v_add_u32_e32 v19, 32, v19
	v_min_u32_e32 v6, v6, v19
	v_lshlrev_b64 v[0:1], v6, v[0:1]
	v_min_u32_e32 v0, 1, v0
	v_or_b32_e32 v0, v1, v0
	v_cvt_f32_i32_e32 v0, v0
	v_sub_u32_e32 v1, 32, v6
	v_ldexp_f32 v0, v0, v1
	v_and_b32_e32 v6, 0x7fffffff, v0
	v_cmp_gt_u32_e64 s[4:5], s4, v6
                                        ; implicit-def: $vgpr1
	s_and_saveexec_b64 s[24:25], s[4:5]
	s_xor_b64 s[24:25], exec, s[24:25]
	s_cbranch_execz .LBB274_797
; %bb.792:
	s_mov_b32 s4, 0x3c7fffff
	v_cmp_lt_u32_e64 s[4:5], s4, v6
                                        ; implicit-def: $vgpr1
	s_and_saveexec_b64 s[26:27], s[4:5]
	s_xor_b64 s[26:27], exec, s[26:27]
; %bb.793:
	v_bfe_u32 v1, v0, 20, 1
	s_mov_b32 s4, 0x407ffff
	v_add3_u32 v1, v0, v1, s4
	v_lshrrev_b32_e32 v6, 20, v1
	v_and_b32_e32 v1, 0xff00000, v1
	s_mov_b32 s4, 0x7f00000
	v_mov_b32_e32 v19, 0x7e
	v_cmp_ne_u32_e64 s[4:5], s4, v1
	v_cndmask_b32_e64 v1, v19, v6, s[4:5]
; %bb.794:
	s_andn2_saveexec_b64 s[4:5], s[26:27]
; %bb.795:
	s_mov_b32 s26, 0x46800000
	v_add_f32_e64 v1, |v0|, s26
; %bb.796:
	s_or_b64 exec, exec, s[4:5]
                                        ; implicit-def: $vgpr6
.LBB274_797:
	s_andn2_saveexec_b64 s[24:25], s[24:25]
; %bb.798:
	s_mov_b32 s4, 0x7f800000
	v_mov_b32_e32 v1, 0x7e
	v_mov_b32_e32 v19, 0x7f
	v_cmp_lt_u32_e64 s[4:5], s4, v6
	v_cndmask_b32_e64 v1, v1, v19, s[4:5]
; %bb.799:
	s_or_b64 exec, exec, s[24:25]
	v_lshrrev_b32_e32 v0, 24, v0
	s_movk_i32 s4, 0x80
	v_and_or_b32 v6, v0, s4, v1
                                        ; implicit-def: $vgpr0_vgpr1
.LBB274_800:
	s_andn2_saveexec_b64 s[22:23], s[22:23]
	s_cbranch_execz .LBB274_810
; %bb.801:
	flat_load_dword v0, v[0:1]
	s_mov_b32 s4, 0x43f00000
                                        ; implicit-def: $vgpr1
	s_waitcnt vmcnt(0) lgkmcnt(0)
	v_cvt_f32_i32_e32 v0, v0
	v_and_b32_e32 v6, 0x7fffffff, v0
	v_cmp_gt_u32_e64 s[4:5], s4, v6
	s_and_saveexec_b64 s[24:25], s[4:5]
	s_xor_b64 s[24:25], exec, s[24:25]
	s_cbranch_execz .LBB274_807
; %bb.802:
	s_mov_b32 s4, 0x3c7fffff
	v_cmp_lt_u32_e64 s[4:5], s4, v6
                                        ; implicit-def: $vgpr1
	s_and_saveexec_b64 s[26:27], s[4:5]
	s_xor_b64 s[26:27], exec, s[26:27]
; %bb.803:
	v_bfe_u32 v1, v0, 20, 1
	s_mov_b32 s4, 0x407ffff
	v_add3_u32 v1, v0, v1, s4
	v_lshrrev_b32_e32 v6, 20, v1
	v_and_b32_e32 v1, 0xff00000, v1
	s_mov_b32 s4, 0x7f00000
	v_mov_b32_e32 v19, 0x7e
	v_cmp_ne_u32_e64 s[4:5], s4, v1
	v_cndmask_b32_e64 v1, v19, v6, s[4:5]
; %bb.804:
	s_andn2_saveexec_b64 s[4:5], s[26:27]
; %bb.805:
	s_mov_b32 s26, 0x46800000
	v_add_f32_e64 v1, |v0|, s26
; %bb.806:
	s_or_b64 exec, exec, s[4:5]
                                        ; implicit-def: $vgpr6
.LBB274_807:
	s_andn2_saveexec_b64 s[24:25], s[24:25]
; %bb.808:
	s_mov_b32 s4, 0x7f800000
	v_mov_b32_e32 v1, 0x7e
	v_mov_b32_e32 v19, 0x7f
	v_cmp_lt_u32_e64 s[4:5], s4, v6
	v_cndmask_b32_e64 v1, v1, v19, s[4:5]
; %bb.809:
	s_or_b64 exec, exec, s[24:25]
	v_lshrrev_b32_e32 v0, 24, v0
	s_movk_i32 s4, 0x80
	v_and_or_b32 v6, v0, s4, v1
.LBB274_810:
	s_or_b64 exec, exec, s[22:23]
                                        ; implicit-def: $vgpr0_vgpr1
.LBB274_811:
	s_andn2_saveexec_b64 s[20:21], s[20:21]
	s_cbranch_execz .LBB274_821
; %bb.812:
	flat_load_sshort v0, v[0:1]
	s_mov_b32 s4, 0x43f00000
                                        ; implicit-def: $vgpr1
	s_waitcnt vmcnt(0) lgkmcnt(0)
	v_cvt_f32_i32_e32 v0, v0
	v_and_b32_e32 v6, 0x7fffffff, v0
	v_cmp_gt_u32_e64 s[4:5], s4, v6
	s_and_saveexec_b64 s[22:23], s[4:5]
	s_xor_b64 s[22:23], exec, s[22:23]
	s_cbranch_execz .LBB274_818
; %bb.813:
	s_mov_b32 s4, 0x3c7fffff
	v_cmp_lt_u32_e64 s[4:5], s4, v6
                                        ; implicit-def: $vgpr1
	s_and_saveexec_b64 s[24:25], s[4:5]
	s_xor_b64 s[24:25], exec, s[24:25]
; %bb.814:
	v_bfe_u32 v1, v0, 20, 1
	s_mov_b32 s4, 0x407ffff
	v_add3_u32 v1, v0, v1, s4
	v_lshrrev_b32_e32 v6, 20, v1
	v_and_b32_e32 v1, 0xff00000, v1
	s_mov_b32 s4, 0x7f00000
	v_mov_b32_e32 v19, 0x7e
	v_cmp_ne_u32_e64 s[4:5], s4, v1
	v_cndmask_b32_e64 v1, v19, v6, s[4:5]
; %bb.815:
	s_andn2_saveexec_b64 s[4:5], s[24:25]
; %bb.816:
	s_mov_b32 s24, 0x46800000
	v_add_f32_e64 v1, |v0|, s24
; %bb.817:
	s_or_b64 exec, exec, s[4:5]
                                        ; implicit-def: $vgpr6
.LBB274_818:
	s_andn2_saveexec_b64 s[22:23], s[22:23]
; %bb.819:
	s_mov_b32 s4, 0x7f800000
	v_mov_b32_e32 v1, 0x7e
	v_mov_b32_e32 v19, 0x7f
	v_cmp_lt_u32_e64 s[4:5], s4, v6
	v_cndmask_b32_e64 v1, v1, v19, s[4:5]
; %bb.820:
	s_or_b64 exec, exec, s[22:23]
	v_lshrrev_b32_e32 v0, 24, v0
	s_movk_i32 s4, 0x80
	v_and_or_b32 v6, v0, s4, v1
.LBB274_821:
	s_or_b64 exec, exec, s[20:21]
                                        ; implicit-def: $vgpr0_vgpr1
.LBB274_822:
	s_andn2_saveexec_b64 s[18:19], s[18:19]
	s_cbranch_execz .LBB274_844
; %bb.823:
	v_cmp_lt_i16_e64 s[4:5], 0, v9
                                        ; implicit-def: $vgpr6
	s_and_saveexec_b64 s[20:21], s[4:5]
	s_xor_b64 s[20:21], exec, s[20:21]
	s_cbranch_execz .LBB274_833
; %bb.824:
	flat_load_sbyte v0, v[0:1]
	s_mov_b32 s4, 0x43f00000
                                        ; implicit-def: $vgpr1
	s_waitcnt vmcnt(0) lgkmcnt(0)
	v_cvt_f32_i32_e32 v0, v0
	v_and_b32_e32 v6, 0x7fffffff, v0
	v_cmp_gt_u32_e64 s[4:5], s4, v6
	s_and_saveexec_b64 s[22:23], s[4:5]
	s_xor_b64 s[22:23], exec, s[22:23]
	s_cbranch_execz .LBB274_830
; %bb.825:
	s_mov_b32 s4, 0x3c7fffff
	v_cmp_lt_u32_e64 s[4:5], s4, v6
                                        ; implicit-def: $vgpr1
	s_and_saveexec_b64 s[24:25], s[4:5]
	s_xor_b64 s[24:25], exec, s[24:25]
; %bb.826:
	v_bfe_u32 v1, v0, 20, 1
	s_mov_b32 s4, 0x407ffff
	v_add3_u32 v1, v0, v1, s4
	v_lshrrev_b32_e32 v6, 20, v1
	v_and_b32_e32 v1, 0xff00000, v1
	s_mov_b32 s4, 0x7f00000
	v_mov_b32_e32 v19, 0x7e
	v_cmp_ne_u32_e64 s[4:5], s4, v1
	v_cndmask_b32_e64 v1, v19, v6, s[4:5]
; %bb.827:
	s_andn2_saveexec_b64 s[4:5], s[24:25]
; %bb.828:
	s_mov_b32 s24, 0x46800000
	v_add_f32_e64 v1, |v0|, s24
; %bb.829:
	s_or_b64 exec, exec, s[4:5]
                                        ; implicit-def: $vgpr6
.LBB274_830:
	s_andn2_saveexec_b64 s[22:23], s[22:23]
; %bb.831:
	s_mov_b32 s4, 0x7f800000
	v_mov_b32_e32 v1, 0x7e
	v_mov_b32_e32 v19, 0x7f
	v_cmp_lt_u32_e64 s[4:5], s4, v6
	v_cndmask_b32_e64 v1, v1, v19, s[4:5]
; %bb.832:
	s_or_b64 exec, exec, s[22:23]
	v_lshrrev_b32_e32 v0, 24, v0
	s_movk_i32 s4, 0x80
	v_and_or_b32 v6, v0, s4, v1
                                        ; implicit-def: $vgpr0_vgpr1
.LBB274_833:
	s_andn2_saveexec_b64 s[20:21], s[20:21]
	s_cbranch_execz .LBB274_843
; %bb.834:
	flat_load_ubyte v0, v[0:1]
	s_mov_b32 s4, 0x43f00000
                                        ; implicit-def: $vgpr6
	s_waitcnt vmcnt(0) lgkmcnt(0)
	v_cvt_f32_ubyte0_e32 v0, v0
	v_cmp_gt_u32_e64 s[4:5], s4, v0
	s_and_saveexec_b64 s[22:23], s[4:5]
	s_xor_b64 s[22:23], exec, s[22:23]
	s_cbranch_execz .LBB274_840
; %bb.835:
	s_mov_b32 s4, 0x3c7fffff
	v_cmp_lt_u32_e64 s[4:5], s4, v0
                                        ; implicit-def: $vgpr6
	s_and_saveexec_b64 s[24:25], s[4:5]
	s_xor_b64 s[24:25], exec, s[24:25]
; %bb.836:
	v_bfe_u32 v1, v0, 20, 1
	s_mov_b32 s4, 0x407ffff
	v_add3_u32 v0, v0, v1, s4
	v_lshrrev_b32_e32 v1, 20, v0
	v_and_b32_e32 v0, 0xff00000, v0
	s_mov_b32 s4, 0x7f00000
	v_mov_b32_e32 v6, 0x7e
	v_cmp_ne_u32_e64 s[4:5], s4, v0
	v_cndmask_b32_e64 v6, v6, v1, s[4:5]
                                        ; implicit-def: $vgpr0
; %bb.837:
	s_andn2_saveexec_b64 s[4:5], s[24:25]
; %bb.838:
	v_add_f32_e32 v6, 0x46800000, v0
; %bb.839:
	s_or_b64 exec, exec, s[4:5]
                                        ; implicit-def: $vgpr0
.LBB274_840:
	s_andn2_saveexec_b64 s[22:23], s[22:23]
; %bb.841:
	s_mov_b32 s4, 0x7f800000
	v_mov_b32_e32 v1, 0x7e
	v_mov_b32_e32 v6, 0x7f
	v_cmp_lt_u32_e64 s[4:5], s4, v0
	v_cndmask_b32_e64 v6, v1, v6, s[4:5]
; %bb.842:
	s_or_b64 exec, exec, s[22:23]
.LBB274_843:
	s_or_b64 exec, exec, s[20:21]
.LBB274_844:
	s_or_b64 exec, exec, s[18:19]
.LBB274_845:
	s_or_b64 exec, exec, s[16:17]
	s_or_b64 s[8:9], s[8:9], exec
.LBB274_846:
	s_or_b64 exec, exec, s[6:7]
	s_mov_b64 s[4:5], 0
	s_mov_b64 s[20:21], 0
                                        ; implicit-def: $sgpr6_sgpr7
                                        ; implicit-def: $vgpr0_vgpr1
                                        ; implicit-def: $vgpr21
	s_and_saveexec_b64 s[16:17], s[8:9]
	s_cbranch_execz .LBB274_2050
; %bb.847:
	v_lshlrev_b32_e32 v19, 7, v8
	v_add_u32_e32 v20, v15, v19
	v_ashrrev_i32_e32 v1, 31, v20
	v_add_co_u32_e64 v0, s[4:5], v13, v20
	v_addc_co_u32_e64 v1, s[4:5], v14, v1, s[4:5]
	v_cmp_lt_i16_e64 s[4:5], 10, v10
	s_mov_b64 s[8:9], 0
	s_mov_b64 s[18:19], s[14:15]
                                        ; implicit-def: $vgpr8
	s_and_saveexec_b64 s[6:7], s[4:5]
	s_xor_b64 s[6:7], exec, s[6:7]
	s_cbranch_execz .LBB274_942
; %bb.848:
	v_cmp_lt_i16_e64 s[4:5], 25, v10
	s_mov_b64 s[22:23], 0
                                        ; implicit-def: $vgpr8
	s_and_saveexec_b64 s[18:19], s[4:5]
	s_xor_b64 s[18:19], exec, s[18:19]
	s_cbranch_execz .LBB274_2324
; %bb.849:
	v_cmp_lt_i16_e64 s[4:5], 28, v10
	s_mov_b64 s[24:25], 0
                                        ; implicit-def: $vgpr8
	s_and_saveexec_b64 s[20:21], s[4:5]
	s_xor_b64 s[20:21], exec, s[20:21]
	s_cbranch_execz .LBB274_889
; %bb.850:
	v_cmp_lt_i16_e64 s[4:5], 43, v10
	s_mov_b64 s[26:27], 0
	s_mov_b64 s[28:29], 0
                                        ; implicit-def: $vgpr8
	s_and_saveexec_b64 s[22:23], s[4:5]
	s_xor_b64 s[22:23], exec, s[22:23]
	s_cbranch_execz .LBB274_876
; %bb.851:
	v_cmp_lt_i16_e64 s[4:5], 45, v10
                                        ; implicit-def: $vgpr8
	s_and_saveexec_b64 s[28:29], s[4:5]
	s_xor_b64 s[28:29], exec, s[28:29]
	s_cbranch_execz .LBB274_863
; %bb.852:
	v_cmp_eq_u16_e64 s[4:5], 46, v10
	s_mov_b64 s[30:31], -1
                                        ; implicit-def: $vgpr8
	s_and_saveexec_b64 s[24:25], s[4:5]
	s_cbranch_execz .LBB274_862
; %bb.853:
	flat_load_dword v8, v[0:1]
	s_mov_b32 s4, 0x43f00000
                                        ; implicit-def: $vgpr15
	s_waitcnt vmcnt(0) lgkmcnt(0)
	v_lshlrev_b32_e32 v8, 16, v8
	v_and_b32_e32 v21, 0x7fffffff, v8
	v_cmp_gt_u32_e64 s[4:5], s4, v21
	s_and_saveexec_b64 s[26:27], s[4:5]
	s_xor_b64 s[26:27], exec, s[26:27]
	s_cbranch_execz .LBB274_859
; %bb.854:
	s_mov_b32 s4, 0x3c7fffff
	v_cmp_lt_u32_e64 s[4:5], s4, v21
                                        ; implicit-def: $vgpr15
	s_and_saveexec_b64 s[30:31], s[4:5]
	s_xor_b64 s[30:31], exec, s[30:31]
; %bb.855:
	v_bfe_u32 v15, v8, 20, 1
	s_mov_b32 s4, 0x407ffff
	v_add3_u32 v15, v8, v15, s4
	v_lshrrev_b32_e32 v21, 20, v15
	v_and_b32_e32 v15, 0xff00000, v15
	s_mov_b32 s4, 0x7f00000
	v_mov_b32_e32 v22, 0x7e
	v_cmp_ne_u32_e64 s[4:5], s4, v15
	v_cndmask_b32_e64 v15, v22, v21, s[4:5]
; %bb.856:
	s_andn2_saveexec_b64 s[4:5], s[30:31]
; %bb.857:
	s_mov_b32 s30, 0x46800000
	v_add_f32_e64 v15, |v8|, s30
; %bb.858:
	s_or_b64 exec, exec, s[4:5]
                                        ; implicit-def: $vgpr21
.LBB274_859:
	s_andn2_saveexec_b64 s[26:27], s[26:27]
; %bb.860:
	s_mov_b32 s4, 0x7f800000
	v_mov_b32_e32 v15, 0x7e
	v_mov_b32_e32 v22, 0x7f
	v_cmp_lt_u32_e64 s[4:5], s4, v21
	v_cndmask_b32_e64 v15, v15, v22, s[4:5]
; %bb.861:
	s_or_b64 exec, exec, s[26:27]
	v_lshrrev_b32_e32 v8, 24, v8
	s_movk_i32 s4, 0x80
	s_mov_b64 s[26:27], exec
	v_and_or_b32 v8, v8, s4, v15
	s_xor_b64 s[30:31], exec, -1
.LBB274_862:
	s_or_b64 exec, exec, s[24:25]
	s_and_b64 s[26:27], s[26:27], exec
	s_and_b64 s[24:25], s[30:31], exec
.LBB274_863:
	s_andn2_saveexec_b64 s[28:29], s[28:29]
	s_cbranch_execz .LBB274_875
; %bb.864:
	v_cmp_eq_u16_e64 s[4:5], 44, v10
	s_mov_b64 s[38:39], -1
	s_mov_b64 s[40:41], s[26:27]
                                        ; implicit-def: $vgpr8
	s_and_saveexec_b64 s[30:31], s[4:5]
	s_cbranch_execz .LBB274_874
; %bb.865:
	flat_load_ubyte v8, v[0:1]
	s_movk_i32 s4, 0xff
	v_mov_b32_e32 v15, 0x7f800001
	v_mov_b32_e32 v21, 0x400000
	s_waitcnt vmcnt(0) lgkmcnt(0)
	v_lshlrev_b32_e32 v22, 23, v8
	v_cmp_ne_u32_e64 s[4:5], s4, v8
	v_cndmask_b32_e64 v15, v15, v22, s[4:5]
	v_cmp_ne_u32_e64 s[4:5], 0, v8
	v_cndmask_b32_e64 v15, v21, v15, s[4:5]
	s_mov_b32 s4, 0x43f00000
	v_cmp_gt_u32_e64 s[4:5], s4, v15
                                        ; implicit-def: $vgpr8
	s_and_saveexec_b64 s[38:39], s[4:5]
	s_xor_b64 s[38:39], exec, s[38:39]
	s_cbranch_execz .LBB274_871
; %bb.866:
	s_mov_b32 s4, 0x3c7fffff
	v_cmp_lt_u32_e64 s[4:5], s4, v15
                                        ; implicit-def: $vgpr8
	s_and_saveexec_b64 s[40:41], s[4:5]
	s_xor_b64 s[40:41], exec, s[40:41]
; %bb.867:
	v_bfe_u32 v8, v15, 20, 1
	s_mov_b32 s4, 0x407ffff
	v_add3_u32 v8, v15, v8, s4
	v_lshrrev_b32_e32 v15, 20, v8
	v_and_b32_e32 v8, 0xff00000, v8
	s_mov_b32 s4, 0x7f00000
	v_mov_b32_e32 v21, 0x7e
	v_cmp_ne_u32_e64 s[4:5], s4, v8
	v_cndmask_b32_e64 v8, v21, v15, s[4:5]
                                        ; implicit-def: $vgpr15
; %bb.868:
	s_andn2_saveexec_b64 s[4:5], s[40:41]
; %bb.869:
	v_add_f32_e32 v8, 0x46800000, v15
; %bb.870:
	s_or_b64 exec, exec, s[4:5]
                                        ; implicit-def: $vgpr15
.LBB274_871:
	s_andn2_saveexec_b64 s[38:39], s[38:39]
; %bb.872:
	s_mov_b32 s4, 0x7f800000
	v_mov_b32_e32 v8, 0x7e
	v_mov_b32_e32 v21, 0x7f
	v_cmp_lt_u32_e64 s[4:5], s4, v15
	v_cndmask_b32_e64 v8, v8, v21, s[4:5]
; %bb.873:
	s_or_b64 exec, exec, s[38:39]
	s_or_b64 s[40:41], s[26:27], exec
	s_xor_b64 s[38:39], exec, -1
.LBB274_874:
	s_or_b64 exec, exec, s[30:31]
	s_andn2_b64 s[4:5], s[26:27], exec
	s_and_b64 s[26:27], s[40:41], exec
	s_or_b64 s[26:27], s[4:5], s[26:27]
	s_andn2_b64 s[4:5], s[24:25], exec
	s_and_b64 s[24:25], s[38:39], exec
	s_or_b64 s[24:25], s[4:5], s[24:25]
.LBB274_875:
	s_or_b64 exec, exec, s[28:29]
	s_and_b64 s[28:29], s[26:27], exec
	s_and_b64 s[26:27], s[24:25], exec
.LBB274_876:
	s_andn2_saveexec_b64 s[22:23], s[22:23]
	s_cbranch_execz .LBB274_888
; %bb.877:
	v_cmp_eq_u16_e64 s[4:5], 29, v10
	s_mov_b64 s[30:31], -1
	s_mov_b64 s[38:39], s[28:29]
                                        ; implicit-def: $vgpr8
	s_and_saveexec_b64 s[24:25], s[4:5]
	s_cbranch_execz .LBB274_887
; %bb.878:
	flat_load_dwordx2 v[21:22], v[0:1]
	s_mov_b32 s4, 0x43f00000
	s_waitcnt vmcnt(0) lgkmcnt(0)
	v_ffbh_u32_e32 v8, v22
	v_min_u32_e32 v8, 32, v8
	v_lshlrev_b64 v[21:22], v8, v[21:22]
	v_sub_u32_e32 v8, 32, v8
	v_min_u32_e32 v15, 1, v21
	v_or_b32_e32 v15, v22, v15
	v_cvt_f32_u32_e32 v15, v15
	v_ldexp_f32 v15, v15, v8
	v_cmp_gt_u32_e64 s[4:5], s4, v15
                                        ; implicit-def: $vgpr8
	s_and_saveexec_b64 s[30:31], s[4:5]
	s_xor_b64 s[30:31], exec, s[30:31]
	s_cbranch_execz .LBB274_884
; %bb.879:
	s_mov_b32 s4, 0x3c7fffff
	v_cmp_lt_u32_e64 s[4:5], s4, v15
                                        ; implicit-def: $vgpr8
	s_and_saveexec_b64 s[38:39], s[4:5]
	s_xor_b64 s[38:39], exec, s[38:39]
; %bb.880:
	v_bfe_u32 v8, v15, 20, 1
	s_mov_b32 s4, 0x407ffff
	v_add3_u32 v8, v15, v8, s4
	v_lshrrev_b32_e32 v15, 20, v8
	v_and_b32_e32 v8, 0xff00000, v8
	s_mov_b32 s4, 0x7f00000
	v_mov_b32_e32 v21, 0x7e
	v_cmp_ne_u32_e64 s[4:5], s4, v8
	v_cndmask_b32_e64 v8, v21, v15, s[4:5]
                                        ; implicit-def: $vgpr15
; %bb.881:
	s_andn2_saveexec_b64 s[4:5], s[38:39]
; %bb.882:
	v_add_f32_e32 v8, 0x46800000, v15
; %bb.883:
	s_or_b64 exec, exec, s[4:5]
                                        ; implicit-def: $vgpr15
.LBB274_884:
	s_andn2_saveexec_b64 s[30:31], s[30:31]
; %bb.885:
	s_mov_b32 s4, 0x7f800000
	v_mov_b32_e32 v8, 0x7e
	v_mov_b32_e32 v21, 0x7f
	v_cmp_lt_u32_e64 s[4:5], s4, v15
	v_cndmask_b32_e64 v8, v8, v21, s[4:5]
; %bb.886:
	s_or_b64 exec, exec, s[30:31]
	s_or_b64 s[38:39], s[28:29], exec
	s_xor_b64 s[30:31], exec, -1
.LBB274_887:
	s_or_b64 exec, exec, s[24:25]
	s_andn2_b64 s[4:5], s[28:29], exec
	s_and_b64 s[24:25], s[38:39], exec
	s_or_b64 s[28:29], s[4:5], s[24:25]
	s_andn2_b64 s[4:5], s[26:27], exec
	s_and_b64 s[24:25], s[30:31], exec
	s_or_b64 s[26:27], s[4:5], s[24:25]
.LBB274_888:
	s_or_b64 exec, exec, s[22:23]
	s_and_b64 s[24:25], s[28:29], exec
	s_and_b64 s[22:23], s[26:27], exec
.LBB274_889:
	s_andn2_saveexec_b64 s[20:21], s[20:21]
	s_cbranch_execz .LBB274_929
; %bb.890:
	v_cmp_lt_i16_e64 s[4:5], 26, v10
                                        ; implicit-def: $vgpr8
	s_and_saveexec_b64 s[26:27], s[4:5]
	s_xor_b64 s[26:27], exec, s[26:27]
	s_cbranch_execz .LBB274_912
; %bb.891:
	v_cmp_lt_i16_e64 s[4:5], 27, v10
                                        ; implicit-def: $vgpr8
	s_and_saveexec_b64 s[28:29], s[4:5]
	s_xor_b64 s[28:29], exec, s[28:29]
	s_cbranch_execz .LBB274_901
; %bb.892:
	flat_load_dword v8, v[0:1]
	s_mov_b32 s4, 0x43f00000
	s_waitcnt vmcnt(0) lgkmcnt(0)
	v_cvt_f32_u32_e32 v15, v8
                                        ; implicit-def: $vgpr8
	v_cmp_gt_u32_e64 s[4:5], s4, v15
	s_and_saveexec_b64 s[30:31], s[4:5]
	s_xor_b64 s[30:31], exec, s[30:31]
	s_cbranch_execz .LBB274_898
; %bb.893:
	s_mov_b32 s4, 0x3c7fffff
	v_cmp_lt_u32_e64 s[4:5], s4, v15
                                        ; implicit-def: $vgpr8
	s_and_saveexec_b64 s[38:39], s[4:5]
	s_xor_b64 s[38:39], exec, s[38:39]
; %bb.894:
	v_bfe_u32 v8, v15, 20, 1
	s_mov_b32 s4, 0x407ffff
	v_add3_u32 v8, v15, v8, s4
	v_lshrrev_b32_e32 v15, 20, v8
	v_and_b32_e32 v8, 0xff00000, v8
	s_mov_b32 s4, 0x7f00000
	v_mov_b32_e32 v21, 0x7e
	v_cmp_ne_u32_e64 s[4:5], s4, v8
	v_cndmask_b32_e64 v8, v21, v15, s[4:5]
                                        ; implicit-def: $vgpr15
; %bb.895:
	s_andn2_saveexec_b64 s[4:5], s[38:39]
; %bb.896:
	v_add_f32_e32 v8, 0x46800000, v15
; %bb.897:
	s_or_b64 exec, exec, s[4:5]
                                        ; implicit-def: $vgpr15
.LBB274_898:
	s_andn2_saveexec_b64 s[30:31], s[30:31]
; %bb.899:
	s_mov_b32 s4, 0x7f800000
	v_mov_b32_e32 v8, 0x7e
	v_mov_b32_e32 v21, 0x7f
	v_cmp_lt_u32_e64 s[4:5], s4, v15
	v_cndmask_b32_e64 v8, v8, v21, s[4:5]
; %bb.900:
	s_or_b64 exec, exec, s[30:31]
.LBB274_901:
	s_andn2_saveexec_b64 s[28:29], s[28:29]
	s_cbranch_execz .LBB274_911
; %bb.902:
	flat_load_ushort v8, v[0:1]
	s_mov_b32 s4, 0x43f00000
	s_waitcnt vmcnt(0) lgkmcnt(0)
	v_cvt_f32_u32_e32 v15, v8
                                        ; implicit-def: $vgpr8
	v_cmp_gt_u32_e64 s[4:5], s4, v15
	s_and_saveexec_b64 s[30:31], s[4:5]
	s_xor_b64 s[30:31], exec, s[30:31]
	s_cbranch_execz .LBB274_908
; %bb.903:
	s_mov_b32 s4, 0x3c7fffff
	v_cmp_lt_u32_e64 s[4:5], s4, v15
                                        ; implicit-def: $vgpr8
	s_and_saveexec_b64 s[38:39], s[4:5]
	s_xor_b64 s[38:39], exec, s[38:39]
; %bb.904:
	v_bfe_u32 v8, v15, 20, 1
	s_mov_b32 s4, 0x407ffff
	v_add3_u32 v8, v15, v8, s4
	v_lshrrev_b32_e32 v15, 20, v8
	v_and_b32_e32 v8, 0xff00000, v8
	s_mov_b32 s4, 0x7f00000
	v_mov_b32_e32 v21, 0x7e
	v_cmp_ne_u32_e64 s[4:5], s4, v8
	v_cndmask_b32_e64 v8, v21, v15, s[4:5]
                                        ; implicit-def: $vgpr15
; %bb.905:
	s_andn2_saveexec_b64 s[4:5], s[38:39]
; %bb.906:
	v_add_f32_e32 v8, 0x46800000, v15
; %bb.907:
	s_or_b64 exec, exec, s[4:5]
                                        ; implicit-def: $vgpr15
.LBB274_908:
	s_andn2_saveexec_b64 s[30:31], s[30:31]
; %bb.909:
	s_mov_b32 s4, 0x7f800000
	v_mov_b32_e32 v8, 0x7e
	v_mov_b32_e32 v21, 0x7f
	v_cmp_lt_u32_e64 s[4:5], s4, v15
	v_cndmask_b32_e64 v8, v8, v21, s[4:5]
; %bb.910:
	s_or_b64 exec, exec, s[30:31]
.LBB274_911:
	s_or_b64 exec, exec, s[28:29]
.LBB274_912:
	s_andn2_saveexec_b64 s[26:27], s[26:27]
	s_cbranch_execz .LBB274_928
; %bb.913:
	flat_load_ubyte v15, v[0:1]
	s_movk_i32 s4, 0x7f
	s_mov_b64 s[28:29], 0
	s_waitcnt vmcnt(0) lgkmcnt(0)
	v_cmp_lt_i16_e64 s[4:5], s4, v15
	s_and_saveexec_b64 s[30:31], s[4:5]
	s_xor_b64 s[30:31], exec, s[30:31]
	s_cbranch_execz .LBB274_2485
; %bb.914:
	s_movk_i32 s4, 0x80
	v_cmp_eq_u16_e64 s[4:5], s4, v15
	s_mov_b64 s[28:29], -1
	s_and_saveexec_b64 s[38:39], s[4:5]
; %bb.915:
	s_xor_b64 s[28:29], exec, -1
; %bb.916:
	s_or_b64 exec, exec, s[38:39]
	s_and_b64 s[28:29], s[28:29], exec
	s_or_saveexec_b64 s[30:31], s[30:31]
	v_mov_b32_e32 v8, 0x7f800001
	s_xor_b64 exec, exec, s[30:31]
	s_cbranch_execnz .LBB274_2486
.LBB274_917:
	s_or_b64 exec, exec, s[30:31]
	s_and_saveexec_b64 s[30:31], s[28:29]
	s_cbranch_execz .LBB274_919
.LBB274_918:
	v_lshlrev_b32_e32 v8, 24, v15
	v_and_b32_e32 v15, 0xffff, v15
	v_and_b32_e32 v21, 7, v15
	v_ffbh_u32_e32 v23, v21
	v_min_u32_e32 v23, 32, v23
	v_subrev_u32_e32 v24, 28, v23
	v_bfe_u32 v22, v15, 3, 4
	v_lshlrev_b32_e32 v15, v24, v15
	v_sub_u32_e32 v23, 29, v23
	v_and_b32_e32 v15, 7, v15
	v_cmp_eq_u32_e64 s[4:5], 0, v22
	v_cndmask_b32_e64 v22, v22, v23, s[4:5]
	v_cndmask_b32_e64 v15, v21, v15, s[4:5]
	v_mov_b32_e32 v21, 0x3b800000
	v_lshlrev_b32_e32 v15, 20, v15
	v_and_b32_e32 v8, 0x80000000, v8
	v_lshl_add_u32 v21, v22, 23, v21
	v_or3_b32 v8, v8, v21, v15
.LBB274_919:
	s_or_b64 exec, exec, s[30:31]
	v_and_b32_e32 v21, 0x7fffffff, v8
	s_mov_b32 s4, 0x43f00000
	v_cmp_gt_u32_e64 s[4:5], s4, v21
                                        ; implicit-def: $vgpr15
	s_and_saveexec_b64 s[28:29], s[4:5]
	s_xor_b64 s[28:29], exec, s[28:29]
	s_cbranch_execz .LBB274_925
; %bb.920:
	s_mov_b32 s4, 0x3c7fffff
	v_cmp_lt_u32_e64 s[4:5], s4, v21
                                        ; implicit-def: $vgpr15
	s_and_saveexec_b64 s[30:31], s[4:5]
	s_xor_b64 s[30:31], exec, s[30:31]
; %bb.921:
	v_bfe_u32 v15, v8, 20, 1
	s_mov_b32 s4, 0x407ffff
	v_add3_u32 v15, v8, v15, s4
	v_lshrrev_b32_e32 v21, 20, v15
	v_and_b32_e32 v15, 0xff00000, v15
	s_mov_b32 s4, 0x7f00000
	v_mov_b32_e32 v22, 0x7e
	v_cmp_ne_u32_e64 s[4:5], s4, v15
	v_cndmask_b32_e64 v15, v22, v21, s[4:5]
; %bb.922:
	s_andn2_saveexec_b64 s[4:5], s[30:31]
; %bb.923:
	s_mov_b32 s30, 0x46800000
	v_add_f32_e64 v15, |v8|, s30
; %bb.924:
	s_or_b64 exec, exec, s[4:5]
                                        ; implicit-def: $vgpr21
.LBB274_925:
	s_andn2_saveexec_b64 s[28:29], s[28:29]
; %bb.926:
	s_mov_b32 s4, 0x7f800000
	v_mov_b32_e32 v15, 0x7e
	v_mov_b32_e32 v22, 0x7f
	v_cmp_lt_u32_e64 s[4:5], s4, v21
	v_cndmask_b32_e64 v15, v15, v22, s[4:5]
; %bb.927:
	s_or_b64 exec, exec, s[28:29]
	v_lshrrev_b32_e32 v8, 24, v8
	s_movk_i32 s4, 0x80
	v_and_or_b32 v8, v8, s4, v15
.LBB274_928:
	s_or_b64 exec, exec, s[26:27]
	s_or_b64 s[24:25], s[24:25], exec
.LBB274_929:
	s_or_b64 exec, exec, s[20:21]
	s_and_b64 s[20:21], s[24:25], exec
	s_and_b64 s[22:23], s[22:23], exec
	s_andn2_saveexec_b64 s[18:19], s[18:19]
	s_cbranch_execnz .LBB274_2325
.LBB274_930:
	s_or_b64 exec, exec, s[18:19]
	s_mov_b64 s[18:19], s[14:15]
	s_and_saveexec_b64 s[4:5], s[22:23]
	s_cbranch_execnz .LBB274_2374
.LBB274_931:
	s_or_b64 exec, exec, s[4:5]
	s_and_saveexec_b64 s[22:23], s[8:9]
	s_cbranch_execz .LBB274_941
.LBB274_932:
	flat_load_ubyte v0, v[0:1]
                                        ; implicit-def: $vgpr8
	s_waitcnt vmcnt(0) lgkmcnt(0)
	v_cmp_ne_u16_e64 s[4:5], 0, v0
	v_cndmask_b32_e64 v0, 0, 1.0, s[4:5]
	s_mov_b32 s4, 0x43f00000
	v_cmp_gt_u32_e64 s[4:5], s4, v0
	s_and_saveexec_b64 s[8:9], s[4:5]
	s_xor_b64 s[8:9], exec, s[8:9]
	s_cbranch_execz .LBB274_938
; %bb.933:
	s_mov_b32 s4, 0x3c7fffff
	v_cmp_lt_u32_e64 s[4:5], s4, v0
                                        ; implicit-def: $vgpr8
	s_and_saveexec_b64 s[24:25], s[4:5]
	s_xor_b64 s[24:25], exec, s[24:25]
; %bb.934:
	v_bfe_u32 v1, v0, 20, 1
	s_mov_b32 s4, 0x407ffff
	v_add3_u32 v0, v0, v1, s4
	v_lshrrev_b32_e32 v1, 20, v0
	v_and_b32_e32 v0, 0xff00000, v0
	s_mov_b32 s4, 0x7f00000
	v_mov_b32_e32 v8, 0x7e
	v_cmp_ne_u32_e64 s[4:5], s4, v0
	v_cndmask_b32_e64 v8, v8, v1, s[4:5]
                                        ; implicit-def: $vgpr0
; %bb.935:
	s_andn2_saveexec_b64 s[4:5], s[24:25]
; %bb.936:
	v_add_f32_e32 v8, 0x46800000, v0
; %bb.937:
	s_or_b64 exec, exec, s[4:5]
                                        ; implicit-def: $vgpr0
.LBB274_938:
	s_andn2_saveexec_b64 s[8:9], s[8:9]
; %bb.939:
	s_mov_b32 s4, 0x7f800000
	v_mov_b32_e32 v1, 0x7e
	v_mov_b32_e32 v8, 0x7f
	v_cmp_lt_u32_e64 s[4:5], s4, v0
	v_cndmask_b32_e64 v8, v1, v8, s[4:5]
; %bb.940:
	s_or_b64 exec, exec, s[8:9]
	s_or_b64 s[20:21], s[20:21], exec
.LBB274_941:
	s_or_b64 exec, exec, s[22:23]
	s_andn2_b64 s[4:5], s[14:15], exec
	s_and_b64 s[8:9], s[18:19], exec
	s_or_b64 s[18:19], s[4:5], s[8:9]
	s_and_b64 s[8:9], s[20:21], exec
                                        ; implicit-def: $vgpr0_vgpr1
.LBB274_942:
	s_andn2_saveexec_b64 s[6:7], s[6:7]
	s_cbranch_execz .LBB274_1072
; %bb.943:
	v_cmp_lt_i16_e64 s[4:5], 4, v10
                                        ; implicit-def: $vgpr8
	s_and_saveexec_b64 s[20:21], s[4:5]
	s_xor_b64 s[20:21], exec, s[20:21]
	s_cbranch_execz .LBB274_1013
; %bb.944:
	v_cmp_lt_i16_e64 s[4:5], 7, v10
                                        ; implicit-def: $vgpr8
	s_and_saveexec_b64 s[22:23], s[4:5]
	s_xor_b64 s[22:23], exec, s[22:23]
	;; [unrolled: 6-line block ×4, first 2 shown]
	s_cbranch_execz .LBB274_956
; %bb.947:
	flat_load_dwordx2 v[0:1], v[0:1]
	s_mov_b32 s4, 0x43f00000
	s_waitcnt vmcnt(0) lgkmcnt(0)
	v_cvt_f32_f64_e32 v0, v[0:1]
                                        ; implicit-def: $vgpr1
	v_and_b32_e32 v8, 0x7fffffff, v0
	v_cmp_gt_u32_e64 s[4:5], s4, v8
	s_and_saveexec_b64 s[28:29], s[4:5]
	s_xor_b64 s[28:29], exec, s[28:29]
	s_cbranch_execz .LBB274_953
; %bb.948:
	s_mov_b32 s4, 0x3c7fffff
	v_cmp_lt_u32_e64 s[4:5], s4, v8
                                        ; implicit-def: $vgpr1
	s_and_saveexec_b64 s[30:31], s[4:5]
	s_xor_b64 s[30:31], exec, s[30:31]
; %bb.949:
	v_bfe_u32 v1, v0, 20, 1
	s_mov_b32 s4, 0x407ffff
	v_add3_u32 v1, v0, v1, s4
	v_lshrrev_b32_e32 v8, 20, v1
	v_and_b32_e32 v1, 0xff00000, v1
	s_mov_b32 s4, 0x7f00000
	v_mov_b32_e32 v15, 0x7e
	v_cmp_ne_u32_e64 s[4:5], s4, v1
	v_cndmask_b32_e64 v1, v15, v8, s[4:5]
; %bb.950:
	s_andn2_saveexec_b64 s[4:5], s[30:31]
; %bb.951:
	s_mov_b32 s30, 0x46800000
	v_add_f32_e64 v1, |v0|, s30
; %bb.952:
	s_or_b64 exec, exec, s[4:5]
                                        ; implicit-def: $vgpr8
.LBB274_953:
	s_andn2_saveexec_b64 s[28:29], s[28:29]
; %bb.954:
	s_mov_b32 s4, 0x7f800000
	v_mov_b32_e32 v1, 0x7e
	v_mov_b32_e32 v15, 0x7f
	v_cmp_lt_u32_e64 s[4:5], s4, v8
	v_cndmask_b32_e64 v1, v1, v15, s[4:5]
; %bb.955:
	s_or_b64 exec, exec, s[28:29]
	v_lshrrev_b32_e32 v0, 24, v0
	s_movk_i32 s4, 0x80
	v_and_or_b32 v8, v0, s4, v1
                                        ; implicit-def: $vgpr0_vgpr1
.LBB274_956:
	s_andn2_saveexec_b64 s[26:27], s[26:27]
	s_cbranch_execz .LBB274_966
; %bb.957:
	flat_load_dword v0, v[0:1]
	s_mov_b32 s4, 0x43f00000
                                        ; implicit-def: $vgpr1
	s_waitcnt vmcnt(0) lgkmcnt(0)
	v_and_b32_e32 v8, 0x7fffffff, v0
	v_cmp_gt_u32_e64 s[4:5], s4, v8
	s_and_saveexec_b64 s[28:29], s[4:5]
	s_xor_b64 s[28:29], exec, s[28:29]
	s_cbranch_execz .LBB274_963
; %bb.958:
	s_mov_b32 s4, 0x3c7fffff
	v_cmp_lt_u32_e64 s[4:5], s4, v8
                                        ; implicit-def: $vgpr1
	s_and_saveexec_b64 s[30:31], s[4:5]
	s_xor_b64 s[30:31], exec, s[30:31]
; %bb.959:
	v_bfe_u32 v1, v0, 20, 1
	s_mov_b32 s4, 0x407ffff
	v_add3_u32 v1, v0, v1, s4
	v_lshrrev_b32_e32 v8, 20, v1
	v_and_b32_e32 v1, 0xff00000, v1
	s_mov_b32 s4, 0x7f00000
	v_mov_b32_e32 v15, 0x7e
	v_cmp_ne_u32_e64 s[4:5], s4, v1
	v_cndmask_b32_e64 v1, v15, v8, s[4:5]
; %bb.960:
	s_andn2_saveexec_b64 s[4:5], s[30:31]
; %bb.961:
	s_mov_b32 s30, 0x46800000
	v_add_f32_e64 v1, |v0|, s30
; %bb.962:
	s_or_b64 exec, exec, s[4:5]
                                        ; implicit-def: $vgpr8
.LBB274_963:
	s_andn2_saveexec_b64 s[28:29], s[28:29]
; %bb.964:
	s_mov_b32 s4, 0x7f800000
	v_mov_b32_e32 v1, 0x7e
	v_mov_b32_e32 v15, 0x7f
	v_cmp_lt_u32_e64 s[4:5], s4, v8
	v_cndmask_b32_e64 v1, v1, v15, s[4:5]
; %bb.965:
	s_or_b64 exec, exec, s[28:29]
	v_lshrrev_b32_e32 v0, 24, v0
	s_movk_i32 s4, 0x80
	v_and_or_b32 v8, v0, s4, v1
.LBB274_966:
	s_or_b64 exec, exec, s[26:27]
                                        ; implicit-def: $vgpr0_vgpr1
.LBB274_967:
	s_andn2_saveexec_b64 s[24:25], s[24:25]
	s_cbranch_execz .LBB274_977
; %bb.968:
	flat_load_dword v0, v[0:1]
	s_mov_b32 s4, 0x43f00000
                                        ; implicit-def: $vgpr1
	s_waitcnt vmcnt(0) lgkmcnt(0)
	v_cvt_f32_f16_e32 v0, v0
	v_and_b32_e32 v8, 0x7fffffff, v0
	v_cmp_gt_u32_e64 s[4:5], s4, v8
	s_and_saveexec_b64 s[26:27], s[4:5]
	s_xor_b64 s[26:27], exec, s[26:27]
	s_cbranch_execz .LBB274_974
; %bb.969:
	s_mov_b32 s4, 0x3c7fffff
	v_cmp_lt_u32_e64 s[4:5], s4, v8
                                        ; implicit-def: $vgpr1
	s_and_saveexec_b64 s[28:29], s[4:5]
	s_xor_b64 s[28:29], exec, s[28:29]
; %bb.970:
	v_bfe_u32 v1, v0, 20, 1
	s_mov_b32 s4, 0x407ffff
	v_add3_u32 v1, v0, v1, s4
	v_lshrrev_b32_e32 v8, 20, v1
	v_and_b32_e32 v1, 0xff00000, v1
	s_mov_b32 s4, 0x7f00000
	v_mov_b32_e32 v15, 0x7e
	v_cmp_ne_u32_e64 s[4:5], s4, v1
	v_cndmask_b32_e64 v1, v15, v8, s[4:5]
; %bb.971:
	s_andn2_saveexec_b64 s[4:5], s[28:29]
; %bb.972:
	s_mov_b32 s28, 0x46800000
	v_add_f32_e64 v1, |v0|, s28
; %bb.973:
	s_or_b64 exec, exec, s[4:5]
                                        ; implicit-def: $vgpr8
.LBB274_974:
	s_andn2_saveexec_b64 s[26:27], s[26:27]
; %bb.975:
	s_mov_b32 s4, 0x7f800000
	v_mov_b32_e32 v1, 0x7e
	v_mov_b32_e32 v15, 0x7f
	v_cmp_lt_u32_e64 s[4:5], s4, v8
	v_cndmask_b32_e64 v1, v1, v15, s[4:5]
; %bb.976:
	s_or_b64 exec, exec, s[26:27]
	v_lshrrev_b32_e32 v0, 24, v0
	s_movk_i32 s4, 0x80
	v_and_or_b32 v8, v0, s4, v1
.LBB274_977:
	s_or_b64 exec, exec, s[24:25]
                                        ; implicit-def: $vgpr0_vgpr1
.LBB274_978:
	s_andn2_saveexec_b64 s[22:23], s[22:23]
	s_cbranch_execz .LBB274_1012
; %bb.979:
	v_cmp_lt_i16_e64 s[4:5], 5, v10
                                        ; implicit-def: $vgpr8
	s_and_saveexec_b64 s[24:25], s[4:5]
	s_xor_b64 s[24:25], exec, s[24:25]
	s_cbranch_execz .LBB274_1001
; %bb.980:
	v_cmp_lt_i16_e64 s[4:5], 6, v10
                                        ; implicit-def: $vgpr8
	s_and_saveexec_b64 s[26:27], s[4:5]
	s_xor_b64 s[26:27], exec, s[26:27]
	s_cbranch_execz .LBB274_990
; %bb.981:
	flat_load_dwordx2 v[0:1], v[0:1]
	s_mov_b32 s4, 0x43f00000
	s_waitcnt vmcnt(0) lgkmcnt(0)
	v_cvt_f32_f64_e32 v0, v[0:1]
                                        ; implicit-def: $vgpr1
	v_and_b32_e32 v8, 0x7fffffff, v0
	v_cmp_gt_u32_e64 s[4:5], s4, v8
	s_and_saveexec_b64 s[28:29], s[4:5]
	s_xor_b64 s[28:29], exec, s[28:29]
	s_cbranch_execz .LBB274_987
; %bb.982:
	s_mov_b32 s4, 0x3c7fffff
	v_cmp_lt_u32_e64 s[4:5], s4, v8
                                        ; implicit-def: $vgpr1
	s_and_saveexec_b64 s[30:31], s[4:5]
	s_xor_b64 s[30:31], exec, s[30:31]
; %bb.983:
	v_bfe_u32 v1, v0, 20, 1
	s_mov_b32 s4, 0x407ffff
	v_add3_u32 v1, v0, v1, s4
	v_lshrrev_b32_e32 v8, 20, v1
	v_and_b32_e32 v1, 0xff00000, v1
	s_mov_b32 s4, 0x7f00000
	v_mov_b32_e32 v15, 0x7e
	v_cmp_ne_u32_e64 s[4:5], s4, v1
	v_cndmask_b32_e64 v1, v15, v8, s[4:5]
; %bb.984:
	s_andn2_saveexec_b64 s[4:5], s[30:31]
; %bb.985:
	s_mov_b32 s30, 0x46800000
	v_add_f32_e64 v1, |v0|, s30
; %bb.986:
	s_or_b64 exec, exec, s[4:5]
                                        ; implicit-def: $vgpr8
.LBB274_987:
	s_andn2_saveexec_b64 s[28:29], s[28:29]
; %bb.988:
	s_mov_b32 s4, 0x7f800000
	v_mov_b32_e32 v1, 0x7e
	v_mov_b32_e32 v15, 0x7f
	v_cmp_lt_u32_e64 s[4:5], s4, v8
	v_cndmask_b32_e64 v1, v1, v15, s[4:5]
; %bb.989:
	s_or_b64 exec, exec, s[28:29]
	v_lshrrev_b32_e32 v0, 24, v0
	s_movk_i32 s4, 0x80
	v_and_or_b32 v8, v0, s4, v1
                                        ; implicit-def: $vgpr0_vgpr1
.LBB274_990:
	s_andn2_saveexec_b64 s[26:27], s[26:27]
	s_cbranch_execz .LBB274_1000
; %bb.991:
	flat_load_dword v0, v[0:1]
	s_mov_b32 s4, 0x43f00000
                                        ; implicit-def: $vgpr1
	s_waitcnt vmcnt(0) lgkmcnt(0)
	v_and_b32_e32 v8, 0x7fffffff, v0
	v_cmp_gt_u32_e64 s[4:5], s4, v8
	s_and_saveexec_b64 s[28:29], s[4:5]
	s_xor_b64 s[28:29], exec, s[28:29]
	s_cbranch_execz .LBB274_997
; %bb.992:
	s_mov_b32 s4, 0x3c7fffff
	v_cmp_lt_u32_e64 s[4:5], s4, v8
                                        ; implicit-def: $vgpr1
	s_and_saveexec_b64 s[30:31], s[4:5]
	s_xor_b64 s[30:31], exec, s[30:31]
; %bb.993:
	v_bfe_u32 v1, v0, 20, 1
	s_mov_b32 s4, 0x407ffff
	v_add3_u32 v1, v0, v1, s4
	v_lshrrev_b32_e32 v8, 20, v1
	v_and_b32_e32 v1, 0xff00000, v1
	s_mov_b32 s4, 0x7f00000
	v_mov_b32_e32 v15, 0x7e
	v_cmp_ne_u32_e64 s[4:5], s4, v1
	v_cndmask_b32_e64 v1, v15, v8, s[4:5]
; %bb.994:
	s_andn2_saveexec_b64 s[4:5], s[30:31]
; %bb.995:
	s_mov_b32 s30, 0x46800000
	v_add_f32_e64 v1, |v0|, s30
; %bb.996:
	s_or_b64 exec, exec, s[4:5]
                                        ; implicit-def: $vgpr8
.LBB274_997:
	s_andn2_saveexec_b64 s[28:29], s[28:29]
; %bb.998:
	s_mov_b32 s4, 0x7f800000
	v_mov_b32_e32 v1, 0x7e
	v_mov_b32_e32 v15, 0x7f
	v_cmp_lt_u32_e64 s[4:5], s4, v8
	v_cndmask_b32_e64 v1, v1, v15, s[4:5]
; %bb.999:
	s_or_b64 exec, exec, s[28:29]
	v_lshrrev_b32_e32 v0, 24, v0
	s_movk_i32 s4, 0x80
	v_and_or_b32 v8, v0, s4, v1
.LBB274_1000:
	s_or_b64 exec, exec, s[26:27]
                                        ; implicit-def: $vgpr0_vgpr1
.LBB274_1001:
	s_andn2_saveexec_b64 s[24:25], s[24:25]
	s_cbranch_execz .LBB274_1011
; %bb.1002:
	flat_load_ushort v0, v[0:1]
	s_mov_b32 s4, 0x43f00000
                                        ; implicit-def: $vgpr1
	s_waitcnt vmcnt(0) lgkmcnt(0)
	v_cvt_f32_f16_e32 v0, v0
	v_and_b32_e32 v8, 0x7fffffff, v0
	v_cmp_gt_u32_e64 s[4:5], s4, v8
	s_and_saveexec_b64 s[26:27], s[4:5]
	s_xor_b64 s[26:27], exec, s[26:27]
	s_cbranch_execz .LBB274_1008
; %bb.1003:
	s_mov_b32 s4, 0x3c7fffff
	v_cmp_lt_u32_e64 s[4:5], s4, v8
                                        ; implicit-def: $vgpr1
	s_and_saveexec_b64 s[28:29], s[4:5]
	s_xor_b64 s[28:29], exec, s[28:29]
; %bb.1004:
	v_bfe_u32 v1, v0, 20, 1
	s_mov_b32 s4, 0x407ffff
	v_add3_u32 v1, v0, v1, s4
	v_lshrrev_b32_e32 v8, 20, v1
	v_and_b32_e32 v1, 0xff00000, v1
	s_mov_b32 s4, 0x7f00000
	v_mov_b32_e32 v15, 0x7e
	v_cmp_ne_u32_e64 s[4:5], s4, v1
	v_cndmask_b32_e64 v1, v15, v8, s[4:5]
; %bb.1005:
	s_andn2_saveexec_b64 s[4:5], s[28:29]
; %bb.1006:
	s_mov_b32 s28, 0x46800000
	v_add_f32_e64 v1, |v0|, s28
; %bb.1007:
	s_or_b64 exec, exec, s[4:5]
                                        ; implicit-def: $vgpr8
.LBB274_1008:
	s_andn2_saveexec_b64 s[26:27], s[26:27]
; %bb.1009:
	s_mov_b32 s4, 0x7f800000
	v_mov_b32_e32 v1, 0x7e
	v_mov_b32_e32 v15, 0x7f
	v_cmp_lt_u32_e64 s[4:5], s4, v8
	v_cndmask_b32_e64 v1, v1, v15, s[4:5]
; %bb.1010:
	s_or_b64 exec, exec, s[26:27]
	v_lshrrev_b32_e32 v0, 24, v0
	s_movk_i32 s4, 0x80
	v_and_or_b32 v8, v0, s4, v1
.LBB274_1011:
	s_or_b64 exec, exec, s[24:25]
.LBB274_1012:
	s_or_b64 exec, exec, s[22:23]
                                        ; implicit-def: $vgpr0_vgpr1
.LBB274_1013:
	s_andn2_saveexec_b64 s[20:21], s[20:21]
	s_cbranch_execz .LBB274_1071
; %bb.1014:
	v_cmp_lt_i16_e64 s[4:5], 1, v10
                                        ; implicit-def: $vgpr8
	s_and_saveexec_b64 s[22:23], s[4:5]
	s_xor_b64 s[22:23], exec, s[22:23]
	s_cbranch_execz .LBB274_1048
; %bb.1015:
	v_cmp_lt_i16_e64 s[4:5], 2, v10
                                        ; implicit-def: $vgpr8
	s_and_saveexec_b64 s[24:25], s[4:5]
	s_xor_b64 s[24:25], exec, s[24:25]
	;; [unrolled: 6-line block ×3, first 2 shown]
	s_cbranch_execz .LBB274_1026
; %bb.1017:
	flat_load_dwordx2 v[0:1], v[0:1]
	s_mov_b32 s4, 0x43f00000
	s_waitcnt vmcnt(0) lgkmcnt(0)
	v_xor_b32_e32 v15, v0, v1
	v_ffbh_i32_e32 v8, v1
	v_ashrrev_i32_e32 v15, 31, v15
	v_add_u32_e32 v8, -1, v8
	v_add_u32_e32 v15, 32, v15
	v_min_u32_e32 v8, v8, v15
	v_lshlrev_b64 v[0:1], v8, v[0:1]
	v_min_u32_e32 v0, 1, v0
	v_or_b32_e32 v0, v1, v0
	v_cvt_f32_i32_e32 v0, v0
	v_sub_u32_e32 v1, 32, v8
	v_ldexp_f32 v0, v0, v1
	v_and_b32_e32 v8, 0x7fffffff, v0
	v_cmp_gt_u32_e64 s[4:5], s4, v8
                                        ; implicit-def: $vgpr1
	s_and_saveexec_b64 s[28:29], s[4:5]
	s_xor_b64 s[28:29], exec, s[28:29]
	s_cbranch_execz .LBB274_1023
; %bb.1018:
	s_mov_b32 s4, 0x3c7fffff
	v_cmp_lt_u32_e64 s[4:5], s4, v8
                                        ; implicit-def: $vgpr1
	s_and_saveexec_b64 s[30:31], s[4:5]
	s_xor_b64 s[30:31], exec, s[30:31]
; %bb.1019:
	v_bfe_u32 v1, v0, 20, 1
	s_mov_b32 s4, 0x407ffff
	v_add3_u32 v1, v0, v1, s4
	v_lshrrev_b32_e32 v8, 20, v1
	v_and_b32_e32 v1, 0xff00000, v1
	s_mov_b32 s4, 0x7f00000
	v_mov_b32_e32 v15, 0x7e
	v_cmp_ne_u32_e64 s[4:5], s4, v1
	v_cndmask_b32_e64 v1, v15, v8, s[4:5]
; %bb.1020:
	s_andn2_saveexec_b64 s[4:5], s[30:31]
; %bb.1021:
	s_mov_b32 s30, 0x46800000
	v_add_f32_e64 v1, |v0|, s30
; %bb.1022:
	s_or_b64 exec, exec, s[4:5]
                                        ; implicit-def: $vgpr8
.LBB274_1023:
	s_andn2_saveexec_b64 s[28:29], s[28:29]
; %bb.1024:
	s_mov_b32 s4, 0x7f800000
	v_mov_b32_e32 v1, 0x7e
	v_mov_b32_e32 v15, 0x7f
	v_cmp_lt_u32_e64 s[4:5], s4, v8
	v_cndmask_b32_e64 v1, v1, v15, s[4:5]
; %bb.1025:
	s_or_b64 exec, exec, s[28:29]
	v_lshrrev_b32_e32 v0, 24, v0
	s_movk_i32 s4, 0x80
	v_and_or_b32 v8, v0, s4, v1
                                        ; implicit-def: $vgpr0_vgpr1
.LBB274_1026:
	s_andn2_saveexec_b64 s[26:27], s[26:27]
	s_cbranch_execz .LBB274_1036
; %bb.1027:
	flat_load_dword v0, v[0:1]
	s_mov_b32 s4, 0x43f00000
                                        ; implicit-def: $vgpr1
	s_waitcnt vmcnt(0) lgkmcnt(0)
	v_cvt_f32_i32_e32 v0, v0
	v_and_b32_e32 v8, 0x7fffffff, v0
	v_cmp_gt_u32_e64 s[4:5], s4, v8
	s_and_saveexec_b64 s[28:29], s[4:5]
	s_xor_b64 s[28:29], exec, s[28:29]
	s_cbranch_execz .LBB274_1033
; %bb.1028:
	s_mov_b32 s4, 0x3c7fffff
	v_cmp_lt_u32_e64 s[4:5], s4, v8
                                        ; implicit-def: $vgpr1
	s_and_saveexec_b64 s[30:31], s[4:5]
	s_xor_b64 s[30:31], exec, s[30:31]
; %bb.1029:
	v_bfe_u32 v1, v0, 20, 1
	s_mov_b32 s4, 0x407ffff
	v_add3_u32 v1, v0, v1, s4
	v_lshrrev_b32_e32 v8, 20, v1
	v_and_b32_e32 v1, 0xff00000, v1
	s_mov_b32 s4, 0x7f00000
	v_mov_b32_e32 v15, 0x7e
	v_cmp_ne_u32_e64 s[4:5], s4, v1
	v_cndmask_b32_e64 v1, v15, v8, s[4:5]
; %bb.1030:
	s_andn2_saveexec_b64 s[4:5], s[30:31]
; %bb.1031:
	s_mov_b32 s30, 0x46800000
	v_add_f32_e64 v1, |v0|, s30
; %bb.1032:
	s_or_b64 exec, exec, s[4:5]
                                        ; implicit-def: $vgpr8
.LBB274_1033:
	s_andn2_saveexec_b64 s[28:29], s[28:29]
; %bb.1034:
	s_mov_b32 s4, 0x7f800000
	v_mov_b32_e32 v1, 0x7e
	v_mov_b32_e32 v15, 0x7f
	v_cmp_lt_u32_e64 s[4:5], s4, v8
	v_cndmask_b32_e64 v1, v1, v15, s[4:5]
; %bb.1035:
	s_or_b64 exec, exec, s[28:29]
	v_lshrrev_b32_e32 v0, 24, v0
	s_movk_i32 s4, 0x80
	v_and_or_b32 v8, v0, s4, v1
.LBB274_1036:
	s_or_b64 exec, exec, s[26:27]
                                        ; implicit-def: $vgpr0_vgpr1
.LBB274_1037:
	s_andn2_saveexec_b64 s[24:25], s[24:25]
	s_cbranch_execz .LBB274_1047
; %bb.1038:
	flat_load_sshort v0, v[0:1]
	s_mov_b32 s4, 0x43f00000
                                        ; implicit-def: $vgpr1
	s_waitcnt vmcnt(0) lgkmcnt(0)
	v_cvt_f32_i32_e32 v0, v0
	v_and_b32_e32 v8, 0x7fffffff, v0
	v_cmp_gt_u32_e64 s[4:5], s4, v8
	s_and_saveexec_b64 s[26:27], s[4:5]
	s_xor_b64 s[26:27], exec, s[26:27]
	s_cbranch_execz .LBB274_1044
; %bb.1039:
	s_mov_b32 s4, 0x3c7fffff
	v_cmp_lt_u32_e64 s[4:5], s4, v8
                                        ; implicit-def: $vgpr1
	s_and_saveexec_b64 s[28:29], s[4:5]
	s_xor_b64 s[28:29], exec, s[28:29]
; %bb.1040:
	v_bfe_u32 v1, v0, 20, 1
	s_mov_b32 s4, 0x407ffff
	v_add3_u32 v1, v0, v1, s4
	v_lshrrev_b32_e32 v8, 20, v1
	v_and_b32_e32 v1, 0xff00000, v1
	s_mov_b32 s4, 0x7f00000
	v_mov_b32_e32 v15, 0x7e
	v_cmp_ne_u32_e64 s[4:5], s4, v1
	v_cndmask_b32_e64 v1, v15, v8, s[4:5]
; %bb.1041:
	s_andn2_saveexec_b64 s[4:5], s[28:29]
; %bb.1042:
	s_mov_b32 s28, 0x46800000
	v_add_f32_e64 v1, |v0|, s28
; %bb.1043:
	s_or_b64 exec, exec, s[4:5]
                                        ; implicit-def: $vgpr8
.LBB274_1044:
	s_andn2_saveexec_b64 s[26:27], s[26:27]
; %bb.1045:
	s_mov_b32 s4, 0x7f800000
	v_mov_b32_e32 v1, 0x7e
	v_mov_b32_e32 v15, 0x7f
	v_cmp_lt_u32_e64 s[4:5], s4, v8
	v_cndmask_b32_e64 v1, v1, v15, s[4:5]
; %bb.1046:
	s_or_b64 exec, exec, s[26:27]
	v_lshrrev_b32_e32 v0, 24, v0
	s_movk_i32 s4, 0x80
	v_and_or_b32 v8, v0, s4, v1
.LBB274_1047:
	s_or_b64 exec, exec, s[24:25]
                                        ; implicit-def: $vgpr0_vgpr1
.LBB274_1048:
	s_andn2_saveexec_b64 s[22:23], s[22:23]
	s_cbranch_execz .LBB274_1070
; %bb.1049:
	v_cmp_lt_i16_e64 s[4:5], 0, v10
                                        ; implicit-def: $vgpr8
	s_and_saveexec_b64 s[24:25], s[4:5]
	s_xor_b64 s[24:25], exec, s[24:25]
	s_cbranch_execz .LBB274_1059
; %bb.1050:
	flat_load_sbyte v0, v[0:1]
	s_mov_b32 s4, 0x43f00000
                                        ; implicit-def: $vgpr1
	s_waitcnt vmcnt(0) lgkmcnt(0)
	v_cvt_f32_i32_e32 v0, v0
	v_and_b32_e32 v8, 0x7fffffff, v0
	v_cmp_gt_u32_e64 s[4:5], s4, v8
	s_and_saveexec_b64 s[26:27], s[4:5]
	s_xor_b64 s[26:27], exec, s[26:27]
	s_cbranch_execz .LBB274_1056
; %bb.1051:
	s_mov_b32 s4, 0x3c7fffff
	v_cmp_lt_u32_e64 s[4:5], s4, v8
                                        ; implicit-def: $vgpr1
	s_and_saveexec_b64 s[28:29], s[4:5]
	s_xor_b64 s[28:29], exec, s[28:29]
; %bb.1052:
	v_bfe_u32 v1, v0, 20, 1
	s_mov_b32 s4, 0x407ffff
	v_add3_u32 v1, v0, v1, s4
	v_lshrrev_b32_e32 v8, 20, v1
	v_and_b32_e32 v1, 0xff00000, v1
	s_mov_b32 s4, 0x7f00000
	v_mov_b32_e32 v15, 0x7e
	v_cmp_ne_u32_e64 s[4:5], s4, v1
	v_cndmask_b32_e64 v1, v15, v8, s[4:5]
; %bb.1053:
	s_andn2_saveexec_b64 s[4:5], s[28:29]
; %bb.1054:
	s_mov_b32 s28, 0x46800000
	v_add_f32_e64 v1, |v0|, s28
; %bb.1055:
	s_or_b64 exec, exec, s[4:5]
                                        ; implicit-def: $vgpr8
.LBB274_1056:
	s_andn2_saveexec_b64 s[26:27], s[26:27]
; %bb.1057:
	s_mov_b32 s4, 0x7f800000
	v_mov_b32_e32 v1, 0x7e
	v_mov_b32_e32 v15, 0x7f
	v_cmp_lt_u32_e64 s[4:5], s4, v8
	v_cndmask_b32_e64 v1, v1, v15, s[4:5]
; %bb.1058:
	s_or_b64 exec, exec, s[26:27]
	v_lshrrev_b32_e32 v0, 24, v0
	s_movk_i32 s4, 0x80
	v_and_or_b32 v8, v0, s4, v1
                                        ; implicit-def: $vgpr0_vgpr1
.LBB274_1059:
	s_andn2_saveexec_b64 s[24:25], s[24:25]
	s_cbranch_execz .LBB274_1069
; %bb.1060:
	flat_load_ubyte v0, v[0:1]
	s_mov_b32 s4, 0x43f00000
                                        ; implicit-def: $vgpr8
	s_waitcnt vmcnt(0) lgkmcnt(0)
	v_cvt_f32_ubyte0_e32 v0, v0
	v_cmp_gt_u32_e64 s[4:5], s4, v0
	s_and_saveexec_b64 s[26:27], s[4:5]
	s_xor_b64 s[26:27], exec, s[26:27]
	s_cbranch_execz .LBB274_1066
; %bb.1061:
	s_mov_b32 s4, 0x3c7fffff
	v_cmp_lt_u32_e64 s[4:5], s4, v0
                                        ; implicit-def: $vgpr8
	s_and_saveexec_b64 s[28:29], s[4:5]
	s_xor_b64 s[28:29], exec, s[28:29]
; %bb.1062:
	v_bfe_u32 v1, v0, 20, 1
	s_mov_b32 s4, 0x407ffff
	v_add3_u32 v0, v0, v1, s4
	v_lshrrev_b32_e32 v1, 20, v0
	v_and_b32_e32 v0, 0xff00000, v0
	s_mov_b32 s4, 0x7f00000
	v_mov_b32_e32 v8, 0x7e
	v_cmp_ne_u32_e64 s[4:5], s4, v0
	v_cndmask_b32_e64 v8, v8, v1, s[4:5]
                                        ; implicit-def: $vgpr0
; %bb.1063:
	s_andn2_saveexec_b64 s[4:5], s[28:29]
; %bb.1064:
	v_add_f32_e32 v8, 0x46800000, v0
; %bb.1065:
	s_or_b64 exec, exec, s[4:5]
                                        ; implicit-def: $vgpr0
.LBB274_1066:
	s_andn2_saveexec_b64 s[26:27], s[26:27]
; %bb.1067:
	s_mov_b32 s4, 0x7f800000
	v_mov_b32_e32 v1, 0x7e
	v_mov_b32_e32 v8, 0x7f
	v_cmp_lt_u32_e64 s[4:5], s4, v0
	v_cndmask_b32_e64 v8, v1, v8, s[4:5]
; %bb.1068:
	s_or_b64 exec, exec, s[26:27]
.LBB274_1069:
	s_or_b64 exec, exec, s[24:25]
.LBB274_1070:
	s_or_b64 exec, exec, s[22:23]
.LBB274_1071:
	s_or_b64 exec, exec, s[20:21]
	s_or_b64 s[8:9], s[8:9], exec
.LBB274_1072:
	s_or_b64 exec, exec, s[6:7]
	s_mov_b64 s[4:5], 0
	s_mov_b64 s[24:25], 0
                                        ; implicit-def: $sgpr6_sgpr7
                                        ; implicit-def: $vgpr0_vgpr1
                                        ; implicit-def: $vgpr21
	s_and_saveexec_b64 s[20:21], s[8:9]
	s_cbranch_execz .LBB274_2049
; %bb.1073:
	v_lshlrev_b32_e32 v17, 7, v17
	v_add_u32_e32 v18, v18, v17
	v_ashrrev_i32_e32 v1, 31, v18
	v_add_co_u32_e64 v0, s[4:5], v11, v18
	v_addc_co_u32_e64 v1, s[4:5], v12, v1, s[4:5]
	v_cmp_lt_i16_e64 s[4:5], 10, v9
	s_mov_b64 s[8:9], 0
	s_mov_b64 s[22:23], s[18:19]
                                        ; implicit-def: $vgpr15
	s_and_saveexec_b64 s[6:7], s[4:5]
	s_xor_b64 s[6:7], exec, s[6:7]
	s_cbranch_execz .LBB274_1168
; %bb.1074:
	v_cmp_lt_i16_e64 s[4:5], 25, v9
	s_mov_b64 s[26:27], 0
                                        ; implicit-def: $vgpr15
	s_and_saveexec_b64 s[22:23], s[4:5]
	s_xor_b64 s[22:23], exec, s[22:23]
	s_cbranch_execz .LBB274_2377
; %bb.1075:
	v_cmp_lt_i16_e64 s[4:5], 28, v9
	;; [unrolled: 7-line block ×3, first 2 shown]
	s_mov_b64 s[30:31], 0
	s_mov_b64 s[38:39], 0
                                        ; implicit-def: $vgpr15
	s_and_saveexec_b64 s[26:27], s[4:5]
	s_xor_b64 s[26:27], exec, s[26:27]
	s_cbranch_execz .LBB274_1102
; %bb.1077:
	v_cmp_lt_i16_e64 s[4:5], 45, v9
                                        ; implicit-def: $vgpr15
	s_and_saveexec_b64 s[38:39], s[4:5]
	s_xor_b64 s[38:39], exec, s[38:39]
	s_cbranch_execz .LBB274_1089
; %bb.1078:
	v_cmp_eq_u16_e64 s[4:5], 46, v9
	s_mov_b64 s[40:41], -1
                                        ; implicit-def: $vgpr15
	s_and_saveexec_b64 s[28:29], s[4:5]
	s_cbranch_execz .LBB274_1088
; %bb.1079:
	flat_load_dword v15, v[0:1]
	s_mov_b32 s4, 0x43f00000
                                        ; implicit-def: $vgpr21
	s_waitcnt vmcnt(0) lgkmcnt(0)
	v_lshlrev_b32_e32 v15, 16, v15
	v_and_b32_e32 v22, 0x7fffffff, v15
	v_cmp_gt_u32_e64 s[4:5], s4, v22
	s_and_saveexec_b64 s[30:31], s[4:5]
	s_xor_b64 s[30:31], exec, s[30:31]
	s_cbranch_execz .LBB274_1085
; %bb.1080:
	s_mov_b32 s4, 0x3c7fffff
	v_cmp_lt_u32_e64 s[4:5], s4, v22
                                        ; implicit-def: $vgpr21
	s_and_saveexec_b64 s[40:41], s[4:5]
	s_xor_b64 s[40:41], exec, s[40:41]
; %bb.1081:
	v_bfe_u32 v21, v15, 20, 1
	s_mov_b32 s4, 0x407ffff
	v_add3_u32 v21, v15, v21, s4
	v_lshrrev_b32_e32 v22, 20, v21
	v_and_b32_e32 v21, 0xff00000, v21
	s_mov_b32 s4, 0x7f00000
	v_mov_b32_e32 v23, 0x7e
	v_cmp_ne_u32_e64 s[4:5], s4, v21
	v_cndmask_b32_e64 v21, v23, v22, s[4:5]
; %bb.1082:
	s_andn2_saveexec_b64 s[4:5], s[40:41]
; %bb.1083:
	s_mov_b32 s33, 0x46800000
	v_add_f32_e64 v21, |v15|, s33
; %bb.1084:
	s_or_b64 exec, exec, s[4:5]
                                        ; implicit-def: $vgpr22
.LBB274_1085:
	s_andn2_saveexec_b64 s[30:31], s[30:31]
; %bb.1086:
	s_mov_b32 s4, 0x7f800000
	v_mov_b32_e32 v21, 0x7e
	v_mov_b32_e32 v23, 0x7f
	v_cmp_lt_u32_e64 s[4:5], s4, v22
	v_cndmask_b32_e64 v21, v21, v23, s[4:5]
; %bb.1087:
	s_or_b64 exec, exec, s[30:31]
	v_lshrrev_b32_e32 v15, 24, v15
	s_movk_i32 s4, 0x80
	s_mov_b64 s[30:31], exec
	v_and_or_b32 v15, v15, s4, v21
	s_xor_b64 s[40:41], exec, -1
.LBB274_1088:
	s_or_b64 exec, exec, s[28:29]
	s_and_b64 s[30:31], s[30:31], exec
	s_and_b64 s[28:29], s[40:41], exec
.LBB274_1089:
	s_andn2_saveexec_b64 s[38:39], s[38:39]
	s_cbranch_execz .LBB274_1101
; %bb.1090:
	v_cmp_eq_u16_e64 s[4:5], 44, v9
	s_mov_b64 s[42:43], -1
	s_mov_b64 s[44:45], s[30:31]
                                        ; implicit-def: $vgpr15
	s_and_saveexec_b64 s[40:41], s[4:5]
	s_cbranch_execz .LBB274_1100
; %bb.1091:
	flat_load_ubyte v15, v[0:1]
	s_movk_i32 s4, 0xff
	v_mov_b32_e32 v21, 0x7f800001
	v_mov_b32_e32 v22, 0x400000
	s_waitcnt vmcnt(0) lgkmcnt(0)
	v_lshlrev_b32_e32 v23, 23, v15
	v_cmp_ne_u32_e64 s[4:5], s4, v15
	v_cndmask_b32_e64 v21, v21, v23, s[4:5]
	v_cmp_ne_u32_e64 s[4:5], 0, v15
	v_cndmask_b32_e64 v21, v22, v21, s[4:5]
	s_mov_b32 s4, 0x43f00000
	v_cmp_gt_u32_e64 s[4:5], s4, v21
                                        ; implicit-def: $vgpr15
	s_and_saveexec_b64 s[42:43], s[4:5]
	s_xor_b64 s[42:43], exec, s[42:43]
	s_cbranch_execz .LBB274_1097
; %bb.1092:
	s_mov_b32 s4, 0x3c7fffff
	v_cmp_lt_u32_e64 s[4:5], s4, v21
                                        ; implicit-def: $vgpr15
	s_and_saveexec_b64 s[44:45], s[4:5]
	s_xor_b64 s[44:45], exec, s[44:45]
; %bb.1093:
	v_bfe_u32 v15, v21, 20, 1
	s_mov_b32 s4, 0x407ffff
	v_add3_u32 v15, v21, v15, s4
	v_lshrrev_b32_e32 v21, 20, v15
	v_and_b32_e32 v15, 0xff00000, v15
	s_mov_b32 s4, 0x7f00000
	v_mov_b32_e32 v22, 0x7e
	v_cmp_ne_u32_e64 s[4:5], s4, v15
	v_cndmask_b32_e64 v15, v22, v21, s[4:5]
                                        ; implicit-def: $vgpr21
; %bb.1094:
	s_andn2_saveexec_b64 s[4:5], s[44:45]
; %bb.1095:
	v_add_f32_e32 v15, 0x46800000, v21
; %bb.1096:
	s_or_b64 exec, exec, s[4:5]
                                        ; implicit-def: $vgpr21
.LBB274_1097:
	s_andn2_saveexec_b64 s[42:43], s[42:43]
; %bb.1098:
	s_mov_b32 s4, 0x7f800000
	v_mov_b32_e32 v15, 0x7e
	v_mov_b32_e32 v22, 0x7f
	v_cmp_lt_u32_e64 s[4:5], s4, v21
	v_cndmask_b32_e64 v15, v15, v22, s[4:5]
; %bb.1099:
	s_or_b64 exec, exec, s[42:43]
	s_or_b64 s[44:45], s[30:31], exec
	s_xor_b64 s[42:43], exec, -1
.LBB274_1100:
	s_or_b64 exec, exec, s[40:41]
	s_andn2_b64 s[4:5], s[30:31], exec
	s_and_b64 s[30:31], s[44:45], exec
	s_or_b64 s[30:31], s[4:5], s[30:31]
	s_andn2_b64 s[4:5], s[28:29], exec
	s_and_b64 s[28:29], s[42:43], exec
	s_or_b64 s[28:29], s[4:5], s[28:29]
.LBB274_1101:
	s_or_b64 exec, exec, s[38:39]
	s_and_b64 s[38:39], s[30:31], exec
	s_and_b64 s[30:31], s[28:29], exec
.LBB274_1102:
	s_andn2_saveexec_b64 s[26:27], s[26:27]
	s_cbranch_execz .LBB274_1114
; %bb.1103:
	v_cmp_eq_u16_e64 s[4:5], 29, v9
	s_mov_b64 s[40:41], -1
	s_mov_b64 s[42:43], s[38:39]
                                        ; implicit-def: $vgpr15
	s_and_saveexec_b64 s[28:29], s[4:5]
	s_cbranch_execz .LBB274_1113
; %bb.1104:
	flat_load_dwordx2 v[21:22], v[0:1]
	s_mov_b32 s4, 0x43f00000
	s_waitcnt vmcnt(0) lgkmcnt(0)
	v_ffbh_u32_e32 v15, v22
	v_min_u32_e32 v15, 32, v15
	v_lshlrev_b64 v[21:22], v15, v[21:22]
	v_sub_u32_e32 v15, 32, v15
	v_min_u32_e32 v21, 1, v21
	v_or_b32_e32 v21, v22, v21
	v_cvt_f32_u32_e32 v21, v21
	v_ldexp_f32 v21, v21, v15
	v_cmp_gt_u32_e64 s[4:5], s4, v21
                                        ; implicit-def: $vgpr15
	s_and_saveexec_b64 s[40:41], s[4:5]
	s_xor_b64 s[40:41], exec, s[40:41]
	s_cbranch_execz .LBB274_1110
; %bb.1105:
	s_mov_b32 s4, 0x3c7fffff
	v_cmp_lt_u32_e64 s[4:5], s4, v21
                                        ; implicit-def: $vgpr15
	s_and_saveexec_b64 s[42:43], s[4:5]
	s_xor_b64 s[42:43], exec, s[42:43]
; %bb.1106:
	v_bfe_u32 v15, v21, 20, 1
	s_mov_b32 s4, 0x407ffff
	v_add3_u32 v15, v21, v15, s4
	v_lshrrev_b32_e32 v21, 20, v15
	v_and_b32_e32 v15, 0xff00000, v15
	s_mov_b32 s4, 0x7f00000
	v_mov_b32_e32 v22, 0x7e
	v_cmp_ne_u32_e64 s[4:5], s4, v15
	v_cndmask_b32_e64 v15, v22, v21, s[4:5]
                                        ; implicit-def: $vgpr21
; %bb.1107:
	s_andn2_saveexec_b64 s[4:5], s[42:43]
; %bb.1108:
	v_add_f32_e32 v15, 0x46800000, v21
; %bb.1109:
	s_or_b64 exec, exec, s[4:5]
                                        ; implicit-def: $vgpr21
.LBB274_1110:
	s_andn2_saveexec_b64 s[40:41], s[40:41]
; %bb.1111:
	s_mov_b32 s4, 0x7f800000
	v_mov_b32_e32 v15, 0x7e
	v_mov_b32_e32 v22, 0x7f
	v_cmp_lt_u32_e64 s[4:5], s4, v21
	v_cndmask_b32_e64 v15, v15, v22, s[4:5]
; %bb.1112:
	s_or_b64 exec, exec, s[40:41]
	s_or_b64 s[42:43], s[38:39], exec
	s_xor_b64 s[40:41], exec, -1
.LBB274_1113:
	s_or_b64 exec, exec, s[28:29]
	s_andn2_b64 s[4:5], s[38:39], exec
	s_and_b64 s[28:29], s[42:43], exec
	s_or_b64 s[38:39], s[4:5], s[28:29]
	s_andn2_b64 s[4:5], s[30:31], exec
	s_and_b64 s[28:29], s[40:41], exec
	s_or_b64 s[30:31], s[4:5], s[28:29]
.LBB274_1114:
	s_or_b64 exec, exec, s[26:27]
	s_and_b64 s[28:29], s[38:39], exec
	s_and_b64 s[26:27], s[30:31], exec
.LBB274_1115:
	s_andn2_saveexec_b64 s[24:25], s[24:25]
	s_cbranch_execz .LBB274_1155
; %bb.1116:
	v_cmp_lt_i16_e64 s[4:5], 26, v9
                                        ; implicit-def: $vgpr15
	s_and_saveexec_b64 s[30:31], s[4:5]
	s_xor_b64 s[30:31], exec, s[30:31]
	s_cbranch_execz .LBB274_1138
; %bb.1117:
	v_cmp_lt_i16_e64 s[4:5], 27, v9
                                        ; implicit-def: $vgpr15
	s_and_saveexec_b64 s[38:39], s[4:5]
	s_xor_b64 s[38:39], exec, s[38:39]
	s_cbranch_execz .LBB274_1127
; %bb.1118:
	flat_load_dword v15, v[0:1]
	s_mov_b32 s4, 0x43f00000
	s_waitcnt vmcnt(0) lgkmcnt(0)
	v_cvt_f32_u32_e32 v21, v15
                                        ; implicit-def: $vgpr15
	v_cmp_gt_u32_e64 s[4:5], s4, v21
	s_and_saveexec_b64 s[40:41], s[4:5]
	s_xor_b64 s[40:41], exec, s[40:41]
	s_cbranch_execz .LBB274_1124
; %bb.1119:
	s_mov_b32 s4, 0x3c7fffff
	v_cmp_lt_u32_e64 s[4:5], s4, v21
                                        ; implicit-def: $vgpr15
	s_and_saveexec_b64 s[42:43], s[4:5]
	s_xor_b64 s[42:43], exec, s[42:43]
; %bb.1120:
	v_bfe_u32 v15, v21, 20, 1
	s_mov_b32 s4, 0x407ffff
	v_add3_u32 v15, v21, v15, s4
	v_lshrrev_b32_e32 v21, 20, v15
	v_and_b32_e32 v15, 0xff00000, v15
	s_mov_b32 s4, 0x7f00000
	v_mov_b32_e32 v22, 0x7e
	v_cmp_ne_u32_e64 s[4:5], s4, v15
	v_cndmask_b32_e64 v15, v22, v21, s[4:5]
                                        ; implicit-def: $vgpr21
; %bb.1121:
	s_andn2_saveexec_b64 s[4:5], s[42:43]
; %bb.1122:
	v_add_f32_e32 v15, 0x46800000, v21
; %bb.1123:
	s_or_b64 exec, exec, s[4:5]
                                        ; implicit-def: $vgpr21
.LBB274_1124:
	s_andn2_saveexec_b64 s[40:41], s[40:41]
; %bb.1125:
	s_mov_b32 s4, 0x7f800000
	v_mov_b32_e32 v15, 0x7e
	v_mov_b32_e32 v22, 0x7f
	v_cmp_lt_u32_e64 s[4:5], s4, v21
	v_cndmask_b32_e64 v15, v15, v22, s[4:5]
; %bb.1126:
	s_or_b64 exec, exec, s[40:41]
.LBB274_1127:
	s_andn2_saveexec_b64 s[38:39], s[38:39]
	s_cbranch_execz .LBB274_1137
; %bb.1128:
	flat_load_ushort v15, v[0:1]
	s_mov_b32 s4, 0x43f00000
	s_waitcnt vmcnt(0) lgkmcnt(0)
	v_cvt_f32_u32_e32 v21, v15
                                        ; implicit-def: $vgpr15
	v_cmp_gt_u32_e64 s[4:5], s4, v21
	s_and_saveexec_b64 s[40:41], s[4:5]
	s_xor_b64 s[40:41], exec, s[40:41]
	s_cbranch_execz .LBB274_1134
; %bb.1129:
	s_mov_b32 s4, 0x3c7fffff
	v_cmp_lt_u32_e64 s[4:5], s4, v21
                                        ; implicit-def: $vgpr15
	s_and_saveexec_b64 s[42:43], s[4:5]
	s_xor_b64 s[42:43], exec, s[42:43]
; %bb.1130:
	v_bfe_u32 v15, v21, 20, 1
	s_mov_b32 s4, 0x407ffff
	v_add3_u32 v15, v21, v15, s4
	v_lshrrev_b32_e32 v21, 20, v15
	v_and_b32_e32 v15, 0xff00000, v15
	s_mov_b32 s4, 0x7f00000
	v_mov_b32_e32 v22, 0x7e
	v_cmp_ne_u32_e64 s[4:5], s4, v15
	v_cndmask_b32_e64 v15, v22, v21, s[4:5]
                                        ; implicit-def: $vgpr21
; %bb.1131:
	s_andn2_saveexec_b64 s[4:5], s[42:43]
; %bb.1132:
	v_add_f32_e32 v15, 0x46800000, v21
; %bb.1133:
	s_or_b64 exec, exec, s[4:5]
                                        ; implicit-def: $vgpr21
.LBB274_1134:
	s_andn2_saveexec_b64 s[40:41], s[40:41]
; %bb.1135:
	s_mov_b32 s4, 0x7f800000
	v_mov_b32_e32 v15, 0x7e
	v_mov_b32_e32 v22, 0x7f
	v_cmp_lt_u32_e64 s[4:5], s4, v21
	v_cndmask_b32_e64 v15, v15, v22, s[4:5]
; %bb.1136:
	s_or_b64 exec, exec, s[40:41]
.LBB274_1137:
	s_or_b64 exec, exec, s[38:39]
.LBB274_1138:
	s_andn2_saveexec_b64 s[30:31], s[30:31]
	s_cbranch_execz .LBB274_1154
; %bb.1139:
	flat_load_ubyte v21, v[0:1]
	s_movk_i32 s4, 0x7f
	s_mov_b64 s[38:39], 0
	s_waitcnt vmcnt(0) lgkmcnt(0)
	v_cmp_lt_i16_e64 s[4:5], s4, v21
	s_and_saveexec_b64 s[40:41], s[4:5]
	s_xor_b64 s[40:41], exec, s[40:41]
	s_cbranch_execz .LBB274_2544
; %bb.1140:
	s_movk_i32 s4, 0x80
	v_cmp_eq_u16_e64 s[4:5], s4, v21
	s_mov_b64 s[38:39], -1
	s_and_saveexec_b64 s[42:43], s[4:5]
; %bb.1141:
	s_xor_b64 s[38:39], exec, -1
; %bb.1142:
	s_or_b64 exec, exec, s[42:43]
	s_and_b64 s[38:39], s[38:39], exec
	s_or_saveexec_b64 s[40:41], s[40:41]
	v_mov_b32_e32 v15, 0x7f800001
	s_xor_b64 exec, exec, s[40:41]
	s_cbranch_execnz .LBB274_2545
.LBB274_1143:
	s_or_b64 exec, exec, s[40:41]
	s_and_saveexec_b64 s[40:41], s[38:39]
	s_cbranch_execz .LBB274_1145
.LBB274_1144:
	v_lshlrev_b32_e32 v15, 24, v21
	v_and_b32_e32 v21, 0xffff, v21
	v_and_b32_e32 v22, 7, v21
	v_ffbh_u32_e32 v24, v22
	v_min_u32_e32 v24, 32, v24
	v_subrev_u32_e32 v25, 28, v24
	v_bfe_u32 v23, v21, 3, 4
	v_lshlrev_b32_e32 v21, v25, v21
	v_sub_u32_e32 v24, 29, v24
	v_and_b32_e32 v21, 7, v21
	v_cmp_eq_u32_e64 s[4:5], 0, v23
	v_cndmask_b32_e64 v23, v23, v24, s[4:5]
	v_cndmask_b32_e64 v21, v22, v21, s[4:5]
	v_mov_b32_e32 v22, 0x3b800000
	v_lshlrev_b32_e32 v21, 20, v21
	v_and_b32_e32 v15, 0x80000000, v15
	v_lshl_add_u32 v22, v23, 23, v22
	v_or3_b32 v15, v15, v22, v21
.LBB274_1145:
	s_or_b64 exec, exec, s[40:41]
	v_and_b32_e32 v22, 0x7fffffff, v15
	s_mov_b32 s4, 0x43f00000
	v_cmp_gt_u32_e64 s[4:5], s4, v22
                                        ; implicit-def: $vgpr21
	s_and_saveexec_b64 s[38:39], s[4:5]
	s_xor_b64 s[38:39], exec, s[38:39]
	s_cbranch_execz .LBB274_1151
; %bb.1146:
	s_mov_b32 s4, 0x3c7fffff
	v_cmp_lt_u32_e64 s[4:5], s4, v22
                                        ; implicit-def: $vgpr21
	s_and_saveexec_b64 s[40:41], s[4:5]
	s_xor_b64 s[40:41], exec, s[40:41]
; %bb.1147:
	v_bfe_u32 v21, v15, 20, 1
	s_mov_b32 s4, 0x407ffff
	v_add3_u32 v21, v15, v21, s4
	v_lshrrev_b32_e32 v22, 20, v21
	v_and_b32_e32 v21, 0xff00000, v21
	s_mov_b32 s4, 0x7f00000
	v_mov_b32_e32 v23, 0x7e
	v_cmp_ne_u32_e64 s[4:5], s4, v21
	v_cndmask_b32_e64 v21, v23, v22, s[4:5]
; %bb.1148:
	s_andn2_saveexec_b64 s[4:5], s[40:41]
; %bb.1149:
	s_mov_b32 s33, 0x46800000
	v_add_f32_e64 v21, |v15|, s33
; %bb.1150:
	s_or_b64 exec, exec, s[4:5]
                                        ; implicit-def: $vgpr22
.LBB274_1151:
	s_andn2_saveexec_b64 s[38:39], s[38:39]
; %bb.1152:
	s_mov_b32 s4, 0x7f800000
	v_mov_b32_e32 v21, 0x7e
	v_mov_b32_e32 v23, 0x7f
	v_cmp_lt_u32_e64 s[4:5], s4, v22
	v_cndmask_b32_e64 v21, v21, v23, s[4:5]
; %bb.1153:
	s_or_b64 exec, exec, s[38:39]
	v_lshrrev_b32_e32 v15, 24, v15
	s_movk_i32 s4, 0x80
	v_and_or_b32 v15, v15, s4, v21
.LBB274_1154:
	s_or_b64 exec, exec, s[30:31]
	s_or_b64 s[28:29], s[28:29], exec
.LBB274_1155:
	s_or_b64 exec, exec, s[24:25]
	s_and_b64 s[24:25], s[28:29], exec
	s_and_b64 s[26:27], s[26:27], exec
	s_andn2_saveexec_b64 s[22:23], s[22:23]
	s_cbranch_execnz .LBB274_2378
.LBB274_1156:
	s_or_b64 exec, exec, s[22:23]
	s_mov_b64 s[22:23], s[18:19]
	s_and_saveexec_b64 s[4:5], s[26:27]
	s_cbranch_execnz .LBB274_2427
.LBB274_1157:
	s_or_b64 exec, exec, s[4:5]
	s_and_saveexec_b64 s[26:27], s[8:9]
	s_cbranch_execz .LBB274_1167
.LBB274_1158:
	flat_load_ubyte v0, v[0:1]
                                        ; implicit-def: $vgpr15
	s_waitcnt vmcnt(0) lgkmcnt(0)
	v_cmp_ne_u16_e64 s[4:5], 0, v0
	v_cndmask_b32_e64 v0, 0, 1.0, s[4:5]
	s_mov_b32 s4, 0x43f00000
	v_cmp_gt_u32_e64 s[4:5], s4, v0
	s_and_saveexec_b64 s[8:9], s[4:5]
	s_xor_b64 s[8:9], exec, s[8:9]
	s_cbranch_execz .LBB274_1164
; %bb.1159:
	s_mov_b32 s4, 0x3c7fffff
	v_cmp_lt_u32_e64 s[4:5], s4, v0
                                        ; implicit-def: $vgpr15
	s_and_saveexec_b64 s[28:29], s[4:5]
	s_xor_b64 s[28:29], exec, s[28:29]
; %bb.1160:
	v_bfe_u32 v1, v0, 20, 1
	s_mov_b32 s4, 0x407ffff
	v_add3_u32 v0, v0, v1, s4
	v_lshrrev_b32_e32 v1, 20, v0
	v_and_b32_e32 v0, 0xff00000, v0
	s_mov_b32 s4, 0x7f00000
	v_mov_b32_e32 v15, 0x7e
	v_cmp_ne_u32_e64 s[4:5], s4, v0
	v_cndmask_b32_e64 v15, v15, v1, s[4:5]
                                        ; implicit-def: $vgpr0
; %bb.1161:
	s_andn2_saveexec_b64 s[4:5], s[28:29]
; %bb.1162:
	v_add_f32_e32 v15, 0x46800000, v0
; %bb.1163:
	s_or_b64 exec, exec, s[4:5]
                                        ; implicit-def: $vgpr0
.LBB274_1164:
	s_andn2_saveexec_b64 s[8:9], s[8:9]
; %bb.1165:
	s_mov_b32 s4, 0x7f800000
	v_mov_b32_e32 v1, 0x7e
	v_mov_b32_e32 v15, 0x7f
	v_cmp_lt_u32_e64 s[4:5], s4, v0
	v_cndmask_b32_e64 v15, v1, v15, s[4:5]
; %bb.1166:
	s_or_b64 exec, exec, s[8:9]
	s_or_b64 s[24:25], s[24:25], exec
.LBB274_1167:
	s_or_b64 exec, exec, s[26:27]
	s_andn2_b64 s[4:5], s[18:19], exec
	s_and_b64 s[8:9], s[22:23], exec
	s_or_b64 s[22:23], s[4:5], s[8:9]
	s_and_b64 s[8:9], s[24:25], exec
                                        ; implicit-def: $vgpr0_vgpr1
.LBB274_1168:
	s_andn2_saveexec_b64 s[6:7], s[6:7]
	s_cbranch_execz .LBB274_1298
; %bb.1169:
	v_cmp_lt_i16_e64 s[4:5], 4, v9
                                        ; implicit-def: $vgpr15
	s_and_saveexec_b64 s[24:25], s[4:5]
	s_xor_b64 s[24:25], exec, s[24:25]
	s_cbranch_execz .LBB274_1239
; %bb.1170:
	v_cmp_lt_i16_e64 s[4:5], 7, v9
                                        ; implicit-def: $vgpr15
	s_and_saveexec_b64 s[26:27], s[4:5]
	s_xor_b64 s[26:27], exec, s[26:27]
	;; [unrolled: 6-line block ×4, first 2 shown]
	s_cbranch_execz .LBB274_1182
; %bb.1173:
	flat_load_dwordx2 v[0:1], v[0:1]
	s_mov_b32 s4, 0x43f00000
	s_waitcnt vmcnt(0) lgkmcnt(0)
	v_cvt_f32_f64_e32 v0, v[0:1]
                                        ; implicit-def: $vgpr1
	v_and_b32_e32 v15, 0x7fffffff, v0
	v_cmp_gt_u32_e64 s[4:5], s4, v15
	s_and_saveexec_b64 s[38:39], s[4:5]
	s_xor_b64 s[38:39], exec, s[38:39]
	s_cbranch_execz .LBB274_1179
; %bb.1174:
	s_mov_b32 s4, 0x3c7fffff
	v_cmp_lt_u32_e64 s[4:5], s4, v15
                                        ; implicit-def: $vgpr1
	s_and_saveexec_b64 s[40:41], s[4:5]
	s_xor_b64 s[40:41], exec, s[40:41]
; %bb.1175:
	v_bfe_u32 v1, v0, 20, 1
	s_mov_b32 s4, 0x407ffff
	v_add3_u32 v1, v0, v1, s4
	v_lshrrev_b32_e32 v15, 20, v1
	v_and_b32_e32 v1, 0xff00000, v1
	s_mov_b32 s4, 0x7f00000
	v_mov_b32_e32 v21, 0x7e
	v_cmp_ne_u32_e64 s[4:5], s4, v1
	v_cndmask_b32_e64 v1, v21, v15, s[4:5]
; %bb.1176:
	s_andn2_saveexec_b64 s[4:5], s[40:41]
; %bb.1177:
	s_mov_b32 s33, 0x46800000
	v_add_f32_e64 v1, |v0|, s33
; %bb.1178:
	s_or_b64 exec, exec, s[4:5]
                                        ; implicit-def: $vgpr15
.LBB274_1179:
	s_andn2_saveexec_b64 s[38:39], s[38:39]
; %bb.1180:
	s_mov_b32 s4, 0x7f800000
	v_mov_b32_e32 v1, 0x7e
	v_mov_b32_e32 v21, 0x7f
	v_cmp_lt_u32_e64 s[4:5], s4, v15
	v_cndmask_b32_e64 v1, v1, v21, s[4:5]
; %bb.1181:
	s_or_b64 exec, exec, s[38:39]
	v_lshrrev_b32_e32 v0, 24, v0
	s_movk_i32 s4, 0x80
	v_and_or_b32 v15, v0, s4, v1
                                        ; implicit-def: $vgpr0_vgpr1
.LBB274_1182:
	s_andn2_saveexec_b64 s[30:31], s[30:31]
	s_cbranch_execz .LBB274_1192
; %bb.1183:
	flat_load_dword v0, v[0:1]
	s_mov_b32 s4, 0x43f00000
                                        ; implicit-def: $vgpr1
	s_waitcnt vmcnt(0) lgkmcnt(0)
	v_and_b32_e32 v15, 0x7fffffff, v0
	v_cmp_gt_u32_e64 s[4:5], s4, v15
	s_and_saveexec_b64 s[38:39], s[4:5]
	s_xor_b64 s[38:39], exec, s[38:39]
	s_cbranch_execz .LBB274_1189
; %bb.1184:
	s_mov_b32 s4, 0x3c7fffff
	v_cmp_lt_u32_e64 s[4:5], s4, v15
                                        ; implicit-def: $vgpr1
	s_and_saveexec_b64 s[40:41], s[4:5]
	s_xor_b64 s[40:41], exec, s[40:41]
; %bb.1185:
	v_bfe_u32 v1, v0, 20, 1
	s_mov_b32 s4, 0x407ffff
	v_add3_u32 v1, v0, v1, s4
	v_lshrrev_b32_e32 v15, 20, v1
	v_and_b32_e32 v1, 0xff00000, v1
	s_mov_b32 s4, 0x7f00000
	v_mov_b32_e32 v21, 0x7e
	v_cmp_ne_u32_e64 s[4:5], s4, v1
	v_cndmask_b32_e64 v1, v21, v15, s[4:5]
; %bb.1186:
	s_andn2_saveexec_b64 s[4:5], s[40:41]
; %bb.1187:
	s_mov_b32 s33, 0x46800000
	v_add_f32_e64 v1, |v0|, s33
; %bb.1188:
	s_or_b64 exec, exec, s[4:5]
                                        ; implicit-def: $vgpr15
.LBB274_1189:
	s_andn2_saveexec_b64 s[38:39], s[38:39]
; %bb.1190:
	s_mov_b32 s4, 0x7f800000
	v_mov_b32_e32 v1, 0x7e
	v_mov_b32_e32 v21, 0x7f
	v_cmp_lt_u32_e64 s[4:5], s4, v15
	v_cndmask_b32_e64 v1, v1, v21, s[4:5]
; %bb.1191:
	s_or_b64 exec, exec, s[38:39]
	v_lshrrev_b32_e32 v0, 24, v0
	s_movk_i32 s4, 0x80
	v_and_or_b32 v15, v0, s4, v1
.LBB274_1192:
	s_or_b64 exec, exec, s[30:31]
                                        ; implicit-def: $vgpr0_vgpr1
.LBB274_1193:
	s_andn2_saveexec_b64 s[28:29], s[28:29]
	s_cbranch_execz .LBB274_1203
; %bb.1194:
	flat_load_dword v0, v[0:1]
	s_mov_b32 s4, 0x43f00000
                                        ; implicit-def: $vgpr1
	s_waitcnt vmcnt(0) lgkmcnt(0)
	v_cvt_f32_f16_e32 v0, v0
	v_and_b32_e32 v15, 0x7fffffff, v0
	v_cmp_gt_u32_e64 s[4:5], s4, v15
	s_and_saveexec_b64 s[30:31], s[4:5]
	s_xor_b64 s[30:31], exec, s[30:31]
	s_cbranch_execz .LBB274_1200
; %bb.1195:
	s_mov_b32 s4, 0x3c7fffff
	v_cmp_lt_u32_e64 s[4:5], s4, v15
                                        ; implicit-def: $vgpr1
	s_and_saveexec_b64 s[38:39], s[4:5]
	s_xor_b64 s[38:39], exec, s[38:39]
; %bb.1196:
	v_bfe_u32 v1, v0, 20, 1
	s_mov_b32 s4, 0x407ffff
	v_add3_u32 v1, v0, v1, s4
	v_lshrrev_b32_e32 v15, 20, v1
	v_and_b32_e32 v1, 0xff00000, v1
	s_mov_b32 s4, 0x7f00000
	v_mov_b32_e32 v21, 0x7e
	v_cmp_ne_u32_e64 s[4:5], s4, v1
	v_cndmask_b32_e64 v1, v21, v15, s[4:5]
; %bb.1197:
	s_andn2_saveexec_b64 s[4:5], s[38:39]
; %bb.1198:
	s_mov_b32 s33, 0x46800000
	v_add_f32_e64 v1, |v0|, s33
; %bb.1199:
	s_or_b64 exec, exec, s[4:5]
                                        ; implicit-def: $vgpr15
.LBB274_1200:
	s_andn2_saveexec_b64 s[30:31], s[30:31]
; %bb.1201:
	s_mov_b32 s4, 0x7f800000
	v_mov_b32_e32 v1, 0x7e
	v_mov_b32_e32 v21, 0x7f
	v_cmp_lt_u32_e64 s[4:5], s4, v15
	v_cndmask_b32_e64 v1, v1, v21, s[4:5]
; %bb.1202:
	s_or_b64 exec, exec, s[30:31]
	v_lshrrev_b32_e32 v0, 24, v0
	s_movk_i32 s4, 0x80
	v_and_or_b32 v15, v0, s4, v1
.LBB274_1203:
	s_or_b64 exec, exec, s[28:29]
                                        ; implicit-def: $vgpr0_vgpr1
.LBB274_1204:
	s_andn2_saveexec_b64 s[26:27], s[26:27]
	s_cbranch_execz .LBB274_1238
; %bb.1205:
	v_cmp_lt_i16_e64 s[4:5], 5, v9
                                        ; implicit-def: $vgpr15
	s_and_saveexec_b64 s[28:29], s[4:5]
	s_xor_b64 s[28:29], exec, s[28:29]
	s_cbranch_execz .LBB274_1227
; %bb.1206:
	v_cmp_lt_i16_e64 s[4:5], 6, v9
                                        ; implicit-def: $vgpr15
	s_and_saveexec_b64 s[30:31], s[4:5]
	s_xor_b64 s[30:31], exec, s[30:31]
	s_cbranch_execz .LBB274_1216
; %bb.1207:
	flat_load_dwordx2 v[0:1], v[0:1]
	s_mov_b32 s4, 0x43f00000
	s_waitcnt vmcnt(0) lgkmcnt(0)
	v_cvt_f32_f64_e32 v0, v[0:1]
                                        ; implicit-def: $vgpr1
	v_and_b32_e32 v15, 0x7fffffff, v0
	v_cmp_gt_u32_e64 s[4:5], s4, v15
	s_and_saveexec_b64 s[38:39], s[4:5]
	s_xor_b64 s[38:39], exec, s[38:39]
	s_cbranch_execz .LBB274_1213
; %bb.1208:
	s_mov_b32 s4, 0x3c7fffff
	v_cmp_lt_u32_e64 s[4:5], s4, v15
                                        ; implicit-def: $vgpr1
	s_and_saveexec_b64 s[40:41], s[4:5]
	s_xor_b64 s[40:41], exec, s[40:41]
; %bb.1209:
	v_bfe_u32 v1, v0, 20, 1
	s_mov_b32 s4, 0x407ffff
	v_add3_u32 v1, v0, v1, s4
	v_lshrrev_b32_e32 v15, 20, v1
	v_and_b32_e32 v1, 0xff00000, v1
	s_mov_b32 s4, 0x7f00000
	v_mov_b32_e32 v21, 0x7e
	v_cmp_ne_u32_e64 s[4:5], s4, v1
	v_cndmask_b32_e64 v1, v21, v15, s[4:5]
; %bb.1210:
	s_andn2_saveexec_b64 s[4:5], s[40:41]
; %bb.1211:
	s_mov_b32 s33, 0x46800000
	v_add_f32_e64 v1, |v0|, s33
; %bb.1212:
	s_or_b64 exec, exec, s[4:5]
                                        ; implicit-def: $vgpr15
.LBB274_1213:
	s_andn2_saveexec_b64 s[38:39], s[38:39]
; %bb.1214:
	s_mov_b32 s4, 0x7f800000
	v_mov_b32_e32 v1, 0x7e
	v_mov_b32_e32 v21, 0x7f
	v_cmp_lt_u32_e64 s[4:5], s4, v15
	v_cndmask_b32_e64 v1, v1, v21, s[4:5]
; %bb.1215:
	s_or_b64 exec, exec, s[38:39]
	v_lshrrev_b32_e32 v0, 24, v0
	s_movk_i32 s4, 0x80
	v_and_or_b32 v15, v0, s4, v1
                                        ; implicit-def: $vgpr0_vgpr1
.LBB274_1216:
	s_andn2_saveexec_b64 s[30:31], s[30:31]
	s_cbranch_execz .LBB274_1226
; %bb.1217:
	flat_load_dword v0, v[0:1]
	s_mov_b32 s4, 0x43f00000
                                        ; implicit-def: $vgpr1
	s_waitcnt vmcnt(0) lgkmcnt(0)
	v_and_b32_e32 v15, 0x7fffffff, v0
	v_cmp_gt_u32_e64 s[4:5], s4, v15
	s_and_saveexec_b64 s[38:39], s[4:5]
	s_xor_b64 s[38:39], exec, s[38:39]
	s_cbranch_execz .LBB274_1223
; %bb.1218:
	s_mov_b32 s4, 0x3c7fffff
	v_cmp_lt_u32_e64 s[4:5], s4, v15
                                        ; implicit-def: $vgpr1
	s_and_saveexec_b64 s[40:41], s[4:5]
	s_xor_b64 s[40:41], exec, s[40:41]
; %bb.1219:
	v_bfe_u32 v1, v0, 20, 1
	s_mov_b32 s4, 0x407ffff
	v_add3_u32 v1, v0, v1, s4
	v_lshrrev_b32_e32 v15, 20, v1
	v_and_b32_e32 v1, 0xff00000, v1
	s_mov_b32 s4, 0x7f00000
	v_mov_b32_e32 v21, 0x7e
	v_cmp_ne_u32_e64 s[4:5], s4, v1
	v_cndmask_b32_e64 v1, v21, v15, s[4:5]
; %bb.1220:
	s_andn2_saveexec_b64 s[4:5], s[40:41]
; %bb.1221:
	s_mov_b32 s33, 0x46800000
	v_add_f32_e64 v1, |v0|, s33
; %bb.1222:
	s_or_b64 exec, exec, s[4:5]
                                        ; implicit-def: $vgpr15
.LBB274_1223:
	s_andn2_saveexec_b64 s[38:39], s[38:39]
; %bb.1224:
	s_mov_b32 s4, 0x7f800000
	v_mov_b32_e32 v1, 0x7e
	v_mov_b32_e32 v21, 0x7f
	v_cmp_lt_u32_e64 s[4:5], s4, v15
	v_cndmask_b32_e64 v1, v1, v21, s[4:5]
; %bb.1225:
	s_or_b64 exec, exec, s[38:39]
	v_lshrrev_b32_e32 v0, 24, v0
	s_movk_i32 s4, 0x80
	v_and_or_b32 v15, v0, s4, v1
.LBB274_1226:
	s_or_b64 exec, exec, s[30:31]
                                        ; implicit-def: $vgpr0_vgpr1
.LBB274_1227:
	s_andn2_saveexec_b64 s[28:29], s[28:29]
	s_cbranch_execz .LBB274_1237
; %bb.1228:
	flat_load_ushort v0, v[0:1]
	s_mov_b32 s4, 0x43f00000
                                        ; implicit-def: $vgpr1
	s_waitcnt vmcnt(0) lgkmcnt(0)
	v_cvt_f32_f16_e32 v0, v0
	v_and_b32_e32 v15, 0x7fffffff, v0
	v_cmp_gt_u32_e64 s[4:5], s4, v15
	s_and_saveexec_b64 s[30:31], s[4:5]
	s_xor_b64 s[30:31], exec, s[30:31]
	s_cbranch_execz .LBB274_1234
; %bb.1229:
	s_mov_b32 s4, 0x3c7fffff
	v_cmp_lt_u32_e64 s[4:5], s4, v15
                                        ; implicit-def: $vgpr1
	s_and_saveexec_b64 s[38:39], s[4:5]
	s_xor_b64 s[38:39], exec, s[38:39]
; %bb.1230:
	v_bfe_u32 v1, v0, 20, 1
	s_mov_b32 s4, 0x407ffff
	v_add3_u32 v1, v0, v1, s4
	v_lshrrev_b32_e32 v15, 20, v1
	v_and_b32_e32 v1, 0xff00000, v1
	s_mov_b32 s4, 0x7f00000
	v_mov_b32_e32 v21, 0x7e
	v_cmp_ne_u32_e64 s[4:5], s4, v1
	v_cndmask_b32_e64 v1, v21, v15, s[4:5]
; %bb.1231:
	s_andn2_saveexec_b64 s[4:5], s[38:39]
; %bb.1232:
	s_mov_b32 s33, 0x46800000
	v_add_f32_e64 v1, |v0|, s33
; %bb.1233:
	s_or_b64 exec, exec, s[4:5]
                                        ; implicit-def: $vgpr15
.LBB274_1234:
	s_andn2_saveexec_b64 s[30:31], s[30:31]
; %bb.1235:
	s_mov_b32 s4, 0x7f800000
	v_mov_b32_e32 v1, 0x7e
	v_mov_b32_e32 v21, 0x7f
	v_cmp_lt_u32_e64 s[4:5], s4, v15
	v_cndmask_b32_e64 v1, v1, v21, s[4:5]
; %bb.1236:
	s_or_b64 exec, exec, s[30:31]
	v_lshrrev_b32_e32 v0, 24, v0
	s_movk_i32 s4, 0x80
	v_and_or_b32 v15, v0, s4, v1
.LBB274_1237:
	s_or_b64 exec, exec, s[28:29]
.LBB274_1238:
	s_or_b64 exec, exec, s[26:27]
                                        ; implicit-def: $vgpr0_vgpr1
.LBB274_1239:
	s_andn2_saveexec_b64 s[24:25], s[24:25]
	s_cbranch_execz .LBB274_1297
; %bb.1240:
	v_cmp_lt_i16_e64 s[4:5], 1, v9
                                        ; implicit-def: $vgpr15
	s_and_saveexec_b64 s[26:27], s[4:5]
	s_xor_b64 s[26:27], exec, s[26:27]
	s_cbranch_execz .LBB274_1274
; %bb.1241:
	v_cmp_lt_i16_e64 s[4:5], 2, v9
                                        ; implicit-def: $vgpr15
	s_and_saveexec_b64 s[28:29], s[4:5]
	s_xor_b64 s[28:29], exec, s[28:29]
	;; [unrolled: 6-line block ×3, first 2 shown]
	s_cbranch_execz .LBB274_1252
; %bb.1243:
	flat_load_dwordx2 v[0:1], v[0:1]
	s_mov_b32 s4, 0x43f00000
	s_waitcnt vmcnt(0) lgkmcnt(0)
	v_xor_b32_e32 v21, v0, v1
	v_ffbh_i32_e32 v15, v1
	v_ashrrev_i32_e32 v21, 31, v21
	v_add_u32_e32 v15, -1, v15
	v_add_u32_e32 v21, 32, v21
	v_min_u32_e32 v15, v15, v21
	v_lshlrev_b64 v[0:1], v15, v[0:1]
	v_min_u32_e32 v0, 1, v0
	v_or_b32_e32 v0, v1, v0
	v_cvt_f32_i32_e32 v0, v0
	v_sub_u32_e32 v1, 32, v15
	v_ldexp_f32 v0, v0, v1
	v_and_b32_e32 v15, 0x7fffffff, v0
	v_cmp_gt_u32_e64 s[4:5], s4, v15
                                        ; implicit-def: $vgpr1
	s_and_saveexec_b64 s[38:39], s[4:5]
	s_xor_b64 s[38:39], exec, s[38:39]
	s_cbranch_execz .LBB274_1249
; %bb.1244:
	s_mov_b32 s4, 0x3c7fffff
	v_cmp_lt_u32_e64 s[4:5], s4, v15
                                        ; implicit-def: $vgpr1
	s_and_saveexec_b64 s[40:41], s[4:5]
	s_xor_b64 s[40:41], exec, s[40:41]
; %bb.1245:
	v_bfe_u32 v1, v0, 20, 1
	s_mov_b32 s4, 0x407ffff
	v_add3_u32 v1, v0, v1, s4
	v_lshrrev_b32_e32 v15, 20, v1
	v_and_b32_e32 v1, 0xff00000, v1
	s_mov_b32 s4, 0x7f00000
	v_mov_b32_e32 v21, 0x7e
	v_cmp_ne_u32_e64 s[4:5], s4, v1
	v_cndmask_b32_e64 v1, v21, v15, s[4:5]
; %bb.1246:
	s_andn2_saveexec_b64 s[4:5], s[40:41]
; %bb.1247:
	s_mov_b32 s33, 0x46800000
	v_add_f32_e64 v1, |v0|, s33
; %bb.1248:
	s_or_b64 exec, exec, s[4:5]
                                        ; implicit-def: $vgpr15
.LBB274_1249:
	s_andn2_saveexec_b64 s[38:39], s[38:39]
; %bb.1250:
	s_mov_b32 s4, 0x7f800000
	v_mov_b32_e32 v1, 0x7e
	v_mov_b32_e32 v21, 0x7f
	v_cmp_lt_u32_e64 s[4:5], s4, v15
	v_cndmask_b32_e64 v1, v1, v21, s[4:5]
; %bb.1251:
	s_or_b64 exec, exec, s[38:39]
	v_lshrrev_b32_e32 v0, 24, v0
	s_movk_i32 s4, 0x80
	v_and_or_b32 v15, v0, s4, v1
                                        ; implicit-def: $vgpr0_vgpr1
.LBB274_1252:
	s_andn2_saveexec_b64 s[30:31], s[30:31]
	s_cbranch_execz .LBB274_1262
; %bb.1253:
	flat_load_dword v0, v[0:1]
	s_mov_b32 s4, 0x43f00000
                                        ; implicit-def: $vgpr1
	s_waitcnt vmcnt(0) lgkmcnt(0)
	v_cvt_f32_i32_e32 v0, v0
	v_and_b32_e32 v15, 0x7fffffff, v0
	v_cmp_gt_u32_e64 s[4:5], s4, v15
	s_and_saveexec_b64 s[38:39], s[4:5]
	s_xor_b64 s[38:39], exec, s[38:39]
	s_cbranch_execz .LBB274_1259
; %bb.1254:
	s_mov_b32 s4, 0x3c7fffff
	v_cmp_lt_u32_e64 s[4:5], s4, v15
                                        ; implicit-def: $vgpr1
	s_and_saveexec_b64 s[40:41], s[4:5]
	s_xor_b64 s[40:41], exec, s[40:41]
; %bb.1255:
	v_bfe_u32 v1, v0, 20, 1
	s_mov_b32 s4, 0x407ffff
	v_add3_u32 v1, v0, v1, s4
	v_lshrrev_b32_e32 v15, 20, v1
	v_and_b32_e32 v1, 0xff00000, v1
	s_mov_b32 s4, 0x7f00000
	v_mov_b32_e32 v21, 0x7e
	v_cmp_ne_u32_e64 s[4:5], s4, v1
	v_cndmask_b32_e64 v1, v21, v15, s[4:5]
; %bb.1256:
	s_andn2_saveexec_b64 s[4:5], s[40:41]
; %bb.1257:
	s_mov_b32 s33, 0x46800000
	v_add_f32_e64 v1, |v0|, s33
; %bb.1258:
	s_or_b64 exec, exec, s[4:5]
                                        ; implicit-def: $vgpr15
.LBB274_1259:
	s_andn2_saveexec_b64 s[38:39], s[38:39]
; %bb.1260:
	s_mov_b32 s4, 0x7f800000
	v_mov_b32_e32 v1, 0x7e
	v_mov_b32_e32 v21, 0x7f
	v_cmp_lt_u32_e64 s[4:5], s4, v15
	v_cndmask_b32_e64 v1, v1, v21, s[4:5]
; %bb.1261:
	s_or_b64 exec, exec, s[38:39]
	v_lshrrev_b32_e32 v0, 24, v0
	s_movk_i32 s4, 0x80
	v_and_or_b32 v15, v0, s4, v1
.LBB274_1262:
	s_or_b64 exec, exec, s[30:31]
                                        ; implicit-def: $vgpr0_vgpr1
.LBB274_1263:
	s_andn2_saveexec_b64 s[28:29], s[28:29]
	s_cbranch_execz .LBB274_1273
; %bb.1264:
	flat_load_sshort v0, v[0:1]
	s_mov_b32 s4, 0x43f00000
                                        ; implicit-def: $vgpr1
	s_waitcnt vmcnt(0) lgkmcnt(0)
	v_cvt_f32_i32_e32 v0, v0
	v_and_b32_e32 v15, 0x7fffffff, v0
	v_cmp_gt_u32_e64 s[4:5], s4, v15
	s_and_saveexec_b64 s[30:31], s[4:5]
	s_xor_b64 s[30:31], exec, s[30:31]
	s_cbranch_execz .LBB274_1270
; %bb.1265:
	s_mov_b32 s4, 0x3c7fffff
	v_cmp_lt_u32_e64 s[4:5], s4, v15
                                        ; implicit-def: $vgpr1
	s_and_saveexec_b64 s[38:39], s[4:5]
	s_xor_b64 s[38:39], exec, s[38:39]
; %bb.1266:
	v_bfe_u32 v1, v0, 20, 1
	s_mov_b32 s4, 0x407ffff
	v_add3_u32 v1, v0, v1, s4
	v_lshrrev_b32_e32 v15, 20, v1
	v_and_b32_e32 v1, 0xff00000, v1
	s_mov_b32 s4, 0x7f00000
	v_mov_b32_e32 v21, 0x7e
	v_cmp_ne_u32_e64 s[4:5], s4, v1
	v_cndmask_b32_e64 v1, v21, v15, s[4:5]
; %bb.1267:
	s_andn2_saveexec_b64 s[4:5], s[38:39]
; %bb.1268:
	s_mov_b32 s33, 0x46800000
	v_add_f32_e64 v1, |v0|, s33
; %bb.1269:
	s_or_b64 exec, exec, s[4:5]
                                        ; implicit-def: $vgpr15
.LBB274_1270:
	s_andn2_saveexec_b64 s[30:31], s[30:31]
; %bb.1271:
	s_mov_b32 s4, 0x7f800000
	v_mov_b32_e32 v1, 0x7e
	v_mov_b32_e32 v21, 0x7f
	v_cmp_lt_u32_e64 s[4:5], s4, v15
	v_cndmask_b32_e64 v1, v1, v21, s[4:5]
; %bb.1272:
	s_or_b64 exec, exec, s[30:31]
	v_lshrrev_b32_e32 v0, 24, v0
	s_movk_i32 s4, 0x80
	v_and_or_b32 v15, v0, s4, v1
.LBB274_1273:
	s_or_b64 exec, exec, s[28:29]
                                        ; implicit-def: $vgpr0_vgpr1
.LBB274_1274:
	s_andn2_saveexec_b64 s[26:27], s[26:27]
	s_cbranch_execz .LBB274_1296
; %bb.1275:
	v_cmp_lt_i16_e64 s[4:5], 0, v9
                                        ; implicit-def: $vgpr15
	s_and_saveexec_b64 s[28:29], s[4:5]
	s_xor_b64 s[28:29], exec, s[28:29]
	s_cbranch_execz .LBB274_1285
; %bb.1276:
	flat_load_sbyte v0, v[0:1]
	s_mov_b32 s4, 0x43f00000
                                        ; implicit-def: $vgpr1
	s_waitcnt vmcnt(0) lgkmcnt(0)
	v_cvt_f32_i32_e32 v0, v0
	v_and_b32_e32 v15, 0x7fffffff, v0
	v_cmp_gt_u32_e64 s[4:5], s4, v15
	s_and_saveexec_b64 s[30:31], s[4:5]
	s_xor_b64 s[30:31], exec, s[30:31]
	s_cbranch_execz .LBB274_1282
; %bb.1277:
	s_mov_b32 s4, 0x3c7fffff
	v_cmp_lt_u32_e64 s[4:5], s4, v15
                                        ; implicit-def: $vgpr1
	s_and_saveexec_b64 s[38:39], s[4:5]
	s_xor_b64 s[38:39], exec, s[38:39]
; %bb.1278:
	v_bfe_u32 v1, v0, 20, 1
	s_mov_b32 s4, 0x407ffff
	v_add3_u32 v1, v0, v1, s4
	v_lshrrev_b32_e32 v15, 20, v1
	v_and_b32_e32 v1, 0xff00000, v1
	s_mov_b32 s4, 0x7f00000
	v_mov_b32_e32 v21, 0x7e
	v_cmp_ne_u32_e64 s[4:5], s4, v1
	v_cndmask_b32_e64 v1, v21, v15, s[4:5]
; %bb.1279:
	s_andn2_saveexec_b64 s[4:5], s[38:39]
; %bb.1280:
	s_mov_b32 s33, 0x46800000
	v_add_f32_e64 v1, |v0|, s33
; %bb.1281:
	s_or_b64 exec, exec, s[4:5]
                                        ; implicit-def: $vgpr15
.LBB274_1282:
	s_andn2_saveexec_b64 s[30:31], s[30:31]
; %bb.1283:
	s_mov_b32 s4, 0x7f800000
	v_mov_b32_e32 v1, 0x7e
	v_mov_b32_e32 v21, 0x7f
	v_cmp_lt_u32_e64 s[4:5], s4, v15
	v_cndmask_b32_e64 v1, v1, v21, s[4:5]
; %bb.1284:
	s_or_b64 exec, exec, s[30:31]
	v_lshrrev_b32_e32 v0, 24, v0
	s_movk_i32 s4, 0x80
	v_and_or_b32 v15, v0, s4, v1
                                        ; implicit-def: $vgpr0_vgpr1
.LBB274_1285:
	s_andn2_saveexec_b64 s[28:29], s[28:29]
	s_cbranch_execz .LBB274_1295
; %bb.1286:
	flat_load_ubyte v0, v[0:1]
	s_mov_b32 s4, 0x43f00000
                                        ; implicit-def: $vgpr15
	s_waitcnt vmcnt(0) lgkmcnt(0)
	v_cvt_f32_ubyte0_e32 v0, v0
	v_cmp_gt_u32_e64 s[4:5], s4, v0
	s_and_saveexec_b64 s[30:31], s[4:5]
	s_xor_b64 s[30:31], exec, s[30:31]
	s_cbranch_execz .LBB274_1292
; %bb.1287:
	s_mov_b32 s4, 0x3c7fffff
	v_cmp_lt_u32_e64 s[4:5], s4, v0
                                        ; implicit-def: $vgpr15
	s_and_saveexec_b64 s[38:39], s[4:5]
	s_xor_b64 s[38:39], exec, s[38:39]
; %bb.1288:
	v_bfe_u32 v1, v0, 20, 1
	s_mov_b32 s4, 0x407ffff
	v_add3_u32 v0, v0, v1, s4
	v_lshrrev_b32_e32 v1, 20, v0
	v_and_b32_e32 v0, 0xff00000, v0
	s_mov_b32 s4, 0x7f00000
	v_mov_b32_e32 v15, 0x7e
	v_cmp_ne_u32_e64 s[4:5], s4, v0
	v_cndmask_b32_e64 v15, v15, v1, s[4:5]
                                        ; implicit-def: $vgpr0
; %bb.1289:
	s_andn2_saveexec_b64 s[4:5], s[38:39]
; %bb.1290:
	v_add_f32_e32 v15, 0x46800000, v0
; %bb.1291:
	s_or_b64 exec, exec, s[4:5]
                                        ; implicit-def: $vgpr0
.LBB274_1292:
	s_andn2_saveexec_b64 s[30:31], s[30:31]
; %bb.1293:
	s_mov_b32 s4, 0x7f800000
	v_mov_b32_e32 v1, 0x7e
	v_mov_b32_e32 v15, 0x7f
	v_cmp_lt_u32_e64 s[4:5], s4, v0
	v_cndmask_b32_e64 v15, v1, v15, s[4:5]
; %bb.1294:
	s_or_b64 exec, exec, s[30:31]
.LBB274_1295:
	s_or_b64 exec, exec, s[28:29]
.LBB274_1296:
	s_or_b64 exec, exec, s[26:27]
.LBB274_1297:
	s_or_b64 exec, exec, s[24:25]
	s_or_b64 s[8:9], s[8:9], exec
.LBB274_1298:
	s_or_b64 exec, exec, s[6:7]
	s_mov_b64 s[4:5], 0
	s_mov_b64 s[28:29], 0
                                        ; implicit-def: $sgpr6_sgpr7
                                        ; implicit-def: $vgpr0_vgpr1
                                        ; implicit-def: $vgpr21
	s_and_saveexec_b64 s[24:25], s[8:9]
	s_cbranch_execz .LBB274_2048
; %bb.1299:
	v_add_u32_e32 v0, v20, v19
	v_ashrrev_i32_e32 v1, 31, v0
	v_add_co_u32_e64 v0, s[4:5], v13, v0
	v_addc_co_u32_e64 v1, s[4:5], v14, v1, s[4:5]
	v_cmp_lt_i16_e64 s[4:5], 10, v10
	s_mov_b64 s[8:9], 0
	s_mov_b64 s[26:27], s[22:23]
                                        ; implicit-def: $vgpr13
	s_and_saveexec_b64 s[6:7], s[4:5]
	s_xor_b64 s[6:7], exec, s[6:7]
	s_cbranch_execz .LBB274_1394
; %bb.1300:
	v_cmp_lt_i16_e64 s[4:5], 25, v10
	s_mov_b64 s[30:31], 0
                                        ; implicit-def: $vgpr13
	s_and_saveexec_b64 s[26:27], s[4:5]
	s_xor_b64 s[26:27], exec, s[26:27]
	s_cbranch_execz .LBB274_2430
; %bb.1301:
	v_cmp_lt_i16_e64 s[4:5], 28, v10
	;; [unrolled: 7-line block ×3, first 2 shown]
	s_mov_b64 s[40:41], 0
	s_mov_b64 s[42:43], 0
                                        ; implicit-def: $vgpr13
	s_and_saveexec_b64 s[30:31], s[4:5]
	s_xor_b64 s[30:31], exec, s[30:31]
	s_cbranch_execz .LBB274_1328
; %bb.1303:
	v_cmp_lt_i16_e64 s[4:5], 45, v10
                                        ; implicit-def: $vgpr13
	s_and_saveexec_b64 s[42:43], s[4:5]
	s_xor_b64 s[42:43], exec, s[42:43]
	s_cbranch_execz .LBB274_1315
; %bb.1304:
	v_cmp_eq_u16_e64 s[4:5], 46, v10
	s_mov_b64 s[44:45], -1
                                        ; implicit-def: $vgpr13
	s_and_saveexec_b64 s[38:39], s[4:5]
	s_cbranch_execz .LBB274_1314
; %bb.1305:
	flat_load_dword v10, v[0:1]
	s_mov_b32 s4, 0x43f00000
                                        ; implicit-def: $vgpr13
	s_waitcnt vmcnt(0) lgkmcnt(0)
	v_lshlrev_b32_e32 v10, 16, v10
	v_and_b32_e32 v14, 0x7fffffff, v10
	v_cmp_gt_u32_e64 s[4:5], s4, v14
	s_and_saveexec_b64 s[40:41], s[4:5]
	s_xor_b64 s[40:41], exec, s[40:41]
	s_cbranch_execz .LBB274_1311
; %bb.1306:
	s_mov_b32 s4, 0x3c7fffff
	v_cmp_lt_u32_e64 s[4:5], s4, v14
                                        ; implicit-def: $vgpr13
	s_and_saveexec_b64 s[44:45], s[4:5]
	s_xor_b64 s[44:45], exec, s[44:45]
; %bb.1307:
	v_bfe_u32 v13, v10, 20, 1
	s_mov_b32 s4, 0x407ffff
	v_add3_u32 v13, v10, v13, s4
	v_lshrrev_b32_e32 v14, 20, v13
	v_and_b32_e32 v13, 0xff00000, v13
	s_mov_b32 s4, 0x7f00000
	v_mov_b32_e32 v19, 0x7e
	v_cmp_ne_u32_e64 s[4:5], s4, v13
	v_cndmask_b32_e64 v13, v19, v14, s[4:5]
; %bb.1308:
	s_andn2_saveexec_b64 s[4:5], s[44:45]
; %bb.1309:
	s_mov_b32 s33, 0x46800000
	v_add_f32_e64 v13, |v10|, s33
; %bb.1310:
	s_or_b64 exec, exec, s[4:5]
                                        ; implicit-def: $vgpr14
.LBB274_1311:
	s_andn2_saveexec_b64 s[40:41], s[40:41]
; %bb.1312:
	s_mov_b32 s4, 0x7f800000
	v_mov_b32_e32 v13, 0x7e
	v_mov_b32_e32 v19, 0x7f
	v_cmp_lt_u32_e64 s[4:5], s4, v14
	v_cndmask_b32_e64 v13, v13, v19, s[4:5]
; %bb.1313:
	s_or_b64 exec, exec, s[40:41]
	v_lshrrev_b32_e32 v10, 24, v10
	s_movk_i32 s4, 0x80
	s_mov_b64 s[40:41], exec
	v_and_or_b32 v13, v10, s4, v13
	s_xor_b64 s[44:45], exec, -1
.LBB274_1314:
	s_or_b64 exec, exec, s[38:39]
	s_and_b64 s[40:41], s[40:41], exec
	s_and_b64 s[38:39], s[44:45], exec
                                        ; implicit-def: $vgpr10
.LBB274_1315:
	s_andn2_saveexec_b64 s[42:43], s[42:43]
	s_cbranch_execz .LBB274_1327
; %bb.1316:
	v_cmp_eq_u16_e64 s[4:5], 44, v10
	s_mov_b64 s[46:47], -1
	s_mov_b64 s[48:49], s[40:41]
                                        ; implicit-def: $vgpr13
	s_and_saveexec_b64 s[44:45], s[4:5]
	s_cbranch_execz .LBB274_1326
; %bb.1317:
	flat_load_ubyte v10, v[0:1]
	s_movk_i32 s4, 0xff
	v_mov_b32_e32 v13, 0x7f800001
	v_mov_b32_e32 v14, 0x400000
	s_waitcnt vmcnt(0) lgkmcnt(0)
	v_lshlrev_b32_e32 v19, 23, v10
	v_cmp_ne_u32_e64 s[4:5], s4, v10
	v_cndmask_b32_e64 v13, v13, v19, s[4:5]
	v_cmp_ne_u32_e64 s[4:5], 0, v10
	v_cndmask_b32_e64 v10, v14, v13, s[4:5]
	s_mov_b32 s4, 0x43f00000
	v_cmp_gt_u32_e64 s[4:5], s4, v10
                                        ; implicit-def: $vgpr13
	s_and_saveexec_b64 s[46:47], s[4:5]
	s_xor_b64 s[46:47], exec, s[46:47]
	s_cbranch_execz .LBB274_1323
; %bb.1318:
	s_mov_b32 s4, 0x3c7fffff
	v_cmp_lt_u32_e64 s[4:5], s4, v10
                                        ; implicit-def: $vgpr13
	s_and_saveexec_b64 s[48:49], s[4:5]
	s_xor_b64 s[48:49], exec, s[48:49]
; %bb.1319:
	v_bfe_u32 v13, v10, 20, 1
	s_mov_b32 s4, 0x407ffff
	v_add3_u32 v10, v10, v13, s4
	v_lshrrev_b32_e32 v13, 20, v10
	v_and_b32_e32 v10, 0xff00000, v10
	s_mov_b32 s4, 0x7f00000
	v_mov_b32_e32 v14, 0x7e
	v_cmp_ne_u32_e64 s[4:5], s4, v10
	v_cndmask_b32_e64 v13, v14, v13, s[4:5]
                                        ; implicit-def: $vgpr10
; %bb.1320:
	s_andn2_saveexec_b64 s[4:5], s[48:49]
; %bb.1321:
	v_add_f32_e32 v13, 0x46800000, v10
; %bb.1322:
	s_or_b64 exec, exec, s[4:5]
                                        ; implicit-def: $vgpr10
.LBB274_1323:
	s_andn2_saveexec_b64 s[46:47], s[46:47]
; %bb.1324:
	s_mov_b32 s4, 0x7f800000
	v_mov_b32_e32 v13, 0x7e
	v_mov_b32_e32 v14, 0x7f
	v_cmp_lt_u32_e64 s[4:5], s4, v10
	v_cndmask_b32_e64 v13, v13, v14, s[4:5]
; %bb.1325:
	s_or_b64 exec, exec, s[46:47]
	s_or_b64 s[48:49], s[40:41], exec
	s_xor_b64 s[46:47], exec, -1
.LBB274_1326:
	s_or_b64 exec, exec, s[44:45]
	s_andn2_b64 s[4:5], s[40:41], exec
	s_and_b64 s[40:41], s[48:49], exec
	s_or_b64 s[40:41], s[4:5], s[40:41]
	s_andn2_b64 s[4:5], s[38:39], exec
	s_and_b64 s[38:39], s[46:47], exec
	s_or_b64 s[38:39], s[4:5], s[38:39]
.LBB274_1327:
	s_or_b64 exec, exec, s[42:43]
	s_and_b64 s[42:43], s[40:41], exec
	s_and_b64 s[40:41], s[38:39], exec
                                        ; implicit-def: $vgpr10
.LBB274_1328:
	s_andn2_saveexec_b64 s[30:31], s[30:31]
	s_cbranch_execz .LBB274_1340
; %bb.1329:
	v_cmp_eq_u16_e64 s[4:5], 29, v10
	s_mov_b64 s[44:45], -1
	s_mov_b64 s[46:47], s[42:43]
                                        ; implicit-def: $vgpr13
	s_and_saveexec_b64 s[38:39], s[4:5]
	s_cbranch_execz .LBB274_1339
; %bb.1330:
	flat_load_dwordx2 v[13:14], v[0:1]
	s_mov_b32 s4, 0x43f00000
	s_waitcnt vmcnt(0) lgkmcnt(0)
	v_ffbh_u32_e32 v10, v14
	v_min_u32_e32 v10, 32, v10
	v_lshlrev_b64 v[13:14], v10, v[13:14]
	v_sub_u32_e32 v10, 32, v10
	v_min_u32_e32 v13, 1, v13
	v_or_b32_e32 v13, v14, v13
	v_cvt_f32_u32_e32 v13, v13
	v_ldexp_f32 v10, v13, v10
	v_cmp_gt_u32_e64 s[4:5], s4, v10
                                        ; implicit-def: $vgpr13
	s_and_saveexec_b64 s[44:45], s[4:5]
	s_xor_b64 s[44:45], exec, s[44:45]
	s_cbranch_execz .LBB274_1336
; %bb.1331:
	s_mov_b32 s4, 0x3c7fffff
	v_cmp_lt_u32_e64 s[4:5], s4, v10
                                        ; implicit-def: $vgpr13
	s_and_saveexec_b64 s[46:47], s[4:5]
	s_xor_b64 s[46:47], exec, s[46:47]
; %bb.1332:
	v_bfe_u32 v13, v10, 20, 1
	s_mov_b32 s4, 0x407ffff
	v_add3_u32 v10, v10, v13, s4
	v_lshrrev_b32_e32 v13, 20, v10
	v_and_b32_e32 v10, 0xff00000, v10
	s_mov_b32 s4, 0x7f00000
	v_mov_b32_e32 v14, 0x7e
	v_cmp_ne_u32_e64 s[4:5], s4, v10
	v_cndmask_b32_e64 v13, v14, v13, s[4:5]
                                        ; implicit-def: $vgpr10
; %bb.1333:
	s_andn2_saveexec_b64 s[4:5], s[46:47]
; %bb.1334:
	v_add_f32_e32 v13, 0x46800000, v10
; %bb.1335:
	s_or_b64 exec, exec, s[4:5]
                                        ; implicit-def: $vgpr10
.LBB274_1336:
	s_andn2_saveexec_b64 s[44:45], s[44:45]
; %bb.1337:
	s_mov_b32 s4, 0x7f800000
	v_mov_b32_e32 v13, 0x7e
	v_mov_b32_e32 v14, 0x7f
	v_cmp_lt_u32_e64 s[4:5], s4, v10
	v_cndmask_b32_e64 v13, v13, v14, s[4:5]
; %bb.1338:
	s_or_b64 exec, exec, s[44:45]
	s_or_b64 s[46:47], s[42:43], exec
	s_xor_b64 s[44:45], exec, -1
.LBB274_1339:
	s_or_b64 exec, exec, s[38:39]
	s_andn2_b64 s[4:5], s[42:43], exec
	s_and_b64 s[38:39], s[46:47], exec
	s_or_b64 s[42:43], s[4:5], s[38:39]
	s_andn2_b64 s[4:5], s[40:41], exec
	s_and_b64 s[38:39], s[44:45], exec
	s_or_b64 s[40:41], s[4:5], s[38:39]
.LBB274_1340:
	s_or_b64 exec, exec, s[30:31]
	s_and_b64 s[38:39], s[42:43], exec
	s_and_b64 s[30:31], s[40:41], exec
                                        ; implicit-def: $vgpr10
.LBB274_1341:
	s_andn2_saveexec_b64 s[28:29], s[28:29]
	s_cbranch_execz .LBB274_1381
; %bb.1342:
	v_cmp_lt_i16_e64 s[4:5], 26, v10
                                        ; implicit-def: $vgpr13
	s_and_saveexec_b64 s[40:41], s[4:5]
	s_xor_b64 s[40:41], exec, s[40:41]
	s_cbranch_execz .LBB274_1364
; %bb.1343:
	v_cmp_lt_i16_e64 s[4:5], 27, v10
                                        ; implicit-def: $vgpr13
	s_and_saveexec_b64 s[42:43], s[4:5]
	s_xor_b64 s[42:43], exec, s[42:43]
	s_cbranch_execz .LBB274_1353
; %bb.1344:
	flat_load_dword v10, v[0:1]
	s_mov_b32 s4, 0x43f00000
                                        ; implicit-def: $vgpr13
	s_waitcnt vmcnt(0) lgkmcnt(0)
	v_cvt_f32_u32_e32 v10, v10
	v_cmp_gt_u32_e64 s[4:5], s4, v10
	s_and_saveexec_b64 s[44:45], s[4:5]
	s_xor_b64 s[44:45], exec, s[44:45]
	s_cbranch_execz .LBB274_1350
; %bb.1345:
	s_mov_b32 s4, 0x3c7fffff
	v_cmp_lt_u32_e64 s[4:5], s4, v10
                                        ; implicit-def: $vgpr13
	s_and_saveexec_b64 s[46:47], s[4:5]
	s_xor_b64 s[46:47], exec, s[46:47]
; %bb.1346:
	v_bfe_u32 v13, v10, 20, 1
	s_mov_b32 s4, 0x407ffff
	v_add3_u32 v10, v10, v13, s4
	v_lshrrev_b32_e32 v13, 20, v10
	v_and_b32_e32 v10, 0xff00000, v10
	s_mov_b32 s4, 0x7f00000
	v_mov_b32_e32 v14, 0x7e
	v_cmp_ne_u32_e64 s[4:5], s4, v10
	v_cndmask_b32_e64 v13, v14, v13, s[4:5]
                                        ; implicit-def: $vgpr10
; %bb.1347:
	s_andn2_saveexec_b64 s[4:5], s[46:47]
; %bb.1348:
	v_add_f32_e32 v13, 0x46800000, v10
; %bb.1349:
	s_or_b64 exec, exec, s[4:5]
                                        ; implicit-def: $vgpr10
.LBB274_1350:
	s_andn2_saveexec_b64 s[44:45], s[44:45]
; %bb.1351:
	s_mov_b32 s4, 0x7f800000
	v_mov_b32_e32 v13, 0x7e
	v_mov_b32_e32 v14, 0x7f
	v_cmp_lt_u32_e64 s[4:5], s4, v10
	v_cndmask_b32_e64 v13, v13, v14, s[4:5]
; %bb.1352:
	s_or_b64 exec, exec, s[44:45]
.LBB274_1353:
	s_andn2_saveexec_b64 s[42:43], s[42:43]
	s_cbranch_execz .LBB274_1363
; %bb.1354:
	flat_load_ushort v10, v[0:1]
	s_mov_b32 s4, 0x43f00000
                                        ; implicit-def: $vgpr13
	s_waitcnt vmcnt(0) lgkmcnt(0)
	v_cvt_f32_u32_e32 v10, v10
	v_cmp_gt_u32_e64 s[4:5], s4, v10
	s_and_saveexec_b64 s[44:45], s[4:5]
	s_xor_b64 s[44:45], exec, s[44:45]
	s_cbranch_execz .LBB274_1360
; %bb.1355:
	s_mov_b32 s4, 0x3c7fffff
	v_cmp_lt_u32_e64 s[4:5], s4, v10
                                        ; implicit-def: $vgpr13
	s_and_saveexec_b64 s[46:47], s[4:5]
	s_xor_b64 s[46:47], exec, s[46:47]
; %bb.1356:
	v_bfe_u32 v13, v10, 20, 1
	s_mov_b32 s4, 0x407ffff
	v_add3_u32 v10, v10, v13, s4
	v_lshrrev_b32_e32 v13, 20, v10
	v_and_b32_e32 v10, 0xff00000, v10
	s_mov_b32 s4, 0x7f00000
	v_mov_b32_e32 v14, 0x7e
	v_cmp_ne_u32_e64 s[4:5], s4, v10
	v_cndmask_b32_e64 v13, v14, v13, s[4:5]
                                        ; implicit-def: $vgpr10
; %bb.1357:
	s_andn2_saveexec_b64 s[4:5], s[46:47]
; %bb.1358:
	v_add_f32_e32 v13, 0x46800000, v10
; %bb.1359:
	s_or_b64 exec, exec, s[4:5]
                                        ; implicit-def: $vgpr10
.LBB274_1360:
	s_andn2_saveexec_b64 s[44:45], s[44:45]
; %bb.1361:
	s_mov_b32 s4, 0x7f800000
	v_mov_b32_e32 v13, 0x7e
	v_mov_b32_e32 v14, 0x7f
	v_cmp_lt_u32_e64 s[4:5], s4, v10
	v_cndmask_b32_e64 v13, v13, v14, s[4:5]
; %bb.1362:
	s_or_b64 exec, exec, s[44:45]
.LBB274_1363:
	s_or_b64 exec, exec, s[42:43]
.LBB274_1364:
	s_andn2_saveexec_b64 s[40:41], s[40:41]
	s_cbranch_execz .LBB274_1380
; %bb.1365:
	flat_load_ubyte v13, v[0:1]
	s_movk_i32 s4, 0x7f
	s_mov_b64 s[42:43], 0
	s_waitcnt vmcnt(0) lgkmcnt(0)
	v_cmp_lt_i16_e64 s[4:5], s4, v13
	s_and_saveexec_b64 s[44:45], s[4:5]
	s_xor_b64 s[44:45], exec, s[44:45]
	s_cbranch_execz .LBB274_2595
; %bb.1366:
	s_movk_i32 s4, 0x80
	v_cmp_eq_u16_e64 s[4:5], s4, v13
	s_mov_b64 s[42:43], -1
	s_and_saveexec_b64 s[46:47], s[4:5]
; %bb.1367:
	s_xor_b64 s[42:43], exec, -1
; %bb.1368:
	s_or_b64 exec, exec, s[46:47]
	s_and_b64 s[42:43], s[42:43], exec
	s_or_saveexec_b64 s[44:45], s[44:45]
	v_mov_b32_e32 v10, 0x7f800001
	s_xor_b64 exec, exec, s[44:45]
	s_cbranch_execnz .LBB274_2596
.LBB274_1369:
	s_or_b64 exec, exec, s[44:45]
	s_and_saveexec_b64 s[44:45], s[42:43]
	s_cbranch_execz .LBB274_1371
.LBB274_1370:
	v_lshlrev_b32_e32 v10, 24, v13
	v_and_b32_e32 v13, 0xffff, v13
	v_and_b32_e32 v14, 7, v13
	v_ffbh_u32_e32 v20, v14
	v_min_u32_e32 v20, 32, v20
	v_subrev_u32_e32 v21, 28, v20
	v_bfe_u32 v19, v13, 3, 4
	v_lshlrev_b32_e32 v13, v21, v13
	v_sub_u32_e32 v20, 29, v20
	v_and_b32_e32 v13, 7, v13
	v_cmp_eq_u32_e64 s[4:5], 0, v19
	v_cndmask_b32_e64 v19, v19, v20, s[4:5]
	v_cndmask_b32_e64 v13, v14, v13, s[4:5]
	v_mov_b32_e32 v14, 0x3b800000
	v_lshlrev_b32_e32 v13, 20, v13
	v_and_b32_e32 v10, 0x80000000, v10
	v_lshl_add_u32 v14, v19, 23, v14
	v_or3_b32 v10, v10, v14, v13
.LBB274_1371:
	s_or_b64 exec, exec, s[44:45]
	v_and_b32_e32 v14, 0x7fffffff, v10
	s_mov_b32 s4, 0x43f00000
	v_cmp_gt_u32_e64 s[4:5], s4, v14
                                        ; implicit-def: $vgpr13
	s_and_saveexec_b64 s[42:43], s[4:5]
	s_xor_b64 s[42:43], exec, s[42:43]
	s_cbranch_execz .LBB274_1377
; %bb.1372:
	s_mov_b32 s4, 0x3c7fffff
	v_cmp_lt_u32_e64 s[4:5], s4, v14
                                        ; implicit-def: $vgpr13
	s_and_saveexec_b64 s[44:45], s[4:5]
	s_xor_b64 s[44:45], exec, s[44:45]
; %bb.1373:
	v_bfe_u32 v13, v10, 20, 1
	s_mov_b32 s4, 0x407ffff
	v_add3_u32 v13, v10, v13, s4
	v_lshrrev_b32_e32 v14, 20, v13
	v_and_b32_e32 v13, 0xff00000, v13
	s_mov_b32 s4, 0x7f00000
	v_mov_b32_e32 v19, 0x7e
	v_cmp_ne_u32_e64 s[4:5], s4, v13
	v_cndmask_b32_e64 v13, v19, v14, s[4:5]
; %bb.1374:
	s_andn2_saveexec_b64 s[4:5], s[44:45]
; %bb.1375:
	s_mov_b32 s33, 0x46800000
	v_add_f32_e64 v13, |v10|, s33
; %bb.1376:
	s_or_b64 exec, exec, s[4:5]
                                        ; implicit-def: $vgpr14
.LBB274_1377:
	s_andn2_saveexec_b64 s[42:43], s[42:43]
; %bb.1378:
	s_mov_b32 s4, 0x7f800000
	v_mov_b32_e32 v13, 0x7e
	v_mov_b32_e32 v19, 0x7f
	v_cmp_lt_u32_e64 s[4:5], s4, v14
	v_cndmask_b32_e64 v13, v13, v19, s[4:5]
; %bb.1379:
	s_or_b64 exec, exec, s[42:43]
	v_lshrrev_b32_e32 v10, 24, v10
	s_movk_i32 s4, 0x80
	v_and_or_b32 v13, v10, s4, v13
.LBB274_1380:
	s_or_b64 exec, exec, s[40:41]
	s_or_b64 s[38:39], s[38:39], exec
.LBB274_1381:
	s_or_b64 exec, exec, s[28:29]
	s_and_b64 s[28:29], s[38:39], exec
	s_and_b64 s[30:31], s[30:31], exec
                                        ; implicit-def: $vgpr10
	s_andn2_saveexec_b64 s[26:27], s[26:27]
	s_cbranch_execnz .LBB274_2431
.LBB274_1382:
	s_or_b64 exec, exec, s[26:27]
	s_mov_b64 s[26:27], s[22:23]
	s_and_saveexec_b64 s[4:5], s[30:31]
	s_cbranch_execnz .LBB274_2480
.LBB274_1383:
	s_or_b64 exec, exec, s[4:5]
	s_and_saveexec_b64 s[30:31], s[8:9]
	s_cbranch_execz .LBB274_1393
.LBB274_1384:
	flat_load_ubyte v0, v[0:1]
                                        ; implicit-def: $vgpr13
	s_waitcnt vmcnt(0) lgkmcnt(0)
	v_cmp_ne_u16_e64 s[4:5], 0, v0
	v_cndmask_b32_e64 v0, 0, 1.0, s[4:5]
	s_mov_b32 s4, 0x43f00000
	v_cmp_gt_u32_e64 s[4:5], s4, v0
	s_and_saveexec_b64 s[8:9], s[4:5]
	s_xor_b64 s[8:9], exec, s[8:9]
	s_cbranch_execz .LBB274_1390
; %bb.1385:
	s_mov_b32 s4, 0x3c7fffff
	v_cmp_lt_u32_e64 s[4:5], s4, v0
                                        ; implicit-def: $vgpr13
	s_and_saveexec_b64 s[38:39], s[4:5]
	s_xor_b64 s[38:39], exec, s[38:39]
; %bb.1386:
	v_bfe_u32 v1, v0, 20, 1
	s_mov_b32 s4, 0x407ffff
	v_add3_u32 v0, v0, v1, s4
	v_lshrrev_b32_e32 v1, 20, v0
	v_and_b32_e32 v0, 0xff00000, v0
	s_mov_b32 s4, 0x7f00000
	v_mov_b32_e32 v10, 0x7e
	v_cmp_ne_u32_e64 s[4:5], s4, v0
	v_cndmask_b32_e64 v13, v10, v1, s[4:5]
                                        ; implicit-def: $vgpr0
; %bb.1387:
	s_andn2_saveexec_b64 s[4:5], s[38:39]
; %bb.1388:
	v_add_f32_e32 v13, 0x46800000, v0
; %bb.1389:
	s_or_b64 exec, exec, s[4:5]
                                        ; implicit-def: $vgpr0
.LBB274_1390:
	s_andn2_saveexec_b64 s[8:9], s[8:9]
; %bb.1391:
	s_mov_b32 s4, 0x7f800000
	v_mov_b32_e32 v1, 0x7e
	v_mov_b32_e32 v10, 0x7f
	v_cmp_lt_u32_e64 s[4:5], s4, v0
	v_cndmask_b32_e64 v13, v1, v10, s[4:5]
; %bb.1392:
	s_or_b64 exec, exec, s[8:9]
	s_or_b64 s[28:29], s[28:29], exec
.LBB274_1393:
	s_or_b64 exec, exec, s[30:31]
	s_andn2_b64 s[4:5], s[22:23], exec
	s_and_b64 s[8:9], s[26:27], exec
	s_or_b64 s[26:27], s[4:5], s[8:9]
	s_and_b64 s[8:9], s[28:29], exec
                                        ; implicit-def: $vgpr10
                                        ; implicit-def: $vgpr0_vgpr1
.LBB274_1394:
	s_andn2_saveexec_b64 s[6:7], s[6:7]
	s_cbranch_execz .LBB274_1524
; %bb.1395:
	v_cmp_lt_i16_e64 s[4:5], 4, v10
                                        ; implicit-def: $vgpr13
	s_and_saveexec_b64 s[28:29], s[4:5]
	s_xor_b64 s[28:29], exec, s[28:29]
	s_cbranch_execz .LBB274_1465
; %bb.1396:
	v_cmp_lt_i16_e64 s[4:5], 7, v10
                                        ; implicit-def: $vgpr13
	s_and_saveexec_b64 s[30:31], s[4:5]
	s_xor_b64 s[30:31], exec, s[30:31]
	;; [unrolled: 6-line block ×4, first 2 shown]
	s_cbranch_execz .LBB274_1408
; %bb.1399:
	flat_load_dwordx2 v[0:1], v[0:1]
	s_mov_b32 s4, 0x43f00000
	s_waitcnt vmcnt(0) lgkmcnt(0)
	v_cvt_f32_f64_e32 v0, v[0:1]
                                        ; implicit-def: $vgpr1
	v_and_b32_e32 v10, 0x7fffffff, v0
	v_cmp_gt_u32_e64 s[4:5], s4, v10
	s_and_saveexec_b64 s[42:43], s[4:5]
	s_xor_b64 s[42:43], exec, s[42:43]
	s_cbranch_execz .LBB274_1405
; %bb.1400:
	s_mov_b32 s4, 0x3c7fffff
	v_cmp_lt_u32_e64 s[4:5], s4, v10
                                        ; implicit-def: $vgpr1
	s_and_saveexec_b64 s[44:45], s[4:5]
	s_xor_b64 s[44:45], exec, s[44:45]
; %bb.1401:
	v_bfe_u32 v1, v0, 20, 1
	s_mov_b32 s4, 0x407ffff
	v_add3_u32 v1, v0, v1, s4
	v_lshrrev_b32_e32 v10, 20, v1
	v_and_b32_e32 v1, 0xff00000, v1
	s_mov_b32 s4, 0x7f00000
	v_mov_b32_e32 v13, 0x7e
	v_cmp_ne_u32_e64 s[4:5], s4, v1
	v_cndmask_b32_e64 v1, v13, v10, s[4:5]
; %bb.1402:
	s_andn2_saveexec_b64 s[4:5], s[44:45]
; %bb.1403:
	s_mov_b32 s33, 0x46800000
	v_add_f32_e64 v1, |v0|, s33
; %bb.1404:
	s_or_b64 exec, exec, s[4:5]
                                        ; implicit-def: $vgpr10
.LBB274_1405:
	s_andn2_saveexec_b64 s[42:43], s[42:43]
; %bb.1406:
	s_mov_b32 s4, 0x7f800000
	v_mov_b32_e32 v1, 0x7e
	v_mov_b32_e32 v13, 0x7f
	v_cmp_lt_u32_e64 s[4:5], s4, v10
	v_cndmask_b32_e64 v1, v1, v13, s[4:5]
; %bb.1407:
	s_or_b64 exec, exec, s[42:43]
	v_lshrrev_b32_e32 v0, 24, v0
	s_movk_i32 s4, 0x80
	v_and_or_b32 v13, v0, s4, v1
                                        ; implicit-def: $vgpr0_vgpr1
.LBB274_1408:
	s_andn2_saveexec_b64 s[40:41], s[40:41]
	s_cbranch_execz .LBB274_1418
; %bb.1409:
	flat_load_dword v0, v[0:1]
	s_mov_b32 s4, 0x43f00000
                                        ; implicit-def: $vgpr1
	s_waitcnt vmcnt(0) lgkmcnt(0)
	v_and_b32_e32 v10, 0x7fffffff, v0
	v_cmp_gt_u32_e64 s[4:5], s4, v10
	s_and_saveexec_b64 s[42:43], s[4:5]
	s_xor_b64 s[42:43], exec, s[42:43]
	s_cbranch_execz .LBB274_1415
; %bb.1410:
	s_mov_b32 s4, 0x3c7fffff
	v_cmp_lt_u32_e64 s[4:5], s4, v10
                                        ; implicit-def: $vgpr1
	s_and_saveexec_b64 s[44:45], s[4:5]
	s_xor_b64 s[44:45], exec, s[44:45]
; %bb.1411:
	v_bfe_u32 v1, v0, 20, 1
	s_mov_b32 s4, 0x407ffff
	v_add3_u32 v1, v0, v1, s4
	v_lshrrev_b32_e32 v10, 20, v1
	v_and_b32_e32 v1, 0xff00000, v1
	s_mov_b32 s4, 0x7f00000
	v_mov_b32_e32 v13, 0x7e
	v_cmp_ne_u32_e64 s[4:5], s4, v1
	v_cndmask_b32_e64 v1, v13, v10, s[4:5]
; %bb.1412:
	s_andn2_saveexec_b64 s[4:5], s[44:45]
; %bb.1413:
	s_mov_b32 s33, 0x46800000
	v_add_f32_e64 v1, |v0|, s33
; %bb.1414:
	s_or_b64 exec, exec, s[4:5]
                                        ; implicit-def: $vgpr10
.LBB274_1415:
	s_andn2_saveexec_b64 s[42:43], s[42:43]
; %bb.1416:
	s_mov_b32 s4, 0x7f800000
	v_mov_b32_e32 v1, 0x7e
	v_mov_b32_e32 v13, 0x7f
	v_cmp_lt_u32_e64 s[4:5], s4, v10
	v_cndmask_b32_e64 v1, v1, v13, s[4:5]
; %bb.1417:
	s_or_b64 exec, exec, s[42:43]
	v_lshrrev_b32_e32 v0, 24, v0
	s_movk_i32 s4, 0x80
	v_and_or_b32 v13, v0, s4, v1
.LBB274_1418:
	s_or_b64 exec, exec, s[40:41]
                                        ; implicit-def: $vgpr0_vgpr1
.LBB274_1419:
	s_andn2_saveexec_b64 s[38:39], s[38:39]
	s_cbranch_execz .LBB274_1429
; %bb.1420:
	flat_load_dword v0, v[0:1]
	s_mov_b32 s4, 0x43f00000
                                        ; implicit-def: $vgpr1
	s_waitcnt vmcnt(0) lgkmcnt(0)
	v_cvt_f32_f16_e32 v0, v0
	v_and_b32_e32 v10, 0x7fffffff, v0
	v_cmp_gt_u32_e64 s[4:5], s4, v10
	s_and_saveexec_b64 s[40:41], s[4:5]
	s_xor_b64 s[40:41], exec, s[40:41]
	s_cbranch_execz .LBB274_1426
; %bb.1421:
	s_mov_b32 s4, 0x3c7fffff
	v_cmp_lt_u32_e64 s[4:5], s4, v10
                                        ; implicit-def: $vgpr1
	s_and_saveexec_b64 s[42:43], s[4:5]
	s_xor_b64 s[42:43], exec, s[42:43]
; %bb.1422:
	v_bfe_u32 v1, v0, 20, 1
	s_mov_b32 s4, 0x407ffff
	v_add3_u32 v1, v0, v1, s4
	v_lshrrev_b32_e32 v10, 20, v1
	v_and_b32_e32 v1, 0xff00000, v1
	s_mov_b32 s4, 0x7f00000
	v_mov_b32_e32 v13, 0x7e
	v_cmp_ne_u32_e64 s[4:5], s4, v1
	v_cndmask_b32_e64 v1, v13, v10, s[4:5]
; %bb.1423:
	s_andn2_saveexec_b64 s[4:5], s[42:43]
; %bb.1424:
	s_mov_b32 s33, 0x46800000
	v_add_f32_e64 v1, |v0|, s33
; %bb.1425:
	s_or_b64 exec, exec, s[4:5]
                                        ; implicit-def: $vgpr10
.LBB274_1426:
	s_andn2_saveexec_b64 s[40:41], s[40:41]
; %bb.1427:
	s_mov_b32 s4, 0x7f800000
	v_mov_b32_e32 v1, 0x7e
	v_mov_b32_e32 v13, 0x7f
	v_cmp_lt_u32_e64 s[4:5], s4, v10
	v_cndmask_b32_e64 v1, v1, v13, s[4:5]
; %bb.1428:
	s_or_b64 exec, exec, s[40:41]
	v_lshrrev_b32_e32 v0, 24, v0
	s_movk_i32 s4, 0x80
	v_and_or_b32 v13, v0, s4, v1
.LBB274_1429:
	s_or_b64 exec, exec, s[38:39]
                                        ; implicit-def: $vgpr10
                                        ; implicit-def: $vgpr0_vgpr1
.LBB274_1430:
	s_andn2_saveexec_b64 s[30:31], s[30:31]
	s_cbranch_execz .LBB274_1464
; %bb.1431:
	v_cmp_lt_i16_e64 s[4:5], 5, v10
                                        ; implicit-def: $vgpr13
	s_and_saveexec_b64 s[38:39], s[4:5]
	s_xor_b64 s[38:39], exec, s[38:39]
	s_cbranch_execz .LBB274_1453
; %bb.1432:
	v_cmp_lt_i16_e64 s[4:5], 6, v10
                                        ; implicit-def: $vgpr13
	s_and_saveexec_b64 s[40:41], s[4:5]
	s_xor_b64 s[40:41], exec, s[40:41]
	s_cbranch_execz .LBB274_1442
; %bb.1433:
	flat_load_dwordx2 v[0:1], v[0:1]
	s_mov_b32 s4, 0x43f00000
	s_waitcnt vmcnt(0) lgkmcnt(0)
	v_cvt_f32_f64_e32 v0, v[0:1]
                                        ; implicit-def: $vgpr1
	v_and_b32_e32 v10, 0x7fffffff, v0
	v_cmp_gt_u32_e64 s[4:5], s4, v10
	s_and_saveexec_b64 s[42:43], s[4:5]
	s_xor_b64 s[42:43], exec, s[42:43]
	s_cbranch_execz .LBB274_1439
; %bb.1434:
	s_mov_b32 s4, 0x3c7fffff
	v_cmp_lt_u32_e64 s[4:5], s4, v10
                                        ; implicit-def: $vgpr1
	s_and_saveexec_b64 s[44:45], s[4:5]
	s_xor_b64 s[44:45], exec, s[44:45]
; %bb.1435:
	v_bfe_u32 v1, v0, 20, 1
	s_mov_b32 s4, 0x407ffff
	v_add3_u32 v1, v0, v1, s4
	v_lshrrev_b32_e32 v10, 20, v1
	v_and_b32_e32 v1, 0xff00000, v1
	s_mov_b32 s4, 0x7f00000
	v_mov_b32_e32 v13, 0x7e
	v_cmp_ne_u32_e64 s[4:5], s4, v1
	v_cndmask_b32_e64 v1, v13, v10, s[4:5]
; %bb.1436:
	s_andn2_saveexec_b64 s[4:5], s[44:45]
; %bb.1437:
	s_mov_b32 s33, 0x46800000
	v_add_f32_e64 v1, |v0|, s33
; %bb.1438:
	s_or_b64 exec, exec, s[4:5]
                                        ; implicit-def: $vgpr10
.LBB274_1439:
	s_andn2_saveexec_b64 s[42:43], s[42:43]
; %bb.1440:
	s_mov_b32 s4, 0x7f800000
	v_mov_b32_e32 v1, 0x7e
	v_mov_b32_e32 v13, 0x7f
	v_cmp_lt_u32_e64 s[4:5], s4, v10
	v_cndmask_b32_e64 v1, v1, v13, s[4:5]
; %bb.1441:
	s_or_b64 exec, exec, s[42:43]
	v_lshrrev_b32_e32 v0, 24, v0
	s_movk_i32 s4, 0x80
	v_and_or_b32 v13, v0, s4, v1
                                        ; implicit-def: $vgpr0_vgpr1
.LBB274_1442:
	s_andn2_saveexec_b64 s[40:41], s[40:41]
	s_cbranch_execz .LBB274_1452
; %bb.1443:
	flat_load_dword v0, v[0:1]
	s_mov_b32 s4, 0x43f00000
                                        ; implicit-def: $vgpr1
	s_waitcnt vmcnt(0) lgkmcnt(0)
	v_and_b32_e32 v10, 0x7fffffff, v0
	v_cmp_gt_u32_e64 s[4:5], s4, v10
	s_and_saveexec_b64 s[42:43], s[4:5]
	s_xor_b64 s[42:43], exec, s[42:43]
	s_cbranch_execz .LBB274_1449
; %bb.1444:
	s_mov_b32 s4, 0x3c7fffff
	v_cmp_lt_u32_e64 s[4:5], s4, v10
                                        ; implicit-def: $vgpr1
	s_and_saveexec_b64 s[44:45], s[4:5]
	s_xor_b64 s[44:45], exec, s[44:45]
; %bb.1445:
	v_bfe_u32 v1, v0, 20, 1
	s_mov_b32 s4, 0x407ffff
	v_add3_u32 v1, v0, v1, s4
	v_lshrrev_b32_e32 v10, 20, v1
	v_and_b32_e32 v1, 0xff00000, v1
	s_mov_b32 s4, 0x7f00000
	v_mov_b32_e32 v13, 0x7e
	v_cmp_ne_u32_e64 s[4:5], s4, v1
	v_cndmask_b32_e64 v1, v13, v10, s[4:5]
; %bb.1446:
	s_andn2_saveexec_b64 s[4:5], s[44:45]
; %bb.1447:
	s_mov_b32 s33, 0x46800000
	v_add_f32_e64 v1, |v0|, s33
; %bb.1448:
	s_or_b64 exec, exec, s[4:5]
                                        ; implicit-def: $vgpr10
.LBB274_1449:
	s_andn2_saveexec_b64 s[42:43], s[42:43]
; %bb.1450:
	s_mov_b32 s4, 0x7f800000
	v_mov_b32_e32 v1, 0x7e
	v_mov_b32_e32 v13, 0x7f
	v_cmp_lt_u32_e64 s[4:5], s4, v10
	v_cndmask_b32_e64 v1, v1, v13, s[4:5]
; %bb.1451:
	s_or_b64 exec, exec, s[42:43]
	v_lshrrev_b32_e32 v0, 24, v0
	s_movk_i32 s4, 0x80
	v_and_or_b32 v13, v0, s4, v1
.LBB274_1452:
	s_or_b64 exec, exec, s[40:41]
                                        ; implicit-def: $vgpr0_vgpr1
.LBB274_1453:
	s_andn2_saveexec_b64 s[38:39], s[38:39]
	s_cbranch_execz .LBB274_1463
; %bb.1454:
	flat_load_ushort v0, v[0:1]
	s_mov_b32 s4, 0x43f00000
                                        ; implicit-def: $vgpr1
	s_waitcnt vmcnt(0) lgkmcnt(0)
	v_cvt_f32_f16_e32 v0, v0
	v_and_b32_e32 v10, 0x7fffffff, v0
	v_cmp_gt_u32_e64 s[4:5], s4, v10
	s_and_saveexec_b64 s[40:41], s[4:5]
	s_xor_b64 s[40:41], exec, s[40:41]
	s_cbranch_execz .LBB274_1460
; %bb.1455:
	s_mov_b32 s4, 0x3c7fffff
	v_cmp_lt_u32_e64 s[4:5], s4, v10
                                        ; implicit-def: $vgpr1
	s_and_saveexec_b64 s[42:43], s[4:5]
	s_xor_b64 s[42:43], exec, s[42:43]
; %bb.1456:
	v_bfe_u32 v1, v0, 20, 1
	s_mov_b32 s4, 0x407ffff
	v_add3_u32 v1, v0, v1, s4
	v_lshrrev_b32_e32 v10, 20, v1
	v_and_b32_e32 v1, 0xff00000, v1
	s_mov_b32 s4, 0x7f00000
	v_mov_b32_e32 v13, 0x7e
	v_cmp_ne_u32_e64 s[4:5], s4, v1
	v_cndmask_b32_e64 v1, v13, v10, s[4:5]
; %bb.1457:
	s_andn2_saveexec_b64 s[4:5], s[42:43]
; %bb.1458:
	s_mov_b32 s33, 0x46800000
	v_add_f32_e64 v1, |v0|, s33
; %bb.1459:
	s_or_b64 exec, exec, s[4:5]
                                        ; implicit-def: $vgpr10
.LBB274_1460:
	s_andn2_saveexec_b64 s[40:41], s[40:41]
; %bb.1461:
	s_mov_b32 s4, 0x7f800000
	v_mov_b32_e32 v1, 0x7e
	v_mov_b32_e32 v13, 0x7f
	v_cmp_lt_u32_e64 s[4:5], s4, v10
	v_cndmask_b32_e64 v1, v1, v13, s[4:5]
; %bb.1462:
	s_or_b64 exec, exec, s[40:41]
	v_lshrrev_b32_e32 v0, 24, v0
	s_movk_i32 s4, 0x80
	v_and_or_b32 v13, v0, s4, v1
.LBB274_1463:
	s_or_b64 exec, exec, s[38:39]
.LBB274_1464:
	s_or_b64 exec, exec, s[30:31]
                                        ; implicit-def: $vgpr10
                                        ; implicit-def: $vgpr0_vgpr1
.LBB274_1465:
	s_andn2_saveexec_b64 s[28:29], s[28:29]
	s_cbranch_execz .LBB274_1523
; %bb.1466:
	v_cmp_lt_i16_e64 s[4:5], 1, v10
                                        ; implicit-def: $vgpr13
	s_and_saveexec_b64 s[30:31], s[4:5]
	s_xor_b64 s[30:31], exec, s[30:31]
	s_cbranch_execz .LBB274_1500
; %bb.1467:
	v_cmp_lt_i16_e64 s[4:5], 2, v10
                                        ; implicit-def: $vgpr13
	s_and_saveexec_b64 s[38:39], s[4:5]
	s_xor_b64 s[38:39], exec, s[38:39]
	;; [unrolled: 6-line block ×3, first 2 shown]
	s_cbranch_execz .LBB274_1478
; %bb.1469:
	flat_load_dwordx2 v[0:1], v[0:1]
	s_mov_b32 s4, 0x43f00000
	s_waitcnt vmcnt(0) lgkmcnt(0)
	v_xor_b32_e32 v13, v0, v1
	v_ffbh_i32_e32 v10, v1
	v_ashrrev_i32_e32 v13, 31, v13
	v_add_u32_e32 v10, -1, v10
	v_add_u32_e32 v13, 32, v13
	v_min_u32_e32 v10, v10, v13
	v_lshlrev_b64 v[0:1], v10, v[0:1]
	v_min_u32_e32 v0, 1, v0
	v_or_b32_e32 v0, v1, v0
	v_cvt_f32_i32_e32 v0, v0
	v_sub_u32_e32 v1, 32, v10
	v_ldexp_f32 v0, v0, v1
	v_and_b32_e32 v10, 0x7fffffff, v0
	v_cmp_gt_u32_e64 s[4:5], s4, v10
                                        ; implicit-def: $vgpr1
	s_and_saveexec_b64 s[42:43], s[4:5]
	s_xor_b64 s[42:43], exec, s[42:43]
	s_cbranch_execz .LBB274_1475
; %bb.1470:
	s_mov_b32 s4, 0x3c7fffff
	v_cmp_lt_u32_e64 s[4:5], s4, v10
                                        ; implicit-def: $vgpr1
	s_and_saveexec_b64 s[44:45], s[4:5]
	s_xor_b64 s[44:45], exec, s[44:45]
; %bb.1471:
	v_bfe_u32 v1, v0, 20, 1
	s_mov_b32 s4, 0x407ffff
	v_add3_u32 v1, v0, v1, s4
	v_lshrrev_b32_e32 v10, 20, v1
	v_and_b32_e32 v1, 0xff00000, v1
	s_mov_b32 s4, 0x7f00000
	v_mov_b32_e32 v13, 0x7e
	v_cmp_ne_u32_e64 s[4:5], s4, v1
	v_cndmask_b32_e64 v1, v13, v10, s[4:5]
; %bb.1472:
	s_andn2_saveexec_b64 s[4:5], s[44:45]
; %bb.1473:
	s_mov_b32 s33, 0x46800000
	v_add_f32_e64 v1, |v0|, s33
; %bb.1474:
	s_or_b64 exec, exec, s[4:5]
                                        ; implicit-def: $vgpr10
.LBB274_1475:
	s_andn2_saveexec_b64 s[42:43], s[42:43]
; %bb.1476:
	s_mov_b32 s4, 0x7f800000
	v_mov_b32_e32 v1, 0x7e
	v_mov_b32_e32 v13, 0x7f
	v_cmp_lt_u32_e64 s[4:5], s4, v10
	v_cndmask_b32_e64 v1, v1, v13, s[4:5]
; %bb.1477:
	s_or_b64 exec, exec, s[42:43]
	v_lshrrev_b32_e32 v0, 24, v0
	s_movk_i32 s4, 0x80
	v_and_or_b32 v13, v0, s4, v1
                                        ; implicit-def: $vgpr0_vgpr1
.LBB274_1478:
	s_andn2_saveexec_b64 s[40:41], s[40:41]
	s_cbranch_execz .LBB274_1488
; %bb.1479:
	flat_load_dword v0, v[0:1]
	s_mov_b32 s4, 0x43f00000
                                        ; implicit-def: $vgpr1
	s_waitcnt vmcnt(0) lgkmcnt(0)
	v_cvt_f32_i32_e32 v0, v0
	v_and_b32_e32 v10, 0x7fffffff, v0
	v_cmp_gt_u32_e64 s[4:5], s4, v10
	s_and_saveexec_b64 s[42:43], s[4:5]
	s_xor_b64 s[42:43], exec, s[42:43]
	s_cbranch_execz .LBB274_1485
; %bb.1480:
	s_mov_b32 s4, 0x3c7fffff
	v_cmp_lt_u32_e64 s[4:5], s4, v10
                                        ; implicit-def: $vgpr1
	s_and_saveexec_b64 s[44:45], s[4:5]
	s_xor_b64 s[44:45], exec, s[44:45]
; %bb.1481:
	v_bfe_u32 v1, v0, 20, 1
	s_mov_b32 s4, 0x407ffff
	v_add3_u32 v1, v0, v1, s4
	v_lshrrev_b32_e32 v10, 20, v1
	v_and_b32_e32 v1, 0xff00000, v1
	s_mov_b32 s4, 0x7f00000
	v_mov_b32_e32 v13, 0x7e
	v_cmp_ne_u32_e64 s[4:5], s4, v1
	v_cndmask_b32_e64 v1, v13, v10, s[4:5]
; %bb.1482:
	s_andn2_saveexec_b64 s[4:5], s[44:45]
; %bb.1483:
	s_mov_b32 s33, 0x46800000
	v_add_f32_e64 v1, |v0|, s33
; %bb.1484:
	s_or_b64 exec, exec, s[4:5]
                                        ; implicit-def: $vgpr10
.LBB274_1485:
	s_andn2_saveexec_b64 s[42:43], s[42:43]
; %bb.1486:
	s_mov_b32 s4, 0x7f800000
	v_mov_b32_e32 v1, 0x7e
	v_mov_b32_e32 v13, 0x7f
	v_cmp_lt_u32_e64 s[4:5], s4, v10
	v_cndmask_b32_e64 v1, v1, v13, s[4:5]
; %bb.1487:
	s_or_b64 exec, exec, s[42:43]
	v_lshrrev_b32_e32 v0, 24, v0
	s_movk_i32 s4, 0x80
	v_and_or_b32 v13, v0, s4, v1
.LBB274_1488:
	s_or_b64 exec, exec, s[40:41]
                                        ; implicit-def: $vgpr0_vgpr1
.LBB274_1489:
	s_andn2_saveexec_b64 s[38:39], s[38:39]
	s_cbranch_execz .LBB274_1499
; %bb.1490:
	flat_load_sshort v0, v[0:1]
	s_mov_b32 s4, 0x43f00000
                                        ; implicit-def: $vgpr1
	s_waitcnt vmcnt(0) lgkmcnt(0)
	v_cvt_f32_i32_e32 v0, v0
	v_and_b32_e32 v10, 0x7fffffff, v0
	v_cmp_gt_u32_e64 s[4:5], s4, v10
	s_and_saveexec_b64 s[40:41], s[4:5]
	s_xor_b64 s[40:41], exec, s[40:41]
	s_cbranch_execz .LBB274_1496
; %bb.1491:
	s_mov_b32 s4, 0x3c7fffff
	v_cmp_lt_u32_e64 s[4:5], s4, v10
                                        ; implicit-def: $vgpr1
	s_and_saveexec_b64 s[42:43], s[4:5]
	s_xor_b64 s[42:43], exec, s[42:43]
; %bb.1492:
	v_bfe_u32 v1, v0, 20, 1
	s_mov_b32 s4, 0x407ffff
	v_add3_u32 v1, v0, v1, s4
	v_lshrrev_b32_e32 v10, 20, v1
	v_and_b32_e32 v1, 0xff00000, v1
	s_mov_b32 s4, 0x7f00000
	v_mov_b32_e32 v13, 0x7e
	v_cmp_ne_u32_e64 s[4:5], s4, v1
	v_cndmask_b32_e64 v1, v13, v10, s[4:5]
; %bb.1493:
	s_andn2_saveexec_b64 s[4:5], s[42:43]
; %bb.1494:
	s_mov_b32 s33, 0x46800000
	v_add_f32_e64 v1, |v0|, s33
; %bb.1495:
	s_or_b64 exec, exec, s[4:5]
                                        ; implicit-def: $vgpr10
.LBB274_1496:
	s_andn2_saveexec_b64 s[40:41], s[40:41]
; %bb.1497:
	s_mov_b32 s4, 0x7f800000
	v_mov_b32_e32 v1, 0x7e
	v_mov_b32_e32 v13, 0x7f
	v_cmp_lt_u32_e64 s[4:5], s4, v10
	v_cndmask_b32_e64 v1, v1, v13, s[4:5]
; %bb.1498:
	s_or_b64 exec, exec, s[40:41]
	v_lshrrev_b32_e32 v0, 24, v0
	s_movk_i32 s4, 0x80
	v_and_or_b32 v13, v0, s4, v1
.LBB274_1499:
	s_or_b64 exec, exec, s[38:39]
                                        ; implicit-def: $vgpr10
                                        ; implicit-def: $vgpr0_vgpr1
.LBB274_1500:
	s_andn2_saveexec_b64 s[30:31], s[30:31]
	s_cbranch_execz .LBB274_1522
; %bb.1501:
	v_cmp_lt_i16_e64 s[4:5], 0, v10
                                        ; implicit-def: $vgpr13
	s_and_saveexec_b64 s[38:39], s[4:5]
	s_xor_b64 s[38:39], exec, s[38:39]
	s_cbranch_execz .LBB274_1511
; %bb.1502:
	flat_load_sbyte v0, v[0:1]
	s_mov_b32 s4, 0x43f00000
                                        ; implicit-def: $vgpr1
	s_waitcnt vmcnt(0) lgkmcnt(0)
	v_cvt_f32_i32_e32 v0, v0
	v_and_b32_e32 v10, 0x7fffffff, v0
	v_cmp_gt_u32_e64 s[4:5], s4, v10
	s_and_saveexec_b64 s[40:41], s[4:5]
	s_xor_b64 s[40:41], exec, s[40:41]
	s_cbranch_execz .LBB274_1508
; %bb.1503:
	s_mov_b32 s4, 0x3c7fffff
	v_cmp_lt_u32_e64 s[4:5], s4, v10
                                        ; implicit-def: $vgpr1
	s_and_saveexec_b64 s[42:43], s[4:5]
	s_xor_b64 s[42:43], exec, s[42:43]
; %bb.1504:
	v_bfe_u32 v1, v0, 20, 1
	s_mov_b32 s4, 0x407ffff
	v_add3_u32 v1, v0, v1, s4
	v_lshrrev_b32_e32 v10, 20, v1
	v_and_b32_e32 v1, 0xff00000, v1
	s_mov_b32 s4, 0x7f00000
	v_mov_b32_e32 v13, 0x7e
	v_cmp_ne_u32_e64 s[4:5], s4, v1
	v_cndmask_b32_e64 v1, v13, v10, s[4:5]
; %bb.1505:
	s_andn2_saveexec_b64 s[4:5], s[42:43]
; %bb.1506:
	s_mov_b32 s33, 0x46800000
	v_add_f32_e64 v1, |v0|, s33
; %bb.1507:
	s_or_b64 exec, exec, s[4:5]
                                        ; implicit-def: $vgpr10
.LBB274_1508:
	s_andn2_saveexec_b64 s[40:41], s[40:41]
; %bb.1509:
	s_mov_b32 s4, 0x7f800000
	v_mov_b32_e32 v1, 0x7e
	v_mov_b32_e32 v13, 0x7f
	v_cmp_lt_u32_e64 s[4:5], s4, v10
	v_cndmask_b32_e64 v1, v1, v13, s[4:5]
; %bb.1510:
	s_or_b64 exec, exec, s[40:41]
	v_lshrrev_b32_e32 v0, 24, v0
	s_movk_i32 s4, 0x80
	v_and_or_b32 v13, v0, s4, v1
                                        ; implicit-def: $vgpr0_vgpr1
.LBB274_1511:
	s_andn2_saveexec_b64 s[38:39], s[38:39]
	s_cbranch_execz .LBB274_1521
; %bb.1512:
	flat_load_ubyte v0, v[0:1]
	s_mov_b32 s4, 0x43f00000
                                        ; implicit-def: $vgpr13
	s_waitcnt vmcnt(0) lgkmcnt(0)
	v_cvt_f32_ubyte0_e32 v0, v0
	v_cmp_gt_u32_e64 s[4:5], s4, v0
	s_and_saveexec_b64 s[40:41], s[4:5]
	s_xor_b64 s[40:41], exec, s[40:41]
	s_cbranch_execz .LBB274_1518
; %bb.1513:
	s_mov_b32 s4, 0x3c7fffff
	v_cmp_lt_u32_e64 s[4:5], s4, v0
                                        ; implicit-def: $vgpr13
	s_and_saveexec_b64 s[42:43], s[4:5]
	s_xor_b64 s[42:43], exec, s[42:43]
; %bb.1514:
	v_bfe_u32 v1, v0, 20, 1
	s_mov_b32 s4, 0x407ffff
	v_add3_u32 v0, v0, v1, s4
	v_lshrrev_b32_e32 v1, 20, v0
	v_and_b32_e32 v0, 0xff00000, v0
	s_mov_b32 s4, 0x7f00000
	v_mov_b32_e32 v10, 0x7e
	v_cmp_ne_u32_e64 s[4:5], s4, v0
	v_cndmask_b32_e64 v13, v10, v1, s[4:5]
                                        ; implicit-def: $vgpr0
; %bb.1515:
	s_andn2_saveexec_b64 s[4:5], s[42:43]
; %bb.1516:
	v_add_f32_e32 v13, 0x46800000, v0
; %bb.1517:
	s_or_b64 exec, exec, s[4:5]
                                        ; implicit-def: $vgpr0
.LBB274_1518:
	s_andn2_saveexec_b64 s[40:41], s[40:41]
; %bb.1519:
	s_mov_b32 s4, 0x7f800000
	v_mov_b32_e32 v1, 0x7e
	v_mov_b32_e32 v10, 0x7f
	v_cmp_lt_u32_e64 s[4:5], s4, v0
	v_cndmask_b32_e64 v13, v1, v10, s[4:5]
; %bb.1520:
	s_or_b64 exec, exec, s[40:41]
.LBB274_1521:
	s_or_b64 exec, exec, s[38:39]
.LBB274_1522:
	s_or_b64 exec, exec, s[30:31]
.LBB274_1523:
	s_or_b64 exec, exec, s[28:29]
	s_or_b64 s[8:9], s[8:9], exec
.LBB274_1524:
	s_or_b64 exec, exec, s[6:7]
	s_mov_b64 s[4:5], 0
	s_mov_b64 s[38:39], 0
                                        ; implicit-def: $sgpr6_sgpr7
                                        ; implicit-def: $vgpr0_vgpr1
                                        ; implicit-def: $vgpr21
	s_and_saveexec_b64 s[28:29], s[8:9]
	s_cbranch_execz .LBB274_2047
; %bb.1525:
	v_add_u32_e32 v0, v18, v17
	v_ashrrev_i32_e32 v1, 31, v0
	v_add_co_u32_e64 v0, s[4:5], v11, v0
	v_addc_co_u32_e64 v1, s[4:5], v12, v1, s[4:5]
	v_cmp_lt_i16_e64 s[4:5], 10, v9
	s_mov_b64 s[8:9], 0
	s_mov_b64 s[30:31], s[26:27]
                                        ; implicit-def: $vgpr10
	s_and_saveexec_b64 s[6:7], s[4:5]
	s_xor_b64 s[6:7], exec, s[6:7]
	s_cbranch_execz .LBB274_1620
; %bb.1526:
	v_cmp_lt_i16_e64 s[4:5], 25, v9
	s_mov_b64 s[40:41], 0
                                        ; implicit-def: $vgpr10
	s_and_saveexec_b64 s[30:31], s[4:5]
	s_xor_b64 s[30:31], exec, s[30:31]
	s_cbranch_execz .LBB274_2487
; %bb.1527:
	v_cmp_lt_i16_e64 s[4:5], 28, v9
	s_mov_b64 s[42:43], 0
                                        ; implicit-def: $vgpr10
	s_and_saveexec_b64 s[38:39], s[4:5]
	s_xor_b64 s[38:39], exec, s[38:39]
	s_cbranch_execz .LBB274_1567
; %bb.1528:
	v_cmp_lt_i16_e64 s[4:5], 43, v9
	s_mov_b64 s[44:45], 0
	s_mov_b64 s[46:47], 0
                                        ; implicit-def: $vgpr10
	s_and_saveexec_b64 s[40:41], s[4:5]
	s_xor_b64 s[40:41], exec, s[40:41]
	s_cbranch_execz .LBB274_1554
; %bb.1529:
	v_cmp_lt_i16_e64 s[4:5], 45, v9
                                        ; implicit-def: $vgpr10
	s_and_saveexec_b64 s[46:47], s[4:5]
	s_xor_b64 s[46:47], exec, s[46:47]
	s_cbranch_execz .LBB274_1541
; %bb.1530:
	v_cmp_eq_u16_e64 s[4:5], 46, v9
	s_mov_b64 s[48:49], -1
                                        ; implicit-def: $vgpr10
	s_and_saveexec_b64 s[42:43], s[4:5]
	s_cbranch_execz .LBB274_1540
; %bb.1531:
	flat_load_dword v9, v[0:1]
	s_mov_b32 s4, 0x43f00000
                                        ; implicit-def: $vgpr10
	s_waitcnt vmcnt(0) lgkmcnt(0)
	v_lshlrev_b32_e32 v9, 16, v9
	v_and_b32_e32 v11, 0x7fffffff, v9
	v_cmp_gt_u32_e64 s[4:5], s4, v11
	s_and_saveexec_b64 s[44:45], s[4:5]
	s_xor_b64 s[44:45], exec, s[44:45]
	s_cbranch_execz .LBB274_1537
; %bb.1532:
	s_mov_b32 s4, 0x3c7fffff
	v_cmp_lt_u32_e64 s[4:5], s4, v11
                                        ; implicit-def: $vgpr10
	s_and_saveexec_b64 s[48:49], s[4:5]
	s_xor_b64 s[48:49], exec, s[48:49]
; %bb.1533:
	v_bfe_u32 v10, v9, 20, 1
	s_mov_b32 s4, 0x407ffff
	v_add3_u32 v10, v9, v10, s4
	v_lshrrev_b32_e32 v11, 20, v10
	v_and_b32_e32 v10, 0xff00000, v10
	s_mov_b32 s4, 0x7f00000
	v_mov_b32_e32 v12, 0x7e
	v_cmp_ne_u32_e64 s[4:5], s4, v10
	v_cndmask_b32_e64 v10, v12, v11, s[4:5]
; %bb.1534:
	s_andn2_saveexec_b64 s[4:5], s[48:49]
; %bb.1535:
	s_mov_b32 s33, 0x46800000
	v_add_f32_e64 v10, |v9|, s33
; %bb.1536:
	s_or_b64 exec, exec, s[4:5]
                                        ; implicit-def: $vgpr11
.LBB274_1537:
	s_andn2_saveexec_b64 s[44:45], s[44:45]
; %bb.1538:
	s_mov_b32 s4, 0x7f800000
	v_mov_b32_e32 v10, 0x7e
	v_mov_b32_e32 v12, 0x7f
	v_cmp_lt_u32_e64 s[4:5], s4, v11
	v_cndmask_b32_e64 v10, v10, v12, s[4:5]
; %bb.1539:
	s_or_b64 exec, exec, s[44:45]
	v_lshrrev_b32_e32 v9, 24, v9
	s_movk_i32 s4, 0x80
	s_mov_b64 s[44:45], exec
	v_and_or_b32 v10, v9, s4, v10
	s_xor_b64 s[48:49], exec, -1
.LBB274_1540:
	s_or_b64 exec, exec, s[42:43]
	s_and_b64 s[44:45], s[44:45], exec
	s_and_b64 s[42:43], s[48:49], exec
                                        ; implicit-def: $vgpr9
.LBB274_1541:
	s_andn2_saveexec_b64 s[46:47], s[46:47]
	s_cbranch_execz .LBB274_1553
; %bb.1542:
	v_cmp_eq_u16_e64 s[4:5], 44, v9
	s_mov_b64 s[50:51], -1
	s_mov_b64 s[52:53], s[44:45]
                                        ; implicit-def: $vgpr10
	s_and_saveexec_b64 s[48:49], s[4:5]
	s_cbranch_execz .LBB274_1552
; %bb.1543:
	flat_load_ubyte v9, v[0:1]
	s_movk_i32 s4, 0xff
	v_mov_b32_e32 v10, 0x7f800001
	v_mov_b32_e32 v11, 0x400000
	s_waitcnt vmcnt(0) lgkmcnt(0)
	v_lshlrev_b32_e32 v12, 23, v9
	v_cmp_ne_u32_e64 s[4:5], s4, v9
	v_cndmask_b32_e64 v10, v10, v12, s[4:5]
	v_cmp_ne_u32_e64 s[4:5], 0, v9
	v_cndmask_b32_e64 v9, v11, v10, s[4:5]
	s_mov_b32 s4, 0x43f00000
	v_cmp_gt_u32_e64 s[4:5], s4, v9
                                        ; implicit-def: $vgpr10
	s_and_saveexec_b64 s[50:51], s[4:5]
	s_xor_b64 s[50:51], exec, s[50:51]
	s_cbranch_execz .LBB274_1549
; %bb.1544:
	s_mov_b32 s4, 0x3c7fffff
	v_cmp_lt_u32_e64 s[4:5], s4, v9
                                        ; implicit-def: $vgpr10
	s_and_saveexec_b64 s[52:53], s[4:5]
	s_xor_b64 s[52:53], exec, s[52:53]
; %bb.1545:
	v_bfe_u32 v10, v9, 20, 1
	s_mov_b32 s4, 0x407ffff
	v_add3_u32 v9, v9, v10, s4
	v_lshrrev_b32_e32 v10, 20, v9
	v_and_b32_e32 v9, 0xff00000, v9
	s_mov_b32 s4, 0x7f00000
	v_mov_b32_e32 v11, 0x7e
	v_cmp_ne_u32_e64 s[4:5], s4, v9
	v_cndmask_b32_e64 v10, v11, v10, s[4:5]
                                        ; implicit-def: $vgpr9
; %bb.1546:
	s_andn2_saveexec_b64 s[4:5], s[52:53]
; %bb.1547:
	v_add_f32_e32 v10, 0x46800000, v9
; %bb.1548:
	s_or_b64 exec, exec, s[4:5]
                                        ; implicit-def: $vgpr9
.LBB274_1549:
	s_andn2_saveexec_b64 s[50:51], s[50:51]
; %bb.1550:
	s_mov_b32 s4, 0x7f800000
	v_mov_b32_e32 v10, 0x7e
	v_mov_b32_e32 v11, 0x7f
	v_cmp_lt_u32_e64 s[4:5], s4, v9
	v_cndmask_b32_e64 v10, v10, v11, s[4:5]
; %bb.1551:
	s_or_b64 exec, exec, s[50:51]
	s_or_b64 s[52:53], s[44:45], exec
	s_xor_b64 s[50:51], exec, -1
.LBB274_1552:
	s_or_b64 exec, exec, s[48:49]
	s_andn2_b64 s[4:5], s[44:45], exec
	s_and_b64 s[44:45], s[52:53], exec
	s_or_b64 s[44:45], s[4:5], s[44:45]
	s_andn2_b64 s[4:5], s[42:43], exec
	s_and_b64 s[42:43], s[50:51], exec
	s_or_b64 s[42:43], s[4:5], s[42:43]
.LBB274_1553:
	s_or_b64 exec, exec, s[46:47]
	s_and_b64 s[46:47], s[44:45], exec
	s_and_b64 s[44:45], s[42:43], exec
                                        ; implicit-def: $vgpr9
.LBB274_1554:
	s_andn2_saveexec_b64 s[40:41], s[40:41]
	s_cbranch_execz .LBB274_1566
; %bb.1555:
	v_cmp_eq_u16_e64 s[4:5], 29, v9
	s_mov_b64 s[48:49], -1
	s_mov_b64 s[50:51], s[46:47]
                                        ; implicit-def: $vgpr10
	s_and_saveexec_b64 s[42:43], s[4:5]
	s_cbranch_execz .LBB274_1565
; %bb.1556:
	flat_load_dwordx2 v[9:10], v[0:1]
	s_mov_b32 s4, 0x43f00000
	s_waitcnt vmcnt(0) lgkmcnt(0)
	v_ffbh_u32_e32 v11, v10
	v_min_u32_e32 v11, 32, v11
	v_lshlrev_b64 v[9:10], v11, v[9:10]
	v_min_u32_e32 v9, 1, v9
	v_or_b32_e32 v9, v10, v9
	v_cvt_f32_u32_e32 v9, v9
	v_sub_u32_e32 v10, 32, v11
	v_ldexp_f32 v9, v9, v10
	v_cmp_gt_u32_e64 s[4:5], s4, v9
                                        ; implicit-def: $vgpr10
	s_and_saveexec_b64 s[48:49], s[4:5]
	s_xor_b64 s[48:49], exec, s[48:49]
	s_cbranch_execz .LBB274_1562
; %bb.1557:
	s_mov_b32 s4, 0x3c7fffff
	v_cmp_lt_u32_e64 s[4:5], s4, v9
                                        ; implicit-def: $vgpr10
	s_and_saveexec_b64 s[50:51], s[4:5]
	s_xor_b64 s[50:51], exec, s[50:51]
; %bb.1558:
	v_bfe_u32 v10, v9, 20, 1
	s_mov_b32 s4, 0x407ffff
	v_add3_u32 v9, v9, v10, s4
	v_lshrrev_b32_e32 v10, 20, v9
	v_and_b32_e32 v9, 0xff00000, v9
	s_mov_b32 s4, 0x7f00000
	v_mov_b32_e32 v11, 0x7e
	v_cmp_ne_u32_e64 s[4:5], s4, v9
	v_cndmask_b32_e64 v10, v11, v10, s[4:5]
                                        ; implicit-def: $vgpr9
; %bb.1559:
	s_andn2_saveexec_b64 s[4:5], s[50:51]
; %bb.1560:
	v_add_f32_e32 v10, 0x46800000, v9
; %bb.1561:
	s_or_b64 exec, exec, s[4:5]
                                        ; implicit-def: $vgpr9
.LBB274_1562:
	s_andn2_saveexec_b64 s[48:49], s[48:49]
; %bb.1563:
	s_mov_b32 s4, 0x7f800000
	v_mov_b32_e32 v10, 0x7e
	v_mov_b32_e32 v11, 0x7f
	v_cmp_lt_u32_e64 s[4:5], s4, v9
	v_cndmask_b32_e64 v10, v10, v11, s[4:5]
; %bb.1564:
	s_or_b64 exec, exec, s[48:49]
	s_or_b64 s[50:51], s[46:47], exec
	s_xor_b64 s[48:49], exec, -1
.LBB274_1565:
	s_or_b64 exec, exec, s[42:43]
	s_andn2_b64 s[4:5], s[46:47], exec
	s_and_b64 s[42:43], s[50:51], exec
	s_or_b64 s[46:47], s[4:5], s[42:43]
	s_andn2_b64 s[4:5], s[44:45], exec
	s_and_b64 s[42:43], s[48:49], exec
	s_or_b64 s[44:45], s[4:5], s[42:43]
.LBB274_1566:
	s_or_b64 exec, exec, s[40:41]
	s_and_b64 s[42:43], s[46:47], exec
	s_and_b64 s[40:41], s[44:45], exec
                                        ; implicit-def: $vgpr9
.LBB274_1567:
	s_andn2_saveexec_b64 s[38:39], s[38:39]
	s_cbranch_execz .LBB274_1607
; %bb.1568:
	v_cmp_lt_i16_e64 s[4:5], 26, v9
                                        ; implicit-def: $vgpr10
	s_and_saveexec_b64 s[44:45], s[4:5]
	s_xor_b64 s[44:45], exec, s[44:45]
	s_cbranch_execz .LBB274_1590
; %bb.1569:
	v_cmp_lt_i16_e64 s[4:5], 27, v9
                                        ; implicit-def: $vgpr10
	s_and_saveexec_b64 s[46:47], s[4:5]
	s_xor_b64 s[46:47], exec, s[46:47]
	s_cbranch_execz .LBB274_1579
; %bb.1570:
	flat_load_dword v9, v[0:1]
	s_mov_b32 s4, 0x43f00000
                                        ; implicit-def: $vgpr10
	s_waitcnt vmcnt(0) lgkmcnt(0)
	v_cvt_f32_u32_e32 v9, v9
	v_cmp_gt_u32_e64 s[4:5], s4, v9
	s_and_saveexec_b64 s[48:49], s[4:5]
	s_xor_b64 s[48:49], exec, s[48:49]
	s_cbranch_execz .LBB274_1576
; %bb.1571:
	s_mov_b32 s4, 0x3c7fffff
	v_cmp_lt_u32_e64 s[4:5], s4, v9
                                        ; implicit-def: $vgpr10
	s_and_saveexec_b64 s[50:51], s[4:5]
	s_xor_b64 s[50:51], exec, s[50:51]
; %bb.1572:
	v_bfe_u32 v10, v9, 20, 1
	s_mov_b32 s4, 0x407ffff
	v_add3_u32 v9, v9, v10, s4
	v_lshrrev_b32_e32 v10, 20, v9
	v_and_b32_e32 v9, 0xff00000, v9
	s_mov_b32 s4, 0x7f00000
	v_mov_b32_e32 v11, 0x7e
	v_cmp_ne_u32_e64 s[4:5], s4, v9
	v_cndmask_b32_e64 v10, v11, v10, s[4:5]
                                        ; implicit-def: $vgpr9
; %bb.1573:
	s_andn2_saveexec_b64 s[4:5], s[50:51]
; %bb.1574:
	v_add_f32_e32 v10, 0x46800000, v9
; %bb.1575:
	s_or_b64 exec, exec, s[4:5]
                                        ; implicit-def: $vgpr9
.LBB274_1576:
	s_andn2_saveexec_b64 s[48:49], s[48:49]
; %bb.1577:
	s_mov_b32 s4, 0x7f800000
	v_mov_b32_e32 v10, 0x7e
	v_mov_b32_e32 v11, 0x7f
	v_cmp_lt_u32_e64 s[4:5], s4, v9
	v_cndmask_b32_e64 v10, v10, v11, s[4:5]
; %bb.1578:
	s_or_b64 exec, exec, s[48:49]
.LBB274_1579:
	s_andn2_saveexec_b64 s[46:47], s[46:47]
	s_cbranch_execz .LBB274_1589
; %bb.1580:
	flat_load_ushort v9, v[0:1]
	s_mov_b32 s4, 0x43f00000
                                        ; implicit-def: $vgpr10
	s_waitcnt vmcnt(0) lgkmcnt(0)
	v_cvt_f32_u32_e32 v9, v9
	v_cmp_gt_u32_e64 s[4:5], s4, v9
	s_and_saveexec_b64 s[48:49], s[4:5]
	s_xor_b64 s[48:49], exec, s[48:49]
	s_cbranch_execz .LBB274_1586
; %bb.1581:
	s_mov_b32 s4, 0x3c7fffff
	v_cmp_lt_u32_e64 s[4:5], s4, v9
                                        ; implicit-def: $vgpr10
	s_and_saveexec_b64 s[50:51], s[4:5]
	s_xor_b64 s[50:51], exec, s[50:51]
; %bb.1582:
	v_bfe_u32 v10, v9, 20, 1
	s_mov_b32 s4, 0x407ffff
	v_add3_u32 v9, v9, v10, s4
	v_lshrrev_b32_e32 v10, 20, v9
	v_and_b32_e32 v9, 0xff00000, v9
	s_mov_b32 s4, 0x7f00000
	v_mov_b32_e32 v11, 0x7e
	v_cmp_ne_u32_e64 s[4:5], s4, v9
	v_cndmask_b32_e64 v10, v11, v10, s[4:5]
                                        ; implicit-def: $vgpr9
; %bb.1583:
	s_andn2_saveexec_b64 s[4:5], s[50:51]
; %bb.1584:
	v_add_f32_e32 v10, 0x46800000, v9
; %bb.1585:
	s_or_b64 exec, exec, s[4:5]
                                        ; implicit-def: $vgpr9
.LBB274_1586:
	s_andn2_saveexec_b64 s[48:49], s[48:49]
; %bb.1587:
	s_mov_b32 s4, 0x7f800000
	v_mov_b32_e32 v10, 0x7e
	v_mov_b32_e32 v11, 0x7f
	v_cmp_lt_u32_e64 s[4:5], s4, v9
	v_cndmask_b32_e64 v10, v10, v11, s[4:5]
; %bb.1588:
	s_or_b64 exec, exec, s[48:49]
.LBB274_1589:
	s_or_b64 exec, exec, s[46:47]
.LBB274_1590:
	s_andn2_saveexec_b64 s[44:45], s[44:45]
	s_cbranch_execz .LBB274_1606
; %bb.1591:
	flat_load_ubyte v10, v[0:1]
	s_movk_i32 s4, 0x7f
	s_mov_b64 s[46:47], 0
	s_waitcnt vmcnt(0) lgkmcnt(0)
	v_cmp_lt_i16_e64 s[4:5], s4, v10
	s_and_saveexec_b64 s[48:49], s[4:5]
	s_xor_b64 s[48:49], exec, s[48:49]
	s_cbranch_execz .LBB274_2646
; %bb.1592:
	s_movk_i32 s4, 0x80
	v_cmp_eq_u16_e64 s[4:5], s4, v10
	s_mov_b64 s[46:47], -1
	s_and_saveexec_b64 s[50:51], s[4:5]
; %bb.1593:
	s_xor_b64 s[46:47], exec, -1
; %bb.1594:
	s_or_b64 exec, exec, s[50:51]
	s_and_b64 s[46:47], s[46:47], exec
	s_or_saveexec_b64 s[48:49], s[48:49]
	v_mov_b32_e32 v9, 0x7f800001
	s_xor_b64 exec, exec, s[48:49]
	s_cbranch_execnz .LBB274_2647
.LBB274_1595:
	s_or_b64 exec, exec, s[48:49]
	s_and_saveexec_b64 s[48:49], s[46:47]
	s_cbranch_execz .LBB274_1597
.LBB274_1596:
	v_lshlrev_b32_e32 v9, 24, v10
	v_and_b32_e32 v10, 0xffff, v10
	v_and_b32_e32 v11, 7, v10
	v_ffbh_u32_e32 v14, v11
	v_min_u32_e32 v14, 32, v14
	v_subrev_u32_e32 v17, 28, v14
	v_bfe_u32 v12, v10, 3, 4
	v_lshlrev_b32_e32 v10, v17, v10
	v_sub_u32_e32 v14, 29, v14
	v_and_b32_e32 v10, 7, v10
	v_cmp_eq_u32_e64 s[4:5], 0, v12
	v_cndmask_b32_e64 v12, v12, v14, s[4:5]
	v_cndmask_b32_e64 v10, v11, v10, s[4:5]
	v_mov_b32_e32 v11, 0x3b800000
	v_lshlrev_b32_e32 v10, 20, v10
	v_and_b32_e32 v9, 0x80000000, v9
	v_lshl_add_u32 v11, v12, 23, v11
	v_or3_b32 v9, v9, v11, v10
.LBB274_1597:
	s_or_b64 exec, exec, s[48:49]
	v_and_b32_e32 v11, 0x7fffffff, v9
	s_mov_b32 s4, 0x43f00000
	v_cmp_gt_u32_e64 s[4:5], s4, v11
                                        ; implicit-def: $vgpr10
	s_and_saveexec_b64 s[46:47], s[4:5]
	s_xor_b64 s[46:47], exec, s[46:47]
	s_cbranch_execz .LBB274_1603
; %bb.1598:
	s_mov_b32 s4, 0x3c7fffff
	v_cmp_lt_u32_e64 s[4:5], s4, v11
                                        ; implicit-def: $vgpr10
	s_and_saveexec_b64 s[48:49], s[4:5]
	s_xor_b64 s[48:49], exec, s[48:49]
; %bb.1599:
	v_bfe_u32 v10, v9, 20, 1
	s_mov_b32 s4, 0x407ffff
	v_add3_u32 v10, v9, v10, s4
	v_lshrrev_b32_e32 v11, 20, v10
	v_and_b32_e32 v10, 0xff00000, v10
	s_mov_b32 s4, 0x7f00000
	v_mov_b32_e32 v12, 0x7e
	v_cmp_ne_u32_e64 s[4:5], s4, v10
	v_cndmask_b32_e64 v10, v12, v11, s[4:5]
; %bb.1600:
	s_andn2_saveexec_b64 s[4:5], s[48:49]
; %bb.1601:
	s_mov_b32 s33, 0x46800000
	v_add_f32_e64 v10, |v9|, s33
; %bb.1602:
	s_or_b64 exec, exec, s[4:5]
                                        ; implicit-def: $vgpr11
.LBB274_1603:
	s_andn2_saveexec_b64 s[46:47], s[46:47]
; %bb.1604:
	s_mov_b32 s4, 0x7f800000
	v_mov_b32_e32 v10, 0x7e
	v_mov_b32_e32 v12, 0x7f
	v_cmp_lt_u32_e64 s[4:5], s4, v11
	v_cndmask_b32_e64 v10, v10, v12, s[4:5]
; %bb.1605:
	s_or_b64 exec, exec, s[46:47]
	v_lshrrev_b32_e32 v9, 24, v9
	s_movk_i32 s4, 0x80
	v_and_or_b32 v10, v9, s4, v10
.LBB274_1606:
	s_or_b64 exec, exec, s[44:45]
	s_or_b64 s[42:43], s[42:43], exec
.LBB274_1607:
	s_or_b64 exec, exec, s[38:39]
	s_and_b64 s[38:39], s[42:43], exec
	s_and_b64 s[40:41], s[40:41], exec
                                        ; implicit-def: $vgpr9
	s_andn2_saveexec_b64 s[30:31], s[30:31]
	s_cbranch_execnz .LBB274_2488
.LBB274_1608:
	s_or_b64 exec, exec, s[30:31]
	s_mov_b64 s[30:31], s[26:27]
	s_and_saveexec_b64 s[4:5], s[40:41]
	s_cbranch_execnz .LBB274_2537
.LBB274_1609:
	s_or_b64 exec, exec, s[4:5]
	s_and_saveexec_b64 s[40:41], s[8:9]
	s_cbranch_execz .LBB274_1619
.LBB274_1610:
	flat_load_ubyte v0, v[0:1]
                                        ; implicit-def: $vgpr10
	s_waitcnt vmcnt(0) lgkmcnt(0)
	v_cmp_ne_u16_e64 s[4:5], 0, v0
	v_cndmask_b32_e64 v0, 0, 1.0, s[4:5]
	s_mov_b32 s4, 0x43f00000
	v_cmp_gt_u32_e64 s[4:5], s4, v0
	s_and_saveexec_b64 s[8:9], s[4:5]
	s_xor_b64 s[8:9], exec, s[8:9]
	s_cbranch_execz .LBB274_1616
; %bb.1611:
	s_mov_b32 s4, 0x3c7fffff
	v_cmp_lt_u32_e64 s[4:5], s4, v0
                                        ; implicit-def: $vgpr10
	s_and_saveexec_b64 s[42:43], s[4:5]
	s_xor_b64 s[42:43], exec, s[42:43]
; %bb.1612:
	v_bfe_u32 v1, v0, 20, 1
	s_mov_b32 s4, 0x407ffff
	v_add3_u32 v0, v0, v1, s4
	v_lshrrev_b32_e32 v1, 20, v0
	v_and_b32_e32 v0, 0xff00000, v0
	s_mov_b32 s4, 0x7f00000
	v_mov_b32_e32 v9, 0x7e
	v_cmp_ne_u32_e64 s[4:5], s4, v0
	v_cndmask_b32_e64 v10, v9, v1, s[4:5]
                                        ; implicit-def: $vgpr0
; %bb.1613:
	s_andn2_saveexec_b64 s[4:5], s[42:43]
; %bb.1614:
	v_add_f32_e32 v10, 0x46800000, v0
; %bb.1615:
	s_or_b64 exec, exec, s[4:5]
                                        ; implicit-def: $vgpr0
.LBB274_1616:
	s_andn2_saveexec_b64 s[8:9], s[8:9]
; %bb.1617:
	s_mov_b32 s4, 0x7f800000
	v_mov_b32_e32 v1, 0x7e
	v_mov_b32_e32 v9, 0x7f
	v_cmp_lt_u32_e64 s[4:5], s4, v0
	v_cndmask_b32_e64 v10, v1, v9, s[4:5]
; %bb.1618:
	s_or_b64 exec, exec, s[8:9]
	s_or_b64 s[38:39], s[38:39], exec
.LBB274_1619:
	s_or_b64 exec, exec, s[40:41]
	s_andn2_b64 s[4:5], s[26:27], exec
	s_and_b64 s[8:9], s[30:31], exec
	s_or_b64 s[30:31], s[4:5], s[8:9]
	s_and_b64 s[8:9], s[38:39], exec
                                        ; implicit-def: $vgpr9
                                        ; implicit-def: $vgpr0_vgpr1
.LBB274_1620:
	s_andn2_saveexec_b64 s[6:7], s[6:7]
	s_cbranch_execz .LBB274_1750
; %bb.1621:
	v_cmp_lt_i16_e64 s[4:5], 4, v9
                                        ; implicit-def: $vgpr10
	s_and_saveexec_b64 s[38:39], s[4:5]
	s_xor_b64 s[38:39], exec, s[38:39]
	s_cbranch_execz .LBB274_1691
; %bb.1622:
	v_cmp_lt_i16_e64 s[4:5], 7, v9
                                        ; implicit-def: $vgpr10
	s_and_saveexec_b64 s[40:41], s[4:5]
	s_xor_b64 s[40:41], exec, s[40:41]
	;; [unrolled: 6-line block ×4, first 2 shown]
	s_cbranch_execz .LBB274_1634
; %bb.1625:
	flat_load_dwordx2 v[0:1], v[0:1]
	s_mov_b32 s4, 0x43f00000
	s_waitcnt vmcnt(0) lgkmcnt(0)
	v_cvt_f32_f64_e32 v0, v[0:1]
                                        ; implicit-def: $vgpr1
	v_and_b32_e32 v9, 0x7fffffff, v0
	v_cmp_gt_u32_e64 s[4:5], s4, v9
	s_and_saveexec_b64 s[46:47], s[4:5]
	s_xor_b64 s[46:47], exec, s[46:47]
	s_cbranch_execz .LBB274_1631
; %bb.1626:
	s_mov_b32 s4, 0x3c7fffff
	v_cmp_lt_u32_e64 s[4:5], s4, v9
                                        ; implicit-def: $vgpr1
	s_and_saveexec_b64 s[48:49], s[4:5]
	s_xor_b64 s[48:49], exec, s[48:49]
; %bb.1627:
	v_bfe_u32 v1, v0, 20, 1
	s_mov_b32 s4, 0x407ffff
	v_add3_u32 v1, v0, v1, s4
	v_lshrrev_b32_e32 v9, 20, v1
	v_and_b32_e32 v1, 0xff00000, v1
	s_mov_b32 s4, 0x7f00000
	v_mov_b32_e32 v10, 0x7e
	v_cmp_ne_u32_e64 s[4:5], s4, v1
	v_cndmask_b32_e64 v1, v10, v9, s[4:5]
; %bb.1628:
	s_andn2_saveexec_b64 s[4:5], s[48:49]
; %bb.1629:
	s_mov_b32 s33, 0x46800000
	v_add_f32_e64 v1, |v0|, s33
; %bb.1630:
	s_or_b64 exec, exec, s[4:5]
                                        ; implicit-def: $vgpr9
.LBB274_1631:
	s_andn2_saveexec_b64 s[46:47], s[46:47]
; %bb.1632:
	s_mov_b32 s4, 0x7f800000
	v_mov_b32_e32 v1, 0x7e
	v_mov_b32_e32 v10, 0x7f
	v_cmp_lt_u32_e64 s[4:5], s4, v9
	v_cndmask_b32_e64 v1, v1, v10, s[4:5]
; %bb.1633:
	s_or_b64 exec, exec, s[46:47]
	v_lshrrev_b32_e32 v0, 24, v0
	s_movk_i32 s4, 0x80
	v_and_or_b32 v10, v0, s4, v1
                                        ; implicit-def: $vgpr0_vgpr1
.LBB274_1634:
	s_andn2_saveexec_b64 s[44:45], s[44:45]
	s_cbranch_execz .LBB274_1644
; %bb.1635:
	flat_load_dword v0, v[0:1]
	s_mov_b32 s4, 0x43f00000
                                        ; implicit-def: $vgpr1
	s_waitcnt vmcnt(0) lgkmcnt(0)
	v_and_b32_e32 v9, 0x7fffffff, v0
	v_cmp_gt_u32_e64 s[4:5], s4, v9
	s_and_saveexec_b64 s[46:47], s[4:5]
	s_xor_b64 s[46:47], exec, s[46:47]
	s_cbranch_execz .LBB274_1641
; %bb.1636:
	s_mov_b32 s4, 0x3c7fffff
	v_cmp_lt_u32_e64 s[4:5], s4, v9
                                        ; implicit-def: $vgpr1
	s_and_saveexec_b64 s[48:49], s[4:5]
	s_xor_b64 s[48:49], exec, s[48:49]
; %bb.1637:
	v_bfe_u32 v1, v0, 20, 1
	s_mov_b32 s4, 0x407ffff
	v_add3_u32 v1, v0, v1, s4
	v_lshrrev_b32_e32 v9, 20, v1
	v_and_b32_e32 v1, 0xff00000, v1
	s_mov_b32 s4, 0x7f00000
	v_mov_b32_e32 v10, 0x7e
	v_cmp_ne_u32_e64 s[4:5], s4, v1
	v_cndmask_b32_e64 v1, v10, v9, s[4:5]
; %bb.1638:
	s_andn2_saveexec_b64 s[4:5], s[48:49]
; %bb.1639:
	s_mov_b32 s33, 0x46800000
	v_add_f32_e64 v1, |v0|, s33
; %bb.1640:
	s_or_b64 exec, exec, s[4:5]
                                        ; implicit-def: $vgpr9
.LBB274_1641:
	s_andn2_saveexec_b64 s[46:47], s[46:47]
; %bb.1642:
	s_mov_b32 s4, 0x7f800000
	v_mov_b32_e32 v1, 0x7e
	v_mov_b32_e32 v10, 0x7f
	v_cmp_lt_u32_e64 s[4:5], s4, v9
	v_cndmask_b32_e64 v1, v1, v10, s[4:5]
; %bb.1643:
	s_or_b64 exec, exec, s[46:47]
	v_lshrrev_b32_e32 v0, 24, v0
	s_movk_i32 s4, 0x80
	v_and_or_b32 v10, v0, s4, v1
.LBB274_1644:
	s_or_b64 exec, exec, s[44:45]
                                        ; implicit-def: $vgpr0_vgpr1
.LBB274_1645:
	s_andn2_saveexec_b64 s[42:43], s[42:43]
	s_cbranch_execz .LBB274_1655
; %bb.1646:
	flat_load_dword v0, v[0:1]
	s_mov_b32 s4, 0x43f00000
                                        ; implicit-def: $vgpr1
	s_waitcnt vmcnt(0) lgkmcnt(0)
	v_cvt_f32_f16_e32 v0, v0
	v_and_b32_e32 v9, 0x7fffffff, v0
	v_cmp_gt_u32_e64 s[4:5], s4, v9
	s_and_saveexec_b64 s[44:45], s[4:5]
	s_xor_b64 s[44:45], exec, s[44:45]
	s_cbranch_execz .LBB274_1652
; %bb.1647:
	s_mov_b32 s4, 0x3c7fffff
	v_cmp_lt_u32_e64 s[4:5], s4, v9
                                        ; implicit-def: $vgpr1
	s_and_saveexec_b64 s[46:47], s[4:5]
	s_xor_b64 s[46:47], exec, s[46:47]
; %bb.1648:
	v_bfe_u32 v1, v0, 20, 1
	s_mov_b32 s4, 0x407ffff
	v_add3_u32 v1, v0, v1, s4
	v_lshrrev_b32_e32 v9, 20, v1
	v_and_b32_e32 v1, 0xff00000, v1
	s_mov_b32 s4, 0x7f00000
	v_mov_b32_e32 v10, 0x7e
	v_cmp_ne_u32_e64 s[4:5], s4, v1
	v_cndmask_b32_e64 v1, v10, v9, s[4:5]
; %bb.1649:
	s_andn2_saveexec_b64 s[4:5], s[46:47]
; %bb.1650:
	s_mov_b32 s33, 0x46800000
	v_add_f32_e64 v1, |v0|, s33
; %bb.1651:
	s_or_b64 exec, exec, s[4:5]
                                        ; implicit-def: $vgpr9
.LBB274_1652:
	s_andn2_saveexec_b64 s[44:45], s[44:45]
; %bb.1653:
	s_mov_b32 s4, 0x7f800000
	v_mov_b32_e32 v1, 0x7e
	v_mov_b32_e32 v10, 0x7f
	v_cmp_lt_u32_e64 s[4:5], s4, v9
	v_cndmask_b32_e64 v1, v1, v10, s[4:5]
; %bb.1654:
	s_or_b64 exec, exec, s[44:45]
	v_lshrrev_b32_e32 v0, 24, v0
	s_movk_i32 s4, 0x80
	v_and_or_b32 v10, v0, s4, v1
.LBB274_1655:
	s_or_b64 exec, exec, s[42:43]
                                        ; implicit-def: $vgpr9
                                        ; implicit-def: $vgpr0_vgpr1
.LBB274_1656:
	s_andn2_saveexec_b64 s[40:41], s[40:41]
	s_cbranch_execz .LBB274_1690
; %bb.1657:
	v_cmp_lt_i16_e64 s[4:5], 5, v9
                                        ; implicit-def: $vgpr10
	s_and_saveexec_b64 s[42:43], s[4:5]
	s_xor_b64 s[42:43], exec, s[42:43]
	s_cbranch_execz .LBB274_1679
; %bb.1658:
	v_cmp_lt_i16_e64 s[4:5], 6, v9
                                        ; implicit-def: $vgpr10
	s_and_saveexec_b64 s[44:45], s[4:5]
	s_xor_b64 s[44:45], exec, s[44:45]
	s_cbranch_execz .LBB274_1668
; %bb.1659:
	flat_load_dwordx2 v[0:1], v[0:1]
	s_mov_b32 s4, 0x43f00000
	s_waitcnt vmcnt(0) lgkmcnt(0)
	v_cvt_f32_f64_e32 v0, v[0:1]
                                        ; implicit-def: $vgpr1
	v_and_b32_e32 v9, 0x7fffffff, v0
	v_cmp_gt_u32_e64 s[4:5], s4, v9
	s_and_saveexec_b64 s[46:47], s[4:5]
	s_xor_b64 s[46:47], exec, s[46:47]
	s_cbranch_execz .LBB274_1665
; %bb.1660:
	s_mov_b32 s4, 0x3c7fffff
	v_cmp_lt_u32_e64 s[4:5], s4, v9
                                        ; implicit-def: $vgpr1
	s_and_saveexec_b64 s[48:49], s[4:5]
	s_xor_b64 s[48:49], exec, s[48:49]
; %bb.1661:
	v_bfe_u32 v1, v0, 20, 1
	s_mov_b32 s4, 0x407ffff
	v_add3_u32 v1, v0, v1, s4
	v_lshrrev_b32_e32 v9, 20, v1
	v_and_b32_e32 v1, 0xff00000, v1
	s_mov_b32 s4, 0x7f00000
	v_mov_b32_e32 v10, 0x7e
	v_cmp_ne_u32_e64 s[4:5], s4, v1
	v_cndmask_b32_e64 v1, v10, v9, s[4:5]
; %bb.1662:
	s_andn2_saveexec_b64 s[4:5], s[48:49]
; %bb.1663:
	s_mov_b32 s33, 0x46800000
	v_add_f32_e64 v1, |v0|, s33
; %bb.1664:
	s_or_b64 exec, exec, s[4:5]
                                        ; implicit-def: $vgpr9
.LBB274_1665:
	s_andn2_saveexec_b64 s[46:47], s[46:47]
; %bb.1666:
	s_mov_b32 s4, 0x7f800000
	v_mov_b32_e32 v1, 0x7e
	v_mov_b32_e32 v10, 0x7f
	v_cmp_lt_u32_e64 s[4:5], s4, v9
	v_cndmask_b32_e64 v1, v1, v10, s[4:5]
; %bb.1667:
	s_or_b64 exec, exec, s[46:47]
	v_lshrrev_b32_e32 v0, 24, v0
	s_movk_i32 s4, 0x80
	v_and_or_b32 v10, v0, s4, v1
                                        ; implicit-def: $vgpr0_vgpr1
.LBB274_1668:
	s_andn2_saveexec_b64 s[44:45], s[44:45]
	s_cbranch_execz .LBB274_1678
; %bb.1669:
	flat_load_dword v0, v[0:1]
	s_mov_b32 s4, 0x43f00000
                                        ; implicit-def: $vgpr1
	s_waitcnt vmcnt(0) lgkmcnt(0)
	v_and_b32_e32 v9, 0x7fffffff, v0
	v_cmp_gt_u32_e64 s[4:5], s4, v9
	s_and_saveexec_b64 s[46:47], s[4:5]
	s_xor_b64 s[46:47], exec, s[46:47]
	s_cbranch_execz .LBB274_1675
; %bb.1670:
	s_mov_b32 s4, 0x3c7fffff
	v_cmp_lt_u32_e64 s[4:5], s4, v9
                                        ; implicit-def: $vgpr1
	s_and_saveexec_b64 s[48:49], s[4:5]
	s_xor_b64 s[48:49], exec, s[48:49]
; %bb.1671:
	v_bfe_u32 v1, v0, 20, 1
	s_mov_b32 s4, 0x407ffff
	v_add3_u32 v1, v0, v1, s4
	v_lshrrev_b32_e32 v9, 20, v1
	v_and_b32_e32 v1, 0xff00000, v1
	s_mov_b32 s4, 0x7f00000
	v_mov_b32_e32 v10, 0x7e
	v_cmp_ne_u32_e64 s[4:5], s4, v1
	v_cndmask_b32_e64 v1, v10, v9, s[4:5]
; %bb.1672:
	s_andn2_saveexec_b64 s[4:5], s[48:49]
; %bb.1673:
	s_mov_b32 s33, 0x46800000
	v_add_f32_e64 v1, |v0|, s33
; %bb.1674:
	s_or_b64 exec, exec, s[4:5]
                                        ; implicit-def: $vgpr9
.LBB274_1675:
	s_andn2_saveexec_b64 s[46:47], s[46:47]
; %bb.1676:
	s_mov_b32 s4, 0x7f800000
	v_mov_b32_e32 v1, 0x7e
	v_mov_b32_e32 v10, 0x7f
	v_cmp_lt_u32_e64 s[4:5], s4, v9
	v_cndmask_b32_e64 v1, v1, v10, s[4:5]
; %bb.1677:
	s_or_b64 exec, exec, s[46:47]
	v_lshrrev_b32_e32 v0, 24, v0
	s_movk_i32 s4, 0x80
	v_and_or_b32 v10, v0, s4, v1
.LBB274_1678:
	s_or_b64 exec, exec, s[44:45]
                                        ; implicit-def: $vgpr0_vgpr1
.LBB274_1679:
	s_andn2_saveexec_b64 s[42:43], s[42:43]
	s_cbranch_execz .LBB274_1689
; %bb.1680:
	flat_load_ushort v0, v[0:1]
	s_mov_b32 s4, 0x43f00000
                                        ; implicit-def: $vgpr1
	s_waitcnt vmcnt(0) lgkmcnt(0)
	v_cvt_f32_f16_e32 v0, v0
	v_and_b32_e32 v9, 0x7fffffff, v0
	v_cmp_gt_u32_e64 s[4:5], s4, v9
	s_and_saveexec_b64 s[44:45], s[4:5]
	s_xor_b64 s[44:45], exec, s[44:45]
	s_cbranch_execz .LBB274_1686
; %bb.1681:
	s_mov_b32 s4, 0x3c7fffff
	v_cmp_lt_u32_e64 s[4:5], s4, v9
                                        ; implicit-def: $vgpr1
	s_and_saveexec_b64 s[46:47], s[4:5]
	s_xor_b64 s[46:47], exec, s[46:47]
; %bb.1682:
	v_bfe_u32 v1, v0, 20, 1
	s_mov_b32 s4, 0x407ffff
	v_add3_u32 v1, v0, v1, s4
	v_lshrrev_b32_e32 v9, 20, v1
	v_and_b32_e32 v1, 0xff00000, v1
	s_mov_b32 s4, 0x7f00000
	v_mov_b32_e32 v10, 0x7e
	v_cmp_ne_u32_e64 s[4:5], s4, v1
	v_cndmask_b32_e64 v1, v10, v9, s[4:5]
; %bb.1683:
	s_andn2_saveexec_b64 s[4:5], s[46:47]
; %bb.1684:
	s_mov_b32 s33, 0x46800000
	v_add_f32_e64 v1, |v0|, s33
; %bb.1685:
	s_or_b64 exec, exec, s[4:5]
                                        ; implicit-def: $vgpr9
.LBB274_1686:
	s_andn2_saveexec_b64 s[44:45], s[44:45]
; %bb.1687:
	s_mov_b32 s4, 0x7f800000
	v_mov_b32_e32 v1, 0x7e
	v_mov_b32_e32 v10, 0x7f
	v_cmp_lt_u32_e64 s[4:5], s4, v9
	v_cndmask_b32_e64 v1, v1, v10, s[4:5]
; %bb.1688:
	s_or_b64 exec, exec, s[44:45]
	v_lshrrev_b32_e32 v0, 24, v0
	s_movk_i32 s4, 0x80
	v_and_or_b32 v10, v0, s4, v1
.LBB274_1689:
	s_or_b64 exec, exec, s[42:43]
.LBB274_1690:
	s_or_b64 exec, exec, s[40:41]
                                        ; implicit-def: $vgpr9
                                        ; implicit-def: $vgpr0_vgpr1
.LBB274_1691:
	s_andn2_saveexec_b64 s[38:39], s[38:39]
	s_cbranch_execz .LBB274_1749
; %bb.1692:
	v_cmp_lt_i16_e64 s[4:5], 1, v9
                                        ; implicit-def: $vgpr10
	s_and_saveexec_b64 s[40:41], s[4:5]
	s_xor_b64 s[40:41], exec, s[40:41]
	s_cbranch_execz .LBB274_1726
; %bb.1693:
	v_cmp_lt_i16_e64 s[4:5], 2, v9
                                        ; implicit-def: $vgpr10
	s_and_saveexec_b64 s[42:43], s[4:5]
	s_xor_b64 s[42:43], exec, s[42:43]
	;; [unrolled: 6-line block ×3, first 2 shown]
	s_cbranch_execz .LBB274_1704
; %bb.1695:
	flat_load_dwordx2 v[0:1], v[0:1]
	s_mov_b32 s4, 0x43f00000
	s_waitcnt vmcnt(0) lgkmcnt(0)
	v_xor_b32_e32 v10, v0, v1
	v_ffbh_i32_e32 v9, v1
	v_ashrrev_i32_e32 v10, 31, v10
	v_add_u32_e32 v9, -1, v9
	v_add_u32_e32 v10, 32, v10
	v_min_u32_e32 v9, v9, v10
	v_lshlrev_b64 v[0:1], v9, v[0:1]
	v_min_u32_e32 v0, 1, v0
	v_or_b32_e32 v0, v1, v0
	v_cvt_f32_i32_e32 v0, v0
	v_sub_u32_e32 v1, 32, v9
	v_ldexp_f32 v0, v0, v1
	v_and_b32_e32 v9, 0x7fffffff, v0
	v_cmp_gt_u32_e64 s[4:5], s4, v9
                                        ; implicit-def: $vgpr1
	s_and_saveexec_b64 s[46:47], s[4:5]
	s_xor_b64 s[46:47], exec, s[46:47]
	s_cbranch_execz .LBB274_1701
; %bb.1696:
	s_mov_b32 s4, 0x3c7fffff
	v_cmp_lt_u32_e64 s[4:5], s4, v9
                                        ; implicit-def: $vgpr1
	s_and_saveexec_b64 s[48:49], s[4:5]
	s_xor_b64 s[48:49], exec, s[48:49]
; %bb.1697:
	v_bfe_u32 v1, v0, 20, 1
	s_mov_b32 s4, 0x407ffff
	v_add3_u32 v1, v0, v1, s4
	v_lshrrev_b32_e32 v9, 20, v1
	v_and_b32_e32 v1, 0xff00000, v1
	s_mov_b32 s4, 0x7f00000
	v_mov_b32_e32 v10, 0x7e
	v_cmp_ne_u32_e64 s[4:5], s4, v1
	v_cndmask_b32_e64 v1, v10, v9, s[4:5]
; %bb.1698:
	s_andn2_saveexec_b64 s[4:5], s[48:49]
; %bb.1699:
	s_mov_b32 s33, 0x46800000
	v_add_f32_e64 v1, |v0|, s33
; %bb.1700:
	s_or_b64 exec, exec, s[4:5]
                                        ; implicit-def: $vgpr9
.LBB274_1701:
	s_andn2_saveexec_b64 s[46:47], s[46:47]
; %bb.1702:
	s_mov_b32 s4, 0x7f800000
	v_mov_b32_e32 v1, 0x7e
	v_mov_b32_e32 v10, 0x7f
	v_cmp_lt_u32_e64 s[4:5], s4, v9
	v_cndmask_b32_e64 v1, v1, v10, s[4:5]
; %bb.1703:
	s_or_b64 exec, exec, s[46:47]
	v_lshrrev_b32_e32 v0, 24, v0
	s_movk_i32 s4, 0x80
	v_and_or_b32 v10, v0, s4, v1
                                        ; implicit-def: $vgpr0_vgpr1
.LBB274_1704:
	s_andn2_saveexec_b64 s[44:45], s[44:45]
	s_cbranch_execz .LBB274_1714
; %bb.1705:
	flat_load_dword v0, v[0:1]
	s_mov_b32 s4, 0x43f00000
                                        ; implicit-def: $vgpr1
	s_waitcnt vmcnt(0) lgkmcnt(0)
	v_cvt_f32_i32_e32 v0, v0
	v_and_b32_e32 v9, 0x7fffffff, v0
	v_cmp_gt_u32_e64 s[4:5], s4, v9
	s_and_saveexec_b64 s[46:47], s[4:5]
	s_xor_b64 s[46:47], exec, s[46:47]
	s_cbranch_execz .LBB274_1711
; %bb.1706:
	s_mov_b32 s4, 0x3c7fffff
	v_cmp_lt_u32_e64 s[4:5], s4, v9
                                        ; implicit-def: $vgpr1
	s_and_saveexec_b64 s[48:49], s[4:5]
	s_xor_b64 s[48:49], exec, s[48:49]
; %bb.1707:
	v_bfe_u32 v1, v0, 20, 1
	s_mov_b32 s4, 0x407ffff
	v_add3_u32 v1, v0, v1, s4
	v_lshrrev_b32_e32 v9, 20, v1
	v_and_b32_e32 v1, 0xff00000, v1
	s_mov_b32 s4, 0x7f00000
	v_mov_b32_e32 v10, 0x7e
	v_cmp_ne_u32_e64 s[4:5], s4, v1
	v_cndmask_b32_e64 v1, v10, v9, s[4:5]
; %bb.1708:
	s_andn2_saveexec_b64 s[4:5], s[48:49]
; %bb.1709:
	s_mov_b32 s33, 0x46800000
	v_add_f32_e64 v1, |v0|, s33
; %bb.1710:
	s_or_b64 exec, exec, s[4:5]
                                        ; implicit-def: $vgpr9
.LBB274_1711:
	s_andn2_saveexec_b64 s[46:47], s[46:47]
; %bb.1712:
	s_mov_b32 s4, 0x7f800000
	v_mov_b32_e32 v1, 0x7e
	v_mov_b32_e32 v10, 0x7f
	v_cmp_lt_u32_e64 s[4:5], s4, v9
	v_cndmask_b32_e64 v1, v1, v10, s[4:5]
; %bb.1713:
	s_or_b64 exec, exec, s[46:47]
	v_lshrrev_b32_e32 v0, 24, v0
	s_movk_i32 s4, 0x80
	v_and_or_b32 v10, v0, s4, v1
.LBB274_1714:
	s_or_b64 exec, exec, s[44:45]
                                        ; implicit-def: $vgpr0_vgpr1
.LBB274_1715:
	s_andn2_saveexec_b64 s[42:43], s[42:43]
	s_cbranch_execz .LBB274_1725
; %bb.1716:
	flat_load_sshort v0, v[0:1]
	s_mov_b32 s4, 0x43f00000
                                        ; implicit-def: $vgpr1
	s_waitcnt vmcnt(0) lgkmcnt(0)
	v_cvt_f32_i32_e32 v0, v0
	v_and_b32_e32 v9, 0x7fffffff, v0
	v_cmp_gt_u32_e64 s[4:5], s4, v9
	s_and_saveexec_b64 s[44:45], s[4:5]
	s_xor_b64 s[44:45], exec, s[44:45]
	s_cbranch_execz .LBB274_1722
; %bb.1717:
	s_mov_b32 s4, 0x3c7fffff
	v_cmp_lt_u32_e64 s[4:5], s4, v9
                                        ; implicit-def: $vgpr1
	s_and_saveexec_b64 s[46:47], s[4:5]
	s_xor_b64 s[46:47], exec, s[46:47]
; %bb.1718:
	v_bfe_u32 v1, v0, 20, 1
	s_mov_b32 s4, 0x407ffff
	v_add3_u32 v1, v0, v1, s4
	v_lshrrev_b32_e32 v9, 20, v1
	v_and_b32_e32 v1, 0xff00000, v1
	s_mov_b32 s4, 0x7f00000
	v_mov_b32_e32 v10, 0x7e
	v_cmp_ne_u32_e64 s[4:5], s4, v1
	v_cndmask_b32_e64 v1, v10, v9, s[4:5]
; %bb.1719:
	s_andn2_saveexec_b64 s[4:5], s[46:47]
; %bb.1720:
	s_mov_b32 s33, 0x46800000
	v_add_f32_e64 v1, |v0|, s33
; %bb.1721:
	s_or_b64 exec, exec, s[4:5]
                                        ; implicit-def: $vgpr9
.LBB274_1722:
	s_andn2_saveexec_b64 s[44:45], s[44:45]
; %bb.1723:
	s_mov_b32 s4, 0x7f800000
	v_mov_b32_e32 v1, 0x7e
	v_mov_b32_e32 v10, 0x7f
	v_cmp_lt_u32_e64 s[4:5], s4, v9
	v_cndmask_b32_e64 v1, v1, v10, s[4:5]
; %bb.1724:
	s_or_b64 exec, exec, s[44:45]
	v_lshrrev_b32_e32 v0, 24, v0
	s_movk_i32 s4, 0x80
	v_and_or_b32 v10, v0, s4, v1
.LBB274_1725:
	s_or_b64 exec, exec, s[42:43]
                                        ; implicit-def: $vgpr9
                                        ; implicit-def: $vgpr0_vgpr1
.LBB274_1726:
	s_andn2_saveexec_b64 s[40:41], s[40:41]
	s_cbranch_execz .LBB274_1748
; %bb.1727:
	v_cmp_lt_i16_e64 s[4:5], 0, v9
                                        ; implicit-def: $vgpr10
	s_and_saveexec_b64 s[42:43], s[4:5]
	s_xor_b64 s[42:43], exec, s[42:43]
	s_cbranch_execz .LBB274_1737
; %bb.1728:
	flat_load_sbyte v0, v[0:1]
	s_mov_b32 s4, 0x43f00000
                                        ; implicit-def: $vgpr1
	s_waitcnt vmcnt(0) lgkmcnt(0)
	v_cvt_f32_i32_e32 v0, v0
	v_and_b32_e32 v9, 0x7fffffff, v0
	v_cmp_gt_u32_e64 s[4:5], s4, v9
	s_and_saveexec_b64 s[44:45], s[4:5]
	s_xor_b64 s[44:45], exec, s[44:45]
	s_cbranch_execz .LBB274_1734
; %bb.1729:
	s_mov_b32 s4, 0x3c7fffff
	v_cmp_lt_u32_e64 s[4:5], s4, v9
                                        ; implicit-def: $vgpr1
	s_and_saveexec_b64 s[46:47], s[4:5]
	s_xor_b64 s[46:47], exec, s[46:47]
; %bb.1730:
	v_bfe_u32 v1, v0, 20, 1
	s_mov_b32 s4, 0x407ffff
	v_add3_u32 v1, v0, v1, s4
	v_lshrrev_b32_e32 v9, 20, v1
	v_and_b32_e32 v1, 0xff00000, v1
	s_mov_b32 s4, 0x7f00000
	v_mov_b32_e32 v10, 0x7e
	v_cmp_ne_u32_e64 s[4:5], s4, v1
	v_cndmask_b32_e64 v1, v10, v9, s[4:5]
; %bb.1731:
	s_andn2_saveexec_b64 s[4:5], s[46:47]
; %bb.1732:
	s_mov_b32 s33, 0x46800000
	v_add_f32_e64 v1, |v0|, s33
; %bb.1733:
	s_or_b64 exec, exec, s[4:5]
                                        ; implicit-def: $vgpr9
.LBB274_1734:
	s_andn2_saveexec_b64 s[44:45], s[44:45]
; %bb.1735:
	s_mov_b32 s4, 0x7f800000
	v_mov_b32_e32 v1, 0x7e
	v_mov_b32_e32 v10, 0x7f
	v_cmp_lt_u32_e64 s[4:5], s4, v9
	v_cndmask_b32_e64 v1, v1, v10, s[4:5]
; %bb.1736:
	s_or_b64 exec, exec, s[44:45]
	v_lshrrev_b32_e32 v0, 24, v0
	s_movk_i32 s4, 0x80
	v_and_or_b32 v10, v0, s4, v1
                                        ; implicit-def: $vgpr0_vgpr1
.LBB274_1737:
	s_andn2_saveexec_b64 s[42:43], s[42:43]
	s_cbranch_execz .LBB274_1747
; %bb.1738:
	flat_load_ubyte v0, v[0:1]
	s_mov_b32 s4, 0x43f00000
                                        ; implicit-def: $vgpr10
	s_waitcnt vmcnt(0) lgkmcnt(0)
	v_cvt_f32_ubyte0_e32 v0, v0
	v_cmp_gt_u32_e64 s[4:5], s4, v0
	s_and_saveexec_b64 s[44:45], s[4:5]
	s_xor_b64 s[44:45], exec, s[44:45]
	s_cbranch_execz .LBB274_1744
; %bb.1739:
	s_mov_b32 s4, 0x3c7fffff
	v_cmp_lt_u32_e64 s[4:5], s4, v0
                                        ; implicit-def: $vgpr10
	s_and_saveexec_b64 s[46:47], s[4:5]
	s_xor_b64 s[46:47], exec, s[46:47]
; %bb.1740:
	v_bfe_u32 v1, v0, 20, 1
	s_mov_b32 s4, 0x407ffff
	v_add3_u32 v0, v0, v1, s4
	v_lshrrev_b32_e32 v1, 20, v0
	v_and_b32_e32 v0, 0xff00000, v0
	s_mov_b32 s4, 0x7f00000
	v_mov_b32_e32 v9, 0x7e
	v_cmp_ne_u32_e64 s[4:5], s4, v0
	v_cndmask_b32_e64 v10, v9, v1, s[4:5]
                                        ; implicit-def: $vgpr0
; %bb.1741:
	s_andn2_saveexec_b64 s[4:5], s[46:47]
; %bb.1742:
	v_add_f32_e32 v10, 0x46800000, v0
; %bb.1743:
	s_or_b64 exec, exec, s[4:5]
                                        ; implicit-def: $vgpr0
.LBB274_1744:
	s_andn2_saveexec_b64 s[44:45], s[44:45]
; %bb.1745:
	s_mov_b32 s4, 0x7f800000
	v_mov_b32_e32 v1, 0x7e
	v_mov_b32_e32 v9, 0x7f
	v_cmp_lt_u32_e64 s[4:5], s4, v0
	v_cndmask_b32_e64 v10, v1, v9, s[4:5]
; %bb.1746:
	s_or_b64 exec, exec, s[44:45]
.LBB274_1747:
	s_or_b64 exec, exec, s[42:43]
.LBB274_1748:
	s_or_b64 exec, exec, s[40:41]
.LBB274_1749:
	s_or_b64 exec, exec, s[38:39]
	s_or_b64 s[8:9], s[8:9], exec
.LBB274_1750:
	s_or_b64 exec, exec, s[6:7]
	s_mov_b64 s[4:5], 0
	s_mov_b64 s[42:43], 0
                                        ; implicit-def: $sgpr6_sgpr7
                                        ; implicit-def: $vgpr0_vgpr1
                                        ; implicit-def: $vgpr21
	s_and_saveexec_b64 s[38:39], s[8:9]
	s_cbranch_execz .LBB274_2046
; %bb.1751:
	buffer_load_ubyte v21, off, s[0:3], 0 offset:40
	v_mul_lo_u32 v7, v4, v7
	s_mov_b64 s[44:45], 0
	s_mov_b64 s[40:41], s[30:31]
	v_ashrrev_i32_e32 v1, 31, v7
	v_add_co_u32_e64 v0, s[4:5], v2, v7
	v_addc_co_u32_e64 v1, s[4:5], v3, v1, s[4:5]
	s_waitcnt vmcnt(0)
	v_cmp_lt_i16_e64 s[4:5], 10, v21
	s_and_saveexec_b64 s[6:7], s[4:5]
	s_xor_b64 s[8:9], exec, s[6:7]
	s_cbranch_execz .LBB274_1792
; %bb.1752:
	v_cmp_lt_i16_e64 s[4:5], 25, v21
	s_mov_b64 s[40:41], 0
	s_mov_b64 s[6:7], 0
	s_and_saveexec_b64 s[42:43], s[4:5]
	s_xor_b64 s[42:43], exec, s[42:43]
	s_cbranch_execz .LBB274_2546
; %bb.1753:
	v_cmp_lt_i16_e64 s[4:5], 28, v21
	s_mov_b64 s[46:47], 0
	s_and_saveexec_b64 s[40:41], s[4:5]
	s_xor_b64 s[40:41], exec, s[40:41]
	s_cbranch_execz .LBB274_1771
; %bb.1754:
	v_cmp_lt_i16_e64 s[4:5], 43, v21
	;; [unrolled: 6-line block ×3, first 2 shown]
	s_mov_b64 s[50:51], 0
	s_and_saveexec_b64 s[6:7], s[4:5]
	s_xor_b64 s[6:7], exec, s[6:7]
	s_cbranch_execz .LBB274_1759
; %bb.1756:
	v_cmp_eq_u16_e64 s[4:5], 46, v21
	s_mov_b64 s[52:53], -1
	s_and_saveexec_b64 s[50:51], s[4:5]
	s_cbranch_execz .LBB274_1758
; %bb.1757:
	v_cndmask_b32_e64 v9, 0, 1.0, vcc
	v_bfe_u32 v11, v9, 16, 1
	s_movk_i32 s4, 0x7fff
	v_add3_u32 v9, v9, v11, s4
	v_lshrrev_b32_e32 v9, 16, v9
	s_mov_b64 s[48:49], exec
	flat_store_dword v[0:1], v9
	s_xor_b64 s[52:53], exec, -1
.LBB274_1758:
	s_or_b64 exec, exec, s[50:51]
	s_and_b64 s[50:51], s[48:49], exec
	s_and_b64 s[48:49], s[52:53], exec
.LBB274_1759:
	s_andn2_saveexec_b64 s[52:53], s[6:7]
	s_cbranch_execz .LBB274_1765
; %bb.1760:
	v_cmp_eq_u16_e64 s[4:5], 44, v21
	s_mov_b64 s[6:7], -1
	s_mov_b64 s[56:57], s[50:51]
	s_and_saveexec_b64 s[54:55], s[4:5]
	s_cbranch_execz .LBB274_1764
; %bb.1761:
	v_cndmask_b32_e64 v11, 0, 1.0, vcc
	v_lshrrev_b32_e32 v9, 23, v11
	s_movk_i32 s4, 0xff
	v_cmp_ne_u32_e64 s[4:5], s4, v9
	v_mov_b32_e32 v12, 0xff
	s_and_saveexec_b64 s[56:57], s[4:5]
; %bb.1762:
	s_mov_b32 s6, 0x3fffff
	v_and_b32_e32 v12, 0x400000, v11
	v_and_or_b32 v11, v11, s6, v9
	v_cmp_ne_u32_e64 s[4:5], 0, v12
	v_cmp_ne_u32_e64 s[6:7], 0, v11
	s_and_b64 s[4:5], s[4:5], s[6:7]
	v_cndmask_b32_e64 v11, 0, 1, s[4:5]
	v_add_u32_e32 v12, v9, v11
; %bb.1763:
	s_or_b64 exec, exec, s[56:57]
	s_or_b64 s[56:57], s[50:51], exec
	s_xor_b64 s[6:7], exec, -1
	flat_store_byte v[0:1], v12
.LBB274_1764:
	s_or_b64 exec, exec, s[54:55]
	s_andn2_b64 s[4:5], s[50:51], exec
	s_and_b64 s[50:51], s[56:57], exec
	s_or_b64 s[50:51], s[4:5], s[50:51]
	s_andn2_b64 s[4:5], s[48:49], exec
	s_and_b64 s[6:7], s[6:7], exec
	s_or_b64 s[48:49], s[4:5], s[6:7]
.LBB274_1765:
	s_or_b64 exec, exec, s[52:53]
	s_and_b64 s[6:7], s[50:51], exec
	s_and_b64 s[48:49], s[48:49], exec
.LBB274_1766:
	s_andn2_saveexec_b64 s[46:47], s[46:47]
	s_cbranch_execz .LBB274_1770
; %bb.1767:
	v_cmp_eq_u16_e64 s[4:5], 29, v21
	s_mov_b64 s[50:51], -1
	s_mov_b64 s[54:55], s[6:7]
	s_and_saveexec_b64 s[52:53], s[4:5]
	s_cbranch_execz .LBB274_1769
; %bb.1768:
	s_mov_b32 s4, 0
	v_cndmask_b32_e64 v11, 0, 1, vcc
	v_mov_b32_e32 v12, s4
	flat_store_dwordx2 v[0:1], v[11:12]
	s_or_b64 s[54:55], s[6:7], exec
	s_xor_b64 s[50:51], exec, -1
.LBB274_1769:
	s_or_b64 exec, exec, s[52:53]
	s_andn2_b64 s[4:5], s[6:7], exec
	s_and_b64 s[6:7], s[54:55], exec
	s_or_b64 s[6:7], s[4:5], s[6:7]
	s_andn2_b64 s[4:5], s[48:49], exec
	s_and_b64 s[48:49], s[50:51], exec
	s_or_b64 s[48:49], s[4:5], s[48:49]
.LBB274_1770:
	s_or_b64 exec, exec, s[46:47]
	s_and_b64 s[6:7], s[6:7], exec
	s_and_b64 s[46:47], s[48:49], exec
.LBB274_1771:
	s_andn2_saveexec_b64 s[40:41], s[40:41]
	s_cbranch_execz .LBB274_1787
; %bb.1772:
	v_cmp_lt_i16_e64 s[4:5], 26, v21
	s_and_saveexec_b64 s[48:49], s[4:5]
	s_xor_b64 s[48:49], exec, s[48:49]
	s_cbranch_execz .LBB274_1778
; %bb.1773:
	v_cmp_lt_i16_e64 s[4:5], 27, v21
	s_and_saveexec_b64 s[50:51], s[4:5]
	s_xor_b64 s[4:5], exec, s[50:51]
	s_cbranch_execz .LBB274_1775
; %bb.1774:
	v_cndmask_b32_e64 v9, 0, 1, vcc
	flat_store_dword v[0:1], v9
.LBB274_1775:
	s_andn2_saveexec_b64 s[4:5], s[4:5]
	s_cbranch_execz .LBB274_1777
; %bb.1776:
	v_cndmask_b32_e64 v9, 0, 1, vcc
	flat_store_short v[0:1], v9
.LBB274_1777:
	s_or_b64 exec, exec, s[4:5]
.LBB274_1778:
	s_andn2_saveexec_b64 s[48:49], s[48:49]
	s_cbranch_execz .LBB274_1786
; %bb.1779:
	v_cndmask_b32_e64 v11, 0, 1.0, vcc
	s_mov_b32 s4, 0x43800000
	v_cmp_gt_u32_e64 s[4:5], s4, v11
	v_mov_b32_e32 v12, 0x80
	s_and_saveexec_b64 s[50:51], s[4:5]
	s_cbranch_execz .LBB274_1785
; %bb.1780:
	s_mov_b32 s4, 0x3bffffff
	v_cmp_lt_u32_e64 s[4:5], s4, v11
	s_mov_b64 s[52:53], 0
                                        ; implicit-def: $vgpr9
	s_and_saveexec_b64 s[54:55], s[4:5]
	s_xor_b64 s[4:5], exec, s[54:55]
	s_cbranch_execz .LBB274_2740
; %bb.1781:
	v_bfe_u32 v9, v11, 20, 1
	s_mov_b32 s33, 0x487ffff
	v_add3_u32 v9, v11, v9, s33
	s_mov_b64 s[52:53], exec
	v_lshrrev_b32_e32 v9, 20, v9
                                        ; implicit-def: $vgpr11
	s_andn2_saveexec_b64 s[54:55], s[4:5]
	s_cbranch_execnz .LBB274_2741
.LBB274_1782:
	s_or_b64 exec, exec, s[54:55]
	v_mov_b32_e32 v12, 0
	s_and_saveexec_b64 s[4:5], s[52:53]
.LBB274_1783:
	v_mov_b32_e32 v12, v9
.LBB274_1784:
	s_or_b64 exec, exec, s[4:5]
.LBB274_1785:
	s_or_b64 exec, exec, s[50:51]
	flat_store_byte v[0:1], v12
.LBB274_1786:
	s_or_b64 exec, exec, s[48:49]
	s_or_b64 s[6:7], s[6:7], exec
.LBB274_1787:
	s_or_b64 exec, exec, s[40:41]
	s_and_b64 s[6:7], s[6:7], exec
	s_and_b64 s[40:41], s[46:47], exec
	s_andn2_saveexec_b64 s[42:43], s[42:43]
	s_cbranch_execnz .LBB274_2547
.LBB274_1788:
	s_or_b64 exec, exec, s[42:43]
	s_mov_b64 s[4:5], s[30:31]
	s_and_saveexec_b64 s[42:43], s[40:41]
	s_cbranch_execnz .LBB274_2588
.LBB274_1789:
	s_or_b64 exec, exec, s[42:43]
	s_and_saveexec_b64 s[40:41], s[44:45]
	s_xor_b64 s[40:41], exec, s[40:41]
	s_cbranch_execz .LBB274_1791
.LBB274_1790:
	v_cndmask_b32_e64 v9, 0, 1, vcc
	flat_store_byte v[0:1], v9
	s_or_b64 s[6:7], s[6:7], exec
.LBB274_1791:
	s_or_b64 exec, exec, s[40:41]
	s_andn2_b64 s[40:41], s[30:31], exec
	s_and_b64 s[4:5], s[4:5], exec
	s_or_b64 s[40:41], s[40:41], s[4:5]
	s_and_b64 s[44:45], s[6:7], exec
                                        ; implicit-def: $vgpr0_vgpr1
.LBB274_1792:
	s_andn2_saveexec_b64 s[6:7], s[8:9]
	s_cbranch_execz .LBB274_1834
; %bb.1793:
	v_cmp_lt_i16_e64 s[4:5], 4, v21
	s_and_saveexec_b64 s[8:9], s[4:5]
	s_xor_b64 s[8:9], exec, s[8:9]
	s_cbranch_execz .LBB274_1815
; %bb.1794:
	v_cmp_lt_i16_e64 s[4:5], 7, v21
	s_and_saveexec_b64 s[42:43], s[4:5]
	s_xor_b64 s[42:43], exec, s[42:43]
	;; [unrolled: 5-line block ×4, first 2 shown]
	s_cbranch_execz .LBB274_1798
; %bb.1797:
	v_cndmask_b32_e64 v9, 0, 1, vcc
	v_cvt_f64_u32_e32 v[17:18], v9
	v_mov_b32_e32 v19, 0
	v_mov_b32_e32 v20, v19
	flat_store_dwordx4 v[0:1], v[17:20]
                                        ; implicit-def: $vgpr0_vgpr1
.LBB274_1798:
	s_andn2_saveexec_b64 s[4:5], s[4:5]
	s_cbranch_execz .LBB274_1800
; %bb.1799:
	v_cndmask_b32_e64 v11, 0, 1.0, vcc
	v_mov_b32_e32 v12, 0
	flat_store_dwordx2 v[0:1], v[11:12]
.LBB274_1800:
	s_or_b64 exec, exec, s[4:5]
                                        ; implicit-def: $vgpr0_vgpr1
.LBB274_1801:
	s_andn2_saveexec_b64 s[4:5], s[46:47]
	s_cbranch_execz .LBB274_1803
; %bb.1802:
	v_cndmask_b32_e64 v9, 0, 1.0, vcc
	v_cvt_f16_f32_e32 v9, v9
	flat_store_dword v[0:1], v9
.LBB274_1803:
	s_or_b64 exec, exec, s[4:5]
                                        ; implicit-def: $vgpr0_vgpr1
.LBB274_1804:
	s_andn2_saveexec_b64 s[42:43], s[42:43]
	s_cbranch_execz .LBB274_1814
; %bb.1805:
	v_cmp_lt_i16_e64 s[4:5], 5, v21
	s_and_saveexec_b64 s[46:47], s[4:5]
	s_xor_b64 s[46:47], exec, s[46:47]
	s_cbranch_execz .LBB274_1811
; %bb.1806:
	v_cmp_lt_i16_e64 s[4:5], 6, v21
	s_and_saveexec_b64 s[48:49], s[4:5]
	s_xor_b64 s[4:5], exec, s[48:49]
	s_cbranch_execz .LBB274_1808
; %bb.1807:
	v_cndmask_b32_e64 v9, 0, 1, vcc
	v_cvt_f64_u32_e32 v[11:12], v9
	flat_store_dwordx2 v[0:1], v[11:12]
                                        ; implicit-def: $vgpr0_vgpr1
.LBB274_1808:
	s_andn2_saveexec_b64 s[4:5], s[4:5]
	s_cbranch_execz .LBB274_1810
; %bb.1809:
	v_cndmask_b32_e64 v9, 0, 1.0, vcc
	flat_store_dword v[0:1], v9
.LBB274_1810:
	s_or_b64 exec, exec, s[4:5]
                                        ; implicit-def: $vgpr0_vgpr1
.LBB274_1811:
	s_andn2_saveexec_b64 s[4:5], s[46:47]
	s_cbranch_execz .LBB274_1813
; %bb.1812:
	v_cndmask_b32_e64 v9, 0, 1.0, vcc
	v_cvt_f16_f32_e32 v9, v9
	flat_store_short v[0:1], v9
.LBB274_1813:
	s_or_b64 exec, exec, s[4:5]
.LBB274_1814:
	s_or_b64 exec, exec, s[42:43]
                                        ; implicit-def: $vgpr0_vgpr1
.LBB274_1815:
	s_andn2_saveexec_b64 s[8:9], s[8:9]
	s_cbranch_execz .LBB274_1833
; %bb.1816:
	v_cmp_lt_i16_e64 s[4:5], 1, v21
	s_and_saveexec_b64 s[42:43], s[4:5]
	s_xor_b64 s[42:43], exec, s[42:43]
	s_cbranch_execz .LBB274_1826
; %bb.1817:
	v_cmp_lt_i16_e64 s[4:5], 2, v21
	s_and_saveexec_b64 s[46:47], s[4:5]
	s_xor_b64 s[46:47], exec, s[46:47]
	;; [unrolled: 5-line block ×3, first 2 shown]
	s_cbranch_execz .LBB274_1820
; %bb.1819:
	s_mov_b32 s33, 0
	v_cndmask_b32_e64 v11, 0, 1, vcc
	v_mov_b32_e32 v12, s33
	flat_store_dwordx2 v[0:1], v[11:12]
                                        ; implicit-def: $vgpr0_vgpr1
.LBB274_1820:
	s_andn2_saveexec_b64 s[4:5], s[4:5]
	s_cbranch_execz .LBB274_1822
; %bb.1821:
	v_cndmask_b32_e64 v9, 0, 1, vcc
	flat_store_dword v[0:1], v9
.LBB274_1822:
	s_or_b64 exec, exec, s[4:5]
                                        ; implicit-def: $vgpr0_vgpr1
.LBB274_1823:
	s_andn2_saveexec_b64 s[4:5], s[46:47]
	s_cbranch_execz .LBB274_1825
; %bb.1824:
	v_cndmask_b32_e64 v9, 0, 1, vcc
	flat_store_short v[0:1], v9
.LBB274_1825:
	s_or_b64 exec, exec, s[4:5]
                                        ; implicit-def: $vgpr0_vgpr1
.LBB274_1826:
	s_andn2_saveexec_b64 s[42:43], s[42:43]
	s_cbranch_execz .LBB274_1832
; %bb.1827:
	v_cmp_lt_i16_e64 s[4:5], 0, v21
	v_cndmask_b32_e64 v9, 0, 1, vcc
	s_and_saveexec_b64 s[46:47], s[4:5]
	s_xor_b64 s[4:5], exec, s[46:47]
	s_cbranch_execz .LBB274_1829
; %bb.1828:
	flat_store_byte v[0:1], v9
                                        ; implicit-def: $vgpr0_vgpr1
                                        ; implicit-def: $vgpr9
.LBB274_1829:
	s_andn2_saveexec_b64 s[4:5], s[4:5]
	s_cbranch_execz .LBB274_1831
; %bb.1830:
	flat_store_byte v[0:1], v9
.LBB274_1831:
	s_or_b64 exec, exec, s[4:5]
.LBB274_1832:
	s_or_b64 exec, exec, s[42:43]
.LBB274_1833:
	s_or_b64 exec, exec, s[8:9]
	s_or_b64 s[44:45], s[44:45], exec
.LBB274_1834:
	s_or_b64 exec, exec, s[6:7]
	s_mov_b64 s[4:5], 0
	s_mov_b64 s[8:9], 0
                                        ; implicit-def: $sgpr6_sgpr7
                                        ; implicit-def: $vgpr0_vgpr1
	s_and_saveexec_b64 s[42:43], s[44:45]
	s_cbranch_execz .LBB274_2045
; %bb.1835:
	s_waitcnt lgkmcnt(0)
	v_lshlrev_b32_e32 v0, 24, v5
	v_and_b32_e32 v1, 0x7f000000, v0
	v_ffbh_u32_e32 v5, v1
	v_min_u32_e32 v5, 32, v5
	v_sub_u32_e64 v5, v5, 4 clamp
	v_lshlrev_b32_e32 v11, v5, v1
	v_lshrrev_b32_e32 v11, 4, v11
	v_lshlrev_b32_e32 v5, 23, v5
	v_add_u32_e32 v9, 0x1000000, v1
	v_sub_u32_e32 v5, v11, v5
	v_ashrrev_i32_e32 v9, 8, v9
	v_add_u32_e32 v5, 0x3c000000, v5
	s_mov_b32 s4, 0x7f800000
	v_and_or_b32 v5, v9, s4, v5
	v_cmp_ne_u32_e32 vcc, 0, v1
	v_cndmask_b32_e32 v1, 0, v5, vcc
	s_brev_b32 s5, 1
	v_and_or_b32 v0, v0, s5, v1
	v_lshlrev_b32_e32 v1, 24, v6
	v_and_b32_e32 v5, 0x7f000000, v1
	v_ffbh_u32_e32 v6, v5
	v_min_u32_e32 v6, 32, v6
	v_sub_u32_e64 v6, v6, 4 clamp
	v_lshlrev_b32_e32 v11, v6, v5
	v_lshrrev_b32_e32 v11, 4, v11
	v_lshlrev_b32_e32 v6, 23, v6
	v_add_u32_e32 v9, 0x1000000, v5
	v_sub_u32_e32 v6, v11, v6
	v_ashrrev_i32_e32 v9, 8, v9
	v_add_u32_e32 v6, 0x3c000000, v6
	v_and_or_b32 v6, v9, s4, v6
	v_cmp_ne_u32_e32 vcc, 0, v5
	v_cndmask_b32_e32 v5, 0, v6, vcc
	v_and_or_b32 v1, v1, s5, v5
	v_cmp_eq_f32_e32 vcc, v0, v1
	v_cndmask_b32_e64 v5, 0, 1, vcc
	v_cmp_neq_f32_e32 vcc, v0, v1
	v_cndmask_b32_e64 v0, 0, 1, vcc
	v_cmp_eq_u32_e32 vcc, 0, v16
	v_cndmask_b32_e32 v0, v0, v5, vcc
	v_lshlrev_b32_e32 v4, 7, v4
	v_and_b32_e32 v0, 1, v0
	v_add_u32_e32 v5, v7, v4
	v_cmp_eq_u32_e64 s[4:5], 1, v0
	v_ashrrev_i32_e32 v1, 31, v5
	v_add_co_u32_e64 v0, s[6:7], v2, v5
	v_addc_co_u32_e64 v1, s[6:7], v3, v1, s[6:7]
	v_cmp_lt_i16_e64 s[6:7], 10, v21
	s_mov_b64 s[44:45], s[40:41]
	s_and_saveexec_b64 s[46:47], s[6:7]
	s_xor_b64 s[46:47], exec, s[46:47]
	s_cbranch_execz .LBB274_1876
; %bb.1836:
	v_cmp_lt_i16_e64 s[6:7], 25, v21
	s_mov_b64 s[50:51], 0
	s_mov_b64 s[44:45], 0
	s_and_saveexec_b64 s[48:49], s[6:7]
	s_xor_b64 s[48:49], exec, s[48:49]
	s_cbranch_execz .LBB274_2597
; %bb.1837:
	v_cmp_lt_i16_e64 s[6:7], 28, v21
	s_mov_b64 s[52:53], 0
	s_and_saveexec_b64 s[44:45], s[6:7]
	s_xor_b64 s[44:45], exec, s[44:45]
	s_cbranch_execz .LBB274_1855
; %bb.1838:
	v_cmp_lt_i16_e64 s[6:7], 43, v21
	;; [unrolled: 6-line block ×3, first 2 shown]
	s_mov_b64 s[56:57], 0
	s_and_saveexec_b64 s[8:9], s[6:7]
	s_xor_b64 s[8:9], exec, s[8:9]
	s_cbranch_execz .LBB274_1843
; %bb.1840:
	v_cmp_eq_u16_e64 s[6:7], 46, v21
	s_mov_b64 s[58:59], -1
	s_and_saveexec_b64 s[56:57], s[6:7]
	s_cbranch_execz .LBB274_1842
; %bb.1841:
	v_cndmask_b32_e64 v6, 0, 1.0, s[4:5]
	v_bfe_u32 v7, v6, 16, 1
	s_movk_i32 s6, 0x7fff
	v_add3_u32 v6, v6, v7, s6
	v_lshrrev_b32_e32 v6, 16, v6
	s_mov_b64 s[54:55], exec
	flat_store_dword v[0:1], v6
	s_xor_b64 s[58:59], exec, -1
.LBB274_1842:
	s_or_b64 exec, exec, s[56:57]
	s_and_b64 s[56:57], s[54:55], exec
	s_and_b64 s[54:55], s[58:59], exec
.LBB274_1843:
	s_andn2_saveexec_b64 s[58:59], s[8:9]
	s_cbranch_execz .LBB274_1849
; %bb.1844:
	v_cmp_eq_u16_e64 s[6:7], 44, v21
	s_mov_b64 s[8:9], -1
	s_mov_b64 s[62:63], s[56:57]
	s_and_saveexec_b64 s[60:61], s[6:7]
	s_cbranch_execz .LBB274_1848
; %bb.1845:
	v_cndmask_b32_e64 v7, 0, 1.0, s[4:5]
	v_lshrrev_b32_e32 v6, 23, v7
	s_movk_i32 s6, 0xff
	v_cmp_ne_u32_e64 s[6:7], s6, v6
	v_mov_b32_e32 v9, 0xff
	s_and_saveexec_b64 s[62:63], s[6:7]
; %bb.1846:
	s_mov_b32 s8, 0x3fffff
	v_and_b32_e32 v9, 0x400000, v7
	v_and_or_b32 v7, v7, s8, v6
	v_cmp_ne_u32_e64 s[6:7], 0, v9
	v_cmp_ne_u32_e64 s[8:9], 0, v7
	s_and_b64 s[6:7], s[6:7], s[8:9]
	v_cndmask_b32_e64 v7, 0, 1, s[6:7]
	v_add_u32_e32 v9, v6, v7
; %bb.1847:
	s_or_b64 exec, exec, s[62:63]
	s_or_b64 s[62:63], s[56:57], exec
	s_xor_b64 s[8:9], exec, -1
	flat_store_byte v[0:1], v9
.LBB274_1848:
	s_or_b64 exec, exec, s[60:61]
	s_andn2_b64 s[6:7], s[56:57], exec
	s_and_b64 s[56:57], s[62:63], exec
	s_or_b64 s[56:57], s[6:7], s[56:57]
	s_andn2_b64 s[6:7], s[54:55], exec
	s_and_b64 s[8:9], s[8:9], exec
	s_or_b64 s[54:55], s[6:7], s[8:9]
.LBB274_1849:
	s_or_b64 exec, exec, s[58:59]
	s_and_b64 s[8:9], s[56:57], exec
	s_and_b64 s[54:55], s[54:55], exec
.LBB274_1850:
	s_andn2_saveexec_b64 s[52:53], s[52:53]
	s_cbranch_execz .LBB274_1854
; %bb.1851:
	v_cmp_eq_u16_e64 s[6:7], 29, v21
	s_mov_b64 s[56:57], -1
	s_mov_b64 s[60:61], s[8:9]
	s_and_saveexec_b64 s[58:59], s[6:7]
	s_cbranch_execz .LBB274_1853
; %bb.1852:
	s_mov_b32 s6, 0
	v_cndmask_b32_e64 v6, 0, 1, s[4:5]
	v_mov_b32_e32 v7, s6
	flat_store_dwordx2 v[0:1], v[6:7]
	s_or_b64 s[60:61], s[8:9], exec
	s_xor_b64 s[56:57], exec, -1
.LBB274_1853:
	s_or_b64 exec, exec, s[58:59]
	s_andn2_b64 s[6:7], s[8:9], exec
	s_and_b64 s[8:9], s[60:61], exec
	s_or_b64 s[8:9], s[6:7], s[8:9]
	s_andn2_b64 s[6:7], s[54:55], exec
	s_and_b64 s[54:55], s[56:57], exec
	s_or_b64 s[54:55], s[6:7], s[54:55]
.LBB274_1854:
	s_or_b64 exec, exec, s[52:53]
	s_and_b64 s[8:9], s[8:9], exec
	s_and_b64 s[52:53], s[54:55], exec
.LBB274_1855:
	s_andn2_saveexec_b64 s[44:45], s[44:45]
	s_cbranch_execz .LBB274_1871
; %bb.1856:
	v_cmp_lt_i16_e64 s[6:7], 26, v21
	s_and_saveexec_b64 s[54:55], s[6:7]
	s_xor_b64 s[54:55], exec, s[54:55]
	s_cbranch_execz .LBB274_1862
; %bb.1857:
	v_cmp_lt_i16_e64 s[6:7], 27, v21
	s_and_saveexec_b64 s[56:57], s[6:7]
	s_xor_b64 s[6:7], exec, s[56:57]
	s_cbranch_execz .LBB274_1859
; %bb.1858:
	v_cndmask_b32_e64 v6, 0, 1, s[4:5]
	flat_store_dword v[0:1], v6
.LBB274_1859:
	s_andn2_saveexec_b64 s[6:7], s[6:7]
	s_cbranch_execz .LBB274_1861
; %bb.1860:
	v_cndmask_b32_e64 v6, 0, 1, s[4:5]
	flat_store_short v[0:1], v6
.LBB274_1861:
	s_or_b64 exec, exec, s[6:7]
.LBB274_1862:
	s_andn2_saveexec_b64 s[54:55], s[54:55]
	s_cbranch_execz .LBB274_1870
; %bb.1863:
	v_cndmask_b32_e64 v7, 0, 1.0, s[4:5]
	s_mov_b32 s6, 0x43800000
	v_cmp_gt_u32_e64 s[6:7], s6, v7
	v_mov_b32_e32 v9, 0x80
	s_and_saveexec_b64 s[56:57], s[6:7]
	s_cbranch_execz .LBB274_1869
; %bb.1864:
	s_mov_b32 s6, 0x3bffffff
	v_cmp_lt_u32_e64 s[6:7], s6, v7
	s_mov_b64 s[58:59], 0
                                        ; implicit-def: $vgpr6
	s_and_saveexec_b64 s[60:61], s[6:7]
	s_xor_b64 s[6:7], exec, s[60:61]
	s_cbranch_execz .LBB274_2742
; %bb.1865:
	v_bfe_u32 v6, v7, 20, 1
	s_mov_b32 s33, 0x487ffff
	v_add3_u32 v6, v7, v6, s33
	s_mov_b64 s[58:59], exec
	v_lshrrev_b32_e32 v6, 20, v6
                                        ; implicit-def: $vgpr7
	s_andn2_saveexec_b64 s[60:61], s[6:7]
	s_cbranch_execnz .LBB274_2743
.LBB274_1866:
	s_or_b64 exec, exec, s[60:61]
	v_mov_b32_e32 v9, 0
	s_and_saveexec_b64 s[6:7], s[58:59]
.LBB274_1867:
	v_mov_b32_e32 v9, v6
.LBB274_1868:
	s_or_b64 exec, exec, s[6:7]
.LBB274_1869:
	s_or_b64 exec, exec, s[56:57]
	flat_store_byte v[0:1], v9
.LBB274_1870:
	s_or_b64 exec, exec, s[54:55]
	s_or_b64 s[8:9], s[8:9], exec
.LBB274_1871:
	s_or_b64 exec, exec, s[44:45]
	s_and_b64 s[8:9], s[8:9], exec
	s_and_b64 s[44:45], s[52:53], exec
	s_andn2_saveexec_b64 s[48:49], s[48:49]
	s_cbranch_execnz .LBB274_2598
.LBB274_1872:
	s_or_b64 exec, exec, s[48:49]
	s_mov_b64 s[6:7], s[40:41]
	s_and_saveexec_b64 s[48:49], s[44:45]
	s_cbranch_execnz .LBB274_2639
.LBB274_1873:
	s_or_b64 exec, exec, s[48:49]
	s_and_saveexec_b64 s[44:45], s[50:51]
	s_xor_b64 s[44:45], exec, s[44:45]
	s_cbranch_execz .LBB274_1875
.LBB274_1874:
	v_cndmask_b32_e64 v6, 0, 1, s[4:5]
	flat_store_byte v[0:1], v6
	s_or_b64 s[8:9], s[8:9], exec
.LBB274_1875:
	s_or_b64 exec, exec, s[44:45]
	s_andn2_b64 s[44:45], s[40:41], exec
	s_and_b64 s[6:7], s[6:7], exec
	s_or_b64 s[44:45], s[44:45], s[6:7]
	s_and_b64 s[8:9], s[8:9], exec
                                        ; implicit-def: $vgpr0_vgpr1
.LBB274_1876:
	s_andn2_saveexec_b64 s[46:47], s[46:47]
	s_cbranch_execz .LBB274_1918
; %bb.1877:
	v_cmp_lt_i16_e64 s[6:7], 4, v21
	s_and_saveexec_b64 s[48:49], s[6:7]
	s_xor_b64 s[48:49], exec, s[48:49]
	s_cbranch_execz .LBB274_1899
; %bb.1878:
	v_cmp_lt_i16_e64 s[6:7], 7, v21
	s_and_saveexec_b64 s[50:51], s[6:7]
	s_xor_b64 s[50:51], exec, s[50:51]
	;; [unrolled: 5-line block ×4, first 2 shown]
	s_cbranch_execz .LBB274_1882
; %bb.1881:
	v_cndmask_b32_e64 v6, 0, 1, s[4:5]
	v_cvt_f64_u32_e32 v[16:17], v6
	v_mov_b32_e32 v18, 0
	v_mov_b32_e32 v19, v18
	flat_store_dwordx4 v[0:1], v[16:19]
                                        ; implicit-def: $vgpr0_vgpr1
.LBB274_1882:
	s_andn2_saveexec_b64 s[6:7], s[6:7]
	s_cbranch_execz .LBB274_1884
; %bb.1883:
	v_cndmask_b32_e64 v6, 0, 1.0, s[4:5]
	v_mov_b32_e32 v7, 0
	flat_store_dwordx2 v[0:1], v[6:7]
.LBB274_1884:
	s_or_b64 exec, exec, s[6:7]
                                        ; implicit-def: $vgpr0_vgpr1
.LBB274_1885:
	s_andn2_saveexec_b64 s[6:7], s[52:53]
	s_cbranch_execz .LBB274_1887
; %bb.1886:
	v_cndmask_b32_e64 v6, 0, 1.0, s[4:5]
	v_cvt_f16_f32_e32 v6, v6
	flat_store_dword v[0:1], v6
.LBB274_1887:
	s_or_b64 exec, exec, s[6:7]
                                        ; implicit-def: $vgpr0_vgpr1
.LBB274_1888:
	s_andn2_saveexec_b64 s[50:51], s[50:51]
	s_cbranch_execz .LBB274_1898
; %bb.1889:
	v_cmp_lt_i16_e64 s[6:7], 5, v21
	s_and_saveexec_b64 s[52:53], s[6:7]
	s_xor_b64 s[52:53], exec, s[52:53]
	s_cbranch_execz .LBB274_1895
; %bb.1890:
	v_cmp_lt_i16_e64 s[6:7], 6, v21
	s_and_saveexec_b64 s[54:55], s[6:7]
	s_xor_b64 s[6:7], exec, s[54:55]
	s_cbranch_execz .LBB274_1892
; %bb.1891:
	v_cndmask_b32_e64 v6, 0, 1, s[4:5]
	v_cvt_f64_u32_e32 v[6:7], v6
	flat_store_dwordx2 v[0:1], v[6:7]
                                        ; implicit-def: $vgpr0_vgpr1
.LBB274_1892:
	s_andn2_saveexec_b64 s[6:7], s[6:7]
	s_cbranch_execz .LBB274_1894
; %bb.1893:
	v_cndmask_b32_e64 v6, 0, 1.0, s[4:5]
	flat_store_dword v[0:1], v6
.LBB274_1894:
	s_or_b64 exec, exec, s[6:7]
                                        ; implicit-def: $vgpr0_vgpr1
.LBB274_1895:
	s_andn2_saveexec_b64 s[6:7], s[52:53]
	s_cbranch_execz .LBB274_1897
; %bb.1896:
	v_cndmask_b32_e64 v6, 0, 1.0, s[4:5]
	v_cvt_f16_f32_e32 v6, v6
	flat_store_short v[0:1], v6
.LBB274_1897:
	s_or_b64 exec, exec, s[6:7]
.LBB274_1898:
	s_or_b64 exec, exec, s[50:51]
                                        ; implicit-def: $vgpr0_vgpr1
.LBB274_1899:
	s_andn2_saveexec_b64 s[48:49], s[48:49]
	s_cbranch_execz .LBB274_1917
; %bb.1900:
	v_cmp_lt_i16_e64 s[6:7], 1, v21
	s_and_saveexec_b64 s[50:51], s[6:7]
	s_xor_b64 s[50:51], exec, s[50:51]
	s_cbranch_execz .LBB274_1910
; %bb.1901:
	v_cmp_lt_i16_e64 s[6:7], 2, v21
	s_and_saveexec_b64 s[52:53], s[6:7]
	s_xor_b64 s[52:53], exec, s[52:53]
	;; [unrolled: 5-line block ×3, first 2 shown]
	s_cbranch_execz .LBB274_1904
; %bb.1903:
	s_mov_b32 s33, 0
	v_cndmask_b32_e64 v6, 0, 1, s[4:5]
	v_mov_b32_e32 v7, s33
	flat_store_dwordx2 v[0:1], v[6:7]
                                        ; implicit-def: $vgpr0_vgpr1
.LBB274_1904:
	s_andn2_saveexec_b64 s[6:7], s[6:7]
	s_cbranch_execz .LBB274_1906
; %bb.1905:
	v_cndmask_b32_e64 v6, 0, 1, s[4:5]
	flat_store_dword v[0:1], v6
.LBB274_1906:
	s_or_b64 exec, exec, s[6:7]
                                        ; implicit-def: $vgpr0_vgpr1
.LBB274_1907:
	s_andn2_saveexec_b64 s[6:7], s[52:53]
	s_cbranch_execz .LBB274_1909
; %bb.1908:
	v_cndmask_b32_e64 v6, 0, 1, s[4:5]
	flat_store_short v[0:1], v6
.LBB274_1909:
	s_or_b64 exec, exec, s[6:7]
                                        ; implicit-def: $vgpr0_vgpr1
.LBB274_1910:
	s_andn2_saveexec_b64 s[50:51], s[50:51]
	s_cbranch_execz .LBB274_1916
; %bb.1911:
	v_cmp_lt_i16_e64 s[6:7], 0, v21
	v_cndmask_b32_e64 v6, 0, 1, s[4:5]
	s_and_saveexec_b64 s[4:5], s[6:7]
	s_xor_b64 s[4:5], exec, s[4:5]
	s_cbranch_execz .LBB274_1913
; %bb.1912:
	flat_store_byte v[0:1], v6
                                        ; implicit-def: $vgpr0_vgpr1
                                        ; implicit-def: $vgpr6
.LBB274_1913:
	s_andn2_saveexec_b64 s[4:5], s[4:5]
	s_cbranch_execz .LBB274_1915
; %bb.1914:
	flat_store_byte v[0:1], v6
.LBB274_1915:
	s_or_b64 exec, exec, s[4:5]
.LBB274_1916:
	s_or_b64 exec, exec, s[50:51]
.LBB274_1917:
	s_or_b64 exec, exec, s[48:49]
	s_or_b64 s[8:9], s[8:9], exec
.LBB274_1918:
	s_or_b64 exec, exec, s[46:47]
	s_mov_b64 s[4:5], 0
	s_mov_b64 s[48:49], 0
                                        ; implicit-def: $sgpr6_sgpr7
                                        ; implicit-def: $vgpr0_vgpr1
	s_and_saveexec_b64 s[46:47], s[8:9]
	s_cbranch_execz .LBB274_2044
; %bb.1919:
	v_lshlrev_b32_e32 v0, 24, v8
	v_and_b32_e32 v1, 0x7f000000, v0
	v_ffbh_u32_e32 v6, v1
	v_min_u32_e32 v6, 32, v6
	v_sub_u32_e64 v6, v6, 4 clamp
	v_lshlrev_b32_e32 v8, v6, v1
	v_lshrrev_b32_e32 v8, 4, v8
	v_lshlrev_b32_e32 v6, 23, v6
	v_add_u32_e32 v7, 0x1000000, v1
	v_sub_u32_e32 v6, v8, v6
	v_ashrrev_i32_e32 v7, 8, v7
	v_add_u32_e32 v6, 0x3c000000, v6
	s_mov_b32 s6, 0x7f800000
	v_and_or_b32 v6, v7, s6, v6
	v_cmp_ne_u32_e64 s[4:5], 0, v1
	v_cndmask_b32_e64 v1, 0, v6, s[4:5]
	s_brev_b32 s7, 1
	v_and_or_b32 v0, v0, s7, v1
	v_lshlrev_b32_e32 v1, 24, v15
	v_and_b32_e32 v6, 0x7f000000, v1
	v_ffbh_u32_e32 v7, v6
	v_min_u32_e32 v7, 32, v7
	v_sub_u32_e64 v7, v7, 4 clamp
	v_lshlrev_b32_e32 v9, v7, v6
	v_lshrrev_b32_e32 v9, 4, v9
	v_lshlrev_b32_e32 v7, 23, v7
	v_add_u32_e32 v8, 0x1000000, v6
	v_sub_u32_e32 v7, v9, v7
	v_ashrrev_i32_e32 v8, 8, v8
	v_add_u32_e32 v7, 0x3c000000, v7
	v_and_or_b32 v7, v8, s6, v7
	v_cmp_ne_u32_e64 s[4:5], 0, v6
	v_cndmask_b32_e64 v6, 0, v7, s[4:5]
	v_and_or_b32 v1, v1, s7, v6
	v_cmp_eq_f32_e64 s[4:5], v0, v1
	v_cndmask_b32_e64 v6, 0, 1, s[4:5]
	v_cmp_neq_f32_e64 s[4:5], v0, v1
	v_cndmask_b32_e64 v0, 0, 1, s[4:5]
	v_cndmask_b32_e32 v0, v0, v6, vcc
	v_and_b32_e32 v0, 1, v0
	v_add_u32_e32 v5, v5, v4
	v_cmp_eq_u32_e64 s[4:5], 1, v0
	v_ashrrev_i32_e32 v1, 31, v5
	v_add_co_u32_e64 v0, s[6:7], v2, v5
	v_addc_co_u32_e64 v1, s[6:7], v3, v1, s[6:7]
	v_cmp_lt_i16_e64 s[6:7], 10, v21
	s_mov_b64 s[50:51], 0
	s_mov_b64 s[8:9], s[44:45]
	s_and_saveexec_b64 s[48:49], s[6:7]
	s_xor_b64 s[48:49], exec, s[48:49]
	s_cbranch_execz .LBB274_1960
; %bb.1920:
	v_cmp_lt_i16_e64 s[6:7], 25, v21
	s_mov_b64 s[54:55], 0
	s_mov_b64 s[8:9], 0
	s_and_saveexec_b64 s[52:53], s[6:7]
	s_xor_b64 s[52:53], exec, s[52:53]
	s_cbranch_execz .LBB274_2648
; %bb.1921:
	v_cmp_lt_i16_e64 s[6:7], 28, v21
	s_mov_b64 s[56:57], 0
	s_and_saveexec_b64 s[50:51], s[6:7]
	s_xor_b64 s[50:51], exec, s[50:51]
	s_cbranch_execz .LBB274_1939
; %bb.1922:
	v_cmp_lt_i16_e64 s[6:7], 43, v21
	;; [unrolled: 6-line block ×3, first 2 shown]
	s_mov_b64 s[58:59], 0
	s_and_saveexec_b64 s[8:9], s[6:7]
	s_xor_b64 s[8:9], exec, s[8:9]
	s_cbranch_execz .LBB274_1927
; %bb.1924:
	v_cmp_eq_u16_e64 s[6:7], 46, v21
	s_mov_b64 s[62:63], -1
	s_and_saveexec_b64 s[60:61], s[6:7]
	s_cbranch_execz .LBB274_1926
; %bb.1925:
	v_cndmask_b32_e64 v6, 0, 1.0, s[4:5]
	v_bfe_u32 v7, v6, 16, 1
	s_movk_i32 s6, 0x7fff
	v_add3_u32 v6, v6, v7, s6
	v_lshrrev_b32_e32 v6, 16, v6
	s_mov_b64 s[58:59], exec
	flat_store_dword v[0:1], v6
	s_xor_b64 s[62:63], exec, -1
.LBB274_1926:
	s_or_b64 exec, exec, s[60:61]
	s_and_b64 s[60:61], s[58:59], exec
	s_and_b64 s[58:59], s[62:63], exec
.LBB274_1927:
	s_andn2_saveexec_b64 s[62:63], s[8:9]
	s_cbranch_execz .LBB274_1933
; %bb.1928:
	v_cmp_eq_u16_e64 s[6:7], 44, v21
	s_mov_b64 s[8:9], -1
	s_mov_b64 s[66:67], s[60:61]
	s_and_saveexec_b64 s[64:65], s[6:7]
	s_cbranch_execz .LBB274_1932
; %bb.1929:
	v_cndmask_b32_e64 v7, 0, 1.0, s[4:5]
	v_lshrrev_b32_e32 v6, 23, v7
	s_movk_i32 s6, 0xff
	v_cmp_ne_u32_e64 s[6:7], s6, v6
	v_mov_b32_e32 v8, 0xff
	s_and_saveexec_b64 s[66:67], s[6:7]
; %bb.1930:
	s_mov_b32 s8, 0x3fffff
	v_and_b32_e32 v8, 0x400000, v7
	v_and_or_b32 v7, v7, s8, v6
	v_cmp_ne_u32_e64 s[6:7], 0, v8
	v_cmp_ne_u32_e64 s[8:9], 0, v7
	s_and_b64 s[6:7], s[6:7], s[8:9]
	v_cndmask_b32_e64 v7, 0, 1, s[6:7]
	v_add_u32_e32 v8, v6, v7
; %bb.1931:
	s_or_b64 exec, exec, s[66:67]
	s_or_b64 s[66:67], s[60:61], exec
	s_xor_b64 s[8:9], exec, -1
	flat_store_byte v[0:1], v8
.LBB274_1932:
	s_or_b64 exec, exec, s[64:65]
	s_andn2_b64 s[6:7], s[60:61], exec
	s_and_b64 s[60:61], s[66:67], exec
	s_or_b64 s[60:61], s[6:7], s[60:61]
	s_andn2_b64 s[6:7], s[58:59], exec
	s_and_b64 s[8:9], s[8:9], exec
	s_or_b64 s[58:59], s[6:7], s[8:9]
.LBB274_1933:
	s_or_b64 exec, exec, s[62:63]
	s_and_b64 s[60:61], s[60:61], exec
	s_and_b64 s[8:9], s[58:59], exec
.LBB274_1934:
	s_andn2_saveexec_b64 s[56:57], s[56:57]
	s_cbranch_execz .LBB274_1938
; %bb.1935:
	v_cmp_eq_u16_e64 s[6:7], 29, v21
	s_mov_b64 s[58:59], -1
	s_mov_b64 s[64:65], s[60:61]
	s_and_saveexec_b64 s[62:63], s[6:7]
	s_cbranch_execz .LBB274_1937
; %bb.1936:
	s_mov_b32 s6, 0
	v_cndmask_b32_e64 v6, 0, 1, s[4:5]
	v_mov_b32_e32 v7, s6
	flat_store_dwordx2 v[0:1], v[6:7]
	s_or_b64 s[64:65], s[60:61], exec
	s_xor_b64 s[58:59], exec, -1
.LBB274_1937:
	s_or_b64 exec, exec, s[62:63]
	s_andn2_b64 s[6:7], s[60:61], exec
	s_and_b64 s[60:61], s[64:65], exec
	s_or_b64 s[60:61], s[6:7], s[60:61]
	s_andn2_b64 s[6:7], s[8:9], exec
	s_and_b64 s[8:9], s[58:59], exec
	s_or_b64 s[8:9], s[6:7], s[8:9]
.LBB274_1938:
	s_or_b64 exec, exec, s[56:57]
	s_and_b64 s[56:57], s[60:61], exec
	s_and_b64 s[8:9], s[8:9], exec
.LBB274_1939:
	s_andn2_saveexec_b64 s[50:51], s[50:51]
	s_cbranch_execz .LBB274_1955
; %bb.1940:
	v_cmp_lt_i16_e64 s[6:7], 26, v21
	s_and_saveexec_b64 s[58:59], s[6:7]
	s_xor_b64 s[58:59], exec, s[58:59]
	s_cbranch_execz .LBB274_1946
; %bb.1941:
	v_cmp_lt_i16_e64 s[6:7], 27, v21
	s_and_saveexec_b64 s[60:61], s[6:7]
	s_xor_b64 s[6:7], exec, s[60:61]
	s_cbranch_execz .LBB274_1943
; %bb.1942:
	v_cndmask_b32_e64 v6, 0, 1, s[4:5]
	flat_store_dword v[0:1], v6
.LBB274_1943:
	s_andn2_saveexec_b64 s[6:7], s[6:7]
	s_cbranch_execz .LBB274_1945
; %bb.1944:
	v_cndmask_b32_e64 v6, 0, 1, s[4:5]
	flat_store_short v[0:1], v6
.LBB274_1945:
	s_or_b64 exec, exec, s[6:7]
.LBB274_1946:
	s_andn2_saveexec_b64 s[58:59], s[58:59]
	s_cbranch_execz .LBB274_1954
; %bb.1947:
	v_cndmask_b32_e64 v7, 0, 1.0, s[4:5]
	s_mov_b32 s6, 0x43800000
	v_cmp_gt_u32_e64 s[6:7], s6, v7
	v_mov_b32_e32 v8, 0x80
	s_and_saveexec_b64 s[60:61], s[6:7]
	s_cbranch_execz .LBB274_1953
; %bb.1948:
	s_mov_b32 s6, 0x3bffffff
	v_cmp_lt_u32_e64 s[6:7], s6, v7
	s_mov_b64 s[62:63], 0
                                        ; implicit-def: $vgpr6
	s_and_saveexec_b64 s[64:65], s[6:7]
	s_xor_b64 s[6:7], exec, s[64:65]
	s_cbranch_execz .LBB274_2746
; %bb.1949:
	v_bfe_u32 v6, v7, 20, 1
	s_mov_b32 s33, 0x487ffff
	v_add3_u32 v6, v7, v6, s33
	s_mov_b64 s[62:63], exec
	v_lshrrev_b32_e32 v6, 20, v6
                                        ; implicit-def: $vgpr7
	s_andn2_saveexec_b64 s[64:65], s[6:7]
	s_cbranch_execnz .LBB274_2747
.LBB274_1950:
	s_or_b64 exec, exec, s[64:65]
	v_mov_b32_e32 v8, 0
	s_and_saveexec_b64 s[6:7], s[62:63]
.LBB274_1951:
	v_mov_b32_e32 v8, v6
.LBB274_1952:
	s_or_b64 exec, exec, s[6:7]
.LBB274_1953:
	s_or_b64 exec, exec, s[60:61]
	flat_store_byte v[0:1], v8
.LBB274_1954:
	s_or_b64 exec, exec, s[58:59]
	s_or_b64 s[56:57], s[56:57], exec
.LBB274_1955:
	s_or_b64 exec, exec, s[50:51]
	s_and_b64 s[50:51], s[56:57], exec
	s_and_b64 s[8:9], s[8:9], exec
	s_andn2_saveexec_b64 s[52:53], s[52:53]
	s_cbranch_execnz .LBB274_2649
.LBB274_1956:
	s_or_b64 exec, exec, s[52:53]
	s_mov_b64 s[6:7], s[44:45]
	s_and_saveexec_b64 s[52:53], s[8:9]
	s_cbranch_execnz .LBB274_2690
.LBB274_1957:
	s_or_b64 exec, exec, s[52:53]
	s_and_saveexec_b64 s[8:9], s[54:55]
	s_xor_b64 s[8:9], exec, s[8:9]
	s_cbranch_execz .LBB274_1959
.LBB274_1958:
	v_cndmask_b32_e64 v6, 0, 1, s[4:5]
	flat_store_byte v[0:1], v6
	s_or_b64 s[50:51], s[50:51], exec
.LBB274_1959:
	s_or_b64 exec, exec, s[8:9]
	s_andn2_b64 s[8:9], s[44:45], exec
	s_and_b64 s[6:7], s[6:7], exec
	s_or_b64 s[8:9], s[8:9], s[6:7]
	s_and_b64 s[50:51], s[50:51], exec
                                        ; implicit-def: $vgpr0_vgpr1
.LBB274_1960:
	s_andn2_saveexec_b64 s[48:49], s[48:49]
	s_cbranch_execz .LBB274_2002
; %bb.1961:
	v_cmp_lt_i16_e64 s[6:7], 4, v21
	s_and_saveexec_b64 s[52:53], s[6:7]
	s_xor_b64 s[52:53], exec, s[52:53]
	s_cbranch_execz .LBB274_1983
; %bb.1962:
	v_cmp_lt_i16_e64 s[6:7], 7, v21
	s_and_saveexec_b64 s[54:55], s[6:7]
	s_xor_b64 s[54:55], exec, s[54:55]
	;; [unrolled: 5-line block ×4, first 2 shown]
	s_cbranch_execz .LBB274_1966
; %bb.1965:
	v_cndmask_b32_e64 v6, 0, 1, s[4:5]
	v_cvt_f64_u32_e32 v[6:7], v6
	v_mov_b32_e32 v8, 0
	v_mov_b32_e32 v9, v8
	flat_store_dwordx4 v[0:1], v[6:9]
                                        ; implicit-def: $vgpr0_vgpr1
.LBB274_1966:
	s_andn2_saveexec_b64 s[6:7], s[6:7]
	s_cbranch_execz .LBB274_1968
; %bb.1967:
	v_cndmask_b32_e64 v6, 0, 1.0, s[4:5]
	v_mov_b32_e32 v7, 0
	flat_store_dwordx2 v[0:1], v[6:7]
.LBB274_1968:
	s_or_b64 exec, exec, s[6:7]
                                        ; implicit-def: $vgpr0_vgpr1
.LBB274_1969:
	s_andn2_saveexec_b64 s[6:7], s[56:57]
	s_cbranch_execz .LBB274_1971
; %bb.1970:
	v_cndmask_b32_e64 v6, 0, 1.0, s[4:5]
	v_cvt_f16_f32_e32 v6, v6
	flat_store_dword v[0:1], v6
.LBB274_1971:
	s_or_b64 exec, exec, s[6:7]
                                        ; implicit-def: $vgpr0_vgpr1
.LBB274_1972:
	s_andn2_saveexec_b64 s[54:55], s[54:55]
	s_cbranch_execz .LBB274_1982
; %bb.1973:
	v_cmp_lt_i16_e64 s[6:7], 5, v21
	s_and_saveexec_b64 s[56:57], s[6:7]
	s_xor_b64 s[56:57], exec, s[56:57]
	s_cbranch_execz .LBB274_1979
; %bb.1974:
	v_cmp_lt_i16_e64 s[6:7], 6, v21
	s_and_saveexec_b64 s[58:59], s[6:7]
	s_xor_b64 s[6:7], exec, s[58:59]
	s_cbranch_execz .LBB274_1976
; %bb.1975:
	v_cndmask_b32_e64 v6, 0, 1, s[4:5]
	v_cvt_f64_u32_e32 v[6:7], v6
	flat_store_dwordx2 v[0:1], v[6:7]
                                        ; implicit-def: $vgpr0_vgpr1
.LBB274_1976:
	s_andn2_saveexec_b64 s[6:7], s[6:7]
	s_cbranch_execz .LBB274_1978
; %bb.1977:
	v_cndmask_b32_e64 v6, 0, 1.0, s[4:5]
	flat_store_dword v[0:1], v6
.LBB274_1978:
	s_or_b64 exec, exec, s[6:7]
                                        ; implicit-def: $vgpr0_vgpr1
.LBB274_1979:
	s_andn2_saveexec_b64 s[6:7], s[56:57]
	s_cbranch_execz .LBB274_1981
; %bb.1980:
	v_cndmask_b32_e64 v6, 0, 1.0, s[4:5]
	v_cvt_f16_f32_e32 v6, v6
	flat_store_short v[0:1], v6
.LBB274_1981:
	s_or_b64 exec, exec, s[6:7]
.LBB274_1982:
	s_or_b64 exec, exec, s[54:55]
                                        ; implicit-def: $vgpr0_vgpr1
.LBB274_1983:
	s_andn2_saveexec_b64 s[52:53], s[52:53]
	s_cbranch_execz .LBB274_2001
; %bb.1984:
	v_cmp_lt_i16_e64 s[6:7], 1, v21
	s_and_saveexec_b64 s[54:55], s[6:7]
	s_xor_b64 s[54:55], exec, s[54:55]
	s_cbranch_execz .LBB274_1994
; %bb.1985:
	v_cmp_lt_i16_e64 s[6:7], 2, v21
	s_and_saveexec_b64 s[56:57], s[6:7]
	s_xor_b64 s[56:57], exec, s[56:57]
	;; [unrolled: 5-line block ×3, first 2 shown]
	s_cbranch_execz .LBB274_1988
; %bb.1987:
	s_mov_b32 s33, 0
	v_cndmask_b32_e64 v6, 0, 1, s[4:5]
	v_mov_b32_e32 v7, s33
	flat_store_dwordx2 v[0:1], v[6:7]
                                        ; implicit-def: $vgpr0_vgpr1
.LBB274_1988:
	s_andn2_saveexec_b64 s[6:7], s[6:7]
	s_cbranch_execz .LBB274_1990
; %bb.1989:
	v_cndmask_b32_e64 v6, 0, 1, s[4:5]
	flat_store_dword v[0:1], v6
.LBB274_1990:
	s_or_b64 exec, exec, s[6:7]
                                        ; implicit-def: $vgpr0_vgpr1
.LBB274_1991:
	s_andn2_saveexec_b64 s[6:7], s[56:57]
	s_cbranch_execz .LBB274_1993
; %bb.1992:
	v_cndmask_b32_e64 v6, 0, 1, s[4:5]
	flat_store_short v[0:1], v6
.LBB274_1993:
	s_or_b64 exec, exec, s[6:7]
                                        ; implicit-def: $vgpr0_vgpr1
.LBB274_1994:
	s_andn2_saveexec_b64 s[54:55], s[54:55]
	s_cbranch_execz .LBB274_2000
; %bb.1995:
	v_cmp_lt_i16_e64 s[6:7], 0, v21
	v_cndmask_b32_e64 v6, 0, 1, s[4:5]
	s_and_saveexec_b64 s[4:5], s[6:7]
	s_xor_b64 s[4:5], exec, s[4:5]
	s_cbranch_execz .LBB274_1997
; %bb.1996:
	flat_store_byte v[0:1], v6
                                        ; implicit-def: $vgpr0_vgpr1
                                        ; implicit-def: $vgpr6
.LBB274_1997:
	s_andn2_saveexec_b64 s[4:5], s[4:5]
	s_cbranch_execz .LBB274_1999
; %bb.1998:
	flat_store_byte v[0:1], v6
.LBB274_1999:
	s_or_b64 exec, exec, s[4:5]
.LBB274_2000:
	s_or_b64 exec, exec, s[54:55]
.LBB274_2001:
	s_or_b64 exec, exec, s[52:53]
	s_or_b64 s[50:51], s[50:51], exec
.LBB274_2002:
	s_or_b64 exec, exec, s[48:49]
	s_mov_b64 s[4:5], 0
	s_mov_b64 s[52:53], 0
                                        ; implicit-def: $sgpr6_sgpr7
                                        ; implicit-def: $vgpr0_vgpr1
	s_and_saveexec_b64 s[48:49], s[50:51]
	s_cbranch_execz .LBB274_2043
; %bb.2003:
	v_lshlrev_b32_e32 v0, 24, v13
	v_and_b32_e32 v1, 0x7f000000, v0
	v_ffbh_u32_e32 v6, v1
	v_min_u32_e32 v6, 32, v6
	v_sub_u32_e64 v6, v6, 4 clamp
	v_lshlrev_b32_e32 v8, v6, v1
	v_lshrrev_b32_e32 v8, 4, v8
	v_lshlrev_b32_e32 v6, 23, v6
	v_add_u32_e32 v7, 0x1000000, v1
	v_sub_u32_e32 v6, v8, v6
	v_ashrrev_i32_e32 v7, 8, v7
	v_add_u32_e32 v6, 0x3c000000, v6
	s_mov_b32 s6, 0x7f800000
	v_and_or_b32 v6, v7, s6, v6
	v_cmp_ne_u32_e64 s[4:5], 0, v1
	v_cndmask_b32_e64 v1, 0, v6, s[4:5]
	s_brev_b32 s7, 1
	v_and_or_b32 v0, v0, s7, v1
	v_lshlrev_b32_e32 v1, 24, v10
	v_and_b32_e32 v6, 0x7f000000, v1
	v_ffbh_u32_e32 v7, v6
	v_min_u32_e32 v7, 32, v7
	v_sub_u32_e64 v7, v7, 4 clamp
	v_lshlrev_b32_e32 v9, v7, v6
	v_lshrrev_b32_e32 v9, 4, v9
	v_lshlrev_b32_e32 v7, 23, v7
	v_add_u32_e32 v8, 0x1000000, v6
	v_sub_u32_e32 v7, v9, v7
	v_ashrrev_i32_e32 v8, 8, v8
	v_add_u32_e32 v7, 0x3c000000, v7
	v_and_or_b32 v7, v8, s6, v7
	v_cmp_ne_u32_e64 s[4:5], 0, v6
	v_cndmask_b32_e64 v6, 0, v7, s[4:5]
	v_and_or_b32 v1, v1, s7, v6
	v_cmp_eq_f32_e64 s[4:5], v0, v1
	v_cndmask_b32_e64 v6, 0, 1, s[4:5]
	v_cmp_neq_f32_e64 s[4:5], v0, v1
	v_cndmask_b32_e64 v0, 0, 1, s[4:5]
	v_cndmask_b32_e32 v0, v0, v6, vcc
	v_and_b32_e32 v0, 1, v0
	v_cmp_eq_u32_e64 s[6:7], 1, v0
	v_add_u32_e32 v0, v5, v4
	v_ashrrev_i32_e32 v1, 31, v0
	v_add_co_u32_e32 v0, vcc, v2, v0
	v_addc_co_u32_e32 v1, vcc, v3, v1, vcc
	v_cmp_lt_i16_e32 vcc, 10, v21
	s_mov_b64 s[4:5], 0
	s_mov_b64 s[52:53], -1
	s_mov_b64 s[54:55], s[8:9]
	s_and_saveexec_b64 s[50:51], vcc
	s_cbranch_execz .LBB274_2042
; %bb.2004:
	v_cmp_lt_i16_e32 vcc, 25, v21
	s_mov_b64 s[54:55], 0
	s_and_saveexec_b64 s[52:53], vcc
	s_xor_b64 s[52:53], exec, s[52:53]
	s_cbranch_execz .LBB274_2695
; %bb.2005:
	v_cmp_lt_i16_e32 vcc, 28, v21
	s_and_saveexec_b64 s[56:57], vcc
	s_xor_b64 s[56:57], exec, s[56:57]
	s_cbranch_execz .LBB274_2023
; %bb.2006:
	v_cmp_lt_i16_e32 vcc, 43, v21
	;; [unrolled: 5-line block ×3, first 2 shown]
	s_mov_b64 s[60:61], 0
	s_and_saveexec_b64 s[4:5], vcc
	s_xor_b64 s[4:5], exec, s[4:5]
	s_cbranch_execz .LBB274_2011
; %bb.2008:
	v_cmp_eq_u16_e32 vcc, 46, v21
	s_mov_b64 s[62:63], -1
	s_and_saveexec_b64 s[60:61], vcc
	s_cbranch_execz .LBB274_2010
; %bb.2009:
	v_cndmask_b32_e64 v2, 0, 1.0, s[6:7]
	v_bfe_u32 v3, v2, 16, 1
	s_movk_i32 s33, 0x7fff
	v_add3_u32 v2, v2, v3, s33
	v_lshrrev_b32_e32 v2, 16, v2
	flat_store_dword v[0:1], v2
	s_xor_b64 s[62:63], exec, -1
.LBB274_2010:
	s_or_b64 exec, exec, s[60:61]
	s_and_b64 s[60:61], s[62:63], exec
.LBB274_2011:
	s_andn2_saveexec_b64 s[62:63], s[4:5]
	s_cbranch_execz .LBB274_2017
; %bb.2012:
	v_cmp_eq_u16_e32 vcc, 44, v21
	s_mov_b64 s[4:5], -1
	s_and_saveexec_b64 s[64:65], vcc
	s_cbranch_execz .LBB274_2016
; %bb.2013:
	v_cndmask_b32_e64 v3, 0, 1.0, s[6:7]
	v_lshrrev_b32_e32 v2, 23, v3
	s_movk_i32 s4, 0xff
	v_cmp_ne_u32_e32 vcc, s4, v2
	v_mov_b32_e32 v4, 0xff
	s_and_saveexec_b64 s[66:67], vcc
; %bb.2014:
	s_mov_b32 s4, 0x3fffff
	v_and_b32_e32 v4, 0x400000, v3
	v_and_or_b32 v3, v3, s4, v2
	v_cmp_ne_u32_e32 vcc, 0, v4
	v_cmp_ne_u32_e64 s[4:5], 0, v3
	s_and_b64 s[4:5], vcc, s[4:5]
	v_cndmask_b32_e64 v3, 0, 1, s[4:5]
	v_add_u32_e32 v4, v2, v3
; %bb.2015:
	s_or_b64 exec, exec, s[66:67]
	s_xor_b64 s[4:5], exec, -1
	flat_store_byte v[0:1], v4
.LBB274_2016:
	s_or_b64 exec, exec, s[64:65]
	s_andn2_b64 s[60:61], s[60:61], exec
	s_and_b64 s[4:5], s[4:5], exec
	s_or_b64 s[60:61], s[60:61], s[4:5]
.LBB274_2017:
	s_or_b64 exec, exec, s[62:63]
	s_and_b64 s[4:5], s[60:61], exec
.LBB274_2018:
	s_andn2_saveexec_b64 s[58:59], s[58:59]
	s_cbranch_execz .LBB274_2022
; %bb.2019:
	v_cmp_eq_u16_e32 vcc, 29, v21
	s_mov_b64 s[62:63], -1
	s_and_saveexec_b64 s[60:61], vcc
	s_cbranch_execz .LBB274_2021
; %bb.2020:
	s_mov_b32 s33, 0
	v_cndmask_b32_e64 v2, 0, 1, s[6:7]
	v_mov_b32_e32 v3, s33
	flat_store_dwordx2 v[0:1], v[2:3]
	s_xor_b64 s[62:63], exec, -1
.LBB274_2021:
	s_or_b64 exec, exec, s[60:61]
	s_andn2_b64 s[4:5], s[4:5], exec
	s_and_b64 s[60:61], s[62:63], exec
	s_or_b64 s[4:5], s[4:5], s[60:61]
.LBB274_2022:
	s_or_b64 exec, exec, s[58:59]
	s_and_b64 s[4:5], s[4:5], exec
.LBB274_2023:
	s_andn2_saveexec_b64 s[56:57], s[56:57]
	s_cbranch_execz .LBB274_2039
; %bb.2024:
	v_cmp_lt_i16_e32 vcc, 26, v21
	s_and_saveexec_b64 s[58:59], vcc
	s_xor_b64 s[58:59], exec, s[58:59]
	s_cbranch_execz .LBB274_2030
; %bb.2025:
	v_cmp_lt_i16_e32 vcc, 27, v21
	v_cndmask_b32_e64 v2, 0, 1, s[6:7]
	s_and_saveexec_b64 s[60:61], vcc
	s_xor_b64 s[60:61], exec, s[60:61]
	s_cbranch_execz .LBB274_2027
; %bb.2026:
	flat_store_dword v[0:1], v2
                                        ; implicit-def: $vgpr2
.LBB274_2027:
	s_andn2_saveexec_b64 s[60:61], s[60:61]
	s_cbranch_execz .LBB274_2029
; %bb.2028:
	flat_store_short v[0:1], v2
.LBB274_2029:
	s_or_b64 exec, exec, s[60:61]
.LBB274_2030:
	s_andn2_saveexec_b64 s[58:59], s[58:59]
	s_cbranch_execz .LBB274_2038
; %bb.2031:
	v_cndmask_b32_e64 v3, 0, 1.0, s[6:7]
	s_mov_b32 s33, 0x43800000
	v_cmp_gt_u32_e32 vcc, s33, v3
	v_mov_b32_e32 v4, 0x80
	s_and_saveexec_b64 s[60:61], vcc
	s_cbranch_execz .LBB274_2037
; %bb.2032:
	s_mov_b32 s33, 0x3bffffff
	v_cmp_lt_u32_e32 vcc, s33, v3
	s_mov_b64 s[62:63], 0
                                        ; implicit-def: $vgpr2
	s_and_saveexec_b64 s[64:65], vcc
	s_xor_b64 s[64:65], exec, s[64:65]
	s_cbranch_execz .LBB274_2750
; %bb.2033:
	v_bfe_u32 v2, v3, 20, 1
	s_mov_b32 s33, 0x487ffff
	v_add3_u32 v2, v3, v2, s33
	s_mov_b64 s[62:63], exec
	v_lshrrev_b32_e32 v2, 20, v2
                                        ; implicit-def: $vgpr3
	s_andn2_saveexec_b64 s[64:65], s[64:65]
	s_cbranch_execnz .LBB274_2751
.LBB274_2034:
	s_or_b64 exec, exec, s[64:65]
	v_mov_b32_e32 v4, 0
	s_and_saveexec_b64 s[64:65], s[62:63]
.LBB274_2035:
	v_mov_b32_e32 v4, v2
.LBB274_2036:
	s_or_b64 exec, exec, s[64:65]
.LBB274_2037:
	s_or_b64 exec, exec, s[60:61]
	flat_store_byte v[0:1], v4
.LBB274_2038:
	s_or_b64 exec, exec, s[58:59]
.LBB274_2039:
	s_or_b64 exec, exec, s[56:57]
	s_and_b64 s[4:5], s[4:5], exec
	s_andn2_saveexec_b64 s[52:53], s[52:53]
	s_cbranch_execnz .LBB274_2696
.LBB274_2040:
	s_or_b64 exec, exec, s[52:53]
	s_mov_b64 s[56:57], s[8:9]
	s_and_saveexec_b64 s[52:53], s[4:5]
	s_cbranch_execnz .LBB274_2737
.LBB274_2041:
	s_or_b64 exec, exec, s[52:53]
	s_and_b64 s[4:5], s[54:55], exec
	s_andn2_b64 s[54:55], s[8:9], exec
	s_and_b64 s[56:57], s[56:57], exec
	s_xor_b64 s[52:53], exec, -1
	s_or_b64 s[54:55], s[54:55], s[56:57]
.LBB274_2042:
	s_or_b64 exec, exec, s[50:51]
	s_andn2_b64 s[8:9], s[8:9], exec
	s_and_b64 s[50:51], s[54:55], exec
	s_and_b64 s[52:53], s[52:53], exec
	;; [unrolled: 1-line block ×3, first 2 shown]
	s_or_b64 s[8:9], s[8:9], s[50:51]
.LBB274_2043:
	s_or_b64 exec, exec, s[48:49]
	s_andn2_b64 s[44:45], s[44:45], exec
	s_and_b64 s[8:9], s[8:9], exec
	s_and_b64 s[48:49], s[52:53], exec
	;; [unrolled: 1-line block ×3, first 2 shown]
	s_or_b64 s[44:45], s[44:45], s[8:9]
.LBB274_2044:
	s_or_b64 exec, exec, s[46:47]
	s_andn2_b64 s[40:41], s[40:41], exec
	s_and_b64 s[44:45], s[44:45], exec
	s_and_b64 s[8:9], s[48:49], exec
	;; [unrolled: 1-line block ×3, first 2 shown]
	s_or_b64 s[40:41], s[40:41], s[44:45]
.LBB274_2045:
	s_or_b64 exec, exec, s[42:43]
	s_and_b64 s[42:43], s[8:9], exec
	s_andn2_b64 s[8:9], s[30:31], exec
	s_and_b64 s[30:31], s[40:41], exec
	s_and_b64 s[4:5], s[4:5], exec
	s_or_b64 s[30:31], s[8:9], s[30:31]
.LBB274_2046:
	s_or_b64 exec, exec, s[38:39]
	s_andn2_b64 s[8:9], s[26:27], exec
	s_and_b64 s[26:27], s[30:31], exec
	s_and_b64 s[38:39], s[42:43], exec
	;; [unrolled: 1-line block ×3, first 2 shown]
	s_or_b64 s[26:27], s[8:9], s[26:27]
.LBB274_2047:
	s_or_b64 exec, exec, s[28:29]
	s_andn2_b64 s[8:9], s[22:23], exec
	s_and_b64 s[22:23], s[26:27], exec
	s_and_b64 s[28:29], s[38:39], exec
	;; [unrolled: 1-line block ×3, first 2 shown]
	s_or_b64 s[22:23], s[8:9], s[22:23]
.LBB274_2048:
	s_or_b64 exec, exec, s[24:25]
	s_andn2_b64 s[8:9], s[18:19], exec
	s_and_b64 s[18:19], s[22:23], exec
	s_and_b64 s[24:25], s[28:29], exec
	;; [unrolled: 1-line block ×3, first 2 shown]
	s_or_b64 s[18:19], s[8:9], s[18:19]
.LBB274_2049:
	s_or_b64 exec, exec, s[20:21]
	s_andn2_b64 s[8:9], s[14:15], exec
	s_and_b64 s[14:15], s[18:19], exec
	s_and_b64 s[20:21], s[24:25], exec
	;; [unrolled: 1-line block ×3, first 2 shown]
	s_or_b64 s[14:15], s[8:9], s[14:15]
.LBB274_2050:
	s_or_b64 exec, exec, s[16:17]
	s_and_b64 s[16:17], s[4:5], exec
	s_andn2_b64 s[4:5], s[10:11], exec
	s_and_b64 s[8:9], s[14:15], exec
	s_and_b64 s[18:19], s[20:21], exec
	s_or_b64 s[10:11], s[4:5], s[8:9]
.LBB274_2051:
	s_or_b64 exec, exec, s[12:13]
	s_andn2_b64 s[8:9], s[34:35], exec
	s_and_b64 s[10:11], s[10:11], exec
	s_and_b64 s[4:5], s[18:19], exec
	;; [unrolled: 1-line block ×3, first 2 shown]
	s_or_b64 s[34:35], s[8:9], s[10:11]
	s_or_b64 exec, exec, s[36:37]
	s_and_saveexec_b64 s[8:9], s[34:35]
	s_cbranch_execnz .LBB274_2055
.LBB274_2052:
	s_or_b64 exec, exec, s[8:9]
	s_and_saveexec_b64 s[8:9], s[38:39]
	s_xor_b64 s[8:9], exec, s[8:9]
	s_cbranch_execz .LBB274_2056
.LBB274_2053:
	s_waitcnt vmcnt(0)
	v_cndmask_b32_e64 v2, 0, 1, s[6:7]
	flat_store_byte v[0:1], v2
	s_or_b64 exec, exec, s[8:9]
	s_and_saveexec_b64 s[8:9], s[4:5]
	s_cbranch_execz .LBB274_2095
	s_branch .LBB274_2057
.LBB274_2054:
	s_or_b64 exec, exec, s[36:37]
	s_and_saveexec_b64 s[8:9], s[34:35]
	s_cbranch_execz .LBB274_2052
.LBB274_2055:
	; divergent unreachable
	s_or_b64 exec, exec, s[8:9]
	s_and_saveexec_b64 s[8:9], s[38:39]
	s_xor_b64 s[8:9], exec, s[8:9]
	s_cbranch_execnz .LBB274_2053
.LBB274_2056:
	s_or_b64 exec, exec, s[8:9]
	s_and_saveexec_b64 s[8:9], s[4:5]
	s_cbranch_execz .LBB274_2095
.LBB274_2057:
	v_cmp_lt_i16_e32 vcc, 4, v21
	s_and_saveexec_b64 s[4:5], vcc
	s_xor_b64 s[4:5], exec, s[4:5]
	s_cbranch_execz .LBB274_2079
; %bb.2058:
	v_cmp_lt_i16_e32 vcc, 7, v21
	s_mov_b64 s[8:9], s[6:7]
	s_and_saveexec_b64 s[10:11], vcc
	s_xor_b64 s[10:11], exec, s[10:11]
	s_cbranch_execz .LBB274_2068
; %bb.2059:
	v_cmp_lt_i16_e32 vcc, 8, v21
	s_mov_b64 s[12:13], s[6:7]
	s_and_saveexec_b64 s[8:9], vcc
	s_xor_b64 s[8:9], exec, s[8:9]
	s_cbranch_execz .LBB274_2065
; %bb.2060:
	v_cmp_lt_i16_e32 vcc, 9, v21
	s_and_saveexec_b64 s[12:13], vcc
	s_xor_b64 s[12:13], exec, s[12:13]
	s_cbranch_execz .LBB274_2062
; %bb.2061:
	s_waitcnt vmcnt(0)
	v_cndmask_b32_e64 v2, 0, 1, s[6:7]
	v_cvt_f64_u32_e32 v[2:3], v2
	v_mov_b32_e32 v4, 0
	s_waitcnt lgkmcnt(0)
	v_mov_b32_e32 v5, v4
	flat_store_dwordx4 v[0:1], v[2:5]
.LBB274_2062:
	s_andn2_saveexec_b64 s[12:13], s[12:13]
	s_cbranch_execz .LBB274_2064
; %bb.2063:
	s_waitcnt vmcnt(0)
	v_cndmask_b32_e64 v2, 0, 1.0, s[6:7]
	v_mov_b32_e32 v3, 0
	flat_store_dwordx2 v[0:1], v[2:3]
.LBB274_2064:
	s_or_b64 exec, exec, s[12:13]
	s_andn2_b64 s[12:13], s[6:7], exec
	s_and_b64 s[14:15], s[6:7], exec
	s_or_b64 s[12:13], s[12:13], s[14:15]
.LBB274_2065:
	s_andn2_saveexec_b64 s[8:9], s[8:9]
	s_cbranch_execz .LBB274_2067
; %bb.2066:
	s_waitcnt vmcnt(0)
	v_cndmask_b32_e64 v2, 0, 1.0, s[12:13]
	v_cvt_f16_f32_e32 v2, v2
	flat_store_dword v[0:1], v2
.LBB274_2067:
	s_or_b64 exec, exec, s[8:9]
	s_andn2_b64 s[8:9], s[6:7], exec
	s_and_b64 s[12:13], s[12:13], exec
	s_or_b64 s[8:9], s[8:9], s[12:13]
.LBB274_2068:
	s_andn2_saveexec_b64 s[10:11], s[10:11]
	s_cbranch_execz .LBB274_2078
; %bb.2069:
	v_cmp_lt_i16_e32 vcc, 5, v21
	s_mov_b64 s[14:15], s[8:9]
	s_and_saveexec_b64 s[12:13], vcc
	s_xor_b64 s[12:13], exec, s[12:13]
	s_cbranch_execz .LBB274_2075
; %bb.2070:
	v_cmp_lt_i16_e32 vcc, 6, v21
	s_and_saveexec_b64 s[14:15], vcc
	s_xor_b64 s[14:15], exec, s[14:15]
	s_cbranch_execz .LBB274_2072
; %bb.2071:
	s_waitcnt vmcnt(0)
	v_cndmask_b32_e64 v2, 0, 1, s[8:9]
	v_cvt_f64_u32_e32 v[2:3], v2
	flat_store_dwordx2 v[0:1], v[2:3]
.LBB274_2072:
	s_andn2_saveexec_b64 s[14:15], s[14:15]
	s_cbranch_execz .LBB274_2074
; %bb.2073:
	s_waitcnt vmcnt(0)
	v_cndmask_b32_e64 v2, 0, 1.0, s[8:9]
	flat_store_dword v[0:1], v2
.LBB274_2074:
	s_or_b64 exec, exec, s[14:15]
	s_andn2_b64 s[14:15], s[8:9], exec
	s_and_b64 s[16:17], s[8:9], exec
	s_or_b64 s[14:15], s[14:15], s[16:17]
.LBB274_2075:
	s_andn2_saveexec_b64 s[12:13], s[12:13]
	s_cbranch_execz .LBB274_2077
; %bb.2076:
	s_waitcnt vmcnt(0)
	v_cndmask_b32_e64 v2, 0, 1.0, s[14:15]
	v_cvt_f16_f32_e32 v2, v2
	flat_store_short v[0:1], v2
.LBB274_2077:
	s_or_b64 exec, exec, s[12:13]
	s_andn2_b64 s[8:9], s[8:9], exec
	s_and_b64 s[12:13], s[14:15], exec
	s_or_b64 s[8:9], s[8:9], s[12:13]
.LBB274_2078:
	s_or_b64 exec, exec, s[10:11]
	s_andn2_b64 s[6:7], s[6:7], exec
	s_and_b64 s[8:9], s[8:9], exec
	s_or_b64 s[6:7], s[6:7], s[8:9]
.LBB274_2079:
	s_andn2_saveexec_b64 s[4:5], s[4:5]
	s_cbranch_execz .LBB274_2095
; %bb.2080:
	v_cmp_lt_i16_e32 vcc, 1, v21
	s_and_saveexec_b64 s[4:5], vcc
	s_xor_b64 s[4:5], exec, s[4:5]
	s_cbranch_execz .LBB274_2090
; %bb.2081:
	v_cmp_lt_i16_e32 vcc, 2, v21
	s_mov_b64 s[10:11], s[6:7]
	s_and_saveexec_b64 s[8:9], vcc
	s_xor_b64 s[8:9], exec, s[8:9]
	s_cbranch_execz .LBB274_2087
; %bb.2082:
	v_cmp_lt_i16_e32 vcc, 3, v21
	s_waitcnt vmcnt(0)
	v_cndmask_b32_e64 v2, 0, 1, s[6:7]
	s_and_saveexec_b64 s[10:11], vcc
	s_xor_b64 s[10:11], exec, s[10:11]
	s_cbranch_execz .LBB274_2084
; %bb.2083:
	s_mov_b32 s12, 0
	v_mov_b32_e32 v3, s12
	flat_store_dwordx2 v[0:1], v[2:3]
                                        ; implicit-def: $vgpr0_vgpr1
                                        ; implicit-def: $vgpr2
.LBB274_2084:
	s_andn2_saveexec_b64 s[10:11], s[10:11]
	s_cbranch_execz .LBB274_2086
; %bb.2085:
	flat_store_dword v[0:1], v2
.LBB274_2086:
	s_or_b64 exec, exec, s[10:11]
	s_andn2_b64 s[10:11], s[6:7], exec
	s_and_b64 s[12:13], s[6:7], exec
	s_or_b64 s[10:11], s[10:11], s[12:13]
                                        ; implicit-def: $vgpr0_vgpr1
.LBB274_2087:
	s_andn2_saveexec_b64 s[8:9], s[8:9]
	s_cbranch_execz .LBB274_2089
; %bb.2088:
	s_waitcnt vmcnt(0)
	v_cndmask_b32_e64 v2, 0, 1, s[10:11]
	flat_store_short v[0:1], v2
.LBB274_2089:
	s_or_b64 exec, exec, s[8:9]
	s_andn2_b64 s[6:7], s[6:7], exec
	s_and_b64 s[8:9], s[10:11], exec
	s_or_b64 s[6:7], s[6:7], s[8:9]
                                        ; implicit-def: $vgpr0_vgpr1
.LBB274_2090:
	s_andn2_saveexec_b64 s[4:5], s[4:5]
	s_cbranch_execz .LBB274_2095
; %bb.2091:
	v_cmp_lt_i16_e32 vcc, 0, v21
	s_waitcnt vmcnt(0)
	v_cndmask_b32_e64 v2, 0, 1, s[6:7]
	s_and_saveexec_b64 s[4:5], vcc
	s_xor_b64 s[4:5], exec, s[4:5]
	s_cbranch_execz .LBB274_2093
; %bb.2092:
	flat_store_byte v[0:1], v2
                                        ; implicit-def: $vgpr0_vgpr1
                                        ; implicit-def: $vgpr2
.LBB274_2093:
	s_andn2_saveexec_b64 s[4:5], s[4:5]
	s_cbranch_execz .LBB274_2095
; %bb.2094:
	flat_store_byte v[0:1], v2
	s_endpgm
.LBB274_2095:
	s_endpgm
.LBB274_2096:
	s_andn2_saveexec_b64 s[8:9], s[8:9]
	s_cbranch_execz .LBB274_84
.LBB274_2097:
	v_mov_b32_e32 v2, 4
	v_cmp_gt_i16_sdwa s[10:11], v17, v2 src0_sel:BYTE_0 src1_sel:DWORD
	s_and_saveexec_b64 s[12:13], s[10:11]
	s_xor_b64 s[10:11], exec, s[12:13]
	s_cbranch_execz .LBB274_2119
; %bb.2098:
	v_mov_b32_e32 v2, 7
	v_cmp_gt_i16_sdwa s[12:13], v17, v2 src0_sel:BYTE_0 src1_sel:DWORD
	s_and_saveexec_b64 s[14:15], s[12:13]
	s_xor_b64 s[12:13], exec, s[14:15]
	s_cbranch_execz .LBB274_2108
; %bb.2099:
	v_mov_b32_e32 v2, 8
	v_cmp_gt_i16_sdwa s[14:15], v17, v2 src0_sel:BYTE_0 src1_sel:DWORD
	s_and_saveexec_b64 s[16:17], s[14:15]
	s_xor_b64 s[14:15], exec, s[16:17]
	s_cbranch_execz .LBB274_2105
; %bb.2100:
	v_mov_b32_e32 v2, 9
	v_cmp_gt_i16_sdwa s[16:17], v17, v2 src0_sel:BYTE_0 src1_sel:DWORD
	s_and_saveexec_b64 s[18:19], s[16:17]
	s_xor_b64 s[16:17], exec, s[18:19]
	s_cbranch_execz .LBB274_2102
; %bb.2101:
	v_cndmask_b32_e64 v2, 0, 1, vcc
	v_cvt_f64_u32_e32 v[2:3], v2
	v_mov_b32_e32 v4, 0
	v_mov_b32_e32 v5, v4
	flat_store_dwordx4 v[0:1], v[2:5]
                                        ; implicit-def: $vgpr0_vgpr1
.LBB274_2102:
	s_andn2_saveexec_b64 s[16:17], s[16:17]
	s_cbranch_execz .LBB274_2104
; %bb.2103:
	v_cndmask_b32_e64 v2, 0, 1.0, vcc
	v_mov_b32_e32 v3, 0
	flat_store_dwordx2 v[0:1], v[2:3]
.LBB274_2104:
	s_or_b64 exec, exec, s[16:17]
                                        ; implicit-def: $vgpr0_vgpr1
.LBB274_2105:
	s_andn2_saveexec_b64 s[14:15], s[14:15]
	s_cbranch_execz .LBB274_2107
; %bb.2106:
	v_cndmask_b32_e64 v2, 0, 1.0, vcc
	v_cvt_f16_f32_e32 v2, v2
	flat_store_dword v[0:1], v2
.LBB274_2107:
	s_or_b64 exec, exec, s[14:15]
                                        ; implicit-def: $vgpr0_vgpr1
.LBB274_2108:
	s_andn2_saveexec_b64 s[12:13], s[12:13]
	s_cbranch_execz .LBB274_2118
; %bb.2109:
	v_mov_b32_e32 v2, 5
	v_cmp_gt_i16_sdwa s[14:15], v17, v2 src0_sel:BYTE_0 src1_sel:DWORD
	s_and_saveexec_b64 s[16:17], s[14:15]
	s_xor_b64 s[14:15], exec, s[16:17]
	s_cbranch_execz .LBB274_2115
; %bb.2110:
	v_mov_b32_e32 v2, 6
	v_cmp_gt_i16_sdwa s[16:17], v17, v2 src0_sel:BYTE_0 src1_sel:DWORD
	s_and_saveexec_b64 s[18:19], s[16:17]
	s_xor_b64 s[16:17], exec, s[18:19]
	s_cbranch_execz .LBB274_2112
; %bb.2111:
	v_cndmask_b32_e64 v2, 0, 1, vcc
	v_cvt_f64_u32_e32 v[2:3], v2
	flat_store_dwordx2 v[0:1], v[2:3]
                                        ; implicit-def: $vgpr0_vgpr1
.LBB274_2112:
	s_andn2_saveexec_b64 s[16:17], s[16:17]
	s_cbranch_execz .LBB274_2114
; %bb.2113:
	v_cndmask_b32_e64 v2, 0, 1.0, vcc
	flat_store_dword v[0:1], v2
.LBB274_2114:
	s_or_b64 exec, exec, s[16:17]
                                        ; implicit-def: $vgpr0_vgpr1
.LBB274_2115:
	s_andn2_saveexec_b64 s[14:15], s[14:15]
	s_cbranch_execz .LBB274_2117
; %bb.2116:
	v_cndmask_b32_e64 v2, 0, 1.0, vcc
	v_cvt_f16_f32_e32 v2, v2
	flat_store_short v[0:1], v2
.LBB274_2117:
	s_or_b64 exec, exec, s[14:15]
.LBB274_2118:
	s_or_b64 exec, exec, s[12:13]
                                        ; implicit-def: $vgpr0_vgpr1
.LBB274_2119:
	s_andn2_saveexec_b64 s[10:11], s[10:11]
	s_cbranch_execz .LBB274_2137
; %bb.2120:
	v_mov_b32_e32 v2, 1
	v_cmp_gt_i16_sdwa s[12:13], v17, v2 src0_sel:BYTE_0 src1_sel:DWORD
	s_and_saveexec_b64 s[14:15], s[12:13]
	s_xor_b64 s[12:13], exec, s[14:15]
	s_cbranch_execz .LBB274_2130
; %bb.2121:
	v_mov_b32_e32 v2, 2
	v_cmp_gt_i16_sdwa s[14:15], v17, v2 src0_sel:BYTE_0 src1_sel:DWORD
	s_and_saveexec_b64 s[16:17], s[14:15]
	s_xor_b64 s[14:15], exec, s[16:17]
	;; [unrolled: 6-line block ×3, first 2 shown]
	s_cbranch_execz .LBB274_2124
; %bb.2123:
	s_mov_b32 s18, 0
	v_cndmask_b32_e64 v2, 0, 1, vcc
	v_mov_b32_e32 v3, s18
	flat_store_dwordx2 v[0:1], v[2:3]
                                        ; implicit-def: $vgpr0_vgpr1
.LBB274_2124:
	s_andn2_saveexec_b64 s[16:17], s[16:17]
	s_cbranch_execz .LBB274_2126
; %bb.2125:
	v_cndmask_b32_e64 v2, 0, 1, vcc
	flat_store_dword v[0:1], v2
.LBB274_2126:
	s_or_b64 exec, exec, s[16:17]
                                        ; implicit-def: $vgpr0_vgpr1
.LBB274_2127:
	s_andn2_saveexec_b64 s[14:15], s[14:15]
	s_cbranch_execz .LBB274_2129
; %bb.2128:
	v_cndmask_b32_e64 v2, 0, 1, vcc
	flat_store_short v[0:1], v2
.LBB274_2129:
	s_or_b64 exec, exec, s[14:15]
                                        ; implicit-def: $vgpr0_vgpr1
.LBB274_2130:
	s_andn2_saveexec_b64 s[12:13], s[12:13]
	s_cbranch_execz .LBB274_2136
; %bb.2131:
	v_mov_b32_e32 v2, 0
	v_cmp_gt_i16_sdwa s[14:15], v17, v2 src0_sel:BYTE_0 src1_sel:DWORD
	v_cndmask_b32_e64 v2, 0, 1, vcc
	s_and_saveexec_b64 s[16:17], s[14:15]
	s_xor_b64 s[14:15], exec, s[16:17]
	s_cbranch_execz .LBB274_2133
; %bb.2132:
	flat_store_byte v[0:1], v2
                                        ; implicit-def: $vgpr0_vgpr1
                                        ; implicit-def: $vgpr2
.LBB274_2133:
	s_andn2_saveexec_b64 s[14:15], s[14:15]
	s_cbranch_execz .LBB274_2135
; %bb.2134:
	flat_store_byte v[0:1], v2
.LBB274_2135:
	s_or_b64 exec, exec, s[14:15]
.LBB274_2136:
	s_or_b64 exec, exec, s[12:13]
.LBB274_2137:
	s_or_b64 exec, exec, s[10:11]
	s_or_b64 s[6:7], s[6:7], exec
	s_or_b64 exec, exec, s[8:9]
	s_mov_b64 s[8:9], 0
	s_and_saveexec_b64 s[10:11], s[6:7]
	s_cbranch_execnz .LBB274_85
	s_branch .LBB274_86
.LBB274_2138:
	s_andn2_saveexec_b64 s[10:11], s[10:11]
	s_cbranch_execz .LBB274_478
.LBB274_2139:
	v_cmp_lt_i16_e64 s[4:5], 22, v10
	s_mov_b64 s[16:17], s[12:13]
                                        ; implicit-def: $vgpr5
	s_and_saveexec_b64 s[8:9], s[4:5]
	s_xor_b64 s[8:9], exec, s[8:9]
	s_cbranch_execz .LBB274_2171
; %bb.2140:
	v_cmp_lt_i16_e64 s[4:5], 23, v10
                                        ; implicit-def: $vgpr5
	s_and_saveexec_b64 s[16:17], s[4:5]
	s_xor_b64 s[16:17], exec, s[16:17]
	s_cbranch_execz .LBB274_2160
; %bb.2141:
	v_cmp_lt_i16_e64 s[4:5], 24, v10
                                        ; implicit-def: $vgpr5
	s_and_saveexec_b64 s[18:19], s[4:5]
	s_xor_b64 s[18:19], exec, s[18:19]
	s_cbranch_execz .LBB274_2157
; %bb.2142:
	flat_load_ubyte v9, v[0:1]
	s_movk_i32 s4, 0x7f
	s_mov_b64 s[20:21], 0
	s_waitcnt vmcnt(0) lgkmcnt(0)
	v_cmp_lt_i16_e64 s[4:5], s4, v9
	s_and_saveexec_b64 s[22:23], s[4:5]
	s_xor_b64 s[22:23], exec, s[22:23]
	s_cbranch_execz .LBB274_2481
; %bb.2143:
	s_movk_i32 s4, 0x80
	v_cmp_eq_u16_e64 s[4:5], s4, v9
	s_mov_b64 s[20:21], -1
	s_and_saveexec_b64 s[24:25], s[4:5]
; %bb.2144:
	s_xor_b64 s[20:21], exec, -1
; %bb.2145:
	s_or_b64 exec, exec, s[24:25]
	s_and_b64 s[20:21], s[20:21], exec
	s_or_saveexec_b64 s[22:23], s[22:23]
	v_mov_b32_e32 v5, 0x7f800001
	s_xor_b64 exec, exec, s[22:23]
	s_cbranch_execnz .LBB274_2482
.LBB274_2146:
	s_or_b64 exec, exec, s[22:23]
	s_and_saveexec_b64 s[22:23], s[20:21]
	s_cbranch_execz .LBB274_2148
.LBB274_2147:
	v_lshlrev_b32_e32 v5, 24, v9
	v_and_b32_e32 v9, 0xffff, v9
	v_and_b32_e32 v11, 3, v9
	v_ffbh_u32_e32 v17, v11
	v_min_u32_e32 v17, 32, v17
	v_subrev_u32_e32 v18, 29, v17
	v_bfe_u32 v12, v9, 2, 5
	v_lshlrev_b32_e32 v9, v18, v9
	v_sub_u32_e32 v17, 30, v17
	v_and_b32_e32 v9, 3, v9
	v_cmp_eq_u32_e64 s[4:5], 0, v12
	v_cndmask_b32_e64 v12, v12, v17, s[4:5]
	v_cndmask_b32_e64 v9, v11, v9, s[4:5]
	v_mov_b32_e32 v11, 0x37800000
	v_lshlrev_b32_e32 v9, 21, v9
	v_and_b32_e32 v5, 0x80000000, v5
	v_lshl_add_u32 v11, v12, 23, v11
	v_or3_b32 v5, v5, v11, v9
.LBB274_2148:
	s_or_b64 exec, exec, s[22:23]
	v_and_b32_e32 v11, 0x7fffffff, v5
	s_mov_b32 s4, 0x43f00000
	v_cmp_gt_u32_e64 s[4:5], s4, v11
                                        ; implicit-def: $vgpr9
	s_and_saveexec_b64 s[20:21], s[4:5]
	s_xor_b64 s[20:21], exec, s[20:21]
	s_cbranch_execz .LBB274_2154
; %bb.2149:
	s_mov_b32 s4, 0x3c7fffff
	v_cmp_lt_u32_e64 s[4:5], s4, v11
                                        ; implicit-def: $vgpr9
	s_and_saveexec_b64 s[22:23], s[4:5]
	s_xor_b64 s[22:23], exec, s[22:23]
; %bb.2150:
	v_bfe_u32 v9, v5, 20, 1
	s_mov_b32 s4, 0x407ffff
	v_add3_u32 v9, v5, v9, s4
	v_lshrrev_b32_e32 v11, 20, v9
	v_and_b32_e32 v9, 0xff00000, v9
	s_mov_b32 s4, 0x7f00000
	v_mov_b32_e32 v12, 0x7e
	v_cmp_ne_u32_e64 s[4:5], s4, v9
	v_cndmask_b32_e64 v9, v12, v11, s[4:5]
; %bb.2151:
	s_andn2_saveexec_b64 s[4:5], s[22:23]
; %bb.2152:
	s_mov_b32 s22, 0x46800000
	v_add_f32_e64 v9, |v5|, s22
; %bb.2153:
	s_or_b64 exec, exec, s[4:5]
                                        ; implicit-def: $vgpr11
.LBB274_2154:
	s_andn2_saveexec_b64 s[20:21], s[20:21]
; %bb.2155:
	s_mov_b32 s4, 0x7f800000
	v_mov_b32_e32 v9, 0x7e
	v_mov_b32_e32 v12, 0x7f
	v_cmp_lt_u32_e64 s[4:5], s4, v11
	v_cndmask_b32_e64 v9, v9, v12, s[4:5]
; %bb.2156:
	s_or_b64 exec, exec, s[20:21]
	v_lshrrev_b32_e32 v5, 24, v5
	s_movk_i32 s4, 0x80
	v_and_or_b32 v5, v5, s4, v9
.LBB274_2157:
	s_andn2_saveexec_b64 s[4:5], s[18:19]
	s_cbranch_execz .LBB274_2159
; %bb.2158:
	flat_load_ubyte v5, v[0:1]
.LBB274_2159:
	s_or_b64 exec, exec, s[4:5]
.LBB274_2160:
	s_andn2_saveexec_b64 s[16:17], s[16:17]
	s_cbranch_execz .LBB274_2170
; %bb.2161:
	s_waitcnt vmcnt(0) lgkmcnt(0)
	flat_load_ubyte v5, v[0:1]
	s_movk_i32 s4, 0x7f00
	s_brev_b32 s5, 16
	s_brev_b32 s18, 1
	s_waitcnt vmcnt(0) lgkmcnt(0)
	v_lshlrev_b16_e32 v9, 8, v5
	v_lshlrev_b32_e32 v5, 25, v5
	v_lshrrev_b32_e32 v11, 4, v5
	v_and_or_b32 v12, v9, s4, 0.5
	v_or_b32_e32 v11, 0x70000000, v11
	v_add_f32_e32 v12, -0.5, v12
	v_mul_f32_e32 v11, 0x7800000, v11
	v_cmp_gt_u32_e64 s[4:5], s5, v5
	v_bfe_i32 v9, v9, 0, 16
	v_cndmask_b32_e64 v12, v11, v12, s[4:5]
	v_and_or_b32 v5, v9, s18, v12
	v_and_b32_e32 v11, 0x7fffffff, v5
	s_mov_b32 s4, 0x43f00000
	v_cmp_gt_u32_e64 s[4:5], s4, v11
                                        ; implicit-def: $vgpr9
	s_and_saveexec_b64 s[18:19], s[4:5]
	s_xor_b64 s[18:19], exec, s[18:19]
	s_cbranch_execz .LBB274_2167
; %bb.2162:
	s_mov_b32 s4, 0x3c7fffff
	v_cmp_lt_u32_e64 s[4:5], s4, v11
                                        ; implicit-def: $vgpr9
	s_and_saveexec_b64 s[20:21], s[4:5]
	s_xor_b64 s[20:21], exec, s[20:21]
; %bb.2163:
	v_bfe_u32 v9, v12, 20, 1
	s_mov_b32 s4, 0x407ffff
	v_add3_u32 v9, v5, v9, s4
	v_lshrrev_b32_e32 v11, 20, v9
	v_and_b32_e32 v9, 0xff00000, v9
	s_mov_b32 s4, 0x7f00000
	v_mov_b32_e32 v12, 0x7e
	v_cmp_ne_u32_e64 s[4:5], s4, v9
	v_cndmask_b32_e64 v9, v12, v11, s[4:5]
; %bb.2164:
	s_andn2_saveexec_b64 s[4:5], s[20:21]
; %bb.2165:
	s_mov_b32 s20, 0x46800000
	v_add_f32_e64 v9, |v5|, s20
; %bb.2166:
	s_or_b64 exec, exec, s[4:5]
                                        ; implicit-def: $vgpr11
.LBB274_2167:
	s_andn2_saveexec_b64 s[18:19], s[18:19]
; %bb.2168:
	s_mov_b32 s4, 0x7f800000
	v_mov_b32_e32 v9, 0x7e
	v_mov_b32_e32 v12, 0x7f
	v_cmp_lt_u32_e64 s[4:5], s4, v11
	v_cndmask_b32_e64 v9, v9, v12, s[4:5]
; %bb.2169:
	s_or_b64 exec, exec, s[18:19]
	v_lshrrev_b32_e32 v5, 24, v5
	s_movk_i32 s4, 0x80
	v_and_or_b32 v5, v5, s4, v9
.LBB274_2170:
	s_or_b64 exec, exec, s[16:17]
	s_or_b64 s[16:17], s[12:13], exec
.LBB274_2171:
	s_or_saveexec_b64 s[8:9], s[8:9]
	s_mov_b64 s[4:5], 0
	s_mov_b64 s[18:19], s[14:15]
	s_xor_b64 exec, exec, s[8:9]
	s_cbranch_execz .LBB274_2187
; %bb.2172:
	v_cmp_lt_i16_e64 s[4:5], 14, v10
	s_mov_b64 s[20:21], s[14:15]
	s_mov_b64 s[22:23], s[16:17]
                                        ; implicit-def: $vgpr5
	s_and_saveexec_b64 s[18:19], s[4:5]
	s_xor_b64 s[18:19], exec, s[18:19]
	s_cbranch_execz .LBB274_2184
; %bb.2173:
	v_cmp_eq_u16_e64 s[4:5], 15, v10
	s_mov_b64 s[24:25], -1
	s_mov_b64 s[22:23], s[16:17]
                                        ; implicit-def: $vgpr5
	s_and_saveexec_b64 s[20:21], s[4:5]
	s_cbranch_execz .LBB274_2183
; %bb.2174:
	s_waitcnt vmcnt(0) lgkmcnt(0)
	flat_load_ushort v5, v[0:1]
	s_mov_b32 s4, 0x43f00000
                                        ; implicit-def: $vgpr9
	s_waitcnt vmcnt(0) lgkmcnt(0)
	v_lshlrev_b32_e32 v11, 16, v5
	v_and_b32_e32 v12, 0x7fffffff, v11
	v_cmp_gt_u32_e64 s[4:5], s4, v12
	s_and_saveexec_b64 s[22:23], s[4:5]
	s_xor_b64 s[22:23], exec, s[22:23]
	s_cbranch_execz .LBB274_2180
; %bb.2175:
	s_mov_b32 s4, 0x3c7fffff
	v_cmp_lt_u32_e64 s[4:5], s4, v12
                                        ; implicit-def: $vgpr9
	s_and_saveexec_b64 s[24:25], s[4:5]
	s_xor_b64 s[24:25], exec, s[24:25]
; %bb.2176:
	v_bfe_u32 v9, v5, 4, 1
	s_mov_b32 s4, 0x407ffff
	v_add3_u32 v9, v11, v9, s4
	v_lshrrev_b32_e32 v11, 20, v9
	v_and_b32_e32 v9, 0xff00000, v9
	s_mov_b32 s4, 0x7f00000
	v_mov_b32_e32 v12, 0x7e
	v_cmp_ne_u32_e64 s[4:5], s4, v9
	v_cndmask_b32_e64 v9, v12, v11, s[4:5]
                                        ; implicit-def: $vgpr11
; %bb.2177:
	s_andn2_saveexec_b64 s[4:5], s[24:25]
; %bb.2178:
	s_mov_b32 s24, 0x46800000
	v_add_f32_e64 v9, |v11|, s24
; %bb.2179:
	s_or_b64 exec, exec, s[4:5]
                                        ; implicit-def: $vgpr12
.LBB274_2180:
	s_andn2_saveexec_b64 s[22:23], s[22:23]
; %bb.2181:
	s_mov_b32 s4, 0x7f800000
	v_mov_b32_e32 v9, 0x7e
	v_mov_b32_e32 v11, 0x7f
	v_cmp_lt_u32_e64 s[4:5], s4, v12
	v_cndmask_b32_e64 v9, v9, v11, s[4:5]
; %bb.2182:
	s_or_b64 exec, exec, s[22:23]
	v_lshrrev_b32_e32 v5, 8, v5
	s_movk_i32 s4, 0x80
	v_and_or_b32 v5, v5, s4, v9
	s_or_b64 s[22:23], s[16:17], exec
	s_xor_b64 s[24:25], exec, -1
.LBB274_2183:
	s_or_b64 exec, exec, s[20:21]
	s_andn2_b64 s[4:5], s[16:17], exec
	s_and_b64 s[20:21], s[22:23], exec
	s_or_b64 s[22:23], s[4:5], s[20:21]
	s_andn2_b64 s[4:5], s[14:15], exec
	s_and_b64 s[20:21], s[24:25], exec
	s_or_b64 s[20:21], s[4:5], s[20:21]
.LBB274_2184:
	s_or_saveexec_b64 s[18:19], s[18:19]
	s_mov_b64 s[24:25], 0
	s_xor_b64 exec, exec, s[18:19]
; %bb.2185:
	v_cmp_ne_u16_e64 s[4:5], 11, v10
	s_andn2_b64 s[20:21], s[20:21], exec
	s_and_b64 s[4:5], s[4:5], exec
	s_mov_b64 s[24:25], exec
	s_or_b64 s[20:21], s[20:21], s[4:5]
; %bb.2186:
	s_or_b64 exec, exec, s[18:19]
	s_andn2_b64 s[4:5], s[16:17], exec
	s_and_b64 s[16:17], s[22:23], exec
	s_andn2_b64 s[18:19], s[14:15], exec
	s_and_b64 s[20:21], s[20:21], exec
	s_or_b64 s[16:17], s[4:5], s[16:17]
	s_and_b64 s[4:5], s[24:25], exec
	s_or_b64 s[18:19], s[18:19], s[20:21]
.LBB274_2187:
	s_or_b64 exec, exec, s[8:9]
	s_andn2_b64 s[8:9], s[12:13], exec
	s_and_b64 s[12:13], s[16:17], exec
	s_or_b64 s[12:13], s[8:9], s[12:13]
	s_and_b64 s[8:9], s[4:5], exec
	s_andn2_b64 s[4:5], s[14:15], exec
	s_and_b64 s[14:15], s[18:19], exec
	s_or_b64 s[14:15], s[4:5], s[14:15]
	s_or_b64 exec, exec, s[10:11]
	s_mov_b64 s[10:11], s[34:35]
	s_and_saveexec_b64 s[4:5], s[14:15]
	s_cbranch_execz .LBB274_479
.LBB274_2188:
	s_trap 2
	s_or_b64 s[10:11], s[34:35], exec
	s_andn2_b64 s[8:9], s[8:9], exec
	s_or_b64 exec, exec, s[4:5]
	s_and_saveexec_b64 s[14:15], s[8:9]
	s_cbranch_execnz .LBB274_480
	s_branch .LBB274_489
.LBB274_2189:
	s_andn2_saveexec_b64 s[8:9], s[8:9]
	s_cbranch_execz .LBB274_171
.LBB274_2190:
	v_mov_b32_e32 v2, 4
	v_cmp_gt_i16_sdwa s[10:11], v17, v2 src0_sel:BYTE_0 src1_sel:DWORD
	s_and_saveexec_b64 s[12:13], s[10:11]
	s_xor_b64 s[10:11], exec, s[12:13]
	s_cbranch_execz .LBB274_2212
; %bb.2191:
	v_mov_b32_e32 v2, 7
	v_cmp_gt_i16_sdwa s[12:13], v17, v2 src0_sel:BYTE_0 src1_sel:DWORD
	s_and_saveexec_b64 s[14:15], s[12:13]
	s_xor_b64 s[12:13], exec, s[14:15]
	s_cbranch_execz .LBB274_2201
; %bb.2192:
	;; [unrolled: 6-line block ×4, first 2 shown]
	v_cndmask_b32_e64 v2, 0, 1, vcc
	v_cvt_f64_u32_e32 v[2:3], v2
	v_mov_b32_e32 v4, 0
	v_mov_b32_e32 v5, v4
	flat_store_dwordx4 v[0:1], v[2:5]
                                        ; implicit-def: $vgpr0_vgpr1
.LBB274_2195:
	s_andn2_saveexec_b64 s[16:17], s[16:17]
	s_cbranch_execz .LBB274_2197
; %bb.2196:
	v_cndmask_b32_e64 v2, 0, 1.0, vcc
	v_mov_b32_e32 v3, 0
	flat_store_dwordx2 v[0:1], v[2:3]
.LBB274_2197:
	s_or_b64 exec, exec, s[16:17]
                                        ; implicit-def: $vgpr0_vgpr1
.LBB274_2198:
	s_andn2_saveexec_b64 s[14:15], s[14:15]
	s_cbranch_execz .LBB274_2200
; %bb.2199:
	v_cndmask_b32_e64 v2, 0, 1.0, vcc
	v_cvt_f16_f32_e32 v2, v2
	flat_store_dword v[0:1], v2
.LBB274_2200:
	s_or_b64 exec, exec, s[14:15]
                                        ; implicit-def: $vgpr0_vgpr1
.LBB274_2201:
	s_andn2_saveexec_b64 s[12:13], s[12:13]
	s_cbranch_execz .LBB274_2211
; %bb.2202:
	v_mov_b32_e32 v2, 5
	v_cmp_gt_i16_sdwa s[14:15], v17, v2 src0_sel:BYTE_0 src1_sel:DWORD
	s_and_saveexec_b64 s[16:17], s[14:15]
	s_xor_b64 s[14:15], exec, s[16:17]
	s_cbranch_execz .LBB274_2208
; %bb.2203:
	v_mov_b32_e32 v2, 6
	v_cmp_gt_i16_sdwa s[16:17], v17, v2 src0_sel:BYTE_0 src1_sel:DWORD
	s_and_saveexec_b64 s[18:19], s[16:17]
	s_xor_b64 s[16:17], exec, s[18:19]
	s_cbranch_execz .LBB274_2205
; %bb.2204:
	v_cndmask_b32_e64 v2, 0, 1, vcc
	v_cvt_f64_u32_e32 v[2:3], v2
	flat_store_dwordx2 v[0:1], v[2:3]
                                        ; implicit-def: $vgpr0_vgpr1
.LBB274_2205:
	s_andn2_saveexec_b64 s[16:17], s[16:17]
	s_cbranch_execz .LBB274_2207
; %bb.2206:
	v_cndmask_b32_e64 v2, 0, 1.0, vcc
	flat_store_dword v[0:1], v2
.LBB274_2207:
	s_or_b64 exec, exec, s[16:17]
                                        ; implicit-def: $vgpr0_vgpr1
.LBB274_2208:
	s_andn2_saveexec_b64 s[14:15], s[14:15]
	s_cbranch_execz .LBB274_2210
; %bb.2209:
	v_cndmask_b32_e64 v2, 0, 1.0, vcc
	v_cvt_f16_f32_e32 v2, v2
	flat_store_short v[0:1], v2
.LBB274_2210:
	s_or_b64 exec, exec, s[14:15]
.LBB274_2211:
	s_or_b64 exec, exec, s[12:13]
                                        ; implicit-def: $vgpr0_vgpr1
.LBB274_2212:
	s_andn2_saveexec_b64 s[10:11], s[10:11]
	s_cbranch_execz .LBB274_2230
; %bb.2213:
	v_mov_b32_e32 v2, 1
	v_cmp_gt_i16_sdwa s[12:13], v17, v2 src0_sel:BYTE_0 src1_sel:DWORD
	s_and_saveexec_b64 s[14:15], s[12:13]
	s_xor_b64 s[12:13], exec, s[14:15]
	s_cbranch_execz .LBB274_2223
; %bb.2214:
	v_mov_b32_e32 v2, 2
	v_cmp_gt_i16_sdwa s[14:15], v17, v2 src0_sel:BYTE_0 src1_sel:DWORD
	s_and_saveexec_b64 s[16:17], s[14:15]
	s_xor_b64 s[14:15], exec, s[16:17]
	s_cbranch_execz .LBB274_2220
; %bb.2215:
	v_mov_b32_e32 v2, 3
	v_cmp_gt_i16_sdwa s[16:17], v17, v2 src0_sel:BYTE_0 src1_sel:DWORD
	s_and_saveexec_b64 s[18:19], s[16:17]
	s_xor_b64 s[16:17], exec, s[18:19]
	s_cbranch_execz .LBB274_2217
; %bb.2216:
	s_mov_b32 s18, 0
	v_cndmask_b32_e64 v2, 0, 1, vcc
	v_mov_b32_e32 v3, s18
	flat_store_dwordx2 v[0:1], v[2:3]
                                        ; implicit-def: $vgpr0_vgpr1
.LBB274_2217:
	s_andn2_saveexec_b64 s[16:17], s[16:17]
	s_cbranch_execz .LBB274_2219
; %bb.2218:
	v_cndmask_b32_e64 v2, 0, 1, vcc
	flat_store_dword v[0:1], v2
.LBB274_2219:
	s_or_b64 exec, exec, s[16:17]
                                        ; implicit-def: $vgpr0_vgpr1
.LBB274_2220:
	s_andn2_saveexec_b64 s[14:15], s[14:15]
	s_cbranch_execz .LBB274_2222
; %bb.2221:
	v_cndmask_b32_e64 v2, 0, 1, vcc
	flat_store_short v[0:1], v2
.LBB274_2222:
	s_or_b64 exec, exec, s[14:15]
                                        ; implicit-def: $vgpr0_vgpr1
.LBB274_2223:
	s_andn2_saveexec_b64 s[12:13], s[12:13]
	s_cbranch_execz .LBB274_2229
; %bb.2224:
	v_mov_b32_e32 v2, 0
	v_cmp_gt_i16_sdwa s[14:15], v17, v2 src0_sel:BYTE_0 src1_sel:DWORD
	v_cndmask_b32_e64 v2, 0, 1, vcc
	s_and_saveexec_b64 s[16:17], s[14:15]
	s_xor_b64 s[14:15], exec, s[16:17]
	s_cbranch_execz .LBB274_2226
; %bb.2225:
	flat_store_byte v[0:1], v2
                                        ; implicit-def: $vgpr0_vgpr1
                                        ; implicit-def: $vgpr2
.LBB274_2226:
	s_andn2_saveexec_b64 s[14:15], s[14:15]
	s_cbranch_execz .LBB274_2228
; %bb.2227:
	flat_store_byte v[0:1], v2
.LBB274_2228:
	s_or_b64 exec, exec, s[14:15]
.LBB274_2229:
	s_or_b64 exec, exec, s[12:13]
.LBB274_2230:
	s_or_b64 exec, exec, s[10:11]
	s_or_b64 s[6:7], s[6:7], exec
	s_or_b64 exec, exec, s[8:9]
	s_mov_b64 s[8:9], 0
	s_and_saveexec_b64 s[10:11], s[6:7]
	s_cbranch_execnz .LBB274_172
	s_branch .LBB274_173
.LBB274_2231:
	s_andn2_saveexec_b64 s[14:15], s[14:15]
	s_cbranch_execz .LBB274_704
.LBB274_2232:
	v_cmp_lt_i16_e64 s[4:5], 22, v9
	s_mov_b64 s[20:21], s[16:17]
                                        ; implicit-def: $vgpr6
	s_and_saveexec_b64 s[8:9], s[4:5]
	s_xor_b64 s[8:9], exec, s[8:9]
	s_cbranch_execz .LBB274_2264
; %bb.2233:
	v_cmp_lt_i16_e64 s[4:5], 23, v9
                                        ; implicit-def: $vgpr6
	s_and_saveexec_b64 s[20:21], s[4:5]
	s_xor_b64 s[20:21], exec, s[20:21]
	s_cbranch_execz .LBB274_2253
; %bb.2234:
	v_cmp_lt_i16_e64 s[4:5], 24, v9
                                        ; implicit-def: $vgpr6
	s_and_saveexec_b64 s[22:23], s[4:5]
	s_xor_b64 s[22:23], exec, s[22:23]
	s_cbranch_execz .LBB274_2250
; %bb.2235:
	flat_load_ubyte v19, v[0:1]
	s_movk_i32 s4, 0x7f
	s_mov_b64 s[24:25], 0
	s_waitcnt vmcnt(0) lgkmcnt(0)
	v_cmp_lt_i16_e64 s[4:5], s4, v19
	s_and_saveexec_b64 s[26:27], s[4:5]
	s_xor_b64 s[26:27], exec, s[26:27]
	s_cbranch_execz .LBB274_2538
; %bb.2236:
	s_movk_i32 s4, 0x80
	v_cmp_eq_u16_e64 s[4:5], s4, v19
	s_mov_b64 s[24:25], -1
	s_and_saveexec_b64 s[28:29], s[4:5]
; %bb.2237:
	s_xor_b64 s[24:25], exec, -1
; %bb.2238:
	s_or_b64 exec, exec, s[28:29]
	s_and_b64 s[24:25], s[24:25], exec
	s_or_saveexec_b64 s[26:27], s[26:27]
	v_mov_b32_e32 v6, 0x7f800001
	s_xor_b64 exec, exec, s[26:27]
	s_cbranch_execnz .LBB274_2539
.LBB274_2239:
	s_or_b64 exec, exec, s[26:27]
	s_and_saveexec_b64 s[26:27], s[24:25]
	s_cbranch_execz .LBB274_2241
.LBB274_2240:
	v_lshlrev_b32_e32 v6, 24, v19
	v_and_b32_e32 v19, 0xffff, v19
	v_and_b32_e32 v20, 3, v19
	v_ffbh_u32_e32 v22, v20
	v_min_u32_e32 v22, 32, v22
	v_subrev_u32_e32 v23, 29, v22
	v_bfe_u32 v21, v19, 2, 5
	v_lshlrev_b32_e32 v19, v23, v19
	v_sub_u32_e32 v22, 30, v22
	v_and_b32_e32 v19, 3, v19
	v_cmp_eq_u32_e64 s[4:5], 0, v21
	v_cndmask_b32_e64 v21, v21, v22, s[4:5]
	v_cndmask_b32_e64 v19, v20, v19, s[4:5]
	v_mov_b32_e32 v20, 0x37800000
	v_lshlrev_b32_e32 v19, 21, v19
	v_and_b32_e32 v6, 0x80000000, v6
	v_lshl_add_u32 v20, v21, 23, v20
	v_or3_b32 v6, v6, v20, v19
.LBB274_2241:
	s_or_b64 exec, exec, s[26:27]
	v_and_b32_e32 v20, 0x7fffffff, v6
	s_mov_b32 s4, 0x43f00000
	v_cmp_gt_u32_e64 s[4:5], s4, v20
                                        ; implicit-def: $vgpr19
	s_and_saveexec_b64 s[24:25], s[4:5]
	s_xor_b64 s[24:25], exec, s[24:25]
	s_cbranch_execz .LBB274_2247
; %bb.2242:
	s_mov_b32 s4, 0x3c7fffff
	v_cmp_lt_u32_e64 s[4:5], s4, v20
                                        ; implicit-def: $vgpr19
	s_and_saveexec_b64 s[26:27], s[4:5]
	s_xor_b64 s[26:27], exec, s[26:27]
; %bb.2243:
	v_bfe_u32 v19, v6, 20, 1
	s_mov_b32 s4, 0x407ffff
	v_add3_u32 v19, v6, v19, s4
	v_lshrrev_b32_e32 v20, 20, v19
	v_and_b32_e32 v19, 0xff00000, v19
	s_mov_b32 s4, 0x7f00000
	v_mov_b32_e32 v21, 0x7e
	v_cmp_ne_u32_e64 s[4:5], s4, v19
	v_cndmask_b32_e64 v19, v21, v20, s[4:5]
; %bb.2244:
	s_andn2_saveexec_b64 s[4:5], s[26:27]
; %bb.2245:
	s_mov_b32 s26, 0x46800000
	v_add_f32_e64 v19, |v6|, s26
; %bb.2246:
	s_or_b64 exec, exec, s[4:5]
                                        ; implicit-def: $vgpr20
.LBB274_2247:
	s_andn2_saveexec_b64 s[24:25], s[24:25]
; %bb.2248:
	s_mov_b32 s4, 0x7f800000
	v_mov_b32_e32 v19, 0x7e
	v_mov_b32_e32 v21, 0x7f
	v_cmp_lt_u32_e64 s[4:5], s4, v20
	v_cndmask_b32_e64 v19, v19, v21, s[4:5]
; %bb.2249:
	s_or_b64 exec, exec, s[24:25]
	v_lshrrev_b32_e32 v6, 24, v6
	s_movk_i32 s4, 0x80
	v_and_or_b32 v6, v6, s4, v19
.LBB274_2250:
	s_andn2_saveexec_b64 s[4:5], s[22:23]
	s_cbranch_execz .LBB274_2252
; %bb.2251:
	flat_load_ubyte v6, v[0:1]
.LBB274_2252:
	s_or_b64 exec, exec, s[4:5]
.LBB274_2253:
	s_andn2_saveexec_b64 s[20:21], s[20:21]
	s_cbranch_execz .LBB274_2263
; %bb.2254:
	s_waitcnt vmcnt(0) lgkmcnt(0)
	flat_load_ubyte v6, v[0:1]
	s_movk_i32 s4, 0x7f00
	s_brev_b32 s5, 16
	s_brev_b32 s22, 1
	s_waitcnt vmcnt(0) lgkmcnt(0)
	v_lshlrev_b16_e32 v19, 8, v6
	v_lshlrev_b32_e32 v6, 25, v6
	v_lshrrev_b32_e32 v20, 4, v6
	v_and_or_b32 v21, v19, s4, 0.5
	v_or_b32_e32 v20, 0x70000000, v20
	v_add_f32_e32 v21, -0.5, v21
	v_mul_f32_e32 v20, 0x7800000, v20
	v_cmp_gt_u32_e64 s[4:5], s5, v6
	v_bfe_i32 v19, v19, 0, 16
	v_cndmask_b32_e64 v21, v20, v21, s[4:5]
	v_and_or_b32 v6, v19, s22, v21
	v_and_b32_e32 v20, 0x7fffffff, v6
	s_mov_b32 s4, 0x43f00000
	v_cmp_gt_u32_e64 s[4:5], s4, v20
                                        ; implicit-def: $vgpr19
	s_and_saveexec_b64 s[22:23], s[4:5]
	s_xor_b64 s[22:23], exec, s[22:23]
	s_cbranch_execz .LBB274_2260
; %bb.2255:
	s_mov_b32 s4, 0x3c7fffff
	v_cmp_lt_u32_e64 s[4:5], s4, v20
                                        ; implicit-def: $vgpr19
	s_and_saveexec_b64 s[24:25], s[4:5]
	s_xor_b64 s[24:25], exec, s[24:25]
; %bb.2256:
	v_bfe_u32 v19, v21, 20, 1
	s_mov_b32 s4, 0x407ffff
	v_add3_u32 v19, v6, v19, s4
	v_lshrrev_b32_e32 v20, 20, v19
	v_and_b32_e32 v19, 0xff00000, v19
	s_mov_b32 s4, 0x7f00000
	v_mov_b32_e32 v21, 0x7e
	v_cmp_ne_u32_e64 s[4:5], s4, v19
	v_cndmask_b32_e64 v19, v21, v20, s[4:5]
; %bb.2257:
	s_andn2_saveexec_b64 s[4:5], s[24:25]
; %bb.2258:
	s_mov_b32 s24, 0x46800000
	v_add_f32_e64 v19, |v6|, s24
; %bb.2259:
	s_or_b64 exec, exec, s[4:5]
                                        ; implicit-def: $vgpr20
.LBB274_2260:
	s_andn2_saveexec_b64 s[22:23], s[22:23]
; %bb.2261:
	s_mov_b32 s4, 0x7f800000
	v_mov_b32_e32 v19, 0x7e
	v_mov_b32_e32 v21, 0x7f
	v_cmp_lt_u32_e64 s[4:5], s4, v20
	v_cndmask_b32_e64 v19, v19, v21, s[4:5]
; %bb.2262:
	s_or_b64 exec, exec, s[22:23]
	v_lshrrev_b32_e32 v6, 24, v6
	s_movk_i32 s4, 0x80
	v_and_or_b32 v6, v6, s4, v19
.LBB274_2263:
	s_or_b64 exec, exec, s[20:21]
	s_or_b64 s[20:21], s[16:17], exec
.LBB274_2264:
	s_or_saveexec_b64 s[8:9], s[8:9]
	s_mov_b64 s[4:5], 0
	s_mov_b64 s[22:23], s[18:19]
	s_xor_b64 exec, exec, s[8:9]
	s_cbranch_execz .LBB274_2280
; %bb.2265:
	v_cmp_lt_i16_e64 s[4:5], 14, v9
	s_mov_b64 s[24:25], s[18:19]
	s_mov_b64 s[26:27], s[20:21]
                                        ; implicit-def: $vgpr6
	s_and_saveexec_b64 s[22:23], s[4:5]
	s_xor_b64 s[22:23], exec, s[22:23]
	s_cbranch_execz .LBB274_2277
; %bb.2266:
	v_cmp_eq_u16_e64 s[4:5], 15, v9
	s_mov_b64 s[28:29], -1
	s_mov_b64 s[26:27], s[20:21]
                                        ; implicit-def: $vgpr6
	s_and_saveexec_b64 s[24:25], s[4:5]
	s_cbranch_execz .LBB274_2276
; %bb.2267:
	s_waitcnt vmcnt(0) lgkmcnt(0)
	flat_load_ushort v6, v[0:1]
	s_mov_b32 s4, 0x43f00000
                                        ; implicit-def: $vgpr19
	s_waitcnt vmcnt(0) lgkmcnt(0)
	v_lshlrev_b32_e32 v20, 16, v6
	v_and_b32_e32 v21, 0x7fffffff, v20
	v_cmp_gt_u32_e64 s[4:5], s4, v21
	s_and_saveexec_b64 s[26:27], s[4:5]
	s_xor_b64 s[26:27], exec, s[26:27]
	s_cbranch_execz .LBB274_2273
; %bb.2268:
	s_mov_b32 s4, 0x3c7fffff
	v_cmp_lt_u32_e64 s[4:5], s4, v21
                                        ; implicit-def: $vgpr19
	s_and_saveexec_b64 s[28:29], s[4:5]
	s_xor_b64 s[28:29], exec, s[28:29]
; %bb.2269:
	v_bfe_u32 v19, v6, 4, 1
	s_mov_b32 s4, 0x407ffff
	v_add3_u32 v19, v20, v19, s4
	v_lshrrev_b32_e32 v20, 20, v19
	v_and_b32_e32 v19, 0xff00000, v19
	s_mov_b32 s4, 0x7f00000
	v_mov_b32_e32 v21, 0x7e
	v_cmp_ne_u32_e64 s[4:5], s4, v19
	v_cndmask_b32_e64 v19, v21, v20, s[4:5]
                                        ; implicit-def: $vgpr20
; %bb.2270:
	s_andn2_saveexec_b64 s[4:5], s[28:29]
; %bb.2271:
	s_mov_b32 s28, 0x46800000
	v_add_f32_e64 v19, |v20|, s28
; %bb.2272:
	s_or_b64 exec, exec, s[4:5]
                                        ; implicit-def: $vgpr21
.LBB274_2273:
	s_andn2_saveexec_b64 s[26:27], s[26:27]
; %bb.2274:
	s_mov_b32 s4, 0x7f800000
	v_mov_b32_e32 v19, 0x7e
	v_mov_b32_e32 v20, 0x7f
	v_cmp_lt_u32_e64 s[4:5], s4, v21
	v_cndmask_b32_e64 v19, v19, v20, s[4:5]
; %bb.2275:
	s_or_b64 exec, exec, s[26:27]
	v_lshrrev_b32_e32 v6, 8, v6
	s_movk_i32 s4, 0x80
	v_and_or_b32 v6, v6, s4, v19
	s_or_b64 s[26:27], s[20:21], exec
	s_xor_b64 s[28:29], exec, -1
.LBB274_2276:
	s_or_b64 exec, exec, s[24:25]
	s_andn2_b64 s[4:5], s[20:21], exec
	s_and_b64 s[24:25], s[26:27], exec
	s_or_b64 s[26:27], s[4:5], s[24:25]
	s_andn2_b64 s[4:5], s[18:19], exec
	s_and_b64 s[24:25], s[28:29], exec
	s_or_b64 s[24:25], s[4:5], s[24:25]
.LBB274_2277:
	s_or_saveexec_b64 s[22:23], s[22:23]
	s_mov_b64 s[28:29], 0
	s_xor_b64 exec, exec, s[22:23]
; %bb.2278:
	v_cmp_ne_u16_e64 s[4:5], 11, v9
	s_andn2_b64 s[24:25], s[24:25], exec
	s_and_b64 s[4:5], s[4:5], exec
	s_mov_b64 s[28:29], exec
	s_or_b64 s[24:25], s[24:25], s[4:5]
; %bb.2279:
	s_or_b64 exec, exec, s[22:23]
	s_andn2_b64 s[4:5], s[20:21], exec
	s_and_b64 s[20:21], s[26:27], exec
	s_andn2_b64 s[22:23], s[18:19], exec
	s_and_b64 s[24:25], s[24:25], exec
	s_or_b64 s[20:21], s[4:5], s[20:21]
	s_and_b64 s[4:5], s[28:29], exec
	s_or_b64 s[22:23], s[22:23], s[24:25]
.LBB274_2280:
	s_or_b64 exec, exec, s[8:9]
	s_andn2_b64 s[8:9], s[16:17], exec
	s_and_b64 s[16:17], s[20:21], exec
	s_or_b64 s[16:17], s[8:9], s[16:17]
	s_and_b64 s[8:9], s[4:5], exec
	s_andn2_b64 s[4:5], s[18:19], exec
	s_and_b64 s[18:19], s[22:23], exec
	s_or_b64 s[18:19], s[4:5], s[18:19]
	s_or_b64 exec, exec, s[14:15]
	s_mov_b64 s[14:15], s[10:11]
	s_and_saveexec_b64 s[4:5], s[18:19]
	s_cbranch_execz .LBB274_705
.LBB274_2281:
	s_trap 2
	s_or_b64 s[14:15], s[10:11], exec
	s_andn2_b64 s[8:9], s[8:9], exec
	s_or_b64 exec, exec, s[4:5]
	s_and_saveexec_b64 s[18:19], s[8:9]
	s_cbranch_execnz .LBB274_706
	s_branch .LBB274_715
.LBB274_2282:
	s_andn2_saveexec_b64 s[8:9], s[8:9]
	s_cbranch_execz .LBB274_258
.LBB274_2283:
	v_mov_b32_e32 v2, 4
	v_cmp_gt_i16_sdwa s[10:11], v17, v2 src0_sel:BYTE_0 src1_sel:DWORD
	s_and_saveexec_b64 s[12:13], s[10:11]
	s_xor_b64 s[10:11], exec, s[12:13]
	s_cbranch_execz .LBB274_2305
; %bb.2284:
	v_mov_b32_e32 v2, 7
	v_cmp_gt_i16_sdwa s[12:13], v17, v2 src0_sel:BYTE_0 src1_sel:DWORD
	s_and_saveexec_b64 s[14:15], s[12:13]
	s_xor_b64 s[12:13], exec, s[14:15]
	s_cbranch_execz .LBB274_2294
; %bb.2285:
	;; [unrolled: 6-line block ×4, first 2 shown]
	v_cndmask_b32_e64 v2, 0, 1, vcc
	v_cvt_f64_u32_e32 v[2:3], v2
	v_mov_b32_e32 v4, 0
	v_mov_b32_e32 v5, v4
	flat_store_dwordx4 v[0:1], v[2:5]
                                        ; implicit-def: $vgpr0_vgpr1
.LBB274_2288:
	s_andn2_saveexec_b64 s[16:17], s[16:17]
	s_cbranch_execz .LBB274_2290
; %bb.2289:
	v_cndmask_b32_e64 v2, 0, 1.0, vcc
	v_mov_b32_e32 v3, 0
	flat_store_dwordx2 v[0:1], v[2:3]
.LBB274_2290:
	s_or_b64 exec, exec, s[16:17]
                                        ; implicit-def: $vgpr0_vgpr1
.LBB274_2291:
	s_andn2_saveexec_b64 s[14:15], s[14:15]
	s_cbranch_execz .LBB274_2293
; %bb.2292:
	v_cndmask_b32_e64 v2, 0, 1.0, vcc
	v_cvt_f16_f32_e32 v2, v2
	flat_store_dword v[0:1], v2
.LBB274_2293:
	s_or_b64 exec, exec, s[14:15]
                                        ; implicit-def: $vgpr0_vgpr1
.LBB274_2294:
	s_andn2_saveexec_b64 s[12:13], s[12:13]
	s_cbranch_execz .LBB274_2304
; %bb.2295:
	v_mov_b32_e32 v2, 5
	v_cmp_gt_i16_sdwa s[14:15], v17, v2 src0_sel:BYTE_0 src1_sel:DWORD
	s_and_saveexec_b64 s[16:17], s[14:15]
	s_xor_b64 s[14:15], exec, s[16:17]
	s_cbranch_execz .LBB274_2301
; %bb.2296:
	v_mov_b32_e32 v2, 6
	v_cmp_gt_i16_sdwa s[16:17], v17, v2 src0_sel:BYTE_0 src1_sel:DWORD
	s_and_saveexec_b64 s[18:19], s[16:17]
	s_xor_b64 s[16:17], exec, s[18:19]
	s_cbranch_execz .LBB274_2298
; %bb.2297:
	v_cndmask_b32_e64 v2, 0, 1, vcc
	v_cvt_f64_u32_e32 v[2:3], v2
	flat_store_dwordx2 v[0:1], v[2:3]
                                        ; implicit-def: $vgpr0_vgpr1
.LBB274_2298:
	s_andn2_saveexec_b64 s[16:17], s[16:17]
	s_cbranch_execz .LBB274_2300
; %bb.2299:
	v_cndmask_b32_e64 v2, 0, 1.0, vcc
	flat_store_dword v[0:1], v2
.LBB274_2300:
	s_or_b64 exec, exec, s[16:17]
                                        ; implicit-def: $vgpr0_vgpr1
.LBB274_2301:
	s_andn2_saveexec_b64 s[14:15], s[14:15]
	s_cbranch_execz .LBB274_2303
; %bb.2302:
	v_cndmask_b32_e64 v2, 0, 1.0, vcc
	v_cvt_f16_f32_e32 v2, v2
	flat_store_short v[0:1], v2
.LBB274_2303:
	s_or_b64 exec, exec, s[14:15]
.LBB274_2304:
	s_or_b64 exec, exec, s[12:13]
                                        ; implicit-def: $vgpr0_vgpr1
.LBB274_2305:
	s_andn2_saveexec_b64 s[10:11], s[10:11]
	s_cbranch_execz .LBB274_2323
; %bb.2306:
	v_mov_b32_e32 v2, 1
	v_cmp_gt_i16_sdwa s[12:13], v17, v2 src0_sel:BYTE_0 src1_sel:DWORD
	s_and_saveexec_b64 s[14:15], s[12:13]
	s_xor_b64 s[12:13], exec, s[14:15]
	s_cbranch_execz .LBB274_2316
; %bb.2307:
	v_mov_b32_e32 v2, 2
	v_cmp_gt_i16_sdwa s[14:15], v17, v2 src0_sel:BYTE_0 src1_sel:DWORD
	s_and_saveexec_b64 s[16:17], s[14:15]
	s_xor_b64 s[14:15], exec, s[16:17]
	;; [unrolled: 6-line block ×3, first 2 shown]
	s_cbranch_execz .LBB274_2310
; %bb.2309:
	s_mov_b32 s18, 0
	v_cndmask_b32_e64 v2, 0, 1, vcc
	v_mov_b32_e32 v3, s18
	flat_store_dwordx2 v[0:1], v[2:3]
                                        ; implicit-def: $vgpr0_vgpr1
.LBB274_2310:
	s_andn2_saveexec_b64 s[16:17], s[16:17]
	s_cbranch_execz .LBB274_2312
; %bb.2311:
	v_cndmask_b32_e64 v2, 0, 1, vcc
	flat_store_dword v[0:1], v2
.LBB274_2312:
	s_or_b64 exec, exec, s[16:17]
                                        ; implicit-def: $vgpr0_vgpr1
.LBB274_2313:
	s_andn2_saveexec_b64 s[14:15], s[14:15]
	s_cbranch_execz .LBB274_2315
; %bb.2314:
	v_cndmask_b32_e64 v2, 0, 1, vcc
	flat_store_short v[0:1], v2
.LBB274_2315:
	s_or_b64 exec, exec, s[14:15]
                                        ; implicit-def: $vgpr0_vgpr1
.LBB274_2316:
	s_andn2_saveexec_b64 s[12:13], s[12:13]
	s_cbranch_execz .LBB274_2322
; %bb.2317:
	v_mov_b32_e32 v2, 0
	v_cmp_gt_i16_sdwa s[14:15], v17, v2 src0_sel:BYTE_0 src1_sel:DWORD
	v_cndmask_b32_e64 v2, 0, 1, vcc
	s_and_saveexec_b64 s[16:17], s[14:15]
	s_xor_b64 s[14:15], exec, s[16:17]
	s_cbranch_execz .LBB274_2319
; %bb.2318:
	flat_store_byte v[0:1], v2
                                        ; implicit-def: $vgpr0_vgpr1
                                        ; implicit-def: $vgpr2
.LBB274_2319:
	s_andn2_saveexec_b64 s[14:15], s[14:15]
	s_cbranch_execz .LBB274_2321
; %bb.2320:
	flat_store_byte v[0:1], v2
.LBB274_2321:
	s_or_b64 exec, exec, s[14:15]
.LBB274_2322:
	s_or_b64 exec, exec, s[12:13]
.LBB274_2323:
	s_or_b64 exec, exec, s[10:11]
	s_or_b64 s[6:7], s[6:7], exec
	s_or_b64 exec, exec, s[8:9]
	s_mov_b64 s[8:9], 0
	s_and_saveexec_b64 s[10:11], s[6:7]
	s_cbranch_execnz .LBB274_259
	s_branch .LBB274_260
.LBB274_2324:
	s_andn2_saveexec_b64 s[18:19], s[18:19]
	s_cbranch_execz .LBB274_930
.LBB274_2325:
	v_cmp_lt_i16_e64 s[4:5], 22, v10
	s_mov_b64 s[24:25], s[20:21]
                                        ; implicit-def: $vgpr8
	s_and_saveexec_b64 s[8:9], s[4:5]
	s_xor_b64 s[8:9], exec, s[8:9]
	s_cbranch_execz .LBB274_2357
; %bb.2326:
	v_cmp_lt_i16_e64 s[4:5], 23, v10
                                        ; implicit-def: $vgpr8
	s_and_saveexec_b64 s[24:25], s[4:5]
	s_xor_b64 s[24:25], exec, s[24:25]
	s_cbranch_execz .LBB274_2346
; %bb.2327:
	v_cmp_lt_i16_e64 s[4:5], 24, v10
                                        ; implicit-def: $vgpr8
	s_and_saveexec_b64 s[26:27], s[4:5]
	s_xor_b64 s[26:27], exec, s[26:27]
	s_cbranch_execz .LBB274_2343
; %bb.2328:
	flat_load_ubyte v15, v[0:1]
	s_movk_i32 s4, 0x7f
	s_mov_b64 s[28:29], 0
	s_waitcnt vmcnt(0) lgkmcnt(0)
	v_cmp_lt_i16_e64 s[4:5], s4, v15
	s_and_saveexec_b64 s[30:31], s[4:5]
	s_xor_b64 s[30:31], exec, s[30:31]
	s_cbranch_execz .LBB274_2589
; %bb.2329:
	s_movk_i32 s4, 0x80
	v_cmp_eq_u16_e64 s[4:5], s4, v15
	s_mov_b64 s[28:29], -1
	s_and_saveexec_b64 s[38:39], s[4:5]
; %bb.2330:
	s_xor_b64 s[28:29], exec, -1
; %bb.2331:
	s_or_b64 exec, exec, s[38:39]
	s_and_b64 s[28:29], s[28:29], exec
	s_or_saveexec_b64 s[30:31], s[30:31]
	v_mov_b32_e32 v8, 0x7f800001
	s_xor_b64 exec, exec, s[30:31]
	s_cbranch_execnz .LBB274_2590
.LBB274_2332:
	s_or_b64 exec, exec, s[30:31]
	s_and_saveexec_b64 s[30:31], s[28:29]
	s_cbranch_execz .LBB274_2334
.LBB274_2333:
	v_lshlrev_b32_e32 v8, 24, v15
	v_and_b32_e32 v15, 0xffff, v15
	v_and_b32_e32 v21, 3, v15
	v_ffbh_u32_e32 v23, v21
	v_min_u32_e32 v23, 32, v23
	v_subrev_u32_e32 v24, 29, v23
	v_bfe_u32 v22, v15, 2, 5
	v_lshlrev_b32_e32 v15, v24, v15
	v_sub_u32_e32 v23, 30, v23
	v_and_b32_e32 v15, 3, v15
	v_cmp_eq_u32_e64 s[4:5], 0, v22
	v_cndmask_b32_e64 v22, v22, v23, s[4:5]
	v_cndmask_b32_e64 v15, v21, v15, s[4:5]
	v_mov_b32_e32 v21, 0x37800000
	v_lshlrev_b32_e32 v15, 21, v15
	v_and_b32_e32 v8, 0x80000000, v8
	v_lshl_add_u32 v21, v22, 23, v21
	v_or3_b32 v8, v8, v21, v15
.LBB274_2334:
	s_or_b64 exec, exec, s[30:31]
	v_and_b32_e32 v21, 0x7fffffff, v8
	s_mov_b32 s4, 0x43f00000
	v_cmp_gt_u32_e64 s[4:5], s4, v21
                                        ; implicit-def: $vgpr15
	s_and_saveexec_b64 s[28:29], s[4:5]
	s_xor_b64 s[28:29], exec, s[28:29]
	s_cbranch_execz .LBB274_2340
; %bb.2335:
	s_mov_b32 s4, 0x3c7fffff
	v_cmp_lt_u32_e64 s[4:5], s4, v21
                                        ; implicit-def: $vgpr15
	s_and_saveexec_b64 s[30:31], s[4:5]
	s_xor_b64 s[30:31], exec, s[30:31]
; %bb.2336:
	v_bfe_u32 v15, v8, 20, 1
	s_mov_b32 s4, 0x407ffff
	v_add3_u32 v15, v8, v15, s4
	v_lshrrev_b32_e32 v21, 20, v15
	v_and_b32_e32 v15, 0xff00000, v15
	s_mov_b32 s4, 0x7f00000
	v_mov_b32_e32 v22, 0x7e
	v_cmp_ne_u32_e64 s[4:5], s4, v15
	v_cndmask_b32_e64 v15, v22, v21, s[4:5]
; %bb.2337:
	s_andn2_saveexec_b64 s[4:5], s[30:31]
; %bb.2338:
	s_mov_b32 s30, 0x46800000
	v_add_f32_e64 v15, |v8|, s30
; %bb.2339:
	s_or_b64 exec, exec, s[4:5]
                                        ; implicit-def: $vgpr21
.LBB274_2340:
	s_andn2_saveexec_b64 s[28:29], s[28:29]
; %bb.2341:
	s_mov_b32 s4, 0x7f800000
	v_mov_b32_e32 v15, 0x7e
	v_mov_b32_e32 v22, 0x7f
	v_cmp_lt_u32_e64 s[4:5], s4, v21
	v_cndmask_b32_e64 v15, v15, v22, s[4:5]
; %bb.2342:
	s_or_b64 exec, exec, s[28:29]
	v_lshrrev_b32_e32 v8, 24, v8
	s_movk_i32 s4, 0x80
	v_and_or_b32 v8, v8, s4, v15
.LBB274_2343:
	s_andn2_saveexec_b64 s[4:5], s[26:27]
	s_cbranch_execz .LBB274_2345
; %bb.2344:
	flat_load_ubyte v8, v[0:1]
.LBB274_2345:
	s_or_b64 exec, exec, s[4:5]
.LBB274_2346:
	s_andn2_saveexec_b64 s[24:25], s[24:25]
	s_cbranch_execz .LBB274_2356
; %bb.2347:
	s_waitcnt vmcnt(0) lgkmcnt(0)
	flat_load_ubyte v8, v[0:1]
	s_movk_i32 s4, 0x7f00
	s_brev_b32 s5, 16
	s_brev_b32 s26, 1
	s_waitcnt vmcnt(0) lgkmcnt(0)
	v_lshlrev_b16_e32 v15, 8, v8
	v_lshlrev_b32_e32 v8, 25, v8
	v_lshrrev_b32_e32 v21, 4, v8
	v_and_or_b32 v22, v15, s4, 0.5
	v_or_b32_e32 v21, 0x70000000, v21
	v_add_f32_e32 v22, -0.5, v22
	v_mul_f32_e32 v21, 0x7800000, v21
	v_cmp_gt_u32_e64 s[4:5], s5, v8
	v_bfe_i32 v15, v15, 0, 16
	v_cndmask_b32_e64 v22, v21, v22, s[4:5]
	v_and_or_b32 v8, v15, s26, v22
	v_and_b32_e32 v21, 0x7fffffff, v8
	s_mov_b32 s4, 0x43f00000
	v_cmp_gt_u32_e64 s[4:5], s4, v21
                                        ; implicit-def: $vgpr15
	s_and_saveexec_b64 s[26:27], s[4:5]
	s_xor_b64 s[26:27], exec, s[26:27]
	s_cbranch_execz .LBB274_2353
; %bb.2348:
	s_mov_b32 s4, 0x3c7fffff
	v_cmp_lt_u32_e64 s[4:5], s4, v21
                                        ; implicit-def: $vgpr15
	s_and_saveexec_b64 s[28:29], s[4:5]
	s_xor_b64 s[28:29], exec, s[28:29]
; %bb.2349:
	v_bfe_u32 v15, v22, 20, 1
	s_mov_b32 s4, 0x407ffff
	v_add3_u32 v15, v8, v15, s4
	v_lshrrev_b32_e32 v21, 20, v15
	v_and_b32_e32 v15, 0xff00000, v15
	s_mov_b32 s4, 0x7f00000
	v_mov_b32_e32 v22, 0x7e
	v_cmp_ne_u32_e64 s[4:5], s4, v15
	v_cndmask_b32_e64 v15, v22, v21, s[4:5]
; %bb.2350:
	s_andn2_saveexec_b64 s[4:5], s[28:29]
; %bb.2351:
	s_mov_b32 s28, 0x46800000
	v_add_f32_e64 v15, |v8|, s28
; %bb.2352:
	s_or_b64 exec, exec, s[4:5]
                                        ; implicit-def: $vgpr21
.LBB274_2353:
	s_andn2_saveexec_b64 s[26:27], s[26:27]
; %bb.2354:
	s_mov_b32 s4, 0x7f800000
	v_mov_b32_e32 v15, 0x7e
	v_mov_b32_e32 v22, 0x7f
	v_cmp_lt_u32_e64 s[4:5], s4, v21
	v_cndmask_b32_e64 v15, v15, v22, s[4:5]
; %bb.2355:
	s_or_b64 exec, exec, s[26:27]
	v_lshrrev_b32_e32 v8, 24, v8
	s_movk_i32 s4, 0x80
	v_and_or_b32 v8, v8, s4, v15
.LBB274_2356:
	s_or_b64 exec, exec, s[24:25]
	s_or_b64 s[24:25], s[20:21], exec
.LBB274_2357:
	s_or_saveexec_b64 s[8:9], s[8:9]
	s_mov_b64 s[4:5], 0
	s_mov_b64 s[26:27], s[22:23]
	s_xor_b64 exec, exec, s[8:9]
	s_cbranch_execz .LBB274_2373
; %bb.2358:
	v_cmp_lt_i16_e64 s[4:5], 14, v10
	s_mov_b64 s[28:29], s[22:23]
	s_mov_b64 s[30:31], s[24:25]
                                        ; implicit-def: $vgpr8
	s_and_saveexec_b64 s[26:27], s[4:5]
	s_xor_b64 s[26:27], exec, s[26:27]
	s_cbranch_execz .LBB274_2370
; %bb.2359:
	v_cmp_eq_u16_e64 s[4:5], 15, v10
	s_mov_b64 s[38:39], -1
	s_mov_b64 s[30:31], s[24:25]
                                        ; implicit-def: $vgpr8
	s_and_saveexec_b64 s[28:29], s[4:5]
	s_cbranch_execz .LBB274_2369
; %bb.2360:
	s_waitcnt vmcnt(0) lgkmcnt(0)
	flat_load_ushort v8, v[0:1]
	s_mov_b32 s4, 0x43f00000
                                        ; implicit-def: $vgpr15
	s_waitcnt vmcnt(0) lgkmcnt(0)
	v_lshlrev_b32_e32 v21, 16, v8
	v_and_b32_e32 v22, 0x7fffffff, v21
	v_cmp_gt_u32_e64 s[4:5], s4, v22
	s_and_saveexec_b64 s[30:31], s[4:5]
	s_xor_b64 s[30:31], exec, s[30:31]
	s_cbranch_execz .LBB274_2366
; %bb.2361:
	s_mov_b32 s4, 0x3c7fffff
	v_cmp_lt_u32_e64 s[4:5], s4, v22
                                        ; implicit-def: $vgpr15
	s_and_saveexec_b64 s[38:39], s[4:5]
	s_xor_b64 s[38:39], exec, s[38:39]
; %bb.2362:
	v_bfe_u32 v15, v8, 4, 1
	s_mov_b32 s4, 0x407ffff
	v_add3_u32 v15, v21, v15, s4
	v_lshrrev_b32_e32 v21, 20, v15
	v_and_b32_e32 v15, 0xff00000, v15
	s_mov_b32 s4, 0x7f00000
	v_mov_b32_e32 v22, 0x7e
	v_cmp_ne_u32_e64 s[4:5], s4, v15
	v_cndmask_b32_e64 v15, v22, v21, s[4:5]
                                        ; implicit-def: $vgpr21
; %bb.2363:
	s_andn2_saveexec_b64 s[4:5], s[38:39]
; %bb.2364:
	s_mov_b32 s33, 0x46800000
	v_add_f32_e64 v15, |v21|, s33
; %bb.2365:
	s_or_b64 exec, exec, s[4:5]
                                        ; implicit-def: $vgpr22
.LBB274_2366:
	s_andn2_saveexec_b64 s[30:31], s[30:31]
; %bb.2367:
	s_mov_b32 s4, 0x7f800000
	v_mov_b32_e32 v15, 0x7e
	v_mov_b32_e32 v21, 0x7f
	v_cmp_lt_u32_e64 s[4:5], s4, v22
	v_cndmask_b32_e64 v15, v15, v21, s[4:5]
; %bb.2368:
	s_or_b64 exec, exec, s[30:31]
	v_lshrrev_b32_e32 v8, 8, v8
	s_movk_i32 s4, 0x80
	v_and_or_b32 v8, v8, s4, v15
	s_or_b64 s[30:31], s[24:25], exec
	s_xor_b64 s[38:39], exec, -1
.LBB274_2369:
	s_or_b64 exec, exec, s[28:29]
	s_andn2_b64 s[4:5], s[24:25], exec
	s_and_b64 s[28:29], s[30:31], exec
	s_or_b64 s[30:31], s[4:5], s[28:29]
	s_andn2_b64 s[4:5], s[22:23], exec
	s_and_b64 s[28:29], s[38:39], exec
	s_or_b64 s[28:29], s[4:5], s[28:29]
.LBB274_2370:
	s_or_saveexec_b64 s[26:27], s[26:27]
	s_mov_b64 s[38:39], 0
	s_xor_b64 exec, exec, s[26:27]
; %bb.2371:
	v_cmp_ne_u16_e64 s[4:5], 11, v10
	s_andn2_b64 s[28:29], s[28:29], exec
	s_and_b64 s[4:5], s[4:5], exec
	s_mov_b64 s[38:39], exec
	s_or_b64 s[28:29], s[28:29], s[4:5]
; %bb.2372:
	s_or_b64 exec, exec, s[26:27]
	s_andn2_b64 s[4:5], s[24:25], exec
	s_and_b64 s[24:25], s[30:31], exec
	s_andn2_b64 s[26:27], s[22:23], exec
	s_and_b64 s[28:29], s[28:29], exec
	s_or_b64 s[24:25], s[4:5], s[24:25]
	s_and_b64 s[4:5], s[38:39], exec
	s_or_b64 s[26:27], s[26:27], s[28:29]
.LBB274_2373:
	s_or_b64 exec, exec, s[8:9]
	s_andn2_b64 s[8:9], s[20:21], exec
	s_and_b64 s[20:21], s[24:25], exec
	s_or_b64 s[20:21], s[8:9], s[20:21]
	s_and_b64 s[8:9], s[4:5], exec
	s_andn2_b64 s[4:5], s[22:23], exec
	s_and_b64 s[22:23], s[26:27], exec
	s_or_b64 s[22:23], s[4:5], s[22:23]
	s_or_b64 exec, exec, s[18:19]
	s_mov_b64 s[18:19], s[14:15]
	s_and_saveexec_b64 s[4:5], s[22:23]
	s_cbranch_execz .LBB274_931
.LBB274_2374:
	s_trap 2
	s_or_b64 s[18:19], s[14:15], exec
	s_andn2_b64 s[8:9], s[8:9], exec
	s_or_b64 exec, exec, s[4:5]
	s_and_saveexec_b64 s[22:23], s[8:9]
	s_cbranch_execnz .LBB274_932
	s_branch .LBB274_941
.LBB274_2375:
	s_or_saveexec_b64 s[22:23], s[22:23]
	v_mov_b32_e32 v5, 0x7f800001
	s_xor_b64 exec, exec, s[22:23]
	s_cbranch_execz .LBB274_465
.LBB274_2376:
	v_cmp_ne_u16_e64 s[4:5], 0, v9
	s_andn2_b64 s[20:21], s[20:21], exec
	s_and_b64 s[4:5], s[4:5], exec
	v_mov_b32_e32 v5, 0
	s_or_b64 s[20:21], s[20:21], s[4:5]
	s_or_b64 exec, exec, s[22:23]
	s_and_saveexec_b64 s[22:23], s[20:21]
	s_cbranch_execnz .LBB274_466
	s_branch .LBB274_467
.LBB274_2377:
	s_andn2_saveexec_b64 s[22:23], s[22:23]
	s_cbranch_execz .LBB274_1156
.LBB274_2378:
	v_cmp_lt_i16_e64 s[4:5], 22, v9
	s_mov_b64 s[28:29], s[24:25]
                                        ; implicit-def: $vgpr15
	s_and_saveexec_b64 s[8:9], s[4:5]
	s_xor_b64 s[8:9], exec, s[8:9]
	s_cbranch_execz .LBB274_2410
; %bb.2379:
	v_cmp_lt_i16_e64 s[4:5], 23, v9
                                        ; implicit-def: $vgpr15
	s_and_saveexec_b64 s[28:29], s[4:5]
	s_xor_b64 s[28:29], exec, s[28:29]
	s_cbranch_execz .LBB274_2399
; %bb.2380:
	v_cmp_lt_i16_e64 s[4:5], 24, v9
                                        ; implicit-def: $vgpr15
	s_and_saveexec_b64 s[30:31], s[4:5]
	s_xor_b64 s[30:31], exec, s[30:31]
	s_cbranch_execz .LBB274_2396
; %bb.2381:
	flat_load_ubyte v21, v[0:1]
	s_movk_i32 s4, 0x7f
	s_mov_b64 s[38:39], 0
	s_waitcnt vmcnt(0) lgkmcnt(0)
	v_cmp_lt_i16_e64 s[4:5], s4, v21
	s_and_saveexec_b64 s[40:41], s[4:5]
	s_xor_b64 s[40:41], exec, s[40:41]
	s_cbranch_execz .LBB274_2640
; %bb.2382:
	s_movk_i32 s4, 0x80
	v_cmp_eq_u16_e64 s[4:5], s4, v21
	s_mov_b64 s[38:39], -1
	s_and_saveexec_b64 s[42:43], s[4:5]
; %bb.2383:
	s_xor_b64 s[38:39], exec, -1
; %bb.2384:
	s_or_b64 exec, exec, s[42:43]
	s_and_b64 s[38:39], s[38:39], exec
	s_or_saveexec_b64 s[40:41], s[40:41]
	v_mov_b32_e32 v15, 0x7f800001
	s_xor_b64 exec, exec, s[40:41]
	s_cbranch_execnz .LBB274_2641
.LBB274_2385:
	s_or_b64 exec, exec, s[40:41]
	s_and_saveexec_b64 s[40:41], s[38:39]
	s_cbranch_execz .LBB274_2387
.LBB274_2386:
	v_lshlrev_b32_e32 v15, 24, v21
	v_and_b32_e32 v21, 0xffff, v21
	v_and_b32_e32 v22, 3, v21
	v_ffbh_u32_e32 v24, v22
	v_min_u32_e32 v24, 32, v24
	v_subrev_u32_e32 v25, 29, v24
	v_bfe_u32 v23, v21, 2, 5
	v_lshlrev_b32_e32 v21, v25, v21
	v_sub_u32_e32 v24, 30, v24
	v_and_b32_e32 v21, 3, v21
	v_cmp_eq_u32_e64 s[4:5], 0, v23
	v_cndmask_b32_e64 v23, v23, v24, s[4:5]
	v_cndmask_b32_e64 v21, v22, v21, s[4:5]
	v_mov_b32_e32 v22, 0x37800000
	v_lshlrev_b32_e32 v21, 21, v21
	v_and_b32_e32 v15, 0x80000000, v15
	v_lshl_add_u32 v22, v23, 23, v22
	v_or3_b32 v15, v15, v22, v21
.LBB274_2387:
	s_or_b64 exec, exec, s[40:41]
	v_and_b32_e32 v22, 0x7fffffff, v15
	s_mov_b32 s4, 0x43f00000
	v_cmp_gt_u32_e64 s[4:5], s4, v22
                                        ; implicit-def: $vgpr21
	s_and_saveexec_b64 s[38:39], s[4:5]
	s_xor_b64 s[38:39], exec, s[38:39]
	s_cbranch_execz .LBB274_2393
; %bb.2388:
	s_mov_b32 s4, 0x3c7fffff
	v_cmp_lt_u32_e64 s[4:5], s4, v22
                                        ; implicit-def: $vgpr21
	s_and_saveexec_b64 s[40:41], s[4:5]
	s_xor_b64 s[40:41], exec, s[40:41]
; %bb.2389:
	v_bfe_u32 v21, v15, 20, 1
	s_mov_b32 s4, 0x407ffff
	v_add3_u32 v21, v15, v21, s4
	v_lshrrev_b32_e32 v22, 20, v21
	v_and_b32_e32 v21, 0xff00000, v21
	s_mov_b32 s4, 0x7f00000
	v_mov_b32_e32 v23, 0x7e
	v_cmp_ne_u32_e64 s[4:5], s4, v21
	v_cndmask_b32_e64 v21, v23, v22, s[4:5]
; %bb.2390:
	s_andn2_saveexec_b64 s[4:5], s[40:41]
; %bb.2391:
	s_mov_b32 s33, 0x46800000
	v_add_f32_e64 v21, |v15|, s33
; %bb.2392:
	s_or_b64 exec, exec, s[4:5]
                                        ; implicit-def: $vgpr22
.LBB274_2393:
	s_andn2_saveexec_b64 s[38:39], s[38:39]
; %bb.2394:
	s_mov_b32 s4, 0x7f800000
	v_mov_b32_e32 v21, 0x7e
	v_mov_b32_e32 v23, 0x7f
	v_cmp_lt_u32_e64 s[4:5], s4, v22
	v_cndmask_b32_e64 v21, v21, v23, s[4:5]
; %bb.2395:
	s_or_b64 exec, exec, s[38:39]
	v_lshrrev_b32_e32 v15, 24, v15
	s_movk_i32 s4, 0x80
	v_and_or_b32 v15, v15, s4, v21
.LBB274_2396:
	s_andn2_saveexec_b64 s[4:5], s[30:31]
	s_cbranch_execz .LBB274_2398
; %bb.2397:
	flat_load_ubyte v15, v[0:1]
.LBB274_2398:
	s_or_b64 exec, exec, s[4:5]
.LBB274_2399:
	s_andn2_saveexec_b64 s[28:29], s[28:29]
	s_cbranch_execz .LBB274_2409
; %bb.2400:
	s_waitcnt vmcnt(0) lgkmcnt(0)
	flat_load_ubyte v15, v[0:1]
	s_movk_i32 s4, 0x7f00
	s_brev_b32 s5, 16
	s_brev_b32 s30, 1
	s_waitcnt vmcnt(0) lgkmcnt(0)
	v_lshlrev_b16_e32 v21, 8, v15
	v_lshlrev_b32_e32 v15, 25, v15
	v_lshrrev_b32_e32 v22, 4, v15
	v_and_or_b32 v23, v21, s4, 0.5
	v_or_b32_e32 v22, 0x70000000, v22
	v_add_f32_e32 v23, -0.5, v23
	v_mul_f32_e32 v22, 0x7800000, v22
	v_cmp_gt_u32_e64 s[4:5], s5, v15
	v_bfe_i32 v21, v21, 0, 16
	v_cndmask_b32_e64 v23, v22, v23, s[4:5]
	v_and_or_b32 v15, v21, s30, v23
	v_and_b32_e32 v22, 0x7fffffff, v15
	s_mov_b32 s4, 0x43f00000
	v_cmp_gt_u32_e64 s[4:5], s4, v22
                                        ; implicit-def: $vgpr21
	s_and_saveexec_b64 s[30:31], s[4:5]
	s_xor_b64 s[30:31], exec, s[30:31]
	s_cbranch_execz .LBB274_2406
; %bb.2401:
	s_mov_b32 s4, 0x3c7fffff
	v_cmp_lt_u32_e64 s[4:5], s4, v22
                                        ; implicit-def: $vgpr21
	s_and_saveexec_b64 s[38:39], s[4:5]
	s_xor_b64 s[38:39], exec, s[38:39]
; %bb.2402:
	v_bfe_u32 v21, v23, 20, 1
	s_mov_b32 s4, 0x407ffff
	v_add3_u32 v21, v15, v21, s4
	v_lshrrev_b32_e32 v22, 20, v21
	v_and_b32_e32 v21, 0xff00000, v21
	s_mov_b32 s4, 0x7f00000
	v_mov_b32_e32 v23, 0x7e
	v_cmp_ne_u32_e64 s[4:5], s4, v21
	v_cndmask_b32_e64 v21, v23, v22, s[4:5]
; %bb.2403:
	s_andn2_saveexec_b64 s[4:5], s[38:39]
; %bb.2404:
	s_mov_b32 s33, 0x46800000
	v_add_f32_e64 v21, |v15|, s33
; %bb.2405:
	s_or_b64 exec, exec, s[4:5]
                                        ; implicit-def: $vgpr22
.LBB274_2406:
	s_andn2_saveexec_b64 s[30:31], s[30:31]
; %bb.2407:
	s_mov_b32 s4, 0x7f800000
	v_mov_b32_e32 v21, 0x7e
	v_mov_b32_e32 v23, 0x7f
	v_cmp_lt_u32_e64 s[4:5], s4, v22
	v_cndmask_b32_e64 v21, v21, v23, s[4:5]
; %bb.2408:
	s_or_b64 exec, exec, s[30:31]
	v_lshrrev_b32_e32 v15, 24, v15
	s_movk_i32 s4, 0x80
	v_and_or_b32 v15, v15, s4, v21
.LBB274_2409:
	s_or_b64 exec, exec, s[28:29]
	s_or_b64 s[28:29], s[24:25], exec
.LBB274_2410:
	s_or_saveexec_b64 s[8:9], s[8:9]
	s_mov_b64 s[4:5], 0
	s_mov_b64 s[30:31], s[26:27]
	s_xor_b64 exec, exec, s[8:9]
	s_cbranch_execz .LBB274_2426
; %bb.2411:
	v_cmp_lt_i16_e64 s[4:5], 14, v9
	s_mov_b64 s[38:39], s[26:27]
	s_mov_b64 s[40:41], s[28:29]
                                        ; implicit-def: $vgpr15
	s_and_saveexec_b64 s[30:31], s[4:5]
	s_xor_b64 s[30:31], exec, s[30:31]
	s_cbranch_execz .LBB274_2423
; %bb.2412:
	v_cmp_eq_u16_e64 s[4:5], 15, v9
	s_mov_b64 s[42:43], -1
	s_mov_b64 s[40:41], s[28:29]
                                        ; implicit-def: $vgpr15
	s_and_saveexec_b64 s[38:39], s[4:5]
	s_cbranch_execz .LBB274_2422
; %bb.2413:
	s_waitcnt vmcnt(0) lgkmcnt(0)
	flat_load_ushort v15, v[0:1]
	s_mov_b32 s4, 0x43f00000
                                        ; implicit-def: $vgpr21
	s_waitcnt vmcnt(0) lgkmcnt(0)
	v_lshlrev_b32_e32 v22, 16, v15
	v_and_b32_e32 v23, 0x7fffffff, v22
	v_cmp_gt_u32_e64 s[4:5], s4, v23
	s_and_saveexec_b64 s[40:41], s[4:5]
	s_xor_b64 s[40:41], exec, s[40:41]
	s_cbranch_execz .LBB274_2419
; %bb.2414:
	s_mov_b32 s4, 0x3c7fffff
	v_cmp_lt_u32_e64 s[4:5], s4, v23
                                        ; implicit-def: $vgpr21
	s_and_saveexec_b64 s[42:43], s[4:5]
	s_xor_b64 s[42:43], exec, s[42:43]
; %bb.2415:
	v_bfe_u32 v21, v15, 4, 1
	s_mov_b32 s4, 0x407ffff
	v_add3_u32 v21, v22, v21, s4
	v_lshrrev_b32_e32 v22, 20, v21
	v_and_b32_e32 v21, 0xff00000, v21
	s_mov_b32 s4, 0x7f00000
	v_mov_b32_e32 v23, 0x7e
	v_cmp_ne_u32_e64 s[4:5], s4, v21
	v_cndmask_b32_e64 v21, v23, v22, s[4:5]
                                        ; implicit-def: $vgpr22
; %bb.2416:
	s_andn2_saveexec_b64 s[4:5], s[42:43]
; %bb.2417:
	s_mov_b32 s33, 0x46800000
	v_add_f32_e64 v21, |v22|, s33
; %bb.2418:
	s_or_b64 exec, exec, s[4:5]
                                        ; implicit-def: $vgpr23
.LBB274_2419:
	s_andn2_saveexec_b64 s[40:41], s[40:41]
; %bb.2420:
	s_mov_b32 s4, 0x7f800000
	v_mov_b32_e32 v21, 0x7e
	v_mov_b32_e32 v22, 0x7f
	v_cmp_lt_u32_e64 s[4:5], s4, v23
	v_cndmask_b32_e64 v21, v21, v22, s[4:5]
; %bb.2421:
	s_or_b64 exec, exec, s[40:41]
	v_lshrrev_b32_e32 v15, 8, v15
	s_movk_i32 s4, 0x80
	v_and_or_b32 v15, v15, s4, v21
	s_or_b64 s[40:41], s[28:29], exec
	s_xor_b64 s[42:43], exec, -1
.LBB274_2422:
	s_or_b64 exec, exec, s[38:39]
	s_andn2_b64 s[4:5], s[28:29], exec
	s_and_b64 s[38:39], s[40:41], exec
	s_or_b64 s[40:41], s[4:5], s[38:39]
	s_andn2_b64 s[4:5], s[26:27], exec
	s_and_b64 s[38:39], s[42:43], exec
	s_or_b64 s[38:39], s[4:5], s[38:39]
.LBB274_2423:
	s_or_saveexec_b64 s[30:31], s[30:31]
	s_mov_b64 s[42:43], 0
	s_xor_b64 exec, exec, s[30:31]
; %bb.2424:
	v_cmp_ne_u16_e64 s[4:5], 11, v9
	s_andn2_b64 s[38:39], s[38:39], exec
	s_and_b64 s[4:5], s[4:5], exec
	s_mov_b64 s[42:43], exec
	s_or_b64 s[38:39], s[38:39], s[4:5]
; %bb.2425:
	s_or_b64 exec, exec, s[30:31]
	s_andn2_b64 s[4:5], s[28:29], exec
	s_and_b64 s[28:29], s[40:41], exec
	s_andn2_b64 s[30:31], s[26:27], exec
	s_and_b64 s[38:39], s[38:39], exec
	s_or_b64 s[28:29], s[4:5], s[28:29]
	s_and_b64 s[4:5], s[42:43], exec
	s_or_b64 s[30:31], s[30:31], s[38:39]
.LBB274_2426:
	s_or_b64 exec, exec, s[8:9]
	s_andn2_b64 s[8:9], s[24:25], exec
	s_and_b64 s[24:25], s[28:29], exec
	s_or_b64 s[24:25], s[8:9], s[24:25]
	s_and_b64 s[8:9], s[4:5], exec
	s_andn2_b64 s[4:5], s[26:27], exec
	s_and_b64 s[26:27], s[30:31], exec
	s_or_b64 s[26:27], s[4:5], s[26:27]
	s_or_b64 exec, exec, s[22:23]
	s_mov_b64 s[22:23], s[18:19]
	s_and_saveexec_b64 s[4:5], s[26:27]
	s_cbranch_execz .LBB274_1157
.LBB274_2427:
	s_trap 2
	s_or_b64 s[22:23], s[18:19], exec
	s_andn2_b64 s[8:9], s[8:9], exec
	s_or_b64 exec, exec, s[4:5]
	s_and_saveexec_b64 s[26:27], s[8:9]
	s_cbranch_execnz .LBB274_1158
	s_branch .LBB274_1167
.LBB274_2428:
	s_or_saveexec_b64 s[26:27], s[26:27]
	v_mov_b32_e32 v6, 0x7f800001
	s_xor_b64 exec, exec, s[26:27]
	s_cbranch_execz .LBB274_691
.LBB274_2429:
	v_cmp_ne_u16_e64 s[4:5], 0, v19
	s_andn2_b64 s[24:25], s[24:25], exec
	s_and_b64 s[4:5], s[4:5], exec
	v_mov_b32_e32 v6, 0
	s_or_b64 s[24:25], s[24:25], s[4:5]
	s_or_b64 exec, exec, s[26:27]
	s_and_saveexec_b64 s[26:27], s[24:25]
	s_cbranch_execnz .LBB274_692
	s_branch .LBB274_693
.LBB274_2430:
	s_andn2_saveexec_b64 s[26:27], s[26:27]
	s_cbranch_execz .LBB274_1382
.LBB274_2431:
	v_cmp_lt_i16_e64 s[4:5], 22, v10
	s_mov_b64 s[38:39], s[28:29]
                                        ; implicit-def: $vgpr13
	s_and_saveexec_b64 s[8:9], s[4:5]
	s_xor_b64 s[8:9], exec, s[8:9]
	s_cbranch_execz .LBB274_2463
; %bb.2432:
	v_cmp_lt_i16_e64 s[4:5], 23, v10
                                        ; implicit-def: $vgpr13
	s_and_saveexec_b64 s[38:39], s[4:5]
	s_xor_b64 s[38:39], exec, s[38:39]
	s_cbranch_execz .LBB274_2452
; %bb.2433:
	v_cmp_lt_i16_e64 s[4:5], 24, v10
                                        ; implicit-def: $vgpr13
	s_and_saveexec_b64 s[40:41], s[4:5]
	s_xor_b64 s[40:41], exec, s[40:41]
	s_cbranch_execz .LBB274_2449
; %bb.2434:
	flat_load_ubyte v13, v[0:1]
	s_movk_i32 s4, 0x7f
	s_mov_b64 s[42:43], 0
	s_waitcnt vmcnt(0) lgkmcnt(0)
	v_cmp_lt_i16_e64 s[4:5], s4, v13
	s_and_saveexec_b64 s[44:45], s[4:5]
	s_xor_b64 s[44:45], exec, s[44:45]
	s_cbranch_execz .LBB274_2691
; %bb.2435:
	s_movk_i32 s4, 0x80
	v_cmp_eq_u16_e64 s[4:5], s4, v13
	s_mov_b64 s[42:43], -1
	s_and_saveexec_b64 s[46:47], s[4:5]
; %bb.2436:
	s_xor_b64 s[42:43], exec, -1
; %bb.2437:
	s_or_b64 exec, exec, s[46:47]
	s_and_b64 s[42:43], s[42:43], exec
	s_or_saveexec_b64 s[44:45], s[44:45]
	v_mov_b32_e32 v10, 0x7f800001
	s_xor_b64 exec, exec, s[44:45]
	s_cbranch_execnz .LBB274_2692
.LBB274_2438:
	s_or_b64 exec, exec, s[44:45]
	s_and_saveexec_b64 s[44:45], s[42:43]
	s_cbranch_execz .LBB274_2440
.LBB274_2439:
	v_lshlrev_b32_e32 v10, 24, v13
	v_and_b32_e32 v13, 0xffff, v13
	v_and_b32_e32 v14, 3, v13
	v_ffbh_u32_e32 v20, v14
	v_min_u32_e32 v20, 32, v20
	v_subrev_u32_e32 v21, 29, v20
	v_bfe_u32 v19, v13, 2, 5
	v_lshlrev_b32_e32 v13, v21, v13
	v_sub_u32_e32 v20, 30, v20
	v_and_b32_e32 v13, 3, v13
	v_cmp_eq_u32_e64 s[4:5], 0, v19
	v_cndmask_b32_e64 v19, v19, v20, s[4:5]
	v_cndmask_b32_e64 v13, v14, v13, s[4:5]
	v_mov_b32_e32 v14, 0x37800000
	v_lshlrev_b32_e32 v13, 21, v13
	v_and_b32_e32 v10, 0x80000000, v10
	v_lshl_add_u32 v14, v19, 23, v14
	v_or3_b32 v10, v10, v14, v13
.LBB274_2440:
	s_or_b64 exec, exec, s[44:45]
	v_and_b32_e32 v14, 0x7fffffff, v10
	s_mov_b32 s4, 0x43f00000
	v_cmp_gt_u32_e64 s[4:5], s4, v14
                                        ; implicit-def: $vgpr13
	s_and_saveexec_b64 s[42:43], s[4:5]
	s_xor_b64 s[42:43], exec, s[42:43]
	s_cbranch_execz .LBB274_2446
; %bb.2441:
	s_mov_b32 s4, 0x3c7fffff
	v_cmp_lt_u32_e64 s[4:5], s4, v14
                                        ; implicit-def: $vgpr13
	s_and_saveexec_b64 s[44:45], s[4:5]
	s_xor_b64 s[44:45], exec, s[44:45]
; %bb.2442:
	v_bfe_u32 v13, v10, 20, 1
	s_mov_b32 s4, 0x407ffff
	v_add3_u32 v13, v10, v13, s4
	v_lshrrev_b32_e32 v14, 20, v13
	v_and_b32_e32 v13, 0xff00000, v13
	s_mov_b32 s4, 0x7f00000
	v_mov_b32_e32 v19, 0x7e
	v_cmp_ne_u32_e64 s[4:5], s4, v13
	v_cndmask_b32_e64 v13, v19, v14, s[4:5]
; %bb.2443:
	s_andn2_saveexec_b64 s[4:5], s[44:45]
; %bb.2444:
	s_mov_b32 s33, 0x46800000
	v_add_f32_e64 v13, |v10|, s33
; %bb.2445:
	s_or_b64 exec, exec, s[4:5]
                                        ; implicit-def: $vgpr14
.LBB274_2446:
	s_andn2_saveexec_b64 s[42:43], s[42:43]
; %bb.2447:
	s_mov_b32 s4, 0x7f800000
	v_mov_b32_e32 v13, 0x7e
	v_mov_b32_e32 v19, 0x7f
	v_cmp_lt_u32_e64 s[4:5], s4, v14
	v_cndmask_b32_e64 v13, v13, v19, s[4:5]
; %bb.2448:
	s_or_b64 exec, exec, s[42:43]
	v_lshrrev_b32_e32 v10, 24, v10
	s_movk_i32 s4, 0x80
	v_and_or_b32 v13, v10, s4, v13
.LBB274_2449:
	s_andn2_saveexec_b64 s[4:5], s[40:41]
	s_cbranch_execz .LBB274_2451
; %bb.2450:
	flat_load_ubyte v13, v[0:1]
.LBB274_2451:
	s_or_b64 exec, exec, s[4:5]
.LBB274_2452:
	s_andn2_saveexec_b64 s[38:39], s[38:39]
	s_cbranch_execz .LBB274_2462
; %bb.2453:
	flat_load_ubyte v10, v[0:1]
	s_movk_i32 s4, 0x7f00
	s_brev_b32 s5, 16
	s_brev_b32 s33, 1
	s_waitcnt vmcnt(0) lgkmcnt(0)
	v_lshlrev_b16_e32 v13, 8, v10
	v_lshlrev_b32_e32 v10, 25, v10
	v_lshrrev_b32_e32 v14, 4, v10
	v_and_or_b32 v19, v13, s4, 0.5
	v_or_b32_e32 v14, 0x70000000, v14
	v_add_f32_e32 v19, -0.5, v19
	v_mul_f32_e32 v14, 0x7800000, v14
	v_cmp_gt_u32_e64 s[4:5], s5, v10
	v_bfe_i32 v13, v13, 0, 16
	v_cndmask_b32_e64 v19, v14, v19, s[4:5]
	v_and_or_b32 v10, v13, s33, v19
	v_and_b32_e32 v14, 0x7fffffff, v10
	s_mov_b32 s4, 0x43f00000
	v_cmp_gt_u32_e64 s[4:5], s4, v14
                                        ; implicit-def: $vgpr13
	s_and_saveexec_b64 s[40:41], s[4:5]
	s_xor_b64 s[40:41], exec, s[40:41]
	s_cbranch_execz .LBB274_2459
; %bb.2454:
	s_mov_b32 s4, 0x3c7fffff
	v_cmp_lt_u32_e64 s[4:5], s4, v14
                                        ; implicit-def: $vgpr13
	s_and_saveexec_b64 s[42:43], s[4:5]
	s_xor_b64 s[42:43], exec, s[42:43]
; %bb.2455:
	v_bfe_u32 v13, v19, 20, 1
	s_mov_b32 s4, 0x407ffff
	v_add3_u32 v13, v10, v13, s4
	v_lshrrev_b32_e32 v14, 20, v13
	v_and_b32_e32 v13, 0xff00000, v13
	s_mov_b32 s4, 0x7f00000
	v_mov_b32_e32 v19, 0x7e
	v_cmp_ne_u32_e64 s[4:5], s4, v13
	v_cndmask_b32_e64 v13, v19, v14, s[4:5]
; %bb.2456:
	s_andn2_saveexec_b64 s[4:5], s[42:43]
; %bb.2457:
	s_mov_b32 s33, 0x46800000
	v_add_f32_e64 v13, |v10|, s33
; %bb.2458:
	s_or_b64 exec, exec, s[4:5]
                                        ; implicit-def: $vgpr14
.LBB274_2459:
	s_andn2_saveexec_b64 s[40:41], s[40:41]
; %bb.2460:
	s_mov_b32 s4, 0x7f800000
	v_mov_b32_e32 v13, 0x7e
	v_mov_b32_e32 v19, 0x7f
	v_cmp_lt_u32_e64 s[4:5], s4, v14
	v_cndmask_b32_e64 v13, v13, v19, s[4:5]
; %bb.2461:
	s_or_b64 exec, exec, s[40:41]
	v_lshrrev_b32_e32 v10, 24, v10
	s_movk_i32 s4, 0x80
	v_and_or_b32 v13, v10, s4, v13
.LBB274_2462:
	s_or_b64 exec, exec, s[38:39]
	s_or_b64 s[38:39], s[28:29], exec
                                        ; implicit-def: $vgpr10
.LBB274_2463:
	s_or_saveexec_b64 s[8:9], s[8:9]
	s_mov_b64 s[4:5], 0
	s_mov_b64 s[40:41], s[30:31]
	s_xor_b64 exec, exec, s[8:9]
	s_cbranch_execz .LBB274_2479
; %bb.2464:
	v_cmp_lt_i16_e64 s[4:5], 14, v10
	s_mov_b64 s[42:43], s[30:31]
	s_mov_b64 s[44:45], s[38:39]
                                        ; implicit-def: $vgpr13
	s_and_saveexec_b64 s[40:41], s[4:5]
	s_xor_b64 s[40:41], exec, s[40:41]
	s_cbranch_execz .LBB274_2476
; %bb.2465:
	v_cmp_eq_u16_e64 s[4:5], 15, v10
	s_mov_b64 s[46:47], -1
	s_mov_b64 s[44:45], s[38:39]
                                        ; implicit-def: $vgpr13
	s_and_saveexec_b64 s[42:43], s[4:5]
	s_cbranch_execz .LBB274_2475
; %bb.2466:
	flat_load_ushort v10, v[0:1]
	s_mov_b32 s4, 0x43f00000
                                        ; implicit-def: $vgpr13
	s_waitcnt vmcnt(0) lgkmcnt(0)
	v_lshlrev_b32_e32 v14, 16, v10
	v_and_b32_e32 v19, 0x7fffffff, v14
	v_cmp_gt_u32_e64 s[4:5], s4, v19
	s_and_saveexec_b64 s[44:45], s[4:5]
	s_xor_b64 s[44:45], exec, s[44:45]
	s_cbranch_execz .LBB274_2472
; %bb.2467:
	s_mov_b32 s4, 0x3c7fffff
	v_cmp_lt_u32_e64 s[4:5], s4, v19
                                        ; implicit-def: $vgpr13
	s_and_saveexec_b64 s[46:47], s[4:5]
	s_xor_b64 s[46:47], exec, s[46:47]
; %bb.2468:
	v_bfe_u32 v13, v10, 4, 1
	s_mov_b32 s4, 0x407ffff
	v_add3_u32 v13, v14, v13, s4
	v_lshrrev_b32_e32 v14, 20, v13
	v_and_b32_e32 v13, 0xff00000, v13
	s_mov_b32 s4, 0x7f00000
	v_mov_b32_e32 v19, 0x7e
	v_cmp_ne_u32_e64 s[4:5], s4, v13
	v_cndmask_b32_e64 v13, v19, v14, s[4:5]
                                        ; implicit-def: $vgpr14
; %bb.2469:
	s_andn2_saveexec_b64 s[4:5], s[46:47]
; %bb.2470:
	s_mov_b32 s33, 0x46800000
	v_add_f32_e64 v13, |v14|, s33
; %bb.2471:
	s_or_b64 exec, exec, s[4:5]
                                        ; implicit-def: $vgpr19
.LBB274_2472:
	s_andn2_saveexec_b64 s[44:45], s[44:45]
; %bb.2473:
	s_mov_b32 s4, 0x7f800000
	v_mov_b32_e32 v13, 0x7e
	v_mov_b32_e32 v14, 0x7f
	v_cmp_lt_u32_e64 s[4:5], s4, v19
	v_cndmask_b32_e64 v13, v13, v14, s[4:5]
; %bb.2474:
	s_or_b64 exec, exec, s[44:45]
	v_lshrrev_b32_e32 v10, 8, v10
	s_movk_i32 s4, 0x80
	v_and_or_b32 v13, v10, s4, v13
	s_or_b64 s[44:45], s[38:39], exec
	s_xor_b64 s[46:47], exec, -1
.LBB274_2475:
	s_or_b64 exec, exec, s[42:43]
	s_andn2_b64 s[4:5], s[38:39], exec
	s_and_b64 s[42:43], s[44:45], exec
	s_or_b64 s[44:45], s[4:5], s[42:43]
	s_andn2_b64 s[4:5], s[30:31], exec
	s_and_b64 s[42:43], s[46:47], exec
	s_or_b64 s[42:43], s[4:5], s[42:43]
                                        ; implicit-def: $vgpr10
.LBB274_2476:
	s_or_saveexec_b64 s[40:41], s[40:41]
	s_mov_b64 s[46:47], 0
	s_xor_b64 exec, exec, s[40:41]
; %bb.2477:
	v_cmp_ne_u16_e64 s[4:5], 11, v10
	s_andn2_b64 s[42:43], s[42:43], exec
	s_and_b64 s[4:5], s[4:5], exec
	s_mov_b64 s[46:47], exec
	s_or_b64 s[42:43], s[42:43], s[4:5]
; %bb.2478:
	s_or_b64 exec, exec, s[40:41]
	s_andn2_b64 s[4:5], s[38:39], exec
	s_and_b64 s[38:39], s[44:45], exec
	s_andn2_b64 s[40:41], s[30:31], exec
	s_and_b64 s[42:43], s[42:43], exec
	s_or_b64 s[38:39], s[4:5], s[38:39]
	s_and_b64 s[4:5], s[46:47], exec
	s_or_b64 s[40:41], s[40:41], s[42:43]
.LBB274_2479:
	s_or_b64 exec, exec, s[8:9]
	s_andn2_b64 s[8:9], s[28:29], exec
	s_and_b64 s[28:29], s[38:39], exec
	s_or_b64 s[28:29], s[8:9], s[28:29]
	s_and_b64 s[8:9], s[4:5], exec
	s_andn2_b64 s[4:5], s[30:31], exec
	s_and_b64 s[30:31], s[40:41], exec
	s_or_b64 s[30:31], s[4:5], s[30:31]
	s_or_b64 exec, exec, s[26:27]
	s_mov_b64 s[26:27], s[22:23]
	s_and_saveexec_b64 s[4:5], s[30:31]
	s_cbranch_execz .LBB274_1383
.LBB274_2480:
	s_trap 2
	s_or_b64 s[26:27], s[22:23], exec
	s_andn2_b64 s[8:9], s[8:9], exec
	s_or_b64 exec, exec, s[4:5]
	s_and_saveexec_b64 s[30:31], s[8:9]
	s_cbranch_execnz .LBB274_1384
	s_branch .LBB274_1393
.LBB274_2481:
	s_or_saveexec_b64 s[22:23], s[22:23]
	v_mov_b32_e32 v5, 0x7f800001
	s_xor_b64 exec, exec, s[22:23]
	s_cbranch_execz .LBB274_2146
.LBB274_2482:
	v_cmp_ne_u16_e64 s[4:5], 0, v9
	s_andn2_b64 s[20:21], s[20:21], exec
	s_and_b64 s[4:5], s[4:5], exec
	v_mov_b32_e32 v5, 0
	s_or_b64 s[20:21], s[20:21], s[4:5]
	s_or_b64 exec, exec, s[22:23]
	s_and_saveexec_b64 s[22:23], s[20:21]
	s_cbranch_execnz .LBB274_2147
	s_branch .LBB274_2148
.LBB274_2483:
	s_andn2_saveexec_b64 s[22:23], s[4:5]
	s_cbranch_execz .LBB274_33
.LBB274_2484:
	v_add_f32_e32 v2, 0x46000000, v3
	v_and_b32_e32 v2, 0xff, v2
	v_cmp_ne_u32_e64 s[4:5], 0, v2
	s_andn2_b64 s[20:21], s[20:21], exec
	s_and_b64 s[4:5], s[4:5], exec
	s_or_b64 s[20:21], s[20:21], s[4:5]
	s_or_b64 exec, exec, s[22:23]
	v_mov_b32_e32 v4, 0
	s_and_saveexec_b64 s[4:5], s[20:21]
	s_cbranch_execnz .LBB274_34
	s_branch .LBB274_35
.LBB274_2485:
	s_or_saveexec_b64 s[30:31], s[30:31]
	v_mov_b32_e32 v8, 0x7f800001
	s_xor_b64 exec, exec, s[30:31]
	s_cbranch_execz .LBB274_917
.LBB274_2486:
	v_cmp_ne_u16_e64 s[4:5], 0, v15
	s_andn2_b64 s[28:29], s[28:29], exec
	s_and_b64 s[4:5], s[4:5], exec
	v_mov_b32_e32 v8, 0
	s_or_b64 s[28:29], s[28:29], s[4:5]
	s_or_b64 exec, exec, s[30:31]
	s_and_saveexec_b64 s[30:31], s[28:29]
	s_cbranch_execnz .LBB274_918
	s_branch .LBB274_919
.LBB274_2487:
	s_andn2_saveexec_b64 s[30:31], s[30:31]
	s_cbranch_execz .LBB274_1608
.LBB274_2488:
	v_cmp_lt_i16_e64 s[4:5], 22, v9
	s_mov_b64 s[42:43], s[38:39]
                                        ; implicit-def: $vgpr10
	s_and_saveexec_b64 s[8:9], s[4:5]
	s_xor_b64 s[8:9], exec, s[8:9]
	s_cbranch_execz .LBB274_2520
; %bb.2489:
	v_cmp_lt_i16_e64 s[4:5], 23, v9
                                        ; implicit-def: $vgpr10
	s_and_saveexec_b64 s[42:43], s[4:5]
	s_xor_b64 s[42:43], exec, s[42:43]
	s_cbranch_execz .LBB274_2509
; %bb.2490:
	v_cmp_lt_i16_e64 s[4:5], 24, v9
                                        ; implicit-def: $vgpr10
	s_and_saveexec_b64 s[44:45], s[4:5]
	s_xor_b64 s[44:45], exec, s[44:45]
	s_cbranch_execz .LBB274_2506
; %bb.2491:
	flat_load_ubyte v10, v[0:1]
	s_movk_i32 s4, 0x7f
	s_mov_b64 s[46:47], 0
	s_waitcnt vmcnt(0) lgkmcnt(0)
	v_cmp_lt_i16_e64 s[4:5], s4, v10
	s_and_saveexec_b64 s[48:49], s[4:5]
	s_xor_b64 s[48:49], exec, s[48:49]
	s_cbranch_execz .LBB274_2738
; %bb.2492:
	s_movk_i32 s4, 0x80
	v_cmp_eq_u16_e64 s[4:5], s4, v10
	s_mov_b64 s[46:47], -1
	s_and_saveexec_b64 s[50:51], s[4:5]
; %bb.2493:
	s_xor_b64 s[46:47], exec, -1
; %bb.2494:
	s_or_b64 exec, exec, s[50:51]
	s_and_b64 s[46:47], s[46:47], exec
	s_or_saveexec_b64 s[48:49], s[48:49]
	v_mov_b32_e32 v9, 0x7f800001
	s_xor_b64 exec, exec, s[48:49]
	s_cbranch_execnz .LBB274_2739
.LBB274_2495:
	s_or_b64 exec, exec, s[48:49]
	s_and_saveexec_b64 s[48:49], s[46:47]
	s_cbranch_execz .LBB274_2497
.LBB274_2496:
	v_lshlrev_b32_e32 v9, 24, v10
	v_and_b32_e32 v10, 0xffff, v10
	v_and_b32_e32 v11, 3, v10
	v_ffbh_u32_e32 v14, v11
	v_min_u32_e32 v14, 32, v14
	v_subrev_u32_e32 v17, 29, v14
	v_bfe_u32 v12, v10, 2, 5
	v_lshlrev_b32_e32 v10, v17, v10
	v_sub_u32_e32 v14, 30, v14
	v_and_b32_e32 v10, 3, v10
	v_cmp_eq_u32_e64 s[4:5], 0, v12
	v_cndmask_b32_e64 v12, v12, v14, s[4:5]
	v_cndmask_b32_e64 v10, v11, v10, s[4:5]
	v_mov_b32_e32 v11, 0x37800000
	v_lshlrev_b32_e32 v10, 21, v10
	v_and_b32_e32 v9, 0x80000000, v9
	v_lshl_add_u32 v11, v12, 23, v11
	v_or3_b32 v9, v9, v11, v10
.LBB274_2497:
	s_or_b64 exec, exec, s[48:49]
	v_and_b32_e32 v11, 0x7fffffff, v9
	s_mov_b32 s4, 0x43f00000
	v_cmp_gt_u32_e64 s[4:5], s4, v11
                                        ; implicit-def: $vgpr10
	s_and_saveexec_b64 s[46:47], s[4:5]
	s_xor_b64 s[46:47], exec, s[46:47]
	s_cbranch_execz .LBB274_2503
; %bb.2498:
	s_mov_b32 s4, 0x3c7fffff
	v_cmp_lt_u32_e64 s[4:5], s4, v11
                                        ; implicit-def: $vgpr10
	s_and_saveexec_b64 s[48:49], s[4:5]
	s_xor_b64 s[48:49], exec, s[48:49]
; %bb.2499:
	v_bfe_u32 v10, v9, 20, 1
	s_mov_b32 s4, 0x407ffff
	v_add3_u32 v10, v9, v10, s4
	v_lshrrev_b32_e32 v11, 20, v10
	v_and_b32_e32 v10, 0xff00000, v10
	s_mov_b32 s4, 0x7f00000
	v_mov_b32_e32 v12, 0x7e
	v_cmp_ne_u32_e64 s[4:5], s4, v10
	v_cndmask_b32_e64 v10, v12, v11, s[4:5]
; %bb.2500:
	s_andn2_saveexec_b64 s[4:5], s[48:49]
; %bb.2501:
	s_mov_b32 s33, 0x46800000
	v_add_f32_e64 v10, |v9|, s33
; %bb.2502:
	s_or_b64 exec, exec, s[4:5]
                                        ; implicit-def: $vgpr11
.LBB274_2503:
	s_andn2_saveexec_b64 s[46:47], s[46:47]
; %bb.2504:
	s_mov_b32 s4, 0x7f800000
	v_mov_b32_e32 v10, 0x7e
	v_mov_b32_e32 v12, 0x7f
	v_cmp_lt_u32_e64 s[4:5], s4, v11
	v_cndmask_b32_e64 v10, v10, v12, s[4:5]
; %bb.2505:
	s_or_b64 exec, exec, s[46:47]
	v_lshrrev_b32_e32 v9, 24, v9
	s_movk_i32 s4, 0x80
	v_and_or_b32 v10, v9, s4, v10
.LBB274_2506:
	s_andn2_saveexec_b64 s[4:5], s[44:45]
	s_cbranch_execz .LBB274_2508
; %bb.2507:
	flat_load_ubyte v10, v[0:1]
.LBB274_2508:
	s_or_b64 exec, exec, s[4:5]
.LBB274_2509:
	s_andn2_saveexec_b64 s[42:43], s[42:43]
	s_cbranch_execz .LBB274_2519
; %bb.2510:
	flat_load_ubyte v9, v[0:1]
	s_movk_i32 s4, 0x7f00
	s_brev_b32 s5, 16
	s_brev_b32 s33, 1
	s_waitcnt vmcnt(0) lgkmcnt(0)
	v_lshlrev_b16_e32 v10, 8, v9
	v_lshlrev_b32_e32 v9, 25, v9
	v_lshrrev_b32_e32 v11, 4, v9
	v_and_or_b32 v12, v10, s4, 0.5
	v_or_b32_e32 v11, 0x70000000, v11
	v_add_f32_e32 v12, -0.5, v12
	v_mul_f32_e32 v11, 0x7800000, v11
	v_cmp_gt_u32_e64 s[4:5], s5, v9
	v_bfe_i32 v10, v10, 0, 16
	v_cndmask_b32_e64 v12, v11, v12, s[4:5]
	v_and_or_b32 v9, v10, s33, v12
	v_and_b32_e32 v11, 0x7fffffff, v9
	s_mov_b32 s4, 0x43f00000
	v_cmp_gt_u32_e64 s[4:5], s4, v11
                                        ; implicit-def: $vgpr10
	s_and_saveexec_b64 s[44:45], s[4:5]
	s_xor_b64 s[44:45], exec, s[44:45]
	s_cbranch_execz .LBB274_2516
; %bb.2511:
	s_mov_b32 s4, 0x3c7fffff
	v_cmp_lt_u32_e64 s[4:5], s4, v11
                                        ; implicit-def: $vgpr10
	s_and_saveexec_b64 s[46:47], s[4:5]
	s_xor_b64 s[46:47], exec, s[46:47]
; %bb.2512:
	v_bfe_u32 v10, v12, 20, 1
	s_mov_b32 s4, 0x407ffff
	v_add3_u32 v10, v9, v10, s4
	v_lshrrev_b32_e32 v11, 20, v10
	v_and_b32_e32 v10, 0xff00000, v10
	s_mov_b32 s4, 0x7f00000
	v_mov_b32_e32 v12, 0x7e
	v_cmp_ne_u32_e64 s[4:5], s4, v10
	v_cndmask_b32_e64 v10, v12, v11, s[4:5]
; %bb.2513:
	s_andn2_saveexec_b64 s[4:5], s[46:47]
; %bb.2514:
	s_mov_b32 s33, 0x46800000
	v_add_f32_e64 v10, |v9|, s33
; %bb.2515:
	s_or_b64 exec, exec, s[4:5]
                                        ; implicit-def: $vgpr11
.LBB274_2516:
	s_andn2_saveexec_b64 s[44:45], s[44:45]
; %bb.2517:
	s_mov_b32 s4, 0x7f800000
	v_mov_b32_e32 v10, 0x7e
	v_mov_b32_e32 v12, 0x7f
	v_cmp_lt_u32_e64 s[4:5], s4, v11
	v_cndmask_b32_e64 v10, v10, v12, s[4:5]
; %bb.2518:
	s_or_b64 exec, exec, s[44:45]
	v_lshrrev_b32_e32 v9, 24, v9
	s_movk_i32 s4, 0x80
	v_and_or_b32 v10, v9, s4, v10
.LBB274_2519:
	s_or_b64 exec, exec, s[42:43]
	s_or_b64 s[42:43], s[38:39], exec
                                        ; implicit-def: $vgpr9
.LBB274_2520:
	s_or_saveexec_b64 s[8:9], s[8:9]
	s_mov_b64 s[4:5], 0
	s_mov_b64 s[44:45], s[40:41]
	s_xor_b64 exec, exec, s[8:9]
	s_cbranch_execz .LBB274_2536
; %bb.2521:
	v_cmp_lt_i16_e64 s[4:5], 14, v9
	s_mov_b64 s[46:47], s[40:41]
	s_mov_b64 s[48:49], s[42:43]
                                        ; implicit-def: $vgpr10
	s_and_saveexec_b64 s[44:45], s[4:5]
	s_xor_b64 s[44:45], exec, s[44:45]
	s_cbranch_execz .LBB274_2533
; %bb.2522:
	v_cmp_eq_u16_e64 s[4:5], 15, v9
	s_mov_b64 s[50:51], -1
	s_mov_b64 s[48:49], s[42:43]
                                        ; implicit-def: $vgpr10
	s_and_saveexec_b64 s[46:47], s[4:5]
	s_cbranch_execz .LBB274_2532
; %bb.2523:
	flat_load_ushort v9, v[0:1]
	s_mov_b32 s4, 0x43f00000
                                        ; implicit-def: $vgpr10
	s_waitcnt vmcnt(0) lgkmcnt(0)
	v_lshlrev_b32_e32 v11, 16, v9
	v_and_b32_e32 v12, 0x7fffffff, v11
	v_cmp_gt_u32_e64 s[4:5], s4, v12
	s_and_saveexec_b64 s[48:49], s[4:5]
	s_xor_b64 s[48:49], exec, s[48:49]
	s_cbranch_execz .LBB274_2529
; %bb.2524:
	s_mov_b32 s4, 0x3c7fffff
	v_cmp_lt_u32_e64 s[4:5], s4, v12
                                        ; implicit-def: $vgpr10
	s_and_saveexec_b64 s[50:51], s[4:5]
	s_xor_b64 s[50:51], exec, s[50:51]
; %bb.2525:
	v_bfe_u32 v10, v9, 4, 1
	s_mov_b32 s4, 0x407ffff
	v_add3_u32 v10, v11, v10, s4
	v_lshrrev_b32_e32 v11, 20, v10
	v_and_b32_e32 v10, 0xff00000, v10
	s_mov_b32 s4, 0x7f00000
	v_mov_b32_e32 v12, 0x7e
	v_cmp_ne_u32_e64 s[4:5], s4, v10
	v_cndmask_b32_e64 v10, v12, v11, s[4:5]
                                        ; implicit-def: $vgpr11
; %bb.2526:
	s_andn2_saveexec_b64 s[4:5], s[50:51]
; %bb.2527:
	s_mov_b32 s33, 0x46800000
	v_add_f32_e64 v10, |v11|, s33
; %bb.2528:
	s_or_b64 exec, exec, s[4:5]
                                        ; implicit-def: $vgpr12
.LBB274_2529:
	s_andn2_saveexec_b64 s[48:49], s[48:49]
; %bb.2530:
	s_mov_b32 s4, 0x7f800000
	v_mov_b32_e32 v10, 0x7e
	v_mov_b32_e32 v11, 0x7f
	v_cmp_lt_u32_e64 s[4:5], s4, v12
	v_cndmask_b32_e64 v10, v10, v11, s[4:5]
; %bb.2531:
	s_or_b64 exec, exec, s[48:49]
	v_lshrrev_b32_e32 v9, 8, v9
	s_movk_i32 s4, 0x80
	v_and_or_b32 v10, v9, s4, v10
	s_or_b64 s[48:49], s[42:43], exec
	s_xor_b64 s[50:51], exec, -1
.LBB274_2532:
	s_or_b64 exec, exec, s[46:47]
	s_andn2_b64 s[4:5], s[42:43], exec
	s_and_b64 s[46:47], s[48:49], exec
	s_or_b64 s[48:49], s[4:5], s[46:47]
	s_andn2_b64 s[4:5], s[40:41], exec
	s_and_b64 s[46:47], s[50:51], exec
	s_or_b64 s[46:47], s[4:5], s[46:47]
                                        ; implicit-def: $vgpr9
.LBB274_2533:
	s_or_saveexec_b64 s[44:45], s[44:45]
	s_mov_b64 s[50:51], 0
	s_xor_b64 exec, exec, s[44:45]
; %bb.2534:
	v_cmp_ne_u16_e64 s[4:5], 11, v9
	s_andn2_b64 s[46:47], s[46:47], exec
	s_and_b64 s[4:5], s[4:5], exec
	s_mov_b64 s[50:51], exec
	s_or_b64 s[46:47], s[46:47], s[4:5]
; %bb.2535:
	s_or_b64 exec, exec, s[44:45]
	s_andn2_b64 s[4:5], s[42:43], exec
	s_and_b64 s[42:43], s[48:49], exec
	s_andn2_b64 s[44:45], s[40:41], exec
	s_and_b64 s[46:47], s[46:47], exec
	s_or_b64 s[42:43], s[4:5], s[42:43]
	s_and_b64 s[4:5], s[50:51], exec
	s_or_b64 s[44:45], s[44:45], s[46:47]
.LBB274_2536:
	s_or_b64 exec, exec, s[8:9]
	s_andn2_b64 s[8:9], s[38:39], exec
	s_and_b64 s[38:39], s[42:43], exec
	s_or_b64 s[38:39], s[8:9], s[38:39]
	s_and_b64 s[8:9], s[4:5], exec
	s_andn2_b64 s[4:5], s[40:41], exec
	s_and_b64 s[40:41], s[44:45], exec
	s_or_b64 s[40:41], s[4:5], s[40:41]
	s_or_b64 exec, exec, s[30:31]
	s_mov_b64 s[30:31], s[26:27]
	s_and_saveexec_b64 s[4:5], s[40:41]
	s_cbranch_execz .LBB274_1609
.LBB274_2537:
	s_trap 2
	s_or_b64 s[30:31], s[26:27], exec
	s_andn2_b64 s[8:9], s[8:9], exec
	s_or_b64 exec, exec, s[4:5]
	s_and_saveexec_b64 s[40:41], s[8:9]
	s_cbranch_execnz .LBB274_1610
	s_branch .LBB274_1619
.LBB274_2538:
	s_or_saveexec_b64 s[26:27], s[26:27]
	v_mov_b32_e32 v6, 0x7f800001
	s_xor_b64 exec, exec, s[26:27]
	s_cbranch_execz .LBB274_2239
.LBB274_2539:
	v_cmp_ne_u16_e64 s[4:5], 0, v19
	s_andn2_b64 s[24:25], s[24:25], exec
	s_and_b64 s[4:5], s[4:5], exec
	v_mov_b32_e32 v6, 0
	s_or_b64 s[24:25], s[24:25], s[4:5]
	s_or_b64 exec, exec, s[26:27]
	s_and_saveexec_b64 s[26:27], s[24:25]
	s_cbranch_execnz .LBB274_2240
	s_branch .LBB274_2241
.LBB274_2540:
	s_andn2_saveexec_b64 s[24:25], s[4:5]
	s_cbranch_execz .LBB274_46
.LBB274_2541:
	v_add_f32_e32 v2, 0x42800000, v3
	v_and_b32_e32 v2, 0xff, v2
	v_cmp_ne_u32_e64 s[4:5], 0, v2
	s_andn2_b64 s[22:23], s[22:23], exec
	s_and_b64 s[4:5], s[4:5], exec
	s_or_b64 s[22:23], s[22:23], s[4:5]
	s_or_b64 exec, exec, s[24:25]
	v_mov_b32_e32 v4, 0
	s_and_saveexec_b64 s[4:5], s[22:23]
	s_cbranch_execnz .LBB274_47
	s_branch .LBB274_48
.LBB274_2542:
	s_andn2_saveexec_b64 s[22:23], s[4:5]
	s_cbranch_execz .LBB274_120
.LBB274_2543:
	v_add_f32_e32 v2, 0x46000000, v3
	v_and_b32_e32 v2, 0xff, v2
	v_cmp_ne_u32_e64 s[4:5], 0, v2
	s_andn2_b64 s[20:21], s[20:21], exec
	s_and_b64 s[4:5], s[4:5], exec
	s_or_b64 s[20:21], s[20:21], s[4:5]
	s_or_b64 exec, exec, s[22:23]
	v_mov_b32_e32 v4, 0
	s_and_saveexec_b64 s[4:5], s[20:21]
	s_cbranch_execnz .LBB274_121
	s_branch .LBB274_122
.LBB274_2544:
	s_or_saveexec_b64 s[40:41], s[40:41]
	v_mov_b32_e32 v15, 0x7f800001
	s_xor_b64 exec, exec, s[40:41]
	s_cbranch_execz .LBB274_1143
.LBB274_2545:
	v_cmp_ne_u16_e64 s[4:5], 0, v21
	s_andn2_b64 s[38:39], s[38:39], exec
	s_and_b64 s[4:5], s[4:5], exec
	v_mov_b32_e32 v15, 0
	s_or_b64 s[38:39], s[38:39], s[4:5]
	s_or_b64 exec, exec, s[40:41]
	s_and_saveexec_b64 s[40:41], s[38:39]
	s_cbranch_execnz .LBB274_1144
	s_branch .LBB274_1145
.LBB274_2546:
	s_andn2_saveexec_b64 s[42:43], s[42:43]
	s_cbranch_execz .LBB274_1788
.LBB274_2547:
	v_cmp_lt_i16_e64 s[4:5], 22, v21
	s_mov_b64 s[46:47], s[6:7]
	s_and_saveexec_b64 s[44:45], s[4:5]
	s_xor_b64 s[44:45], exec, s[44:45]
	s_cbranch_execz .LBB274_2579
; %bb.2548:
	v_cmp_lt_i16_e64 s[4:5], 23, v21
	s_and_saveexec_b64 s[46:47], s[4:5]
	s_xor_b64 s[46:47], exec, s[46:47]
	s_cbranch_execz .LBB274_2568
; %bb.2549:
	v_cmp_lt_i16_e64 s[4:5], 24, v21
	s_and_saveexec_b64 s[48:49], s[4:5]
	s_xor_b64 s[48:49], exec, s[48:49]
	s_cbranch_execz .LBB274_2557
; %bb.2550:
	v_cndmask_b32_e64 v11, 0, 1.0, vcc
	s_mov_b32 s4, 0x47800000
	v_cmp_gt_u32_e64 s[4:5], s4, v11
	v_mov_b32_e32 v12, 0x80
	s_and_saveexec_b64 s[50:51], s[4:5]
	s_cbranch_execz .LBB274_2556
; %bb.2551:
	s_mov_b32 s4, 0x37ffffff
	v_cmp_lt_u32_e64 s[4:5], s4, v11
	s_mov_b64 s[52:53], 0
                                        ; implicit-def: $vgpr9
	s_and_saveexec_b64 s[54:55], s[4:5]
	s_xor_b64 s[4:5], exec, s[54:55]
	s_cbranch_execz .LBB274_2744
; %bb.2552:
	v_bfe_u32 v9, v11, 21, 1
	s_mov_b32 s33, 0x88fffff
	v_add3_u32 v9, v11, v9, s33
	s_mov_b64 s[52:53], exec
	v_lshrrev_b32_e32 v9, 21, v9
                                        ; implicit-def: $vgpr11
	s_andn2_saveexec_b64 s[54:55], s[4:5]
	s_cbranch_execnz .LBB274_2745
.LBB274_2553:
	s_or_b64 exec, exec, s[54:55]
	v_mov_b32_e32 v12, 0
	s_and_saveexec_b64 s[4:5], s[52:53]
.LBB274_2554:
	v_mov_b32_e32 v12, v9
.LBB274_2555:
	s_or_b64 exec, exec, s[4:5]
.LBB274_2556:
	s_or_b64 exec, exec, s[50:51]
	flat_store_byte v[0:1], v12
.LBB274_2557:
	s_andn2_saveexec_b64 s[48:49], s[48:49]
	s_cbranch_execz .LBB274_2567
; %bb.2558:
	v_cndmask_b32_e64 v9, 0, 1.0, vcc
	s_mov_b32 s4, 0x43f00000
	v_cmp_gt_u32_e64 s[4:5], s4, v9
                                        ; implicit-def: $vgpr11
	s_and_saveexec_b64 s[50:51], s[4:5]
	s_xor_b64 s[50:51], exec, s[50:51]
	s_cbranch_execz .LBB274_2564
; %bb.2559:
	s_mov_b32 s4, 0x3c7fffff
	v_cmp_lt_u32_e64 s[4:5], s4, v9
                                        ; implicit-def: $vgpr11
	s_and_saveexec_b64 s[52:53], s[4:5]
	s_xor_b64 s[52:53], exec, s[52:53]
; %bb.2560:
	v_bfe_u32 v11, v9, 20, 1
	s_mov_b32 s4, 0x407ffff
	v_add3_u32 v9, v9, v11, s4
	v_lshrrev_b32_e32 v11, 20, v9
	v_and_b32_e32 v9, 0xff00000, v9
	s_mov_b32 s4, 0x7f00000
	v_mov_b32_e32 v12, 0x7e
	v_cmp_ne_u32_e64 s[4:5], s4, v9
	v_cndmask_b32_e64 v11, v12, v11, s[4:5]
                                        ; implicit-def: $vgpr9
; %bb.2561:
	s_andn2_saveexec_b64 s[4:5], s[52:53]
; %bb.2562:
	v_add_f32_e32 v11, 0x46800000, v9
; %bb.2563:
	s_or_b64 exec, exec, s[4:5]
                                        ; implicit-def: $vgpr9
.LBB274_2564:
	s_andn2_saveexec_b64 s[50:51], s[50:51]
; %bb.2565:
	s_mov_b32 s4, 0x7f800000
	v_mov_b32_e32 v11, 0x7e
	v_mov_b32_e32 v12, 0x7f
	v_cmp_lt_u32_e64 s[4:5], s4, v9
	v_cndmask_b32_e64 v11, v11, v12, s[4:5]
; %bb.2566:
	s_or_b64 exec, exec, s[50:51]
	flat_store_byte v[0:1], v11
.LBB274_2567:
	s_or_b64 exec, exec, s[48:49]
.LBB274_2568:
	s_andn2_saveexec_b64 s[46:47], s[46:47]
	s_cbranch_execz .LBB274_2578
; %bb.2569:
	v_cndmask_b32_e64 v9, 0, 1.0, vcc
	s_mov_b32 s4, 0x47800000
	v_cmp_gt_u32_e64 s[4:5], s4, v9
                                        ; implicit-def: $vgpr11
	s_and_saveexec_b64 s[48:49], s[4:5]
	s_xor_b64 s[48:49], exec, s[48:49]
	s_cbranch_execz .LBB274_2575
; %bb.2570:
	s_mov_b32 s4, 0x387fffff
	v_cmp_lt_u32_e64 s[4:5], s4, v9
                                        ; implicit-def: $vgpr11
	s_and_saveexec_b64 s[50:51], s[4:5]
	s_xor_b64 s[4:5], exec, s[50:51]
; %bb.2571:
	v_bfe_u32 v11, v9, 21, 1
	s_mov_b32 s33, 0x80fffff
	v_add3_u32 v9, v9, v11, s33
	v_lshrrev_b32_e32 v11, 21, v9
                                        ; implicit-def: $vgpr9
; %bb.2572:
	s_andn2_saveexec_b64 s[4:5], s[4:5]
; %bb.2573:
	v_add_f32_e32 v11, 0x43000000, v9
; %bb.2574:
	s_or_b64 exec, exec, s[4:5]
                                        ; implicit-def: $vgpr9
.LBB274_2575:
	s_andn2_saveexec_b64 s[48:49], s[48:49]
; %bb.2576:
	s_mov_b32 s4, 0x7f800000
	v_mov_b32_e32 v11, 0x7c
	v_mov_b32_e32 v12, 0x7f
	v_cmp_lt_u32_e64 s[4:5], s4, v9
	v_cndmask_b32_e64 v11, v11, v12, s[4:5]
; %bb.2577:
	s_or_b64 exec, exec, s[48:49]
	flat_store_byte v[0:1], v11
.LBB274_2578:
	s_or_b64 exec, exec, s[46:47]
	s_or_b64 s[46:47], s[6:7], exec
.LBB274_2579:
	s_or_saveexec_b64 s[44:45], s[44:45]
	s_mov_b64 s[4:5], 0
	s_mov_b64 s[48:49], s[40:41]
	s_xor_b64 exec, exec, s[44:45]
	s_cbranch_execz .LBB274_2587
; %bb.2580:
	v_cmp_lt_i16_e64 s[4:5], 14, v21
	s_mov_b64 s[48:49], s[40:41]
	s_mov_b64 s[50:51], s[46:47]
	s_and_saveexec_b64 s[52:53], s[4:5]
	s_xor_b64 s[52:53], exec, s[52:53]
	s_cbranch_execz .LBB274_2584
; %bb.2581:
	v_cmp_eq_u16_e64 s[4:5], 15, v21
	s_mov_b64 s[48:49], -1
	s_mov_b64 s[54:55], s[46:47]
	s_and_saveexec_b64 s[50:51], s[4:5]
	s_cbranch_execz .LBB274_2583
; %bb.2582:
	v_cndmask_b32_e64 v9, 0, 1.0, vcc
	v_bfe_u32 v11, v9, 16, 1
	s_movk_i32 s4, 0x7fff
	v_add3_u32 v9, v9, v11, s4
	flat_store_short_d16_hi v[0:1], v9
	s_or_b64 s[54:55], s[46:47], exec
	s_xor_b64 s[48:49], exec, -1
.LBB274_2583:
	s_or_b64 exec, exec, s[50:51]
	s_andn2_b64 s[4:5], s[46:47], exec
	s_and_b64 s[50:51], s[54:55], exec
	s_or_b64 s[50:51], s[4:5], s[50:51]
	s_andn2_b64 s[4:5], s[40:41], exec
	s_and_b64 s[48:49], s[48:49], exec
	s_or_b64 s[48:49], s[4:5], s[48:49]
.LBB274_2584:
	s_or_saveexec_b64 s[52:53], s[52:53]
	s_mov_b64 s[54:55], 0
	s_xor_b64 exec, exec, s[52:53]
; %bb.2585:
	v_cmp_ne_u16_e64 s[4:5], 11, v21
	s_andn2_b64 s[48:49], s[48:49], exec
	s_and_b64 s[4:5], s[4:5], exec
	s_mov_b64 s[54:55], exec
	s_or_b64 s[48:49], s[48:49], s[4:5]
; %bb.2586:
	s_or_b64 exec, exec, s[52:53]
	s_andn2_b64 s[4:5], s[46:47], exec
	s_and_b64 s[46:47], s[50:51], exec
	s_andn2_b64 s[50:51], s[40:41], exec
	s_and_b64 s[48:49], s[48:49], exec
	s_or_b64 s[46:47], s[4:5], s[46:47]
	s_and_b64 s[4:5], s[54:55], exec
	s_or_b64 s[48:49], s[50:51], s[48:49]
.LBB274_2587:
	s_or_b64 exec, exec, s[44:45]
	s_andn2_b64 s[6:7], s[6:7], exec
	s_and_b64 s[44:45], s[46:47], exec
	s_or_b64 s[6:7], s[6:7], s[44:45]
	s_and_b64 s[44:45], s[4:5], exec
	s_andn2_b64 s[4:5], s[40:41], exec
	s_and_b64 s[40:41], s[48:49], exec
	s_or_b64 s[40:41], s[4:5], s[40:41]
	s_or_b64 exec, exec, s[42:43]
	s_mov_b64 s[4:5], s[30:31]
	s_and_saveexec_b64 s[42:43], s[40:41]
	s_cbranch_execz .LBB274_1789
.LBB274_2588:
	s_trap 2
	s_or_b64 s[4:5], s[30:31], exec
	s_andn2_b64 s[44:45], s[44:45], exec
	s_or_b64 exec, exec, s[42:43]
	s_and_saveexec_b64 s[40:41], s[44:45]
	s_xor_b64 s[40:41], exec, s[40:41]
	s_cbranch_execnz .LBB274_1790
	s_branch .LBB274_1791
.LBB274_2589:
	s_or_saveexec_b64 s[30:31], s[30:31]
	v_mov_b32_e32 v8, 0x7f800001
	s_xor_b64 exec, exec, s[30:31]
	s_cbranch_execz .LBB274_2332
.LBB274_2590:
	v_cmp_ne_u16_e64 s[4:5], 0, v15
	s_andn2_b64 s[28:29], s[28:29], exec
	s_and_b64 s[4:5], s[4:5], exec
	v_mov_b32_e32 v8, 0
	s_or_b64 s[28:29], s[28:29], s[4:5]
	s_or_b64 exec, exec, s[30:31]
	s_and_saveexec_b64 s[30:31], s[28:29]
	s_cbranch_execnz .LBB274_2333
	s_branch .LBB274_2334
.LBB274_2591:
	s_andn2_saveexec_b64 s[24:25], s[4:5]
	s_cbranch_execz .LBB274_133
.LBB274_2592:
	v_add_f32_e32 v2, 0x42800000, v3
	v_and_b32_e32 v2, 0xff, v2
	v_cmp_ne_u32_e64 s[4:5], 0, v2
	s_andn2_b64 s[22:23], s[22:23], exec
	s_and_b64 s[4:5], s[4:5], exec
	s_or_b64 s[22:23], s[22:23], s[4:5]
	s_or_b64 exec, exec, s[24:25]
	v_mov_b32_e32 v4, 0
	s_and_saveexec_b64 s[4:5], s[22:23]
	s_cbranch_execnz .LBB274_134
	s_branch .LBB274_135
.LBB274_2593:
	s_andn2_saveexec_b64 s[22:23], s[4:5]
	s_cbranch_execz .LBB274_207
.LBB274_2594:
	v_add_f32_e32 v2, 0x46000000, v3
	v_and_b32_e32 v2, 0xff, v2
	v_cmp_ne_u32_e64 s[4:5], 0, v2
	s_andn2_b64 s[20:21], s[20:21], exec
	s_and_b64 s[4:5], s[4:5], exec
	s_or_b64 s[20:21], s[20:21], s[4:5]
	s_or_b64 exec, exec, s[22:23]
	v_mov_b32_e32 v4, 0
	s_and_saveexec_b64 s[4:5], s[20:21]
	s_cbranch_execnz .LBB274_208
	s_branch .LBB274_209
.LBB274_2595:
	s_or_saveexec_b64 s[44:45], s[44:45]
	v_mov_b32_e32 v10, 0x7f800001
	s_xor_b64 exec, exec, s[44:45]
	s_cbranch_execz .LBB274_1369
.LBB274_2596:
	v_cmp_ne_u16_e64 s[4:5], 0, v13
	s_andn2_b64 s[42:43], s[42:43], exec
	s_and_b64 s[4:5], s[4:5], exec
	v_mov_b32_e32 v10, 0
	s_or_b64 s[42:43], s[42:43], s[4:5]
	s_or_b64 exec, exec, s[44:45]
	s_and_saveexec_b64 s[44:45], s[42:43]
	s_cbranch_execnz .LBB274_1370
	s_branch .LBB274_1371
.LBB274_2597:
	s_andn2_saveexec_b64 s[48:49], s[48:49]
	s_cbranch_execz .LBB274_1872
.LBB274_2598:
	v_cmp_lt_i16_e64 s[6:7], 22, v21
	s_mov_b64 s[52:53], s[8:9]
	s_and_saveexec_b64 s[50:51], s[6:7]
	s_xor_b64 s[50:51], exec, s[50:51]
	s_cbranch_execz .LBB274_2630
; %bb.2599:
	v_cmp_lt_i16_e64 s[6:7], 23, v21
	s_and_saveexec_b64 s[52:53], s[6:7]
	s_xor_b64 s[52:53], exec, s[52:53]
	s_cbranch_execz .LBB274_2619
; %bb.2600:
	v_cmp_lt_i16_e64 s[6:7], 24, v21
	s_and_saveexec_b64 s[54:55], s[6:7]
	s_xor_b64 s[54:55], exec, s[54:55]
	s_cbranch_execz .LBB274_2608
; %bb.2601:
	v_cndmask_b32_e64 v7, 0, 1.0, s[4:5]
	s_mov_b32 s6, 0x47800000
	v_cmp_gt_u32_e64 s[6:7], s6, v7
	v_mov_b32_e32 v9, 0x80
	s_and_saveexec_b64 s[56:57], s[6:7]
	s_cbranch_execz .LBB274_2607
; %bb.2602:
	s_mov_b32 s6, 0x37ffffff
	v_cmp_lt_u32_e64 s[6:7], s6, v7
	s_mov_b64 s[58:59], 0
                                        ; implicit-def: $vgpr6
	s_and_saveexec_b64 s[60:61], s[6:7]
	s_xor_b64 s[6:7], exec, s[60:61]
	s_cbranch_execz .LBB274_2748
; %bb.2603:
	v_bfe_u32 v6, v7, 21, 1
	s_mov_b32 s33, 0x88fffff
	v_add3_u32 v6, v7, v6, s33
	s_mov_b64 s[58:59], exec
	v_lshrrev_b32_e32 v6, 21, v6
                                        ; implicit-def: $vgpr7
	s_andn2_saveexec_b64 s[60:61], s[6:7]
	s_cbranch_execnz .LBB274_2749
.LBB274_2604:
	s_or_b64 exec, exec, s[60:61]
	v_mov_b32_e32 v9, 0
	s_and_saveexec_b64 s[6:7], s[58:59]
.LBB274_2605:
	v_mov_b32_e32 v9, v6
.LBB274_2606:
	s_or_b64 exec, exec, s[6:7]
.LBB274_2607:
	s_or_b64 exec, exec, s[56:57]
	flat_store_byte v[0:1], v9
.LBB274_2608:
	s_andn2_saveexec_b64 s[54:55], s[54:55]
	s_cbranch_execz .LBB274_2618
; %bb.2609:
	v_cndmask_b32_e64 v6, 0, 1.0, s[4:5]
	s_mov_b32 s6, 0x43f00000
	v_cmp_gt_u32_e64 s[6:7], s6, v6
                                        ; implicit-def: $vgpr7
	s_and_saveexec_b64 s[56:57], s[6:7]
	s_xor_b64 s[56:57], exec, s[56:57]
	s_cbranch_execz .LBB274_2615
; %bb.2610:
	s_mov_b32 s6, 0x3c7fffff
	v_cmp_lt_u32_e64 s[6:7], s6, v6
                                        ; implicit-def: $vgpr7
	s_and_saveexec_b64 s[58:59], s[6:7]
	s_xor_b64 s[58:59], exec, s[58:59]
; %bb.2611:
	v_bfe_u32 v7, v6, 20, 1
	s_mov_b32 s6, 0x407ffff
	v_add3_u32 v6, v6, v7, s6
	v_lshrrev_b32_e32 v7, 20, v6
	v_and_b32_e32 v6, 0xff00000, v6
	s_mov_b32 s6, 0x7f00000
	v_mov_b32_e32 v9, 0x7e
	v_cmp_ne_u32_e64 s[6:7], s6, v6
	v_cndmask_b32_e64 v7, v9, v7, s[6:7]
                                        ; implicit-def: $vgpr6
; %bb.2612:
	s_andn2_saveexec_b64 s[6:7], s[58:59]
; %bb.2613:
	v_add_f32_e32 v7, 0x46800000, v6
; %bb.2614:
	s_or_b64 exec, exec, s[6:7]
                                        ; implicit-def: $vgpr6
.LBB274_2615:
	s_andn2_saveexec_b64 s[56:57], s[56:57]
; %bb.2616:
	s_mov_b32 s6, 0x7f800000
	v_mov_b32_e32 v7, 0x7e
	v_mov_b32_e32 v9, 0x7f
	v_cmp_lt_u32_e64 s[6:7], s6, v6
	v_cndmask_b32_e64 v7, v7, v9, s[6:7]
; %bb.2617:
	s_or_b64 exec, exec, s[56:57]
	flat_store_byte v[0:1], v7
.LBB274_2618:
	s_or_b64 exec, exec, s[54:55]
.LBB274_2619:
	s_andn2_saveexec_b64 s[52:53], s[52:53]
	s_cbranch_execz .LBB274_2629
; %bb.2620:
	v_cndmask_b32_e64 v6, 0, 1.0, s[4:5]
	s_mov_b32 s6, 0x47800000
	v_cmp_gt_u32_e64 s[6:7], s6, v6
                                        ; implicit-def: $vgpr7
	s_and_saveexec_b64 s[54:55], s[6:7]
	s_xor_b64 s[54:55], exec, s[54:55]
	s_cbranch_execz .LBB274_2626
; %bb.2621:
	s_mov_b32 s6, 0x387fffff
	v_cmp_lt_u32_e64 s[6:7], s6, v6
                                        ; implicit-def: $vgpr7
	s_and_saveexec_b64 s[56:57], s[6:7]
	s_xor_b64 s[6:7], exec, s[56:57]
; %bb.2622:
	v_bfe_u32 v7, v6, 21, 1
	s_mov_b32 s33, 0x80fffff
	v_add3_u32 v6, v6, v7, s33
	v_lshrrev_b32_e32 v7, 21, v6
                                        ; implicit-def: $vgpr6
; %bb.2623:
	s_andn2_saveexec_b64 s[6:7], s[6:7]
; %bb.2624:
	v_add_f32_e32 v7, 0x43000000, v6
; %bb.2625:
	s_or_b64 exec, exec, s[6:7]
                                        ; implicit-def: $vgpr6
.LBB274_2626:
	s_andn2_saveexec_b64 s[54:55], s[54:55]
; %bb.2627:
	s_mov_b32 s6, 0x7f800000
	v_mov_b32_e32 v7, 0x7c
	v_mov_b32_e32 v9, 0x7f
	v_cmp_lt_u32_e64 s[6:7], s6, v6
	v_cndmask_b32_e64 v7, v7, v9, s[6:7]
; %bb.2628:
	s_or_b64 exec, exec, s[54:55]
	flat_store_byte v[0:1], v7
.LBB274_2629:
	s_or_b64 exec, exec, s[52:53]
	s_or_b64 s[52:53], s[8:9], exec
.LBB274_2630:
	s_or_saveexec_b64 s[50:51], s[50:51]
	s_mov_b64 s[6:7], 0
	s_mov_b64 s[54:55], s[44:45]
	s_xor_b64 exec, exec, s[50:51]
	s_cbranch_execz .LBB274_2638
; %bb.2631:
	v_cmp_lt_i16_e64 s[6:7], 14, v21
	s_mov_b64 s[54:55], s[44:45]
	s_mov_b64 s[56:57], s[52:53]
	s_and_saveexec_b64 s[58:59], s[6:7]
	s_xor_b64 s[58:59], exec, s[58:59]
	s_cbranch_execz .LBB274_2635
; %bb.2632:
	v_cmp_eq_u16_e64 s[6:7], 15, v21
	s_mov_b64 s[54:55], -1
	s_mov_b64 s[60:61], s[52:53]
	s_and_saveexec_b64 s[56:57], s[6:7]
	s_cbranch_execz .LBB274_2634
; %bb.2633:
	v_cndmask_b32_e64 v6, 0, 1.0, s[4:5]
	v_bfe_u32 v7, v6, 16, 1
	s_movk_i32 s6, 0x7fff
	v_add3_u32 v6, v6, v7, s6
	flat_store_short_d16_hi v[0:1], v6
	s_or_b64 s[60:61], s[52:53], exec
	s_xor_b64 s[54:55], exec, -1
.LBB274_2634:
	s_or_b64 exec, exec, s[56:57]
	s_andn2_b64 s[6:7], s[52:53], exec
	s_and_b64 s[56:57], s[60:61], exec
	s_or_b64 s[56:57], s[6:7], s[56:57]
	s_andn2_b64 s[6:7], s[44:45], exec
	s_and_b64 s[54:55], s[54:55], exec
	s_or_b64 s[54:55], s[6:7], s[54:55]
.LBB274_2635:
	s_or_saveexec_b64 s[58:59], s[58:59]
	s_mov_b64 s[60:61], 0
	s_xor_b64 exec, exec, s[58:59]
; %bb.2636:
	v_cmp_ne_u16_e64 s[6:7], 11, v21
	s_andn2_b64 s[54:55], s[54:55], exec
	s_and_b64 s[6:7], s[6:7], exec
	s_mov_b64 s[60:61], exec
	s_or_b64 s[54:55], s[54:55], s[6:7]
; %bb.2637:
	s_or_b64 exec, exec, s[58:59]
	s_andn2_b64 s[6:7], s[52:53], exec
	s_and_b64 s[52:53], s[56:57], exec
	s_andn2_b64 s[56:57], s[44:45], exec
	s_and_b64 s[54:55], s[54:55], exec
	s_or_b64 s[52:53], s[6:7], s[52:53]
	s_and_b64 s[6:7], s[60:61], exec
	s_or_b64 s[54:55], s[56:57], s[54:55]
.LBB274_2638:
	s_or_b64 exec, exec, s[50:51]
	s_andn2_b64 s[8:9], s[8:9], exec
	s_and_b64 s[50:51], s[52:53], exec
	s_or_b64 s[8:9], s[8:9], s[50:51]
	s_and_b64 s[50:51], s[6:7], exec
	s_andn2_b64 s[6:7], s[44:45], exec
	s_and_b64 s[44:45], s[54:55], exec
	s_or_b64 s[44:45], s[6:7], s[44:45]
	s_or_b64 exec, exec, s[48:49]
	s_mov_b64 s[6:7], s[40:41]
	s_and_saveexec_b64 s[48:49], s[44:45]
	s_cbranch_execz .LBB274_1873
.LBB274_2639:
	s_trap 2
	s_or_b64 s[6:7], s[40:41], exec
	s_andn2_b64 s[50:51], s[50:51], exec
	s_or_b64 exec, exec, s[48:49]
	s_and_saveexec_b64 s[44:45], s[50:51]
	s_xor_b64 s[44:45], exec, s[44:45]
	s_cbranch_execnz .LBB274_1874
	s_branch .LBB274_1875
.LBB274_2640:
	s_or_saveexec_b64 s[40:41], s[40:41]
	v_mov_b32_e32 v15, 0x7f800001
	s_xor_b64 exec, exec, s[40:41]
	s_cbranch_execz .LBB274_2385
.LBB274_2641:
	v_cmp_ne_u16_e64 s[4:5], 0, v21
	s_andn2_b64 s[38:39], s[38:39], exec
	s_and_b64 s[4:5], s[4:5], exec
	v_mov_b32_e32 v15, 0
	s_or_b64 s[38:39], s[38:39], s[4:5]
	s_or_b64 exec, exec, s[40:41]
	s_and_saveexec_b64 s[40:41], s[38:39]
	s_cbranch_execnz .LBB274_2386
	s_branch .LBB274_2387
.LBB274_2642:
	s_andn2_saveexec_b64 s[24:25], s[4:5]
	s_cbranch_execz .LBB274_220
.LBB274_2643:
	v_add_f32_e32 v2, 0x42800000, v3
	v_and_b32_e32 v2, 0xff, v2
	v_cmp_ne_u32_e64 s[4:5], 0, v2
	s_andn2_b64 s[22:23], s[22:23], exec
	s_and_b64 s[4:5], s[4:5], exec
	s_or_b64 s[22:23], s[22:23], s[4:5]
	s_or_b64 exec, exec, s[24:25]
	v_mov_b32_e32 v4, 0
	s_and_saveexec_b64 s[4:5], s[22:23]
	s_cbranch_execnz .LBB274_221
	s_branch .LBB274_222
.LBB274_2644:
	s_andn2_saveexec_b64 s[20:21], s[20:21]
	s_cbranch_execz .LBB274_294
.LBB274_2645:
	v_add_f32_e32 v3, 0x46000000, v4
	v_and_b32_e32 v3, 0xff, v3
	v_cmp_ne_u32_e32 vcc, 0, v3
	s_andn2_b64 s[18:19], s[18:19], exec
	s_and_b64 s[22:23], vcc, exec
	s_or_b64 s[18:19], s[18:19], s[22:23]
	s_or_b64 exec, exec, s[20:21]
	v_mov_b32_e32 v5, 0
	s_and_saveexec_b64 s[20:21], s[18:19]
	s_cbranch_execnz .LBB274_295
	s_branch .LBB274_296
.LBB274_2646:
	s_or_saveexec_b64 s[48:49], s[48:49]
	v_mov_b32_e32 v9, 0x7f800001
	s_xor_b64 exec, exec, s[48:49]
	s_cbranch_execz .LBB274_1595
.LBB274_2647:
	v_cmp_ne_u16_e64 s[4:5], 0, v10
	s_andn2_b64 s[46:47], s[46:47], exec
	s_and_b64 s[4:5], s[4:5], exec
	v_mov_b32_e32 v9, 0
	s_or_b64 s[46:47], s[46:47], s[4:5]
	s_or_b64 exec, exec, s[48:49]
	s_and_saveexec_b64 s[48:49], s[46:47]
	s_cbranch_execnz .LBB274_1596
	s_branch .LBB274_1597
.LBB274_2648:
	s_andn2_saveexec_b64 s[52:53], s[52:53]
	s_cbranch_execz .LBB274_1956
.LBB274_2649:
	v_cmp_lt_i16_e64 s[6:7], 22, v21
	s_mov_b64 s[56:57], s[50:51]
	s_and_saveexec_b64 s[54:55], s[6:7]
	s_xor_b64 s[54:55], exec, s[54:55]
	s_cbranch_execz .LBB274_2681
; %bb.2650:
	v_cmp_lt_i16_e64 s[6:7], 23, v21
	s_and_saveexec_b64 s[56:57], s[6:7]
	s_xor_b64 s[56:57], exec, s[56:57]
	s_cbranch_execz .LBB274_2670
; %bb.2651:
	v_cmp_lt_i16_e64 s[6:7], 24, v21
	s_and_saveexec_b64 s[58:59], s[6:7]
	s_xor_b64 s[58:59], exec, s[58:59]
	s_cbranch_execz .LBB274_2659
; %bb.2652:
	v_cndmask_b32_e64 v7, 0, 1.0, s[4:5]
	s_mov_b32 s6, 0x47800000
	v_cmp_gt_u32_e64 s[6:7], s6, v7
	v_mov_b32_e32 v8, 0x80
	s_and_saveexec_b64 s[60:61], s[6:7]
	s_cbranch_execz .LBB274_2658
; %bb.2653:
	s_mov_b32 s6, 0x37ffffff
	v_cmp_lt_u32_e64 s[6:7], s6, v7
	s_mov_b64 s[62:63], 0
                                        ; implicit-def: $vgpr6
	s_and_saveexec_b64 s[64:65], s[6:7]
	s_xor_b64 s[6:7], exec, s[64:65]
	s_cbranch_execz .LBB274_2752
; %bb.2654:
	v_bfe_u32 v6, v7, 21, 1
	s_mov_b32 s33, 0x88fffff
	v_add3_u32 v6, v7, v6, s33
	s_mov_b64 s[62:63], exec
	v_lshrrev_b32_e32 v6, 21, v6
                                        ; implicit-def: $vgpr7
	s_andn2_saveexec_b64 s[64:65], s[6:7]
	s_cbranch_execnz .LBB274_2753
.LBB274_2655:
	s_or_b64 exec, exec, s[64:65]
	v_mov_b32_e32 v8, 0
	s_and_saveexec_b64 s[6:7], s[62:63]
.LBB274_2656:
	v_mov_b32_e32 v8, v6
.LBB274_2657:
	s_or_b64 exec, exec, s[6:7]
.LBB274_2658:
	s_or_b64 exec, exec, s[60:61]
	flat_store_byte v[0:1], v8
.LBB274_2659:
	s_andn2_saveexec_b64 s[58:59], s[58:59]
	s_cbranch_execz .LBB274_2669
; %bb.2660:
	v_cndmask_b32_e64 v6, 0, 1.0, s[4:5]
	s_mov_b32 s6, 0x43f00000
	v_cmp_gt_u32_e64 s[6:7], s6, v6
                                        ; implicit-def: $vgpr7
	s_and_saveexec_b64 s[60:61], s[6:7]
	s_xor_b64 s[60:61], exec, s[60:61]
	s_cbranch_execz .LBB274_2666
; %bb.2661:
	s_mov_b32 s6, 0x3c7fffff
	v_cmp_lt_u32_e64 s[6:7], s6, v6
                                        ; implicit-def: $vgpr7
	s_and_saveexec_b64 s[62:63], s[6:7]
	s_xor_b64 s[62:63], exec, s[62:63]
; %bb.2662:
	v_bfe_u32 v7, v6, 20, 1
	s_mov_b32 s6, 0x407ffff
	v_add3_u32 v6, v6, v7, s6
	v_lshrrev_b32_e32 v7, 20, v6
	v_and_b32_e32 v6, 0xff00000, v6
	s_mov_b32 s6, 0x7f00000
	v_mov_b32_e32 v8, 0x7e
	v_cmp_ne_u32_e64 s[6:7], s6, v6
	v_cndmask_b32_e64 v7, v8, v7, s[6:7]
                                        ; implicit-def: $vgpr6
; %bb.2663:
	s_andn2_saveexec_b64 s[6:7], s[62:63]
; %bb.2664:
	v_add_f32_e32 v7, 0x46800000, v6
; %bb.2665:
	s_or_b64 exec, exec, s[6:7]
                                        ; implicit-def: $vgpr6
.LBB274_2666:
	s_andn2_saveexec_b64 s[60:61], s[60:61]
; %bb.2667:
	s_mov_b32 s6, 0x7f800000
	v_mov_b32_e32 v7, 0x7e
	v_mov_b32_e32 v8, 0x7f
	v_cmp_lt_u32_e64 s[6:7], s6, v6
	v_cndmask_b32_e64 v7, v7, v8, s[6:7]
; %bb.2668:
	s_or_b64 exec, exec, s[60:61]
	flat_store_byte v[0:1], v7
.LBB274_2669:
	s_or_b64 exec, exec, s[58:59]
.LBB274_2670:
	s_andn2_saveexec_b64 s[56:57], s[56:57]
	s_cbranch_execz .LBB274_2680
; %bb.2671:
	v_cndmask_b32_e64 v6, 0, 1.0, s[4:5]
	s_mov_b32 s6, 0x47800000
	v_cmp_gt_u32_e64 s[6:7], s6, v6
                                        ; implicit-def: $vgpr7
	s_and_saveexec_b64 s[58:59], s[6:7]
	s_xor_b64 s[58:59], exec, s[58:59]
	s_cbranch_execz .LBB274_2677
; %bb.2672:
	s_mov_b32 s6, 0x387fffff
	v_cmp_lt_u32_e64 s[6:7], s6, v6
                                        ; implicit-def: $vgpr7
	s_and_saveexec_b64 s[60:61], s[6:7]
	s_xor_b64 s[6:7], exec, s[60:61]
; %bb.2673:
	v_bfe_u32 v7, v6, 21, 1
	s_mov_b32 s33, 0x80fffff
	v_add3_u32 v6, v6, v7, s33
	v_lshrrev_b32_e32 v7, 21, v6
                                        ; implicit-def: $vgpr6
; %bb.2674:
	s_andn2_saveexec_b64 s[6:7], s[6:7]
; %bb.2675:
	v_add_f32_e32 v7, 0x43000000, v6
; %bb.2676:
	s_or_b64 exec, exec, s[6:7]
                                        ; implicit-def: $vgpr6
.LBB274_2677:
	s_andn2_saveexec_b64 s[58:59], s[58:59]
; %bb.2678:
	s_mov_b32 s6, 0x7f800000
	v_mov_b32_e32 v7, 0x7c
	v_mov_b32_e32 v8, 0x7f
	v_cmp_lt_u32_e64 s[6:7], s6, v6
	v_cndmask_b32_e64 v7, v7, v8, s[6:7]
; %bb.2679:
	s_or_b64 exec, exec, s[58:59]
	flat_store_byte v[0:1], v7
.LBB274_2680:
	s_or_b64 exec, exec, s[56:57]
	s_or_b64 s[56:57], s[50:51], exec
.LBB274_2681:
	s_or_saveexec_b64 s[54:55], s[54:55]
	s_mov_b64 s[6:7], 0
	s_mov_b64 s[58:59], s[8:9]
	s_xor_b64 exec, exec, s[54:55]
	s_cbranch_execz .LBB274_2689
; %bb.2682:
	v_cmp_lt_i16_e64 s[6:7], 14, v21
	s_mov_b64 s[58:59], s[8:9]
	s_mov_b64 s[60:61], s[56:57]
	s_and_saveexec_b64 s[62:63], s[6:7]
	s_xor_b64 s[62:63], exec, s[62:63]
	s_cbranch_execz .LBB274_2686
; %bb.2683:
	v_cmp_eq_u16_e64 s[6:7], 15, v21
	s_mov_b64 s[58:59], -1
	s_mov_b64 s[64:65], s[56:57]
	s_and_saveexec_b64 s[60:61], s[6:7]
	s_cbranch_execz .LBB274_2685
; %bb.2684:
	v_cndmask_b32_e64 v6, 0, 1.0, s[4:5]
	v_bfe_u32 v7, v6, 16, 1
	s_movk_i32 s6, 0x7fff
	v_add3_u32 v6, v6, v7, s6
	flat_store_short_d16_hi v[0:1], v6
	s_or_b64 s[64:65], s[56:57], exec
	s_xor_b64 s[58:59], exec, -1
.LBB274_2685:
	s_or_b64 exec, exec, s[60:61]
	s_andn2_b64 s[6:7], s[56:57], exec
	s_and_b64 s[60:61], s[64:65], exec
	s_or_b64 s[60:61], s[6:7], s[60:61]
	s_andn2_b64 s[6:7], s[8:9], exec
	s_and_b64 s[58:59], s[58:59], exec
	s_or_b64 s[58:59], s[6:7], s[58:59]
.LBB274_2686:
	s_or_saveexec_b64 s[62:63], s[62:63]
	s_mov_b64 s[64:65], 0
	s_xor_b64 exec, exec, s[62:63]
; %bb.2687:
	v_cmp_ne_u16_e64 s[6:7], 11, v21
	s_andn2_b64 s[58:59], s[58:59], exec
	s_and_b64 s[6:7], s[6:7], exec
	s_mov_b64 s[64:65], exec
	s_or_b64 s[58:59], s[58:59], s[6:7]
; %bb.2688:
	s_or_b64 exec, exec, s[62:63]
	s_andn2_b64 s[6:7], s[56:57], exec
	s_and_b64 s[56:57], s[60:61], exec
	s_andn2_b64 s[60:61], s[8:9], exec
	s_and_b64 s[58:59], s[58:59], exec
	s_or_b64 s[56:57], s[6:7], s[56:57]
	s_and_b64 s[6:7], s[64:65], exec
	s_or_b64 s[58:59], s[60:61], s[58:59]
.LBB274_2689:
	s_or_b64 exec, exec, s[54:55]
	s_andn2_b64 s[50:51], s[50:51], exec
	s_and_b64 s[54:55], s[56:57], exec
	s_or_b64 s[50:51], s[50:51], s[54:55]
	s_and_b64 s[54:55], s[6:7], exec
	s_andn2_b64 s[6:7], s[8:9], exec
	s_and_b64 s[8:9], s[58:59], exec
	s_or_b64 s[8:9], s[6:7], s[8:9]
	s_or_b64 exec, exec, s[52:53]
	s_mov_b64 s[6:7], s[44:45]
	s_and_saveexec_b64 s[52:53], s[8:9]
	s_cbranch_execz .LBB274_1957
.LBB274_2690:
	s_trap 2
	s_or_b64 s[6:7], s[44:45], exec
	s_andn2_b64 s[54:55], s[54:55], exec
	s_or_b64 exec, exec, s[52:53]
	s_and_saveexec_b64 s[8:9], s[54:55]
	s_xor_b64 s[8:9], exec, s[8:9]
	s_cbranch_execnz .LBB274_1958
	s_branch .LBB274_1959
.LBB274_2691:
	s_or_saveexec_b64 s[44:45], s[44:45]
	v_mov_b32_e32 v10, 0x7f800001
	s_xor_b64 exec, exec, s[44:45]
	s_cbranch_execz .LBB274_2438
.LBB274_2692:
	v_cmp_ne_u16_e64 s[4:5], 0, v13
	s_andn2_b64 s[42:43], s[42:43], exec
	s_and_b64 s[4:5], s[4:5], exec
	v_mov_b32_e32 v10, 0
	s_or_b64 s[42:43], s[42:43], s[4:5]
	s_or_b64 exec, exec, s[44:45]
	s_and_saveexec_b64 s[44:45], s[42:43]
	s_cbranch_execnz .LBB274_2439
	s_branch .LBB274_2440
.LBB274_2693:
	s_andn2_saveexec_b64 s[22:23], s[22:23]
	s_cbranch_execz .LBB274_307
.LBB274_2694:
	v_add_f32_e32 v3, 0x42800000, v4
	v_and_b32_e32 v3, 0xff, v3
	v_cmp_ne_u32_e32 vcc, 0, v3
	s_andn2_b64 s[20:21], s[20:21], exec
	s_and_b64 s[24:25], vcc, exec
	s_or_b64 s[20:21], s[20:21], s[24:25]
	s_or_b64 exec, exec, s[22:23]
	v_mov_b32_e32 v5, 0
	s_and_saveexec_b64 s[22:23], s[20:21]
	s_cbranch_execnz .LBB274_308
	s_branch .LBB274_309
.LBB274_2695:
	s_andn2_saveexec_b64 s[52:53], s[52:53]
	s_cbranch_execz .LBB274_2040
.LBB274_2696:
	v_cmp_lt_i16_e32 vcc, 22, v21
	s_and_saveexec_b64 s[54:55], vcc
	s_xor_b64 s[54:55], exec, s[54:55]
	s_cbranch_execz .LBB274_2728
; %bb.2697:
	v_cmp_lt_i16_e32 vcc, 23, v21
	s_and_saveexec_b64 s[56:57], vcc
	s_xor_b64 s[56:57], exec, s[56:57]
	s_cbranch_execz .LBB274_2717
; %bb.2698:
	;; [unrolled: 5-line block ×3, first 2 shown]
	v_cndmask_b32_e64 v3, 0, 1.0, s[6:7]
	s_mov_b32 s33, 0x47800000
	v_cmp_gt_u32_e32 vcc, s33, v3
	v_mov_b32_e32 v4, 0x80
	s_and_saveexec_b64 s[60:61], vcc
	s_cbranch_execz .LBB274_2705
; %bb.2700:
	s_mov_b32 s33, 0x37ffffff
	v_cmp_lt_u32_e32 vcc, s33, v3
	s_mov_b64 s[62:63], 0
                                        ; implicit-def: $vgpr2
	s_and_saveexec_b64 s[64:65], vcc
	s_xor_b64 s[64:65], exec, s[64:65]
	s_cbranch_execz .LBB274_2754
; %bb.2701:
	v_bfe_u32 v2, v3, 21, 1
	s_mov_b32 s33, 0x88fffff
	v_add3_u32 v2, v3, v2, s33
	s_mov_b64 s[62:63], exec
	v_lshrrev_b32_e32 v2, 21, v2
                                        ; implicit-def: $vgpr3
	s_andn2_saveexec_b64 s[64:65], s[64:65]
	s_cbranch_execnz .LBB274_2755
.LBB274_2702:
	s_or_b64 exec, exec, s[64:65]
	v_mov_b32_e32 v4, 0
	s_and_saveexec_b64 s[64:65], s[62:63]
.LBB274_2703:
	v_mov_b32_e32 v4, v2
.LBB274_2704:
	s_or_b64 exec, exec, s[64:65]
.LBB274_2705:
	s_or_b64 exec, exec, s[60:61]
	flat_store_byte v[0:1], v4
.LBB274_2706:
	s_andn2_saveexec_b64 s[58:59], s[58:59]
	s_cbranch_execz .LBB274_2716
; %bb.2707:
	v_cndmask_b32_e64 v2, 0, 1.0, s[6:7]
	s_mov_b32 s33, 0x43f00000
	v_cmp_gt_u32_e32 vcc, s33, v2
                                        ; implicit-def: $vgpr3
	s_and_saveexec_b64 s[60:61], vcc
	s_xor_b64 s[60:61], exec, s[60:61]
	s_cbranch_execz .LBB274_2713
; %bb.2708:
	s_mov_b32 s33, 0x3c7fffff
	v_cmp_lt_u32_e32 vcc, s33, v2
                                        ; implicit-def: $vgpr3
	s_and_saveexec_b64 s[62:63], vcc
	s_xor_b64 s[62:63], exec, s[62:63]
; %bb.2709:
	v_bfe_u32 v3, v2, 20, 1
	s_mov_b32 s33, 0x407ffff
	v_add3_u32 v2, v2, v3, s33
	v_lshrrev_b32_e32 v3, 20, v2
	v_and_b32_e32 v2, 0xff00000, v2
	s_mov_b32 s33, 0x7f00000
	v_mov_b32_e32 v4, 0x7e
	v_cmp_ne_u32_e32 vcc, s33, v2
	v_cndmask_b32_e32 v3, v4, v3, vcc
                                        ; implicit-def: $vgpr2
; %bb.2710:
	s_andn2_saveexec_b64 s[62:63], s[62:63]
; %bb.2711:
	v_add_f32_e32 v3, 0x46800000, v2
; %bb.2712:
	s_or_b64 exec, exec, s[62:63]
                                        ; implicit-def: $vgpr2
.LBB274_2713:
	s_andn2_saveexec_b64 s[60:61], s[60:61]
; %bb.2714:
	s_mov_b32 s33, 0x7f800000
	v_mov_b32_e32 v3, 0x7e
	v_mov_b32_e32 v4, 0x7f
	v_cmp_lt_u32_e32 vcc, s33, v2
	v_cndmask_b32_e32 v3, v3, v4, vcc
; %bb.2715:
	s_or_b64 exec, exec, s[60:61]
	flat_store_byte v[0:1], v3
.LBB274_2716:
	s_or_b64 exec, exec, s[58:59]
.LBB274_2717:
	s_andn2_saveexec_b64 s[56:57], s[56:57]
	s_cbranch_execz .LBB274_2727
; %bb.2718:
	v_cndmask_b32_e64 v2, 0, 1.0, s[6:7]
	s_mov_b32 s33, 0x47800000
	v_cmp_gt_u32_e32 vcc, s33, v2
                                        ; implicit-def: $vgpr3
	s_and_saveexec_b64 s[58:59], vcc
	s_xor_b64 s[58:59], exec, s[58:59]
	s_cbranch_execz .LBB274_2724
; %bb.2719:
	s_mov_b32 s33, 0x387fffff
	v_cmp_lt_u32_e32 vcc, s33, v2
                                        ; implicit-def: $vgpr3
	s_and_saveexec_b64 s[60:61], vcc
	s_xor_b64 s[60:61], exec, s[60:61]
; %bb.2720:
	v_bfe_u32 v3, v2, 21, 1
	s_mov_b32 s33, 0x80fffff
	v_add3_u32 v2, v2, v3, s33
	v_lshrrev_b32_e32 v3, 21, v2
                                        ; implicit-def: $vgpr2
; %bb.2721:
	s_andn2_saveexec_b64 s[60:61], s[60:61]
; %bb.2722:
	v_add_f32_e32 v3, 0x43000000, v2
; %bb.2723:
	s_or_b64 exec, exec, s[60:61]
                                        ; implicit-def: $vgpr2
.LBB274_2724:
	s_andn2_saveexec_b64 s[58:59], s[58:59]
; %bb.2725:
	s_mov_b32 s33, 0x7f800000
	v_mov_b32_e32 v3, 0x7c
	v_mov_b32_e32 v4, 0x7f
	v_cmp_lt_u32_e32 vcc, s33, v2
	v_cndmask_b32_e32 v3, v3, v4, vcc
; %bb.2726:
	s_or_b64 exec, exec, s[58:59]
	flat_store_byte v[0:1], v3
.LBB274_2727:
	s_or_b64 exec, exec, s[56:57]
.LBB274_2728:
	s_or_saveexec_b64 s[54:55], s[54:55]
	s_mov_b64 s[58:59], 0
	s_mov_b64 s[56:57], s[4:5]
	s_xor_b64 exec, exec, s[54:55]
	s_cbranch_execz .LBB274_2736
; %bb.2729:
	v_cmp_lt_i16_e32 vcc, 14, v21
	s_mov_b64 s[56:57], s[4:5]
	s_and_saveexec_b64 s[58:59], vcc
	s_xor_b64 s[58:59], exec, s[58:59]
	s_cbranch_execz .LBB274_2733
; %bb.2730:
	v_cmp_eq_u16_e32 vcc, 15, v21
	s_mov_b64 s[60:61], -1
	s_and_saveexec_b64 s[56:57], vcc
	s_cbranch_execz .LBB274_2732
; %bb.2731:
	v_cndmask_b32_e64 v2, 0, 1.0, s[6:7]
	v_bfe_u32 v3, v2, 16, 1
	s_movk_i32 s33, 0x7fff
	v_add3_u32 v2, v2, v3, s33
	flat_store_short_d16_hi v[0:1], v2
	s_xor_b64 s[60:61], exec, -1
.LBB274_2732:
	s_or_b64 exec, exec, s[56:57]
	s_andn2_b64 s[56:57], s[4:5], exec
	s_and_b64 s[60:61], s[60:61], exec
	s_or_b64 s[56:57], s[56:57], s[60:61]
.LBB274_2733:
	s_or_saveexec_b64 s[58:59], s[58:59]
	s_mov_b64 s[60:61], 0
	s_xor_b64 exec, exec, s[58:59]
; %bb.2734:
	v_cmp_ne_u16_e32 vcc, 11, v21
	s_andn2_b64 s[56:57], s[56:57], exec
	s_and_b64 s[62:63], vcc, exec
	s_mov_b64 s[60:61], exec
	s_or_b64 s[56:57], s[56:57], s[62:63]
; %bb.2735:
	s_or_b64 exec, exec, s[58:59]
	s_and_b64 s[58:59], s[60:61], exec
	s_andn2_b64 s[60:61], s[4:5], exec
	s_and_b64 s[56:57], s[56:57], exec
	s_or_b64 s[56:57], s[60:61], s[56:57]
.LBB274_2736:
	s_or_b64 exec, exec, s[54:55]
	s_andn2_b64 s[4:5], s[4:5], exec
	s_and_b64 s[56:57], s[56:57], exec
	s_and_b64 s[54:55], s[58:59], exec
	s_or_b64 s[4:5], s[4:5], s[56:57]
	s_or_b64 exec, exec, s[52:53]
	s_mov_b64 s[56:57], s[8:9]
	s_and_saveexec_b64 s[52:53], s[4:5]
	s_cbranch_execz .LBB274_2041
.LBB274_2737:
	s_andn2_b64 s[54:55], s[54:55], exec
	s_or_b64 s[56:57], s[8:9], exec
	s_trap 2
	s_branch .LBB274_2041
.LBB274_2738:
	s_or_saveexec_b64 s[48:49], s[48:49]
	v_mov_b32_e32 v9, 0x7f800001
	s_xor_b64 exec, exec, s[48:49]
	s_cbranch_execz .LBB274_2495
.LBB274_2739:
	v_cmp_ne_u16_e64 s[4:5], 0, v10
	s_andn2_b64 s[46:47], s[46:47], exec
	s_and_b64 s[4:5], s[4:5], exec
	v_mov_b32_e32 v9, 0
	s_or_b64 s[46:47], s[46:47], s[4:5]
	s_or_b64 exec, exec, s[48:49]
	s_and_saveexec_b64 s[48:49], s[46:47]
	s_cbranch_execnz .LBB274_2496
	s_branch .LBB274_2497
.LBB274_2740:
	s_andn2_saveexec_b64 s[54:55], s[4:5]
	s_cbranch_execz .LBB274_1782
.LBB274_2741:
	v_add_f32_e32 v9, 0x46000000, v11
	v_and_b32_e32 v9, 0xff, v9
	v_cmp_ne_u32_e64 s[4:5], 0, v9
	s_andn2_b64 s[52:53], s[52:53], exec
	s_and_b64 s[4:5], s[4:5], exec
	s_or_b64 s[52:53], s[52:53], s[4:5]
	s_or_b64 exec, exec, s[54:55]
	v_mov_b32_e32 v12, 0
	s_and_saveexec_b64 s[4:5], s[52:53]
	s_cbranch_execnz .LBB274_1783
	s_branch .LBB274_1784
.LBB274_2742:
	s_andn2_saveexec_b64 s[60:61], s[6:7]
	s_cbranch_execz .LBB274_1866
.LBB274_2743:
	v_add_f32_e32 v6, 0x46000000, v7
	v_and_b32_e32 v6, 0xff, v6
	v_cmp_ne_u32_e64 s[6:7], 0, v6
	s_andn2_b64 s[58:59], s[58:59], exec
	s_and_b64 s[6:7], s[6:7], exec
	s_or_b64 s[58:59], s[58:59], s[6:7]
	s_or_b64 exec, exec, s[60:61]
	v_mov_b32_e32 v9, 0
	s_and_saveexec_b64 s[6:7], s[58:59]
	s_cbranch_execnz .LBB274_1867
	s_branch .LBB274_1868
.LBB274_2744:
	s_andn2_saveexec_b64 s[54:55], s[4:5]
	s_cbranch_execz .LBB274_2553
.LBB274_2745:
	v_add_f32_e32 v9, 0x42800000, v11
	v_and_b32_e32 v9, 0xff, v9
	v_cmp_ne_u32_e64 s[4:5], 0, v9
	s_andn2_b64 s[52:53], s[52:53], exec
	s_and_b64 s[4:5], s[4:5], exec
	s_or_b64 s[52:53], s[52:53], s[4:5]
	s_or_b64 exec, exec, s[54:55]
	v_mov_b32_e32 v12, 0
	s_and_saveexec_b64 s[4:5], s[52:53]
	s_cbranch_execnz .LBB274_2554
	s_branch .LBB274_2555
.LBB274_2746:
	s_andn2_saveexec_b64 s[64:65], s[6:7]
	s_cbranch_execz .LBB274_1950
.LBB274_2747:
	v_add_f32_e32 v6, 0x46000000, v7
	v_and_b32_e32 v6, 0xff, v6
	v_cmp_ne_u32_e64 s[6:7], 0, v6
	s_andn2_b64 s[62:63], s[62:63], exec
	s_and_b64 s[6:7], s[6:7], exec
	s_or_b64 s[62:63], s[62:63], s[6:7]
	s_or_b64 exec, exec, s[64:65]
	v_mov_b32_e32 v8, 0
	s_and_saveexec_b64 s[6:7], s[62:63]
	s_cbranch_execnz .LBB274_1951
	s_branch .LBB274_1952
.LBB274_2748:
	s_andn2_saveexec_b64 s[60:61], s[6:7]
	s_cbranch_execz .LBB274_2604
.LBB274_2749:
	v_add_f32_e32 v6, 0x42800000, v7
	v_and_b32_e32 v6, 0xff, v6
	v_cmp_ne_u32_e64 s[6:7], 0, v6
	s_andn2_b64 s[58:59], s[58:59], exec
	s_and_b64 s[6:7], s[6:7], exec
	s_or_b64 s[58:59], s[58:59], s[6:7]
	s_or_b64 exec, exec, s[60:61]
	v_mov_b32_e32 v9, 0
	s_and_saveexec_b64 s[6:7], s[58:59]
	s_cbranch_execnz .LBB274_2605
	s_branch .LBB274_2606
.LBB274_2750:
	s_andn2_saveexec_b64 s[64:65], s[64:65]
	s_cbranch_execz .LBB274_2034
.LBB274_2751:
	v_add_f32_e32 v2, 0x46000000, v3
	v_and_b32_e32 v2, 0xff, v2
	v_cmp_ne_u32_e32 vcc, 0, v2
	s_andn2_b64 s[62:63], s[62:63], exec
	s_and_b64 s[66:67], vcc, exec
	s_or_b64 s[62:63], s[62:63], s[66:67]
	s_or_b64 exec, exec, s[64:65]
	v_mov_b32_e32 v4, 0
	s_and_saveexec_b64 s[64:65], s[62:63]
	s_cbranch_execnz .LBB274_2035
	s_branch .LBB274_2036
.LBB274_2752:
	s_andn2_saveexec_b64 s[64:65], s[6:7]
	s_cbranch_execz .LBB274_2655
.LBB274_2753:
	v_add_f32_e32 v6, 0x42800000, v7
	v_and_b32_e32 v6, 0xff, v6
	v_cmp_ne_u32_e64 s[6:7], 0, v6
	s_andn2_b64 s[62:63], s[62:63], exec
	s_and_b64 s[6:7], s[6:7], exec
	s_or_b64 s[62:63], s[62:63], s[6:7]
	s_or_b64 exec, exec, s[64:65]
	v_mov_b32_e32 v8, 0
	s_and_saveexec_b64 s[6:7], s[62:63]
	s_cbranch_execnz .LBB274_2656
	s_branch .LBB274_2657
.LBB274_2754:
	s_andn2_saveexec_b64 s[64:65], s[64:65]
	s_cbranch_execz .LBB274_2702
.LBB274_2755:
	v_add_f32_e32 v2, 0x42800000, v3
	v_and_b32_e32 v2, 0xff, v2
	v_cmp_ne_u32_e32 vcc, 0, v2
	s_andn2_b64 s[62:63], s[62:63], exec
	s_and_b64 s[66:67], vcc, exec
	s_or_b64 s[62:63], s[62:63], s[66:67]
	s_or_b64 exec, exec, s[64:65]
	v_mov_b32_e32 v4, 0
	s_and_saveexec_b64 s[64:65], s[62:63]
	s_cbranch_execnz .LBB274_2703
	s_branch .LBB274_2704
	.section	.rodata,"a",@progbits
	.p2align	6, 0x0
	.amdhsa_kernel _ZN2at6native32elementwise_kernel_manual_unrollILi128ELi4EZNS0_15gpu_kernel_implINS0_13BinaryFunctorIN3c1013Float8_e4m3fnES5_bNS0_12_GLOBAL__N_116CompareEqFunctorIS5_EEEEEEvRNS_18TensorIteratorBaseERKT_EUlibE_EEviT1_
		.amdhsa_group_segment_fixed_size 0
		.amdhsa_private_segment_fixed_size 64
		.amdhsa_kernarg_size 56
		.amdhsa_user_sgpr_count 8
		.amdhsa_user_sgpr_private_segment_buffer 1
		.amdhsa_user_sgpr_dispatch_ptr 0
		.amdhsa_user_sgpr_queue_ptr 0
		.amdhsa_user_sgpr_kernarg_segment_ptr 1
		.amdhsa_user_sgpr_dispatch_id 0
		.amdhsa_user_sgpr_flat_scratch_init 1
		.amdhsa_user_sgpr_private_segment_size 0
		.amdhsa_uses_dynamic_stack 0
		.amdhsa_system_sgpr_private_segment_wavefront_offset 1
		.amdhsa_system_sgpr_workgroup_id_x 1
		.amdhsa_system_sgpr_workgroup_id_y 0
		.amdhsa_system_sgpr_workgroup_id_z 0
		.amdhsa_system_sgpr_workgroup_info 0
		.amdhsa_system_vgpr_workitem_id 0
		.amdhsa_next_free_vgpr 26
		.amdhsa_next_free_sgpr 68
		.amdhsa_reserve_vcc 1
		.amdhsa_reserve_flat_scratch 1
		.amdhsa_float_round_mode_32 0
		.amdhsa_float_round_mode_16_64 0
		.amdhsa_float_denorm_mode_32 3
		.amdhsa_float_denorm_mode_16_64 3
		.amdhsa_dx10_clamp 1
		.amdhsa_ieee_mode 1
		.amdhsa_fp16_overflow 0
		.amdhsa_exception_fp_ieee_invalid_op 0
		.amdhsa_exception_fp_denorm_src 0
		.amdhsa_exception_fp_ieee_div_zero 0
		.amdhsa_exception_fp_ieee_overflow 0
		.amdhsa_exception_fp_ieee_underflow 0
		.amdhsa_exception_fp_ieee_inexact 0
		.amdhsa_exception_int_div_zero 0
	.end_amdhsa_kernel
	.section	.text._ZN2at6native32elementwise_kernel_manual_unrollILi128ELi4EZNS0_15gpu_kernel_implINS0_13BinaryFunctorIN3c1013Float8_e4m3fnES5_bNS0_12_GLOBAL__N_116CompareEqFunctorIS5_EEEEEEvRNS_18TensorIteratorBaseERKT_EUlibE_EEviT1_,"axG",@progbits,_ZN2at6native32elementwise_kernel_manual_unrollILi128ELi4EZNS0_15gpu_kernel_implINS0_13BinaryFunctorIN3c1013Float8_e4m3fnES5_bNS0_12_GLOBAL__N_116CompareEqFunctorIS5_EEEEEEvRNS_18TensorIteratorBaseERKT_EUlibE_EEviT1_,comdat
.Lfunc_end274:
	.size	_ZN2at6native32elementwise_kernel_manual_unrollILi128ELi4EZNS0_15gpu_kernel_implINS0_13BinaryFunctorIN3c1013Float8_e4m3fnES5_bNS0_12_GLOBAL__N_116CompareEqFunctorIS5_EEEEEEvRNS_18TensorIteratorBaseERKT_EUlibE_EEviT1_, .Lfunc_end274-_ZN2at6native32elementwise_kernel_manual_unrollILi128ELi4EZNS0_15gpu_kernel_implINS0_13BinaryFunctorIN3c1013Float8_e4m3fnES5_bNS0_12_GLOBAL__N_116CompareEqFunctorIS5_EEEEEEvRNS_18TensorIteratorBaseERKT_EUlibE_EEviT1_
                                        ; -- End function
	.set _ZN2at6native32elementwise_kernel_manual_unrollILi128ELi4EZNS0_15gpu_kernel_implINS0_13BinaryFunctorIN3c1013Float8_e4m3fnES5_bNS0_12_GLOBAL__N_116CompareEqFunctorIS5_EEEEEEvRNS_18TensorIteratorBaseERKT_EUlibE_EEviT1_.num_vgpr, max(26, .L_ZN2at6native6invokeINS0_13BinaryFunctorIN3c1013Float8_e4m3fnES4_bNS0_12_GLOBAL__N_116CompareEqFunctorIS4_EEEEi15function_traitsIS8_EEENT1_11result_typeERKT_PrKPcPKT0_PKNS3_10ScalarTypeEi.num_vgpr)
	.set _ZN2at6native32elementwise_kernel_manual_unrollILi128ELi4EZNS0_15gpu_kernel_implINS0_13BinaryFunctorIN3c1013Float8_e4m3fnES5_bNS0_12_GLOBAL__N_116CompareEqFunctorIS5_EEEEEEvRNS_18TensorIteratorBaseERKT_EUlibE_EEviT1_.num_agpr, max(0, .L_ZN2at6native6invokeINS0_13BinaryFunctorIN3c1013Float8_e4m3fnES4_bNS0_12_GLOBAL__N_116CompareEqFunctorIS4_EEEEi15function_traitsIS8_EEENT1_11result_typeERKT_PrKPcPKT0_PKNS3_10ScalarTypeEi.num_agpr)
	.set _ZN2at6native32elementwise_kernel_manual_unrollILi128ELi4EZNS0_15gpu_kernel_implINS0_13BinaryFunctorIN3c1013Float8_e4m3fnES5_bNS0_12_GLOBAL__N_116CompareEqFunctorIS5_EEEEEEvRNS_18TensorIteratorBaseERKT_EUlibE_EEviT1_.numbered_sgpr, max(68, .L_ZN2at6native6invokeINS0_13BinaryFunctorIN3c1013Float8_e4m3fnES4_bNS0_12_GLOBAL__N_116CompareEqFunctorIS4_EEEEi15function_traitsIS8_EEENT1_11result_typeERKT_PrKPcPKT0_PKNS3_10ScalarTypeEi.numbered_sgpr)
	.set _ZN2at6native32elementwise_kernel_manual_unrollILi128ELi4EZNS0_15gpu_kernel_implINS0_13BinaryFunctorIN3c1013Float8_e4m3fnES5_bNS0_12_GLOBAL__N_116CompareEqFunctorIS5_EEEEEEvRNS_18TensorIteratorBaseERKT_EUlibE_EEviT1_.num_named_barrier, max(0, .L_ZN2at6native6invokeINS0_13BinaryFunctorIN3c1013Float8_e4m3fnES4_bNS0_12_GLOBAL__N_116CompareEqFunctorIS4_EEEEi15function_traitsIS8_EEENT1_11result_typeERKT_PrKPcPKT0_PKNS3_10ScalarTypeEi.num_named_barrier)
	.set _ZN2at6native32elementwise_kernel_manual_unrollILi128ELi4EZNS0_15gpu_kernel_implINS0_13BinaryFunctorIN3c1013Float8_e4m3fnES5_bNS0_12_GLOBAL__N_116CompareEqFunctorIS5_EEEEEEvRNS_18TensorIteratorBaseERKT_EUlibE_EEviT1_.private_seg_size, 64+max(.L_ZN2at6native6invokeINS0_13BinaryFunctorIN3c1013Float8_e4m3fnES4_bNS0_12_GLOBAL__N_116CompareEqFunctorIS4_EEEEi15function_traitsIS8_EEENT1_11result_typeERKT_PrKPcPKT0_PKNS3_10ScalarTypeEi.private_seg_size)
	.set _ZN2at6native32elementwise_kernel_manual_unrollILi128ELi4EZNS0_15gpu_kernel_implINS0_13BinaryFunctorIN3c1013Float8_e4m3fnES5_bNS0_12_GLOBAL__N_116CompareEqFunctorIS5_EEEEEEvRNS_18TensorIteratorBaseERKT_EUlibE_EEviT1_.uses_vcc, or(1, .L_ZN2at6native6invokeINS0_13BinaryFunctorIN3c1013Float8_e4m3fnES4_bNS0_12_GLOBAL__N_116CompareEqFunctorIS4_EEEEi15function_traitsIS8_EEENT1_11result_typeERKT_PrKPcPKT0_PKNS3_10ScalarTypeEi.uses_vcc)
	.set _ZN2at6native32elementwise_kernel_manual_unrollILi128ELi4EZNS0_15gpu_kernel_implINS0_13BinaryFunctorIN3c1013Float8_e4m3fnES5_bNS0_12_GLOBAL__N_116CompareEqFunctorIS5_EEEEEEvRNS_18TensorIteratorBaseERKT_EUlibE_EEviT1_.uses_flat_scratch, or(1, .L_ZN2at6native6invokeINS0_13BinaryFunctorIN3c1013Float8_e4m3fnES4_bNS0_12_GLOBAL__N_116CompareEqFunctorIS4_EEEEi15function_traitsIS8_EEENT1_11result_typeERKT_PrKPcPKT0_PKNS3_10ScalarTypeEi.uses_flat_scratch)
	.set _ZN2at6native32elementwise_kernel_manual_unrollILi128ELi4EZNS0_15gpu_kernel_implINS0_13BinaryFunctorIN3c1013Float8_e4m3fnES5_bNS0_12_GLOBAL__N_116CompareEqFunctorIS5_EEEEEEvRNS_18TensorIteratorBaseERKT_EUlibE_EEviT1_.has_dyn_sized_stack, or(0, .L_ZN2at6native6invokeINS0_13BinaryFunctorIN3c1013Float8_e4m3fnES4_bNS0_12_GLOBAL__N_116CompareEqFunctorIS4_EEEEi15function_traitsIS8_EEENT1_11result_typeERKT_PrKPcPKT0_PKNS3_10ScalarTypeEi.has_dyn_sized_stack)
	.set _ZN2at6native32elementwise_kernel_manual_unrollILi128ELi4EZNS0_15gpu_kernel_implINS0_13BinaryFunctorIN3c1013Float8_e4m3fnES5_bNS0_12_GLOBAL__N_116CompareEqFunctorIS5_EEEEEEvRNS_18TensorIteratorBaseERKT_EUlibE_EEviT1_.has_recursion, or(0, .L_ZN2at6native6invokeINS0_13BinaryFunctorIN3c1013Float8_e4m3fnES4_bNS0_12_GLOBAL__N_116CompareEqFunctorIS4_EEEEi15function_traitsIS8_EEENT1_11result_typeERKT_PrKPcPKT0_PKNS3_10ScalarTypeEi.has_recursion)
	.set _ZN2at6native32elementwise_kernel_manual_unrollILi128ELi4EZNS0_15gpu_kernel_implINS0_13BinaryFunctorIN3c1013Float8_e4m3fnES5_bNS0_12_GLOBAL__N_116CompareEqFunctorIS5_EEEEEEvRNS_18TensorIteratorBaseERKT_EUlibE_EEviT1_.has_indirect_call, or(0, .L_ZN2at6native6invokeINS0_13BinaryFunctorIN3c1013Float8_e4m3fnES4_bNS0_12_GLOBAL__N_116CompareEqFunctorIS4_EEEEi15function_traitsIS8_EEENT1_11result_typeERKT_PrKPcPKT0_PKNS3_10ScalarTypeEi.has_indirect_call)
	.section	.AMDGPU.csdata,"",@progbits
; Kernel info:
; codeLenInByte = 61304
; TotalNumSgprs: 74
; NumVgprs: 26
; ScratchSize: 64
; MemoryBound: 0
; FloatMode: 240
; IeeeMode: 1
; LDSByteSize: 0 bytes/workgroup (compile time only)
; SGPRBlocks: 9
; VGPRBlocks: 6
; NumSGPRsForWavesPerEU: 74
; NumVGPRsForWavesPerEU: 26
; Occupancy: 9
; WaveLimiterHint : 1
; COMPUTE_PGM_RSRC2:SCRATCH_EN: 1
; COMPUTE_PGM_RSRC2:USER_SGPR: 8
; COMPUTE_PGM_RSRC2:TRAP_HANDLER: 0
; COMPUTE_PGM_RSRC2:TGID_X_EN: 1
; COMPUTE_PGM_RSRC2:TGID_Y_EN: 0
; COMPUTE_PGM_RSRC2:TGID_Z_EN: 0
; COMPUTE_PGM_RSRC2:TIDIG_COMP_CNT: 0
	.text
	.p2align	2                               ; -- Begin function _ZN2at6native6invokeINS0_13BinaryFunctorIN3c1013Float8_e4m3fnES4_bNS0_12_GLOBAL__N_116CompareEqFunctorIS4_EEEEj15function_traitsIS8_EEENT1_11result_typeERKT_PrKPcPKT0_PKNS3_10ScalarTypeEi
	.type	_ZN2at6native6invokeINS0_13BinaryFunctorIN3c1013Float8_e4m3fnES4_bNS0_12_GLOBAL__N_116CompareEqFunctorIS4_EEEEj15function_traitsIS8_EEENT1_11result_typeERKT_PrKPcPKT0_PKNS3_10ScalarTypeEi,@function
_ZN2at6native6invokeINS0_13BinaryFunctorIN3c1013Float8_e4m3fnES4_bNS0_12_GLOBAL__N_116CompareEqFunctorIS4_EEEEj15function_traitsIS8_EEENT1_11result_typeERKT_PrKPcPKT0_PKNS3_10ScalarTypeEi: ; @_ZN2at6native6invokeINS0_13BinaryFunctorIN3c1013Float8_e4m3fnES4_bNS0_12_GLOBAL__N_116CompareEqFunctorIS4_EEEEj15function_traitsIS8_EEENT1_11result_typeERKT_PrKPcPKT0_PKNS3_10ScalarTypeEi
; %bb.0:
	s_waitcnt vmcnt(0) expcnt(0) lgkmcnt(0)
	flat_load_dwordx2 v[7:8], v[1:2]
	flat_load_dword v9, v[3:4]
	flat_load_ubyte v10, v[5:6]
	s_mov_b64 s[10:11], 0
	s_mov_b64 s[4:5], 0
	s_waitcnt vmcnt(0) lgkmcnt(0)
	v_add_co_u32_e32 v7, vcc, v7, v9
	v_addc_co_u32_e32 v8, vcc, 0, v8, vcc
	v_cmp_lt_i16_e32 vcc, 10, v10
                                        ; implicit-def: $vgpr9
	s_and_saveexec_b64 s[6:7], vcc
	s_xor_b64 s[6:7], exec, s[6:7]
	s_cbranch_execz .LBB275_95
; %bb.1:
	v_cmp_lt_i16_e32 vcc, 25, v10
	s_mov_b64 s[12:13], 0
                                        ; implicit-def: $vgpr9
	s_and_saveexec_b64 s[8:9], vcc
	s_xor_b64 s[8:9], exec, s[8:9]
	s_cbranch_execz .LBB275_457
; %bb.2:
	v_cmp_lt_i16_e32 vcc, 28, v10
	s_mov_b64 s[14:15], 0
	;; [unrolled: 7-line block ×3, first 2 shown]
	s_mov_b64 s[18:19], 0
                                        ; implicit-def: $vgpr9
	s_and_saveexec_b64 s[12:13], vcc
	s_xor_b64 s[12:13], exec, s[12:13]
	s_cbranch_execz .LBB275_29
; %bb.4:
	v_cmp_lt_i16_e32 vcc, 45, v10
                                        ; implicit-def: $vgpr9
	s_and_saveexec_b64 s[18:19], vcc
	s_xor_b64 s[18:19], exec, s[18:19]
	s_cbranch_execz .LBB275_16
; %bb.5:
	v_cmp_eq_u16_e32 vcc, 46, v10
	s_mov_b64 s[20:21], -1
                                        ; implicit-def: $vgpr9
	s_and_saveexec_b64 s[14:15], vcc
	s_cbranch_execz .LBB275_15
; %bb.6:
	flat_load_dword v9, v[7:8]
	s_mov_b32 s16, 0x43f00000
                                        ; implicit-def: $vgpr10
	s_waitcnt vmcnt(0) lgkmcnt(0)
	v_lshlrev_b32_e32 v9, 16, v9
	v_and_b32_e32 v11, 0x7fffffff, v9
	v_cmp_gt_u32_e32 vcc, s16, v11
	s_and_saveexec_b64 s[16:17], vcc
	s_xor_b64 s[16:17], exec, s[16:17]
	s_cbranch_execz .LBB275_12
; %bb.7:
	s_mov_b32 s20, 0x3c7fffff
	v_cmp_lt_u32_e32 vcc, s20, v11
                                        ; implicit-def: $vgpr10
	s_and_saveexec_b64 s[20:21], vcc
	s_xor_b64 s[20:21], exec, s[20:21]
; %bb.8:
	v_bfe_u32 v10, v9, 20, 1
	s_mov_b32 s22, 0x407ffff
	v_add3_u32 v10, v9, v10, s22
	v_lshrrev_b32_e32 v11, 20, v10
	v_and_b32_e32 v10, 0xff00000, v10
	s_mov_b32 s22, 0x7f00000
	v_mov_b32_e32 v12, 0x7e
	v_cmp_ne_u32_e32 vcc, s22, v10
	v_cndmask_b32_e32 v10, v12, v11, vcc
; %bb.9:
	s_andn2_saveexec_b64 s[20:21], s[20:21]
; %bb.10:
	s_mov_b32 s22, 0x46800000
	v_add_f32_e64 v10, |v9|, s22
; %bb.11:
	s_or_b64 exec, exec, s[20:21]
                                        ; implicit-def: $vgpr11
.LBB275_12:
	s_andn2_saveexec_b64 s[16:17], s[16:17]
; %bb.13:
	s_mov_b32 s20, 0x7f800000
	v_mov_b32_e32 v10, 0x7e
	v_mov_b32_e32 v12, 0x7f
	v_cmp_lt_u32_e32 vcc, s20, v11
	v_cndmask_b32_e32 v10, v10, v12, vcc
; %bb.14:
	s_or_b64 exec, exec, s[16:17]
	v_lshrrev_b32_e32 v9, 24, v9
	s_movk_i32 s20, 0x80
	s_mov_b64 s[16:17], exec
	v_and_or_b32 v9, v9, s20, v10
	s_xor_b64 s[20:21], exec, -1
.LBB275_15:
	s_or_b64 exec, exec, s[14:15]
	s_and_b64 s[16:17], s[16:17], exec
	s_and_b64 s[14:15], s[20:21], exec
                                        ; implicit-def: $vgpr10
.LBB275_16:
	s_andn2_saveexec_b64 s[18:19], s[18:19]
	s_cbranch_execz .LBB275_28
; %bb.17:
	v_cmp_eq_u16_e32 vcc, 44, v10
	s_mov_b64 s[22:23], -1
	s_mov_b64 s[24:25], s[16:17]
                                        ; implicit-def: $vgpr9
	s_and_saveexec_b64 s[20:21], vcc
	s_cbranch_execz .LBB275_27
; %bb.18:
	flat_load_ubyte v9, v[7:8]
	s_movk_i32 s22, 0xff
	v_mov_b32_e32 v10, 0x7f800001
	v_mov_b32_e32 v11, 0x400000
	s_waitcnt vmcnt(0) lgkmcnt(0)
	v_lshlrev_b32_e32 v12, 23, v9
	v_cmp_ne_u32_e32 vcc, s22, v9
	v_cndmask_b32_e32 v10, v10, v12, vcc
	v_cmp_ne_u32_e32 vcc, 0, v9
	v_cndmask_b32_e32 v10, v11, v10, vcc
	s_mov_b32 s22, 0x43f00000
	v_cmp_gt_u32_e32 vcc, s22, v10
                                        ; implicit-def: $vgpr9
	s_and_saveexec_b64 s[22:23], vcc
	s_xor_b64 s[22:23], exec, s[22:23]
	s_cbranch_execz .LBB275_24
; %bb.19:
	s_mov_b32 s24, 0x3c7fffff
	v_cmp_lt_u32_e32 vcc, s24, v10
                                        ; implicit-def: $vgpr9
	s_and_saveexec_b64 s[24:25], vcc
	s_xor_b64 s[24:25], exec, s[24:25]
; %bb.20:
	v_bfe_u32 v9, v10, 20, 1
	s_mov_b32 s26, 0x407ffff
	v_add3_u32 v9, v10, v9, s26
	v_lshrrev_b32_e32 v10, 20, v9
	v_and_b32_e32 v9, 0xff00000, v9
	s_mov_b32 s26, 0x7f00000
	v_mov_b32_e32 v11, 0x7e
	v_cmp_ne_u32_e32 vcc, s26, v9
	v_cndmask_b32_e32 v9, v11, v10, vcc
                                        ; implicit-def: $vgpr10
; %bb.21:
	s_andn2_saveexec_b64 s[24:25], s[24:25]
; %bb.22:
	v_add_f32_e32 v9, 0x46800000, v10
; %bb.23:
	s_or_b64 exec, exec, s[24:25]
                                        ; implicit-def: $vgpr10
.LBB275_24:
	s_andn2_saveexec_b64 s[22:23], s[22:23]
; %bb.25:
	s_mov_b32 s24, 0x7f800000
	v_mov_b32_e32 v9, 0x7e
	v_mov_b32_e32 v11, 0x7f
	v_cmp_lt_u32_e32 vcc, s24, v10
	v_cndmask_b32_e32 v9, v9, v11, vcc
; %bb.26:
	s_or_b64 exec, exec, s[22:23]
	s_or_b64 s[24:25], s[16:17], exec
	s_xor_b64 s[22:23], exec, -1
.LBB275_27:
	s_or_b64 exec, exec, s[20:21]
	s_andn2_b64 s[16:17], s[16:17], exec
	s_and_b64 s[20:21], s[24:25], exec
	s_or_b64 s[16:17], s[16:17], s[20:21]
	s_andn2_b64 s[14:15], s[14:15], exec
	s_and_b64 s[20:21], s[22:23], exec
	s_or_b64 s[14:15], s[14:15], s[20:21]
.LBB275_28:
	s_or_b64 exec, exec, s[18:19]
	s_and_b64 s[18:19], s[16:17], exec
	s_and_b64 s[16:17], s[14:15], exec
                                        ; implicit-def: $vgpr10
.LBB275_29:
	s_andn2_saveexec_b64 s[12:13], s[12:13]
	s_cbranch_execz .LBB275_41
; %bb.30:
	v_cmp_eq_u16_e32 vcc, 29, v10
	s_mov_b64 s[20:21], -1
	s_mov_b64 s[22:23], s[18:19]
                                        ; implicit-def: $vgpr9
	s_and_saveexec_b64 s[14:15], vcc
	s_cbranch_execz .LBB275_40
; %bb.31:
	flat_load_dwordx2 v[9:10], v[7:8]
	s_mov_b32 s20, 0x43f00000
	s_waitcnt vmcnt(0) lgkmcnt(0)
	v_ffbh_u32_e32 v11, v10
	v_min_u32_e32 v11, 32, v11
	v_lshlrev_b64 v[9:10], v11, v[9:10]
	v_min_u32_e32 v9, 1, v9
	v_or_b32_e32 v9, v10, v9
	v_cvt_f32_u32_e32 v9, v9
	v_sub_u32_e32 v10, 32, v11
	v_ldexp_f32 v10, v9, v10
	v_cmp_gt_u32_e32 vcc, s20, v10
                                        ; implicit-def: $vgpr9
	s_and_saveexec_b64 s[20:21], vcc
	s_xor_b64 s[20:21], exec, s[20:21]
	s_cbranch_execz .LBB275_37
; %bb.32:
	s_mov_b32 s22, 0x3c7fffff
	v_cmp_lt_u32_e32 vcc, s22, v10
                                        ; implicit-def: $vgpr9
	s_and_saveexec_b64 s[22:23], vcc
	s_xor_b64 s[22:23], exec, s[22:23]
; %bb.33:
	v_bfe_u32 v9, v10, 20, 1
	s_mov_b32 s24, 0x407ffff
	v_add3_u32 v9, v10, v9, s24
	v_lshrrev_b32_e32 v10, 20, v9
	v_and_b32_e32 v9, 0xff00000, v9
	s_mov_b32 s24, 0x7f00000
	v_mov_b32_e32 v11, 0x7e
	v_cmp_ne_u32_e32 vcc, s24, v9
	v_cndmask_b32_e32 v9, v11, v10, vcc
                                        ; implicit-def: $vgpr10
; %bb.34:
	s_andn2_saveexec_b64 s[22:23], s[22:23]
; %bb.35:
	v_add_f32_e32 v9, 0x46800000, v10
; %bb.36:
	s_or_b64 exec, exec, s[22:23]
                                        ; implicit-def: $vgpr10
.LBB275_37:
	s_andn2_saveexec_b64 s[20:21], s[20:21]
; %bb.38:
	s_mov_b32 s22, 0x7f800000
	v_mov_b32_e32 v9, 0x7e
	v_mov_b32_e32 v11, 0x7f
	v_cmp_lt_u32_e32 vcc, s22, v10
	v_cndmask_b32_e32 v9, v9, v11, vcc
; %bb.39:
	s_or_b64 exec, exec, s[20:21]
	s_or_b64 s[22:23], s[18:19], exec
	s_xor_b64 s[20:21], exec, -1
.LBB275_40:
	s_or_b64 exec, exec, s[14:15]
	s_andn2_b64 s[14:15], s[18:19], exec
	s_and_b64 s[18:19], s[22:23], exec
	s_or_b64 s[18:19], s[14:15], s[18:19]
	s_andn2_b64 s[14:15], s[16:17], exec
	s_and_b64 s[16:17], s[20:21], exec
	s_or_b64 s[16:17], s[14:15], s[16:17]
.LBB275_41:
	s_or_b64 exec, exec, s[12:13]
	s_and_b64 s[14:15], s[18:19], exec
	s_and_b64 s[12:13], s[16:17], exec
                                        ; implicit-def: $vgpr10
.LBB275_42:
	s_andn2_saveexec_b64 s[10:11], s[10:11]
	s_cbranch_execz .LBB275_82
; %bb.43:
	v_cmp_lt_i16_e32 vcc, 26, v10
                                        ; implicit-def: $vgpr9
	s_and_saveexec_b64 s[16:17], vcc
	s_xor_b64 s[16:17], exec, s[16:17]
	s_cbranch_execz .LBB275_65
; %bb.44:
	v_cmp_lt_i16_e32 vcc, 27, v10
                                        ; implicit-def: $vgpr9
	s_and_saveexec_b64 s[18:19], vcc
	s_xor_b64 s[18:19], exec, s[18:19]
	s_cbranch_execz .LBB275_54
; %bb.45:
	flat_load_dword v9, v[7:8]
	s_mov_b32 s20, 0x43f00000
	s_waitcnt vmcnt(0) lgkmcnt(0)
	v_cvt_f32_u32_e32 v10, v9
                                        ; implicit-def: $vgpr9
	v_cmp_gt_u32_e32 vcc, s20, v10
	s_and_saveexec_b64 s[20:21], vcc
	s_xor_b64 s[20:21], exec, s[20:21]
	s_cbranch_execz .LBB275_51
; %bb.46:
	s_mov_b32 s22, 0x3c7fffff
	v_cmp_lt_u32_e32 vcc, s22, v10
                                        ; implicit-def: $vgpr9
	s_and_saveexec_b64 s[22:23], vcc
	s_xor_b64 s[22:23], exec, s[22:23]
; %bb.47:
	v_bfe_u32 v9, v10, 20, 1
	s_mov_b32 s24, 0x407ffff
	v_add3_u32 v9, v10, v9, s24
	v_lshrrev_b32_e32 v10, 20, v9
	v_and_b32_e32 v9, 0xff00000, v9
	s_mov_b32 s24, 0x7f00000
	v_mov_b32_e32 v11, 0x7e
	v_cmp_ne_u32_e32 vcc, s24, v9
	v_cndmask_b32_e32 v9, v11, v10, vcc
                                        ; implicit-def: $vgpr10
; %bb.48:
	s_andn2_saveexec_b64 s[22:23], s[22:23]
; %bb.49:
	v_add_f32_e32 v9, 0x46800000, v10
; %bb.50:
	s_or_b64 exec, exec, s[22:23]
                                        ; implicit-def: $vgpr10
.LBB275_51:
	s_andn2_saveexec_b64 s[20:21], s[20:21]
; %bb.52:
	s_mov_b32 s22, 0x7f800000
	v_mov_b32_e32 v9, 0x7e
	v_mov_b32_e32 v11, 0x7f
	v_cmp_lt_u32_e32 vcc, s22, v10
	v_cndmask_b32_e32 v9, v9, v11, vcc
; %bb.53:
	s_or_b64 exec, exec, s[20:21]
.LBB275_54:
	s_andn2_saveexec_b64 s[18:19], s[18:19]
	s_cbranch_execz .LBB275_64
; %bb.55:
	flat_load_ushort v9, v[7:8]
	s_mov_b32 s20, 0x43f00000
	s_waitcnt vmcnt(0) lgkmcnt(0)
	v_cvt_f32_u32_e32 v10, v9
                                        ; implicit-def: $vgpr9
	v_cmp_gt_u32_e32 vcc, s20, v10
	s_and_saveexec_b64 s[20:21], vcc
	s_xor_b64 s[20:21], exec, s[20:21]
	s_cbranch_execz .LBB275_61
; %bb.56:
	s_mov_b32 s22, 0x3c7fffff
	v_cmp_lt_u32_e32 vcc, s22, v10
                                        ; implicit-def: $vgpr9
	s_and_saveexec_b64 s[22:23], vcc
	s_xor_b64 s[22:23], exec, s[22:23]
; %bb.57:
	v_bfe_u32 v9, v10, 20, 1
	s_mov_b32 s24, 0x407ffff
	v_add3_u32 v9, v10, v9, s24
	v_lshrrev_b32_e32 v10, 20, v9
	v_and_b32_e32 v9, 0xff00000, v9
	s_mov_b32 s24, 0x7f00000
	v_mov_b32_e32 v11, 0x7e
	v_cmp_ne_u32_e32 vcc, s24, v9
	v_cndmask_b32_e32 v9, v11, v10, vcc
                                        ; implicit-def: $vgpr10
; %bb.58:
	s_andn2_saveexec_b64 s[22:23], s[22:23]
; %bb.59:
	v_add_f32_e32 v9, 0x46800000, v10
; %bb.60:
	s_or_b64 exec, exec, s[22:23]
                                        ; implicit-def: $vgpr10
.LBB275_61:
	s_andn2_saveexec_b64 s[20:21], s[20:21]
; %bb.62:
	s_mov_b32 s22, 0x7f800000
	v_mov_b32_e32 v9, 0x7e
	v_mov_b32_e32 v11, 0x7f
	v_cmp_lt_u32_e32 vcc, s22, v10
	v_cndmask_b32_e32 v9, v9, v11, vcc
; %bb.63:
	s_or_b64 exec, exec, s[20:21]
.LBB275_64:
	s_or_b64 exec, exec, s[18:19]
.LBB275_65:
	s_andn2_saveexec_b64 s[16:17], s[16:17]
	s_cbranch_execz .LBB275_81
; %bb.66:
	flat_load_ubyte v10, v[7:8]
	s_movk_i32 s18, 0x7f
	s_waitcnt vmcnt(0) lgkmcnt(0)
	v_cmp_lt_i16_e32 vcc, s18, v10
	s_mov_b64 s[18:19], 0
	s_and_saveexec_b64 s[20:21], vcc
	s_xor_b64 s[20:21], exec, s[20:21]
	s_cbranch_execz .LBB275_559
; %bb.67:
	s_movk_i32 s18, 0x80
	v_cmp_eq_u16_e32 vcc, s18, v10
	s_mov_b64 s[18:19], -1
	s_and_saveexec_b64 s[22:23], vcc
; %bb.68:
	s_xor_b64 s[18:19], exec, -1
; %bb.69:
	s_or_b64 exec, exec, s[22:23]
	s_and_b64 s[18:19], s[18:19], exec
	s_or_saveexec_b64 s[20:21], s[20:21]
	v_mov_b32_e32 v9, 0x7f800001
	s_xor_b64 exec, exec, s[20:21]
	s_cbranch_execnz .LBB275_560
.LBB275_70:
	s_or_b64 exec, exec, s[20:21]
	s_and_saveexec_b64 s[20:21], s[18:19]
	s_cbranch_execz .LBB275_72
.LBB275_71:
	v_lshlrev_b32_e32 v9, 24, v10
	v_and_b32_e32 v10, 0xffff, v10
	v_and_b32_e32 v11, 7, v10
	v_ffbh_u32_e32 v13, v11
	v_min_u32_e32 v13, 32, v13
	v_subrev_u32_e32 v14, 28, v13
	v_bfe_u32 v12, v10, 3, 4
	v_lshlrev_b32_e32 v10, v14, v10
	v_sub_u32_e32 v13, 29, v13
	v_and_b32_e32 v10, 7, v10
	v_cmp_eq_u32_e32 vcc, 0, v12
	v_cndmask_b32_e32 v12, v12, v13, vcc
	v_cndmask_b32_e32 v10, v11, v10, vcc
	v_mov_b32_e32 v11, 0x3b800000
	v_lshlrev_b32_e32 v10, 20, v10
	v_and_b32_e32 v9, 0x80000000, v9
	v_lshl_add_u32 v11, v12, 23, v11
	v_or3_b32 v9, v9, v11, v10
.LBB275_72:
	s_or_b64 exec, exec, s[20:21]
	v_and_b32_e32 v11, 0x7fffffff, v9
	s_mov_b32 s18, 0x43f00000
	v_cmp_gt_u32_e32 vcc, s18, v11
                                        ; implicit-def: $vgpr10
	s_and_saveexec_b64 s[18:19], vcc
	s_xor_b64 s[18:19], exec, s[18:19]
	s_cbranch_execz .LBB275_78
; %bb.73:
	s_mov_b32 s20, 0x3c7fffff
	v_cmp_lt_u32_e32 vcc, s20, v11
                                        ; implicit-def: $vgpr10
	s_and_saveexec_b64 s[20:21], vcc
	s_xor_b64 s[20:21], exec, s[20:21]
; %bb.74:
	v_bfe_u32 v10, v9, 20, 1
	s_mov_b32 s22, 0x407ffff
	v_add3_u32 v10, v9, v10, s22
	v_lshrrev_b32_e32 v11, 20, v10
	v_and_b32_e32 v10, 0xff00000, v10
	s_mov_b32 s22, 0x7f00000
	v_mov_b32_e32 v12, 0x7e
	v_cmp_ne_u32_e32 vcc, s22, v10
	v_cndmask_b32_e32 v10, v12, v11, vcc
; %bb.75:
	s_andn2_saveexec_b64 s[20:21], s[20:21]
; %bb.76:
	s_mov_b32 s22, 0x46800000
	v_add_f32_e64 v10, |v9|, s22
; %bb.77:
	s_or_b64 exec, exec, s[20:21]
                                        ; implicit-def: $vgpr11
.LBB275_78:
	s_andn2_saveexec_b64 s[18:19], s[18:19]
; %bb.79:
	s_mov_b32 s20, 0x7f800000
	v_mov_b32_e32 v10, 0x7e
	v_mov_b32_e32 v12, 0x7f
	v_cmp_lt_u32_e32 vcc, s20, v11
	v_cndmask_b32_e32 v10, v10, v12, vcc
; %bb.80:
	s_or_b64 exec, exec, s[18:19]
	v_lshrrev_b32_e32 v9, 24, v9
	s_movk_i32 s18, 0x80
	v_and_or_b32 v9, v9, s18, v10
.LBB275_81:
	s_or_b64 exec, exec, s[16:17]
	s_or_b64 s[14:15], s[14:15], exec
.LBB275_82:
	s_or_b64 exec, exec, s[10:11]
	s_and_b64 s[10:11], s[14:15], exec
	s_and_b64 s[12:13], s[12:13], exec
                                        ; implicit-def: $vgpr10
	s_andn2_saveexec_b64 s[8:9], s[8:9]
	s_cbranch_execnz .LBB275_458
.LBB275_83:
	s_or_b64 exec, exec, s[8:9]
	s_mov_b64 s[8:9], 0
	s_and_saveexec_b64 s[14:15], s[12:13]
	s_cbranch_execnz .LBB275_507
.LBB275_84:
	s_or_b64 exec, exec, s[14:15]
	s_and_saveexec_b64 s[12:13], s[4:5]
	s_cbranch_execz .LBB275_94
.LBB275_85:
	flat_load_ubyte v7, v[7:8]
	s_mov_b32 s4, 0x43f00000
                                        ; implicit-def: $vgpr9
	s_waitcnt vmcnt(0) lgkmcnt(0)
	v_cmp_ne_u16_e32 vcc, 0, v7
	v_cndmask_b32_e64 v7, 0, 1.0, vcc
	v_cmp_gt_u32_e32 vcc, s4, v7
	s_and_saveexec_b64 s[4:5], vcc
	s_xor_b64 s[4:5], exec, s[4:5]
	s_cbranch_execz .LBB275_91
; %bb.86:
	s_mov_b32 s14, 0x3c7fffff
	v_cmp_lt_u32_e32 vcc, s14, v7
                                        ; implicit-def: $vgpr9
	s_and_saveexec_b64 s[14:15], vcc
	s_xor_b64 s[14:15], exec, s[14:15]
; %bb.87:
	v_bfe_u32 v8, v7, 20, 1
	s_mov_b32 s16, 0x407ffff
	v_add3_u32 v7, v7, v8, s16
	v_lshrrev_b32_e32 v8, 20, v7
	v_and_b32_e32 v7, 0xff00000, v7
	s_mov_b32 s16, 0x7f00000
	v_mov_b32_e32 v9, 0x7e
	v_cmp_ne_u32_e32 vcc, s16, v7
	v_cndmask_b32_e32 v9, v9, v8, vcc
                                        ; implicit-def: $vgpr7
; %bb.88:
	s_andn2_saveexec_b64 s[14:15], s[14:15]
; %bb.89:
	v_add_f32_e32 v9, 0x46800000, v7
; %bb.90:
	s_or_b64 exec, exec, s[14:15]
                                        ; implicit-def: $vgpr7
.LBB275_91:
	s_andn2_saveexec_b64 s[4:5], s[4:5]
; %bb.92:
	s_mov_b32 s14, 0x7f800000
	v_mov_b32_e32 v8, 0x7e
	v_mov_b32_e32 v9, 0x7f
	v_cmp_lt_u32_e32 vcc, s14, v7
	v_cndmask_b32_e32 v9, v8, v9, vcc
; %bb.93:
	s_or_b64 exec, exec, s[4:5]
	s_or_b64 s[10:11], s[10:11], exec
.LBB275_94:
	s_or_b64 exec, exec, s[12:13]
	s_and_b64 s[4:5], s[8:9], exec
	s_and_b64 s[10:11], s[10:11], exec
                                        ; implicit-def: $vgpr10
                                        ; implicit-def: $vgpr7_vgpr8
.LBB275_95:
	s_andn2_saveexec_b64 s[6:7], s[6:7]
	s_cbranch_execz .LBB275_225
; %bb.96:
	v_cmp_lt_i16_e32 vcc, 4, v10
                                        ; implicit-def: $vgpr9
	s_and_saveexec_b64 s[8:9], vcc
	s_xor_b64 s[8:9], exec, s[8:9]
	s_cbranch_execz .LBB275_166
; %bb.97:
	v_cmp_lt_i16_e32 vcc, 7, v10
                                        ; implicit-def: $vgpr9
	s_and_saveexec_b64 s[12:13], vcc
	s_xor_b64 s[12:13], exec, s[12:13]
	s_cbranch_execz .LBB275_131
; %bb.98:
	v_cmp_lt_i16_e32 vcc, 8, v10
                                        ; implicit-def: $vgpr9
	s_and_saveexec_b64 s[14:15], vcc
	s_xor_b64 s[14:15], exec, s[14:15]
	s_cbranch_execz .LBB275_120
; %bb.99:
	v_cmp_lt_i16_e32 vcc, 9, v10
                                        ; implicit-def: $vgpr9
	s_and_saveexec_b64 s[16:17], vcc
	s_xor_b64 s[16:17], exec, s[16:17]
	s_cbranch_execz .LBB275_109
; %bb.100:
	flat_load_dwordx2 v[7:8], v[7:8]
	s_mov_b32 s18, 0x43f00000
	s_waitcnt vmcnt(0) lgkmcnt(0)
	v_cvt_f32_f64_e32 v7, v[7:8]
                                        ; implicit-def: $vgpr8
	v_and_b32_e32 v9, 0x7fffffff, v7
	v_cmp_gt_u32_e32 vcc, s18, v9
	s_and_saveexec_b64 s[18:19], vcc
	s_xor_b64 s[18:19], exec, s[18:19]
	s_cbranch_execz .LBB275_106
; %bb.101:
	s_mov_b32 s20, 0x3c7fffff
	v_cmp_lt_u32_e32 vcc, s20, v9
                                        ; implicit-def: $vgpr8
	s_and_saveexec_b64 s[20:21], vcc
	s_xor_b64 s[20:21], exec, s[20:21]
; %bb.102:
	v_bfe_u32 v8, v7, 20, 1
	s_mov_b32 s22, 0x407ffff
	v_add3_u32 v8, v7, v8, s22
	v_lshrrev_b32_e32 v9, 20, v8
	v_and_b32_e32 v8, 0xff00000, v8
	s_mov_b32 s22, 0x7f00000
	v_mov_b32_e32 v10, 0x7e
	v_cmp_ne_u32_e32 vcc, s22, v8
	v_cndmask_b32_e32 v8, v10, v9, vcc
; %bb.103:
	s_andn2_saveexec_b64 s[20:21], s[20:21]
; %bb.104:
	s_mov_b32 s22, 0x46800000
	v_add_f32_e64 v8, |v7|, s22
; %bb.105:
	s_or_b64 exec, exec, s[20:21]
                                        ; implicit-def: $vgpr9
.LBB275_106:
	s_andn2_saveexec_b64 s[18:19], s[18:19]
; %bb.107:
	s_mov_b32 s20, 0x7f800000
	v_mov_b32_e32 v8, 0x7e
	v_mov_b32_e32 v10, 0x7f
	v_cmp_lt_u32_e32 vcc, s20, v9
	v_cndmask_b32_e32 v8, v8, v10, vcc
; %bb.108:
	s_or_b64 exec, exec, s[18:19]
	v_lshrrev_b32_e32 v7, 24, v7
	s_movk_i32 s18, 0x80
	v_and_or_b32 v9, v7, s18, v8
                                        ; implicit-def: $vgpr7_vgpr8
.LBB275_109:
	s_andn2_saveexec_b64 s[16:17], s[16:17]
	s_cbranch_execz .LBB275_119
; %bb.110:
	flat_load_dword v7, v[7:8]
	s_mov_b32 s18, 0x43f00000
                                        ; implicit-def: $vgpr8
	s_waitcnt vmcnt(0) lgkmcnt(0)
	v_and_b32_e32 v9, 0x7fffffff, v7
	v_cmp_gt_u32_e32 vcc, s18, v9
	s_and_saveexec_b64 s[18:19], vcc
	s_xor_b64 s[18:19], exec, s[18:19]
	s_cbranch_execz .LBB275_116
; %bb.111:
	s_mov_b32 s20, 0x3c7fffff
	v_cmp_lt_u32_e32 vcc, s20, v9
                                        ; implicit-def: $vgpr8
	s_and_saveexec_b64 s[20:21], vcc
	s_xor_b64 s[20:21], exec, s[20:21]
; %bb.112:
	v_bfe_u32 v8, v7, 20, 1
	s_mov_b32 s22, 0x407ffff
	v_add3_u32 v8, v7, v8, s22
	v_lshrrev_b32_e32 v9, 20, v8
	v_and_b32_e32 v8, 0xff00000, v8
	s_mov_b32 s22, 0x7f00000
	v_mov_b32_e32 v10, 0x7e
	v_cmp_ne_u32_e32 vcc, s22, v8
	v_cndmask_b32_e32 v8, v10, v9, vcc
; %bb.113:
	s_andn2_saveexec_b64 s[20:21], s[20:21]
; %bb.114:
	s_mov_b32 s22, 0x46800000
	v_add_f32_e64 v8, |v7|, s22
; %bb.115:
	s_or_b64 exec, exec, s[20:21]
                                        ; implicit-def: $vgpr9
.LBB275_116:
	s_andn2_saveexec_b64 s[18:19], s[18:19]
; %bb.117:
	s_mov_b32 s20, 0x7f800000
	v_mov_b32_e32 v8, 0x7e
	v_mov_b32_e32 v10, 0x7f
	v_cmp_lt_u32_e32 vcc, s20, v9
	v_cndmask_b32_e32 v8, v8, v10, vcc
; %bb.118:
	s_or_b64 exec, exec, s[18:19]
	v_lshrrev_b32_e32 v7, 24, v7
	s_movk_i32 s18, 0x80
	v_and_or_b32 v9, v7, s18, v8
.LBB275_119:
	s_or_b64 exec, exec, s[16:17]
                                        ; implicit-def: $vgpr7_vgpr8
.LBB275_120:
	s_andn2_saveexec_b64 s[14:15], s[14:15]
	s_cbranch_execz .LBB275_130
; %bb.121:
	flat_load_dword v7, v[7:8]
	s_mov_b32 s16, 0x43f00000
                                        ; implicit-def: $vgpr8
	s_waitcnt vmcnt(0) lgkmcnt(0)
	v_cvt_f32_f16_e32 v7, v7
	v_and_b32_e32 v9, 0x7fffffff, v7
	v_cmp_gt_u32_e32 vcc, s16, v9
	s_and_saveexec_b64 s[16:17], vcc
	s_xor_b64 s[16:17], exec, s[16:17]
	s_cbranch_execz .LBB275_127
; %bb.122:
	s_mov_b32 s18, 0x3c7fffff
	v_cmp_lt_u32_e32 vcc, s18, v9
                                        ; implicit-def: $vgpr8
	s_and_saveexec_b64 s[18:19], vcc
	s_xor_b64 s[18:19], exec, s[18:19]
; %bb.123:
	v_bfe_u32 v8, v7, 20, 1
	s_mov_b32 s20, 0x407ffff
	v_add3_u32 v8, v7, v8, s20
	v_lshrrev_b32_e32 v9, 20, v8
	v_and_b32_e32 v8, 0xff00000, v8
	s_mov_b32 s20, 0x7f00000
	v_mov_b32_e32 v10, 0x7e
	v_cmp_ne_u32_e32 vcc, s20, v8
	v_cndmask_b32_e32 v8, v10, v9, vcc
; %bb.124:
	s_andn2_saveexec_b64 s[18:19], s[18:19]
; %bb.125:
	s_mov_b32 s20, 0x46800000
	v_add_f32_e64 v8, |v7|, s20
; %bb.126:
	s_or_b64 exec, exec, s[18:19]
                                        ; implicit-def: $vgpr9
.LBB275_127:
	s_andn2_saveexec_b64 s[16:17], s[16:17]
; %bb.128:
	s_mov_b32 s18, 0x7f800000
	v_mov_b32_e32 v8, 0x7e
	v_mov_b32_e32 v10, 0x7f
	v_cmp_lt_u32_e32 vcc, s18, v9
	v_cndmask_b32_e32 v8, v8, v10, vcc
; %bb.129:
	s_or_b64 exec, exec, s[16:17]
	v_lshrrev_b32_e32 v7, 24, v7
	s_movk_i32 s16, 0x80
	v_and_or_b32 v9, v7, s16, v8
.LBB275_130:
	s_or_b64 exec, exec, s[14:15]
                                        ; implicit-def: $vgpr10
                                        ; implicit-def: $vgpr7_vgpr8
.LBB275_131:
	s_andn2_saveexec_b64 s[12:13], s[12:13]
	s_cbranch_execz .LBB275_165
; %bb.132:
	v_cmp_lt_i16_e32 vcc, 5, v10
                                        ; implicit-def: $vgpr9
	s_and_saveexec_b64 s[14:15], vcc
	s_xor_b64 s[14:15], exec, s[14:15]
	s_cbranch_execz .LBB275_154
; %bb.133:
	v_cmp_lt_i16_e32 vcc, 6, v10
                                        ; implicit-def: $vgpr9
	s_and_saveexec_b64 s[16:17], vcc
	s_xor_b64 s[16:17], exec, s[16:17]
	s_cbranch_execz .LBB275_143
; %bb.134:
	flat_load_dwordx2 v[7:8], v[7:8]
	s_mov_b32 s18, 0x43f00000
	s_waitcnt vmcnt(0) lgkmcnt(0)
	v_cvt_f32_f64_e32 v7, v[7:8]
                                        ; implicit-def: $vgpr8
	v_and_b32_e32 v9, 0x7fffffff, v7
	v_cmp_gt_u32_e32 vcc, s18, v9
	s_and_saveexec_b64 s[18:19], vcc
	s_xor_b64 s[18:19], exec, s[18:19]
	s_cbranch_execz .LBB275_140
; %bb.135:
	s_mov_b32 s20, 0x3c7fffff
	v_cmp_lt_u32_e32 vcc, s20, v9
                                        ; implicit-def: $vgpr8
	s_and_saveexec_b64 s[20:21], vcc
	s_xor_b64 s[20:21], exec, s[20:21]
; %bb.136:
	v_bfe_u32 v8, v7, 20, 1
	s_mov_b32 s22, 0x407ffff
	v_add3_u32 v8, v7, v8, s22
	v_lshrrev_b32_e32 v9, 20, v8
	v_and_b32_e32 v8, 0xff00000, v8
	s_mov_b32 s22, 0x7f00000
	v_mov_b32_e32 v10, 0x7e
	v_cmp_ne_u32_e32 vcc, s22, v8
	v_cndmask_b32_e32 v8, v10, v9, vcc
; %bb.137:
	s_andn2_saveexec_b64 s[20:21], s[20:21]
; %bb.138:
	s_mov_b32 s22, 0x46800000
	v_add_f32_e64 v8, |v7|, s22
; %bb.139:
	s_or_b64 exec, exec, s[20:21]
                                        ; implicit-def: $vgpr9
.LBB275_140:
	s_andn2_saveexec_b64 s[18:19], s[18:19]
; %bb.141:
	s_mov_b32 s20, 0x7f800000
	v_mov_b32_e32 v8, 0x7e
	v_mov_b32_e32 v10, 0x7f
	v_cmp_lt_u32_e32 vcc, s20, v9
	v_cndmask_b32_e32 v8, v8, v10, vcc
; %bb.142:
	s_or_b64 exec, exec, s[18:19]
	v_lshrrev_b32_e32 v7, 24, v7
	s_movk_i32 s18, 0x80
	v_and_or_b32 v9, v7, s18, v8
                                        ; implicit-def: $vgpr7_vgpr8
.LBB275_143:
	s_andn2_saveexec_b64 s[16:17], s[16:17]
	s_cbranch_execz .LBB275_153
; %bb.144:
	flat_load_dword v7, v[7:8]
	s_mov_b32 s18, 0x43f00000
                                        ; implicit-def: $vgpr8
	s_waitcnt vmcnt(0) lgkmcnt(0)
	v_and_b32_e32 v9, 0x7fffffff, v7
	v_cmp_gt_u32_e32 vcc, s18, v9
	s_and_saveexec_b64 s[18:19], vcc
	s_xor_b64 s[18:19], exec, s[18:19]
	s_cbranch_execz .LBB275_150
; %bb.145:
	s_mov_b32 s20, 0x3c7fffff
	v_cmp_lt_u32_e32 vcc, s20, v9
                                        ; implicit-def: $vgpr8
	s_and_saveexec_b64 s[20:21], vcc
	s_xor_b64 s[20:21], exec, s[20:21]
; %bb.146:
	v_bfe_u32 v8, v7, 20, 1
	s_mov_b32 s22, 0x407ffff
	v_add3_u32 v8, v7, v8, s22
	v_lshrrev_b32_e32 v9, 20, v8
	v_and_b32_e32 v8, 0xff00000, v8
	s_mov_b32 s22, 0x7f00000
	v_mov_b32_e32 v10, 0x7e
	v_cmp_ne_u32_e32 vcc, s22, v8
	v_cndmask_b32_e32 v8, v10, v9, vcc
; %bb.147:
	s_andn2_saveexec_b64 s[20:21], s[20:21]
; %bb.148:
	s_mov_b32 s22, 0x46800000
	v_add_f32_e64 v8, |v7|, s22
; %bb.149:
	s_or_b64 exec, exec, s[20:21]
                                        ; implicit-def: $vgpr9
.LBB275_150:
	s_andn2_saveexec_b64 s[18:19], s[18:19]
; %bb.151:
	s_mov_b32 s20, 0x7f800000
	v_mov_b32_e32 v8, 0x7e
	v_mov_b32_e32 v10, 0x7f
	v_cmp_lt_u32_e32 vcc, s20, v9
	v_cndmask_b32_e32 v8, v8, v10, vcc
; %bb.152:
	s_or_b64 exec, exec, s[18:19]
	v_lshrrev_b32_e32 v7, 24, v7
	s_movk_i32 s18, 0x80
	v_and_or_b32 v9, v7, s18, v8
.LBB275_153:
	s_or_b64 exec, exec, s[16:17]
                                        ; implicit-def: $vgpr7_vgpr8
.LBB275_154:
	s_andn2_saveexec_b64 s[14:15], s[14:15]
	s_cbranch_execz .LBB275_164
; %bb.155:
	flat_load_ushort v7, v[7:8]
	s_mov_b32 s16, 0x43f00000
                                        ; implicit-def: $vgpr8
	s_waitcnt vmcnt(0) lgkmcnt(0)
	v_cvt_f32_f16_e32 v7, v7
	v_and_b32_e32 v9, 0x7fffffff, v7
	v_cmp_gt_u32_e32 vcc, s16, v9
	s_and_saveexec_b64 s[16:17], vcc
	s_xor_b64 s[16:17], exec, s[16:17]
	s_cbranch_execz .LBB275_161
; %bb.156:
	s_mov_b32 s18, 0x3c7fffff
	v_cmp_lt_u32_e32 vcc, s18, v9
                                        ; implicit-def: $vgpr8
	s_and_saveexec_b64 s[18:19], vcc
	s_xor_b64 s[18:19], exec, s[18:19]
; %bb.157:
	v_bfe_u32 v8, v7, 20, 1
	s_mov_b32 s20, 0x407ffff
	v_add3_u32 v8, v7, v8, s20
	v_lshrrev_b32_e32 v9, 20, v8
	v_and_b32_e32 v8, 0xff00000, v8
	s_mov_b32 s20, 0x7f00000
	v_mov_b32_e32 v10, 0x7e
	v_cmp_ne_u32_e32 vcc, s20, v8
	v_cndmask_b32_e32 v8, v10, v9, vcc
; %bb.158:
	s_andn2_saveexec_b64 s[18:19], s[18:19]
; %bb.159:
	s_mov_b32 s20, 0x46800000
	v_add_f32_e64 v8, |v7|, s20
; %bb.160:
	s_or_b64 exec, exec, s[18:19]
                                        ; implicit-def: $vgpr9
.LBB275_161:
	s_andn2_saveexec_b64 s[16:17], s[16:17]
; %bb.162:
	s_mov_b32 s18, 0x7f800000
	v_mov_b32_e32 v8, 0x7e
	v_mov_b32_e32 v10, 0x7f
	v_cmp_lt_u32_e32 vcc, s18, v9
	v_cndmask_b32_e32 v8, v8, v10, vcc
; %bb.163:
	s_or_b64 exec, exec, s[16:17]
	v_lshrrev_b32_e32 v7, 24, v7
	s_movk_i32 s16, 0x80
	v_and_or_b32 v9, v7, s16, v8
.LBB275_164:
	s_or_b64 exec, exec, s[14:15]
.LBB275_165:
	s_or_b64 exec, exec, s[12:13]
                                        ; implicit-def: $vgpr10
                                        ; implicit-def: $vgpr7_vgpr8
.LBB275_166:
	s_andn2_saveexec_b64 s[8:9], s[8:9]
	s_cbranch_execz .LBB275_224
; %bb.167:
	v_cmp_lt_i16_e32 vcc, 1, v10
                                        ; implicit-def: $vgpr9
	s_and_saveexec_b64 s[12:13], vcc
	s_xor_b64 s[12:13], exec, s[12:13]
	s_cbranch_execz .LBB275_201
; %bb.168:
	v_cmp_lt_i16_e32 vcc, 2, v10
                                        ; implicit-def: $vgpr9
	s_and_saveexec_b64 s[14:15], vcc
	s_xor_b64 s[14:15], exec, s[14:15]
	;; [unrolled: 6-line block ×3, first 2 shown]
	s_cbranch_execz .LBB275_179
; %bb.170:
	flat_load_dwordx2 v[7:8], v[7:8]
	s_mov_b32 s18, 0x43f00000
	s_waitcnt vmcnt(0) lgkmcnt(0)
	v_xor_b32_e32 v10, v7, v8
	v_ffbh_i32_e32 v9, v8
	v_ashrrev_i32_e32 v10, 31, v10
	v_add_u32_e32 v9, -1, v9
	v_add_u32_e32 v10, 32, v10
	v_min_u32_e32 v9, v9, v10
	v_lshlrev_b64 v[7:8], v9, v[7:8]
	v_min_u32_e32 v7, 1, v7
	v_or_b32_e32 v7, v8, v7
	v_cvt_f32_i32_e32 v7, v7
	v_sub_u32_e32 v8, 32, v9
	v_ldexp_f32 v7, v7, v8
	v_and_b32_e32 v9, 0x7fffffff, v7
	v_cmp_gt_u32_e32 vcc, s18, v9
                                        ; implicit-def: $vgpr8
	s_and_saveexec_b64 s[18:19], vcc
	s_xor_b64 s[18:19], exec, s[18:19]
	s_cbranch_execz .LBB275_176
; %bb.171:
	s_mov_b32 s20, 0x3c7fffff
	v_cmp_lt_u32_e32 vcc, s20, v9
                                        ; implicit-def: $vgpr8
	s_and_saveexec_b64 s[20:21], vcc
	s_xor_b64 s[20:21], exec, s[20:21]
; %bb.172:
	v_bfe_u32 v8, v7, 20, 1
	s_mov_b32 s22, 0x407ffff
	v_add3_u32 v8, v7, v8, s22
	v_lshrrev_b32_e32 v9, 20, v8
	v_and_b32_e32 v8, 0xff00000, v8
	s_mov_b32 s22, 0x7f00000
	v_mov_b32_e32 v10, 0x7e
	v_cmp_ne_u32_e32 vcc, s22, v8
	v_cndmask_b32_e32 v8, v10, v9, vcc
; %bb.173:
	s_andn2_saveexec_b64 s[20:21], s[20:21]
; %bb.174:
	s_mov_b32 s22, 0x46800000
	v_add_f32_e64 v8, |v7|, s22
; %bb.175:
	s_or_b64 exec, exec, s[20:21]
                                        ; implicit-def: $vgpr9
.LBB275_176:
	s_andn2_saveexec_b64 s[18:19], s[18:19]
; %bb.177:
	s_mov_b32 s20, 0x7f800000
	v_mov_b32_e32 v8, 0x7e
	v_mov_b32_e32 v10, 0x7f
	v_cmp_lt_u32_e32 vcc, s20, v9
	v_cndmask_b32_e32 v8, v8, v10, vcc
; %bb.178:
	s_or_b64 exec, exec, s[18:19]
	v_lshrrev_b32_e32 v7, 24, v7
	s_movk_i32 s18, 0x80
	v_and_or_b32 v9, v7, s18, v8
                                        ; implicit-def: $vgpr7_vgpr8
.LBB275_179:
	s_andn2_saveexec_b64 s[16:17], s[16:17]
	s_cbranch_execz .LBB275_189
; %bb.180:
	flat_load_dword v7, v[7:8]
	s_mov_b32 s18, 0x43f00000
                                        ; implicit-def: $vgpr8
	s_waitcnt vmcnt(0) lgkmcnt(0)
	v_cvt_f32_i32_e32 v7, v7
	v_and_b32_e32 v9, 0x7fffffff, v7
	v_cmp_gt_u32_e32 vcc, s18, v9
	s_and_saveexec_b64 s[18:19], vcc
	s_xor_b64 s[18:19], exec, s[18:19]
	s_cbranch_execz .LBB275_186
; %bb.181:
	s_mov_b32 s20, 0x3c7fffff
	v_cmp_lt_u32_e32 vcc, s20, v9
                                        ; implicit-def: $vgpr8
	s_and_saveexec_b64 s[20:21], vcc
	s_xor_b64 s[20:21], exec, s[20:21]
; %bb.182:
	v_bfe_u32 v8, v7, 20, 1
	s_mov_b32 s22, 0x407ffff
	v_add3_u32 v8, v7, v8, s22
	v_lshrrev_b32_e32 v9, 20, v8
	v_and_b32_e32 v8, 0xff00000, v8
	s_mov_b32 s22, 0x7f00000
	v_mov_b32_e32 v10, 0x7e
	v_cmp_ne_u32_e32 vcc, s22, v8
	v_cndmask_b32_e32 v8, v10, v9, vcc
; %bb.183:
	s_andn2_saveexec_b64 s[20:21], s[20:21]
; %bb.184:
	s_mov_b32 s22, 0x46800000
	v_add_f32_e64 v8, |v7|, s22
; %bb.185:
	s_or_b64 exec, exec, s[20:21]
                                        ; implicit-def: $vgpr9
.LBB275_186:
	s_andn2_saveexec_b64 s[18:19], s[18:19]
; %bb.187:
	s_mov_b32 s20, 0x7f800000
	v_mov_b32_e32 v8, 0x7e
	v_mov_b32_e32 v10, 0x7f
	v_cmp_lt_u32_e32 vcc, s20, v9
	v_cndmask_b32_e32 v8, v8, v10, vcc
; %bb.188:
	s_or_b64 exec, exec, s[18:19]
	v_lshrrev_b32_e32 v7, 24, v7
	s_movk_i32 s18, 0x80
	v_and_or_b32 v9, v7, s18, v8
.LBB275_189:
	s_or_b64 exec, exec, s[16:17]
                                        ; implicit-def: $vgpr7_vgpr8
.LBB275_190:
	s_andn2_saveexec_b64 s[14:15], s[14:15]
	s_cbranch_execz .LBB275_200
; %bb.191:
	flat_load_sshort v7, v[7:8]
	s_mov_b32 s16, 0x43f00000
                                        ; implicit-def: $vgpr8
	s_waitcnt vmcnt(0) lgkmcnt(0)
	v_cvt_f32_i32_e32 v7, v7
	v_and_b32_e32 v9, 0x7fffffff, v7
	v_cmp_gt_u32_e32 vcc, s16, v9
	s_and_saveexec_b64 s[16:17], vcc
	s_xor_b64 s[16:17], exec, s[16:17]
	s_cbranch_execz .LBB275_197
; %bb.192:
	s_mov_b32 s18, 0x3c7fffff
	v_cmp_lt_u32_e32 vcc, s18, v9
                                        ; implicit-def: $vgpr8
	s_and_saveexec_b64 s[18:19], vcc
	s_xor_b64 s[18:19], exec, s[18:19]
; %bb.193:
	v_bfe_u32 v8, v7, 20, 1
	s_mov_b32 s20, 0x407ffff
	v_add3_u32 v8, v7, v8, s20
	v_lshrrev_b32_e32 v9, 20, v8
	v_and_b32_e32 v8, 0xff00000, v8
	s_mov_b32 s20, 0x7f00000
	v_mov_b32_e32 v10, 0x7e
	v_cmp_ne_u32_e32 vcc, s20, v8
	v_cndmask_b32_e32 v8, v10, v9, vcc
; %bb.194:
	s_andn2_saveexec_b64 s[18:19], s[18:19]
; %bb.195:
	s_mov_b32 s20, 0x46800000
	v_add_f32_e64 v8, |v7|, s20
; %bb.196:
	s_or_b64 exec, exec, s[18:19]
                                        ; implicit-def: $vgpr9
.LBB275_197:
	s_andn2_saveexec_b64 s[16:17], s[16:17]
; %bb.198:
	s_mov_b32 s18, 0x7f800000
	v_mov_b32_e32 v8, 0x7e
	v_mov_b32_e32 v10, 0x7f
	v_cmp_lt_u32_e32 vcc, s18, v9
	v_cndmask_b32_e32 v8, v8, v10, vcc
; %bb.199:
	s_or_b64 exec, exec, s[16:17]
	v_lshrrev_b32_e32 v7, 24, v7
	s_movk_i32 s16, 0x80
	v_and_or_b32 v9, v7, s16, v8
.LBB275_200:
	s_or_b64 exec, exec, s[14:15]
                                        ; implicit-def: $vgpr10
                                        ; implicit-def: $vgpr7_vgpr8
.LBB275_201:
	s_andn2_saveexec_b64 s[12:13], s[12:13]
	s_cbranch_execz .LBB275_223
; %bb.202:
	v_cmp_lt_i16_e32 vcc, 0, v10
                                        ; implicit-def: $vgpr9
	s_and_saveexec_b64 s[14:15], vcc
	s_xor_b64 s[14:15], exec, s[14:15]
	s_cbranch_execz .LBB275_212
; %bb.203:
	flat_load_sbyte v7, v[7:8]
	s_mov_b32 s16, 0x43f00000
                                        ; implicit-def: $vgpr8
	s_waitcnt vmcnt(0) lgkmcnt(0)
	v_cvt_f32_i32_e32 v7, v7
	v_and_b32_e32 v9, 0x7fffffff, v7
	v_cmp_gt_u32_e32 vcc, s16, v9
	s_and_saveexec_b64 s[16:17], vcc
	s_xor_b64 s[16:17], exec, s[16:17]
	s_cbranch_execz .LBB275_209
; %bb.204:
	s_mov_b32 s18, 0x3c7fffff
	v_cmp_lt_u32_e32 vcc, s18, v9
                                        ; implicit-def: $vgpr8
	s_and_saveexec_b64 s[18:19], vcc
	s_xor_b64 s[18:19], exec, s[18:19]
; %bb.205:
	v_bfe_u32 v8, v7, 20, 1
	s_mov_b32 s20, 0x407ffff
	v_add3_u32 v8, v7, v8, s20
	v_lshrrev_b32_e32 v9, 20, v8
	v_and_b32_e32 v8, 0xff00000, v8
	s_mov_b32 s20, 0x7f00000
	v_mov_b32_e32 v10, 0x7e
	v_cmp_ne_u32_e32 vcc, s20, v8
	v_cndmask_b32_e32 v8, v10, v9, vcc
; %bb.206:
	s_andn2_saveexec_b64 s[18:19], s[18:19]
; %bb.207:
	s_mov_b32 s20, 0x46800000
	v_add_f32_e64 v8, |v7|, s20
; %bb.208:
	s_or_b64 exec, exec, s[18:19]
                                        ; implicit-def: $vgpr9
.LBB275_209:
	s_andn2_saveexec_b64 s[16:17], s[16:17]
; %bb.210:
	s_mov_b32 s18, 0x7f800000
	v_mov_b32_e32 v8, 0x7e
	v_mov_b32_e32 v10, 0x7f
	v_cmp_lt_u32_e32 vcc, s18, v9
	v_cndmask_b32_e32 v8, v8, v10, vcc
; %bb.211:
	s_or_b64 exec, exec, s[16:17]
	v_lshrrev_b32_e32 v7, 24, v7
	s_movk_i32 s16, 0x80
	v_and_or_b32 v9, v7, s16, v8
                                        ; implicit-def: $vgpr7_vgpr8
.LBB275_212:
	s_andn2_saveexec_b64 s[14:15], s[14:15]
	s_cbranch_execz .LBB275_222
; %bb.213:
	flat_load_ubyte v7, v[7:8]
	s_mov_b32 s16, 0x43f00000
                                        ; implicit-def: $vgpr9
	s_waitcnt vmcnt(0) lgkmcnt(0)
	v_cvt_f32_ubyte0_e32 v7, v7
	v_cmp_gt_u32_e32 vcc, s16, v7
	s_and_saveexec_b64 s[16:17], vcc
	s_xor_b64 s[16:17], exec, s[16:17]
	s_cbranch_execz .LBB275_219
; %bb.214:
	s_mov_b32 s18, 0x3c7fffff
	v_cmp_lt_u32_e32 vcc, s18, v7
                                        ; implicit-def: $vgpr9
	s_and_saveexec_b64 s[18:19], vcc
	s_xor_b64 s[18:19], exec, s[18:19]
; %bb.215:
	v_bfe_u32 v8, v7, 20, 1
	s_mov_b32 s20, 0x407ffff
	v_add3_u32 v7, v7, v8, s20
	v_lshrrev_b32_e32 v8, 20, v7
	v_and_b32_e32 v7, 0xff00000, v7
	s_mov_b32 s20, 0x7f00000
	v_mov_b32_e32 v9, 0x7e
	v_cmp_ne_u32_e32 vcc, s20, v7
	v_cndmask_b32_e32 v9, v9, v8, vcc
                                        ; implicit-def: $vgpr7
; %bb.216:
	s_andn2_saveexec_b64 s[18:19], s[18:19]
; %bb.217:
	v_add_f32_e32 v9, 0x46800000, v7
; %bb.218:
	s_or_b64 exec, exec, s[18:19]
                                        ; implicit-def: $vgpr7
.LBB275_219:
	s_andn2_saveexec_b64 s[16:17], s[16:17]
; %bb.220:
	s_mov_b32 s18, 0x7f800000
	v_mov_b32_e32 v8, 0x7e
	v_mov_b32_e32 v9, 0x7f
	v_cmp_lt_u32_e32 vcc, s18, v7
	v_cndmask_b32_e32 v9, v8, v9, vcc
; %bb.221:
	s_or_b64 exec, exec, s[16:17]
.LBB275_222:
	s_or_b64 exec, exec, s[14:15]
.LBB275_223:
	s_or_b64 exec, exec, s[12:13]
.LBB275_224:
	s_or_b64 exec, exec, s[8:9]
	s_or_b64 s[10:11], s[10:11], exec
.LBB275_225:
	s_or_b64 exec, exec, s[6:7]
	s_mov_b64 s[14:15], 0
	s_mov_b64 s[12:13], 0
	;; [unrolled: 1-line block ×3, first 2 shown]
                                        ; implicit-def: $vgpr10
                                        ; implicit-def: $vgpr7_vgpr8
                                        ; implicit-def: $vgpr11
	s_and_saveexec_b64 s[6:7], s[10:11]
	s_cbranch_execz .LBB275_324
; %bb.226:
	flat_load_dwordx2 v[7:8], v[1:2] offset:8
	flat_load_dword v11, v[3:4] offset:4
	flat_load_ubyte v10, v[5:6] offset:1
	s_mov_b64 s[12:13], -1
	s_mov_b64 s[10:11], 0
	s_mov_b64 s[16:17], s[4:5]
	s_waitcnt vmcnt(0) lgkmcnt(0)
	v_add_co_u32_e32 v7, vcc, v7, v11
	v_addc_co_u32_e32 v8, vcc, 0, v8, vcc
	v_cmp_lt_i16_e32 vcc, 10, v10
                                        ; implicit-def: $vgpr11
	s_and_saveexec_b64 s[8:9], vcc
	s_cbranch_execz .LBB275_311
; %bb.227:
	v_cmp_lt_i16_e32 vcc, 25, v10
	s_mov_b64 s[16:17], 0
                                        ; implicit-def: $vgpr11
	s_and_saveexec_b64 s[12:13], vcc
	s_xor_b64 s[12:13], exec, s[12:13]
	s_cbranch_execz .LBB275_508
; %bb.228:
	v_cmp_lt_i16_e32 vcc, 28, v10
	s_mov_b64 s[18:19], 0
                                        ; implicit-def: $vgpr11
	s_and_saveexec_b64 s[14:15], vcc
	s_xor_b64 s[14:15], exec, s[14:15]
	s_cbranch_execz .LBB275_268
; %bb.229:
	v_cmp_lt_i16_e32 vcc, 43, v10
	s_mov_b64 s[20:21], 0
	s_mov_b64 s[22:23], 0
                                        ; implicit-def: $vgpr11
	s_and_saveexec_b64 s[16:17], vcc
	s_xor_b64 s[16:17], exec, s[16:17]
	s_cbranch_execz .LBB275_255
; %bb.230:
	v_cmp_lt_i16_e32 vcc, 45, v10
                                        ; implicit-def: $vgpr11
	s_and_saveexec_b64 s[22:23], vcc
	s_xor_b64 s[22:23], exec, s[22:23]
	s_cbranch_execz .LBB275_242
; %bb.231:
	v_cmp_eq_u16_e32 vcc, 46, v10
	s_mov_b64 s[24:25], -1
                                        ; implicit-def: $vgpr11
	s_and_saveexec_b64 s[18:19], vcc
	s_cbranch_execz .LBB275_241
; %bb.232:
	flat_load_dword v1, v[7:8]
	s_mov_b32 s20, 0x43f00000
                                        ; implicit-def: $vgpr2
	s_waitcnt vmcnt(0) lgkmcnt(0)
	v_lshlrev_b32_e32 v1, 16, v1
	v_and_b32_e32 v3, 0x7fffffff, v1
	v_cmp_gt_u32_e32 vcc, s20, v3
	s_and_saveexec_b64 s[20:21], vcc
	s_xor_b64 s[20:21], exec, s[20:21]
	s_cbranch_execz .LBB275_238
; %bb.233:
	s_mov_b32 s24, 0x3c7fffff
	v_cmp_lt_u32_e32 vcc, s24, v3
                                        ; implicit-def: $vgpr2
	s_and_saveexec_b64 s[24:25], vcc
	s_xor_b64 s[24:25], exec, s[24:25]
; %bb.234:
	v_bfe_u32 v2, v1, 20, 1
	s_mov_b32 s26, 0x407ffff
	v_add3_u32 v2, v1, v2, s26
	v_lshrrev_b32_e32 v3, 20, v2
	v_and_b32_e32 v2, 0xff00000, v2
	s_mov_b32 s26, 0x7f00000
	v_mov_b32_e32 v4, 0x7e
	v_cmp_ne_u32_e32 vcc, s26, v2
	v_cndmask_b32_e32 v2, v4, v3, vcc
; %bb.235:
	s_andn2_saveexec_b64 s[24:25], s[24:25]
; %bb.236:
	s_mov_b32 s26, 0x46800000
	v_add_f32_e64 v2, |v1|, s26
; %bb.237:
	s_or_b64 exec, exec, s[24:25]
                                        ; implicit-def: $vgpr3
.LBB275_238:
	s_andn2_saveexec_b64 s[20:21], s[20:21]
; %bb.239:
	s_mov_b32 s24, 0x7f800000
	v_mov_b32_e32 v2, 0x7e
	v_mov_b32_e32 v4, 0x7f
	v_cmp_lt_u32_e32 vcc, s24, v3
	v_cndmask_b32_e32 v2, v2, v4, vcc
; %bb.240:
	s_or_b64 exec, exec, s[20:21]
	v_lshrrev_b32_e32 v1, 24, v1
	s_movk_i32 s24, 0x80
	s_mov_b64 s[20:21], exec
	v_and_or_b32 v11, v1, s24, v2
	s_xor_b64 s[24:25], exec, -1
.LBB275_241:
	s_or_b64 exec, exec, s[18:19]
	s_and_b64 s[20:21], s[20:21], exec
	s_and_b64 s[18:19], s[24:25], exec
.LBB275_242:
	s_andn2_saveexec_b64 s[22:23], s[22:23]
	s_cbranch_execz .LBB275_254
; %bb.243:
	v_cmp_eq_u16_e32 vcc, 44, v10
	s_mov_b64 s[26:27], -1
	s_mov_b64 s[28:29], s[20:21]
                                        ; implicit-def: $vgpr11
	s_and_saveexec_b64 s[24:25], vcc
	s_cbranch_execz .LBB275_253
; %bb.244:
	flat_load_ubyte v1, v[7:8]
	s_movk_i32 s26, 0xff
	v_mov_b32_e32 v2, 0x7f800001
	v_mov_b32_e32 v3, 0x400000
                                        ; implicit-def: $vgpr11
	s_waitcnt vmcnt(0) lgkmcnt(0)
	v_lshlrev_b32_e32 v4, 23, v1
	v_cmp_ne_u32_e32 vcc, s26, v1
	v_cndmask_b32_e32 v2, v2, v4, vcc
	v_cmp_ne_u32_e32 vcc, 0, v1
	v_cndmask_b32_e32 v1, v3, v2, vcc
	s_mov_b32 s26, 0x43f00000
	v_cmp_gt_u32_e32 vcc, s26, v1
	s_and_saveexec_b64 s[26:27], vcc
	s_xor_b64 s[26:27], exec, s[26:27]
	s_cbranch_execz .LBB275_250
; %bb.245:
	s_mov_b32 s28, 0x3c7fffff
	v_cmp_lt_u32_e32 vcc, s28, v1
                                        ; implicit-def: $vgpr11
	s_and_saveexec_b64 s[28:29], vcc
	s_xor_b64 s[28:29], exec, s[28:29]
; %bb.246:
	v_bfe_u32 v2, v1, 20, 1
	s_mov_b32 s40, 0x407ffff
	v_add3_u32 v1, v1, v2, s40
	v_lshrrev_b32_e32 v2, 20, v1
	v_and_b32_e32 v1, 0xff00000, v1
	s_mov_b32 s40, 0x7f00000
	v_mov_b32_e32 v3, 0x7e
	v_cmp_ne_u32_e32 vcc, s40, v1
	v_cndmask_b32_e32 v11, v3, v2, vcc
                                        ; implicit-def: $vgpr1
; %bb.247:
	s_andn2_saveexec_b64 s[28:29], s[28:29]
; %bb.248:
	v_add_f32_e32 v11, 0x46800000, v1
; %bb.249:
	s_or_b64 exec, exec, s[28:29]
                                        ; implicit-def: $vgpr1
.LBB275_250:
	s_andn2_saveexec_b64 s[26:27], s[26:27]
; %bb.251:
	s_mov_b32 s28, 0x7f800000
	v_mov_b32_e32 v2, 0x7e
	v_mov_b32_e32 v3, 0x7f
	v_cmp_lt_u32_e32 vcc, s28, v1
	v_cndmask_b32_e32 v11, v2, v3, vcc
; %bb.252:
	s_or_b64 exec, exec, s[26:27]
	s_or_b64 s[28:29], s[20:21], exec
	s_xor_b64 s[26:27], exec, -1
.LBB275_253:
	s_or_b64 exec, exec, s[24:25]
	s_andn2_b64 s[20:21], s[20:21], exec
	s_and_b64 s[24:25], s[28:29], exec
	s_or_b64 s[20:21], s[20:21], s[24:25]
	s_andn2_b64 s[18:19], s[18:19], exec
	s_and_b64 s[24:25], s[26:27], exec
	s_or_b64 s[18:19], s[18:19], s[24:25]
.LBB275_254:
	s_or_b64 exec, exec, s[22:23]
	s_and_b64 s[22:23], s[20:21], exec
	s_and_b64 s[20:21], s[18:19], exec
.LBB275_255:
	s_andn2_saveexec_b64 s[16:17], s[16:17]
	s_cbranch_execz .LBB275_267
; %bb.256:
	v_cmp_eq_u16_e32 vcc, 29, v10
	s_mov_b64 s[24:25], -1
	s_mov_b64 s[26:27], s[22:23]
                                        ; implicit-def: $vgpr11
	s_and_saveexec_b64 s[18:19], vcc
	s_cbranch_execz .LBB275_266
; %bb.257:
	flat_load_dwordx2 v[1:2], v[7:8]
	s_mov_b32 s24, 0x43f00000
                                        ; implicit-def: $vgpr11
	s_waitcnt vmcnt(0) lgkmcnt(0)
	v_ffbh_u32_e32 v3, v2
	v_min_u32_e32 v3, 32, v3
	v_lshlrev_b64 v[1:2], v3, v[1:2]
	v_min_u32_e32 v1, 1, v1
	v_or_b32_e32 v1, v2, v1
	v_cvt_f32_u32_e32 v1, v1
	v_sub_u32_e32 v2, 32, v3
	v_ldexp_f32 v1, v1, v2
	v_cmp_gt_u32_e32 vcc, s24, v1
	s_and_saveexec_b64 s[24:25], vcc
	s_xor_b64 s[24:25], exec, s[24:25]
	s_cbranch_execz .LBB275_263
; %bb.258:
	s_mov_b32 s26, 0x3c7fffff
	v_cmp_lt_u32_e32 vcc, s26, v1
                                        ; implicit-def: $vgpr11
	s_and_saveexec_b64 s[26:27], vcc
	s_xor_b64 s[26:27], exec, s[26:27]
; %bb.259:
	v_bfe_u32 v2, v1, 20, 1
	s_mov_b32 s28, 0x407ffff
	v_add3_u32 v1, v1, v2, s28
	v_lshrrev_b32_e32 v2, 20, v1
	v_and_b32_e32 v1, 0xff00000, v1
	s_mov_b32 s28, 0x7f00000
	v_mov_b32_e32 v3, 0x7e
	v_cmp_ne_u32_e32 vcc, s28, v1
	v_cndmask_b32_e32 v11, v3, v2, vcc
                                        ; implicit-def: $vgpr1
; %bb.260:
	s_andn2_saveexec_b64 s[26:27], s[26:27]
; %bb.261:
	v_add_f32_e32 v11, 0x46800000, v1
; %bb.262:
	s_or_b64 exec, exec, s[26:27]
                                        ; implicit-def: $vgpr1
.LBB275_263:
	s_andn2_saveexec_b64 s[24:25], s[24:25]
; %bb.264:
	s_mov_b32 s26, 0x7f800000
	v_mov_b32_e32 v2, 0x7e
	v_mov_b32_e32 v3, 0x7f
	v_cmp_lt_u32_e32 vcc, s26, v1
	v_cndmask_b32_e32 v11, v2, v3, vcc
; %bb.265:
	s_or_b64 exec, exec, s[24:25]
	s_or_b64 s[26:27], s[22:23], exec
	s_xor_b64 s[24:25], exec, -1
.LBB275_266:
	s_or_b64 exec, exec, s[18:19]
	s_andn2_b64 s[18:19], s[22:23], exec
	s_and_b64 s[22:23], s[26:27], exec
	s_or_b64 s[22:23], s[18:19], s[22:23]
	s_andn2_b64 s[18:19], s[20:21], exec
	s_and_b64 s[20:21], s[24:25], exec
	s_or_b64 s[20:21], s[18:19], s[20:21]
.LBB275_267:
	s_or_b64 exec, exec, s[16:17]
	s_and_b64 s[18:19], s[22:23], exec
	s_and_b64 s[16:17], s[20:21], exec
.LBB275_268:
	s_andn2_saveexec_b64 s[14:15], s[14:15]
	s_cbranch_execz .LBB275_308
; %bb.269:
	v_cmp_lt_i16_e32 vcc, 26, v10
                                        ; implicit-def: $vgpr11
	s_and_saveexec_b64 s[20:21], vcc
	s_xor_b64 s[20:21], exec, s[20:21]
	s_cbranch_execz .LBB275_291
; %bb.270:
	v_cmp_lt_i16_e32 vcc, 27, v10
                                        ; implicit-def: $vgpr11
	s_and_saveexec_b64 s[22:23], vcc
	s_xor_b64 s[22:23], exec, s[22:23]
	s_cbranch_execz .LBB275_280
; %bb.271:
	flat_load_dword v1, v[7:8]
	s_mov_b32 s24, 0x43f00000
                                        ; implicit-def: $vgpr11
	s_waitcnt vmcnt(0) lgkmcnt(0)
	v_cvt_f32_u32_e32 v1, v1
	v_cmp_gt_u32_e32 vcc, s24, v1
	s_and_saveexec_b64 s[24:25], vcc
	s_xor_b64 s[24:25], exec, s[24:25]
	s_cbranch_execz .LBB275_277
; %bb.272:
	s_mov_b32 s26, 0x3c7fffff
	v_cmp_lt_u32_e32 vcc, s26, v1
                                        ; implicit-def: $vgpr11
	s_and_saveexec_b64 s[26:27], vcc
	s_xor_b64 s[26:27], exec, s[26:27]
; %bb.273:
	v_bfe_u32 v2, v1, 20, 1
	s_mov_b32 s28, 0x407ffff
	v_add3_u32 v1, v1, v2, s28
	v_lshrrev_b32_e32 v2, 20, v1
	v_and_b32_e32 v1, 0xff00000, v1
	s_mov_b32 s28, 0x7f00000
	v_mov_b32_e32 v3, 0x7e
	v_cmp_ne_u32_e32 vcc, s28, v1
	v_cndmask_b32_e32 v11, v3, v2, vcc
                                        ; implicit-def: $vgpr1
; %bb.274:
	s_andn2_saveexec_b64 s[26:27], s[26:27]
; %bb.275:
	v_add_f32_e32 v11, 0x46800000, v1
; %bb.276:
	s_or_b64 exec, exec, s[26:27]
                                        ; implicit-def: $vgpr1
.LBB275_277:
	s_andn2_saveexec_b64 s[24:25], s[24:25]
; %bb.278:
	s_mov_b32 s26, 0x7f800000
	v_mov_b32_e32 v2, 0x7e
	v_mov_b32_e32 v3, 0x7f
	v_cmp_lt_u32_e32 vcc, s26, v1
	v_cndmask_b32_e32 v11, v2, v3, vcc
; %bb.279:
	s_or_b64 exec, exec, s[24:25]
.LBB275_280:
	s_andn2_saveexec_b64 s[22:23], s[22:23]
	s_cbranch_execz .LBB275_290
; %bb.281:
	flat_load_ushort v1, v[7:8]
	s_mov_b32 s24, 0x43f00000
                                        ; implicit-def: $vgpr11
	s_waitcnt vmcnt(0) lgkmcnt(0)
	v_cvt_f32_u32_e32 v1, v1
	v_cmp_gt_u32_e32 vcc, s24, v1
	s_and_saveexec_b64 s[24:25], vcc
	s_xor_b64 s[24:25], exec, s[24:25]
	s_cbranch_execz .LBB275_287
; %bb.282:
	s_mov_b32 s26, 0x3c7fffff
	v_cmp_lt_u32_e32 vcc, s26, v1
                                        ; implicit-def: $vgpr11
	s_and_saveexec_b64 s[26:27], vcc
	s_xor_b64 s[26:27], exec, s[26:27]
; %bb.283:
	v_bfe_u32 v2, v1, 20, 1
	s_mov_b32 s28, 0x407ffff
	v_add3_u32 v1, v1, v2, s28
	v_lshrrev_b32_e32 v2, 20, v1
	v_and_b32_e32 v1, 0xff00000, v1
	s_mov_b32 s28, 0x7f00000
	v_mov_b32_e32 v3, 0x7e
	v_cmp_ne_u32_e32 vcc, s28, v1
	v_cndmask_b32_e32 v11, v3, v2, vcc
                                        ; implicit-def: $vgpr1
; %bb.284:
	s_andn2_saveexec_b64 s[26:27], s[26:27]
; %bb.285:
	v_add_f32_e32 v11, 0x46800000, v1
; %bb.286:
	s_or_b64 exec, exec, s[26:27]
                                        ; implicit-def: $vgpr1
.LBB275_287:
	s_andn2_saveexec_b64 s[24:25], s[24:25]
; %bb.288:
	s_mov_b32 s26, 0x7f800000
	v_mov_b32_e32 v2, 0x7e
	v_mov_b32_e32 v3, 0x7f
	v_cmp_lt_u32_e32 vcc, s26, v1
	v_cndmask_b32_e32 v11, v2, v3, vcc
; %bb.289:
	s_or_b64 exec, exec, s[24:25]
.LBB275_290:
	s_or_b64 exec, exec, s[22:23]
.LBB275_291:
	s_andn2_saveexec_b64 s[20:21], s[20:21]
	s_cbranch_execz .LBB275_307
; %bb.292:
	flat_load_ubyte v2, v[7:8]
	s_movk_i32 s22, 0x7f
	s_waitcnt vmcnt(0) lgkmcnt(0)
	v_cmp_lt_i16_e32 vcc, s22, v2
	s_mov_b64 s[22:23], 0
	s_and_saveexec_b64 s[24:25], vcc
	s_xor_b64 s[24:25], exec, s[24:25]
	s_cbranch_execz .LBB275_561
; %bb.293:
	s_movk_i32 s22, 0x80
	v_cmp_eq_u16_e32 vcc, s22, v2
	s_mov_b64 s[22:23], -1
	s_and_saveexec_b64 s[26:27], vcc
; %bb.294:
	s_xor_b64 s[22:23], exec, -1
; %bb.295:
	s_or_b64 exec, exec, s[26:27]
	s_and_b64 s[22:23], s[22:23], exec
	s_or_saveexec_b64 s[24:25], s[24:25]
	v_mov_b32_e32 v1, 0x7f800001
	s_xor_b64 exec, exec, s[24:25]
	s_cbranch_execnz .LBB275_562
.LBB275_296:
	s_or_b64 exec, exec, s[24:25]
	s_and_saveexec_b64 s[24:25], s[22:23]
	s_cbranch_execz .LBB275_298
.LBB275_297:
	v_lshlrev_b32_e32 v1, 24, v2
	v_and_b32_e32 v2, 0xffff, v2
	v_and_b32_e32 v3, 7, v2
	v_ffbh_u32_e32 v5, v3
	v_min_u32_e32 v5, 32, v5
	v_subrev_u32_e32 v6, 28, v5
	v_bfe_u32 v4, v2, 3, 4
	v_lshlrev_b32_e32 v2, v6, v2
	v_sub_u32_e32 v5, 29, v5
	v_and_b32_e32 v2, 7, v2
	v_cmp_eq_u32_e32 vcc, 0, v4
	v_cndmask_b32_e32 v4, v4, v5, vcc
	v_cndmask_b32_e32 v2, v3, v2, vcc
	v_mov_b32_e32 v3, 0x3b800000
	v_lshlrev_b32_e32 v2, 20, v2
	v_and_b32_e32 v1, 0x80000000, v1
	v_lshl_add_u32 v3, v4, 23, v3
	v_or3_b32 v1, v1, v3, v2
.LBB275_298:
	s_or_b64 exec, exec, s[24:25]
	v_and_b32_e32 v3, 0x7fffffff, v1
	s_mov_b32 s22, 0x43f00000
	v_cmp_gt_u32_e32 vcc, s22, v3
                                        ; implicit-def: $vgpr2
	s_and_saveexec_b64 s[22:23], vcc
	s_xor_b64 s[22:23], exec, s[22:23]
	s_cbranch_execz .LBB275_304
; %bb.299:
	s_mov_b32 s24, 0x3c7fffff
	v_cmp_lt_u32_e32 vcc, s24, v3
                                        ; implicit-def: $vgpr2
	s_and_saveexec_b64 s[24:25], vcc
	s_xor_b64 s[24:25], exec, s[24:25]
; %bb.300:
	v_bfe_u32 v2, v1, 20, 1
	s_mov_b32 s26, 0x407ffff
	v_add3_u32 v2, v1, v2, s26
	v_lshrrev_b32_e32 v3, 20, v2
	v_and_b32_e32 v2, 0xff00000, v2
	s_mov_b32 s26, 0x7f00000
	v_mov_b32_e32 v4, 0x7e
	v_cmp_ne_u32_e32 vcc, s26, v2
	v_cndmask_b32_e32 v2, v4, v3, vcc
; %bb.301:
	s_andn2_saveexec_b64 s[24:25], s[24:25]
; %bb.302:
	s_mov_b32 s26, 0x46800000
	v_add_f32_e64 v2, |v1|, s26
; %bb.303:
	s_or_b64 exec, exec, s[24:25]
                                        ; implicit-def: $vgpr3
.LBB275_304:
	s_andn2_saveexec_b64 s[22:23], s[22:23]
; %bb.305:
	s_mov_b32 s24, 0x7f800000
	v_mov_b32_e32 v2, 0x7e
	v_mov_b32_e32 v4, 0x7f
	v_cmp_lt_u32_e32 vcc, s24, v3
	v_cndmask_b32_e32 v2, v2, v4, vcc
; %bb.306:
	s_or_b64 exec, exec, s[22:23]
	v_lshrrev_b32_e32 v1, 24, v1
	s_movk_i32 s22, 0x80
	v_and_or_b32 v11, v1, s22, v2
.LBB275_307:
	s_or_b64 exec, exec, s[20:21]
	s_or_b64 s[18:19], s[18:19], exec
.LBB275_308:
	s_or_b64 exec, exec, s[14:15]
	s_and_b64 s[14:15], s[18:19], exec
	s_and_b64 s[16:17], s[16:17], exec
	s_andn2_saveexec_b64 s[12:13], s[12:13]
	s_cbranch_execnz .LBB275_509
.LBB275_309:
	s_or_b64 exec, exec, s[12:13]
	s_mov_b64 s[18:19], s[4:5]
	s_and_saveexec_b64 s[12:13], s[16:17]
	s_cbranch_execnz .LBB275_558
.LBB275_310:
	s_or_b64 exec, exec, s[12:13]
	s_andn2_b64 s[16:17], s[4:5], exec
	s_and_b64 s[18:19], s[18:19], exec
	s_and_b64 s[14:15], s[14:15], exec
	s_xor_b64 s[12:13], exec, -1
	s_and_b64 s[10:11], s[10:11], exec
	s_or_b64 s[16:17], s[16:17], s[18:19]
.LBB275_311:
	s_or_b64 exec, exec, s[8:9]
	s_and_b64 s[8:9], s[14:15], exec
	s_and_b64 s[14:15], s[10:11], exec
	s_andn2_b64 s[4:5], s[4:5], exec
	s_and_b64 s[10:11], s[16:17], exec
	s_and_b64 s[12:13], s[12:13], exec
	s_or_b64 s[4:5], s[4:5], s[10:11]
	s_or_b64 exec, exec, s[6:7]
	s_and_saveexec_b64 s[6:7], s[4:5]
	s_cbranch_execnz .LBB275_325
.LBB275_312:
	s_or_b64 exec, exec, s[6:7]
	s_and_saveexec_b64 s[4:5], s[14:15]
	s_cbranch_execz .LBB275_326
.LBB275_313:
	flat_load_ubyte v1, v[7:8]
	s_mov_b32 s6, 0x43f00000
                                        ; implicit-def: $vgpr11
	s_waitcnt vmcnt(0) lgkmcnt(0)
	v_cmp_ne_u16_e32 vcc, 0, v1
	v_cndmask_b32_e64 v1, 0, 1.0, vcc
	v_cmp_gt_u32_e32 vcc, s6, v1
	s_and_saveexec_b64 s[6:7], vcc
	s_xor_b64 s[6:7], exec, s[6:7]
	s_cbranch_execz .LBB275_319
; %bb.314:
	s_mov_b32 s10, 0x3c7fffff
	v_cmp_lt_u32_e32 vcc, s10, v1
                                        ; implicit-def: $vgpr11
	s_and_saveexec_b64 s[10:11], vcc
	s_xor_b64 s[10:11], exec, s[10:11]
; %bb.315:
	v_bfe_u32 v2, v1, 20, 1
	s_mov_b32 s14, 0x407ffff
	v_add3_u32 v1, v1, v2, s14
	v_lshrrev_b32_e32 v2, 20, v1
	v_and_b32_e32 v1, 0xff00000, v1
	s_mov_b32 s14, 0x7f00000
	v_mov_b32_e32 v3, 0x7e
	v_cmp_ne_u32_e32 vcc, s14, v1
	v_cndmask_b32_e32 v11, v3, v2, vcc
                                        ; implicit-def: $vgpr1
; %bb.316:
	s_andn2_saveexec_b64 s[10:11], s[10:11]
; %bb.317:
	v_add_f32_e32 v11, 0x46800000, v1
; %bb.318:
	s_or_b64 exec, exec, s[10:11]
                                        ; implicit-def: $vgpr1
.LBB275_319:
	s_andn2_saveexec_b64 s[6:7], s[6:7]
; %bb.320:
	s_mov_b32 s10, 0x7f800000
	v_mov_b32_e32 v2, 0x7e
	v_mov_b32_e32 v3, 0x7f
	v_cmp_lt_u32_e32 vcc, s10, v1
	v_cndmask_b32_e32 v11, v2, v3, vcc
; %bb.321:
	s_or_b64 exec, exec, s[6:7]
	s_or_b64 s[8:9], s[8:9], exec
	s_or_b64 exec, exec, s[4:5]
	s_and_saveexec_b64 s[4:5], s[12:13]
	s_cbranch_execnz .LBB275_327
.LBB275_322:
	s_or_b64 exec, exec, s[4:5]
                                        ; implicit-def: $sgpr6_sgpr7
	s_and_saveexec_b64 s[4:5], s[8:9]
	s_cbranch_execz .LBB275_456
.LBB275_323:
	s_waitcnt vmcnt(0) lgkmcnt(0)
	v_lshlrev_b32_e32 v1, 24, v9
	v_and_b32_e32 v2, 0x7f000000, v1
	v_ffbh_u32_e32 v3, v2
	v_min_u32_e32 v3, 32, v3
	v_sub_u32_e64 v3, v3, 4 clamp
	v_lshlrev_b32_e32 v5, v3, v2
	v_lshrrev_b32_e32 v5, 4, v5
	v_lshlrev_b32_e32 v3, 23, v3
	v_add_u32_e32 v4, 0x1000000, v2
	v_sub_u32_e32 v3, v5, v3
	v_ashrrev_i32_e32 v4, 8, v4
	v_add_u32_e32 v3, 0x3c000000, v3
	s_mov_b32 s6, 0x7f800000
	v_and_or_b32 v3, v4, s6, v3
	v_cmp_ne_u32_e32 vcc, 0, v2
	v_cndmask_b32_e32 v2, 0, v3, vcc
	s_brev_b32 s7, 1
	v_and_or_b32 v1, v1, s7, v2
	v_lshlrev_b32_e32 v2, 24, v11
	v_and_b32_e32 v3, 0x7f000000, v2
	v_ffbh_u32_e32 v4, v3
	v_min_u32_e32 v4, 32, v4
	v_sub_u32_e64 v4, v4, 4 clamp
	v_lshlrev_b32_e32 v6, v4, v3
	v_lshrrev_b32_e32 v6, 4, v6
	v_lshlrev_b32_e32 v4, 23, v4
	v_add_u32_e32 v5, 0x1000000, v3
	v_sub_u32_e32 v4, v6, v4
	v_ashrrev_i32_e32 v5, 8, v5
	v_add_u32_e32 v4, 0x3c000000, v4
	v_and_or_b32 v4, v5, s6, v4
	v_cmp_ne_u32_e32 vcc, 0, v3
	v_cndmask_b32_e32 v3, 0, v4, vcc
	v_and_or_b32 v2, v2, s7, v3
	v_cmp_eq_f32_e32 vcc, v1, v2
	v_cndmask_b32_e64 v3, 0, 1, vcc
	v_cmp_neq_f32_e32 vcc, v1, v2
	v_cndmask_b32_e64 v1, 0, 1, vcc
	v_cmp_eq_u32_e32 vcc, 0, v0
	v_cndmask_b32_e32 v0, v1, v3, vcc
	v_and_b32_e32 v0, 1, v0
	v_cmp_eq_u32_e64 s[6:7], 1, v0
	s_or_b64 exec, exec, s[4:5]
	v_cndmask_b32_e64 v0, 0, 1, s[6:7]
	s_setpc_b64 s[30:31]
.LBB275_324:
	s_or_b64 exec, exec, s[6:7]
	s_and_saveexec_b64 s[6:7], s[4:5]
	s_cbranch_execz .LBB275_312
.LBB275_325:
	; divergent unreachable
	s_or_b64 exec, exec, s[6:7]
	s_and_saveexec_b64 s[4:5], s[14:15]
	s_cbranch_execnz .LBB275_313
.LBB275_326:
	s_or_b64 exec, exec, s[4:5]
	s_and_saveexec_b64 s[4:5], s[12:13]
	s_cbranch_execz .LBB275_322
.LBB275_327:
	v_cmp_lt_i16_e32 vcc, 4, v10
                                        ; implicit-def: $vgpr11
	s_and_saveexec_b64 s[6:7], vcc
	s_xor_b64 s[6:7], exec, s[6:7]
	s_cbranch_execz .LBB275_397
; %bb.328:
	v_cmp_lt_i16_e32 vcc, 7, v10
                                        ; implicit-def: $vgpr11
	s_and_saveexec_b64 s[10:11], vcc
	s_xor_b64 s[10:11], exec, s[10:11]
	s_cbranch_execz .LBB275_362
; %bb.329:
	;; [unrolled: 6-line block ×4, first 2 shown]
	flat_load_dwordx2 v[1:2], v[7:8]
	s_mov_b32 s16, 0x43f00000
	s_waitcnt vmcnt(0) lgkmcnt(0)
	v_cvt_f32_f64_e32 v1, v[1:2]
                                        ; implicit-def: $vgpr2
	v_and_b32_e32 v3, 0x7fffffff, v1
	v_cmp_gt_u32_e32 vcc, s16, v3
	s_and_saveexec_b64 s[16:17], vcc
	s_xor_b64 s[16:17], exec, s[16:17]
	s_cbranch_execz .LBB275_337
; %bb.332:
	s_mov_b32 s18, 0x3c7fffff
	v_cmp_lt_u32_e32 vcc, s18, v3
                                        ; implicit-def: $vgpr2
	s_and_saveexec_b64 s[18:19], vcc
	s_xor_b64 s[18:19], exec, s[18:19]
; %bb.333:
	v_bfe_u32 v2, v1, 20, 1
	s_mov_b32 s20, 0x407ffff
	v_add3_u32 v2, v1, v2, s20
	v_lshrrev_b32_e32 v3, 20, v2
	v_and_b32_e32 v2, 0xff00000, v2
	s_mov_b32 s20, 0x7f00000
	v_mov_b32_e32 v4, 0x7e
	v_cmp_ne_u32_e32 vcc, s20, v2
	v_cndmask_b32_e32 v2, v4, v3, vcc
; %bb.334:
	s_andn2_saveexec_b64 s[18:19], s[18:19]
; %bb.335:
	s_mov_b32 s20, 0x46800000
	v_add_f32_e64 v2, |v1|, s20
; %bb.336:
	s_or_b64 exec, exec, s[18:19]
                                        ; implicit-def: $vgpr3
.LBB275_337:
	s_andn2_saveexec_b64 s[16:17], s[16:17]
; %bb.338:
	s_mov_b32 s18, 0x7f800000
	v_mov_b32_e32 v2, 0x7e
	v_mov_b32_e32 v4, 0x7f
	v_cmp_lt_u32_e32 vcc, s18, v3
	v_cndmask_b32_e32 v2, v2, v4, vcc
; %bb.339:
	s_or_b64 exec, exec, s[16:17]
	v_lshrrev_b32_e32 v1, 24, v1
	s_movk_i32 s16, 0x80
	v_and_or_b32 v11, v1, s16, v2
                                        ; implicit-def: $vgpr7_vgpr8
.LBB275_340:
	s_andn2_saveexec_b64 s[14:15], s[14:15]
	s_cbranch_execz .LBB275_350
; %bb.341:
	flat_load_dword v1, v[7:8]
	s_mov_b32 s16, 0x43f00000
                                        ; implicit-def: $vgpr2
	s_waitcnt vmcnt(0) lgkmcnt(0)
	v_and_b32_e32 v3, 0x7fffffff, v1
	v_cmp_gt_u32_e32 vcc, s16, v3
	s_and_saveexec_b64 s[16:17], vcc
	s_xor_b64 s[16:17], exec, s[16:17]
	s_cbranch_execz .LBB275_347
; %bb.342:
	s_mov_b32 s18, 0x3c7fffff
	v_cmp_lt_u32_e32 vcc, s18, v3
                                        ; implicit-def: $vgpr2
	s_and_saveexec_b64 s[18:19], vcc
	s_xor_b64 s[18:19], exec, s[18:19]
; %bb.343:
	v_bfe_u32 v2, v1, 20, 1
	s_mov_b32 s20, 0x407ffff
	v_add3_u32 v2, v1, v2, s20
	v_lshrrev_b32_e32 v3, 20, v2
	v_and_b32_e32 v2, 0xff00000, v2
	s_mov_b32 s20, 0x7f00000
	v_mov_b32_e32 v4, 0x7e
	v_cmp_ne_u32_e32 vcc, s20, v2
	v_cndmask_b32_e32 v2, v4, v3, vcc
; %bb.344:
	s_andn2_saveexec_b64 s[18:19], s[18:19]
; %bb.345:
	s_mov_b32 s20, 0x46800000
	v_add_f32_e64 v2, |v1|, s20
; %bb.346:
	s_or_b64 exec, exec, s[18:19]
                                        ; implicit-def: $vgpr3
.LBB275_347:
	s_andn2_saveexec_b64 s[16:17], s[16:17]
; %bb.348:
	s_mov_b32 s18, 0x7f800000
	v_mov_b32_e32 v2, 0x7e
	v_mov_b32_e32 v4, 0x7f
	v_cmp_lt_u32_e32 vcc, s18, v3
	v_cndmask_b32_e32 v2, v2, v4, vcc
; %bb.349:
	s_or_b64 exec, exec, s[16:17]
	v_lshrrev_b32_e32 v1, 24, v1
	s_movk_i32 s16, 0x80
	v_and_or_b32 v11, v1, s16, v2
.LBB275_350:
	s_or_b64 exec, exec, s[14:15]
                                        ; implicit-def: $vgpr7_vgpr8
.LBB275_351:
	s_andn2_saveexec_b64 s[12:13], s[12:13]
	s_cbranch_execz .LBB275_361
; %bb.352:
	flat_load_dword v1, v[7:8]
	s_mov_b32 s14, 0x43f00000
                                        ; implicit-def: $vgpr2
	s_waitcnt vmcnt(0) lgkmcnt(0)
	v_cvt_f32_f16_e32 v1, v1
	v_and_b32_e32 v3, 0x7fffffff, v1
	v_cmp_gt_u32_e32 vcc, s14, v3
	s_and_saveexec_b64 s[14:15], vcc
	s_xor_b64 s[14:15], exec, s[14:15]
	s_cbranch_execz .LBB275_358
; %bb.353:
	s_mov_b32 s16, 0x3c7fffff
	v_cmp_lt_u32_e32 vcc, s16, v3
                                        ; implicit-def: $vgpr2
	s_and_saveexec_b64 s[16:17], vcc
	s_xor_b64 s[16:17], exec, s[16:17]
; %bb.354:
	v_bfe_u32 v2, v1, 20, 1
	s_mov_b32 s18, 0x407ffff
	v_add3_u32 v2, v1, v2, s18
	v_lshrrev_b32_e32 v3, 20, v2
	v_and_b32_e32 v2, 0xff00000, v2
	s_mov_b32 s18, 0x7f00000
	v_mov_b32_e32 v4, 0x7e
	v_cmp_ne_u32_e32 vcc, s18, v2
	v_cndmask_b32_e32 v2, v4, v3, vcc
; %bb.355:
	s_andn2_saveexec_b64 s[16:17], s[16:17]
; %bb.356:
	s_mov_b32 s18, 0x46800000
	v_add_f32_e64 v2, |v1|, s18
; %bb.357:
	s_or_b64 exec, exec, s[16:17]
                                        ; implicit-def: $vgpr3
.LBB275_358:
	s_andn2_saveexec_b64 s[14:15], s[14:15]
; %bb.359:
	s_mov_b32 s16, 0x7f800000
	v_mov_b32_e32 v2, 0x7e
	v_mov_b32_e32 v4, 0x7f
	v_cmp_lt_u32_e32 vcc, s16, v3
	v_cndmask_b32_e32 v2, v2, v4, vcc
; %bb.360:
	s_or_b64 exec, exec, s[14:15]
	v_lshrrev_b32_e32 v1, 24, v1
	s_movk_i32 s14, 0x80
	v_and_or_b32 v11, v1, s14, v2
.LBB275_361:
	s_or_b64 exec, exec, s[12:13]
                                        ; implicit-def: $vgpr7_vgpr8
.LBB275_362:
	s_andn2_saveexec_b64 s[10:11], s[10:11]
	s_cbranch_execz .LBB275_396
; %bb.363:
	v_cmp_lt_i16_e32 vcc, 5, v10
                                        ; implicit-def: $vgpr11
	s_and_saveexec_b64 s[12:13], vcc
	s_xor_b64 s[12:13], exec, s[12:13]
	s_cbranch_execz .LBB275_385
; %bb.364:
	v_cmp_lt_i16_e32 vcc, 6, v10
                                        ; implicit-def: $vgpr11
	s_and_saveexec_b64 s[14:15], vcc
	s_xor_b64 s[14:15], exec, s[14:15]
	s_cbranch_execz .LBB275_374
; %bb.365:
	flat_load_dwordx2 v[1:2], v[7:8]
	s_mov_b32 s16, 0x43f00000
	s_waitcnt vmcnt(0) lgkmcnt(0)
	v_cvt_f32_f64_e32 v1, v[1:2]
                                        ; implicit-def: $vgpr2
	v_and_b32_e32 v3, 0x7fffffff, v1
	v_cmp_gt_u32_e32 vcc, s16, v3
	s_and_saveexec_b64 s[16:17], vcc
	s_xor_b64 s[16:17], exec, s[16:17]
	s_cbranch_execz .LBB275_371
; %bb.366:
	s_mov_b32 s18, 0x3c7fffff
	v_cmp_lt_u32_e32 vcc, s18, v3
                                        ; implicit-def: $vgpr2
	s_and_saveexec_b64 s[18:19], vcc
	s_xor_b64 s[18:19], exec, s[18:19]
; %bb.367:
	v_bfe_u32 v2, v1, 20, 1
	s_mov_b32 s20, 0x407ffff
	v_add3_u32 v2, v1, v2, s20
	v_lshrrev_b32_e32 v3, 20, v2
	v_and_b32_e32 v2, 0xff00000, v2
	s_mov_b32 s20, 0x7f00000
	v_mov_b32_e32 v4, 0x7e
	v_cmp_ne_u32_e32 vcc, s20, v2
	v_cndmask_b32_e32 v2, v4, v3, vcc
; %bb.368:
	s_andn2_saveexec_b64 s[18:19], s[18:19]
; %bb.369:
	s_mov_b32 s20, 0x46800000
	v_add_f32_e64 v2, |v1|, s20
; %bb.370:
	s_or_b64 exec, exec, s[18:19]
                                        ; implicit-def: $vgpr3
.LBB275_371:
	s_andn2_saveexec_b64 s[16:17], s[16:17]
; %bb.372:
	s_mov_b32 s18, 0x7f800000
	v_mov_b32_e32 v2, 0x7e
	v_mov_b32_e32 v4, 0x7f
	v_cmp_lt_u32_e32 vcc, s18, v3
	v_cndmask_b32_e32 v2, v2, v4, vcc
; %bb.373:
	s_or_b64 exec, exec, s[16:17]
	v_lshrrev_b32_e32 v1, 24, v1
	s_movk_i32 s16, 0x80
	v_and_or_b32 v11, v1, s16, v2
                                        ; implicit-def: $vgpr7_vgpr8
.LBB275_374:
	s_andn2_saveexec_b64 s[14:15], s[14:15]
	s_cbranch_execz .LBB275_384
; %bb.375:
	flat_load_dword v1, v[7:8]
	s_mov_b32 s16, 0x43f00000
                                        ; implicit-def: $vgpr2
	s_waitcnt vmcnt(0) lgkmcnt(0)
	v_and_b32_e32 v3, 0x7fffffff, v1
	v_cmp_gt_u32_e32 vcc, s16, v3
	s_and_saveexec_b64 s[16:17], vcc
	s_xor_b64 s[16:17], exec, s[16:17]
	s_cbranch_execz .LBB275_381
; %bb.376:
	s_mov_b32 s18, 0x3c7fffff
	v_cmp_lt_u32_e32 vcc, s18, v3
                                        ; implicit-def: $vgpr2
	s_and_saveexec_b64 s[18:19], vcc
	s_xor_b64 s[18:19], exec, s[18:19]
; %bb.377:
	v_bfe_u32 v2, v1, 20, 1
	s_mov_b32 s20, 0x407ffff
	v_add3_u32 v2, v1, v2, s20
	v_lshrrev_b32_e32 v3, 20, v2
	v_and_b32_e32 v2, 0xff00000, v2
	s_mov_b32 s20, 0x7f00000
	v_mov_b32_e32 v4, 0x7e
	v_cmp_ne_u32_e32 vcc, s20, v2
	v_cndmask_b32_e32 v2, v4, v3, vcc
; %bb.378:
	s_andn2_saveexec_b64 s[18:19], s[18:19]
; %bb.379:
	s_mov_b32 s20, 0x46800000
	v_add_f32_e64 v2, |v1|, s20
; %bb.380:
	s_or_b64 exec, exec, s[18:19]
                                        ; implicit-def: $vgpr3
.LBB275_381:
	s_andn2_saveexec_b64 s[16:17], s[16:17]
; %bb.382:
	s_mov_b32 s18, 0x7f800000
	v_mov_b32_e32 v2, 0x7e
	v_mov_b32_e32 v4, 0x7f
	v_cmp_lt_u32_e32 vcc, s18, v3
	v_cndmask_b32_e32 v2, v2, v4, vcc
; %bb.383:
	s_or_b64 exec, exec, s[16:17]
	v_lshrrev_b32_e32 v1, 24, v1
	s_movk_i32 s16, 0x80
	v_and_or_b32 v11, v1, s16, v2
.LBB275_384:
	s_or_b64 exec, exec, s[14:15]
                                        ; implicit-def: $vgpr7_vgpr8
.LBB275_385:
	s_andn2_saveexec_b64 s[12:13], s[12:13]
	s_cbranch_execz .LBB275_395
; %bb.386:
	flat_load_ushort v1, v[7:8]
	s_mov_b32 s14, 0x43f00000
                                        ; implicit-def: $vgpr2
	s_waitcnt vmcnt(0) lgkmcnt(0)
	v_cvt_f32_f16_e32 v1, v1
	v_and_b32_e32 v3, 0x7fffffff, v1
	v_cmp_gt_u32_e32 vcc, s14, v3
	s_and_saveexec_b64 s[14:15], vcc
	s_xor_b64 s[14:15], exec, s[14:15]
	s_cbranch_execz .LBB275_392
; %bb.387:
	s_mov_b32 s16, 0x3c7fffff
	v_cmp_lt_u32_e32 vcc, s16, v3
                                        ; implicit-def: $vgpr2
	s_and_saveexec_b64 s[16:17], vcc
	s_xor_b64 s[16:17], exec, s[16:17]
; %bb.388:
	v_bfe_u32 v2, v1, 20, 1
	s_mov_b32 s18, 0x407ffff
	v_add3_u32 v2, v1, v2, s18
	v_lshrrev_b32_e32 v3, 20, v2
	v_and_b32_e32 v2, 0xff00000, v2
	s_mov_b32 s18, 0x7f00000
	v_mov_b32_e32 v4, 0x7e
	v_cmp_ne_u32_e32 vcc, s18, v2
	v_cndmask_b32_e32 v2, v4, v3, vcc
; %bb.389:
	s_andn2_saveexec_b64 s[16:17], s[16:17]
; %bb.390:
	s_mov_b32 s18, 0x46800000
	v_add_f32_e64 v2, |v1|, s18
; %bb.391:
	s_or_b64 exec, exec, s[16:17]
                                        ; implicit-def: $vgpr3
.LBB275_392:
	s_andn2_saveexec_b64 s[14:15], s[14:15]
; %bb.393:
	s_mov_b32 s16, 0x7f800000
	v_mov_b32_e32 v2, 0x7e
	v_mov_b32_e32 v4, 0x7f
	v_cmp_lt_u32_e32 vcc, s16, v3
	v_cndmask_b32_e32 v2, v2, v4, vcc
; %bb.394:
	s_or_b64 exec, exec, s[14:15]
	v_lshrrev_b32_e32 v1, 24, v1
	s_movk_i32 s14, 0x80
	v_and_or_b32 v11, v1, s14, v2
.LBB275_395:
	s_or_b64 exec, exec, s[12:13]
.LBB275_396:
	s_or_b64 exec, exec, s[10:11]
                                        ; implicit-def: $vgpr7_vgpr8
.LBB275_397:
	s_andn2_saveexec_b64 s[6:7], s[6:7]
	s_cbranch_execz .LBB275_455
; %bb.398:
	v_cmp_lt_i16_e32 vcc, 1, v10
                                        ; implicit-def: $vgpr11
	s_and_saveexec_b64 s[10:11], vcc
	s_xor_b64 s[10:11], exec, s[10:11]
	s_cbranch_execz .LBB275_432
; %bb.399:
	v_cmp_lt_i16_e32 vcc, 2, v10
                                        ; implicit-def: $vgpr11
	s_and_saveexec_b64 s[12:13], vcc
	s_xor_b64 s[12:13], exec, s[12:13]
	;; [unrolled: 6-line block ×3, first 2 shown]
	s_cbranch_execz .LBB275_410
; %bb.401:
	flat_load_dwordx2 v[1:2], v[7:8]
	s_mov_b32 s16, 0x43f00000
	s_waitcnt vmcnt(0) lgkmcnt(0)
	v_xor_b32_e32 v4, v1, v2
	v_ffbh_i32_e32 v3, v2
	v_ashrrev_i32_e32 v4, 31, v4
	v_add_u32_e32 v3, -1, v3
	v_add_u32_e32 v4, 32, v4
	v_min_u32_e32 v3, v3, v4
	v_lshlrev_b64 v[1:2], v3, v[1:2]
	v_min_u32_e32 v1, 1, v1
	v_or_b32_e32 v1, v2, v1
	v_cvt_f32_i32_e32 v1, v1
	v_sub_u32_e32 v2, 32, v3
	v_ldexp_f32 v1, v1, v2
	v_and_b32_e32 v3, 0x7fffffff, v1
	v_cmp_gt_u32_e32 vcc, s16, v3
                                        ; implicit-def: $vgpr2
	s_and_saveexec_b64 s[16:17], vcc
	s_xor_b64 s[16:17], exec, s[16:17]
	s_cbranch_execz .LBB275_407
; %bb.402:
	s_mov_b32 s18, 0x3c7fffff
	v_cmp_lt_u32_e32 vcc, s18, v3
                                        ; implicit-def: $vgpr2
	s_and_saveexec_b64 s[18:19], vcc
	s_xor_b64 s[18:19], exec, s[18:19]
; %bb.403:
	v_bfe_u32 v2, v1, 20, 1
	s_mov_b32 s20, 0x407ffff
	v_add3_u32 v2, v1, v2, s20
	v_lshrrev_b32_e32 v3, 20, v2
	v_and_b32_e32 v2, 0xff00000, v2
	s_mov_b32 s20, 0x7f00000
	v_mov_b32_e32 v4, 0x7e
	v_cmp_ne_u32_e32 vcc, s20, v2
	v_cndmask_b32_e32 v2, v4, v3, vcc
; %bb.404:
	s_andn2_saveexec_b64 s[18:19], s[18:19]
; %bb.405:
	s_mov_b32 s20, 0x46800000
	v_add_f32_e64 v2, |v1|, s20
; %bb.406:
	s_or_b64 exec, exec, s[18:19]
                                        ; implicit-def: $vgpr3
.LBB275_407:
	s_andn2_saveexec_b64 s[16:17], s[16:17]
; %bb.408:
	s_mov_b32 s18, 0x7f800000
	v_mov_b32_e32 v2, 0x7e
	v_mov_b32_e32 v4, 0x7f
	v_cmp_lt_u32_e32 vcc, s18, v3
	v_cndmask_b32_e32 v2, v2, v4, vcc
; %bb.409:
	s_or_b64 exec, exec, s[16:17]
	v_lshrrev_b32_e32 v1, 24, v1
	s_movk_i32 s16, 0x80
	v_and_or_b32 v11, v1, s16, v2
                                        ; implicit-def: $vgpr7_vgpr8
.LBB275_410:
	s_andn2_saveexec_b64 s[14:15], s[14:15]
	s_cbranch_execz .LBB275_420
; %bb.411:
	flat_load_dword v1, v[7:8]
	s_mov_b32 s16, 0x43f00000
                                        ; implicit-def: $vgpr2
	s_waitcnt vmcnt(0) lgkmcnt(0)
	v_cvt_f32_i32_e32 v1, v1
	v_and_b32_e32 v3, 0x7fffffff, v1
	v_cmp_gt_u32_e32 vcc, s16, v3
	s_and_saveexec_b64 s[16:17], vcc
	s_xor_b64 s[16:17], exec, s[16:17]
	s_cbranch_execz .LBB275_417
; %bb.412:
	s_mov_b32 s18, 0x3c7fffff
	v_cmp_lt_u32_e32 vcc, s18, v3
                                        ; implicit-def: $vgpr2
	s_and_saveexec_b64 s[18:19], vcc
	s_xor_b64 s[18:19], exec, s[18:19]
; %bb.413:
	v_bfe_u32 v2, v1, 20, 1
	s_mov_b32 s20, 0x407ffff
	v_add3_u32 v2, v1, v2, s20
	v_lshrrev_b32_e32 v3, 20, v2
	v_and_b32_e32 v2, 0xff00000, v2
	s_mov_b32 s20, 0x7f00000
	v_mov_b32_e32 v4, 0x7e
	v_cmp_ne_u32_e32 vcc, s20, v2
	v_cndmask_b32_e32 v2, v4, v3, vcc
; %bb.414:
	s_andn2_saveexec_b64 s[18:19], s[18:19]
; %bb.415:
	s_mov_b32 s20, 0x46800000
	v_add_f32_e64 v2, |v1|, s20
; %bb.416:
	s_or_b64 exec, exec, s[18:19]
                                        ; implicit-def: $vgpr3
.LBB275_417:
	s_andn2_saveexec_b64 s[16:17], s[16:17]
; %bb.418:
	s_mov_b32 s18, 0x7f800000
	v_mov_b32_e32 v2, 0x7e
	v_mov_b32_e32 v4, 0x7f
	v_cmp_lt_u32_e32 vcc, s18, v3
	v_cndmask_b32_e32 v2, v2, v4, vcc
; %bb.419:
	s_or_b64 exec, exec, s[16:17]
	v_lshrrev_b32_e32 v1, 24, v1
	s_movk_i32 s16, 0x80
	v_and_or_b32 v11, v1, s16, v2
.LBB275_420:
	s_or_b64 exec, exec, s[14:15]
                                        ; implicit-def: $vgpr7_vgpr8
.LBB275_421:
	s_andn2_saveexec_b64 s[12:13], s[12:13]
	s_cbranch_execz .LBB275_431
; %bb.422:
	flat_load_sshort v1, v[7:8]
	s_mov_b32 s14, 0x43f00000
                                        ; implicit-def: $vgpr2
	s_waitcnt vmcnt(0) lgkmcnt(0)
	v_cvt_f32_i32_e32 v1, v1
	v_and_b32_e32 v3, 0x7fffffff, v1
	v_cmp_gt_u32_e32 vcc, s14, v3
	s_and_saveexec_b64 s[14:15], vcc
	s_xor_b64 s[14:15], exec, s[14:15]
	s_cbranch_execz .LBB275_428
; %bb.423:
	s_mov_b32 s16, 0x3c7fffff
	v_cmp_lt_u32_e32 vcc, s16, v3
                                        ; implicit-def: $vgpr2
	s_and_saveexec_b64 s[16:17], vcc
	s_xor_b64 s[16:17], exec, s[16:17]
; %bb.424:
	v_bfe_u32 v2, v1, 20, 1
	s_mov_b32 s18, 0x407ffff
	v_add3_u32 v2, v1, v2, s18
	v_lshrrev_b32_e32 v3, 20, v2
	v_and_b32_e32 v2, 0xff00000, v2
	s_mov_b32 s18, 0x7f00000
	v_mov_b32_e32 v4, 0x7e
	v_cmp_ne_u32_e32 vcc, s18, v2
	v_cndmask_b32_e32 v2, v4, v3, vcc
; %bb.425:
	s_andn2_saveexec_b64 s[16:17], s[16:17]
; %bb.426:
	s_mov_b32 s18, 0x46800000
	v_add_f32_e64 v2, |v1|, s18
; %bb.427:
	s_or_b64 exec, exec, s[16:17]
                                        ; implicit-def: $vgpr3
.LBB275_428:
	s_andn2_saveexec_b64 s[14:15], s[14:15]
; %bb.429:
	s_mov_b32 s16, 0x7f800000
	v_mov_b32_e32 v2, 0x7e
	v_mov_b32_e32 v4, 0x7f
	v_cmp_lt_u32_e32 vcc, s16, v3
	v_cndmask_b32_e32 v2, v2, v4, vcc
; %bb.430:
	s_or_b64 exec, exec, s[14:15]
	v_lshrrev_b32_e32 v1, 24, v1
	s_movk_i32 s14, 0x80
	v_and_or_b32 v11, v1, s14, v2
.LBB275_431:
	s_or_b64 exec, exec, s[12:13]
                                        ; implicit-def: $vgpr7_vgpr8
.LBB275_432:
	s_andn2_saveexec_b64 s[10:11], s[10:11]
	s_cbranch_execz .LBB275_454
; %bb.433:
	v_cmp_lt_i16_e32 vcc, 0, v10
                                        ; implicit-def: $vgpr11
	s_and_saveexec_b64 s[12:13], vcc
	s_xor_b64 s[12:13], exec, s[12:13]
	s_cbranch_execz .LBB275_443
; %bb.434:
	flat_load_sbyte v1, v[7:8]
	s_mov_b32 s14, 0x43f00000
                                        ; implicit-def: $vgpr2
	s_waitcnt vmcnt(0) lgkmcnt(0)
	v_cvt_f32_i32_e32 v1, v1
	v_and_b32_e32 v3, 0x7fffffff, v1
	v_cmp_gt_u32_e32 vcc, s14, v3
	s_and_saveexec_b64 s[14:15], vcc
	s_xor_b64 s[14:15], exec, s[14:15]
	s_cbranch_execz .LBB275_440
; %bb.435:
	s_mov_b32 s16, 0x3c7fffff
	v_cmp_lt_u32_e32 vcc, s16, v3
                                        ; implicit-def: $vgpr2
	s_and_saveexec_b64 s[16:17], vcc
	s_xor_b64 s[16:17], exec, s[16:17]
; %bb.436:
	v_bfe_u32 v2, v1, 20, 1
	s_mov_b32 s18, 0x407ffff
	v_add3_u32 v2, v1, v2, s18
	v_lshrrev_b32_e32 v3, 20, v2
	v_and_b32_e32 v2, 0xff00000, v2
	s_mov_b32 s18, 0x7f00000
	v_mov_b32_e32 v4, 0x7e
	v_cmp_ne_u32_e32 vcc, s18, v2
	v_cndmask_b32_e32 v2, v4, v3, vcc
; %bb.437:
	s_andn2_saveexec_b64 s[16:17], s[16:17]
; %bb.438:
	s_mov_b32 s18, 0x46800000
	v_add_f32_e64 v2, |v1|, s18
; %bb.439:
	s_or_b64 exec, exec, s[16:17]
                                        ; implicit-def: $vgpr3
.LBB275_440:
	s_andn2_saveexec_b64 s[14:15], s[14:15]
; %bb.441:
	s_mov_b32 s16, 0x7f800000
	v_mov_b32_e32 v2, 0x7e
	v_mov_b32_e32 v4, 0x7f
	v_cmp_lt_u32_e32 vcc, s16, v3
	v_cndmask_b32_e32 v2, v2, v4, vcc
; %bb.442:
	s_or_b64 exec, exec, s[14:15]
	v_lshrrev_b32_e32 v1, 24, v1
	s_movk_i32 s14, 0x80
	v_and_or_b32 v11, v1, s14, v2
                                        ; implicit-def: $vgpr7_vgpr8
.LBB275_443:
	s_andn2_saveexec_b64 s[12:13], s[12:13]
	s_cbranch_execz .LBB275_453
; %bb.444:
	flat_load_ubyte v1, v[7:8]
	s_mov_b32 s14, 0x43f00000
                                        ; implicit-def: $vgpr11
	s_waitcnt vmcnt(0) lgkmcnt(0)
	v_cvt_f32_ubyte0_e32 v1, v1
	v_cmp_gt_u32_e32 vcc, s14, v1
	s_and_saveexec_b64 s[14:15], vcc
	s_xor_b64 s[14:15], exec, s[14:15]
	s_cbranch_execz .LBB275_450
; %bb.445:
	s_mov_b32 s16, 0x3c7fffff
	v_cmp_lt_u32_e32 vcc, s16, v1
                                        ; implicit-def: $vgpr11
	s_and_saveexec_b64 s[16:17], vcc
	s_xor_b64 s[16:17], exec, s[16:17]
; %bb.446:
	v_bfe_u32 v2, v1, 20, 1
	s_mov_b32 s18, 0x407ffff
	v_add3_u32 v1, v1, v2, s18
	v_lshrrev_b32_e32 v2, 20, v1
	v_and_b32_e32 v1, 0xff00000, v1
	s_mov_b32 s18, 0x7f00000
	v_mov_b32_e32 v3, 0x7e
	v_cmp_ne_u32_e32 vcc, s18, v1
	v_cndmask_b32_e32 v11, v3, v2, vcc
                                        ; implicit-def: $vgpr1
; %bb.447:
	s_andn2_saveexec_b64 s[16:17], s[16:17]
; %bb.448:
	v_add_f32_e32 v11, 0x46800000, v1
; %bb.449:
	s_or_b64 exec, exec, s[16:17]
                                        ; implicit-def: $vgpr1
.LBB275_450:
	s_andn2_saveexec_b64 s[14:15], s[14:15]
; %bb.451:
	s_mov_b32 s16, 0x7f800000
	v_mov_b32_e32 v2, 0x7e
	v_mov_b32_e32 v3, 0x7f
	v_cmp_lt_u32_e32 vcc, s16, v1
	v_cndmask_b32_e32 v11, v2, v3, vcc
; %bb.452:
	s_or_b64 exec, exec, s[14:15]
.LBB275_453:
	s_or_b64 exec, exec, s[12:13]
.LBB275_454:
	s_or_b64 exec, exec, s[10:11]
.LBB275_455:
	s_or_b64 exec, exec, s[6:7]
	s_or_b64 s[8:9], s[8:9], exec
	s_or_b64 exec, exec, s[4:5]
                                        ; implicit-def: $sgpr6_sgpr7
	s_and_saveexec_b64 s[4:5], s[8:9]
	s_cbranch_execnz .LBB275_323
.LBB275_456:
	s_or_b64 exec, exec, s[4:5]
	v_cndmask_b32_e64 v0, 0, 1, s[6:7]
	s_waitcnt vmcnt(0) lgkmcnt(0)
	s_setpc_b64 s[30:31]
.LBB275_457:
	s_andn2_saveexec_b64 s[8:9], s[8:9]
	s_cbranch_execz .LBB275_83
.LBB275_458:
	v_cmp_lt_i16_e32 vcc, 22, v10
	s_mov_b64 s[14:15], s[10:11]
                                        ; implicit-def: $vgpr9
	s_and_saveexec_b64 s[4:5], vcc
	s_xor_b64 s[4:5], exec, s[4:5]
	s_cbranch_execz .LBB275_490
; %bb.459:
	v_cmp_lt_i16_e32 vcc, 23, v10
                                        ; implicit-def: $vgpr9
	s_and_saveexec_b64 s[14:15], vcc
	s_xor_b64 s[14:15], exec, s[14:15]
	s_cbranch_execz .LBB275_479
; %bb.460:
	v_cmp_lt_i16_e32 vcc, 24, v10
                                        ; implicit-def: $vgpr9
	s_and_saveexec_b64 s[16:17], vcc
	s_xor_b64 s[16:17], exec, s[16:17]
	s_cbranch_execz .LBB275_476
; %bb.461:
	flat_load_ubyte v10, v[7:8]
	s_movk_i32 s18, 0x7f
	s_waitcnt vmcnt(0) lgkmcnt(0)
	v_cmp_lt_i16_e32 vcc, s18, v10
	s_mov_b64 s[18:19], 0
	s_and_saveexec_b64 s[20:21], vcc
	s_xor_b64 s[20:21], exec, s[20:21]
	s_cbranch_execz .LBB275_563
; %bb.462:
	s_movk_i32 s18, 0x80
	v_cmp_eq_u16_e32 vcc, s18, v10
	s_mov_b64 s[18:19], -1
	s_and_saveexec_b64 s[22:23], vcc
; %bb.463:
	s_xor_b64 s[18:19], exec, -1
; %bb.464:
	s_or_b64 exec, exec, s[22:23]
	s_and_b64 s[18:19], s[18:19], exec
	s_or_saveexec_b64 s[20:21], s[20:21]
	v_mov_b32_e32 v9, 0x7f800001
	s_xor_b64 exec, exec, s[20:21]
	s_cbranch_execnz .LBB275_564
.LBB275_465:
	s_or_b64 exec, exec, s[20:21]
	s_and_saveexec_b64 s[20:21], s[18:19]
	s_cbranch_execz .LBB275_467
.LBB275_466:
	v_lshlrev_b32_e32 v9, 24, v10
	v_and_b32_e32 v10, 0xffff, v10
	v_and_b32_e32 v11, 3, v10
	v_ffbh_u32_e32 v13, v11
	v_min_u32_e32 v13, 32, v13
	v_subrev_u32_e32 v14, 29, v13
	v_bfe_u32 v12, v10, 2, 5
	v_lshlrev_b32_e32 v10, v14, v10
	v_sub_u32_e32 v13, 30, v13
	v_and_b32_e32 v10, 3, v10
	v_cmp_eq_u32_e32 vcc, 0, v12
	v_cndmask_b32_e32 v12, v12, v13, vcc
	v_cndmask_b32_e32 v10, v11, v10, vcc
	v_mov_b32_e32 v11, 0x37800000
	v_lshlrev_b32_e32 v10, 21, v10
	v_and_b32_e32 v9, 0x80000000, v9
	v_lshl_add_u32 v11, v12, 23, v11
	v_or3_b32 v9, v9, v11, v10
.LBB275_467:
	s_or_b64 exec, exec, s[20:21]
	v_and_b32_e32 v11, 0x7fffffff, v9
	s_mov_b32 s18, 0x43f00000
	v_cmp_gt_u32_e32 vcc, s18, v11
                                        ; implicit-def: $vgpr10
	s_and_saveexec_b64 s[18:19], vcc
	s_xor_b64 s[18:19], exec, s[18:19]
	s_cbranch_execz .LBB275_473
; %bb.468:
	s_mov_b32 s20, 0x3c7fffff
	v_cmp_lt_u32_e32 vcc, s20, v11
                                        ; implicit-def: $vgpr10
	s_and_saveexec_b64 s[20:21], vcc
	s_xor_b64 s[20:21], exec, s[20:21]
; %bb.469:
	v_bfe_u32 v10, v9, 20, 1
	s_mov_b32 s22, 0x407ffff
	v_add3_u32 v10, v9, v10, s22
	v_lshrrev_b32_e32 v11, 20, v10
	v_and_b32_e32 v10, 0xff00000, v10
	s_mov_b32 s22, 0x7f00000
	v_mov_b32_e32 v12, 0x7e
	v_cmp_ne_u32_e32 vcc, s22, v10
	v_cndmask_b32_e32 v10, v12, v11, vcc
; %bb.470:
	s_andn2_saveexec_b64 s[20:21], s[20:21]
; %bb.471:
	s_mov_b32 s22, 0x46800000
	v_add_f32_e64 v10, |v9|, s22
; %bb.472:
	s_or_b64 exec, exec, s[20:21]
                                        ; implicit-def: $vgpr11
.LBB275_473:
	s_andn2_saveexec_b64 s[18:19], s[18:19]
; %bb.474:
	s_mov_b32 s20, 0x7f800000
	v_mov_b32_e32 v10, 0x7e
	v_mov_b32_e32 v12, 0x7f
	v_cmp_lt_u32_e32 vcc, s20, v11
	v_cndmask_b32_e32 v10, v10, v12, vcc
; %bb.475:
	s_or_b64 exec, exec, s[18:19]
	v_lshrrev_b32_e32 v9, 24, v9
	s_movk_i32 s18, 0x80
	v_and_or_b32 v9, v9, s18, v10
.LBB275_476:
	s_andn2_saveexec_b64 s[16:17], s[16:17]
	s_cbranch_execz .LBB275_478
; %bb.477:
	flat_load_ubyte v9, v[7:8]
.LBB275_478:
	s_or_b64 exec, exec, s[16:17]
.LBB275_479:
	s_andn2_saveexec_b64 s[14:15], s[14:15]
	s_cbranch_execz .LBB275_489
; %bb.480:
	s_waitcnt vmcnt(0) lgkmcnt(0)
	flat_load_ubyte v9, v[7:8]
	s_movk_i32 s16, 0x7f00
	s_brev_b32 s17, 16
	s_brev_b32 s18, 1
	s_waitcnt vmcnt(0) lgkmcnt(0)
	v_lshlrev_b16_e32 v10, 8, v9
	v_lshlrev_b32_e32 v9, 25, v9
	v_lshrrev_b32_e32 v11, 4, v9
	v_and_or_b32 v12, v10, s16, 0.5
	v_or_b32_e32 v11, 0x70000000, v11
	v_add_f32_e32 v12, -0.5, v12
	v_mul_f32_e32 v11, 0x7800000, v11
	v_cmp_gt_u32_e32 vcc, s17, v9
	v_bfe_i32 v10, v10, 0, 16
	v_cndmask_b32_e32 v12, v11, v12, vcc
	v_and_or_b32 v9, v10, s18, v12
	v_and_b32_e32 v11, 0x7fffffff, v9
	s_mov_b32 s16, 0x43f00000
	v_cmp_gt_u32_e32 vcc, s16, v11
                                        ; implicit-def: $vgpr10
	s_and_saveexec_b64 s[16:17], vcc
	s_xor_b64 s[16:17], exec, s[16:17]
	s_cbranch_execz .LBB275_486
; %bb.481:
	s_mov_b32 s18, 0x3c7fffff
	v_cmp_lt_u32_e32 vcc, s18, v11
                                        ; implicit-def: $vgpr10
	s_and_saveexec_b64 s[18:19], vcc
	s_xor_b64 s[18:19], exec, s[18:19]
; %bb.482:
	v_bfe_u32 v10, v12, 20, 1
	s_mov_b32 s20, 0x407ffff
	v_add3_u32 v10, v9, v10, s20
	v_lshrrev_b32_e32 v11, 20, v10
	v_and_b32_e32 v10, 0xff00000, v10
	s_mov_b32 s20, 0x7f00000
	v_mov_b32_e32 v12, 0x7e
	v_cmp_ne_u32_e32 vcc, s20, v10
	v_cndmask_b32_e32 v10, v12, v11, vcc
; %bb.483:
	s_andn2_saveexec_b64 s[18:19], s[18:19]
; %bb.484:
	s_mov_b32 s20, 0x46800000
	v_add_f32_e64 v10, |v9|, s20
; %bb.485:
	s_or_b64 exec, exec, s[18:19]
                                        ; implicit-def: $vgpr11
.LBB275_486:
	s_andn2_saveexec_b64 s[16:17], s[16:17]
; %bb.487:
	s_mov_b32 s18, 0x7f800000
	v_mov_b32_e32 v10, 0x7e
	v_mov_b32_e32 v12, 0x7f
	v_cmp_lt_u32_e32 vcc, s18, v11
	v_cndmask_b32_e32 v10, v10, v12, vcc
; %bb.488:
	s_or_b64 exec, exec, s[16:17]
	v_lshrrev_b32_e32 v9, 24, v9
	s_movk_i32 s16, 0x80
	v_and_or_b32 v9, v9, s16, v10
.LBB275_489:
	s_or_b64 exec, exec, s[14:15]
	s_or_b64 s[14:15], s[10:11], exec
                                        ; implicit-def: $vgpr10
.LBB275_490:
	s_or_saveexec_b64 s[4:5], s[4:5]
	s_mov_b64 s[16:17], 0
	s_mov_b64 s[18:19], s[12:13]
	s_xor_b64 exec, exec, s[4:5]
	s_cbranch_execz .LBB275_506
; %bb.491:
	v_cmp_lt_i16_e32 vcc, 14, v10
	s_mov_b64 s[18:19], s[12:13]
	s_mov_b64 s[20:21], s[14:15]
                                        ; implicit-def: $vgpr9
	s_and_saveexec_b64 s[16:17], vcc
	s_xor_b64 s[16:17], exec, s[16:17]
	s_cbranch_execz .LBB275_503
; %bb.492:
	v_cmp_eq_u16_e32 vcc, 15, v10
	s_mov_b64 s[22:23], -1
	s_mov_b64 s[20:21], s[14:15]
                                        ; implicit-def: $vgpr9
	s_and_saveexec_b64 s[18:19], vcc
	s_cbranch_execz .LBB275_502
; %bb.493:
	s_waitcnt vmcnt(0) lgkmcnt(0)
	flat_load_ushort v9, v[7:8]
	s_mov_b32 s20, 0x43f00000
                                        ; implicit-def: $vgpr10
	s_waitcnt vmcnt(0) lgkmcnt(0)
	v_lshlrev_b32_e32 v11, 16, v9
	v_and_b32_e32 v12, 0x7fffffff, v11
	v_cmp_gt_u32_e32 vcc, s20, v12
	s_and_saveexec_b64 s[20:21], vcc
	s_xor_b64 s[20:21], exec, s[20:21]
	s_cbranch_execz .LBB275_499
; %bb.494:
	s_mov_b32 s22, 0x3c7fffff
	v_cmp_lt_u32_e32 vcc, s22, v12
                                        ; implicit-def: $vgpr10
	s_and_saveexec_b64 s[22:23], vcc
	s_xor_b64 s[22:23], exec, s[22:23]
; %bb.495:
	v_bfe_u32 v10, v9, 4, 1
	s_mov_b32 s24, 0x407ffff
	v_add3_u32 v10, v11, v10, s24
	v_lshrrev_b32_e32 v11, 20, v10
	v_and_b32_e32 v10, 0xff00000, v10
	s_mov_b32 s24, 0x7f00000
	v_mov_b32_e32 v12, 0x7e
	v_cmp_ne_u32_e32 vcc, s24, v10
	v_cndmask_b32_e32 v10, v12, v11, vcc
                                        ; implicit-def: $vgpr11
; %bb.496:
	s_andn2_saveexec_b64 s[22:23], s[22:23]
; %bb.497:
	s_mov_b32 s24, 0x46800000
	v_add_f32_e64 v10, |v11|, s24
; %bb.498:
	s_or_b64 exec, exec, s[22:23]
                                        ; implicit-def: $vgpr12
.LBB275_499:
	s_andn2_saveexec_b64 s[20:21], s[20:21]
; %bb.500:
	s_mov_b32 s22, 0x7f800000
	v_mov_b32_e32 v10, 0x7e
	v_mov_b32_e32 v11, 0x7f
	v_cmp_lt_u32_e32 vcc, s22, v12
	v_cndmask_b32_e32 v10, v10, v11, vcc
; %bb.501:
	s_or_b64 exec, exec, s[20:21]
	v_lshrrev_b32_e32 v9, 8, v9
	s_movk_i32 s20, 0x80
	v_and_or_b32 v9, v9, s20, v10
	s_or_b64 s[20:21], s[14:15], exec
	s_xor_b64 s[22:23], exec, -1
.LBB275_502:
	s_or_b64 exec, exec, s[18:19]
	s_andn2_b64 s[18:19], s[14:15], exec
	s_and_b64 s[20:21], s[20:21], exec
	s_or_b64 s[20:21], s[18:19], s[20:21]
	s_andn2_b64 s[18:19], s[12:13], exec
	s_and_b64 s[22:23], s[22:23], exec
	s_or_b64 s[18:19], s[18:19], s[22:23]
                                        ; implicit-def: $vgpr10
.LBB275_503:
	s_or_saveexec_b64 s[16:17], s[16:17]
	s_mov_b64 s[22:23], 0
	s_xor_b64 exec, exec, s[16:17]
; %bb.504:
	v_cmp_ne_u16_e32 vcc, 11, v10
	s_andn2_b64 s[18:19], s[18:19], exec
	s_and_b64 s[24:25], vcc, exec
	s_mov_b64 s[22:23], exec
	s_or_b64 s[18:19], s[18:19], s[24:25]
; %bb.505:
	s_or_b64 exec, exec, s[16:17]
	s_andn2_b64 s[14:15], s[14:15], exec
	s_and_b64 s[16:17], s[20:21], exec
	s_andn2_b64 s[20:21], s[12:13], exec
	s_and_b64 s[18:19], s[18:19], exec
	s_or_b64 s[14:15], s[14:15], s[16:17]
	s_and_b64 s[16:17], s[22:23], exec
	s_or_b64 s[18:19], s[20:21], s[18:19]
.LBB275_506:
	s_or_b64 exec, exec, s[4:5]
	s_andn2_b64 s[4:5], s[10:11], exec
	s_and_b64 s[10:11], s[14:15], exec
	s_andn2_b64 s[12:13], s[12:13], exec
	s_and_b64 s[14:15], s[18:19], exec
	s_or_b64 s[10:11], s[4:5], s[10:11]
	s_and_b64 s[4:5], s[16:17], exec
	s_or_b64 s[12:13], s[12:13], s[14:15]
	s_or_b64 exec, exec, s[8:9]
	s_mov_b64 s[8:9], 0
	s_and_saveexec_b64 s[14:15], s[12:13]
	s_cbranch_execz .LBB275_84
.LBB275_507:
	s_mov_b64 s[8:9], exec
	s_trap 2
	s_andn2_b64 s[4:5], s[4:5], exec
	s_or_b64 exec, exec, s[14:15]
	s_and_saveexec_b64 s[12:13], s[4:5]
	s_cbranch_execnz .LBB275_85
	s_branch .LBB275_94
.LBB275_508:
	s_andn2_saveexec_b64 s[12:13], s[12:13]
	s_cbranch_execz .LBB275_309
.LBB275_509:
	v_cmp_lt_i16_e32 vcc, 22, v10
	s_mov_b64 s[18:19], s[14:15]
                                        ; implicit-def: $vgpr11
	s_and_saveexec_b64 s[10:11], vcc
	s_xor_b64 s[10:11], exec, s[10:11]
	s_cbranch_execz .LBB275_541
; %bb.510:
	v_cmp_lt_i16_e32 vcc, 23, v10
                                        ; implicit-def: $vgpr11
	s_and_saveexec_b64 s[18:19], vcc
	s_xor_b64 s[18:19], exec, s[18:19]
	s_cbranch_execz .LBB275_530
; %bb.511:
	v_cmp_lt_i16_e32 vcc, 24, v10
                                        ; implicit-def: $vgpr11
	s_and_saveexec_b64 s[20:21], vcc
	s_xor_b64 s[20:21], exec, s[20:21]
	s_cbranch_execz .LBB275_527
; %bb.512:
	flat_load_ubyte v2, v[7:8]
	s_movk_i32 s22, 0x7f
	s_waitcnt vmcnt(0) lgkmcnt(0)
	v_cmp_lt_i16_e32 vcc, s22, v2
	s_mov_b64 s[22:23], 0
	s_and_saveexec_b64 s[24:25], vcc
	s_xor_b64 s[24:25], exec, s[24:25]
	s_cbranch_execz .LBB275_565
; %bb.513:
	s_movk_i32 s22, 0x80
	v_cmp_eq_u16_e32 vcc, s22, v2
	s_mov_b64 s[22:23], -1
	s_and_saveexec_b64 s[26:27], vcc
; %bb.514:
	s_xor_b64 s[22:23], exec, -1
; %bb.515:
	s_or_b64 exec, exec, s[26:27]
	s_and_b64 s[22:23], s[22:23], exec
	s_or_saveexec_b64 s[24:25], s[24:25]
	v_mov_b32_e32 v1, 0x7f800001
	s_xor_b64 exec, exec, s[24:25]
	s_cbranch_execnz .LBB275_566
.LBB275_516:
	s_or_b64 exec, exec, s[24:25]
	s_and_saveexec_b64 s[24:25], s[22:23]
	s_cbranch_execz .LBB275_518
.LBB275_517:
	v_lshlrev_b32_e32 v1, 24, v2
	v_and_b32_e32 v2, 0xffff, v2
	v_and_b32_e32 v3, 3, v2
	v_ffbh_u32_e32 v5, v3
	v_min_u32_e32 v5, 32, v5
	v_subrev_u32_e32 v6, 29, v5
	v_bfe_u32 v4, v2, 2, 5
	v_lshlrev_b32_e32 v2, v6, v2
	v_sub_u32_e32 v5, 30, v5
	v_and_b32_e32 v2, 3, v2
	v_cmp_eq_u32_e32 vcc, 0, v4
	v_cndmask_b32_e32 v4, v4, v5, vcc
	v_cndmask_b32_e32 v2, v3, v2, vcc
	v_mov_b32_e32 v3, 0x37800000
	v_lshlrev_b32_e32 v2, 21, v2
	v_and_b32_e32 v1, 0x80000000, v1
	v_lshl_add_u32 v3, v4, 23, v3
	v_or3_b32 v1, v1, v3, v2
.LBB275_518:
	s_or_b64 exec, exec, s[24:25]
	v_and_b32_e32 v3, 0x7fffffff, v1
	s_mov_b32 s22, 0x43f00000
	v_cmp_gt_u32_e32 vcc, s22, v3
                                        ; implicit-def: $vgpr2
	s_and_saveexec_b64 s[22:23], vcc
	s_xor_b64 s[22:23], exec, s[22:23]
	s_cbranch_execz .LBB275_524
; %bb.519:
	s_mov_b32 s24, 0x3c7fffff
	v_cmp_lt_u32_e32 vcc, s24, v3
                                        ; implicit-def: $vgpr2
	s_and_saveexec_b64 s[24:25], vcc
	s_xor_b64 s[24:25], exec, s[24:25]
; %bb.520:
	v_bfe_u32 v2, v1, 20, 1
	s_mov_b32 s26, 0x407ffff
	v_add3_u32 v2, v1, v2, s26
	v_lshrrev_b32_e32 v3, 20, v2
	v_and_b32_e32 v2, 0xff00000, v2
	s_mov_b32 s26, 0x7f00000
	v_mov_b32_e32 v4, 0x7e
	v_cmp_ne_u32_e32 vcc, s26, v2
	v_cndmask_b32_e32 v2, v4, v3, vcc
; %bb.521:
	s_andn2_saveexec_b64 s[24:25], s[24:25]
; %bb.522:
	s_mov_b32 s26, 0x46800000
	v_add_f32_e64 v2, |v1|, s26
; %bb.523:
	s_or_b64 exec, exec, s[24:25]
                                        ; implicit-def: $vgpr3
.LBB275_524:
	s_andn2_saveexec_b64 s[22:23], s[22:23]
; %bb.525:
	s_mov_b32 s24, 0x7f800000
	v_mov_b32_e32 v2, 0x7e
	v_mov_b32_e32 v4, 0x7f
	v_cmp_lt_u32_e32 vcc, s24, v3
	v_cndmask_b32_e32 v2, v2, v4, vcc
; %bb.526:
	s_or_b64 exec, exec, s[22:23]
	v_lshrrev_b32_e32 v1, 24, v1
	s_movk_i32 s22, 0x80
	v_and_or_b32 v11, v1, s22, v2
.LBB275_527:
	s_andn2_saveexec_b64 s[20:21], s[20:21]
	s_cbranch_execz .LBB275_529
; %bb.528:
	flat_load_ubyte v11, v[7:8]
.LBB275_529:
	s_or_b64 exec, exec, s[20:21]
.LBB275_530:
	s_andn2_saveexec_b64 s[18:19], s[18:19]
	s_cbranch_execz .LBB275_540
; %bb.531:
	flat_load_ubyte v1, v[7:8]
	s_movk_i32 s20, 0x7f00
	s_brev_b32 s21, 16
	s_brev_b32 s22, 1
	s_waitcnt vmcnt(0) lgkmcnt(0)
	v_lshlrev_b16_e32 v2, 8, v1
	v_lshlrev_b32_e32 v1, 25, v1
	v_lshrrev_b32_e32 v3, 4, v1
	v_and_or_b32 v4, v2, s20, 0.5
	v_or_b32_e32 v3, 0x70000000, v3
	v_add_f32_e32 v4, -0.5, v4
	v_mul_f32_e32 v3, 0x7800000, v3
	v_cmp_gt_u32_e32 vcc, s21, v1
	v_bfe_i32 v2, v2, 0, 16
	v_cndmask_b32_e32 v4, v3, v4, vcc
	v_and_or_b32 v1, v2, s22, v4
	v_and_b32_e32 v3, 0x7fffffff, v1
	s_mov_b32 s20, 0x43f00000
	v_cmp_gt_u32_e32 vcc, s20, v3
                                        ; implicit-def: $vgpr2
	s_and_saveexec_b64 s[20:21], vcc
	s_xor_b64 s[20:21], exec, s[20:21]
	s_cbranch_execz .LBB275_537
; %bb.532:
	s_mov_b32 s22, 0x3c7fffff
	v_cmp_lt_u32_e32 vcc, s22, v3
                                        ; implicit-def: $vgpr2
	s_and_saveexec_b64 s[22:23], vcc
	s_xor_b64 s[22:23], exec, s[22:23]
; %bb.533:
	v_bfe_u32 v2, v4, 20, 1
	s_mov_b32 s24, 0x407ffff
	v_add3_u32 v2, v1, v2, s24
	v_lshrrev_b32_e32 v3, 20, v2
	v_and_b32_e32 v2, 0xff00000, v2
	s_mov_b32 s24, 0x7f00000
	v_mov_b32_e32 v4, 0x7e
	v_cmp_ne_u32_e32 vcc, s24, v2
	v_cndmask_b32_e32 v2, v4, v3, vcc
; %bb.534:
	s_andn2_saveexec_b64 s[22:23], s[22:23]
; %bb.535:
	s_mov_b32 s24, 0x46800000
	v_add_f32_e64 v2, |v1|, s24
; %bb.536:
	s_or_b64 exec, exec, s[22:23]
                                        ; implicit-def: $vgpr3
.LBB275_537:
	s_andn2_saveexec_b64 s[20:21], s[20:21]
; %bb.538:
	s_mov_b32 s22, 0x7f800000
	v_mov_b32_e32 v2, 0x7e
	v_mov_b32_e32 v4, 0x7f
	v_cmp_lt_u32_e32 vcc, s22, v3
	v_cndmask_b32_e32 v2, v2, v4, vcc
; %bb.539:
	s_or_b64 exec, exec, s[20:21]
	v_lshrrev_b32_e32 v1, 24, v1
	s_movk_i32 s20, 0x80
	v_and_or_b32 v11, v1, s20, v2
.LBB275_540:
	s_or_b64 exec, exec, s[18:19]
	s_or_b64 s[18:19], s[14:15], exec
.LBB275_541:
	s_or_saveexec_b64 s[10:11], s[10:11]
	s_mov_b64 s[20:21], 0
	s_mov_b64 s[22:23], s[16:17]
	s_xor_b64 exec, exec, s[10:11]
	s_cbranch_execz .LBB275_557
; %bb.542:
	v_cmp_lt_i16_e32 vcc, 14, v10
	s_mov_b64 s[22:23], s[16:17]
	s_mov_b64 s[24:25], s[18:19]
                                        ; implicit-def: $vgpr11
	s_and_saveexec_b64 s[20:21], vcc
	s_xor_b64 s[20:21], exec, s[20:21]
	s_cbranch_execz .LBB275_554
; %bb.543:
	v_cmp_eq_u16_e32 vcc, 15, v10
	s_mov_b64 s[26:27], -1
	s_mov_b64 s[24:25], s[18:19]
                                        ; implicit-def: $vgpr11
	s_and_saveexec_b64 s[22:23], vcc
	s_cbranch_execz .LBB275_553
; %bb.544:
	flat_load_ushort v1, v[7:8]
	s_mov_b32 s24, 0x43f00000
                                        ; implicit-def: $vgpr2
	s_waitcnt vmcnt(0) lgkmcnt(0)
	v_lshlrev_b32_e32 v3, 16, v1
	v_and_b32_e32 v4, 0x7fffffff, v3
	v_cmp_gt_u32_e32 vcc, s24, v4
	s_and_saveexec_b64 s[24:25], vcc
	s_xor_b64 s[24:25], exec, s[24:25]
	s_cbranch_execz .LBB275_550
; %bb.545:
	s_mov_b32 s26, 0x3c7fffff
	v_cmp_lt_u32_e32 vcc, s26, v4
                                        ; implicit-def: $vgpr2
	s_and_saveexec_b64 s[26:27], vcc
	s_xor_b64 s[26:27], exec, s[26:27]
; %bb.546:
	v_bfe_u32 v2, v1, 4, 1
	s_mov_b32 s28, 0x407ffff
	v_add3_u32 v2, v3, v2, s28
	v_lshrrev_b32_e32 v3, 20, v2
	v_and_b32_e32 v2, 0xff00000, v2
	s_mov_b32 s28, 0x7f00000
	v_mov_b32_e32 v4, 0x7e
	v_cmp_ne_u32_e32 vcc, s28, v2
	v_cndmask_b32_e32 v2, v4, v3, vcc
                                        ; implicit-def: $vgpr3
; %bb.547:
	s_andn2_saveexec_b64 s[26:27], s[26:27]
; %bb.548:
	s_mov_b32 s28, 0x46800000
	v_add_f32_e64 v2, |v3|, s28
; %bb.549:
	s_or_b64 exec, exec, s[26:27]
                                        ; implicit-def: $vgpr4
.LBB275_550:
	s_andn2_saveexec_b64 s[24:25], s[24:25]
; %bb.551:
	s_mov_b32 s26, 0x7f800000
	v_mov_b32_e32 v2, 0x7e
	v_mov_b32_e32 v3, 0x7f
	v_cmp_lt_u32_e32 vcc, s26, v4
	v_cndmask_b32_e32 v2, v2, v3, vcc
; %bb.552:
	s_or_b64 exec, exec, s[24:25]
	v_lshrrev_b32_e32 v1, 8, v1
	s_movk_i32 s24, 0x80
	v_and_or_b32 v11, v1, s24, v2
	s_or_b64 s[24:25], s[18:19], exec
	s_xor_b64 s[26:27], exec, -1
.LBB275_553:
	s_or_b64 exec, exec, s[22:23]
	s_andn2_b64 s[22:23], s[18:19], exec
	s_and_b64 s[24:25], s[24:25], exec
	s_or_b64 s[24:25], s[22:23], s[24:25]
	s_andn2_b64 s[22:23], s[16:17], exec
	s_and_b64 s[26:27], s[26:27], exec
	s_or_b64 s[22:23], s[22:23], s[26:27]
.LBB275_554:
	s_or_saveexec_b64 s[20:21], s[20:21]
	s_mov_b64 s[26:27], 0
	s_xor_b64 exec, exec, s[20:21]
; %bb.555:
	v_cmp_ne_u16_e32 vcc, 11, v10
	s_andn2_b64 s[22:23], s[22:23], exec
	s_and_b64 s[28:29], vcc, exec
	s_mov_b64 s[26:27], exec
	s_or_b64 s[22:23], s[22:23], s[28:29]
; %bb.556:
	s_or_b64 exec, exec, s[20:21]
	s_andn2_b64 s[18:19], s[18:19], exec
	s_and_b64 s[20:21], s[24:25], exec
	s_andn2_b64 s[24:25], s[16:17], exec
	s_and_b64 s[22:23], s[22:23], exec
	s_or_b64 s[18:19], s[18:19], s[20:21]
	s_and_b64 s[20:21], s[26:27], exec
	s_or_b64 s[22:23], s[24:25], s[22:23]
.LBB275_557:
	s_or_b64 exec, exec, s[10:11]
	s_andn2_b64 s[10:11], s[14:15], exec
	s_and_b64 s[14:15], s[18:19], exec
	s_andn2_b64 s[16:17], s[16:17], exec
	s_and_b64 s[18:19], s[22:23], exec
	s_or_b64 s[14:15], s[10:11], s[14:15]
	s_and_b64 s[10:11], s[20:21], exec
	s_or_b64 s[16:17], s[16:17], s[18:19]
	s_or_b64 exec, exec, s[12:13]
	s_mov_b64 s[18:19], s[4:5]
	s_and_saveexec_b64 s[12:13], s[16:17]
	s_cbranch_execz .LBB275_310
.LBB275_558:
	s_andn2_b64 s[10:11], s[10:11], exec
	s_or_b64 s[18:19], s[4:5], exec
	s_trap 2
	s_branch .LBB275_310
.LBB275_559:
	s_or_saveexec_b64 s[20:21], s[20:21]
	v_mov_b32_e32 v9, 0x7f800001
	s_xor_b64 exec, exec, s[20:21]
	s_cbranch_execz .LBB275_70
.LBB275_560:
	v_cmp_ne_u16_e32 vcc, 0, v10
	s_andn2_b64 s[18:19], s[18:19], exec
	s_and_b64 s[22:23], vcc, exec
	v_mov_b32_e32 v9, 0
	s_or_b64 s[18:19], s[18:19], s[22:23]
	s_or_b64 exec, exec, s[20:21]
	s_and_saveexec_b64 s[20:21], s[18:19]
	s_cbranch_execnz .LBB275_71
	s_branch .LBB275_72
.LBB275_561:
	s_or_saveexec_b64 s[24:25], s[24:25]
	v_mov_b32_e32 v1, 0x7f800001
	s_xor_b64 exec, exec, s[24:25]
	s_cbranch_execz .LBB275_296
.LBB275_562:
	v_cmp_ne_u16_e32 vcc, 0, v2
	s_andn2_b64 s[22:23], s[22:23], exec
	s_and_b64 s[26:27], vcc, exec
	v_mov_b32_e32 v1, 0
	s_or_b64 s[22:23], s[22:23], s[26:27]
	s_or_b64 exec, exec, s[24:25]
	s_and_saveexec_b64 s[24:25], s[22:23]
	s_cbranch_execnz .LBB275_297
	s_branch .LBB275_298
.LBB275_563:
	s_or_saveexec_b64 s[20:21], s[20:21]
	v_mov_b32_e32 v9, 0x7f800001
	s_xor_b64 exec, exec, s[20:21]
	s_cbranch_execz .LBB275_465
.LBB275_564:
	v_cmp_ne_u16_e32 vcc, 0, v10
	s_andn2_b64 s[18:19], s[18:19], exec
	s_and_b64 s[22:23], vcc, exec
	v_mov_b32_e32 v9, 0
	s_or_b64 s[18:19], s[18:19], s[22:23]
	s_or_b64 exec, exec, s[20:21]
	s_and_saveexec_b64 s[20:21], s[18:19]
	s_cbranch_execnz .LBB275_466
	s_branch .LBB275_467
.LBB275_565:
	s_or_saveexec_b64 s[24:25], s[24:25]
	v_mov_b32_e32 v1, 0x7f800001
	s_xor_b64 exec, exec, s[24:25]
	s_cbranch_execz .LBB275_516
.LBB275_566:
	v_cmp_ne_u16_e32 vcc, 0, v2
	s_andn2_b64 s[22:23], s[22:23], exec
	s_and_b64 s[26:27], vcc, exec
	v_mov_b32_e32 v1, 0
	s_or_b64 s[22:23], s[22:23], s[26:27]
	s_or_b64 exec, exec, s[24:25]
	s_and_saveexec_b64 s[24:25], s[22:23]
	s_cbranch_execnz .LBB275_517
	s_branch .LBB275_518
.Lfunc_end275:
	.size	_ZN2at6native6invokeINS0_13BinaryFunctorIN3c1013Float8_e4m3fnES4_bNS0_12_GLOBAL__N_116CompareEqFunctorIS4_EEEEj15function_traitsIS8_EEENT1_11result_typeERKT_PrKPcPKT0_PKNS3_10ScalarTypeEi, .Lfunc_end275-_ZN2at6native6invokeINS0_13BinaryFunctorIN3c1013Float8_e4m3fnES4_bNS0_12_GLOBAL__N_116CompareEqFunctorIS4_EEEEj15function_traitsIS8_EEENT1_11result_typeERKT_PrKPcPKT0_PKNS3_10ScalarTypeEi
                                        ; -- End function
	.set .L_ZN2at6native6invokeINS0_13BinaryFunctorIN3c1013Float8_e4m3fnES4_bNS0_12_GLOBAL__N_116CompareEqFunctorIS4_EEEEj15function_traitsIS8_EEENT1_11result_typeERKT_PrKPcPKT0_PKNS3_10ScalarTypeEi.num_vgpr, 15
	.set .L_ZN2at6native6invokeINS0_13BinaryFunctorIN3c1013Float8_e4m3fnES4_bNS0_12_GLOBAL__N_116CompareEqFunctorIS4_EEEEj15function_traitsIS8_EEENT1_11result_typeERKT_PrKPcPKT0_PKNS3_10ScalarTypeEi.num_agpr, 0
	.set .L_ZN2at6native6invokeINS0_13BinaryFunctorIN3c1013Float8_e4m3fnES4_bNS0_12_GLOBAL__N_116CompareEqFunctorIS4_EEEEj15function_traitsIS8_EEENT1_11result_typeERKT_PrKPcPKT0_PKNS3_10ScalarTypeEi.numbered_sgpr, 41
	.set .L_ZN2at6native6invokeINS0_13BinaryFunctorIN3c1013Float8_e4m3fnES4_bNS0_12_GLOBAL__N_116CompareEqFunctorIS4_EEEEj15function_traitsIS8_EEENT1_11result_typeERKT_PrKPcPKT0_PKNS3_10ScalarTypeEi.num_named_barrier, 0
	.set .L_ZN2at6native6invokeINS0_13BinaryFunctorIN3c1013Float8_e4m3fnES4_bNS0_12_GLOBAL__N_116CompareEqFunctorIS4_EEEEj15function_traitsIS8_EEENT1_11result_typeERKT_PrKPcPKT0_PKNS3_10ScalarTypeEi.private_seg_size, 0
	.set .L_ZN2at6native6invokeINS0_13BinaryFunctorIN3c1013Float8_e4m3fnES4_bNS0_12_GLOBAL__N_116CompareEqFunctorIS4_EEEEj15function_traitsIS8_EEENT1_11result_typeERKT_PrKPcPKT0_PKNS3_10ScalarTypeEi.uses_vcc, 1
	.set .L_ZN2at6native6invokeINS0_13BinaryFunctorIN3c1013Float8_e4m3fnES4_bNS0_12_GLOBAL__N_116CompareEqFunctorIS4_EEEEj15function_traitsIS8_EEENT1_11result_typeERKT_PrKPcPKT0_PKNS3_10ScalarTypeEi.uses_flat_scratch, 0
	.set .L_ZN2at6native6invokeINS0_13BinaryFunctorIN3c1013Float8_e4m3fnES4_bNS0_12_GLOBAL__N_116CompareEqFunctorIS4_EEEEj15function_traitsIS8_EEENT1_11result_typeERKT_PrKPcPKT0_PKNS3_10ScalarTypeEi.has_dyn_sized_stack, 0
	.set .L_ZN2at6native6invokeINS0_13BinaryFunctorIN3c1013Float8_e4m3fnES4_bNS0_12_GLOBAL__N_116CompareEqFunctorIS4_EEEEj15function_traitsIS8_EEENT1_11result_typeERKT_PrKPcPKT0_PKNS3_10ScalarTypeEi.has_recursion, 0
	.set .L_ZN2at6native6invokeINS0_13BinaryFunctorIN3c1013Float8_e4m3fnES4_bNS0_12_GLOBAL__N_116CompareEqFunctorIS4_EEEEj15function_traitsIS8_EEENT1_11result_typeERKT_PrKPcPKT0_PKNS3_10ScalarTypeEi.has_indirect_call, 0
	.section	.AMDGPU.csdata,"",@progbits
; Function info:
; codeLenInByte = 12280
; TotalNumSgprs: 45
; NumVgprs: 15
; ScratchSize: 0
; MemoryBound: 0
	.section	.text._ZN2at6native32elementwise_kernel_manual_unrollILi128ELi4EZNS0_15gpu_kernel_implINS0_13BinaryFunctorIN3c1013Float8_e4m3fnES5_bNS0_12_GLOBAL__N_116CompareEqFunctorIS5_EEEEEEvRNS_18TensorIteratorBaseERKT_EUlibE0_EEviT1_,"axG",@progbits,_ZN2at6native32elementwise_kernel_manual_unrollILi128ELi4EZNS0_15gpu_kernel_implINS0_13BinaryFunctorIN3c1013Float8_e4m3fnES5_bNS0_12_GLOBAL__N_116CompareEqFunctorIS5_EEEEEEvRNS_18TensorIteratorBaseERKT_EUlibE0_EEviT1_,comdat
	.globl	_ZN2at6native32elementwise_kernel_manual_unrollILi128ELi4EZNS0_15gpu_kernel_implINS0_13BinaryFunctorIN3c1013Float8_e4m3fnES5_bNS0_12_GLOBAL__N_116CompareEqFunctorIS5_EEEEEEvRNS_18TensorIteratorBaseERKT_EUlibE0_EEviT1_ ; -- Begin function _ZN2at6native32elementwise_kernel_manual_unrollILi128ELi4EZNS0_15gpu_kernel_implINS0_13BinaryFunctorIN3c1013Float8_e4m3fnES5_bNS0_12_GLOBAL__N_116CompareEqFunctorIS5_EEEEEEvRNS_18TensorIteratorBaseERKT_EUlibE0_EEviT1_
	.p2align	8
	.type	_ZN2at6native32elementwise_kernel_manual_unrollILi128ELi4EZNS0_15gpu_kernel_implINS0_13BinaryFunctorIN3c1013Float8_e4m3fnES5_bNS0_12_GLOBAL__N_116CompareEqFunctorIS5_EEEEEEvRNS_18TensorIteratorBaseERKT_EUlibE0_EEviT1_,@function
_ZN2at6native32elementwise_kernel_manual_unrollILi128ELi4EZNS0_15gpu_kernel_implINS0_13BinaryFunctorIN3c1013Float8_e4m3fnES5_bNS0_12_GLOBAL__N_116CompareEqFunctorIS5_EEEEEEvRNS_18TensorIteratorBaseERKT_EUlibE0_EEviT1_: ; @_ZN2at6native32elementwise_kernel_manual_unrollILi128ELi4EZNS0_15gpu_kernel_implINS0_13BinaryFunctorIN3c1013Float8_e4m3fnES5_bNS0_12_GLOBAL__N_116CompareEqFunctorIS5_EEEEEEvRNS_18TensorIteratorBaseERKT_EUlibE0_EEviT1_
; %bb.0:
	s_add_u32 flat_scratch_lo, s6, s9
	s_addc_u32 flat_scratch_hi, s7, 0
	s_load_dwordx8 s[12:19], s[4:5], 0xa8
	s_load_dword s33, s[4:5], 0x0
	s_load_dwordx8 s[36:43], s[4:5], 0x8
	s_load_dwordx8 s[20:27], s[4:5], 0x28
	s_add_u32 s0, s0, s9
	s_load_dwordx8 s[44:51], s[4:5], 0xc8
	s_addc_u32 s1, s1, 0
	s_waitcnt lgkmcnt(0)
	v_mov_b32_e32 v1, s19
	buffer_store_dword v1, off, s[0:3], 0 offset:212
	v_mov_b32_e32 v1, s18
	buffer_store_dword v1, off, s[0:3], 0 offset:208
	;; [unrolled: 2-line block ×7, first 2 shown]
	v_mov_b32_e32 v1, s44
	s_load_dwordx8 s[52:59], s[4:5], 0xe8
	buffer_store_dword v1, off, s[0:3], 0 offset:216
	v_mov_b32_e32 v1, s51
	buffer_store_dword v1, off, s[0:3], 0 offset:244
	v_mov_b32_e32 v1, s50
	buffer_store_dword v1, off, s[0:3], 0 offset:240
	v_mov_b32_e32 v1, s49
	buffer_store_dword v1, off, s[0:3], 0 offset:236
	v_mov_b32_e32 v1, s48
	buffer_store_dword v1, off, s[0:3], 0 offset:232
	s_waitcnt lgkmcnt(0)
	v_mov_b32_e32 v1, s55
	buffer_store_dword v1, off, s[0:3], 0 offset:260
	v_mov_b32_e32 v1, s54
	buffer_store_dword v1, off, s[0:3], 0 offset:256
	v_mov_b32_e32 v1, s53
	buffer_store_dword v1, off, s[0:3], 0 offset:252
	v_mov_b32_e32 v1, s52
	s_load_dwordx8 s[44:51], s[4:5], 0x108
	buffer_store_dword v1, off, s[0:3], 0 offset:248
	v_mov_b32_e32 v1, s59
	buffer_store_dword v1, off, s[0:3], 0 offset:276
	v_mov_b32_e32 v1, s58
	buffer_store_dword v1, off, s[0:3], 0 offset:272
	v_mov_b32_e32 v1, s57
	buffer_store_dword v1, off, s[0:3], 0 offset:268
	v_mov_b32_e32 v1, s56
	buffer_store_dword v1, off, s[0:3], 0 offset:264
	s_waitcnt lgkmcnt(0)
	v_mov_b32_e32 v1, s47
	buffer_store_dword v1, off, s[0:3], 0 offset:292
	v_mov_b32_e32 v1, s46
	buffer_store_dword v1, off, s[0:3], 0 offset:288
	v_mov_b32_e32 v1, s45
	buffer_store_dword v1, off, s[0:3], 0 offset:284
	;; [unrolled: 18-line block ×6, first 2 shown]
	v_mov_b32_e32 v1, s44
	s_load_dwordx4 s[16:19], s[4:5], 0x1a0
	buffer_store_dword v1, off, s[0:3], 0 offset:408
	v_mov_b32_e32 v1, s51
	buffer_store_dword v1, off, s[0:3], 0 offset:436
	v_mov_b32_e32 v1, s50
	;; [unrolled: 2-line block ×4, first 2 shown]
	buffer_store_dword v1, off, s[0:3], 0 offset:424
	s_waitcnt lgkmcnt(0)
	v_mov_b32_e32 v1, s19
	buffer_store_dword v1, off, s[0:3], 0 offset:444
	v_mov_b32_e32 v1, s18
	buffer_store_dword v1, off, s[0:3], 0 offset:440
	;; [unrolled: 2-line block ×15, first 2 shown]
	v_mov_b32_e32 v1, s20
	s_load_dwordx8 s[16:23], s[4:5], 0x48
	buffer_store_dword v1, off, s[0:3], 0 offset:56
	v_mov_b32_e32 v1, s27
	buffer_store_dword v1, off, s[0:3], 0 offset:84
	v_mov_b32_e32 v1, s26
	buffer_store_dword v1, off, s[0:3], 0 offset:80
	v_mov_b32_e32 v1, s25
	buffer_store_dword v1, off, s[0:3], 0 offset:76
	v_mov_b32_e32 v1, s24
	buffer_store_dword v1, off, s[0:3], 0 offset:72
	s_waitcnt lgkmcnt(0)
	v_mov_b32_e32 v1, s19
	buffer_store_dword v1, off, s[0:3], 0 offset:100
	v_mov_b32_e32 v1, s18
	buffer_store_dword v1, off, s[0:3], 0 offset:96
	v_mov_b32_e32 v1, s17
	buffer_store_dword v1, off, s[0:3], 0 offset:92
	v_mov_b32_e32 v1, s16
	s_load_dwordx8 s[24:31], s[4:5], 0x68
	buffer_store_dword v1, off, s[0:3], 0 offset:88
	v_mov_b32_e32 v1, s23
	buffer_store_dword v1, off, s[0:3], 0 offset:116
	v_mov_b32_e32 v1, s22
	buffer_store_dword v1, off, s[0:3], 0 offset:112
	v_mov_b32_e32 v1, s21
	buffer_store_dword v1, off, s[0:3], 0 offset:108
	v_mov_b32_e32 v1, s20
	buffer_store_dword v1, off, s[0:3], 0 offset:104
	s_waitcnt lgkmcnt(0)
	v_mov_b32_e32 v1, s27
	buffer_store_dword v1, off, s[0:3], 0 offset:132
	v_mov_b32_e32 v1, s26
	buffer_store_dword v1, off, s[0:3], 0 offset:128
	v_mov_b32_e32 v1, s25
	buffer_store_dword v1, off, s[0:3], 0 offset:124
	;; [unrolled: 18-line block ×3, first 2 shown]
	v_mov_b32_e32 v1, s16
	buffer_store_dword v1, off, s[0:3], 0 offset:152
	v_mov_b32_e32 v1, s23
	buffer_store_dword v1, off, s[0:3], 0 offset:180
	;; [unrolled: 2-line block ×6, first 2 shown]
	v_mov_b32_e32 v1, s14
	v_lshl_or_b32 v17, s8, 9, v0
	buffer_store_dword v1, off, s[0:3], 0 offset:192
	v_mov_b32_e32 v1, s13
	v_or_b32_e32 v12, 0x180, v17
	buffer_store_dword v1, off, s[0:3], 0 offset:188
	v_mov_b32_e32 v1, s12
	v_cmp_le_i32_e32 vcc, s33, v12
	s_mov_b64 s[42:43], 0
	s_mov_b64 s[34:35], 0
	s_movk_i32 s32, 0x7400
	buffer_store_dword v1, off, s[0:3], 0 offset:184
	s_and_saveexec_b64 s[4:5], vcc
	s_xor_b64 s[36:37], exec, s[4:5]
	s_cbranch_execz .LBB276_442
; %bb.1:
	s_mov_b64 s[4:5], src_private_base
	s_movk_i32 s4, 0x190
	s_add_u32 s41, 24, s4
	s_addc_u32 s54, s5, 0
	s_add_u32 s55, 0, 4
	s_addc_u32 s56, s5, 0
	s_movk_i32 s4, 0x1a5
	s_add_u32 s58, 24, s4
	s_addc_u32 s57, s5, 0
	v_cmp_gt_i32_e32 vcc, s33, v17
	s_mov_b64 s[8:9], -1
	s_mov_b64 s[46:47], 0
	s_and_saveexec_b64 s[38:39], vcc
	s_cbranch_execz .LBB276_99
; %bb.2:
	buffer_load_dword v0, off, s[0:3], 0 offset:24
                                        ; implicit-def: $vgpr15
                                        ; implicit-def: $vgpr3
                                        ; implicit-def: $vgpr1
	s_waitcnt vmcnt(0)
	v_add_u32_e32 v2, -1, v0
	v_cmp_lt_u32_e32 vcc, 1, v2
	s_and_saveexec_b64 s[4:5], vcc
	s_xor_b64 s[4:5], exec, s[4:5]
	s_cbranch_execz .LBB276_10
; %bb.3:
	v_mov_b32_e32 v15, 0
	v_cmp_ne_u32_e32 vcc, 0, v0
	v_mov_b32_e32 v3, 0
	v_mov_b32_e32 v1, 0
	s_and_saveexec_b64 s[6:7], vcc
	s_cbranch_execz .LBB276_9
; %bb.4:
	v_min_u32_e32 v2, 15, v2
	v_add_u32_e32 v0, 1, v2
	v_and_b32_e32 v4, 30, v0
	s_sub_i32 s10, 24, 24
	v_mov_b32_e32 v1, 0
	s_mov_b64 s[8:9], 0
	v_mov_b32_e32 v3, 0
	v_mov_b32_e32 v15, 0
	;; [unrolled: 1-line block ×3, first 2 shown]
.LBB276_5:                              ; =>This Inner Loop Header: Depth=1
	v_mov_b32_e32 v5, s10
	buffer_load_dword v6, v5, s[0:3], 0 offen offset:32
	buffer_load_dword v7, v5, s[0:3], 0 offen offset:28
	;; [unrolled: 1-line block ×12, first 2 shown]
	v_add_u32_e32 v4, -2, v4
	s_add_i32 s10, s10, 24
	v_cmp_eq_u32_e32 vcc, 0, v4
	v_mov_b32_e32 v5, s10
	s_or_b64 s[8:9], vcc, s[8:9]
	s_waitcnt vmcnt(11)
	v_mul_hi_u32 v6, v6, v0
	v_add_u32_e32 v6, v0, v6
	s_waitcnt vmcnt(9)
	v_lshrrev_b32_e32 v6, v8, v6
	v_mul_lo_u32 v7, v6, v7
	s_waitcnt vmcnt(8)
	v_mul_hi_u32 v8, v9, v6
	v_sub_u32_e32 v7, v0, v7
	v_add_u32_e32 v0, v6, v8
	s_waitcnt vmcnt(6)
	v_lshrrev_b32_e32 v0, v11, v0
	v_mul_lo_u32 v10, v0, v10
	s_waitcnt vmcnt(5)
	v_mul_lo_u32 v8, v7, v12
	s_waitcnt vmcnt(4)
	;; [unrolled: 2-line block ×3, first 2 shown]
	v_mul_lo_u32 v7, v7, v14
	v_sub_u32_e32 v6, v6, v10
	s_waitcnt vmcnt(2)
	v_mul_lo_u32 v10, v6, v16
	s_waitcnt vmcnt(1)
	v_mul_lo_u32 v11, v6, v18
	;; [unrolled: 2-line block ×3, first 2 shown]
	v_add3_u32 v15, v8, v15, v10
	v_add3_u32 v3, v9, v3, v11
	;; [unrolled: 1-line block ×3, first 2 shown]
	s_andn2_b64 exec, exec, s[8:9]
	s_cbranch_execnz .LBB276_5
; %bb.6:
	s_or_b64 exec, exec, s[8:9]
	v_and_b32_e32 v2, 1, v2
	v_cmp_eq_u32_e32 vcc, 0, v2
	s_and_saveexec_b64 s[8:9], vcc
	s_cbranch_execz .LBB276_8
; %bb.7:
	buffer_load_dword v2, v5, s[0:3], 0 offen offset:32
	buffer_load_dword v4, v5, s[0:3], 0 offen offset:36
	;; [unrolled: 1-line block ×6, first 2 shown]
	s_waitcnt vmcnt(5)
	v_mul_hi_u32 v2, v2, v0
	v_add_u32_e32 v2, v0, v2
	s_waitcnt vmcnt(4)
	v_lshrrev_b32_e32 v2, v4, v2
	s_waitcnt vmcnt(3)
	v_mul_lo_u32 v2, v2, v6
	v_sub_u32_e32 v0, v0, v2
	s_waitcnt vmcnt(2)
	v_mad_u64_u32 v[15:16], s[10:11], v0, v7, v[15:16]
	s_waitcnt vmcnt(1)
	v_mad_u64_u32 v[3:4], s[10:11], v0, v8, v[3:4]
	s_waitcnt vmcnt(0)
	v_mad_u64_u32 v[1:2], s[10:11], v0, v9, v[1:2]
.LBB276_8:
	s_or_b64 exec, exec, s[8:9]
.LBB276_9:
	s_or_b64 exec, exec, s[6:7]
                                        ; implicit-def: $vgpr0
.LBB276_10:
	s_andn2_saveexec_b64 s[4:5], s[4:5]
	s_cbranch_execz .LBB276_14
; %bb.11:
	buffer_load_dword v1, off, s[0:3], 0 offset:32
	buffer_load_dword v2, off, s[0:3], 0 offset:36
	;; [unrolled: 1-line block ×6, first 2 shown]
	v_cmp_lt_u32_e32 vcc, 1, v0
	s_waitcnt vmcnt(5)
	v_mul_hi_u32 v1, v1, v17
	v_add_u32_e32 v1, v17, v1
	s_waitcnt vmcnt(4)
	v_lshrrev_b32_e32 v2, v2, v1
	s_waitcnt vmcnt(3)
	v_mul_lo_u32 v1, v2, v3
	v_sub_u32_e32 v1, v17, v1
	s_waitcnt vmcnt(2)
	v_mul_lo_u32 v15, v1, v4
	s_waitcnt vmcnt(1)
	v_mul_lo_u32 v3, v1, v5
	;; [unrolled: 2-line block ×3, first 2 shown]
	s_and_saveexec_b64 s[6:7], vcc
	s_cbranch_execz .LBB276_13
; %bb.12:
	buffer_load_dword v0, off, s[0:3], 0 offset:44
	buffer_load_dword v4, off, s[0:3], 0 offset:48
	buffer_load_dword v5, off, s[0:3], 0 offset:40
	buffer_load_dword v6, off, s[0:3], 0 offset:232
	buffer_load_dword v7, off, s[0:3], 0 offset:236
	buffer_load_dword v8, off, s[0:3], 0 offset:240
	s_waitcnt vmcnt(5)
	v_mul_hi_u32 v0, v0, v2
	v_add_u32_e32 v0, v2, v0
	s_waitcnt vmcnt(4)
	v_lshrrev_b32_e32 v0, v4, v0
	s_waitcnt vmcnt(3)
	v_mul_lo_u32 v0, v0, v5
	v_sub_u32_e32 v0, v2, v0
	s_waitcnt vmcnt(2)
	v_mad_u64_u32 v[15:16], s[8:9], v0, v6, v[15:16]
	s_waitcnt vmcnt(1)
	v_mad_u64_u32 v[3:4], s[8:9], v0, v7, v[3:4]
	;; [unrolled: 2-line block ×3, first 2 shown]
.LBB276_13:
	s_or_b64 exec, exec, s[6:7]
.LBB276_14:
	s_or_b64 exec, exec, s[4:5]
	buffer_load_dword v0, off, s[0:3], 0 offset:440
	s_nop 0
	buffer_store_dword v15, off, s[0:3], 0
	buffer_store_dword v3, off, s[0:3], 0 offset:4
	buffer_store_dword v1, off, s[0:3], 0 offset:8
	s_getpc_b64 s[4:5]
	s_add_u32 s4, s4, _ZN2at6native6invokeINS0_13BinaryFunctorIN3c1013Float8_e4m3fnES4_bNS0_12_GLOBAL__N_116CompareEqFunctorIS4_EEEEj15function_traitsIS8_EEENT1_11result_typeERKT_PrKPcPKT0_PKNS3_10ScalarTypeEi@rel32@lo+4
	s_addc_u32 s5, s5, _ZN2at6native6invokeINS0_13BinaryFunctorIN3c1013Float8_e4m3fnES4_bNS0_12_GLOBAL__N_116CompareEqFunctorIS4_EEEEj15function_traitsIS8_EEENT1_11result_typeERKT_PrKPcPKT0_PKNS3_10ScalarTypeEi@rel32@hi+12
	v_mov_b32_e32 v1, s41
	v_mov_b32_e32 v2, s54
	;; [unrolled: 1-line block ×6, first 2 shown]
	s_swappc_b64 s[30:31], s[4:5]
	v_and_b32_e32 v0, 1, v0
	v_cmp_eq_u32_e32 vcc, 1, v0
	buffer_load_dword v0, off, s[0:3], 0 offset:416
	buffer_load_dword v1, off, s[0:3], 0 offset:420
	buffer_load_ubyte v2, off, s[0:3], 0 offset:444
	s_mov_b64 s[6:7], 0
	s_mov_b64 s[10:11], 0
	s_waitcnt vmcnt(2)
	v_add_co_u32_e64 v0, s[4:5], v0, v15
	s_waitcnt vmcnt(1)
	v_addc_co_u32_e64 v1, s[4:5], 0, v1, s[4:5]
	s_waitcnt vmcnt(0)
	v_cmp_lt_i16_e64 s[4:5], 10, v2
	s_and_saveexec_b64 s[8:9], s[4:5]
	s_xor_b64 s[8:9], exec, s[8:9]
	s_cbranch_execz .LBB276_2195
; %bb.15:
	v_cmp_lt_i16_e64 s[4:5], 25, v2
	s_and_saveexec_b64 s[12:13], s[4:5]
	s_xor_b64 s[12:13], exec, s[12:13]
	s_cbranch_execz .LBB276_51
; %bb.16:
	v_cmp_lt_i16_e64 s[4:5], 28, v2
	s_mov_b64 s[14:15], 0
	s_and_saveexec_b64 s[10:11], s[4:5]
	s_xor_b64 s[10:11], exec, s[10:11]
	s_cbranch_execz .LBB276_34
; %bb.17:
	v_cmp_lt_i16_e64 s[4:5], 43, v2
	s_mov_b64 s[18:19], 0
	;; [unrolled: 6-line block ×3, first 2 shown]
	s_and_saveexec_b64 s[6:7], s[4:5]
	s_xor_b64 s[6:7], exec, s[6:7]
	s_cbranch_execz .LBB276_22
; %bb.19:
	v_cmp_eq_u16_e64 s[4:5], 46, v2
	s_mov_b64 s[20:21], -1
	s_and_saveexec_b64 s[18:19], s[4:5]
	s_cbranch_execz .LBB276_21
; %bb.20:
	v_cndmask_b32_e64 v2, 0, 1.0, vcc
	v_bfe_u32 v3, v2, 16, 1
	s_movk_i32 s4, 0x7fff
	v_add3_u32 v2, v2, v3, s4
	v_lshrrev_b32_e32 v2, 16, v2
	s_mov_b64 s[16:17], exec
	flat_store_dword v[0:1], v2
	s_xor_b64 s[20:21], exec, -1
.LBB276_21:
	s_or_b64 exec, exec, s[18:19]
	s_and_b64 s[18:19], s[20:21], exec
	s_and_b64 s[16:17], s[16:17], exec
                                        ; implicit-def: $vgpr2
                                        ; implicit-def: $vgpr0_vgpr1
.LBB276_22:
	s_andn2_saveexec_b64 s[20:21], s[6:7]
	s_cbranch_execz .LBB276_28
; %bb.23:
	v_cmp_eq_u16_e64 s[4:5], 44, v2
	s_mov_b64 s[24:25], -1
	s_mov_b64 s[6:7], s[16:17]
	s_and_saveexec_b64 s[22:23], s[4:5]
	s_cbranch_execz .LBB276_27
; %bb.24:
	v_cndmask_b32_e64 v3, 0, 1.0, vcc
	v_lshrrev_b32_e32 v2, 23, v3
	s_movk_i32 s4, 0xff
	v_cmp_ne_u32_e64 s[4:5], s4, v2
	v_mov_b32_e32 v4, 0xff
	s_and_saveexec_b64 s[24:25], s[4:5]
; %bb.25:
	s_mov_b32 s6, 0x3fffff
	v_and_b32_e32 v4, 0x400000, v3
	v_and_or_b32 v3, v3, s6, v2
	v_cmp_ne_u32_e64 s[4:5], 0, v4
	v_cmp_ne_u32_e64 s[6:7], 0, v3
	s_and_b64 s[4:5], s[4:5], s[6:7]
	v_cndmask_b32_e64 v3, 0, 1, s[4:5]
	v_add_u32_e32 v4, v2, v3
; %bb.26:
	s_or_b64 exec, exec, s[24:25]
	s_xor_b64 s[24:25], exec, -1
	s_or_b64 s[6:7], s[16:17], exec
	flat_store_byte v[0:1], v4
.LBB276_27:
	s_or_b64 exec, exec, s[22:23]
	s_andn2_b64 s[4:5], s[18:19], exec
	s_and_b64 s[18:19], s[24:25], exec
	s_or_b64 s[18:19], s[4:5], s[18:19]
	s_andn2_b64 s[4:5], s[16:17], exec
	s_and_b64 s[6:7], s[6:7], exec
	s_or_b64 s[16:17], s[4:5], s[6:7]
.LBB276_28:
	s_or_b64 exec, exec, s[20:21]
	s_and_b64 s[18:19], s[18:19], exec
	s_and_b64 s[6:7], s[16:17], exec
                                        ; implicit-def: $vgpr2
                                        ; implicit-def: $vgpr0_vgpr1
.LBB276_29:
	s_andn2_saveexec_b64 s[14:15], s[14:15]
	s_cbranch_execz .LBB276_33
; %bb.30:
	v_cmp_eq_u16_e64 s[4:5], 29, v2
	s_mov_b64 s[20:21], -1
	s_mov_b64 s[16:17], s[6:7]
	s_and_saveexec_b64 s[22:23], s[4:5]
	s_cbranch_execz .LBB276_32
; %bb.31:
	s_mov_b32 s4, 0
	v_cndmask_b32_e64 v2, 0, 1, vcc
	v_mov_b32_e32 v3, s4
	flat_store_dwordx2 v[0:1], v[2:3]
	s_xor_b64 s[20:21], exec, -1
	s_or_b64 s[16:17], s[6:7], exec
.LBB276_32:
	s_or_b64 exec, exec, s[22:23]
	s_andn2_b64 s[4:5], s[18:19], exec
	s_and_b64 s[18:19], s[20:21], exec
	s_or_b64 s[18:19], s[4:5], s[18:19]
	s_andn2_b64 s[4:5], s[6:7], exec
	s_and_b64 s[6:7], s[16:17], exec
	s_or_b64 s[6:7], s[4:5], s[6:7]
.LBB276_33:
	s_or_b64 exec, exec, s[14:15]
	s_and_b64 s[14:15], s[18:19], exec
	s_and_b64 s[6:7], s[6:7], exec
                                        ; implicit-def: $vgpr0_vgpr1
                                        ; implicit-def: $vgpr2
.LBB276_34:
	s_andn2_saveexec_b64 s[10:11], s[10:11]
	s_cbranch_execz .LBB276_50
; %bb.35:
	v_cmp_lt_i16_e64 s[4:5], 26, v2
	s_and_saveexec_b64 s[16:17], s[4:5]
	s_xor_b64 s[16:17], exec, s[16:17]
	s_cbranch_execz .LBB276_41
; %bb.36:
	v_cmp_lt_i16_e64 s[4:5], 27, v2
	s_and_saveexec_b64 s[18:19], s[4:5]
	s_xor_b64 s[4:5], exec, s[18:19]
	s_cbranch_execz .LBB276_38
; %bb.37:
	v_cndmask_b32_e64 v2, 0, 1, vcc
	flat_store_dword v[0:1], v2
                                        ; implicit-def: $vgpr0_vgpr1
.LBB276_38:
	s_andn2_saveexec_b64 s[4:5], s[4:5]
	s_cbranch_execz .LBB276_40
; %bb.39:
	v_cndmask_b32_e64 v2, 0, 1, vcc
	flat_store_short v[0:1], v2
.LBB276_40:
	s_or_b64 exec, exec, s[4:5]
                                        ; implicit-def: $vgpr0_vgpr1
.LBB276_41:
	s_andn2_saveexec_b64 s[16:17], s[16:17]
	s_cbranch_execz .LBB276_49
; %bb.42:
	v_cndmask_b32_e64 v3, 0, 1.0, vcc
	s_mov_b32 s4, 0x43800000
	v_cmp_gt_u32_e64 s[4:5], s4, v3
	v_mov_b32_e32 v4, 0x80
	s_and_saveexec_b64 s[18:19], s[4:5]
	s_cbranch_execz .LBB276_48
; %bb.43:
	s_mov_b32 s4, 0x3bffffff
	v_cmp_lt_u32_e64 s[4:5], s4, v3
	s_mov_b64 s[20:21], 0
                                        ; implicit-def: $vgpr2
	s_and_saveexec_b64 s[22:23], s[4:5]
	s_xor_b64 s[4:5], exec, s[22:23]
	s_cbranch_execz .LBB276_2582
; %bb.44:
	v_bfe_u32 v2, v3, 20, 1
	s_mov_b32 s22, 0x487ffff
	v_add3_u32 v2, v3, v2, s22
	s_mov_b64 s[20:21], exec
	v_lshrrev_b32_e32 v2, 20, v2
                                        ; implicit-def: $vgpr3
	s_andn2_saveexec_b64 s[22:23], s[4:5]
	s_cbranch_execnz .LBB276_2583
.LBB276_45:
	s_or_b64 exec, exec, s[22:23]
	v_mov_b32_e32 v4, 0
	s_and_saveexec_b64 s[4:5], s[20:21]
.LBB276_46:
	v_mov_b32_e32 v4, v2
.LBB276_47:
	s_or_b64 exec, exec, s[4:5]
.LBB276_48:
	s_or_b64 exec, exec, s[18:19]
	flat_store_byte v[0:1], v4
.LBB276_49:
	s_or_b64 exec, exec, s[16:17]
	s_or_b64 s[6:7], s[6:7], exec
.LBB276_50:
	s_or_b64 exec, exec, s[10:11]
	s_and_b64 s[10:11], s[14:15], exec
	s_and_b64 s[6:7], s[6:7], exec
                                        ; implicit-def: $vgpr2
                                        ; implicit-def: $vgpr0_vgpr1
.LBB276_51:
	s_andn2_saveexec_b64 s[12:13], s[12:13]
	s_cbranch_execz .LBB276_95
; %bb.52:
	v_cmp_lt_i16_e64 s[4:5], 22, v2
	s_mov_b64 s[16:17], s[6:7]
	s_and_saveexec_b64 s[14:15], s[4:5]
	s_xor_b64 s[14:15], exec, s[14:15]
	s_cbranch_execz .LBB276_84
; %bb.53:
	v_cmp_lt_i16_e64 s[4:5], 23, v2
	s_and_saveexec_b64 s[16:17], s[4:5]
	s_xor_b64 s[16:17], exec, s[16:17]
	s_cbranch_execz .LBB276_73
; %bb.54:
	v_cmp_lt_i16_e64 s[4:5], 24, v2
	s_and_saveexec_b64 s[18:19], s[4:5]
	s_xor_b64 s[18:19], exec, s[18:19]
	s_cbranch_execz .LBB276_62
; %bb.55:
	v_cndmask_b32_e64 v3, 0, 1.0, vcc
	s_mov_b32 s4, 0x47800000
	v_cmp_gt_u32_e64 s[4:5], s4, v3
	v_mov_b32_e32 v4, 0x80
	s_and_saveexec_b64 s[20:21], s[4:5]
	s_cbranch_execz .LBB276_61
; %bb.56:
	s_mov_b32 s4, 0x37ffffff
	v_cmp_lt_u32_e64 s[4:5], s4, v3
	s_mov_b64 s[22:23], 0
                                        ; implicit-def: $vgpr2
	s_and_saveexec_b64 s[24:25], s[4:5]
	s_xor_b64 s[4:5], exec, s[24:25]
	s_cbranch_execz .LBB276_2639
; %bb.57:
	v_bfe_u32 v2, v3, 21, 1
	s_mov_b32 s24, 0x88fffff
	v_add3_u32 v2, v3, v2, s24
	s_mov_b64 s[22:23], exec
	v_lshrrev_b32_e32 v2, 21, v2
                                        ; implicit-def: $vgpr3
	s_andn2_saveexec_b64 s[24:25], s[4:5]
	s_cbranch_execnz .LBB276_2640
.LBB276_58:
	s_or_b64 exec, exec, s[24:25]
	v_mov_b32_e32 v4, 0
	s_and_saveexec_b64 s[4:5], s[22:23]
.LBB276_59:
	v_mov_b32_e32 v4, v2
.LBB276_60:
	s_or_b64 exec, exec, s[4:5]
.LBB276_61:
	s_or_b64 exec, exec, s[20:21]
	flat_store_byte v[0:1], v4
                                        ; implicit-def: $vgpr0_vgpr1
.LBB276_62:
	s_andn2_saveexec_b64 s[18:19], s[18:19]
	s_cbranch_execz .LBB276_72
; %bb.63:
	v_cndmask_b32_e64 v2, 0, 1.0, vcc
	s_mov_b32 s4, 0x43f00000
	v_cmp_gt_u32_e64 s[4:5], s4, v2
                                        ; implicit-def: $vgpr3
	s_and_saveexec_b64 s[20:21], s[4:5]
	s_xor_b64 s[20:21], exec, s[20:21]
	s_cbranch_execz .LBB276_69
; %bb.64:
	s_mov_b32 s4, 0x3c7fffff
	v_cmp_lt_u32_e64 s[4:5], s4, v2
                                        ; implicit-def: $vgpr3
	s_and_saveexec_b64 s[22:23], s[4:5]
	s_xor_b64 s[22:23], exec, s[22:23]
; %bb.65:
	v_bfe_u32 v3, v2, 20, 1
	s_mov_b32 s4, 0x407ffff
	v_add3_u32 v2, v2, v3, s4
	v_lshrrev_b32_e32 v3, 20, v2
	v_and_b32_e32 v2, 0xff00000, v2
	s_mov_b32 s4, 0x7f00000
	v_mov_b32_e32 v4, 0x7e
	v_cmp_ne_u32_e64 s[4:5], s4, v2
	v_cndmask_b32_e64 v3, v4, v3, s[4:5]
                                        ; implicit-def: $vgpr2
; %bb.66:
	s_andn2_saveexec_b64 s[4:5], s[22:23]
; %bb.67:
	v_add_f32_e32 v3, 0x46800000, v2
; %bb.68:
	s_or_b64 exec, exec, s[4:5]
                                        ; implicit-def: $vgpr2
.LBB276_69:
	s_andn2_saveexec_b64 s[20:21], s[20:21]
; %bb.70:
	s_mov_b32 s4, 0x7f800000
	v_mov_b32_e32 v3, 0x7e
	v_mov_b32_e32 v4, 0x7f
	v_cmp_lt_u32_e64 s[4:5], s4, v2
	v_cndmask_b32_e64 v3, v3, v4, s[4:5]
; %bb.71:
	s_or_b64 exec, exec, s[20:21]
	flat_store_byte v[0:1], v3
.LBB276_72:
	s_or_b64 exec, exec, s[18:19]
                                        ; implicit-def: $vgpr0_vgpr1
.LBB276_73:
	s_andn2_saveexec_b64 s[16:17], s[16:17]
	s_cbranch_execz .LBB276_83
; %bb.74:
	v_cndmask_b32_e64 v2, 0, 1.0, vcc
	s_mov_b32 s4, 0x47800000
	v_cmp_gt_u32_e64 s[4:5], s4, v2
                                        ; implicit-def: $vgpr3
	s_and_saveexec_b64 s[18:19], s[4:5]
	s_xor_b64 s[18:19], exec, s[18:19]
	s_cbranch_execz .LBB276_80
; %bb.75:
	s_mov_b32 s4, 0x387fffff
	v_cmp_lt_u32_e64 s[4:5], s4, v2
                                        ; implicit-def: $vgpr3
	s_and_saveexec_b64 s[20:21], s[4:5]
	s_xor_b64 s[4:5], exec, s[20:21]
; %bb.76:
	v_bfe_u32 v3, v2, 21, 1
	s_mov_b32 s20, 0x80fffff
	v_add3_u32 v2, v2, v3, s20
	v_lshrrev_b32_e32 v3, 21, v2
                                        ; implicit-def: $vgpr2
; %bb.77:
	s_andn2_saveexec_b64 s[4:5], s[4:5]
; %bb.78:
	v_add_f32_e32 v3, 0x43000000, v2
; %bb.79:
	s_or_b64 exec, exec, s[4:5]
                                        ; implicit-def: $vgpr2
.LBB276_80:
	s_andn2_saveexec_b64 s[18:19], s[18:19]
; %bb.81:
	s_mov_b32 s4, 0x7f800000
	v_mov_b32_e32 v3, 0x7c
	v_mov_b32_e32 v4, 0x7f
	v_cmp_lt_u32_e64 s[4:5], s4, v2
	v_cndmask_b32_e64 v3, v3, v4, s[4:5]
; %bb.82:
	s_or_b64 exec, exec, s[18:19]
	flat_store_byte v[0:1], v3
.LBB276_83:
	s_or_b64 exec, exec, s[16:17]
	s_or_b64 s[16:17], s[6:7], exec
                                        ; implicit-def: $vgpr2
                                        ; implicit-def: $vgpr0_vgpr1
.LBB276_84:
	s_or_saveexec_b64 s[14:15], s[14:15]
	s_mov_b64 s[4:5], s[10:11]
	s_xor_b64 exec, exec, s[14:15]
	s_cbranch_execz .LBB276_94
; %bb.85:
	v_cmp_lt_i16_e64 s[4:5], 14, v2
	s_mov_b64 s[18:19], s[16:17]
	s_mov_b64 s[20:21], s[10:11]
	s_and_saveexec_b64 s[22:23], s[4:5]
	s_xor_b64 s[22:23], exec, s[22:23]
	s_cbranch_execz .LBB276_89
; %bb.86:
	v_cmp_eq_u16_e64 s[4:5], 15, v2
	s_mov_b64 s[20:21], -1
	s_mov_b64 s[18:19], s[16:17]
	s_and_saveexec_b64 s[24:25], s[4:5]
	s_cbranch_execz .LBB276_88
; %bb.87:
	v_cndmask_b32_e64 v2, 0, 1.0, vcc
	v_bfe_u32 v3, v2, 16, 1
	s_movk_i32 s4, 0x7fff
	v_add3_u32 v2, v2, v3, s4
	flat_store_short_d16_hi v[0:1], v2
	s_xor_b64 s[20:21], exec, -1
	s_or_b64 s[18:19], s[16:17], exec
.LBB276_88:
	s_or_b64 exec, exec, s[24:25]
	s_andn2_b64 s[4:5], s[10:11], exec
	s_and_b64 s[20:21], s[20:21], exec
	s_or_b64 s[20:21], s[4:5], s[20:21]
	s_andn2_b64 s[4:5], s[16:17], exec
	s_and_b64 s[18:19], s[18:19], exec
	s_or_b64 s[18:19], s[4:5], s[18:19]
                                        ; implicit-def: $vgpr2
                                        ; implicit-def: $vgpr0_vgpr1
.LBB276_89:
	s_andn2_saveexec_b64 s[22:23], s[22:23]
	s_cbranch_execz .LBB276_93
; %bb.90:
	v_cmp_eq_u16_e64 s[4:5], 11, v2
	s_mov_b64 s[26:27], -1
	s_mov_b64 s[24:25], s[18:19]
	s_and_saveexec_b64 s[28:29], s[4:5]
	s_cbranch_execz .LBB276_92
; %bb.91:
	v_cndmask_b32_e64 v2, 0, 1, vcc
	flat_store_byte v[0:1], v2
	s_xor_b64 s[26:27], exec, -1
	s_or_b64 s[24:25], s[18:19], exec
.LBB276_92:
	s_or_b64 exec, exec, s[28:29]
	s_andn2_b64 s[4:5], s[20:21], exec
	s_and_b64 s[20:21], s[26:27], exec
	s_or_b64 s[20:21], s[4:5], s[20:21]
	s_andn2_b64 s[4:5], s[18:19], exec
	s_and_b64 s[18:19], s[24:25], exec
	s_or_b64 s[18:19], s[4:5], s[18:19]
.LBB276_93:
	s_or_b64 exec, exec, s[22:23]
	s_andn2_b64 s[4:5], s[10:11], exec
	s_and_b64 s[20:21], s[20:21], exec
	s_andn2_b64 s[16:17], s[16:17], exec
	s_and_b64 s[18:19], s[18:19], exec
	s_or_b64 s[4:5], s[4:5], s[20:21]
	s_or_b64 s[16:17], s[16:17], s[18:19]
.LBB276_94:
	s_or_b64 exec, exec, s[14:15]
	s_andn2_b64 s[10:11], s[10:11], exec
	s_and_b64 s[4:5], s[4:5], exec
	s_or_b64 s[10:11], s[10:11], s[4:5]
	s_andn2_b64 s[4:5], s[6:7], exec
	s_and_b64 s[6:7], s[16:17], exec
	s_or_b64 s[6:7], s[4:5], s[6:7]
.LBB276_95:
	s_or_b64 exec, exec, s[12:13]
	s_and_b64 s[10:11], s[10:11], exec
	s_and_b64 s[6:7], s[6:7], exec
                                        ; implicit-def: $vgpr2
                                        ; implicit-def: $vgpr0_vgpr1
	s_andn2_saveexec_b64 s[8:9], s[8:9]
	s_cbranch_execnz .LBB276_2196
.LBB276_96:
	s_or_b64 exec, exec, s[8:9]
	s_mov_b64 s[4:5], 0
	s_and_saveexec_b64 s[8:9], s[6:7]
.LBB276_97:
	s_mov_b64 s[4:5], exec
	v_add_u32_e32 v17, 0x80, v17
.LBB276_98:
	s_or_b64 exec, exec, s[8:9]
	s_and_b64 s[34:35], s[10:11], exec
	s_orn2_b64 s[8:9], s[4:5], exec
.LBB276_99:
	s_or_b64 exec, exec, s[38:39]
	s_mov_b64 s[12:13], 0
	s_mov_b64 s[4:5], 0
                                        ; implicit-def: $sgpr6_sgpr7
                                        ; implicit-def: $vgpr4
                                        ; implicit-def: $vgpr0_vgpr1
	s_and_saveexec_b64 s[38:39], s[8:9]
	s_cbranch_execz .LBB276_397
; %bb.100:
	v_cmp_gt_i32_e32 vcc, s33, v17
	s_mov_b64 s[4:5], -1
	s_mov_b64 s[44:45], s[34:35]
	s_and_saveexec_b64 s[46:47], vcc
	s_cbranch_execz .LBB276_198
; %bb.101:
	buffer_load_dword v0, off, s[0:3], 0 offset:24
                                        ; implicit-def: $vgpr15
                                        ; implicit-def: $vgpr3
                                        ; implicit-def: $vgpr1
	s_waitcnt vmcnt(0)
	v_add_u32_e32 v2, -1, v0
	v_cmp_lt_u32_e32 vcc, 1, v2
	s_and_saveexec_b64 s[4:5], vcc
	s_xor_b64 s[4:5], exec, s[4:5]
	s_cbranch_execz .LBB276_109
; %bb.102:
	v_mov_b32_e32 v15, 0
	v_cmp_ne_u32_e32 vcc, 0, v0
	v_mov_b32_e32 v3, 0
	v_mov_b32_e32 v1, 0
	s_and_saveexec_b64 s[6:7], vcc
	s_cbranch_execz .LBB276_108
; %bb.103:
	v_min_u32_e32 v2, 15, v2
	v_add_u32_e32 v0, 1, v2
	v_and_b32_e32 v4, 30, v0
	s_sub_i32 s10, 24, 24
	v_mov_b32_e32 v1, 0
	s_mov_b64 s[8:9], 0
	v_mov_b32_e32 v3, 0
	v_mov_b32_e32 v15, 0
	;; [unrolled: 1-line block ×3, first 2 shown]
.LBB276_104:                            ; =>This Inner Loop Header: Depth=1
	v_mov_b32_e32 v5, s10
	buffer_load_dword v6, v5, s[0:3], 0 offen offset:32
	buffer_load_dword v7, v5, s[0:3], 0 offen offset:28
	;; [unrolled: 1-line block ×12, first 2 shown]
	v_add_u32_e32 v4, -2, v4
	s_add_i32 s10, s10, 24
	v_cmp_eq_u32_e32 vcc, 0, v4
	v_mov_b32_e32 v5, s10
	s_or_b64 s[8:9], vcc, s[8:9]
	s_waitcnt vmcnt(0)
	v_mul_hi_u32 v6, v6, v0
	v_add_u32_e32 v6, v0, v6
	v_lshrrev_b32_e32 v6, v8, v6
	v_mul_lo_u32 v7, v6, v7
	v_mul_hi_u32 v8, v9, v6
	v_sub_u32_e32 v7, v0, v7
	v_add_u32_e32 v0, v6, v8
	v_lshrrev_b32_e32 v0, v11, v0
	v_mul_lo_u32 v10, v0, v10
	v_mul_lo_u32 v8, v7, v12
	;; [unrolled: 1-line block ×4, first 2 shown]
	v_sub_u32_e32 v6, v6, v10
	v_mul_lo_u32 v10, v6, v16
	v_mul_lo_u32 v11, v6, v18
	;; [unrolled: 1-line block ×3, first 2 shown]
	v_add3_u32 v15, v8, v15, v10
	v_add3_u32 v3, v9, v3, v11
	;; [unrolled: 1-line block ×3, first 2 shown]
	s_andn2_b64 exec, exec, s[8:9]
	s_cbranch_execnz .LBB276_104
; %bb.105:
	s_or_b64 exec, exec, s[8:9]
	v_and_b32_e32 v2, 1, v2
	v_cmp_eq_u32_e32 vcc, 0, v2
	s_and_saveexec_b64 s[8:9], vcc
	s_cbranch_execz .LBB276_107
; %bb.106:
	buffer_load_dword v2, v5, s[0:3], 0 offen offset:32
	buffer_load_dword v4, v5, s[0:3], 0 offen offset:36
	;; [unrolled: 1-line block ×6, first 2 shown]
	s_waitcnt vmcnt(0)
	v_mul_hi_u32 v2, v2, v0
	v_add_u32_e32 v2, v0, v2
	v_lshrrev_b32_e32 v2, v4, v2
	v_mul_lo_u32 v2, v2, v6
	v_sub_u32_e32 v0, v0, v2
	v_mad_u64_u32 v[15:16], s[10:11], v0, v7, v[15:16]
	v_mad_u64_u32 v[3:4], s[10:11], v0, v8, v[3:4]
	;; [unrolled: 1-line block ×3, first 2 shown]
.LBB276_107:
	s_or_b64 exec, exec, s[8:9]
.LBB276_108:
	s_or_b64 exec, exec, s[6:7]
                                        ; implicit-def: $vgpr0
.LBB276_109:
	s_andn2_saveexec_b64 s[4:5], s[4:5]
	s_cbranch_execz .LBB276_113
; %bb.110:
	buffer_load_dword v1, off, s[0:3], 0 offset:32
	buffer_load_dword v2, off, s[0:3], 0 offset:36
	;; [unrolled: 1-line block ×6, first 2 shown]
	v_cmp_lt_u32_e32 vcc, 1, v0
	s_waitcnt vmcnt(0)
	v_mul_hi_u32 v1, v1, v17
	v_add_u32_e32 v1, v17, v1
	v_lshrrev_b32_e32 v2, v2, v1
	v_mul_lo_u32 v1, v2, v3
	v_sub_u32_e32 v1, v17, v1
	v_mul_lo_u32 v15, v1, v4
	v_mul_lo_u32 v3, v1, v5
	v_mul_lo_u32 v1, v1, v6
	s_and_saveexec_b64 s[6:7], vcc
	s_cbranch_execz .LBB276_112
; %bb.111:
	buffer_load_dword v0, off, s[0:3], 0 offset:44
	buffer_load_dword v4, off, s[0:3], 0 offset:48
	buffer_load_dword v5, off, s[0:3], 0 offset:40
	buffer_load_dword v6, off, s[0:3], 0 offset:232
	buffer_load_dword v7, off, s[0:3], 0 offset:236
	buffer_load_dword v8, off, s[0:3], 0 offset:240
	s_waitcnt vmcnt(0)
	v_mul_hi_u32 v0, v0, v2
	v_add_u32_e32 v0, v2, v0
	v_lshrrev_b32_e32 v0, v4, v0
	v_mul_lo_u32 v0, v0, v5
	v_sub_u32_e32 v0, v2, v0
	v_mad_u64_u32 v[15:16], s[8:9], v0, v6, v[15:16]
	v_mad_u64_u32 v[3:4], s[8:9], v0, v7, v[3:4]
	;; [unrolled: 1-line block ×3, first 2 shown]
.LBB276_112:
	s_or_b64 exec, exec, s[6:7]
.LBB276_113:
	s_or_b64 exec, exec, s[4:5]
	buffer_load_dword v0, off, s[0:3], 0 offset:440
	s_nop 0
	buffer_store_dword v15, off, s[0:3], 0
	buffer_store_dword v3, off, s[0:3], 0 offset:4
	buffer_store_dword v1, off, s[0:3], 0 offset:8
	s_getpc_b64 s[4:5]
	s_add_u32 s4, s4, _ZN2at6native6invokeINS0_13BinaryFunctorIN3c1013Float8_e4m3fnES4_bNS0_12_GLOBAL__N_116CompareEqFunctorIS4_EEEEj15function_traitsIS8_EEENT1_11result_typeERKT_PrKPcPKT0_PKNS3_10ScalarTypeEi@rel32@lo+4
	s_addc_u32 s5, s5, _ZN2at6native6invokeINS0_13BinaryFunctorIN3c1013Float8_e4m3fnES4_bNS0_12_GLOBAL__N_116CompareEqFunctorIS4_EEEEj15function_traitsIS8_EEENT1_11result_typeERKT_PrKPcPKT0_PKNS3_10ScalarTypeEi@rel32@hi+12
	v_mov_b32_e32 v1, s41
	v_mov_b32_e32 v2, s54
	;; [unrolled: 1-line block ×6, first 2 shown]
	s_swappc_b64 s[30:31], s[4:5]
	v_and_b32_e32 v0, 1, v0
	v_cmp_eq_u32_e32 vcc, 1, v0
	buffer_load_dword v0, off, s[0:3], 0 offset:416
	buffer_load_dword v1, off, s[0:3], 0 offset:420
	buffer_load_ubyte v2, off, s[0:3], 0 offset:444
	s_mov_b64 s[6:7], 0
	s_mov_b64 s[10:11], s[34:35]
	s_waitcnt vmcnt(2)
	v_add_co_u32_e64 v0, s[4:5], v0, v15
	s_waitcnt vmcnt(1)
	v_addc_co_u32_e64 v1, s[4:5], 0, v1, s[4:5]
	s_waitcnt vmcnt(0)
	v_cmp_lt_i16_e64 s[4:5], 10, v2
	s_and_saveexec_b64 s[8:9], s[4:5]
	s_xor_b64 s[8:9], exec, s[8:9]
	s_cbranch_execz .LBB276_2288
; %bb.114:
	v_cmp_lt_i16_e64 s[4:5], 25, v2
	s_mov_b64 s[10:11], s[34:35]
	s_and_saveexec_b64 s[12:13], s[4:5]
	s_xor_b64 s[12:13], exec, s[12:13]
	s_cbranch_execz .LBB276_150
; %bb.115:
	v_cmp_lt_i16_e64 s[4:5], 28, v2
	s_mov_b64 s[14:15], s[34:35]
	;; [unrolled: 6-line block ×4, first 2 shown]
	s_mov_b64 s[18:19], s[34:35]
	s_and_saveexec_b64 s[6:7], s[4:5]
	s_xor_b64 s[6:7], exec, s[6:7]
	s_cbranch_execz .LBB276_121
; %bb.118:
	v_cmp_eq_u16_e64 s[4:5], 46, v2
	s_mov_b64 s[20:21], -1
	s_and_saveexec_b64 s[18:19], s[4:5]
	s_cbranch_execz .LBB276_120
; %bb.119:
	v_cndmask_b32_e64 v2, 0, 1.0, vcc
	v_bfe_u32 v3, v2, 16, 1
	s_movk_i32 s4, 0x7fff
	v_add3_u32 v2, v2, v3, s4
	v_lshrrev_b32_e32 v2, 16, v2
	s_mov_b64 s[16:17], exec
	flat_store_dword v[0:1], v2
	s_xor_b64 s[20:21], exec, -1
.LBB276_120:
	s_or_b64 exec, exec, s[18:19]
	s_andn2_b64 s[4:5], s[34:35], exec
	s_and_b64 s[18:19], s[20:21], exec
	s_or_b64 s[18:19], s[4:5], s[18:19]
	s_and_b64 s[16:17], s[16:17], exec
                                        ; implicit-def: $vgpr2
                                        ; implicit-def: $vgpr0_vgpr1
.LBB276_121:
	s_andn2_saveexec_b64 s[20:21], s[6:7]
	s_cbranch_execz .LBB276_127
; %bb.122:
	v_cmp_eq_u16_e64 s[4:5], 44, v2
	s_mov_b64 s[24:25], -1
	s_mov_b64 s[6:7], s[16:17]
	s_and_saveexec_b64 s[22:23], s[4:5]
	s_cbranch_execz .LBB276_126
; %bb.123:
	v_cndmask_b32_e64 v3, 0, 1.0, vcc
	v_lshrrev_b32_e32 v2, 23, v3
	s_movk_i32 s4, 0xff
	v_cmp_ne_u32_e64 s[4:5], s4, v2
	v_mov_b32_e32 v4, 0xff
	s_and_saveexec_b64 s[24:25], s[4:5]
; %bb.124:
	s_mov_b32 s6, 0x3fffff
	v_and_b32_e32 v4, 0x400000, v3
	v_and_or_b32 v3, v3, s6, v2
	v_cmp_ne_u32_e64 s[4:5], 0, v4
	v_cmp_ne_u32_e64 s[6:7], 0, v3
	s_and_b64 s[4:5], s[4:5], s[6:7]
	v_cndmask_b32_e64 v3, 0, 1, s[4:5]
	v_add_u32_e32 v4, v2, v3
; %bb.125:
	s_or_b64 exec, exec, s[24:25]
	s_xor_b64 s[24:25], exec, -1
	s_or_b64 s[6:7], s[16:17], exec
	flat_store_byte v[0:1], v4
.LBB276_126:
	s_or_b64 exec, exec, s[22:23]
	s_andn2_b64 s[4:5], s[18:19], exec
	s_and_b64 s[18:19], s[24:25], exec
	s_or_b64 s[18:19], s[4:5], s[18:19]
	s_andn2_b64 s[4:5], s[16:17], exec
	s_and_b64 s[6:7], s[6:7], exec
	s_or_b64 s[16:17], s[4:5], s[6:7]
.LBB276_127:
	s_or_b64 exec, exec, s[20:21]
	s_andn2_b64 s[4:5], s[34:35], exec
	s_and_b64 s[6:7], s[18:19], exec
	s_or_b64 s[18:19], s[4:5], s[6:7]
	s_and_b64 s[6:7], s[16:17], exec
                                        ; implicit-def: $vgpr2
                                        ; implicit-def: $vgpr0_vgpr1
.LBB276_128:
	s_andn2_saveexec_b64 s[14:15], s[14:15]
	s_cbranch_execz .LBB276_132
; %bb.129:
	v_cmp_eq_u16_e64 s[4:5], 29, v2
	s_mov_b64 s[20:21], -1
	s_mov_b64 s[16:17], s[6:7]
	s_and_saveexec_b64 s[22:23], s[4:5]
	s_cbranch_execz .LBB276_131
; %bb.130:
	s_mov_b32 s4, 0
	v_cndmask_b32_e64 v2, 0, 1, vcc
	v_mov_b32_e32 v3, s4
	flat_store_dwordx2 v[0:1], v[2:3]
	s_xor_b64 s[20:21], exec, -1
	s_or_b64 s[16:17], s[6:7], exec
.LBB276_131:
	s_or_b64 exec, exec, s[22:23]
	s_andn2_b64 s[4:5], s[18:19], exec
	s_and_b64 s[18:19], s[20:21], exec
	s_or_b64 s[18:19], s[4:5], s[18:19]
	s_andn2_b64 s[4:5], s[6:7], exec
	s_and_b64 s[6:7], s[16:17], exec
	s_or_b64 s[6:7], s[4:5], s[6:7]
.LBB276_132:
	s_or_b64 exec, exec, s[14:15]
	s_andn2_b64 s[4:5], s[34:35], exec
	s_and_b64 s[14:15], s[18:19], exec
	s_or_b64 s[14:15], s[4:5], s[14:15]
	s_and_b64 s[6:7], s[6:7], exec
                                        ; implicit-def: $vgpr0_vgpr1
                                        ; implicit-def: $vgpr2
.LBB276_133:
	s_andn2_saveexec_b64 s[10:11], s[10:11]
	s_cbranch_execz .LBB276_149
; %bb.134:
	v_cmp_lt_i16_e64 s[4:5], 26, v2
	s_and_saveexec_b64 s[16:17], s[4:5]
	s_xor_b64 s[16:17], exec, s[16:17]
	s_cbranch_execz .LBB276_140
; %bb.135:
	v_cmp_lt_i16_e64 s[4:5], 27, v2
	s_and_saveexec_b64 s[18:19], s[4:5]
	s_xor_b64 s[4:5], exec, s[18:19]
	s_cbranch_execz .LBB276_137
; %bb.136:
	v_cndmask_b32_e64 v2, 0, 1, vcc
	flat_store_dword v[0:1], v2
                                        ; implicit-def: $vgpr0_vgpr1
.LBB276_137:
	s_andn2_saveexec_b64 s[4:5], s[4:5]
	s_cbranch_execz .LBB276_139
; %bb.138:
	v_cndmask_b32_e64 v2, 0, 1, vcc
	flat_store_short v[0:1], v2
.LBB276_139:
	s_or_b64 exec, exec, s[4:5]
                                        ; implicit-def: $vgpr0_vgpr1
.LBB276_140:
	s_andn2_saveexec_b64 s[16:17], s[16:17]
	s_cbranch_execz .LBB276_148
; %bb.141:
	v_cndmask_b32_e64 v3, 0, 1.0, vcc
	s_mov_b32 s4, 0x43800000
	v_cmp_gt_u32_e64 s[4:5], s4, v3
	v_mov_b32_e32 v4, 0x80
	s_and_saveexec_b64 s[18:19], s[4:5]
	s_cbranch_execz .LBB276_147
; %bb.142:
	s_mov_b32 s4, 0x3bffffff
	v_cmp_lt_u32_e64 s[4:5], s4, v3
	s_mov_b64 s[20:21], 0
                                        ; implicit-def: $vgpr2
	s_and_saveexec_b64 s[22:23], s[4:5]
	s_xor_b64 s[4:5], exec, s[22:23]
	s_cbranch_execz .LBB276_2641
; %bb.143:
	v_bfe_u32 v2, v3, 20, 1
	s_mov_b32 s22, 0x487ffff
	v_add3_u32 v2, v3, v2, s22
	s_mov_b64 s[20:21], exec
	v_lshrrev_b32_e32 v2, 20, v2
                                        ; implicit-def: $vgpr3
	s_andn2_saveexec_b64 s[22:23], s[4:5]
	s_cbranch_execnz .LBB276_2642
.LBB276_144:
	s_or_b64 exec, exec, s[22:23]
	v_mov_b32_e32 v4, 0
	s_and_saveexec_b64 s[4:5], s[20:21]
.LBB276_145:
	v_mov_b32_e32 v4, v2
.LBB276_146:
	s_or_b64 exec, exec, s[4:5]
.LBB276_147:
	s_or_b64 exec, exec, s[18:19]
	flat_store_byte v[0:1], v4
.LBB276_148:
	s_or_b64 exec, exec, s[16:17]
	s_or_b64 s[6:7], s[6:7], exec
.LBB276_149:
	s_or_b64 exec, exec, s[10:11]
	s_andn2_b64 s[4:5], s[34:35], exec
	s_and_b64 s[10:11], s[14:15], exec
	s_or_b64 s[10:11], s[4:5], s[10:11]
	s_and_b64 s[6:7], s[6:7], exec
                                        ; implicit-def: $vgpr2
                                        ; implicit-def: $vgpr0_vgpr1
.LBB276_150:
	s_andn2_saveexec_b64 s[12:13], s[12:13]
	s_cbranch_execz .LBB276_194
; %bb.151:
	v_cmp_lt_i16_e64 s[4:5], 22, v2
	s_mov_b64 s[16:17], s[6:7]
	s_and_saveexec_b64 s[14:15], s[4:5]
	s_xor_b64 s[14:15], exec, s[14:15]
	s_cbranch_execz .LBB276_183
; %bb.152:
	v_cmp_lt_i16_e64 s[4:5], 23, v2
	s_and_saveexec_b64 s[16:17], s[4:5]
	s_xor_b64 s[16:17], exec, s[16:17]
	s_cbranch_execz .LBB276_172
; %bb.153:
	v_cmp_lt_i16_e64 s[4:5], 24, v2
	s_and_saveexec_b64 s[18:19], s[4:5]
	s_xor_b64 s[18:19], exec, s[18:19]
	s_cbranch_execz .LBB276_161
; %bb.154:
	v_cndmask_b32_e64 v3, 0, 1.0, vcc
	s_mov_b32 s4, 0x47800000
	v_cmp_gt_u32_e64 s[4:5], s4, v3
	v_mov_b32_e32 v4, 0x80
	s_and_saveexec_b64 s[20:21], s[4:5]
	s_cbranch_execz .LBB276_160
; %bb.155:
	s_mov_b32 s4, 0x37ffffff
	v_cmp_lt_u32_e64 s[4:5], s4, v3
	s_mov_b64 s[22:23], 0
                                        ; implicit-def: $vgpr2
	s_and_saveexec_b64 s[24:25], s[4:5]
	s_xor_b64 s[4:5], exec, s[24:25]
	s_cbranch_execz .LBB276_2690
; %bb.156:
	v_bfe_u32 v2, v3, 21, 1
	s_mov_b32 s24, 0x88fffff
	v_add3_u32 v2, v3, v2, s24
	s_mov_b64 s[22:23], exec
	v_lshrrev_b32_e32 v2, 21, v2
                                        ; implicit-def: $vgpr3
	s_andn2_saveexec_b64 s[24:25], s[4:5]
	s_cbranch_execnz .LBB276_2691
.LBB276_157:
	s_or_b64 exec, exec, s[24:25]
	v_mov_b32_e32 v4, 0
	s_and_saveexec_b64 s[4:5], s[22:23]
.LBB276_158:
	v_mov_b32_e32 v4, v2
.LBB276_159:
	s_or_b64 exec, exec, s[4:5]
.LBB276_160:
	s_or_b64 exec, exec, s[20:21]
	flat_store_byte v[0:1], v4
                                        ; implicit-def: $vgpr0_vgpr1
.LBB276_161:
	s_andn2_saveexec_b64 s[18:19], s[18:19]
	s_cbranch_execz .LBB276_171
; %bb.162:
	v_cndmask_b32_e64 v2, 0, 1.0, vcc
	s_mov_b32 s4, 0x43f00000
	v_cmp_gt_u32_e64 s[4:5], s4, v2
                                        ; implicit-def: $vgpr3
	s_and_saveexec_b64 s[20:21], s[4:5]
	s_xor_b64 s[20:21], exec, s[20:21]
	s_cbranch_execz .LBB276_168
; %bb.163:
	s_mov_b32 s4, 0x3c7fffff
	v_cmp_lt_u32_e64 s[4:5], s4, v2
                                        ; implicit-def: $vgpr3
	s_and_saveexec_b64 s[22:23], s[4:5]
	s_xor_b64 s[22:23], exec, s[22:23]
; %bb.164:
	v_bfe_u32 v3, v2, 20, 1
	s_mov_b32 s4, 0x407ffff
	v_add3_u32 v2, v2, v3, s4
	v_lshrrev_b32_e32 v3, 20, v2
	v_and_b32_e32 v2, 0xff00000, v2
	s_mov_b32 s4, 0x7f00000
	v_mov_b32_e32 v4, 0x7e
	v_cmp_ne_u32_e64 s[4:5], s4, v2
	v_cndmask_b32_e64 v3, v4, v3, s[4:5]
                                        ; implicit-def: $vgpr2
; %bb.165:
	s_andn2_saveexec_b64 s[4:5], s[22:23]
; %bb.166:
	v_add_f32_e32 v3, 0x46800000, v2
; %bb.167:
	s_or_b64 exec, exec, s[4:5]
                                        ; implicit-def: $vgpr2
.LBB276_168:
	s_andn2_saveexec_b64 s[20:21], s[20:21]
; %bb.169:
	s_mov_b32 s4, 0x7f800000
	v_mov_b32_e32 v3, 0x7e
	v_mov_b32_e32 v4, 0x7f
	v_cmp_lt_u32_e64 s[4:5], s4, v2
	v_cndmask_b32_e64 v3, v3, v4, s[4:5]
; %bb.170:
	s_or_b64 exec, exec, s[20:21]
	flat_store_byte v[0:1], v3
.LBB276_171:
	s_or_b64 exec, exec, s[18:19]
                                        ; implicit-def: $vgpr0_vgpr1
.LBB276_172:
	s_andn2_saveexec_b64 s[16:17], s[16:17]
	s_cbranch_execz .LBB276_182
; %bb.173:
	v_cndmask_b32_e64 v2, 0, 1.0, vcc
	s_mov_b32 s4, 0x47800000
	v_cmp_gt_u32_e64 s[4:5], s4, v2
                                        ; implicit-def: $vgpr3
	s_and_saveexec_b64 s[18:19], s[4:5]
	s_xor_b64 s[18:19], exec, s[18:19]
	s_cbranch_execz .LBB276_179
; %bb.174:
	s_mov_b32 s4, 0x387fffff
	v_cmp_lt_u32_e64 s[4:5], s4, v2
                                        ; implicit-def: $vgpr3
	s_and_saveexec_b64 s[20:21], s[4:5]
	s_xor_b64 s[4:5], exec, s[20:21]
; %bb.175:
	v_bfe_u32 v3, v2, 21, 1
	s_mov_b32 s20, 0x80fffff
	v_add3_u32 v2, v2, v3, s20
	v_lshrrev_b32_e32 v3, 21, v2
                                        ; implicit-def: $vgpr2
; %bb.176:
	s_andn2_saveexec_b64 s[4:5], s[4:5]
; %bb.177:
	v_add_f32_e32 v3, 0x43000000, v2
; %bb.178:
	s_or_b64 exec, exec, s[4:5]
                                        ; implicit-def: $vgpr2
.LBB276_179:
	s_andn2_saveexec_b64 s[18:19], s[18:19]
; %bb.180:
	s_mov_b32 s4, 0x7f800000
	v_mov_b32_e32 v3, 0x7c
	v_mov_b32_e32 v4, 0x7f
	v_cmp_lt_u32_e64 s[4:5], s4, v2
	v_cndmask_b32_e64 v3, v3, v4, s[4:5]
; %bb.181:
	s_or_b64 exec, exec, s[18:19]
	flat_store_byte v[0:1], v3
.LBB276_182:
	s_or_b64 exec, exec, s[16:17]
	s_or_b64 s[16:17], s[6:7], exec
                                        ; implicit-def: $vgpr2
                                        ; implicit-def: $vgpr0_vgpr1
.LBB276_183:
	s_or_saveexec_b64 s[14:15], s[14:15]
	s_mov_b64 s[4:5], s[10:11]
	s_xor_b64 exec, exec, s[14:15]
	s_cbranch_execz .LBB276_193
; %bb.184:
	v_cmp_lt_i16_e64 s[4:5], 14, v2
	s_mov_b64 s[18:19], s[16:17]
	s_mov_b64 s[20:21], s[10:11]
	s_and_saveexec_b64 s[22:23], s[4:5]
	s_xor_b64 s[22:23], exec, s[22:23]
	s_cbranch_execz .LBB276_188
; %bb.185:
	v_cmp_eq_u16_e64 s[4:5], 15, v2
	s_mov_b64 s[20:21], -1
	s_mov_b64 s[18:19], s[16:17]
	s_and_saveexec_b64 s[24:25], s[4:5]
	s_cbranch_execz .LBB276_187
; %bb.186:
	v_cndmask_b32_e64 v2, 0, 1.0, vcc
	v_bfe_u32 v3, v2, 16, 1
	s_movk_i32 s4, 0x7fff
	v_add3_u32 v2, v2, v3, s4
	flat_store_short_d16_hi v[0:1], v2
	s_xor_b64 s[20:21], exec, -1
	s_or_b64 s[18:19], s[16:17], exec
.LBB276_187:
	s_or_b64 exec, exec, s[24:25]
	s_andn2_b64 s[4:5], s[10:11], exec
	s_and_b64 s[20:21], s[20:21], exec
	s_or_b64 s[20:21], s[4:5], s[20:21]
	s_andn2_b64 s[4:5], s[16:17], exec
	s_and_b64 s[18:19], s[18:19], exec
	s_or_b64 s[18:19], s[4:5], s[18:19]
                                        ; implicit-def: $vgpr2
                                        ; implicit-def: $vgpr0_vgpr1
.LBB276_188:
	s_andn2_saveexec_b64 s[22:23], s[22:23]
	s_cbranch_execz .LBB276_192
; %bb.189:
	v_cmp_eq_u16_e64 s[4:5], 11, v2
	s_mov_b64 s[26:27], -1
	s_mov_b64 s[24:25], s[18:19]
	s_and_saveexec_b64 s[28:29], s[4:5]
	s_cbranch_execz .LBB276_191
; %bb.190:
	v_cndmask_b32_e64 v2, 0, 1, vcc
	flat_store_byte v[0:1], v2
	s_xor_b64 s[26:27], exec, -1
	s_or_b64 s[24:25], s[18:19], exec
.LBB276_191:
	s_or_b64 exec, exec, s[28:29]
	s_andn2_b64 s[4:5], s[20:21], exec
	s_and_b64 s[20:21], s[26:27], exec
	s_or_b64 s[20:21], s[4:5], s[20:21]
	s_andn2_b64 s[4:5], s[18:19], exec
	s_and_b64 s[18:19], s[24:25], exec
	s_or_b64 s[18:19], s[4:5], s[18:19]
.LBB276_192:
	s_or_b64 exec, exec, s[22:23]
	s_andn2_b64 s[4:5], s[10:11], exec
	s_and_b64 s[20:21], s[20:21], exec
	s_andn2_b64 s[16:17], s[16:17], exec
	s_and_b64 s[18:19], s[18:19], exec
	s_or_b64 s[4:5], s[4:5], s[20:21]
	s_or_b64 s[16:17], s[16:17], s[18:19]
.LBB276_193:
	s_or_b64 exec, exec, s[14:15]
	s_andn2_b64 s[10:11], s[10:11], exec
	s_and_b64 s[4:5], s[4:5], exec
	s_or_b64 s[10:11], s[10:11], s[4:5]
	s_andn2_b64 s[4:5], s[6:7], exec
	s_and_b64 s[6:7], s[16:17], exec
	s_or_b64 s[6:7], s[4:5], s[6:7]
.LBB276_194:
	s_or_b64 exec, exec, s[12:13]
	s_andn2_b64 s[4:5], s[34:35], exec
	s_and_b64 s[10:11], s[10:11], exec
	s_or_b64 s[10:11], s[4:5], s[10:11]
	s_and_b64 s[6:7], s[6:7], exec
                                        ; implicit-def: $vgpr2
                                        ; implicit-def: $vgpr0_vgpr1
	s_andn2_saveexec_b64 s[8:9], s[8:9]
	s_cbranch_execnz .LBB276_2289
.LBB276_195:
	s_or_b64 exec, exec, s[8:9]
	s_mov_b64 s[4:5], 0
	s_and_saveexec_b64 s[8:9], s[6:7]
.LBB276_196:
	s_mov_b64 s[4:5], exec
	v_add_u32_e32 v17, 0x80, v17
.LBB276_197:
	s_or_b64 exec, exec, s[8:9]
	s_andn2_b64 s[6:7], s[34:35], exec
	s_and_b64 s[8:9], s[10:11], exec
	s_or_b64 s[44:45], s[6:7], s[8:9]
	s_orn2_b64 s[4:5], s[4:5], exec
.LBB276_198:
	s_or_b64 exec, exec, s[46:47]
	s_mov_b64 s[8:9], 0
	s_mov_b64 s[10:11], 0
	;; [unrolled: 1-line block ×3, first 2 shown]
                                        ; implicit-def: $sgpr6_sgpr7
                                        ; implicit-def: $vgpr4
                                        ; implicit-def: $vgpr0_vgpr1
	s_and_saveexec_b64 s[46:47], s[4:5]
	s_cbranch_execz .LBB276_394
; %bb.199:
	v_cmp_gt_i32_e32 vcc, s33, v17
	s_mov_b64 s[8:9], -1
	s_mov_b64 s[50:51], s[44:45]
	s_and_saveexec_b64 s[48:49], vcc
	s_cbranch_execz .LBB276_297
; %bb.200:
	buffer_load_dword v0, off, s[0:3], 0 offset:24
                                        ; implicit-def: $vgpr15
                                        ; implicit-def: $vgpr3
                                        ; implicit-def: $vgpr1
	s_waitcnt vmcnt(0)
	v_add_u32_e32 v2, -1, v0
	v_cmp_lt_u32_e32 vcc, 1, v2
	s_and_saveexec_b64 s[4:5], vcc
	s_xor_b64 s[4:5], exec, s[4:5]
	s_cbranch_execz .LBB276_208
; %bb.201:
	v_mov_b32_e32 v15, 0
	v_cmp_ne_u32_e32 vcc, 0, v0
	v_mov_b32_e32 v3, 0
	v_mov_b32_e32 v1, 0
	s_and_saveexec_b64 s[6:7], vcc
	s_cbranch_execz .LBB276_207
; %bb.202:
	v_min_u32_e32 v2, 15, v2
	v_add_u32_e32 v0, 1, v2
	v_and_b32_e32 v4, 30, v0
	s_sub_i32 s10, 24, 24
	v_mov_b32_e32 v1, 0
	s_mov_b64 s[8:9], 0
	v_mov_b32_e32 v3, 0
	v_mov_b32_e32 v15, 0
	v_mov_b32_e32 v0, v17
.LBB276_203:                            ; =>This Inner Loop Header: Depth=1
	v_mov_b32_e32 v5, s10
	buffer_load_dword v6, v5, s[0:3], 0 offen offset:32
	buffer_load_dword v7, v5, s[0:3], 0 offen offset:28
	;; [unrolled: 1-line block ×12, first 2 shown]
	v_add_u32_e32 v4, -2, v4
	s_add_i32 s10, s10, 24
	v_cmp_eq_u32_e32 vcc, 0, v4
	v_mov_b32_e32 v5, s10
	s_or_b64 s[8:9], vcc, s[8:9]
	s_waitcnt vmcnt(0)
	v_mul_hi_u32 v6, v6, v0
	v_add_u32_e32 v6, v0, v6
	v_lshrrev_b32_e32 v6, v8, v6
	v_mul_lo_u32 v7, v6, v7
	v_mul_hi_u32 v8, v9, v6
	v_sub_u32_e32 v7, v0, v7
	v_add_u32_e32 v0, v6, v8
	v_lshrrev_b32_e32 v0, v11, v0
	v_mul_lo_u32 v10, v0, v10
	v_mul_lo_u32 v8, v7, v12
	;; [unrolled: 1-line block ×4, first 2 shown]
	v_sub_u32_e32 v6, v6, v10
	v_mul_lo_u32 v10, v6, v16
	v_mul_lo_u32 v11, v6, v18
	;; [unrolled: 1-line block ×3, first 2 shown]
	v_add3_u32 v15, v8, v15, v10
	v_add3_u32 v3, v9, v3, v11
	;; [unrolled: 1-line block ×3, first 2 shown]
	s_andn2_b64 exec, exec, s[8:9]
	s_cbranch_execnz .LBB276_203
; %bb.204:
	s_or_b64 exec, exec, s[8:9]
	v_and_b32_e32 v2, 1, v2
	v_cmp_eq_u32_e32 vcc, 0, v2
	s_and_saveexec_b64 s[8:9], vcc
	s_cbranch_execz .LBB276_206
; %bb.205:
	buffer_load_dword v2, v5, s[0:3], 0 offen offset:32
	buffer_load_dword v4, v5, s[0:3], 0 offen offset:36
	;; [unrolled: 1-line block ×6, first 2 shown]
	s_waitcnt vmcnt(0)
	v_mul_hi_u32 v2, v2, v0
	v_add_u32_e32 v2, v0, v2
	v_lshrrev_b32_e32 v2, v4, v2
	v_mul_lo_u32 v2, v2, v6
	v_sub_u32_e32 v0, v0, v2
	v_mad_u64_u32 v[15:16], s[10:11], v0, v7, v[15:16]
	v_mad_u64_u32 v[3:4], s[10:11], v0, v8, v[3:4]
	;; [unrolled: 1-line block ×3, first 2 shown]
.LBB276_206:
	s_or_b64 exec, exec, s[8:9]
.LBB276_207:
	s_or_b64 exec, exec, s[6:7]
                                        ; implicit-def: $vgpr0
.LBB276_208:
	s_andn2_saveexec_b64 s[4:5], s[4:5]
	s_cbranch_execz .LBB276_212
; %bb.209:
	buffer_load_dword v1, off, s[0:3], 0 offset:32
	buffer_load_dword v2, off, s[0:3], 0 offset:36
	;; [unrolled: 1-line block ×6, first 2 shown]
	v_cmp_lt_u32_e32 vcc, 1, v0
	s_waitcnt vmcnt(0)
	v_mul_hi_u32 v1, v1, v17
	v_add_u32_e32 v1, v17, v1
	v_lshrrev_b32_e32 v2, v2, v1
	v_mul_lo_u32 v1, v2, v3
	v_sub_u32_e32 v1, v17, v1
	v_mul_lo_u32 v15, v1, v4
	v_mul_lo_u32 v3, v1, v5
	;; [unrolled: 1-line block ×3, first 2 shown]
	s_and_saveexec_b64 s[6:7], vcc
	s_cbranch_execz .LBB276_211
; %bb.210:
	buffer_load_dword v0, off, s[0:3], 0 offset:44
	buffer_load_dword v4, off, s[0:3], 0 offset:48
	buffer_load_dword v5, off, s[0:3], 0 offset:40
	buffer_load_dword v6, off, s[0:3], 0 offset:232
	buffer_load_dword v7, off, s[0:3], 0 offset:236
	buffer_load_dword v8, off, s[0:3], 0 offset:240
	s_waitcnt vmcnt(0)
	v_mul_hi_u32 v0, v0, v2
	v_add_u32_e32 v0, v2, v0
	v_lshrrev_b32_e32 v0, v4, v0
	v_mul_lo_u32 v0, v0, v5
	v_sub_u32_e32 v0, v2, v0
	v_mad_u64_u32 v[15:16], s[8:9], v0, v6, v[15:16]
	v_mad_u64_u32 v[3:4], s[8:9], v0, v7, v[3:4]
	;; [unrolled: 1-line block ×3, first 2 shown]
.LBB276_211:
	s_or_b64 exec, exec, s[6:7]
.LBB276_212:
	s_or_b64 exec, exec, s[4:5]
	buffer_load_dword v0, off, s[0:3], 0 offset:440
	s_nop 0
	buffer_store_dword v15, off, s[0:3], 0
	buffer_store_dword v3, off, s[0:3], 0 offset:4
	buffer_store_dword v1, off, s[0:3], 0 offset:8
	s_getpc_b64 s[4:5]
	s_add_u32 s4, s4, _ZN2at6native6invokeINS0_13BinaryFunctorIN3c1013Float8_e4m3fnES4_bNS0_12_GLOBAL__N_116CompareEqFunctorIS4_EEEEj15function_traitsIS8_EEENT1_11result_typeERKT_PrKPcPKT0_PKNS3_10ScalarTypeEi@rel32@lo+4
	s_addc_u32 s5, s5, _ZN2at6native6invokeINS0_13BinaryFunctorIN3c1013Float8_e4m3fnES4_bNS0_12_GLOBAL__N_116CompareEqFunctorIS4_EEEEj15function_traitsIS8_EEENT1_11result_typeERKT_PrKPcPKT0_PKNS3_10ScalarTypeEi@rel32@hi+12
	v_mov_b32_e32 v1, s41
	v_mov_b32_e32 v2, s54
	;; [unrolled: 1-line block ×6, first 2 shown]
	s_swappc_b64 s[30:31], s[4:5]
	v_and_b32_e32 v0, 1, v0
	v_cmp_eq_u32_e32 vcc, 1, v0
	buffer_load_dword v0, off, s[0:3], 0 offset:416
	buffer_load_dword v1, off, s[0:3], 0 offset:420
	buffer_load_ubyte v2, off, s[0:3], 0 offset:444
	s_mov_b64 s[6:7], 0
	s_mov_b64 s[10:11], s[44:45]
	s_waitcnt vmcnt(2)
	v_add_co_u32_e64 v0, s[4:5], v0, v15
	s_waitcnt vmcnt(1)
	v_addc_co_u32_e64 v1, s[4:5], 0, v1, s[4:5]
	s_waitcnt vmcnt(0)
	v_cmp_lt_i16_e64 s[4:5], 10, v2
	s_and_saveexec_b64 s[8:9], s[4:5]
	s_xor_b64 s[8:9], exec, s[8:9]
	s_cbranch_execz .LBB276_2381
; %bb.213:
	v_cmp_lt_i16_e64 s[4:5], 25, v2
	s_mov_b64 s[10:11], s[44:45]
	s_and_saveexec_b64 s[12:13], s[4:5]
	s_xor_b64 s[12:13], exec, s[12:13]
	s_cbranch_execz .LBB276_249
; %bb.214:
	v_cmp_lt_i16_e64 s[4:5], 28, v2
	s_mov_b64 s[14:15], s[44:45]
	;; [unrolled: 6-line block ×4, first 2 shown]
	s_mov_b64 s[18:19], s[44:45]
	s_and_saveexec_b64 s[6:7], s[4:5]
	s_xor_b64 s[6:7], exec, s[6:7]
	s_cbranch_execz .LBB276_220
; %bb.217:
	v_cmp_eq_u16_e64 s[4:5], 46, v2
	s_mov_b64 s[20:21], -1
	s_and_saveexec_b64 s[18:19], s[4:5]
	s_cbranch_execz .LBB276_219
; %bb.218:
	v_cndmask_b32_e64 v2, 0, 1.0, vcc
	v_bfe_u32 v3, v2, 16, 1
	s_movk_i32 s4, 0x7fff
	v_add3_u32 v2, v2, v3, s4
	v_lshrrev_b32_e32 v2, 16, v2
	s_mov_b64 s[16:17], exec
	flat_store_dword v[0:1], v2
	s_xor_b64 s[20:21], exec, -1
.LBB276_219:
	s_or_b64 exec, exec, s[18:19]
	s_andn2_b64 s[4:5], s[44:45], exec
	s_and_b64 s[18:19], s[20:21], exec
	s_or_b64 s[18:19], s[4:5], s[18:19]
	s_and_b64 s[16:17], s[16:17], exec
                                        ; implicit-def: $vgpr2
                                        ; implicit-def: $vgpr0_vgpr1
.LBB276_220:
	s_andn2_saveexec_b64 s[20:21], s[6:7]
	s_cbranch_execz .LBB276_226
; %bb.221:
	v_cmp_eq_u16_e64 s[4:5], 44, v2
	s_mov_b64 s[24:25], -1
	s_mov_b64 s[6:7], s[16:17]
	s_and_saveexec_b64 s[22:23], s[4:5]
	s_cbranch_execz .LBB276_225
; %bb.222:
	v_cndmask_b32_e64 v3, 0, 1.0, vcc
	v_lshrrev_b32_e32 v2, 23, v3
	s_movk_i32 s4, 0xff
	v_cmp_ne_u32_e64 s[4:5], s4, v2
	v_mov_b32_e32 v4, 0xff
	s_and_saveexec_b64 s[24:25], s[4:5]
; %bb.223:
	s_mov_b32 s6, 0x3fffff
	v_and_b32_e32 v4, 0x400000, v3
	v_and_or_b32 v3, v3, s6, v2
	v_cmp_ne_u32_e64 s[4:5], 0, v4
	v_cmp_ne_u32_e64 s[6:7], 0, v3
	s_and_b64 s[4:5], s[4:5], s[6:7]
	v_cndmask_b32_e64 v3, 0, 1, s[4:5]
	v_add_u32_e32 v4, v2, v3
; %bb.224:
	s_or_b64 exec, exec, s[24:25]
	s_xor_b64 s[24:25], exec, -1
	s_or_b64 s[6:7], s[16:17], exec
	flat_store_byte v[0:1], v4
.LBB276_225:
	s_or_b64 exec, exec, s[22:23]
	s_andn2_b64 s[4:5], s[18:19], exec
	s_and_b64 s[18:19], s[24:25], exec
	s_or_b64 s[18:19], s[4:5], s[18:19]
	s_andn2_b64 s[4:5], s[16:17], exec
	s_and_b64 s[6:7], s[6:7], exec
	s_or_b64 s[16:17], s[4:5], s[6:7]
.LBB276_226:
	s_or_b64 exec, exec, s[20:21]
	s_andn2_b64 s[4:5], s[44:45], exec
	s_and_b64 s[6:7], s[18:19], exec
	s_or_b64 s[18:19], s[4:5], s[6:7]
	s_and_b64 s[6:7], s[16:17], exec
                                        ; implicit-def: $vgpr2
                                        ; implicit-def: $vgpr0_vgpr1
.LBB276_227:
	s_andn2_saveexec_b64 s[14:15], s[14:15]
	s_cbranch_execz .LBB276_231
; %bb.228:
	v_cmp_eq_u16_e64 s[4:5], 29, v2
	s_mov_b64 s[20:21], -1
	s_mov_b64 s[16:17], s[6:7]
	s_and_saveexec_b64 s[22:23], s[4:5]
	s_cbranch_execz .LBB276_230
; %bb.229:
	s_mov_b32 s4, 0
	v_cndmask_b32_e64 v2, 0, 1, vcc
	v_mov_b32_e32 v3, s4
	flat_store_dwordx2 v[0:1], v[2:3]
	s_xor_b64 s[20:21], exec, -1
	s_or_b64 s[16:17], s[6:7], exec
.LBB276_230:
	s_or_b64 exec, exec, s[22:23]
	s_andn2_b64 s[4:5], s[18:19], exec
	s_and_b64 s[18:19], s[20:21], exec
	s_or_b64 s[18:19], s[4:5], s[18:19]
	s_andn2_b64 s[4:5], s[6:7], exec
	s_and_b64 s[6:7], s[16:17], exec
	s_or_b64 s[6:7], s[4:5], s[6:7]
.LBB276_231:
	s_or_b64 exec, exec, s[14:15]
	s_andn2_b64 s[4:5], s[44:45], exec
	s_and_b64 s[14:15], s[18:19], exec
	s_or_b64 s[14:15], s[4:5], s[14:15]
	s_and_b64 s[6:7], s[6:7], exec
                                        ; implicit-def: $vgpr0_vgpr1
                                        ; implicit-def: $vgpr2
.LBB276_232:
	s_andn2_saveexec_b64 s[10:11], s[10:11]
	s_cbranch_execz .LBB276_248
; %bb.233:
	v_cmp_lt_i16_e64 s[4:5], 26, v2
	s_and_saveexec_b64 s[16:17], s[4:5]
	s_xor_b64 s[16:17], exec, s[16:17]
	s_cbranch_execz .LBB276_239
; %bb.234:
	v_cmp_lt_i16_e64 s[4:5], 27, v2
	s_and_saveexec_b64 s[18:19], s[4:5]
	s_xor_b64 s[4:5], exec, s[18:19]
	s_cbranch_execz .LBB276_236
; %bb.235:
	v_cndmask_b32_e64 v2, 0, 1, vcc
	flat_store_dword v[0:1], v2
                                        ; implicit-def: $vgpr0_vgpr1
.LBB276_236:
	s_andn2_saveexec_b64 s[4:5], s[4:5]
	s_cbranch_execz .LBB276_238
; %bb.237:
	v_cndmask_b32_e64 v2, 0, 1, vcc
	flat_store_short v[0:1], v2
.LBB276_238:
	s_or_b64 exec, exec, s[4:5]
                                        ; implicit-def: $vgpr0_vgpr1
.LBB276_239:
	s_andn2_saveexec_b64 s[16:17], s[16:17]
	s_cbranch_execz .LBB276_247
; %bb.240:
	v_cndmask_b32_e64 v3, 0, 1.0, vcc
	s_mov_b32 s4, 0x43800000
	v_cmp_gt_u32_e64 s[4:5], s4, v3
	v_mov_b32_e32 v4, 0x80
	s_and_saveexec_b64 s[18:19], s[4:5]
	s_cbranch_execz .LBB276_246
; %bb.241:
	s_mov_b32 s4, 0x3bffffff
	v_cmp_lt_u32_e64 s[4:5], s4, v3
	s_mov_b64 s[20:21], 0
                                        ; implicit-def: $vgpr2
	s_and_saveexec_b64 s[22:23], s[4:5]
	s_xor_b64 s[4:5], exec, s[22:23]
	s_cbranch_execz .LBB276_2692
; %bb.242:
	v_bfe_u32 v2, v3, 20, 1
	s_mov_b32 s22, 0x487ffff
	v_add3_u32 v2, v3, v2, s22
	s_mov_b64 s[20:21], exec
	v_lshrrev_b32_e32 v2, 20, v2
                                        ; implicit-def: $vgpr3
	s_andn2_saveexec_b64 s[22:23], s[4:5]
	s_cbranch_execnz .LBB276_2693
.LBB276_243:
	s_or_b64 exec, exec, s[22:23]
	v_mov_b32_e32 v4, 0
	s_and_saveexec_b64 s[4:5], s[20:21]
.LBB276_244:
	v_mov_b32_e32 v4, v2
.LBB276_245:
	s_or_b64 exec, exec, s[4:5]
.LBB276_246:
	s_or_b64 exec, exec, s[18:19]
	flat_store_byte v[0:1], v4
.LBB276_247:
	s_or_b64 exec, exec, s[16:17]
	s_or_b64 s[6:7], s[6:7], exec
.LBB276_248:
	s_or_b64 exec, exec, s[10:11]
	s_andn2_b64 s[4:5], s[44:45], exec
	s_and_b64 s[10:11], s[14:15], exec
	s_or_b64 s[10:11], s[4:5], s[10:11]
	s_and_b64 s[6:7], s[6:7], exec
                                        ; implicit-def: $vgpr2
                                        ; implicit-def: $vgpr0_vgpr1
.LBB276_249:
	s_andn2_saveexec_b64 s[12:13], s[12:13]
	s_cbranch_execz .LBB276_293
; %bb.250:
	v_cmp_lt_i16_e64 s[4:5], 22, v2
	s_mov_b64 s[16:17], s[6:7]
	s_and_saveexec_b64 s[14:15], s[4:5]
	s_xor_b64 s[14:15], exec, s[14:15]
	s_cbranch_execz .LBB276_282
; %bb.251:
	v_cmp_lt_i16_e64 s[4:5], 23, v2
	s_and_saveexec_b64 s[16:17], s[4:5]
	s_xor_b64 s[16:17], exec, s[16:17]
	s_cbranch_execz .LBB276_271
; %bb.252:
	v_cmp_lt_i16_e64 s[4:5], 24, v2
	s_and_saveexec_b64 s[18:19], s[4:5]
	s_xor_b64 s[18:19], exec, s[18:19]
	s_cbranch_execz .LBB276_260
; %bb.253:
	v_cndmask_b32_e64 v3, 0, 1.0, vcc
	s_mov_b32 s4, 0x47800000
	v_cmp_gt_u32_e64 s[4:5], s4, v3
	v_mov_b32_e32 v4, 0x80
	s_and_saveexec_b64 s[20:21], s[4:5]
	s_cbranch_execz .LBB276_259
; %bb.254:
	s_mov_b32 s4, 0x37ffffff
	v_cmp_lt_u32_e64 s[4:5], s4, v3
	s_mov_b64 s[22:23], 0
                                        ; implicit-def: $vgpr2
	s_and_saveexec_b64 s[24:25], s[4:5]
	s_xor_b64 s[4:5], exec, s[24:25]
	s_cbranch_execz .LBB276_2741
; %bb.255:
	v_bfe_u32 v2, v3, 21, 1
	s_mov_b32 s24, 0x88fffff
	v_add3_u32 v2, v3, v2, s24
	s_mov_b64 s[22:23], exec
	v_lshrrev_b32_e32 v2, 21, v2
                                        ; implicit-def: $vgpr3
	s_andn2_saveexec_b64 s[24:25], s[4:5]
	s_cbranch_execnz .LBB276_2742
.LBB276_256:
	s_or_b64 exec, exec, s[24:25]
	v_mov_b32_e32 v4, 0
	s_and_saveexec_b64 s[4:5], s[22:23]
.LBB276_257:
	v_mov_b32_e32 v4, v2
.LBB276_258:
	s_or_b64 exec, exec, s[4:5]
.LBB276_259:
	s_or_b64 exec, exec, s[20:21]
	flat_store_byte v[0:1], v4
                                        ; implicit-def: $vgpr0_vgpr1
.LBB276_260:
	s_andn2_saveexec_b64 s[18:19], s[18:19]
	s_cbranch_execz .LBB276_270
; %bb.261:
	v_cndmask_b32_e64 v2, 0, 1.0, vcc
	s_mov_b32 s4, 0x43f00000
	v_cmp_gt_u32_e64 s[4:5], s4, v2
                                        ; implicit-def: $vgpr3
	s_and_saveexec_b64 s[20:21], s[4:5]
	s_xor_b64 s[20:21], exec, s[20:21]
	s_cbranch_execz .LBB276_267
; %bb.262:
	s_mov_b32 s4, 0x3c7fffff
	v_cmp_lt_u32_e64 s[4:5], s4, v2
                                        ; implicit-def: $vgpr3
	s_and_saveexec_b64 s[22:23], s[4:5]
	s_xor_b64 s[22:23], exec, s[22:23]
; %bb.263:
	v_bfe_u32 v3, v2, 20, 1
	s_mov_b32 s4, 0x407ffff
	v_add3_u32 v2, v2, v3, s4
	v_lshrrev_b32_e32 v3, 20, v2
	v_and_b32_e32 v2, 0xff00000, v2
	s_mov_b32 s4, 0x7f00000
	v_mov_b32_e32 v4, 0x7e
	v_cmp_ne_u32_e64 s[4:5], s4, v2
	v_cndmask_b32_e64 v3, v4, v3, s[4:5]
                                        ; implicit-def: $vgpr2
; %bb.264:
	s_andn2_saveexec_b64 s[4:5], s[22:23]
; %bb.265:
	v_add_f32_e32 v3, 0x46800000, v2
; %bb.266:
	s_or_b64 exec, exec, s[4:5]
                                        ; implicit-def: $vgpr2
.LBB276_267:
	s_andn2_saveexec_b64 s[20:21], s[20:21]
; %bb.268:
	s_mov_b32 s4, 0x7f800000
	v_mov_b32_e32 v3, 0x7e
	v_mov_b32_e32 v4, 0x7f
	v_cmp_lt_u32_e64 s[4:5], s4, v2
	v_cndmask_b32_e64 v3, v3, v4, s[4:5]
; %bb.269:
	s_or_b64 exec, exec, s[20:21]
	flat_store_byte v[0:1], v3
.LBB276_270:
	s_or_b64 exec, exec, s[18:19]
                                        ; implicit-def: $vgpr0_vgpr1
.LBB276_271:
	s_andn2_saveexec_b64 s[16:17], s[16:17]
	s_cbranch_execz .LBB276_281
; %bb.272:
	v_cndmask_b32_e64 v2, 0, 1.0, vcc
	s_mov_b32 s4, 0x47800000
	v_cmp_gt_u32_e64 s[4:5], s4, v2
                                        ; implicit-def: $vgpr3
	s_and_saveexec_b64 s[18:19], s[4:5]
	s_xor_b64 s[18:19], exec, s[18:19]
	s_cbranch_execz .LBB276_278
; %bb.273:
	s_mov_b32 s4, 0x387fffff
	v_cmp_lt_u32_e64 s[4:5], s4, v2
                                        ; implicit-def: $vgpr3
	s_and_saveexec_b64 s[20:21], s[4:5]
	s_xor_b64 s[4:5], exec, s[20:21]
; %bb.274:
	v_bfe_u32 v3, v2, 21, 1
	s_mov_b32 s20, 0x80fffff
	v_add3_u32 v2, v2, v3, s20
	v_lshrrev_b32_e32 v3, 21, v2
                                        ; implicit-def: $vgpr2
; %bb.275:
	s_andn2_saveexec_b64 s[4:5], s[4:5]
; %bb.276:
	v_add_f32_e32 v3, 0x43000000, v2
; %bb.277:
	s_or_b64 exec, exec, s[4:5]
                                        ; implicit-def: $vgpr2
.LBB276_278:
	s_andn2_saveexec_b64 s[18:19], s[18:19]
; %bb.279:
	s_mov_b32 s4, 0x7f800000
	v_mov_b32_e32 v3, 0x7c
	v_mov_b32_e32 v4, 0x7f
	v_cmp_lt_u32_e64 s[4:5], s4, v2
	v_cndmask_b32_e64 v3, v3, v4, s[4:5]
; %bb.280:
	s_or_b64 exec, exec, s[18:19]
	flat_store_byte v[0:1], v3
.LBB276_281:
	s_or_b64 exec, exec, s[16:17]
	s_or_b64 s[16:17], s[6:7], exec
                                        ; implicit-def: $vgpr2
                                        ; implicit-def: $vgpr0_vgpr1
.LBB276_282:
	s_or_saveexec_b64 s[14:15], s[14:15]
	s_mov_b64 s[4:5], s[10:11]
	s_xor_b64 exec, exec, s[14:15]
	s_cbranch_execz .LBB276_292
; %bb.283:
	v_cmp_lt_i16_e64 s[4:5], 14, v2
	s_mov_b64 s[18:19], s[16:17]
	s_mov_b64 s[20:21], s[10:11]
	s_and_saveexec_b64 s[22:23], s[4:5]
	s_xor_b64 s[22:23], exec, s[22:23]
	s_cbranch_execz .LBB276_287
; %bb.284:
	v_cmp_eq_u16_e64 s[4:5], 15, v2
	s_mov_b64 s[20:21], -1
	s_mov_b64 s[18:19], s[16:17]
	s_and_saveexec_b64 s[24:25], s[4:5]
	s_cbranch_execz .LBB276_286
; %bb.285:
	v_cndmask_b32_e64 v2, 0, 1.0, vcc
	v_bfe_u32 v3, v2, 16, 1
	s_movk_i32 s4, 0x7fff
	v_add3_u32 v2, v2, v3, s4
	flat_store_short_d16_hi v[0:1], v2
	s_xor_b64 s[20:21], exec, -1
	s_or_b64 s[18:19], s[16:17], exec
.LBB276_286:
	s_or_b64 exec, exec, s[24:25]
	s_andn2_b64 s[4:5], s[10:11], exec
	s_and_b64 s[20:21], s[20:21], exec
	s_or_b64 s[20:21], s[4:5], s[20:21]
	s_andn2_b64 s[4:5], s[16:17], exec
	s_and_b64 s[18:19], s[18:19], exec
	s_or_b64 s[18:19], s[4:5], s[18:19]
                                        ; implicit-def: $vgpr2
                                        ; implicit-def: $vgpr0_vgpr1
.LBB276_287:
	s_andn2_saveexec_b64 s[22:23], s[22:23]
	s_cbranch_execz .LBB276_291
; %bb.288:
	v_cmp_eq_u16_e64 s[4:5], 11, v2
	s_mov_b64 s[26:27], -1
	s_mov_b64 s[24:25], s[18:19]
	s_and_saveexec_b64 s[28:29], s[4:5]
	s_cbranch_execz .LBB276_290
; %bb.289:
	v_cndmask_b32_e64 v2, 0, 1, vcc
	flat_store_byte v[0:1], v2
	s_xor_b64 s[26:27], exec, -1
	s_or_b64 s[24:25], s[18:19], exec
.LBB276_290:
	s_or_b64 exec, exec, s[28:29]
	s_andn2_b64 s[4:5], s[20:21], exec
	s_and_b64 s[20:21], s[26:27], exec
	s_or_b64 s[20:21], s[4:5], s[20:21]
	s_andn2_b64 s[4:5], s[18:19], exec
	s_and_b64 s[18:19], s[24:25], exec
	s_or_b64 s[18:19], s[4:5], s[18:19]
.LBB276_291:
	s_or_b64 exec, exec, s[22:23]
	s_andn2_b64 s[4:5], s[10:11], exec
	s_and_b64 s[20:21], s[20:21], exec
	s_andn2_b64 s[16:17], s[16:17], exec
	s_and_b64 s[18:19], s[18:19], exec
	s_or_b64 s[4:5], s[4:5], s[20:21]
	s_or_b64 s[16:17], s[16:17], s[18:19]
.LBB276_292:
	s_or_b64 exec, exec, s[14:15]
	s_andn2_b64 s[10:11], s[10:11], exec
	s_and_b64 s[4:5], s[4:5], exec
	s_or_b64 s[10:11], s[10:11], s[4:5]
	s_andn2_b64 s[4:5], s[6:7], exec
	s_and_b64 s[6:7], s[16:17], exec
	s_or_b64 s[6:7], s[4:5], s[6:7]
.LBB276_293:
	s_or_b64 exec, exec, s[12:13]
	s_andn2_b64 s[4:5], s[44:45], exec
	s_and_b64 s[10:11], s[10:11], exec
	s_or_b64 s[10:11], s[4:5], s[10:11]
	s_and_b64 s[6:7], s[6:7], exec
                                        ; implicit-def: $vgpr2
                                        ; implicit-def: $vgpr0_vgpr1
	s_andn2_saveexec_b64 s[8:9], s[8:9]
	s_cbranch_execnz .LBB276_2382
.LBB276_294:
	s_or_b64 exec, exec, s[8:9]
	s_mov_b64 s[4:5], 0
	s_and_saveexec_b64 s[8:9], s[6:7]
.LBB276_295:
	s_mov_b64 s[4:5], exec
	v_add_u32_e32 v17, 0x80, v17
.LBB276_296:
	s_or_b64 exec, exec, s[8:9]
	s_andn2_b64 s[6:7], s[44:45], exec
	s_and_b64 s[8:9], s[10:11], exec
	s_or_b64 s[50:51], s[6:7], s[8:9]
	s_orn2_b64 s[8:9], s[4:5], exec
.LBB276_297:
	s_or_b64 exec, exec, s[48:49]
	s_mov_b64 s[4:5], 0
	s_mov_b64 s[10:11], 0
	;; [unrolled: 1-line block ×3, first 2 shown]
                                        ; implicit-def: $sgpr6_sgpr7
                                        ; implicit-def: $vgpr4
                                        ; implicit-def: $vgpr0_vgpr1
	s_and_saveexec_b64 s[48:49], s[8:9]
	s_cbranch_execz .LBB276_393
; %bb.298:
	v_cmp_gt_i32_e32 vcc, s33, v17
	s_mov_b64 s[8:9], s[50:51]
                                        ; implicit-def: $sgpr6_sgpr7
                                        ; implicit-def: $vgpr4
                                        ; implicit-def: $vgpr0_vgpr1
	s_and_saveexec_b64 s[52:53], vcc
	s_cbranch_execz .LBB276_392
; %bb.299:
	buffer_load_dword v0, off, s[0:3], 0 offset:24
                                        ; implicit-def: $vgpr15
                                        ; implicit-def: $vgpr3
                                        ; implicit-def: $vgpr1
	s_waitcnt vmcnt(0)
	v_add_u32_e32 v2, -1, v0
	v_cmp_lt_u32_e32 vcc, 1, v2
	s_and_saveexec_b64 s[4:5], vcc
	s_xor_b64 s[4:5], exec, s[4:5]
	s_cbranch_execz .LBB276_307
; %bb.300:
	v_mov_b32_e32 v15, 0
	v_cmp_ne_u32_e32 vcc, 0, v0
	v_mov_b32_e32 v3, 0
	v_mov_b32_e32 v1, 0
	s_and_saveexec_b64 s[6:7], vcc
	s_cbranch_execz .LBB276_306
; %bb.301:
	v_min_u32_e32 v0, 15, v2
	v_add_u32_e32 v1, 1, v0
	v_and_b32_e32 v2, 30, v1
	s_sub_i32 s10, 24, 24
	v_mov_b32_e32 v1, 0
	s_mov_b64 s[8:9], 0
	v_mov_b32_e32 v3, 0
	v_mov_b32_e32 v15, 0
.LBB276_302:                            ; =>This Inner Loop Header: Depth=1
	v_mov_b32_e32 v4, s10
	buffer_load_dword v5, v4, s[0:3], 0 offen offset:32
	buffer_load_dword v6, v4, s[0:3], 0 offen offset:28
	;; [unrolled: 1-line block ×12, first 2 shown]
	v_add_u32_e32 v2, -2, v2
	s_add_i32 s10, s10, 24
	v_cmp_eq_u32_e32 vcc, 0, v2
	v_mov_b32_e32 v4, s10
	s_or_b64 s[8:9], vcc, s[8:9]
	s_waitcnt vmcnt(0)
	v_mul_hi_u32 v5, v5, v17
	v_add_u32_e32 v5, v17, v5
	v_lshrrev_b32_e32 v5, v7, v5
	v_mul_hi_u32 v7, v8, v5
	v_mul_lo_u32 v6, v5, v6
	v_add_u32_e32 v7, v5, v7
	v_sub_u32_e32 v6, v17, v6
	v_lshrrev_b32_e32 v17, v10, v7
	v_mul_lo_u32 v7, v17, v9
	v_mul_lo_u32 v8, v6, v11
	;; [unrolled: 1-line block ×4, first 2 shown]
	v_sub_u32_e32 v5, v5, v7
	v_mul_lo_u32 v7, v5, v14
	v_mul_lo_u32 v9, v5, v16
	;; [unrolled: 1-line block ×3, first 2 shown]
	v_add3_u32 v15, v8, v15, v7
	v_add3_u32 v3, v11, v3, v9
	;; [unrolled: 1-line block ×3, first 2 shown]
	s_andn2_b64 exec, exec, s[8:9]
	s_cbranch_execnz .LBB276_302
; %bb.303:
	s_or_b64 exec, exec, s[8:9]
	v_and_b32_e32 v0, 1, v0
	v_cmp_eq_u32_e32 vcc, 0, v0
	s_and_saveexec_b64 s[8:9], vcc
	s_cbranch_execz .LBB276_305
; %bb.304:
	buffer_load_dword v0, v4, s[0:3], 0 offen offset:32
	buffer_load_dword v2, v4, s[0:3], 0 offen offset:36
	;; [unrolled: 1-line block ×6, first 2 shown]
	s_waitcnt vmcnt(0)
	v_mul_hi_u32 v0, v0, v17
	v_add_u32_e32 v0, v17, v0
	v_lshrrev_b32_e32 v0, v2, v0
	v_mul_lo_u32 v0, v0, v5
	v_sub_u32_e32 v0, v17, v0
	v_mad_u64_u32 v[15:16], s[10:11], v0, v6, v[15:16]
	v_mad_u64_u32 v[3:4], s[10:11], v0, v7, v[3:4]
	;; [unrolled: 1-line block ×3, first 2 shown]
.LBB276_305:
	s_or_b64 exec, exec, s[8:9]
.LBB276_306:
	s_or_b64 exec, exec, s[6:7]
                                        ; implicit-def: $vgpr17
                                        ; implicit-def: $vgpr0
.LBB276_307:
	s_andn2_saveexec_b64 s[4:5], s[4:5]
	s_cbranch_execz .LBB276_311
; %bb.308:
	buffer_load_dword v1, off, s[0:3], 0 offset:32
	buffer_load_dword v2, off, s[0:3], 0 offset:36
	;; [unrolled: 1-line block ×6, first 2 shown]
	v_cmp_lt_u32_e32 vcc, 1, v0
	s_waitcnt vmcnt(0)
	v_mul_hi_u32 v1, v1, v17
	v_add_u32_e32 v1, v17, v1
	v_lshrrev_b32_e32 v2, v2, v1
	v_mul_lo_u32 v1, v2, v3
	v_sub_u32_e32 v1, v17, v1
	v_mul_lo_u32 v15, v1, v4
	v_mul_lo_u32 v3, v1, v5
	;; [unrolled: 1-line block ×3, first 2 shown]
	s_and_saveexec_b64 s[6:7], vcc
	s_cbranch_execz .LBB276_310
; %bb.309:
	buffer_load_dword v0, off, s[0:3], 0 offset:44
	buffer_load_dword v4, off, s[0:3], 0 offset:48
	buffer_load_dword v5, off, s[0:3], 0 offset:40
	buffer_load_dword v6, off, s[0:3], 0 offset:232
	buffer_load_dword v7, off, s[0:3], 0 offset:236
	buffer_load_dword v8, off, s[0:3], 0 offset:240
	s_waitcnt vmcnt(0)
	v_mul_hi_u32 v0, v0, v2
	v_add_u32_e32 v0, v2, v0
	v_lshrrev_b32_e32 v0, v4, v0
	v_mul_lo_u32 v0, v0, v5
	v_sub_u32_e32 v0, v2, v0
	v_mad_u64_u32 v[15:16], s[8:9], v0, v6, v[15:16]
	v_mad_u64_u32 v[3:4], s[8:9], v0, v7, v[3:4]
	;; [unrolled: 1-line block ×3, first 2 shown]
.LBB276_310:
	s_or_b64 exec, exec, s[6:7]
.LBB276_311:
	s_or_b64 exec, exec, s[4:5]
	buffer_load_dword v0, off, s[0:3], 0 offset:440
	s_nop 0
	buffer_store_dword v15, off, s[0:3], 0
	buffer_store_dword v3, off, s[0:3], 0 offset:4
	buffer_store_dword v1, off, s[0:3], 0 offset:8
	s_getpc_b64 s[4:5]
	s_add_u32 s4, s4, _ZN2at6native6invokeINS0_13BinaryFunctorIN3c1013Float8_e4m3fnES4_bNS0_12_GLOBAL__N_116CompareEqFunctorIS4_EEEEj15function_traitsIS8_EEENT1_11result_typeERKT_PrKPcPKT0_PKNS3_10ScalarTypeEi@rel32@lo+4
	s_addc_u32 s5, s5, _ZN2at6native6invokeINS0_13BinaryFunctorIN3c1013Float8_e4m3fnES4_bNS0_12_GLOBAL__N_116CompareEqFunctorIS4_EEEEj15function_traitsIS8_EEENT1_11result_typeERKT_PrKPcPKT0_PKNS3_10ScalarTypeEi@rel32@hi+12
	v_mov_b32_e32 v1, s41
	v_mov_b32_e32 v2, s54
	;; [unrolled: 1-line block ×6, first 2 shown]
	s_swappc_b64 s[30:31], s[4:5]
	v_and_b32_e32 v0, 1, v0
	v_cmp_eq_u32_e64 s[6:7], 1, v0
	buffer_load_dword v0, off, s[0:3], 0 offset:416
	buffer_load_dword v1, off, s[0:3], 0 offset:420
	buffer_load_ubyte v4, off, s[0:3], 0 offset:444
	s_mov_b64 s[10:11], -1
	s_mov_b64 s[14:15], 0
	s_mov_b64 s[16:17], s[50:51]
	;; [unrolled: 1-line block ×3, first 2 shown]
	s_waitcnt vmcnt(2)
	v_add_co_u32_e32 v0, vcc, v0, v15
	s_waitcnt vmcnt(1)
	v_addc_co_u32_e32 v1, vcc, 0, v1, vcc
	s_waitcnt vmcnt(0)
	v_cmp_lt_i16_e32 vcc, 10, v4
	s_and_saveexec_b64 s[8:9], vcc
	s_cbranch_execz .LBB276_391
; %bb.312:
	v_cmp_lt_i16_e32 vcc, 25, v4
	s_mov_b64 s[4:5], s[50:51]
	s_mov_b64 s[10:11], 0
	s_and_saveexec_b64 s[12:13], vcc
	s_xor_b64 s[12:13], exec, s[12:13]
	s_cbranch_execz .LBB276_348
; %bb.313:
	v_cmp_lt_i16_e32 vcc, 28, v4
	s_mov_b64 s[4:5], 0
	s_mov_b64 s[16:17], s[50:51]
	s_and_saveexec_b64 s[10:11], vcc
	s_xor_b64 s[10:11], exec, s[10:11]
	s_cbranch_execz .LBB276_331
; %bb.314:
	v_cmp_lt_i16_e32 vcc, 43, v4
	s_mov_b64 s[18:19], s[50:51]
	s_and_saveexec_b64 s[16:17], vcc
	s_xor_b64 s[16:17], exec, s[16:17]
	s_cbranch_execz .LBB276_326
; %bb.315:
	v_cmp_lt_i16_e32 vcc, 45, v4
	s_mov_b64 s[18:19], 0
	s_mov_b64 s[20:21], s[50:51]
	s_and_saveexec_b64 s[4:5], vcc
	s_xor_b64 s[4:5], exec, s[4:5]
	s_cbranch_execz .LBB276_319
; %bb.316:
	v_cmp_eq_u16_e32 vcc, 46, v4
	s_mov_b64 s[20:21], -1
	s_and_saveexec_b64 s[22:23], vcc
	s_cbranch_execz .LBB276_318
; %bb.317:
	v_cndmask_b32_e64 v2, 0, 1.0, s[6:7]
	v_bfe_u32 v3, v2, 16, 1
	s_movk_i32 s20, 0x7fff
	v_add3_u32 v2, v2, v3, s20
	v_lshrrev_b32_e32 v2, 16, v2
	s_mov_b64 s[18:19], exec
	flat_store_dword v[0:1], v2
	s_xor_b64 s[20:21], exec, -1
.LBB276_318:
	s_or_b64 exec, exec, s[22:23]
	s_andn2_b64 s[22:23], s[50:51], exec
	s_and_b64 s[20:21], s[20:21], exec
	s_and_b64 s[18:19], s[18:19], exec
	s_or_b64 s[20:21], s[22:23], s[20:21]
.LBB276_319:
	s_andn2_saveexec_b64 s[22:23], s[4:5]
	s_cbranch_execz .LBB276_325
; %bb.320:
	v_cmp_eq_u16_e32 vcc, 44, v4
	s_mov_b64 s[4:5], -1
	s_mov_b64 s[26:27], s[18:19]
	s_and_saveexec_b64 s[24:25], vcc
	s_cbranch_execz .LBB276_324
; %bb.321:
	v_cndmask_b32_e64 v3, 0, 1.0, s[6:7]
	v_lshrrev_b32_e32 v2, 23, v3
	s_movk_i32 s4, 0xff
	v_cmp_ne_u32_e32 vcc, s4, v2
	v_mov_b32_e32 v5, 0xff
	s_and_saveexec_b64 s[26:27], vcc
; %bb.322:
	s_mov_b32 s4, 0x3fffff
	v_and_b32_e32 v5, 0x400000, v3
	v_and_or_b32 v3, v3, s4, v2
	v_cmp_ne_u32_e32 vcc, 0, v5
	v_cmp_ne_u32_e64 s[4:5], 0, v3
	s_and_b64 s[4:5], vcc, s[4:5]
	v_cndmask_b32_e64 v3, 0, 1, s[4:5]
	v_add_u32_e32 v5, v2, v3
; %bb.323:
	s_or_b64 exec, exec, s[26:27]
	s_or_b64 s[26:27], s[18:19], exec
	s_xor_b64 s[4:5], exec, -1
	flat_store_byte v[0:1], v5
.LBB276_324:
	s_or_b64 exec, exec, s[24:25]
	s_andn2_b64 s[18:19], s[18:19], exec
	s_and_b64 s[24:25], s[26:27], exec
	s_andn2_b64 s[20:21], s[20:21], exec
	s_and_b64 s[4:5], s[4:5], exec
	s_or_b64 s[18:19], s[18:19], s[24:25]
	s_or_b64 s[20:21], s[20:21], s[4:5]
.LBB276_325:
	s_or_b64 exec, exec, s[22:23]
	s_and_b64 s[4:5], s[18:19], exec
	s_andn2_b64 s[18:19], s[50:51], exec
	s_and_b64 s[20:21], s[20:21], exec
	s_or_b64 s[18:19], s[18:19], s[20:21]
.LBB276_326:
	s_andn2_saveexec_b64 s[16:17], s[16:17]
	s_cbranch_execz .LBB276_330
; %bb.327:
	v_cmp_eq_u16_e32 vcc, 29, v4
	s_mov_b64 s[20:21], -1
	s_mov_b64 s[24:25], s[4:5]
	s_and_saveexec_b64 s[22:23], vcc
	s_cbranch_execz .LBB276_329
; %bb.328:
	s_mov_b32 s20, 0
	v_cndmask_b32_e64 v2, 0, 1, s[6:7]
	v_mov_b32_e32 v3, s20
	flat_store_dwordx2 v[0:1], v[2:3]
	s_or_b64 s[24:25], s[4:5], exec
	s_xor_b64 s[20:21], exec, -1
.LBB276_329:
	s_or_b64 exec, exec, s[22:23]
	s_andn2_b64 s[4:5], s[4:5], exec
	s_and_b64 s[22:23], s[24:25], exec
	s_andn2_b64 s[18:19], s[18:19], exec
	s_and_b64 s[20:21], s[20:21], exec
	s_or_b64 s[4:5], s[4:5], s[22:23]
	s_or_b64 s[18:19], s[18:19], s[20:21]
.LBB276_330:
	s_or_b64 exec, exec, s[16:17]
	s_andn2_b64 s[16:17], s[50:51], exec
	s_and_b64 s[18:19], s[18:19], exec
	s_and_b64 s[4:5], s[4:5], exec
	s_or_b64 s[16:17], s[16:17], s[18:19]
.LBB276_331:
	s_andn2_saveexec_b64 s[10:11], s[10:11]
	s_cbranch_execz .LBB276_347
; %bb.332:
	v_cmp_lt_i16_e32 vcc, 26, v4
	s_and_saveexec_b64 s[18:19], vcc
	s_xor_b64 s[18:19], exec, s[18:19]
	s_cbranch_execz .LBB276_338
; %bb.333:
	v_cmp_lt_i16_e32 vcc, 27, v4
	v_cndmask_b32_e64 v2, 0, 1, s[6:7]
	s_and_saveexec_b64 s[20:21], vcc
	s_xor_b64 s[20:21], exec, s[20:21]
	s_cbranch_execz .LBB276_335
; %bb.334:
	flat_store_dword v[0:1], v2
                                        ; implicit-def: $vgpr2
.LBB276_335:
	s_andn2_saveexec_b64 s[20:21], s[20:21]
	s_cbranch_execz .LBB276_337
; %bb.336:
	flat_store_short v[0:1], v2
.LBB276_337:
	s_or_b64 exec, exec, s[20:21]
.LBB276_338:
	s_andn2_saveexec_b64 s[18:19], s[18:19]
	s_cbranch_execz .LBB276_346
; %bb.339:
	v_cndmask_b32_e64 v3, 0, 1.0, s[6:7]
	s_mov_b32 s20, 0x43800000
	v_cmp_gt_u32_e32 vcc, s20, v3
	v_mov_b32_e32 v5, 0x80
	s_and_saveexec_b64 s[20:21], vcc
	s_cbranch_execz .LBB276_345
; %bb.340:
	s_mov_b32 s22, 0x3bffffff
	v_cmp_lt_u32_e32 vcc, s22, v3
	s_mov_b64 s[22:23], 0
                                        ; implicit-def: $vgpr2
	s_and_saveexec_b64 s[24:25], vcc
	s_xor_b64 s[24:25], exec, s[24:25]
	s_cbranch_execz .LBB276_2743
; %bb.341:
	v_bfe_u32 v2, v3, 20, 1
	s_mov_b32 s26, 0x487ffff
	v_add3_u32 v2, v3, v2, s26
	s_mov_b64 s[22:23], exec
	v_lshrrev_b32_e32 v2, 20, v2
                                        ; implicit-def: $vgpr3
	s_andn2_saveexec_b64 s[24:25], s[24:25]
	s_cbranch_execnz .LBB276_2744
.LBB276_342:
	s_or_b64 exec, exec, s[24:25]
	v_mov_b32_e32 v5, 0
	s_and_saveexec_b64 s[24:25], s[22:23]
.LBB276_343:
	v_mov_b32_e32 v5, v2
.LBB276_344:
	s_or_b64 exec, exec, s[24:25]
.LBB276_345:
	s_or_b64 exec, exec, s[20:21]
	flat_store_byte v[0:1], v5
.LBB276_346:
	s_or_b64 exec, exec, s[18:19]
	s_or_b64 s[4:5], s[4:5], exec
.LBB276_347:
	s_or_b64 exec, exec, s[10:11]
	s_and_b64 s[10:11], s[4:5], exec
	s_andn2_b64 s[4:5], s[50:51], exec
	s_and_b64 s[16:17], s[16:17], exec
	s_or_b64 s[4:5], s[4:5], s[16:17]
.LBB276_348:
	s_andn2_saveexec_b64 s[12:13], s[12:13]
	s_cbranch_execz .LBB276_390
; %bb.349:
	v_cmp_lt_i16_e32 vcc, 22, v4
	s_mov_b64 s[16:17], s[10:11]
	s_and_saveexec_b64 s[14:15], vcc
	s_xor_b64 s[14:15], exec, s[14:15]
	s_cbranch_execz .LBB276_381
; %bb.350:
	v_cmp_lt_i16_e32 vcc, 23, v4
	s_and_saveexec_b64 s[16:17], vcc
	s_xor_b64 s[16:17], exec, s[16:17]
	s_cbranch_execz .LBB276_370
; %bb.351:
	v_cmp_lt_i16_e32 vcc, 24, v4
	s_and_saveexec_b64 s[18:19], vcc
	s_xor_b64 s[18:19], exec, s[18:19]
	s_cbranch_execz .LBB276_359
; %bb.352:
	v_cndmask_b32_e64 v3, 0, 1.0, s[6:7]
	s_mov_b32 s20, 0x47800000
	v_cmp_gt_u32_e32 vcc, s20, v3
	v_mov_b32_e32 v5, 0x80
	s_and_saveexec_b64 s[20:21], vcc
	s_cbranch_execz .LBB276_358
; %bb.353:
	s_mov_b32 s22, 0x37ffffff
	v_cmp_lt_u32_e32 vcc, s22, v3
	s_mov_b64 s[22:23], 0
                                        ; implicit-def: $vgpr2
	s_and_saveexec_b64 s[24:25], vcc
	s_xor_b64 s[24:25], exec, s[24:25]
	s_cbranch_execz .LBB276_2792
; %bb.354:
	v_bfe_u32 v2, v3, 21, 1
	s_mov_b32 s26, 0x88fffff
	v_add3_u32 v2, v3, v2, s26
	s_mov_b64 s[22:23], exec
	v_lshrrev_b32_e32 v2, 21, v2
                                        ; implicit-def: $vgpr3
	s_andn2_saveexec_b64 s[24:25], s[24:25]
	s_cbranch_execnz .LBB276_2793
.LBB276_355:
	s_or_b64 exec, exec, s[24:25]
	v_mov_b32_e32 v5, 0
	s_and_saveexec_b64 s[24:25], s[22:23]
.LBB276_356:
	v_mov_b32_e32 v5, v2
.LBB276_357:
	s_or_b64 exec, exec, s[24:25]
.LBB276_358:
	s_or_b64 exec, exec, s[20:21]
	flat_store_byte v[0:1], v5
.LBB276_359:
	s_andn2_saveexec_b64 s[18:19], s[18:19]
	s_cbranch_execz .LBB276_369
; %bb.360:
	v_cndmask_b32_e64 v2, 0, 1.0, s[6:7]
	s_mov_b32 s20, 0x43f00000
	v_cmp_gt_u32_e32 vcc, s20, v2
                                        ; implicit-def: $vgpr3
	s_and_saveexec_b64 s[20:21], vcc
	s_xor_b64 s[20:21], exec, s[20:21]
	s_cbranch_execz .LBB276_366
; %bb.361:
	s_mov_b32 s22, 0x3c7fffff
	v_cmp_lt_u32_e32 vcc, s22, v2
                                        ; implicit-def: $vgpr3
	s_and_saveexec_b64 s[22:23], vcc
	s_xor_b64 s[22:23], exec, s[22:23]
; %bb.362:
	v_bfe_u32 v3, v2, 20, 1
	s_mov_b32 s24, 0x407ffff
	v_add3_u32 v2, v2, v3, s24
	v_lshrrev_b32_e32 v3, 20, v2
	v_and_b32_e32 v2, 0xff00000, v2
	s_mov_b32 s24, 0x7f00000
	v_mov_b32_e32 v5, 0x7e
	v_cmp_ne_u32_e32 vcc, s24, v2
	v_cndmask_b32_e32 v3, v5, v3, vcc
                                        ; implicit-def: $vgpr2
; %bb.363:
	s_andn2_saveexec_b64 s[22:23], s[22:23]
; %bb.364:
	v_add_f32_e32 v3, 0x46800000, v2
; %bb.365:
	s_or_b64 exec, exec, s[22:23]
                                        ; implicit-def: $vgpr2
.LBB276_366:
	s_andn2_saveexec_b64 s[20:21], s[20:21]
; %bb.367:
	s_mov_b32 s22, 0x7f800000
	v_mov_b32_e32 v3, 0x7e
	v_mov_b32_e32 v5, 0x7f
	v_cmp_lt_u32_e32 vcc, s22, v2
	v_cndmask_b32_e32 v3, v3, v5, vcc
; %bb.368:
	s_or_b64 exec, exec, s[20:21]
	flat_store_byte v[0:1], v3
.LBB276_369:
	s_or_b64 exec, exec, s[18:19]
.LBB276_370:
	s_andn2_saveexec_b64 s[16:17], s[16:17]
	s_cbranch_execz .LBB276_380
; %bb.371:
	v_cndmask_b32_e64 v2, 0, 1.0, s[6:7]
	s_mov_b32 s18, 0x47800000
	v_cmp_gt_u32_e32 vcc, s18, v2
                                        ; implicit-def: $vgpr3
	s_and_saveexec_b64 s[18:19], vcc
	s_xor_b64 s[18:19], exec, s[18:19]
	s_cbranch_execz .LBB276_377
; %bb.372:
	s_mov_b32 s20, 0x387fffff
	v_cmp_lt_u32_e32 vcc, s20, v2
                                        ; implicit-def: $vgpr3
	s_and_saveexec_b64 s[20:21], vcc
	s_xor_b64 s[20:21], exec, s[20:21]
; %bb.373:
	v_bfe_u32 v3, v2, 21, 1
	s_mov_b32 s22, 0x80fffff
	v_add3_u32 v2, v2, v3, s22
	v_lshrrev_b32_e32 v3, 21, v2
                                        ; implicit-def: $vgpr2
; %bb.374:
	s_andn2_saveexec_b64 s[20:21], s[20:21]
; %bb.375:
	v_add_f32_e32 v3, 0x43000000, v2
; %bb.376:
	s_or_b64 exec, exec, s[20:21]
                                        ; implicit-def: $vgpr2
.LBB276_377:
	s_andn2_saveexec_b64 s[18:19], s[18:19]
; %bb.378:
	s_mov_b32 s20, 0x7f800000
	v_mov_b32_e32 v3, 0x7c
	v_mov_b32_e32 v5, 0x7f
	v_cmp_lt_u32_e32 vcc, s20, v2
	v_cndmask_b32_e32 v3, v3, v5, vcc
; %bb.379:
	s_or_b64 exec, exec, s[18:19]
	flat_store_byte v[0:1], v3
.LBB276_380:
	s_or_b64 exec, exec, s[16:17]
	s_or_b64 s[16:17], s[10:11], exec
.LBB276_381:
	s_or_saveexec_b64 s[14:15], s[14:15]
	s_mov_b64 s[20:21], 0
	s_mov_b64 s[18:19], s[4:5]
	s_xor_b64 exec, exec, s[14:15]
	s_cbranch_execz .LBB276_389
; %bb.382:
	v_cmp_lt_i16_e32 vcc, 14, v4
	s_mov_b64 s[18:19], s[4:5]
	s_mov_b64 s[20:21], s[16:17]
	s_and_saveexec_b64 s[22:23], vcc
	s_xor_b64 s[22:23], exec, s[22:23]
	s_cbranch_execz .LBB276_386
; %bb.383:
	v_cmp_eq_u16_e32 vcc, 15, v4
	s_mov_b64 s[18:19], -1
	s_mov_b64 s[24:25], s[16:17]
	s_and_saveexec_b64 s[20:21], vcc
	s_cbranch_execz .LBB276_385
; %bb.384:
	v_cndmask_b32_e64 v2, 0, 1.0, s[6:7]
	v_bfe_u32 v3, v2, 16, 1
	s_movk_i32 s18, 0x7fff
	v_add3_u32 v2, v2, v3, s18
	flat_store_short_d16_hi v[0:1], v2
	s_or_b64 s[24:25], s[16:17], exec
	s_xor_b64 s[18:19], exec, -1
.LBB276_385:
	s_or_b64 exec, exec, s[20:21]
	s_andn2_b64 s[20:21], s[16:17], exec
	s_and_b64 s[24:25], s[24:25], exec
	s_or_b64 s[20:21], s[20:21], s[24:25]
	s_andn2_b64 s[24:25], s[4:5], exec
	s_and_b64 s[18:19], s[18:19], exec
	s_or_b64 s[18:19], s[24:25], s[18:19]
.LBB276_386:
	s_or_saveexec_b64 s[22:23], s[22:23]
	s_mov_b64 s[24:25], 0
	s_xor_b64 exec, exec, s[22:23]
; %bb.387:
	v_cmp_ne_u16_e32 vcc, 11, v4
	s_andn2_b64 s[18:19], s[18:19], exec
	s_and_b64 s[26:27], vcc, exec
	s_mov_b64 s[24:25], exec
	s_or_b64 s[18:19], s[18:19], s[26:27]
; %bb.388:
	s_or_b64 exec, exec, s[22:23]
	s_andn2_b64 s[16:17], s[16:17], exec
	s_and_b64 s[20:21], s[20:21], exec
	s_andn2_b64 s[22:23], s[4:5], exec
	s_and_b64 s[18:19], s[18:19], exec
	s_or_b64 s[16:17], s[16:17], s[20:21]
	s_and_b64 s[20:21], s[24:25], exec
	s_or_b64 s[18:19], s[22:23], s[18:19]
.LBB276_389:
	s_or_b64 exec, exec, s[14:15]
	s_andn2_b64 s[10:11], s[10:11], exec
	s_and_b64 s[14:15], s[16:17], exec
	s_andn2_b64 s[4:5], s[4:5], exec
	s_and_b64 s[16:17], s[18:19], exec
	s_or_b64 s[10:11], s[10:11], s[14:15]
	s_and_b64 s[14:15], s[20:21], exec
	s_or_b64 s[4:5], s[4:5], s[16:17]
.LBB276_390:
	s_or_b64 exec, exec, s[12:13]
	s_andn2_b64 s[16:17], s[50:51], exec
	s_and_b64 s[4:5], s[4:5], exec
	s_and_b64 s[12:13], s[10:11], exec
	s_xor_b64 s[10:11], exec, -1
	s_and_b64 s[14:15], s[14:15], exec
	s_or_b64 s[16:17], s[16:17], s[4:5]
.LBB276_391:
	s_or_b64 exec, exec, s[8:9]
	s_and_b64 s[4:5], s[14:15], exec
	s_andn2_b64 s[8:9], s[50:51], exec
	s_and_b64 s[14:15], s[16:17], exec
	s_and_b64 s[12:13], s[12:13], exec
	;; [unrolled: 1-line block ×3, first 2 shown]
	s_or_b64 s[8:9], s[8:9], s[14:15]
.LBB276_392:
	s_or_b64 exec, exec, s[52:53]
	s_andn2_b64 s[14:15], s[50:51], exec
	s_and_b64 s[8:9], s[8:9], exec
	s_and_b64 s[12:13], s[12:13], exec
	;; [unrolled: 1-line block ×4, first 2 shown]
	s_or_b64 s[50:51], s[14:15], s[8:9]
.LBB276_393:
	s_or_b64 exec, exec, s[48:49]
	s_and_b64 s[8:9], s[4:5], exec
	s_andn2_b64 s[4:5], s[44:45], exec
	s_and_b64 s[14:15], s[50:51], exec
	s_and_b64 s[12:13], s[12:13], exec
	;; [unrolled: 1-line block ×3, first 2 shown]
	s_or_b64 s[44:45], s[4:5], s[14:15]
.LBB276_394:
	s_or_b64 exec, exec, s[46:47]
	s_and_b64 s[4:5], s[12:13], exec
	s_and_b64 s[12:13], s[10:11], exec
	;; [unrolled: 1-line block ×3, first 2 shown]
	s_andn2_b64 s[8:9], s[34:35], exec
	s_and_b64 s[10:11], s[44:45], exec
	s_or_b64 s[34:35], s[8:9], s[10:11]
	s_or_b64 exec, exec, s[38:39]
	s_mov_b64 s[8:9], 0
	s_and_saveexec_b64 s[10:11], s[34:35]
	s_cbranch_execz .LBB276_398
.LBB276_395:
	s_mov_b64 s[8:9], exec
	s_andn2_b64 s[46:47], s[46:47], exec
	s_trap 2
	s_or_b64 exec, exec, s[10:11]
	s_and_saveexec_b64 s[10:11], s[46:47]
	s_xor_b64 s[10:11], exec, s[10:11]
	s_cbranch_execnz .LBB276_399
.LBB276_396:
	s_or_b64 exec, exec, s[10:11]
	s_and_saveexec_b64 s[10:11], s[12:13]
	s_cbranch_execnz .LBB276_400
	s_branch .LBB276_441
.LBB276_397:
	s_or_b64 exec, exec, s[38:39]
	s_mov_b64 s[8:9], 0
	s_and_saveexec_b64 s[10:11], s[34:35]
	s_cbranch_execnz .LBB276_395
.LBB276_398:
	s_or_b64 exec, exec, s[10:11]
	s_and_saveexec_b64 s[10:11], s[46:47]
	s_xor_b64 s[10:11], exec, s[10:11]
	s_cbranch_execz .LBB276_396
.LBB276_399:
	v_cndmask_b32_e64 v2, 0, 1, s[6:7]
	s_or_b64 s[4:5], s[4:5], exec
	flat_store_byte v[0:1], v2
	s_or_b64 exec, exec, s[10:11]
	s_and_saveexec_b64 s[10:11], s[12:13]
	s_cbranch_execz .LBB276_441
.LBB276_400:
	v_cmp_lt_i16_e32 vcc, 4, v4
	s_and_saveexec_b64 s[12:13], vcc
	s_xor_b64 s[12:13], exec, s[12:13]
	s_cbranch_execz .LBB276_422
; %bb.401:
	v_cmp_lt_i16_e32 vcc, 7, v4
	s_mov_b64 s[14:15], s[6:7]
	s_and_saveexec_b64 s[16:17], vcc
	s_xor_b64 s[16:17], exec, s[16:17]
	s_cbranch_execz .LBB276_411
; %bb.402:
	v_cmp_lt_i16_e32 vcc, 8, v4
	s_mov_b64 s[18:19], s[6:7]
	s_and_saveexec_b64 s[14:15], vcc
	s_xor_b64 s[14:15], exec, s[14:15]
	s_cbranch_execz .LBB276_408
; %bb.403:
	v_cmp_lt_i16_e32 vcc, 9, v4
	s_and_saveexec_b64 s[18:19], vcc
	s_xor_b64 s[18:19], exec, s[18:19]
	s_cbranch_execz .LBB276_405
; %bb.404:
	v_cndmask_b32_e64 v2, 0, 1, s[6:7]
	v_cvt_f64_u32_e32 v[5:6], v2
	v_mov_b32_e32 v7, 0
	v_mov_b32_e32 v8, v7
	flat_store_dwordx4 v[0:1], v[5:8]
.LBB276_405:
	s_andn2_saveexec_b64 s[18:19], s[18:19]
	s_cbranch_execz .LBB276_407
; %bb.406:
	v_cndmask_b32_e64 v2, 0, 1.0, s[6:7]
	v_mov_b32_e32 v3, 0
	flat_store_dwordx2 v[0:1], v[2:3]
.LBB276_407:
	s_or_b64 exec, exec, s[18:19]
	s_andn2_b64 s[18:19], s[6:7], exec
	s_and_b64 s[20:21], s[6:7], exec
	s_or_b64 s[18:19], s[18:19], s[20:21]
.LBB276_408:
	s_andn2_saveexec_b64 s[14:15], s[14:15]
	s_cbranch_execz .LBB276_410
; %bb.409:
	v_cndmask_b32_e64 v2, 0, 1.0, s[18:19]
	v_cvt_f16_f32_e32 v2, v2
	flat_store_dword v[0:1], v2
.LBB276_410:
	s_or_b64 exec, exec, s[14:15]
	s_andn2_b64 s[14:15], s[6:7], exec
	s_and_b64 s[18:19], s[18:19], exec
	s_or_b64 s[14:15], s[14:15], s[18:19]
.LBB276_411:
	s_andn2_saveexec_b64 s[16:17], s[16:17]
	s_cbranch_execz .LBB276_421
; %bb.412:
	v_cmp_lt_i16_e32 vcc, 5, v4
	s_mov_b64 s[20:21], s[14:15]
	s_and_saveexec_b64 s[18:19], vcc
	s_xor_b64 s[18:19], exec, s[18:19]
	s_cbranch_execz .LBB276_418
; %bb.413:
	v_cmp_lt_i16_e32 vcc, 6, v4
	s_and_saveexec_b64 s[20:21], vcc
	s_xor_b64 s[20:21], exec, s[20:21]
	s_cbranch_execz .LBB276_415
; %bb.414:
	v_cndmask_b32_e64 v2, 0, 1, s[14:15]
	v_cvt_f64_u32_e32 v[2:3], v2
	flat_store_dwordx2 v[0:1], v[2:3]
.LBB276_415:
	s_andn2_saveexec_b64 s[20:21], s[20:21]
	s_cbranch_execz .LBB276_417
; %bb.416:
	v_cndmask_b32_e64 v2, 0, 1.0, s[14:15]
	flat_store_dword v[0:1], v2
.LBB276_417:
	s_or_b64 exec, exec, s[20:21]
	s_andn2_b64 s[20:21], s[14:15], exec
	s_and_b64 s[22:23], s[14:15], exec
	s_or_b64 s[20:21], s[20:21], s[22:23]
.LBB276_418:
	s_andn2_saveexec_b64 s[18:19], s[18:19]
	s_cbranch_execz .LBB276_420
; %bb.419:
	v_cndmask_b32_e64 v2, 0, 1.0, s[20:21]
	v_cvt_f16_f32_e32 v2, v2
	flat_store_short v[0:1], v2
.LBB276_420:
	s_or_b64 exec, exec, s[18:19]
	s_andn2_b64 s[14:15], s[14:15], exec
	s_and_b64 s[18:19], s[20:21], exec
	s_or_b64 s[14:15], s[14:15], s[18:19]
.LBB276_421:
	s_or_b64 exec, exec, s[16:17]
	s_andn2_b64 s[6:7], s[6:7], exec
	s_and_b64 s[14:15], s[14:15], exec
	s_or_b64 s[6:7], s[6:7], s[14:15]
.LBB276_422:
	s_andn2_saveexec_b64 s[12:13], s[12:13]
	s_cbranch_execz .LBB276_440
; %bb.423:
	v_cmp_lt_i16_e32 vcc, 1, v4
	s_and_saveexec_b64 s[14:15], vcc
	s_xor_b64 s[14:15], exec, s[14:15]
	s_cbranch_execz .LBB276_433
; %bb.424:
	v_cmp_lt_i16_e32 vcc, 2, v4
	s_mov_b64 s[18:19], s[6:7]
	s_and_saveexec_b64 s[16:17], vcc
	s_xor_b64 s[16:17], exec, s[16:17]
	s_cbranch_execz .LBB276_430
; %bb.425:
	v_cmp_lt_i16_e32 vcc, 3, v4
	v_cndmask_b32_e64 v2, 0, 1, s[6:7]
	s_and_saveexec_b64 s[18:19], vcc
	s_xor_b64 s[18:19], exec, s[18:19]
	s_cbranch_execz .LBB276_427
; %bb.426:
	s_mov_b32 s20, 0
	v_mov_b32_e32 v3, s20
	flat_store_dwordx2 v[0:1], v[2:3]
                                        ; implicit-def: $vgpr0_vgpr1
                                        ; implicit-def: $vgpr2
.LBB276_427:
	s_andn2_saveexec_b64 s[18:19], s[18:19]
	s_cbranch_execz .LBB276_429
; %bb.428:
	flat_store_dword v[0:1], v2
.LBB276_429:
	s_or_b64 exec, exec, s[18:19]
	s_andn2_b64 s[18:19], s[6:7], exec
	s_and_b64 s[20:21], s[6:7], exec
	s_or_b64 s[18:19], s[18:19], s[20:21]
                                        ; implicit-def: $vgpr0_vgpr1
.LBB276_430:
	s_andn2_saveexec_b64 s[16:17], s[16:17]
	s_cbranch_execz .LBB276_432
; %bb.431:
	v_cndmask_b32_e64 v2, 0, 1, s[18:19]
	flat_store_short v[0:1], v2
.LBB276_432:
	s_or_b64 exec, exec, s[16:17]
	s_andn2_b64 s[6:7], s[6:7], exec
	s_and_b64 s[16:17], s[18:19], exec
	s_or_b64 s[6:7], s[6:7], s[16:17]
                                        ; implicit-def: $vgpr0_vgpr1
.LBB276_433:
	s_andn2_saveexec_b64 s[14:15], s[14:15]
	s_cbranch_execz .LBB276_439
; %bb.434:
	v_cmp_lt_i16_e32 vcc, 0, v4
	v_cndmask_b32_e64 v2, 0, 1, s[6:7]
	s_and_saveexec_b64 s[6:7], vcc
	s_xor_b64 s[6:7], exec, s[6:7]
	s_cbranch_execz .LBB276_436
; %bb.435:
	flat_store_byte v[0:1], v2
                                        ; implicit-def: $vgpr0_vgpr1
                                        ; implicit-def: $vgpr2
.LBB276_436:
	s_andn2_saveexec_b64 s[6:7], s[6:7]
	s_cbranch_execz .LBB276_438
; %bb.437:
	flat_store_byte v[0:1], v2
.LBB276_438:
	s_or_b64 exec, exec, s[6:7]
.LBB276_439:
	s_or_b64 exec, exec, s[14:15]
.LBB276_440:
	s_or_b64 exec, exec, s[12:13]
	s_or_b64 s[4:5], s[4:5], exec
.LBB276_441:
	s_or_b64 exec, exec, s[10:11]
	s_and_saveexec_b64 s[6:7], s[4:5]
	s_xor_b64 s[4:5], exec, s[6:7]
	s_or_b64 exec, exec, s[4:5]
	s_and_b64 s[34:35], s[8:9], exec
                                        ; implicit-def: $vgpr12
                                        ; implicit-def: $vgpr17
.LBB276_442:
	s_or_saveexec_b64 s[36:37], s[36:37]
	s_mov_b64 s[8:9], 0
	s_mov_b64 s[4:5], 0
                                        ; implicit-def: $sgpr10_sgpr11
                                        ; implicit-def: $vgpr9_vgpr10
                                        ; implicit-def: $vgpr3
	s_xor_b64 exec, exec, s[36:37]
	s_cbranch_execz .LBB276_483
; %bb.443:
	buffer_load_dword v14, off, s[0:3], 0 offset:24
                                        ; implicit-def: $vgpr22
                                        ; implicit-def: $vgpr10
                                        ; implicit-def: $vgpr8
	s_waitcnt vmcnt(0)
	v_add_u32_e32 v15, -1, v14
	v_cmp_lt_u32_e32 vcc, 1, v15
	s_and_saveexec_b64 s[4:5], vcc
	s_xor_b64 s[6:7], exec, s[4:5]
	s_cbranch_execz .LBB276_451
; %bb.444:
	v_mov_b32_e32 v22, 0
	v_cmp_ne_u32_e64 s[4:5], 0, v14
	v_mov_b32_e32 v10, 0
	v_mov_b32_e32 v8, 0
	s_and_saveexec_b64 s[8:9], s[4:5]
	s_cbranch_execz .LBB276_450
; %bb.445:
	v_min_u32_e32 v1, 15, v15
	v_add_u32_e32 v0, 1, v1
	v_and_b32_e32 v2, 30, v0
	s_sub_i32 s12, 24, 24
	v_mov_b32_e32 v8, 0
	s_mov_b64 s[10:11], 0
	v_mov_b32_e32 v10, 0
	v_mov_b32_e32 v22, 0
	;; [unrolled: 1-line block ×3, first 2 shown]
.LBB276_446:                            ; =>This Inner Loop Header: Depth=1
	v_mov_b32_e32 v3, s12
	buffer_load_dword v4, v3, s[0:3], 0 offen offset:32
	buffer_load_dword v5, v3, s[0:3], 0 offen offset:36
	;; [unrolled: 1-line block ×12, first 2 shown]
	v_add_u32_e32 v2, -2, v2
	s_add_i32 s12, s12, 24
	v_cmp_eq_u32_e64 s[4:5], 0, v2
	v_mov_b32_e32 v3, s12
	s_or_b64 s[10:11], s[4:5], s[10:11]
	s_waitcnt vmcnt(0)
	v_mul_hi_u32 v4, v4, v0
	v_add_u32_e32 v4, v0, v4
	v_lshrrev_b32_e32 v4, v5, v4
	v_mul_hi_u32 v6, v6, v4
	v_mul_lo_u32 v5, v4, v16
	v_sub_u32_e32 v5, v0, v5
	v_add_u32_e32 v0, v4, v6
	v_lshrrev_b32_e32 v0, v7, v0
	v_mul_lo_u32 v7, v0, v13
	v_mul_lo_u32 v6, v5, v9
	;; [unrolled: 1-line block ×4, first 2 shown]
	v_sub_u32_e32 v4, v4, v7
	v_mul_lo_u32 v7, v4, v19
	v_mul_lo_u32 v11, v4, v20
	;; [unrolled: 1-line block ×3, first 2 shown]
	v_add3_u32 v22, v6, v22, v7
	v_add3_u32 v10, v9, v10, v11
	;; [unrolled: 1-line block ×3, first 2 shown]
	s_andn2_b64 exec, exec, s[10:11]
	s_cbranch_execnz .LBB276_446
; %bb.447:
	s_or_b64 exec, exec, s[10:11]
	v_and_b32_e32 v1, 1, v1
	v_cmp_eq_u32_e64 s[4:5], 0, v1
	s_and_saveexec_b64 s[10:11], s[4:5]
	s_cbranch_execz .LBB276_449
; %bb.448:
	buffer_load_dword v1, v3, s[0:3], 0 offen offset:32
	buffer_load_dword v2, v3, s[0:3], 0 offen offset:36
	;; [unrolled: 1-line block ×6, first 2 shown]
	s_waitcnt vmcnt(0)
	v_mul_hi_u32 v1, v1, v0
	v_add_u32_e32 v1, v0, v1
	v_lshrrev_b32_e32 v1, v2, v1
	v_mul_lo_u32 v1, v1, v4
	v_sub_u32_e32 v0, v0, v1
	v_mad_u64_u32 v[22:23], s[4:5], v0, v5, v[22:23]
	v_mad_u64_u32 v[10:11], s[4:5], v0, v6, v[10:11]
	;; [unrolled: 1-line block ×3, first 2 shown]
.LBB276_449:
	s_or_b64 exec, exec, s[10:11]
.LBB276_450:
	s_or_b64 exec, exec, s[8:9]
.LBB276_451:
	s_andn2_saveexec_b64 s[6:7], s[6:7]
	s_cbranch_execz .LBB276_455
; %bb.452:
	buffer_load_dword v0, off, s[0:3], 0 offset:32
	buffer_load_dword v1, off, s[0:3], 0 offset:36
	;; [unrolled: 1-line block ×6, first 2 shown]
	v_cmp_lt_u32_e64 s[4:5], 1, v14
	s_waitcnt vmcnt(0)
	v_mul_hi_u32 v0, v0, v17
	v_add_u32_e32 v0, v17, v0
	v_lshrrev_b32_e32 v0, v1, v0
	v_mul_lo_u32 v1, v0, v2
	v_sub_u32_e32 v1, v17, v1
	v_mul_lo_u32 v22, v1, v3
	v_mul_lo_u32 v10, v1, v4
	;; [unrolled: 1-line block ×3, first 2 shown]
	s_and_saveexec_b64 s[8:9], s[4:5]
	s_cbranch_execz .LBB276_454
; %bb.453:
	buffer_load_dword v1, off, s[0:3], 0 offset:44
	buffer_load_dword v2, off, s[0:3], 0 offset:48
	;; [unrolled: 1-line block ×6, first 2 shown]
	s_waitcnt vmcnt(0)
	v_mul_hi_u32 v1, v1, v0
	v_add_u32_e32 v1, v0, v1
	v_lshrrev_b32_e32 v1, v2, v1
	v_mul_lo_u32 v1, v1, v3
	v_sub_u32_e32 v0, v0, v1
	v_mad_u64_u32 v[22:23], s[4:5], v0, v4, v[22:23]
	v_mad_u64_u32 v[10:11], s[4:5], v0, v5, v[10:11]
	;; [unrolled: 1-line block ×3, first 2 shown]
.LBB276_454:
	s_or_b64 exec, exec, s[8:9]
.LBB276_455:
	s_or_b64 exec, exec, s[6:7]
	v_add_u32_e32 v0, 0x80, v17
                                        ; implicit-def: $vgpr20
                                        ; implicit-def: $vgpr6
                                        ; implicit-def: $vgpr4
	s_and_saveexec_b64 s[4:5], vcc
	s_xor_b64 s[6:7], exec, s[4:5]
	s_cbranch_execz .LBB276_463
; %bb.456:
	v_mov_b32_e32 v20, 0
	v_cmp_ne_u32_e64 s[4:5], 0, v14
	v_mov_b32_e32 v6, 0
	v_mov_b32_e32 v4, 0
	s_and_saveexec_b64 s[8:9], s[4:5]
	s_cbranch_execz .LBB276_462
; %bb.457:
	v_min_u32_e32 v1, 15, v15
	v_add_u32_e32 v2, 1, v1
	v_and_b32_e32 v2, 30, v2
	s_sub_i32 s12, 24, 24
	v_mov_b32_e32 v4, 0
	s_mov_b64 s[10:11], 0
	v_mov_b32_e32 v6, 0
	v_mov_b32_e32 v20, 0
.LBB276_458:                            ; =>This Inner Loop Header: Depth=1
	v_mov_b32_e32 v3, s12
	buffer_load_dword v5, v3, s[0:3], 0 offen offset:32
	buffer_load_dword v7, v3, s[0:3], 0 offen offset:36
	;; [unrolled: 1-line block ×12, first 2 shown]
	v_add_u32_e32 v2, -2, v2
	s_add_i32 s12, s12, 24
	v_cmp_eq_u32_e64 s[4:5], 0, v2
	v_mov_b32_e32 v3, s12
	s_or_b64 s[10:11], s[4:5], s[10:11]
	s_waitcnt vmcnt(0)
	v_mul_hi_u32 v5, v5, v0
	v_add_u32_e32 v5, v0, v5
	v_lshrrev_b32_e32 v5, v7, v5
	v_mul_hi_u32 v9, v9, v5
	v_mul_lo_u32 v7, v5, v19
	v_sub_u32_e32 v7, v0, v7
	v_add_u32_e32 v0, v5, v9
	v_lshrrev_b32_e32 v0, v11, v0
	v_mul_lo_u32 v11, v0, v18
	v_mul_lo_u32 v9, v7, v13
	;; [unrolled: 1-line block ×4, first 2 shown]
	v_sub_u32_e32 v5, v5, v11
	v_mul_lo_u32 v11, v5, v23
	v_mul_lo_u32 v16, v5, v24
	;; [unrolled: 1-line block ×3, first 2 shown]
	v_add3_u32 v20, v9, v20, v11
	v_add3_u32 v6, v13, v6, v16
	;; [unrolled: 1-line block ×3, first 2 shown]
	s_andn2_b64 exec, exec, s[10:11]
	s_cbranch_execnz .LBB276_458
; %bb.459:
	s_or_b64 exec, exec, s[10:11]
	v_and_b32_e32 v1, 1, v1
	v_cmp_eq_u32_e64 s[4:5], 0, v1
	s_and_saveexec_b64 s[10:11], s[4:5]
	s_cbranch_execz .LBB276_461
; %bb.460:
	buffer_load_dword v1, v3, s[0:3], 0 offen offset:32
	buffer_load_dword v2, v3, s[0:3], 0 offen offset:36
	;; [unrolled: 1-line block ×6, first 2 shown]
	s_waitcnt vmcnt(0)
	v_mul_hi_u32 v1, v1, v0
	v_add_u32_e32 v1, v0, v1
	v_lshrrev_b32_e32 v1, v2, v1
	v_mul_lo_u32 v1, v1, v5
	v_sub_u32_e32 v0, v0, v1
	v_mad_u64_u32 v[20:21], s[4:5], v0, v7, v[20:21]
	v_mad_u64_u32 v[6:7], s[4:5], v0, v9, v[6:7]
	;; [unrolled: 1-line block ×3, first 2 shown]
.LBB276_461:
	s_or_b64 exec, exec, s[10:11]
.LBB276_462:
	s_or_b64 exec, exec, s[8:9]
                                        ; implicit-def: $vgpr0
.LBB276_463:
	s_andn2_saveexec_b64 s[6:7], s[6:7]
	s_cbranch_execz .LBB276_467
; %bb.464:
	buffer_load_dword v1, off, s[0:3], 0 offset:32
	buffer_load_dword v2, off, s[0:3], 0 offset:36
	;; [unrolled: 1-line block ×6, first 2 shown]
	v_cmp_lt_u32_e64 s[4:5], 1, v14
	s_waitcnt vmcnt(0)
	v_mul_hi_u32 v1, v1, v0
	v_add_u32_e32 v1, v0, v1
	v_lshrrev_b32_e32 v1, v2, v1
	v_mul_lo_u32 v2, v1, v3
	v_sub_u32_e32 v0, v0, v2
	v_mul_lo_u32 v20, v0, v4
	v_mul_lo_u32 v6, v0, v5
	;; [unrolled: 1-line block ×3, first 2 shown]
	s_and_saveexec_b64 s[8:9], s[4:5]
	s_cbranch_execz .LBB276_466
; %bb.465:
	buffer_load_dword v0, off, s[0:3], 0 offset:44
	buffer_load_dword v2, off, s[0:3], 0 offset:48
	;; [unrolled: 1-line block ×6, first 2 shown]
	s_waitcnt vmcnt(0)
	v_mul_hi_u32 v0, v0, v1
	v_add_u32_e32 v0, v1, v0
	v_lshrrev_b32_e32 v0, v2, v0
	v_mul_lo_u32 v0, v0, v3
	v_sub_u32_e32 v0, v1, v0
	v_mad_u64_u32 v[20:21], s[4:5], v0, v5, v[20:21]
	v_mad_u64_u32 v[6:7], s[4:5], v0, v7, v[6:7]
	;; [unrolled: 1-line block ×3, first 2 shown]
.LBB276_466:
	s_or_b64 exec, exec, s[8:9]
.LBB276_467:
	s_or_b64 exec, exec, s[6:7]
	v_add_u32_e32 v1, 0x100, v17
                                        ; implicit-def: $vgpr18
                                        ; implicit-def: $vgpr2
                                        ; implicit-def: $vgpr0
	s_and_saveexec_b64 s[4:5], vcc
	s_xor_b64 s[6:7], exec, s[4:5]
	s_cbranch_execz .LBB276_527
; %bb.468:
	v_mov_b32_e32 v18, 0
	v_cmp_ne_u32_e64 s[4:5], 0, v14
	v_mov_b32_e32 v2, 0
	v_mov_b32_e32 v0, 0
	s_and_saveexec_b64 s[8:9], s[4:5]
	s_cbranch_execz .LBB276_474
; %bb.469:
	v_min_u32_e32 v3, 15, v15
	v_add_u32_e32 v0, 1, v3
	v_and_b32_e32 v5, 30, v0
	s_sub_i32 s12, 24, 24
	v_mov_b32_e32 v0, 0
	s_mov_b64 s[10:11], 0
	v_mov_b32_e32 v2, 0
	v_mov_b32_e32 v18, 0
.LBB276_470:                            ; =>This Inner Loop Header: Depth=1
	v_mov_b32_e32 v7, s12
	buffer_load_dword v9, v7, s[0:3], 0 offen offset:32
	buffer_load_dword v11, v7, s[0:3], 0 offen offset:36
	;; [unrolled: 1-line block ×12, first 2 shown]
	v_add_u32_e32 v5, -2, v5
	s_add_i32 s12, s12, 24
	v_cmp_eq_u32_e64 s[4:5], 0, v5
	v_mov_b32_e32 v7, s12
	s_or_b64 s[10:11], s[4:5], s[10:11]
	s_waitcnt vmcnt(0)
	v_mul_hi_u32 v9, v9, v1
	v_add_u32_e32 v9, v1, v9
	v_lshrrev_b32_e32 v9, v11, v9
	v_mul_hi_u32 v13, v13, v9
	v_mul_lo_u32 v11, v9, v23
	v_sub_u32_e32 v11, v1, v11
	v_add_u32_e32 v1, v9, v13
	v_lshrrev_b32_e32 v1, v16, v1
	v_mul_lo_u32 v13, v11, v17
	v_mul_lo_u32 v17, v1, v21
	;; [unrolled: 1-line block ×4, first 2 shown]
	v_sub_u32_e32 v9, v9, v17
	v_mul_lo_u32 v17, v9, v25
	v_mul_lo_u32 v19, v9, v26
	;; [unrolled: 1-line block ×3, first 2 shown]
	v_add3_u32 v18, v13, v18, v17
	v_add3_u32 v2, v16, v2, v19
	;; [unrolled: 1-line block ×3, first 2 shown]
	s_andn2_b64 exec, exec, s[10:11]
	s_cbranch_execnz .LBB276_470
; %bb.471:
	s_or_b64 exec, exec, s[10:11]
	v_and_b32_e32 v3, 1, v3
	v_cmp_eq_u32_e64 s[4:5], 0, v3
	s_and_saveexec_b64 s[10:11], s[4:5]
	s_cbranch_execz .LBB276_473
; %bb.472:
	buffer_load_dword v3, v7, s[0:3], 0 offen offset:32
	buffer_load_dword v5, v7, s[0:3], 0 offen offset:36
	;; [unrolled: 1-line block ×6, first 2 shown]
	s_waitcnt vmcnt(0)
	v_mul_hi_u32 v3, v3, v1
	v_add_u32_e32 v3, v1, v3
	v_lshrrev_b32_e32 v3, v5, v3
	v_mul_lo_u32 v3, v3, v9
	v_sub_u32_e32 v1, v1, v3
	v_mad_u64_u32 v[18:19], s[4:5], v1, v11, v[18:19]
	v_mad_u64_u32 v[2:3], s[4:5], v1, v13, v[2:3]
	;; [unrolled: 1-line block ×3, first 2 shown]
.LBB276_473:
	s_or_b64 exec, exec, s[10:11]
.LBB276_474:
	s_or_b64 exec, exec, s[8:9]
                                        ; implicit-def: $vgpr1
	s_andn2_saveexec_b64 s[6:7], s[6:7]
	s_cbranch_execnz .LBB276_528
.LBB276_475:
	s_or_b64 exec, exec, s[6:7]
                                        ; implicit-def: $vgpr16
                                        ; implicit-def: $vgpr13
                                        ; implicit-def: $vgpr11
	s_and_saveexec_b64 s[4:5], vcc
	s_xor_b64 s[4:5], exec, s[4:5]
	s_cbranch_execz .LBB276_531
.LBB276_476:
	v_mov_b32_e32 v16, 0
	v_cmp_ne_u32_e32 vcc, 0, v14
	v_mov_b32_e32 v13, 0
	v_mov_b32_e32 v11, 0
	s_and_saveexec_b64 s[6:7], vcc
	s_cbranch_execz .LBB276_482
; %bb.477:
	v_min_u32_e32 v1, 15, v15
	v_add_u32_e32 v3, 1, v1
	v_and_b32_e32 v3, 30, v3
	s_sub_i32 s10, 24, 24
	v_mov_b32_e32 v11, 0
	s_mov_b64 s[8:9], 0
	v_mov_b32_e32 v13, 0
	v_mov_b32_e32 v16, 0
.LBB276_478:                            ; =>This Inner Loop Header: Depth=1
	v_mov_b32_e32 v5, s10
	buffer_load_dword v7, v5, s[0:3], 0 offen offset:32
	buffer_load_dword v9, v5, s[0:3], 0 offen offset:36
	;; [unrolled: 1-line block ×12, first 2 shown]
	v_add_u32_e32 v3, -2, v3
	s_add_i32 s10, s10, 24
	v_cmp_eq_u32_e32 vcc, 0, v3
	v_mov_b32_e32 v5, s10
	s_or_b64 s[8:9], vcc, s[8:9]
	s_waitcnt vmcnt(0)
	v_mul_hi_u32 v7, v7, v12
	v_add_u32_e32 v7, v12, v7
	v_lshrrev_b32_e32 v7, v9, v7
	v_mul_hi_u32 v14, v14, v7
	v_mul_lo_u32 v9, v7, v23
	v_sub_u32_e32 v9, v12, v9
	v_add_u32_e32 v12, v7, v14
	v_lshrrev_b32_e32 v12, v15, v12
	v_mul_lo_u32 v14, v9, v17
	v_mul_lo_u32 v17, v12, v21
	;; [unrolled: 1-line block ×4, first 2 shown]
	v_sub_u32_e32 v7, v7, v17
	v_mul_lo_u32 v17, v7, v25
	v_mul_lo_u32 v19, v7, v26
	;; [unrolled: 1-line block ×3, first 2 shown]
	v_add3_u32 v16, v14, v16, v17
	v_add3_u32 v13, v15, v13, v19
	;; [unrolled: 1-line block ×3, first 2 shown]
	s_andn2_b64 exec, exec, s[8:9]
	s_cbranch_execnz .LBB276_478
; %bb.479:
	s_or_b64 exec, exec, s[8:9]
	v_and_b32_e32 v1, 1, v1
	v_cmp_eq_u32_e32 vcc, 0, v1
	s_and_saveexec_b64 s[8:9], vcc
	s_cbranch_execz .LBB276_481
; %bb.480:
	buffer_load_dword v1, v5, s[0:3], 0 offen offset:32
	buffer_load_dword v3, v5, s[0:3], 0 offen offset:36
	buffer_load_dword v7, v5, s[0:3], 0 offen offset:28
	buffer_load_dword v9, v5, s[0:3], 0 offen offset:220
	buffer_load_dword v14, v5, s[0:3], 0 offen offset:224
	buffer_load_dword v15, v5, s[0:3], 0 offen offset:228
	s_waitcnt vmcnt(0)
	v_mul_hi_u32 v1, v1, v12
	v_add_u32_e32 v1, v12, v1
	v_lshrrev_b32_e32 v1, v3, v1
	v_mul_lo_u32 v1, v1, v7
	v_sub_u32_e32 v1, v12, v1
	v_mad_u64_u32 v[16:17], s[10:11], v1, v9, v[16:17]
	v_mad_u64_u32 v[13:14], s[10:11], v1, v14, v[13:14]
	;; [unrolled: 1-line block ×3, first 2 shown]
.LBB276_481:
	s_or_b64 exec, exec, s[8:9]
.LBB276_482:
	s_or_b64 exec, exec, s[6:7]
                                        ; implicit-def: $vgpr12
                                        ; implicit-def: $vgpr14
	s_andn2_saveexec_b64 s[4:5], s[4:5]
	s_cbranch_execz .LBB276_535
	s_branch .LBB276_532
.LBB276_483:
	s_or_b64 exec, exec, s[36:37]
	s_and_saveexec_b64 s[6:7], s[34:35]
	s_cbranch_execz .LBB276_2192
.LBB276_484:
	; divergent unreachable
	s_or_b64 exec, exec, s[6:7]
	s_and_saveexec_b64 s[6:7], s[42:43]
	s_xor_b64 s[6:7], exec, s[6:7]
	s_cbranch_execnz .LBB276_2193
.LBB276_485:
	s_or_b64 exec, exec, s[6:7]
	s_and_saveexec_b64 s[6:7], s[8:9]
	s_cbranch_execz .LBB276_2194
.LBB276_486:
	v_cmp_lt_i16_e32 vcc, 4, v3
	s_and_saveexec_b64 s[8:9], vcc
	s_xor_b64 s[8:9], exec, s[8:9]
	s_cbranch_execz .LBB276_508
; %bb.487:
	v_cmp_lt_i16_e32 vcc, 7, v3
	s_mov_b64 s[12:13], s[10:11]
	s_and_saveexec_b64 s[14:15], vcc
	s_xor_b64 s[14:15], exec, s[14:15]
	s_cbranch_execz .LBB276_497
; %bb.488:
	v_cmp_lt_i16_e32 vcc, 8, v3
	s_mov_b64 s[16:17], s[10:11]
	s_and_saveexec_b64 s[12:13], vcc
	s_xor_b64 s[12:13], exec, s[12:13]
	s_cbranch_execz .LBB276_494
; %bb.489:
	v_cmp_lt_i16_e32 vcc, 9, v3
	s_and_saveexec_b64 s[16:17], vcc
	s_xor_b64 s[16:17], exec, s[16:17]
	s_cbranch_execz .LBB276_491
; %bb.490:
	v_cndmask_b32_e64 v0, 0, 1, s[10:11]
	v_cvt_f64_u32_e32 v[4:5], v0
	v_mov_b32_e32 v6, 0
	v_mov_b32_e32 v7, v6
	flat_store_dwordx4 v[9:10], v[4:7]
.LBB276_491:
	s_andn2_saveexec_b64 s[16:17], s[16:17]
	s_cbranch_execz .LBB276_493
; %bb.492:
	v_cndmask_b32_e64 v0, 0, 1.0, s[10:11]
	v_mov_b32_e32 v1, 0
	flat_store_dwordx2 v[9:10], v[0:1]
.LBB276_493:
	s_or_b64 exec, exec, s[16:17]
	s_andn2_b64 s[16:17], s[10:11], exec
	s_and_b64 s[18:19], s[10:11], exec
	s_or_b64 s[16:17], s[16:17], s[18:19]
.LBB276_494:
	s_andn2_saveexec_b64 s[12:13], s[12:13]
	s_cbranch_execz .LBB276_496
; %bb.495:
	v_cndmask_b32_e64 v0, 0, 1.0, s[16:17]
	v_cvt_f16_f32_e32 v0, v0
	flat_store_dword v[9:10], v0
.LBB276_496:
	s_or_b64 exec, exec, s[12:13]
	s_andn2_b64 s[12:13], s[10:11], exec
	s_and_b64 s[16:17], s[16:17], exec
	s_or_b64 s[12:13], s[12:13], s[16:17]
.LBB276_497:
	s_andn2_saveexec_b64 s[14:15], s[14:15]
	s_cbranch_execz .LBB276_507
; %bb.498:
	v_cmp_lt_i16_e32 vcc, 5, v3
	s_mov_b64 s[18:19], s[12:13]
	s_and_saveexec_b64 s[16:17], vcc
	s_xor_b64 s[16:17], exec, s[16:17]
	s_cbranch_execz .LBB276_504
; %bb.499:
	v_cmp_lt_i16_e32 vcc, 6, v3
	s_and_saveexec_b64 s[18:19], vcc
	s_xor_b64 s[18:19], exec, s[18:19]
	s_cbranch_execz .LBB276_501
; %bb.500:
	v_cndmask_b32_e64 v0, 0, 1, s[12:13]
	v_cvt_f64_u32_e32 v[0:1], v0
	flat_store_dwordx2 v[9:10], v[0:1]
.LBB276_501:
	s_andn2_saveexec_b64 s[18:19], s[18:19]
	s_cbranch_execz .LBB276_503
; %bb.502:
	v_cndmask_b32_e64 v0, 0, 1.0, s[12:13]
	flat_store_dword v[9:10], v0
.LBB276_503:
	s_or_b64 exec, exec, s[18:19]
	s_andn2_b64 s[18:19], s[12:13], exec
	s_and_b64 s[20:21], s[12:13], exec
	s_or_b64 s[18:19], s[18:19], s[20:21]
.LBB276_504:
	s_andn2_saveexec_b64 s[16:17], s[16:17]
	s_cbranch_execz .LBB276_506
; %bb.505:
	v_cndmask_b32_e64 v0, 0, 1.0, s[18:19]
	v_cvt_f16_f32_e32 v0, v0
	flat_store_short v[9:10], v0
.LBB276_506:
	s_or_b64 exec, exec, s[16:17]
	s_andn2_b64 s[12:13], s[12:13], exec
	s_and_b64 s[16:17], s[18:19], exec
	s_or_b64 s[12:13], s[12:13], s[16:17]
.LBB276_507:
	s_or_b64 exec, exec, s[14:15]
	s_andn2_b64 s[10:11], s[10:11], exec
	s_and_b64 s[12:13], s[12:13], exec
	s_or_b64 s[10:11], s[10:11], s[12:13]
.LBB276_508:
	s_andn2_saveexec_b64 s[8:9], s[8:9]
	s_cbranch_execz .LBB276_526
; %bb.509:
	v_cmp_lt_i16_e32 vcc, 1, v3
	s_and_saveexec_b64 s[12:13], vcc
	s_xor_b64 s[12:13], exec, s[12:13]
	s_cbranch_execz .LBB276_519
; %bb.510:
	v_cmp_lt_i16_e32 vcc, 2, v3
	s_mov_b64 s[16:17], s[10:11]
	s_and_saveexec_b64 s[14:15], vcc
	s_xor_b64 s[14:15], exec, s[14:15]
	s_cbranch_execz .LBB276_516
; %bb.511:
	v_cmp_lt_i16_e32 vcc, 3, v3
	v_cndmask_b32_e64 v0, 0, 1, s[10:11]
	s_and_saveexec_b64 s[16:17], vcc
	s_xor_b64 s[16:17], exec, s[16:17]
	s_cbranch_execz .LBB276_513
; %bb.512:
	s_mov_b32 s18, 0
	v_mov_b32_e32 v1, s18
	flat_store_dwordx2 v[9:10], v[0:1]
                                        ; implicit-def: $vgpr9_vgpr10
                                        ; implicit-def: $vgpr0
.LBB276_513:
	s_andn2_saveexec_b64 s[16:17], s[16:17]
	s_cbranch_execz .LBB276_515
; %bb.514:
	flat_store_dword v[9:10], v0
.LBB276_515:
	s_or_b64 exec, exec, s[16:17]
	s_andn2_b64 s[16:17], s[10:11], exec
	s_and_b64 s[18:19], s[10:11], exec
	s_or_b64 s[16:17], s[16:17], s[18:19]
                                        ; implicit-def: $vgpr9_vgpr10
.LBB276_516:
	s_andn2_saveexec_b64 s[14:15], s[14:15]
	s_cbranch_execz .LBB276_518
; %bb.517:
	v_cndmask_b32_e64 v0, 0, 1, s[16:17]
	flat_store_short v[9:10], v0
.LBB276_518:
	s_or_b64 exec, exec, s[14:15]
	s_andn2_b64 s[10:11], s[10:11], exec
	s_and_b64 s[14:15], s[16:17], exec
	s_or_b64 s[10:11], s[10:11], s[14:15]
                                        ; implicit-def: $vgpr9_vgpr10
.LBB276_519:
	s_andn2_saveexec_b64 s[12:13], s[12:13]
	s_cbranch_execz .LBB276_525
; %bb.520:
	v_cmp_lt_i16_e32 vcc, 0, v3
	v_cndmask_b32_e64 v0, 0, 1, s[10:11]
	s_and_saveexec_b64 s[10:11], vcc
	s_xor_b64 s[10:11], exec, s[10:11]
	s_cbranch_execz .LBB276_522
; %bb.521:
	flat_store_byte v[9:10], v0
                                        ; implicit-def: $vgpr9_vgpr10
                                        ; implicit-def: $vgpr0
.LBB276_522:
	s_andn2_saveexec_b64 s[10:11], s[10:11]
	s_cbranch_execz .LBB276_524
; %bb.523:
	flat_store_byte v[9:10], v0
.LBB276_524:
	s_or_b64 exec, exec, s[10:11]
.LBB276_525:
	s_or_b64 exec, exec, s[12:13]
.LBB276_526:
	s_or_b64 exec, exec, s[8:9]
	s_or_b64 s[4:5], s[4:5], exec
	s_or_b64 exec, exec, s[6:7]
	s_and_saveexec_b64 s[6:7], s[4:5]
	s_endpgm
.LBB276_527:
	s_andn2_saveexec_b64 s[6:7], s[6:7]
	s_cbranch_execz .LBB276_475
.LBB276_528:
	buffer_load_dword v0, off, s[0:3], 0 offset:32
	buffer_load_dword v2, off, s[0:3], 0 offset:36
	;; [unrolled: 1-line block ×6, first 2 shown]
	v_cmp_lt_u32_e64 s[4:5], 1, v14
	s_waitcnt vmcnt(0)
	v_mul_hi_u32 v0, v0, v1
	v_add_u32_e32 v0, v1, v0
	v_lshrrev_b32_e32 v3, v2, v0
	v_mul_lo_u32 v0, v3, v5
	v_sub_u32_e32 v0, v1, v0
	v_mul_lo_u32 v18, v0, v7
	v_mul_lo_u32 v2, v0, v9
	;; [unrolled: 1-line block ×3, first 2 shown]
	s_and_saveexec_b64 s[8:9], s[4:5]
	s_cbranch_execz .LBB276_530
; %bb.529:
	buffer_load_dword v1, off, s[0:3], 0 offset:44
	buffer_load_dword v5, off, s[0:3], 0 offset:48
	;; [unrolled: 1-line block ×6, first 2 shown]
	s_waitcnt vmcnt(0)
	v_mul_hi_u32 v1, v1, v3
	v_add_u32_e32 v1, v3, v1
	v_lshrrev_b32_e32 v1, v5, v1
	v_mul_lo_u32 v1, v1, v7
	v_sub_u32_e32 v1, v3, v1
	v_mad_u64_u32 v[18:19], s[4:5], v1, v9, v[18:19]
	v_mad_u64_u32 v[2:3], s[4:5], v1, v11, v[2:3]
	;; [unrolled: 1-line block ×3, first 2 shown]
.LBB276_530:
	s_or_b64 exec, exec, s[8:9]
	s_or_b64 exec, exec, s[6:7]
                                        ; implicit-def: $vgpr16
                                        ; implicit-def: $vgpr13
                                        ; implicit-def: $vgpr11
	s_and_saveexec_b64 s[4:5], vcc
	s_xor_b64 s[4:5], exec, s[4:5]
	s_cbranch_execnz .LBB276_476
.LBB276_531:
	s_andn2_saveexec_b64 s[4:5], s[4:5]
	s_cbranch_execz .LBB276_535
.LBB276_532:
	buffer_load_dword v1, off, s[0:3], 0 offset:32
	buffer_load_dword v3, off, s[0:3], 0 offset:36
	;; [unrolled: 1-line block ×6, first 2 shown]
	v_cmp_lt_u32_e32 vcc, 1, v14
	s_waitcnt vmcnt(0)
	v_mul_hi_u32 v1, v1, v12
	v_add_u32_e32 v1, v12, v1
	v_lshrrev_b32_e32 v1, v3, v1
	v_mul_lo_u32 v3, v1, v5
	v_sub_u32_e32 v3, v12, v3
	v_mul_lo_u32 v16, v3, v7
	v_mul_lo_u32 v13, v3, v9
	;; [unrolled: 1-line block ×3, first 2 shown]
	s_and_saveexec_b64 s[6:7], vcc
	s_cbranch_execz .LBB276_534
; %bb.533:
	buffer_load_dword v3, off, s[0:3], 0 offset:44
	buffer_load_dword v5, off, s[0:3], 0 offset:48
	;; [unrolled: 1-line block ×6, first 2 shown]
	s_waitcnt vmcnt(0)
	v_mul_hi_u32 v3, v3, v1
	v_add_u32_e32 v3, v1, v3
	v_lshrrev_b32_e32 v3, v5, v3
	v_mul_lo_u32 v3, v3, v7
	v_sub_u32_e32 v1, v1, v3
	v_mad_u64_u32 v[16:17], s[8:9], v1, v9, v[16:17]
	v_mad_u64_u32 v[13:14], s[8:9], v1, v12, v[13:14]
	;; [unrolled: 1-line block ×3, first 2 shown]
.LBB276_534:
	s_or_b64 exec, exec, s[6:7]
.LBB276_535:
	s_or_b64 exec, exec, s[4:5]
	buffer_store_dword v16, off, s[0:3], 0 offset:12
	buffer_store_dword v13, off, s[0:3], 0 offset:16
	;; [unrolled: 1-line block ×3, first 2 shown]
	buffer_load_dword v1, off, s[0:3], 0 offset:424
	buffer_load_dword v17, off, s[0:3], 0 offset:416
	;; [unrolled: 1-line block ×3, first 2 shown]
	buffer_load_ubyte v12, off, s[0:3], 0 offset:445
	buffer_load_dword v19, off, s[0:3], 0 offset:420
	buffer_load_dword v15, off, s[0:3], 0 offset:440
	s_mov_b64 s[6:7], 0
	s_mov_b64 s[38:39], s[34:35]
                                        ; implicit-def: $vgpr21
	s_waitcnt vmcnt(0)
	v_add_co_u32_e32 v9, vcc, v1, v10
	v_addc_co_u32_e32 v10, vcc, 0, v24, vcc
	v_cmp_lt_i16_e32 vcc, 10, v12
	s_and_saveexec_b64 s[4:5], vcc
	s_xor_b64 s[4:5], exec, s[4:5]
	s_cbranch_execz .LBB276_630
; %bb.536:
	v_cmp_lt_i16_e32 vcc, 25, v12
	s_mov_b64 s[12:13], 0
	s_mov_b64 s[10:11], 0
                                        ; implicit-def: $vgpr21
	s_and_saveexec_b64 s[8:9], vcc
	s_xor_b64 s[8:9], exec, s[8:9]
	s_cbranch_execz .LBB276_2237
; %bb.537:
	v_cmp_lt_i16_e32 vcc, 28, v12
	s_mov_b64 s[14:15], 0
                                        ; implicit-def: $vgpr21
	s_and_saveexec_b64 s[10:11], vcc
	s_xor_b64 s[10:11], exec, s[10:11]
	s_cbranch_execz .LBB276_577
; %bb.538:
	v_cmp_lt_i16_e32 vcc, 43, v12
	s_mov_b64 s[16:17], 0
	s_mov_b64 s[18:19], 0
                                        ; implicit-def: $vgpr21
	s_and_saveexec_b64 s[12:13], vcc
	s_xor_b64 s[12:13], exec, s[12:13]
	s_cbranch_execz .LBB276_564
; %bb.539:
	v_cmp_lt_i16_e32 vcc, 45, v12
                                        ; implicit-def: $vgpr21
	s_and_saveexec_b64 s[18:19], vcc
	s_xor_b64 s[18:19], exec, s[18:19]
	s_cbranch_execz .LBB276_551
; %bb.540:
	v_cmp_eq_u16_e32 vcc, 46, v12
	s_mov_b64 s[20:21], -1
                                        ; implicit-def: $vgpr21
	s_and_saveexec_b64 s[14:15], vcc
	s_cbranch_execz .LBB276_550
; %bb.541:
	flat_load_dword v3, v[9:10]
	s_mov_b32 s16, 0x43f00000
                                        ; implicit-def: $vgpr5
	s_waitcnt vmcnt(0) lgkmcnt(0)
	v_lshlrev_b32_e32 v3, 16, v3
	v_and_b32_e32 v7, 0x7fffffff, v3
	v_cmp_gt_u32_e32 vcc, s16, v7
	s_and_saveexec_b64 s[16:17], vcc
	s_xor_b64 s[16:17], exec, s[16:17]
	s_cbranch_execz .LBB276_547
; %bb.542:
	s_mov_b32 s20, 0x3c7fffff
	v_cmp_lt_u32_e32 vcc, s20, v7
                                        ; implicit-def: $vgpr5
	s_and_saveexec_b64 s[20:21], vcc
	s_xor_b64 s[20:21], exec, s[20:21]
; %bb.543:
	v_bfe_u32 v5, v3, 20, 1
	s_mov_b32 s22, 0x407ffff
	v_add3_u32 v5, v3, v5, s22
	v_lshrrev_b32_e32 v7, 20, v5
	v_and_b32_e32 v5, 0xff00000, v5
	s_mov_b32 s22, 0x7f00000
	v_mov_b32_e32 v11, 0x7e
	v_cmp_ne_u32_e32 vcc, s22, v5
	v_cndmask_b32_e32 v5, v11, v7, vcc
; %bb.544:
	s_andn2_saveexec_b64 s[20:21], s[20:21]
; %bb.545:
	s_mov_b32 s22, 0x46800000
	v_add_f32_e64 v5, |v3|, s22
; %bb.546:
	s_or_b64 exec, exec, s[20:21]
                                        ; implicit-def: $vgpr7
.LBB276_547:
	s_andn2_saveexec_b64 s[16:17], s[16:17]
; %bb.548:
	s_mov_b32 s20, 0x7f800000
	v_mov_b32_e32 v5, 0x7e
	v_mov_b32_e32 v11, 0x7f
	v_cmp_lt_u32_e32 vcc, s20, v7
	v_cndmask_b32_e32 v5, v5, v11, vcc
; %bb.549:
	s_or_b64 exec, exec, s[16:17]
	v_lshrrev_b32_e32 v3, 24, v3
	s_movk_i32 s20, 0x80
	s_mov_b64 s[16:17], exec
	v_and_or_b32 v21, v3, s20, v5
	s_xor_b64 s[20:21], exec, -1
.LBB276_550:
	s_or_b64 exec, exec, s[14:15]
	s_and_b64 s[16:17], s[16:17], exec
	s_and_b64 s[14:15], s[20:21], exec
.LBB276_551:
	s_andn2_saveexec_b64 s[18:19], s[18:19]
	s_cbranch_execz .LBB276_563
; %bb.552:
	v_cmp_eq_u16_e32 vcc, 44, v12
	s_mov_b64 s[22:23], -1
	s_mov_b64 s[24:25], s[16:17]
                                        ; implicit-def: $vgpr21
	s_and_saveexec_b64 s[20:21], vcc
	s_cbranch_execz .LBB276_562
; %bb.553:
	flat_load_ubyte v3, v[9:10]
	s_movk_i32 s22, 0xff
	v_mov_b32_e32 v5, 0x7f800001
	v_mov_b32_e32 v7, 0x400000
                                        ; implicit-def: $vgpr21
	s_waitcnt vmcnt(0) lgkmcnt(0)
	v_lshlrev_b32_e32 v11, 23, v3
	v_cmp_ne_u32_e32 vcc, s22, v3
	v_cndmask_b32_e32 v5, v5, v11, vcc
	v_cmp_ne_u32_e32 vcc, 0, v3
	v_cndmask_b32_e32 v3, v7, v5, vcc
	s_mov_b32 s22, 0x43f00000
	v_cmp_gt_u32_e32 vcc, s22, v3
	s_and_saveexec_b64 s[22:23], vcc
	s_xor_b64 s[22:23], exec, s[22:23]
	s_cbranch_execz .LBB276_559
; %bb.554:
	s_mov_b32 s24, 0x3c7fffff
	v_cmp_lt_u32_e32 vcc, s24, v3
                                        ; implicit-def: $vgpr21
	s_and_saveexec_b64 s[24:25], vcc
	s_xor_b64 s[24:25], exec, s[24:25]
; %bb.555:
	v_bfe_u32 v5, v3, 20, 1
	s_mov_b32 s26, 0x407ffff
	v_add3_u32 v3, v3, v5, s26
	v_lshrrev_b32_e32 v5, 20, v3
	v_and_b32_e32 v3, 0xff00000, v3
	s_mov_b32 s26, 0x7f00000
	v_mov_b32_e32 v7, 0x7e
	v_cmp_ne_u32_e32 vcc, s26, v3
	v_cndmask_b32_e32 v21, v7, v5, vcc
                                        ; implicit-def: $vgpr3
; %bb.556:
	s_andn2_saveexec_b64 s[24:25], s[24:25]
; %bb.557:
	v_add_f32_e32 v21, 0x46800000, v3
; %bb.558:
	s_or_b64 exec, exec, s[24:25]
                                        ; implicit-def: $vgpr3
.LBB276_559:
	s_andn2_saveexec_b64 s[22:23], s[22:23]
; %bb.560:
	s_mov_b32 s24, 0x7f800000
	v_mov_b32_e32 v5, 0x7e
	v_mov_b32_e32 v7, 0x7f
	v_cmp_lt_u32_e32 vcc, s24, v3
	v_cndmask_b32_e32 v21, v5, v7, vcc
; %bb.561:
	s_or_b64 exec, exec, s[22:23]
	s_or_b64 s[24:25], s[16:17], exec
	s_xor_b64 s[22:23], exec, -1
.LBB276_562:
	s_or_b64 exec, exec, s[20:21]
	s_andn2_b64 s[16:17], s[16:17], exec
	s_and_b64 s[20:21], s[24:25], exec
	s_or_b64 s[16:17], s[16:17], s[20:21]
	s_andn2_b64 s[14:15], s[14:15], exec
	s_and_b64 s[20:21], s[22:23], exec
	s_or_b64 s[14:15], s[14:15], s[20:21]
.LBB276_563:
	s_or_b64 exec, exec, s[18:19]
	s_and_b64 s[18:19], s[16:17], exec
	s_and_b64 s[16:17], s[14:15], exec
.LBB276_564:
	s_andn2_saveexec_b64 s[12:13], s[12:13]
	s_cbranch_execz .LBB276_576
; %bb.565:
	v_cmp_eq_u16_e32 vcc, 29, v12
	s_mov_b64 s[20:21], -1
	s_mov_b64 s[22:23], s[18:19]
                                        ; implicit-def: $vgpr21
	s_and_saveexec_b64 s[14:15], vcc
	s_cbranch_execz .LBB276_575
; %bb.566:
	flat_load_dwordx2 v[13:14], v[9:10]
	s_mov_b32 s20, 0x43f00000
                                        ; implicit-def: $vgpr21
	s_waitcnt vmcnt(0) lgkmcnt(0)
	v_ffbh_u32_e32 v3, v14
	v_min_u32_e32 v3, 32, v3
	v_lshlrev_b64 v[13:14], v3, v[13:14]
	v_sub_u32_e32 v3, 32, v3
	v_min_u32_e32 v5, 1, v13
	v_or_b32_e32 v5, v14, v5
	v_cvt_f32_u32_e32 v5, v5
	v_ldexp_f32 v3, v5, v3
	v_cmp_gt_u32_e32 vcc, s20, v3
	s_and_saveexec_b64 s[20:21], vcc
	s_xor_b64 s[20:21], exec, s[20:21]
	s_cbranch_execz .LBB276_572
; %bb.567:
	s_mov_b32 s22, 0x3c7fffff
	v_cmp_lt_u32_e32 vcc, s22, v3
                                        ; implicit-def: $vgpr21
	s_and_saveexec_b64 s[22:23], vcc
	s_xor_b64 s[22:23], exec, s[22:23]
; %bb.568:
	v_bfe_u32 v5, v3, 20, 1
	s_mov_b32 s24, 0x407ffff
	v_add3_u32 v3, v3, v5, s24
	v_lshrrev_b32_e32 v5, 20, v3
	v_and_b32_e32 v3, 0xff00000, v3
	s_mov_b32 s24, 0x7f00000
	v_mov_b32_e32 v7, 0x7e
	v_cmp_ne_u32_e32 vcc, s24, v3
	v_cndmask_b32_e32 v21, v7, v5, vcc
                                        ; implicit-def: $vgpr3
; %bb.569:
	s_andn2_saveexec_b64 s[22:23], s[22:23]
; %bb.570:
	v_add_f32_e32 v21, 0x46800000, v3
; %bb.571:
	s_or_b64 exec, exec, s[22:23]
                                        ; implicit-def: $vgpr3
.LBB276_572:
	s_andn2_saveexec_b64 s[20:21], s[20:21]
; %bb.573:
	s_mov_b32 s22, 0x7f800000
	v_mov_b32_e32 v5, 0x7e
	v_mov_b32_e32 v7, 0x7f
	v_cmp_lt_u32_e32 vcc, s22, v3
	v_cndmask_b32_e32 v21, v5, v7, vcc
; %bb.574:
	s_or_b64 exec, exec, s[20:21]
	s_or_b64 s[22:23], s[18:19], exec
	s_xor_b64 s[20:21], exec, -1
.LBB276_575:
	s_or_b64 exec, exec, s[14:15]
	s_andn2_b64 s[14:15], s[18:19], exec
	s_and_b64 s[18:19], s[22:23], exec
	s_or_b64 s[18:19], s[14:15], s[18:19]
	s_andn2_b64 s[14:15], s[16:17], exec
	s_and_b64 s[16:17], s[20:21], exec
	s_or_b64 s[16:17], s[14:15], s[16:17]
.LBB276_576:
	s_or_b64 exec, exec, s[12:13]
	s_and_b64 s[14:15], s[18:19], exec
	s_and_b64 s[12:13], s[16:17], exec
.LBB276_577:
	s_andn2_saveexec_b64 s[10:11], s[10:11]
	s_cbranch_execz .LBB276_617
; %bb.578:
	v_cmp_lt_i16_e32 vcc, 26, v12
                                        ; implicit-def: $vgpr21
	s_and_saveexec_b64 s[16:17], vcc
	s_xor_b64 s[16:17], exec, s[16:17]
	s_cbranch_execz .LBB276_600
; %bb.579:
	v_cmp_lt_i16_e32 vcc, 27, v12
                                        ; implicit-def: $vgpr21
	s_and_saveexec_b64 s[18:19], vcc
	s_xor_b64 s[18:19], exec, s[18:19]
	s_cbranch_execz .LBB276_589
; %bb.580:
	flat_load_dword v3, v[9:10]
	s_mov_b32 s20, 0x43f00000
                                        ; implicit-def: $vgpr21
	s_waitcnt vmcnt(0) lgkmcnt(0)
	v_cvt_f32_u32_e32 v3, v3
	v_cmp_gt_u32_e32 vcc, s20, v3
	s_and_saveexec_b64 s[20:21], vcc
	s_xor_b64 s[20:21], exec, s[20:21]
	s_cbranch_execz .LBB276_586
; %bb.581:
	s_mov_b32 s22, 0x3c7fffff
	v_cmp_lt_u32_e32 vcc, s22, v3
                                        ; implicit-def: $vgpr21
	s_and_saveexec_b64 s[22:23], vcc
	s_xor_b64 s[22:23], exec, s[22:23]
; %bb.582:
	v_bfe_u32 v5, v3, 20, 1
	s_mov_b32 s24, 0x407ffff
	v_add3_u32 v3, v3, v5, s24
	v_lshrrev_b32_e32 v5, 20, v3
	v_and_b32_e32 v3, 0xff00000, v3
	s_mov_b32 s24, 0x7f00000
	v_mov_b32_e32 v7, 0x7e
	v_cmp_ne_u32_e32 vcc, s24, v3
	v_cndmask_b32_e32 v21, v7, v5, vcc
                                        ; implicit-def: $vgpr3
; %bb.583:
	s_andn2_saveexec_b64 s[22:23], s[22:23]
; %bb.584:
	v_add_f32_e32 v21, 0x46800000, v3
; %bb.585:
	s_or_b64 exec, exec, s[22:23]
                                        ; implicit-def: $vgpr3
.LBB276_586:
	s_andn2_saveexec_b64 s[20:21], s[20:21]
; %bb.587:
	s_mov_b32 s22, 0x7f800000
	v_mov_b32_e32 v5, 0x7e
	v_mov_b32_e32 v7, 0x7f
	v_cmp_lt_u32_e32 vcc, s22, v3
	v_cndmask_b32_e32 v21, v5, v7, vcc
; %bb.588:
	s_or_b64 exec, exec, s[20:21]
.LBB276_589:
	s_andn2_saveexec_b64 s[18:19], s[18:19]
	s_cbranch_execz .LBB276_599
; %bb.590:
	flat_load_ushort v3, v[9:10]
	s_mov_b32 s20, 0x43f00000
                                        ; implicit-def: $vgpr21
	s_waitcnt vmcnt(0) lgkmcnt(0)
	v_cvt_f32_u32_e32 v3, v3
	v_cmp_gt_u32_e32 vcc, s20, v3
	s_and_saveexec_b64 s[20:21], vcc
	s_xor_b64 s[20:21], exec, s[20:21]
	s_cbranch_execz .LBB276_596
; %bb.591:
	s_mov_b32 s22, 0x3c7fffff
	v_cmp_lt_u32_e32 vcc, s22, v3
                                        ; implicit-def: $vgpr21
	s_and_saveexec_b64 s[22:23], vcc
	s_xor_b64 s[22:23], exec, s[22:23]
; %bb.592:
	v_bfe_u32 v5, v3, 20, 1
	s_mov_b32 s24, 0x407ffff
	v_add3_u32 v3, v3, v5, s24
	v_lshrrev_b32_e32 v5, 20, v3
	v_and_b32_e32 v3, 0xff00000, v3
	s_mov_b32 s24, 0x7f00000
	v_mov_b32_e32 v7, 0x7e
	v_cmp_ne_u32_e32 vcc, s24, v3
	v_cndmask_b32_e32 v21, v7, v5, vcc
                                        ; implicit-def: $vgpr3
; %bb.593:
	s_andn2_saveexec_b64 s[22:23], s[22:23]
; %bb.594:
	v_add_f32_e32 v21, 0x46800000, v3
; %bb.595:
	s_or_b64 exec, exec, s[22:23]
                                        ; implicit-def: $vgpr3
.LBB276_596:
	s_andn2_saveexec_b64 s[20:21], s[20:21]
; %bb.597:
	s_mov_b32 s22, 0x7f800000
	v_mov_b32_e32 v5, 0x7e
	v_mov_b32_e32 v7, 0x7f
	v_cmp_lt_u32_e32 vcc, s22, v3
	v_cndmask_b32_e32 v21, v5, v7, vcc
; %bb.598:
	s_or_b64 exec, exec, s[20:21]
.LBB276_599:
	s_or_b64 exec, exec, s[18:19]
.LBB276_600:
	s_andn2_saveexec_b64 s[16:17], s[16:17]
	s_cbranch_execz .LBB276_616
; %bb.601:
	flat_load_ubyte v5, v[9:10]
	s_movk_i32 s18, 0x7f
	s_waitcnt vmcnt(0) lgkmcnt(0)
	v_cmp_lt_i16_e32 vcc, s18, v5
	s_mov_b64 s[18:19], 0
	s_and_saveexec_b64 s[20:21], vcc
	s_xor_b64 s[20:21], exec, s[20:21]
	s_cbranch_execz .LBB276_2474
; %bb.602:
	s_movk_i32 s18, 0x80
	v_cmp_eq_u16_e32 vcc, s18, v5
	s_mov_b64 s[18:19], -1
	s_and_saveexec_b64 s[22:23], vcc
; %bb.603:
	s_xor_b64 s[18:19], exec, -1
; %bb.604:
	s_or_b64 exec, exec, s[22:23]
	s_and_b64 s[18:19], s[18:19], exec
	s_or_saveexec_b64 s[20:21], s[20:21]
	v_mov_b32_e32 v3, 0x7f800001
	s_xor_b64 exec, exec, s[20:21]
	s_cbranch_execnz .LBB276_2475
.LBB276_605:
	s_or_b64 exec, exec, s[20:21]
	s_and_saveexec_b64 s[20:21], s[18:19]
	s_cbranch_execz .LBB276_607
.LBB276_606:
	v_lshlrev_b32_e32 v3, 24, v5
	v_and_b32_e32 v5, 0xffff, v5
	v_and_b32_e32 v7, 7, v5
	v_ffbh_u32_e32 v13, v7
	v_min_u32_e32 v13, 32, v13
	v_subrev_u32_e32 v14, 28, v13
	v_bfe_u32 v11, v5, 3, 4
	v_lshlrev_b32_e32 v5, v14, v5
	v_sub_u32_e32 v13, 29, v13
	v_and_b32_e32 v5, 7, v5
	v_cmp_eq_u32_e32 vcc, 0, v11
	v_cndmask_b32_e32 v11, v11, v13, vcc
	v_cndmask_b32_e32 v5, v7, v5, vcc
	v_mov_b32_e32 v7, 0x3b800000
	v_lshlrev_b32_e32 v5, 20, v5
	v_and_b32_e32 v3, 0x80000000, v3
	v_lshl_add_u32 v7, v11, 23, v7
	v_or3_b32 v3, v3, v7, v5
.LBB276_607:
	s_or_b64 exec, exec, s[20:21]
	v_and_b32_e32 v7, 0x7fffffff, v3
	s_mov_b32 s18, 0x43f00000
	v_cmp_gt_u32_e32 vcc, s18, v7
                                        ; implicit-def: $vgpr5
	s_and_saveexec_b64 s[18:19], vcc
	s_xor_b64 s[18:19], exec, s[18:19]
	s_cbranch_execz .LBB276_613
; %bb.608:
	s_mov_b32 s20, 0x3c7fffff
	v_cmp_lt_u32_e32 vcc, s20, v7
                                        ; implicit-def: $vgpr5
	s_and_saveexec_b64 s[20:21], vcc
	s_xor_b64 s[20:21], exec, s[20:21]
; %bb.609:
	v_bfe_u32 v5, v3, 20, 1
	s_mov_b32 s22, 0x407ffff
	v_add3_u32 v5, v3, v5, s22
	v_lshrrev_b32_e32 v7, 20, v5
	v_and_b32_e32 v5, 0xff00000, v5
	s_mov_b32 s22, 0x7f00000
	v_mov_b32_e32 v11, 0x7e
	v_cmp_ne_u32_e32 vcc, s22, v5
	v_cndmask_b32_e32 v5, v11, v7, vcc
; %bb.610:
	s_andn2_saveexec_b64 s[20:21], s[20:21]
; %bb.611:
	s_mov_b32 s22, 0x46800000
	v_add_f32_e64 v5, |v3|, s22
; %bb.612:
	s_or_b64 exec, exec, s[20:21]
                                        ; implicit-def: $vgpr7
.LBB276_613:
	s_andn2_saveexec_b64 s[18:19], s[18:19]
; %bb.614:
	s_mov_b32 s20, 0x7f800000
	v_mov_b32_e32 v5, 0x7e
	v_mov_b32_e32 v11, 0x7f
	v_cmp_lt_u32_e32 vcc, s20, v7
	v_cndmask_b32_e32 v5, v5, v11, vcc
; %bb.615:
	s_or_b64 exec, exec, s[18:19]
	v_lshrrev_b32_e32 v3, 24, v3
	s_movk_i32 s18, 0x80
	v_and_or_b32 v21, v3, s18, v5
.LBB276_616:
	s_or_b64 exec, exec, s[16:17]
	s_or_b64 s[14:15], s[14:15], exec
.LBB276_617:
	s_or_b64 exec, exec, s[10:11]
	s_and_b64 s[10:11], s[14:15], exec
	s_and_b64 s[12:13], s[12:13], exec
	s_andn2_saveexec_b64 s[8:9], s[8:9]
	s_cbranch_execnz .LBB276_2238
.LBB276_618:
	s_or_b64 exec, exec, s[8:9]
	s_mov_b64 s[8:9], s[34:35]
	s_and_saveexec_b64 s[14:15], s[12:13]
	s_cbranch_execnz .LBB276_2287
.LBB276_619:
	s_or_b64 exec, exec, s[14:15]
	s_and_saveexec_b64 s[12:13], s[6:7]
	s_cbranch_execz .LBB276_629
.LBB276_620:
	flat_load_ubyte v3, v[9:10]
	s_mov_b32 s6, 0x43f00000
                                        ; implicit-def: $vgpr21
	s_waitcnt vmcnt(0) lgkmcnt(0)
	v_cmp_ne_u16_e32 vcc, 0, v3
	v_cndmask_b32_e64 v3, 0, 1.0, vcc
	v_cmp_gt_u32_e32 vcc, s6, v3
	s_and_saveexec_b64 s[6:7], vcc
	s_xor_b64 s[6:7], exec, s[6:7]
	s_cbranch_execz .LBB276_626
; %bb.621:
	s_mov_b32 s14, 0x3c7fffff
	v_cmp_lt_u32_e32 vcc, s14, v3
                                        ; implicit-def: $vgpr21
	s_and_saveexec_b64 s[14:15], vcc
	s_xor_b64 s[14:15], exec, s[14:15]
; %bb.622:
	v_bfe_u32 v5, v3, 20, 1
	s_mov_b32 s16, 0x407ffff
	v_add3_u32 v3, v3, v5, s16
	v_lshrrev_b32_e32 v5, 20, v3
	v_and_b32_e32 v3, 0xff00000, v3
	s_mov_b32 s16, 0x7f00000
	v_mov_b32_e32 v7, 0x7e
	v_cmp_ne_u32_e32 vcc, s16, v3
	v_cndmask_b32_e32 v21, v7, v5, vcc
                                        ; implicit-def: $vgpr3
; %bb.623:
	s_andn2_saveexec_b64 s[14:15], s[14:15]
; %bb.624:
	v_add_f32_e32 v21, 0x46800000, v3
; %bb.625:
	s_or_b64 exec, exec, s[14:15]
                                        ; implicit-def: $vgpr3
.LBB276_626:
	s_andn2_saveexec_b64 s[6:7], s[6:7]
; %bb.627:
	s_mov_b32 s14, 0x7f800000
	v_mov_b32_e32 v5, 0x7e
	v_mov_b32_e32 v7, 0x7f
	v_cmp_lt_u32_e32 vcc, s14, v3
	v_cndmask_b32_e32 v21, v5, v7, vcc
; %bb.628:
	s_or_b64 exec, exec, s[6:7]
	s_or_b64 s[10:11], s[10:11], exec
.LBB276_629:
	s_or_b64 exec, exec, s[12:13]
	s_andn2_b64 s[6:7], s[34:35], exec
	s_and_b64 s[8:9], s[8:9], exec
	s_or_b64 s[38:39], s[6:7], s[8:9]
	s_and_b64 s[6:7], s[10:11], exec
                                        ; implicit-def: $vgpr9_vgpr10
.LBB276_630:
	s_andn2_saveexec_b64 s[4:5], s[4:5]
	s_cbranch_execz .LBB276_760
; %bb.631:
	v_cmp_lt_i16_e32 vcc, 4, v12
                                        ; implicit-def: $vgpr21
	s_and_saveexec_b64 s[8:9], vcc
	s_xor_b64 s[8:9], exec, s[8:9]
	s_cbranch_execz .LBB276_701
; %bb.632:
	v_cmp_lt_i16_e32 vcc, 7, v12
                                        ; implicit-def: $vgpr21
	s_and_saveexec_b64 s[10:11], vcc
	s_xor_b64 s[10:11], exec, s[10:11]
	;; [unrolled: 6-line block ×4, first 2 shown]
	s_cbranch_execz .LBB276_644
; %bb.635:
	flat_load_dwordx2 v[9:10], v[9:10]
	s_mov_b32 s16, 0x43f00000
                                        ; implicit-def: $vgpr5
	s_waitcnt vmcnt(0) lgkmcnt(0)
	v_cvt_f32_f64_e32 v3, v[9:10]
	v_and_b32_e32 v7, 0x7fffffff, v3
	v_cmp_gt_u32_e32 vcc, s16, v7
	s_and_saveexec_b64 s[16:17], vcc
	s_xor_b64 s[16:17], exec, s[16:17]
	s_cbranch_execz .LBB276_641
; %bb.636:
	s_mov_b32 s18, 0x3c7fffff
	v_cmp_lt_u32_e32 vcc, s18, v7
                                        ; implicit-def: $vgpr5
	s_and_saveexec_b64 s[18:19], vcc
	s_xor_b64 s[18:19], exec, s[18:19]
; %bb.637:
	v_bfe_u32 v5, v3, 20, 1
	s_mov_b32 s20, 0x407ffff
	v_add3_u32 v5, v3, v5, s20
	v_lshrrev_b32_e32 v7, 20, v5
	v_and_b32_e32 v5, 0xff00000, v5
	s_mov_b32 s20, 0x7f00000
	v_mov_b32_e32 v9, 0x7e
	v_cmp_ne_u32_e32 vcc, s20, v5
	v_cndmask_b32_e32 v5, v9, v7, vcc
; %bb.638:
	s_andn2_saveexec_b64 s[18:19], s[18:19]
; %bb.639:
	s_mov_b32 s20, 0x46800000
	v_add_f32_e64 v5, |v3|, s20
; %bb.640:
	s_or_b64 exec, exec, s[18:19]
                                        ; implicit-def: $vgpr7
.LBB276_641:
	s_andn2_saveexec_b64 s[16:17], s[16:17]
; %bb.642:
	s_mov_b32 s18, 0x7f800000
	v_mov_b32_e32 v5, 0x7e
	v_mov_b32_e32 v9, 0x7f
	v_cmp_lt_u32_e32 vcc, s18, v7
	v_cndmask_b32_e32 v5, v5, v9, vcc
; %bb.643:
	s_or_b64 exec, exec, s[16:17]
	v_lshrrev_b32_e32 v3, 24, v3
	s_movk_i32 s16, 0x80
	v_and_or_b32 v21, v3, s16, v5
                                        ; implicit-def: $vgpr9_vgpr10
.LBB276_644:
	s_andn2_saveexec_b64 s[14:15], s[14:15]
	s_cbranch_execz .LBB276_654
; %bb.645:
	flat_load_dword v3, v[9:10]
	s_mov_b32 s16, 0x43f00000
                                        ; implicit-def: $vgpr5
	s_waitcnt vmcnt(0) lgkmcnt(0)
	v_and_b32_e32 v7, 0x7fffffff, v3
	v_cmp_gt_u32_e32 vcc, s16, v7
	s_and_saveexec_b64 s[16:17], vcc
	s_xor_b64 s[16:17], exec, s[16:17]
	s_cbranch_execz .LBB276_651
; %bb.646:
	s_mov_b32 s18, 0x3c7fffff
	v_cmp_lt_u32_e32 vcc, s18, v7
                                        ; implicit-def: $vgpr5
	s_and_saveexec_b64 s[18:19], vcc
	s_xor_b64 s[18:19], exec, s[18:19]
; %bb.647:
	v_bfe_u32 v5, v3, 20, 1
	s_mov_b32 s20, 0x407ffff
	v_add3_u32 v5, v3, v5, s20
	v_lshrrev_b32_e32 v7, 20, v5
	v_and_b32_e32 v5, 0xff00000, v5
	s_mov_b32 s20, 0x7f00000
	v_mov_b32_e32 v9, 0x7e
	v_cmp_ne_u32_e32 vcc, s20, v5
	v_cndmask_b32_e32 v5, v9, v7, vcc
; %bb.648:
	s_andn2_saveexec_b64 s[18:19], s[18:19]
; %bb.649:
	s_mov_b32 s20, 0x46800000
	v_add_f32_e64 v5, |v3|, s20
; %bb.650:
	s_or_b64 exec, exec, s[18:19]
                                        ; implicit-def: $vgpr7
.LBB276_651:
	s_andn2_saveexec_b64 s[16:17], s[16:17]
; %bb.652:
	s_mov_b32 s18, 0x7f800000
	v_mov_b32_e32 v5, 0x7e
	v_mov_b32_e32 v9, 0x7f
	v_cmp_lt_u32_e32 vcc, s18, v7
	v_cndmask_b32_e32 v5, v5, v9, vcc
; %bb.653:
	s_or_b64 exec, exec, s[16:17]
	v_lshrrev_b32_e32 v3, 24, v3
	s_movk_i32 s16, 0x80
	v_and_or_b32 v21, v3, s16, v5
.LBB276_654:
	s_or_b64 exec, exec, s[14:15]
                                        ; implicit-def: $vgpr9_vgpr10
.LBB276_655:
	s_andn2_saveexec_b64 s[12:13], s[12:13]
	s_cbranch_execz .LBB276_665
; %bb.656:
	flat_load_dword v3, v[9:10]
	s_mov_b32 s14, 0x43f00000
                                        ; implicit-def: $vgpr5
	s_waitcnt vmcnt(0) lgkmcnt(0)
	v_cvt_f32_f16_e32 v3, v3
	v_and_b32_e32 v7, 0x7fffffff, v3
	v_cmp_gt_u32_e32 vcc, s14, v7
	s_and_saveexec_b64 s[14:15], vcc
	s_xor_b64 s[14:15], exec, s[14:15]
	s_cbranch_execz .LBB276_662
; %bb.657:
	s_mov_b32 s16, 0x3c7fffff
	v_cmp_lt_u32_e32 vcc, s16, v7
                                        ; implicit-def: $vgpr5
	s_and_saveexec_b64 s[16:17], vcc
	s_xor_b64 s[16:17], exec, s[16:17]
; %bb.658:
	v_bfe_u32 v5, v3, 20, 1
	s_mov_b32 s18, 0x407ffff
	v_add3_u32 v5, v3, v5, s18
	v_lshrrev_b32_e32 v7, 20, v5
	v_and_b32_e32 v5, 0xff00000, v5
	s_mov_b32 s18, 0x7f00000
	v_mov_b32_e32 v9, 0x7e
	v_cmp_ne_u32_e32 vcc, s18, v5
	v_cndmask_b32_e32 v5, v9, v7, vcc
; %bb.659:
	s_andn2_saveexec_b64 s[16:17], s[16:17]
; %bb.660:
	s_mov_b32 s18, 0x46800000
	v_add_f32_e64 v5, |v3|, s18
; %bb.661:
	s_or_b64 exec, exec, s[16:17]
                                        ; implicit-def: $vgpr7
.LBB276_662:
	s_andn2_saveexec_b64 s[14:15], s[14:15]
; %bb.663:
	s_mov_b32 s16, 0x7f800000
	v_mov_b32_e32 v5, 0x7e
	v_mov_b32_e32 v9, 0x7f
	v_cmp_lt_u32_e32 vcc, s16, v7
	v_cndmask_b32_e32 v5, v5, v9, vcc
; %bb.664:
	s_or_b64 exec, exec, s[14:15]
	v_lshrrev_b32_e32 v3, 24, v3
	s_movk_i32 s14, 0x80
	v_and_or_b32 v21, v3, s14, v5
.LBB276_665:
	s_or_b64 exec, exec, s[12:13]
                                        ; implicit-def: $vgpr9_vgpr10
.LBB276_666:
	s_andn2_saveexec_b64 s[10:11], s[10:11]
	s_cbranch_execz .LBB276_700
; %bb.667:
	v_cmp_lt_i16_e32 vcc, 5, v12
                                        ; implicit-def: $vgpr21
	s_and_saveexec_b64 s[12:13], vcc
	s_xor_b64 s[12:13], exec, s[12:13]
	s_cbranch_execz .LBB276_689
; %bb.668:
	v_cmp_lt_i16_e32 vcc, 6, v12
                                        ; implicit-def: $vgpr21
	s_and_saveexec_b64 s[14:15], vcc
	s_xor_b64 s[14:15], exec, s[14:15]
	s_cbranch_execz .LBB276_678
; %bb.669:
	flat_load_dwordx2 v[9:10], v[9:10]
	s_mov_b32 s16, 0x43f00000
                                        ; implicit-def: $vgpr5
	s_waitcnt vmcnt(0) lgkmcnt(0)
	v_cvt_f32_f64_e32 v3, v[9:10]
	v_and_b32_e32 v7, 0x7fffffff, v3
	v_cmp_gt_u32_e32 vcc, s16, v7
	s_and_saveexec_b64 s[16:17], vcc
	s_xor_b64 s[16:17], exec, s[16:17]
	s_cbranch_execz .LBB276_675
; %bb.670:
	s_mov_b32 s18, 0x3c7fffff
	v_cmp_lt_u32_e32 vcc, s18, v7
                                        ; implicit-def: $vgpr5
	s_and_saveexec_b64 s[18:19], vcc
	s_xor_b64 s[18:19], exec, s[18:19]
; %bb.671:
	v_bfe_u32 v5, v3, 20, 1
	s_mov_b32 s20, 0x407ffff
	v_add3_u32 v5, v3, v5, s20
	v_lshrrev_b32_e32 v7, 20, v5
	v_and_b32_e32 v5, 0xff00000, v5
	s_mov_b32 s20, 0x7f00000
	v_mov_b32_e32 v9, 0x7e
	v_cmp_ne_u32_e32 vcc, s20, v5
	v_cndmask_b32_e32 v5, v9, v7, vcc
; %bb.672:
	s_andn2_saveexec_b64 s[18:19], s[18:19]
; %bb.673:
	s_mov_b32 s20, 0x46800000
	v_add_f32_e64 v5, |v3|, s20
; %bb.674:
	s_or_b64 exec, exec, s[18:19]
                                        ; implicit-def: $vgpr7
.LBB276_675:
	s_andn2_saveexec_b64 s[16:17], s[16:17]
; %bb.676:
	s_mov_b32 s18, 0x7f800000
	v_mov_b32_e32 v5, 0x7e
	v_mov_b32_e32 v9, 0x7f
	v_cmp_lt_u32_e32 vcc, s18, v7
	v_cndmask_b32_e32 v5, v5, v9, vcc
; %bb.677:
	s_or_b64 exec, exec, s[16:17]
	v_lshrrev_b32_e32 v3, 24, v3
	s_movk_i32 s16, 0x80
	v_and_or_b32 v21, v3, s16, v5
                                        ; implicit-def: $vgpr9_vgpr10
.LBB276_678:
	s_andn2_saveexec_b64 s[14:15], s[14:15]
	s_cbranch_execz .LBB276_688
; %bb.679:
	flat_load_dword v3, v[9:10]
	s_mov_b32 s16, 0x43f00000
                                        ; implicit-def: $vgpr5
	s_waitcnt vmcnt(0) lgkmcnt(0)
	v_and_b32_e32 v7, 0x7fffffff, v3
	v_cmp_gt_u32_e32 vcc, s16, v7
	s_and_saveexec_b64 s[16:17], vcc
	s_xor_b64 s[16:17], exec, s[16:17]
	s_cbranch_execz .LBB276_685
; %bb.680:
	s_mov_b32 s18, 0x3c7fffff
	v_cmp_lt_u32_e32 vcc, s18, v7
                                        ; implicit-def: $vgpr5
	s_and_saveexec_b64 s[18:19], vcc
	s_xor_b64 s[18:19], exec, s[18:19]
; %bb.681:
	v_bfe_u32 v5, v3, 20, 1
	s_mov_b32 s20, 0x407ffff
	v_add3_u32 v5, v3, v5, s20
	v_lshrrev_b32_e32 v7, 20, v5
	v_and_b32_e32 v5, 0xff00000, v5
	s_mov_b32 s20, 0x7f00000
	v_mov_b32_e32 v9, 0x7e
	v_cmp_ne_u32_e32 vcc, s20, v5
	v_cndmask_b32_e32 v5, v9, v7, vcc
; %bb.682:
	s_andn2_saveexec_b64 s[18:19], s[18:19]
; %bb.683:
	s_mov_b32 s20, 0x46800000
	v_add_f32_e64 v5, |v3|, s20
; %bb.684:
	s_or_b64 exec, exec, s[18:19]
                                        ; implicit-def: $vgpr7
.LBB276_685:
	s_andn2_saveexec_b64 s[16:17], s[16:17]
; %bb.686:
	s_mov_b32 s18, 0x7f800000
	v_mov_b32_e32 v5, 0x7e
	v_mov_b32_e32 v9, 0x7f
	v_cmp_lt_u32_e32 vcc, s18, v7
	v_cndmask_b32_e32 v5, v5, v9, vcc
; %bb.687:
	s_or_b64 exec, exec, s[16:17]
	v_lshrrev_b32_e32 v3, 24, v3
	s_movk_i32 s16, 0x80
	v_and_or_b32 v21, v3, s16, v5
.LBB276_688:
	s_or_b64 exec, exec, s[14:15]
                                        ; implicit-def: $vgpr9_vgpr10
.LBB276_689:
	s_andn2_saveexec_b64 s[12:13], s[12:13]
	s_cbranch_execz .LBB276_699
; %bb.690:
	flat_load_ushort v3, v[9:10]
	s_mov_b32 s14, 0x43f00000
                                        ; implicit-def: $vgpr5
	s_waitcnt vmcnt(0) lgkmcnt(0)
	v_cvt_f32_f16_e32 v3, v3
	v_and_b32_e32 v7, 0x7fffffff, v3
	v_cmp_gt_u32_e32 vcc, s14, v7
	s_and_saveexec_b64 s[14:15], vcc
	s_xor_b64 s[14:15], exec, s[14:15]
	s_cbranch_execz .LBB276_696
; %bb.691:
	s_mov_b32 s16, 0x3c7fffff
	v_cmp_lt_u32_e32 vcc, s16, v7
                                        ; implicit-def: $vgpr5
	s_and_saveexec_b64 s[16:17], vcc
	s_xor_b64 s[16:17], exec, s[16:17]
; %bb.692:
	v_bfe_u32 v5, v3, 20, 1
	s_mov_b32 s18, 0x407ffff
	v_add3_u32 v5, v3, v5, s18
	v_lshrrev_b32_e32 v7, 20, v5
	v_and_b32_e32 v5, 0xff00000, v5
	s_mov_b32 s18, 0x7f00000
	v_mov_b32_e32 v9, 0x7e
	v_cmp_ne_u32_e32 vcc, s18, v5
	v_cndmask_b32_e32 v5, v9, v7, vcc
; %bb.693:
	s_andn2_saveexec_b64 s[16:17], s[16:17]
; %bb.694:
	s_mov_b32 s18, 0x46800000
	v_add_f32_e64 v5, |v3|, s18
; %bb.695:
	s_or_b64 exec, exec, s[16:17]
                                        ; implicit-def: $vgpr7
.LBB276_696:
	s_andn2_saveexec_b64 s[14:15], s[14:15]
; %bb.697:
	s_mov_b32 s16, 0x7f800000
	v_mov_b32_e32 v5, 0x7e
	v_mov_b32_e32 v9, 0x7f
	v_cmp_lt_u32_e32 vcc, s16, v7
	v_cndmask_b32_e32 v5, v5, v9, vcc
; %bb.698:
	s_or_b64 exec, exec, s[14:15]
	v_lshrrev_b32_e32 v3, 24, v3
	s_movk_i32 s14, 0x80
	v_and_or_b32 v21, v3, s14, v5
.LBB276_699:
	s_or_b64 exec, exec, s[12:13]
.LBB276_700:
	s_or_b64 exec, exec, s[10:11]
                                        ; implicit-def: $vgpr9_vgpr10
.LBB276_701:
	s_andn2_saveexec_b64 s[8:9], s[8:9]
	s_cbranch_execz .LBB276_759
; %bb.702:
	v_cmp_lt_i16_e32 vcc, 1, v12
                                        ; implicit-def: $vgpr21
	s_and_saveexec_b64 s[10:11], vcc
	s_xor_b64 s[10:11], exec, s[10:11]
	s_cbranch_execz .LBB276_736
; %bb.703:
	v_cmp_lt_i16_e32 vcc, 2, v12
                                        ; implicit-def: $vgpr21
	s_and_saveexec_b64 s[12:13], vcc
	s_xor_b64 s[12:13], exec, s[12:13]
	s_cbranch_execz .LBB276_725
; %bb.704:
	v_cmp_lt_i16_e32 vcc, 3, v12
                                        ; implicit-def: $vgpr21
	s_and_saveexec_b64 s[14:15], vcc
	s_xor_b64 s[14:15], exec, s[14:15]
	s_cbranch_execz .LBB276_714
; %bb.705:
	flat_load_dwordx2 v[9:10], v[9:10]
	s_mov_b32 s16, 0x43f00000
	s_waitcnt vmcnt(0) lgkmcnt(0)
	v_xor_b32_e32 v5, v9, v10
	v_ffbh_i32_e32 v3, v10
	v_ashrrev_i32_e32 v5, 31, v5
	v_add_u32_e32 v3, -1, v3
	v_add_u32_e32 v5, 32, v5
	v_min_u32_e32 v3, v3, v5
	v_lshlrev_b64 v[9:10], v3, v[9:10]
	v_sub_u32_e32 v3, 32, v3
	v_min_u32_e32 v5, 1, v9
	v_or_b32_e32 v5, v10, v5
	v_cvt_f32_i32_e32 v5, v5
	v_ldexp_f32 v3, v5, v3
	v_and_b32_e32 v7, 0x7fffffff, v3
	v_cmp_gt_u32_e32 vcc, s16, v7
                                        ; implicit-def: $vgpr5
	s_and_saveexec_b64 s[16:17], vcc
	s_xor_b64 s[16:17], exec, s[16:17]
	s_cbranch_execz .LBB276_711
; %bb.706:
	s_mov_b32 s18, 0x3c7fffff
	v_cmp_lt_u32_e32 vcc, s18, v7
                                        ; implicit-def: $vgpr5
	s_and_saveexec_b64 s[18:19], vcc
	s_xor_b64 s[18:19], exec, s[18:19]
; %bb.707:
	v_bfe_u32 v5, v3, 20, 1
	s_mov_b32 s20, 0x407ffff
	v_add3_u32 v5, v3, v5, s20
	v_lshrrev_b32_e32 v7, 20, v5
	v_and_b32_e32 v5, 0xff00000, v5
	s_mov_b32 s20, 0x7f00000
	v_mov_b32_e32 v9, 0x7e
	v_cmp_ne_u32_e32 vcc, s20, v5
	v_cndmask_b32_e32 v5, v9, v7, vcc
; %bb.708:
	s_andn2_saveexec_b64 s[18:19], s[18:19]
; %bb.709:
	s_mov_b32 s20, 0x46800000
	v_add_f32_e64 v5, |v3|, s20
; %bb.710:
	s_or_b64 exec, exec, s[18:19]
                                        ; implicit-def: $vgpr7
.LBB276_711:
	s_andn2_saveexec_b64 s[16:17], s[16:17]
; %bb.712:
	s_mov_b32 s18, 0x7f800000
	v_mov_b32_e32 v5, 0x7e
	v_mov_b32_e32 v9, 0x7f
	v_cmp_lt_u32_e32 vcc, s18, v7
	v_cndmask_b32_e32 v5, v5, v9, vcc
; %bb.713:
	s_or_b64 exec, exec, s[16:17]
	v_lshrrev_b32_e32 v3, 24, v3
	s_movk_i32 s16, 0x80
	v_and_or_b32 v21, v3, s16, v5
                                        ; implicit-def: $vgpr9_vgpr10
.LBB276_714:
	s_andn2_saveexec_b64 s[14:15], s[14:15]
	s_cbranch_execz .LBB276_724
; %bb.715:
	flat_load_dword v3, v[9:10]
	s_mov_b32 s16, 0x43f00000
                                        ; implicit-def: $vgpr5
	s_waitcnt vmcnt(0) lgkmcnt(0)
	v_cvt_f32_i32_e32 v3, v3
	v_and_b32_e32 v7, 0x7fffffff, v3
	v_cmp_gt_u32_e32 vcc, s16, v7
	s_and_saveexec_b64 s[16:17], vcc
	s_xor_b64 s[16:17], exec, s[16:17]
	s_cbranch_execz .LBB276_721
; %bb.716:
	s_mov_b32 s18, 0x3c7fffff
	v_cmp_lt_u32_e32 vcc, s18, v7
                                        ; implicit-def: $vgpr5
	s_and_saveexec_b64 s[18:19], vcc
	s_xor_b64 s[18:19], exec, s[18:19]
; %bb.717:
	v_bfe_u32 v5, v3, 20, 1
	s_mov_b32 s20, 0x407ffff
	v_add3_u32 v5, v3, v5, s20
	v_lshrrev_b32_e32 v7, 20, v5
	v_and_b32_e32 v5, 0xff00000, v5
	s_mov_b32 s20, 0x7f00000
	v_mov_b32_e32 v9, 0x7e
	v_cmp_ne_u32_e32 vcc, s20, v5
	v_cndmask_b32_e32 v5, v9, v7, vcc
; %bb.718:
	s_andn2_saveexec_b64 s[18:19], s[18:19]
; %bb.719:
	s_mov_b32 s20, 0x46800000
	v_add_f32_e64 v5, |v3|, s20
; %bb.720:
	s_or_b64 exec, exec, s[18:19]
                                        ; implicit-def: $vgpr7
.LBB276_721:
	s_andn2_saveexec_b64 s[16:17], s[16:17]
; %bb.722:
	s_mov_b32 s18, 0x7f800000
	v_mov_b32_e32 v5, 0x7e
	v_mov_b32_e32 v9, 0x7f
	v_cmp_lt_u32_e32 vcc, s18, v7
	v_cndmask_b32_e32 v5, v5, v9, vcc
; %bb.723:
	s_or_b64 exec, exec, s[16:17]
	v_lshrrev_b32_e32 v3, 24, v3
	s_movk_i32 s16, 0x80
	v_and_or_b32 v21, v3, s16, v5
.LBB276_724:
	s_or_b64 exec, exec, s[14:15]
                                        ; implicit-def: $vgpr9_vgpr10
.LBB276_725:
	s_andn2_saveexec_b64 s[12:13], s[12:13]
	s_cbranch_execz .LBB276_735
; %bb.726:
	flat_load_sshort v3, v[9:10]
	s_mov_b32 s14, 0x43f00000
                                        ; implicit-def: $vgpr5
	s_waitcnt vmcnt(0) lgkmcnt(0)
	v_cvt_f32_i32_e32 v3, v3
	v_and_b32_e32 v7, 0x7fffffff, v3
	v_cmp_gt_u32_e32 vcc, s14, v7
	s_and_saveexec_b64 s[14:15], vcc
	s_xor_b64 s[14:15], exec, s[14:15]
	s_cbranch_execz .LBB276_732
; %bb.727:
	s_mov_b32 s16, 0x3c7fffff
	v_cmp_lt_u32_e32 vcc, s16, v7
                                        ; implicit-def: $vgpr5
	s_and_saveexec_b64 s[16:17], vcc
	s_xor_b64 s[16:17], exec, s[16:17]
; %bb.728:
	v_bfe_u32 v5, v3, 20, 1
	s_mov_b32 s18, 0x407ffff
	v_add3_u32 v5, v3, v5, s18
	v_lshrrev_b32_e32 v7, 20, v5
	v_and_b32_e32 v5, 0xff00000, v5
	s_mov_b32 s18, 0x7f00000
	v_mov_b32_e32 v9, 0x7e
	v_cmp_ne_u32_e32 vcc, s18, v5
	v_cndmask_b32_e32 v5, v9, v7, vcc
; %bb.729:
	s_andn2_saveexec_b64 s[16:17], s[16:17]
; %bb.730:
	s_mov_b32 s18, 0x46800000
	v_add_f32_e64 v5, |v3|, s18
; %bb.731:
	s_or_b64 exec, exec, s[16:17]
                                        ; implicit-def: $vgpr7
.LBB276_732:
	s_andn2_saveexec_b64 s[14:15], s[14:15]
; %bb.733:
	s_mov_b32 s16, 0x7f800000
	v_mov_b32_e32 v5, 0x7e
	v_mov_b32_e32 v9, 0x7f
	v_cmp_lt_u32_e32 vcc, s16, v7
	v_cndmask_b32_e32 v5, v5, v9, vcc
; %bb.734:
	s_or_b64 exec, exec, s[14:15]
	v_lshrrev_b32_e32 v3, 24, v3
	s_movk_i32 s14, 0x80
	v_and_or_b32 v21, v3, s14, v5
.LBB276_735:
	s_or_b64 exec, exec, s[12:13]
                                        ; implicit-def: $vgpr9_vgpr10
.LBB276_736:
	s_andn2_saveexec_b64 s[10:11], s[10:11]
	s_cbranch_execz .LBB276_758
; %bb.737:
	v_cmp_lt_i16_e32 vcc, 0, v12
                                        ; implicit-def: $vgpr21
	s_and_saveexec_b64 s[12:13], vcc
	s_xor_b64 s[12:13], exec, s[12:13]
	s_cbranch_execz .LBB276_747
; %bb.738:
	flat_load_sbyte v3, v[9:10]
	s_mov_b32 s14, 0x43f00000
                                        ; implicit-def: $vgpr5
	s_waitcnt vmcnt(0) lgkmcnt(0)
	v_cvt_f32_i32_e32 v3, v3
	v_and_b32_e32 v7, 0x7fffffff, v3
	v_cmp_gt_u32_e32 vcc, s14, v7
	s_and_saveexec_b64 s[14:15], vcc
	s_xor_b64 s[14:15], exec, s[14:15]
	s_cbranch_execz .LBB276_744
; %bb.739:
	s_mov_b32 s16, 0x3c7fffff
	v_cmp_lt_u32_e32 vcc, s16, v7
                                        ; implicit-def: $vgpr5
	s_and_saveexec_b64 s[16:17], vcc
	s_xor_b64 s[16:17], exec, s[16:17]
; %bb.740:
	v_bfe_u32 v5, v3, 20, 1
	s_mov_b32 s18, 0x407ffff
	v_add3_u32 v5, v3, v5, s18
	v_lshrrev_b32_e32 v7, 20, v5
	v_and_b32_e32 v5, 0xff00000, v5
	s_mov_b32 s18, 0x7f00000
	v_mov_b32_e32 v9, 0x7e
	v_cmp_ne_u32_e32 vcc, s18, v5
	v_cndmask_b32_e32 v5, v9, v7, vcc
; %bb.741:
	s_andn2_saveexec_b64 s[16:17], s[16:17]
; %bb.742:
	s_mov_b32 s18, 0x46800000
	v_add_f32_e64 v5, |v3|, s18
; %bb.743:
	s_or_b64 exec, exec, s[16:17]
                                        ; implicit-def: $vgpr7
.LBB276_744:
	s_andn2_saveexec_b64 s[14:15], s[14:15]
; %bb.745:
	s_mov_b32 s16, 0x7f800000
	v_mov_b32_e32 v5, 0x7e
	v_mov_b32_e32 v9, 0x7f
	v_cmp_lt_u32_e32 vcc, s16, v7
	v_cndmask_b32_e32 v5, v5, v9, vcc
; %bb.746:
	s_or_b64 exec, exec, s[14:15]
	v_lshrrev_b32_e32 v3, 24, v3
	s_movk_i32 s14, 0x80
	v_and_or_b32 v21, v3, s14, v5
                                        ; implicit-def: $vgpr9_vgpr10
.LBB276_747:
	s_andn2_saveexec_b64 s[12:13], s[12:13]
	s_cbranch_execz .LBB276_757
; %bb.748:
	flat_load_ubyte v3, v[9:10]
	s_mov_b32 s14, 0x43f00000
                                        ; implicit-def: $vgpr21
	s_waitcnt vmcnt(0) lgkmcnt(0)
	v_cvt_f32_ubyte0_e32 v3, v3
	v_cmp_gt_u32_e32 vcc, s14, v3
	s_and_saveexec_b64 s[14:15], vcc
	s_xor_b64 s[14:15], exec, s[14:15]
	s_cbranch_execz .LBB276_754
; %bb.749:
	s_mov_b32 s16, 0x3c7fffff
	v_cmp_lt_u32_e32 vcc, s16, v3
                                        ; implicit-def: $vgpr21
	s_and_saveexec_b64 s[16:17], vcc
	s_xor_b64 s[16:17], exec, s[16:17]
; %bb.750:
	v_bfe_u32 v5, v3, 20, 1
	s_mov_b32 s18, 0x407ffff
	v_add3_u32 v3, v3, v5, s18
	v_lshrrev_b32_e32 v5, 20, v3
	v_and_b32_e32 v3, 0xff00000, v3
	s_mov_b32 s18, 0x7f00000
	v_mov_b32_e32 v7, 0x7e
	v_cmp_ne_u32_e32 vcc, s18, v3
	v_cndmask_b32_e32 v21, v7, v5, vcc
                                        ; implicit-def: $vgpr3
; %bb.751:
	s_andn2_saveexec_b64 s[16:17], s[16:17]
; %bb.752:
	v_add_f32_e32 v21, 0x46800000, v3
; %bb.753:
	s_or_b64 exec, exec, s[16:17]
                                        ; implicit-def: $vgpr3
.LBB276_754:
	s_andn2_saveexec_b64 s[14:15], s[14:15]
; %bb.755:
	s_mov_b32 s16, 0x7f800000
	v_mov_b32_e32 v5, 0x7e
	v_mov_b32_e32 v7, 0x7f
	v_cmp_lt_u32_e32 vcc, s16, v3
	v_cndmask_b32_e32 v21, v5, v7, vcc
; %bb.756:
	s_or_b64 exec, exec, s[14:15]
.LBB276_757:
	s_or_b64 exec, exec, s[12:13]
.LBB276_758:
	s_or_b64 exec, exec, s[10:11]
.LBB276_759:
	s_or_b64 exec, exec, s[8:9]
	s_or_b64 s[6:7], s[6:7], exec
.LBB276_760:
	s_or_b64 exec, exec, s[4:5]
	s_mov_b64 s[12:13], 0
	s_mov_b64 s[8:9], 0
	;; [unrolled: 1-line block ×3, first 2 shown]
                                        ; implicit-def: $sgpr10_sgpr11
                                        ; implicit-def: $vgpr9_vgpr10
                                        ; implicit-def: $vgpr3
	s_and_saveexec_b64 s[42:43], s[6:7]
	s_cbranch_execz .LBB276_2191
; %bb.761:
	buffer_load_dword v13, off, s[0:3], 0 offset:432
	buffer_load_dword v14, off, s[0:3], 0 offset:436
	buffer_load_ubyte v11, off, s[0:3], 0 offset:446
	s_movk_i32 s4, 0x1a5
	s_movk_i32 s27, 0x1a8
	s_add_i32 s26, s4, 24
	s_mov_b64 s[6:7], 0
	s_mov_b64 s[44:45], s[38:39]
                                        ; implicit-def: $vgpr23
	s_waitcnt vmcnt(0)
	v_add_co_u32_e32 v7, vcc, v13, v8
	v_addc_co_u32_e32 v8, vcc, 0, v14, vcc
	v_cmp_lt_i16_e32 vcc, 10, v11
	s_and_saveexec_b64 s[4:5], vcc
	s_xor_b64 s[4:5], exec, s[4:5]
	s_cbranch_execz .LBB276_856
; %bb.762:
	v_cmp_lt_i16_e32 vcc, 25, v11
	s_mov_b64 s[10:11], 0
                                        ; implicit-def: $vgpr23
	s_and_saveexec_b64 s[8:9], vcc
	s_xor_b64 s[8:9], exec, s[8:9]
	s_cbranch_execz .LBB276_2330
; %bb.763:
	v_cmp_lt_i16_e32 vcc, 28, v11
                                        ; implicit-def: $vgpr23
	s_and_saveexec_b64 s[10:11], vcc
	s_xor_b64 s[10:11], exec, s[10:11]
	s_cbranch_execz .LBB276_803
; %bb.764:
	v_cmp_lt_i16_e32 vcc, 43, v11
	s_mov_b64 s[16:17], 0
	s_mov_b64 s[18:19], 0
                                        ; implicit-def: $vgpr23
	s_and_saveexec_b64 s[12:13], vcc
	s_xor_b64 s[12:13], exec, s[12:13]
	s_cbranch_execz .LBB276_790
; %bb.765:
	v_cmp_lt_i16_e32 vcc, 45, v11
                                        ; implicit-def: $vgpr23
	s_and_saveexec_b64 s[18:19], vcc
	s_xor_b64 s[18:19], exec, s[18:19]
	s_cbranch_execz .LBB276_777
; %bb.766:
	v_cmp_eq_u16_e32 vcc, 46, v11
	s_mov_b64 s[20:21], -1
                                        ; implicit-def: $vgpr23
	s_and_saveexec_b64 s[14:15], vcc
	s_cbranch_execz .LBB276_776
; %bb.767:
	flat_load_dword v3, v[7:8]
	s_mov_b32 s16, 0x43f00000
                                        ; implicit-def: $vgpr5
	s_waitcnt vmcnt(0) lgkmcnt(0)
	v_lshlrev_b32_e32 v3, 16, v3
	v_and_b32_e32 v9, 0x7fffffff, v3
	v_cmp_gt_u32_e32 vcc, s16, v9
	s_and_saveexec_b64 s[16:17], vcc
	s_xor_b64 s[16:17], exec, s[16:17]
	s_cbranch_execz .LBB276_773
; %bb.768:
	s_mov_b32 s20, 0x3c7fffff
	v_cmp_lt_u32_e32 vcc, s20, v9
                                        ; implicit-def: $vgpr5
	s_and_saveexec_b64 s[20:21], vcc
	s_xor_b64 s[20:21], exec, s[20:21]
; %bb.769:
	v_bfe_u32 v5, v3, 20, 1
	s_mov_b32 s22, 0x407ffff
	v_add3_u32 v5, v3, v5, s22
	v_lshrrev_b32_e32 v9, 20, v5
	v_and_b32_e32 v5, 0xff00000, v5
	s_mov_b32 s22, 0x7f00000
	v_mov_b32_e32 v10, 0x7e
	v_cmp_ne_u32_e32 vcc, s22, v5
	v_cndmask_b32_e32 v5, v10, v9, vcc
; %bb.770:
	s_andn2_saveexec_b64 s[20:21], s[20:21]
; %bb.771:
	s_mov_b32 s22, 0x46800000
	v_add_f32_e64 v5, |v3|, s22
; %bb.772:
	s_or_b64 exec, exec, s[20:21]
                                        ; implicit-def: $vgpr9
.LBB276_773:
	s_andn2_saveexec_b64 s[16:17], s[16:17]
; %bb.774:
	s_mov_b32 s20, 0x7f800000
	v_mov_b32_e32 v5, 0x7e
	v_mov_b32_e32 v10, 0x7f
	v_cmp_lt_u32_e32 vcc, s20, v9
	v_cndmask_b32_e32 v5, v5, v10, vcc
; %bb.775:
	s_or_b64 exec, exec, s[16:17]
	v_lshrrev_b32_e32 v3, 24, v3
	s_movk_i32 s20, 0x80
	s_mov_b64 s[16:17], exec
	v_and_or_b32 v23, v3, s20, v5
	s_xor_b64 s[20:21], exec, -1
.LBB276_776:
	s_or_b64 exec, exec, s[14:15]
	s_and_b64 s[16:17], s[16:17], exec
	s_and_b64 s[14:15], s[20:21], exec
.LBB276_777:
	s_andn2_saveexec_b64 s[18:19], s[18:19]
	s_cbranch_execz .LBB276_789
; %bb.778:
	v_cmp_eq_u16_e32 vcc, 44, v11
	s_mov_b64 s[22:23], -1
	s_mov_b64 s[24:25], s[16:17]
                                        ; implicit-def: $vgpr23
	s_and_saveexec_b64 s[20:21], vcc
	s_cbranch_execz .LBB276_788
; %bb.779:
	flat_load_ubyte v3, v[7:8]
	s_movk_i32 s22, 0xff
	v_mov_b32_e32 v5, 0x7f800001
	v_mov_b32_e32 v9, 0x400000
                                        ; implicit-def: $vgpr23
	s_waitcnt vmcnt(0) lgkmcnt(0)
	v_lshlrev_b32_e32 v10, 23, v3
	v_cmp_ne_u32_e32 vcc, s22, v3
	v_cndmask_b32_e32 v5, v5, v10, vcc
	v_cmp_ne_u32_e32 vcc, 0, v3
	v_cndmask_b32_e32 v3, v9, v5, vcc
	s_mov_b32 s22, 0x43f00000
	v_cmp_gt_u32_e32 vcc, s22, v3
	s_and_saveexec_b64 s[22:23], vcc
	s_xor_b64 s[22:23], exec, s[22:23]
	s_cbranch_execz .LBB276_785
; %bb.780:
	s_mov_b32 s24, 0x3c7fffff
	v_cmp_lt_u32_e32 vcc, s24, v3
                                        ; implicit-def: $vgpr23
	s_and_saveexec_b64 s[24:25], vcc
	s_xor_b64 s[24:25], exec, s[24:25]
; %bb.781:
	v_bfe_u32 v5, v3, 20, 1
	s_mov_b32 s28, 0x407ffff
	v_add3_u32 v3, v3, v5, s28
	v_lshrrev_b32_e32 v5, 20, v3
	v_and_b32_e32 v3, 0xff00000, v3
	s_mov_b32 s28, 0x7f00000
	v_mov_b32_e32 v9, 0x7e
	v_cmp_ne_u32_e32 vcc, s28, v3
	v_cndmask_b32_e32 v23, v9, v5, vcc
                                        ; implicit-def: $vgpr3
; %bb.782:
	s_andn2_saveexec_b64 s[24:25], s[24:25]
; %bb.783:
	v_add_f32_e32 v23, 0x46800000, v3
; %bb.784:
	s_or_b64 exec, exec, s[24:25]
                                        ; implicit-def: $vgpr3
.LBB276_785:
	s_andn2_saveexec_b64 s[22:23], s[22:23]
; %bb.786:
	s_mov_b32 s24, 0x7f800000
	v_mov_b32_e32 v5, 0x7e
	v_mov_b32_e32 v9, 0x7f
	v_cmp_lt_u32_e32 vcc, s24, v3
	v_cndmask_b32_e32 v23, v5, v9, vcc
; %bb.787:
	s_or_b64 exec, exec, s[22:23]
	s_or_b64 s[24:25], s[16:17], exec
	s_xor_b64 s[22:23], exec, -1
.LBB276_788:
	s_or_b64 exec, exec, s[20:21]
	s_andn2_b64 s[16:17], s[16:17], exec
	s_and_b64 s[20:21], s[24:25], exec
	s_or_b64 s[16:17], s[16:17], s[20:21]
	s_andn2_b64 s[14:15], s[14:15], exec
	s_and_b64 s[20:21], s[22:23], exec
	s_or_b64 s[14:15], s[14:15], s[20:21]
.LBB276_789:
	s_or_b64 exec, exec, s[18:19]
	s_and_b64 s[18:19], s[16:17], exec
	s_and_b64 s[16:17], s[14:15], exec
.LBB276_790:
	s_andn2_saveexec_b64 s[12:13], s[12:13]
	s_cbranch_execz .LBB276_802
; %bb.791:
	v_cmp_eq_u16_e32 vcc, 29, v11
	s_mov_b64 s[20:21], -1
	s_mov_b64 s[22:23], s[18:19]
                                        ; implicit-def: $vgpr23
	s_and_saveexec_b64 s[14:15], vcc
	s_cbranch_execz .LBB276_801
; %bb.792:
	flat_load_dwordx2 v[9:10], v[7:8]
	s_mov_b32 s20, 0x43f00000
                                        ; implicit-def: $vgpr23
	s_waitcnt vmcnt(0) lgkmcnt(0)
	v_ffbh_u32_e32 v3, v10
	v_min_u32_e32 v3, 32, v3
	v_lshlrev_b64 v[9:10], v3, v[9:10]
	v_sub_u32_e32 v3, 32, v3
	v_min_u32_e32 v5, 1, v9
	v_or_b32_e32 v5, v10, v5
	v_cvt_f32_u32_e32 v5, v5
	v_ldexp_f32 v3, v5, v3
	v_cmp_gt_u32_e32 vcc, s20, v3
	s_and_saveexec_b64 s[20:21], vcc
	s_xor_b64 s[20:21], exec, s[20:21]
	s_cbranch_execz .LBB276_798
; %bb.793:
	s_mov_b32 s22, 0x3c7fffff
	v_cmp_lt_u32_e32 vcc, s22, v3
                                        ; implicit-def: $vgpr23
	s_and_saveexec_b64 s[22:23], vcc
	s_xor_b64 s[22:23], exec, s[22:23]
; %bb.794:
	v_bfe_u32 v5, v3, 20, 1
	s_mov_b32 s24, 0x407ffff
	v_add3_u32 v3, v3, v5, s24
	v_lshrrev_b32_e32 v5, 20, v3
	v_and_b32_e32 v3, 0xff00000, v3
	s_mov_b32 s24, 0x7f00000
	v_mov_b32_e32 v9, 0x7e
	v_cmp_ne_u32_e32 vcc, s24, v3
	v_cndmask_b32_e32 v23, v9, v5, vcc
                                        ; implicit-def: $vgpr3
; %bb.795:
	s_andn2_saveexec_b64 s[22:23], s[22:23]
; %bb.796:
	v_add_f32_e32 v23, 0x46800000, v3
; %bb.797:
	s_or_b64 exec, exec, s[22:23]
                                        ; implicit-def: $vgpr3
.LBB276_798:
	s_andn2_saveexec_b64 s[20:21], s[20:21]
; %bb.799:
	s_mov_b32 s22, 0x7f800000
	v_mov_b32_e32 v5, 0x7e
	v_mov_b32_e32 v9, 0x7f
	v_cmp_lt_u32_e32 vcc, s22, v3
	v_cndmask_b32_e32 v23, v5, v9, vcc
; %bb.800:
	s_or_b64 exec, exec, s[20:21]
	s_or_b64 s[22:23], s[18:19], exec
	s_xor_b64 s[20:21], exec, -1
.LBB276_801:
	s_or_b64 exec, exec, s[14:15]
	s_andn2_b64 s[14:15], s[18:19], exec
	s_and_b64 s[18:19], s[22:23], exec
	s_or_b64 s[18:19], s[14:15], s[18:19]
	s_andn2_b64 s[14:15], s[16:17], exec
	s_and_b64 s[16:17], s[20:21], exec
	s_or_b64 s[16:17], s[14:15], s[16:17]
.LBB276_802:
	s_or_b64 exec, exec, s[12:13]
	s_and_b64 s[14:15], s[18:19], exec
	s_and_b64 s[12:13], s[16:17], exec
.LBB276_803:
	s_andn2_saveexec_b64 s[10:11], s[10:11]
	s_cbranch_execz .LBB276_843
; %bb.804:
	v_cmp_lt_i16_e32 vcc, 26, v11
                                        ; implicit-def: $vgpr23
	s_and_saveexec_b64 s[16:17], vcc
	s_xor_b64 s[16:17], exec, s[16:17]
	s_cbranch_execz .LBB276_826
; %bb.805:
	v_cmp_lt_i16_e32 vcc, 27, v11
                                        ; implicit-def: $vgpr23
	s_and_saveexec_b64 s[18:19], vcc
	s_xor_b64 s[18:19], exec, s[18:19]
	s_cbranch_execz .LBB276_815
; %bb.806:
	flat_load_dword v3, v[7:8]
	s_mov_b32 s20, 0x43f00000
                                        ; implicit-def: $vgpr23
	s_waitcnt vmcnt(0) lgkmcnt(0)
	v_cvt_f32_u32_e32 v3, v3
	v_cmp_gt_u32_e32 vcc, s20, v3
	s_and_saveexec_b64 s[20:21], vcc
	s_xor_b64 s[20:21], exec, s[20:21]
	s_cbranch_execz .LBB276_812
; %bb.807:
	s_mov_b32 s22, 0x3c7fffff
	v_cmp_lt_u32_e32 vcc, s22, v3
                                        ; implicit-def: $vgpr23
	s_and_saveexec_b64 s[22:23], vcc
	s_xor_b64 s[22:23], exec, s[22:23]
; %bb.808:
	v_bfe_u32 v5, v3, 20, 1
	s_mov_b32 s24, 0x407ffff
	v_add3_u32 v3, v3, v5, s24
	v_lshrrev_b32_e32 v5, 20, v3
	v_and_b32_e32 v3, 0xff00000, v3
	s_mov_b32 s24, 0x7f00000
	v_mov_b32_e32 v9, 0x7e
	v_cmp_ne_u32_e32 vcc, s24, v3
	v_cndmask_b32_e32 v23, v9, v5, vcc
                                        ; implicit-def: $vgpr3
; %bb.809:
	s_andn2_saveexec_b64 s[22:23], s[22:23]
; %bb.810:
	v_add_f32_e32 v23, 0x46800000, v3
; %bb.811:
	s_or_b64 exec, exec, s[22:23]
                                        ; implicit-def: $vgpr3
.LBB276_812:
	s_andn2_saveexec_b64 s[20:21], s[20:21]
; %bb.813:
	s_mov_b32 s22, 0x7f800000
	v_mov_b32_e32 v5, 0x7e
	v_mov_b32_e32 v9, 0x7f
	v_cmp_lt_u32_e32 vcc, s22, v3
	v_cndmask_b32_e32 v23, v5, v9, vcc
; %bb.814:
	s_or_b64 exec, exec, s[20:21]
.LBB276_815:
	s_andn2_saveexec_b64 s[18:19], s[18:19]
	s_cbranch_execz .LBB276_825
; %bb.816:
	flat_load_ushort v3, v[7:8]
	s_mov_b32 s20, 0x43f00000
                                        ; implicit-def: $vgpr23
	s_waitcnt vmcnt(0) lgkmcnt(0)
	v_cvt_f32_u32_e32 v3, v3
	v_cmp_gt_u32_e32 vcc, s20, v3
	s_and_saveexec_b64 s[20:21], vcc
	s_xor_b64 s[20:21], exec, s[20:21]
	s_cbranch_execz .LBB276_822
; %bb.817:
	s_mov_b32 s22, 0x3c7fffff
	v_cmp_lt_u32_e32 vcc, s22, v3
                                        ; implicit-def: $vgpr23
	s_and_saveexec_b64 s[22:23], vcc
	s_xor_b64 s[22:23], exec, s[22:23]
; %bb.818:
	v_bfe_u32 v5, v3, 20, 1
	s_mov_b32 s24, 0x407ffff
	v_add3_u32 v3, v3, v5, s24
	v_lshrrev_b32_e32 v5, 20, v3
	v_and_b32_e32 v3, 0xff00000, v3
	s_mov_b32 s24, 0x7f00000
	v_mov_b32_e32 v9, 0x7e
	v_cmp_ne_u32_e32 vcc, s24, v3
	v_cndmask_b32_e32 v23, v9, v5, vcc
                                        ; implicit-def: $vgpr3
; %bb.819:
	s_andn2_saveexec_b64 s[22:23], s[22:23]
; %bb.820:
	v_add_f32_e32 v23, 0x46800000, v3
; %bb.821:
	s_or_b64 exec, exec, s[22:23]
                                        ; implicit-def: $vgpr3
.LBB276_822:
	s_andn2_saveexec_b64 s[20:21], s[20:21]
; %bb.823:
	s_mov_b32 s22, 0x7f800000
	v_mov_b32_e32 v5, 0x7e
	v_mov_b32_e32 v9, 0x7f
	v_cmp_lt_u32_e32 vcc, s22, v3
	v_cndmask_b32_e32 v23, v5, v9, vcc
; %bb.824:
	s_or_b64 exec, exec, s[20:21]
.LBB276_825:
	s_or_b64 exec, exec, s[18:19]
.LBB276_826:
	s_andn2_saveexec_b64 s[16:17], s[16:17]
	s_cbranch_execz .LBB276_842
; %bb.827:
	flat_load_ubyte v5, v[7:8]
	s_movk_i32 s18, 0x7f
	s_waitcnt vmcnt(0) lgkmcnt(0)
	v_cmp_lt_i16_e32 vcc, s18, v5
	s_mov_b64 s[18:19], 0
	s_and_saveexec_b64 s[20:21], vcc
	s_xor_b64 s[20:21], exec, s[20:21]
	s_cbranch_execz .LBB276_2527
; %bb.828:
	s_movk_i32 s18, 0x80
	v_cmp_eq_u16_e32 vcc, s18, v5
	s_mov_b64 s[18:19], -1
	s_and_saveexec_b64 s[22:23], vcc
; %bb.829:
	s_xor_b64 s[18:19], exec, -1
; %bb.830:
	s_or_b64 exec, exec, s[22:23]
	s_and_b64 s[18:19], s[18:19], exec
	s_or_saveexec_b64 s[20:21], s[20:21]
	v_mov_b32_e32 v3, 0x7f800001
	s_xor_b64 exec, exec, s[20:21]
	s_cbranch_execnz .LBB276_2528
.LBB276_831:
	s_or_b64 exec, exec, s[20:21]
	s_and_saveexec_b64 s[20:21], s[18:19]
	s_cbranch_execz .LBB276_833
.LBB276_832:
	v_lshlrev_b32_e32 v3, 24, v5
	v_and_b32_e32 v5, 0xffff, v5
	v_and_b32_e32 v9, 7, v5
	v_ffbh_u32_e32 v23, v9
	v_min_u32_e32 v23, 32, v23
	v_subrev_u32_e32 v25, 28, v23
	v_bfe_u32 v10, v5, 3, 4
	v_lshlrev_b32_e32 v5, v25, v5
	v_sub_u32_e32 v23, 29, v23
	v_and_b32_e32 v5, 7, v5
	v_cmp_eq_u32_e32 vcc, 0, v10
	v_cndmask_b32_e32 v10, v10, v23, vcc
	v_cndmask_b32_e32 v5, v9, v5, vcc
	v_mov_b32_e32 v9, 0x3b800000
	v_lshlrev_b32_e32 v5, 20, v5
	v_and_b32_e32 v3, 0x80000000, v3
	v_lshl_add_u32 v9, v10, 23, v9
	v_or3_b32 v3, v3, v9, v5
.LBB276_833:
	s_or_b64 exec, exec, s[20:21]
	v_and_b32_e32 v9, 0x7fffffff, v3
	s_mov_b32 s18, 0x43f00000
	v_cmp_gt_u32_e32 vcc, s18, v9
                                        ; implicit-def: $vgpr5
	s_and_saveexec_b64 s[18:19], vcc
	s_xor_b64 s[18:19], exec, s[18:19]
	s_cbranch_execz .LBB276_839
; %bb.834:
	s_mov_b32 s20, 0x3c7fffff
	v_cmp_lt_u32_e32 vcc, s20, v9
                                        ; implicit-def: $vgpr5
	s_and_saveexec_b64 s[20:21], vcc
	s_xor_b64 s[20:21], exec, s[20:21]
; %bb.835:
	v_bfe_u32 v5, v3, 20, 1
	s_mov_b32 s22, 0x407ffff
	v_add3_u32 v5, v3, v5, s22
	v_lshrrev_b32_e32 v9, 20, v5
	v_and_b32_e32 v5, 0xff00000, v5
	s_mov_b32 s22, 0x7f00000
	v_mov_b32_e32 v10, 0x7e
	v_cmp_ne_u32_e32 vcc, s22, v5
	v_cndmask_b32_e32 v5, v10, v9, vcc
; %bb.836:
	s_andn2_saveexec_b64 s[20:21], s[20:21]
; %bb.837:
	s_mov_b32 s22, 0x46800000
	v_add_f32_e64 v5, |v3|, s22
; %bb.838:
	s_or_b64 exec, exec, s[20:21]
                                        ; implicit-def: $vgpr9
.LBB276_839:
	s_andn2_saveexec_b64 s[18:19], s[18:19]
; %bb.840:
	s_mov_b32 s20, 0x7f800000
	v_mov_b32_e32 v5, 0x7e
	v_mov_b32_e32 v10, 0x7f
	v_cmp_lt_u32_e32 vcc, s20, v9
	v_cndmask_b32_e32 v5, v5, v10, vcc
; %bb.841:
	s_or_b64 exec, exec, s[18:19]
	v_lshrrev_b32_e32 v3, 24, v3
	s_movk_i32 s18, 0x80
	v_and_or_b32 v23, v3, s18, v5
.LBB276_842:
	s_or_b64 exec, exec, s[16:17]
	s_or_b64 s[14:15], s[14:15], exec
.LBB276_843:
	s_or_b64 exec, exec, s[10:11]
	s_and_b64 s[10:11], s[14:15], exec
	s_and_b64 s[12:13], s[12:13], exec
	s_andn2_saveexec_b64 s[8:9], s[8:9]
	s_cbranch_execnz .LBB276_2331
.LBB276_844:
	s_or_b64 exec, exec, s[8:9]
	s_mov_b64 s[8:9], s[38:39]
	s_and_saveexec_b64 s[14:15], s[12:13]
	s_cbranch_execnz .LBB276_2380
.LBB276_845:
	s_or_b64 exec, exec, s[14:15]
	s_and_saveexec_b64 s[12:13], s[6:7]
	s_cbranch_execz .LBB276_855
.LBB276_846:
	flat_load_ubyte v3, v[7:8]
	s_mov_b32 s6, 0x43f00000
                                        ; implicit-def: $vgpr23
	s_waitcnt vmcnt(0) lgkmcnt(0)
	v_cmp_ne_u16_e32 vcc, 0, v3
	v_cndmask_b32_e64 v3, 0, 1.0, vcc
	v_cmp_gt_u32_e32 vcc, s6, v3
	s_and_saveexec_b64 s[6:7], vcc
	s_xor_b64 s[6:7], exec, s[6:7]
	s_cbranch_execz .LBB276_852
; %bb.847:
	s_mov_b32 s14, 0x3c7fffff
	v_cmp_lt_u32_e32 vcc, s14, v3
                                        ; implicit-def: $vgpr23
	s_and_saveexec_b64 s[14:15], vcc
	s_xor_b64 s[14:15], exec, s[14:15]
; %bb.848:
	v_bfe_u32 v5, v3, 20, 1
	s_mov_b32 s16, 0x407ffff
	v_add3_u32 v3, v3, v5, s16
	v_lshrrev_b32_e32 v5, 20, v3
	v_and_b32_e32 v3, 0xff00000, v3
	s_mov_b32 s16, 0x7f00000
	v_mov_b32_e32 v7, 0x7e
	v_cmp_ne_u32_e32 vcc, s16, v3
	v_cndmask_b32_e32 v23, v7, v5, vcc
                                        ; implicit-def: $vgpr3
; %bb.849:
	s_andn2_saveexec_b64 s[14:15], s[14:15]
; %bb.850:
	v_add_f32_e32 v23, 0x46800000, v3
; %bb.851:
	s_or_b64 exec, exec, s[14:15]
                                        ; implicit-def: $vgpr3
.LBB276_852:
	s_andn2_saveexec_b64 s[6:7], s[6:7]
; %bb.853:
	s_mov_b32 s14, 0x7f800000
	v_mov_b32_e32 v5, 0x7e
	v_mov_b32_e32 v7, 0x7f
	v_cmp_lt_u32_e32 vcc, s14, v3
	v_cndmask_b32_e32 v23, v5, v7, vcc
; %bb.854:
	s_or_b64 exec, exec, s[6:7]
	s_or_b64 s[10:11], s[10:11], exec
.LBB276_855:
	s_or_b64 exec, exec, s[12:13]
	s_andn2_b64 s[6:7], s[38:39], exec
	s_and_b64 s[8:9], s[8:9], exec
	s_or_b64 s[44:45], s[6:7], s[8:9]
	s_and_b64 s[6:7], s[10:11], exec
                                        ; implicit-def: $vgpr7_vgpr8
.LBB276_856:
	s_andn2_saveexec_b64 s[4:5], s[4:5]
	s_cbranch_execz .LBB276_986
; %bb.857:
	v_cmp_lt_i16_e32 vcc, 4, v11
                                        ; implicit-def: $vgpr23
	s_and_saveexec_b64 s[8:9], vcc
	s_xor_b64 s[8:9], exec, s[8:9]
	s_cbranch_execz .LBB276_927
; %bb.858:
	v_cmp_lt_i16_e32 vcc, 7, v11
                                        ; implicit-def: $vgpr23
	s_and_saveexec_b64 s[10:11], vcc
	s_xor_b64 s[10:11], exec, s[10:11]
	;; [unrolled: 6-line block ×4, first 2 shown]
	s_cbranch_execz .LBB276_870
; %bb.861:
	flat_load_dwordx2 v[7:8], v[7:8]
	s_mov_b32 s16, 0x43f00000
                                        ; implicit-def: $vgpr5
	s_waitcnt vmcnt(0) lgkmcnt(0)
	v_cvt_f32_f64_e32 v3, v[7:8]
	v_and_b32_e32 v7, 0x7fffffff, v3
	v_cmp_gt_u32_e32 vcc, s16, v7
	s_and_saveexec_b64 s[16:17], vcc
	s_xor_b64 s[16:17], exec, s[16:17]
	s_cbranch_execz .LBB276_867
; %bb.862:
	s_mov_b32 s18, 0x3c7fffff
	v_cmp_lt_u32_e32 vcc, s18, v7
                                        ; implicit-def: $vgpr5
	s_and_saveexec_b64 s[18:19], vcc
	s_xor_b64 s[18:19], exec, s[18:19]
; %bb.863:
	v_bfe_u32 v5, v3, 20, 1
	s_mov_b32 s20, 0x407ffff
	v_add3_u32 v5, v3, v5, s20
	v_lshrrev_b32_e32 v7, 20, v5
	v_and_b32_e32 v5, 0xff00000, v5
	s_mov_b32 s20, 0x7f00000
	v_mov_b32_e32 v8, 0x7e
	v_cmp_ne_u32_e32 vcc, s20, v5
	v_cndmask_b32_e32 v5, v8, v7, vcc
; %bb.864:
	s_andn2_saveexec_b64 s[18:19], s[18:19]
; %bb.865:
	s_mov_b32 s20, 0x46800000
	v_add_f32_e64 v5, |v3|, s20
; %bb.866:
	s_or_b64 exec, exec, s[18:19]
                                        ; implicit-def: $vgpr7
.LBB276_867:
	s_andn2_saveexec_b64 s[16:17], s[16:17]
; %bb.868:
	s_mov_b32 s18, 0x7f800000
	v_mov_b32_e32 v5, 0x7e
	v_mov_b32_e32 v8, 0x7f
	v_cmp_lt_u32_e32 vcc, s18, v7
	v_cndmask_b32_e32 v5, v5, v8, vcc
; %bb.869:
	s_or_b64 exec, exec, s[16:17]
	v_lshrrev_b32_e32 v3, 24, v3
	s_movk_i32 s16, 0x80
	v_and_or_b32 v23, v3, s16, v5
                                        ; implicit-def: $vgpr7_vgpr8
.LBB276_870:
	s_andn2_saveexec_b64 s[14:15], s[14:15]
	s_cbranch_execz .LBB276_880
; %bb.871:
	flat_load_dword v3, v[7:8]
	s_mov_b32 s16, 0x43f00000
                                        ; implicit-def: $vgpr5
	s_waitcnt vmcnt(0) lgkmcnt(0)
	v_and_b32_e32 v7, 0x7fffffff, v3
	v_cmp_gt_u32_e32 vcc, s16, v7
	s_and_saveexec_b64 s[16:17], vcc
	s_xor_b64 s[16:17], exec, s[16:17]
	s_cbranch_execz .LBB276_877
; %bb.872:
	s_mov_b32 s18, 0x3c7fffff
	v_cmp_lt_u32_e32 vcc, s18, v7
                                        ; implicit-def: $vgpr5
	s_and_saveexec_b64 s[18:19], vcc
	s_xor_b64 s[18:19], exec, s[18:19]
; %bb.873:
	v_bfe_u32 v5, v3, 20, 1
	s_mov_b32 s20, 0x407ffff
	v_add3_u32 v5, v3, v5, s20
	v_lshrrev_b32_e32 v7, 20, v5
	v_and_b32_e32 v5, 0xff00000, v5
	s_mov_b32 s20, 0x7f00000
	v_mov_b32_e32 v8, 0x7e
	v_cmp_ne_u32_e32 vcc, s20, v5
	v_cndmask_b32_e32 v5, v8, v7, vcc
; %bb.874:
	s_andn2_saveexec_b64 s[18:19], s[18:19]
; %bb.875:
	s_mov_b32 s20, 0x46800000
	v_add_f32_e64 v5, |v3|, s20
; %bb.876:
	s_or_b64 exec, exec, s[18:19]
                                        ; implicit-def: $vgpr7
.LBB276_877:
	s_andn2_saveexec_b64 s[16:17], s[16:17]
; %bb.878:
	s_mov_b32 s18, 0x7f800000
	v_mov_b32_e32 v5, 0x7e
	v_mov_b32_e32 v8, 0x7f
	v_cmp_lt_u32_e32 vcc, s18, v7
	v_cndmask_b32_e32 v5, v5, v8, vcc
; %bb.879:
	s_or_b64 exec, exec, s[16:17]
	v_lshrrev_b32_e32 v3, 24, v3
	s_movk_i32 s16, 0x80
	v_and_or_b32 v23, v3, s16, v5
.LBB276_880:
	s_or_b64 exec, exec, s[14:15]
                                        ; implicit-def: $vgpr7_vgpr8
.LBB276_881:
	s_andn2_saveexec_b64 s[12:13], s[12:13]
	s_cbranch_execz .LBB276_891
; %bb.882:
	flat_load_dword v3, v[7:8]
	s_mov_b32 s14, 0x43f00000
                                        ; implicit-def: $vgpr5
	s_waitcnt vmcnt(0) lgkmcnt(0)
	v_cvt_f32_f16_e32 v3, v3
	v_and_b32_e32 v7, 0x7fffffff, v3
	v_cmp_gt_u32_e32 vcc, s14, v7
	s_and_saveexec_b64 s[14:15], vcc
	s_xor_b64 s[14:15], exec, s[14:15]
	s_cbranch_execz .LBB276_888
; %bb.883:
	s_mov_b32 s16, 0x3c7fffff
	v_cmp_lt_u32_e32 vcc, s16, v7
                                        ; implicit-def: $vgpr5
	s_and_saveexec_b64 s[16:17], vcc
	s_xor_b64 s[16:17], exec, s[16:17]
; %bb.884:
	v_bfe_u32 v5, v3, 20, 1
	s_mov_b32 s18, 0x407ffff
	v_add3_u32 v5, v3, v5, s18
	v_lshrrev_b32_e32 v7, 20, v5
	v_and_b32_e32 v5, 0xff00000, v5
	s_mov_b32 s18, 0x7f00000
	v_mov_b32_e32 v8, 0x7e
	v_cmp_ne_u32_e32 vcc, s18, v5
	v_cndmask_b32_e32 v5, v8, v7, vcc
; %bb.885:
	s_andn2_saveexec_b64 s[16:17], s[16:17]
; %bb.886:
	s_mov_b32 s18, 0x46800000
	v_add_f32_e64 v5, |v3|, s18
; %bb.887:
	s_or_b64 exec, exec, s[16:17]
                                        ; implicit-def: $vgpr7
.LBB276_888:
	s_andn2_saveexec_b64 s[14:15], s[14:15]
; %bb.889:
	s_mov_b32 s16, 0x7f800000
	v_mov_b32_e32 v5, 0x7e
	v_mov_b32_e32 v8, 0x7f
	v_cmp_lt_u32_e32 vcc, s16, v7
	v_cndmask_b32_e32 v5, v5, v8, vcc
; %bb.890:
	s_or_b64 exec, exec, s[14:15]
	v_lshrrev_b32_e32 v3, 24, v3
	s_movk_i32 s14, 0x80
	v_and_or_b32 v23, v3, s14, v5
.LBB276_891:
	s_or_b64 exec, exec, s[12:13]
                                        ; implicit-def: $vgpr7_vgpr8
.LBB276_892:
	s_andn2_saveexec_b64 s[10:11], s[10:11]
	s_cbranch_execz .LBB276_926
; %bb.893:
	v_cmp_lt_i16_e32 vcc, 5, v11
                                        ; implicit-def: $vgpr23
	s_and_saveexec_b64 s[12:13], vcc
	s_xor_b64 s[12:13], exec, s[12:13]
	s_cbranch_execz .LBB276_915
; %bb.894:
	v_cmp_lt_i16_e32 vcc, 6, v11
                                        ; implicit-def: $vgpr23
	s_and_saveexec_b64 s[14:15], vcc
	s_xor_b64 s[14:15], exec, s[14:15]
	s_cbranch_execz .LBB276_904
; %bb.895:
	flat_load_dwordx2 v[7:8], v[7:8]
	s_mov_b32 s16, 0x43f00000
                                        ; implicit-def: $vgpr5
	s_waitcnt vmcnt(0) lgkmcnt(0)
	v_cvt_f32_f64_e32 v3, v[7:8]
	v_and_b32_e32 v7, 0x7fffffff, v3
	v_cmp_gt_u32_e32 vcc, s16, v7
	s_and_saveexec_b64 s[16:17], vcc
	s_xor_b64 s[16:17], exec, s[16:17]
	s_cbranch_execz .LBB276_901
; %bb.896:
	s_mov_b32 s18, 0x3c7fffff
	v_cmp_lt_u32_e32 vcc, s18, v7
                                        ; implicit-def: $vgpr5
	s_and_saveexec_b64 s[18:19], vcc
	s_xor_b64 s[18:19], exec, s[18:19]
; %bb.897:
	v_bfe_u32 v5, v3, 20, 1
	s_mov_b32 s20, 0x407ffff
	v_add3_u32 v5, v3, v5, s20
	v_lshrrev_b32_e32 v7, 20, v5
	v_and_b32_e32 v5, 0xff00000, v5
	s_mov_b32 s20, 0x7f00000
	v_mov_b32_e32 v8, 0x7e
	v_cmp_ne_u32_e32 vcc, s20, v5
	v_cndmask_b32_e32 v5, v8, v7, vcc
; %bb.898:
	s_andn2_saveexec_b64 s[18:19], s[18:19]
; %bb.899:
	s_mov_b32 s20, 0x46800000
	v_add_f32_e64 v5, |v3|, s20
; %bb.900:
	s_or_b64 exec, exec, s[18:19]
                                        ; implicit-def: $vgpr7
.LBB276_901:
	s_andn2_saveexec_b64 s[16:17], s[16:17]
; %bb.902:
	s_mov_b32 s18, 0x7f800000
	v_mov_b32_e32 v5, 0x7e
	v_mov_b32_e32 v8, 0x7f
	v_cmp_lt_u32_e32 vcc, s18, v7
	v_cndmask_b32_e32 v5, v5, v8, vcc
; %bb.903:
	s_or_b64 exec, exec, s[16:17]
	v_lshrrev_b32_e32 v3, 24, v3
	s_movk_i32 s16, 0x80
	v_and_or_b32 v23, v3, s16, v5
                                        ; implicit-def: $vgpr7_vgpr8
.LBB276_904:
	s_andn2_saveexec_b64 s[14:15], s[14:15]
	s_cbranch_execz .LBB276_914
; %bb.905:
	flat_load_dword v3, v[7:8]
	s_mov_b32 s16, 0x43f00000
                                        ; implicit-def: $vgpr5
	s_waitcnt vmcnt(0) lgkmcnt(0)
	v_and_b32_e32 v7, 0x7fffffff, v3
	v_cmp_gt_u32_e32 vcc, s16, v7
	s_and_saveexec_b64 s[16:17], vcc
	s_xor_b64 s[16:17], exec, s[16:17]
	s_cbranch_execz .LBB276_911
; %bb.906:
	s_mov_b32 s18, 0x3c7fffff
	v_cmp_lt_u32_e32 vcc, s18, v7
                                        ; implicit-def: $vgpr5
	s_and_saveexec_b64 s[18:19], vcc
	s_xor_b64 s[18:19], exec, s[18:19]
; %bb.907:
	v_bfe_u32 v5, v3, 20, 1
	s_mov_b32 s20, 0x407ffff
	v_add3_u32 v5, v3, v5, s20
	v_lshrrev_b32_e32 v7, 20, v5
	v_and_b32_e32 v5, 0xff00000, v5
	s_mov_b32 s20, 0x7f00000
	v_mov_b32_e32 v8, 0x7e
	v_cmp_ne_u32_e32 vcc, s20, v5
	v_cndmask_b32_e32 v5, v8, v7, vcc
; %bb.908:
	s_andn2_saveexec_b64 s[18:19], s[18:19]
; %bb.909:
	s_mov_b32 s20, 0x46800000
	v_add_f32_e64 v5, |v3|, s20
; %bb.910:
	s_or_b64 exec, exec, s[18:19]
                                        ; implicit-def: $vgpr7
.LBB276_911:
	s_andn2_saveexec_b64 s[16:17], s[16:17]
; %bb.912:
	s_mov_b32 s18, 0x7f800000
	v_mov_b32_e32 v5, 0x7e
	v_mov_b32_e32 v8, 0x7f
	v_cmp_lt_u32_e32 vcc, s18, v7
	v_cndmask_b32_e32 v5, v5, v8, vcc
; %bb.913:
	s_or_b64 exec, exec, s[16:17]
	v_lshrrev_b32_e32 v3, 24, v3
	s_movk_i32 s16, 0x80
	v_and_or_b32 v23, v3, s16, v5
.LBB276_914:
	s_or_b64 exec, exec, s[14:15]
                                        ; implicit-def: $vgpr7_vgpr8
.LBB276_915:
	s_andn2_saveexec_b64 s[12:13], s[12:13]
	s_cbranch_execz .LBB276_925
; %bb.916:
	flat_load_ushort v3, v[7:8]
	s_mov_b32 s14, 0x43f00000
                                        ; implicit-def: $vgpr5
	s_waitcnt vmcnt(0) lgkmcnt(0)
	v_cvt_f32_f16_e32 v3, v3
	v_and_b32_e32 v7, 0x7fffffff, v3
	v_cmp_gt_u32_e32 vcc, s14, v7
	s_and_saveexec_b64 s[14:15], vcc
	s_xor_b64 s[14:15], exec, s[14:15]
	s_cbranch_execz .LBB276_922
; %bb.917:
	s_mov_b32 s16, 0x3c7fffff
	v_cmp_lt_u32_e32 vcc, s16, v7
                                        ; implicit-def: $vgpr5
	s_and_saveexec_b64 s[16:17], vcc
	s_xor_b64 s[16:17], exec, s[16:17]
; %bb.918:
	v_bfe_u32 v5, v3, 20, 1
	s_mov_b32 s18, 0x407ffff
	v_add3_u32 v5, v3, v5, s18
	v_lshrrev_b32_e32 v7, 20, v5
	v_and_b32_e32 v5, 0xff00000, v5
	s_mov_b32 s18, 0x7f00000
	v_mov_b32_e32 v8, 0x7e
	v_cmp_ne_u32_e32 vcc, s18, v5
	v_cndmask_b32_e32 v5, v8, v7, vcc
; %bb.919:
	s_andn2_saveexec_b64 s[16:17], s[16:17]
; %bb.920:
	s_mov_b32 s18, 0x46800000
	v_add_f32_e64 v5, |v3|, s18
; %bb.921:
	s_or_b64 exec, exec, s[16:17]
                                        ; implicit-def: $vgpr7
.LBB276_922:
	s_andn2_saveexec_b64 s[14:15], s[14:15]
; %bb.923:
	s_mov_b32 s16, 0x7f800000
	v_mov_b32_e32 v5, 0x7e
	v_mov_b32_e32 v8, 0x7f
	v_cmp_lt_u32_e32 vcc, s16, v7
	v_cndmask_b32_e32 v5, v5, v8, vcc
; %bb.924:
	s_or_b64 exec, exec, s[14:15]
	v_lshrrev_b32_e32 v3, 24, v3
	s_movk_i32 s14, 0x80
	v_and_or_b32 v23, v3, s14, v5
.LBB276_925:
	s_or_b64 exec, exec, s[12:13]
.LBB276_926:
	s_or_b64 exec, exec, s[10:11]
                                        ; implicit-def: $vgpr7_vgpr8
.LBB276_927:
	s_andn2_saveexec_b64 s[8:9], s[8:9]
	s_cbranch_execz .LBB276_985
; %bb.928:
	v_cmp_lt_i16_e32 vcc, 1, v11
                                        ; implicit-def: $vgpr23
	s_and_saveexec_b64 s[10:11], vcc
	s_xor_b64 s[10:11], exec, s[10:11]
	s_cbranch_execz .LBB276_962
; %bb.929:
	v_cmp_lt_i16_e32 vcc, 2, v11
                                        ; implicit-def: $vgpr23
	s_and_saveexec_b64 s[12:13], vcc
	s_xor_b64 s[12:13], exec, s[12:13]
	;; [unrolled: 6-line block ×3, first 2 shown]
	s_cbranch_execz .LBB276_940
; %bb.931:
	flat_load_dwordx2 v[7:8], v[7:8]
	s_mov_b32 s16, 0x43f00000
	s_waitcnt vmcnt(0) lgkmcnt(0)
	v_xor_b32_e32 v5, v7, v8
	v_ffbh_i32_e32 v3, v8
	v_ashrrev_i32_e32 v5, 31, v5
	v_add_u32_e32 v3, -1, v3
	v_add_u32_e32 v5, 32, v5
	v_min_u32_e32 v3, v3, v5
	v_lshlrev_b64 v[7:8], v3, v[7:8]
	v_sub_u32_e32 v3, 32, v3
	v_min_u32_e32 v5, 1, v7
	v_or_b32_e32 v5, v8, v5
	v_cvt_f32_i32_e32 v5, v5
	v_ldexp_f32 v3, v5, v3
	v_and_b32_e32 v7, 0x7fffffff, v3
	v_cmp_gt_u32_e32 vcc, s16, v7
                                        ; implicit-def: $vgpr5
	s_and_saveexec_b64 s[16:17], vcc
	s_xor_b64 s[16:17], exec, s[16:17]
	s_cbranch_execz .LBB276_937
; %bb.932:
	s_mov_b32 s18, 0x3c7fffff
	v_cmp_lt_u32_e32 vcc, s18, v7
                                        ; implicit-def: $vgpr5
	s_and_saveexec_b64 s[18:19], vcc
	s_xor_b64 s[18:19], exec, s[18:19]
; %bb.933:
	v_bfe_u32 v5, v3, 20, 1
	s_mov_b32 s20, 0x407ffff
	v_add3_u32 v5, v3, v5, s20
	v_lshrrev_b32_e32 v7, 20, v5
	v_and_b32_e32 v5, 0xff00000, v5
	s_mov_b32 s20, 0x7f00000
	v_mov_b32_e32 v8, 0x7e
	v_cmp_ne_u32_e32 vcc, s20, v5
	v_cndmask_b32_e32 v5, v8, v7, vcc
; %bb.934:
	s_andn2_saveexec_b64 s[18:19], s[18:19]
; %bb.935:
	s_mov_b32 s20, 0x46800000
	v_add_f32_e64 v5, |v3|, s20
; %bb.936:
	s_or_b64 exec, exec, s[18:19]
                                        ; implicit-def: $vgpr7
.LBB276_937:
	s_andn2_saveexec_b64 s[16:17], s[16:17]
; %bb.938:
	s_mov_b32 s18, 0x7f800000
	v_mov_b32_e32 v5, 0x7e
	v_mov_b32_e32 v8, 0x7f
	v_cmp_lt_u32_e32 vcc, s18, v7
	v_cndmask_b32_e32 v5, v5, v8, vcc
; %bb.939:
	s_or_b64 exec, exec, s[16:17]
	v_lshrrev_b32_e32 v3, 24, v3
	s_movk_i32 s16, 0x80
	v_and_or_b32 v23, v3, s16, v5
                                        ; implicit-def: $vgpr7_vgpr8
.LBB276_940:
	s_andn2_saveexec_b64 s[14:15], s[14:15]
	s_cbranch_execz .LBB276_950
; %bb.941:
	flat_load_dword v3, v[7:8]
	s_mov_b32 s16, 0x43f00000
                                        ; implicit-def: $vgpr5
	s_waitcnt vmcnt(0) lgkmcnt(0)
	v_cvt_f32_i32_e32 v3, v3
	v_and_b32_e32 v7, 0x7fffffff, v3
	v_cmp_gt_u32_e32 vcc, s16, v7
	s_and_saveexec_b64 s[16:17], vcc
	s_xor_b64 s[16:17], exec, s[16:17]
	s_cbranch_execz .LBB276_947
; %bb.942:
	s_mov_b32 s18, 0x3c7fffff
	v_cmp_lt_u32_e32 vcc, s18, v7
                                        ; implicit-def: $vgpr5
	s_and_saveexec_b64 s[18:19], vcc
	s_xor_b64 s[18:19], exec, s[18:19]
; %bb.943:
	v_bfe_u32 v5, v3, 20, 1
	s_mov_b32 s20, 0x407ffff
	v_add3_u32 v5, v3, v5, s20
	v_lshrrev_b32_e32 v7, 20, v5
	v_and_b32_e32 v5, 0xff00000, v5
	s_mov_b32 s20, 0x7f00000
	v_mov_b32_e32 v8, 0x7e
	v_cmp_ne_u32_e32 vcc, s20, v5
	v_cndmask_b32_e32 v5, v8, v7, vcc
; %bb.944:
	s_andn2_saveexec_b64 s[18:19], s[18:19]
; %bb.945:
	s_mov_b32 s20, 0x46800000
	v_add_f32_e64 v5, |v3|, s20
; %bb.946:
	s_or_b64 exec, exec, s[18:19]
                                        ; implicit-def: $vgpr7
.LBB276_947:
	s_andn2_saveexec_b64 s[16:17], s[16:17]
; %bb.948:
	s_mov_b32 s18, 0x7f800000
	v_mov_b32_e32 v5, 0x7e
	v_mov_b32_e32 v8, 0x7f
	v_cmp_lt_u32_e32 vcc, s18, v7
	v_cndmask_b32_e32 v5, v5, v8, vcc
; %bb.949:
	s_or_b64 exec, exec, s[16:17]
	v_lshrrev_b32_e32 v3, 24, v3
	s_movk_i32 s16, 0x80
	v_and_or_b32 v23, v3, s16, v5
.LBB276_950:
	s_or_b64 exec, exec, s[14:15]
                                        ; implicit-def: $vgpr7_vgpr8
.LBB276_951:
	s_andn2_saveexec_b64 s[12:13], s[12:13]
	s_cbranch_execz .LBB276_961
; %bb.952:
	flat_load_sshort v3, v[7:8]
	s_mov_b32 s14, 0x43f00000
                                        ; implicit-def: $vgpr5
	s_waitcnt vmcnt(0) lgkmcnt(0)
	v_cvt_f32_i32_e32 v3, v3
	v_and_b32_e32 v7, 0x7fffffff, v3
	v_cmp_gt_u32_e32 vcc, s14, v7
	s_and_saveexec_b64 s[14:15], vcc
	s_xor_b64 s[14:15], exec, s[14:15]
	s_cbranch_execz .LBB276_958
; %bb.953:
	s_mov_b32 s16, 0x3c7fffff
	v_cmp_lt_u32_e32 vcc, s16, v7
                                        ; implicit-def: $vgpr5
	s_and_saveexec_b64 s[16:17], vcc
	s_xor_b64 s[16:17], exec, s[16:17]
; %bb.954:
	v_bfe_u32 v5, v3, 20, 1
	s_mov_b32 s18, 0x407ffff
	v_add3_u32 v5, v3, v5, s18
	v_lshrrev_b32_e32 v7, 20, v5
	v_and_b32_e32 v5, 0xff00000, v5
	s_mov_b32 s18, 0x7f00000
	v_mov_b32_e32 v8, 0x7e
	v_cmp_ne_u32_e32 vcc, s18, v5
	v_cndmask_b32_e32 v5, v8, v7, vcc
; %bb.955:
	s_andn2_saveexec_b64 s[16:17], s[16:17]
; %bb.956:
	s_mov_b32 s18, 0x46800000
	v_add_f32_e64 v5, |v3|, s18
; %bb.957:
	s_or_b64 exec, exec, s[16:17]
                                        ; implicit-def: $vgpr7
.LBB276_958:
	s_andn2_saveexec_b64 s[14:15], s[14:15]
; %bb.959:
	s_mov_b32 s16, 0x7f800000
	v_mov_b32_e32 v5, 0x7e
	v_mov_b32_e32 v8, 0x7f
	v_cmp_lt_u32_e32 vcc, s16, v7
	v_cndmask_b32_e32 v5, v5, v8, vcc
; %bb.960:
	s_or_b64 exec, exec, s[14:15]
	v_lshrrev_b32_e32 v3, 24, v3
	s_movk_i32 s14, 0x80
	v_and_or_b32 v23, v3, s14, v5
.LBB276_961:
	s_or_b64 exec, exec, s[12:13]
                                        ; implicit-def: $vgpr7_vgpr8
.LBB276_962:
	s_andn2_saveexec_b64 s[10:11], s[10:11]
	s_cbranch_execz .LBB276_984
; %bb.963:
	v_cmp_lt_i16_e32 vcc, 0, v11
                                        ; implicit-def: $vgpr23
	s_and_saveexec_b64 s[12:13], vcc
	s_xor_b64 s[12:13], exec, s[12:13]
	s_cbranch_execz .LBB276_973
; %bb.964:
	flat_load_sbyte v3, v[7:8]
	s_mov_b32 s14, 0x43f00000
                                        ; implicit-def: $vgpr5
	s_waitcnt vmcnt(0) lgkmcnt(0)
	v_cvt_f32_i32_e32 v3, v3
	v_and_b32_e32 v7, 0x7fffffff, v3
	v_cmp_gt_u32_e32 vcc, s14, v7
	s_and_saveexec_b64 s[14:15], vcc
	s_xor_b64 s[14:15], exec, s[14:15]
	s_cbranch_execz .LBB276_970
; %bb.965:
	s_mov_b32 s16, 0x3c7fffff
	v_cmp_lt_u32_e32 vcc, s16, v7
                                        ; implicit-def: $vgpr5
	s_and_saveexec_b64 s[16:17], vcc
	s_xor_b64 s[16:17], exec, s[16:17]
; %bb.966:
	v_bfe_u32 v5, v3, 20, 1
	s_mov_b32 s18, 0x407ffff
	v_add3_u32 v5, v3, v5, s18
	v_lshrrev_b32_e32 v7, 20, v5
	v_and_b32_e32 v5, 0xff00000, v5
	s_mov_b32 s18, 0x7f00000
	v_mov_b32_e32 v8, 0x7e
	v_cmp_ne_u32_e32 vcc, s18, v5
	v_cndmask_b32_e32 v5, v8, v7, vcc
; %bb.967:
	s_andn2_saveexec_b64 s[16:17], s[16:17]
; %bb.968:
	s_mov_b32 s18, 0x46800000
	v_add_f32_e64 v5, |v3|, s18
; %bb.969:
	s_or_b64 exec, exec, s[16:17]
                                        ; implicit-def: $vgpr7
.LBB276_970:
	s_andn2_saveexec_b64 s[14:15], s[14:15]
; %bb.971:
	s_mov_b32 s16, 0x7f800000
	v_mov_b32_e32 v5, 0x7e
	v_mov_b32_e32 v8, 0x7f
	v_cmp_lt_u32_e32 vcc, s16, v7
	v_cndmask_b32_e32 v5, v5, v8, vcc
; %bb.972:
	s_or_b64 exec, exec, s[14:15]
	v_lshrrev_b32_e32 v3, 24, v3
	s_movk_i32 s14, 0x80
	v_and_or_b32 v23, v3, s14, v5
                                        ; implicit-def: $vgpr7_vgpr8
.LBB276_973:
	s_andn2_saveexec_b64 s[12:13], s[12:13]
	s_cbranch_execz .LBB276_983
; %bb.974:
	flat_load_ubyte v3, v[7:8]
	s_mov_b32 s14, 0x43f00000
                                        ; implicit-def: $vgpr23
	s_waitcnt vmcnt(0) lgkmcnt(0)
	v_cvt_f32_ubyte0_e32 v3, v3
	v_cmp_gt_u32_e32 vcc, s14, v3
	s_and_saveexec_b64 s[14:15], vcc
	s_xor_b64 s[14:15], exec, s[14:15]
	s_cbranch_execz .LBB276_980
; %bb.975:
	s_mov_b32 s16, 0x3c7fffff
	v_cmp_lt_u32_e32 vcc, s16, v3
                                        ; implicit-def: $vgpr23
	s_and_saveexec_b64 s[16:17], vcc
	s_xor_b64 s[16:17], exec, s[16:17]
; %bb.976:
	v_bfe_u32 v5, v3, 20, 1
	s_mov_b32 s18, 0x407ffff
	v_add3_u32 v3, v3, v5, s18
	v_lshrrev_b32_e32 v5, 20, v3
	v_and_b32_e32 v3, 0xff00000, v3
	s_mov_b32 s18, 0x7f00000
	v_mov_b32_e32 v7, 0x7e
	v_cmp_ne_u32_e32 vcc, s18, v3
	v_cndmask_b32_e32 v23, v7, v5, vcc
                                        ; implicit-def: $vgpr3
; %bb.977:
	s_andn2_saveexec_b64 s[16:17], s[16:17]
; %bb.978:
	v_add_f32_e32 v23, 0x46800000, v3
; %bb.979:
	s_or_b64 exec, exec, s[16:17]
                                        ; implicit-def: $vgpr3
.LBB276_980:
	s_andn2_saveexec_b64 s[14:15], s[14:15]
; %bb.981:
	s_mov_b32 s16, 0x7f800000
	v_mov_b32_e32 v5, 0x7e
	v_mov_b32_e32 v7, 0x7f
	v_cmp_lt_u32_e32 vcc, s16, v3
	v_cndmask_b32_e32 v23, v5, v7, vcc
; %bb.982:
	s_or_b64 exec, exec, s[14:15]
.LBB276_983:
	s_or_b64 exec, exec, s[12:13]
.LBB276_984:
	s_or_b64 exec, exec, s[10:11]
.LBB276_985:
	s_or_b64 exec, exec, s[8:9]
	s_or_b64 s[6:7], s[6:7], exec
.LBB276_986:
	s_or_b64 exec, exec, s[4:5]
	s_mov_b64 s[4:5], 0
	s_mov_b64 s[8:9], 0
	s_mov_b64 s[12:13], 0
                                        ; implicit-def: $sgpr10_sgpr11
                                        ; implicit-def: $vgpr9_vgpr10
                                        ; implicit-def: $vgpr3
	s_and_saveexec_b64 s[46:47], s[6:7]
	s_cbranch_execz .LBB276_2190
; %bb.987:
	v_add_co_u32_e32 v5, vcc, v1, v6
	v_addc_co_u32_e32 v6, vcc, 0, v24, vcc
	v_cmp_lt_i16_e32 vcc, 10, v12
	s_mov_b64 s[6:7], 0
	s_mov_b64 s[48:49], s[44:45]
                                        ; implicit-def: $vgpr25
	s_and_saveexec_b64 s[4:5], vcc
	s_xor_b64 s[4:5], exec, s[4:5]
	s_cbranch_execz .LBB276_1082
; %bb.988:
	v_cmp_lt_i16_e32 vcc, 25, v12
	s_mov_b64 s[10:11], 0
                                        ; implicit-def: $vgpr25
	s_and_saveexec_b64 s[8:9], vcc
	s_xor_b64 s[8:9], exec, s[8:9]
	s_cbranch_execz .LBB276_2423
; %bb.989:
	v_cmp_lt_i16_e32 vcc, 28, v12
	;; [unrolled: 7-line block ×3, first 2 shown]
	s_mov_b64 s[16:17], 0
	s_mov_b64 s[18:19], 0
                                        ; implicit-def: $vgpr25
	s_and_saveexec_b64 s[12:13], vcc
	s_xor_b64 s[12:13], exec, s[12:13]
	s_cbranch_execz .LBB276_1016
; %bb.991:
	v_cmp_lt_i16_e32 vcc, 45, v12
                                        ; implicit-def: $vgpr25
	s_and_saveexec_b64 s[18:19], vcc
	s_xor_b64 s[18:19], exec, s[18:19]
	s_cbranch_execz .LBB276_1003
; %bb.992:
	v_cmp_eq_u16_e32 vcc, 46, v12
	s_mov_b64 s[20:21], -1
                                        ; implicit-def: $vgpr25
	s_and_saveexec_b64 s[14:15], vcc
	s_cbranch_execz .LBB276_1002
; %bb.993:
	flat_load_dword v3, v[5:6]
	s_mov_b32 s16, 0x43f00000
                                        ; implicit-def: $vgpr7
	s_waitcnt vmcnt(0) lgkmcnt(0)
	v_lshlrev_b32_e32 v3, 16, v3
	v_and_b32_e32 v8, 0x7fffffff, v3
	v_cmp_gt_u32_e32 vcc, s16, v8
	s_and_saveexec_b64 s[16:17], vcc
	s_xor_b64 s[16:17], exec, s[16:17]
	s_cbranch_execz .LBB276_999
; %bb.994:
	s_mov_b32 s20, 0x3c7fffff
	v_cmp_lt_u32_e32 vcc, s20, v8
                                        ; implicit-def: $vgpr7
	s_and_saveexec_b64 s[20:21], vcc
	s_xor_b64 s[20:21], exec, s[20:21]
; %bb.995:
	v_bfe_u32 v7, v3, 20, 1
	s_mov_b32 s22, 0x407ffff
	v_add3_u32 v7, v3, v7, s22
	v_lshrrev_b32_e32 v8, 20, v7
	v_and_b32_e32 v7, 0xff00000, v7
	s_mov_b32 s22, 0x7f00000
	v_mov_b32_e32 v9, 0x7e
	v_cmp_ne_u32_e32 vcc, s22, v7
	v_cndmask_b32_e32 v7, v9, v8, vcc
; %bb.996:
	s_andn2_saveexec_b64 s[20:21], s[20:21]
; %bb.997:
	s_mov_b32 s22, 0x46800000
	v_add_f32_e64 v7, |v3|, s22
; %bb.998:
	s_or_b64 exec, exec, s[20:21]
                                        ; implicit-def: $vgpr8
.LBB276_999:
	s_andn2_saveexec_b64 s[16:17], s[16:17]
; %bb.1000:
	s_mov_b32 s20, 0x7f800000
	v_mov_b32_e32 v7, 0x7e
	v_mov_b32_e32 v9, 0x7f
	v_cmp_lt_u32_e32 vcc, s20, v8
	v_cndmask_b32_e32 v7, v7, v9, vcc
; %bb.1001:
	s_or_b64 exec, exec, s[16:17]
	v_lshrrev_b32_e32 v3, 24, v3
	s_movk_i32 s20, 0x80
	s_mov_b64 s[16:17], exec
	v_and_or_b32 v25, v3, s20, v7
	s_xor_b64 s[20:21], exec, -1
.LBB276_1002:
	s_or_b64 exec, exec, s[14:15]
	s_and_b64 s[16:17], s[16:17], exec
	s_and_b64 s[14:15], s[20:21], exec
.LBB276_1003:
	s_andn2_saveexec_b64 s[18:19], s[18:19]
	s_cbranch_execz .LBB276_1015
; %bb.1004:
	v_cmp_eq_u16_e32 vcc, 44, v12
	s_mov_b64 s[22:23], -1
	s_mov_b64 s[24:25], s[16:17]
                                        ; implicit-def: $vgpr25
	s_and_saveexec_b64 s[20:21], vcc
	s_cbranch_execz .LBB276_1014
; %bb.1005:
	flat_load_ubyte v3, v[5:6]
	s_movk_i32 s22, 0xff
	v_mov_b32_e32 v7, 0x7f800001
	v_mov_b32_e32 v8, 0x400000
                                        ; implicit-def: $vgpr25
	s_waitcnt vmcnt(0) lgkmcnt(0)
	v_lshlrev_b32_e32 v9, 23, v3
	v_cmp_ne_u32_e32 vcc, s22, v3
	v_cndmask_b32_e32 v7, v7, v9, vcc
	v_cmp_ne_u32_e32 vcc, 0, v3
	v_cndmask_b32_e32 v3, v8, v7, vcc
	s_mov_b32 s22, 0x43f00000
	v_cmp_gt_u32_e32 vcc, s22, v3
	s_and_saveexec_b64 s[22:23], vcc
	s_xor_b64 s[22:23], exec, s[22:23]
	s_cbranch_execz .LBB276_1011
; %bb.1006:
	s_mov_b32 s24, 0x3c7fffff
	v_cmp_lt_u32_e32 vcc, s24, v3
                                        ; implicit-def: $vgpr25
	s_and_saveexec_b64 s[24:25], vcc
	s_xor_b64 s[24:25], exec, s[24:25]
; %bb.1007:
	v_bfe_u32 v7, v3, 20, 1
	s_mov_b32 s28, 0x407ffff
	v_add3_u32 v3, v3, v7, s28
	v_lshrrev_b32_e32 v7, 20, v3
	v_and_b32_e32 v3, 0xff00000, v3
	s_mov_b32 s28, 0x7f00000
	v_mov_b32_e32 v8, 0x7e
	v_cmp_ne_u32_e32 vcc, s28, v3
	v_cndmask_b32_e32 v25, v8, v7, vcc
                                        ; implicit-def: $vgpr3
; %bb.1008:
	s_andn2_saveexec_b64 s[24:25], s[24:25]
; %bb.1009:
	v_add_f32_e32 v25, 0x46800000, v3
; %bb.1010:
	s_or_b64 exec, exec, s[24:25]
                                        ; implicit-def: $vgpr3
.LBB276_1011:
	s_andn2_saveexec_b64 s[22:23], s[22:23]
; %bb.1012:
	s_mov_b32 s24, 0x7f800000
	v_mov_b32_e32 v7, 0x7e
	v_mov_b32_e32 v8, 0x7f
	v_cmp_lt_u32_e32 vcc, s24, v3
	v_cndmask_b32_e32 v25, v7, v8, vcc
; %bb.1013:
	s_or_b64 exec, exec, s[22:23]
	s_or_b64 s[24:25], s[16:17], exec
	s_xor_b64 s[22:23], exec, -1
.LBB276_1014:
	s_or_b64 exec, exec, s[20:21]
	s_andn2_b64 s[16:17], s[16:17], exec
	s_and_b64 s[20:21], s[24:25], exec
	s_or_b64 s[16:17], s[16:17], s[20:21]
	s_andn2_b64 s[14:15], s[14:15], exec
	s_and_b64 s[20:21], s[22:23], exec
	s_or_b64 s[14:15], s[14:15], s[20:21]
.LBB276_1015:
	s_or_b64 exec, exec, s[18:19]
	s_and_b64 s[18:19], s[16:17], exec
	s_and_b64 s[16:17], s[14:15], exec
.LBB276_1016:
	s_andn2_saveexec_b64 s[12:13], s[12:13]
	s_cbranch_execz .LBB276_1028
; %bb.1017:
	v_cmp_eq_u16_e32 vcc, 29, v12
	s_mov_b64 s[20:21], -1
	s_mov_b64 s[22:23], s[18:19]
                                        ; implicit-def: $vgpr25
	s_and_saveexec_b64 s[14:15], vcc
	s_cbranch_execz .LBB276_1027
; %bb.1018:
	flat_load_dwordx2 v[7:8], v[5:6]
	s_mov_b32 s20, 0x43f00000
                                        ; implicit-def: $vgpr25
	s_waitcnt vmcnt(0) lgkmcnt(0)
	v_ffbh_u32_e32 v3, v8
	v_min_u32_e32 v3, 32, v3
	v_lshlrev_b64 v[7:8], v3, v[7:8]
	v_sub_u32_e32 v3, 32, v3
	v_min_u32_e32 v7, 1, v7
	v_or_b32_e32 v7, v8, v7
	v_cvt_f32_u32_e32 v7, v7
	v_ldexp_f32 v3, v7, v3
	v_cmp_gt_u32_e32 vcc, s20, v3
	s_and_saveexec_b64 s[20:21], vcc
	s_xor_b64 s[20:21], exec, s[20:21]
	s_cbranch_execz .LBB276_1024
; %bb.1019:
	s_mov_b32 s22, 0x3c7fffff
	v_cmp_lt_u32_e32 vcc, s22, v3
                                        ; implicit-def: $vgpr25
	s_and_saveexec_b64 s[22:23], vcc
	s_xor_b64 s[22:23], exec, s[22:23]
; %bb.1020:
	v_bfe_u32 v7, v3, 20, 1
	s_mov_b32 s24, 0x407ffff
	v_add3_u32 v3, v3, v7, s24
	v_lshrrev_b32_e32 v7, 20, v3
	v_and_b32_e32 v3, 0xff00000, v3
	s_mov_b32 s24, 0x7f00000
	v_mov_b32_e32 v8, 0x7e
	v_cmp_ne_u32_e32 vcc, s24, v3
	v_cndmask_b32_e32 v25, v8, v7, vcc
                                        ; implicit-def: $vgpr3
; %bb.1021:
	s_andn2_saveexec_b64 s[22:23], s[22:23]
; %bb.1022:
	v_add_f32_e32 v25, 0x46800000, v3
; %bb.1023:
	s_or_b64 exec, exec, s[22:23]
                                        ; implicit-def: $vgpr3
.LBB276_1024:
	s_andn2_saveexec_b64 s[20:21], s[20:21]
; %bb.1025:
	s_mov_b32 s22, 0x7f800000
	v_mov_b32_e32 v7, 0x7e
	v_mov_b32_e32 v8, 0x7f
	v_cmp_lt_u32_e32 vcc, s22, v3
	v_cndmask_b32_e32 v25, v7, v8, vcc
; %bb.1026:
	s_or_b64 exec, exec, s[20:21]
	s_or_b64 s[22:23], s[18:19], exec
	s_xor_b64 s[20:21], exec, -1
.LBB276_1027:
	s_or_b64 exec, exec, s[14:15]
	s_andn2_b64 s[14:15], s[18:19], exec
	s_and_b64 s[18:19], s[22:23], exec
	s_or_b64 s[18:19], s[14:15], s[18:19]
	s_andn2_b64 s[14:15], s[16:17], exec
	s_and_b64 s[16:17], s[20:21], exec
	s_or_b64 s[16:17], s[14:15], s[16:17]
.LBB276_1028:
	s_or_b64 exec, exec, s[12:13]
	s_and_b64 s[14:15], s[18:19], exec
	s_and_b64 s[12:13], s[16:17], exec
.LBB276_1029:
	s_andn2_saveexec_b64 s[10:11], s[10:11]
	s_cbranch_execz .LBB276_1069
; %bb.1030:
	v_cmp_lt_i16_e32 vcc, 26, v12
                                        ; implicit-def: $vgpr25
	s_and_saveexec_b64 s[16:17], vcc
	s_xor_b64 s[16:17], exec, s[16:17]
	s_cbranch_execz .LBB276_1052
; %bb.1031:
	v_cmp_lt_i16_e32 vcc, 27, v12
                                        ; implicit-def: $vgpr25
	s_and_saveexec_b64 s[18:19], vcc
	s_xor_b64 s[18:19], exec, s[18:19]
	s_cbranch_execz .LBB276_1041
; %bb.1032:
	flat_load_dword v3, v[5:6]
	s_mov_b32 s20, 0x43f00000
                                        ; implicit-def: $vgpr25
	s_waitcnt vmcnt(0) lgkmcnt(0)
	v_cvt_f32_u32_e32 v3, v3
	v_cmp_gt_u32_e32 vcc, s20, v3
	s_and_saveexec_b64 s[20:21], vcc
	s_xor_b64 s[20:21], exec, s[20:21]
	s_cbranch_execz .LBB276_1038
; %bb.1033:
	s_mov_b32 s22, 0x3c7fffff
	v_cmp_lt_u32_e32 vcc, s22, v3
                                        ; implicit-def: $vgpr25
	s_and_saveexec_b64 s[22:23], vcc
	s_xor_b64 s[22:23], exec, s[22:23]
; %bb.1034:
	v_bfe_u32 v7, v3, 20, 1
	s_mov_b32 s24, 0x407ffff
	v_add3_u32 v3, v3, v7, s24
	v_lshrrev_b32_e32 v7, 20, v3
	v_and_b32_e32 v3, 0xff00000, v3
	s_mov_b32 s24, 0x7f00000
	v_mov_b32_e32 v8, 0x7e
	v_cmp_ne_u32_e32 vcc, s24, v3
	v_cndmask_b32_e32 v25, v8, v7, vcc
                                        ; implicit-def: $vgpr3
; %bb.1035:
	s_andn2_saveexec_b64 s[22:23], s[22:23]
; %bb.1036:
	v_add_f32_e32 v25, 0x46800000, v3
; %bb.1037:
	s_or_b64 exec, exec, s[22:23]
                                        ; implicit-def: $vgpr3
.LBB276_1038:
	s_andn2_saveexec_b64 s[20:21], s[20:21]
; %bb.1039:
	s_mov_b32 s22, 0x7f800000
	v_mov_b32_e32 v7, 0x7e
	v_mov_b32_e32 v8, 0x7f
	v_cmp_lt_u32_e32 vcc, s22, v3
	v_cndmask_b32_e32 v25, v7, v8, vcc
; %bb.1040:
	s_or_b64 exec, exec, s[20:21]
.LBB276_1041:
	s_andn2_saveexec_b64 s[18:19], s[18:19]
	s_cbranch_execz .LBB276_1051
; %bb.1042:
	flat_load_ushort v3, v[5:6]
	s_mov_b32 s20, 0x43f00000
                                        ; implicit-def: $vgpr25
	s_waitcnt vmcnt(0) lgkmcnt(0)
	v_cvt_f32_u32_e32 v3, v3
	v_cmp_gt_u32_e32 vcc, s20, v3
	s_and_saveexec_b64 s[20:21], vcc
	s_xor_b64 s[20:21], exec, s[20:21]
	s_cbranch_execz .LBB276_1048
; %bb.1043:
	s_mov_b32 s22, 0x3c7fffff
	v_cmp_lt_u32_e32 vcc, s22, v3
                                        ; implicit-def: $vgpr25
	s_and_saveexec_b64 s[22:23], vcc
	s_xor_b64 s[22:23], exec, s[22:23]
; %bb.1044:
	v_bfe_u32 v7, v3, 20, 1
	s_mov_b32 s24, 0x407ffff
	v_add3_u32 v3, v3, v7, s24
	v_lshrrev_b32_e32 v7, 20, v3
	v_and_b32_e32 v3, 0xff00000, v3
	s_mov_b32 s24, 0x7f00000
	v_mov_b32_e32 v8, 0x7e
	v_cmp_ne_u32_e32 vcc, s24, v3
	v_cndmask_b32_e32 v25, v8, v7, vcc
                                        ; implicit-def: $vgpr3
; %bb.1045:
	s_andn2_saveexec_b64 s[22:23], s[22:23]
; %bb.1046:
	v_add_f32_e32 v25, 0x46800000, v3
; %bb.1047:
	s_or_b64 exec, exec, s[22:23]
                                        ; implicit-def: $vgpr3
.LBB276_1048:
	s_andn2_saveexec_b64 s[20:21], s[20:21]
; %bb.1049:
	s_mov_b32 s22, 0x7f800000
	v_mov_b32_e32 v7, 0x7e
	v_mov_b32_e32 v8, 0x7f
	v_cmp_lt_u32_e32 vcc, s22, v3
	v_cndmask_b32_e32 v25, v7, v8, vcc
; %bb.1050:
	s_or_b64 exec, exec, s[20:21]
.LBB276_1051:
	s_or_b64 exec, exec, s[18:19]
.LBB276_1052:
	s_andn2_saveexec_b64 s[16:17], s[16:17]
	s_cbranch_execz .LBB276_1068
; %bb.1053:
	flat_load_ubyte v7, v[5:6]
	s_movk_i32 s18, 0x7f
	s_waitcnt vmcnt(0) lgkmcnt(0)
	v_cmp_lt_i16_e32 vcc, s18, v7
	s_mov_b64 s[18:19], 0
	s_and_saveexec_b64 s[20:21], vcc
	s_xor_b64 s[20:21], exec, s[20:21]
	s_cbranch_execz .LBB276_2584
; %bb.1054:
	s_movk_i32 s18, 0x80
	v_cmp_eq_u16_e32 vcc, s18, v7
	s_mov_b64 s[18:19], -1
	s_and_saveexec_b64 s[22:23], vcc
; %bb.1055:
	s_xor_b64 s[18:19], exec, -1
; %bb.1056:
	s_or_b64 exec, exec, s[22:23]
	s_and_b64 s[18:19], s[18:19], exec
	s_or_saveexec_b64 s[20:21], s[20:21]
	v_mov_b32_e32 v3, 0x7f800001
	s_xor_b64 exec, exec, s[20:21]
	s_cbranch_execnz .LBB276_2585
.LBB276_1057:
	s_or_b64 exec, exec, s[20:21]
	s_and_saveexec_b64 s[20:21], s[18:19]
	s_cbranch_execz .LBB276_1059
.LBB276_1058:
	v_lshlrev_b32_e32 v3, 24, v7
	v_and_b32_e32 v7, 0xffff, v7
	v_and_b32_e32 v8, 7, v7
	v_ffbh_u32_e32 v10, v8
	v_min_u32_e32 v10, 32, v10
	v_subrev_u32_e32 v25, 28, v10
	v_bfe_u32 v9, v7, 3, 4
	v_lshlrev_b32_e32 v7, v25, v7
	v_sub_u32_e32 v10, 29, v10
	v_and_b32_e32 v7, 7, v7
	v_cmp_eq_u32_e32 vcc, 0, v9
	v_cndmask_b32_e32 v9, v9, v10, vcc
	v_cndmask_b32_e32 v7, v8, v7, vcc
	v_mov_b32_e32 v8, 0x3b800000
	v_lshlrev_b32_e32 v7, 20, v7
	v_and_b32_e32 v3, 0x80000000, v3
	v_lshl_add_u32 v8, v9, 23, v8
	v_or3_b32 v3, v3, v8, v7
.LBB276_1059:
	s_or_b64 exec, exec, s[20:21]
	v_and_b32_e32 v8, 0x7fffffff, v3
	s_mov_b32 s18, 0x43f00000
	v_cmp_gt_u32_e32 vcc, s18, v8
                                        ; implicit-def: $vgpr7
	s_and_saveexec_b64 s[18:19], vcc
	s_xor_b64 s[18:19], exec, s[18:19]
	s_cbranch_execz .LBB276_1065
; %bb.1060:
	s_mov_b32 s20, 0x3c7fffff
	v_cmp_lt_u32_e32 vcc, s20, v8
                                        ; implicit-def: $vgpr7
	s_and_saveexec_b64 s[20:21], vcc
	s_xor_b64 s[20:21], exec, s[20:21]
; %bb.1061:
	v_bfe_u32 v7, v3, 20, 1
	s_mov_b32 s22, 0x407ffff
	v_add3_u32 v7, v3, v7, s22
	v_lshrrev_b32_e32 v8, 20, v7
	v_and_b32_e32 v7, 0xff00000, v7
	s_mov_b32 s22, 0x7f00000
	v_mov_b32_e32 v9, 0x7e
	v_cmp_ne_u32_e32 vcc, s22, v7
	v_cndmask_b32_e32 v7, v9, v8, vcc
; %bb.1062:
	s_andn2_saveexec_b64 s[20:21], s[20:21]
; %bb.1063:
	s_mov_b32 s22, 0x46800000
	v_add_f32_e64 v7, |v3|, s22
; %bb.1064:
	s_or_b64 exec, exec, s[20:21]
                                        ; implicit-def: $vgpr8
.LBB276_1065:
	s_andn2_saveexec_b64 s[18:19], s[18:19]
; %bb.1066:
	s_mov_b32 s20, 0x7f800000
	v_mov_b32_e32 v7, 0x7e
	v_mov_b32_e32 v9, 0x7f
	v_cmp_lt_u32_e32 vcc, s20, v8
	v_cndmask_b32_e32 v7, v7, v9, vcc
; %bb.1067:
	s_or_b64 exec, exec, s[18:19]
	v_lshrrev_b32_e32 v3, 24, v3
	s_movk_i32 s18, 0x80
	v_and_or_b32 v25, v3, s18, v7
.LBB276_1068:
	s_or_b64 exec, exec, s[16:17]
	s_or_b64 s[14:15], s[14:15], exec
.LBB276_1069:
	s_or_b64 exec, exec, s[10:11]
	s_and_b64 s[10:11], s[14:15], exec
	s_and_b64 s[12:13], s[12:13], exec
	s_andn2_saveexec_b64 s[8:9], s[8:9]
	s_cbranch_execnz .LBB276_2424
.LBB276_1070:
	s_or_b64 exec, exec, s[8:9]
	s_mov_b64 s[8:9], s[44:45]
	s_and_saveexec_b64 s[14:15], s[12:13]
	s_cbranch_execnz .LBB276_2473
.LBB276_1071:
	s_or_b64 exec, exec, s[14:15]
	s_and_saveexec_b64 s[12:13], s[6:7]
	s_cbranch_execz .LBB276_1081
.LBB276_1072:
	flat_load_ubyte v3, v[5:6]
	s_mov_b32 s6, 0x43f00000
                                        ; implicit-def: $vgpr25
	s_waitcnt vmcnt(0) lgkmcnt(0)
	v_cmp_ne_u16_e32 vcc, 0, v3
	v_cndmask_b32_e64 v3, 0, 1.0, vcc
	v_cmp_gt_u32_e32 vcc, s6, v3
	s_and_saveexec_b64 s[6:7], vcc
	s_xor_b64 s[6:7], exec, s[6:7]
	s_cbranch_execz .LBB276_1078
; %bb.1073:
	s_mov_b32 s14, 0x3c7fffff
	v_cmp_lt_u32_e32 vcc, s14, v3
                                        ; implicit-def: $vgpr25
	s_and_saveexec_b64 s[14:15], vcc
	s_xor_b64 s[14:15], exec, s[14:15]
; %bb.1074:
	v_bfe_u32 v5, v3, 20, 1
	s_mov_b32 s16, 0x407ffff
	v_add3_u32 v3, v3, v5, s16
	v_lshrrev_b32_e32 v5, 20, v3
	v_and_b32_e32 v3, 0xff00000, v3
	s_mov_b32 s16, 0x7f00000
	v_mov_b32_e32 v6, 0x7e
	v_cmp_ne_u32_e32 vcc, s16, v3
	v_cndmask_b32_e32 v25, v6, v5, vcc
                                        ; implicit-def: $vgpr3
; %bb.1075:
	s_andn2_saveexec_b64 s[14:15], s[14:15]
; %bb.1076:
	v_add_f32_e32 v25, 0x46800000, v3
; %bb.1077:
	s_or_b64 exec, exec, s[14:15]
                                        ; implicit-def: $vgpr3
.LBB276_1078:
	s_andn2_saveexec_b64 s[6:7], s[6:7]
; %bb.1079:
	s_mov_b32 s14, 0x7f800000
	v_mov_b32_e32 v5, 0x7e
	v_mov_b32_e32 v6, 0x7f
	v_cmp_lt_u32_e32 vcc, s14, v3
	v_cndmask_b32_e32 v25, v5, v6, vcc
; %bb.1080:
	s_or_b64 exec, exec, s[6:7]
	s_or_b64 s[10:11], s[10:11], exec
.LBB276_1081:
	s_or_b64 exec, exec, s[12:13]
	s_andn2_b64 s[6:7], s[44:45], exec
	s_and_b64 s[8:9], s[8:9], exec
	s_or_b64 s[48:49], s[6:7], s[8:9]
	s_and_b64 s[6:7], s[10:11], exec
                                        ; implicit-def: $vgpr5_vgpr6
.LBB276_1082:
	s_andn2_saveexec_b64 s[4:5], s[4:5]
	s_cbranch_execz .LBB276_1212
; %bb.1083:
	v_cmp_lt_i16_e32 vcc, 4, v12
                                        ; implicit-def: $vgpr25
	s_and_saveexec_b64 s[8:9], vcc
	s_xor_b64 s[8:9], exec, s[8:9]
	s_cbranch_execz .LBB276_1153
; %bb.1084:
	v_cmp_lt_i16_e32 vcc, 7, v12
                                        ; implicit-def: $vgpr25
	s_and_saveexec_b64 s[10:11], vcc
	s_xor_b64 s[10:11], exec, s[10:11]
	;; [unrolled: 6-line block ×4, first 2 shown]
	s_cbranch_execz .LBB276_1096
; %bb.1087:
	flat_load_dwordx2 v[5:6], v[5:6]
	s_mov_b32 s16, 0x43f00000
	s_waitcnt vmcnt(0) lgkmcnt(0)
	v_cvt_f32_f64_e32 v3, v[5:6]
                                        ; implicit-def: $vgpr5
	v_and_b32_e32 v6, 0x7fffffff, v3
	v_cmp_gt_u32_e32 vcc, s16, v6
	s_and_saveexec_b64 s[16:17], vcc
	s_xor_b64 s[16:17], exec, s[16:17]
	s_cbranch_execz .LBB276_1093
; %bb.1088:
	s_mov_b32 s18, 0x3c7fffff
	v_cmp_lt_u32_e32 vcc, s18, v6
                                        ; implicit-def: $vgpr5
	s_and_saveexec_b64 s[18:19], vcc
	s_xor_b64 s[18:19], exec, s[18:19]
; %bb.1089:
	v_bfe_u32 v5, v3, 20, 1
	s_mov_b32 s20, 0x407ffff
	v_add3_u32 v5, v3, v5, s20
	v_lshrrev_b32_e32 v6, 20, v5
	v_and_b32_e32 v5, 0xff00000, v5
	s_mov_b32 s20, 0x7f00000
	v_mov_b32_e32 v7, 0x7e
	v_cmp_ne_u32_e32 vcc, s20, v5
	v_cndmask_b32_e32 v5, v7, v6, vcc
; %bb.1090:
	s_andn2_saveexec_b64 s[18:19], s[18:19]
; %bb.1091:
	s_mov_b32 s20, 0x46800000
	v_add_f32_e64 v5, |v3|, s20
; %bb.1092:
	s_or_b64 exec, exec, s[18:19]
                                        ; implicit-def: $vgpr6
.LBB276_1093:
	s_andn2_saveexec_b64 s[16:17], s[16:17]
; %bb.1094:
	s_mov_b32 s18, 0x7f800000
	v_mov_b32_e32 v5, 0x7e
	v_mov_b32_e32 v7, 0x7f
	v_cmp_lt_u32_e32 vcc, s18, v6
	v_cndmask_b32_e32 v5, v5, v7, vcc
; %bb.1095:
	s_or_b64 exec, exec, s[16:17]
	v_lshrrev_b32_e32 v3, 24, v3
	s_movk_i32 s16, 0x80
	v_and_or_b32 v25, v3, s16, v5
                                        ; implicit-def: $vgpr5_vgpr6
.LBB276_1096:
	s_andn2_saveexec_b64 s[14:15], s[14:15]
	s_cbranch_execz .LBB276_1106
; %bb.1097:
	flat_load_dword v3, v[5:6]
	s_mov_b32 s16, 0x43f00000
                                        ; implicit-def: $vgpr5
	s_waitcnt vmcnt(0) lgkmcnt(0)
	v_and_b32_e32 v6, 0x7fffffff, v3
	v_cmp_gt_u32_e32 vcc, s16, v6
	s_and_saveexec_b64 s[16:17], vcc
	s_xor_b64 s[16:17], exec, s[16:17]
	s_cbranch_execz .LBB276_1103
; %bb.1098:
	s_mov_b32 s18, 0x3c7fffff
	v_cmp_lt_u32_e32 vcc, s18, v6
                                        ; implicit-def: $vgpr5
	s_and_saveexec_b64 s[18:19], vcc
	s_xor_b64 s[18:19], exec, s[18:19]
; %bb.1099:
	v_bfe_u32 v5, v3, 20, 1
	s_mov_b32 s20, 0x407ffff
	v_add3_u32 v5, v3, v5, s20
	v_lshrrev_b32_e32 v6, 20, v5
	v_and_b32_e32 v5, 0xff00000, v5
	s_mov_b32 s20, 0x7f00000
	v_mov_b32_e32 v7, 0x7e
	v_cmp_ne_u32_e32 vcc, s20, v5
	v_cndmask_b32_e32 v5, v7, v6, vcc
; %bb.1100:
	s_andn2_saveexec_b64 s[18:19], s[18:19]
; %bb.1101:
	s_mov_b32 s20, 0x46800000
	v_add_f32_e64 v5, |v3|, s20
; %bb.1102:
	s_or_b64 exec, exec, s[18:19]
                                        ; implicit-def: $vgpr6
.LBB276_1103:
	s_andn2_saveexec_b64 s[16:17], s[16:17]
; %bb.1104:
	s_mov_b32 s18, 0x7f800000
	v_mov_b32_e32 v5, 0x7e
	v_mov_b32_e32 v7, 0x7f
	v_cmp_lt_u32_e32 vcc, s18, v6
	v_cndmask_b32_e32 v5, v5, v7, vcc
; %bb.1105:
	s_or_b64 exec, exec, s[16:17]
	v_lshrrev_b32_e32 v3, 24, v3
	s_movk_i32 s16, 0x80
	v_and_or_b32 v25, v3, s16, v5
.LBB276_1106:
	s_or_b64 exec, exec, s[14:15]
                                        ; implicit-def: $vgpr5_vgpr6
.LBB276_1107:
	s_andn2_saveexec_b64 s[12:13], s[12:13]
	s_cbranch_execz .LBB276_1117
; %bb.1108:
	flat_load_dword v3, v[5:6]
	s_mov_b32 s14, 0x43f00000
                                        ; implicit-def: $vgpr5
	s_waitcnt vmcnt(0) lgkmcnt(0)
	v_cvt_f32_f16_e32 v3, v3
	v_and_b32_e32 v6, 0x7fffffff, v3
	v_cmp_gt_u32_e32 vcc, s14, v6
	s_and_saveexec_b64 s[14:15], vcc
	s_xor_b64 s[14:15], exec, s[14:15]
	s_cbranch_execz .LBB276_1114
; %bb.1109:
	s_mov_b32 s16, 0x3c7fffff
	v_cmp_lt_u32_e32 vcc, s16, v6
                                        ; implicit-def: $vgpr5
	s_and_saveexec_b64 s[16:17], vcc
	s_xor_b64 s[16:17], exec, s[16:17]
; %bb.1110:
	v_bfe_u32 v5, v3, 20, 1
	s_mov_b32 s18, 0x407ffff
	v_add3_u32 v5, v3, v5, s18
	v_lshrrev_b32_e32 v6, 20, v5
	v_and_b32_e32 v5, 0xff00000, v5
	s_mov_b32 s18, 0x7f00000
	v_mov_b32_e32 v7, 0x7e
	v_cmp_ne_u32_e32 vcc, s18, v5
	v_cndmask_b32_e32 v5, v7, v6, vcc
; %bb.1111:
	s_andn2_saveexec_b64 s[16:17], s[16:17]
; %bb.1112:
	s_mov_b32 s18, 0x46800000
	v_add_f32_e64 v5, |v3|, s18
; %bb.1113:
	s_or_b64 exec, exec, s[16:17]
                                        ; implicit-def: $vgpr6
.LBB276_1114:
	s_andn2_saveexec_b64 s[14:15], s[14:15]
; %bb.1115:
	s_mov_b32 s16, 0x7f800000
	v_mov_b32_e32 v5, 0x7e
	v_mov_b32_e32 v7, 0x7f
	v_cmp_lt_u32_e32 vcc, s16, v6
	v_cndmask_b32_e32 v5, v5, v7, vcc
; %bb.1116:
	s_or_b64 exec, exec, s[14:15]
	v_lshrrev_b32_e32 v3, 24, v3
	s_movk_i32 s14, 0x80
	v_and_or_b32 v25, v3, s14, v5
.LBB276_1117:
	s_or_b64 exec, exec, s[12:13]
                                        ; implicit-def: $vgpr5_vgpr6
.LBB276_1118:
	s_andn2_saveexec_b64 s[10:11], s[10:11]
	s_cbranch_execz .LBB276_1152
; %bb.1119:
	v_cmp_lt_i16_e32 vcc, 5, v12
                                        ; implicit-def: $vgpr25
	s_and_saveexec_b64 s[12:13], vcc
	s_xor_b64 s[12:13], exec, s[12:13]
	s_cbranch_execz .LBB276_1141
; %bb.1120:
	v_cmp_lt_i16_e32 vcc, 6, v12
                                        ; implicit-def: $vgpr25
	s_and_saveexec_b64 s[14:15], vcc
	s_xor_b64 s[14:15], exec, s[14:15]
	s_cbranch_execz .LBB276_1130
; %bb.1121:
	flat_load_dwordx2 v[5:6], v[5:6]
	s_mov_b32 s16, 0x43f00000
	s_waitcnt vmcnt(0) lgkmcnt(0)
	v_cvt_f32_f64_e32 v3, v[5:6]
                                        ; implicit-def: $vgpr5
	v_and_b32_e32 v6, 0x7fffffff, v3
	v_cmp_gt_u32_e32 vcc, s16, v6
	s_and_saveexec_b64 s[16:17], vcc
	s_xor_b64 s[16:17], exec, s[16:17]
	s_cbranch_execz .LBB276_1127
; %bb.1122:
	s_mov_b32 s18, 0x3c7fffff
	v_cmp_lt_u32_e32 vcc, s18, v6
                                        ; implicit-def: $vgpr5
	s_and_saveexec_b64 s[18:19], vcc
	s_xor_b64 s[18:19], exec, s[18:19]
; %bb.1123:
	v_bfe_u32 v5, v3, 20, 1
	s_mov_b32 s20, 0x407ffff
	v_add3_u32 v5, v3, v5, s20
	v_lshrrev_b32_e32 v6, 20, v5
	v_and_b32_e32 v5, 0xff00000, v5
	s_mov_b32 s20, 0x7f00000
	v_mov_b32_e32 v7, 0x7e
	v_cmp_ne_u32_e32 vcc, s20, v5
	v_cndmask_b32_e32 v5, v7, v6, vcc
; %bb.1124:
	s_andn2_saveexec_b64 s[18:19], s[18:19]
; %bb.1125:
	s_mov_b32 s20, 0x46800000
	v_add_f32_e64 v5, |v3|, s20
; %bb.1126:
	s_or_b64 exec, exec, s[18:19]
                                        ; implicit-def: $vgpr6
.LBB276_1127:
	s_andn2_saveexec_b64 s[16:17], s[16:17]
; %bb.1128:
	s_mov_b32 s18, 0x7f800000
	v_mov_b32_e32 v5, 0x7e
	v_mov_b32_e32 v7, 0x7f
	v_cmp_lt_u32_e32 vcc, s18, v6
	v_cndmask_b32_e32 v5, v5, v7, vcc
; %bb.1129:
	s_or_b64 exec, exec, s[16:17]
	v_lshrrev_b32_e32 v3, 24, v3
	s_movk_i32 s16, 0x80
	v_and_or_b32 v25, v3, s16, v5
                                        ; implicit-def: $vgpr5_vgpr6
.LBB276_1130:
	s_andn2_saveexec_b64 s[14:15], s[14:15]
	s_cbranch_execz .LBB276_1140
; %bb.1131:
	flat_load_dword v3, v[5:6]
	s_mov_b32 s16, 0x43f00000
                                        ; implicit-def: $vgpr5
	s_waitcnt vmcnt(0) lgkmcnt(0)
	v_and_b32_e32 v6, 0x7fffffff, v3
	v_cmp_gt_u32_e32 vcc, s16, v6
	s_and_saveexec_b64 s[16:17], vcc
	s_xor_b64 s[16:17], exec, s[16:17]
	s_cbranch_execz .LBB276_1137
; %bb.1132:
	s_mov_b32 s18, 0x3c7fffff
	v_cmp_lt_u32_e32 vcc, s18, v6
                                        ; implicit-def: $vgpr5
	s_and_saveexec_b64 s[18:19], vcc
	s_xor_b64 s[18:19], exec, s[18:19]
; %bb.1133:
	v_bfe_u32 v5, v3, 20, 1
	s_mov_b32 s20, 0x407ffff
	v_add3_u32 v5, v3, v5, s20
	v_lshrrev_b32_e32 v6, 20, v5
	v_and_b32_e32 v5, 0xff00000, v5
	s_mov_b32 s20, 0x7f00000
	v_mov_b32_e32 v7, 0x7e
	v_cmp_ne_u32_e32 vcc, s20, v5
	v_cndmask_b32_e32 v5, v7, v6, vcc
; %bb.1134:
	s_andn2_saveexec_b64 s[18:19], s[18:19]
; %bb.1135:
	s_mov_b32 s20, 0x46800000
	v_add_f32_e64 v5, |v3|, s20
; %bb.1136:
	s_or_b64 exec, exec, s[18:19]
                                        ; implicit-def: $vgpr6
.LBB276_1137:
	s_andn2_saveexec_b64 s[16:17], s[16:17]
; %bb.1138:
	s_mov_b32 s18, 0x7f800000
	v_mov_b32_e32 v5, 0x7e
	v_mov_b32_e32 v7, 0x7f
	v_cmp_lt_u32_e32 vcc, s18, v6
	v_cndmask_b32_e32 v5, v5, v7, vcc
; %bb.1139:
	s_or_b64 exec, exec, s[16:17]
	v_lshrrev_b32_e32 v3, 24, v3
	s_movk_i32 s16, 0x80
	v_and_or_b32 v25, v3, s16, v5
.LBB276_1140:
	s_or_b64 exec, exec, s[14:15]
                                        ; implicit-def: $vgpr5_vgpr6
.LBB276_1141:
	s_andn2_saveexec_b64 s[12:13], s[12:13]
	s_cbranch_execz .LBB276_1151
; %bb.1142:
	flat_load_ushort v3, v[5:6]
	s_mov_b32 s14, 0x43f00000
                                        ; implicit-def: $vgpr5
	s_waitcnt vmcnt(0) lgkmcnt(0)
	v_cvt_f32_f16_e32 v3, v3
	v_and_b32_e32 v6, 0x7fffffff, v3
	v_cmp_gt_u32_e32 vcc, s14, v6
	s_and_saveexec_b64 s[14:15], vcc
	s_xor_b64 s[14:15], exec, s[14:15]
	s_cbranch_execz .LBB276_1148
; %bb.1143:
	s_mov_b32 s16, 0x3c7fffff
	v_cmp_lt_u32_e32 vcc, s16, v6
                                        ; implicit-def: $vgpr5
	s_and_saveexec_b64 s[16:17], vcc
	s_xor_b64 s[16:17], exec, s[16:17]
; %bb.1144:
	v_bfe_u32 v5, v3, 20, 1
	s_mov_b32 s18, 0x407ffff
	v_add3_u32 v5, v3, v5, s18
	v_lshrrev_b32_e32 v6, 20, v5
	v_and_b32_e32 v5, 0xff00000, v5
	s_mov_b32 s18, 0x7f00000
	v_mov_b32_e32 v7, 0x7e
	v_cmp_ne_u32_e32 vcc, s18, v5
	v_cndmask_b32_e32 v5, v7, v6, vcc
; %bb.1145:
	s_andn2_saveexec_b64 s[16:17], s[16:17]
; %bb.1146:
	s_mov_b32 s18, 0x46800000
	v_add_f32_e64 v5, |v3|, s18
; %bb.1147:
	s_or_b64 exec, exec, s[16:17]
                                        ; implicit-def: $vgpr6
.LBB276_1148:
	s_andn2_saveexec_b64 s[14:15], s[14:15]
; %bb.1149:
	s_mov_b32 s16, 0x7f800000
	v_mov_b32_e32 v5, 0x7e
	v_mov_b32_e32 v7, 0x7f
	v_cmp_lt_u32_e32 vcc, s16, v6
	v_cndmask_b32_e32 v5, v5, v7, vcc
; %bb.1150:
	s_or_b64 exec, exec, s[14:15]
	v_lshrrev_b32_e32 v3, 24, v3
	s_movk_i32 s14, 0x80
	v_and_or_b32 v25, v3, s14, v5
.LBB276_1151:
	s_or_b64 exec, exec, s[12:13]
.LBB276_1152:
	s_or_b64 exec, exec, s[10:11]
                                        ; implicit-def: $vgpr5_vgpr6
.LBB276_1153:
	s_andn2_saveexec_b64 s[8:9], s[8:9]
	s_cbranch_execz .LBB276_1211
; %bb.1154:
	v_cmp_lt_i16_e32 vcc, 1, v12
                                        ; implicit-def: $vgpr25
	s_and_saveexec_b64 s[10:11], vcc
	s_xor_b64 s[10:11], exec, s[10:11]
	s_cbranch_execz .LBB276_1188
; %bb.1155:
	v_cmp_lt_i16_e32 vcc, 2, v12
                                        ; implicit-def: $vgpr25
	s_and_saveexec_b64 s[12:13], vcc
	s_xor_b64 s[12:13], exec, s[12:13]
	;; [unrolled: 6-line block ×3, first 2 shown]
	s_cbranch_execz .LBB276_1166
; %bb.1157:
	flat_load_dwordx2 v[5:6], v[5:6]
	s_mov_b32 s16, 0x43f00000
	s_waitcnt vmcnt(0) lgkmcnt(0)
	v_xor_b32_e32 v7, v5, v6
	v_ffbh_i32_e32 v3, v6
	v_ashrrev_i32_e32 v7, 31, v7
	v_add_u32_e32 v3, -1, v3
	v_add_u32_e32 v7, 32, v7
	v_min_u32_e32 v3, v3, v7
	v_lshlrev_b64 v[5:6], v3, v[5:6]
	v_sub_u32_e32 v3, 32, v3
	v_min_u32_e32 v5, 1, v5
	v_or_b32_e32 v5, v6, v5
	v_cvt_f32_i32_e32 v5, v5
	v_ldexp_f32 v3, v5, v3
	v_and_b32_e32 v6, 0x7fffffff, v3
	v_cmp_gt_u32_e32 vcc, s16, v6
                                        ; implicit-def: $vgpr5
	s_and_saveexec_b64 s[16:17], vcc
	s_xor_b64 s[16:17], exec, s[16:17]
	s_cbranch_execz .LBB276_1163
; %bb.1158:
	s_mov_b32 s18, 0x3c7fffff
	v_cmp_lt_u32_e32 vcc, s18, v6
                                        ; implicit-def: $vgpr5
	s_and_saveexec_b64 s[18:19], vcc
	s_xor_b64 s[18:19], exec, s[18:19]
; %bb.1159:
	v_bfe_u32 v5, v3, 20, 1
	s_mov_b32 s20, 0x407ffff
	v_add3_u32 v5, v3, v5, s20
	v_lshrrev_b32_e32 v6, 20, v5
	v_and_b32_e32 v5, 0xff00000, v5
	s_mov_b32 s20, 0x7f00000
	v_mov_b32_e32 v7, 0x7e
	v_cmp_ne_u32_e32 vcc, s20, v5
	v_cndmask_b32_e32 v5, v7, v6, vcc
; %bb.1160:
	s_andn2_saveexec_b64 s[18:19], s[18:19]
; %bb.1161:
	s_mov_b32 s20, 0x46800000
	v_add_f32_e64 v5, |v3|, s20
; %bb.1162:
	s_or_b64 exec, exec, s[18:19]
                                        ; implicit-def: $vgpr6
.LBB276_1163:
	s_andn2_saveexec_b64 s[16:17], s[16:17]
; %bb.1164:
	s_mov_b32 s18, 0x7f800000
	v_mov_b32_e32 v5, 0x7e
	v_mov_b32_e32 v7, 0x7f
	v_cmp_lt_u32_e32 vcc, s18, v6
	v_cndmask_b32_e32 v5, v5, v7, vcc
; %bb.1165:
	s_or_b64 exec, exec, s[16:17]
	v_lshrrev_b32_e32 v3, 24, v3
	s_movk_i32 s16, 0x80
	v_and_or_b32 v25, v3, s16, v5
                                        ; implicit-def: $vgpr5_vgpr6
.LBB276_1166:
	s_andn2_saveexec_b64 s[14:15], s[14:15]
	s_cbranch_execz .LBB276_1176
; %bb.1167:
	flat_load_dword v3, v[5:6]
	s_mov_b32 s16, 0x43f00000
                                        ; implicit-def: $vgpr5
	s_waitcnt vmcnt(0) lgkmcnt(0)
	v_cvt_f32_i32_e32 v3, v3
	v_and_b32_e32 v6, 0x7fffffff, v3
	v_cmp_gt_u32_e32 vcc, s16, v6
	s_and_saveexec_b64 s[16:17], vcc
	s_xor_b64 s[16:17], exec, s[16:17]
	s_cbranch_execz .LBB276_1173
; %bb.1168:
	s_mov_b32 s18, 0x3c7fffff
	v_cmp_lt_u32_e32 vcc, s18, v6
                                        ; implicit-def: $vgpr5
	s_and_saveexec_b64 s[18:19], vcc
	s_xor_b64 s[18:19], exec, s[18:19]
; %bb.1169:
	v_bfe_u32 v5, v3, 20, 1
	s_mov_b32 s20, 0x407ffff
	v_add3_u32 v5, v3, v5, s20
	v_lshrrev_b32_e32 v6, 20, v5
	v_and_b32_e32 v5, 0xff00000, v5
	s_mov_b32 s20, 0x7f00000
	v_mov_b32_e32 v7, 0x7e
	v_cmp_ne_u32_e32 vcc, s20, v5
	v_cndmask_b32_e32 v5, v7, v6, vcc
; %bb.1170:
	s_andn2_saveexec_b64 s[18:19], s[18:19]
; %bb.1171:
	s_mov_b32 s20, 0x46800000
	v_add_f32_e64 v5, |v3|, s20
; %bb.1172:
	s_or_b64 exec, exec, s[18:19]
                                        ; implicit-def: $vgpr6
.LBB276_1173:
	s_andn2_saveexec_b64 s[16:17], s[16:17]
; %bb.1174:
	s_mov_b32 s18, 0x7f800000
	v_mov_b32_e32 v5, 0x7e
	v_mov_b32_e32 v7, 0x7f
	v_cmp_lt_u32_e32 vcc, s18, v6
	v_cndmask_b32_e32 v5, v5, v7, vcc
; %bb.1175:
	s_or_b64 exec, exec, s[16:17]
	v_lshrrev_b32_e32 v3, 24, v3
	s_movk_i32 s16, 0x80
	v_and_or_b32 v25, v3, s16, v5
.LBB276_1176:
	s_or_b64 exec, exec, s[14:15]
                                        ; implicit-def: $vgpr5_vgpr6
.LBB276_1177:
	s_andn2_saveexec_b64 s[12:13], s[12:13]
	s_cbranch_execz .LBB276_1187
; %bb.1178:
	flat_load_sshort v3, v[5:6]
	s_mov_b32 s14, 0x43f00000
                                        ; implicit-def: $vgpr5
	s_waitcnt vmcnt(0) lgkmcnt(0)
	v_cvt_f32_i32_e32 v3, v3
	v_and_b32_e32 v6, 0x7fffffff, v3
	v_cmp_gt_u32_e32 vcc, s14, v6
	s_and_saveexec_b64 s[14:15], vcc
	s_xor_b64 s[14:15], exec, s[14:15]
	s_cbranch_execz .LBB276_1184
; %bb.1179:
	s_mov_b32 s16, 0x3c7fffff
	v_cmp_lt_u32_e32 vcc, s16, v6
                                        ; implicit-def: $vgpr5
	s_and_saveexec_b64 s[16:17], vcc
	s_xor_b64 s[16:17], exec, s[16:17]
; %bb.1180:
	v_bfe_u32 v5, v3, 20, 1
	s_mov_b32 s18, 0x407ffff
	v_add3_u32 v5, v3, v5, s18
	v_lshrrev_b32_e32 v6, 20, v5
	v_and_b32_e32 v5, 0xff00000, v5
	s_mov_b32 s18, 0x7f00000
	v_mov_b32_e32 v7, 0x7e
	v_cmp_ne_u32_e32 vcc, s18, v5
	v_cndmask_b32_e32 v5, v7, v6, vcc
; %bb.1181:
	s_andn2_saveexec_b64 s[16:17], s[16:17]
; %bb.1182:
	s_mov_b32 s18, 0x46800000
	v_add_f32_e64 v5, |v3|, s18
; %bb.1183:
	s_or_b64 exec, exec, s[16:17]
                                        ; implicit-def: $vgpr6
.LBB276_1184:
	s_andn2_saveexec_b64 s[14:15], s[14:15]
; %bb.1185:
	s_mov_b32 s16, 0x7f800000
	v_mov_b32_e32 v5, 0x7e
	v_mov_b32_e32 v7, 0x7f
	v_cmp_lt_u32_e32 vcc, s16, v6
	v_cndmask_b32_e32 v5, v5, v7, vcc
; %bb.1186:
	s_or_b64 exec, exec, s[14:15]
	v_lshrrev_b32_e32 v3, 24, v3
	s_movk_i32 s14, 0x80
	v_and_or_b32 v25, v3, s14, v5
.LBB276_1187:
	s_or_b64 exec, exec, s[12:13]
                                        ; implicit-def: $vgpr5_vgpr6
.LBB276_1188:
	s_andn2_saveexec_b64 s[10:11], s[10:11]
	s_cbranch_execz .LBB276_1210
; %bb.1189:
	v_cmp_lt_i16_e32 vcc, 0, v12
                                        ; implicit-def: $vgpr25
	s_and_saveexec_b64 s[12:13], vcc
	s_xor_b64 s[12:13], exec, s[12:13]
	s_cbranch_execz .LBB276_1199
; %bb.1190:
	flat_load_sbyte v3, v[5:6]
	s_mov_b32 s14, 0x43f00000
                                        ; implicit-def: $vgpr5
	s_waitcnt vmcnt(0) lgkmcnt(0)
	v_cvt_f32_i32_e32 v3, v3
	v_and_b32_e32 v6, 0x7fffffff, v3
	v_cmp_gt_u32_e32 vcc, s14, v6
	s_and_saveexec_b64 s[14:15], vcc
	s_xor_b64 s[14:15], exec, s[14:15]
	s_cbranch_execz .LBB276_1196
; %bb.1191:
	s_mov_b32 s16, 0x3c7fffff
	v_cmp_lt_u32_e32 vcc, s16, v6
                                        ; implicit-def: $vgpr5
	s_and_saveexec_b64 s[16:17], vcc
	s_xor_b64 s[16:17], exec, s[16:17]
; %bb.1192:
	v_bfe_u32 v5, v3, 20, 1
	s_mov_b32 s18, 0x407ffff
	v_add3_u32 v5, v3, v5, s18
	v_lshrrev_b32_e32 v6, 20, v5
	v_and_b32_e32 v5, 0xff00000, v5
	s_mov_b32 s18, 0x7f00000
	v_mov_b32_e32 v7, 0x7e
	v_cmp_ne_u32_e32 vcc, s18, v5
	v_cndmask_b32_e32 v5, v7, v6, vcc
; %bb.1193:
	s_andn2_saveexec_b64 s[16:17], s[16:17]
; %bb.1194:
	s_mov_b32 s18, 0x46800000
	v_add_f32_e64 v5, |v3|, s18
; %bb.1195:
	s_or_b64 exec, exec, s[16:17]
                                        ; implicit-def: $vgpr6
.LBB276_1196:
	s_andn2_saveexec_b64 s[14:15], s[14:15]
; %bb.1197:
	s_mov_b32 s16, 0x7f800000
	v_mov_b32_e32 v5, 0x7e
	v_mov_b32_e32 v7, 0x7f
	v_cmp_lt_u32_e32 vcc, s16, v6
	v_cndmask_b32_e32 v5, v5, v7, vcc
; %bb.1198:
	s_or_b64 exec, exec, s[14:15]
	v_lshrrev_b32_e32 v3, 24, v3
	s_movk_i32 s14, 0x80
	v_and_or_b32 v25, v3, s14, v5
                                        ; implicit-def: $vgpr5_vgpr6
.LBB276_1199:
	s_andn2_saveexec_b64 s[12:13], s[12:13]
	s_cbranch_execz .LBB276_1209
; %bb.1200:
	flat_load_ubyte v3, v[5:6]
	s_mov_b32 s14, 0x43f00000
                                        ; implicit-def: $vgpr25
	s_waitcnt vmcnt(0) lgkmcnt(0)
	v_cvt_f32_ubyte0_e32 v3, v3
	v_cmp_gt_u32_e32 vcc, s14, v3
	s_and_saveexec_b64 s[14:15], vcc
	s_xor_b64 s[14:15], exec, s[14:15]
	s_cbranch_execz .LBB276_1206
; %bb.1201:
	s_mov_b32 s16, 0x3c7fffff
	v_cmp_lt_u32_e32 vcc, s16, v3
                                        ; implicit-def: $vgpr25
	s_and_saveexec_b64 s[16:17], vcc
	s_xor_b64 s[16:17], exec, s[16:17]
; %bb.1202:
	v_bfe_u32 v5, v3, 20, 1
	s_mov_b32 s18, 0x407ffff
	v_add3_u32 v3, v3, v5, s18
	v_lshrrev_b32_e32 v5, 20, v3
	v_and_b32_e32 v3, 0xff00000, v3
	s_mov_b32 s18, 0x7f00000
	v_mov_b32_e32 v6, 0x7e
	v_cmp_ne_u32_e32 vcc, s18, v3
	v_cndmask_b32_e32 v25, v6, v5, vcc
                                        ; implicit-def: $vgpr3
; %bb.1203:
	s_andn2_saveexec_b64 s[16:17], s[16:17]
; %bb.1204:
	v_add_f32_e32 v25, 0x46800000, v3
; %bb.1205:
	s_or_b64 exec, exec, s[16:17]
                                        ; implicit-def: $vgpr3
.LBB276_1206:
	s_andn2_saveexec_b64 s[14:15], s[14:15]
; %bb.1207:
	s_mov_b32 s16, 0x7f800000
	v_mov_b32_e32 v5, 0x7e
	v_mov_b32_e32 v6, 0x7f
	v_cmp_lt_u32_e32 vcc, s16, v3
	v_cndmask_b32_e32 v25, v5, v6, vcc
; %bb.1208:
	s_or_b64 exec, exec, s[14:15]
.LBB276_1209:
	s_or_b64 exec, exec, s[12:13]
.LBB276_1210:
	s_or_b64 exec, exec, s[10:11]
.LBB276_1211:
	s_or_b64 exec, exec, s[8:9]
	s_or_b64 s[6:7], s[6:7], exec
.LBB276_1212:
	s_or_b64 exec, exec, s[4:5]
	s_mov_b64 s[4:5], 0
	s_mov_b64 s[8:9], 0
	;; [unrolled: 1-line block ×3, first 2 shown]
                                        ; implicit-def: $sgpr10_sgpr11
                                        ; implicit-def: $vgpr9_vgpr10
                                        ; implicit-def: $vgpr3
	s_and_saveexec_b64 s[50:51], s[6:7]
	s_cbranch_execz .LBB276_2189
; %bb.1213:
	v_add_co_u32_e32 v3, vcc, v13, v4
	v_addc_co_u32_e32 v4, vcc, 0, v14, vcc
	v_cmp_lt_i16_e32 vcc, 10, v11
	s_mov_b64 s[6:7], 0
	s_mov_b64 s[52:53], s[48:49]
                                        ; implicit-def: $vgpr26
	s_and_saveexec_b64 s[4:5], vcc
	s_xor_b64 s[4:5], exec, s[4:5]
	s_cbranch_execz .LBB276_1308
; %bb.1214:
	v_cmp_lt_i16_e32 vcc, 25, v11
	s_mov_b64 s[10:11], 0
                                        ; implicit-def: $vgpr26
	s_and_saveexec_b64 s[8:9], vcc
	s_xor_b64 s[8:9], exec, s[8:9]
	s_cbranch_execz .LBB276_2476
; %bb.1215:
	v_cmp_lt_i16_e32 vcc, 28, v11
	;; [unrolled: 7-line block ×3, first 2 shown]
	s_mov_b64 s[16:17], 0
	s_mov_b64 s[18:19], 0
                                        ; implicit-def: $vgpr26
	s_and_saveexec_b64 s[12:13], vcc
	s_xor_b64 s[12:13], exec, s[12:13]
	s_cbranch_execz .LBB276_1242
; %bb.1217:
	v_cmp_lt_i16_e32 vcc, 45, v11
                                        ; implicit-def: $vgpr26
	s_and_saveexec_b64 s[18:19], vcc
	s_xor_b64 s[18:19], exec, s[18:19]
	s_cbranch_execz .LBB276_1229
; %bb.1218:
	v_cmp_eq_u16_e32 vcc, 46, v11
	s_mov_b64 s[20:21], -1
                                        ; implicit-def: $vgpr26
	s_and_saveexec_b64 s[14:15], vcc
	s_cbranch_execz .LBB276_1228
; %bb.1219:
	flat_load_dword v5, v[3:4]
	s_mov_b32 s16, 0x43f00000
                                        ; implicit-def: $vgpr6
	s_waitcnt vmcnt(0) lgkmcnt(0)
	v_lshlrev_b32_e32 v5, 16, v5
	v_and_b32_e32 v7, 0x7fffffff, v5
	v_cmp_gt_u32_e32 vcc, s16, v7
	s_and_saveexec_b64 s[16:17], vcc
	s_xor_b64 s[16:17], exec, s[16:17]
	s_cbranch_execz .LBB276_1225
; %bb.1220:
	s_mov_b32 s20, 0x3c7fffff
	v_cmp_lt_u32_e32 vcc, s20, v7
                                        ; implicit-def: $vgpr6
	s_and_saveexec_b64 s[20:21], vcc
	s_xor_b64 s[20:21], exec, s[20:21]
; %bb.1221:
	v_bfe_u32 v6, v5, 20, 1
	s_mov_b32 s22, 0x407ffff
	v_add3_u32 v6, v5, v6, s22
	v_lshrrev_b32_e32 v7, 20, v6
	v_and_b32_e32 v6, 0xff00000, v6
	s_mov_b32 s22, 0x7f00000
	v_mov_b32_e32 v8, 0x7e
	v_cmp_ne_u32_e32 vcc, s22, v6
	v_cndmask_b32_e32 v6, v8, v7, vcc
; %bb.1222:
	s_andn2_saveexec_b64 s[20:21], s[20:21]
; %bb.1223:
	s_mov_b32 s22, 0x46800000
	v_add_f32_e64 v6, |v5|, s22
; %bb.1224:
	s_or_b64 exec, exec, s[20:21]
                                        ; implicit-def: $vgpr7
.LBB276_1225:
	s_andn2_saveexec_b64 s[16:17], s[16:17]
; %bb.1226:
	s_mov_b32 s20, 0x7f800000
	v_mov_b32_e32 v6, 0x7e
	v_mov_b32_e32 v8, 0x7f
	v_cmp_lt_u32_e32 vcc, s20, v7
	v_cndmask_b32_e32 v6, v6, v8, vcc
; %bb.1227:
	s_or_b64 exec, exec, s[16:17]
	v_lshrrev_b32_e32 v5, 24, v5
	s_movk_i32 s20, 0x80
	s_mov_b64 s[16:17], exec
	v_and_or_b32 v26, v5, s20, v6
	s_xor_b64 s[20:21], exec, -1
.LBB276_1228:
	s_or_b64 exec, exec, s[14:15]
	s_and_b64 s[16:17], s[16:17], exec
	s_and_b64 s[14:15], s[20:21], exec
.LBB276_1229:
	s_andn2_saveexec_b64 s[18:19], s[18:19]
	s_cbranch_execz .LBB276_1241
; %bb.1230:
	v_cmp_eq_u16_e32 vcc, 44, v11
	s_mov_b64 s[22:23], -1
	s_mov_b64 s[24:25], s[16:17]
                                        ; implicit-def: $vgpr26
	s_and_saveexec_b64 s[20:21], vcc
	s_cbranch_execz .LBB276_1240
; %bb.1231:
	flat_load_ubyte v5, v[3:4]
	s_movk_i32 s22, 0xff
	v_mov_b32_e32 v6, 0x7f800001
	v_mov_b32_e32 v7, 0x400000
                                        ; implicit-def: $vgpr26
	s_waitcnt vmcnt(0) lgkmcnt(0)
	v_lshlrev_b32_e32 v8, 23, v5
	v_cmp_ne_u32_e32 vcc, s22, v5
	v_cndmask_b32_e32 v6, v6, v8, vcc
	v_cmp_ne_u32_e32 vcc, 0, v5
	v_cndmask_b32_e32 v5, v7, v6, vcc
	s_mov_b32 s22, 0x43f00000
	v_cmp_gt_u32_e32 vcc, s22, v5
	s_and_saveexec_b64 s[22:23], vcc
	s_xor_b64 s[22:23], exec, s[22:23]
	s_cbranch_execz .LBB276_1237
; %bb.1232:
	s_mov_b32 s24, 0x3c7fffff
	v_cmp_lt_u32_e32 vcc, s24, v5
                                        ; implicit-def: $vgpr26
	s_and_saveexec_b64 s[24:25], vcc
	s_xor_b64 s[24:25], exec, s[24:25]
; %bb.1233:
	v_bfe_u32 v6, v5, 20, 1
	s_mov_b32 s28, 0x407ffff
	v_add3_u32 v5, v5, v6, s28
	v_lshrrev_b32_e32 v6, 20, v5
	v_and_b32_e32 v5, 0xff00000, v5
	s_mov_b32 s28, 0x7f00000
	v_mov_b32_e32 v7, 0x7e
	v_cmp_ne_u32_e32 vcc, s28, v5
	v_cndmask_b32_e32 v26, v7, v6, vcc
                                        ; implicit-def: $vgpr5
; %bb.1234:
	s_andn2_saveexec_b64 s[24:25], s[24:25]
; %bb.1235:
	v_add_f32_e32 v26, 0x46800000, v5
; %bb.1236:
	s_or_b64 exec, exec, s[24:25]
                                        ; implicit-def: $vgpr5
.LBB276_1237:
	s_andn2_saveexec_b64 s[22:23], s[22:23]
; %bb.1238:
	s_mov_b32 s24, 0x7f800000
	v_mov_b32_e32 v6, 0x7e
	v_mov_b32_e32 v7, 0x7f
	v_cmp_lt_u32_e32 vcc, s24, v5
	v_cndmask_b32_e32 v26, v6, v7, vcc
; %bb.1239:
	s_or_b64 exec, exec, s[22:23]
	s_or_b64 s[24:25], s[16:17], exec
	s_xor_b64 s[22:23], exec, -1
.LBB276_1240:
	s_or_b64 exec, exec, s[20:21]
	s_andn2_b64 s[16:17], s[16:17], exec
	s_and_b64 s[20:21], s[24:25], exec
	s_or_b64 s[16:17], s[16:17], s[20:21]
	s_andn2_b64 s[14:15], s[14:15], exec
	s_and_b64 s[20:21], s[22:23], exec
	s_or_b64 s[14:15], s[14:15], s[20:21]
.LBB276_1241:
	s_or_b64 exec, exec, s[18:19]
	s_and_b64 s[18:19], s[16:17], exec
	s_and_b64 s[16:17], s[14:15], exec
.LBB276_1242:
	s_andn2_saveexec_b64 s[12:13], s[12:13]
	s_cbranch_execz .LBB276_1254
; %bb.1243:
	v_cmp_eq_u16_e32 vcc, 29, v11
	s_mov_b64 s[20:21], -1
	s_mov_b64 s[22:23], s[18:19]
                                        ; implicit-def: $vgpr26
	s_and_saveexec_b64 s[14:15], vcc
	s_cbranch_execz .LBB276_1253
; %bb.1244:
	flat_load_dwordx2 v[5:6], v[3:4]
	s_mov_b32 s20, 0x43f00000
                                        ; implicit-def: $vgpr26
	s_waitcnt vmcnt(0) lgkmcnt(0)
	v_ffbh_u32_e32 v7, v6
	v_min_u32_e32 v7, 32, v7
	v_lshlrev_b64 v[5:6], v7, v[5:6]
	v_min_u32_e32 v5, 1, v5
	v_or_b32_e32 v5, v6, v5
	v_cvt_f32_u32_e32 v5, v5
	v_sub_u32_e32 v6, 32, v7
	v_ldexp_f32 v5, v5, v6
	v_cmp_gt_u32_e32 vcc, s20, v5
	s_and_saveexec_b64 s[20:21], vcc
	s_xor_b64 s[20:21], exec, s[20:21]
	s_cbranch_execz .LBB276_1250
; %bb.1245:
	s_mov_b32 s22, 0x3c7fffff
	v_cmp_lt_u32_e32 vcc, s22, v5
                                        ; implicit-def: $vgpr26
	s_and_saveexec_b64 s[22:23], vcc
	s_xor_b64 s[22:23], exec, s[22:23]
; %bb.1246:
	v_bfe_u32 v6, v5, 20, 1
	s_mov_b32 s24, 0x407ffff
	v_add3_u32 v5, v5, v6, s24
	v_lshrrev_b32_e32 v6, 20, v5
	v_and_b32_e32 v5, 0xff00000, v5
	s_mov_b32 s24, 0x7f00000
	v_mov_b32_e32 v7, 0x7e
	v_cmp_ne_u32_e32 vcc, s24, v5
	v_cndmask_b32_e32 v26, v7, v6, vcc
                                        ; implicit-def: $vgpr5
; %bb.1247:
	s_andn2_saveexec_b64 s[22:23], s[22:23]
; %bb.1248:
	v_add_f32_e32 v26, 0x46800000, v5
; %bb.1249:
	s_or_b64 exec, exec, s[22:23]
                                        ; implicit-def: $vgpr5
.LBB276_1250:
	s_andn2_saveexec_b64 s[20:21], s[20:21]
; %bb.1251:
	s_mov_b32 s22, 0x7f800000
	v_mov_b32_e32 v6, 0x7e
	v_mov_b32_e32 v7, 0x7f
	v_cmp_lt_u32_e32 vcc, s22, v5
	v_cndmask_b32_e32 v26, v6, v7, vcc
; %bb.1252:
	s_or_b64 exec, exec, s[20:21]
	s_or_b64 s[22:23], s[18:19], exec
	s_xor_b64 s[20:21], exec, -1
.LBB276_1253:
	s_or_b64 exec, exec, s[14:15]
	s_andn2_b64 s[14:15], s[18:19], exec
	s_and_b64 s[18:19], s[22:23], exec
	s_or_b64 s[18:19], s[14:15], s[18:19]
	s_andn2_b64 s[14:15], s[16:17], exec
	s_and_b64 s[16:17], s[20:21], exec
	s_or_b64 s[16:17], s[14:15], s[16:17]
.LBB276_1254:
	s_or_b64 exec, exec, s[12:13]
	s_and_b64 s[14:15], s[18:19], exec
	s_and_b64 s[12:13], s[16:17], exec
.LBB276_1255:
	s_andn2_saveexec_b64 s[10:11], s[10:11]
	s_cbranch_execz .LBB276_1295
; %bb.1256:
	v_cmp_lt_i16_e32 vcc, 26, v11
                                        ; implicit-def: $vgpr26
	s_and_saveexec_b64 s[16:17], vcc
	s_xor_b64 s[16:17], exec, s[16:17]
	s_cbranch_execz .LBB276_1278
; %bb.1257:
	v_cmp_lt_i16_e32 vcc, 27, v11
                                        ; implicit-def: $vgpr26
	s_and_saveexec_b64 s[18:19], vcc
	s_xor_b64 s[18:19], exec, s[18:19]
	s_cbranch_execz .LBB276_1267
; %bb.1258:
	flat_load_dword v5, v[3:4]
	s_mov_b32 s20, 0x43f00000
                                        ; implicit-def: $vgpr26
	s_waitcnt vmcnt(0) lgkmcnt(0)
	v_cvt_f32_u32_e32 v5, v5
	v_cmp_gt_u32_e32 vcc, s20, v5
	s_and_saveexec_b64 s[20:21], vcc
	s_xor_b64 s[20:21], exec, s[20:21]
	s_cbranch_execz .LBB276_1264
; %bb.1259:
	s_mov_b32 s22, 0x3c7fffff
	v_cmp_lt_u32_e32 vcc, s22, v5
                                        ; implicit-def: $vgpr26
	s_and_saveexec_b64 s[22:23], vcc
	s_xor_b64 s[22:23], exec, s[22:23]
; %bb.1260:
	v_bfe_u32 v6, v5, 20, 1
	s_mov_b32 s24, 0x407ffff
	v_add3_u32 v5, v5, v6, s24
	v_lshrrev_b32_e32 v6, 20, v5
	v_and_b32_e32 v5, 0xff00000, v5
	s_mov_b32 s24, 0x7f00000
	v_mov_b32_e32 v7, 0x7e
	v_cmp_ne_u32_e32 vcc, s24, v5
	v_cndmask_b32_e32 v26, v7, v6, vcc
                                        ; implicit-def: $vgpr5
; %bb.1261:
	s_andn2_saveexec_b64 s[22:23], s[22:23]
; %bb.1262:
	v_add_f32_e32 v26, 0x46800000, v5
; %bb.1263:
	s_or_b64 exec, exec, s[22:23]
                                        ; implicit-def: $vgpr5
.LBB276_1264:
	s_andn2_saveexec_b64 s[20:21], s[20:21]
; %bb.1265:
	s_mov_b32 s22, 0x7f800000
	v_mov_b32_e32 v6, 0x7e
	v_mov_b32_e32 v7, 0x7f
	v_cmp_lt_u32_e32 vcc, s22, v5
	v_cndmask_b32_e32 v26, v6, v7, vcc
; %bb.1266:
	s_or_b64 exec, exec, s[20:21]
.LBB276_1267:
	s_andn2_saveexec_b64 s[18:19], s[18:19]
	s_cbranch_execz .LBB276_1277
; %bb.1268:
	flat_load_ushort v5, v[3:4]
	s_mov_b32 s20, 0x43f00000
                                        ; implicit-def: $vgpr26
	s_waitcnt vmcnt(0) lgkmcnt(0)
	v_cvt_f32_u32_e32 v5, v5
	v_cmp_gt_u32_e32 vcc, s20, v5
	s_and_saveexec_b64 s[20:21], vcc
	s_xor_b64 s[20:21], exec, s[20:21]
	s_cbranch_execz .LBB276_1274
; %bb.1269:
	s_mov_b32 s22, 0x3c7fffff
	v_cmp_lt_u32_e32 vcc, s22, v5
                                        ; implicit-def: $vgpr26
	s_and_saveexec_b64 s[22:23], vcc
	s_xor_b64 s[22:23], exec, s[22:23]
; %bb.1270:
	v_bfe_u32 v6, v5, 20, 1
	s_mov_b32 s24, 0x407ffff
	v_add3_u32 v5, v5, v6, s24
	v_lshrrev_b32_e32 v6, 20, v5
	v_and_b32_e32 v5, 0xff00000, v5
	s_mov_b32 s24, 0x7f00000
	v_mov_b32_e32 v7, 0x7e
	v_cmp_ne_u32_e32 vcc, s24, v5
	v_cndmask_b32_e32 v26, v7, v6, vcc
                                        ; implicit-def: $vgpr5
; %bb.1271:
	s_andn2_saveexec_b64 s[22:23], s[22:23]
; %bb.1272:
	v_add_f32_e32 v26, 0x46800000, v5
; %bb.1273:
	s_or_b64 exec, exec, s[22:23]
                                        ; implicit-def: $vgpr5
.LBB276_1274:
	s_andn2_saveexec_b64 s[20:21], s[20:21]
; %bb.1275:
	s_mov_b32 s22, 0x7f800000
	v_mov_b32_e32 v6, 0x7e
	v_mov_b32_e32 v7, 0x7f
	v_cmp_lt_u32_e32 vcc, s22, v5
	v_cndmask_b32_e32 v26, v6, v7, vcc
; %bb.1276:
	s_or_b64 exec, exec, s[20:21]
.LBB276_1277:
	s_or_b64 exec, exec, s[18:19]
.LBB276_1278:
	s_andn2_saveexec_b64 s[16:17], s[16:17]
	s_cbranch_execz .LBB276_1294
; %bb.1279:
	flat_load_ubyte v6, v[3:4]
	s_movk_i32 s18, 0x7f
	s_waitcnt vmcnt(0) lgkmcnt(0)
	v_cmp_lt_i16_e32 vcc, s18, v6
	s_mov_b64 s[18:19], 0
	s_and_saveexec_b64 s[20:21], vcc
	s_xor_b64 s[20:21], exec, s[20:21]
	s_cbranch_execz .LBB276_2643
; %bb.1280:
	s_movk_i32 s18, 0x80
	v_cmp_eq_u16_e32 vcc, s18, v6
	s_mov_b64 s[18:19], -1
	s_and_saveexec_b64 s[22:23], vcc
; %bb.1281:
	s_xor_b64 s[18:19], exec, -1
; %bb.1282:
	s_or_b64 exec, exec, s[22:23]
	s_and_b64 s[18:19], s[18:19], exec
	s_or_saveexec_b64 s[20:21], s[20:21]
	v_mov_b32_e32 v5, 0x7f800001
	s_xor_b64 exec, exec, s[20:21]
	s_cbranch_execnz .LBB276_2644
.LBB276_1283:
	s_or_b64 exec, exec, s[20:21]
	s_and_saveexec_b64 s[20:21], s[18:19]
	s_cbranch_execz .LBB276_1285
.LBB276_1284:
	v_lshlrev_b32_e32 v5, 24, v6
	v_and_b32_e32 v6, 0xffff, v6
	v_and_b32_e32 v7, 7, v6
	v_ffbh_u32_e32 v9, v7
	v_min_u32_e32 v9, 32, v9
	v_subrev_u32_e32 v10, 28, v9
	v_bfe_u32 v8, v6, 3, 4
	v_lshlrev_b32_e32 v6, v10, v6
	v_sub_u32_e32 v9, 29, v9
	v_and_b32_e32 v6, 7, v6
	v_cmp_eq_u32_e32 vcc, 0, v8
	v_cndmask_b32_e32 v8, v8, v9, vcc
	v_cndmask_b32_e32 v6, v7, v6, vcc
	v_mov_b32_e32 v7, 0x3b800000
	v_lshlrev_b32_e32 v6, 20, v6
	v_and_b32_e32 v5, 0x80000000, v5
	v_lshl_add_u32 v7, v8, 23, v7
	v_or3_b32 v5, v5, v7, v6
.LBB276_1285:
	s_or_b64 exec, exec, s[20:21]
	v_and_b32_e32 v7, 0x7fffffff, v5
	s_mov_b32 s18, 0x43f00000
	v_cmp_gt_u32_e32 vcc, s18, v7
                                        ; implicit-def: $vgpr6
	s_and_saveexec_b64 s[18:19], vcc
	s_xor_b64 s[18:19], exec, s[18:19]
	s_cbranch_execz .LBB276_1291
; %bb.1286:
	s_mov_b32 s20, 0x3c7fffff
	v_cmp_lt_u32_e32 vcc, s20, v7
                                        ; implicit-def: $vgpr6
	s_and_saveexec_b64 s[20:21], vcc
	s_xor_b64 s[20:21], exec, s[20:21]
; %bb.1287:
	v_bfe_u32 v6, v5, 20, 1
	s_mov_b32 s22, 0x407ffff
	v_add3_u32 v6, v5, v6, s22
	v_lshrrev_b32_e32 v7, 20, v6
	v_and_b32_e32 v6, 0xff00000, v6
	s_mov_b32 s22, 0x7f00000
	v_mov_b32_e32 v8, 0x7e
	v_cmp_ne_u32_e32 vcc, s22, v6
	v_cndmask_b32_e32 v6, v8, v7, vcc
; %bb.1288:
	s_andn2_saveexec_b64 s[20:21], s[20:21]
; %bb.1289:
	s_mov_b32 s22, 0x46800000
	v_add_f32_e64 v6, |v5|, s22
; %bb.1290:
	s_or_b64 exec, exec, s[20:21]
                                        ; implicit-def: $vgpr7
.LBB276_1291:
	s_andn2_saveexec_b64 s[18:19], s[18:19]
; %bb.1292:
	s_mov_b32 s20, 0x7f800000
	v_mov_b32_e32 v6, 0x7e
	v_mov_b32_e32 v8, 0x7f
	v_cmp_lt_u32_e32 vcc, s20, v7
	v_cndmask_b32_e32 v6, v6, v8, vcc
; %bb.1293:
	s_or_b64 exec, exec, s[18:19]
	v_lshrrev_b32_e32 v5, 24, v5
	s_movk_i32 s18, 0x80
	v_and_or_b32 v26, v5, s18, v6
.LBB276_1294:
	s_or_b64 exec, exec, s[16:17]
	s_or_b64 s[14:15], s[14:15], exec
.LBB276_1295:
	s_or_b64 exec, exec, s[10:11]
	s_and_b64 s[10:11], s[14:15], exec
	s_and_b64 s[12:13], s[12:13], exec
	s_andn2_saveexec_b64 s[8:9], s[8:9]
	s_cbranch_execnz .LBB276_2477
.LBB276_1296:
	s_or_b64 exec, exec, s[8:9]
	s_mov_b64 s[8:9], s[48:49]
	s_and_saveexec_b64 s[14:15], s[12:13]
	s_cbranch_execnz .LBB276_2526
.LBB276_1297:
	s_or_b64 exec, exec, s[14:15]
	s_and_saveexec_b64 s[12:13], s[6:7]
	s_cbranch_execz .LBB276_1307
.LBB276_1298:
	flat_load_ubyte v3, v[3:4]
	s_mov_b32 s6, 0x43f00000
                                        ; implicit-def: $vgpr26
	s_waitcnt vmcnt(0) lgkmcnt(0)
	v_cmp_ne_u16_e32 vcc, 0, v3
	v_cndmask_b32_e64 v3, 0, 1.0, vcc
	v_cmp_gt_u32_e32 vcc, s6, v3
	s_and_saveexec_b64 s[6:7], vcc
	s_xor_b64 s[6:7], exec, s[6:7]
	s_cbranch_execz .LBB276_1304
; %bb.1299:
	s_mov_b32 s14, 0x3c7fffff
	v_cmp_lt_u32_e32 vcc, s14, v3
                                        ; implicit-def: $vgpr26
	s_and_saveexec_b64 s[14:15], vcc
	s_xor_b64 s[14:15], exec, s[14:15]
; %bb.1300:
	v_bfe_u32 v4, v3, 20, 1
	s_mov_b32 s16, 0x407ffff
	v_add3_u32 v3, v3, v4, s16
	v_lshrrev_b32_e32 v4, 20, v3
	v_and_b32_e32 v3, 0xff00000, v3
	s_mov_b32 s16, 0x7f00000
	v_mov_b32_e32 v5, 0x7e
	v_cmp_ne_u32_e32 vcc, s16, v3
	v_cndmask_b32_e32 v26, v5, v4, vcc
                                        ; implicit-def: $vgpr3
; %bb.1301:
	s_andn2_saveexec_b64 s[14:15], s[14:15]
; %bb.1302:
	v_add_f32_e32 v26, 0x46800000, v3
; %bb.1303:
	s_or_b64 exec, exec, s[14:15]
                                        ; implicit-def: $vgpr3
.LBB276_1304:
	s_andn2_saveexec_b64 s[6:7], s[6:7]
; %bb.1305:
	s_mov_b32 s14, 0x7f800000
	v_mov_b32_e32 v4, 0x7e
	v_mov_b32_e32 v5, 0x7f
	v_cmp_lt_u32_e32 vcc, s14, v3
	v_cndmask_b32_e32 v26, v4, v5, vcc
; %bb.1306:
	s_or_b64 exec, exec, s[6:7]
	s_or_b64 s[10:11], s[10:11], exec
.LBB276_1307:
	s_or_b64 exec, exec, s[12:13]
	s_andn2_b64 s[6:7], s[48:49], exec
	s_and_b64 s[8:9], s[8:9], exec
	s_or_b64 s[52:53], s[6:7], s[8:9]
	s_and_b64 s[6:7], s[10:11], exec
                                        ; implicit-def: $vgpr3_vgpr4
.LBB276_1308:
	s_andn2_saveexec_b64 s[4:5], s[4:5]
	s_cbranch_execz .LBB276_1438
; %bb.1309:
	v_cmp_lt_i16_e32 vcc, 4, v11
                                        ; implicit-def: $vgpr26
	s_and_saveexec_b64 s[8:9], vcc
	s_xor_b64 s[8:9], exec, s[8:9]
	s_cbranch_execz .LBB276_1379
; %bb.1310:
	v_cmp_lt_i16_e32 vcc, 7, v11
                                        ; implicit-def: $vgpr26
	s_and_saveexec_b64 s[10:11], vcc
	s_xor_b64 s[10:11], exec, s[10:11]
	;; [unrolled: 6-line block ×4, first 2 shown]
	s_cbranch_execz .LBB276_1322
; %bb.1313:
	flat_load_dwordx2 v[3:4], v[3:4]
	s_mov_b32 s16, 0x43f00000
	s_waitcnt vmcnt(0) lgkmcnt(0)
	v_cvt_f32_f64_e32 v3, v[3:4]
                                        ; implicit-def: $vgpr4
	v_and_b32_e32 v5, 0x7fffffff, v3
	v_cmp_gt_u32_e32 vcc, s16, v5
	s_and_saveexec_b64 s[16:17], vcc
	s_xor_b64 s[16:17], exec, s[16:17]
	s_cbranch_execz .LBB276_1319
; %bb.1314:
	s_mov_b32 s18, 0x3c7fffff
	v_cmp_lt_u32_e32 vcc, s18, v5
                                        ; implicit-def: $vgpr4
	s_and_saveexec_b64 s[18:19], vcc
	s_xor_b64 s[18:19], exec, s[18:19]
; %bb.1315:
	v_bfe_u32 v4, v3, 20, 1
	s_mov_b32 s20, 0x407ffff
	v_add3_u32 v4, v3, v4, s20
	v_lshrrev_b32_e32 v5, 20, v4
	v_and_b32_e32 v4, 0xff00000, v4
	s_mov_b32 s20, 0x7f00000
	v_mov_b32_e32 v6, 0x7e
	v_cmp_ne_u32_e32 vcc, s20, v4
	v_cndmask_b32_e32 v4, v6, v5, vcc
; %bb.1316:
	s_andn2_saveexec_b64 s[18:19], s[18:19]
; %bb.1317:
	s_mov_b32 s20, 0x46800000
	v_add_f32_e64 v4, |v3|, s20
; %bb.1318:
	s_or_b64 exec, exec, s[18:19]
                                        ; implicit-def: $vgpr5
.LBB276_1319:
	s_andn2_saveexec_b64 s[16:17], s[16:17]
; %bb.1320:
	s_mov_b32 s18, 0x7f800000
	v_mov_b32_e32 v4, 0x7e
	v_mov_b32_e32 v6, 0x7f
	v_cmp_lt_u32_e32 vcc, s18, v5
	v_cndmask_b32_e32 v4, v4, v6, vcc
; %bb.1321:
	s_or_b64 exec, exec, s[16:17]
	v_lshrrev_b32_e32 v3, 24, v3
	s_movk_i32 s16, 0x80
	v_and_or_b32 v26, v3, s16, v4
                                        ; implicit-def: $vgpr3_vgpr4
.LBB276_1322:
	s_andn2_saveexec_b64 s[14:15], s[14:15]
	s_cbranch_execz .LBB276_1332
; %bb.1323:
	flat_load_dword v3, v[3:4]
	s_mov_b32 s16, 0x43f00000
                                        ; implicit-def: $vgpr4
	s_waitcnt vmcnt(0) lgkmcnt(0)
	v_and_b32_e32 v5, 0x7fffffff, v3
	v_cmp_gt_u32_e32 vcc, s16, v5
	s_and_saveexec_b64 s[16:17], vcc
	s_xor_b64 s[16:17], exec, s[16:17]
	s_cbranch_execz .LBB276_1329
; %bb.1324:
	s_mov_b32 s18, 0x3c7fffff
	v_cmp_lt_u32_e32 vcc, s18, v5
                                        ; implicit-def: $vgpr4
	s_and_saveexec_b64 s[18:19], vcc
	s_xor_b64 s[18:19], exec, s[18:19]
; %bb.1325:
	v_bfe_u32 v4, v3, 20, 1
	s_mov_b32 s20, 0x407ffff
	v_add3_u32 v4, v3, v4, s20
	v_lshrrev_b32_e32 v5, 20, v4
	v_and_b32_e32 v4, 0xff00000, v4
	s_mov_b32 s20, 0x7f00000
	v_mov_b32_e32 v6, 0x7e
	v_cmp_ne_u32_e32 vcc, s20, v4
	v_cndmask_b32_e32 v4, v6, v5, vcc
; %bb.1326:
	s_andn2_saveexec_b64 s[18:19], s[18:19]
; %bb.1327:
	s_mov_b32 s20, 0x46800000
	v_add_f32_e64 v4, |v3|, s20
; %bb.1328:
	s_or_b64 exec, exec, s[18:19]
                                        ; implicit-def: $vgpr5
.LBB276_1329:
	s_andn2_saveexec_b64 s[16:17], s[16:17]
; %bb.1330:
	s_mov_b32 s18, 0x7f800000
	v_mov_b32_e32 v4, 0x7e
	v_mov_b32_e32 v6, 0x7f
	v_cmp_lt_u32_e32 vcc, s18, v5
	v_cndmask_b32_e32 v4, v4, v6, vcc
; %bb.1331:
	s_or_b64 exec, exec, s[16:17]
	v_lshrrev_b32_e32 v3, 24, v3
	s_movk_i32 s16, 0x80
	v_and_or_b32 v26, v3, s16, v4
.LBB276_1332:
	s_or_b64 exec, exec, s[14:15]
                                        ; implicit-def: $vgpr3_vgpr4
.LBB276_1333:
	s_andn2_saveexec_b64 s[12:13], s[12:13]
	s_cbranch_execz .LBB276_1343
; %bb.1334:
	flat_load_dword v3, v[3:4]
	s_mov_b32 s14, 0x43f00000
                                        ; implicit-def: $vgpr4
	s_waitcnt vmcnt(0) lgkmcnt(0)
	v_cvt_f32_f16_e32 v3, v3
	v_and_b32_e32 v5, 0x7fffffff, v3
	v_cmp_gt_u32_e32 vcc, s14, v5
	s_and_saveexec_b64 s[14:15], vcc
	s_xor_b64 s[14:15], exec, s[14:15]
	s_cbranch_execz .LBB276_1340
; %bb.1335:
	s_mov_b32 s16, 0x3c7fffff
	v_cmp_lt_u32_e32 vcc, s16, v5
                                        ; implicit-def: $vgpr4
	s_and_saveexec_b64 s[16:17], vcc
	s_xor_b64 s[16:17], exec, s[16:17]
; %bb.1336:
	v_bfe_u32 v4, v3, 20, 1
	s_mov_b32 s18, 0x407ffff
	v_add3_u32 v4, v3, v4, s18
	v_lshrrev_b32_e32 v5, 20, v4
	v_and_b32_e32 v4, 0xff00000, v4
	s_mov_b32 s18, 0x7f00000
	v_mov_b32_e32 v6, 0x7e
	v_cmp_ne_u32_e32 vcc, s18, v4
	v_cndmask_b32_e32 v4, v6, v5, vcc
; %bb.1337:
	s_andn2_saveexec_b64 s[16:17], s[16:17]
; %bb.1338:
	s_mov_b32 s18, 0x46800000
	v_add_f32_e64 v4, |v3|, s18
; %bb.1339:
	s_or_b64 exec, exec, s[16:17]
                                        ; implicit-def: $vgpr5
.LBB276_1340:
	s_andn2_saveexec_b64 s[14:15], s[14:15]
; %bb.1341:
	s_mov_b32 s16, 0x7f800000
	v_mov_b32_e32 v4, 0x7e
	v_mov_b32_e32 v6, 0x7f
	v_cmp_lt_u32_e32 vcc, s16, v5
	v_cndmask_b32_e32 v4, v4, v6, vcc
; %bb.1342:
	s_or_b64 exec, exec, s[14:15]
	v_lshrrev_b32_e32 v3, 24, v3
	s_movk_i32 s14, 0x80
	v_and_or_b32 v26, v3, s14, v4
.LBB276_1343:
	s_or_b64 exec, exec, s[12:13]
                                        ; implicit-def: $vgpr3_vgpr4
.LBB276_1344:
	s_andn2_saveexec_b64 s[10:11], s[10:11]
	s_cbranch_execz .LBB276_1378
; %bb.1345:
	v_cmp_lt_i16_e32 vcc, 5, v11
                                        ; implicit-def: $vgpr26
	s_and_saveexec_b64 s[12:13], vcc
	s_xor_b64 s[12:13], exec, s[12:13]
	s_cbranch_execz .LBB276_1367
; %bb.1346:
	v_cmp_lt_i16_e32 vcc, 6, v11
                                        ; implicit-def: $vgpr26
	s_and_saveexec_b64 s[14:15], vcc
	s_xor_b64 s[14:15], exec, s[14:15]
	s_cbranch_execz .LBB276_1356
; %bb.1347:
	flat_load_dwordx2 v[3:4], v[3:4]
	s_mov_b32 s16, 0x43f00000
	s_waitcnt vmcnt(0) lgkmcnt(0)
	v_cvt_f32_f64_e32 v3, v[3:4]
                                        ; implicit-def: $vgpr4
	v_and_b32_e32 v5, 0x7fffffff, v3
	v_cmp_gt_u32_e32 vcc, s16, v5
	s_and_saveexec_b64 s[16:17], vcc
	s_xor_b64 s[16:17], exec, s[16:17]
	s_cbranch_execz .LBB276_1353
; %bb.1348:
	s_mov_b32 s18, 0x3c7fffff
	v_cmp_lt_u32_e32 vcc, s18, v5
                                        ; implicit-def: $vgpr4
	s_and_saveexec_b64 s[18:19], vcc
	s_xor_b64 s[18:19], exec, s[18:19]
; %bb.1349:
	v_bfe_u32 v4, v3, 20, 1
	s_mov_b32 s20, 0x407ffff
	v_add3_u32 v4, v3, v4, s20
	v_lshrrev_b32_e32 v5, 20, v4
	v_and_b32_e32 v4, 0xff00000, v4
	s_mov_b32 s20, 0x7f00000
	v_mov_b32_e32 v6, 0x7e
	v_cmp_ne_u32_e32 vcc, s20, v4
	v_cndmask_b32_e32 v4, v6, v5, vcc
; %bb.1350:
	s_andn2_saveexec_b64 s[18:19], s[18:19]
; %bb.1351:
	s_mov_b32 s20, 0x46800000
	v_add_f32_e64 v4, |v3|, s20
; %bb.1352:
	s_or_b64 exec, exec, s[18:19]
                                        ; implicit-def: $vgpr5
.LBB276_1353:
	s_andn2_saveexec_b64 s[16:17], s[16:17]
; %bb.1354:
	s_mov_b32 s18, 0x7f800000
	v_mov_b32_e32 v4, 0x7e
	v_mov_b32_e32 v6, 0x7f
	v_cmp_lt_u32_e32 vcc, s18, v5
	v_cndmask_b32_e32 v4, v4, v6, vcc
; %bb.1355:
	s_or_b64 exec, exec, s[16:17]
	v_lshrrev_b32_e32 v3, 24, v3
	s_movk_i32 s16, 0x80
	v_and_or_b32 v26, v3, s16, v4
                                        ; implicit-def: $vgpr3_vgpr4
.LBB276_1356:
	s_andn2_saveexec_b64 s[14:15], s[14:15]
	s_cbranch_execz .LBB276_1366
; %bb.1357:
	flat_load_dword v3, v[3:4]
	s_mov_b32 s16, 0x43f00000
                                        ; implicit-def: $vgpr4
	s_waitcnt vmcnt(0) lgkmcnt(0)
	v_and_b32_e32 v5, 0x7fffffff, v3
	v_cmp_gt_u32_e32 vcc, s16, v5
	s_and_saveexec_b64 s[16:17], vcc
	s_xor_b64 s[16:17], exec, s[16:17]
	s_cbranch_execz .LBB276_1363
; %bb.1358:
	s_mov_b32 s18, 0x3c7fffff
	v_cmp_lt_u32_e32 vcc, s18, v5
                                        ; implicit-def: $vgpr4
	s_and_saveexec_b64 s[18:19], vcc
	s_xor_b64 s[18:19], exec, s[18:19]
; %bb.1359:
	v_bfe_u32 v4, v3, 20, 1
	s_mov_b32 s20, 0x407ffff
	v_add3_u32 v4, v3, v4, s20
	v_lshrrev_b32_e32 v5, 20, v4
	v_and_b32_e32 v4, 0xff00000, v4
	s_mov_b32 s20, 0x7f00000
	v_mov_b32_e32 v6, 0x7e
	v_cmp_ne_u32_e32 vcc, s20, v4
	v_cndmask_b32_e32 v4, v6, v5, vcc
; %bb.1360:
	s_andn2_saveexec_b64 s[18:19], s[18:19]
; %bb.1361:
	s_mov_b32 s20, 0x46800000
	v_add_f32_e64 v4, |v3|, s20
; %bb.1362:
	s_or_b64 exec, exec, s[18:19]
                                        ; implicit-def: $vgpr5
.LBB276_1363:
	s_andn2_saveexec_b64 s[16:17], s[16:17]
; %bb.1364:
	s_mov_b32 s18, 0x7f800000
	v_mov_b32_e32 v4, 0x7e
	v_mov_b32_e32 v6, 0x7f
	v_cmp_lt_u32_e32 vcc, s18, v5
	v_cndmask_b32_e32 v4, v4, v6, vcc
; %bb.1365:
	s_or_b64 exec, exec, s[16:17]
	v_lshrrev_b32_e32 v3, 24, v3
	s_movk_i32 s16, 0x80
	v_and_or_b32 v26, v3, s16, v4
.LBB276_1366:
	s_or_b64 exec, exec, s[14:15]
                                        ; implicit-def: $vgpr3_vgpr4
.LBB276_1367:
	s_andn2_saveexec_b64 s[12:13], s[12:13]
	s_cbranch_execz .LBB276_1377
; %bb.1368:
	flat_load_ushort v3, v[3:4]
	s_mov_b32 s14, 0x43f00000
                                        ; implicit-def: $vgpr4
	s_waitcnt vmcnt(0) lgkmcnt(0)
	v_cvt_f32_f16_e32 v3, v3
	v_and_b32_e32 v5, 0x7fffffff, v3
	v_cmp_gt_u32_e32 vcc, s14, v5
	s_and_saveexec_b64 s[14:15], vcc
	s_xor_b64 s[14:15], exec, s[14:15]
	s_cbranch_execz .LBB276_1374
; %bb.1369:
	s_mov_b32 s16, 0x3c7fffff
	v_cmp_lt_u32_e32 vcc, s16, v5
                                        ; implicit-def: $vgpr4
	s_and_saveexec_b64 s[16:17], vcc
	s_xor_b64 s[16:17], exec, s[16:17]
; %bb.1370:
	v_bfe_u32 v4, v3, 20, 1
	s_mov_b32 s18, 0x407ffff
	v_add3_u32 v4, v3, v4, s18
	v_lshrrev_b32_e32 v5, 20, v4
	v_and_b32_e32 v4, 0xff00000, v4
	s_mov_b32 s18, 0x7f00000
	v_mov_b32_e32 v6, 0x7e
	v_cmp_ne_u32_e32 vcc, s18, v4
	v_cndmask_b32_e32 v4, v6, v5, vcc
; %bb.1371:
	s_andn2_saveexec_b64 s[16:17], s[16:17]
; %bb.1372:
	s_mov_b32 s18, 0x46800000
	v_add_f32_e64 v4, |v3|, s18
; %bb.1373:
	s_or_b64 exec, exec, s[16:17]
                                        ; implicit-def: $vgpr5
.LBB276_1374:
	s_andn2_saveexec_b64 s[14:15], s[14:15]
; %bb.1375:
	s_mov_b32 s16, 0x7f800000
	v_mov_b32_e32 v4, 0x7e
	v_mov_b32_e32 v6, 0x7f
	v_cmp_lt_u32_e32 vcc, s16, v5
	v_cndmask_b32_e32 v4, v4, v6, vcc
; %bb.1376:
	s_or_b64 exec, exec, s[14:15]
	v_lshrrev_b32_e32 v3, 24, v3
	s_movk_i32 s14, 0x80
	v_and_or_b32 v26, v3, s14, v4
.LBB276_1377:
	s_or_b64 exec, exec, s[12:13]
.LBB276_1378:
	s_or_b64 exec, exec, s[10:11]
                                        ; implicit-def: $vgpr3_vgpr4
.LBB276_1379:
	s_andn2_saveexec_b64 s[8:9], s[8:9]
	s_cbranch_execz .LBB276_1437
; %bb.1380:
	v_cmp_lt_i16_e32 vcc, 1, v11
                                        ; implicit-def: $vgpr26
	s_and_saveexec_b64 s[10:11], vcc
	s_xor_b64 s[10:11], exec, s[10:11]
	s_cbranch_execz .LBB276_1414
; %bb.1381:
	v_cmp_lt_i16_e32 vcc, 2, v11
                                        ; implicit-def: $vgpr26
	s_and_saveexec_b64 s[12:13], vcc
	s_xor_b64 s[12:13], exec, s[12:13]
	;; [unrolled: 6-line block ×3, first 2 shown]
	s_cbranch_execz .LBB276_1392
; %bb.1383:
	flat_load_dwordx2 v[3:4], v[3:4]
	s_mov_b32 s16, 0x43f00000
	s_waitcnt vmcnt(0) lgkmcnt(0)
	v_xor_b32_e32 v6, v3, v4
	v_ffbh_i32_e32 v5, v4
	v_ashrrev_i32_e32 v6, 31, v6
	v_add_u32_e32 v5, -1, v5
	v_add_u32_e32 v6, 32, v6
	v_min_u32_e32 v5, v5, v6
	v_lshlrev_b64 v[3:4], v5, v[3:4]
	v_min_u32_e32 v3, 1, v3
	v_or_b32_e32 v3, v4, v3
	v_cvt_f32_i32_e32 v3, v3
	v_sub_u32_e32 v4, 32, v5
	v_ldexp_f32 v3, v3, v4
	v_and_b32_e32 v5, 0x7fffffff, v3
	v_cmp_gt_u32_e32 vcc, s16, v5
                                        ; implicit-def: $vgpr4
	s_and_saveexec_b64 s[16:17], vcc
	s_xor_b64 s[16:17], exec, s[16:17]
	s_cbranch_execz .LBB276_1389
; %bb.1384:
	s_mov_b32 s18, 0x3c7fffff
	v_cmp_lt_u32_e32 vcc, s18, v5
                                        ; implicit-def: $vgpr4
	s_and_saveexec_b64 s[18:19], vcc
	s_xor_b64 s[18:19], exec, s[18:19]
; %bb.1385:
	v_bfe_u32 v4, v3, 20, 1
	s_mov_b32 s20, 0x407ffff
	v_add3_u32 v4, v3, v4, s20
	v_lshrrev_b32_e32 v5, 20, v4
	v_and_b32_e32 v4, 0xff00000, v4
	s_mov_b32 s20, 0x7f00000
	v_mov_b32_e32 v6, 0x7e
	v_cmp_ne_u32_e32 vcc, s20, v4
	v_cndmask_b32_e32 v4, v6, v5, vcc
; %bb.1386:
	s_andn2_saveexec_b64 s[18:19], s[18:19]
; %bb.1387:
	s_mov_b32 s20, 0x46800000
	v_add_f32_e64 v4, |v3|, s20
; %bb.1388:
	s_or_b64 exec, exec, s[18:19]
                                        ; implicit-def: $vgpr5
.LBB276_1389:
	s_andn2_saveexec_b64 s[16:17], s[16:17]
; %bb.1390:
	s_mov_b32 s18, 0x7f800000
	v_mov_b32_e32 v4, 0x7e
	v_mov_b32_e32 v6, 0x7f
	v_cmp_lt_u32_e32 vcc, s18, v5
	v_cndmask_b32_e32 v4, v4, v6, vcc
; %bb.1391:
	s_or_b64 exec, exec, s[16:17]
	v_lshrrev_b32_e32 v3, 24, v3
	s_movk_i32 s16, 0x80
	v_and_or_b32 v26, v3, s16, v4
                                        ; implicit-def: $vgpr3_vgpr4
.LBB276_1392:
	s_andn2_saveexec_b64 s[14:15], s[14:15]
	s_cbranch_execz .LBB276_1402
; %bb.1393:
	flat_load_dword v3, v[3:4]
	s_mov_b32 s16, 0x43f00000
                                        ; implicit-def: $vgpr4
	s_waitcnt vmcnt(0) lgkmcnt(0)
	v_cvt_f32_i32_e32 v3, v3
	v_and_b32_e32 v5, 0x7fffffff, v3
	v_cmp_gt_u32_e32 vcc, s16, v5
	s_and_saveexec_b64 s[16:17], vcc
	s_xor_b64 s[16:17], exec, s[16:17]
	s_cbranch_execz .LBB276_1399
; %bb.1394:
	s_mov_b32 s18, 0x3c7fffff
	v_cmp_lt_u32_e32 vcc, s18, v5
                                        ; implicit-def: $vgpr4
	s_and_saveexec_b64 s[18:19], vcc
	s_xor_b64 s[18:19], exec, s[18:19]
; %bb.1395:
	v_bfe_u32 v4, v3, 20, 1
	s_mov_b32 s20, 0x407ffff
	v_add3_u32 v4, v3, v4, s20
	v_lshrrev_b32_e32 v5, 20, v4
	v_and_b32_e32 v4, 0xff00000, v4
	s_mov_b32 s20, 0x7f00000
	v_mov_b32_e32 v6, 0x7e
	v_cmp_ne_u32_e32 vcc, s20, v4
	v_cndmask_b32_e32 v4, v6, v5, vcc
; %bb.1396:
	s_andn2_saveexec_b64 s[18:19], s[18:19]
; %bb.1397:
	s_mov_b32 s20, 0x46800000
	v_add_f32_e64 v4, |v3|, s20
; %bb.1398:
	s_or_b64 exec, exec, s[18:19]
                                        ; implicit-def: $vgpr5
.LBB276_1399:
	s_andn2_saveexec_b64 s[16:17], s[16:17]
; %bb.1400:
	s_mov_b32 s18, 0x7f800000
	v_mov_b32_e32 v4, 0x7e
	v_mov_b32_e32 v6, 0x7f
	v_cmp_lt_u32_e32 vcc, s18, v5
	v_cndmask_b32_e32 v4, v4, v6, vcc
; %bb.1401:
	s_or_b64 exec, exec, s[16:17]
	v_lshrrev_b32_e32 v3, 24, v3
	s_movk_i32 s16, 0x80
	v_and_or_b32 v26, v3, s16, v4
.LBB276_1402:
	s_or_b64 exec, exec, s[14:15]
                                        ; implicit-def: $vgpr3_vgpr4
.LBB276_1403:
	s_andn2_saveexec_b64 s[12:13], s[12:13]
	s_cbranch_execz .LBB276_1413
; %bb.1404:
	flat_load_sshort v3, v[3:4]
	s_mov_b32 s14, 0x43f00000
                                        ; implicit-def: $vgpr4
	s_waitcnt vmcnt(0) lgkmcnt(0)
	v_cvt_f32_i32_e32 v3, v3
	v_and_b32_e32 v5, 0x7fffffff, v3
	v_cmp_gt_u32_e32 vcc, s14, v5
	s_and_saveexec_b64 s[14:15], vcc
	s_xor_b64 s[14:15], exec, s[14:15]
	s_cbranch_execz .LBB276_1410
; %bb.1405:
	s_mov_b32 s16, 0x3c7fffff
	v_cmp_lt_u32_e32 vcc, s16, v5
                                        ; implicit-def: $vgpr4
	s_and_saveexec_b64 s[16:17], vcc
	s_xor_b64 s[16:17], exec, s[16:17]
; %bb.1406:
	v_bfe_u32 v4, v3, 20, 1
	s_mov_b32 s18, 0x407ffff
	v_add3_u32 v4, v3, v4, s18
	v_lshrrev_b32_e32 v5, 20, v4
	v_and_b32_e32 v4, 0xff00000, v4
	s_mov_b32 s18, 0x7f00000
	v_mov_b32_e32 v6, 0x7e
	v_cmp_ne_u32_e32 vcc, s18, v4
	v_cndmask_b32_e32 v4, v6, v5, vcc
; %bb.1407:
	s_andn2_saveexec_b64 s[16:17], s[16:17]
; %bb.1408:
	s_mov_b32 s18, 0x46800000
	v_add_f32_e64 v4, |v3|, s18
; %bb.1409:
	s_or_b64 exec, exec, s[16:17]
                                        ; implicit-def: $vgpr5
.LBB276_1410:
	s_andn2_saveexec_b64 s[14:15], s[14:15]
; %bb.1411:
	s_mov_b32 s16, 0x7f800000
	v_mov_b32_e32 v4, 0x7e
	v_mov_b32_e32 v6, 0x7f
	v_cmp_lt_u32_e32 vcc, s16, v5
	v_cndmask_b32_e32 v4, v4, v6, vcc
; %bb.1412:
	s_or_b64 exec, exec, s[14:15]
	v_lshrrev_b32_e32 v3, 24, v3
	s_movk_i32 s14, 0x80
	v_and_or_b32 v26, v3, s14, v4
.LBB276_1413:
	s_or_b64 exec, exec, s[12:13]
                                        ; implicit-def: $vgpr3_vgpr4
.LBB276_1414:
	s_andn2_saveexec_b64 s[10:11], s[10:11]
	s_cbranch_execz .LBB276_1436
; %bb.1415:
	v_cmp_lt_i16_e32 vcc, 0, v11
                                        ; implicit-def: $vgpr26
	s_and_saveexec_b64 s[12:13], vcc
	s_xor_b64 s[12:13], exec, s[12:13]
	s_cbranch_execz .LBB276_1425
; %bb.1416:
	flat_load_sbyte v3, v[3:4]
	s_mov_b32 s14, 0x43f00000
                                        ; implicit-def: $vgpr4
	s_waitcnt vmcnt(0) lgkmcnt(0)
	v_cvt_f32_i32_e32 v3, v3
	v_and_b32_e32 v5, 0x7fffffff, v3
	v_cmp_gt_u32_e32 vcc, s14, v5
	s_and_saveexec_b64 s[14:15], vcc
	s_xor_b64 s[14:15], exec, s[14:15]
	s_cbranch_execz .LBB276_1422
; %bb.1417:
	s_mov_b32 s16, 0x3c7fffff
	v_cmp_lt_u32_e32 vcc, s16, v5
                                        ; implicit-def: $vgpr4
	s_and_saveexec_b64 s[16:17], vcc
	s_xor_b64 s[16:17], exec, s[16:17]
; %bb.1418:
	v_bfe_u32 v4, v3, 20, 1
	s_mov_b32 s18, 0x407ffff
	v_add3_u32 v4, v3, v4, s18
	v_lshrrev_b32_e32 v5, 20, v4
	v_and_b32_e32 v4, 0xff00000, v4
	s_mov_b32 s18, 0x7f00000
	v_mov_b32_e32 v6, 0x7e
	v_cmp_ne_u32_e32 vcc, s18, v4
	v_cndmask_b32_e32 v4, v6, v5, vcc
; %bb.1419:
	s_andn2_saveexec_b64 s[16:17], s[16:17]
; %bb.1420:
	s_mov_b32 s18, 0x46800000
	v_add_f32_e64 v4, |v3|, s18
; %bb.1421:
	s_or_b64 exec, exec, s[16:17]
                                        ; implicit-def: $vgpr5
.LBB276_1422:
	s_andn2_saveexec_b64 s[14:15], s[14:15]
; %bb.1423:
	s_mov_b32 s16, 0x7f800000
	v_mov_b32_e32 v4, 0x7e
	v_mov_b32_e32 v6, 0x7f
	v_cmp_lt_u32_e32 vcc, s16, v5
	v_cndmask_b32_e32 v4, v4, v6, vcc
; %bb.1424:
	s_or_b64 exec, exec, s[14:15]
	v_lshrrev_b32_e32 v3, 24, v3
	s_movk_i32 s14, 0x80
	v_and_or_b32 v26, v3, s14, v4
                                        ; implicit-def: $vgpr3_vgpr4
.LBB276_1425:
	s_andn2_saveexec_b64 s[12:13], s[12:13]
	s_cbranch_execz .LBB276_1435
; %bb.1426:
	flat_load_ubyte v3, v[3:4]
	s_mov_b32 s14, 0x43f00000
                                        ; implicit-def: $vgpr26
	s_waitcnt vmcnt(0) lgkmcnt(0)
	v_cvt_f32_ubyte0_e32 v3, v3
	v_cmp_gt_u32_e32 vcc, s14, v3
	s_and_saveexec_b64 s[14:15], vcc
	s_xor_b64 s[14:15], exec, s[14:15]
	s_cbranch_execz .LBB276_1432
; %bb.1427:
	s_mov_b32 s16, 0x3c7fffff
	v_cmp_lt_u32_e32 vcc, s16, v3
                                        ; implicit-def: $vgpr26
	s_and_saveexec_b64 s[16:17], vcc
	s_xor_b64 s[16:17], exec, s[16:17]
; %bb.1428:
	v_bfe_u32 v4, v3, 20, 1
	s_mov_b32 s18, 0x407ffff
	v_add3_u32 v3, v3, v4, s18
	v_lshrrev_b32_e32 v4, 20, v3
	v_and_b32_e32 v3, 0xff00000, v3
	s_mov_b32 s18, 0x7f00000
	v_mov_b32_e32 v5, 0x7e
	v_cmp_ne_u32_e32 vcc, s18, v3
	v_cndmask_b32_e32 v26, v5, v4, vcc
                                        ; implicit-def: $vgpr3
; %bb.1429:
	s_andn2_saveexec_b64 s[16:17], s[16:17]
; %bb.1430:
	v_add_f32_e32 v26, 0x46800000, v3
; %bb.1431:
	s_or_b64 exec, exec, s[16:17]
                                        ; implicit-def: $vgpr3
.LBB276_1432:
	s_andn2_saveexec_b64 s[14:15], s[14:15]
; %bb.1433:
	s_mov_b32 s16, 0x7f800000
	v_mov_b32_e32 v4, 0x7e
	v_mov_b32_e32 v5, 0x7f
	v_cmp_lt_u32_e32 vcc, s16, v3
	v_cndmask_b32_e32 v26, v4, v5, vcc
; %bb.1434:
	s_or_b64 exec, exec, s[14:15]
.LBB276_1435:
	s_or_b64 exec, exec, s[12:13]
.LBB276_1436:
	s_or_b64 exec, exec, s[10:11]
.LBB276_1437:
	s_or_b64 exec, exec, s[8:9]
	s_or_b64 s[6:7], s[6:7], exec
.LBB276_1438:
	s_or_b64 exec, exec, s[4:5]
	s_mov_b64 s[4:5], 0
	s_mov_b64 s[8:9], 0
	;; [unrolled: 1-line block ×3, first 2 shown]
                                        ; implicit-def: $sgpr10_sgpr11
                                        ; implicit-def: $vgpr9_vgpr10
                                        ; implicit-def: $vgpr3
	s_and_saveexec_b64 s[54:55], s[6:7]
	s_cbranch_execz .LBB276_2188
; %bb.1439:
	v_add_co_u32_e32 v1, vcc, v1, v2
	v_addc_co_u32_e32 v2, vcc, 0, v24, vcc
	v_cmp_lt_i16_e32 vcc, 10, v12
	s_mov_b64 s[6:7], 0
	s_mov_b64 s[56:57], s[52:53]
                                        ; implicit-def: $vgpr24
	s_and_saveexec_b64 s[4:5], vcc
	s_xor_b64 s[4:5], exec, s[4:5]
	s_cbranch_execz .LBB276_1534
; %bb.1440:
	v_cmp_lt_i16_e32 vcc, 25, v12
	s_mov_b64 s[10:11], 0
                                        ; implicit-def: $vgpr24
	s_and_saveexec_b64 s[8:9], vcc
	s_xor_b64 s[8:9], exec, s[8:9]
	s_cbranch_execz .LBB276_2529
; %bb.1441:
	v_cmp_lt_i16_e32 vcc, 28, v12
	;; [unrolled: 7-line block ×3, first 2 shown]
	s_mov_b64 s[16:17], 0
	s_mov_b64 s[18:19], 0
                                        ; implicit-def: $vgpr24
	s_and_saveexec_b64 s[12:13], vcc
	s_xor_b64 s[12:13], exec, s[12:13]
	s_cbranch_execz .LBB276_1468
; %bb.1443:
	v_cmp_lt_i16_e32 vcc, 45, v12
                                        ; implicit-def: $vgpr24
	s_and_saveexec_b64 s[18:19], vcc
	s_xor_b64 s[18:19], exec, s[18:19]
	s_cbranch_execz .LBB276_1455
; %bb.1444:
	v_cmp_eq_u16_e32 vcc, 46, v12
	s_mov_b64 s[20:21], -1
                                        ; implicit-def: $vgpr24
	s_and_saveexec_b64 s[14:15], vcc
	s_cbranch_execz .LBB276_1454
; %bb.1445:
	flat_load_dword v3, v[1:2]
	s_mov_b32 s16, 0x43f00000
                                        ; implicit-def: $vgpr4
	s_waitcnt vmcnt(0) lgkmcnt(0)
	v_lshlrev_b32_e32 v3, 16, v3
	v_and_b32_e32 v5, 0x7fffffff, v3
	v_cmp_gt_u32_e32 vcc, s16, v5
	s_and_saveexec_b64 s[16:17], vcc
	s_xor_b64 s[16:17], exec, s[16:17]
	s_cbranch_execz .LBB276_1451
; %bb.1446:
	s_mov_b32 s20, 0x3c7fffff
	v_cmp_lt_u32_e32 vcc, s20, v5
                                        ; implicit-def: $vgpr4
	s_and_saveexec_b64 s[20:21], vcc
	s_xor_b64 s[20:21], exec, s[20:21]
; %bb.1447:
	v_bfe_u32 v4, v3, 20, 1
	s_mov_b32 s22, 0x407ffff
	v_add3_u32 v4, v3, v4, s22
	v_lshrrev_b32_e32 v5, 20, v4
	v_and_b32_e32 v4, 0xff00000, v4
	s_mov_b32 s22, 0x7f00000
	v_mov_b32_e32 v6, 0x7e
	v_cmp_ne_u32_e32 vcc, s22, v4
	v_cndmask_b32_e32 v4, v6, v5, vcc
; %bb.1448:
	s_andn2_saveexec_b64 s[20:21], s[20:21]
; %bb.1449:
	s_mov_b32 s22, 0x46800000
	v_add_f32_e64 v4, |v3|, s22
; %bb.1450:
	s_or_b64 exec, exec, s[20:21]
                                        ; implicit-def: $vgpr5
.LBB276_1451:
	s_andn2_saveexec_b64 s[16:17], s[16:17]
; %bb.1452:
	s_mov_b32 s20, 0x7f800000
	v_mov_b32_e32 v4, 0x7e
	v_mov_b32_e32 v6, 0x7f
	v_cmp_lt_u32_e32 vcc, s20, v5
	v_cndmask_b32_e32 v4, v4, v6, vcc
; %bb.1453:
	s_or_b64 exec, exec, s[16:17]
	v_lshrrev_b32_e32 v3, 24, v3
	s_movk_i32 s20, 0x80
	s_mov_b64 s[16:17], exec
	v_and_or_b32 v24, v3, s20, v4
	s_xor_b64 s[20:21], exec, -1
.LBB276_1454:
	s_or_b64 exec, exec, s[14:15]
	s_and_b64 s[16:17], s[16:17], exec
	s_and_b64 s[14:15], s[20:21], exec
                                        ; implicit-def: $vgpr12
.LBB276_1455:
	s_andn2_saveexec_b64 s[18:19], s[18:19]
	s_cbranch_execz .LBB276_1467
; %bb.1456:
	v_cmp_eq_u16_e32 vcc, 44, v12
	s_mov_b64 s[22:23], -1
	s_mov_b64 s[24:25], s[16:17]
                                        ; implicit-def: $vgpr24
	s_and_saveexec_b64 s[20:21], vcc
	s_cbranch_execz .LBB276_1466
; %bb.1457:
	flat_load_ubyte v3, v[1:2]
	s_movk_i32 s22, 0xff
	v_mov_b32_e32 v4, 0x7f800001
	v_mov_b32_e32 v5, 0x400000
                                        ; implicit-def: $vgpr24
	s_waitcnt vmcnt(0) lgkmcnt(0)
	v_lshlrev_b32_e32 v6, 23, v3
	v_cmp_ne_u32_e32 vcc, s22, v3
	v_cndmask_b32_e32 v4, v4, v6, vcc
	v_cmp_ne_u32_e32 vcc, 0, v3
	v_cndmask_b32_e32 v3, v5, v4, vcc
	s_mov_b32 s22, 0x43f00000
	v_cmp_gt_u32_e32 vcc, s22, v3
	s_and_saveexec_b64 s[22:23], vcc
	s_xor_b64 s[22:23], exec, s[22:23]
	s_cbranch_execz .LBB276_1463
; %bb.1458:
	s_mov_b32 s24, 0x3c7fffff
	v_cmp_lt_u32_e32 vcc, s24, v3
                                        ; implicit-def: $vgpr24
	s_and_saveexec_b64 s[24:25], vcc
	s_xor_b64 s[24:25], exec, s[24:25]
; %bb.1459:
	v_bfe_u32 v4, v3, 20, 1
	s_mov_b32 s28, 0x407ffff
	v_add3_u32 v3, v3, v4, s28
	v_lshrrev_b32_e32 v4, 20, v3
	v_and_b32_e32 v3, 0xff00000, v3
	s_mov_b32 s28, 0x7f00000
	v_mov_b32_e32 v5, 0x7e
	v_cmp_ne_u32_e32 vcc, s28, v3
	v_cndmask_b32_e32 v24, v5, v4, vcc
                                        ; implicit-def: $vgpr3
; %bb.1460:
	s_andn2_saveexec_b64 s[24:25], s[24:25]
; %bb.1461:
	v_add_f32_e32 v24, 0x46800000, v3
; %bb.1462:
	s_or_b64 exec, exec, s[24:25]
                                        ; implicit-def: $vgpr3
.LBB276_1463:
	s_andn2_saveexec_b64 s[22:23], s[22:23]
; %bb.1464:
	s_mov_b32 s24, 0x7f800000
	v_mov_b32_e32 v4, 0x7e
	v_mov_b32_e32 v5, 0x7f
	v_cmp_lt_u32_e32 vcc, s24, v3
	v_cndmask_b32_e32 v24, v4, v5, vcc
; %bb.1465:
	s_or_b64 exec, exec, s[22:23]
	s_or_b64 s[24:25], s[16:17], exec
	s_xor_b64 s[22:23], exec, -1
.LBB276_1466:
	s_or_b64 exec, exec, s[20:21]
	s_andn2_b64 s[16:17], s[16:17], exec
	s_and_b64 s[20:21], s[24:25], exec
	s_or_b64 s[16:17], s[16:17], s[20:21]
	s_andn2_b64 s[14:15], s[14:15], exec
	s_and_b64 s[20:21], s[22:23], exec
	s_or_b64 s[14:15], s[14:15], s[20:21]
.LBB276_1467:
	s_or_b64 exec, exec, s[18:19]
	s_and_b64 s[18:19], s[16:17], exec
	s_and_b64 s[16:17], s[14:15], exec
                                        ; implicit-def: $vgpr12
.LBB276_1468:
	s_andn2_saveexec_b64 s[12:13], s[12:13]
	s_cbranch_execz .LBB276_1480
; %bb.1469:
	v_cmp_eq_u16_e32 vcc, 29, v12
	s_mov_b64 s[20:21], -1
	s_mov_b64 s[22:23], s[18:19]
                                        ; implicit-def: $vgpr24
	s_and_saveexec_b64 s[14:15], vcc
	s_cbranch_execz .LBB276_1479
; %bb.1470:
	flat_load_dwordx2 v[3:4], v[1:2]
	s_mov_b32 s20, 0x43f00000
                                        ; implicit-def: $vgpr24
	s_waitcnt vmcnt(0) lgkmcnt(0)
	v_ffbh_u32_e32 v5, v4
	v_min_u32_e32 v5, 32, v5
	v_lshlrev_b64 v[3:4], v5, v[3:4]
	v_min_u32_e32 v3, 1, v3
	v_or_b32_e32 v3, v4, v3
	v_cvt_f32_u32_e32 v3, v3
	v_sub_u32_e32 v4, 32, v5
	v_ldexp_f32 v3, v3, v4
	v_cmp_gt_u32_e32 vcc, s20, v3
	s_and_saveexec_b64 s[20:21], vcc
	s_xor_b64 s[20:21], exec, s[20:21]
	s_cbranch_execz .LBB276_1476
; %bb.1471:
	s_mov_b32 s22, 0x3c7fffff
	v_cmp_lt_u32_e32 vcc, s22, v3
                                        ; implicit-def: $vgpr24
	s_and_saveexec_b64 s[22:23], vcc
	s_xor_b64 s[22:23], exec, s[22:23]
; %bb.1472:
	v_bfe_u32 v4, v3, 20, 1
	s_mov_b32 s24, 0x407ffff
	v_add3_u32 v3, v3, v4, s24
	v_lshrrev_b32_e32 v4, 20, v3
	v_and_b32_e32 v3, 0xff00000, v3
	s_mov_b32 s24, 0x7f00000
	v_mov_b32_e32 v5, 0x7e
	v_cmp_ne_u32_e32 vcc, s24, v3
	v_cndmask_b32_e32 v24, v5, v4, vcc
                                        ; implicit-def: $vgpr3
; %bb.1473:
	s_andn2_saveexec_b64 s[22:23], s[22:23]
; %bb.1474:
	v_add_f32_e32 v24, 0x46800000, v3
; %bb.1475:
	s_or_b64 exec, exec, s[22:23]
                                        ; implicit-def: $vgpr3
.LBB276_1476:
	s_andn2_saveexec_b64 s[20:21], s[20:21]
; %bb.1477:
	s_mov_b32 s22, 0x7f800000
	v_mov_b32_e32 v4, 0x7e
	v_mov_b32_e32 v5, 0x7f
	v_cmp_lt_u32_e32 vcc, s22, v3
	v_cndmask_b32_e32 v24, v4, v5, vcc
; %bb.1478:
	s_or_b64 exec, exec, s[20:21]
	s_or_b64 s[22:23], s[18:19], exec
	s_xor_b64 s[20:21], exec, -1
.LBB276_1479:
	s_or_b64 exec, exec, s[14:15]
	s_andn2_b64 s[14:15], s[18:19], exec
	s_and_b64 s[18:19], s[22:23], exec
	s_or_b64 s[18:19], s[14:15], s[18:19]
	s_andn2_b64 s[14:15], s[16:17], exec
	s_and_b64 s[16:17], s[20:21], exec
	s_or_b64 s[16:17], s[14:15], s[16:17]
.LBB276_1480:
	s_or_b64 exec, exec, s[12:13]
	s_and_b64 s[14:15], s[18:19], exec
	s_and_b64 s[12:13], s[16:17], exec
                                        ; implicit-def: $vgpr12
.LBB276_1481:
	s_andn2_saveexec_b64 s[10:11], s[10:11]
	s_cbranch_execz .LBB276_1521
; %bb.1482:
	v_cmp_lt_i16_e32 vcc, 26, v12
                                        ; implicit-def: $vgpr24
	s_and_saveexec_b64 s[16:17], vcc
	s_xor_b64 s[16:17], exec, s[16:17]
	s_cbranch_execz .LBB276_1504
; %bb.1483:
	v_cmp_lt_i16_e32 vcc, 27, v12
                                        ; implicit-def: $vgpr24
	s_and_saveexec_b64 s[18:19], vcc
	s_xor_b64 s[18:19], exec, s[18:19]
	s_cbranch_execz .LBB276_1493
; %bb.1484:
	flat_load_dword v3, v[1:2]
	s_mov_b32 s20, 0x43f00000
                                        ; implicit-def: $vgpr24
	s_waitcnt vmcnt(0) lgkmcnt(0)
	v_cvt_f32_u32_e32 v3, v3
	v_cmp_gt_u32_e32 vcc, s20, v3
	s_and_saveexec_b64 s[20:21], vcc
	s_xor_b64 s[20:21], exec, s[20:21]
	s_cbranch_execz .LBB276_1490
; %bb.1485:
	s_mov_b32 s22, 0x3c7fffff
	v_cmp_lt_u32_e32 vcc, s22, v3
                                        ; implicit-def: $vgpr24
	s_and_saveexec_b64 s[22:23], vcc
	s_xor_b64 s[22:23], exec, s[22:23]
; %bb.1486:
	v_bfe_u32 v4, v3, 20, 1
	s_mov_b32 s24, 0x407ffff
	v_add3_u32 v3, v3, v4, s24
	v_lshrrev_b32_e32 v4, 20, v3
	v_and_b32_e32 v3, 0xff00000, v3
	s_mov_b32 s24, 0x7f00000
	v_mov_b32_e32 v5, 0x7e
	v_cmp_ne_u32_e32 vcc, s24, v3
	v_cndmask_b32_e32 v24, v5, v4, vcc
                                        ; implicit-def: $vgpr3
; %bb.1487:
	s_andn2_saveexec_b64 s[22:23], s[22:23]
; %bb.1488:
	v_add_f32_e32 v24, 0x46800000, v3
; %bb.1489:
	s_or_b64 exec, exec, s[22:23]
                                        ; implicit-def: $vgpr3
.LBB276_1490:
	s_andn2_saveexec_b64 s[20:21], s[20:21]
; %bb.1491:
	s_mov_b32 s22, 0x7f800000
	v_mov_b32_e32 v4, 0x7e
	v_mov_b32_e32 v5, 0x7f
	v_cmp_lt_u32_e32 vcc, s22, v3
	v_cndmask_b32_e32 v24, v4, v5, vcc
; %bb.1492:
	s_or_b64 exec, exec, s[20:21]
.LBB276_1493:
	s_andn2_saveexec_b64 s[18:19], s[18:19]
	s_cbranch_execz .LBB276_1503
; %bb.1494:
	flat_load_ushort v3, v[1:2]
	s_mov_b32 s20, 0x43f00000
                                        ; implicit-def: $vgpr24
	s_waitcnt vmcnt(0) lgkmcnt(0)
	v_cvt_f32_u32_e32 v3, v3
	v_cmp_gt_u32_e32 vcc, s20, v3
	s_and_saveexec_b64 s[20:21], vcc
	s_xor_b64 s[20:21], exec, s[20:21]
	s_cbranch_execz .LBB276_1500
; %bb.1495:
	s_mov_b32 s22, 0x3c7fffff
	v_cmp_lt_u32_e32 vcc, s22, v3
                                        ; implicit-def: $vgpr24
	s_and_saveexec_b64 s[22:23], vcc
	s_xor_b64 s[22:23], exec, s[22:23]
; %bb.1496:
	v_bfe_u32 v4, v3, 20, 1
	s_mov_b32 s24, 0x407ffff
	v_add3_u32 v3, v3, v4, s24
	v_lshrrev_b32_e32 v4, 20, v3
	v_and_b32_e32 v3, 0xff00000, v3
	s_mov_b32 s24, 0x7f00000
	v_mov_b32_e32 v5, 0x7e
	v_cmp_ne_u32_e32 vcc, s24, v3
	v_cndmask_b32_e32 v24, v5, v4, vcc
                                        ; implicit-def: $vgpr3
; %bb.1497:
	s_andn2_saveexec_b64 s[22:23], s[22:23]
; %bb.1498:
	v_add_f32_e32 v24, 0x46800000, v3
; %bb.1499:
	s_or_b64 exec, exec, s[22:23]
                                        ; implicit-def: $vgpr3
.LBB276_1500:
	s_andn2_saveexec_b64 s[20:21], s[20:21]
; %bb.1501:
	s_mov_b32 s22, 0x7f800000
	v_mov_b32_e32 v4, 0x7e
	v_mov_b32_e32 v5, 0x7f
	v_cmp_lt_u32_e32 vcc, s22, v3
	v_cndmask_b32_e32 v24, v4, v5, vcc
; %bb.1502:
	s_or_b64 exec, exec, s[20:21]
.LBB276_1503:
	s_or_b64 exec, exec, s[18:19]
.LBB276_1504:
	s_andn2_saveexec_b64 s[16:17], s[16:17]
	s_cbranch_execz .LBB276_1520
; %bb.1505:
	flat_load_ubyte v4, v[1:2]
	s_movk_i32 s18, 0x7f
	s_waitcnt vmcnt(0) lgkmcnt(0)
	v_cmp_lt_i16_e32 vcc, s18, v4
	s_mov_b64 s[18:19], 0
	s_and_saveexec_b64 s[20:21], vcc
	s_xor_b64 s[20:21], exec, s[20:21]
	s_cbranch_execz .LBB276_2694
; %bb.1506:
	s_movk_i32 s18, 0x80
	v_cmp_eq_u16_e32 vcc, s18, v4
	s_mov_b64 s[18:19], -1
	s_and_saveexec_b64 s[22:23], vcc
; %bb.1507:
	s_xor_b64 s[18:19], exec, -1
; %bb.1508:
	s_or_b64 exec, exec, s[22:23]
	s_and_b64 s[18:19], s[18:19], exec
	s_or_saveexec_b64 s[20:21], s[20:21]
	v_mov_b32_e32 v3, 0x7f800001
	s_xor_b64 exec, exec, s[20:21]
	s_cbranch_execnz .LBB276_2695
.LBB276_1509:
	s_or_b64 exec, exec, s[20:21]
	s_and_saveexec_b64 s[20:21], s[18:19]
	s_cbranch_execz .LBB276_1511
.LBB276_1510:
	v_lshlrev_b32_e32 v3, 24, v4
	v_and_b32_e32 v4, 0xffff, v4
	v_and_b32_e32 v5, 7, v4
	v_ffbh_u32_e32 v7, v5
	v_min_u32_e32 v7, 32, v7
	v_subrev_u32_e32 v8, 28, v7
	v_bfe_u32 v6, v4, 3, 4
	v_lshlrev_b32_e32 v4, v8, v4
	v_sub_u32_e32 v7, 29, v7
	v_and_b32_e32 v4, 7, v4
	v_cmp_eq_u32_e32 vcc, 0, v6
	v_cndmask_b32_e32 v6, v6, v7, vcc
	v_cndmask_b32_e32 v4, v5, v4, vcc
	v_mov_b32_e32 v5, 0x3b800000
	v_lshlrev_b32_e32 v4, 20, v4
	v_and_b32_e32 v3, 0x80000000, v3
	v_lshl_add_u32 v5, v6, 23, v5
	v_or3_b32 v3, v3, v5, v4
.LBB276_1511:
	s_or_b64 exec, exec, s[20:21]
	v_and_b32_e32 v5, 0x7fffffff, v3
	s_mov_b32 s18, 0x43f00000
	v_cmp_gt_u32_e32 vcc, s18, v5
                                        ; implicit-def: $vgpr4
	s_and_saveexec_b64 s[18:19], vcc
	s_xor_b64 s[18:19], exec, s[18:19]
	s_cbranch_execz .LBB276_1517
; %bb.1512:
	s_mov_b32 s20, 0x3c7fffff
	v_cmp_lt_u32_e32 vcc, s20, v5
                                        ; implicit-def: $vgpr4
	s_and_saveexec_b64 s[20:21], vcc
	s_xor_b64 s[20:21], exec, s[20:21]
; %bb.1513:
	v_bfe_u32 v4, v3, 20, 1
	s_mov_b32 s22, 0x407ffff
	v_add3_u32 v4, v3, v4, s22
	v_lshrrev_b32_e32 v5, 20, v4
	v_and_b32_e32 v4, 0xff00000, v4
	s_mov_b32 s22, 0x7f00000
	v_mov_b32_e32 v6, 0x7e
	v_cmp_ne_u32_e32 vcc, s22, v4
	v_cndmask_b32_e32 v4, v6, v5, vcc
; %bb.1514:
	s_andn2_saveexec_b64 s[20:21], s[20:21]
; %bb.1515:
	s_mov_b32 s22, 0x46800000
	v_add_f32_e64 v4, |v3|, s22
; %bb.1516:
	s_or_b64 exec, exec, s[20:21]
                                        ; implicit-def: $vgpr5
.LBB276_1517:
	s_andn2_saveexec_b64 s[18:19], s[18:19]
; %bb.1518:
	s_mov_b32 s20, 0x7f800000
	v_mov_b32_e32 v4, 0x7e
	v_mov_b32_e32 v6, 0x7f
	v_cmp_lt_u32_e32 vcc, s20, v5
	v_cndmask_b32_e32 v4, v4, v6, vcc
; %bb.1519:
	s_or_b64 exec, exec, s[18:19]
	v_lshrrev_b32_e32 v3, 24, v3
	s_movk_i32 s18, 0x80
	v_and_or_b32 v24, v3, s18, v4
.LBB276_1520:
	s_or_b64 exec, exec, s[16:17]
	s_or_b64 s[14:15], s[14:15], exec
.LBB276_1521:
	s_or_b64 exec, exec, s[10:11]
	s_and_b64 s[10:11], s[14:15], exec
	s_and_b64 s[12:13], s[12:13], exec
                                        ; implicit-def: $vgpr12
	s_andn2_saveexec_b64 s[8:9], s[8:9]
	s_cbranch_execnz .LBB276_2530
.LBB276_1522:
	s_or_b64 exec, exec, s[8:9]
	s_mov_b64 s[8:9], s[52:53]
	s_and_saveexec_b64 s[14:15], s[12:13]
	s_cbranch_execnz .LBB276_2579
.LBB276_1523:
	s_or_b64 exec, exec, s[14:15]
	s_and_saveexec_b64 s[12:13], s[6:7]
	s_cbranch_execz .LBB276_1533
.LBB276_1524:
	flat_load_ubyte v1, v[1:2]
	s_mov_b32 s6, 0x43f00000
                                        ; implicit-def: $vgpr24
	s_waitcnt vmcnt(0) lgkmcnt(0)
	v_cmp_ne_u16_e32 vcc, 0, v1
	v_cndmask_b32_e64 v1, 0, 1.0, vcc
	v_cmp_gt_u32_e32 vcc, s6, v1
	s_and_saveexec_b64 s[6:7], vcc
	s_xor_b64 s[6:7], exec, s[6:7]
	s_cbranch_execz .LBB276_1530
; %bb.1525:
	s_mov_b32 s14, 0x3c7fffff
	v_cmp_lt_u32_e32 vcc, s14, v1
                                        ; implicit-def: $vgpr24
	s_and_saveexec_b64 s[14:15], vcc
	s_xor_b64 s[14:15], exec, s[14:15]
; %bb.1526:
	v_bfe_u32 v2, v1, 20, 1
	s_mov_b32 s16, 0x407ffff
	v_add3_u32 v1, v1, v2, s16
	v_lshrrev_b32_e32 v2, 20, v1
	v_and_b32_e32 v1, 0xff00000, v1
	s_mov_b32 s16, 0x7f00000
	v_mov_b32_e32 v3, 0x7e
	v_cmp_ne_u32_e32 vcc, s16, v1
	v_cndmask_b32_e32 v24, v3, v2, vcc
                                        ; implicit-def: $vgpr1
; %bb.1527:
	s_andn2_saveexec_b64 s[14:15], s[14:15]
; %bb.1528:
	v_add_f32_e32 v24, 0x46800000, v1
; %bb.1529:
	s_or_b64 exec, exec, s[14:15]
                                        ; implicit-def: $vgpr1
.LBB276_1530:
	s_andn2_saveexec_b64 s[6:7], s[6:7]
; %bb.1531:
	s_mov_b32 s14, 0x7f800000
	v_mov_b32_e32 v2, 0x7e
	v_mov_b32_e32 v3, 0x7f
	v_cmp_lt_u32_e32 vcc, s14, v1
	v_cndmask_b32_e32 v24, v2, v3, vcc
; %bb.1532:
	s_or_b64 exec, exec, s[6:7]
	s_or_b64 s[10:11], s[10:11], exec
.LBB276_1533:
	s_or_b64 exec, exec, s[12:13]
	s_andn2_b64 s[6:7], s[52:53], exec
	s_and_b64 s[8:9], s[8:9], exec
	s_or_b64 s[56:57], s[6:7], s[8:9]
	s_and_b64 s[6:7], s[10:11], exec
                                        ; implicit-def: $vgpr12
                                        ; implicit-def: $vgpr1_vgpr2
.LBB276_1534:
	s_andn2_saveexec_b64 s[4:5], s[4:5]
	s_cbranch_execz .LBB276_1664
; %bb.1535:
	v_cmp_lt_i16_e32 vcc, 4, v12
                                        ; implicit-def: $vgpr24
	s_and_saveexec_b64 s[8:9], vcc
	s_xor_b64 s[8:9], exec, s[8:9]
	s_cbranch_execz .LBB276_1605
; %bb.1536:
	v_cmp_lt_i16_e32 vcc, 7, v12
                                        ; implicit-def: $vgpr24
	s_and_saveexec_b64 s[10:11], vcc
	s_xor_b64 s[10:11], exec, s[10:11]
	;; [unrolled: 6-line block ×4, first 2 shown]
	s_cbranch_execz .LBB276_1548
; %bb.1539:
	flat_load_dwordx2 v[1:2], v[1:2]
	s_mov_b32 s16, 0x43f00000
	s_waitcnt vmcnt(0) lgkmcnt(0)
	v_cvt_f32_f64_e32 v1, v[1:2]
                                        ; implicit-def: $vgpr2
	v_and_b32_e32 v3, 0x7fffffff, v1
	v_cmp_gt_u32_e32 vcc, s16, v3
	s_and_saveexec_b64 s[16:17], vcc
	s_xor_b64 s[16:17], exec, s[16:17]
	s_cbranch_execz .LBB276_1545
; %bb.1540:
	s_mov_b32 s18, 0x3c7fffff
	v_cmp_lt_u32_e32 vcc, s18, v3
                                        ; implicit-def: $vgpr2
	s_and_saveexec_b64 s[18:19], vcc
	s_xor_b64 s[18:19], exec, s[18:19]
; %bb.1541:
	v_bfe_u32 v2, v1, 20, 1
	s_mov_b32 s20, 0x407ffff
	v_add3_u32 v2, v1, v2, s20
	v_lshrrev_b32_e32 v3, 20, v2
	v_and_b32_e32 v2, 0xff00000, v2
	s_mov_b32 s20, 0x7f00000
	v_mov_b32_e32 v4, 0x7e
	v_cmp_ne_u32_e32 vcc, s20, v2
	v_cndmask_b32_e32 v2, v4, v3, vcc
; %bb.1542:
	s_andn2_saveexec_b64 s[18:19], s[18:19]
; %bb.1543:
	s_mov_b32 s20, 0x46800000
	v_add_f32_e64 v2, |v1|, s20
; %bb.1544:
	s_or_b64 exec, exec, s[18:19]
                                        ; implicit-def: $vgpr3
.LBB276_1545:
	s_andn2_saveexec_b64 s[16:17], s[16:17]
; %bb.1546:
	s_mov_b32 s18, 0x7f800000
	v_mov_b32_e32 v2, 0x7e
	v_mov_b32_e32 v4, 0x7f
	v_cmp_lt_u32_e32 vcc, s18, v3
	v_cndmask_b32_e32 v2, v2, v4, vcc
; %bb.1547:
	s_or_b64 exec, exec, s[16:17]
	v_lshrrev_b32_e32 v1, 24, v1
	s_movk_i32 s16, 0x80
	v_and_or_b32 v24, v1, s16, v2
                                        ; implicit-def: $vgpr1_vgpr2
.LBB276_1548:
	s_andn2_saveexec_b64 s[14:15], s[14:15]
	s_cbranch_execz .LBB276_1558
; %bb.1549:
	flat_load_dword v1, v[1:2]
	s_mov_b32 s16, 0x43f00000
                                        ; implicit-def: $vgpr2
	s_waitcnt vmcnt(0) lgkmcnt(0)
	v_and_b32_e32 v3, 0x7fffffff, v1
	v_cmp_gt_u32_e32 vcc, s16, v3
	s_and_saveexec_b64 s[16:17], vcc
	s_xor_b64 s[16:17], exec, s[16:17]
	s_cbranch_execz .LBB276_1555
; %bb.1550:
	s_mov_b32 s18, 0x3c7fffff
	v_cmp_lt_u32_e32 vcc, s18, v3
                                        ; implicit-def: $vgpr2
	s_and_saveexec_b64 s[18:19], vcc
	s_xor_b64 s[18:19], exec, s[18:19]
; %bb.1551:
	v_bfe_u32 v2, v1, 20, 1
	s_mov_b32 s20, 0x407ffff
	v_add3_u32 v2, v1, v2, s20
	v_lshrrev_b32_e32 v3, 20, v2
	v_and_b32_e32 v2, 0xff00000, v2
	s_mov_b32 s20, 0x7f00000
	v_mov_b32_e32 v4, 0x7e
	v_cmp_ne_u32_e32 vcc, s20, v2
	v_cndmask_b32_e32 v2, v4, v3, vcc
; %bb.1552:
	s_andn2_saveexec_b64 s[18:19], s[18:19]
; %bb.1553:
	s_mov_b32 s20, 0x46800000
	v_add_f32_e64 v2, |v1|, s20
; %bb.1554:
	s_or_b64 exec, exec, s[18:19]
                                        ; implicit-def: $vgpr3
.LBB276_1555:
	s_andn2_saveexec_b64 s[16:17], s[16:17]
; %bb.1556:
	s_mov_b32 s18, 0x7f800000
	v_mov_b32_e32 v2, 0x7e
	v_mov_b32_e32 v4, 0x7f
	v_cmp_lt_u32_e32 vcc, s18, v3
	v_cndmask_b32_e32 v2, v2, v4, vcc
; %bb.1557:
	s_or_b64 exec, exec, s[16:17]
	v_lshrrev_b32_e32 v1, 24, v1
	s_movk_i32 s16, 0x80
	v_and_or_b32 v24, v1, s16, v2
.LBB276_1558:
	s_or_b64 exec, exec, s[14:15]
                                        ; implicit-def: $vgpr1_vgpr2
.LBB276_1559:
	s_andn2_saveexec_b64 s[12:13], s[12:13]
	s_cbranch_execz .LBB276_1569
; %bb.1560:
	flat_load_dword v1, v[1:2]
	s_mov_b32 s14, 0x43f00000
                                        ; implicit-def: $vgpr2
	s_waitcnt vmcnt(0) lgkmcnt(0)
	v_cvt_f32_f16_e32 v1, v1
	v_and_b32_e32 v3, 0x7fffffff, v1
	v_cmp_gt_u32_e32 vcc, s14, v3
	s_and_saveexec_b64 s[14:15], vcc
	s_xor_b64 s[14:15], exec, s[14:15]
	s_cbranch_execz .LBB276_1566
; %bb.1561:
	s_mov_b32 s16, 0x3c7fffff
	v_cmp_lt_u32_e32 vcc, s16, v3
                                        ; implicit-def: $vgpr2
	s_and_saveexec_b64 s[16:17], vcc
	s_xor_b64 s[16:17], exec, s[16:17]
; %bb.1562:
	v_bfe_u32 v2, v1, 20, 1
	s_mov_b32 s18, 0x407ffff
	v_add3_u32 v2, v1, v2, s18
	v_lshrrev_b32_e32 v3, 20, v2
	v_and_b32_e32 v2, 0xff00000, v2
	s_mov_b32 s18, 0x7f00000
	v_mov_b32_e32 v4, 0x7e
	v_cmp_ne_u32_e32 vcc, s18, v2
	v_cndmask_b32_e32 v2, v4, v3, vcc
; %bb.1563:
	s_andn2_saveexec_b64 s[16:17], s[16:17]
; %bb.1564:
	s_mov_b32 s18, 0x46800000
	v_add_f32_e64 v2, |v1|, s18
; %bb.1565:
	s_or_b64 exec, exec, s[16:17]
                                        ; implicit-def: $vgpr3
.LBB276_1566:
	s_andn2_saveexec_b64 s[14:15], s[14:15]
; %bb.1567:
	s_mov_b32 s16, 0x7f800000
	v_mov_b32_e32 v2, 0x7e
	v_mov_b32_e32 v4, 0x7f
	v_cmp_lt_u32_e32 vcc, s16, v3
	v_cndmask_b32_e32 v2, v2, v4, vcc
; %bb.1568:
	s_or_b64 exec, exec, s[14:15]
	v_lshrrev_b32_e32 v1, 24, v1
	s_movk_i32 s14, 0x80
	v_and_or_b32 v24, v1, s14, v2
.LBB276_1569:
	s_or_b64 exec, exec, s[12:13]
                                        ; implicit-def: $vgpr12
                                        ; implicit-def: $vgpr1_vgpr2
.LBB276_1570:
	s_andn2_saveexec_b64 s[10:11], s[10:11]
	s_cbranch_execz .LBB276_1604
; %bb.1571:
	v_cmp_lt_i16_e32 vcc, 5, v12
                                        ; implicit-def: $vgpr24
	s_and_saveexec_b64 s[12:13], vcc
	s_xor_b64 s[12:13], exec, s[12:13]
	s_cbranch_execz .LBB276_1593
; %bb.1572:
	v_cmp_lt_i16_e32 vcc, 6, v12
                                        ; implicit-def: $vgpr24
	s_and_saveexec_b64 s[14:15], vcc
	s_xor_b64 s[14:15], exec, s[14:15]
	s_cbranch_execz .LBB276_1582
; %bb.1573:
	flat_load_dwordx2 v[1:2], v[1:2]
	s_mov_b32 s16, 0x43f00000
	s_waitcnt vmcnt(0) lgkmcnt(0)
	v_cvt_f32_f64_e32 v1, v[1:2]
                                        ; implicit-def: $vgpr2
	v_and_b32_e32 v3, 0x7fffffff, v1
	v_cmp_gt_u32_e32 vcc, s16, v3
	s_and_saveexec_b64 s[16:17], vcc
	s_xor_b64 s[16:17], exec, s[16:17]
	s_cbranch_execz .LBB276_1579
; %bb.1574:
	s_mov_b32 s18, 0x3c7fffff
	v_cmp_lt_u32_e32 vcc, s18, v3
                                        ; implicit-def: $vgpr2
	s_and_saveexec_b64 s[18:19], vcc
	s_xor_b64 s[18:19], exec, s[18:19]
; %bb.1575:
	v_bfe_u32 v2, v1, 20, 1
	s_mov_b32 s20, 0x407ffff
	v_add3_u32 v2, v1, v2, s20
	v_lshrrev_b32_e32 v3, 20, v2
	v_and_b32_e32 v2, 0xff00000, v2
	s_mov_b32 s20, 0x7f00000
	v_mov_b32_e32 v4, 0x7e
	v_cmp_ne_u32_e32 vcc, s20, v2
	v_cndmask_b32_e32 v2, v4, v3, vcc
; %bb.1576:
	s_andn2_saveexec_b64 s[18:19], s[18:19]
; %bb.1577:
	s_mov_b32 s20, 0x46800000
	v_add_f32_e64 v2, |v1|, s20
; %bb.1578:
	s_or_b64 exec, exec, s[18:19]
                                        ; implicit-def: $vgpr3
.LBB276_1579:
	s_andn2_saveexec_b64 s[16:17], s[16:17]
; %bb.1580:
	s_mov_b32 s18, 0x7f800000
	v_mov_b32_e32 v2, 0x7e
	v_mov_b32_e32 v4, 0x7f
	v_cmp_lt_u32_e32 vcc, s18, v3
	v_cndmask_b32_e32 v2, v2, v4, vcc
; %bb.1581:
	s_or_b64 exec, exec, s[16:17]
	v_lshrrev_b32_e32 v1, 24, v1
	s_movk_i32 s16, 0x80
	v_and_or_b32 v24, v1, s16, v2
                                        ; implicit-def: $vgpr1_vgpr2
.LBB276_1582:
	s_andn2_saveexec_b64 s[14:15], s[14:15]
	s_cbranch_execz .LBB276_1592
; %bb.1583:
	flat_load_dword v1, v[1:2]
	s_mov_b32 s16, 0x43f00000
                                        ; implicit-def: $vgpr2
	s_waitcnt vmcnt(0) lgkmcnt(0)
	v_and_b32_e32 v3, 0x7fffffff, v1
	v_cmp_gt_u32_e32 vcc, s16, v3
	s_and_saveexec_b64 s[16:17], vcc
	s_xor_b64 s[16:17], exec, s[16:17]
	s_cbranch_execz .LBB276_1589
; %bb.1584:
	s_mov_b32 s18, 0x3c7fffff
	v_cmp_lt_u32_e32 vcc, s18, v3
                                        ; implicit-def: $vgpr2
	s_and_saveexec_b64 s[18:19], vcc
	s_xor_b64 s[18:19], exec, s[18:19]
; %bb.1585:
	v_bfe_u32 v2, v1, 20, 1
	s_mov_b32 s20, 0x407ffff
	v_add3_u32 v2, v1, v2, s20
	v_lshrrev_b32_e32 v3, 20, v2
	v_and_b32_e32 v2, 0xff00000, v2
	s_mov_b32 s20, 0x7f00000
	v_mov_b32_e32 v4, 0x7e
	v_cmp_ne_u32_e32 vcc, s20, v2
	v_cndmask_b32_e32 v2, v4, v3, vcc
; %bb.1586:
	s_andn2_saveexec_b64 s[18:19], s[18:19]
; %bb.1587:
	s_mov_b32 s20, 0x46800000
	v_add_f32_e64 v2, |v1|, s20
; %bb.1588:
	s_or_b64 exec, exec, s[18:19]
                                        ; implicit-def: $vgpr3
.LBB276_1589:
	s_andn2_saveexec_b64 s[16:17], s[16:17]
; %bb.1590:
	s_mov_b32 s18, 0x7f800000
	v_mov_b32_e32 v2, 0x7e
	v_mov_b32_e32 v4, 0x7f
	v_cmp_lt_u32_e32 vcc, s18, v3
	v_cndmask_b32_e32 v2, v2, v4, vcc
; %bb.1591:
	s_or_b64 exec, exec, s[16:17]
	v_lshrrev_b32_e32 v1, 24, v1
	s_movk_i32 s16, 0x80
	v_and_or_b32 v24, v1, s16, v2
.LBB276_1592:
	s_or_b64 exec, exec, s[14:15]
                                        ; implicit-def: $vgpr1_vgpr2
.LBB276_1593:
	s_andn2_saveexec_b64 s[12:13], s[12:13]
	s_cbranch_execz .LBB276_1603
; %bb.1594:
	flat_load_ushort v1, v[1:2]
	s_mov_b32 s14, 0x43f00000
                                        ; implicit-def: $vgpr2
	s_waitcnt vmcnt(0) lgkmcnt(0)
	v_cvt_f32_f16_e32 v1, v1
	v_and_b32_e32 v3, 0x7fffffff, v1
	v_cmp_gt_u32_e32 vcc, s14, v3
	s_and_saveexec_b64 s[14:15], vcc
	s_xor_b64 s[14:15], exec, s[14:15]
	s_cbranch_execz .LBB276_1600
; %bb.1595:
	s_mov_b32 s16, 0x3c7fffff
	v_cmp_lt_u32_e32 vcc, s16, v3
                                        ; implicit-def: $vgpr2
	s_and_saveexec_b64 s[16:17], vcc
	s_xor_b64 s[16:17], exec, s[16:17]
; %bb.1596:
	v_bfe_u32 v2, v1, 20, 1
	s_mov_b32 s18, 0x407ffff
	v_add3_u32 v2, v1, v2, s18
	v_lshrrev_b32_e32 v3, 20, v2
	v_and_b32_e32 v2, 0xff00000, v2
	s_mov_b32 s18, 0x7f00000
	v_mov_b32_e32 v4, 0x7e
	v_cmp_ne_u32_e32 vcc, s18, v2
	v_cndmask_b32_e32 v2, v4, v3, vcc
; %bb.1597:
	s_andn2_saveexec_b64 s[16:17], s[16:17]
; %bb.1598:
	s_mov_b32 s18, 0x46800000
	v_add_f32_e64 v2, |v1|, s18
; %bb.1599:
	s_or_b64 exec, exec, s[16:17]
                                        ; implicit-def: $vgpr3
.LBB276_1600:
	s_andn2_saveexec_b64 s[14:15], s[14:15]
; %bb.1601:
	s_mov_b32 s16, 0x7f800000
	v_mov_b32_e32 v2, 0x7e
	v_mov_b32_e32 v4, 0x7f
	v_cmp_lt_u32_e32 vcc, s16, v3
	v_cndmask_b32_e32 v2, v2, v4, vcc
; %bb.1602:
	s_or_b64 exec, exec, s[14:15]
	v_lshrrev_b32_e32 v1, 24, v1
	s_movk_i32 s14, 0x80
	v_and_or_b32 v24, v1, s14, v2
.LBB276_1603:
	s_or_b64 exec, exec, s[12:13]
.LBB276_1604:
	s_or_b64 exec, exec, s[10:11]
                                        ; implicit-def: $vgpr12
                                        ; implicit-def: $vgpr1_vgpr2
.LBB276_1605:
	s_andn2_saveexec_b64 s[8:9], s[8:9]
	s_cbranch_execz .LBB276_1663
; %bb.1606:
	v_cmp_lt_i16_e32 vcc, 1, v12
                                        ; implicit-def: $vgpr24
	s_and_saveexec_b64 s[10:11], vcc
	s_xor_b64 s[10:11], exec, s[10:11]
	s_cbranch_execz .LBB276_1640
; %bb.1607:
	v_cmp_lt_i16_e32 vcc, 2, v12
                                        ; implicit-def: $vgpr24
	s_and_saveexec_b64 s[12:13], vcc
	s_xor_b64 s[12:13], exec, s[12:13]
	;; [unrolled: 6-line block ×3, first 2 shown]
	s_cbranch_execz .LBB276_1618
; %bb.1609:
	flat_load_dwordx2 v[1:2], v[1:2]
	s_mov_b32 s16, 0x43f00000
	s_waitcnt vmcnt(0) lgkmcnt(0)
	v_xor_b32_e32 v4, v1, v2
	v_ffbh_i32_e32 v3, v2
	v_ashrrev_i32_e32 v4, 31, v4
	v_add_u32_e32 v3, -1, v3
	v_add_u32_e32 v4, 32, v4
	v_min_u32_e32 v3, v3, v4
	v_lshlrev_b64 v[1:2], v3, v[1:2]
	v_min_u32_e32 v1, 1, v1
	v_or_b32_e32 v1, v2, v1
	v_cvt_f32_i32_e32 v1, v1
	v_sub_u32_e32 v2, 32, v3
	v_ldexp_f32 v1, v1, v2
	v_and_b32_e32 v3, 0x7fffffff, v1
	v_cmp_gt_u32_e32 vcc, s16, v3
                                        ; implicit-def: $vgpr2
	s_and_saveexec_b64 s[16:17], vcc
	s_xor_b64 s[16:17], exec, s[16:17]
	s_cbranch_execz .LBB276_1615
; %bb.1610:
	s_mov_b32 s18, 0x3c7fffff
	v_cmp_lt_u32_e32 vcc, s18, v3
                                        ; implicit-def: $vgpr2
	s_and_saveexec_b64 s[18:19], vcc
	s_xor_b64 s[18:19], exec, s[18:19]
; %bb.1611:
	v_bfe_u32 v2, v1, 20, 1
	s_mov_b32 s20, 0x407ffff
	v_add3_u32 v2, v1, v2, s20
	v_lshrrev_b32_e32 v3, 20, v2
	v_and_b32_e32 v2, 0xff00000, v2
	s_mov_b32 s20, 0x7f00000
	v_mov_b32_e32 v4, 0x7e
	v_cmp_ne_u32_e32 vcc, s20, v2
	v_cndmask_b32_e32 v2, v4, v3, vcc
; %bb.1612:
	s_andn2_saveexec_b64 s[18:19], s[18:19]
; %bb.1613:
	s_mov_b32 s20, 0x46800000
	v_add_f32_e64 v2, |v1|, s20
; %bb.1614:
	s_or_b64 exec, exec, s[18:19]
                                        ; implicit-def: $vgpr3
.LBB276_1615:
	s_andn2_saveexec_b64 s[16:17], s[16:17]
; %bb.1616:
	s_mov_b32 s18, 0x7f800000
	v_mov_b32_e32 v2, 0x7e
	v_mov_b32_e32 v4, 0x7f
	v_cmp_lt_u32_e32 vcc, s18, v3
	v_cndmask_b32_e32 v2, v2, v4, vcc
; %bb.1617:
	s_or_b64 exec, exec, s[16:17]
	v_lshrrev_b32_e32 v1, 24, v1
	s_movk_i32 s16, 0x80
	v_and_or_b32 v24, v1, s16, v2
                                        ; implicit-def: $vgpr1_vgpr2
.LBB276_1618:
	s_andn2_saveexec_b64 s[14:15], s[14:15]
	s_cbranch_execz .LBB276_1628
; %bb.1619:
	flat_load_dword v1, v[1:2]
	s_mov_b32 s16, 0x43f00000
                                        ; implicit-def: $vgpr2
	s_waitcnt vmcnt(0) lgkmcnt(0)
	v_cvt_f32_i32_e32 v1, v1
	v_and_b32_e32 v3, 0x7fffffff, v1
	v_cmp_gt_u32_e32 vcc, s16, v3
	s_and_saveexec_b64 s[16:17], vcc
	s_xor_b64 s[16:17], exec, s[16:17]
	s_cbranch_execz .LBB276_1625
; %bb.1620:
	s_mov_b32 s18, 0x3c7fffff
	v_cmp_lt_u32_e32 vcc, s18, v3
                                        ; implicit-def: $vgpr2
	s_and_saveexec_b64 s[18:19], vcc
	s_xor_b64 s[18:19], exec, s[18:19]
; %bb.1621:
	v_bfe_u32 v2, v1, 20, 1
	s_mov_b32 s20, 0x407ffff
	v_add3_u32 v2, v1, v2, s20
	v_lshrrev_b32_e32 v3, 20, v2
	v_and_b32_e32 v2, 0xff00000, v2
	s_mov_b32 s20, 0x7f00000
	v_mov_b32_e32 v4, 0x7e
	v_cmp_ne_u32_e32 vcc, s20, v2
	v_cndmask_b32_e32 v2, v4, v3, vcc
; %bb.1622:
	s_andn2_saveexec_b64 s[18:19], s[18:19]
; %bb.1623:
	s_mov_b32 s20, 0x46800000
	v_add_f32_e64 v2, |v1|, s20
; %bb.1624:
	s_or_b64 exec, exec, s[18:19]
                                        ; implicit-def: $vgpr3
.LBB276_1625:
	s_andn2_saveexec_b64 s[16:17], s[16:17]
; %bb.1626:
	s_mov_b32 s18, 0x7f800000
	v_mov_b32_e32 v2, 0x7e
	v_mov_b32_e32 v4, 0x7f
	v_cmp_lt_u32_e32 vcc, s18, v3
	v_cndmask_b32_e32 v2, v2, v4, vcc
; %bb.1627:
	s_or_b64 exec, exec, s[16:17]
	v_lshrrev_b32_e32 v1, 24, v1
	s_movk_i32 s16, 0x80
	v_and_or_b32 v24, v1, s16, v2
.LBB276_1628:
	s_or_b64 exec, exec, s[14:15]
                                        ; implicit-def: $vgpr1_vgpr2
.LBB276_1629:
	s_andn2_saveexec_b64 s[12:13], s[12:13]
	s_cbranch_execz .LBB276_1639
; %bb.1630:
	flat_load_sshort v1, v[1:2]
	s_mov_b32 s14, 0x43f00000
                                        ; implicit-def: $vgpr2
	s_waitcnt vmcnt(0) lgkmcnt(0)
	v_cvt_f32_i32_e32 v1, v1
	v_and_b32_e32 v3, 0x7fffffff, v1
	v_cmp_gt_u32_e32 vcc, s14, v3
	s_and_saveexec_b64 s[14:15], vcc
	s_xor_b64 s[14:15], exec, s[14:15]
	s_cbranch_execz .LBB276_1636
; %bb.1631:
	s_mov_b32 s16, 0x3c7fffff
	v_cmp_lt_u32_e32 vcc, s16, v3
                                        ; implicit-def: $vgpr2
	s_and_saveexec_b64 s[16:17], vcc
	s_xor_b64 s[16:17], exec, s[16:17]
; %bb.1632:
	v_bfe_u32 v2, v1, 20, 1
	s_mov_b32 s18, 0x407ffff
	v_add3_u32 v2, v1, v2, s18
	v_lshrrev_b32_e32 v3, 20, v2
	v_and_b32_e32 v2, 0xff00000, v2
	s_mov_b32 s18, 0x7f00000
	v_mov_b32_e32 v4, 0x7e
	v_cmp_ne_u32_e32 vcc, s18, v2
	v_cndmask_b32_e32 v2, v4, v3, vcc
; %bb.1633:
	s_andn2_saveexec_b64 s[16:17], s[16:17]
; %bb.1634:
	s_mov_b32 s18, 0x46800000
	v_add_f32_e64 v2, |v1|, s18
; %bb.1635:
	s_or_b64 exec, exec, s[16:17]
                                        ; implicit-def: $vgpr3
.LBB276_1636:
	s_andn2_saveexec_b64 s[14:15], s[14:15]
; %bb.1637:
	s_mov_b32 s16, 0x7f800000
	v_mov_b32_e32 v2, 0x7e
	v_mov_b32_e32 v4, 0x7f
	v_cmp_lt_u32_e32 vcc, s16, v3
	v_cndmask_b32_e32 v2, v2, v4, vcc
; %bb.1638:
	s_or_b64 exec, exec, s[14:15]
	v_lshrrev_b32_e32 v1, 24, v1
	s_movk_i32 s14, 0x80
	v_and_or_b32 v24, v1, s14, v2
.LBB276_1639:
	s_or_b64 exec, exec, s[12:13]
                                        ; implicit-def: $vgpr12
                                        ; implicit-def: $vgpr1_vgpr2
.LBB276_1640:
	s_andn2_saveexec_b64 s[10:11], s[10:11]
	s_cbranch_execz .LBB276_1662
; %bb.1641:
	v_cmp_lt_i16_e32 vcc, 0, v12
                                        ; implicit-def: $vgpr24
	s_and_saveexec_b64 s[12:13], vcc
	s_xor_b64 s[12:13], exec, s[12:13]
	s_cbranch_execz .LBB276_1651
; %bb.1642:
	flat_load_sbyte v1, v[1:2]
	s_mov_b32 s14, 0x43f00000
                                        ; implicit-def: $vgpr2
	s_waitcnt vmcnt(0) lgkmcnt(0)
	v_cvt_f32_i32_e32 v1, v1
	v_and_b32_e32 v3, 0x7fffffff, v1
	v_cmp_gt_u32_e32 vcc, s14, v3
	s_and_saveexec_b64 s[14:15], vcc
	s_xor_b64 s[14:15], exec, s[14:15]
	s_cbranch_execz .LBB276_1648
; %bb.1643:
	s_mov_b32 s16, 0x3c7fffff
	v_cmp_lt_u32_e32 vcc, s16, v3
                                        ; implicit-def: $vgpr2
	s_and_saveexec_b64 s[16:17], vcc
	s_xor_b64 s[16:17], exec, s[16:17]
; %bb.1644:
	v_bfe_u32 v2, v1, 20, 1
	s_mov_b32 s18, 0x407ffff
	v_add3_u32 v2, v1, v2, s18
	v_lshrrev_b32_e32 v3, 20, v2
	v_and_b32_e32 v2, 0xff00000, v2
	s_mov_b32 s18, 0x7f00000
	v_mov_b32_e32 v4, 0x7e
	v_cmp_ne_u32_e32 vcc, s18, v2
	v_cndmask_b32_e32 v2, v4, v3, vcc
; %bb.1645:
	s_andn2_saveexec_b64 s[16:17], s[16:17]
; %bb.1646:
	s_mov_b32 s18, 0x46800000
	v_add_f32_e64 v2, |v1|, s18
; %bb.1647:
	s_or_b64 exec, exec, s[16:17]
                                        ; implicit-def: $vgpr3
.LBB276_1648:
	s_andn2_saveexec_b64 s[14:15], s[14:15]
; %bb.1649:
	s_mov_b32 s16, 0x7f800000
	v_mov_b32_e32 v2, 0x7e
	v_mov_b32_e32 v4, 0x7f
	v_cmp_lt_u32_e32 vcc, s16, v3
	v_cndmask_b32_e32 v2, v2, v4, vcc
; %bb.1650:
	s_or_b64 exec, exec, s[14:15]
	v_lshrrev_b32_e32 v1, 24, v1
	s_movk_i32 s14, 0x80
	v_and_or_b32 v24, v1, s14, v2
                                        ; implicit-def: $vgpr1_vgpr2
.LBB276_1651:
	s_andn2_saveexec_b64 s[12:13], s[12:13]
	s_cbranch_execz .LBB276_1661
; %bb.1652:
	flat_load_ubyte v1, v[1:2]
	s_mov_b32 s14, 0x43f00000
                                        ; implicit-def: $vgpr24
	s_waitcnt vmcnt(0) lgkmcnt(0)
	v_cvt_f32_ubyte0_e32 v1, v1
	v_cmp_gt_u32_e32 vcc, s14, v1
	s_and_saveexec_b64 s[14:15], vcc
	s_xor_b64 s[14:15], exec, s[14:15]
	s_cbranch_execz .LBB276_1658
; %bb.1653:
	s_mov_b32 s16, 0x3c7fffff
	v_cmp_lt_u32_e32 vcc, s16, v1
                                        ; implicit-def: $vgpr24
	s_and_saveexec_b64 s[16:17], vcc
	s_xor_b64 s[16:17], exec, s[16:17]
; %bb.1654:
	v_bfe_u32 v2, v1, 20, 1
	s_mov_b32 s18, 0x407ffff
	v_add3_u32 v1, v1, v2, s18
	v_lshrrev_b32_e32 v2, 20, v1
	v_and_b32_e32 v1, 0xff00000, v1
	s_mov_b32 s18, 0x7f00000
	v_mov_b32_e32 v3, 0x7e
	v_cmp_ne_u32_e32 vcc, s18, v1
	v_cndmask_b32_e32 v24, v3, v2, vcc
                                        ; implicit-def: $vgpr1
; %bb.1655:
	s_andn2_saveexec_b64 s[16:17], s[16:17]
; %bb.1656:
	v_add_f32_e32 v24, 0x46800000, v1
; %bb.1657:
	s_or_b64 exec, exec, s[16:17]
                                        ; implicit-def: $vgpr1
.LBB276_1658:
	s_andn2_saveexec_b64 s[14:15], s[14:15]
; %bb.1659:
	s_mov_b32 s16, 0x7f800000
	v_mov_b32_e32 v2, 0x7e
	v_mov_b32_e32 v3, 0x7f
	v_cmp_lt_u32_e32 vcc, s16, v1
	v_cndmask_b32_e32 v24, v2, v3, vcc
; %bb.1660:
	s_or_b64 exec, exec, s[14:15]
.LBB276_1661:
	s_or_b64 exec, exec, s[12:13]
.LBB276_1662:
	s_or_b64 exec, exec, s[10:11]
.LBB276_1663:
	s_or_b64 exec, exec, s[8:9]
	s_or_b64 s[6:7], s[6:7], exec
.LBB276_1664:
	s_or_b64 exec, exec, s[4:5]
	s_mov_b64 s[4:5], 0
	s_mov_b64 s[8:9], 0
	s_mov_b64 s[12:13], 0
                                        ; implicit-def: $sgpr10_sgpr11
                                        ; implicit-def: $vgpr9_vgpr10
                                        ; implicit-def: $vgpr3
	s_and_saveexec_b64 s[58:59], s[6:7]
	s_cbranch_execz .LBB276_2187
; %bb.1665:
	v_add_co_u32_e32 v0, vcc, v13, v0
	v_addc_co_u32_e32 v1, vcc, 0, v14, vcc
	v_cmp_lt_i16_e32 vcc, 10, v11
	s_mov_b64 s[6:7], 0
	s_mov_b64 s[60:61], s[56:57]
                                        ; implicit-def: $vgpr27
	s_and_saveexec_b64 s[4:5], vcc
	s_xor_b64 s[4:5], exec, s[4:5]
	s_cbranch_execz .LBB276_1760
; %bb.1666:
	v_cmp_lt_i16_e32 vcc, 25, v11
	s_mov_b64 s[10:11], 0
                                        ; implicit-def: $vgpr27
	s_and_saveexec_b64 s[8:9], vcc
	s_xor_b64 s[8:9], exec, s[8:9]
	s_cbranch_execz .LBB276_2586
; %bb.1667:
	v_cmp_lt_i16_e32 vcc, 28, v11
	;; [unrolled: 7-line block ×3, first 2 shown]
	s_mov_b64 s[16:17], 0
	s_mov_b64 s[18:19], 0
                                        ; implicit-def: $vgpr27
	s_and_saveexec_b64 s[12:13], vcc
	s_xor_b64 s[12:13], exec, s[12:13]
	s_cbranch_execz .LBB276_1694
; %bb.1669:
	v_cmp_lt_i16_e32 vcc, 45, v11
                                        ; implicit-def: $vgpr27
	s_and_saveexec_b64 s[18:19], vcc
	s_xor_b64 s[18:19], exec, s[18:19]
	s_cbranch_execz .LBB276_1681
; %bb.1670:
	v_cmp_eq_u16_e32 vcc, 46, v11
	s_mov_b64 s[20:21], -1
                                        ; implicit-def: $vgpr27
	s_and_saveexec_b64 s[14:15], vcc
	s_cbranch_execz .LBB276_1680
; %bb.1671:
	flat_load_dword v2, v[0:1]
	s_mov_b32 s16, 0x43f00000
                                        ; implicit-def: $vgpr3
	s_waitcnt vmcnt(0) lgkmcnt(0)
	v_lshlrev_b32_e32 v2, 16, v2
	v_and_b32_e32 v4, 0x7fffffff, v2
	v_cmp_gt_u32_e32 vcc, s16, v4
	s_and_saveexec_b64 s[16:17], vcc
	s_xor_b64 s[16:17], exec, s[16:17]
	s_cbranch_execz .LBB276_1677
; %bb.1672:
	s_mov_b32 s20, 0x3c7fffff
	v_cmp_lt_u32_e32 vcc, s20, v4
                                        ; implicit-def: $vgpr3
	s_and_saveexec_b64 s[20:21], vcc
	s_xor_b64 s[20:21], exec, s[20:21]
; %bb.1673:
	v_bfe_u32 v3, v2, 20, 1
	s_mov_b32 s22, 0x407ffff
	v_add3_u32 v3, v2, v3, s22
	v_lshrrev_b32_e32 v4, 20, v3
	v_and_b32_e32 v3, 0xff00000, v3
	s_mov_b32 s22, 0x7f00000
	v_mov_b32_e32 v5, 0x7e
	v_cmp_ne_u32_e32 vcc, s22, v3
	v_cndmask_b32_e32 v3, v5, v4, vcc
; %bb.1674:
	s_andn2_saveexec_b64 s[20:21], s[20:21]
; %bb.1675:
	s_mov_b32 s22, 0x46800000
	v_add_f32_e64 v3, |v2|, s22
; %bb.1676:
	s_or_b64 exec, exec, s[20:21]
                                        ; implicit-def: $vgpr4
.LBB276_1677:
	s_andn2_saveexec_b64 s[16:17], s[16:17]
; %bb.1678:
	s_mov_b32 s20, 0x7f800000
	v_mov_b32_e32 v3, 0x7e
	v_mov_b32_e32 v5, 0x7f
	v_cmp_lt_u32_e32 vcc, s20, v4
	v_cndmask_b32_e32 v3, v3, v5, vcc
; %bb.1679:
	s_or_b64 exec, exec, s[16:17]
	v_lshrrev_b32_e32 v2, 24, v2
	s_movk_i32 s20, 0x80
	s_mov_b64 s[16:17], exec
	v_and_or_b32 v27, v2, s20, v3
	s_xor_b64 s[20:21], exec, -1
.LBB276_1680:
	s_or_b64 exec, exec, s[14:15]
	s_and_b64 s[16:17], s[16:17], exec
	s_and_b64 s[14:15], s[20:21], exec
                                        ; implicit-def: $vgpr11
.LBB276_1681:
	s_andn2_saveexec_b64 s[18:19], s[18:19]
	s_cbranch_execz .LBB276_1693
; %bb.1682:
	v_cmp_eq_u16_e32 vcc, 44, v11
	s_mov_b64 s[22:23], -1
	s_mov_b64 s[24:25], s[16:17]
                                        ; implicit-def: $vgpr27
	s_and_saveexec_b64 s[20:21], vcc
	s_cbranch_execz .LBB276_1692
; %bb.1683:
	flat_load_ubyte v2, v[0:1]
	s_movk_i32 s22, 0xff
	v_mov_b32_e32 v3, 0x7f800001
	v_mov_b32_e32 v4, 0x400000
                                        ; implicit-def: $vgpr27
	s_waitcnt vmcnt(0) lgkmcnt(0)
	v_lshlrev_b32_e32 v5, 23, v2
	v_cmp_ne_u32_e32 vcc, s22, v2
	v_cndmask_b32_e32 v3, v3, v5, vcc
	v_cmp_ne_u32_e32 vcc, 0, v2
	v_cndmask_b32_e32 v2, v4, v3, vcc
	s_mov_b32 s22, 0x43f00000
	v_cmp_gt_u32_e32 vcc, s22, v2
	s_and_saveexec_b64 s[22:23], vcc
	s_xor_b64 s[22:23], exec, s[22:23]
	s_cbranch_execz .LBB276_1689
; %bb.1684:
	s_mov_b32 s24, 0x3c7fffff
	v_cmp_lt_u32_e32 vcc, s24, v2
                                        ; implicit-def: $vgpr27
	s_and_saveexec_b64 s[24:25], vcc
	s_xor_b64 s[24:25], exec, s[24:25]
; %bb.1685:
	v_bfe_u32 v3, v2, 20, 1
	s_mov_b32 s28, 0x407ffff
	v_add3_u32 v2, v2, v3, s28
	v_lshrrev_b32_e32 v3, 20, v2
	v_and_b32_e32 v2, 0xff00000, v2
	s_mov_b32 s28, 0x7f00000
	v_mov_b32_e32 v4, 0x7e
	v_cmp_ne_u32_e32 vcc, s28, v2
	v_cndmask_b32_e32 v27, v4, v3, vcc
                                        ; implicit-def: $vgpr2
; %bb.1686:
	s_andn2_saveexec_b64 s[24:25], s[24:25]
; %bb.1687:
	v_add_f32_e32 v27, 0x46800000, v2
; %bb.1688:
	s_or_b64 exec, exec, s[24:25]
                                        ; implicit-def: $vgpr2
.LBB276_1689:
	s_andn2_saveexec_b64 s[22:23], s[22:23]
; %bb.1690:
	s_mov_b32 s24, 0x7f800000
	v_mov_b32_e32 v3, 0x7e
	v_mov_b32_e32 v4, 0x7f
	v_cmp_lt_u32_e32 vcc, s24, v2
	v_cndmask_b32_e32 v27, v3, v4, vcc
; %bb.1691:
	s_or_b64 exec, exec, s[22:23]
	s_or_b64 s[24:25], s[16:17], exec
	s_xor_b64 s[22:23], exec, -1
.LBB276_1692:
	s_or_b64 exec, exec, s[20:21]
	s_andn2_b64 s[16:17], s[16:17], exec
	s_and_b64 s[20:21], s[24:25], exec
	s_or_b64 s[16:17], s[16:17], s[20:21]
	s_andn2_b64 s[14:15], s[14:15], exec
	s_and_b64 s[20:21], s[22:23], exec
	s_or_b64 s[14:15], s[14:15], s[20:21]
.LBB276_1693:
	s_or_b64 exec, exec, s[18:19]
	s_and_b64 s[18:19], s[16:17], exec
	s_and_b64 s[16:17], s[14:15], exec
                                        ; implicit-def: $vgpr11
.LBB276_1694:
	s_andn2_saveexec_b64 s[12:13], s[12:13]
	s_cbranch_execz .LBB276_1706
; %bb.1695:
	v_cmp_eq_u16_e32 vcc, 29, v11
	s_mov_b64 s[20:21], -1
	s_mov_b64 s[22:23], s[18:19]
                                        ; implicit-def: $vgpr27
	s_and_saveexec_b64 s[14:15], vcc
	s_cbranch_execz .LBB276_1705
; %bb.1696:
	flat_load_dwordx2 v[2:3], v[0:1]
	s_mov_b32 s20, 0x43f00000
                                        ; implicit-def: $vgpr27
	s_waitcnt vmcnt(0) lgkmcnt(0)
	v_ffbh_u32_e32 v4, v3
	v_min_u32_e32 v4, 32, v4
	v_lshlrev_b64 v[2:3], v4, v[2:3]
	v_min_u32_e32 v2, 1, v2
	v_or_b32_e32 v2, v3, v2
	v_cvt_f32_u32_e32 v2, v2
	v_sub_u32_e32 v3, 32, v4
	v_ldexp_f32 v2, v2, v3
	v_cmp_gt_u32_e32 vcc, s20, v2
	s_and_saveexec_b64 s[20:21], vcc
	s_xor_b64 s[20:21], exec, s[20:21]
	s_cbranch_execz .LBB276_1702
; %bb.1697:
	s_mov_b32 s22, 0x3c7fffff
	v_cmp_lt_u32_e32 vcc, s22, v2
                                        ; implicit-def: $vgpr27
	s_and_saveexec_b64 s[22:23], vcc
	s_xor_b64 s[22:23], exec, s[22:23]
; %bb.1698:
	v_bfe_u32 v3, v2, 20, 1
	s_mov_b32 s24, 0x407ffff
	v_add3_u32 v2, v2, v3, s24
	v_lshrrev_b32_e32 v3, 20, v2
	v_and_b32_e32 v2, 0xff00000, v2
	s_mov_b32 s24, 0x7f00000
	v_mov_b32_e32 v4, 0x7e
	v_cmp_ne_u32_e32 vcc, s24, v2
	v_cndmask_b32_e32 v27, v4, v3, vcc
                                        ; implicit-def: $vgpr2
; %bb.1699:
	s_andn2_saveexec_b64 s[22:23], s[22:23]
; %bb.1700:
	v_add_f32_e32 v27, 0x46800000, v2
; %bb.1701:
	s_or_b64 exec, exec, s[22:23]
                                        ; implicit-def: $vgpr2
.LBB276_1702:
	s_andn2_saveexec_b64 s[20:21], s[20:21]
; %bb.1703:
	s_mov_b32 s22, 0x7f800000
	v_mov_b32_e32 v3, 0x7e
	v_mov_b32_e32 v4, 0x7f
	v_cmp_lt_u32_e32 vcc, s22, v2
	v_cndmask_b32_e32 v27, v3, v4, vcc
; %bb.1704:
	s_or_b64 exec, exec, s[20:21]
	s_or_b64 s[22:23], s[18:19], exec
	s_xor_b64 s[20:21], exec, -1
.LBB276_1705:
	s_or_b64 exec, exec, s[14:15]
	s_andn2_b64 s[14:15], s[18:19], exec
	s_and_b64 s[18:19], s[22:23], exec
	s_or_b64 s[18:19], s[14:15], s[18:19]
	s_andn2_b64 s[14:15], s[16:17], exec
	s_and_b64 s[16:17], s[20:21], exec
	s_or_b64 s[16:17], s[14:15], s[16:17]
.LBB276_1706:
	s_or_b64 exec, exec, s[12:13]
	s_and_b64 s[14:15], s[18:19], exec
	s_and_b64 s[12:13], s[16:17], exec
                                        ; implicit-def: $vgpr11
.LBB276_1707:
	s_andn2_saveexec_b64 s[10:11], s[10:11]
	s_cbranch_execz .LBB276_1747
; %bb.1708:
	v_cmp_lt_i16_e32 vcc, 26, v11
                                        ; implicit-def: $vgpr27
	s_and_saveexec_b64 s[16:17], vcc
	s_xor_b64 s[16:17], exec, s[16:17]
	s_cbranch_execz .LBB276_1730
; %bb.1709:
	v_cmp_lt_i16_e32 vcc, 27, v11
                                        ; implicit-def: $vgpr27
	s_and_saveexec_b64 s[18:19], vcc
	s_xor_b64 s[18:19], exec, s[18:19]
	s_cbranch_execz .LBB276_1719
; %bb.1710:
	flat_load_dword v2, v[0:1]
	s_mov_b32 s20, 0x43f00000
                                        ; implicit-def: $vgpr27
	s_waitcnt vmcnt(0) lgkmcnt(0)
	v_cvt_f32_u32_e32 v2, v2
	v_cmp_gt_u32_e32 vcc, s20, v2
	s_and_saveexec_b64 s[20:21], vcc
	s_xor_b64 s[20:21], exec, s[20:21]
	s_cbranch_execz .LBB276_1716
; %bb.1711:
	s_mov_b32 s22, 0x3c7fffff
	v_cmp_lt_u32_e32 vcc, s22, v2
                                        ; implicit-def: $vgpr27
	s_and_saveexec_b64 s[22:23], vcc
	s_xor_b64 s[22:23], exec, s[22:23]
; %bb.1712:
	v_bfe_u32 v3, v2, 20, 1
	s_mov_b32 s24, 0x407ffff
	v_add3_u32 v2, v2, v3, s24
	v_lshrrev_b32_e32 v3, 20, v2
	v_and_b32_e32 v2, 0xff00000, v2
	s_mov_b32 s24, 0x7f00000
	v_mov_b32_e32 v4, 0x7e
	v_cmp_ne_u32_e32 vcc, s24, v2
	v_cndmask_b32_e32 v27, v4, v3, vcc
                                        ; implicit-def: $vgpr2
; %bb.1713:
	s_andn2_saveexec_b64 s[22:23], s[22:23]
; %bb.1714:
	v_add_f32_e32 v27, 0x46800000, v2
; %bb.1715:
	s_or_b64 exec, exec, s[22:23]
                                        ; implicit-def: $vgpr2
.LBB276_1716:
	s_andn2_saveexec_b64 s[20:21], s[20:21]
; %bb.1717:
	s_mov_b32 s22, 0x7f800000
	v_mov_b32_e32 v3, 0x7e
	v_mov_b32_e32 v4, 0x7f
	v_cmp_lt_u32_e32 vcc, s22, v2
	v_cndmask_b32_e32 v27, v3, v4, vcc
; %bb.1718:
	s_or_b64 exec, exec, s[20:21]
.LBB276_1719:
	s_andn2_saveexec_b64 s[18:19], s[18:19]
	s_cbranch_execz .LBB276_1729
; %bb.1720:
	flat_load_ushort v2, v[0:1]
	s_mov_b32 s20, 0x43f00000
                                        ; implicit-def: $vgpr27
	s_waitcnt vmcnt(0) lgkmcnt(0)
	v_cvt_f32_u32_e32 v2, v2
	v_cmp_gt_u32_e32 vcc, s20, v2
	s_and_saveexec_b64 s[20:21], vcc
	s_xor_b64 s[20:21], exec, s[20:21]
	s_cbranch_execz .LBB276_1726
; %bb.1721:
	s_mov_b32 s22, 0x3c7fffff
	v_cmp_lt_u32_e32 vcc, s22, v2
                                        ; implicit-def: $vgpr27
	s_and_saveexec_b64 s[22:23], vcc
	s_xor_b64 s[22:23], exec, s[22:23]
; %bb.1722:
	v_bfe_u32 v3, v2, 20, 1
	s_mov_b32 s24, 0x407ffff
	v_add3_u32 v2, v2, v3, s24
	v_lshrrev_b32_e32 v3, 20, v2
	v_and_b32_e32 v2, 0xff00000, v2
	s_mov_b32 s24, 0x7f00000
	v_mov_b32_e32 v4, 0x7e
	v_cmp_ne_u32_e32 vcc, s24, v2
	v_cndmask_b32_e32 v27, v4, v3, vcc
                                        ; implicit-def: $vgpr2
; %bb.1723:
	s_andn2_saveexec_b64 s[22:23], s[22:23]
; %bb.1724:
	v_add_f32_e32 v27, 0x46800000, v2
; %bb.1725:
	s_or_b64 exec, exec, s[22:23]
                                        ; implicit-def: $vgpr2
.LBB276_1726:
	s_andn2_saveexec_b64 s[20:21], s[20:21]
; %bb.1727:
	s_mov_b32 s22, 0x7f800000
	v_mov_b32_e32 v3, 0x7e
	v_mov_b32_e32 v4, 0x7f
	v_cmp_lt_u32_e32 vcc, s22, v2
	v_cndmask_b32_e32 v27, v3, v4, vcc
; %bb.1728:
	s_or_b64 exec, exec, s[20:21]
.LBB276_1729:
	s_or_b64 exec, exec, s[18:19]
.LBB276_1730:
	s_andn2_saveexec_b64 s[16:17], s[16:17]
	s_cbranch_execz .LBB276_1746
; %bb.1731:
	flat_load_ubyte v3, v[0:1]
	s_movk_i32 s18, 0x7f
	s_waitcnt vmcnt(0) lgkmcnt(0)
	v_cmp_lt_i16_e32 vcc, s18, v3
	s_mov_b64 s[18:19], 0
	s_and_saveexec_b64 s[20:21], vcc
	s_xor_b64 s[20:21], exec, s[20:21]
	s_cbranch_execz .LBB276_2745
; %bb.1732:
	s_movk_i32 s18, 0x80
	v_cmp_eq_u16_e32 vcc, s18, v3
	s_mov_b64 s[18:19], -1
	s_and_saveexec_b64 s[22:23], vcc
; %bb.1733:
	s_xor_b64 s[18:19], exec, -1
; %bb.1734:
	s_or_b64 exec, exec, s[22:23]
	s_and_b64 s[18:19], s[18:19], exec
	s_or_saveexec_b64 s[20:21], s[20:21]
	v_mov_b32_e32 v2, 0x7f800001
	s_xor_b64 exec, exec, s[20:21]
	s_cbranch_execnz .LBB276_2746
.LBB276_1735:
	s_or_b64 exec, exec, s[20:21]
	s_and_saveexec_b64 s[20:21], s[18:19]
	s_cbranch_execz .LBB276_1737
.LBB276_1736:
	v_lshlrev_b32_e32 v2, 24, v3
	v_and_b32_e32 v3, 0xffff, v3
	v_and_b32_e32 v4, 7, v3
	v_ffbh_u32_e32 v6, v4
	v_min_u32_e32 v6, 32, v6
	v_subrev_u32_e32 v7, 28, v6
	v_bfe_u32 v5, v3, 3, 4
	v_lshlrev_b32_e32 v3, v7, v3
	v_sub_u32_e32 v6, 29, v6
	v_and_b32_e32 v3, 7, v3
	v_cmp_eq_u32_e32 vcc, 0, v5
	v_cndmask_b32_e32 v5, v5, v6, vcc
	v_cndmask_b32_e32 v3, v4, v3, vcc
	v_mov_b32_e32 v4, 0x3b800000
	v_lshlrev_b32_e32 v3, 20, v3
	v_and_b32_e32 v2, 0x80000000, v2
	v_lshl_add_u32 v4, v5, 23, v4
	v_or3_b32 v2, v2, v4, v3
.LBB276_1737:
	s_or_b64 exec, exec, s[20:21]
	v_and_b32_e32 v4, 0x7fffffff, v2
	s_mov_b32 s18, 0x43f00000
	v_cmp_gt_u32_e32 vcc, s18, v4
                                        ; implicit-def: $vgpr3
	s_and_saveexec_b64 s[18:19], vcc
	s_xor_b64 s[18:19], exec, s[18:19]
	s_cbranch_execz .LBB276_1743
; %bb.1738:
	s_mov_b32 s20, 0x3c7fffff
	v_cmp_lt_u32_e32 vcc, s20, v4
                                        ; implicit-def: $vgpr3
	s_and_saveexec_b64 s[20:21], vcc
	s_xor_b64 s[20:21], exec, s[20:21]
; %bb.1739:
	v_bfe_u32 v3, v2, 20, 1
	s_mov_b32 s22, 0x407ffff
	v_add3_u32 v3, v2, v3, s22
	v_lshrrev_b32_e32 v4, 20, v3
	v_and_b32_e32 v3, 0xff00000, v3
	s_mov_b32 s22, 0x7f00000
	v_mov_b32_e32 v5, 0x7e
	v_cmp_ne_u32_e32 vcc, s22, v3
	v_cndmask_b32_e32 v3, v5, v4, vcc
; %bb.1740:
	s_andn2_saveexec_b64 s[20:21], s[20:21]
; %bb.1741:
	s_mov_b32 s22, 0x46800000
	v_add_f32_e64 v3, |v2|, s22
; %bb.1742:
	s_or_b64 exec, exec, s[20:21]
                                        ; implicit-def: $vgpr4
.LBB276_1743:
	s_andn2_saveexec_b64 s[18:19], s[18:19]
; %bb.1744:
	s_mov_b32 s20, 0x7f800000
	v_mov_b32_e32 v3, 0x7e
	v_mov_b32_e32 v5, 0x7f
	v_cmp_lt_u32_e32 vcc, s20, v4
	v_cndmask_b32_e32 v3, v3, v5, vcc
; %bb.1745:
	s_or_b64 exec, exec, s[18:19]
	v_lshrrev_b32_e32 v2, 24, v2
	s_movk_i32 s18, 0x80
	v_and_or_b32 v27, v2, s18, v3
.LBB276_1746:
	s_or_b64 exec, exec, s[16:17]
	s_or_b64 s[14:15], s[14:15], exec
.LBB276_1747:
	s_or_b64 exec, exec, s[10:11]
	s_and_b64 s[10:11], s[14:15], exec
	s_and_b64 s[12:13], s[12:13], exec
                                        ; implicit-def: $vgpr11
	s_andn2_saveexec_b64 s[8:9], s[8:9]
	s_cbranch_execnz .LBB276_2587
.LBB276_1748:
	s_or_b64 exec, exec, s[8:9]
	s_mov_b64 s[8:9], s[56:57]
	s_and_saveexec_b64 s[14:15], s[12:13]
	s_cbranch_execnz .LBB276_2636
.LBB276_1749:
	s_or_b64 exec, exec, s[14:15]
	s_and_saveexec_b64 s[12:13], s[6:7]
	s_cbranch_execz .LBB276_1759
.LBB276_1750:
	flat_load_ubyte v0, v[0:1]
	s_mov_b32 s6, 0x43f00000
                                        ; implicit-def: $vgpr27
	s_waitcnt vmcnt(0) lgkmcnt(0)
	v_cmp_ne_u16_e32 vcc, 0, v0
	v_cndmask_b32_e64 v0, 0, 1.0, vcc
	v_cmp_gt_u32_e32 vcc, s6, v0
	s_and_saveexec_b64 s[6:7], vcc
	s_xor_b64 s[6:7], exec, s[6:7]
	s_cbranch_execz .LBB276_1756
; %bb.1751:
	s_mov_b32 s14, 0x3c7fffff
	v_cmp_lt_u32_e32 vcc, s14, v0
                                        ; implicit-def: $vgpr27
	s_and_saveexec_b64 s[14:15], vcc
	s_xor_b64 s[14:15], exec, s[14:15]
; %bb.1752:
	v_bfe_u32 v1, v0, 20, 1
	s_mov_b32 s16, 0x407ffff
	v_add3_u32 v0, v0, v1, s16
	v_lshrrev_b32_e32 v1, 20, v0
	v_and_b32_e32 v0, 0xff00000, v0
	s_mov_b32 s16, 0x7f00000
	v_mov_b32_e32 v2, 0x7e
	v_cmp_ne_u32_e32 vcc, s16, v0
	v_cndmask_b32_e32 v27, v2, v1, vcc
                                        ; implicit-def: $vgpr0
; %bb.1753:
	s_andn2_saveexec_b64 s[14:15], s[14:15]
; %bb.1754:
	v_add_f32_e32 v27, 0x46800000, v0
; %bb.1755:
	s_or_b64 exec, exec, s[14:15]
                                        ; implicit-def: $vgpr0
.LBB276_1756:
	s_andn2_saveexec_b64 s[6:7], s[6:7]
; %bb.1757:
	s_mov_b32 s14, 0x7f800000
	v_mov_b32_e32 v1, 0x7e
	v_mov_b32_e32 v2, 0x7f
	v_cmp_lt_u32_e32 vcc, s14, v0
	v_cndmask_b32_e32 v27, v1, v2, vcc
; %bb.1758:
	s_or_b64 exec, exec, s[6:7]
	s_or_b64 s[10:11], s[10:11], exec
.LBB276_1759:
	s_or_b64 exec, exec, s[12:13]
	s_andn2_b64 s[6:7], s[56:57], exec
	s_and_b64 s[8:9], s[8:9], exec
	s_or_b64 s[60:61], s[6:7], s[8:9]
	s_and_b64 s[6:7], s[10:11], exec
                                        ; implicit-def: $vgpr11
                                        ; implicit-def: $vgpr0_vgpr1
.LBB276_1760:
	s_andn2_saveexec_b64 s[4:5], s[4:5]
	s_cbranch_execz .LBB276_1890
; %bb.1761:
	v_cmp_lt_i16_e32 vcc, 4, v11
                                        ; implicit-def: $vgpr27
	s_and_saveexec_b64 s[8:9], vcc
	s_xor_b64 s[8:9], exec, s[8:9]
	s_cbranch_execz .LBB276_1831
; %bb.1762:
	v_cmp_lt_i16_e32 vcc, 7, v11
                                        ; implicit-def: $vgpr27
	s_and_saveexec_b64 s[10:11], vcc
	s_xor_b64 s[10:11], exec, s[10:11]
	;; [unrolled: 6-line block ×4, first 2 shown]
	s_cbranch_execz .LBB276_1774
; %bb.1765:
	flat_load_dwordx2 v[0:1], v[0:1]
	s_mov_b32 s16, 0x43f00000
	s_waitcnt vmcnt(0) lgkmcnt(0)
	v_cvt_f32_f64_e32 v0, v[0:1]
                                        ; implicit-def: $vgpr1
	v_and_b32_e32 v2, 0x7fffffff, v0
	v_cmp_gt_u32_e32 vcc, s16, v2
	s_and_saveexec_b64 s[16:17], vcc
	s_xor_b64 s[16:17], exec, s[16:17]
	s_cbranch_execz .LBB276_1771
; %bb.1766:
	s_mov_b32 s18, 0x3c7fffff
	v_cmp_lt_u32_e32 vcc, s18, v2
                                        ; implicit-def: $vgpr1
	s_and_saveexec_b64 s[18:19], vcc
	s_xor_b64 s[18:19], exec, s[18:19]
; %bb.1767:
	v_bfe_u32 v1, v0, 20, 1
	s_mov_b32 s20, 0x407ffff
	v_add3_u32 v1, v0, v1, s20
	v_lshrrev_b32_e32 v2, 20, v1
	v_and_b32_e32 v1, 0xff00000, v1
	s_mov_b32 s20, 0x7f00000
	v_mov_b32_e32 v3, 0x7e
	v_cmp_ne_u32_e32 vcc, s20, v1
	v_cndmask_b32_e32 v1, v3, v2, vcc
; %bb.1768:
	s_andn2_saveexec_b64 s[18:19], s[18:19]
; %bb.1769:
	s_mov_b32 s20, 0x46800000
	v_add_f32_e64 v1, |v0|, s20
; %bb.1770:
	s_or_b64 exec, exec, s[18:19]
                                        ; implicit-def: $vgpr2
.LBB276_1771:
	s_andn2_saveexec_b64 s[16:17], s[16:17]
; %bb.1772:
	s_mov_b32 s18, 0x7f800000
	v_mov_b32_e32 v1, 0x7e
	v_mov_b32_e32 v3, 0x7f
	v_cmp_lt_u32_e32 vcc, s18, v2
	v_cndmask_b32_e32 v1, v1, v3, vcc
; %bb.1773:
	s_or_b64 exec, exec, s[16:17]
	v_lshrrev_b32_e32 v0, 24, v0
	s_movk_i32 s16, 0x80
	v_and_or_b32 v27, v0, s16, v1
                                        ; implicit-def: $vgpr0_vgpr1
.LBB276_1774:
	s_andn2_saveexec_b64 s[14:15], s[14:15]
	s_cbranch_execz .LBB276_1784
; %bb.1775:
	flat_load_dword v0, v[0:1]
	s_mov_b32 s16, 0x43f00000
                                        ; implicit-def: $vgpr1
	s_waitcnt vmcnt(0) lgkmcnt(0)
	v_and_b32_e32 v2, 0x7fffffff, v0
	v_cmp_gt_u32_e32 vcc, s16, v2
	s_and_saveexec_b64 s[16:17], vcc
	s_xor_b64 s[16:17], exec, s[16:17]
	s_cbranch_execz .LBB276_1781
; %bb.1776:
	s_mov_b32 s18, 0x3c7fffff
	v_cmp_lt_u32_e32 vcc, s18, v2
                                        ; implicit-def: $vgpr1
	s_and_saveexec_b64 s[18:19], vcc
	s_xor_b64 s[18:19], exec, s[18:19]
; %bb.1777:
	v_bfe_u32 v1, v0, 20, 1
	s_mov_b32 s20, 0x407ffff
	v_add3_u32 v1, v0, v1, s20
	v_lshrrev_b32_e32 v2, 20, v1
	v_and_b32_e32 v1, 0xff00000, v1
	s_mov_b32 s20, 0x7f00000
	v_mov_b32_e32 v3, 0x7e
	v_cmp_ne_u32_e32 vcc, s20, v1
	v_cndmask_b32_e32 v1, v3, v2, vcc
; %bb.1778:
	s_andn2_saveexec_b64 s[18:19], s[18:19]
; %bb.1779:
	s_mov_b32 s20, 0x46800000
	v_add_f32_e64 v1, |v0|, s20
; %bb.1780:
	s_or_b64 exec, exec, s[18:19]
                                        ; implicit-def: $vgpr2
.LBB276_1781:
	s_andn2_saveexec_b64 s[16:17], s[16:17]
; %bb.1782:
	s_mov_b32 s18, 0x7f800000
	v_mov_b32_e32 v1, 0x7e
	v_mov_b32_e32 v3, 0x7f
	v_cmp_lt_u32_e32 vcc, s18, v2
	v_cndmask_b32_e32 v1, v1, v3, vcc
; %bb.1783:
	s_or_b64 exec, exec, s[16:17]
	v_lshrrev_b32_e32 v0, 24, v0
	s_movk_i32 s16, 0x80
	v_and_or_b32 v27, v0, s16, v1
.LBB276_1784:
	s_or_b64 exec, exec, s[14:15]
                                        ; implicit-def: $vgpr0_vgpr1
.LBB276_1785:
	s_andn2_saveexec_b64 s[12:13], s[12:13]
	s_cbranch_execz .LBB276_1795
; %bb.1786:
	flat_load_dword v0, v[0:1]
	s_mov_b32 s14, 0x43f00000
                                        ; implicit-def: $vgpr1
	s_waitcnt vmcnt(0) lgkmcnt(0)
	v_cvt_f32_f16_e32 v0, v0
	v_and_b32_e32 v2, 0x7fffffff, v0
	v_cmp_gt_u32_e32 vcc, s14, v2
	s_and_saveexec_b64 s[14:15], vcc
	s_xor_b64 s[14:15], exec, s[14:15]
	s_cbranch_execz .LBB276_1792
; %bb.1787:
	s_mov_b32 s16, 0x3c7fffff
	v_cmp_lt_u32_e32 vcc, s16, v2
                                        ; implicit-def: $vgpr1
	s_and_saveexec_b64 s[16:17], vcc
	s_xor_b64 s[16:17], exec, s[16:17]
; %bb.1788:
	v_bfe_u32 v1, v0, 20, 1
	s_mov_b32 s18, 0x407ffff
	v_add3_u32 v1, v0, v1, s18
	v_lshrrev_b32_e32 v2, 20, v1
	v_and_b32_e32 v1, 0xff00000, v1
	s_mov_b32 s18, 0x7f00000
	v_mov_b32_e32 v3, 0x7e
	v_cmp_ne_u32_e32 vcc, s18, v1
	v_cndmask_b32_e32 v1, v3, v2, vcc
; %bb.1789:
	s_andn2_saveexec_b64 s[16:17], s[16:17]
; %bb.1790:
	s_mov_b32 s18, 0x46800000
	v_add_f32_e64 v1, |v0|, s18
; %bb.1791:
	s_or_b64 exec, exec, s[16:17]
                                        ; implicit-def: $vgpr2
.LBB276_1792:
	s_andn2_saveexec_b64 s[14:15], s[14:15]
; %bb.1793:
	s_mov_b32 s16, 0x7f800000
	v_mov_b32_e32 v1, 0x7e
	v_mov_b32_e32 v3, 0x7f
	v_cmp_lt_u32_e32 vcc, s16, v2
	v_cndmask_b32_e32 v1, v1, v3, vcc
; %bb.1794:
	s_or_b64 exec, exec, s[14:15]
	v_lshrrev_b32_e32 v0, 24, v0
	s_movk_i32 s14, 0x80
	v_and_or_b32 v27, v0, s14, v1
.LBB276_1795:
	s_or_b64 exec, exec, s[12:13]
                                        ; implicit-def: $vgpr11
                                        ; implicit-def: $vgpr0_vgpr1
.LBB276_1796:
	s_andn2_saveexec_b64 s[10:11], s[10:11]
	s_cbranch_execz .LBB276_1830
; %bb.1797:
	v_cmp_lt_i16_e32 vcc, 5, v11
                                        ; implicit-def: $vgpr27
	s_and_saveexec_b64 s[12:13], vcc
	s_xor_b64 s[12:13], exec, s[12:13]
	s_cbranch_execz .LBB276_1819
; %bb.1798:
	v_cmp_lt_i16_e32 vcc, 6, v11
                                        ; implicit-def: $vgpr27
	s_and_saveexec_b64 s[14:15], vcc
	s_xor_b64 s[14:15], exec, s[14:15]
	s_cbranch_execz .LBB276_1808
; %bb.1799:
	flat_load_dwordx2 v[0:1], v[0:1]
	s_mov_b32 s16, 0x43f00000
	s_waitcnt vmcnt(0) lgkmcnt(0)
	v_cvt_f32_f64_e32 v0, v[0:1]
                                        ; implicit-def: $vgpr1
	v_and_b32_e32 v2, 0x7fffffff, v0
	v_cmp_gt_u32_e32 vcc, s16, v2
	s_and_saveexec_b64 s[16:17], vcc
	s_xor_b64 s[16:17], exec, s[16:17]
	s_cbranch_execz .LBB276_1805
; %bb.1800:
	s_mov_b32 s18, 0x3c7fffff
	v_cmp_lt_u32_e32 vcc, s18, v2
                                        ; implicit-def: $vgpr1
	s_and_saveexec_b64 s[18:19], vcc
	s_xor_b64 s[18:19], exec, s[18:19]
; %bb.1801:
	v_bfe_u32 v1, v0, 20, 1
	s_mov_b32 s20, 0x407ffff
	v_add3_u32 v1, v0, v1, s20
	v_lshrrev_b32_e32 v2, 20, v1
	v_and_b32_e32 v1, 0xff00000, v1
	s_mov_b32 s20, 0x7f00000
	v_mov_b32_e32 v3, 0x7e
	v_cmp_ne_u32_e32 vcc, s20, v1
	v_cndmask_b32_e32 v1, v3, v2, vcc
; %bb.1802:
	s_andn2_saveexec_b64 s[18:19], s[18:19]
; %bb.1803:
	s_mov_b32 s20, 0x46800000
	v_add_f32_e64 v1, |v0|, s20
; %bb.1804:
	s_or_b64 exec, exec, s[18:19]
                                        ; implicit-def: $vgpr2
.LBB276_1805:
	s_andn2_saveexec_b64 s[16:17], s[16:17]
; %bb.1806:
	s_mov_b32 s18, 0x7f800000
	v_mov_b32_e32 v1, 0x7e
	v_mov_b32_e32 v3, 0x7f
	v_cmp_lt_u32_e32 vcc, s18, v2
	v_cndmask_b32_e32 v1, v1, v3, vcc
; %bb.1807:
	s_or_b64 exec, exec, s[16:17]
	v_lshrrev_b32_e32 v0, 24, v0
	s_movk_i32 s16, 0x80
	v_and_or_b32 v27, v0, s16, v1
                                        ; implicit-def: $vgpr0_vgpr1
.LBB276_1808:
	s_andn2_saveexec_b64 s[14:15], s[14:15]
	s_cbranch_execz .LBB276_1818
; %bb.1809:
	flat_load_dword v0, v[0:1]
	s_mov_b32 s16, 0x43f00000
                                        ; implicit-def: $vgpr1
	s_waitcnt vmcnt(0) lgkmcnt(0)
	v_and_b32_e32 v2, 0x7fffffff, v0
	v_cmp_gt_u32_e32 vcc, s16, v2
	s_and_saveexec_b64 s[16:17], vcc
	s_xor_b64 s[16:17], exec, s[16:17]
	s_cbranch_execz .LBB276_1815
; %bb.1810:
	s_mov_b32 s18, 0x3c7fffff
	v_cmp_lt_u32_e32 vcc, s18, v2
                                        ; implicit-def: $vgpr1
	s_and_saveexec_b64 s[18:19], vcc
	s_xor_b64 s[18:19], exec, s[18:19]
; %bb.1811:
	v_bfe_u32 v1, v0, 20, 1
	s_mov_b32 s20, 0x407ffff
	v_add3_u32 v1, v0, v1, s20
	v_lshrrev_b32_e32 v2, 20, v1
	v_and_b32_e32 v1, 0xff00000, v1
	s_mov_b32 s20, 0x7f00000
	v_mov_b32_e32 v3, 0x7e
	v_cmp_ne_u32_e32 vcc, s20, v1
	v_cndmask_b32_e32 v1, v3, v2, vcc
; %bb.1812:
	s_andn2_saveexec_b64 s[18:19], s[18:19]
; %bb.1813:
	s_mov_b32 s20, 0x46800000
	v_add_f32_e64 v1, |v0|, s20
; %bb.1814:
	s_or_b64 exec, exec, s[18:19]
                                        ; implicit-def: $vgpr2
.LBB276_1815:
	s_andn2_saveexec_b64 s[16:17], s[16:17]
; %bb.1816:
	s_mov_b32 s18, 0x7f800000
	v_mov_b32_e32 v1, 0x7e
	v_mov_b32_e32 v3, 0x7f
	v_cmp_lt_u32_e32 vcc, s18, v2
	v_cndmask_b32_e32 v1, v1, v3, vcc
; %bb.1817:
	s_or_b64 exec, exec, s[16:17]
	v_lshrrev_b32_e32 v0, 24, v0
	s_movk_i32 s16, 0x80
	v_and_or_b32 v27, v0, s16, v1
.LBB276_1818:
	s_or_b64 exec, exec, s[14:15]
                                        ; implicit-def: $vgpr0_vgpr1
.LBB276_1819:
	s_andn2_saveexec_b64 s[12:13], s[12:13]
	s_cbranch_execz .LBB276_1829
; %bb.1820:
	flat_load_ushort v0, v[0:1]
	s_mov_b32 s14, 0x43f00000
                                        ; implicit-def: $vgpr1
	s_waitcnt vmcnt(0) lgkmcnt(0)
	v_cvt_f32_f16_e32 v0, v0
	v_and_b32_e32 v2, 0x7fffffff, v0
	v_cmp_gt_u32_e32 vcc, s14, v2
	s_and_saveexec_b64 s[14:15], vcc
	s_xor_b64 s[14:15], exec, s[14:15]
	s_cbranch_execz .LBB276_1826
; %bb.1821:
	s_mov_b32 s16, 0x3c7fffff
	v_cmp_lt_u32_e32 vcc, s16, v2
                                        ; implicit-def: $vgpr1
	s_and_saveexec_b64 s[16:17], vcc
	s_xor_b64 s[16:17], exec, s[16:17]
; %bb.1822:
	v_bfe_u32 v1, v0, 20, 1
	s_mov_b32 s18, 0x407ffff
	v_add3_u32 v1, v0, v1, s18
	v_lshrrev_b32_e32 v2, 20, v1
	v_and_b32_e32 v1, 0xff00000, v1
	s_mov_b32 s18, 0x7f00000
	v_mov_b32_e32 v3, 0x7e
	v_cmp_ne_u32_e32 vcc, s18, v1
	v_cndmask_b32_e32 v1, v3, v2, vcc
; %bb.1823:
	s_andn2_saveexec_b64 s[16:17], s[16:17]
; %bb.1824:
	s_mov_b32 s18, 0x46800000
	v_add_f32_e64 v1, |v0|, s18
; %bb.1825:
	s_or_b64 exec, exec, s[16:17]
                                        ; implicit-def: $vgpr2
.LBB276_1826:
	s_andn2_saveexec_b64 s[14:15], s[14:15]
; %bb.1827:
	s_mov_b32 s16, 0x7f800000
	v_mov_b32_e32 v1, 0x7e
	v_mov_b32_e32 v3, 0x7f
	v_cmp_lt_u32_e32 vcc, s16, v2
	v_cndmask_b32_e32 v1, v1, v3, vcc
; %bb.1828:
	s_or_b64 exec, exec, s[14:15]
	v_lshrrev_b32_e32 v0, 24, v0
	s_movk_i32 s14, 0x80
	v_and_or_b32 v27, v0, s14, v1
.LBB276_1829:
	s_or_b64 exec, exec, s[12:13]
.LBB276_1830:
	s_or_b64 exec, exec, s[10:11]
                                        ; implicit-def: $vgpr11
                                        ; implicit-def: $vgpr0_vgpr1
.LBB276_1831:
	s_andn2_saveexec_b64 s[8:9], s[8:9]
	s_cbranch_execz .LBB276_1889
; %bb.1832:
	v_cmp_lt_i16_e32 vcc, 1, v11
                                        ; implicit-def: $vgpr27
	s_and_saveexec_b64 s[10:11], vcc
	s_xor_b64 s[10:11], exec, s[10:11]
	s_cbranch_execz .LBB276_1866
; %bb.1833:
	v_cmp_lt_i16_e32 vcc, 2, v11
                                        ; implicit-def: $vgpr27
	s_and_saveexec_b64 s[12:13], vcc
	s_xor_b64 s[12:13], exec, s[12:13]
	s_cbranch_execz .LBB276_1855
; %bb.1834:
	v_cmp_lt_i16_e32 vcc, 3, v11
                                        ; implicit-def: $vgpr27
	s_and_saveexec_b64 s[14:15], vcc
	s_xor_b64 s[14:15], exec, s[14:15]
	s_cbranch_execz .LBB276_1844
; %bb.1835:
	flat_load_dwordx2 v[0:1], v[0:1]
	s_mov_b32 s16, 0x43f00000
	s_waitcnt vmcnt(0) lgkmcnt(0)
	v_xor_b32_e32 v3, v0, v1
	v_ffbh_i32_e32 v2, v1
	v_ashrrev_i32_e32 v3, 31, v3
	v_add_u32_e32 v2, -1, v2
	v_add_u32_e32 v3, 32, v3
	v_min_u32_e32 v2, v2, v3
	v_lshlrev_b64 v[0:1], v2, v[0:1]
	v_min_u32_e32 v0, 1, v0
	v_or_b32_e32 v0, v1, v0
	v_cvt_f32_i32_e32 v0, v0
	v_sub_u32_e32 v1, 32, v2
	v_ldexp_f32 v0, v0, v1
	v_and_b32_e32 v2, 0x7fffffff, v0
	v_cmp_gt_u32_e32 vcc, s16, v2
                                        ; implicit-def: $vgpr1
	s_and_saveexec_b64 s[16:17], vcc
	s_xor_b64 s[16:17], exec, s[16:17]
	s_cbranch_execz .LBB276_1841
; %bb.1836:
	s_mov_b32 s18, 0x3c7fffff
	v_cmp_lt_u32_e32 vcc, s18, v2
                                        ; implicit-def: $vgpr1
	s_and_saveexec_b64 s[18:19], vcc
	s_xor_b64 s[18:19], exec, s[18:19]
; %bb.1837:
	v_bfe_u32 v1, v0, 20, 1
	s_mov_b32 s20, 0x407ffff
	v_add3_u32 v1, v0, v1, s20
	v_lshrrev_b32_e32 v2, 20, v1
	v_and_b32_e32 v1, 0xff00000, v1
	s_mov_b32 s20, 0x7f00000
	v_mov_b32_e32 v3, 0x7e
	v_cmp_ne_u32_e32 vcc, s20, v1
	v_cndmask_b32_e32 v1, v3, v2, vcc
; %bb.1838:
	s_andn2_saveexec_b64 s[18:19], s[18:19]
; %bb.1839:
	s_mov_b32 s20, 0x46800000
	v_add_f32_e64 v1, |v0|, s20
; %bb.1840:
	s_or_b64 exec, exec, s[18:19]
                                        ; implicit-def: $vgpr2
.LBB276_1841:
	s_andn2_saveexec_b64 s[16:17], s[16:17]
; %bb.1842:
	s_mov_b32 s18, 0x7f800000
	v_mov_b32_e32 v1, 0x7e
	v_mov_b32_e32 v3, 0x7f
	v_cmp_lt_u32_e32 vcc, s18, v2
	v_cndmask_b32_e32 v1, v1, v3, vcc
; %bb.1843:
	s_or_b64 exec, exec, s[16:17]
	v_lshrrev_b32_e32 v0, 24, v0
	s_movk_i32 s16, 0x80
	v_and_or_b32 v27, v0, s16, v1
                                        ; implicit-def: $vgpr0_vgpr1
.LBB276_1844:
	s_andn2_saveexec_b64 s[14:15], s[14:15]
	s_cbranch_execz .LBB276_1854
; %bb.1845:
	flat_load_dword v0, v[0:1]
	s_mov_b32 s16, 0x43f00000
                                        ; implicit-def: $vgpr1
	s_waitcnt vmcnt(0) lgkmcnt(0)
	v_cvt_f32_i32_e32 v0, v0
	v_and_b32_e32 v2, 0x7fffffff, v0
	v_cmp_gt_u32_e32 vcc, s16, v2
	s_and_saveexec_b64 s[16:17], vcc
	s_xor_b64 s[16:17], exec, s[16:17]
	s_cbranch_execz .LBB276_1851
; %bb.1846:
	s_mov_b32 s18, 0x3c7fffff
	v_cmp_lt_u32_e32 vcc, s18, v2
                                        ; implicit-def: $vgpr1
	s_and_saveexec_b64 s[18:19], vcc
	s_xor_b64 s[18:19], exec, s[18:19]
; %bb.1847:
	v_bfe_u32 v1, v0, 20, 1
	s_mov_b32 s20, 0x407ffff
	v_add3_u32 v1, v0, v1, s20
	v_lshrrev_b32_e32 v2, 20, v1
	v_and_b32_e32 v1, 0xff00000, v1
	s_mov_b32 s20, 0x7f00000
	v_mov_b32_e32 v3, 0x7e
	v_cmp_ne_u32_e32 vcc, s20, v1
	v_cndmask_b32_e32 v1, v3, v2, vcc
; %bb.1848:
	s_andn2_saveexec_b64 s[18:19], s[18:19]
; %bb.1849:
	s_mov_b32 s20, 0x46800000
	v_add_f32_e64 v1, |v0|, s20
; %bb.1850:
	s_or_b64 exec, exec, s[18:19]
                                        ; implicit-def: $vgpr2
.LBB276_1851:
	s_andn2_saveexec_b64 s[16:17], s[16:17]
; %bb.1852:
	s_mov_b32 s18, 0x7f800000
	v_mov_b32_e32 v1, 0x7e
	v_mov_b32_e32 v3, 0x7f
	v_cmp_lt_u32_e32 vcc, s18, v2
	v_cndmask_b32_e32 v1, v1, v3, vcc
; %bb.1853:
	s_or_b64 exec, exec, s[16:17]
	v_lshrrev_b32_e32 v0, 24, v0
	s_movk_i32 s16, 0x80
	v_and_or_b32 v27, v0, s16, v1
.LBB276_1854:
	s_or_b64 exec, exec, s[14:15]
                                        ; implicit-def: $vgpr0_vgpr1
.LBB276_1855:
	s_andn2_saveexec_b64 s[12:13], s[12:13]
	s_cbranch_execz .LBB276_1865
; %bb.1856:
	flat_load_sshort v0, v[0:1]
	s_mov_b32 s14, 0x43f00000
                                        ; implicit-def: $vgpr1
	s_waitcnt vmcnt(0) lgkmcnt(0)
	v_cvt_f32_i32_e32 v0, v0
	v_and_b32_e32 v2, 0x7fffffff, v0
	v_cmp_gt_u32_e32 vcc, s14, v2
	s_and_saveexec_b64 s[14:15], vcc
	s_xor_b64 s[14:15], exec, s[14:15]
	s_cbranch_execz .LBB276_1862
; %bb.1857:
	s_mov_b32 s16, 0x3c7fffff
	v_cmp_lt_u32_e32 vcc, s16, v2
                                        ; implicit-def: $vgpr1
	s_and_saveexec_b64 s[16:17], vcc
	s_xor_b64 s[16:17], exec, s[16:17]
; %bb.1858:
	v_bfe_u32 v1, v0, 20, 1
	s_mov_b32 s18, 0x407ffff
	v_add3_u32 v1, v0, v1, s18
	v_lshrrev_b32_e32 v2, 20, v1
	v_and_b32_e32 v1, 0xff00000, v1
	s_mov_b32 s18, 0x7f00000
	v_mov_b32_e32 v3, 0x7e
	v_cmp_ne_u32_e32 vcc, s18, v1
	v_cndmask_b32_e32 v1, v3, v2, vcc
; %bb.1859:
	s_andn2_saveexec_b64 s[16:17], s[16:17]
; %bb.1860:
	s_mov_b32 s18, 0x46800000
	v_add_f32_e64 v1, |v0|, s18
; %bb.1861:
	s_or_b64 exec, exec, s[16:17]
                                        ; implicit-def: $vgpr2
.LBB276_1862:
	s_andn2_saveexec_b64 s[14:15], s[14:15]
; %bb.1863:
	s_mov_b32 s16, 0x7f800000
	v_mov_b32_e32 v1, 0x7e
	v_mov_b32_e32 v3, 0x7f
	v_cmp_lt_u32_e32 vcc, s16, v2
	v_cndmask_b32_e32 v1, v1, v3, vcc
; %bb.1864:
	s_or_b64 exec, exec, s[14:15]
	v_lshrrev_b32_e32 v0, 24, v0
	s_movk_i32 s14, 0x80
	v_and_or_b32 v27, v0, s14, v1
.LBB276_1865:
	s_or_b64 exec, exec, s[12:13]
                                        ; implicit-def: $vgpr11
                                        ; implicit-def: $vgpr0_vgpr1
.LBB276_1866:
	s_andn2_saveexec_b64 s[10:11], s[10:11]
	s_cbranch_execz .LBB276_1888
; %bb.1867:
	v_cmp_lt_i16_e32 vcc, 0, v11
                                        ; implicit-def: $vgpr27
	s_and_saveexec_b64 s[12:13], vcc
	s_xor_b64 s[12:13], exec, s[12:13]
	s_cbranch_execz .LBB276_1877
; %bb.1868:
	flat_load_sbyte v0, v[0:1]
	s_mov_b32 s14, 0x43f00000
                                        ; implicit-def: $vgpr1
	s_waitcnt vmcnt(0) lgkmcnt(0)
	v_cvt_f32_i32_e32 v0, v0
	v_and_b32_e32 v2, 0x7fffffff, v0
	v_cmp_gt_u32_e32 vcc, s14, v2
	s_and_saveexec_b64 s[14:15], vcc
	s_xor_b64 s[14:15], exec, s[14:15]
	s_cbranch_execz .LBB276_1874
; %bb.1869:
	s_mov_b32 s16, 0x3c7fffff
	v_cmp_lt_u32_e32 vcc, s16, v2
                                        ; implicit-def: $vgpr1
	s_and_saveexec_b64 s[16:17], vcc
	s_xor_b64 s[16:17], exec, s[16:17]
; %bb.1870:
	v_bfe_u32 v1, v0, 20, 1
	s_mov_b32 s18, 0x407ffff
	v_add3_u32 v1, v0, v1, s18
	v_lshrrev_b32_e32 v2, 20, v1
	v_and_b32_e32 v1, 0xff00000, v1
	s_mov_b32 s18, 0x7f00000
	v_mov_b32_e32 v3, 0x7e
	v_cmp_ne_u32_e32 vcc, s18, v1
	v_cndmask_b32_e32 v1, v3, v2, vcc
; %bb.1871:
	s_andn2_saveexec_b64 s[16:17], s[16:17]
; %bb.1872:
	s_mov_b32 s18, 0x46800000
	v_add_f32_e64 v1, |v0|, s18
; %bb.1873:
	s_or_b64 exec, exec, s[16:17]
                                        ; implicit-def: $vgpr2
.LBB276_1874:
	s_andn2_saveexec_b64 s[14:15], s[14:15]
; %bb.1875:
	s_mov_b32 s16, 0x7f800000
	v_mov_b32_e32 v1, 0x7e
	v_mov_b32_e32 v3, 0x7f
	v_cmp_lt_u32_e32 vcc, s16, v2
	v_cndmask_b32_e32 v1, v1, v3, vcc
; %bb.1876:
	s_or_b64 exec, exec, s[14:15]
	v_lshrrev_b32_e32 v0, 24, v0
	s_movk_i32 s14, 0x80
	v_and_or_b32 v27, v0, s14, v1
                                        ; implicit-def: $vgpr0_vgpr1
.LBB276_1877:
	s_andn2_saveexec_b64 s[12:13], s[12:13]
	s_cbranch_execz .LBB276_1887
; %bb.1878:
	flat_load_ubyte v0, v[0:1]
	s_mov_b32 s14, 0x43f00000
                                        ; implicit-def: $vgpr27
	s_waitcnt vmcnt(0) lgkmcnt(0)
	v_cvt_f32_ubyte0_e32 v0, v0
	v_cmp_gt_u32_e32 vcc, s14, v0
	s_and_saveexec_b64 s[14:15], vcc
	s_xor_b64 s[14:15], exec, s[14:15]
	s_cbranch_execz .LBB276_1884
; %bb.1879:
	s_mov_b32 s16, 0x3c7fffff
	v_cmp_lt_u32_e32 vcc, s16, v0
                                        ; implicit-def: $vgpr27
	s_and_saveexec_b64 s[16:17], vcc
	s_xor_b64 s[16:17], exec, s[16:17]
; %bb.1880:
	v_bfe_u32 v1, v0, 20, 1
	s_mov_b32 s18, 0x407ffff
	v_add3_u32 v0, v0, v1, s18
	v_lshrrev_b32_e32 v1, 20, v0
	v_and_b32_e32 v0, 0xff00000, v0
	s_mov_b32 s18, 0x7f00000
	v_mov_b32_e32 v2, 0x7e
	v_cmp_ne_u32_e32 vcc, s18, v0
	v_cndmask_b32_e32 v27, v2, v1, vcc
                                        ; implicit-def: $vgpr0
; %bb.1881:
	s_andn2_saveexec_b64 s[16:17], s[16:17]
; %bb.1882:
	v_add_f32_e32 v27, 0x46800000, v0
; %bb.1883:
	s_or_b64 exec, exec, s[16:17]
                                        ; implicit-def: $vgpr0
.LBB276_1884:
	s_andn2_saveexec_b64 s[14:15], s[14:15]
; %bb.1885:
	s_mov_b32 s16, 0x7f800000
	v_mov_b32_e32 v1, 0x7e
	v_mov_b32_e32 v2, 0x7f
	v_cmp_lt_u32_e32 vcc, s16, v0
	v_cndmask_b32_e32 v27, v1, v2, vcc
; %bb.1886:
	s_or_b64 exec, exec, s[14:15]
.LBB276_1887:
	s_or_b64 exec, exec, s[12:13]
.LBB276_1888:
	s_or_b64 exec, exec, s[10:11]
.LBB276_1889:
	s_or_b64 exec, exec, s[8:9]
	s_or_b64 s[6:7], s[6:7], exec
.LBB276_1890:
	s_or_b64 exec, exec, s[4:5]
	s_mov_b64 s[4:5], 0
	s_mov_b64 s[8:9], 0
	;; [unrolled: 1-line block ×3, first 2 shown]
                                        ; implicit-def: $sgpr10_sgpr11
                                        ; implicit-def: $vgpr9_vgpr10
                                        ; implicit-def: $vgpr3
	s_and_saveexec_b64 s[62:63], s[6:7]
	s_cbranch_execz .LBB276_2186
; %bb.1891:
	s_mov_b64 s[4:5], src_private_base
	s_add_u32 s4, 0, 16
	s_addc_u32 s8, s5, 0
	s_getpc_b64 s[6:7]
	s_add_u32 s6, s6, _ZN2at6native6invokeINS0_13BinaryFunctorIN3c1013Float8_e4m3fnES4_bNS0_12_GLOBAL__N_116CompareEqFunctorIS4_EEEEj15function_traitsIS8_EEENT1_11result_typeERKT_PrKPcPKT0_PKNS3_10ScalarTypeEi@rel32@lo+4
	s_addc_u32 s7, s7, _ZN2at6native6invokeINS0_13BinaryFunctorIN3c1013Float8_e4m3fnES4_bNS0_12_GLOBAL__N_116CompareEqFunctorIS4_EEEEj15function_traitsIS8_EEENT1_11result_typeERKT_PrKPcPKT0_PKNS3_10ScalarTypeEi@rel32@hi+12
	v_mov_b32_e32 v0, v15
	v_mov_b32_e32 v1, s27
	;; [unrolled: 1-line block ×7, first 2 shown]
	s_swappc_b64 s[30:31], s[6:7]
	buffer_load_ubyte v2, off, s[0:3], 0 offset:444
	v_lshlrev_b32_e32 v3, 24, v21
	v_lshlrev_b32_e32 v4, 24, v23
	v_and_b32_e32 v5, 0x7f000000, v3
	v_and_b32_e32 v6, 0x7f000000, v4
	v_ffbh_u32_e32 v7, v5
	v_ffbh_u32_e32 v9, v6
	v_min_u32_e32 v7, 32, v7
	v_min_u32_e32 v9, 32, v9
	v_sub_u32_e64 v7, v7, 4 clamp
	v_sub_u32_e64 v9, v9, 4 clamp
	v_lshlrev_b32_e32 v11, v7, v5
	v_and_b32_e32 v0, 1, v0
	v_lshlrev_b32_e32 v7, 23, v7
	v_lshlrev_b32_e32 v12, v9, v6
	v_lshrrev_b32_e32 v11, 4, v11
	v_cmp_eq_u32_e64 s[10:11], 1, v0
	v_add_co_u32_e32 v0, vcc, v17, v22
	v_add_u32_e32 v8, 0x1000000, v5
	v_lshlrev_b32_e32 v9, 23, v9
	v_lshrrev_b32_e32 v12, 4, v12
	v_sub_u32_e32 v7, v11, v7
	s_mov_b32 s4, 0x7f800000
	v_addc_co_u32_e32 v1, vcc, 0, v19, vcc
	v_add_u32_e32 v10, 0x1000000, v6
	v_ashrrev_i32_e32 v8, 8, v8
	v_sub_u32_e32 v9, v12, v9
	v_add_u32_e32 v7, 0x3c000000, v7
	v_ashrrev_i32_e32 v10, 8, v10
	v_add_u32_e32 v9, 0x3c000000, v9
	v_and_or_b32 v7, v8, s4, v7
	v_cmp_ne_u32_e32 vcc, 0, v5
	v_and_or_b32 v8, v10, s4, v9
	v_cndmask_b32_e32 v5, 0, v7, vcc
	v_cmp_ne_u32_e32 vcc, 0, v6
	s_brev_b32 s5, 1
	v_cndmask_b32_e32 v6, 0, v8, vcc
	v_and_or_b32 v3, v3, s5, v5
	v_and_or_b32 v4, v4, s5, v6
	v_cmp_eq_f32_e32 vcc, v3, v4
	v_cndmask_b32_e64 v5, 0, 1, vcc
	v_cmp_neq_f32_e32 vcc, v3, v4
	v_cndmask_b32_e64 v3, 0, 1, vcc
	v_cmp_eq_u32_e32 vcc, 0, v15
	v_cndmask_b32_e32 v3, v3, v5, vcc
	v_and_b32_e32 v3, 1, v3
	s_mov_b64 s[8:9], 0
	v_cmp_eq_u32_e64 s[4:5], 1, v3
	s_mov_b64 s[12:13], s[60:61]
	s_waitcnt vmcnt(0)
	v_cmp_lt_i16_e64 s[6:7], 10, v2
	s_and_saveexec_b64 s[14:15], s[6:7]
	s_xor_b64 s[14:15], exec, s[14:15]
	s_cbranch_execz .LBB276_1932
; %bb.1892:
	v_cmp_lt_i16_e64 s[6:7], 25, v2
	s_mov_b64 s[16:17], 0
	s_mov_b64 s[12:13], 0
	s_and_saveexec_b64 s[18:19], s[6:7]
	s_xor_b64 s[18:19], exec, s[18:19]
	s_cbranch_execz .LBB276_2645
; %bb.1893:
	v_cmp_lt_i16_e64 s[6:7], 28, v2
	s_mov_b64 s[20:21], 0
	s_and_saveexec_b64 s[12:13], s[6:7]
	s_xor_b64 s[12:13], exec, s[12:13]
	s_cbranch_execz .LBB276_1911
; %bb.1894:
	v_cmp_lt_i16_e64 s[6:7], 43, v2
	;; [unrolled: 6-line block ×3, first 2 shown]
	s_mov_b64 s[24:25], 0
	s_and_saveexec_b64 s[8:9], s[6:7]
	s_xor_b64 s[8:9], exec, s[8:9]
	s_cbranch_execz .LBB276_1899
; %bb.1896:
	v_cmp_eq_u16_e64 s[6:7], 46, v2
	s_mov_b64 s[26:27], -1
	s_and_saveexec_b64 s[24:25], s[6:7]
	s_cbranch_execz .LBB276_1898
; %bb.1897:
	v_cndmask_b32_e64 v2, 0, 1.0, s[4:5]
	v_bfe_u32 v3, v2, 16, 1
	s_movk_i32 s6, 0x7fff
	v_add3_u32 v2, v2, v3, s6
	v_lshrrev_b32_e32 v2, 16, v2
	s_mov_b64 s[22:23], exec
	flat_store_dword v[0:1], v2
	s_xor_b64 s[26:27], exec, -1
.LBB276_1898:
	s_or_b64 exec, exec, s[24:25]
	s_and_b64 s[24:25], s[22:23], exec
	s_and_b64 s[22:23], s[26:27], exec
                                        ; implicit-def: $vgpr2
.LBB276_1899:
	s_andn2_saveexec_b64 s[26:27], s[8:9]
	s_cbranch_execz .LBB276_1905
; %bb.1900:
	v_cmp_eq_u16_e64 s[6:7], 44, v2
	s_mov_b64 s[8:9], -1
	s_mov_b64 s[30:31], s[24:25]
	s_and_saveexec_b64 s[28:29], s[6:7]
	s_cbranch_execz .LBB276_1904
; %bb.1901:
	v_cndmask_b32_e64 v3, 0, 1.0, s[4:5]
	v_lshrrev_b32_e32 v2, 23, v3
	s_movk_i32 s6, 0xff
	v_cmp_ne_u32_e64 s[6:7], s6, v2
	v_mov_b32_e32 v4, 0xff
	s_and_saveexec_b64 s[30:31], s[6:7]
; %bb.1902:
	s_mov_b32 s8, 0x3fffff
	v_and_b32_e32 v4, 0x400000, v3
	v_and_or_b32 v3, v3, s8, v2
	v_cmp_ne_u32_e64 s[6:7], 0, v4
	v_cmp_ne_u32_e64 s[8:9], 0, v3
	s_and_b64 s[6:7], s[6:7], s[8:9]
	v_cndmask_b32_e64 v3, 0, 1, s[6:7]
	v_add_u32_e32 v4, v2, v3
; %bb.1903:
	s_or_b64 exec, exec, s[30:31]
	s_or_b64 s[30:31], s[24:25], exec
	s_xor_b64 s[8:9], exec, -1
	flat_store_byte v[0:1], v4
.LBB276_1904:
	s_or_b64 exec, exec, s[28:29]
	s_andn2_b64 s[6:7], s[24:25], exec
	s_and_b64 s[24:25], s[30:31], exec
	s_or_b64 s[24:25], s[6:7], s[24:25]
	s_andn2_b64 s[6:7], s[22:23], exec
	s_and_b64 s[8:9], s[8:9], exec
	s_or_b64 s[22:23], s[6:7], s[8:9]
.LBB276_1905:
	s_or_b64 exec, exec, s[26:27]
	s_and_b64 s[8:9], s[24:25], exec
	s_and_b64 s[22:23], s[22:23], exec
                                        ; implicit-def: $vgpr2
.LBB276_1906:
	s_andn2_saveexec_b64 s[20:21], s[20:21]
	s_cbranch_execz .LBB276_1910
; %bb.1907:
	v_cmp_eq_u16_e64 s[6:7], 29, v2
	s_mov_b64 s[24:25], -1
	s_mov_b64 s[28:29], s[8:9]
	s_and_saveexec_b64 s[26:27], s[6:7]
	s_cbranch_execz .LBB276_1909
; %bb.1908:
	s_mov_b32 s6, 0
	v_cndmask_b32_e64 v2, 0, 1, s[4:5]
	v_mov_b32_e32 v3, s6
	flat_store_dwordx2 v[0:1], v[2:3]
	s_or_b64 s[28:29], s[8:9], exec
	s_xor_b64 s[24:25], exec, -1
.LBB276_1909:
	s_or_b64 exec, exec, s[26:27]
	s_andn2_b64 s[6:7], s[8:9], exec
	s_and_b64 s[8:9], s[28:29], exec
	s_or_b64 s[8:9], s[6:7], s[8:9]
	s_andn2_b64 s[6:7], s[22:23], exec
	s_and_b64 s[22:23], s[24:25], exec
	s_or_b64 s[22:23], s[6:7], s[22:23]
.LBB276_1910:
	s_or_b64 exec, exec, s[20:21]
	s_and_b64 s[8:9], s[8:9], exec
	s_and_b64 s[20:21], s[22:23], exec
                                        ; implicit-def: $vgpr2
.LBB276_1911:
	s_andn2_saveexec_b64 s[12:13], s[12:13]
	s_cbranch_execz .LBB276_1927
; %bb.1912:
	v_cmp_lt_i16_e64 s[6:7], 26, v2
	s_and_saveexec_b64 s[22:23], s[6:7]
	s_xor_b64 s[22:23], exec, s[22:23]
	s_cbranch_execz .LBB276_1918
; %bb.1913:
	v_cmp_lt_i16_e64 s[6:7], 27, v2
	s_and_saveexec_b64 s[24:25], s[6:7]
	s_xor_b64 s[6:7], exec, s[24:25]
	s_cbranch_execz .LBB276_1915
; %bb.1914:
	v_cndmask_b32_e64 v2, 0, 1, s[4:5]
	flat_store_dword v[0:1], v2
.LBB276_1915:
	s_andn2_saveexec_b64 s[6:7], s[6:7]
	s_cbranch_execz .LBB276_1917
; %bb.1916:
	v_cndmask_b32_e64 v2, 0, 1, s[4:5]
	flat_store_short v[0:1], v2
.LBB276_1917:
	s_or_b64 exec, exec, s[6:7]
.LBB276_1918:
	s_andn2_saveexec_b64 s[22:23], s[22:23]
	s_cbranch_execz .LBB276_1926
; %bb.1919:
	v_cndmask_b32_e64 v3, 0, 1.0, s[4:5]
	s_mov_b32 s6, 0x43800000
	v_cmp_gt_u32_e64 s[6:7], s6, v3
	v_mov_b32_e32 v4, 0x80
	s_and_saveexec_b64 s[24:25], s[6:7]
	s_cbranch_execz .LBB276_1925
; %bb.1920:
	s_mov_b32 s6, 0x3bffffff
	v_cmp_lt_u32_e64 s[6:7], s6, v3
	s_mov_b64 s[26:27], 0
                                        ; implicit-def: $vgpr2
	s_and_saveexec_b64 s[28:29], s[6:7]
	s_xor_b64 s[6:7], exec, s[28:29]
	s_cbranch_execz .LBB276_2839
; %bb.1921:
	v_bfe_u32 v2, v3, 20, 1
	s_mov_b32 s28, 0x487ffff
	v_add3_u32 v2, v3, v2, s28
	s_mov_b64 s[26:27], exec
	v_lshrrev_b32_e32 v2, 20, v2
                                        ; implicit-def: $vgpr3
	s_andn2_saveexec_b64 s[28:29], s[6:7]
	s_cbranch_execnz .LBB276_2840
.LBB276_1922:
	s_or_b64 exec, exec, s[28:29]
	v_mov_b32_e32 v4, 0
	s_and_saveexec_b64 s[6:7], s[26:27]
.LBB276_1923:
	v_mov_b32_e32 v4, v2
.LBB276_1924:
	s_or_b64 exec, exec, s[6:7]
.LBB276_1925:
	s_or_b64 exec, exec, s[24:25]
	flat_store_byte v[0:1], v4
.LBB276_1926:
	s_or_b64 exec, exec, s[22:23]
	s_or_b64 s[8:9], s[8:9], exec
.LBB276_1927:
	s_or_b64 exec, exec, s[12:13]
	s_and_b64 s[8:9], s[8:9], exec
	s_and_b64 s[12:13], s[20:21], exec
                                        ; implicit-def: $vgpr2
	s_andn2_saveexec_b64 s[18:19], s[18:19]
	s_cbranch_execnz .LBB276_2646
.LBB276_1928:
	s_or_b64 exec, exec, s[18:19]
	s_mov_b64 s[6:7], s[60:61]
	s_and_saveexec_b64 s[18:19], s[12:13]
	s_cbranch_execnz .LBB276_2687
.LBB276_1929:
	s_or_b64 exec, exec, s[18:19]
	s_and_saveexec_b64 s[12:13], s[16:17]
	s_xor_b64 s[12:13], exec, s[12:13]
	s_cbranch_execz .LBB276_1931
.LBB276_1930:
	v_cndmask_b32_e64 v2, 0, 1, s[4:5]
	flat_store_byte v[0:1], v2
	s_or_b64 s[8:9], s[8:9], exec
.LBB276_1931:
	s_or_b64 exec, exec, s[12:13]
	s_andn2_b64 s[12:13], s[60:61], exec
	s_and_b64 s[6:7], s[6:7], exec
	s_or_b64 s[12:13], s[12:13], s[6:7]
	s_and_b64 s[8:9], s[8:9], exec
                                        ; implicit-def: $vgpr2
                                        ; implicit-def: $vgpr0_vgpr1
.LBB276_1932:
	s_andn2_saveexec_b64 s[14:15], s[14:15]
	s_cbranch_execz .LBB276_1974
; %bb.1933:
	v_cmp_lt_i16_e64 s[6:7], 4, v2
	s_and_saveexec_b64 s[16:17], s[6:7]
	s_xor_b64 s[16:17], exec, s[16:17]
	s_cbranch_execz .LBB276_1955
; %bb.1934:
	v_cmp_lt_i16_e64 s[6:7], 7, v2
	s_and_saveexec_b64 s[18:19], s[6:7]
	s_xor_b64 s[18:19], exec, s[18:19]
	;; [unrolled: 5-line block ×4, first 2 shown]
	s_cbranch_execz .LBB276_1938
; %bb.1937:
	v_cndmask_b32_e64 v2, 0, 1, s[4:5]
	v_cvt_f64_u32_e32 v[2:3], v2
	v_mov_b32_e32 v4, 0
	v_mov_b32_e32 v5, v4
	flat_store_dwordx4 v[0:1], v[2:5]
                                        ; implicit-def: $vgpr0_vgpr1
.LBB276_1938:
	s_andn2_saveexec_b64 s[6:7], s[6:7]
	s_cbranch_execz .LBB276_1940
; %bb.1939:
	v_cndmask_b32_e64 v2, 0, 1.0, s[4:5]
	v_mov_b32_e32 v3, 0
	flat_store_dwordx2 v[0:1], v[2:3]
.LBB276_1940:
	s_or_b64 exec, exec, s[6:7]
                                        ; implicit-def: $vgpr0_vgpr1
.LBB276_1941:
	s_andn2_saveexec_b64 s[6:7], s[20:21]
	s_cbranch_execz .LBB276_1943
; %bb.1942:
	v_cndmask_b32_e64 v2, 0, 1.0, s[4:5]
	v_cvt_f16_f32_e32 v2, v2
	flat_store_dword v[0:1], v2
.LBB276_1943:
	s_or_b64 exec, exec, s[6:7]
                                        ; implicit-def: $vgpr0_vgpr1
                                        ; implicit-def: $vgpr2
.LBB276_1944:
	s_andn2_saveexec_b64 s[18:19], s[18:19]
	s_cbranch_execz .LBB276_1954
; %bb.1945:
	v_cmp_lt_i16_e64 s[6:7], 5, v2
	s_and_saveexec_b64 s[20:21], s[6:7]
	s_xor_b64 s[20:21], exec, s[20:21]
	s_cbranch_execz .LBB276_1951
; %bb.1946:
	v_cmp_lt_i16_e64 s[6:7], 6, v2
	s_and_saveexec_b64 s[22:23], s[6:7]
	s_xor_b64 s[6:7], exec, s[22:23]
	s_cbranch_execz .LBB276_1948
; %bb.1947:
	v_cndmask_b32_e64 v2, 0, 1, s[4:5]
	v_cvt_f64_u32_e32 v[2:3], v2
	flat_store_dwordx2 v[0:1], v[2:3]
                                        ; implicit-def: $vgpr0_vgpr1
.LBB276_1948:
	s_andn2_saveexec_b64 s[6:7], s[6:7]
	s_cbranch_execz .LBB276_1950
; %bb.1949:
	v_cndmask_b32_e64 v2, 0, 1.0, s[4:5]
	flat_store_dword v[0:1], v2
.LBB276_1950:
	s_or_b64 exec, exec, s[6:7]
                                        ; implicit-def: $vgpr0_vgpr1
.LBB276_1951:
	s_andn2_saveexec_b64 s[6:7], s[20:21]
	s_cbranch_execz .LBB276_1953
; %bb.1952:
	v_cndmask_b32_e64 v2, 0, 1.0, s[4:5]
	v_cvt_f16_f32_e32 v2, v2
	flat_store_short v[0:1], v2
.LBB276_1953:
	s_or_b64 exec, exec, s[6:7]
.LBB276_1954:
	s_or_b64 exec, exec, s[18:19]
                                        ; implicit-def: $vgpr2
                                        ; implicit-def: $vgpr0_vgpr1
.LBB276_1955:
	s_andn2_saveexec_b64 s[16:17], s[16:17]
	s_cbranch_execz .LBB276_1973
; %bb.1956:
	v_cmp_lt_i16_e64 s[6:7], 1, v2
	s_and_saveexec_b64 s[18:19], s[6:7]
	s_xor_b64 s[18:19], exec, s[18:19]
	s_cbranch_execz .LBB276_1966
; %bb.1957:
	v_cmp_lt_i16_e64 s[6:7], 2, v2
	s_and_saveexec_b64 s[20:21], s[6:7]
	s_xor_b64 s[20:21], exec, s[20:21]
	s_cbranch_execz .LBB276_1963
; %bb.1958:
	v_cmp_lt_i16_e64 s[6:7], 3, v2
	s_and_saveexec_b64 s[22:23], s[6:7]
	s_xor_b64 s[6:7], exec, s[22:23]
	s_cbranch_execz .LBB276_1960
; %bb.1959:
	s_mov_b32 s22, 0
	v_cndmask_b32_e64 v2, 0, 1, s[4:5]
	v_mov_b32_e32 v3, s22
	flat_store_dwordx2 v[0:1], v[2:3]
                                        ; implicit-def: $vgpr0_vgpr1
.LBB276_1960:
	s_andn2_saveexec_b64 s[6:7], s[6:7]
	s_cbranch_execz .LBB276_1962
; %bb.1961:
	v_cndmask_b32_e64 v2, 0, 1, s[4:5]
	flat_store_dword v[0:1], v2
.LBB276_1962:
	s_or_b64 exec, exec, s[6:7]
                                        ; implicit-def: $vgpr0_vgpr1
.LBB276_1963:
	s_andn2_saveexec_b64 s[6:7], s[20:21]
	s_cbranch_execz .LBB276_1965
; %bb.1964:
	v_cndmask_b32_e64 v2, 0, 1, s[4:5]
	flat_store_short v[0:1], v2
.LBB276_1965:
	s_or_b64 exec, exec, s[6:7]
                                        ; implicit-def: $vgpr0_vgpr1
                                        ; implicit-def: $vgpr2
.LBB276_1966:
	s_andn2_saveexec_b64 s[18:19], s[18:19]
	s_cbranch_execz .LBB276_1972
; %bb.1967:
	v_cmp_lt_i16_e64 s[6:7], 0, v2
	v_cndmask_b32_e64 v2, 0, 1, s[4:5]
	s_and_saveexec_b64 s[4:5], s[6:7]
	s_xor_b64 s[4:5], exec, s[4:5]
	s_cbranch_execz .LBB276_1969
; %bb.1968:
	flat_store_byte v[0:1], v2
                                        ; implicit-def: $vgpr0_vgpr1
                                        ; implicit-def: $vgpr2
.LBB276_1969:
	s_andn2_saveexec_b64 s[4:5], s[4:5]
	s_cbranch_execz .LBB276_1971
; %bb.1970:
	flat_store_byte v[0:1], v2
.LBB276_1971:
	s_or_b64 exec, exec, s[4:5]
.LBB276_1972:
	s_or_b64 exec, exec, s[18:19]
.LBB276_1973:
	s_or_b64 exec, exec, s[16:17]
	s_or_b64 s[8:9], s[8:9], exec
.LBB276_1974:
	s_or_b64 exec, exec, s[14:15]
	s_mov_b64 s[4:5], 0
	s_mov_b64 s[6:7], 0
	;; [unrolled: 1-line block ×3, first 2 shown]
                                        ; implicit-def: $vgpr9_vgpr10
                                        ; implicit-def: $vgpr3
	s_and_saveexec_b64 s[14:15], s[8:9]
	s_cbranch_execz .LBB276_2185
; %bb.1975:
	buffer_load_ubyte v2, off, s[0:3], 0 offset:444
	v_lshlrev_b32_e32 v3, 24, v25
	v_lshlrev_b32_e32 v4, 24, v26
	v_and_b32_e32 v5, 0x7f000000, v3
	v_and_b32_e32 v6, 0x7f000000, v4
	v_ffbh_u32_e32 v7, v5
	v_ffbh_u32_e32 v9, v6
	v_min_u32_e32 v7, 32, v7
	v_min_u32_e32 v9, 32, v9
	v_sub_u32_e64 v7, v7, 4 clamp
	v_sub_u32_e64 v9, v9, 4 clamp
	v_lshlrev_b32_e32 v11, v7, v5
	v_lshlrev_b32_e32 v7, 23, v7
	;; [unrolled: 1-line block ×3, first 2 shown]
	v_lshrrev_b32_e32 v11, 4, v11
	v_add_co_u32_e64 v0, s[4:5], v17, v20
	v_add_u32_e32 v8, 0x1000000, v5
	v_lshlrev_b32_e32 v9, 23, v9
	v_lshrrev_b32_e32 v12, 4, v12
	v_sub_u32_e32 v7, v11, v7
	s_mov_b32 s6, 0x7f800000
	v_addc_co_u32_e64 v1, s[4:5], 0, v19, s[4:5]
	v_add_u32_e32 v10, 0x1000000, v6
	v_ashrrev_i32_e32 v8, 8, v8
	v_sub_u32_e32 v9, v12, v9
	v_add_u32_e32 v7, 0x3c000000, v7
	v_ashrrev_i32_e32 v10, 8, v10
	v_add_u32_e32 v9, 0x3c000000, v9
	v_and_or_b32 v7, v8, s6, v7
	v_cmp_ne_u32_e64 s[4:5], 0, v5
	v_and_or_b32 v8, v10, s6, v9
	v_cndmask_b32_e64 v5, 0, v7, s[4:5]
	v_cmp_ne_u32_e64 s[4:5], 0, v6
	s_brev_b32 s7, 1
	v_cndmask_b32_e64 v6, 0, v8, s[4:5]
	v_and_or_b32 v3, v3, s7, v5
	v_and_or_b32 v4, v4, s7, v6
	v_cmp_eq_f32_e64 s[4:5], v3, v4
	v_cndmask_b32_e64 v5, 0, 1, s[4:5]
	v_cmp_neq_f32_e64 s[4:5], v3, v4
	v_cndmask_b32_e64 v3, 0, 1, s[4:5]
	v_cndmask_b32_e32 v3, v3, v5, vcc
	v_and_b32_e32 v3, 1, v3
	s_mov_b64 s[18:19], 0
	v_cmp_eq_u32_e64 s[4:5], 1, v3
	s_mov_b64 s[8:9], s[12:13]
	s_waitcnt vmcnt(0)
	v_cmp_lt_i16_e64 s[6:7], 10, v2
	s_and_saveexec_b64 s[16:17], s[6:7]
	s_xor_b64 s[16:17], exec, s[16:17]
	s_cbranch_execz .LBB276_2016
; %bb.1976:
	v_cmp_lt_i16_e64 s[6:7], 25, v2
	s_mov_b64 s[20:21], 0
	s_mov_b64 s[8:9], 0
	s_and_saveexec_b64 s[22:23], s[6:7]
	s_xor_b64 s[22:23], exec, s[22:23]
	s_cbranch_execz .LBB276_2696
; %bb.1977:
	v_cmp_lt_i16_e64 s[6:7], 28, v2
	s_mov_b64 s[24:25], 0
	s_and_saveexec_b64 s[18:19], s[6:7]
	s_xor_b64 s[18:19], exec, s[18:19]
	s_cbranch_execz .LBB276_1995
; %bb.1978:
	v_cmp_lt_i16_e64 s[6:7], 43, v2
	;; [unrolled: 6-line block ×3, first 2 shown]
	s_mov_b64 s[26:27], 0
	s_and_saveexec_b64 s[8:9], s[6:7]
	s_xor_b64 s[8:9], exec, s[8:9]
	s_cbranch_execz .LBB276_1983
; %bb.1980:
	v_cmp_eq_u16_e64 s[6:7], 46, v2
	s_mov_b64 s[30:31], -1
	s_and_saveexec_b64 s[28:29], s[6:7]
	s_cbranch_execz .LBB276_1982
; %bb.1981:
	v_cndmask_b32_e64 v2, 0, 1.0, s[4:5]
	v_bfe_u32 v3, v2, 16, 1
	s_movk_i32 s6, 0x7fff
	v_add3_u32 v2, v2, v3, s6
	v_lshrrev_b32_e32 v2, 16, v2
	s_mov_b64 s[26:27], exec
	flat_store_dword v[0:1], v2
	s_xor_b64 s[30:31], exec, -1
.LBB276_1982:
	s_or_b64 exec, exec, s[28:29]
	s_and_b64 s[28:29], s[26:27], exec
	s_and_b64 s[26:27], s[30:31], exec
                                        ; implicit-def: $vgpr2
.LBB276_1983:
	s_andn2_saveexec_b64 s[30:31], s[8:9]
	s_cbranch_execz .LBB276_1989
; %bb.1984:
	v_cmp_eq_u16_e64 s[6:7], 44, v2
	s_mov_b64 s[8:9], -1
	s_mov_b64 s[64:65], s[28:29]
	s_and_saveexec_b64 s[40:41], s[6:7]
	s_cbranch_execz .LBB276_1988
; %bb.1985:
	v_cndmask_b32_e64 v3, 0, 1.0, s[4:5]
	v_lshrrev_b32_e32 v2, 23, v3
	s_movk_i32 s6, 0xff
	v_cmp_ne_u32_e64 s[6:7], s6, v2
	v_mov_b32_e32 v4, 0xff
	s_and_saveexec_b64 s[64:65], s[6:7]
; %bb.1986:
	s_mov_b32 s8, 0x3fffff
	v_and_b32_e32 v4, 0x400000, v3
	v_and_or_b32 v3, v3, s8, v2
	v_cmp_ne_u32_e64 s[6:7], 0, v4
	v_cmp_ne_u32_e64 s[8:9], 0, v3
	s_and_b64 s[6:7], s[6:7], s[8:9]
	v_cndmask_b32_e64 v3, 0, 1, s[6:7]
	v_add_u32_e32 v4, v2, v3
; %bb.1987:
	s_or_b64 exec, exec, s[64:65]
	s_or_b64 s[64:65], s[28:29], exec
	s_xor_b64 s[8:9], exec, -1
	flat_store_byte v[0:1], v4
.LBB276_1988:
	s_or_b64 exec, exec, s[40:41]
	s_andn2_b64 s[6:7], s[28:29], exec
	s_and_b64 s[28:29], s[64:65], exec
	s_or_b64 s[28:29], s[6:7], s[28:29]
	s_andn2_b64 s[6:7], s[26:27], exec
	s_and_b64 s[8:9], s[8:9], exec
	s_or_b64 s[26:27], s[6:7], s[8:9]
.LBB276_1989:
	s_or_b64 exec, exec, s[30:31]
	s_and_b64 s[28:29], s[28:29], exec
	s_and_b64 s[8:9], s[26:27], exec
                                        ; implicit-def: $vgpr2
.LBB276_1990:
	s_andn2_saveexec_b64 s[24:25], s[24:25]
	s_cbranch_execz .LBB276_1994
; %bb.1991:
	v_cmp_eq_u16_e64 s[6:7], 29, v2
	s_mov_b64 s[26:27], -1
	s_mov_b64 s[40:41], s[28:29]
	s_and_saveexec_b64 s[30:31], s[6:7]
	s_cbranch_execz .LBB276_1993
; %bb.1992:
	s_mov_b32 s6, 0
	v_cndmask_b32_e64 v2, 0, 1, s[4:5]
	v_mov_b32_e32 v3, s6
	flat_store_dwordx2 v[0:1], v[2:3]
	s_or_b64 s[40:41], s[28:29], exec
	s_xor_b64 s[26:27], exec, -1
.LBB276_1993:
	s_or_b64 exec, exec, s[30:31]
	s_andn2_b64 s[6:7], s[28:29], exec
	s_and_b64 s[28:29], s[40:41], exec
	s_or_b64 s[28:29], s[6:7], s[28:29]
	s_andn2_b64 s[6:7], s[8:9], exec
	s_and_b64 s[8:9], s[26:27], exec
	s_or_b64 s[8:9], s[6:7], s[8:9]
.LBB276_1994:
	s_or_b64 exec, exec, s[24:25]
	s_and_b64 s[24:25], s[28:29], exec
	s_and_b64 s[8:9], s[8:9], exec
                                        ; implicit-def: $vgpr2
.LBB276_1995:
	s_andn2_saveexec_b64 s[18:19], s[18:19]
	s_cbranch_execz .LBB276_2011
; %bb.1996:
	v_cmp_lt_i16_e64 s[6:7], 26, v2
	s_and_saveexec_b64 s[26:27], s[6:7]
	s_xor_b64 s[26:27], exec, s[26:27]
	s_cbranch_execz .LBB276_2002
; %bb.1997:
	v_cmp_lt_i16_e64 s[6:7], 27, v2
	s_and_saveexec_b64 s[28:29], s[6:7]
	s_xor_b64 s[6:7], exec, s[28:29]
	s_cbranch_execz .LBB276_1999
; %bb.1998:
	v_cndmask_b32_e64 v2, 0, 1, s[4:5]
	flat_store_dword v[0:1], v2
.LBB276_1999:
	s_andn2_saveexec_b64 s[6:7], s[6:7]
	s_cbranch_execz .LBB276_2001
; %bb.2000:
	v_cndmask_b32_e64 v2, 0, 1, s[4:5]
	flat_store_short v[0:1], v2
.LBB276_2001:
	s_or_b64 exec, exec, s[6:7]
.LBB276_2002:
	s_andn2_saveexec_b64 s[26:27], s[26:27]
	s_cbranch_execz .LBB276_2010
; %bb.2003:
	v_cndmask_b32_e64 v3, 0, 1.0, s[4:5]
	s_mov_b32 s6, 0x43800000
	v_cmp_gt_u32_e64 s[6:7], s6, v3
	v_mov_b32_e32 v4, 0x80
	s_and_saveexec_b64 s[28:29], s[6:7]
	s_cbranch_execz .LBB276_2009
; %bb.2004:
	s_mov_b32 s6, 0x3bffffff
	v_cmp_lt_u32_e64 s[6:7], s6, v3
	s_mov_b64 s[30:31], 0
                                        ; implicit-def: $vgpr2
	s_and_saveexec_b64 s[40:41], s[6:7]
	s_xor_b64 s[6:7], exec, s[40:41]
	s_cbranch_execz .LBB276_2841
; %bb.2005:
	v_bfe_u32 v2, v3, 20, 1
	s_mov_b32 s33, 0x487ffff
	v_add3_u32 v2, v3, v2, s33
	s_mov_b64 s[30:31], exec
	v_lshrrev_b32_e32 v2, 20, v2
                                        ; implicit-def: $vgpr3
	s_andn2_saveexec_b64 s[40:41], s[6:7]
	s_cbranch_execnz .LBB276_2842
.LBB276_2006:
	s_or_b64 exec, exec, s[40:41]
	v_mov_b32_e32 v4, 0
	s_and_saveexec_b64 s[6:7], s[30:31]
.LBB276_2007:
	v_mov_b32_e32 v4, v2
.LBB276_2008:
	s_or_b64 exec, exec, s[6:7]
.LBB276_2009:
	s_or_b64 exec, exec, s[28:29]
	flat_store_byte v[0:1], v4
.LBB276_2010:
	s_or_b64 exec, exec, s[26:27]
	s_or_b64 s[24:25], s[24:25], exec
.LBB276_2011:
	s_or_b64 exec, exec, s[18:19]
	s_and_b64 s[18:19], s[24:25], exec
	s_and_b64 s[8:9], s[8:9], exec
                                        ; implicit-def: $vgpr2
	s_andn2_saveexec_b64 s[22:23], s[22:23]
	s_cbranch_execnz .LBB276_2697
.LBB276_2012:
	s_or_b64 exec, exec, s[22:23]
	s_mov_b64 s[6:7], s[12:13]
	s_and_saveexec_b64 s[22:23], s[8:9]
	s_cbranch_execnz .LBB276_2738
.LBB276_2013:
	s_or_b64 exec, exec, s[22:23]
	s_and_saveexec_b64 s[8:9], s[20:21]
	s_xor_b64 s[8:9], exec, s[8:9]
	s_cbranch_execz .LBB276_2015
.LBB276_2014:
	v_cndmask_b32_e64 v2, 0, 1, s[4:5]
	flat_store_byte v[0:1], v2
	s_or_b64 s[18:19], s[18:19], exec
.LBB276_2015:
	s_or_b64 exec, exec, s[8:9]
	s_andn2_b64 s[8:9], s[12:13], exec
	s_and_b64 s[6:7], s[6:7], exec
	s_or_b64 s[8:9], s[8:9], s[6:7]
	s_and_b64 s[18:19], s[18:19], exec
                                        ; implicit-def: $vgpr2
                                        ; implicit-def: $vgpr0_vgpr1
.LBB276_2016:
	s_andn2_saveexec_b64 s[16:17], s[16:17]
	s_cbranch_execz .LBB276_2058
; %bb.2017:
	v_cmp_lt_i16_e64 s[6:7], 4, v2
	s_and_saveexec_b64 s[20:21], s[6:7]
	s_xor_b64 s[20:21], exec, s[20:21]
	s_cbranch_execz .LBB276_2039
; %bb.2018:
	v_cmp_lt_i16_e64 s[6:7], 7, v2
	s_and_saveexec_b64 s[22:23], s[6:7]
	s_xor_b64 s[22:23], exec, s[22:23]
	;; [unrolled: 5-line block ×4, first 2 shown]
	s_cbranch_execz .LBB276_2022
; %bb.2021:
	v_cndmask_b32_e64 v2, 0, 1, s[4:5]
	v_cvt_f64_u32_e32 v[2:3], v2
	v_mov_b32_e32 v4, 0
	v_mov_b32_e32 v5, v4
	flat_store_dwordx4 v[0:1], v[2:5]
                                        ; implicit-def: $vgpr0_vgpr1
.LBB276_2022:
	s_andn2_saveexec_b64 s[6:7], s[6:7]
	s_cbranch_execz .LBB276_2024
; %bb.2023:
	v_cndmask_b32_e64 v2, 0, 1.0, s[4:5]
	v_mov_b32_e32 v3, 0
	flat_store_dwordx2 v[0:1], v[2:3]
.LBB276_2024:
	s_or_b64 exec, exec, s[6:7]
                                        ; implicit-def: $vgpr0_vgpr1
.LBB276_2025:
	s_andn2_saveexec_b64 s[6:7], s[24:25]
	s_cbranch_execz .LBB276_2027
; %bb.2026:
	v_cndmask_b32_e64 v2, 0, 1.0, s[4:5]
	v_cvt_f16_f32_e32 v2, v2
	flat_store_dword v[0:1], v2
.LBB276_2027:
	s_or_b64 exec, exec, s[6:7]
                                        ; implicit-def: $vgpr0_vgpr1
                                        ; implicit-def: $vgpr2
.LBB276_2028:
	s_andn2_saveexec_b64 s[22:23], s[22:23]
	s_cbranch_execz .LBB276_2038
; %bb.2029:
	v_cmp_lt_i16_e64 s[6:7], 5, v2
	s_and_saveexec_b64 s[24:25], s[6:7]
	s_xor_b64 s[24:25], exec, s[24:25]
	s_cbranch_execz .LBB276_2035
; %bb.2030:
	v_cmp_lt_i16_e64 s[6:7], 6, v2
	s_and_saveexec_b64 s[26:27], s[6:7]
	s_xor_b64 s[6:7], exec, s[26:27]
	s_cbranch_execz .LBB276_2032
; %bb.2031:
	v_cndmask_b32_e64 v2, 0, 1, s[4:5]
	v_cvt_f64_u32_e32 v[2:3], v2
	flat_store_dwordx2 v[0:1], v[2:3]
                                        ; implicit-def: $vgpr0_vgpr1
.LBB276_2032:
	s_andn2_saveexec_b64 s[6:7], s[6:7]
	s_cbranch_execz .LBB276_2034
; %bb.2033:
	v_cndmask_b32_e64 v2, 0, 1.0, s[4:5]
	flat_store_dword v[0:1], v2
.LBB276_2034:
	s_or_b64 exec, exec, s[6:7]
                                        ; implicit-def: $vgpr0_vgpr1
.LBB276_2035:
	s_andn2_saveexec_b64 s[6:7], s[24:25]
	s_cbranch_execz .LBB276_2037
; %bb.2036:
	v_cndmask_b32_e64 v2, 0, 1.0, s[4:5]
	v_cvt_f16_f32_e32 v2, v2
	flat_store_short v[0:1], v2
.LBB276_2037:
	s_or_b64 exec, exec, s[6:7]
.LBB276_2038:
	s_or_b64 exec, exec, s[22:23]
                                        ; implicit-def: $vgpr2
                                        ; implicit-def: $vgpr0_vgpr1
.LBB276_2039:
	s_andn2_saveexec_b64 s[20:21], s[20:21]
	s_cbranch_execz .LBB276_2057
; %bb.2040:
	v_cmp_lt_i16_e64 s[6:7], 1, v2
	s_and_saveexec_b64 s[22:23], s[6:7]
	s_xor_b64 s[22:23], exec, s[22:23]
	s_cbranch_execz .LBB276_2050
; %bb.2041:
	v_cmp_lt_i16_e64 s[6:7], 2, v2
	s_and_saveexec_b64 s[24:25], s[6:7]
	s_xor_b64 s[24:25], exec, s[24:25]
	;; [unrolled: 5-line block ×3, first 2 shown]
	s_cbranch_execz .LBB276_2044
; %bb.2043:
	s_mov_b32 s26, 0
	v_cndmask_b32_e64 v2, 0, 1, s[4:5]
	v_mov_b32_e32 v3, s26
	flat_store_dwordx2 v[0:1], v[2:3]
                                        ; implicit-def: $vgpr0_vgpr1
.LBB276_2044:
	s_andn2_saveexec_b64 s[6:7], s[6:7]
	s_cbranch_execz .LBB276_2046
; %bb.2045:
	v_cndmask_b32_e64 v2, 0, 1, s[4:5]
	flat_store_dword v[0:1], v2
.LBB276_2046:
	s_or_b64 exec, exec, s[6:7]
                                        ; implicit-def: $vgpr0_vgpr1
.LBB276_2047:
	s_andn2_saveexec_b64 s[6:7], s[24:25]
	s_cbranch_execz .LBB276_2049
; %bb.2048:
	v_cndmask_b32_e64 v2, 0, 1, s[4:5]
	flat_store_short v[0:1], v2
.LBB276_2049:
	s_or_b64 exec, exec, s[6:7]
                                        ; implicit-def: $vgpr0_vgpr1
                                        ; implicit-def: $vgpr2
.LBB276_2050:
	s_andn2_saveexec_b64 s[22:23], s[22:23]
	s_cbranch_execz .LBB276_2056
; %bb.2051:
	v_cmp_lt_i16_e64 s[6:7], 0, v2
	v_cndmask_b32_e64 v2, 0, 1, s[4:5]
	s_and_saveexec_b64 s[4:5], s[6:7]
	s_xor_b64 s[4:5], exec, s[4:5]
	s_cbranch_execz .LBB276_2053
; %bb.2052:
	flat_store_byte v[0:1], v2
                                        ; implicit-def: $vgpr0_vgpr1
                                        ; implicit-def: $vgpr2
.LBB276_2053:
	s_andn2_saveexec_b64 s[4:5], s[4:5]
	s_cbranch_execz .LBB276_2055
; %bb.2054:
	flat_store_byte v[0:1], v2
.LBB276_2055:
	s_or_b64 exec, exec, s[4:5]
.LBB276_2056:
	s_or_b64 exec, exec, s[22:23]
.LBB276_2057:
	s_or_b64 exec, exec, s[20:21]
	s_or_b64 s[18:19], s[18:19], exec
.LBB276_2058:
	s_or_b64 exec, exec, s[16:17]
	s_mov_b64 s[4:5], 0
	s_mov_b64 s[20:21], 0
	;; [unrolled: 1-line block ×3, first 2 shown]
                                        ; implicit-def: $vgpr9_vgpr10
                                        ; implicit-def: $vgpr3
	s_and_saveexec_b64 s[16:17], s[18:19]
	s_cbranch_execz .LBB276_2184
; %bb.2059:
	buffer_load_ubyte v2, off, s[0:3], 0 offset:444
	v_lshlrev_b32_e32 v3, 24, v24
	v_lshlrev_b32_e32 v4, 24, v27
	v_and_b32_e32 v5, 0x7f000000, v3
	v_and_b32_e32 v6, 0x7f000000, v4
	v_ffbh_u32_e32 v7, v5
	v_ffbh_u32_e32 v9, v6
	v_min_u32_e32 v7, 32, v7
	v_min_u32_e32 v9, 32, v9
	v_sub_u32_e64 v7, v7, 4 clamp
	v_sub_u32_e64 v9, v9, 4 clamp
	v_lshlrev_b32_e32 v11, v7, v5
	v_lshlrev_b32_e32 v7, 23, v7
	;; [unrolled: 1-line block ×3, first 2 shown]
	v_lshrrev_b32_e32 v11, 4, v11
	v_add_co_u32_e64 v0, s[4:5], v17, v18
	v_add_u32_e32 v8, 0x1000000, v5
	v_lshlrev_b32_e32 v9, 23, v9
	v_lshrrev_b32_e32 v12, 4, v12
	v_sub_u32_e32 v7, v11, v7
	s_mov_b32 s6, 0x7f800000
	v_addc_co_u32_e64 v1, s[4:5], 0, v19, s[4:5]
	v_add_u32_e32 v10, 0x1000000, v6
	v_ashrrev_i32_e32 v8, 8, v8
	v_sub_u32_e32 v9, v12, v9
	v_add_u32_e32 v7, 0x3c000000, v7
	v_ashrrev_i32_e32 v10, 8, v10
	v_add_u32_e32 v9, 0x3c000000, v9
	v_and_or_b32 v7, v8, s6, v7
	v_cmp_ne_u32_e64 s[4:5], 0, v5
	v_and_or_b32 v8, v10, s6, v9
	v_cndmask_b32_e64 v5, 0, v7, s[4:5]
	v_cmp_ne_u32_e64 s[4:5], 0, v6
	s_brev_b32 s7, 1
	v_cndmask_b32_e64 v6, 0, v8, s[4:5]
	v_and_or_b32 v3, v3, s7, v5
	v_and_or_b32 v4, v4, s7, v6
	v_cmp_eq_f32_e64 s[4:5], v3, v4
	v_cndmask_b32_e64 v5, 0, 1, s[4:5]
	v_cmp_neq_f32_e64 s[4:5], v3, v4
	v_cndmask_b32_e64 v3, 0, 1, s[4:5]
	v_cndmask_b32_e32 v3, v3, v5, vcc
	v_and_b32_e32 v3, 1, v3
	v_cmp_eq_u32_e32 vcc, 1, v3
	s_mov_b64 s[6:7], s[8:9]
	s_waitcnt vmcnt(0)
	v_cmp_lt_i16_e64 s[4:5], 10, v2
	s_and_saveexec_b64 s[18:19], s[4:5]
	s_xor_b64 s[18:19], exec, s[18:19]
	s_cbranch_execz .LBB276_2100
; %bb.2060:
	v_cmp_lt_i16_e64 s[4:5], 25, v2
	s_mov_b64 s[22:23], 0
	s_mov_b64 s[6:7], 0
	s_and_saveexec_b64 s[24:25], s[4:5]
	s_xor_b64 s[24:25], exec, s[24:25]
	s_cbranch_execz .LBB276_2747
; %bb.2061:
	v_cmp_lt_i16_e64 s[4:5], 28, v2
	s_mov_b64 s[26:27], 0
	s_and_saveexec_b64 s[20:21], s[4:5]
	s_xor_b64 s[20:21], exec, s[20:21]
	s_cbranch_execz .LBB276_2079
; %bb.2062:
	v_cmp_lt_i16_e64 s[4:5], 43, v2
	;; [unrolled: 6-line block ×3, first 2 shown]
	s_mov_b64 s[28:29], 0
	s_and_saveexec_b64 s[6:7], s[4:5]
	s_xor_b64 s[6:7], exec, s[6:7]
	s_cbranch_execz .LBB276_2067
; %bb.2064:
	v_cmp_eq_u16_e64 s[4:5], 46, v2
	s_mov_b64 s[40:41], -1
	s_and_saveexec_b64 s[30:31], s[4:5]
	s_cbranch_execz .LBB276_2066
; %bb.2065:
	v_cndmask_b32_e64 v2, 0, 1.0, vcc
	v_bfe_u32 v3, v2, 16, 1
	s_movk_i32 s4, 0x7fff
	v_add3_u32 v2, v2, v3, s4
	v_lshrrev_b32_e32 v2, 16, v2
	s_mov_b64 s[28:29], exec
	flat_store_dword v[0:1], v2
	s_xor_b64 s[40:41], exec, -1
.LBB276_2066:
	s_or_b64 exec, exec, s[30:31]
	s_and_b64 s[30:31], s[28:29], exec
	s_and_b64 s[28:29], s[40:41], exec
                                        ; implicit-def: $vgpr2
.LBB276_2067:
	s_andn2_saveexec_b64 s[40:41], s[6:7]
	s_cbranch_execz .LBB276_2073
; %bb.2068:
	v_cmp_eq_u16_e64 s[4:5], 44, v2
	s_mov_b64 s[6:7], -1
	s_mov_b64 s[66:67], s[30:31]
	s_and_saveexec_b64 s[64:65], s[4:5]
	s_cbranch_execz .LBB276_2072
; %bb.2069:
	v_cndmask_b32_e64 v3, 0, 1.0, vcc
	v_lshrrev_b32_e32 v2, 23, v3
	s_movk_i32 s4, 0xff
	v_cmp_ne_u32_e64 s[4:5], s4, v2
	v_mov_b32_e32 v4, 0xff
	s_and_saveexec_b64 s[66:67], s[4:5]
; %bb.2070:
	s_mov_b32 s6, 0x3fffff
	v_and_b32_e32 v4, 0x400000, v3
	v_and_or_b32 v3, v3, s6, v2
	v_cmp_ne_u32_e64 s[4:5], 0, v4
	v_cmp_ne_u32_e64 s[6:7], 0, v3
	s_and_b64 s[4:5], s[4:5], s[6:7]
	v_cndmask_b32_e64 v3, 0, 1, s[4:5]
	v_add_u32_e32 v4, v2, v3
; %bb.2071:
	s_or_b64 exec, exec, s[66:67]
	s_or_b64 s[66:67], s[30:31], exec
	s_xor_b64 s[6:7], exec, -1
	flat_store_byte v[0:1], v4
.LBB276_2072:
	s_or_b64 exec, exec, s[64:65]
	s_andn2_b64 s[4:5], s[30:31], exec
	s_and_b64 s[30:31], s[66:67], exec
	s_or_b64 s[30:31], s[4:5], s[30:31]
	s_andn2_b64 s[4:5], s[28:29], exec
	s_and_b64 s[6:7], s[6:7], exec
	s_or_b64 s[28:29], s[4:5], s[6:7]
.LBB276_2073:
	s_or_b64 exec, exec, s[40:41]
	s_and_b64 s[30:31], s[30:31], exec
	s_and_b64 s[6:7], s[28:29], exec
                                        ; implicit-def: $vgpr2
.LBB276_2074:
	s_andn2_saveexec_b64 s[26:27], s[26:27]
	s_cbranch_execz .LBB276_2078
; %bb.2075:
	v_cmp_eq_u16_e64 s[4:5], 29, v2
	s_mov_b64 s[28:29], -1
	s_mov_b64 s[64:65], s[30:31]
	s_and_saveexec_b64 s[40:41], s[4:5]
	s_cbranch_execz .LBB276_2077
; %bb.2076:
	s_mov_b32 s4, 0
	v_cndmask_b32_e64 v2, 0, 1, vcc
	v_mov_b32_e32 v3, s4
	flat_store_dwordx2 v[0:1], v[2:3]
	s_or_b64 s[64:65], s[30:31], exec
	s_xor_b64 s[28:29], exec, -1
.LBB276_2077:
	s_or_b64 exec, exec, s[40:41]
	s_andn2_b64 s[4:5], s[30:31], exec
	s_and_b64 s[30:31], s[64:65], exec
	s_or_b64 s[30:31], s[4:5], s[30:31]
	s_andn2_b64 s[4:5], s[6:7], exec
	s_and_b64 s[6:7], s[28:29], exec
	s_or_b64 s[6:7], s[4:5], s[6:7]
.LBB276_2078:
	s_or_b64 exec, exec, s[26:27]
	s_and_b64 s[26:27], s[30:31], exec
	s_and_b64 s[6:7], s[6:7], exec
                                        ; implicit-def: $vgpr2
.LBB276_2079:
	s_andn2_saveexec_b64 s[20:21], s[20:21]
	s_cbranch_execz .LBB276_2095
; %bb.2080:
	v_cmp_lt_i16_e64 s[4:5], 26, v2
	s_and_saveexec_b64 s[28:29], s[4:5]
	s_xor_b64 s[28:29], exec, s[28:29]
	s_cbranch_execz .LBB276_2086
; %bb.2081:
	v_cmp_lt_i16_e64 s[4:5], 27, v2
	s_and_saveexec_b64 s[30:31], s[4:5]
	s_xor_b64 s[4:5], exec, s[30:31]
	s_cbranch_execz .LBB276_2083
; %bb.2082:
	v_cndmask_b32_e64 v2, 0, 1, vcc
	flat_store_dword v[0:1], v2
.LBB276_2083:
	s_andn2_saveexec_b64 s[4:5], s[4:5]
	s_cbranch_execz .LBB276_2085
; %bb.2084:
	v_cndmask_b32_e64 v2, 0, 1, vcc
	flat_store_short v[0:1], v2
.LBB276_2085:
	s_or_b64 exec, exec, s[4:5]
.LBB276_2086:
	s_andn2_saveexec_b64 s[28:29], s[28:29]
	s_cbranch_execz .LBB276_2094
; %bb.2087:
	v_cndmask_b32_e64 v3, 0, 1.0, vcc
	s_mov_b32 s4, 0x43800000
	v_cmp_gt_u32_e64 s[4:5], s4, v3
	v_mov_b32_e32 v4, 0x80
	s_and_saveexec_b64 s[30:31], s[4:5]
	s_cbranch_execz .LBB276_2093
; %bb.2088:
	s_mov_b32 s4, 0x3bffffff
	v_cmp_lt_u32_e64 s[4:5], s4, v3
	s_mov_b64 s[40:41], 0
                                        ; implicit-def: $vgpr2
	s_and_saveexec_b64 s[64:65], s[4:5]
	s_xor_b64 s[4:5], exec, s[64:65]
	s_cbranch_execz .LBB276_2845
; %bb.2089:
	v_bfe_u32 v2, v3, 20, 1
	s_mov_b32 s33, 0x487ffff
	v_add3_u32 v2, v3, v2, s33
	s_mov_b64 s[40:41], exec
	v_lshrrev_b32_e32 v2, 20, v2
                                        ; implicit-def: $vgpr3
	s_andn2_saveexec_b64 s[64:65], s[4:5]
	s_cbranch_execnz .LBB276_2846
.LBB276_2090:
	s_or_b64 exec, exec, s[64:65]
	v_mov_b32_e32 v4, 0
	s_and_saveexec_b64 s[4:5], s[40:41]
.LBB276_2091:
	v_mov_b32_e32 v4, v2
.LBB276_2092:
	s_or_b64 exec, exec, s[4:5]
.LBB276_2093:
	s_or_b64 exec, exec, s[30:31]
	flat_store_byte v[0:1], v4
.LBB276_2094:
	s_or_b64 exec, exec, s[28:29]
	s_or_b64 s[26:27], s[26:27], exec
.LBB276_2095:
	s_or_b64 exec, exec, s[20:21]
	s_and_b64 s[20:21], s[26:27], exec
	s_and_b64 s[6:7], s[6:7], exec
                                        ; implicit-def: $vgpr2
	s_andn2_saveexec_b64 s[24:25], s[24:25]
	s_cbranch_execnz .LBB276_2748
.LBB276_2096:
	s_or_b64 exec, exec, s[24:25]
	s_mov_b64 s[4:5], s[8:9]
	s_and_saveexec_b64 s[24:25], s[6:7]
	s_cbranch_execnz .LBB276_2789
.LBB276_2097:
	s_or_b64 exec, exec, s[24:25]
	s_and_saveexec_b64 s[6:7], s[22:23]
	s_xor_b64 s[6:7], exec, s[6:7]
	s_cbranch_execz .LBB276_2099
.LBB276_2098:
	v_cndmask_b32_e64 v2, 0, 1, vcc
	flat_store_byte v[0:1], v2
	s_or_b64 s[20:21], s[20:21], exec
.LBB276_2099:
	s_or_b64 exec, exec, s[6:7]
	s_andn2_b64 s[6:7], s[8:9], exec
	s_and_b64 s[4:5], s[4:5], exec
	s_or_b64 s[6:7], s[6:7], s[4:5]
	s_and_b64 s[20:21], s[20:21], exec
                                        ; implicit-def: $vgpr2
                                        ; implicit-def: $vgpr0_vgpr1
.LBB276_2100:
	s_andn2_saveexec_b64 s[18:19], s[18:19]
	s_cbranch_execz .LBB276_2142
; %bb.2101:
	v_cmp_lt_i16_e64 s[4:5], 4, v2
	s_and_saveexec_b64 s[22:23], s[4:5]
	s_xor_b64 s[22:23], exec, s[22:23]
	s_cbranch_execz .LBB276_2123
; %bb.2102:
	v_cmp_lt_i16_e64 s[4:5], 7, v2
	s_and_saveexec_b64 s[24:25], s[4:5]
	s_xor_b64 s[24:25], exec, s[24:25]
	s_cbranch_execz .LBB276_2112
; %bb.2103:
	v_cmp_lt_i16_e64 s[4:5], 8, v2
	s_and_saveexec_b64 s[26:27], s[4:5]
	s_xor_b64 s[26:27], exec, s[26:27]
	s_cbranch_execz .LBB276_2109
; %bb.2104:
	v_cmp_lt_i16_e64 s[4:5], 9, v2
	s_and_saveexec_b64 s[28:29], s[4:5]
	s_xor_b64 s[4:5], exec, s[28:29]
	s_cbranch_execz .LBB276_2106
; %bb.2105:
	v_cndmask_b32_e64 v2, 0, 1, vcc
	v_cvt_f64_u32_e32 v[2:3], v2
	v_mov_b32_e32 v4, 0
	v_mov_b32_e32 v5, v4
	flat_store_dwordx4 v[0:1], v[2:5]
                                        ; implicit-def: $vgpr0_vgpr1
.LBB276_2106:
	s_andn2_saveexec_b64 s[4:5], s[4:5]
	s_cbranch_execz .LBB276_2108
; %bb.2107:
	v_cndmask_b32_e64 v2, 0, 1.0, vcc
	v_mov_b32_e32 v3, 0
	flat_store_dwordx2 v[0:1], v[2:3]
.LBB276_2108:
	s_or_b64 exec, exec, s[4:5]
                                        ; implicit-def: $vgpr0_vgpr1
.LBB276_2109:
	s_andn2_saveexec_b64 s[4:5], s[26:27]
	s_cbranch_execz .LBB276_2111
; %bb.2110:
	v_cndmask_b32_e64 v2, 0, 1.0, vcc
	v_cvt_f16_f32_e32 v2, v2
	flat_store_dword v[0:1], v2
.LBB276_2111:
	s_or_b64 exec, exec, s[4:5]
                                        ; implicit-def: $vgpr0_vgpr1
                                        ; implicit-def: $vgpr2
.LBB276_2112:
	s_andn2_saveexec_b64 s[24:25], s[24:25]
	s_cbranch_execz .LBB276_2122
; %bb.2113:
	v_cmp_lt_i16_e64 s[4:5], 5, v2
	s_and_saveexec_b64 s[26:27], s[4:5]
	s_xor_b64 s[26:27], exec, s[26:27]
	s_cbranch_execz .LBB276_2119
; %bb.2114:
	v_cmp_lt_i16_e64 s[4:5], 6, v2
	s_and_saveexec_b64 s[28:29], s[4:5]
	s_xor_b64 s[4:5], exec, s[28:29]
	s_cbranch_execz .LBB276_2116
; %bb.2115:
	v_cndmask_b32_e64 v2, 0, 1, vcc
	v_cvt_f64_u32_e32 v[2:3], v2
	flat_store_dwordx2 v[0:1], v[2:3]
                                        ; implicit-def: $vgpr0_vgpr1
.LBB276_2116:
	s_andn2_saveexec_b64 s[4:5], s[4:5]
	s_cbranch_execz .LBB276_2118
; %bb.2117:
	v_cndmask_b32_e64 v2, 0, 1.0, vcc
	flat_store_dword v[0:1], v2
.LBB276_2118:
	s_or_b64 exec, exec, s[4:5]
                                        ; implicit-def: $vgpr0_vgpr1
.LBB276_2119:
	s_andn2_saveexec_b64 s[4:5], s[26:27]
	s_cbranch_execz .LBB276_2121
; %bb.2120:
	v_cndmask_b32_e64 v2, 0, 1.0, vcc
	v_cvt_f16_f32_e32 v2, v2
	flat_store_short v[0:1], v2
.LBB276_2121:
	s_or_b64 exec, exec, s[4:5]
.LBB276_2122:
	s_or_b64 exec, exec, s[24:25]
                                        ; implicit-def: $vgpr2
                                        ; implicit-def: $vgpr0_vgpr1
.LBB276_2123:
	s_andn2_saveexec_b64 s[22:23], s[22:23]
	s_cbranch_execz .LBB276_2141
; %bb.2124:
	v_cmp_lt_i16_e64 s[4:5], 1, v2
	s_and_saveexec_b64 s[24:25], s[4:5]
	s_xor_b64 s[24:25], exec, s[24:25]
	s_cbranch_execz .LBB276_2134
; %bb.2125:
	v_cmp_lt_i16_e64 s[4:5], 2, v2
	s_and_saveexec_b64 s[26:27], s[4:5]
	s_xor_b64 s[26:27], exec, s[26:27]
	;; [unrolled: 5-line block ×3, first 2 shown]
	s_cbranch_execz .LBB276_2128
; %bb.2127:
	s_mov_b32 s28, 0
	v_cndmask_b32_e64 v2, 0, 1, vcc
	v_mov_b32_e32 v3, s28
	flat_store_dwordx2 v[0:1], v[2:3]
                                        ; implicit-def: $vgpr0_vgpr1
.LBB276_2128:
	s_andn2_saveexec_b64 s[4:5], s[4:5]
	s_cbranch_execz .LBB276_2130
; %bb.2129:
	v_cndmask_b32_e64 v2, 0, 1, vcc
	flat_store_dword v[0:1], v2
.LBB276_2130:
	s_or_b64 exec, exec, s[4:5]
                                        ; implicit-def: $vgpr0_vgpr1
.LBB276_2131:
	s_andn2_saveexec_b64 s[4:5], s[26:27]
	s_cbranch_execz .LBB276_2133
; %bb.2132:
	v_cndmask_b32_e64 v2, 0, 1, vcc
	flat_store_short v[0:1], v2
.LBB276_2133:
	s_or_b64 exec, exec, s[4:5]
                                        ; implicit-def: $vgpr0_vgpr1
                                        ; implicit-def: $vgpr2
.LBB276_2134:
	s_andn2_saveexec_b64 s[24:25], s[24:25]
	s_cbranch_execz .LBB276_2140
; %bb.2135:
	v_cmp_lt_i16_e64 s[4:5], 0, v2
	v_cndmask_b32_e64 v2, 0, 1, vcc
	s_and_saveexec_b64 s[26:27], s[4:5]
	s_xor_b64 s[4:5], exec, s[26:27]
	s_cbranch_execz .LBB276_2137
; %bb.2136:
	flat_store_byte v[0:1], v2
                                        ; implicit-def: $vgpr0_vgpr1
                                        ; implicit-def: $vgpr2
.LBB276_2137:
	s_andn2_saveexec_b64 s[4:5], s[4:5]
	s_cbranch_execz .LBB276_2139
; %bb.2138:
	flat_store_byte v[0:1], v2
.LBB276_2139:
	s_or_b64 exec, exec, s[4:5]
.LBB276_2140:
	s_or_b64 exec, exec, s[24:25]
.LBB276_2141:
	s_or_b64 exec, exec, s[22:23]
	s_or_b64 s[20:21], s[20:21], exec
.LBB276_2142:
	s_or_b64 exec, exec, s[18:19]
	s_mov_b64 s[4:5], 0
	s_mov_b64 s[22:23], 0
	;; [unrolled: 1-line block ×3, first 2 shown]
                                        ; implicit-def: $vgpr9_vgpr10
                                        ; implicit-def: $vgpr3
	s_and_saveexec_b64 s[18:19], s[20:21]
	s_cbranch_execz .LBB276_2183
; %bb.2143:
	buffer_load_ubyte v3, off, s[0:3], 0 offset:444
	v_add_co_u32_e32 v9, vcc, v17, v16
	v_addc_co_u32_e32 v10, vcc, 0, v19, vcc
	s_mov_b64 s[22:23], -1
	s_mov_b64 s[26:27], s[6:7]
	s_mov_b64 s[28:29], 0
	s_waitcnt vmcnt(0)
	v_cmp_lt_i16_e32 vcc, 10, v3
	s_and_saveexec_b64 s[20:21], vcc
	s_cbranch_execz .LBB276_2182
; %bb.2144:
	v_cmp_lt_i16_e32 vcc, 25, v3
	s_mov_b64 s[22:23], 0
	s_and_saveexec_b64 s[26:27], vcc
	s_xor_b64 s[26:27], exec, s[26:27]
	s_cbranch_execz .LBB276_2794
; %bb.2145:
	v_cmp_lt_i16_e32 vcc, 28, v3
	s_and_saveexec_b64 s[22:23], vcc
	s_xor_b64 s[22:23], exec, s[22:23]
	s_cbranch_execz .LBB276_2163
; %bb.2146:
	v_cmp_lt_i16_e32 vcc, 43, v3
	s_mov_b64 s[30:31], 0
	s_and_saveexec_b64 s[28:29], vcc
	s_xor_b64 s[28:29], exec, s[28:29]
	s_cbranch_execz .LBB276_2158
; %bb.2147:
	v_cmp_lt_i16_e32 vcc, 45, v3
	s_mov_b64 s[40:41], 0
	s_and_saveexec_b64 s[4:5], vcc
	s_xor_b64 s[4:5], exec, s[4:5]
	s_cbranch_execz .LBB276_2151
; %bb.2148:
	v_cmp_eq_u16_e32 vcc, 46, v3
	s_mov_b64 s[64:65], -1
	s_and_saveexec_b64 s[40:41], vcc
	s_cbranch_execz .LBB276_2150
; %bb.2149:
	v_cndmask_b32_e64 v0, 0, 1.0, s[10:11]
	v_bfe_u32 v1, v0, 16, 1
	s_movk_i32 s33, 0x7fff
	v_add3_u32 v0, v0, v1, s33
	v_lshrrev_b32_e32 v0, 16, v0
	s_mov_b64 s[30:31], exec
	flat_store_dword v[9:10], v0
	s_xor_b64 s[64:65], exec, -1
.LBB276_2150:
	s_or_b64 exec, exec, s[40:41]
	s_and_b64 s[40:41], s[30:31], exec
	s_and_b64 s[30:31], s[64:65], exec
.LBB276_2151:
	s_andn2_saveexec_b64 s[64:65], s[4:5]
	s_cbranch_execz .LBB276_2157
; %bb.2152:
	v_cmp_eq_u16_e32 vcc, 44, v3
	s_mov_b64 s[4:5], -1
	s_mov_b64 s[68:69], s[40:41]
	s_and_saveexec_b64 s[66:67], vcc
	s_cbranch_execz .LBB276_2156
; %bb.2153:
	v_cndmask_b32_e64 v1, 0, 1.0, s[10:11]
	v_lshrrev_b32_e32 v0, 23, v1
	s_movk_i32 s4, 0xff
	v_cmp_ne_u32_e32 vcc, s4, v0
	v_mov_b32_e32 v2, 0xff
	s_and_saveexec_b64 s[68:69], vcc
; %bb.2154:
	s_mov_b32 s4, 0x3fffff
	v_and_b32_e32 v2, 0x400000, v1
	v_and_or_b32 v1, v1, s4, v0
	v_cmp_ne_u32_e32 vcc, 0, v2
	v_cmp_ne_u32_e64 s[4:5], 0, v1
	s_and_b64 s[4:5], vcc, s[4:5]
	v_cndmask_b32_e64 v1, 0, 1, s[4:5]
	v_add_u32_e32 v2, v0, v1
; %bb.2155:
	s_or_b64 exec, exec, s[68:69]
	s_or_b64 s[68:69], s[40:41], exec
	s_xor_b64 s[4:5], exec, -1
	flat_store_byte v[9:10], v2
.LBB276_2156:
	s_or_b64 exec, exec, s[66:67]
	s_andn2_b64 s[40:41], s[40:41], exec
	s_and_b64 s[66:67], s[68:69], exec
	s_andn2_b64 s[30:31], s[30:31], exec
	s_and_b64 s[4:5], s[4:5], exec
	s_or_b64 s[40:41], s[40:41], s[66:67]
	s_or_b64 s[30:31], s[30:31], s[4:5]
.LBB276_2157:
	s_or_b64 exec, exec, s[64:65]
	s_and_b64 s[4:5], s[40:41], exec
	s_and_b64 s[30:31], s[30:31], exec
.LBB276_2158:
	s_andn2_saveexec_b64 s[28:29], s[28:29]
	s_cbranch_execz .LBB276_2162
; %bb.2159:
	v_cmp_eq_u16_e32 vcc, 29, v3
	s_mov_b64 s[40:41], -1
	s_mov_b64 s[66:67], s[4:5]
	s_and_saveexec_b64 s[64:65], vcc
	s_cbranch_execz .LBB276_2161
; %bb.2160:
	s_mov_b32 s33, 0
	v_cndmask_b32_e64 v0, 0, 1, s[10:11]
	v_mov_b32_e32 v1, s33
	flat_store_dwordx2 v[9:10], v[0:1]
	s_or_b64 s[66:67], s[4:5], exec
	s_xor_b64 s[40:41], exec, -1
.LBB276_2161:
	s_or_b64 exec, exec, s[64:65]
	s_andn2_b64 s[4:5], s[4:5], exec
	s_and_b64 s[64:65], s[66:67], exec
	s_andn2_b64 s[30:31], s[30:31], exec
	s_and_b64 s[40:41], s[40:41], exec
	s_or_b64 s[4:5], s[4:5], s[64:65]
	s_or_b64 s[30:31], s[30:31], s[40:41]
.LBB276_2162:
	s_or_b64 exec, exec, s[28:29]
	s_and_b64 s[4:5], s[4:5], exec
	s_and_b64 s[28:29], s[30:31], exec
.LBB276_2163:
	s_andn2_saveexec_b64 s[22:23], s[22:23]
	s_cbranch_execz .LBB276_2179
; %bb.2164:
	v_cmp_lt_i16_e32 vcc, 26, v3
	s_and_saveexec_b64 s[30:31], vcc
	s_xor_b64 s[30:31], exec, s[30:31]
	s_cbranch_execz .LBB276_2170
; %bb.2165:
	v_cmp_lt_i16_e32 vcc, 27, v3
	v_cndmask_b32_e64 v0, 0, 1, s[10:11]
	s_and_saveexec_b64 s[40:41], vcc
	s_xor_b64 s[40:41], exec, s[40:41]
	s_cbranch_execz .LBB276_2167
; %bb.2166:
	flat_store_dword v[9:10], v0
                                        ; implicit-def: $vgpr0
.LBB276_2167:
	s_andn2_saveexec_b64 s[40:41], s[40:41]
	s_cbranch_execz .LBB276_2169
; %bb.2168:
	flat_store_short v[9:10], v0
.LBB276_2169:
	s_or_b64 exec, exec, s[40:41]
.LBB276_2170:
	s_andn2_saveexec_b64 s[30:31], s[30:31]
	s_cbranch_execz .LBB276_2178
; %bb.2171:
	v_cndmask_b32_e64 v1, 0, 1.0, s[10:11]
	s_mov_b32 s33, 0x43800000
	v_cmp_gt_u32_e32 vcc, s33, v1
	v_mov_b32_e32 v2, 0x80
	s_and_saveexec_b64 s[40:41], vcc
	s_cbranch_execz .LBB276_2177
; %bb.2172:
	s_mov_b32 s33, 0x3bffffff
	v_cmp_lt_u32_e32 vcc, s33, v1
	s_mov_b64 s[64:65], 0
                                        ; implicit-def: $vgpr0
	s_and_saveexec_b64 s[66:67], vcc
	s_xor_b64 s[66:67], exec, s[66:67]
	s_cbranch_execz .LBB276_2849
; %bb.2173:
	v_bfe_u32 v0, v1, 20, 1
	s_mov_b32 s33, 0x487ffff
	v_add3_u32 v0, v1, v0, s33
	s_mov_b64 s[64:65], exec
	v_lshrrev_b32_e32 v0, 20, v0
                                        ; implicit-def: $vgpr1
	s_andn2_saveexec_b64 s[66:67], s[66:67]
	s_cbranch_execnz .LBB276_2850
.LBB276_2174:
	s_or_b64 exec, exec, s[66:67]
	v_mov_b32_e32 v2, 0
	s_and_saveexec_b64 s[66:67], s[64:65]
.LBB276_2175:
	v_mov_b32_e32 v2, v0
.LBB276_2176:
	s_or_b64 exec, exec, s[66:67]
.LBB276_2177:
	s_or_b64 exec, exec, s[40:41]
	flat_store_byte v[9:10], v2
.LBB276_2178:
	s_or_b64 exec, exec, s[30:31]
	s_or_b64 s[4:5], s[4:5], exec
.LBB276_2179:
	s_or_b64 exec, exec, s[22:23]
	s_and_b64 s[4:5], s[4:5], exec
	s_and_b64 s[22:23], s[28:29], exec
	s_andn2_saveexec_b64 s[26:27], s[26:27]
	s_cbranch_execnz .LBB276_2795
.LBB276_2180:
	s_or_b64 exec, exec, s[26:27]
	s_mov_b64 s[26:27], s[6:7]
	s_and_saveexec_b64 s[28:29], s[22:23]
	s_cbranch_execnz .LBB276_2836
.LBB276_2181:
	s_or_b64 exec, exec, s[28:29]
	s_and_b64 s[28:29], s[4:5], exec
	s_and_b64 s[4:5], s[24:25], exec
	s_andn2_b64 s[24:25], s[6:7], exec
	s_and_b64 s[26:27], s[26:27], exec
	s_xor_b64 s[22:23], exec, -1
	s_or_b64 s[26:27], s[24:25], s[26:27]
.LBB276_2182:
	s_or_b64 exec, exec, s[20:21]
	s_andn2_b64 s[6:7], s[6:7], exec
	s_and_b64 s[20:21], s[26:27], exec
	s_and_b64 s[24:25], s[28:29], exec
	;; [unrolled: 1-line block ×4, first 2 shown]
	s_or_b64 s[6:7], s[6:7], s[20:21]
.LBB276_2183:
	s_or_b64 exec, exec, s[18:19]
	s_andn2_b64 s[8:9], s[8:9], exec
	s_and_b64 s[6:7], s[6:7], exec
	s_and_b64 s[24:25], s[24:25], exec
	;; [unrolled: 1-line block ×4, first 2 shown]
	s_or_b64 s[8:9], s[8:9], s[6:7]
.LBB276_2184:
	s_or_b64 exec, exec, s[16:17]
	s_andn2_b64 s[12:13], s[12:13], exec
	s_and_b64 s[8:9], s[8:9], exec
	s_and_b64 s[16:17], s[24:25], exec
	;; [unrolled: 1-line block ×4, first 2 shown]
	s_or_b64 s[12:13], s[12:13], s[8:9]
.LBB276_2185:
	s_or_b64 exec, exec, s[14:15]
	s_and_b64 s[8:9], s[6:7], exec
	s_andn2_b64 s[6:7], s[60:61], exec
	s_and_b64 s[12:13], s[12:13], exec
	s_and_b64 s[14:15], s[16:17], exec
	;; [unrolled: 1-line block ×3, first 2 shown]
	s_or_b64 s[60:61], s[6:7], s[12:13]
.LBB276_2186:
	s_or_b64 exec, exec, s[62:63]
	s_and_b64 s[12:13], s[14:15], exec
	s_andn2_b64 s[6:7], s[56:57], exec
	s_and_b64 s[14:15], s[60:61], exec
	s_and_b64 s[8:9], s[8:9], exec
	;; [unrolled: 1-line block ×3, first 2 shown]
	s_or_b64 s[56:57], s[6:7], s[14:15]
.LBB276_2187:
	s_or_b64 exec, exec, s[58:59]
	s_andn2_b64 s[6:7], s[52:53], exec
	s_and_b64 s[14:15], s[56:57], exec
	s_and_b64 s[12:13], s[12:13], exec
	;; [unrolled: 1-line block ×4, first 2 shown]
	s_or_b64 s[52:53], s[6:7], s[14:15]
.LBB276_2188:
	s_or_b64 exec, exec, s[54:55]
	s_andn2_b64 s[6:7], s[48:49], exec
	s_and_b64 s[14:15], s[52:53], exec
	s_and_b64 s[12:13], s[12:13], exec
	;; [unrolled: 1-line block ×4, first 2 shown]
	s_or_b64 s[48:49], s[6:7], s[14:15]
.LBB276_2189:
	s_or_b64 exec, exec, s[50:51]
	s_andn2_b64 s[6:7], s[44:45], exec
	s_and_b64 s[14:15], s[48:49], exec
	s_and_b64 s[12:13], s[12:13], exec
	;; [unrolled: 1-line block ×4, first 2 shown]
	s_or_b64 s[44:45], s[6:7], s[14:15]
.LBB276_2190:
	s_or_b64 exec, exec, s[46:47]
	s_and_b64 s[14:15], s[12:13], exec
	s_and_b64 s[12:13], s[4:5], exec
	s_andn2_b64 s[4:5], s[38:39], exec
	s_and_b64 s[6:7], s[44:45], exec
	s_and_b64 s[8:9], s[8:9], exec
	s_or_b64 s[38:39], s[4:5], s[6:7]
.LBB276_2191:
	s_or_b64 exec, exec, s[42:43]
	s_and_b64 s[42:43], s[12:13], exec
	s_andn2_b64 s[6:7], s[34:35], exec
	s_and_b64 s[12:13], s[38:39], exec
	s_and_b64 s[4:5], s[14:15], exec
	;; [unrolled: 1-line block ×3, first 2 shown]
	s_or_b64 s[34:35], s[6:7], s[12:13]
	s_or_b64 exec, exec, s[36:37]
	s_and_saveexec_b64 s[6:7], s[34:35]
	s_cbranch_execnz .LBB276_484
.LBB276_2192:
	s_or_b64 exec, exec, s[6:7]
	s_and_saveexec_b64 s[6:7], s[42:43]
	s_xor_b64 s[6:7], exec, s[6:7]
	s_cbranch_execz .LBB276_485
.LBB276_2193:
	v_cndmask_b32_e64 v0, 0, 1, s[10:11]
	s_or_b64 s[4:5], s[4:5], exec
	flat_store_byte v[9:10], v0
	s_or_b64 exec, exec, s[6:7]
	s_and_saveexec_b64 s[6:7], s[8:9]
	s_cbranch_execnz .LBB276_486
.LBB276_2194:
	s_or_b64 exec, exec, s[6:7]
	s_and_saveexec_b64 s[6:7], s[4:5]
	s_endpgm
.LBB276_2195:
	s_andn2_saveexec_b64 s[8:9], s[8:9]
	s_cbranch_execz .LBB276_96
.LBB276_2196:
	v_cmp_lt_i16_e64 s[4:5], 4, v2
	s_and_saveexec_b64 s[12:13], s[4:5]
	s_xor_b64 s[12:13], exec, s[12:13]
	s_cbranch_execz .LBB276_2218
; %bb.2197:
	v_cmp_lt_i16_e64 s[4:5], 7, v2
	s_and_saveexec_b64 s[14:15], s[4:5]
	s_xor_b64 s[14:15], exec, s[14:15]
	s_cbranch_execz .LBB276_2207
; %bb.2198:
	;; [unrolled: 5-line block ×4, first 2 shown]
	v_cndmask_b32_e64 v2, 0, 1, vcc
	v_cvt_f64_u32_e32 v[2:3], v2
	v_mov_b32_e32 v4, 0
	v_mov_b32_e32 v5, v4
	flat_store_dwordx4 v[0:1], v[2:5]
                                        ; implicit-def: $vgpr0_vgpr1
.LBB276_2201:
	s_andn2_saveexec_b64 s[4:5], s[4:5]
	s_cbranch_execz .LBB276_2203
; %bb.2202:
	v_cndmask_b32_e64 v2, 0, 1.0, vcc
	v_mov_b32_e32 v3, 0
	flat_store_dwordx2 v[0:1], v[2:3]
.LBB276_2203:
	s_or_b64 exec, exec, s[4:5]
                                        ; implicit-def: $vgpr0_vgpr1
.LBB276_2204:
	s_andn2_saveexec_b64 s[4:5], s[16:17]
	s_cbranch_execz .LBB276_2206
; %bb.2205:
	v_cndmask_b32_e64 v2, 0, 1.0, vcc
	v_cvt_f16_f32_e32 v2, v2
	flat_store_dword v[0:1], v2
.LBB276_2206:
	s_or_b64 exec, exec, s[4:5]
                                        ; implicit-def: $vgpr0_vgpr1
                                        ; implicit-def: $vgpr2
.LBB276_2207:
	s_andn2_saveexec_b64 s[14:15], s[14:15]
	s_cbranch_execz .LBB276_2217
; %bb.2208:
	v_cmp_lt_i16_e64 s[4:5], 5, v2
	s_and_saveexec_b64 s[16:17], s[4:5]
	s_xor_b64 s[16:17], exec, s[16:17]
	s_cbranch_execz .LBB276_2214
; %bb.2209:
	v_cmp_lt_i16_e64 s[4:5], 6, v2
	s_and_saveexec_b64 s[18:19], s[4:5]
	s_xor_b64 s[4:5], exec, s[18:19]
	s_cbranch_execz .LBB276_2211
; %bb.2210:
	v_cndmask_b32_e64 v2, 0, 1, vcc
	v_cvt_f64_u32_e32 v[2:3], v2
	flat_store_dwordx2 v[0:1], v[2:3]
                                        ; implicit-def: $vgpr0_vgpr1
.LBB276_2211:
	s_andn2_saveexec_b64 s[4:5], s[4:5]
	s_cbranch_execz .LBB276_2213
; %bb.2212:
	v_cndmask_b32_e64 v2, 0, 1.0, vcc
	flat_store_dword v[0:1], v2
.LBB276_2213:
	s_or_b64 exec, exec, s[4:5]
                                        ; implicit-def: $vgpr0_vgpr1
.LBB276_2214:
	s_andn2_saveexec_b64 s[4:5], s[16:17]
	s_cbranch_execz .LBB276_2216
; %bb.2215:
	v_cndmask_b32_e64 v2, 0, 1.0, vcc
	v_cvt_f16_f32_e32 v2, v2
	flat_store_short v[0:1], v2
.LBB276_2216:
	s_or_b64 exec, exec, s[4:5]
.LBB276_2217:
	s_or_b64 exec, exec, s[14:15]
                                        ; implicit-def: $vgpr2
                                        ; implicit-def: $vgpr0_vgpr1
.LBB276_2218:
	s_andn2_saveexec_b64 s[12:13], s[12:13]
	s_cbranch_execz .LBB276_2236
; %bb.2219:
	v_cmp_lt_i16_e64 s[4:5], 1, v2
	s_and_saveexec_b64 s[14:15], s[4:5]
	s_xor_b64 s[14:15], exec, s[14:15]
	s_cbranch_execz .LBB276_2229
; %bb.2220:
	v_cmp_lt_i16_e64 s[4:5], 2, v2
	s_and_saveexec_b64 s[16:17], s[4:5]
	s_xor_b64 s[16:17], exec, s[16:17]
	;; [unrolled: 5-line block ×3, first 2 shown]
	s_cbranch_execz .LBB276_2223
; %bb.2222:
	s_mov_b32 s18, 0
	v_cndmask_b32_e64 v2, 0, 1, vcc
	v_mov_b32_e32 v3, s18
	flat_store_dwordx2 v[0:1], v[2:3]
                                        ; implicit-def: $vgpr0_vgpr1
.LBB276_2223:
	s_andn2_saveexec_b64 s[4:5], s[4:5]
	s_cbranch_execz .LBB276_2225
; %bb.2224:
	v_cndmask_b32_e64 v2, 0, 1, vcc
	flat_store_dword v[0:1], v2
.LBB276_2225:
	s_or_b64 exec, exec, s[4:5]
                                        ; implicit-def: $vgpr0_vgpr1
.LBB276_2226:
	s_andn2_saveexec_b64 s[4:5], s[16:17]
	s_cbranch_execz .LBB276_2228
; %bb.2227:
	v_cndmask_b32_e64 v2, 0, 1, vcc
	flat_store_short v[0:1], v2
.LBB276_2228:
	s_or_b64 exec, exec, s[4:5]
                                        ; implicit-def: $vgpr0_vgpr1
                                        ; implicit-def: $vgpr2
.LBB276_2229:
	s_andn2_saveexec_b64 s[14:15], s[14:15]
	s_cbranch_execz .LBB276_2235
; %bb.2230:
	v_cmp_lt_i16_e64 s[4:5], 0, v2
	v_cndmask_b32_e64 v2, 0, 1, vcc
	s_and_saveexec_b64 s[16:17], s[4:5]
	s_xor_b64 s[4:5], exec, s[16:17]
	s_cbranch_execz .LBB276_2232
; %bb.2231:
	flat_store_byte v[0:1], v2
                                        ; implicit-def: $vgpr0_vgpr1
                                        ; implicit-def: $vgpr2
.LBB276_2232:
	s_andn2_saveexec_b64 s[4:5], s[4:5]
	s_cbranch_execz .LBB276_2234
; %bb.2233:
	flat_store_byte v[0:1], v2
.LBB276_2234:
	s_or_b64 exec, exec, s[4:5]
.LBB276_2235:
	s_or_b64 exec, exec, s[14:15]
.LBB276_2236:
	s_or_b64 exec, exec, s[12:13]
	s_or_b64 s[6:7], s[6:7], exec
	s_or_b64 exec, exec, s[8:9]
	s_mov_b64 s[4:5], 0
	s_and_saveexec_b64 s[8:9], s[6:7]
	s_cbranch_execnz .LBB276_97
	s_branch .LBB276_98
.LBB276_2237:
	s_andn2_saveexec_b64 s[8:9], s[8:9]
	s_cbranch_execz .LBB276_618
.LBB276_2238:
	v_cmp_lt_i16_e32 vcc, 22, v12
	s_mov_b64 s[14:15], s[10:11]
                                        ; implicit-def: $vgpr21
	s_and_saveexec_b64 s[6:7], vcc
	s_xor_b64 s[6:7], exec, s[6:7]
	s_cbranch_execz .LBB276_2270
; %bb.2239:
	v_cmp_lt_i16_e32 vcc, 23, v12
                                        ; implicit-def: $vgpr21
	s_and_saveexec_b64 s[14:15], vcc
	s_xor_b64 s[14:15], exec, s[14:15]
	s_cbranch_execz .LBB276_2259
; %bb.2240:
	v_cmp_lt_i16_e32 vcc, 24, v12
                                        ; implicit-def: $vgpr21
	s_and_saveexec_b64 s[16:17], vcc
	s_xor_b64 s[16:17], exec, s[16:17]
	s_cbranch_execz .LBB276_2256
; %bb.2241:
	flat_load_ubyte v5, v[9:10]
	s_movk_i32 s18, 0x7f
	s_waitcnt vmcnt(0) lgkmcnt(0)
	v_cmp_lt_i16_e32 vcc, s18, v5
	s_mov_b64 s[18:19], 0
	s_and_saveexec_b64 s[20:21], vcc
	s_xor_b64 s[20:21], exec, s[20:21]
	s_cbranch_execz .LBB276_2580
; %bb.2242:
	s_movk_i32 s18, 0x80
	v_cmp_eq_u16_e32 vcc, s18, v5
	s_mov_b64 s[18:19], -1
	s_and_saveexec_b64 s[22:23], vcc
; %bb.2243:
	s_xor_b64 s[18:19], exec, -1
; %bb.2244:
	s_or_b64 exec, exec, s[22:23]
	s_and_b64 s[18:19], s[18:19], exec
	s_or_saveexec_b64 s[20:21], s[20:21]
	v_mov_b32_e32 v3, 0x7f800001
	s_xor_b64 exec, exec, s[20:21]
	s_cbranch_execnz .LBB276_2581
.LBB276_2245:
	s_or_b64 exec, exec, s[20:21]
	s_and_saveexec_b64 s[20:21], s[18:19]
	s_cbranch_execz .LBB276_2247
.LBB276_2246:
	v_lshlrev_b32_e32 v3, 24, v5
	v_and_b32_e32 v5, 0xffff, v5
	v_and_b32_e32 v7, 3, v5
	v_ffbh_u32_e32 v13, v7
	v_min_u32_e32 v13, 32, v13
	v_subrev_u32_e32 v14, 29, v13
	v_bfe_u32 v11, v5, 2, 5
	v_lshlrev_b32_e32 v5, v14, v5
	v_sub_u32_e32 v13, 30, v13
	v_and_b32_e32 v5, 3, v5
	v_cmp_eq_u32_e32 vcc, 0, v11
	v_cndmask_b32_e32 v11, v11, v13, vcc
	v_cndmask_b32_e32 v5, v7, v5, vcc
	v_mov_b32_e32 v7, 0x37800000
	v_lshlrev_b32_e32 v5, 21, v5
	v_and_b32_e32 v3, 0x80000000, v3
	v_lshl_add_u32 v7, v11, 23, v7
	v_or3_b32 v3, v3, v7, v5
.LBB276_2247:
	s_or_b64 exec, exec, s[20:21]
	v_and_b32_e32 v7, 0x7fffffff, v3
	s_mov_b32 s18, 0x43f00000
	v_cmp_gt_u32_e32 vcc, s18, v7
                                        ; implicit-def: $vgpr5
	s_and_saveexec_b64 s[18:19], vcc
	s_xor_b64 s[18:19], exec, s[18:19]
	s_cbranch_execz .LBB276_2253
; %bb.2248:
	s_mov_b32 s20, 0x3c7fffff
	v_cmp_lt_u32_e32 vcc, s20, v7
                                        ; implicit-def: $vgpr5
	s_and_saveexec_b64 s[20:21], vcc
	s_xor_b64 s[20:21], exec, s[20:21]
; %bb.2249:
	v_bfe_u32 v5, v3, 20, 1
	s_mov_b32 s22, 0x407ffff
	v_add3_u32 v5, v3, v5, s22
	v_lshrrev_b32_e32 v7, 20, v5
	v_and_b32_e32 v5, 0xff00000, v5
	s_mov_b32 s22, 0x7f00000
	v_mov_b32_e32 v11, 0x7e
	v_cmp_ne_u32_e32 vcc, s22, v5
	v_cndmask_b32_e32 v5, v11, v7, vcc
; %bb.2250:
	s_andn2_saveexec_b64 s[20:21], s[20:21]
; %bb.2251:
	s_mov_b32 s22, 0x46800000
	v_add_f32_e64 v5, |v3|, s22
; %bb.2252:
	s_or_b64 exec, exec, s[20:21]
                                        ; implicit-def: $vgpr7
.LBB276_2253:
	s_andn2_saveexec_b64 s[18:19], s[18:19]
; %bb.2254:
	s_mov_b32 s20, 0x7f800000
	v_mov_b32_e32 v5, 0x7e
	v_mov_b32_e32 v11, 0x7f
	v_cmp_lt_u32_e32 vcc, s20, v7
	v_cndmask_b32_e32 v5, v5, v11, vcc
; %bb.2255:
	s_or_b64 exec, exec, s[18:19]
	v_lshrrev_b32_e32 v3, 24, v3
	s_movk_i32 s18, 0x80
	v_and_or_b32 v21, v3, s18, v5
.LBB276_2256:
	s_andn2_saveexec_b64 s[16:17], s[16:17]
	s_cbranch_execz .LBB276_2258
; %bb.2257:
	flat_load_ubyte v21, v[9:10]
.LBB276_2258:
	s_or_b64 exec, exec, s[16:17]
.LBB276_2259:
	s_andn2_saveexec_b64 s[14:15], s[14:15]
	s_cbranch_execz .LBB276_2269
; %bb.2260:
	flat_load_ubyte v3, v[9:10]
	s_movk_i32 s16, 0x7f00
	s_brev_b32 s17, 16
	s_brev_b32 s18, 1
	s_waitcnt vmcnt(0) lgkmcnt(0)
	v_lshlrev_b16_e32 v5, 8, v3
	v_lshlrev_b32_e32 v3, 25, v3
	v_lshrrev_b32_e32 v7, 4, v3
	v_and_or_b32 v11, v5, s16, 0.5
	v_or_b32_e32 v7, 0x70000000, v7
	v_add_f32_e32 v11, -0.5, v11
	v_mul_f32_e32 v7, 0x7800000, v7
	v_cmp_gt_u32_e32 vcc, s17, v3
	v_bfe_i32 v5, v5, 0, 16
	v_cndmask_b32_e32 v11, v7, v11, vcc
	v_and_or_b32 v3, v5, s18, v11
	v_and_b32_e32 v7, 0x7fffffff, v3
	s_mov_b32 s16, 0x43f00000
	v_cmp_gt_u32_e32 vcc, s16, v7
                                        ; implicit-def: $vgpr5
	s_and_saveexec_b64 s[16:17], vcc
	s_xor_b64 s[16:17], exec, s[16:17]
	s_cbranch_execz .LBB276_2266
; %bb.2261:
	s_mov_b32 s18, 0x3c7fffff
	v_cmp_lt_u32_e32 vcc, s18, v7
                                        ; implicit-def: $vgpr5
	s_and_saveexec_b64 s[18:19], vcc
	s_xor_b64 s[18:19], exec, s[18:19]
; %bb.2262:
	v_bfe_u32 v5, v11, 20, 1
	s_mov_b32 s20, 0x407ffff
	v_add3_u32 v5, v3, v5, s20
	v_lshrrev_b32_e32 v7, 20, v5
	v_and_b32_e32 v5, 0xff00000, v5
	s_mov_b32 s20, 0x7f00000
	v_mov_b32_e32 v11, 0x7e
	v_cmp_ne_u32_e32 vcc, s20, v5
	v_cndmask_b32_e32 v5, v11, v7, vcc
; %bb.2263:
	s_andn2_saveexec_b64 s[18:19], s[18:19]
; %bb.2264:
	s_mov_b32 s20, 0x46800000
	v_add_f32_e64 v5, |v3|, s20
; %bb.2265:
	s_or_b64 exec, exec, s[18:19]
                                        ; implicit-def: $vgpr7
.LBB276_2266:
	s_andn2_saveexec_b64 s[16:17], s[16:17]
; %bb.2267:
	s_mov_b32 s18, 0x7f800000
	v_mov_b32_e32 v5, 0x7e
	v_mov_b32_e32 v11, 0x7f
	v_cmp_lt_u32_e32 vcc, s18, v7
	v_cndmask_b32_e32 v5, v5, v11, vcc
; %bb.2268:
	s_or_b64 exec, exec, s[16:17]
	v_lshrrev_b32_e32 v3, 24, v3
	s_movk_i32 s16, 0x80
	v_and_or_b32 v21, v3, s16, v5
.LBB276_2269:
	s_or_b64 exec, exec, s[14:15]
	s_or_b64 s[14:15], s[10:11], exec
.LBB276_2270:
	s_or_saveexec_b64 s[6:7], s[6:7]
	s_mov_b64 s[16:17], 0
	s_mov_b64 s[18:19], s[12:13]
	s_xor_b64 exec, exec, s[6:7]
	s_cbranch_execz .LBB276_2286
; %bb.2271:
	v_cmp_lt_i16_e32 vcc, 14, v12
	s_mov_b64 s[18:19], s[12:13]
	s_mov_b64 s[20:21], s[14:15]
                                        ; implicit-def: $vgpr21
	s_and_saveexec_b64 s[16:17], vcc
	s_xor_b64 s[16:17], exec, s[16:17]
	s_cbranch_execz .LBB276_2283
; %bb.2272:
	v_cmp_eq_u16_e32 vcc, 15, v12
	s_mov_b64 s[22:23], -1
	s_mov_b64 s[20:21], s[14:15]
                                        ; implicit-def: $vgpr21
	s_and_saveexec_b64 s[18:19], vcc
	s_cbranch_execz .LBB276_2282
; %bb.2273:
	flat_load_ushort v3, v[9:10]
	s_mov_b32 s20, 0x43f00000
                                        ; implicit-def: $vgpr5
	s_waitcnt vmcnt(0) lgkmcnt(0)
	v_lshlrev_b32_e32 v7, 16, v3
	v_and_b32_e32 v11, 0x7fffffff, v7
	v_cmp_gt_u32_e32 vcc, s20, v11
	s_and_saveexec_b64 s[20:21], vcc
	s_xor_b64 s[20:21], exec, s[20:21]
	s_cbranch_execz .LBB276_2279
; %bb.2274:
	s_mov_b32 s22, 0x3c7fffff
	v_cmp_lt_u32_e32 vcc, s22, v11
                                        ; implicit-def: $vgpr5
	s_and_saveexec_b64 s[22:23], vcc
	s_xor_b64 s[22:23], exec, s[22:23]
; %bb.2275:
	v_bfe_u32 v5, v3, 4, 1
	s_mov_b32 s24, 0x407ffff
	v_add3_u32 v5, v7, v5, s24
	v_lshrrev_b32_e32 v7, 20, v5
	v_and_b32_e32 v5, 0xff00000, v5
	s_mov_b32 s24, 0x7f00000
	v_mov_b32_e32 v11, 0x7e
	v_cmp_ne_u32_e32 vcc, s24, v5
	v_cndmask_b32_e32 v5, v11, v7, vcc
                                        ; implicit-def: $vgpr7
; %bb.2276:
	s_andn2_saveexec_b64 s[22:23], s[22:23]
; %bb.2277:
	s_mov_b32 s24, 0x46800000
	v_add_f32_e64 v5, |v7|, s24
; %bb.2278:
	s_or_b64 exec, exec, s[22:23]
                                        ; implicit-def: $vgpr11
.LBB276_2279:
	s_andn2_saveexec_b64 s[20:21], s[20:21]
; %bb.2280:
	s_mov_b32 s22, 0x7f800000
	v_mov_b32_e32 v5, 0x7e
	v_mov_b32_e32 v7, 0x7f
	v_cmp_lt_u32_e32 vcc, s22, v11
	v_cndmask_b32_e32 v5, v5, v7, vcc
; %bb.2281:
	s_or_b64 exec, exec, s[20:21]
	v_lshrrev_b32_e32 v3, 8, v3
	s_movk_i32 s20, 0x80
	v_and_or_b32 v21, v3, s20, v5
	s_or_b64 s[20:21], s[14:15], exec
	s_xor_b64 s[22:23], exec, -1
.LBB276_2282:
	s_or_b64 exec, exec, s[18:19]
	s_andn2_b64 s[18:19], s[14:15], exec
	s_and_b64 s[20:21], s[20:21], exec
	s_or_b64 s[20:21], s[18:19], s[20:21]
	s_andn2_b64 s[18:19], s[12:13], exec
	s_and_b64 s[22:23], s[22:23], exec
	s_or_b64 s[18:19], s[18:19], s[22:23]
.LBB276_2283:
	s_or_saveexec_b64 s[16:17], s[16:17]
	s_mov_b64 s[22:23], 0
	s_xor_b64 exec, exec, s[16:17]
; %bb.2284:
	v_cmp_ne_u16_e32 vcc, 11, v12
	s_andn2_b64 s[18:19], s[18:19], exec
	s_and_b64 s[24:25], vcc, exec
	s_mov_b64 s[22:23], exec
	s_or_b64 s[18:19], s[18:19], s[24:25]
; %bb.2285:
	s_or_b64 exec, exec, s[16:17]
	s_andn2_b64 s[14:15], s[14:15], exec
	s_and_b64 s[16:17], s[20:21], exec
	s_andn2_b64 s[20:21], s[12:13], exec
	s_and_b64 s[18:19], s[18:19], exec
	s_or_b64 s[14:15], s[14:15], s[16:17]
	s_and_b64 s[16:17], s[22:23], exec
	s_or_b64 s[18:19], s[20:21], s[18:19]
.LBB276_2286:
	s_or_b64 exec, exec, s[6:7]
	s_andn2_b64 s[6:7], s[10:11], exec
	s_and_b64 s[10:11], s[14:15], exec
	s_andn2_b64 s[12:13], s[12:13], exec
	s_and_b64 s[14:15], s[18:19], exec
	s_or_b64 s[10:11], s[6:7], s[10:11]
	s_and_b64 s[6:7], s[16:17], exec
	s_or_b64 s[12:13], s[12:13], s[14:15]
	s_or_b64 exec, exec, s[8:9]
	s_mov_b64 s[8:9], s[34:35]
	s_and_saveexec_b64 s[14:15], s[12:13]
	s_cbranch_execz .LBB276_619
.LBB276_2287:
	s_trap 2
	s_or_b64 s[8:9], s[34:35], exec
	s_andn2_b64 s[6:7], s[6:7], exec
	s_or_b64 exec, exec, s[14:15]
	s_and_saveexec_b64 s[12:13], s[6:7]
	s_cbranch_execnz .LBB276_620
	s_branch .LBB276_629
.LBB276_2288:
	s_andn2_saveexec_b64 s[8:9], s[8:9]
	s_cbranch_execz .LBB276_195
.LBB276_2289:
	v_cmp_lt_i16_e64 s[4:5], 4, v2
	s_and_saveexec_b64 s[12:13], s[4:5]
	s_xor_b64 s[12:13], exec, s[12:13]
	s_cbranch_execz .LBB276_2311
; %bb.2290:
	v_cmp_lt_i16_e64 s[4:5], 7, v2
	s_and_saveexec_b64 s[14:15], s[4:5]
	s_xor_b64 s[14:15], exec, s[14:15]
	s_cbranch_execz .LBB276_2300
; %bb.2291:
	;; [unrolled: 5-line block ×4, first 2 shown]
	v_cndmask_b32_e64 v2, 0, 1, vcc
	v_cvt_f64_u32_e32 v[2:3], v2
	v_mov_b32_e32 v4, 0
	v_mov_b32_e32 v5, v4
	flat_store_dwordx4 v[0:1], v[2:5]
                                        ; implicit-def: $vgpr0_vgpr1
.LBB276_2294:
	s_andn2_saveexec_b64 s[4:5], s[4:5]
	s_cbranch_execz .LBB276_2296
; %bb.2295:
	v_cndmask_b32_e64 v2, 0, 1.0, vcc
	v_mov_b32_e32 v3, 0
	flat_store_dwordx2 v[0:1], v[2:3]
.LBB276_2296:
	s_or_b64 exec, exec, s[4:5]
                                        ; implicit-def: $vgpr0_vgpr1
.LBB276_2297:
	s_andn2_saveexec_b64 s[4:5], s[16:17]
	s_cbranch_execz .LBB276_2299
; %bb.2298:
	v_cndmask_b32_e64 v2, 0, 1.0, vcc
	v_cvt_f16_f32_e32 v2, v2
	flat_store_dword v[0:1], v2
.LBB276_2299:
	s_or_b64 exec, exec, s[4:5]
                                        ; implicit-def: $vgpr0_vgpr1
                                        ; implicit-def: $vgpr2
.LBB276_2300:
	s_andn2_saveexec_b64 s[14:15], s[14:15]
	s_cbranch_execz .LBB276_2310
; %bb.2301:
	v_cmp_lt_i16_e64 s[4:5], 5, v2
	s_and_saveexec_b64 s[16:17], s[4:5]
	s_xor_b64 s[16:17], exec, s[16:17]
	s_cbranch_execz .LBB276_2307
; %bb.2302:
	v_cmp_lt_i16_e64 s[4:5], 6, v2
	s_and_saveexec_b64 s[18:19], s[4:5]
	s_xor_b64 s[4:5], exec, s[18:19]
	s_cbranch_execz .LBB276_2304
; %bb.2303:
	v_cndmask_b32_e64 v2, 0, 1, vcc
	v_cvt_f64_u32_e32 v[2:3], v2
	flat_store_dwordx2 v[0:1], v[2:3]
                                        ; implicit-def: $vgpr0_vgpr1
.LBB276_2304:
	s_andn2_saveexec_b64 s[4:5], s[4:5]
	s_cbranch_execz .LBB276_2306
; %bb.2305:
	v_cndmask_b32_e64 v2, 0, 1.0, vcc
	flat_store_dword v[0:1], v2
.LBB276_2306:
	s_or_b64 exec, exec, s[4:5]
                                        ; implicit-def: $vgpr0_vgpr1
.LBB276_2307:
	s_andn2_saveexec_b64 s[4:5], s[16:17]
	s_cbranch_execz .LBB276_2309
; %bb.2308:
	v_cndmask_b32_e64 v2, 0, 1.0, vcc
	v_cvt_f16_f32_e32 v2, v2
	flat_store_short v[0:1], v2
.LBB276_2309:
	s_or_b64 exec, exec, s[4:5]
.LBB276_2310:
	s_or_b64 exec, exec, s[14:15]
                                        ; implicit-def: $vgpr2
                                        ; implicit-def: $vgpr0_vgpr1
.LBB276_2311:
	s_andn2_saveexec_b64 s[12:13], s[12:13]
	s_cbranch_execz .LBB276_2329
; %bb.2312:
	v_cmp_lt_i16_e64 s[4:5], 1, v2
	s_and_saveexec_b64 s[14:15], s[4:5]
	s_xor_b64 s[14:15], exec, s[14:15]
	s_cbranch_execz .LBB276_2322
; %bb.2313:
	v_cmp_lt_i16_e64 s[4:5], 2, v2
	s_and_saveexec_b64 s[16:17], s[4:5]
	s_xor_b64 s[16:17], exec, s[16:17]
	;; [unrolled: 5-line block ×3, first 2 shown]
	s_cbranch_execz .LBB276_2316
; %bb.2315:
	s_mov_b32 s18, 0
	v_cndmask_b32_e64 v2, 0, 1, vcc
	v_mov_b32_e32 v3, s18
	flat_store_dwordx2 v[0:1], v[2:3]
                                        ; implicit-def: $vgpr0_vgpr1
.LBB276_2316:
	s_andn2_saveexec_b64 s[4:5], s[4:5]
	s_cbranch_execz .LBB276_2318
; %bb.2317:
	v_cndmask_b32_e64 v2, 0, 1, vcc
	flat_store_dword v[0:1], v2
.LBB276_2318:
	s_or_b64 exec, exec, s[4:5]
                                        ; implicit-def: $vgpr0_vgpr1
.LBB276_2319:
	s_andn2_saveexec_b64 s[4:5], s[16:17]
	s_cbranch_execz .LBB276_2321
; %bb.2320:
	v_cndmask_b32_e64 v2, 0, 1, vcc
	flat_store_short v[0:1], v2
.LBB276_2321:
	s_or_b64 exec, exec, s[4:5]
                                        ; implicit-def: $vgpr0_vgpr1
                                        ; implicit-def: $vgpr2
.LBB276_2322:
	s_andn2_saveexec_b64 s[14:15], s[14:15]
	s_cbranch_execz .LBB276_2328
; %bb.2323:
	v_cmp_lt_i16_e64 s[4:5], 0, v2
	v_cndmask_b32_e64 v2, 0, 1, vcc
	s_and_saveexec_b64 s[16:17], s[4:5]
	s_xor_b64 s[4:5], exec, s[16:17]
	s_cbranch_execz .LBB276_2325
; %bb.2324:
	flat_store_byte v[0:1], v2
                                        ; implicit-def: $vgpr0_vgpr1
                                        ; implicit-def: $vgpr2
.LBB276_2325:
	s_andn2_saveexec_b64 s[4:5], s[4:5]
	s_cbranch_execz .LBB276_2327
; %bb.2326:
	flat_store_byte v[0:1], v2
.LBB276_2327:
	s_or_b64 exec, exec, s[4:5]
.LBB276_2328:
	s_or_b64 exec, exec, s[14:15]
.LBB276_2329:
	s_or_b64 exec, exec, s[12:13]
	s_or_b64 s[6:7], s[6:7], exec
	s_or_b64 exec, exec, s[8:9]
	s_mov_b64 s[4:5], 0
	s_and_saveexec_b64 s[8:9], s[6:7]
	s_cbranch_execnz .LBB276_196
	s_branch .LBB276_197
.LBB276_2330:
	s_andn2_saveexec_b64 s[8:9], s[8:9]
	s_cbranch_execz .LBB276_844
.LBB276_2331:
	v_cmp_lt_i16_e32 vcc, 22, v11
	s_mov_b64 s[14:15], s[10:11]
                                        ; implicit-def: $vgpr23
	s_and_saveexec_b64 s[6:7], vcc
	s_xor_b64 s[6:7], exec, s[6:7]
	s_cbranch_execz .LBB276_2363
; %bb.2332:
	v_cmp_lt_i16_e32 vcc, 23, v11
                                        ; implicit-def: $vgpr23
	s_and_saveexec_b64 s[14:15], vcc
	s_xor_b64 s[14:15], exec, s[14:15]
	s_cbranch_execz .LBB276_2352
; %bb.2333:
	v_cmp_lt_i16_e32 vcc, 24, v11
                                        ; implicit-def: $vgpr23
	s_and_saveexec_b64 s[16:17], vcc
	s_xor_b64 s[16:17], exec, s[16:17]
	s_cbranch_execz .LBB276_2349
; %bb.2334:
	flat_load_ubyte v5, v[7:8]
	s_movk_i32 s18, 0x7f
	s_waitcnt vmcnt(0) lgkmcnt(0)
	v_cmp_lt_i16_e32 vcc, s18, v5
	s_mov_b64 s[18:19], 0
	s_and_saveexec_b64 s[20:21], vcc
	s_xor_b64 s[20:21], exec, s[20:21]
	s_cbranch_execz .LBB276_2637
; %bb.2335:
	s_movk_i32 s18, 0x80
	v_cmp_eq_u16_e32 vcc, s18, v5
	s_mov_b64 s[18:19], -1
	s_and_saveexec_b64 s[22:23], vcc
; %bb.2336:
	s_xor_b64 s[18:19], exec, -1
; %bb.2337:
	s_or_b64 exec, exec, s[22:23]
	s_and_b64 s[18:19], s[18:19], exec
	s_or_saveexec_b64 s[20:21], s[20:21]
	v_mov_b32_e32 v3, 0x7f800001
	s_xor_b64 exec, exec, s[20:21]
	s_cbranch_execnz .LBB276_2638
.LBB276_2338:
	s_or_b64 exec, exec, s[20:21]
	s_and_saveexec_b64 s[20:21], s[18:19]
	s_cbranch_execz .LBB276_2340
.LBB276_2339:
	v_lshlrev_b32_e32 v3, 24, v5
	v_and_b32_e32 v5, 0xffff, v5
	v_and_b32_e32 v9, 3, v5
	v_ffbh_u32_e32 v23, v9
	v_min_u32_e32 v23, 32, v23
	v_subrev_u32_e32 v25, 29, v23
	v_bfe_u32 v10, v5, 2, 5
	v_lshlrev_b32_e32 v5, v25, v5
	v_sub_u32_e32 v23, 30, v23
	v_and_b32_e32 v5, 3, v5
	v_cmp_eq_u32_e32 vcc, 0, v10
	v_cndmask_b32_e32 v10, v10, v23, vcc
	v_cndmask_b32_e32 v5, v9, v5, vcc
	v_mov_b32_e32 v9, 0x37800000
	v_lshlrev_b32_e32 v5, 21, v5
	v_and_b32_e32 v3, 0x80000000, v3
	v_lshl_add_u32 v9, v10, 23, v9
	v_or3_b32 v3, v3, v9, v5
.LBB276_2340:
	s_or_b64 exec, exec, s[20:21]
	v_and_b32_e32 v9, 0x7fffffff, v3
	s_mov_b32 s18, 0x43f00000
	v_cmp_gt_u32_e32 vcc, s18, v9
                                        ; implicit-def: $vgpr5
	s_and_saveexec_b64 s[18:19], vcc
	s_xor_b64 s[18:19], exec, s[18:19]
	s_cbranch_execz .LBB276_2346
; %bb.2341:
	s_mov_b32 s20, 0x3c7fffff
	v_cmp_lt_u32_e32 vcc, s20, v9
                                        ; implicit-def: $vgpr5
	s_and_saveexec_b64 s[20:21], vcc
	s_xor_b64 s[20:21], exec, s[20:21]
; %bb.2342:
	v_bfe_u32 v5, v3, 20, 1
	s_mov_b32 s22, 0x407ffff
	v_add3_u32 v5, v3, v5, s22
	v_lshrrev_b32_e32 v9, 20, v5
	v_and_b32_e32 v5, 0xff00000, v5
	s_mov_b32 s22, 0x7f00000
	v_mov_b32_e32 v10, 0x7e
	v_cmp_ne_u32_e32 vcc, s22, v5
	v_cndmask_b32_e32 v5, v10, v9, vcc
; %bb.2343:
	s_andn2_saveexec_b64 s[20:21], s[20:21]
; %bb.2344:
	s_mov_b32 s22, 0x46800000
	v_add_f32_e64 v5, |v3|, s22
; %bb.2345:
	s_or_b64 exec, exec, s[20:21]
                                        ; implicit-def: $vgpr9
.LBB276_2346:
	s_andn2_saveexec_b64 s[18:19], s[18:19]
; %bb.2347:
	s_mov_b32 s20, 0x7f800000
	v_mov_b32_e32 v5, 0x7e
	v_mov_b32_e32 v10, 0x7f
	v_cmp_lt_u32_e32 vcc, s20, v9
	v_cndmask_b32_e32 v5, v5, v10, vcc
; %bb.2348:
	s_or_b64 exec, exec, s[18:19]
	v_lshrrev_b32_e32 v3, 24, v3
	s_movk_i32 s18, 0x80
	v_and_or_b32 v23, v3, s18, v5
.LBB276_2349:
	s_andn2_saveexec_b64 s[16:17], s[16:17]
	s_cbranch_execz .LBB276_2351
; %bb.2350:
	flat_load_ubyte v23, v[7:8]
.LBB276_2351:
	s_or_b64 exec, exec, s[16:17]
.LBB276_2352:
	s_andn2_saveexec_b64 s[14:15], s[14:15]
	s_cbranch_execz .LBB276_2362
; %bb.2353:
	flat_load_ubyte v3, v[7:8]
	s_movk_i32 s16, 0x7f00
	s_brev_b32 s17, 16
	s_brev_b32 s18, 1
	s_waitcnt vmcnt(0) lgkmcnt(0)
	v_lshlrev_b16_e32 v5, 8, v3
	v_lshlrev_b32_e32 v3, 25, v3
	v_lshrrev_b32_e32 v9, 4, v3
	v_and_or_b32 v10, v5, s16, 0.5
	v_or_b32_e32 v9, 0x70000000, v9
	v_add_f32_e32 v10, -0.5, v10
	v_mul_f32_e32 v9, 0x7800000, v9
	v_cmp_gt_u32_e32 vcc, s17, v3
	v_bfe_i32 v5, v5, 0, 16
	v_cndmask_b32_e32 v10, v9, v10, vcc
	v_and_or_b32 v3, v5, s18, v10
	v_and_b32_e32 v9, 0x7fffffff, v3
	s_mov_b32 s16, 0x43f00000
	v_cmp_gt_u32_e32 vcc, s16, v9
                                        ; implicit-def: $vgpr5
	s_and_saveexec_b64 s[16:17], vcc
	s_xor_b64 s[16:17], exec, s[16:17]
	s_cbranch_execz .LBB276_2359
; %bb.2354:
	s_mov_b32 s18, 0x3c7fffff
	v_cmp_lt_u32_e32 vcc, s18, v9
                                        ; implicit-def: $vgpr5
	s_and_saveexec_b64 s[18:19], vcc
	s_xor_b64 s[18:19], exec, s[18:19]
; %bb.2355:
	v_bfe_u32 v5, v10, 20, 1
	s_mov_b32 s20, 0x407ffff
	v_add3_u32 v5, v3, v5, s20
	v_lshrrev_b32_e32 v9, 20, v5
	v_and_b32_e32 v5, 0xff00000, v5
	s_mov_b32 s20, 0x7f00000
	v_mov_b32_e32 v10, 0x7e
	v_cmp_ne_u32_e32 vcc, s20, v5
	v_cndmask_b32_e32 v5, v10, v9, vcc
; %bb.2356:
	s_andn2_saveexec_b64 s[18:19], s[18:19]
; %bb.2357:
	s_mov_b32 s20, 0x46800000
	v_add_f32_e64 v5, |v3|, s20
; %bb.2358:
	s_or_b64 exec, exec, s[18:19]
                                        ; implicit-def: $vgpr9
.LBB276_2359:
	s_andn2_saveexec_b64 s[16:17], s[16:17]
; %bb.2360:
	s_mov_b32 s18, 0x7f800000
	v_mov_b32_e32 v5, 0x7e
	v_mov_b32_e32 v10, 0x7f
	v_cmp_lt_u32_e32 vcc, s18, v9
	v_cndmask_b32_e32 v5, v5, v10, vcc
; %bb.2361:
	s_or_b64 exec, exec, s[16:17]
	v_lshrrev_b32_e32 v3, 24, v3
	s_movk_i32 s16, 0x80
	v_and_or_b32 v23, v3, s16, v5
.LBB276_2362:
	s_or_b64 exec, exec, s[14:15]
	s_or_b64 s[14:15], s[10:11], exec
.LBB276_2363:
	s_or_saveexec_b64 s[6:7], s[6:7]
	s_mov_b64 s[16:17], 0
	s_mov_b64 s[18:19], s[12:13]
	s_xor_b64 exec, exec, s[6:7]
	s_cbranch_execz .LBB276_2379
; %bb.2364:
	v_cmp_lt_i16_e32 vcc, 14, v11
	s_mov_b64 s[18:19], s[12:13]
	s_mov_b64 s[20:21], s[14:15]
                                        ; implicit-def: $vgpr23
	s_and_saveexec_b64 s[16:17], vcc
	s_xor_b64 s[16:17], exec, s[16:17]
	s_cbranch_execz .LBB276_2376
; %bb.2365:
	v_cmp_eq_u16_e32 vcc, 15, v11
	s_mov_b64 s[22:23], -1
	s_mov_b64 s[20:21], s[14:15]
                                        ; implicit-def: $vgpr23
	s_and_saveexec_b64 s[18:19], vcc
	s_cbranch_execz .LBB276_2375
; %bb.2366:
	flat_load_ushort v3, v[7:8]
	s_mov_b32 s20, 0x43f00000
                                        ; implicit-def: $vgpr5
	s_waitcnt vmcnt(0) lgkmcnt(0)
	v_lshlrev_b32_e32 v9, 16, v3
	v_and_b32_e32 v10, 0x7fffffff, v9
	v_cmp_gt_u32_e32 vcc, s20, v10
	s_and_saveexec_b64 s[20:21], vcc
	s_xor_b64 s[20:21], exec, s[20:21]
	s_cbranch_execz .LBB276_2372
; %bb.2367:
	s_mov_b32 s22, 0x3c7fffff
	v_cmp_lt_u32_e32 vcc, s22, v10
                                        ; implicit-def: $vgpr5
	s_and_saveexec_b64 s[22:23], vcc
	s_xor_b64 s[22:23], exec, s[22:23]
; %bb.2368:
	v_bfe_u32 v5, v3, 4, 1
	s_mov_b32 s24, 0x407ffff
	v_add3_u32 v5, v9, v5, s24
	v_lshrrev_b32_e32 v9, 20, v5
	v_and_b32_e32 v5, 0xff00000, v5
	s_mov_b32 s24, 0x7f00000
	v_mov_b32_e32 v10, 0x7e
	v_cmp_ne_u32_e32 vcc, s24, v5
	v_cndmask_b32_e32 v5, v10, v9, vcc
                                        ; implicit-def: $vgpr9
; %bb.2369:
	s_andn2_saveexec_b64 s[22:23], s[22:23]
; %bb.2370:
	s_mov_b32 s24, 0x46800000
	v_add_f32_e64 v5, |v9|, s24
; %bb.2371:
	s_or_b64 exec, exec, s[22:23]
                                        ; implicit-def: $vgpr10
.LBB276_2372:
	s_andn2_saveexec_b64 s[20:21], s[20:21]
; %bb.2373:
	s_mov_b32 s22, 0x7f800000
	v_mov_b32_e32 v5, 0x7e
	v_mov_b32_e32 v9, 0x7f
	v_cmp_lt_u32_e32 vcc, s22, v10
	v_cndmask_b32_e32 v5, v5, v9, vcc
; %bb.2374:
	s_or_b64 exec, exec, s[20:21]
	v_lshrrev_b32_e32 v3, 8, v3
	s_movk_i32 s20, 0x80
	v_and_or_b32 v23, v3, s20, v5
	s_or_b64 s[20:21], s[14:15], exec
	s_xor_b64 s[22:23], exec, -1
.LBB276_2375:
	s_or_b64 exec, exec, s[18:19]
	s_andn2_b64 s[18:19], s[14:15], exec
	s_and_b64 s[20:21], s[20:21], exec
	s_or_b64 s[20:21], s[18:19], s[20:21]
	s_andn2_b64 s[18:19], s[12:13], exec
	s_and_b64 s[22:23], s[22:23], exec
	s_or_b64 s[18:19], s[18:19], s[22:23]
.LBB276_2376:
	s_or_saveexec_b64 s[16:17], s[16:17]
	s_mov_b64 s[22:23], 0
	s_xor_b64 exec, exec, s[16:17]
; %bb.2377:
	v_cmp_ne_u16_e32 vcc, 11, v11
	s_andn2_b64 s[18:19], s[18:19], exec
	s_and_b64 s[24:25], vcc, exec
	s_mov_b64 s[22:23], exec
	s_or_b64 s[18:19], s[18:19], s[24:25]
; %bb.2378:
	s_or_b64 exec, exec, s[16:17]
	s_andn2_b64 s[14:15], s[14:15], exec
	s_and_b64 s[16:17], s[20:21], exec
	s_andn2_b64 s[20:21], s[12:13], exec
	s_and_b64 s[18:19], s[18:19], exec
	s_or_b64 s[14:15], s[14:15], s[16:17]
	s_and_b64 s[16:17], s[22:23], exec
	s_or_b64 s[18:19], s[20:21], s[18:19]
.LBB276_2379:
	s_or_b64 exec, exec, s[6:7]
	s_andn2_b64 s[6:7], s[10:11], exec
	s_and_b64 s[10:11], s[14:15], exec
	s_andn2_b64 s[12:13], s[12:13], exec
	s_and_b64 s[14:15], s[18:19], exec
	s_or_b64 s[10:11], s[6:7], s[10:11]
	s_and_b64 s[6:7], s[16:17], exec
	s_or_b64 s[12:13], s[12:13], s[14:15]
	s_or_b64 exec, exec, s[8:9]
	s_mov_b64 s[8:9], s[38:39]
	s_and_saveexec_b64 s[14:15], s[12:13]
	s_cbranch_execz .LBB276_845
.LBB276_2380:
	s_trap 2
	s_or_b64 s[8:9], s[38:39], exec
	s_andn2_b64 s[6:7], s[6:7], exec
	s_or_b64 exec, exec, s[14:15]
	s_and_saveexec_b64 s[12:13], s[6:7]
	s_cbranch_execnz .LBB276_846
	s_branch .LBB276_855
.LBB276_2381:
	s_andn2_saveexec_b64 s[8:9], s[8:9]
	s_cbranch_execz .LBB276_294
.LBB276_2382:
	v_cmp_lt_i16_e64 s[4:5], 4, v2
	s_and_saveexec_b64 s[12:13], s[4:5]
	s_xor_b64 s[12:13], exec, s[12:13]
	s_cbranch_execz .LBB276_2404
; %bb.2383:
	v_cmp_lt_i16_e64 s[4:5], 7, v2
	s_and_saveexec_b64 s[14:15], s[4:5]
	s_xor_b64 s[14:15], exec, s[14:15]
	s_cbranch_execz .LBB276_2393
; %bb.2384:
	;; [unrolled: 5-line block ×4, first 2 shown]
	v_cndmask_b32_e64 v2, 0, 1, vcc
	v_cvt_f64_u32_e32 v[2:3], v2
	v_mov_b32_e32 v4, 0
	v_mov_b32_e32 v5, v4
	flat_store_dwordx4 v[0:1], v[2:5]
                                        ; implicit-def: $vgpr0_vgpr1
.LBB276_2387:
	s_andn2_saveexec_b64 s[4:5], s[4:5]
	s_cbranch_execz .LBB276_2389
; %bb.2388:
	v_cndmask_b32_e64 v2, 0, 1.0, vcc
	v_mov_b32_e32 v3, 0
	flat_store_dwordx2 v[0:1], v[2:3]
.LBB276_2389:
	s_or_b64 exec, exec, s[4:5]
                                        ; implicit-def: $vgpr0_vgpr1
.LBB276_2390:
	s_andn2_saveexec_b64 s[4:5], s[16:17]
	s_cbranch_execz .LBB276_2392
; %bb.2391:
	v_cndmask_b32_e64 v2, 0, 1.0, vcc
	v_cvt_f16_f32_e32 v2, v2
	flat_store_dword v[0:1], v2
.LBB276_2392:
	s_or_b64 exec, exec, s[4:5]
                                        ; implicit-def: $vgpr0_vgpr1
                                        ; implicit-def: $vgpr2
.LBB276_2393:
	s_andn2_saveexec_b64 s[14:15], s[14:15]
	s_cbranch_execz .LBB276_2403
; %bb.2394:
	v_cmp_lt_i16_e64 s[4:5], 5, v2
	s_and_saveexec_b64 s[16:17], s[4:5]
	s_xor_b64 s[16:17], exec, s[16:17]
	s_cbranch_execz .LBB276_2400
; %bb.2395:
	v_cmp_lt_i16_e64 s[4:5], 6, v2
	s_and_saveexec_b64 s[18:19], s[4:5]
	s_xor_b64 s[4:5], exec, s[18:19]
	s_cbranch_execz .LBB276_2397
; %bb.2396:
	v_cndmask_b32_e64 v2, 0, 1, vcc
	v_cvt_f64_u32_e32 v[2:3], v2
	flat_store_dwordx2 v[0:1], v[2:3]
                                        ; implicit-def: $vgpr0_vgpr1
.LBB276_2397:
	s_andn2_saveexec_b64 s[4:5], s[4:5]
	s_cbranch_execz .LBB276_2399
; %bb.2398:
	v_cndmask_b32_e64 v2, 0, 1.0, vcc
	flat_store_dword v[0:1], v2
.LBB276_2399:
	s_or_b64 exec, exec, s[4:5]
                                        ; implicit-def: $vgpr0_vgpr1
.LBB276_2400:
	s_andn2_saveexec_b64 s[4:5], s[16:17]
	s_cbranch_execz .LBB276_2402
; %bb.2401:
	v_cndmask_b32_e64 v2, 0, 1.0, vcc
	v_cvt_f16_f32_e32 v2, v2
	flat_store_short v[0:1], v2
.LBB276_2402:
	s_or_b64 exec, exec, s[4:5]
.LBB276_2403:
	s_or_b64 exec, exec, s[14:15]
                                        ; implicit-def: $vgpr2
                                        ; implicit-def: $vgpr0_vgpr1
.LBB276_2404:
	s_andn2_saveexec_b64 s[12:13], s[12:13]
	s_cbranch_execz .LBB276_2422
; %bb.2405:
	v_cmp_lt_i16_e64 s[4:5], 1, v2
	s_and_saveexec_b64 s[14:15], s[4:5]
	s_xor_b64 s[14:15], exec, s[14:15]
	s_cbranch_execz .LBB276_2415
; %bb.2406:
	v_cmp_lt_i16_e64 s[4:5], 2, v2
	s_and_saveexec_b64 s[16:17], s[4:5]
	s_xor_b64 s[16:17], exec, s[16:17]
	;; [unrolled: 5-line block ×3, first 2 shown]
	s_cbranch_execz .LBB276_2409
; %bb.2408:
	s_mov_b32 s18, 0
	v_cndmask_b32_e64 v2, 0, 1, vcc
	v_mov_b32_e32 v3, s18
	flat_store_dwordx2 v[0:1], v[2:3]
                                        ; implicit-def: $vgpr0_vgpr1
.LBB276_2409:
	s_andn2_saveexec_b64 s[4:5], s[4:5]
	s_cbranch_execz .LBB276_2411
; %bb.2410:
	v_cndmask_b32_e64 v2, 0, 1, vcc
	flat_store_dword v[0:1], v2
.LBB276_2411:
	s_or_b64 exec, exec, s[4:5]
                                        ; implicit-def: $vgpr0_vgpr1
.LBB276_2412:
	s_andn2_saveexec_b64 s[4:5], s[16:17]
	s_cbranch_execz .LBB276_2414
; %bb.2413:
	v_cndmask_b32_e64 v2, 0, 1, vcc
	flat_store_short v[0:1], v2
.LBB276_2414:
	s_or_b64 exec, exec, s[4:5]
                                        ; implicit-def: $vgpr0_vgpr1
                                        ; implicit-def: $vgpr2
.LBB276_2415:
	s_andn2_saveexec_b64 s[14:15], s[14:15]
	s_cbranch_execz .LBB276_2421
; %bb.2416:
	v_cmp_lt_i16_e64 s[4:5], 0, v2
	v_cndmask_b32_e64 v2, 0, 1, vcc
	s_and_saveexec_b64 s[16:17], s[4:5]
	s_xor_b64 s[4:5], exec, s[16:17]
	s_cbranch_execz .LBB276_2418
; %bb.2417:
	flat_store_byte v[0:1], v2
                                        ; implicit-def: $vgpr0_vgpr1
                                        ; implicit-def: $vgpr2
.LBB276_2418:
	s_andn2_saveexec_b64 s[4:5], s[4:5]
	s_cbranch_execz .LBB276_2420
; %bb.2419:
	flat_store_byte v[0:1], v2
.LBB276_2420:
	s_or_b64 exec, exec, s[4:5]
.LBB276_2421:
	s_or_b64 exec, exec, s[14:15]
.LBB276_2422:
	s_or_b64 exec, exec, s[12:13]
	s_or_b64 s[6:7], s[6:7], exec
	s_or_b64 exec, exec, s[8:9]
	s_mov_b64 s[4:5], 0
	s_and_saveexec_b64 s[8:9], s[6:7]
	s_cbranch_execnz .LBB276_295
	s_branch .LBB276_296
.LBB276_2423:
	s_andn2_saveexec_b64 s[8:9], s[8:9]
	s_cbranch_execz .LBB276_1070
.LBB276_2424:
	v_cmp_lt_i16_e32 vcc, 22, v12
	s_mov_b64 s[14:15], s[10:11]
                                        ; implicit-def: $vgpr25
	s_and_saveexec_b64 s[6:7], vcc
	s_xor_b64 s[6:7], exec, s[6:7]
	s_cbranch_execz .LBB276_2456
; %bb.2425:
	v_cmp_lt_i16_e32 vcc, 23, v12
                                        ; implicit-def: $vgpr25
	s_and_saveexec_b64 s[14:15], vcc
	s_xor_b64 s[14:15], exec, s[14:15]
	s_cbranch_execz .LBB276_2445
; %bb.2426:
	v_cmp_lt_i16_e32 vcc, 24, v12
                                        ; implicit-def: $vgpr25
	s_and_saveexec_b64 s[16:17], vcc
	s_xor_b64 s[16:17], exec, s[16:17]
	s_cbranch_execz .LBB276_2442
; %bb.2427:
	flat_load_ubyte v7, v[5:6]
	s_movk_i32 s18, 0x7f
	s_waitcnt vmcnt(0) lgkmcnt(0)
	v_cmp_lt_i16_e32 vcc, s18, v7
	s_mov_b64 s[18:19], 0
	s_and_saveexec_b64 s[20:21], vcc
	s_xor_b64 s[20:21], exec, s[20:21]
	s_cbranch_execz .LBB276_2688
; %bb.2428:
	s_movk_i32 s18, 0x80
	v_cmp_eq_u16_e32 vcc, s18, v7
	s_mov_b64 s[18:19], -1
	s_and_saveexec_b64 s[22:23], vcc
; %bb.2429:
	s_xor_b64 s[18:19], exec, -1
; %bb.2430:
	s_or_b64 exec, exec, s[22:23]
	s_and_b64 s[18:19], s[18:19], exec
	s_or_saveexec_b64 s[20:21], s[20:21]
	v_mov_b32_e32 v3, 0x7f800001
	s_xor_b64 exec, exec, s[20:21]
	s_cbranch_execnz .LBB276_2689
.LBB276_2431:
	s_or_b64 exec, exec, s[20:21]
	s_and_saveexec_b64 s[20:21], s[18:19]
	s_cbranch_execz .LBB276_2433
.LBB276_2432:
	v_lshlrev_b32_e32 v3, 24, v7
	v_and_b32_e32 v7, 0xffff, v7
	v_and_b32_e32 v8, 3, v7
	v_ffbh_u32_e32 v10, v8
	v_min_u32_e32 v10, 32, v10
	v_subrev_u32_e32 v25, 29, v10
	v_bfe_u32 v9, v7, 2, 5
	v_lshlrev_b32_e32 v7, v25, v7
	v_sub_u32_e32 v10, 30, v10
	v_and_b32_e32 v7, 3, v7
	v_cmp_eq_u32_e32 vcc, 0, v9
	v_cndmask_b32_e32 v9, v9, v10, vcc
	v_cndmask_b32_e32 v7, v8, v7, vcc
	v_mov_b32_e32 v8, 0x37800000
	v_lshlrev_b32_e32 v7, 21, v7
	v_and_b32_e32 v3, 0x80000000, v3
	v_lshl_add_u32 v8, v9, 23, v8
	v_or3_b32 v3, v3, v8, v7
.LBB276_2433:
	s_or_b64 exec, exec, s[20:21]
	v_and_b32_e32 v8, 0x7fffffff, v3
	s_mov_b32 s18, 0x43f00000
	v_cmp_gt_u32_e32 vcc, s18, v8
                                        ; implicit-def: $vgpr7
	s_and_saveexec_b64 s[18:19], vcc
	s_xor_b64 s[18:19], exec, s[18:19]
	s_cbranch_execz .LBB276_2439
; %bb.2434:
	s_mov_b32 s20, 0x3c7fffff
	v_cmp_lt_u32_e32 vcc, s20, v8
                                        ; implicit-def: $vgpr7
	s_and_saveexec_b64 s[20:21], vcc
	s_xor_b64 s[20:21], exec, s[20:21]
; %bb.2435:
	v_bfe_u32 v7, v3, 20, 1
	s_mov_b32 s22, 0x407ffff
	v_add3_u32 v7, v3, v7, s22
	v_lshrrev_b32_e32 v8, 20, v7
	v_and_b32_e32 v7, 0xff00000, v7
	s_mov_b32 s22, 0x7f00000
	v_mov_b32_e32 v9, 0x7e
	v_cmp_ne_u32_e32 vcc, s22, v7
	v_cndmask_b32_e32 v7, v9, v8, vcc
; %bb.2436:
	s_andn2_saveexec_b64 s[20:21], s[20:21]
; %bb.2437:
	s_mov_b32 s22, 0x46800000
	v_add_f32_e64 v7, |v3|, s22
; %bb.2438:
	s_or_b64 exec, exec, s[20:21]
                                        ; implicit-def: $vgpr8
.LBB276_2439:
	s_andn2_saveexec_b64 s[18:19], s[18:19]
; %bb.2440:
	s_mov_b32 s20, 0x7f800000
	v_mov_b32_e32 v7, 0x7e
	v_mov_b32_e32 v9, 0x7f
	v_cmp_lt_u32_e32 vcc, s20, v8
	v_cndmask_b32_e32 v7, v7, v9, vcc
; %bb.2441:
	s_or_b64 exec, exec, s[18:19]
	v_lshrrev_b32_e32 v3, 24, v3
	s_movk_i32 s18, 0x80
	v_and_or_b32 v25, v3, s18, v7
.LBB276_2442:
	s_andn2_saveexec_b64 s[16:17], s[16:17]
	s_cbranch_execz .LBB276_2444
; %bb.2443:
	flat_load_ubyte v25, v[5:6]
.LBB276_2444:
	s_or_b64 exec, exec, s[16:17]
.LBB276_2445:
	s_andn2_saveexec_b64 s[14:15], s[14:15]
	s_cbranch_execz .LBB276_2455
; %bb.2446:
	flat_load_ubyte v3, v[5:6]
	s_movk_i32 s16, 0x7f00
	s_brev_b32 s17, 16
	s_brev_b32 s18, 1
	s_waitcnt vmcnt(0) lgkmcnt(0)
	v_lshlrev_b16_e32 v7, 8, v3
	v_lshlrev_b32_e32 v3, 25, v3
	v_lshrrev_b32_e32 v8, 4, v3
	v_and_or_b32 v9, v7, s16, 0.5
	v_or_b32_e32 v8, 0x70000000, v8
	v_add_f32_e32 v9, -0.5, v9
	v_mul_f32_e32 v8, 0x7800000, v8
	v_cmp_gt_u32_e32 vcc, s17, v3
	v_bfe_i32 v7, v7, 0, 16
	v_cndmask_b32_e32 v9, v8, v9, vcc
	v_and_or_b32 v3, v7, s18, v9
	v_and_b32_e32 v8, 0x7fffffff, v3
	s_mov_b32 s16, 0x43f00000
	v_cmp_gt_u32_e32 vcc, s16, v8
                                        ; implicit-def: $vgpr7
	s_and_saveexec_b64 s[16:17], vcc
	s_xor_b64 s[16:17], exec, s[16:17]
	s_cbranch_execz .LBB276_2452
; %bb.2447:
	s_mov_b32 s18, 0x3c7fffff
	v_cmp_lt_u32_e32 vcc, s18, v8
                                        ; implicit-def: $vgpr7
	s_and_saveexec_b64 s[18:19], vcc
	s_xor_b64 s[18:19], exec, s[18:19]
; %bb.2448:
	v_bfe_u32 v7, v9, 20, 1
	s_mov_b32 s20, 0x407ffff
	v_add3_u32 v7, v3, v7, s20
	v_lshrrev_b32_e32 v8, 20, v7
	v_and_b32_e32 v7, 0xff00000, v7
	s_mov_b32 s20, 0x7f00000
	v_mov_b32_e32 v9, 0x7e
	v_cmp_ne_u32_e32 vcc, s20, v7
	v_cndmask_b32_e32 v7, v9, v8, vcc
; %bb.2449:
	s_andn2_saveexec_b64 s[18:19], s[18:19]
; %bb.2450:
	s_mov_b32 s20, 0x46800000
	v_add_f32_e64 v7, |v3|, s20
; %bb.2451:
	s_or_b64 exec, exec, s[18:19]
                                        ; implicit-def: $vgpr8
.LBB276_2452:
	s_andn2_saveexec_b64 s[16:17], s[16:17]
; %bb.2453:
	s_mov_b32 s18, 0x7f800000
	v_mov_b32_e32 v7, 0x7e
	v_mov_b32_e32 v9, 0x7f
	v_cmp_lt_u32_e32 vcc, s18, v8
	v_cndmask_b32_e32 v7, v7, v9, vcc
; %bb.2454:
	s_or_b64 exec, exec, s[16:17]
	v_lshrrev_b32_e32 v3, 24, v3
	s_movk_i32 s16, 0x80
	v_and_or_b32 v25, v3, s16, v7
.LBB276_2455:
	s_or_b64 exec, exec, s[14:15]
	s_or_b64 s[14:15], s[10:11], exec
.LBB276_2456:
	s_or_saveexec_b64 s[6:7], s[6:7]
	s_mov_b64 s[16:17], 0
	s_mov_b64 s[18:19], s[12:13]
	s_xor_b64 exec, exec, s[6:7]
	s_cbranch_execz .LBB276_2472
; %bb.2457:
	v_cmp_lt_i16_e32 vcc, 14, v12
	s_mov_b64 s[18:19], s[12:13]
	s_mov_b64 s[20:21], s[14:15]
                                        ; implicit-def: $vgpr25
	s_and_saveexec_b64 s[16:17], vcc
	s_xor_b64 s[16:17], exec, s[16:17]
	s_cbranch_execz .LBB276_2469
; %bb.2458:
	v_cmp_eq_u16_e32 vcc, 15, v12
	s_mov_b64 s[22:23], -1
	s_mov_b64 s[20:21], s[14:15]
                                        ; implicit-def: $vgpr25
	s_and_saveexec_b64 s[18:19], vcc
	s_cbranch_execz .LBB276_2468
; %bb.2459:
	flat_load_ushort v3, v[5:6]
	s_mov_b32 s20, 0x43f00000
                                        ; implicit-def: $vgpr7
	s_waitcnt vmcnt(0) lgkmcnt(0)
	v_lshlrev_b32_e32 v8, 16, v3
	v_and_b32_e32 v9, 0x7fffffff, v8
	v_cmp_gt_u32_e32 vcc, s20, v9
	s_and_saveexec_b64 s[20:21], vcc
	s_xor_b64 s[20:21], exec, s[20:21]
	s_cbranch_execz .LBB276_2465
; %bb.2460:
	s_mov_b32 s22, 0x3c7fffff
	v_cmp_lt_u32_e32 vcc, s22, v9
                                        ; implicit-def: $vgpr7
	s_and_saveexec_b64 s[22:23], vcc
	s_xor_b64 s[22:23], exec, s[22:23]
; %bb.2461:
	v_bfe_u32 v7, v3, 4, 1
	s_mov_b32 s24, 0x407ffff
	v_add3_u32 v7, v8, v7, s24
	v_lshrrev_b32_e32 v8, 20, v7
	v_and_b32_e32 v7, 0xff00000, v7
	s_mov_b32 s24, 0x7f00000
	v_mov_b32_e32 v9, 0x7e
	v_cmp_ne_u32_e32 vcc, s24, v7
	v_cndmask_b32_e32 v7, v9, v8, vcc
                                        ; implicit-def: $vgpr8
; %bb.2462:
	s_andn2_saveexec_b64 s[22:23], s[22:23]
; %bb.2463:
	s_mov_b32 s24, 0x46800000
	v_add_f32_e64 v7, |v8|, s24
; %bb.2464:
	s_or_b64 exec, exec, s[22:23]
                                        ; implicit-def: $vgpr9
.LBB276_2465:
	s_andn2_saveexec_b64 s[20:21], s[20:21]
; %bb.2466:
	s_mov_b32 s22, 0x7f800000
	v_mov_b32_e32 v7, 0x7e
	v_mov_b32_e32 v8, 0x7f
	v_cmp_lt_u32_e32 vcc, s22, v9
	v_cndmask_b32_e32 v7, v7, v8, vcc
; %bb.2467:
	s_or_b64 exec, exec, s[20:21]
	v_lshrrev_b32_e32 v3, 8, v3
	s_movk_i32 s20, 0x80
	v_and_or_b32 v25, v3, s20, v7
	s_or_b64 s[20:21], s[14:15], exec
	s_xor_b64 s[22:23], exec, -1
.LBB276_2468:
	s_or_b64 exec, exec, s[18:19]
	s_andn2_b64 s[18:19], s[14:15], exec
	s_and_b64 s[20:21], s[20:21], exec
	s_or_b64 s[20:21], s[18:19], s[20:21]
	s_andn2_b64 s[18:19], s[12:13], exec
	s_and_b64 s[22:23], s[22:23], exec
	s_or_b64 s[18:19], s[18:19], s[22:23]
.LBB276_2469:
	s_or_saveexec_b64 s[16:17], s[16:17]
	s_mov_b64 s[22:23], 0
	s_xor_b64 exec, exec, s[16:17]
; %bb.2470:
	v_cmp_ne_u16_e32 vcc, 11, v12
	s_andn2_b64 s[18:19], s[18:19], exec
	s_and_b64 s[24:25], vcc, exec
	s_mov_b64 s[22:23], exec
	s_or_b64 s[18:19], s[18:19], s[24:25]
; %bb.2471:
	s_or_b64 exec, exec, s[16:17]
	s_andn2_b64 s[14:15], s[14:15], exec
	s_and_b64 s[16:17], s[20:21], exec
	s_andn2_b64 s[20:21], s[12:13], exec
	s_and_b64 s[18:19], s[18:19], exec
	s_or_b64 s[14:15], s[14:15], s[16:17]
	s_and_b64 s[16:17], s[22:23], exec
	s_or_b64 s[18:19], s[20:21], s[18:19]
.LBB276_2472:
	s_or_b64 exec, exec, s[6:7]
	s_andn2_b64 s[6:7], s[10:11], exec
	s_and_b64 s[10:11], s[14:15], exec
	s_andn2_b64 s[12:13], s[12:13], exec
	s_and_b64 s[14:15], s[18:19], exec
	s_or_b64 s[10:11], s[6:7], s[10:11]
	s_and_b64 s[6:7], s[16:17], exec
	s_or_b64 s[12:13], s[12:13], s[14:15]
	s_or_b64 exec, exec, s[8:9]
	s_mov_b64 s[8:9], s[44:45]
	s_and_saveexec_b64 s[14:15], s[12:13]
	s_cbranch_execz .LBB276_1071
.LBB276_2473:
	s_trap 2
	s_or_b64 s[8:9], s[44:45], exec
	s_andn2_b64 s[6:7], s[6:7], exec
	s_or_b64 exec, exec, s[14:15]
	s_and_saveexec_b64 s[12:13], s[6:7]
	s_cbranch_execnz .LBB276_1072
	s_branch .LBB276_1081
.LBB276_2474:
	s_or_saveexec_b64 s[20:21], s[20:21]
	v_mov_b32_e32 v3, 0x7f800001
	s_xor_b64 exec, exec, s[20:21]
	s_cbranch_execz .LBB276_605
.LBB276_2475:
	v_cmp_ne_u16_e32 vcc, 0, v5
	s_andn2_b64 s[18:19], s[18:19], exec
	s_and_b64 s[22:23], vcc, exec
	v_mov_b32_e32 v3, 0
	s_or_b64 s[18:19], s[18:19], s[22:23]
	s_or_b64 exec, exec, s[20:21]
	s_and_saveexec_b64 s[20:21], s[18:19]
	s_cbranch_execnz .LBB276_606
	s_branch .LBB276_607
.LBB276_2476:
	s_andn2_saveexec_b64 s[8:9], s[8:9]
	s_cbranch_execz .LBB276_1296
.LBB276_2477:
	v_cmp_lt_i16_e32 vcc, 22, v11
	s_mov_b64 s[14:15], s[10:11]
                                        ; implicit-def: $vgpr26
	s_and_saveexec_b64 s[6:7], vcc
	s_xor_b64 s[6:7], exec, s[6:7]
	s_cbranch_execz .LBB276_2509
; %bb.2478:
	v_cmp_lt_i16_e32 vcc, 23, v11
                                        ; implicit-def: $vgpr26
	s_and_saveexec_b64 s[14:15], vcc
	s_xor_b64 s[14:15], exec, s[14:15]
	s_cbranch_execz .LBB276_2498
; %bb.2479:
	v_cmp_lt_i16_e32 vcc, 24, v11
                                        ; implicit-def: $vgpr26
	s_and_saveexec_b64 s[16:17], vcc
	s_xor_b64 s[16:17], exec, s[16:17]
	s_cbranch_execz .LBB276_2495
; %bb.2480:
	flat_load_ubyte v6, v[3:4]
	s_movk_i32 s18, 0x7f
	s_waitcnt vmcnt(0) lgkmcnt(0)
	v_cmp_lt_i16_e32 vcc, s18, v6
	s_mov_b64 s[18:19], 0
	s_and_saveexec_b64 s[20:21], vcc
	s_xor_b64 s[20:21], exec, s[20:21]
	s_cbranch_execz .LBB276_2739
; %bb.2481:
	s_movk_i32 s18, 0x80
	v_cmp_eq_u16_e32 vcc, s18, v6
	s_mov_b64 s[18:19], -1
	s_and_saveexec_b64 s[22:23], vcc
; %bb.2482:
	s_xor_b64 s[18:19], exec, -1
; %bb.2483:
	s_or_b64 exec, exec, s[22:23]
	s_and_b64 s[18:19], s[18:19], exec
	s_or_saveexec_b64 s[20:21], s[20:21]
	v_mov_b32_e32 v5, 0x7f800001
	s_xor_b64 exec, exec, s[20:21]
	s_cbranch_execnz .LBB276_2740
.LBB276_2484:
	s_or_b64 exec, exec, s[20:21]
	s_and_saveexec_b64 s[20:21], s[18:19]
	s_cbranch_execz .LBB276_2486
.LBB276_2485:
	v_lshlrev_b32_e32 v5, 24, v6
	v_and_b32_e32 v6, 0xffff, v6
	v_and_b32_e32 v7, 3, v6
	v_ffbh_u32_e32 v9, v7
	v_min_u32_e32 v9, 32, v9
	v_subrev_u32_e32 v10, 29, v9
	v_bfe_u32 v8, v6, 2, 5
	v_lshlrev_b32_e32 v6, v10, v6
	v_sub_u32_e32 v9, 30, v9
	v_and_b32_e32 v6, 3, v6
	v_cmp_eq_u32_e32 vcc, 0, v8
	v_cndmask_b32_e32 v8, v8, v9, vcc
	v_cndmask_b32_e32 v6, v7, v6, vcc
	v_mov_b32_e32 v7, 0x37800000
	v_lshlrev_b32_e32 v6, 21, v6
	v_and_b32_e32 v5, 0x80000000, v5
	v_lshl_add_u32 v7, v8, 23, v7
	v_or3_b32 v5, v5, v7, v6
.LBB276_2486:
	s_or_b64 exec, exec, s[20:21]
	v_and_b32_e32 v7, 0x7fffffff, v5
	s_mov_b32 s18, 0x43f00000
	v_cmp_gt_u32_e32 vcc, s18, v7
                                        ; implicit-def: $vgpr6
	s_and_saveexec_b64 s[18:19], vcc
	s_xor_b64 s[18:19], exec, s[18:19]
	s_cbranch_execz .LBB276_2492
; %bb.2487:
	s_mov_b32 s20, 0x3c7fffff
	v_cmp_lt_u32_e32 vcc, s20, v7
                                        ; implicit-def: $vgpr6
	s_and_saveexec_b64 s[20:21], vcc
	s_xor_b64 s[20:21], exec, s[20:21]
; %bb.2488:
	v_bfe_u32 v6, v5, 20, 1
	s_mov_b32 s22, 0x407ffff
	v_add3_u32 v6, v5, v6, s22
	v_lshrrev_b32_e32 v7, 20, v6
	v_and_b32_e32 v6, 0xff00000, v6
	s_mov_b32 s22, 0x7f00000
	v_mov_b32_e32 v8, 0x7e
	v_cmp_ne_u32_e32 vcc, s22, v6
	v_cndmask_b32_e32 v6, v8, v7, vcc
; %bb.2489:
	s_andn2_saveexec_b64 s[20:21], s[20:21]
; %bb.2490:
	s_mov_b32 s22, 0x46800000
	v_add_f32_e64 v6, |v5|, s22
; %bb.2491:
	s_or_b64 exec, exec, s[20:21]
                                        ; implicit-def: $vgpr7
.LBB276_2492:
	s_andn2_saveexec_b64 s[18:19], s[18:19]
; %bb.2493:
	s_mov_b32 s20, 0x7f800000
	v_mov_b32_e32 v6, 0x7e
	v_mov_b32_e32 v8, 0x7f
	v_cmp_lt_u32_e32 vcc, s20, v7
	v_cndmask_b32_e32 v6, v6, v8, vcc
; %bb.2494:
	s_or_b64 exec, exec, s[18:19]
	v_lshrrev_b32_e32 v5, 24, v5
	s_movk_i32 s18, 0x80
	v_and_or_b32 v26, v5, s18, v6
.LBB276_2495:
	s_andn2_saveexec_b64 s[16:17], s[16:17]
	s_cbranch_execz .LBB276_2497
; %bb.2496:
	flat_load_ubyte v26, v[3:4]
.LBB276_2497:
	s_or_b64 exec, exec, s[16:17]
.LBB276_2498:
	s_andn2_saveexec_b64 s[14:15], s[14:15]
	s_cbranch_execz .LBB276_2508
; %bb.2499:
	flat_load_ubyte v5, v[3:4]
	s_movk_i32 s16, 0x7f00
	s_brev_b32 s17, 16
	s_brev_b32 s18, 1
	s_waitcnt vmcnt(0) lgkmcnt(0)
	v_lshlrev_b16_e32 v6, 8, v5
	v_lshlrev_b32_e32 v5, 25, v5
	v_lshrrev_b32_e32 v7, 4, v5
	v_and_or_b32 v8, v6, s16, 0.5
	v_or_b32_e32 v7, 0x70000000, v7
	v_add_f32_e32 v8, -0.5, v8
	v_mul_f32_e32 v7, 0x7800000, v7
	v_cmp_gt_u32_e32 vcc, s17, v5
	v_bfe_i32 v6, v6, 0, 16
	v_cndmask_b32_e32 v8, v7, v8, vcc
	v_and_or_b32 v5, v6, s18, v8
	v_and_b32_e32 v7, 0x7fffffff, v5
	s_mov_b32 s16, 0x43f00000
	v_cmp_gt_u32_e32 vcc, s16, v7
                                        ; implicit-def: $vgpr6
	s_and_saveexec_b64 s[16:17], vcc
	s_xor_b64 s[16:17], exec, s[16:17]
	s_cbranch_execz .LBB276_2505
; %bb.2500:
	s_mov_b32 s18, 0x3c7fffff
	v_cmp_lt_u32_e32 vcc, s18, v7
                                        ; implicit-def: $vgpr6
	s_and_saveexec_b64 s[18:19], vcc
	s_xor_b64 s[18:19], exec, s[18:19]
; %bb.2501:
	v_bfe_u32 v6, v8, 20, 1
	s_mov_b32 s20, 0x407ffff
	v_add3_u32 v6, v5, v6, s20
	v_lshrrev_b32_e32 v7, 20, v6
	v_and_b32_e32 v6, 0xff00000, v6
	s_mov_b32 s20, 0x7f00000
	v_mov_b32_e32 v8, 0x7e
	v_cmp_ne_u32_e32 vcc, s20, v6
	v_cndmask_b32_e32 v6, v8, v7, vcc
; %bb.2502:
	s_andn2_saveexec_b64 s[18:19], s[18:19]
; %bb.2503:
	s_mov_b32 s20, 0x46800000
	v_add_f32_e64 v6, |v5|, s20
; %bb.2504:
	s_or_b64 exec, exec, s[18:19]
                                        ; implicit-def: $vgpr7
.LBB276_2505:
	s_andn2_saveexec_b64 s[16:17], s[16:17]
; %bb.2506:
	s_mov_b32 s18, 0x7f800000
	v_mov_b32_e32 v6, 0x7e
	v_mov_b32_e32 v8, 0x7f
	v_cmp_lt_u32_e32 vcc, s18, v7
	v_cndmask_b32_e32 v6, v6, v8, vcc
; %bb.2507:
	s_or_b64 exec, exec, s[16:17]
	v_lshrrev_b32_e32 v5, 24, v5
	s_movk_i32 s16, 0x80
	v_and_or_b32 v26, v5, s16, v6
.LBB276_2508:
	s_or_b64 exec, exec, s[14:15]
	s_or_b64 s[14:15], s[10:11], exec
.LBB276_2509:
	s_or_saveexec_b64 s[6:7], s[6:7]
	s_mov_b64 s[16:17], 0
	s_mov_b64 s[18:19], s[12:13]
	s_xor_b64 exec, exec, s[6:7]
	s_cbranch_execz .LBB276_2525
; %bb.2510:
	v_cmp_lt_i16_e32 vcc, 14, v11
	s_mov_b64 s[18:19], s[12:13]
	s_mov_b64 s[20:21], s[14:15]
                                        ; implicit-def: $vgpr26
	s_and_saveexec_b64 s[16:17], vcc
	s_xor_b64 s[16:17], exec, s[16:17]
	s_cbranch_execz .LBB276_2522
; %bb.2511:
	v_cmp_eq_u16_e32 vcc, 15, v11
	s_mov_b64 s[22:23], -1
	s_mov_b64 s[20:21], s[14:15]
                                        ; implicit-def: $vgpr26
	s_and_saveexec_b64 s[18:19], vcc
	s_cbranch_execz .LBB276_2521
; %bb.2512:
	flat_load_ushort v5, v[3:4]
	s_mov_b32 s20, 0x43f00000
                                        ; implicit-def: $vgpr6
	s_waitcnt vmcnt(0) lgkmcnt(0)
	v_lshlrev_b32_e32 v7, 16, v5
	v_and_b32_e32 v8, 0x7fffffff, v7
	v_cmp_gt_u32_e32 vcc, s20, v8
	s_and_saveexec_b64 s[20:21], vcc
	s_xor_b64 s[20:21], exec, s[20:21]
	s_cbranch_execz .LBB276_2518
; %bb.2513:
	s_mov_b32 s22, 0x3c7fffff
	v_cmp_lt_u32_e32 vcc, s22, v8
                                        ; implicit-def: $vgpr6
	s_and_saveexec_b64 s[22:23], vcc
	s_xor_b64 s[22:23], exec, s[22:23]
; %bb.2514:
	v_bfe_u32 v6, v5, 4, 1
	s_mov_b32 s24, 0x407ffff
	v_add3_u32 v6, v7, v6, s24
	v_lshrrev_b32_e32 v7, 20, v6
	v_and_b32_e32 v6, 0xff00000, v6
	s_mov_b32 s24, 0x7f00000
	v_mov_b32_e32 v8, 0x7e
	v_cmp_ne_u32_e32 vcc, s24, v6
	v_cndmask_b32_e32 v6, v8, v7, vcc
                                        ; implicit-def: $vgpr7
; %bb.2515:
	s_andn2_saveexec_b64 s[22:23], s[22:23]
; %bb.2516:
	s_mov_b32 s24, 0x46800000
	v_add_f32_e64 v6, |v7|, s24
; %bb.2517:
	s_or_b64 exec, exec, s[22:23]
                                        ; implicit-def: $vgpr8
.LBB276_2518:
	s_andn2_saveexec_b64 s[20:21], s[20:21]
; %bb.2519:
	s_mov_b32 s22, 0x7f800000
	v_mov_b32_e32 v6, 0x7e
	v_mov_b32_e32 v7, 0x7f
	v_cmp_lt_u32_e32 vcc, s22, v8
	v_cndmask_b32_e32 v6, v6, v7, vcc
; %bb.2520:
	s_or_b64 exec, exec, s[20:21]
	v_lshrrev_b32_e32 v5, 8, v5
	s_movk_i32 s20, 0x80
	v_and_or_b32 v26, v5, s20, v6
	s_or_b64 s[20:21], s[14:15], exec
	s_xor_b64 s[22:23], exec, -1
.LBB276_2521:
	s_or_b64 exec, exec, s[18:19]
	s_andn2_b64 s[18:19], s[14:15], exec
	s_and_b64 s[20:21], s[20:21], exec
	s_or_b64 s[20:21], s[18:19], s[20:21]
	s_andn2_b64 s[18:19], s[12:13], exec
	s_and_b64 s[22:23], s[22:23], exec
	s_or_b64 s[18:19], s[18:19], s[22:23]
.LBB276_2522:
	s_or_saveexec_b64 s[16:17], s[16:17]
	s_mov_b64 s[22:23], 0
	s_xor_b64 exec, exec, s[16:17]
; %bb.2523:
	v_cmp_ne_u16_e32 vcc, 11, v11
	s_andn2_b64 s[18:19], s[18:19], exec
	s_and_b64 s[24:25], vcc, exec
	s_mov_b64 s[22:23], exec
	s_or_b64 s[18:19], s[18:19], s[24:25]
; %bb.2524:
	s_or_b64 exec, exec, s[16:17]
	s_andn2_b64 s[14:15], s[14:15], exec
	s_and_b64 s[16:17], s[20:21], exec
	s_andn2_b64 s[20:21], s[12:13], exec
	s_and_b64 s[18:19], s[18:19], exec
	s_or_b64 s[14:15], s[14:15], s[16:17]
	s_and_b64 s[16:17], s[22:23], exec
	s_or_b64 s[18:19], s[20:21], s[18:19]
.LBB276_2525:
	s_or_b64 exec, exec, s[6:7]
	s_andn2_b64 s[6:7], s[10:11], exec
	s_and_b64 s[10:11], s[14:15], exec
	s_andn2_b64 s[12:13], s[12:13], exec
	s_and_b64 s[14:15], s[18:19], exec
	s_or_b64 s[10:11], s[6:7], s[10:11]
	s_and_b64 s[6:7], s[16:17], exec
	s_or_b64 s[12:13], s[12:13], s[14:15]
	s_or_b64 exec, exec, s[8:9]
	s_mov_b64 s[8:9], s[48:49]
	s_and_saveexec_b64 s[14:15], s[12:13]
	s_cbranch_execz .LBB276_1297
.LBB276_2526:
	s_trap 2
	s_or_b64 s[8:9], s[48:49], exec
	s_andn2_b64 s[6:7], s[6:7], exec
	s_or_b64 exec, exec, s[14:15]
	s_and_saveexec_b64 s[12:13], s[6:7]
	s_cbranch_execnz .LBB276_1298
	s_branch .LBB276_1307
.LBB276_2527:
	s_or_saveexec_b64 s[20:21], s[20:21]
	v_mov_b32_e32 v3, 0x7f800001
	s_xor_b64 exec, exec, s[20:21]
	s_cbranch_execz .LBB276_831
.LBB276_2528:
	v_cmp_ne_u16_e32 vcc, 0, v5
	s_andn2_b64 s[18:19], s[18:19], exec
	s_and_b64 s[22:23], vcc, exec
	v_mov_b32_e32 v3, 0
	s_or_b64 s[18:19], s[18:19], s[22:23]
	s_or_b64 exec, exec, s[20:21]
	s_and_saveexec_b64 s[20:21], s[18:19]
	s_cbranch_execnz .LBB276_832
	s_branch .LBB276_833
.LBB276_2529:
	s_andn2_saveexec_b64 s[8:9], s[8:9]
	s_cbranch_execz .LBB276_1522
.LBB276_2530:
	v_cmp_lt_i16_e32 vcc, 22, v12
	s_mov_b64 s[14:15], s[10:11]
                                        ; implicit-def: $vgpr24
	s_and_saveexec_b64 s[6:7], vcc
	s_xor_b64 s[6:7], exec, s[6:7]
	s_cbranch_execz .LBB276_2562
; %bb.2531:
	v_cmp_lt_i16_e32 vcc, 23, v12
                                        ; implicit-def: $vgpr24
	s_and_saveexec_b64 s[14:15], vcc
	s_xor_b64 s[14:15], exec, s[14:15]
	s_cbranch_execz .LBB276_2551
; %bb.2532:
	v_cmp_lt_i16_e32 vcc, 24, v12
                                        ; implicit-def: $vgpr24
	s_and_saveexec_b64 s[16:17], vcc
	s_xor_b64 s[16:17], exec, s[16:17]
	s_cbranch_execz .LBB276_2548
; %bb.2533:
	flat_load_ubyte v4, v[1:2]
	s_movk_i32 s18, 0x7f
	s_waitcnt vmcnt(0) lgkmcnt(0)
	v_cmp_lt_i16_e32 vcc, s18, v4
	s_mov_b64 s[18:19], 0
	s_and_saveexec_b64 s[20:21], vcc
	s_xor_b64 s[20:21], exec, s[20:21]
	s_cbranch_execz .LBB276_2790
; %bb.2534:
	s_movk_i32 s18, 0x80
	v_cmp_eq_u16_e32 vcc, s18, v4
	s_mov_b64 s[18:19], -1
	s_and_saveexec_b64 s[22:23], vcc
; %bb.2535:
	s_xor_b64 s[18:19], exec, -1
; %bb.2536:
	s_or_b64 exec, exec, s[22:23]
	s_and_b64 s[18:19], s[18:19], exec
	s_or_saveexec_b64 s[20:21], s[20:21]
	v_mov_b32_e32 v3, 0x7f800001
	s_xor_b64 exec, exec, s[20:21]
	s_cbranch_execnz .LBB276_2791
.LBB276_2537:
	s_or_b64 exec, exec, s[20:21]
	s_and_saveexec_b64 s[20:21], s[18:19]
	s_cbranch_execz .LBB276_2539
.LBB276_2538:
	v_lshlrev_b32_e32 v3, 24, v4
	v_and_b32_e32 v4, 0xffff, v4
	v_and_b32_e32 v5, 3, v4
	v_ffbh_u32_e32 v7, v5
	v_min_u32_e32 v7, 32, v7
	v_subrev_u32_e32 v8, 29, v7
	v_bfe_u32 v6, v4, 2, 5
	v_lshlrev_b32_e32 v4, v8, v4
	v_sub_u32_e32 v7, 30, v7
	v_and_b32_e32 v4, 3, v4
	v_cmp_eq_u32_e32 vcc, 0, v6
	v_cndmask_b32_e32 v6, v6, v7, vcc
	v_cndmask_b32_e32 v4, v5, v4, vcc
	v_mov_b32_e32 v5, 0x37800000
	v_lshlrev_b32_e32 v4, 21, v4
	v_and_b32_e32 v3, 0x80000000, v3
	v_lshl_add_u32 v5, v6, 23, v5
	v_or3_b32 v3, v3, v5, v4
.LBB276_2539:
	s_or_b64 exec, exec, s[20:21]
	v_and_b32_e32 v5, 0x7fffffff, v3
	s_mov_b32 s18, 0x43f00000
	v_cmp_gt_u32_e32 vcc, s18, v5
                                        ; implicit-def: $vgpr4
	s_and_saveexec_b64 s[18:19], vcc
	s_xor_b64 s[18:19], exec, s[18:19]
	s_cbranch_execz .LBB276_2545
; %bb.2540:
	s_mov_b32 s20, 0x3c7fffff
	v_cmp_lt_u32_e32 vcc, s20, v5
                                        ; implicit-def: $vgpr4
	s_and_saveexec_b64 s[20:21], vcc
	s_xor_b64 s[20:21], exec, s[20:21]
; %bb.2541:
	v_bfe_u32 v4, v3, 20, 1
	s_mov_b32 s22, 0x407ffff
	v_add3_u32 v4, v3, v4, s22
	v_lshrrev_b32_e32 v5, 20, v4
	v_and_b32_e32 v4, 0xff00000, v4
	s_mov_b32 s22, 0x7f00000
	v_mov_b32_e32 v6, 0x7e
	v_cmp_ne_u32_e32 vcc, s22, v4
	v_cndmask_b32_e32 v4, v6, v5, vcc
; %bb.2542:
	s_andn2_saveexec_b64 s[20:21], s[20:21]
; %bb.2543:
	s_mov_b32 s22, 0x46800000
	v_add_f32_e64 v4, |v3|, s22
; %bb.2544:
	s_or_b64 exec, exec, s[20:21]
                                        ; implicit-def: $vgpr5
.LBB276_2545:
	s_andn2_saveexec_b64 s[18:19], s[18:19]
; %bb.2546:
	s_mov_b32 s20, 0x7f800000
	v_mov_b32_e32 v4, 0x7e
	v_mov_b32_e32 v6, 0x7f
	v_cmp_lt_u32_e32 vcc, s20, v5
	v_cndmask_b32_e32 v4, v4, v6, vcc
; %bb.2547:
	s_or_b64 exec, exec, s[18:19]
	v_lshrrev_b32_e32 v3, 24, v3
	s_movk_i32 s18, 0x80
	v_and_or_b32 v24, v3, s18, v4
.LBB276_2548:
	s_andn2_saveexec_b64 s[16:17], s[16:17]
	s_cbranch_execz .LBB276_2550
; %bb.2549:
	flat_load_ubyte v24, v[1:2]
.LBB276_2550:
	s_or_b64 exec, exec, s[16:17]
.LBB276_2551:
	s_andn2_saveexec_b64 s[14:15], s[14:15]
	s_cbranch_execz .LBB276_2561
; %bb.2552:
	flat_load_ubyte v3, v[1:2]
	s_movk_i32 s16, 0x7f00
	s_brev_b32 s17, 16
	s_brev_b32 s18, 1
	s_waitcnt vmcnt(0) lgkmcnt(0)
	v_lshlrev_b16_e32 v4, 8, v3
	v_lshlrev_b32_e32 v3, 25, v3
	v_lshrrev_b32_e32 v5, 4, v3
	v_and_or_b32 v6, v4, s16, 0.5
	v_or_b32_e32 v5, 0x70000000, v5
	v_add_f32_e32 v6, -0.5, v6
	v_mul_f32_e32 v5, 0x7800000, v5
	v_cmp_gt_u32_e32 vcc, s17, v3
	v_bfe_i32 v4, v4, 0, 16
	v_cndmask_b32_e32 v6, v5, v6, vcc
	v_and_or_b32 v3, v4, s18, v6
	v_and_b32_e32 v5, 0x7fffffff, v3
	s_mov_b32 s16, 0x43f00000
	v_cmp_gt_u32_e32 vcc, s16, v5
                                        ; implicit-def: $vgpr4
	s_and_saveexec_b64 s[16:17], vcc
	s_xor_b64 s[16:17], exec, s[16:17]
	s_cbranch_execz .LBB276_2558
; %bb.2553:
	s_mov_b32 s18, 0x3c7fffff
	v_cmp_lt_u32_e32 vcc, s18, v5
                                        ; implicit-def: $vgpr4
	s_and_saveexec_b64 s[18:19], vcc
	s_xor_b64 s[18:19], exec, s[18:19]
; %bb.2554:
	v_bfe_u32 v4, v6, 20, 1
	s_mov_b32 s20, 0x407ffff
	v_add3_u32 v4, v3, v4, s20
	v_lshrrev_b32_e32 v5, 20, v4
	v_and_b32_e32 v4, 0xff00000, v4
	s_mov_b32 s20, 0x7f00000
	v_mov_b32_e32 v6, 0x7e
	v_cmp_ne_u32_e32 vcc, s20, v4
	v_cndmask_b32_e32 v4, v6, v5, vcc
; %bb.2555:
	s_andn2_saveexec_b64 s[18:19], s[18:19]
; %bb.2556:
	s_mov_b32 s20, 0x46800000
	v_add_f32_e64 v4, |v3|, s20
; %bb.2557:
	s_or_b64 exec, exec, s[18:19]
                                        ; implicit-def: $vgpr5
.LBB276_2558:
	s_andn2_saveexec_b64 s[16:17], s[16:17]
; %bb.2559:
	s_mov_b32 s18, 0x7f800000
	v_mov_b32_e32 v4, 0x7e
	v_mov_b32_e32 v6, 0x7f
	v_cmp_lt_u32_e32 vcc, s18, v5
	v_cndmask_b32_e32 v4, v4, v6, vcc
; %bb.2560:
	s_or_b64 exec, exec, s[16:17]
	v_lshrrev_b32_e32 v3, 24, v3
	s_movk_i32 s16, 0x80
	v_and_or_b32 v24, v3, s16, v4
.LBB276_2561:
	s_or_b64 exec, exec, s[14:15]
	s_or_b64 s[14:15], s[10:11], exec
                                        ; implicit-def: $vgpr12
.LBB276_2562:
	s_or_saveexec_b64 s[6:7], s[6:7]
	s_mov_b64 s[16:17], 0
	s_mov_b64 s[18:19], s[12:13]
	s_xor_b64 exec, exec, s[6:7]
	s_cbranch_execz .LBB276_2578
; %bb.2563:
	v_cmp_lt_i16_e32 vcc, 14, v12
	s_mov_b64 s[18:19], s[12:13]
	s_mov_b64 s[20:21], s[14:15]
                                        ; implicit-def: $vgpr24
	s_and_saveexec_b64 s[16:17], vcc
	s_xor_b64 s[16:17], exec, s[16:17]
	s_cbranch_execz .LBB276_2575
; %bb.2564:
	v_cmp_eq_u16_e32 vcc, 15, v12
	s_mov_b64 s[22:23], -1
	s_mov_b64 s[20:21], s[14:15]
                                        ; implicit-def: $vgpr24
	s_and_saveexec_b64 s[18:19], vcc
	s_cbranch_execz .LBB276_2574
; %bb.2565:
	flat_load_ushort v3, v[1:2]
	s_mov_b32 s20, 0x43f00000
                                        ; implicit-def: $vgpr4
	s_waitcnt vmcnt(0) lgkmcnt(0)
	v_lshlrev_b32_e32 v5, 16, v3
	v_and_b32_e32 v6, 0x7fffffff, v5
	v_cmp_gt_u32_e32 vcc, s20, v6
	s_and_saveexec_b64 s[20:21], vcc
	s_xor_b64 s[20:21], exec, s[20:21]
	s_cbranch_execz .LBB276_2571
; %bb.2566:
	s_mov_b32 s22, 0x3c7fffff
	v_cmp_lt_u32_e32 vcc, s22, v6
                                        ; implicit-def: $vgpr4
	s_and_saveexec_b64 s[22:23], vcc
	s_xor_b64 s[22:23], exec, s[22:23]
; %bb.2567:
	v_bfe_u32 v4, v3, 4, 1
	s_mov_b32 s24, 0x407ffff
	v_add3_u32 v4, v5, v4, s24
	v_lshrrev_b32_e32 v5, 20, v4
	v_and_b32_e32 v4, 0xff00000, v4
	s_mov_b32 s24, 0x7f00000
	v_mov_b32_e32 v6, 0x7e
	v_cmp_ne_u32_e32 vcc, s24, v4
	v_cndmask_b32_e32 v4, v6, v5, vcc
                                        ; implicit-def: $vgpr5
; %bb.2568:
	s_andn2_saveexec_b64 s[22:23], s[22:23]
; %bb.2569:
	s_mov_b32 s24, 0x46800000
	v_add_f32_e64 v4, |v5|, s24
; %bb.2570:
	s_or_b64 exec, exec, s[22:23]
                                        ; implicit-def: $vgpr6
.LBB276_2571:
	s_andn2_saveexec_b64 s[20:21], s[20:21]
; %bb.2572:
	s_mov_b32 s22, 0x7f800000
	v_mov_b32_e32 v4, 0x7e
	v_mov_b32_e32 v5, 0x7f
	v_cmp_lt_u32_e32 vcc, s22, v6
	v_cndmask_b32_e32 v4, v4, v5, vcc
; %bb.2573:
	s_or_b64 exec, exec, s[20:21]
	v_lshrrev_b32_e32 v3, 8, v3
	s_movk_i32 s20, 0x80
	v_and_or_b32 v24, v3, s20, v4
	s_or_b64 s[20:21], s[14:15], exec
	s_xor_b64 s[22:23], exec, -1
.LBB276_2574:
	s_or_b64 exec, exec, s[18:19]
	s_andn2_b64 s[18:19], s[14:15], exec
	s_and_b64 s[20:21], s[20:21], exec
	s_or_b64 s[20:21], s[18:19], s[20:21]
	s_andn2_b64 s[18:19], s[12:13], exec
	s_and_b64 s[22:23], s[22:23], exec
	s_or_b64 s[18:19], s[18:19], s[22:23]
                                        ; implicit-def: $vgpr12
.LBB276_2575:
	s_or_saveexec_b64 s[16:17], s[16:17]
	s_mov_b64 s[22:23], 0
	s_xor_b64 exec, exec, s[16:17]
; %bb.2576:
	v_cmp_ne_u16_e32 vcc, 11, v12
	s_andn2_b64 s[18:19], s[18:19], exec
	s_and_b64 s[24:25], vcc, exec
	s_mov_b64 s[22:23], exec
	s_or_b64 s[18:19], s[18:19], s[24:25]
; %bb.2577:
	s_or_b64 exec, exec, s[16:17]
	s_andn2_b64 s[14:15], s[14:15], exec
	s_and_b64 s[16:17], s[20:21], exec
	s_andn2_b64 s[20:21], s[12:13], exec
	s_and_b64 s[18:19], s[18:19], exec
	s_or_b64 s[14:15], s[14:15], s[16:17]
	s_and_b64 s[16:17], s[22:23], exec
	s_or_b64 s[18:19], s[20:21], s[18:19]
.LBB276_2578:
	s_or_b64 exec, exec, s[6:7]
	s_andn2_b64 s[6:7], s[10:11], exec
	s_and_b64 s[10:11], s[14:15], exec
	s_andn2_b64 s[12:13], s[12:13], exec
	s_and_b64 s[14:15], s[18:19], exec
	s_or_b64 s[10:11], s[6:7], s[10:11]
	s_and_b64 s[6:7], s[16:17], exec
	s_or_b64 s[12:13], s[12:13], s[14:15]
	s_or_b64 exec, exec, s[8:9]
	s_mov_b64 s[8:9], s[52:53]
	s_and_saveexec_b64 s[14:15], s[12:13]
	s_cbranch_execz .LBB276_1523
.LBB276_2579:
	s_trap 2
	s_or_b64 s[8:9], s[52:53], exec
	s_andn2_b64 s[6:7], s[6:7], exec
	s_or_b64 exec, exec, s[14:15]
	s_and_saveexec_b64 s[12:13], s[6:7]
	s_cbranch_execnz .LBB276_1524
	s_branch .LBB276_1533
.LBB276_2580:
	s_or_saveexec_b64 s[20:21], s[20:21]
	v_mov_b32_e32 v3, 0x7f800001
	s_xor_b64 exec, exec, s[20:21]
	s_cbranch_execz .LBB276_2245
.LBB276_2581:
	v_cmp_ne_u16_e32 vcc, 0, v5
	s_andn2_b64 s[18:19], s[18:19], exec
	s_and_b64 s[22:23], vcc, exec
	v_mov_b32_e32 v3, 0
	s_or_b64 s[18:19], s[18:19], s[22:23]
	s_or_b64 exec, exec, s[20:21]
	s_and_saveexec_b64 s[20:21], s[18:19]
	s_cbranch_execnz .LBB276_2246
	s_branch .LBB276_2247
.LBB276_2582:
	s_andn2_saveexec_b64 s[22:23], s[4:5]
	s_cbranch_execz .LBB276_45
.LBB276_2583:
	v_add_f32_e32 v2, 0x46000000, v3
	v_and_b32_e32 v2, 0xff, v2
	v_cmp_ne_u32_e64 s[4:5], 0, v2
	s_andn2_b64 s[20:21], s[20:21], exec
	s_and_b64 s[4:5], s[4:5], exec
	s_or_b64 s[20:21], s[20:21], s[4:5]
	s_or_b64 exec, exec, s[22:23]
	v_mov_b32_e32 v4, 0
	s_and_saveexec_b64 s[4:5], s[20:21]
	s_cbranch_execnz .LBB276_46
	s_branch .LBB276_47
.LBB276_2584:
	s_or_saveexec_b64 s[20:21], s[20:21]
	v_mov_b32_e32 v3, 0x7f800001
	s_xor_b64 exec, exec, s[20:21]
	s_cbranch_execz .LBB276_1057
.LBB276_2585:
	v_cmp_ne_u16_e32 vcc, 0, v7
	s_andn2_b64 s[18:19], s[18:19], exec
	s_and_b64 s[22:23], vcc, exec
	v_mov_b32_e32 v3, 0
	s_or_b64 s[18:19], s[18:19], s[22:23]
	s_or_b64 exec, exec, s[20:21]
	s_and_saveexec_b64 s[20:21], s[18:19]
	s_cbranch_execnz .LBB276_1058
	s_branch .LBB276_1059
.LBB276_2586:
	s_andn2_saveexec_b64 s[8:9], s[8:9]
	s_cbranch_execz .LBB276_1748
.LBB276_2587:
	v_cmp_lt_i16_e32 vcc, 22, v11
	s_mov_b64 s[14:15], s[10:11]
                                        ; implicit-def: $vgpr27
	s_and_saveexec_b64 s[6:7], vcc
	s_xor_b64 s[6:7], exec, s[6:7]
	s_cbranch_execz .LBB276_2619
; %bb.2588:
	v_cmp_lt_i16_e32 vcc, 23, v11
                                        ; implicit-def: $vgpr27
	s_and_saveexec_b64 s[14:15], vcc
	s_xor_b64 s[14:15], exec, s[14:15]
	s_cbranch_execz .LBB276_2608
; %bb.2589:
	v_cmp_lt_i16_e32 vcc, 24, v11
                                        ; implicit-def: $vgpr27
	s_and_saveexec_b64 s[16:17], vcc
	s_xor_b64 s[16:17], exec, s[16:17]
	s_cbranch_execz .LBB276_2605
; %bb.2590:
	flat_load_ubyte v3, v[0:1]
	s_movk_i32 s18, 0x7f
	s_waitcnt vmcnt(0) lgkmcnt(0)
	v_cmp_lt_i16_e32 vcc, s18, v3
	s_mov_b64 s[18:19], 0
	s_and_saveexec_b64 s[20:21], vcc
	s_xor_b64 s[20:21], exec, s[20:21]
	s_cbranch_execz .LBB276_2837
; %bb.2591:
	s_movk_i32 s18, 0x80
	v_cmp_eq_u16_e32 vcc, s18, v3
	s_mov_b64 s[18:19], -1
	s_and_saveexec_b64 s[22:23], vcc
; %bb.2592:
	s_xor_b64 s[18:19], exec, -1
; %bb.2593:
	s_or_b64 exec, exec, s[22:23]
	s_and_b64 s[18:19], s[18:19], exec
	s_or_saveexec_b64 s[20:21], s[20:21]
	v_mov_b32_e32 v2, 0x7f800001
	s_xor_b64 exec, exec, s[20:21]
	s_cbranch_execnz .LBB276_2838
.LBB276_2594:
	s_or_b64 exec, exec, s[20:21]
	s_and_saveexec_b64 s[20:21], s[18:19]
	s_cbranch_execz .LBB276_2596
.LBB276_2595:
	v_lshlrev_b32_e32 v2, 24, v3
	v_and_b32_e32 v3, 0xffff, v3
	v_and_b32_e32 v4, 3, v3
	v_ffbh_u32_e32 v6, v4
	v_min_u32_e32 v6, 32, v6
	v_subrev_u32_e32 v7, 29, v6
	v_bfe_u32 v5, v3, 2, 5
	v_lshlrev_b32_e32 v3, v7, v3
	v_sub_u32_e32 v6, 30, v6
	v_and_b32_e32 v3, 3, v3
	v_cmp_eq_u32_e32 vcc, 0, v5
	v_cndmask_b32_e32 v5, v5, v6, vcc
	v_cndmask_b32_e32 v3, v4, v3, vcc
	v_mov_b32_e32 v4, 0x37800000
	v_lshlrev_b32_e32 v3, 21, v3
	v_and_b32_e32 v2, 0x80000000, v2
	v_lshl_add_u32 v4, v5, 23, v4
	v_or3_b32 v2, v2, v4, v3
.LBB276_2596:
	s_or_b64 exec, exec, s[20:21]
	v_and_b32_e32 v4, 0x7fffffff, v2
	s_mov_b32 s18, 0x43f00000
	v_cmp_gt_u32_e32 vcc, s18, v4
                                        ; implicit-def: $vgpr3
	s_and_saveexec_b64 s[18:19], vcc
	s_xor_b64 s[18:19], exec, s[18:19]
	s_cbranch_execz .LBB276_2602
; %bb.2597:
	s_mov_b32 s20, 0x3c7fffff
	v_cmp_lt_u32_e32 vcc, s20, v4
                                        ; implicit-def: $vgpr3
	s_and_saveexec_b64 s[20:21], vcc
	s_xor_b64 s[20:21], exec, s[20:21]
; %bb.2598:
	v_bfe_u32 v3, v2, 20, 1
	s_mov_b32 s22, 0x407ffff
	v_add3_u32 v3, v2, v3, s22
	v_lshrrev_b32_e32 v4, 20, v3
	v_and_b32_e32 v3, 0xff00000, v3
	s_mov_b32 s22, 0x7f00000
	v_mov_b32_e32 v5, 0x7e
	v_cmp_ne_u32_e32 vcc, s22, v3
	v_cndmask_b32_e32 v3, v5, v4, vcc
; %bb.2599:
	s_andn2_saveexec_b64 s[20:21], s[20:21]
; %bb.2600:
	s_mov_b32 s22, 0x46800000
	v_add_f32_e64 v3, |v2|, s22
; %bb.2601:
	s_or_b64 exec, exec, s[20:21]
                                        ; implicit-def: $vgpr4
.LBB276_2602:
	s_andn2_saveexec_b64 s[18:19], s[18:19]
; %bb.2603:
	s_mov_b32 s20, 0x7f800000
	v_mov_b32_e32 v3, 0x7e
	v_mov_b32_e32 v5, 0x7f
	v_cmp_lt_u32_e32 vcc, s20, v4
	v_cndmask_b32_e32 v3, v3, v5, vcc
; %bb.2604:
	s_or_b64 exec, exec, s[18:19]
	v_lshrrev_b32_e32 v2, 24, v2
	s_movk_i32 s18, 0x80
	v_and_or_b32 v27, v2, s18, v3
.LBB276_2605:
	s_andn2_saveexec_b64 s[16:17], s[16:17]
	s_cbranch_execz .LBB276_2607
; %bb.2606:
	flat_load_ubyte v27, v[0:1]
.LBB276_2607:
	s_or_b64 exec, exec, s[16:17]
.LBB276_2608:
	s_andn2_saveexec_b64 s[14:15], s[14:15]
	s_cbranch_execz .LBB276_2618
; %bb.2609:
	flat_load_ubyte v2, v[0:1]
	s_movk_i32 s16, 0x7f00
	s_brev_b32 s17, 16
	s_brev_b32 s18, 1
	s_waitcnt vmcnt(0) lgkmcnt(0)
	v_lshlrev_b16_e32 v3, 8, v2
	v_lshlrev_b32_e32 v2, 25, v2
	v_lshrrev_b32_e32 v4, 4, v2
	v_and_or_b32 v5, v3, s16, 0.5
	v_or_b32_e32 v4, 0x70000000, v4
	v_add_f32_e32 v5, -0.5, v5
	v_mul_f32_e32 v4, 0x7800000, v4
	v_cmp_gt_u32_e32 vcc, s17, v2
	v_bfe_i32 v3, v3, 0, 16
	v_cndmask_b32_e32 v5, v4, v5, vcc
	v_and_or_b32 v2, v3, s18, v5
	v_and_b32_e32 v4, 0x7fffffff, v2
	s_mov_b32 s16, 0x43f00000
	v_cmp_gt_u32_e32 vcc, s16, v4
                                        ; implicit-def: $vgpr3
	s_and_saveexec_b64 s[16:17], vcc
	s_xor_b64 s[16:17], exec, s[16:17]
	s_cbranch_execz .LBB276_2615
; %bb.2610:
	s_mov_b32 s18, 0x3c7fffff
	v_cmp_lt_u32_e32 vcc, s18, v4
                                        ; implicit-def: $vgpr3
	s_and_saveexec_b64 s[18:19], vcc
	s_xor_b64 s[18:19], exec, s[18:19]
; %bb.2611:
	v_bfe_u32 v3, v5, 20, 1
	s_mov_b32 s20, 0x407ffff
	v_add3_u32 v3, v2, v3, s20
	v_lshrrev_b32_e32 v4, 20, v3
	v_and_b32_e32 v3, 0xff00000, v3
	s_mov_b32 s20, 0x7f00000
	v_mov_b32_e32 v5, 0x7e
	v_cmp_ne_u32_e32 vcc, s20, v3
	v_cndmask_b32_e32 v3, v5, v4, vcc
; %bb.2612:
	s_andn2_saveexec_b64 s[18:19], s[18:19]
; %bb.2613:
	s_mov_b32 s20, 0x46800000
	v_add_f32_e64 v3, |v2|, s20
; %bb.2614:
	s_or_b64 exec, exec, s[18:19]
                                        ; implicit-def: $vgpr4
.LBB276_2615:
	s_andn2_saveexec_b64 s[16:17], s[16:17]
; %bb.2616:
	s_mov_b32 s18, 0x7f800000
	v_mov_b32_e32 v3, 0x7e
	v_mov_b32_e32 v5, 0x7f
	v_cmp_lt_u32_e32 vcc, s18, v4
	v_cndmask_b32_e32 v3, v3, v5, vcc
; %bb.2617:
	s_or_b64 exec, exec, s[16:17]
	v_lshrrev_b32_e32 v2, 24, v2
	s_movk_i32 s16, 0x80
	v_and_or_b32 v27, v2, s16, v3
.LBB276_2618:
	s_or_b64 exec, exec, s[14:15]
	s_or_b64 s[14:15], s[10:11], exec
                                        ; implicit-def: $vgpr11
.LBB276_2619:
	s_or_saveexec_b64 s[6:7], s[6:7]
	s_mov_b64 s[16:17], 0
	s_mov_b64 s[18:19], s[12:13]
	s_xor_b64 exec, exec, s[6:7]
	s_cbranch_execz .LBB276_2635
; %bb.2620:
	v_cmp_lt_i16_e32 vcc, 14, v11
	s_mov_b64 s[18:19], s[12:13]
	s_mov_b64 s[20:21], s[14:15]
                                        ; implicit-def: $vgpr27
	s_and_saveexec_b64 s[16:17], vcc
	s_xor_b64 s[16:17], exec, s[16:17]
	s_cbranch_execz .LBB276_2632
; %bb.2621:
	v_cmp_eq_u16_e32 vcc, 15, v11
	s_mov_b64 s[22:23], -1
	s_mov_b64 s[20:21], s[14:15]
                                        ; implicit-def: $vgpr27
	s_and_saveexec_b64 s[18:19], vcc
	s_cbranch_execz .LBB276_2631
; %bb.2622:
	flat_load_ushort v2, v[0:1]
	s_mov_b32 s20, 0x43f00000
                                        ; implicit-def: $vgpr3
	s_waitcnt vmcnt(0) lgkmcnt(0)
	v_lshlrev_b32_e32 v4, 16, v2
	v_and_b32_e32 v5, 0x7fffffff, v4
	v_cmp_gt_u32_e32 vcc, s20, v5
	s_and_saveexec_b64 s[20:21], vcc
	s_xor_b64 s[20:21], exec, s[20:21]
	s_cbranch_execz .LBB276_2628
; %bb.2623:
	s_mov_b32 s22, 0x3c7fffff
	v_cmp_lt_u32_e32 vcc, s22, v5
                                        ; implicit-def: $vgpr3
	s_and_saveexec_b64 s[22:23], vcc
	s_xor_b64 s[22:23], exec, s[22:23]
; %bb.2624:
	v_bfe_u32 v3, v2, 4, 1
	s_mov_b32 s24, 0x407ffff
	v_add3_u32 v3, v4, v3, s24
	v_lshrrev_b32_e32 v4, 20, v3
	v_and_b32_e32 v3, 0xff00000, v3
	s_mov_b32 s24, 0x7f00000
	v_mov_b32_e32 v5, 0x7e
	v_cmp_ne_u32_e32 vcc, s24, v3
	v_cndmask_b32_e32 v3, v5, v4, vcc
                                        ; implicit-def: $vgpr4
; %bb.2625:
	s_andn2_saveexec_b64 s[22:23], s[22:23]
; %bb.2626:
	s_mov_b32 s24, 0x46800000
	v_add_f32_e64 v3, |v4|, s24
; %bb.2627:
	s_or_b64 exec, exec, s[22:23]
                                        ; implicit-def: $vgpr5
.LBB276_2628:
	s_andn2_saveexec_b64 s[20:21], s[20:21]
; %bb.2629:
	s_mov_b32 s22, 0x7f800000
	v_mov_b32_e32 v3, 0x7e
	v_mov_b32_e32 v4, 0x7f
	v_cmp_lt_u32_e32 vcc, s22, v5
	v_cndmask_b32_e32 v3, v3, v4, vcc
; %bb.2630:
	s_or_b64 exec, exec, s[20:21]
	v_lshrrev_b32_e32 v2, 8, v2
	s_movk_i32 s20, 0x80
	v_and_or_b32 v27, v2, s20, v3
	s_or_b64 s[20:21], s[14:15], exec
	s_xor_b64 s[22:23], exec, -1
.LBB276_2631:
	s_or_b64 exec, exec, s[18:19]
	s_andn2_b64 s[18:19], s[14:15], exec
	s_and_b64 s[20:21], s[20:21], exec
	s_or_b64 s[20:21], s[18:19], s[20:21]
	s_andn2_b64 s[18:19], s[12:13], exec
	s_and_b64 s[22:23], s[22:23], exec
	s_or_b64 s[18:19], s[18:19], s[22:23]
                                        ; implicit-def: $vgpr11
.LBB276_2632:
	s_or_saveexec_b64 s[16:17], s[16:17]
	s_mov_b64 s[22:23], 0
	s_xor_b64 exec, exec, s[16:17]
; %bb.2633:
	v_cmp_ne_u16_e32 vcc, 11, v11
	s_andn2_b64 s[18:19], s[18:19], exec
	s_and_b64 s[24:25], vcc, exec
	s_mov_b64 s[22:23], exec
	s_or_b64 s[18:19], s[18:19], s[24:25]
; %bb.2634:
	s_or_b64 exec, exec, s[16:17]
	s_andn2_b64 s[14:15], s[14:15], exec
	s_and_b64 s[16:17], s[20:21], exec
	s_andn2_b64 s[20:21], s[12:13], exec
	s_and_b64 s[18:19], s[18:19], exec
	s_or_b64 s[14:15], s[14:15], s[16:17]
	s_and_b64 s[16:17], s[22:23], exec
	s_or_b64 s[18:19], s[20:21], s[18:19]
.LBB276_2635:
	s_or_b64 exec, exec, s[6:7]
	s_andn2_b64 s[6:7], s[10:11], exec
	s_and_b64 s[10:11], s[14:15], exec
	s_andn2_b64 s[12:13], s[12:13], exec
	s_and_b64 s[14:15], s[18:19], exec
	s_or_b64 s[10:11], s[6:7], s[10:11]
	s_and_b64 s[6:7], s[16:17], exec
	s_or_b64 s[12:13], s[12:13], s[14:15]
	s_or_b64 exec, exec, s[8:9]
	s_mov_b64 s[8:9], s[56:57]
	s_and_saveexec_b64 s[14:15], s[12:13]
	s_cbranch_execz .LBB276_1749
.LBB276_2636:
	s_trap 2
	s_or_b64 s[8:9], s[56:57], exec
	s_andn2_b64 s[6:7], s[6:7], exec
	s_or_b64 exec, exec, s[14:15]
	s_and_saveexec_b64 s[12:13], s[6:7]
	s_cbranch_execnz .LBB276_1750
	s_branch .LBB276_1759
.LBB276_2637:
	s_or_saveexec_b64 s[20:21], s[20:21]
	v_mov_b32_e32 v3, 0x7f800001
	s_xor_b64 exec, exec, s[20:21]
	s_cbranch_execz .LBB276_2338
.LBB276_2638:
	v_cmp_ne_u16_e32 vcc, 0, v5
	s_andn2_b64 s[18:19], s[18:19], exec
	s_and_b64 s[22:23], vcc, exec
	v_mov_b32_e32 v3, 0
	s_or_b64 s[18:19], s[18:19], s[22:23]
	s_or_b64 exec, exec, s[20:21]
	s_and_saveexec_b64 s[20:21], s[18:19]
	s_cbranch_execnz .LBB276_2339
	s_branch .LBB276_2340
.LBB276_2639:
	s_andn2_saveexec_b64 s[24:25], s[4:5]
	s_cbranch_execz .LBB276_58
.LBB276_2640:
	v_add_f32_e32 v2, 0x42800000, v3
	v_and_b32_e32 v2, 0xff, v2
	v_cmp_ne_u32_e64 s[4:5], 0, v2
	s_andn2_b64 s[22:23], s[22:23], exec
	s_and_b64 s[4:5], s[4:5], exec
	s_or_b64 s[22:23], s[22:23], s[4:5]
	s_or_b64 exec, exec, s[24:25]
	v_mov_b32_e32 v4, 0
	s_and_saveexec_b64 s[4:5], s[22:23]
	s_cbranch_execnz .LBB276_59
	s_branch .LBB276_60
.LBB276_2641:
	s_andn2_saveexec_b64 s[22:23], s[4:5]
	s_cbranch_execz .LBB276_144
.LBB276_2642:
	v_add_f32_e32 v2, 0x46000000, v3
	v_and_b32_e32 v2, 0xff, v2
	v_cmp_ne_u32_e64 s[4:5], 0, v2
	s_andn2_b64 s[20:21], s[20:21], exec
	s_and_b64 s[4:5], s[4:5], exec
	s_or_b64 s[20:21], s[20:21], s[4:5]
	s_or_b64 exec, exec, s[22:23]
	v_mov_b32_e32 v4, 0
	s_and_saveexec_b64 s[4:5], s[20:21]
	s_cbranch_execnz .LBB276_145
	s_branch .LBB276_146
.LBB276_2643:
	s_or_saveexec_b64 s[20:21], s[20:21]
	v_mov_b32_e32 v5, 0x7f800001
	s_xor_b64 exec, exec, s[20:21]
	s_cbranch_execz .LBB276_1283
.LBB276_2644:
	v_cmp_ne_u16_e32 vcc, 0, v6
	s_andn2_b64 s[18:19], s[18:19], exec
	s_and_b64 s[22:23], vcc, exec
	v_mov_b32_e32 v5, 0
	s_or_b64 s[18:19], s[18:19], s[22:23]
	s_or_b64 exec, exec, s[20:21]
	s_and_saveexec_b64 s[20:21], s[18:19]
	s_cbranch_execnz .LBB276_1284
	s_branch .LBB276_1285
.LBB276_2645:
	s_andn2_saveexec_b64 s[18:19], s[18:19]
	s_cbranch_execz .LBB276_1928
.LBB276_2646:
	v_cmp_lt_i16_e64 s[6:7], 22, v2
	s_mov_b64 s[20:21], s[8:9]
	s_and_saveexec_b64 s[16:17], s[6:7]
	s_xor_b64 s[16:17], exec, s[16:17]
	s_cbranch_execz .LBB276_2678
; %bb.2647:
	v_cmp_lt_i16_e64 s[6:7], 23, v2
	s_and_saveexec_b64 s[20:21], s[6:7]
	s_xor_b64 s[20:21], exec, s[20:21]
	s_cbranch_execz .LBB276_2667
; %bb.2648:
	v_cmp_lt_i16_e64 s[6:7], 24, v2
	s_and_saveexec_b64 s[22:23], s[6:7]
	s_xor_b64 s[22:23], exec, s[22:23]
	s_cbranch_execz .LBB276_2656
; %bb.2649:
	v_cndmask_b32_e64 v3, 0, 1.0, s[4:5]
	s_mov_b32 s6, 0x47800000
	v_cmp_gt_u32_e64 s[6:7], s6, v3
	v_mov_b32_e32 v4, 0x80
	s_and_saveexec_b64 s[24:25], s[6:7]
	s_cbranch_execz .LBB276_2655
; %bb.2650:
	s_mov_b32 s6, 0x37ffffff
	v_cmp_lt_u32_e64 s[6:7], s6, v3
	s_mov_b64 s[26:27], 0
                                        ; implicit-def: $vgpr2
	s_and_saveexec_b64 s[28:29], s[6:7]
	s_xor_b64 s[6:7], exec, s[28:29]
	s_cbranch_execz .LBB276_2843
; %bb.2651:
	v_bfe_u32 v2, v3, 21, 1
	s_mov_b32 s28, 0x88fffff
	v_add3_u32 v2, v3, v2, s28
	s_mov_b64 s[26:27], exec
	v_lshrrev_b32_e32 v2, 21, v2
                                        ; implicit-def: $vgpr3
	s_andn2_saveexec_b64 s[28:29], s[6:7]
	s_cbranch_execnz .LBB276_2844
.LBB276_2652:
	s_or_b64 exec, exec, s[28:29]
	v_mov_b32_e32 v4, 0
	s_and_saveexec_b64 s[6:7], s[26:27]
.LBB276_2653:
	v_mov_b32_e32 v4, v2
.LBB276_2654:
	s_or_b64 exec, exec, s[6:7]
.LBB276_2655:
	s_or_b64 exec, exec, s[24:25]
	flat_store_byte v[0:1], v4
.LBB276_2656:
	s_andn2_saveexec_b64 s[22:23], s[22:23]
	s_cbranch_execz .LBB276_2666
; %bb.2657:
	v_cndmask_b32_e64 v2, 0, 1.0, s[4:5]
	s_mov_b32 s6, 0x43f00000
	v_cmp_gt_u32_e64 s[6:7], s6, v2
                                        ; implicit-def: $vgpr3
	s_and_saveexec_b64 s[24:25], s[6:7]
	s_xor_b64 s[24:25], exec, s[24:25]
	s_cbranch_execz .LBB276_2663
; %bb.2658:
	s_mov_b32 s6, 0x3c7fffff
	v_cmp_lt_u32_e64 s[6:7], s6, v2
                                        ; implicit-def: $vgpr3
	s_and_saveexec_b64 s[26:27], s[6:7]
	s_xor_b64 s[26:27], exec, s[26:27]
; %bb.2659:
	v_bfe_u32 v3, v2, 20, 1
	s_mov_b32 s6, 0x407ffff
	v_add3_u32 v2, v2, v3, s6
	v_lshrrev_b32_e32 v3, 20, v2
	v_and_b32_e32 v2, 0xff00000, v2
	s_mov_b32 s6, 0x7f00000
	v_mov_b32_e32 v4, 0x7e
	v_cmp_ne_u32_e64 s[6:7], s6, v2
	v_cndmask_b32_e64 v3, v4, v3, s[6:7]
                                        ; implicit-def: $vgpr2
; %bb.2660:
	s_andn2_saveexec_b64 s[6:7], s[26:27]
; %bb.2661:
	v_add_f32_e32 v3, 0x46800000, v2
; %bb.2662:
	s_or_b64 exec, exec, s[6:7]
                                        ; implicit-def: $vgpr2
.LBB276_2663:
	s_andn2_saveexec_b64 s[24:25], s[24:25]
; %bb.2664:
	s_mov_b32 s6, 0x7f800000
	v_mov_b32_e32 v3, 0x7e
	v_mov_b32_e32 v4, 0x7f
	v_cmp_lt_u32_e64 s[6:7], s6, v2
	v_cndmask_b32_e64 v3, v3, v4, s[6:7]
; %bb.2665:
	s_or_b64 exec, exec, s[24:25]
	flat_store_byte v[0:1], v3
.LBB276_2666:
	s_or_b64 exec, exec, s[22:23]
.LBB276_2667:
	s_andn2_saveexec_b64 s[20:21], s[20:21]
	s_cbranch_execz .LBB276_2677
; %bb.2668:
	v_cndmask_b32_e64 v2, 0, 1.0, s[4:5]
	s_mov_b32 s6, 0x47800000
	v_cmp_gt_u32_e64 s[6:7], s6, v2
                                        ; implicit-def: $vgpr3
	s_and_saveexec_b64 s[22:23], s[6:7]
	s_xor_b64 s[22:23], exec, s[22:23]
	s_cbranch_execz .LBB276_2674
; %bb.2669:
	s_mov_b32 s6, 0x387fffff
	v_cmp_lt_u32_e64 s[6:7], s6, v2
                                        ; implicit-def: $vgpr3
	s_and_saveexec_b64 s[24:25], s[6:7]
	s_xor_b64 s[6:7], exec, s[24:25]
; %bb.2670:
	v_bfe_u32 v3, v2, 21, 1
	s_mov_b32 s24, 0x80fffff
	v_add3_u32 v2, v2, v3, s24
	v_lshrrev_b32_e32 v3, 21, v2
                                        ; implicit-def: $vgpr2
; %bb.2671:
	s_andn2_saveexec_b64 s[6:7], s[6:7]
; %bb.2672:
	v_add_f32_e32 v3, 0x43000000, v2
; %bb.2673:
	s_or_b64 exec, exec, s[6:7]
                                        ; implicit-def: $vgpr2
.LBB276_2674:
	s_andn2_saveexec_b64 s[22:23], s[22:23]
; %bb.2675:
	s_mov_b32 s6, 0x7f800000
	v_mov_b32_e32 v3, 0x7c
	v_mov_b32_e32 v4, 0x7f
	v_cmp_lt_u32_e64 s[6:7], s6, v2
	v_cndmask_b32_e64 v3, v3, v4, s[6:7]
; %bb.2676:
	s_or_b64 exec, exec, s[22:23]
	flat_store_byte v[0:1], v3
.LBB276_2677:
	s_or_b64 exec, exec, s[20:21]
	s_or_b64 s[20:21], s[8:9], exec
                                        ; implicit-def: $vgpr2
.LBB276_2678:
	s_or_saveexec_b64 s[16:17], s[16:17]
	s_mov_b64 s[6:7], 0
	s_mov_b64 s[22:23], s[12:13]
	s_xor_b64 exec, exec, s[16:17]
	s_cbranch_execz .LBB276_2686
; %bb.2679:
	v_cmp_lt_i16_e64 s[6:7], 14, v2
	s_mov_b64 s[22:23], s[12:13]
	s_mov_b64 s[24:25], s[20:21]
	s_and_saveexec_b64 s[26:27], s[6:7]
	s_xor_b64 s[26:27], exec, s[26:27]
	s_cbranch_execz .LBB276_2683
; %bb.2680:
	v_cmp_eq_u16_e64 s[6:7], 15, v2
	s_mov_b64 s[22:23], -1
	s_mov_b64 s[28:29], s[20:21]
	s_and_saveexec_b64 s[24:25], s[6:7]
	s_cbranch_execz .LBB276_2682
; %bb.2681:
	v_cndmask_b32_e64 v2, 0, 1.0, s[4:5]
	v_bfe_u32 v3, v2, 16, 1
	s_movk_i32 s6, 0x7fff
	v_add3_u32 v2, v2, v3, s6
	flat_store_short_d16_hi v[0:1], v2
	s_or_b64 s[28:29], s[20:21], exec
	s_xor_b64 s[22:23], exec, -1
.LBB276_2682:
	s_or_b64 exec, exec, s[24:25]
	s_andn2_b64 s[6:7], s[20:21], exec
	s_and_b64 s[24:25], s[28:29], exec
	s_or_b64 s[24:25], s[6:7], s[24:25]
	s_andn2_b64 s[6:7], s[12:13], exec
	s_and_b64 s[22:23], s[22:23], exec
	s_or_b64 s[22:23], s[6:7], s[22:23]
                                        ; implicit-def: $vgpr2
.LBB276_2683:
	s_or_saveexec_b64 s[26:27], s[26:27]
	s_mov_b64 s[28:29], 0
	s_xor_b64 exec, exec, s[26:27]
; %bb.2684:
	v_cmp_ne_u16_e64 s[6:7], 11, v2
	s_andn2_b64 s[22:23], s[22:23], exec
	s_and_b64 s[6:7], s[6:7], exec
	s_mov_b64 s[28:29], exec
	s_or_b64 s[22:23], s[22:23], s[6:7]
; %bb.2685:
	s_or_b64 exec, exec, s[26:27]
	s_andn2_b64 s[6:7], s[20:21], exec
	s_and_b64 s[20:21], s[24:25], exec
	s_andn2_b64 s[24:25], s[12:13], exec
	s_and_b64 s[22:23], s[22:23], exec
	s_or_b64 s[20:21], s[6:7], s[20:21]
	s_and_b64 s[6:7], s[28:29], exec
	s_or_b64 s[22:23], s[24:25], s[22:23]
.LBB276_2686:
	s_or_b64 exec, exec, s[16:17]
	s_andn2_b64 s[8:9], s[8:9], exec
	s_and_b64 s[16:17], s[20:21], exec
	s_or_b64 s[8:9], s[8:9], s[16:17]
	s_and_b64 s[16:17], s[6:7], exec
	s_andn2_b64 s[6:7], s[12:13], exec
	s_and_b64 s[12:13], s[22:23], exec
	s_or_b64 s[12:13], s[6:7], s[12:13]
	s_or_b64 exec, exec, s[18:19]
	s_mov_b64 s[6:7], s[60:61]
	s_and_saveexec_b64 s[18:19], s[12:13]
	s_cbranch_execz .LBB276_1929
.LBB276_2687:
	s_trap 2
	s_or_b64 s[6:7], s[60:61], exec
	s_andn2_b64 s[16:17], s[16:17], exec
	s_or_b64 exec, exec, s[18:19]
	s_and_saveexec_b64 s[12:13], s[16:17]
	s_xor_b64 s[12:13], exec, s[12:13]
	s_cbranch_execnz .LBB276_1930
	s_branch .LBB276_1931
.LBB276_2688:
	s_or_saveexec_b64 s[20:21], s[20:21]
	v_mov_b32_e32 v3, 0x7f800001
	s_xor_b64 exec, exec, s[20:21]
	s_cbranch_execz .LBB276_2431
.LBB276_2689:
	v_cmp_ne_u16_e32 vcc, 0, v7
	s_andn2_b64 s[18:19], s[18:19], exec
	s_and_b64 s[22:23], vcc, exec
	v_mov_b32_e32 v3, 0
	s_or_b64 s[18:19], s[18:19], s[22:23]
	s_or_b64 exec, exec, s[20:21]
	s_and_saveexec_b64 s[20:21], s[18:19]
	s_cbranch_execnz .LBB276_2432
	s_branch .LBB276_2433
.LBB276_2690:
	s_andn2_saveexec_b64 s[24:25], s[4:5]
	s_cbranch_execz .LBB276_157
.LBB276_2691:
	v_add_f32_e32 v2, 0x42800000, v3
	v_and_b32_e32 v2, 0xff, v2
	v_cmp_ne_u32_e64 s[4:5], 0, v2
	s_andn2_b64 s[22:23], s[22:23], exec
	s_and_b64 s[4:5], s[4:5], exec
	s_or_b64 s[22:23], s[22:23], s[4:5]
	s_or_b64 exec, exec, s[24:25]
	v_mov_b32_e32 v4, 0
	s_and_saveexec_b64 s[4:5], s[22:23]
	s_cbranch_execnz .LBB276_158
	s_branch .LBB276_159
.LBB276_2692:
	s_andn2_saveexec_b64 s[22:23], s[4:5]
	s_cbranch_execz .LBB276_243
.LBB276_2693:
	v_add_f32_e32 v2, 0x46000000, v3
	v_and_b32_e32 v2, 0xff, v2
	v_cmp_ne_u32_e64 s[4:5], 0, v2
	s_andn2_b64 s[20:21], s[20:21], exec
	s_and_b64 s[4:5], s[4:5], exec
	s_or_b64 s[20:21], s[20:21], s[4:5]
	s_or_b64 exec, exec, s[22:23]
	v_mov_b32_e32 v4, 0
	s_and_saveexec_b64 s[4:5], s[20:21]
	s_cbranch_execnz .LBB276_244
	s_branch .LBB276_245
.LBB276_2694:
	s_or_saveexec_b64 s[20:21], s[20:21]
	v_mov_b32_e32 v3, 0x7f800001
	s_xor_b64 exec, exec, s[20:21]
	s_cbranch_execz .LBB276_1509
.LBB276_2695:
	v_cmp_ne_u16_e32 vcc, 0, v4
	s_andn2_b64 s[18:19], s[18:19], exec
	s_and_b64 s[22:23], vcc, exec
	v_mov_b32_e32 v3, 0
	s_or_b64 s[18:19], s[18:19], s[22:23]
	s_or_b64 exec, exec, s[20:21]
	s_and_saveexec_b64 s[20:21], s[18:19]
	s_cbranch_execnz .LBB276_1510
	s_branch .LBB276_1511
.LBB276_2696:
	s_andn2_saveexec_b64 s[22:23], s[22:23]
	s_cbranch_execz .LBB276_2012
.LBB276_2697:
	v_cmp_lt_i16_e64 s[6:7], 22, v2
	s_mov_b64 s[24:25], s[18:19]
	s_and_saveexec_b64 s[20:21], s[6:7]
	s_xor_b64 s[20:21], exec, s[20:21]
	s_cbranch_execz .LBB276_2729
; %bb.2698:
	v_cmp_lt_i16_e64 s[6:7], 23, v2
	s_and_saveexec_b64 s[24:25], s[6:7]
	s_xor_b64 s[24:25], exec, s[24:25]
	s_cbranch_execz .LBB276_2718
; %bb.2699:
	v_cmp_lt_i16_e64 s[6:7], 24, v2
	s_and_saveexec_b64 s[26:27], s[6:7]
	s_xor_b64 s[26:27], exec, s[26:27]
	s_cbranch_execz .LBB276_2707
; %bb.2700:
	v_cndmask_b32_e64 v3, 0, 1.0, s[4:5]
	s_mov_b32 s6, 0x47800000
	v_cmp_gt_u32_e64 s[6:7], s6, v3
	v_mov_b32_e32 v4, 0x80
	s_and_saveexec_b64 s[28:29], s[6:7]
	s_cbranch_execz .LBB276_2706
; %bb.2701:
	s_mov_b32 s6, 0x37ffffff
	v_cmp_lt_u32_e64 s[6:7], s6, v3
	s_mov_b64 s[30:31], 0
                                        ; implicit-def: $vgpr2
	s_and_saveexec_b64 s[40:41], s[6:7]
	s_xor_b64 s[6:7], exec, s[40:41]
	s_cbranch_execz .LBB276_2847
; %bb.2702:
	v_bfe_u32 v2, v3, 21, 1
	s_mov_b32 s33, 0x88fffff
	v_add3_u32 v2, v3, v2, s33
	s_mov_b64 s[30:31], exec
	v_lshrrev_b32_e32 v2, 21, v2
                                        ; implicit-def: $vgpr3
	s_andn2_saveexec_b64 s[40:41], s[6:7]
	s_cbranch_execnz .LBB276_2848
.LBB276_2703:
	s_or_b64 exec, exec, s[40:41]
	v_mov_b32_e32 v4, 0
	s_and_saveexec_b64 s[6:7], s[30:31]
.LBB276_2704:
	v_mov_b32_e32 v4, v2
.LBB276_2705:
	s_or_b64 exec, exec, s[6:7]
.LBB276_2706:
	s_or_b64 exec, exec, s[28:29]
	flat_store_byte v[0:1], v4
.LBB276_2707:
	s_andn2_saveexec_b64 s[26:27], s[26:27]
	s_cbranch_execz .LBB276_2717
; %bb.2708:
	v_cndmask_b32_e64 v2, 0, 1.0, s[4:5]
	s_mov_b32 s6, 0x43f00000
	v_cmp_gt_u32_e64 s[6:7], s6, v2
                                        ; implicit-def: $vgpr3
	s_and_saveexec_b64 s[28:29], s[6:7]
	s_xor_b64 s[28:29], exec, s[28:29]
	s_cbranch_execz .LBB276_2714
; %bb.2709:
	s_mov_b32 s6, 0x3c7fffff
	v_cmp_lt_u32_e64 s[6:7], s6, v2
                                        ; implicit-def: $vgpr3
	s_and_saveexec_b64 s[30:31], s[6:7]
	s_xor_b64 s[30:31], exec, s[30:31]
; %bb.2710:
	v_bfe_u32 v3, v2, 20, 1
	s_mov_b32 s6, 0x407ffff
	v_add3_u32 v2, v2, v3, s6
	v_lshrrev_b32_e32 v3, 20, v2
	v_and_b32_e32 v2, 0xff00000, v2
	s_mov_b32 s6, 0x7f00000
	v_mov_b32_e32 v4, 0x7e
	v_cmp_ne_u32_e64 s[6:7], s6, v2
	v_cndmask_b32_e64 v3, v4, v3, s[6:7]
                                        ; implicit-def: $vgpr2
; %bb.2711:
	s_andn2_saveexec_b64 s[6:7], s[30:31]
; %bb.2712:
	v_add_f32_e32 v3, 0x46800000, v2
; %bb.2713:
	s_or_b64 exec, exec, s[6:7]
                                        ; implicit-def: $vgpr2
.LBB276_2714:
	s_andn2_saveexec_b64 s[28:29], s[28:29]
; %bb.2715:
	s_mov_b32 s6, 0x7f800000
	v_mov_b32_e32 v3, 0x7e
	v_mov_b32_e32 v4, 0x7f
	v_cmp_lt_u32_e64 s[6:7], s6, v2
	v_cndmask_b32_e64 v3, v3, v4, s[6:7]
; %bb.2716:
	s_or_b64 exec, exec, s[28:29]
	flat_store_byte v[0:1], v3
.LBB276_2717:
	s_or_b64 exec, exec, s[26:27]
.LBB276_2718:
	s_andn2_saveexec_b64 s[24:25], s[24:25]
	s_cbranch_execz .LBB276_2728
; %bb.2719:
	v_cndmask_b32_e64 v2, 0, 1.0, s[4:5]
	s_mov_b32 s6, 0x47800000
	v_cmp_gt_u32_e64 s[6:7], s6, v2
                                        ; implicit-def: $vgpr3
	s_and_saveexec_b64 s[26:27], s[6:7]
	s_xor_b64 s[26:27], exec, s[26:27]
	s_cbranch_execz .LBB276_2725
; %bb.2720:
	s_mov_b32 s6, 0x387fffff
	v_cmp_lt_u32_e64 s[6:7], s6, v2
                                        ; implicit-def: $vgpr3
	s_and_saveexec_b64 s[28:29], s[6:7]
	s_xor_b64 s[6:7], exec, s[28:29]
; %bb.2721:
	v_bfe_u32 v3, v2, 21, 1
	s_mov_b32 s28, 0x80fffff
	v_add3_u32 v2, v2, v3, s28
	v_lshrrev_b32_e32 v3, 21, v2
                                        ; implicit-def: $vgpr2
; %bb.2722:
	s_andn2_saveexec_b64 s[6:7], s[6:7]
; %bb.2723:
	v_add_f32_e32 v3, 0x43000000, v2
; %bb.2724:
	s_or_b64 exec, exec, s[6:7]
                                        ; implicit-def: $vgpr2
.LBB276_2725:
	s_andn2_saveexec_b64 s[26:27], s[26:27]
; %bb.2726:
	s_mov_b32 s6, 0x7f800000
	v_mov_b32_e32 v3, 0x7c
	v_mov_b32_e32 v4, 0x7f
	v_cmp_lt_u32_e64 s[6:7], s6, v2
	v_cndmask_b32_e64 v3, v3, v4, s[6:7]
; %bb.2727:
	s_or_b64 exec, exec, s[26:27]
	flat_store_byte v[0:1], v3
.LBB276_2728:
	s_or_b64 exec, exec, s[24:25]
	s_or_b64 s[24:25], s[18:19], exec
                                        ; implicit-def: $vgpr2
.LBB276_2729:
	s_or_saveexec_b64 s[20:21], s[20:21]
	s_mov_b64 s[6:7], 0
	s_mov_b64 s[26:27], s[8:9]
	s_xor_b64 exec, exec, s[20:21]
	s_cbranch_execz .LBB276_2737
; %bb.2730:
	v_cmp_lt_i16_e64 s[6:7], 14, v2
	s_mov_b64 s[26:27], s[8:9]
	s_mov_b64 s[28:29], s[24:25]
	s_and_saveexec_b64 s[30:31], s[6:7]
	s_xor_b64 s[30:31], exec, s[30:31]
	s_cbranch_execz .LBB276_2734
; %bb.2731:
	v_cmp_eq_u16_e64 s[6:7], 15, v2
	s_mov_b64 s[26:27], -1
	s_mov_b64 s[40:41], s[24:25]
	s_and_saveexec_b64 s[28:29], s[6:7]
	s_cbranch_execz .LBB276_2733
; %bb.2732:
	v_cndmask_b32_e64 v2, 0, 1.0, s[4:5]
	v_bfe_u32 v3, v2, 16, 1
	s_movk_i32 s6, 0x7fff
	v_add3_u32 v2, v2, v3, s6
	flat_store_short_d16_hi v[0:1], v2
	s_or_b64 s[40:41], s[24:25], exec
	s_xor_b64 s[26:27], exec, -1
.LBB276_2733:
	s_or_b64 exec, exec, s[28:29]
	s_andn2_b64 s[6:7], s[24:25], exec
	s_and_b64 s[28:29], s[40:41], exec
	s_or_b64 s[28:29], s[6:7], s[28:29]
	s_andn2_b64 s[6:7], s[8:9], exec
	s_and_b64 s[26:27], s[26:27], exec
	s_or_b64 s[26:27], s[6:7], s[26:27]
                                        ; implicit-def: $vgpr2
.LBB276_2734:
	s_or_saveexec_b64 s[30:31], s[30:31]
	s_mov_b64 s[40:41], 0
	s_xor_b64 exec, exec, s[30:31]
; %bb.2735:
	v_cmp_ne_u16_e64 s[6:7], 11, v2
	s_andn2_b64 s[26:27], s[26:27], exec
	s_and_b64 s[6:7], s[6:7], exec
	s_mov_b64 s[40:41], exec
	s_or_b64 s[26:27], s[26:27], s[6:7]
; %bb.2736:
	s_or_b64 exec, exec, s[30:31]
	s_andn2_b64 s[6:7], s[24:25], exec
	s_and_b64 s[24:25], s[28:29], exec
	s_andn2_b64 s[28:29], s[8:9], exec
	s_and_b64 s[26:27], s[26:27], exec
	s_or_b64 s[24:25], s[6:7], s[24:25]
	s_and_b64 s[6:7], s[40:41], exec
	s_or_b64 s[26:27], s[28:29], s[26:27]
.LBB276_2737:
	s_or_b64 exec, exec, s[20:21]
	s_andn2_b64 s[18:19], s[18:19], exec
	s_and_b64 s[20:21], s[24:25], exec
	s_or_b64 s[18:19], s[18:19], s[20:21]
	s_and_b64 s[20:21], s[6:7], exec
	s_andn2_b64 s[6:7], s[8:9], exec
	s_and_b64 s[8:9], s[26:27], exec
	s_or_b64 s[8:9], s[6:7], s[8:9]
	s_or_b64 exec, exec, s[22:23]
	s_mov_b64 s[6:7], s[12:13]
	s_and_saveexec_b64 s[22:23], s[8:9]
	s_cbranch_execz .LBB276_2013
.LBB276_2738:
	s_trap 2
	s_or_b64 s[6:7], s[12:13], exec
	s_andn2_b64 s[20:21], s[20:21], exec
	s_or_b64 exec, exec, s[22:23]
	s_and_saveexec_b64 s[8:9], s[20:21]
	s_xor_b64 s[8:9], exec, s[8:9]
	s_cbranch_execnz .LBB276_2014
	s_branch .LBB276_2015
.LBB276_2739:
	s_or_saveexec_b64 s[20:21], s[20:21]
	v_mov_b32_e32 v5, 0x7f800001
	s_xor_b64 exec, exec, s[20:21]
	s_cbranch_execz .LBB276_2484
.LBB276_2740:
	v_cmp_ne_u16_e32 vcc, 0, v6
	s_andn2_b64 s[18:19], s[18:19], exec
	s_and_b64 s[22:23], vcc, exec
	v_mov_b32_e32 v5, 0
	s_or_b64 s[18:19], s[18:19], s[22:23]
	s_or_b64 exec, exec, s[20:21]
	s_and_saveexec_b64 s[20:21], s[18:19]
	s_cbranch_execnz .LBB276_2485
	s_branch .LBB276_2486
.LBB276_2741:
	s_andn2_saveexec_b64 s[24:25], s[4:5]
	s_cbranch_execz .LBB276_256
.LBB276_2742:
	v_add_f32_e32 v2, 0x42800000, v3
	v_and_b32_e32 v2, 0xff, v2
	v_cmp_ne_u32_e64 s[4:5], 0, v2
	s_andn2_b64 s[22:23], s[22:23], exec
	s_and_b64 s[4:5], s[4:5], exec
	s_or_b64 s[22:23], s[22:23], s[4:5]
	s_or_b64 exec, exec, s[24:25]
	v_mov_b32_e32 v4, 0
	s_and_saveexec_b64 s[4:5], s[22:23]
	s_cbranch_execnz .LBB276_257
	s_branch .LBB276_258
.LBB276_2743:
	s_andn2_saveexec_b64 s[24:25], s[24:25]
	s_cbranch_execz .LBB276_342
.LBB276_2744:
	v_add_f32_e32 v2, 0x46000000, v3
	v_and_b32_e32 v2, 0xff, v2
	v_cmp_ne_u32_e32 vcc, 0, v2
	s_andn2_b64 s[22:23], s[22:23], exec
	s_and_b64 s[26:27], vcc, exec
	s_or_b64 s[22:23], s[22:23], s[26:27]
	s_or_b64 exec, exec, s[24:25]
	v_mov_b32_e32 v5, 0
	s_and_saveexec_b64 s[24:25], s[22:23]
	s_cbranch_execnz .LBB276_343
	s_branch .LBB276_344
.LBB276_2745:
	s_or_saveexec_b64 s[20:21], s[20:21]
	v_mov_b32_e32 v2, 0x7f800001
	s_xor_b64 exec, exec, s[20:21]
	s_cbranch_execz .LBB276_1735
.LBB276_2746:
	v_cmp_ne_u16_e32 vcc, 0, v3
	s_andn2_b64 s[18:19], s[18:19], exec
	s_and_b64 s[22:23], vcc, exec
	v_mov_b32_e32 v2, 0
	s_or_b64 s[18:19], s[18:19], s[22:23]
	s_or_b64 exec, exec, s[20:21]
	s_and_saveexec_b64 s[20:21], s[18:19]
	s_cbranch_execnz .LBB276_1736
	s_branch .LBB276_1737
.LBB276_2747:
	s_andn2_saveexec_b64 s[24:25], s[24:25]
	s_cbranch_execz .LBB276_2096
.LBB276_2748:
	v_cmp_lt_i16_e64 s[4:5], 22, v2
	s_mov_b64 s[26:27], s[20:21]
	s_and_saveexec_b64 s[22:23], s[4:5]
	s_xor_b64 s[22:23], exec, s[22:23]
	s_cbranch_execz .LBB276_2780
; %bb.2749:
	v_cmp_lt_i16_e64 s[4:5], 23, v2
	s_and_saveexec_b64 s[26:27], s[4:5]
	s_xor_b64 s[26:27], exec, s[26:27]
	s_cbranch_execz .LBB276_2769
; %bb.2750:
	v_cmp_lt_i16_e64 s[4:5], 24, v2
	s_and_saveexec_b64 s[28:29], s[4:5]
	s_xor_b64 s[28:29], exec, s[28:29]
	s_cbranch_execz .LBB276_2758
; %bb.2751:
	v_cndmask_b32_e64 v3, 0, 1.0, vcc
	s_mov_b32 s4, 0x47800000
	v_cmp_gt_u32_e64 s[4:5], s4, v3
	v_mov_b32_e32 v4, 0x80
	s_and_saveexec_b64 s[30:31], s[4:5]
	s_cbranch_execz .LBB276_2757
; %bb.2752:
	s_mov_b32 s4, 0x37ffffff
	v_cmp_lt_u32_e64 s[4:5], s4, v3
	s_mov_b64 s[40:41], 0
                                        ; implicit-def: $vgpr2
	s_and_saveexec_b64 s[64:65], s[4:5]
	s_xor_b64 s[4:5], exec, s[64:65]
	s_cbranch_execz .LBB276_2851
; %bb.2753:
	v_bfe_u32 v2, v3, 21, 1
	s_mov_b32 s33, 0x88fffff
	v_add3_u32 v2, v3, v2, s33
	s_mov_b64 s[40:41], exec
	v_lshrrev_b32_e32 v2, 21, v2
                                        ; implicit-def: $vgpr3
	s_andn2_saveexec_b64 s[64:65], s[4:5]
	s_cbranch_execnz .LBB276_2852
.LBB276_2754:
	s_or_b64 exec, exec, s[64:65]
	v_mov_b32_e32 v4, 0
	s_and_saveexec_b64 s[4:5], s[40:41]
.LBB276_2755:
	v_mov_b32_e32 v4, v2
.LBB276_2756:
	s_or_b64 exec, exec, s[4:5]
.LBB276_2757:
	s_or_b64 exec, exec, s[30:31]
	flat_store_byte v[0:1], v4
.LBB276_2758:
	s_andn2_saveexec_b64 s[28:29], s[28:29]
	s_cbranch_execz .LBB276_2768
; %bb.2759:
	v_cndmask_b32_e64 v2, 0, 1.0, vcc
	s_mov_b32 s4, 0x43f00000
	v_cmp_gt_u32_e64 s[4:5], s4, v2
                                        ; implicit-def: $vgpr3
	s_and_saveexec_b64 s[30:31], s[4:5]
	s_xor_b64 s[30:31], exec, s[30:31]
	s_cbranch_execz .LBB276_2765
; %bb.2760:
	s_mov_b32 s4, 0x3c7fffff
	v_cmp_lt_u32_e64 s[4:5], s4, v2
                                        ; implicit-def: $vgpr3
	s_and_saveexec_b64 s[40:41], s[4:5]
	s_xor_b64 s[40:41], exec, s[40:41]
; %bb.2761:
	v_bfe_u32 v3, v2, 20, 1
	s_mov_b32 s4, 0x407ffff
	v_add3_u32 v2, v2, v3, s4
	v_lshrrev_b32_e32 v3, 20, v2
	v_and_b32_e32 v2, 0xff00000, v2
	s_mov_b32 s4, 0x7f00000
	v_mov_b32_e32 v4, 0x7e
	v_cmp_ne_u32_e64 s[4:5], s4, v2
	v_cndmask_b32_e64 v3, v4, v3, s[4:5]
                                        ; implicit-def: $vgpr2
; %bb.2762:
	s_andn2_saveexec_b64 s[4:5], s[40:41]
; %bb.2763:
	v_add_f32_e32 v3, 0x46800000, v2
; %bb.2764:
	s_or_b64 exec, exec, s[4:5]
                                        ; implicit-def: $vgpr2
.LBB276_2765:
	s_andn2_saveexec_b64 s[30:31], s[30:31]
; %bb.2766:
	s_mov_b32 s4, 0x7f800000
	v_mov_b32_e32 v3, 0x7e
	v_mov_b32_e32 v4, 0x7f
	v_cmp_lt_u32_e64 s[4:5], s4, v2
	v_cndmask_b32_e64 v3, v3, v4, s[4:5]
; %bb.2767:
	s_or_b64 exec, exec, s[30:31]
	flat_store_byte v[0:1], v3
.LBB276_2768:
	s_or_b64 exec, exec, s[28:29]
.LBB276_2769:
	s_andn2_saveexec_b64 s[26:27], s[26:27]
	s_cbranch_execz .LBB276_2779
; %bb.2770:
	v_cndmask_b32_e64 v2, 0, 1.0, vcc
	s_mov_b32 s4, 0x47800000
	v_cmp_gt_u32_e64 s[4:5], s4, v2
                                        ; implicit-def: $vgpr3
	s_and_saveexec_b64 s[28:29], s[4:5]
	s_xor_b64 s[28:29], exec, s[28:29]
	s_cbranch_execz .LBB276_2776
; %bb.2771:
	s_mov_b32 s4, 0x387fffff
	v_cmp_lt_u32_e64 s[4:5], s4, v2
                                        ; implicit-def: $vgpr3
	s_and_saveexec_b64 s[30:31], s[4:5]
	s_xor_b64 s[4:5], exec, s[30:31]
; %bb.2772:
	v_bfe_u32 v3, v2, 21, 1
	s_mov_b32 s30, 0x80fffff
	v_add3_u32 v2, v2, v3, s30
	v_lshrrev_b32_e32 v3, 21, v2
                                        ; implicit-def: $vgpr2
; %bb.2773:
	s_andn2_saveexec_b64 s[4:5], s[4:5]
; %bb.2774:
	v_add_f32_e32 v3, 0x43000000, v2
; %bb.2775:
	s_or_b64 exec, exec, s[4:5]
                                        ; implicit-def: $vgpr2
.LBB276_2776:
	s_andn2_saveexec_b64 s[28:29], s[28:29]
; %bb.2777:
	s_mov_b32 s4, 0x7f800000
	v_mov_b32_e32 v3, 0x7c
	v_mov_b32_e32 v4, 0x7f
	v_cmp_lt_u32_e64 s[4:5], s4, v2
	v_cndmask_b32_e64 v3, v3, v4, s[4:5]
; %bb.2778:
	s_or_b64 exec, exec, s[28:29]
	flat_store_byte v[0:1], v3
.LBB276_2779:
	s_or_b64 exec, exec, s[26:27]
	s_or_b64 s[26:27], s[20:21], exec
                                        ; implicit-def: $vgpr2
.LBB276_2780:
	s_or_saveexec_b64 s[22:23], s[22:23]
	s_mov_b64 s[4:5], 0
	s_mov_b64 s[28:29], s[6:7]
	s_xor_b64 exec, exec, s[22:23]
	s_cbranch_execz .LBB276_2788
; %bb.2781:
	v_cmp_lt_i16_e64 s[4:5], 14, v2
	s_mov_b64 s[28:29], s[6:7]
	s_mov_b64 s[30:31], s[26:27]
	s_and_saveexec_b64 s[40:41], s[4:5]
	s_xor_b64 s[40:41], exec, s[40:41]
	s_cbranch_execz .LBB276_2785
; %bb.2782:
	v_cmp_eq_u16_e64 s[4:5], 15, v2
	s_mov_b64 s[28:29], -1
	s_mov_b64 s[64:65], s[26:27]
	s_and_saveexec_b64 s[30:31], s[4:5]
	s_cbranch_execz .LBB276_2784
; %bb.2783:
	v_cndmask_b32_e64 v2, 0, 1.0, vcc
	v_bfe_u32 v3, v2, 16, 1
	s_movk_i32 s4, 0x7fff
	v_add3_u32 v2, v2, v3, s4
	flat_store_short_d16_hi v[0:1], v2
	s_or_b64 s[64:65], s[26:27], exec
	s_xor_b64 s[28:29], exec, -1
.LBB276_2784:
	s_or_b64 exec, exec, s[30:31]
	s_andn2_b64 s[4:5], s[26:27], exec
	s_and_b64 s[30:31], s[64:65], exec
	s_or_b64 s[30:31], s[4:5], s[30:31]
	s_andn2_b64 s[4:5], s[6:7], exec
	s_and_b64 s[28:29], s[28:29], exec
	s_or_b64 s[28:29], s[4:5], s[28:29]
                                        ; implicit-def: $vgpr2
.LBB276_2785:
	s_or_saveexec_b64 s[40:41], s[40:41]
	s_mov_b64 s[64:65], 0
	s_xor_b64 exec, exec, s[40:41]
; %bb.2786:
	v_cmp_ne_u16_e64 s[4:5], 11, v2
	s_andn2_b64 s[28:29], s[28:29], exec
	s_and_b64 s[4:5], s[4:5], exec
	s_mov_b64 s[64:65], exec
	s_or_b64 s[28:29], s[28:29], s[4:5]
; %bb.2787:
	s_or_b64 exec, exec, s[40:41]
	s_andn2_b64 s[4:5], s[26:27], exec
	s_and_b64 s[26:27], s[30:31], exec
	s_andn2_b64 s[30:31], s[6:7], exec
	s_and_b64 s[28:29], s[28:29], exec
	s_or_b64 s[26:27], s[4:5], s[26:27]
	s_and_b64 s[4:5], s[64:65], exec
	s_or_b64 s[28:29], s[30:31], s[28:29]
.LBB276_2788:
	s_or_b64 exec, exec, s[22:23]
	s_andn2_b64 s[20:21], s[20:21], exec
	s_and_b64 s[22:23], s[26:27], exec
	s_or_b64 s[20:21], s[20:21], s[22:23]
	s_and_b64 s[22:23], s[4:5], exec
	s_andn2_b64 s[4:5], s[6:7], exec
	s_and_b64 s[6:7], s[28:29], exec
	s_or_b64 s[6:7], s[4:5], s[6:7]
	s_or_b64 exec, exec, s[24:25]
	s_mov_b64 s[4:5], s[8:9]
	s_and_saveexec_b64 s[24:25], s[6:7]
	s_cbranch_execz .LBB276_2097
.LBB276_2789:
	s_trap 2
	s_or_b64 s[4:5], s[8:9], exec
	s_andn2_b64 s[22:23], s[22:23], exec
	s_or_b64 exec, exec, s[24:25]
	s_and_saveexec_b64 s[6:7], s[22:23]
	s_xor_b64 s[6:7], exec, s[6:7]
	s_cbranch_execnz .LBB276_2098
	s_branch .LBB276_2099
.LBB276_2790:
	s_or_saveexec_b64 s[20:21], s[20:21]
	v_mov_b32_e32 v3, 0x7f800001
	s_xor_b64 exec, exec, s[20:21]
	s_cbranch_execz .LBB276_2537
.LBB276_2791:
	v_cmp_ne_u16_e32 vcc, 0, v4
	s_andn2_b64 s[18:19], s[18:19], exec
	s_and_b64 s[22:23], vcc, exec
	v_mov_b32_e32 v3, 0
	s_or_b64 s[18:19], s[18:19], s[22:23]
	s_or_b64 exec, exec, s[20:21]
	s_and_saveexec_b64 s[20:21], s[18:19]
	s_cbranch_execnz .LBB276_2538
	s_branch .LBB276_2539
.LBB276_2792:
	s_andn2_saveexec_b64 s[24:25], s[24:25]
	s_cbranch_execz .LBB276_355
.LBB276_2793:
	v_add_f32_e32 v2, 0x42800000, v3
	v_and_b32_e32 v2, 0xff, v2
	v_cmp_ne_u32_e32 vcc, 0, v2
	s_andn2_b64 s[22:23], s[22:23], exec
	s_and_b64 s[26:27], vcc, exec
	s_or_b64 s[22:23], s[22:23], s[26:27]
	s_or_b64 exec, exec, s[24:25]
	v_mov_b32_e32 v5, 0
	s_and_saveexec_b64 s[24:25], s[22:23]
	s_cbranch_execnz .LBB276_356
	s_branch .LBB276_357
.LBB276_2794:
	s_andn2_saveexec_b64 s[26:27], s[26:27]
	s_cbranch_execz .LBB276_2180
.LBB276_2795:
	v_cmp_lt_i16_e32 vcc, 22, v3
	s_mov_b64 s[28:29], s[4:5]
	s_and_saveexec_b64 s[24:25], vcc
	s_xor_b64 s[24:25], exec, s[24:25]
	s_cbranch_execz .LBB276_2827
; %bb.2796:
	v_cmp_lt_i16_e32 vcc, 23, v3
	s_and_saveexec_b64 s[28:29], vcc
	s_xor_b64 s[28:29], exec, s[28:29]
	s_cbranch_execz .LBB276_2816
; %bb.2797:
	v_cmp_lt_i16_e32 vcc, 24, v3
	s_and_saveexec_b64 s[30:31], vcc
	s_xor_b64 s[30:31], exec, s[30:31]
	s_cbranch_execz .LBB276_2805
; %bb.2798:
	v_cndmask_b32_e64 v1, 0, 1.0, s[10:11]
	s_mov_b32 s33, 0x47800000
	v_cmp_gt_u32_e32 vcc, s33, v1
	v_mov_b32_e32 v2, 0x80
	s_and_saveexec_b64 s[40:41], vcc
	s_cbranch_execz .LBB276_2804
; %bb.2799:
	s_mov_b32 s33, 0x37ffffff
	v_cmp_lt_u32_e32 vcc, s33, v1
	s_mov_b64 s[64:65], 0
                                        ; implicit-def: $vgpr0
	s_and_saveexec_b64 s[66:67], vcc
	s_xor_b64 s[66:67], exec, s[66:67]
	s_cbranch_execz .LBB276_2853
; %bb.2800:
	v_bfe_u32 v0, v1, 21, 1
	s_mov_b32 s33, 0x88fffff
	v_add3_u32 v0, v1, v0, s33
	s_mov_b64 s[64:65], exec
	v_lshrrev_b32_e32 v0, 21, v0
                                        ; implicit-def: $vgpr1
	s_andn2_saveexec_b64 s[66:67], s[66:67]
	s_cbranch_execnz .LBB276_2854
.LBB276_2801:
	s_or_b64 exec, exec, s[66:67]
	v_mov_b32_e32 v2, 0
	s_and_saveexec_b64 s[66:67], s[64:65]
.LBB276_2802:
	v_mov_b32_e32 v2, v0
.LBB276_2803:
	s_or_b64 exec, exec, s[66:67]
.LBB276_2804:
	s_or_b64 exec, exec, s[40:41]
	flat_store_byte v[9:10], v2
.LBB276_2805:
	s_andn2_saveexec_b64 s[30:31], s[30:31]
	s_cbranch_execz .LBB276_2815
; %bb.2806:
	v_cndmask_b32_e64 v0, 0, 1.0, s[10:11]
	s_mov_b32 s33, 0x43f00000
	v_cmp_gt_u32_e32 vcc, s33, v0
                                        ; implicit-def: $vgpr1
	s_and_saveexec_b64 s[40:41], vcc
	s_xor_b64 s[40:41], exec, s[40:41]
	s_cbranch_execz .LBB276_2812
; %bb.2807:
	s_mov_b32 s33, 0x3c7fffff
	v_cmp_lt_u32_e32 vcc, s33, v0
                                        ; implicit-def: $vgpr1
	s_and_saveexec_b64 s[64:65], vcc
	s_xor_b64 s[64:65], exec, s[64:65]
; %bb.2808:
	v_bfe_u32 v1, v0, 20, 1
	s_mov_b32 s33, 0x407ffff
	v_add3_u32 v0, v0, v1, s33
	v_lshrrev_b32_e32 v1, 20, v0
	v_and_b32_e32 v0, 0xff00000, v0
	s_mov_b32 s33, 0x7f00000
	v_mov_b32_e32 v2, 0x7e
	v_cmp_ne_u32_e32 vcc, s33, v0
	v_cndmask_b32_e32 v1, v2, v1, vcc
                                        ; implicit-def: $vgpr0
; %bb.2809:
	s_andn2_saveexec_b64 s[64:65], s[64:65]
; %bb.2810:
	v_add_f32_e32 v1, 0x46800000, v0
; %bb.2811:
	s_or_b64 exec, exec, s[64:65]
                                        ; implicit-def: $vgpr0
.LBB276_2812:
	s_andn2_saveexec_b64 s[40:41], s[40:41]
; %bb.2813:
	s_mov_b32 s33, 0x7f800000
	v_mov_b32_e32 v1, 0x7e
	v_mov_b32_e32 v2, 0x7f
	v_cmp_lt_u32_e32 vcc, s33, v0
	v_cndmask_b32_e32 v1, v1, v2, vcc
; %bb.2814:
	s_or_b64 exec, exec, s[40:41]
	flat_store_byte v[9:10], v1
.LBB276_2815:
	s_or_b64 exec, exec, s[30:31]
.LBB276_2816:
	s_andn2_saveexec_b64 s[28:29], s[28:29]
	s_cbranch_execz .LBB276_2826
; %bb.2817:
	v_cndmask_b32_e64 v0, 0, 1.0, s[10:11]
	s_mov_b32 s30, 0x47800000
	v_cmp_gt_u32_e32 vcc, s30, v0
                                        ; implicit-def: $vgpr1
	s_and_saveexec_b64 s[30:31], vcc
	s_xor_b64 s[30:31], exec, s[30:31]
	s_cbranch_execz .LBB276_2823
; %bb.2818:
	s_mov_b32 s33, 0x387fffff
	v_cmp_lt_u32_e32 vcc, s33, v0
                                        ; implicit-def: $vgpr1
	s_and_saveexec_b64 s[40:41], vcc
	s_xor_b64 s[40:41], exec, s[40:41]
; %bb.2819:
	v_bfe_u32 v1, v0, 21, 1
	s_mov_b32 s33, 0x80fffff
	v_add3_u32 v0, v0, v1, s33
	v_lshrrev_b32_e32 v1, 21, v0
                                        ; implicit-def: $vgpr0
; %bb.2820:
	s_andn2_saveexec_b64 s[40:41], s[40:41]
; %bb.2821:
	v_add_f32_e32 v1, 0x43000000, v0
; %bb.2822:
	s_or_b64 exec, exec, s[40:41]
                                        ; implicit-def: $vgpr0
.LBB276_2823:
	s_andn2_saveexec_b64 s[30:31], s[30:31]
; %bb.2824:
	s_mov_b32 s33, 0x7f800000
	v_mov_b32_e32 v1, 0x7c
	v_mov_b32_e32 v2, 0x7f
	v_cmp_lt_u32_e32 vcc, s33, v0
	v_cndmask_b32_e32 v1, v1, v2, vcc
; %bb.2825:
	s_or_b64 exec, exec, s[30:31]
	flat_store_byte v[9:10], v1
.LBB276_2826:
	s_or_b64 exec, exec, s[28:29]
	s_or_b64 s[28:29], s[4:5], exec
.LBB276_2827:
	s_or_saveexec_b64 s[24:25], s[24:25]
	s_mov_b64 s[40:41], 0
	s_mov_b64 s[30:31], s[22:23]
	s_xor_b64 exec, exec, s[24:25]
	s_cbranch_execz .LBB276_2835
; %bb.2828:
	v_cmp_lt_i16_e32 vcc, 14, v3
	s_mov_b64 s[30:31], s[22:23]
	s_mov_b64 s[40:41], s[28:29]
	s_and_saveexec_b64 s[64:65], vcc
	s_xor_b64 s[64:65], exec, s[64:65]
	s_cbranch_execz .LBB276_2832
; %bb.2829:
	v_cmp_eq_u16_e32 vcc, 15, v3
	s_mov_b64 s[30:31], -1
	s_mov_b64 s[66:67], s[28:29]
	s_and_saveexec_b64 s[40:41], vcc
	s_cbranch_execz .LBB276_2831
; %bb.2830:
	v_cndmask_b32_e64 v0, 0, 1.0, s[10:11]
	v_bfe_u32 v1, v0, 16, 1
	s_movk_i32 s30, 0x7fff
	v_add3_u32 v0, v0, v1, s30
	flat_store_short_d16_hi v[9:10], v0
	s_or_b64 s[66:67], s[28:29], exec
	s_xor_b64 s[30:31], exec, -1
.LBB276_2831:
	s_or_b64 exec, exec, s[40:41]
	s_andn2_b64 s[40:41], s[28:29], exec
	s_and_b64 s[66:67], s[66:67], exec
	s_or_b64 s[40:41], s[40:41], s[66:67]
	s_andn2_b64 s[66:67], s[22:23], exec
	s_and_b64 s[30:31], s[30:31], exec
	s_or_b64 s[30:31], s[66:67], s[30:31]
.LBB276_2832:
	s_or_saveexec_b64 s[64:65], s[64:65]
	s_mov_b64 s[66:67], 0
	s_xor_b64 exec, exec, s[64:65]
; %bb.2833:
	v_cmp_ne_u16_e32 vcc, 11, v3
	s_andn2_b64 s[30:31], s[30:31], exec
	s_and_b64 s[68:69], vcc, exec
	s_mov_b64 s[66:67], exec
	s_or_b64 s[30:31], s[30:31], s[68:69]
; %bb.2834:
	s_or_b64 exec, exec, s[64:65]
	s_andn2_b64 s[28:29], s[28:29], exec
	s_and_b64 s[40:41], s[40:41], exec
	s_andn2_b64 s[64:65], s[22:23], exec
	s_and_b64 s[30:31], s[30:31], exec
	s_or_b64 s[28:29], s[28:29], s[40:41]
	s_and_b64 s[40:41], s[66:67], exec
	s_or_b64 s[30:31], s[64:65], s[30:31]
.LBB276_2835:
	s_or_b64 exec, exec, s[24:25]
	s_andn2_b64 s[4:5], s[4:5], exec
	s_and_b64 s[24:25], s[28:29], exec
	s_andn2_b64 s[22:23], s[22:23], exec
	s_and_b64 s[28:29], s[30:31], exec
	s_or_b64 s[4:5], s[4:5], s[24:25]
	s_and_b64 s[24:25], s[40:41], exec
	s_or_b64 s[22:23], s[22:23], s[28:29]
	s_or_b64 exec, exec, s[26:27]
	s_mov_b64 s[26:27], s[6:7]
	s_and_saveexec_b64 s[28:29], s[22:23]
	s_cbranch_execz .LBB276_2181
.LBB276_2836:
	s_andn2_b64 s[24:25], s[24:25], exec
	s_or_b64 s[26:27], s[6:7], exec
	s_trap 2
	s_branch .LBB276_2181
.LBB276_2837:
	s_or_saveexec_b64 s[20:21], s[20:21]
	v_mov_b32_e32 v2, 0x7f800001
	s_xor_b64 exec, exec, s[20:21]
	s_cbranch_execz .LBB276_2594
.LBB276_2838:
	v_cmp_ne_u16_e32 vcc, 0, v3
	s_andn2_b64 s[18:19], s[18:19], exec
	s_and_b64 s[22:23], vcc, exec
	v_mov_b32_e32 v2, 0
	s_or_b64 s[18:19], s[18:19], s[22:23]
	s_or_b64 exec, exec, s[20:21]
	s_and_saveexec_b64 s[20:21], s[18:19]
	s_cbranch_execnz .LBB276_2595
	s_branch .LBB276_2596
.LBB276_2839:
	s_andn2_saveexec_b64 s[28:29], s[6:7]
	s_cbranch_execz .LBB276_1922
.LBB276_2840:
	v_add_f32_e32 v2, 0x46000000, v3
	v_and_b32_e32 v2, 0xff, v2
	v_cmp_ne_u32_e64 s[6:7], 0, v2
	s_andn2_b64 s[26:27], s[26:27], exec
	s_and_b64 s[6:7], s[6:7], exec
	s_or_b64 s[26:27], s[26:27], s[6:7]
	s_or_b64 exec, exec, s[28:29]
	v_mov_b32_e32 v4, 0
	s_and_saveexec_b64 s[6:7], s[26:27]
	s_cbranch_execnz .LBB276_1923
	s_branch .LBB276_1924
.LBB276_2841:
	s_andn2_saveexec_b64 s[40:41], s[6:7]
	s_cbranch_execz .LBB276_2006
.LBB276_2842:
	v_add_f32_e32 v2, 0x46000000, v3
	v_and_b32_e32 v2, 0xff, v2
	v_cmp_ne_u32_e64 s[6:7], 0, v2
	s_andn2_b64 s[30:31], s[30:31], exec
	s_and_b64 s[6:7], s[6:7], exec
	s_or_b64 s[30:31], s[30:31], s[6:7]
	s_or_b64 exec, exec, s[40:41]
	v_mov_b32_e32 v4, 0
	s_and_saveexec_b64 s[6:7], s[30:31]
	s_cbranch_execnz .LBB276_2007
	s_branch .LBB276_2008
.LBB276_2843:
	s_andn2_saveexec_b64 s[28:29], s[6:7]
	s_cbranch_execz .LBB276_2652
.LBB276_2844:
	v_add_f32_e32 v2, 0x42800000, v3
	v_and_b32_e32 v2, 0xff, v2
	v_cmp_ne_u32_e64 s[6:7], 0, v2
	s_andn2_b64 s[26:27], s[26:27], exec
	s_and_b64 s[6:7], s[6:7], exec
	s_or_b64 s[26:27], s[26:27], s[6:7]
	s_or_b64 exec, exec, s[28:29]
	v_mov_b32_e32 v4, 0
	s_and_saveexec_b64 s[6:7], s[26:27]
	s_cbranch_execnz .LBB276_2653
	s_branch .LBB276_2654
.LBB276_2845:
	s_andn2_saveexec_b64 s[64:65], s[4:5]
	s_cbranch_execz .LBB276_2090
.LBB276_2846:
	v_add_f32_e32 v2, 0x46000000, v3
	v_and_b32_e32 v2, 0xff, v2
	v_cmp_ne_u32_e64 s[4:5], 0, v2
	s_andn2_b64 s[40:41], s[40:41], exec
	s_and_b64 s[4:5], s[4:5], exec
	s_or_b64 s[40:41], s[40:41], s[4:5]
	s_or_b64 exec, exec, s[64:65]
	v_mov_b32_e32 v4, 0
	s_and_saveexec_b64 s[4:5], s[40:41]
	s_cbranch_execnz .LBB276_2091
	s_branch .LBB276_2092
.LBB276_2847:
	s_andn2_saveexec_b64 s[40:41], s[6:7]
	s_cbranch_execz .LBB276_2703
.LBB276_2848:
	v_add_f32_e32 v2, 0x42800000, v3
	v_and_b32_e32 v2, 0xff, v2
	v_cmp_ne_u32_e64 s[6:7], 0, v2
	s_andn2_b64 s[30:31], s[30:31], exec
	s_and_b64 s[6:7], s[6:7], exec
	s_or_b64 s[30:31], s[30:31], s[6:7]
	s_or_b64 exec, exec, s[40:41]
	v_mov_b32_e32 v4, 0
	s_and_saveexec_b64 s[6:7], s[30:31]
	s_cbranch_execnz .LBB276_2704
	s_branch .LBB276_2705
.LBB276_2849:
	s_andn2_saveexec_b64 s[66:67], s[66:67]
	s_cbranch_execz .LBB276_2174
.LBB276_2850:
	v_add_f32_e32 v0, 0x46000000, v1
	v_and_b32_e32 v0, 0xff, v0
	v_cmp_ne_u32_e32 vcc, 0, v0
	s_andn2_b64 s[64:65], s[64:65], exec
	s_and_b64 s[68:69], vcc, exec
	s_or_b64 s[64:65], s[64:65], s[68:69]
	s_or_b64 exec, exec, s[66:67]
	v_mov_b32_e32 v2, 0
	s_and_saveexec_b64 s[66:67], s[64:65]
	s_cbranch_execnz .LBB276_2175
	s_branch .LBB276_2176
.LBB276_2851:
	s_andn2_saveexec_b64 s[64:65], s[4:5]
	s_cbranch_execz .LBB276_2754
.LBB276_2852:
	v_add_f32_e32 v2, 0x42800000, v3
	v_and_b32_e32 v2, 0xff, v2
	v_cmp_ne_u32_e64 s[4:5], 0, v2
	s_andn2_b64 s[40:41], s[40:41], exec
	s_and_b64 s[4:5], s[4:5], exec
	s_or_b64 s[40:41], s[40:41], s[4:5]
	s_or_b64 exec, exec, s[64:65]
	v_mov_b32_e32 v4, 0
	s_and_saveexec_b64 s[4:5], s[40:41]
	s_cbranch_execnz .LBB276_2755
	s_branch .LBB276_2756
.LBB276_2853:
	s_andn2_saveexec_b64 s[66:67], s[66:67]
	s_cbranch_execz .LBB276_2801
.LBB276_2854:
	v_add_f32_e32 v0, 0x42800000, v1
	v_and_b32_e32 v0, 0xff, v0
	v_cmp_ne_u32_e32 vcc, 0, v0
	s_andn2_b64 s[64:65], s[64:65], exec
	s_and_b64 s[68:69], vcc, exec
	s_or_b64 s[64:65], s[64:65], s[68:69]
	s_or_b64 exec, exec, s[66:67]
	v_mov_b32_e32 v2, 0
	s_and_saveexec_b64 s[66:67], s[64:65]
	s_cbranch_execnz .LBB276_2802
	s_branch .LBB276_2803
	.section	.rodata,"a",@progbits
	.p2align	6, 0x0
	.amdhsa_kernel _ZN2at6native32elementwise_kernel_manual_unrollILi128ELi4EZNS0_15gpu_kernel_implINS0_13BinaryFunctorIN3c1013Float8_e4m3fnES5_bNS0_12_GLOBAL__N_116CompareEqFunctorIS5_EEEEEEvRNS_18TensorIteratorBaseERKT_EUlibE0_EEviT1_
		.amdhsa_group_segment_fixed_size 0
		.amdhsa_private_segment_fixed_size 464
		.amdhsa_kernarg_size 432
		.amdhsa_user_sgpr_count 8
		.amdhsa_user_sgpr_private_segment_buffer 1
		.amdhsa_user_sgpr_dispatch_ptr 0
		.amdhsa_user_sgpr_queue_ptr 0
		.amdhsa_user_sgpr_kernarg_segment_ptr 1
		.amdhsa_user_sgpr_dispatch_id 0
		.amdhsa_user_sgpr_flat_scratch_init 1
		.amdhsa_user_sgpr_private_segment_size 0
		.amdhsa_uses_dynamic_stack 0
		.amdhsa_system_sgpr_private_segment_wavefront_offset 1
		.amdhsa_system_sgpr_workgroup_id_x 1
		.amdhsa_system_sgpr_workgroup_id_y 0
		.amdhsa_system_sgpr_workgroup_id_z 0
		.amdhsa_system_sgpr_workgroup_info 0
		.amdhsa_system_vgpr_workitem_id 0
		.amdhsa_next_free_vgpr 28
		.amdhsa_next_free_sgpr 70
		.amdhsa_reserve_vcc 1
		.amdhsa_reserve_flat_scratch 1
		.amdhsa_float_round_mode_32 0
		.amdhsa_float_round_mode_16_64 0
		.amdhsa_float_denorm_mode_32 3
		.amdhsa_float_denorm_mode_16_64 3
		.amdhsa_dx10_clamp 1
		.amdhsa_ieee_mode 1
		.amdhsa_fp16_overflow 0
		.amdhsa_exception_fp_ieee_invalid_op 0
		.amdhsa_exception_fp_denorm_src 0
		.amdhsa_exception_fp_ieee_div_zero 0
		.amdhsa_exception_fp_ieee_overflow 0
		.amdhsa_exception_fp_ieee_underflow 0
		.amdhsa_exception_fp_ieee_inexact 0
		.amdhsa_exception_int_div_zero 0
	.end_amdhsa_kernel
	.section	.text._ZN2at6native32elementwise_kernel_manual_unrollILi128ELi4EZNS0_15gpu_kernel_implINS0_13BinaryFunctorIN3c1013Float8_e4m3fnES5_bNS0_12_GLOBAL__N_116CompareEqFunctorIS5_EEEEEEvRNS_18TensorIteratorBaseERKT_EUlibE0_EEviT1_,"axG",@progbits,_ZN2at6native32elementwise_kernel_manual_unrollILi128ELi4EZNS0_15gpu_kernel_implINS0_13BinaryFunctorIN3c1013Float8_e4m3fnES5_bNS0_12_GLOBAL__N_116CompareEqFunctorIS5_EEEEEEvRNS_18TensorIteratorBaseERKT_EUlibE0_EEviT1_,comdat
.Lfunc_end276:
	.size	_ZN2at6native32elementwise_kernel_manual_unrollILi128ELi4EZNS0_15gpu_kernel_implINS0_13BinaryFunctorIN3c1013Float8_e4m3fnES5_bNS0_12_GLOBAL__N_116CompareEqFunctorIS5_EEEEEEvRNS_18TensorIteratorBaseERKT_EUlibE0_EEviT1_, .Lfunc_end276-_ZN2at6native32elementwise_kernel_manual_unrollILi128ELi4EZNS0_15gpu_kernel_implINS0_13BinaryFunctorIN3c1013Float8_e4m3fnES5_bNS0_12_GLOBAL__N_116CompareEqFunctorIS5_EEEEEEvRNS_18TensorIteratorBaseERKT_EUlibE0_EEviT1_
                                        ; -- End function
	.set _ZN2at6native32elementwise_kernel_manual_unrollILi128ELi4EZNS0_15gpu_kernel_implINS0_13BinaryFunctorIN3c1013Float8_e4m3fnES5_bNS0_12_GLOBAL__N_116CompareEqFunctorIS5_EEEEEEvRNS_18TensorIteratorBaseERKT_EUlibE0_EEviT1_.num_vgpr, max(28, .L_ZN2at6native6invokeINS0_13BinaryFunctorIN3c1013Float8_e4m3fnES4_bNS0_12_GLOBAL__N_116CompareEqFunctorIS4_EEEEj15function_traitsIS8_EEENT1_11result_typeERKT_PrKPcPKT0_PKNS3_10ScalarTypeEi.num_vgpr)
	.set _ZN2at6native32elementwise_kernel_manual_unrollILi128ELi4EZNS0_15gpu_kernel_implINS0_13BinaryFunctorIN3c1013Float8_e4m3fnES5_bNS0_12_GLOBAL__N_116CompareEqFunctorIS5_EEEEEEvRNS_18TensorIteratorBaseERKT_EUlibE0_EEviT1_.num_agpr, max(0, .L_ZN2at6native6invokeINS0_13BinaryFunctorIN3c1013Float8_e4m3fnES4_bNS0_12_GLOBAL__N_116CompareEqFunctorIS4_EEEEj15function_traitsIS8_EEENT1_11result_typeERKT_PrKPcPKT0_PKNS3_10ScalarTypeEi.num_agpr)
	.set _ZN2at6native32elementwise_kernel_manual_unrollILi128ELi4EZNS0_15gpu_kernel_implINS0_13BinaryFunctorIN3c1013Float8_e4m3fnES5_bNS0_12_GLOBAL__N_116CompareEqFunctorIS5_EEEEEEvRNS_18TensorIteratorBaseERKT_EUlibE0_EEviT1_.numbered_sgpr, max(70, .L_ZN2at6native6invokeINS0_13BinaryFunctorIN3c1013Float8_e4m3fnES4_bNS0_12_GLOBAL__N_116CompareEqFunctorIS4_EEEEj15function_traitsIS8_EEENT1_11result_typeERKT_PrKPcPKT0_PKNS3_10ScalarTypeEi.numbered_sgpr)
	.set _ZN2at6native32elementwise_kernel_manual_unrollILi128ELi4EZNS0_15gpu_kernel_implINS0_13BinaryFunctorIN3c1013Float8_e4m3fnES5_bNS0_12_GLOBAL__N_116CompareEqFunctorIS5_EEEEEEvRNS_18TensorIteratorBaseERKT_EUlibE0_EEviT1_.num_named_barrier, max(0, .L_ZN2at6native6invokeINS0_13BinaryFunctorIN3c1013Float8_e4m3fnES4_bNS0_12_GLOBAL__N_116CompareEqFunctorIS4_EEEEj15function_traitsIS8_EEENT1_11result_typeERKT_PrKPcPKT0_PKNS3_10ScalarTypeEi.num_named_barrier)
	.set _ZN2at6native32elementwise_kernel_manual_unrollILi128ELi4EZNS0_15gpu_kernel_implINS0_13BinaryFunctorIN3c1013Float8_e4m3fnES5_bNS0_12_GLOBAL__N_116CompareEqFunctorIS5_EEEEEEvRNS_18TensorIteratorBaseERKT_EUlibE0_EEviT1_.private_seg_size, 464+max(.L_ZN2at6native6invokeINS0_13BinaryFunctorIN3c1013Float8_e4m3fnES4_bNS0_12_GLOBAL__N_116CompareEqFunctorIS4_EEEEj15function_traitsIS8_EEENT1_11result_typeERKT_PrKPcPKT0_PKNS3_10ScalarTypeEi.private_seg_size)
	.set _ZN2at6native32elementwise_kernel_manual_unrollILi128ELi4EZNS0_15gpu_kernel_implINS0_13BinaryFunctorIN3c1013Float8_e4m3fnES5_bNS0_12_GLOBAL__N_116CompareEqFunctorIS5_EEEEEEvRNS_18TensorIteratorBaseERKT_EUlibE0_EEviT1_.uses_vcc, or(1, .L_ZN2at6native6invokeINS0_13BinaryFunctorIN3c1013Float8_e4m3fnES4_bNS0_12_GLOBAL__N_116CompareEqFunctorIS4_EEEEj15function_traitsIS8_EEENT1_11result_typeERKT_PrKPcPKT0_PKNS3_10ScalarTypeEi.uses_vcc)
	.set _ZN2at6native32elementwise_kernel_manual_unrollILi128ELi4EZNS0_15gpu_kernel_implINS0_13BinaryFunctorIN3c1013Float8_e4m3fnES5_bNS0_12_GLOBAL__N_116CompareEqFunctorIS5_EEEEEEvRNS_18TensorIteratorBaseERKT_EUlibE0_EEviT1_.uses_flat_scratch, or(1, .L_ZN2at6native6invokeINS0_13BinaryFunctorIN3c1013Float8_e4m3fnES4_bNS0_12_GLOBAL__N_116CompareEqFunctorIS4_EEEEj15function_traitsIS8_EEENT1_11result_typeERKT_PrKPcPKT0_PKNS3_10ScalarTypeEi.uses_flat_scratch)
	.set _ZN2at6native32elementwise_kernel_manual_unrollILi128ELi4EZNS0_15gpu_kernel_implINS0_13BinaryFunctorIN3c1013Float8_e4m3fnES5_bNS0_12_GLOBAL__N_116CompareEqFunctorIS5_EEEEEEvRNS_18TensorIteratorBaseERKT_EUlibE0_EEviT1_.has_dyn_sized_stack, or(0, .L_ZN2at6native6invokeINS0_13BinaryFunctorIN3c1013Float8_e4m3fnES4_bNS0_12_GLOBAL__N_116CompareEqFunctorIS4_EEEEj15function_traitsIS8_EEENT1_11result_typeERKT_PrKPcPKT0_PKNS3_10ScalarTypeEi.has_dyn_sized_stack)
	.set _ZN2at6native32elementwise_kernel_manual_unrollILi128ELi4EZNS0_15gpu_kernel_implINS0_13BinaryFunctorIN3c1013Float8_e4m3fnES5_bNS0_12_GLOBAL__N_116CompareEqFunctorIS5_EEEEEEvRNS_18TensorIteratorBaseERKT_EUlibE0_EEviT1_.has_recursion, or(0, .L_ZN2at6native6invokeINS0_13BinaryFunctorIN3c1013Float8_e4m3fnES4_bNS0_12_GLOBAL__N_116CompareEqFunctorIS4_EEEEj15function_traitsIS8_EEENT1_11result_typeERKT_PrKPcPKT0_PKNS3_10ScalarTypeEi.has_recursion)
	.set _ZN2at6native32elementwise_kernel_manual_unrollILi128ELi4EZNS0_15gpu_kernel_implINS0_13BinaryFunctorIN3c1013Float8_e4m3fnES5_bNS0_12_GLOBAL__N_116CompareEqFunctorIS5_EEEEEEvRNS_18TensorIteratorBaseERKT_EUlibE0_EEviT1_.has_indirect_call, or(0, .L_ZN2at6native6invokeINS0_13BinaryFunctorIN3c1013Float8_e4m3fnES4_bNS0_12_GLOBAL__N_116CompareEqFunctorIS4_EEEEj15function_traitsIS8_EEENT1_11result_typeERKT_PrKPcPKT0_PKNS3_10ScalarTypeEi.has_indirect_call)
	.section	.AMDGPU.csdata,"",@progbits
; Kernel info:
; codeLenInByte = 64468
; TotalNumSgprs: 76
; NumVgprs: 28
; ScratchSize: 464
; MemoryBound: 0
; FloatMode: 240
; IeeeMode: 1
; LDSByteSize: 0 bytes/workgroup (compile time only)
; SGPRBlocks: 9
; VGPRBlocks: 6
; NumSGPRsForWavesPerEU: 76
; NumVGPRsForWavesPerEU: 28
; Occupancy: 9
; WaveLimiterHint : 1
; COMPUTE_PGM_RSRC2:SCRATCH_EN: 1
; COMPUTE_PGM_RSRC2:USER_SGPR: 8
; COMPUTE_PGM_RSRC2:TRAP_HANDLER: 0
; COMPUTE_PGM_RSRC2:TGID_X_EN: 1
; COMPUTE_PGM_RSRC2:TGID_Y_EN: 0
; COMPUTE_PGM_RSRC2:TGID_Z_EN: 0
; COMPUTE_PGM_RSRC2:TIDIG_COMP_CNT: 0
	.section	.text._ZN2at6native29vectorized_elementwise_kernelILi16ENS0_13AUnaryFunctorIN3c1013Float8_e4m3fnES4_bNS0_12_GLOBAL__N_116CompareEqFunctorIS4_EEEESt5arrayIPcLm2EEEEviT0_T1_,"axG",@progbits,_ZN2at6native29vectorized_elementwise_kernelILi16ENS0_13AUnaryFunctorIN3c1013Float8_e4m3fnES4_bNS0_12_GLOBAL__N_116CompareEqFunctorIS4_EEEESt5arrayIPcLm2EEEEviT0_T1_,comdat
	.globl	_ZN2at6native29vectorized_elementwise_kernelILi16ENS0_13AUnaryFunctorIN3c1013Float8_e4m3fnES4_bNS0_12_GLOBAL__N_116CompareEqFunctorIS4_EEEESt5arrayIPcLm2EEEEviT0_T1_ ; -- Begin function _ZN2at6native29vectorized_elementwise_kernelILi16ENS0_13AUnaryFunctorIN3c1013Float8_e4m3fnES4_bNS0_12_GLOBAL__N_116CompareEqFunctorIS4_EEEESt5arrayIPcLm2EEEEviT0_T1_
	.p2align	8
	.type	_ZN2at6native29vectorized_elementwise_kernelILi16ENS0_13AUnaryFunctorIN3c1013Float8_e4m3fnES4_bNS0_12_GLOBAL__N_116CompareEqFunctorIS4_EEEESt5arrayIPcLm2EEEEviT0_T1_,@function
_ZN2at6native29vectorized_elementwise_kernelILi16ENS0_13AUnaryFunctorIN3c1013Float8_e4m3fnES4_bNS0_12_GLOBAL__N_116CompareEqFunctorIS4_EEEESt5arrayIPcLm2EEEEviT0_T1_: ; @_ZN2at6native29vectorized_elementwise_kernelILi16ENS0_13AUnaryFunctorIN3c1013Float8_e4m3fnES4_bNS0_12_GLOBAL__N_116CompareEqFunctorIS4_EEEESt5arrayIPcLm2EEEEviT0_T1_
; %bb.0:
	s_load_dwordx8 s[8:15], s[4:5], 0x0
	s_waitcnt lgkmcnt(0)
	s_lshl_b32 s11, s6, 12
	s_mov_b64 s[0:1], -1
	s_sub_i32 s8, s8, s11
	s_cmpk_gt_i32 s8, 0xfff
	s_cbranch_scc0 .LBB277_2
; %bb.1:
	s_ashr_i32 s3, s11, 31
	s_add_u32 s0, s14, s11
	s_addc_u32 s1, s15, s3
	v_lshlrev_b32_e32 v1, 4, v0
	global_load_dwordx4 v[2:5], v1, s[0:1]
	s_cmp_eq_u32 s9, 0
	s_cselect_b64 vcc, -1, 0
	s_lshl_b32 s0, s10, 24
	s_and_b32 s1, s0, 0x80000000
	s_and_b32 s0, s0, 0x7f000000
	s_flbit_i32_b32 s2, s0
	s_add_i32 s4, s0, 0x1000000
	s_min_u32 s2, s2, 32
	s_ashr_i32 s4, s4, 8
	v_sub_u32_e64 v6, s2, 4 clamp
	s_and_b32 s2, s4, 0x7f800000
	v_readfirstlane_b32 s4, v6
	s_lshl_b32 s6, s0, s4
	s_lshl_b32 s4, s4, 23
	s_lshr_b32 s6, s6, 4
	s_sub_i32 s4, s6, s4
	s_add_i32 s4, s4, 0x3c000000
	s_or_b32 s2, s4, s2
	s_cmp_lg_u32 s0, 0
	s_mov_b32 s5, 0x7f800000
	s_cselect_b32 s0, s2, 0
	s_or_b32 s4, s0, s1
	s_add_u32 s2, s12, s11
	s_addc_u32 s3, s13, s3
	s_waitcnt vmcnt(0)
	v_and_b32_e32 v12, 0x7f000000, v2
	v_lshlrev_b32_e32 v10, 24, v2
	v_ffbh_u32_e32 v15, v12
	v_and_b32_e32 v14, 0x7f000000, v10
	v_min_u32_e32 v15, 32, v15
	v_lshlrev_b32_e32 v11, 8, v2
	v_ffbh_u32_e32 v18, v14
	v_sub_u32_e64 v15, v15, 4 clamp
	v_lshrrev_b16_e32 v6, 8, v2
	v_and_b32_e32 v13, 0x7f000000, v11
	v_min_u32_e32 v18, 32, v18
	v_lshlrev_b32_e32 v22, v15, v12
	v_lshlrev_b32_e32 v6, 24, v6
	v_ffbh_u32_e32 v19, v13
	v_sub_u32_e64 v18, v18, 4 clamp
	v_lshlrev_b32_e32 v15, 23, v15
	v_lshrrev_b32_e32 v22, 4, v22
	v_and_b32_e32 v17, 0x7f000000, v6
	v_min_u32_e32 v19, 32, v19
	v_sub_u32_e32 v15, v22, v15
	v_lshlrev_b32_e32 v22, v18, v14
	v_ffbh_u32_e32 v21, v17
	v_sub_u32_e64 v19, v19, 4 clamp
	v_lshlrev_b32_e32 v18, 23, v18
	v_lshrrev_b32_e32 v22, 4, v22
	v_min_u32_e32 v21, 32, v21
	v_sub_u32_e32 v18, v22, v18
	v_lshlrev_b32_e32 v22, v19, v13
	v_sub_u32_e64 v21, v21, 4 clamp
	v_lshlrev_b32_e32 v19, 23, v19
	v_lshrrev_b32_e32 v22, 4, v22
	v_sub_u32_e32 v19, v22, v19
	v_lshlrev_b32_e32 v22, v21, v17
	v_add_u32_e32 v16, 0x1000000, v12
	v_lshlrev_b32_e32 v21, 23, v21
	v_lshrrev_b32_e32 v22, 4, v22
	v_sub_u32_e32 v21, v22, v21
	v_add_u32_e32 v22, 0x1000000, v13
	v_ashrrev_i32_e32 v16, 8, v16
	v_add_u32_e32 v15, 0x3c000000, v15
	v_add_u32_e32 v20, 0x1000000, v14
	v_and_or_b32 v15, v16, s5, v15
	v_ashrrev_i32_e32 v22, 8, v22
	v_add_u32_e32 v19, 0x3c000000, v19
	v_cmp_ne_u32_e64 s[0:1], 0, v12
	v_add_u32_e32 v16, 0x1000000, v17
	v_ashrrev_i32_e32 v20, 8, v20
	v_add_u32_e32 v18, 0x3c000000, v18
	v_and_or_b32 v19, v22, s5, v19
	v_cndmask_b32_e64 v12, 0, v15, s[0:1]
	v_cmp_ne_u32_e64 s[0:1], 0, v13
	v_and_b32_e32 v2, 0x80000000, v2
	v_ashrrev_i32_e32 v16, 8, v16
	v_add_u32_e32 v21, 0x3c000000, v21
	v_and_or_b32 v18, v20, s5, v18
	v_cndmask_b32_e64 v13, 0, v19, s[0:1]
	v_cmp_ne_u32_e64 s[0:1], 0, v14
	v_and_or_b32 v15, v16, s5, v21
	v_cndmask_b32_e64 v14, 0, v18, s[0:1]
	v_cmp_ne_u32_e64 s[0:1], 0, v17
	v_or_b32_e32 v2, v12, v2
	v_and_b32_e32 v11, 0x80000000, v11
	v_cndmask_b32_e64 v15, 0, v15, s[0:1]
	v_cmp_eq_f32_e64 s[0:1], s4, v2
	v_or_b32_e32 v11, v13, v11
	v_cndmask_b32_e64 v12, 0, 1, s[0:1]
	v_cmp_neq_f32_e64 s[0:1], s4, v2
	v_and_b32_e32 v6, 0x80000000, v6
	v_cndmask_b32_e64 v2, 0, 1, s[0:1]
	v_cmp_eq_f32_e64 s[0:1], s4, v11
	v_or_b32_e32 v6, v15, v6
	v_cndmask_b32_e32 v2, v2, v12, vcc
	v_cndmask_b32_e64 v12, 0, 1, s[0:1]
	v_cmp_neq_f32_e64 s[0:1], s4, v11
	v_and_b32_e32 v10, 0x80000000, v10
	v_cndmask_b32_e64 v11, 0, 1, s[0:1]
	v_cmp_eq_f32_e64 s[0:1], s4, v6
	v_or_b32_e32 v10, v14, v10
	v_cndmask_b32_e32 v11, v11, v12, vcc
	v_cndmask_b32_e64 v12, 0, 1, s[0:1]
	v_cmp_neq_f32_e64 s[0:1], s4, v6
	v_cndmask_b32_e64 v6, 0, 1, s[0:1]
	v_cmp_eq_f32_e64 s[0:1], s4, v10
	v_cndmask_b32_e32 v6, v6, v12, vcc
	v_cndmask_b32_e64 v12, 0, 1, s[0:1]
	v_cmp_neq_f32_e64 s[0:1], s4, v10
	v_cndmask_b32_e64 v10, 0, 1, s[0:1]
	v_lshrrev_b16_e32 v7, 8, v3
	v_cndmask_b32_e32 v10, v10, v12, vcc
	v_mov_b32_e32 v12, 1
	v_and_b32_e32 v10, 1, v10
	v_and_b32_sdwa v6, v6, v12 dst_sel:BYTE_1 dst_unused:UNUSED_PAD src0_sel:DWORD src1_sel:DWORD
	v_lshlrev_b32_e32 v7, 24, v7
	v_or_b32_e32 v6, v10, v6
	v_and_b32_e32 v10, 1, v11
	v_and_b32_sdwa v2, v2, v12 dst_sel:BYTE_1 dst_unused:UNUSED_PAD src0_sel:DWORD src1_sel:DWORD
	v_and_b32_e32 v15, 0x7f000000, v7
	v_or_b32_sdwa v2, v10, v2 dst_sel:WORD_1 dst_unused:UNUSED_PAD src0_sel:DWORD src1_sel:DWORD
	v_lshlrev_b32_e32 v10, 24, v3
	v_ffbh_u32_e32 v18, v15
	v_and_b32_e32 v16, 0x7f000000, v10
	v_min_u32_e32 v18, 32, v18
	v_lshlrev_b32_e32 v11, 8, v3
	v_ffbh_u32_e32 v17, v16
	v_sub_u32_e64 v18, v18, 4 clamp
	v_and_b32_e32 v14, 0x7f000000, v11
	v_min_u32_e32 v17, 32, v17
	v_lshlrev_b32_e32 v22, v18, v15
	v_ffbh_u32_e32 v19, v14
	v_sub_u32_e64 v17, v17, 4 clamp
	v_lshrrev_b32_e32 v22, 4, v22
	v_lshlrev_b32_e32 v18, 23, v18
	v_and_b32_e32 v13, 0x7f000000, v3
	v_min_u32_e32 v19, 32, v19
	v_sub_u32_e32 v18, v22, v18
	v_lshlrev_b32_e32 v22, v17, v16
	v_ffbh_u32_e32 v20, v13
	v_sub_u32_e64 v19, v19, 4 clamp
	v_lshrrev_b32_e32 v22, 4, v22
	v_lshlrev_b32_e32 v17, 23, v17
	v_min_u32_e32 v20, 32, v20
	v_sub_u32_e32 v17, v22, v17
	v_lshlrev_b32_e32 v22, v19, v14
	v_sub_u32_e64 v20, v20, 4 clamp
	v_lshrrev_b32_e32 v22, 4, v22
	v_lshlrev_b32_e32 v19, 23, v19
	v_sub_u32_e32 v19, v22, v19
	v_lshlrev_b32_e32 v22, v20, v13
	v_lshrrev_b32_e32 v22, 4, v22
	v_lshlrev_b32_e32 v20, 23, v20
	v_sub_u32_e32 v20, v22, v20
	v_add_u32_e32 v22, 0x1000000, v16
	v_add_u32_e32 v21, 0x1000000, v15
	v_ashrrev_i32_e32 v22, 8, v22
	v_add_u32_e32 v17, 0x3c000000, v17
	v_ashrrev_i32_e32 v21, 8, v21
	v_add_u32_e32 v18, 0x3c000000, v18
	v_and_or_b32 v17, v22, s5, v17
	v_add_u32_e32 v22, 0x1000000, v13
	v_and_or_b32 v18, v21, s5, v18
	v_add_u32_e32 v21, 0x1000000, v14
	v_ashrrev_i32_e32 v22, 8, v22
	v_add_u32_e32 v20, 0x3c000000, v20
	v_ashrrev_i32_e32 v21, 8, v21
	v_add_u32_e32 v19, 0x3c000000, v19
	v_and_or_b32 v20, v22, s5, v20
	v_cmp_ne_u32_e64 s[0:1], 0, v13
	v_and_or_b32 v19, v21, s5, v19
	v_or_b32_sdwa v2, v6, v2 dst_sel:DWORD dst_unused:UNUSED_PAD src0_sel:WORD_0 src1_sel:DWORD
	v_and_b32_e32 v6, 0x80000000, v11
	v_cndmask_b32_e64 v11, 0, v20, s[0:1]
	v_cmp_ne_u32_e64 s[0:1], 0, v14
	v_and_b32_e32 v3, 0x80000000, v3
	v_cndmask_b32_e64 v13, 0, v19, s[0:1]
	v_cmp_ne_u32_e64 s[0:1], 0, v16
	v_cndmask_b32_e64 v14, 0, v17, s[0:1]
	v_cmp_ne_u32_e64 s[0:1], 0, v15
	v_or_b32_e32 v3, v11, v3
	v_cndmask_b32_e64 v15, 0, v18, s[0:1]
	v_cmp_eq_f32_e64 s[0:1], s4, v3
	v_or_b32_e32 v6, v13, v6
	v_cndmask_b32_e64 v11, 0, 1, s[0:1]
	v_cmp_neq_f32_e64 s[0:1], s4, v3
	v_and_b32_e32 v7, 0x80000000, v7
	v_cndmask_b32_e64 v3, 0, 1, s[0:1]
	v_cmp_eq_f32_e64 s[0:1], s4, v6
	v_or_b32_e32 v7, v15, v7
	v_cndmask_b32_e32 v3, v3, v11, vcc
	v_cndmask_b32_e64 v11, 0, 1, s[0:1]
	v_cmp_neq_f32_e64 s[0:1], s4, v6
	v_and_b32_e32 v10, 0x80000000, v10
	v_cndmask_b32_e64 v6, 0, 1, s[0:1]
	v_cmp_eq_f32_e64 s[0:1], s4, v7
	v_or_b32_e32 v10, v14, v10
	v_cndmask_b32_e32 v6, v6, v11, vcc
	v_cndmask_b32_e64 v11, 0, 1, s[0:1]
	v_cmp_neq_f32_e64 s[0:1], s4, v7
	v_cndmask_b32_e64 v7, 0, 1, s[0:1]
	v_cmp_eq_f32_e64 s[0:1], s4, v10
	v_cndmask_b32_e32 v7, v7, v11, vcc
	v_cndmask_b32_e64 v11, 0, 1, s[0:1]
	v_cmp_neq_f32_e64 s[0:1], s4, v10
	v_cndmask_b32_e64 v10, 0, 1, s[0:1]
	v_cndmask_b32_e32 v10, v10, v11, vcc
	v_and_b32_e32 v10, 1, v10
	v_and_b32_sdwa v7, v7, v12 dst_sel:BYTE_1 dst_unused:UNUSED_PAD src0_sel:DWORD src1_sel:DWORD
	v_and_b32_e32 v6, 1, v6
	v_and_b32_sdwa v3, v3, v12 dst_sel:BYTE_1 dst_unused:UNUSED_PAD src0_sel:DWORD src1_sel:DWORD
	v_lshrrev_b16_e32 v8, 8, v4
	v_or_b32_e32 v7, v10, v7
	v_or_b32_sdwa v3, v6, v3 dst_sel:WORD_1 dst_unused:UNUSED_PAD src0_sel:DWORD src1_sel:DWORD
	v_or_b32_sdwa v3, v7, v3 dst_sel:DWORD dst_unused:UNUSED_PAD src0_sel:WORD_0 src1_sel:DWORD
	v_lshlrev_b32_e32 v7, 24, v8
	v_and_b32_e32 v13, 0x7f000000, v7
	v_lshlrev_b32_e32 v6, 24, v4
	v_ffbh_u32_e32 v16, v13
	v_and_b32_e32 v14, 0x7f000000, v6
	v_min_u32_e32 v16, 32, v16
	v_lshlrev_b32_e32 v8, 8, v4
	v_ffbh_u32_e32 v15, v14
	v_sub_u32_e64 v16, v16, 4 clamp
	v_and_b32_e32 v11, 0x7f000000, v8
	v_min_u32_e32 v15, 32, v15
	v_lshlrev_b32_e32 v19, v16, v13
	v_ffbh_u32_e32 v17, v11
	v_sub_u32_e64 v15, v15, 4 clamp
	v_lshrrev_b32_e32 v19, 4, v19
	v_lshlrev_b32_e32 v16, 23, v16
	v_and_b32_e32 v10, 0x7f000000, v4
	v_min_u32_e32 v17, 32, v17
	v_sub_u32_e32 v16, v19, v16
	v_lshlrev_b32_e32 v19, v15, v14
	v_ffbh_u32_e32 v18, v10
	v_sub_u32_e64 v17, v17, 4 clamp
	v_lshrrev_b32_e32 v19, 4, v19
	v_lshlrev_b32_e32 v15, 23, v15
	v_min_u32_e32 v18, 32, v18
	v_sub_u32_e32 v15, v19, v15
	v_lshlrev_b32_e32 v19, v17, v11
	v_sub_u32_e64 v18, v18, 4 clamp
	v_lshrrev_b32_e32 v19, 4, v19
	v_lshlrev_b32_e32 v17, 23, v17
	v_sub_u32_e32 v17, v19, v17
	v_lshlrev_b32_e32 v19, v18, v10
	v_lshrrev_b32_e32 v19, 4, v19
	v_lshlrev_b32_e32 v18, 23, v18
	v_sub_u32_e32 v18, v19, v18
	v_add_u32_e32 v19, 0x1000000, v13
	v_ashrrev_i32_e32 v19, 8, v19
	v_add_u32_e32 v16, 0x3c000000, v16
	v_and_or_b32 v16, v19, s5, v16
	v_add_u32_e32 v19, 0x1000000, v14
	v_ashrrev_i32_e32 v19, 8, v19
	v_add_u32_e32 v15, 0x3c000000, v15
	v_and_or_b32 v15, v19, s5, v15
	;; [unrolled: 4-line block ×4, first 2 shown]
	v_cmp_ne_u32_e64 s[0:1], 0, v10
	v_cndmask_b32_e64 v10, 0, v18, s[0:1]
	v_cmp_ne_u32_e64 s[0:1], 0, v11
	v_and_b32_e32 v4, 0x80000000, v4
	v_cndmask_b32_e64 v11, 0, v17, s[0:1]
	v_cmp_ne_u32_e64 s[0:1], 0, v14
	v_cndmask_b32_e64 v14, 0, v15, s[0:1]
	v_cmp_ne_u32_e64 s[0:1], 0, v13
	v_or_b32_e32 v4, v10, v4
	v_and_b32_e32 v8, 0x80000000, v8
	v_cndmask_b32_e64 v13, 0, v16, s[0:1]
	v_cmp_eq_f32_e64 s[0:1], s4, v4
	v_or_b32_e32 v8, v11, v8
	v_cndmask_b32_e64 v10, 0, 1, s[0:1]
	v_cmp_neq_f32_e64 s[0:1], s4, v4
	v_and_b32_e32 v7, 0x80000000, v7
	v_cndmask_b32_e64 v4, 0, 1, s[0:1]
	v_cmp_eq_f32_e64 s[0:1], s4, v8
	v_or_b32_e32 v7, v13, v7
	v_cndmask_b32_e32 v4, v4, v10, vcc
	v_cndmask_b32_e64 v10, 0, 1, s[0:1]
	v_cmp_neq_f32_e64 s[0:1], s4, v8
	v_and_b32_e32 v6, 0x80000000, v6
	v_cndmask_b32_e64 v8, 0, 1, s[0:1]
	v_cmp_eq_f32_e64 s[0:1], s4, v7
	v_or_b32_e32 v6, v14, v6
	v_cndmask_b32_e32 v8, v8, v10, vcc
	v_cndmask_b32_e64 v10, 0, 1, s[0:1]
	v_cmp_neq_f32_e64 s[0:1], s4, v7
	v_cndmask_b32_e64 v7, 0, 1, s[0:1]
	v_cmp_eq_f32_e64 s[0:1], s4, v6
	v_cndmask_b32_e32 v7, v7, v10, vcc
	v_cndmask_b32_e64 v10, 0, 1, s[0:1]
	v_cmp_neq_f32_e64 s[0:1], s4, v6
	v_cndmask_b32_e64 v6, 0, 1, s[0:1]
	v_cndmask_b32_e32 v6, v6, v10, vcc
	v_and_b32_e32 v6, 1, v6
	v_and_b32_sdwa v7, v7, v12 dst_sel:BYTE_1 dst_unused:UNUSED_PAD src0_sel:DWORD src1_sel:DWORD
	v_lshrrev_b16_e32 v9, 8, v5
	v_or_b32_e32 v6, v6, v7
	v_and_b32_e32 v7, 1, v8
	v_and_b32_sdwa v4, v4, v12 dst_sel:BYTE_1 dst_unused:UNUSED_PAD src0_sel:DWORD src1_sel:DWORD
	v_or_b32_sdwa v4, v7, v4 dst_sel:WORD_1 dst_unused:UNUSED_PAD src0_sel:DWORD src1_sel:DWORD
	v_lshlrev_b32_e32 v7, 24, v9
	v_and_b32_e32 v11, 0x7f000000, v7
	v_or_b32_sdwa v4, v6, v4 dst_sel:DWORD dst_unused:UNUSED_PAD src0_sel:WORD_0 src1_sel:DWORD
	v_lshlrev_b32_e32 v6, 24, v5
	v_ffbh_u32_e32 v15, v11
	v_and_b32_e32 v13, 0x7f000000, v6
	v_min_u32_e32 v15, 32, v15
	v_lshlrev_b32_e32 v8, 8, v5
	v_ffbh_u32_e32 v14, v13
	v_sub_u32_e64 v15, v15, 4 clamp
	v_and_b32_e32 v10, 0x7f000000, v8
	v_min_u32_e32 v14, 32, v14
	v_lshlrev_b32_e32 v22, v15, v11
	v_ffbh_u32_e32 v16, v10
	v_sub_u32_e64 v14, v14, 4 clamp
	v_lshrrev_b32_e32 v22, 4, v22
	v_lshlrev_b32_e32 v15, 23, v15
	v_and_b32_e32 v9, 0x7f000000, v5
	v_min_u32_e32 v16, 32, v16
	v_sub_u32_e32 v15, v22, v15
	v_lshlrev_b32_e32 v22, v14, v13
	v_ffbh_u32_e32 v17, v9
	v_sub_u32_e64 v16, v16, 4 clamp
	v_lshrrev_b32_e32 v22, 4, v22
	v_lshlrev_b32_e32 v14, 23, v14
	v_min_u32_e32 v17, 32, v17
	v_sub_u32_e32 v14, v22, v14
	v_lshlrev_b32_e32 v22, v16, v10
	v_sub_u32_e64 v17, v17, 4 clamp
	v_lshrrev_b32_e32 v22, 4, v22
	v_lshlrev_b32_e32 v16, 23, v16
	v_sub_u32_e32 v16, v22, v16
	v_lshlrev_b32_e32 v22, v17, v9
	v_lshrrev_b32_e32 v22, 4, v22
	v_lshlrev_b32_e32 v17, 23, v17
	v_add_u32_e32 v21, 0x1000000, v9
	v_sub_u32_e32 v17, v22, v17
	v_add_u32_e32 v20, 0x1000000, v10
	v_ashrrev_i32_e32 v21, 8, v21
	v_add_u32_e32 v17, 0x3c000000, v17
	v_add_u32_e32 v19, 0x1000000, v13
	v_ashrrev_i32_e32 v20, 8, v20
	v_add_u32_e32 v16, 0x3c000000, v16
	v_and_or_b32 v17, v21, s5, v17
	v_cmp_ne_u32_e64 s[0:1], 0, v9
	v_add_u32_e32 v18, 0x1000000, v11
	v_ashrrev_i32_e32 v19, 8, v19
	v_add_u32_e32 v14, 0x3c000000, v14
	v_and_or_b32 v16, v20, s5, v16
	v_cndmask_b32_e64 v9, 0, v17, s[0:1]
	v_cmp_ne_u32_e64 s[0:1], 0, v10
	v_and_b32_e32 v5, 0x80000000, v5
	v_ashrrev_i32_e32 v18, 8, v18
	v_add_u32_e32 v15, 0x3c000000, v15
	v_and_or_b32 v14, v19, s5, v14
	v_cndmask_b32_e64 v10, 0, v16, s[0:1]
	v_cmp_ne_u32_e64 s[0:1], 0, v13
	v_and_or_b32 v15, v18, s5, v15
	v_cndmask_b32_e64 v13, 0, v14, s[0:1]
	v_cmp_ne_u32_e64 s[0:1], 0, v11
	v_or_b32_e32 v5, v9, v5
	v_and_b32_e32 v8, 0x80000000, v8
	v_cndmask_b32_e64 v11, 0, v15, s[0:1]
	v_cmp_eq_f32_e64 s[0:1], s4, v5
	v_or_b32_e32 v8, v10, v8
	v_cndmask_b32_e64 v9, 0, 1, s[0:1]
	v_cmp_neq_f32_e64 s[0:1], s4, v5
	v_and_b32_e32 v7, 0x80000000, v7
	v_cndmask_b32_e64 v5, 0, 1, s[0:1]
	v_cmp_eq_f32_e64 s[0:1], s4, v8
	v_or_b32_e32 v7, v11, v7
	v_cndmask_b32_e32 v5, v5, v9, vcc
	v_cndmask_b32_e64 v9, 0, 1, s[0:1]
	v_cmp_neq_f32_e64 s[0:1], s4, v8
	v_and_b32_e32 v6, 0x80000000, v6
	v_cndmask_b32_e64 v8, 0, 1, s[0:1]
	v_cmp_eq_f32_e64 s[0:1], s4, v7
	v_or_b32_e32 v6, v13, v6
	v_cndmask_b32_e32 v8, v8, v9, vcc
	v_cndmask_b32_e64 v9, 0, 1, s[0:1]
	v_cmp_neq_f32_e64 s[0:1], s4, v7
	v_cndmask_b32_e64 v7, 0, 1, s[0:1]
	v_cmp_eq_f32_e64 s[0:1], s4, v6
	v_cndmask_b32_e32 v7, v7, v9, vcc
	v_cndmask_b32_e64 v9, 0, 1, s[0:1]
	v_cmp_neq_f32_e64 s[0:1], s4, v6
	v_cndmask_b32_e64 v6, 0, 1, s[0:1]
	v_cndmask_b32_e32 v6, v6, v9, vcc
	v_and_b32_e32 v6, 1, v6
	v_and_b32_sdwa v7, v7, v12 dst_sel:BYTE_1 dst_unused:UNUSED_PAD src0_sel:DWORD src1_sel:DWORD
	v_or_b32_e32 v6, v6, v7
	v_and_b32_e32 v7, 1, v8
	v_and_b32_sdwa v5, v5, v12 dst_sel:BYTE_1 dst_unused:UNUSED_PAD src0_sel:DWORD src1_sel:DWORD
	v_or_b32_sdwa v5, v7, v5 dst_sel:WORD_1 dst_unused:UNUSED_PAD src0_sel:DWORD src1_sel:DWORD
	v_or_b32_sdwa v5, v6, v5 dst_sel:DWORD dst_unused:UNUSED_PAD src0_sel:WORD_0 src1_sel:DWORD
	global_store_dwordx4 v1, v[2:5], s[2:3]
	s_mov_b64 s[0:1], 0
.LBB277_2:
	s_andn2_b64 vcc, exec, s[0:1]
	s_cbranch_vccnz .LBB277_83
; %bb.3:
	v_cmp_gt_i32_e32 vcc, s8, v0
	v_mov_b32_e32 v6, 0
	v_mov_b32_e32 v3, 0
	v_or_b32_e32 v4, s11, v0
	v_mov_b32_e32 v5, 0
	v_mov_b32_e32 v7, 0
	v_mov_b32_e32 v8, 0
	v_mov_b32_e32 v9, 0
	v_mov_b32_e32 v10, 0
	v_mov_b32_e32 v11, 0
	v_mov_b32_e32 v12, 0
	v_mov_b32_e32 v13, 0
	v_mov_b32_e32 v14, 0
	v_mov_b32_e32 v16, 0
	v_mov_b32_e32 v17, 0
	v_mov_b32_e32 v18, 0
	v_mov_b32_e32 v20, 0
	v_mov_b32_e32 v21, 0
	v_mov_b32_e32 v19, 0
	s_and_saveexec_b64 s[2:3], vcc
	s_cbranch_execz .LBB277_35
; %bb.4:
	global_load_ubyte v19, v4, s[14:15]
	v_or_b32_e32 v1, 0x100, v0
	v_cmp_gt_u32_e64 s[0:1], s8, v1
	v_mov_b32_e32 v5, 0
	v_mov_b32_e32 v21, 0
	;; [unrolled: 1-line block ×15, first 2 shown]
	s_and_saveexec_b64 s[4:5], s[0:1]
	s_cbranch_execz .LBB277_34
; %bb.5:
	v_add_u32_e32 v1, s11, v0
	global_load_ubyte v21, v1, s[14:15] offset:256
	v_or_b32_e32 v2, 0x200, v0
	v_mov_b32_e32 v20, 0
	v_cmp_gt_u32_e64 s[0:1], s8, v2
	v_mov_b32_e32 v18, 0
	v_mov_b32_e32 v17, 0
	;; [unrolled: 1-line block ×13, first 2 shown]
	s_and_saveexec_b64 s[6:7], s[0:1]
	s_cbranch_execz .LBB277_33
; %bb.6:
	v_mov_b32_e32 v2, s15
	v_add_co_u32_e64 v1, s[0:1], s14, v1
	v_addc_co_u32_e64 v2, s[0:1], 0, v2, s[0:1]
	global_load_ubyte v20, v[1:2], off offset:512
	v_or_b32_e32 v5, 0x300, v0
	v_cmp_gt_u32_e64 s[0:1], s8, v5
	v_mov_b32_e32 v5, 0
	v_mov_b32_e32 v18, 0
	;; [unrolled: 1-line block ×13, first 2 shown]
	s_and_saveexec_b64 s[14:15], s[0:1]
	s_cbranch_execz .LBB277_32
; %bb.7:
	global_load_ubyte v18, v[1:2], off offset:768
	v_or_b32_e32 v5, 0x400, v0
	v_cmp_gt_u32_e64 s[0:1], s8, v5
	v_mov_b32_e32 v5, 0
	v_mov_b32_e32 v17, 0
	;; [unrolled: 1-line block ×12, first 2 shown]
	s_and_saveexec_b64 s[16:17], s[0:1]
	s_cbranch_execz .LBB277_31
; %bb.8:
	global_load_ubyte v17, v[1:2], off offset:1024
	v_or_b32_e32 v5, 0x500, v0
	v_cmp_gt_u32_e64 s[0:1], s8, v5
	v_mov_b32_e32 v5, 0
	v_mov_b32_e32 v16, 0
	;; [unrolled: 1-line block ×11, first 2 shown]
	s_and_saveexec_b64 s[18:19], s[0:1]
	s_cbranch_execz .LBB277_30
; %bb.9:
	global_load_ubyte v16, v[1:2], off offset:1280
	v_or_b32_e32 v5, 0x600, v0
	v_cmp_gt_u32_e64 s[0:1], s8, v5
	v_mov_b32_e32 v5, 0
	v_mov_b32_e32 v14, 0
	;; [unrolled: 1-line block ×10, first 2 shown]
	s_and_saveexec_b64 s[20:21], s[0:1]
	s_cbranch_execz .LBB277_29
; %bb.10:
	global_load_ubyte v14, v[1:2], off offset:1536
	v_or_b32_e32 v5, 0x700, v0
	v_cmp_gt_u32_e64 s[0:1], s8, v5
	v_mov_b32_e32 v5, 0
	v_mov_b32_e32 v13, 0
	;; [unrolled: 1-line block ×9, first 2 shown]
	s_and_saveexec_b64 s[22:23], s[0:1]
	s_cbranch_execz .LBB277_28
; %bb.11:
	global_load_ubyte v13, v[1:2], off offset:1792
	v_or_b32_e32 v5, 0x800, v0
	v_cmp_gt_u32_e64 s[0:1], s8, v5
	v_mov_b32_e32 v5, 0
	v_mov_b32_e32 v12, 0
	;; [unrolled: 1-line block ×8, first 2 shown]
	s_and_saveexec_b64 s[24:25], s[0:1]
	s_cbranch_execz .LBB277_27
; %bb.12:
	global_load_ubyte v12, v[1:2], off offset:2048
	v_or_b32_e32 v5, 0x900, v0
	v_cmp_gt_u32_e64 s[0:1], s8, v5
	v_mov_b32_e32 v5, 0
	v_mov_b32_e32 v11, 0
	;; [unrolled: 1-line block ×7, first 2 shown]
	s_and_saveexec_b64 s[26:27], s[0:1]
	s_cbranch_execz .LBB277_26
; %bb.13:
	global_load_ubyte v11, v[1:2], off offset:2304
	v_or_b32_e32 v5, 0xa00, v0
	v_cmp_gt_u32_e64 s[0:1], s8, v5
	v_mov_b32_e32 v5, 0
	v_mov_b32_e32 v10, 0
	;; [unrolled: 1-line block ×6, first 2 shown]
	s_and_saveexec_b64 s[28:29], s[0:1]
	s_cbranch_execz .LBB277_25
; %bb.14:
	global_load_ubyte v10, v[1:2], off offset:2560
	v_or_b32_e32 v5, 0xb00, v0
	v_cmp_gt_u32_e64 s[0:1], s8, v5
	v_mov_b32_e32 v5, 0
	v_mov_b32_e32 v9, 0
	;; [unrolled: 1-line block ×5, first 2 shown]
	s_and_saveexec_b64 s[30:31], s[0:1]
	s_cbranch_execz .LBB277_24
; %bb.15:
	global_load_ubyte v9, v[1:2], off offset:2816
	v_or_b32_e32 v5, 0xc00, v0
	v_cmp_gt_u32_e64 s[0:1], s8, v5
	v_mov_b32_e32 v5, 0
	v_mov_b32_e32 v8, 0
	;; [unrolled: 1-line block ×4, first 2 shown]
	s_and_saveexec_b64 s[34:35], s[0:1]
	s_cbranch_execz .LBB277_23
; %bb.16:
	global_load_ubyte v8, v[1:2], off offset:3072
	v_or_b32_e32 v5, 0xd00, v0
	v_cmp_gt_u32_e64 s[0:1], s8, v5
	v_mov_b32_e32 v5, 0
	v_mov_b32_e32 v7, 0
	;; [unrolled: 1-line block ×3, first 2 shown]
	s_and_saveexec_b64 s[36:37], s[0:1]
	s_cbranch_execz .LBB277_22
; %bb.17:
	global_load_ubyte v7, v[1:2], off offset:3328
	v_or_b32_e32 v5, 0xe00, v0
	v_cmp_gt_u32_e64 s[0:1], s8, v5
	v_mov_b32_e32 v5, 0
	v_mov_b32_e32 v6, 0
	s_and_saveexec_b64 s[38:39], s[0:1]
	s_cbranch_execz .LBB277_21
; %bb.18:
	global_load_ubyte v6, v[1:2], off offset:3584
	v_or_b32_e32 v5, 0xf00, v0
	v_cmp_gt_u32_e64 s[0:1], s8, v5
	v_mov_b32_e32 v5, 0
	s_and_saveexec_b64 s[40:41], s[0:1]
	s_cbranch_execz .LBB277_20
; %bb.19:
	global_load_ubyte v1, v[1:2], off offset:3840
	s_waitcnt vmcnt(0)
	v_lshlrev_b32_e32 v5, 24, v1
.LBB277_20:
	s_or_b64 exec, exec, s[40:41]
.LBB277_21:
	s_or_b64 exec, exec, s[38:39]
.LBB277_22:
	s_or_b64 exec, exec, s[36:37]
.LBB277_23:
	s_or_b64 exec, exec, s[34:35]
.LBB277_24:
	s_or_b64 exec, exec, s[30:31]
.LBB277_25:
	s_or_b64 exec, exec, s[28:29]
.LBB277_26:
	s_or_b64 exec, exec, s[26:27]
.LBB277_27:
	s_or_b64 exec, exec, s[24:25]
.LBB277_28:
	s_or_b64 exec, exec, s[22:23]
.LBB277_29:
	s_or_b64 exec, exec, s[20:21]
.LBB277_30:
	s_or_b64 exec, exec, s[18:19]
.LBB277_31:
	s_or_b64 exec, exec, s[16:17]
.LBB277_32:
	s_or_b64 exec, exec, s[14:15]
.LBB277_33:
	s_or_b64 exec, exec, s[6:7]
.LBB277_34:
	s_or_b64 exec, exec, s[4:5]
.LBB277_35:
	s_or_b64 exec, exec, s[2:3]
	s_cmp_eq_u32 s9, 0
	s_cselect_b64 s[0:1], -1, 0
	s_lshl_b32 s2, s10, 24
	s_and_b32 s4, s2, 0x7f000000
	s_and_b32 s3, s2, 0x80000000
	s_flbit_i32_b32 s2, s4
	s_min_u32 s2, s2, 32
	v_sub_u32_e64 v1, s2, 4 clamp
	v_readfirstlane_b32 s6, v1
	s_lshl_b32 s9, s4, s6
	s_add_i32 s2, s4, 0x1000000
	s_lshr_b32 s9, s9, 4
	s_lshl_b32 s6, s6, 23
	s_ashr_i32 s5, s2, 8
	s_sub_i32 s6, s9, s6
	s_and_b32 s5, s5, 0x7f800000
	s_add_i32 s6, s6, 0x3c000000
	s_or_b32 s5, s6, s5
	s_cmp_lg_u32 s4, 0
	s_cselect_b32 s4, s5, 0
	s_brev_b32 s7, 1
	s_mov_b32 s2, 0x7f800000
	s_or_b32 s6, s4, s3
	v_mov_b32_e32 v15, v3
	v_mov_b32_e32 v2, v3
	;; [unrolled: 1-line block ×3, first 2 shown]
	s_and_saveexec_b64 s[4:5], vcc
	s_cbranch_execz .LBB277_37
; %bb.36:
	s_waitcnt vmcnt(0)
	v_lshlrev_b32_e32 v1, 24, v19
	v_and_b32_e32 v2, 0x7f000000, v1
	v_ffbh_u32_e32 v3, v2
	v_min_u32_e32 v3, 32, v3
	v_sub_u32_e64 v3, v3, 4 clamp
	v_lshlrev_b32_e32 v19, v3, v2
	v_lshrrev_b32_e32 v19, 4, v19
	v_lshlrev_b32_e32 v3, 23, v3
	v_add_u32_e32 v15, 0x1000000, v2
	v_sub_u32_e32 v3, v19, v3
	v_ashrrev_i32_e32 v15, 8, v15
	v_add_u32_e32 v3, 0x3c000000, v3
	v_and_or_b32 v3, v15, s2, v3
	v_cmp_ne_u32_e64 s[2:3], 0, v2
	v_cndmask_b32_e64 v2, 0, v3, s[2:3]
	v_and_or_b32 v1, v1, s7, v2
	v_cmp_eq_f32_e64 s[2:3], s6, v1
	v_cndmask_b32_e64 v2, 0, 1, s[2:3]
	v_cmp_neq_f32_e64 s[2:3], s6, v1
	v_cndmask_b32_e64 v1, 0, 1, s[2:3]
	v_cndmask_b32_e64 v1, v1, v2, s[0:1]
	v_and_b32_e32 v1, 1, v1
	v_mov_b32_e32 v15, 0
	v_and_b32_e32 v3, 0xffff, v1
	v_mov_b32_e32 v2, v15
	v_mov_b32_e32 v1, v15
.LBB277_37:
	s_or_b64 exec, exec, s[4:5]
	s_waitcnt vmcnt(0)
	v_or_b32_e32 v19, 0x100, v0
	v_cmp_gt_i32_e64 s[2:3], s8, v19
	s_and_saveexec_b64 s[4:5], s[2:3]
	s_cbranch_execz .LBB277_39
; %bb.38:
	v_lshlrev_b32_e32 v21, 24, v21
	v_and_b32_e32 v22, 0x7f000000, v21
	v_ffbh_u32_e32 v23, v22
	v_min_u32_e32 v23, 32, v23
	v_sub_u32_e64 v23, v23, 4 clamp
	v_lshlrev_b32_e32 v25, v23, v22
	v_lshrrev_b32_e32 v25, 4, v25
	v_lshlrev_b32_e32 v23, 23, v23
	v_add_u32_e32 v24, 0x1000000, v22
	v_sub_u32_e32 v23, v25, v23
	v_ashrrev_i32_e32 v24, 8, v24
	v_add_u32_e32 v23, 0x3c000000, v23
	s_mov_b32 s2, 0x7f800000
	v_and_or_b32 v23, v24, s2, v23
	v_cmp_ne_u32_e64 s[2:3], 0, v22
	v_cndmask_b32_e64 v22, 0, v23, s[2:3]
	s_brev_b32 s2, 1
	v_and_or_b32 v21, v21, s2, v22
	v_cmp_eq_f32_e64 s[2:3], s6, v21
	v_cndmask_b32_e64 v22, 0, 1, s[2:3]
	v_cmp_neq_f32_e64 s[2:3], s6, v21
	v_cndmask_b32_e64 v21, 0, 1, s[2:3]
	v_cndmask_b32_e64 v21, v21, v22, s[0:1]
	v_mov_b32_e32 v22, 1
	v_and_b32_sdwa v21, v21, v22 dst_sel:BYTE_1 dst_unused:UNUSED_PAD src0_sel:DWORD src1_sel:DWORD
	v_or_b32_sdwa v21, v3, v21 dst_sel:DWORD dst_unused:UNUSED_PAD src0_sel:BYTE_0 src1_sel:DWORD
	v_and_b32_e32 v21, 0xffff, v21
	s_mov_b32 s2, 0xffff0000
	v_and_or_b32 v3, v3, s2, v21
.LBB277_39:
	s_or_b64 exec, exec, s[4:5]
	v_or_b32_e32 v21, 0x200, v0
	v_cmp_gt_i32_e64 s[2:3], s8, v21
	s_and_saveexec_b64 s[4:5], s[2:3]
	s_cbranch_execz .LBB277_41
; %bb.40:
	v_lshlrev_b32_e32 v20, 24, v20
	v_and_b32_e32 v22, 0x7f000000, v20
	v_ffbh_u32_e32 v23, v22
	v_min_u32_e32 v23, 32, v23
	v_sub_u32_e64 v23, v23, 4 clamp
	v_lshlrev_b32_e32 v25, v23, v22
	v_lshrrev_b32_e32 v25, 4, v25
	v_lshlrev_b32_e32 v23, 23, v23
	s_movk_i32 s2, 0xff00
	v_add_u32_e32 v24, 0x1000000, v22
	v_sub_u32_e32 v23, v25, v23
	v_and_b32_sdwa v21, v3, s2 dst_sel:DWORD dst_unused:UNUSED_PAD src0_sel:WORD_1 src1_sel:DWORD
	v_ashrrev_i32_e32 v24, 8, v24
	v_add_u32_e32 v23, 0x3c000000, v23
	s_mov_b32 s2, 0x7f800000
	v_and_or_b32 v23, v24, s2, v23
	v_cmp_ne_u32_e64 s[2:3], 0, v22
	v_cndmask_b32_e64 v22, 0, v23, s[2:3]
	s_brev_b32 s2, 1
	v_and_or_b32 v20, v20, s2, v22
	v_cmp_eq_f32_e64 s[2:3], s6, v20
	v_cndmask_b32_e64 v22, 0, 1, s[2:3]
	v_cmp_neq_f32_e64 s[2:3], s6, v20
	v_cndmask_b32_e64 v20, 0, 1, s[2:3]
	v_cndmask_b32_e64 v20, v20, v22, s[0:1]
	v_and_b32_e32 v20, 1, v20
	v_or_b32_sdwa v20, v20, v21 dst_sel:WORD_1 dst_unused:UNUSED_PAD src0_sel:DWORD src1_sel:DWORD
	s_mov_b32 s2, 0xffff
	v_and_or_b32 v3, v3, s2, v20
.LBB277_41:
	s_or_b64 exec, exec, s[4:5]
	v_or_b32_e32 v20, 0x300, v0
	v_cmp_gt_i32_e64 s[2:3], s8, v20
	s_and_saveexec_b64 s[4:5], s[2:3]
	s_cbranch_execz .LBB277_43
; %bb.42:
	v_lshlrev_b32_e32 v18, 24, v18
	v_and_b32_e32 v21, 0x7f000000, v18
	v_ffbh_u32_e32 v22, v21
	v_min_u32_e32 v22, 32, v22
	v_sub_u32_e64 v22, v22, 4 clamp
	v_lshlrev_b32_e32 v24, v22, v21
	v_lshrrev_b32_e32 v24, 4, v24
	v_lshlrev_b32_e32 v22, 23, v22
	s_movk_i32 s2, 0xff
	v_add_u32_e32 v23, 0x1000000, v21
	v_sub_u32_e32 v22, v24, v22
	v_and_b32_sdwa v20, v3, s2 dst_sel:DWORD dst_unused:UNUSED_PAD src0_sel:WORD_1 src1_sel:DWORD
	v_ashrrev_i32_e32 v23, 8, v23
	v_add_u32_e32 v22, 0x3c000000, v22
	s_mov_b32 s2, 0x7f800000
	v_and_or_b32 v22, v23, s2, v22
	v_cmp_ne_u32_e64 s[2:3], 0, v21
	v_cndmask_b32_e64 v21, 0, v22, s[2:3]
	s_brev_b32 s2, 1
	v_and_or_b32 v18, v18, s2, v21
	v_cmp_eq_f32_e64 s[2:3], s6, v18
	v_cndmask_b32_e64 v21, 0, 1, s[2:3]
	v_cmp_neq_f32_e64 s[2:3], s6, v18
	v_cndmask_b32_e64 v18, 0, 1, s[2:3]
	v_cndmask_b32_e64 v18, v18, v21, s[0:1]
	v_mov_b32_e32 v21, 1
	v_and_b32_sdwa v18, v18, v21 dst_sel:BYTE_1 dst_unused:UNUSED_PAD src0_sel:DWORD src1_sel:DWORD
	v_or_b32_sdwa v18, v20, v18 dst_sel:WORD_1 dst_unused:UNUSED_PAD src0_sel:DWORD src1_sel:DWORD
	s_mov_b32 s2, 0xffff
	v_and_or_b32 v3, v3, s2, v18
.LBB277_43:
	s_or_b64 exec, exec, s[4:5]
	v_or_b32_e32 v18, 0x400, v0
	v_cmp_gt_i32_e64 s[2:3], s8, v18
	s_and_saveexec_b64 s[4:5], s[2:3]
	s_cbranch_execz .LBB277_45
; %bb.44:
	v_lshlrev_b32_e32 v17, 24, v17
	v_and_b32_e32 v20, 0x7f000000, v17
	v_ffbh_u32_e32 v21, v20
	v_min_u32_e32 v21, 32, v21
	v_sub_u32_e64 v21, v21, 4 clamp
	v_lshlrev_b32_e32 v23, v21, v20
	v_lshrrev_b32_e32 v23, 4, v23
	v_lshlrev_b32_e32 v21, 23, v21
	v_add_u32_e32 v22, 0x1000000, v20
	v_sub_u32_e32 v21, v23, v21
	v_ashrrev_i32_e32 v22, 8, v22
	v_add_u32_e32 v21, 0x3c000000, v21
	s_mov_b32 s2, 0x7f800000
	v_and_or_b32 v21, v22, s2, v21
	v_cmp_ne_u32_e64 s[2:3], 0, v20
	v_cndmask_b32_e64 v20, 0, v21, s[2:3]
	s_brev_b32 s2, 1
	v_and_or_b32 v17, v17, s2, v20
	v_cmp_eq_f32_e64 s[2:3], s6, v17
	v_cndmask_b32_e64 v20, 0, 1, s[2:3]
	v_cmp_neq_f32_e64 s[2:3], s6, v17
	v_cndmask_b32_e64 v17, 0, 1, s[2:3]
	v_cndmask_b32_e64 v17, v17, v20, s[0:1]
	v_and_b32_e32 v18, 0xffffff00, v15
	v_and_b32_e32 v17, 1, v17
	v_or_b32_e32 v17, v17, v18
	v_and_b32_e32 v17, 0xffff, v17
	s_mov_b32 s2, 0xffff0000
	v_and_or_b32 v15, v15, s2, v17
.LBB277_45:
	s_or_b64 exec, exec, s[4:5]
	v_or_b32_e32 v17, 0x500, v0
	v_cmp_gt_i32_e64 s[2:3], s8, v17
	s_and_saveexec_b64 s[4:5], s[2:3]
	s_cbranch_execz .LBB277_47
; %bb.46:
	v_lshlrev_b32_e32 v16, 24, v16
	v_and_b32_e32 v17, 0x7f000000, v16
	v_ffbh_u32_e32 v18, v17
	v_min_u32_e32 v18, 32, v18
	v_sub_u32_e64 v18, v18, 4 clamp
	v_lshlrev_b32_e32 v21, v18, v17
	v_lshrrev_b32_e32 v21, 4, v21
	v_lshlrev_b32_e32 v18, 23, v18
	v_add_u32_e32 v20, 0x1000000, v17
	v_sub_u32_e32 v18, v21, v18
	v_ashrrev_i32_e32 v20, 8, v20
	v_add_u32_e32 v18, 0x3c000000, v18
	s_mov_b32 s2, 0x7f800000
	v_and_or_b32 v18, v20, s2, v18
	v_cmp_ne_u32_e64 s[2:3], 0, v17
	v_cndmask_b32_e64 v17, 0, v18, s[2:3]
	s_brev_b32 s2, 1
	v_and_or_b32 v16, v16, s2, v17
	v_cmp_eq_f32_e64 s[2:3], s6, v16
	v_cndmask_b32_e64 v17, 0, 1, s[2:3]
	v_cmp_neq_f32_e64 s[2:3], s6, v16
	v_cndmask_b32_e64 v16, 0, 1, s[2:3]
	v_cndmask_b32_e64 v16, v16, v17, s[0:1]
	v_mov_b32_e32 v17, 1
	v_and_b32_sdwa v16, v16, v17 dst_sel:BYTE_1 dst_unused:UNUSED_PAD src0_sel:DWORD src1_sel:DWORD
	v_or_b32_sdwa v16, v15, v16 dst_sel:DWORD dst_unused:UNUSED_PAD src0_sel:BYTE_0 src1_sel:DWORD
	v_and_b32_e32 v16, 0xffff, v16
	s_mov_b32 s2, 0xffff0000
	v_and_or_b32 v15, v15, s2, v16
.LBB277_47:
	s_or_b64 exec, exec, s[4:5]
	v_or_b32_e32 v16, 0x600, v0
	v_cmp_gt_i32_e64 s[2:3], s8, v16
	s_and_saveexec_b64 s[4:5], s[2:3]
	s_cbranch_execz .LBB277_49
; %bb.48:
	v_lshlrev_b32_e32 v14, 24, v14
	v_and_b32_e32 v17, 0x7f000000, v14
	v_ffbh_u32_e32 v18, v17
	v_min_u32_e32 v18, 32, v18
	v_sub_u32_e64 v18, v18, 4 clamp
	v_lshlrev_b32_e32 v21, v18, v17
	v_lshrrev_b32_e32 v21, 4, v21
	v_lshlrev_b32_e32 v18, 23, v18
	s_movk_i32 s2, 0xff00
	v_add_u32_e32 v20, 0x1000000, v17
	v_sub_u32_e32 v18, v21, v18
	v_and_b32_sdwa v16, v15, s2 dst_sel:DWORD dst_unused:UNUSED_PAD src0_sel:WORD_1 src1_sel:DWORD
	v_ashrrev_i32_e32 v20, 8, v20
	v_add_u32_e32 v18, 0x3c000000, v18
	s_mov_b32 s2, 0x7f800000
	v_and_or_b32 v18, v20, s2, v18
	v_cmp_ne_u32_e64 s[2:3], 0, v17
	v_cndmask_b32_e64 v17, 0, v18, s[2:3]
	s_brev_b32 s2, 1
	v_and_or_b32 v14, v14, s2, v17
	v_cmp_eq_f32_e64 s[2:3], s6, v14
	v_cndmask_b32_e64 v17, 0, 1, s[2:3]
	v_cmp_neq_f32_e64 s[2:3], s6, v14
	v_cndmask_b32_e64 v14, 0, 1, s[2:3]
	v_cndmask_b32_e64 v14, v14, v17, s[0:1]
	v_and_b32_e32 v14, 1, v14
	v_or_b32_sdwa v14, v14, v16 dst_sel:WORD_1 dst_unused:UNUSED_PAD src0_sel:DWORD src1_sel:DWORD
	s_mov_b32 s2, 0xffff
	v_and_or_b32 v15, v15, s2, v14
.LBB277_49:
	s_or_b64 exec, exec, s[4:5]
	v_or_b32_e32 v14, 0x700, v0
	v_cmp_gt_i32_e64 s[2:3], s8, v14
	s_and_saveexec_b64 s[4:5], s[2:3]
	s_cbranch_execz .LBB277_51
; %bb.50:
	v_lshlrev_b32_e32 v13, 24, v13
	v_and_b32_e32 v16, 0x7f000000, v13
	v_ffbh_u32_e32 v17, v16
	v_min_u32_e32 v17, 32, v17
	v_sub_u32_e64 v17, v17, 4 clamp
	v_lshlrev_b32_e32 v20, v17, v16
	v_lshrrev_b32_e32 v20, 4, v20
	v_lshlrev_b32_e32 v17, 23, v17
	s_movk_i32 s2, 0xff
	v_add_u32_e32 v18, 0x1000000, v16
	v_sub_u32_e32 v17, v20, v17
	v_and_b32_sdwa v14, v15, s2 dst_sel:DWORD dst_unused:UNUSED_PAD src0_sel:WORD_1 src1_sel:DWORD
	v_ashrrev_i32_e32 v18, 8, v18
	v_add_u32_e32 v17, 0x3c000000, v17
	s_mov_b32 s2, 0x7f800000
	v_and_or_b32 v17, v18, s2, v17
	v_cmp_ne_u32_e64 s[2:3], 0, v16
	v_cndmask_b32_e64 v16, 0, v17, s[2:3]
	s_brev_b32 s2, 1
	v_and_or_b32 v13, v13, s2, v16
	v_cmp_eq_f32_e64 s[2:3], s6, v13
	v_cndmask_b32_e64 v16, 0, 1, s[2:3]
	v_cmp_neq_f32_e64 s[2:3], s6, v13
	v_cndmask_b32_e64 v13, 0, 1, s[2:3]
	v_cndmask_b32_e64 v13, v13, v16, s[0:1]
	v_mov_b32_e32 v16, 1
	v_and_b32_sdwa v13, v13, v16 dst_sel:BYTE_1 dst_unused:UNUSED_PAD src0_sel:DWORD src1_sel:DWORD
	v_or_b32_sdwa v13, v14, v13 dst_sel:WORD_1 dst_unused:UNUSED_PAD src0_sel:DWORD src1_sel:DWORD
	s_mov_b32 s2, 0xffff
	v_and_or_b32 v15, v15, s2, v13
.LBB277_51:
	s_or_b64 exec, exec, s[4:5]
	v_or_b32_e32 v13, 0x800, v0
	v_cmp_gt_i32_e64 s[2:3], s8, v13
	s_and_saveexec_b64 s[4:5], s[2:3]
	s_cbranch_execz .LBB277_53
; %bb.52:
	v_lshlrev_b32_e32 v12, 24, v12
	v_and_b32_e32 v14, 0x7f000000, v12
	v_ffbh_u32_e32 v16, v14
	v_min_u32_e32 v16, 32, v16
	v_sub_u32_e64 v16, v16, 4 clamp
	v_lshlrev_b32_e32 v18, v16, v14
	v_lshrrev_b32_e32 v18, 4, v18
	v_lshlrev_b32_e32 v16, 23, v16
	v_add_u32_e32 v17, 0x1000000, v14
	v_sub_u32_e32 v16, v18, v16
	v_ashrrev_i32_e32 v17, 8, v17
	v_add_u32_e32 v16, 0x3c000000, v16
	s_mov_b32 s2, 0x7f800000
	v_and_or_b32 v16, v17, s2, v16
	v_cmp_ne_u32_e64 s[2:3], 0, v14
	v_cndmask_b32_e64 v14, 0, v16, s[2:3]
	s_brev_b32 s2, 1
	v_and_or_b32 v12, v12, s2, v14
	v_cmp_eq_f32_e64 s[2:3], s6, v12
	v_cndmask_b32_e64 v14, 0, 1, s[2:3]
	v_cmp_neq_f32_e64 s[2:3], s6, v12
	v_cndmask_b32_e64 v12, 0, 1, s[2:3]
	v_cndmask_b32_e64 v12, v12, v14, s[0:1]
	v_and_b32_e32 v13, 0xffffff00, v2
	v_and_b32_e32 v12, 1, v12
	v_or_b32_e32 v12, v12, v13
	v_and_b32_e32 v12, 0xffff, v12
	s_mov_b32 s2, 0xffff0000
	v_and_or_b32 v2, v2, s2, v12
.LBB277_53:
	s_or_b64 exec, exec, s[4:5]
	v_or_b32_e32 v12, 0x900, v0
	v_cmp_gt_i32_e64 s[2:3], s8, v12
	s_and_saveexec_b64 s[4:5], s[2:3]
	s_cbranch_execz .LBB277_55
; %bb.54:
	v_lshlrev_b32_e32 v11, 24, v11
	v_and_b32_e32 v12, 0x7f000000, v11
	v_ffbh_u32_e32 v13, v12
	v_min_u32_e32 v13, 32, v13
	v_sub_u32_e64 v13, v13, 4 clamp
	v_lshlrev_b32_e32 v16, v13, v12
	v_lshrrev_b32_e32 v16, 4, v16
	v_lshlrev_b32_e32 v13, 23, v13
	v_add_u32_e32 v14, 0x1000000, v12
	v_sub_u32_e32 v13, v16, v13
	v_ashrrev_i32_e32 v14, 8, v14
	v_add_u32_e32 v13, 0x3c000000, v13
	s_mov_b32 s2, 0x7f800000
	v_and_or_b32 v13, v14, s2, v13
	v_cmp_ne_u32_e64 s[2:3], 0, v12
	v_cndmask_b32_e64 v12, 0, v13, s[2:3]
	s_brev_b32 s2, 1
	v_and_or_b32 v11, v11, s2, v12
	v_cmp_eq_f32_e64 s[2:3], s6, v11
	v_cndmask_b32_e64 v12, 0, 1, s[2:3]
	v_cmp_neq_f32_e64 s[2:3], s6, v11
	v_cndmask_b32_e64 v11, 0, 1, s[2:3]
	v_cndmask_b32_e64 v11, v11, v12, s[0:1]
	v_mov_b32_e32 v12, 1
	v_and_b32_sdwa v11, v11, v12 dst_sel:BYTE_1 dst_unused:UNUSED_PAD src0_sel:DWORD src1_sel:DWORD
	v_or_b32_sdwa v11, v2, v11 dst_sel:DWORD dst_unused:UNUSED_PAD src0_sel:BYTE_0 src1_sel:DWORD
	v_and_b32_e32 v11, 0xffff, v11
	s_mov_b32 s2, 0xffff0000
	v_and_or_b32 v2, v2, s2, v11
.LBB277_55:
	s_or_b64 exec, exec, s[4:5]
	v_or_b32_e32 v11, 0xa00, v0
	v_cmp_gt_i32_e64 s[2:3], s8, v11
	s_and_saveexec_b64 s[4:5], s[2:3]
	s_cbranch_execz .LBB277_57
; %bb.56:
	v_lshlrev_b32_e32 v10, 24, v10
	v_and_b32_e32 v12, 0x7f000000, v10
	v_ffbh_u32_e32 v13, v12
	v_min_u32_e32 v13, 32, v13
	v_sub_u32_e64 v13, v13, 4 clamp
	v_lshlrev_b32_e32 v16, v13, v12
	v_lshrrev_b32_e32 v16, 4, v16
	v_lshlrev_b32_e32 v13, 23, v13
	s_movk_i32 s2, 0xff00
	v_add_u32_e32 v14, 0x1000000, v12
	v_sub_u32_e32 v13, v16, v13
	v_and_b32_sdwa v11, v2, s2 dst_sel:DWORD dst_unused:UNUSED_PAD src0_sel:WORD_1 src1_sel:DWORD
	v_ashrrev_i32_e32 v14, 8, v14
	v_add_u32_e32 v13, 0x3c000000, v13
	s_mov_b32 s2, 0x7f800000
	v_and_or_b32 v13, v14, s2, v13
	v_cmp_ne_u32_e64 s[2:3], 0, v12
	v_cndmask_b32_e64 v12, 0, v13, s[2:3]
	s_brev_b32 s2, 1
	v_and_or_b32 v10, v10, s2, v12
	v_cmp_eq_f32_e64 s[2:3], s6, v10
	v_cndmask_b32_e64 v12, 0, 1, s[2:3]
	v_cmp_neq_f32_e64 s[2:3], s6, v10
	v_cndmask_b32_e64 v10, 0, 1, s[2:3]
	v_cndmask_b32_e64 v10, v10, v12, s[0:1]
	v_and_b32_e32 v10, 1, v10
	v_or_b32_sdwa v10, v10, v11 dst_sel:WORD_1 dst_unused:UNUSED_PAD src0_sel:DWORD src1_sel:DWORD
	s_mov_b32 s2, 0xffff
	v_and_or_b32 v2, v2, s2, v10
.LBB277_57:
	s_or_b64 exec, exec, s[4:5]
	v_or_b32_e32 v10, 0xb00, v0
	v_cmp_gt_i32_e64 s[2:3], s8, v10
	s_and_saveexec_b64 s[4:5], s[2:3]
	s_cbranch_execz .LBB277_59
; %bb.58:
	v_lshlrev_b32_e32 v9, 24, v9
	v_and_b32_e32 v11, 0x7f000000, v9
	v_ffbh_u32_e32 v12, v11
	v_min_u32_e32 v12, 32, v12
	v_sub_u32_e64 v12, v12, 4 clamp
	v_lshlrev_b32_e32 v14, v12, v11
	v_lshrrev_b32_e32 v14, 4, v14
	v_lshlrev_b32_e32 v12, 23, v12
	s_movk_i32 s2, 0xff
	v_add_u32_e32 v13, 0x1000000, v11
	v_sub_u32_e32 v12, v14, v12
	v_and_b32_sdwa v10, v2, s2 dst_sel:DWORD dst_unused:UNUSED_PAD src0_sel:WORD_1 src1_sel:DWORD
	v_ashrrev_i32_e32 v13, 8, v13
	v_add_u32_e32 v12, 0x3c000000, v12
	s_mov_b32 s2, 0x7f800000
	v_and_or_b32 v12, v13, s2, v12
	v_cmp_ne_u32_e64 s[2:3], 0, v11
	v_cndmask_b32_e64 v11, 0, v12, s[2:3]
	s_brev_b32 s2, 1
	v_and_or_b32 v9, v9, s2, v11
	v_cmp_eq_f32_e64 s[2:3], s6, v9
	v_cndmask_b32_e64 v11, 0, 1, s[2:3]
	v_cmp_neq_f32_e64 s[2:3], s6, v9
	v_cndmask_b32_e64 v9, 0, 1, s[2:3]
	v_cndmask_b32_e64 v9, v9, v11, s[0:1]
	v_mov_b32_e32 v11, 1
	v_and_b32_sdwa v9, v9, v11 dst_sel:BYTE_1 dst_unused:UNUSED_PAD src0_sel:DWORD src1_sel:DWORD
	v_or_b32_sdwa v9, v10, v9 dst_sel:WORD_1 dst_unused:UNUSED_PAD src0_sel:DWORD src1_sel:DWORD
	s_mov_b32 s2, 0xffff
	v_and_or_b32 v2, v2, s2, v9
.LBB277_59:
	s_or_b64 exec, exec, s[4:5]
	v_or_b32_e32 v9, 0xc00, v0
	v_cmp_gt_i32_e64 s[2:3], s8, v9
	s_and_saveexec_b64 s[4:5], s[2:3]
	s_cbranch_execz .LBB277_61
; %bb.60:
	v_lshlrev_b32_e32 v8, 24, v8
	v_and_b32_e32 v10, 0x7f000000, v8
	v_ffbh_u32_e32 v11, v10
	v_min_u32_e32 v11, 32, v11
	v_sub_u32_e64 v11, v11, 4 clamp
	v_lshlrev_b32_e32 v13, v11, v10
	v_lshrrev_b32_e32 v13, 4, v13
	v_lshlrev_b32_e32 v11, 23, v11
	v_add_u32_e32 v12, 0x1000000, v10
	v_sub_u32_e32 v11, v13, v11
	v_ashrrev_i32_e32 v12, 8, v12
	v_add_u32_e32 v11, 0x3c000000, v11
	s_mov_b32 s2, 0x7f800000
	v_and_or_b32 v11, v12, s2, v11
	v_cmp_ne_u32_e64 s[2:3], 0, v10
	v_cndmask_b32_e64 v10, 0, v11, s[2:3]
	s_brev_b32 s2, 1
	v_and_or_b32 v8, v8, s2, v10
	v_cmp_eq_f32_e64 s[2:3], s6, v8
	v_cndmask_b32_e64 v10, 0, 1, s[2:3]
	v_cmp_neq_f32_e64 s[2:3], s6, v8
	v_cndmask_b32_e64 v8, 0, 1, s[2:3]
	v_cndmask_b32_e64 v8, v8, v10, s[0:1]
	v_and_b32_e32 v9, 0xffffff00, v1
	v_and_b32_e32 v8, 1, v8
	v_or_b32_e32 v8, v8, v9
	v_and_b32_e32 v8, 0xffff, v8
	s_mov_b32 s2, 0xffff0000
	v_and_or_b32 v1, v1, s2, v8
.LBB277_61:
	s_or_b64 exec, exec, s[4:5]
	v_or_b32_e32 v8, 0xd00, v0
	v_cmp_gt_i32_e64 s[2:3], s8, v8
	s_and_saveexec_b64 s[4:5], s[2:3]
	s_cbranch_execz .LBB277_63
; %bb.62:
	v_lshlrev_b32_e32 v7, 24, v7
	v_and_b32_e32 v8, 0x7f000000, v7
	v_ffbh_u32_e32 v9, v8
	v_min_u32_e32 v9, 32, v9
	v_sub_u32_e64 v9, v9, 4 clamp
	v_lshlrev_b32_e32 v11, v9, v8
	v_lshrrev_b32_e32 v11, 4, v11
	v_lshlrev_b32_e32 v9, 23, v9
	v_add_u32_e32 v10, 0x1000000, v8
	v_sub_u32_e32 v9, v11, v9
	v_ashrrev_i32_e32 v10, 8, v10
	v_add_u32_e32 v9, 0x3c000000, v9
	s_mov_b32 s2, 0x7f800000
	v_and_or_b32 v9, v10, s2, v9
	v_cmp_ne_u32_e64 s[2:3], 0, v8
	v_cndmask_b32_e64 v8, 0, v9, s[2:3]
	s_brev_b32 s2, 1
	v_and_or_b32 v7, v7, s2, v8
	v_cmp_eq_f32_e64 s[2:3], s6, v7
	v_cndmask_b32_e64 v8, 0, 1, s[2:3]
	v_cmp_neq_f32_e64 s[2:3], s6, v7
	v_cndmask_b32_e64 v7, 0, 1, s[2:3]
	v_cndmask_b32_e64 v7, v7, v8, s[0:1]
	v_mov_b32_e32 v8, 1
	v_and_b32_sdwa v7, v7, v8 dst_sel:BYTE_1 dst_unused:UNUSED_PAD src0_sel:DWORD src1_sel:DWORD
	v_or_b32_sdwa v7, v1, v7 dst_sel:DWORD dst_unused:UNUSED_PAD src0_sel:BYTE_0 src1_sel:DWORD
	v_and_b32_e32 v7, 0xffff, v7
	s_mov_b32 s2, 0xffff0000
	v_and_or_b32 v1, v1, s2, v7
.LBB277_63:
	s_or_b64 exec, exec, s[4:5]
	v_or_b32_e32 v7, 0xe00, v0
	v_cmp_gt_i32_e64 s[2:3], s8, v7
	s_and_saveexec_b64 s[4:5], s[2:3]
	s_cbranch_execz .LBB277_65
; %bb.64:
	v_lshlrev_b32_e32 v6, 24, v6
	v_and_b32_e32 v8, 0x7f000000, v6
	v_ffbh_u32_e32 v9, v8
	v_min_u32_e32 v9, 32, v9
	v_sub_u32_e64 v9, v9, 4 clamp
	v_lshlrev_b32_e32 v11, v9, v8
	v_lshrrev_b32_e32 v11, 4, v11
	v_lshlrev_b32_e32 v9, 23, v9
	s_movk_i32 s2, 0xff00
	v_add_u32_e32 v10, 0x1000000, v8
	v_sub_u32_e32 v9, v11, v9
	v_and_b32_sdwa v7, v1, s2 dst_sel:DWORD dst_unused:UNUSED_PAD src0_sel:WORD_1 src1_sel:DWORD
	v_ashrrev_i32_e32 v10, 8, v10
	v_add_u32_e32 v9, 0x3c000000, v9
	s_mov_b32 s2, 0x7f800000
	v_and_or_b32 v9, v10, s2, v9
	v_cmp_ne_u32_e64 s[2:3], 0, v8
	v_cndmask_b32_e64 v8, 0, v9, s[2:3]
	s_brev_b32 s2, 1
	v_and_or_b32 v6, v6, s2, v8
	v_cmp_eq_f32_e64 s[2:3], s6, v6
	v_cndmask_b32_e64 v8, 0, 1, s[2:3]
	v_cmp_neq_f32_e64 s[2:3], s6, v6
	v_cndmask_b32_e64 v6, 0, 1, s[2:3]
	v_cndmask_b32_e64 v6, v6, v8, s[0:1]
	v_and_b32_e32 v6, 1, v6
	v_or_b32_sdwa v6, v6, v7 dst_sel:WORD_1 dst_unused:UNUSED_PAD src0_sel:DWORD src1_sel:DWORD
	s_mov_b32 s2, 0xffff
	v_and_or_b32 v1, v1, s2, v6
.LBB277_65:
	s_or_b64 exec, exec, s[4:5]
	v_or_b32_e32 v6, 0xf00, v0
	v_cmp_gt_i32_e64 s[2:3], s8, v6
	s_and_saveexec_b64 s[4:5], s[2:3]
	s_cbranch_execnz .LBB277_84
; %bb.66:
	s_or_b64 exec, exec, s[4:5]
	s_and_saveexec_b64 s[0:1], vcc
	s_xor_b64 s[0:1], exec, s[0:1]
	s_cbranch_execnz .LBB277_85
.LBB277_67:
	s_or_b64 exec, exec, s[0:1]
	v_cmp_gt_i32_e32 vcc, s8, v0
	s_and_saveexec_b64 s[0:1], vcc
	s_cbranch_execnz .LBB277_86
.LBB277_68:
	s_or_b64 exec, exec, s[0:1]
	v_cmp_gt_i32_e32 vcc, s8, v0
	s_and_saveexec_b64 s[0:1], vcc
	s_cbranch_execnz .LBB277_87
.LBB277_69:
	s_or_b64 exec, exec, s[0:1]
	v_cmp_gt_i32_e32 vcc, s8, v0
	s_and_saveexec_b64 s[0:1], vcc
	s_cbranch_execnz .LBB277_88
.LBB277_70:
	s_or_b64 exec, exec, s[0:1]
	v_cmp_gt_i32_e32 vcc, s8, v0
	s_and_saveexec_b64 s[0:1], vcc
	s_cbranch_execnz .LBB277_89
.LBB277_71:
	s_or_b64 exec, exec, s[0:1]
	v_cmp_gt_i32_e32 vcc, s8, v0
	s_and_saveexec_b64 s[0:1], vcc
	s_cbranch_execnz .LBB277_90
.LBB277_72:
	s_or_b64 exec, exec, s[0:1]
	v_cmp_gt_i32_e32 vcc, s8, v0
	s_and_saveexec_b64 s[0:1], vcc
	s_cbranch_execnz .LBB277_91
.LBB277_73:
	s_or_b64 exec, exec, s[0:1]
	v_cmp_gt_i32_e32 vcc, s8, v0
	s_and_saveexec_b64 s[0:1], vcc
	s_cbranch_execnz .LBB277_92
.LBB277_74:
	s_or_b64 exec, exec, s[0:1]
	v_cmp_gt_i32_e32 vcc, s8, v0
	s_and_saveexec_b64 s[0:1], vcc
	s_cbranch_execnz .LBB277_93
.LBB277_75:
	s_or_b64 exec, exec, s[0:1]
	v_cmp_gt_i32_e32 vcc, s8, v0
	s_and_saveexec_b64 s[0:1], vcc
	s_cbranch_execnz .LBB277_94
.LBB277_76:
	s_or_b64 exec, exec, s[0:1]
	v_cmp_gt_i32_e32 vcc, s8, v0
	s_and_saveexec_b64 s[0:1], vcc
	s_cbranch_execnz .LBB277_95
.LBB277_77:
	s_or_b64 exec, exec, s[0:1]
	v_cmp_gt_i32_e32 vcc, s8, v0
	s_and_saveexec_b64 s[0:1], vcc
	s_cbranch_execnz .LBB277_96
.LBB277_78:
	s_or_b64 exec, exec, s[0:1]
	v_cmp_gt_i32_e32 vcc, s8, v0
	s_and_saveexec_b64 s[0:1], vcc
	s_cbranch_execnz .LBB277_97
.LBB277_79:
	s_or_b64 exec, exec, s[0:1]
	v_cmp_gt_i32_e32 vcc, s8, v0
	s_and_saveexec_b64 s[0:1], vcc
	s_cbranch_execnz .LBB277_98
.LBB277_80:
	s_or_b64 exec, exec, s[0:1]
	v_cmp_gt_i32_e32 vcc, s8, v0
	s_and_saveexec_b64 s[0:1], vcc
	s_cbranch_execnz .LBB277_99
.LBB277_81:
	s_or_b64 exec, exec, s[0:1]
	v_cmp_gt_i32_e32 vcc, s8, v0
	s_and_saveexec_b64 s[0:1], vcc
	s_cbranch_execz .LBB277_83
.LBB277_82:
	v_lshrrev_b32_e32 v1, 24, v1
	v_add_u32_e32 v0, s11, v0
	global_store_byte v0, v1, s[12:13]
.LBB277_83:
	s_endpgm
.LBB277_84:
	v_and_b32_e32 v7, 0x7f000000, v5
	v_ffbh_u32_e32 v8, v7
	v_min_u32_e32 v8, 32, v8
	v_sub_u32_e64 v8, v8, 4 clamp
	v_lshlrev_b32_e32 v10, v8, v7
	v_lshrrev_b32_e32 v10, 4, v10
	v_lshlrev_b32_e32 v8, 23, v8
	s_movk_i32 s2, 0xff
	v_add_u32_e32 v9, 0x1000000, v7
	v_sub_u32_e32 v8, v10, v8
	v_and_b32_sdwa v6, v1, s2 dst_sel:DWORD dst_unused:UNUSED_PAD src0_sel:WORD_1 src1_sel:DWORD
	v_ashrrev_i32_e32 v9, 8, v9
	v_add_u32_e32 v8, 0x3c000000, v8
	s_mov_b32 s2, 0x7f800000
	v_and_or_b32 v8, v9, s2, v8
	v_cmp_ne_u32_e64 s[2:3], 0, v7
	v_cndmask_b32_e64 v7, 0, v8, s[2:3]
	s_brev_b32 s2, 1
	v_and_or_b32 v5, v5, s2, v7
	v_cmp_eq_f32_e64 s[2:3], s6, v5
	v_cndmask_b32_e64 v7, 0, 1, s[2:3]
	v_cmp_neq_f32_e64 s[2:3], s6, v5
	v_cndmask_b32_e64 v5, 0, 1, s[2:3]
	v_cndmask_b32_e64 v5, v5, v7, s[0:1]
	v_mov_b32_e32 v7, 1
	v_and_b32_sdwa v5, v5, v7 dst_sel:BYTE_1 dst_unused:UNUSED_PAD src0_sel:DWORD src1_sel:DWORD
	v_or_b32_sdwa v5, v6, v5 dst_sel:WORD_1 dst_unused:UNUSED_PAD src0_sel:DWORD src1_sel:DWORD
	s_mov_b32 s0, 0xffff
	v_and_or_b32 v1, v1, s0, v5
	s_or_b64 exec, exec, s[4:5]
	s_and_saveexec_b64 s[0:1], vcc
	s_xor_b64 s[0:1], exec, s[0:1]
	s_cbranch_execz .LBB277_67
.LBB277_85:
	v_mov_b32_e32 v0, v19
	global_store_byte v4, v3, s[12:13]
	s_or_b64 exec, exec, s[0:1]
	v_cmp_gt_i32_e32 vcc, s8, v0
	s_and_saveexec_b64 s[0:1], vcc
	s_cbranch_execz .LBB277_68
.LBB277_86:
	v_lshrrev_b32_e32 v4, 8, v3
	v_add_u32_e32 v5, s11, v0
	v_add_u32_e32 v0, 0x100, v0
	global_store_byte v5, v4, s[12:13]
	s_or_b64 exec, exec, s[0:1]
	v_cmp_gt_i32_e32 vcc, s8, v0
	s_and_saveexec_b64 s[0:1], vcc
	s_cbranch_execz .LBB277_69
.LBB277_87:
	v_add_u32_e32 v4, s11, v0
	v_add_u32_e32 v0, 0x100, v0
	global_store_byte_d16_hi v4, v3, s[12:13]
	s_or_b64 exec, exec, s[0:1]
	v_cmp_gt_i32_e32 vcc, s8, v0
	s_and_saveexec_b64 s[0:1], vcc
	s_cbranch_execz .LBB277_70
.LBB277_88:
	v_lshrrev_b32_e32 v3, 24, v3
	v_add_u32_e32 v4, s11, v0
	v_add_u32_e32 v0, 0x100, v0
	global_store_byte v4, v3, s[12:13]
	s_or_b64 exec, exec, s[0:1]
	v_cmp_gt_i32_e32 vcc, s8, v0
	s_and_saveexec_b64 s[0:1], vcc
	s_cbranch_execz .LBB277_71
.LBB277_89:
	v_add_u32_e32 v3, s11, v0
	v_add_u32_e32 v0, 0x100, v0
	global_store_byte v3, v15, s[12:13]
	s_or_b64 exec, exec, s[0:1]
	v_cmp_gt_i32_e32 vcc, s8, v0
	s_and_saveexec_b64 s[0:1], vcc
	s_cbranch_execz .LBB277_72
.LBB277_90:
	v_lshrrev_b32_e32 v3, 8, v15
	v_add_u32_e32 v4, s11, v0
	v_add_u32_e32 v0, 0x100, v0
	global_store_byte v4, v3, s[12:13]
	s_or_b64 exec, exec, s[0:1]
	v_cmp_gt_i32_e32 vcc, s8, v0
	s_and_saveexec_b64 s[0:1], vcc
	s_cbranch_execz .LBB277_73
.LBB277_91:
	v_add_u32_e32 v3, s11, v0
	v_add_u32_e32 v0, 0x100, v0
	global_store_byte_d16_hi v3, v15, s[12:13]
	s_or_b64 exec, exec, s[0:1]
	v_cmp_gt_i32_e32 vcc, s8, v0
	s_and_saveexec_b64 s[0:1], vcc
	s_cbranch_execz .LBB277_74
.LBB277_92:
	v_lshrrev_b32_e32 v3, 24, v15
	v_add_u32_e32 v4, s11, v0
	v_add_u32_e32 v0, 0x100, v0
	global_store_byte v4, v3, s[12:13]
	s_or_b64 exec, exec, s[0:1]
	v_cmp_gt_i32_e32 vcc, s8, v0
	s_and_saveexec_b64 s[0:1], vcc
	s_cbranch_execz .LBB277_75
.LBB277_93:
	v_add_u32_e32 v3, s11, v0
	v_add_u32_e32 v0, 0x100, v0
	global_store_byte v3, v2, s[12:13]
	s_or_b64 exec, exec, s[0:1]
	v_cmp_gt_i32_e32 vcc, s8, v0
	s_and_saveexec_b64 s[0:1], vcc
	s_cbranch_execz .LBB277_76
.LBB277_94:
	v_lshrrev_b32_e32 v3, 8, v2
	v_add_u32_e32 v4, s11, v0
	v_add_u32_e32 v0, 0x100, v0
	global_store_byte v4, v3, s[12:13]
	s_or_b64 exec, exec, s[0:1]
	v_cmp_gt_i32_e32 vcc, s8, v0
	s_and_saveexec_b64 s[0:1], vcc
	s_cbranch_execz .LBB277_77
.LBB277_95:
	v_add_u32_e32 v3, s11, v0
	v_add_u32_e32 v0, 0x100, v0
	global_store_byte_d16_hi v3, v2, s[12:13]
	s_or_b64 exec, exec, s[0:1]
	v_cmp_gt_i32_e32 vcc, s8, v0
	s_and_saveexec_b64 s[0:1], vcc
	s_cbranch_execz .LBB277_78
.LBB277_96:
	v_lshrrev_b32_e32 v2, 24, v2
	v_add_u32_e32 v3, s11, v0
	v_add_u32_e32 v0, 0x100, v0
	global_store_byte v3, v2, s[12:13]
	s_or_b64 exec, exec, s[0:1]
	v_cmp_gt_i32_e32 vcc, s8, v0
	s_and_saveexec_b64 s[0:1], vcc
	s_cbranch_execz .LBB277_79
.LBB277_97:
	v_add_u32_e32 v2, s11, v0
	v_add_u32_e32 v0, 0x100, v0
	global_store_byte v2, v1, s[12:13]
	s_or_b64 exec, exec, s[0:1]
	v_cmp_gt_i32_e32 vcc, s8, v0
	s_and_saveexec_b64 s[0:1], vcc
	s_cbranch_execz .LBB277_80
.LBB277_98:
	v_lshrrev_b32_e32 v2, 8, v1
	v_add_u32_e32 v3, s11, v0
	v_add_u32_e32 v0, 0x100, v0
	global_store_byte v3, v2, s[12:13]
	s_or_b64 exec, exec, s[0:1]
	v_cmp_gt_i32_e32 vcc, s8, v0
	s_and_saveexec_b64 s[0:1], vcc
	s_cbranch_execz .LBB277_81
.LBB277_99:
	v_add_u32_e32 v2, s11, v0
	v_add_u32_e32 v0, 0x100, v0
	global_store_byte_d16_hi v2, v1, s[12:13]
	s_or_b64 exec, exec, s[0:1]
	v_cmp_gt_i32_e32 vcc, s8, v0
	s_and_saveexec_b64 s[0:1], vcc
	s_cbranch_execnz .LBB277_82
	s_branch .LBB277_83
	.section	.rodata,"a",@progbits
	.p2align	6, 0x0
	.amdhsa_kernel _ZN2at6native29vectorized_elementwise_kernelILi16ENS0_13AUnaryFunctorIN3c1013Float8_e4m3fnES4_bNS0_12_GLOBAL__N_116CompareEqFunctorIS4_EEEESt5arrayIPcLm2EEEEviT0_T1_
		.amdhsa_group_segment_fixed_size 0
		.amdhsa_private_segment_fixed_size 0
		.amdhsa_kernarg_size 32
		.amdhsa_user_sgpr_count 6
		.amdhsa_user_sgpr_private_segment_buffer 1
		.amdhsa_user_sgpr_dispatch_ptr 0
		.amdhsa_user_sgpr_queue_ptr 0
		.amdhsa_user_sgpr_kernarg_segment_ptr 1
		.amdhsa_user_sgpr_dispatch_id 0
		.amdhsa_user_sgpr_flat_scratch_init 0
		.amdhsa_user_sgpr_private_segment_size 0
		.amdhsa_uses_dynamic_stack 0
		.amdhsa_system_sgpr_private_segment_wavefront_offset 0
		.amdhsa_system_sgpr_workgroup_id_x 1
		.amdhsa_system_sgpr_workgroup_id_y 0
		.amdhsa_system_sgpr_workgroup_id_z 0
		.amdhsa_system_sgpr_workgroup_info 0
		.amdhsa_system_vgpr_workitem_id 0
		.amdhsa_next_free_vgpr 26
		.amdhsa_next_free_sgpr 42
		.amdhsa_reserve_vcc 1
		.amdhsa_reserve_flat_scratch 0
		.amdhsa_float_round_mode_32 0
		.amdhsa_float_round_mode_16_64 0
		.amdhsa_float_denorm_mode_32 3
		.amdhsa_float_denorm_mode_16_64 3
		.amdhsa_dx10_clamp 1
		.amdhsa_ieee_mode 1
		.amdhsa_fp16_overflow 0
		.amdhsa_exception_fp_ieee_invalid_op 0
		.amdhsa_exception_fp_denorm_src 0
		.amdhsa_exception_fp_ieee_div_zero 0
		.amdhsa_exception_fp_ieee_overflow 0
		.amdhsa_exception_fp_ieee_underflow 0
		.amdhsa_exception_fp_ieee_inexact 0
		.amdhsa_exception_int_div_zero 0
	.end_amdhsa_kernel
	.section	.text._ZN2at6native29vectorized_elementwise_kernelILi16ENS0_13AUnaryFunctorIN3c1013Float8_e4m3fnES4_bNS0_12_GLOBAL__N_116CompareEqFunctorIS4_EEEESt5arrayIPcLm2EEEEviT0_T1_,"axG",@progbits,_ZN2at6native29vectorized_elementwise_kernelILi16ENS0_13AUnaryFunctorIN3c1013Float8_e4m3fnES4_bNS0_12_GLOBAL__N_116CompareEqFunctorIS4_EEEESt5arrayIPcLm2EEEEviT0_T1_,comdat
.Lfunc_end277:
	.size	_ZN2at6native29vectorized_elementwise_kernelILi16ENS0_13AUnaryFunctorIN3c1013Float8_e4m3fnES4_bNS0_12_GLOBAL__N_116CompareEqFunctorIS4_EEEESt5arrayIPcLm2EEEEviT0_T1_, .Lfunc_end277-_ZN2at6native29vectorized_elementwise_kernelILi16ENS0_13AUnaryFunctorIN3c1013Float8_e4m3fnES4_bNS0_12_GLOBAL__N_116CompareEqFunctorIS4_EEEESt5arrayIPcLm2EEEEviT0_T1_
                                        ; -- End function
	.set _ZN2at6native29vectorized_elementwise_kernelILi16ENS0_13AUnaryFunctorIN3c1013Float8_e4m3fnES4_bNS0_12_GLOBAL__N_116CompareEqFunctorIS4_EEEESt5arrayIPcLm2EEEEviT0_T1_.num_vgpr, 26
	.set _ZN2at6native29vectorized_elementwise_kernelILi16ENS0_13AUnaryFunctorIN3c1013Float8_e4m3fnES4_bNS0_12_GLOBAL__N_116CompareEqFunctorIS4_EEEESt5arrayIPcLm2EEEEviT0_T1_.num_agpr, 0
	.set _ZN2at6native29vectorized_elementwise_kernelILi16ENS0_13AUnaryFunctorIN3c1013Float8_e4m3fnES4_bNS0_12_GLOBAL__N_116CompareEqFunctorIS4_EEEESt5arrayIPcLm2EEEEviT0_T1_.numbered_sgpr, 42
	.set _ZN2at6native29vectorized_elementwise_kernelILi16ENS0_13AUnaryFunctorIN3c1013Float8_e4m3fnES4_bNS0_12_GLOBAL__N_116CompareEqFunctorIS4_EEEESt5arrayIPcLm2EEEEviT0_T1_.num_named_barrier, 0
	.set _ZN2at6native29vectorized_elementwise_kernelILi16ENS0_13AUnaryFunctorIN3c1013Float8_e4m3fnES4_bNS0_12_GLOBAL__N_116CompareEqFunctorIS4_EEEESt5arrayIPcLm2EEEEviT0_T1_.private_seg_size, 0
	.set _ZN2at6native29vectorized_elementwise_kernelILi16ENS0_13AUnaryFunctorIN3c1013Float8_e4m3fnES4_bNS0_12_GLOBAL__N_116CompareEqFunctorIS4_EEEESt5arrayIPcLm2EEEEviT0_T1_.uses_vcc, 1
	.set _ZN2at6native29vectorized_elementwise_kernelILi16ENS0_13AUnaryFunctorIN3c1013Float8_e4m3fnES4_bNS0_12_GLOBAL__N_116CompareEqFunctorIS4_EEEESt5arrayIPcLm2EEEEviT0_T1_.uses_flat_scratch, 0
	.set _ZN2at6native29vectorized_elementwise_kernelILi16ENS0_13AUnaryFunctorIN3c1013Float8_e4m3fnES4_bNS0_12_GLOBAL__N_116CompareEqFunctorIS4_EEEESt5arrayIPcLm2EEEEviT0_T1_.has_dyn_sized_stack, 0
	.set _ZN2at6native29vectorized_elementwise_kernelILi16ENS0_13AUnaryFunctorIN3c1013Float8_e4m3fnES4_bNS0_12_GLOBAL__N_116CompareEqFunctorIS4_EEEESt5arrayIPcLm2EEEEviT0_T1_.has_recursion, 0
	.set _ZN2at6native29vectorized_elementwise_kernelILi16ENS0_13AUnaryFunctorIN3c1013Float8_e4m3fnES4_bNS0_12_GLOBAL__N_116CompareEqFunctorIS4_EEEESt5arrayIPcLm2EEEEviT0_T1_.has_indirect_call, 0
	.section	.AMDGPU.csdata,"",@progbits
; Kernel info:
; codeLenInByte = 8156
; TotalNumSgprs: 46
; NumVgprs: 26
; ScratchSize: 0
; MemoryBound: 0
; FloatMode: 240
; IeeeMode: 1
; LDSByteSize: 0 bytes/workgroup (compile time only)
; SGPRBlocks: 5
; VGPRBlocks: 6
; NumSGPRsForWavesPerEU: 46
; NumVGPRsForWavesPerEU: 26
; Occupancy: 9
; WaveLimiterHint : 0
; COMPUTE_PGM_RSRC2:SCRATCH_EN: 0
; COMPUTE_PGM_RSRC2:USER_SGPR: 6
; COMPUTE_PGM_RSRC2:TRAP_HANDLER: 0
; COMPUTE_PGM_RSRC2:TGID_X_EN: 1
; COMPUTE_PGM_RSRC2:TGID_Y_EN: 0
; COMPUTE_PGM_RSRC2:TGID_Z_EN: 0
; COMPUTE_PGM_RSRC2:TIDIG_COMP_CNT: 0
	.section	.text._ZN2at6native29vectorized_elementwise_kernelILi8ENS0_13AUnaryFunctorIN3c1013Float8_e4m3fnES4_bNS0_12_GLOBAL__N_116CompareEqFunctorIS4_EEEESt5arrayIPcLm2EEEEviT0_T1_,"axG",@progbits,_ZN2at6native29vectorized_elementwise_kernelILi8ENS0_13AUnaryFunctorIN3c1013Float8_e4m3fnES4_bNS0_12_GLOBAL__N_116CompareEqFunctorIS4_EEEESt5arrayIPcLm2EEEEviT0_T1_,comdat
	.globl	_ZN2at6native29vectorized_elementwise_kernelILi8ENS0_13AUnaryFunctorIN3c1013Float8_e4m3fnES4_bNS0_12_GLOBAL__N_116CompareEqFunctorIS4_EEEESt5arrayIPcLm2EEEEviT0_T1_ ; -- Begin function _ZN2at6native29vectorized_elementwise_kernelILi8ENS0_13AUnaryFunctorIN3c1013Float8_e4m3fnES4_bNS0_12_GLOBAL__N_116CompareEqFunctorIS4_EEEESt5arrayIPcLm2EEEEviT0_T1_
	.p2align	8
	.type	_ZN2at6native29vectorized_elementwise_kernelILi8ENS0_13AUnaryFunctorIN3c1013Float8_e4m3fnES4_bNS0_12_GLOBAL__N_116CompareEqFunctorIS4_EEEESt5arrayIPcLm2EEEEviT0_T1_,@function
_ZN2at6native29vectorized_elementwise_kernelILi8ENS0_13AUnaryFunctorIN3c1013Float8_e4m3fnES4_bNS0_12_GLOBAL__N_116CompareEqFunctorIS4_EEEESt5arrayIPcLm2EEEEviT0_T1_: ; @_ZN2at6native29vectorized_elementwise_kernelILi8ENS0_13AUnaryFunctorIN3c1013Float8_e4m3fnES4_bNS0_12_GLOBAL__N_116CompareEqFunctorIS4_EEEESt5arrayIPcLm2EEEEviT0_T1_
; %bb.0:
	s_load_dwordx8 s[8:15], s[4:5], 0x0
	s_waitcnt lgkmcnt(0)
	s_lshl_b32 s11, s6, 12
	s_mov_b64 s[0:1], -1
	s_sub_i32 s8, s8, s11
	s_cmpk_gt_i32 s8, 0xfff
	s_cbranch_scc0 .LBB278_2
; %bb.1:
	s_ashr_i32 s2, s11, 31
	s_add_u32 s0, s14, s11
	s_addc_u32 s1, s15, s2
	v_lshlrev_b32_e32 v5, 3, v0
	global_load_dwordx2 v[1:2], v5, s[0:1]
	global_load_dwordx2 v[3:4], v5, s[0:1] offset:2048
	s_cmp_eq_u32 s9, 0
	s_cselect_b64 vcc, -1, 0
	s_lshl_b32 s0, s10, 24
	s_and_b32 s1, s0, 0x80000000
	s_and_b32 s0, s0, 0x7f000000
	s_flbit_i32_b32 s5, s0
	s_add_i32 s6, s0, 0x1000000
	s_min_u32 s5, s5, 32
	s_ashr_i32 s6, s6, 8
	v_sub_u32_e64 v7, s5, 4 clamp
	s_and_b32 s5, s6, 0x7f800000
	v_readfirstlane_b32 s6, v7
	s_lshl_b32 s7, s0, s6
	s_lshl_b32 s6, s6, 23
	s_lshr_b32 s7, s7, 4
	s_sub_i32 s6, s7, s6
	s_add_i32 s6, s6, 0x3c000000
	s_or_b32 s5, s6, s5
	s_cmp_lg_u32 s0, 0
	s_mov_b32 s4, 0x7f800000
	s_cselect_b32 s0, s5, 0
	s_or_b32 s5, s0, s1
	s_brev_b32 s3, 1
	v_mov_b32_e32 v6, 1
	s_waitcnt vmcnt(1)
	v_lshlrev_b32_e32 v7, 24, v1
	v_lshlrev_b32_e32 v8, 16, v1
	v_and_b32_e32 v11, 0x7f000000, v7
	v_lshlrev_b32_e32 v9, 8, v1
	v_and_b32_e32 v12, 0x7f000000, v8
	v_ffbh_u32_e32 v15, v11
	v_and_b32_e32 v13, 0x7f000000, v9
	v_ffbh_u32_e32 v17, v12
	v_min_u32_e32 v15, 32, v15
	v_ffbh_u32_e32 v19, v13
	v_min_u32_e32 v17, 32, v17
	v_sub_u32_e64 v15, v15, 4 clamp
	v_min_u32_e32 v19, 32, v19
	v_sub_u32_e64 v17, v17, 4 clamp
	v_lshlrev_b32_e32 v21, v15, v11
	v_sub_u32_e64 v19, v19, 4 clamp
	v_lshlrev_b32_e32 v15, 23, v15
	v_lshlrev_b32_e32 v22, v17, v12
	v_lshrrev_b32_e32 v21, 4, v21
	v_add_u32_e32 v16, 0x1000000, v11
	v_lshlrev_b32_e32 v17, 23, v17
	v_lshlrev_b32_e32 v23, v19, v13
	v_lshrrev_b32_e32 v22, 4, v22
	v_sub_u32_e32 v15, v21, v15
	v_add_u32_e32 v18, 0x1000000, v12
	v_ashrrev_i32_e32 v16, 8, v16
	v_lshlrev_b32_e32 v19, 23, v19
	v_lshrrev_b32_e32 v23, 4, v23
	v_sub_u32_e32 v17, v22, v17
	v_add_u32_e32 v15, 0x3c000000, v15
	v_add_u32_e32 v20, 0x1000000, v13
	v_ashrrev_i32_e32 v18, 8, v18
	v_sub_u32_e32 v19, v23, v19
	v_add_u32_e32 v17, 0x3c000000, v17
	v_and_or_b32 v15, v16, s4, v15
	v_cmp_ne_u32_e64 s[0:1], 0, v11
	v_ashrrev_i32_e32 v20, 8, v20
	v_add_u32_e32 v19, 0x3c000000, v19
	v_and_or_b32 v16, v18, s4, v17
	v_cndmask_b32_e64 v11, 0, v15, s[0:1]
	v_cmp_ne_u32_e64 s[0:1], 0, v12
	v_and_or_b32 v17, v20, s4, v19
	v_cndmask_b32_e64 v12, 0, v16, s[0:1]
	v_cmp_ne_u32_e64 s[0:1], 0, v13
	v_and_or_b32 v7, v7, s3, v11
	v_cndmask_b32_e64 v13, 0, v17, s[0:1]
	v_cmp_eq_f32_e64 s[0:1], s5, v7
	v_and_or_b32 v8, v8, s3, v12
	v_cndmask_b32_e64 v11, 0, 1, s[0:1]
	v_cmp_neq_f32_e64 s[0:1], s5, v7
	v_cndmask_b32_e64 v7, 0, 1, s[0:1]
	v_cmp_eq_f32_e64 s[0:1], s5, v8
	v_and_b32_e32 v10, 0x7f000000, v1
	v_and_or_b32 v9, v9, s3, v13
	v_cndmask_b32_e64 v12, 0, 1, s[0:1]
	v_cmp_neq_f32_e64 s[0:1], s5, v8
	v_ffbh_u32_e32 v14, v10
	v_cndmask_b32_e64 v8, 0, 1, s[0:1]
	v_cmp_eq_f32_e64 s[0:1], s5, v9
	v_cndmask_b32_e64 v13, 0, 1, s[0:1]
	v_cmp_neq_f32_e64 s[0:1], s5, v9
	v_cndmask_b32_e32 v7, v7, v11, vcc
	v_min_u32_e32 v11, 32, v14
	v_cndmask_b32_e64 v9, 0, 1, s[0:1]
	v_sub_u32_e64 v11, v11, 4 clamp
	v_cndmask_b32_e32 v9, v9, v13, vcc
	v_lshlrev_b32_e32 v13, v11, v10
	v_lshrrev_b32_e32 v13, 4, v13
	v_lshlrev_b32_e32 v11, 23, v11
	v_cndmask_b32_e32 v8, v8, v12, vcc
	v_add_u32_e32 v12, 0x1000000, v10
	v_sub_u32_e32 v11, v13, v11
	v_ashrrev_i32_e32 v12, 8, v12
	v_add_u32_e32 v11, 0x3c000000, v11
	v_and_or_b32 v11, v12, s4, v11
	v_cmp_ne_u32_e64 s[0:1], 0, v10
	v_cndmask_b32_e64 v10, 0, v11, s[0:1]
	v_and_or_b32 v1, v1, s3, v10
	v_cmp_eq_f32_e64 s[0:1], s5, v1
	v_cndmask_b32_e64 v10, 0, 1, s[0:1]
	v_cmp_neq_f32_e64 s[0:1], s5, v1
	v_cndmask_b32_e64 v1, 0, 1, s[0:1]
	v_cndmask_b32_e32 v1, v1, v10, vcc
	v_and_b32_sdwa v10, v1, v6 dst_sel:BYTE_1 dst_unused:UNUSED_PAD src0_sel:DWORD src1_sel:DWORD
	v_lshlrev_b32_e32 v1, 24, v2
	v_and_b32_e32 v11, 0x7f000000, v1
	v_ffbh_u32_e32 v12, v11
	v_min_u32_e32 v12, 32, v12
	v_sub_u32_e64 v12, v12, 4 clamp
	v_lshlrev_b32_e32 v14, v12, v11
	v_lshrrev_b32_e32 v14, 4, v14
	v_lshlrev_b32_e32 v12, 23, v12
	v_add_u32_e32 v13, 0x1000000, v11
	v_sub_u32_e32 v12, v14, v12
	v_ashrrev_i32_e32 v13, 8, v13
	v_add_u32_e32 v12, 0x3c000000, v12
	v_and_or_b32 v12, v13, s4, v12
	v_cmp_ne_u32_e64 s[0:1], 0, v11
	v_cndmask_b32_e64 v11, 0, v12, s[0:1]
	v_and_or_b32 v1, v1, s3, v11
	v_cmp_eq_f32_e64 s[0:1], s5, v1
	v_cndmask_b32_e64 v11, 0, 1, s[0:1]
	v_cmp_neq_f32_e64 s[0:1], s5, v1
	v_cndmask_b32_e64 v1, 0, 1, s[0:1]
	v_cndmask_b32_e32 v1, v1, v11, vcc
	v_and_b32_e32 v11, 1, v1
	v_lshlrev_b32_e32 v1, 16, v2
	v_and_b32_e32 v12, 0x7f000000, v1
	v_ffbh_u32_e32 v13, v12
	v_min_u32_e32 v13, 32, v13
	v_sub_u32_e64 v13, v13, 4 clamp
	v_lshlrev_b32_e32 v15, v13, v12
	v_lshrrev_b32_e32 v15, 4, v15
	v_lshlrev_b32_e32 v13, 23, v13
	v_add_u32_e32 v14, 0x1000000, v12
	v_sub_u32_e32 v13, v15, v13
	v_ashrrev_i32_e32 v14, 8, v14
	v_add_u32_e32 v13, 0x3c000000, v13
	v_and_or_b32 v13, v14, s4, v13
	v_cmp_ne_u32_e64 s[0:1], 0, v12
	v_cndmask_b32_e64 v12, 0, v13, s[0:1]
	v_and_or_b32 v1, v1, s3, v12
	v_cmp_eq_f32_e64 s[0:1], s5, v1
	v_cndmask_b32_e64 v12, 0, 1, s[0:1]
	v_cmp_neq_f32_e64 s[0:1], s5, v1
	v_cndmask_b32_e64 v1, 0, 1, s[0:1]
	v_cndmask_b32_e32 v1, v1, v12, vcc
	v_and_b32_sdwa v12, v1, v6 dst_sel:BYTE_1 dst_unused:UNUSED_PAD src0_sel:DWORD src1_sel:DWORD
	v_lshlrev_b32_e32 v1, 8, v2
	v_and_b32_e32 v13, 0x7f000000, v1
	v_ffbh_u32_e32 v14, v13
	v_min_u32_e32 v14, 32, v14
	v_sub_u32_e64 v14, v14, 4 clamp
	v_lshlrev_b32_e32 v16, v14, v13
	v_lshrrev_b32_e32 v16, 4, v16
	v_lshlrev_b32_e32 v14, 23, v14
	v_add_u32_e32 v15, 0x1000000, v13
	v_sub_u32_e32 v14, v16, v14
	v_ashrrev_i32_e32 v15, 8, v15
	v_add_u32_e32 v14, 0x3c000000, v14
	v_and_or_b32 v14, v15, s4, v14
	v_cmp_ne_u32_e64 s[0:1], 0, v13
	v_cndmask_b32_e64 v13, 0, v14, s[0:1]
	v_and_or_b32 v1, v1, s3, v13
	v_cmp_eq_f32_e64 s[0:1], s5, v1
	v_cndmask_b32_e64 v13, 0, 1, s[0:1]
	v_cmp_neq_f32_e64 s[0:1], s5, v1
	v_cndmask_b32_e64 v1, 0, 1, s[0:1]
	v_cndmask_b32_e32 v1, v1, v13, vcc
	v_and_b32_e32 v13, 1, v1
	v_and_b32_e32 v1, 0x7f000000, v2
	v_ffbh_u32_e32 v14, v1
	v_min_u32_e32 v14, 32, v14
	v_sub_u32_e64 v14, v14, 4 clamp
	v_lshlrev_b32_e32 v16, v14, v1
	v_lshrrev_b32_e32 v16, 4, v16
	v_lshlrev_b32_e32 v14, 23, v14
	v_add_u32_e32 v15, 0x1000000, v1
	v_sub_u32_e32 v14, v16, v14
	v_ashrrev_i32_e32 v15, 8, v15
	v_add_u32_e32 v14, 0x3c000000, v14
	v_and_or_b32 v14, v15, s4, v14
	v_cmp_ne_u32_e64 s[0:1], 0, v1
	v_cndmask_b32_e64 v1, 0, v14, s[0:1]
	v_and_or_b32 v1, v2, s3, v1
	v_cmp_eq_f32_e64 s[0:1], s5, v1
	v_cndmask_b32_e64 v2, 0, 1, s[0:1]
	v_cmp_neq_f32_e64 s[0:1], s5, v1
	v_cndmask_b32_e64 v1, 0, 1, s[0:1]
	v_cndmask_b32_e32 v1, v1, v2, vcc
	v_and_b32_sdwa v14, v1, v6 dst_sel:BYTE_1 dst_unused:UNUSED_PAD src0_sel:DWORD src1_sel:DWORD
	s_waitcnt vmcnt(0)
	v_lshlrev_b32_e32 v1, 24, v3
	v_and_b32_e32 v2, 0x7f000000, v1
	v_ffbh_u32_e32 v15, v2
	v_min_u32_e32 v15, 32, v15
	v_sub_u32_e64 v15, v15, 4 clamp
	v_lshlrev_b32_e32 v17, v15, v2
	v_lshrrev_b32_e32 v17, 4, v17
	v_lshlrev_b32_e32 v15, 23, v15
	v_add_u32_e32 v16, 0x1000000, v2
	v_sub_u32_e32 v15, v17, v15
	v_ashrrev_i32_e32 v16, 8, v16
	v_add_u32_e32 v15, 0x3c000000, v15
	v_and_or_b32 v15, v16, s4, v15
	v_cmp_ne_u32_e64 s[0:1], 0, v2
	v_cndmask_b32_e64 v2, 0, v15, s[0:1]
	v_and_or_b32 v1, v1, s3, v2
	v_cmp_eq_f32_e64 s[0:1], s5, v1
	v_cndmask_b32_e64 v2, 0, 1, s[0:1]
	v_cmp_neq_f32_e64 s[0:1], s5, v1
	v_cndmask_b32_e64 v1, 0, 1, s[0:1]
	v_cndmask_b32_e32 v1, v1, v2, vcc
	v_lshlrev_b32_e32 v2, 16, v3
	v_and_b32_e32 v15, 0x7f000000, v2
	v_ffbh_u32_e32 v16, v15
	v_min_u32_e32 v16, 32, v16
	v_sub_u32_e64 v16, v16, 4 clamp
	v_lshlrev_b32_e32 v18, v16, v15
	v_lshrrev_b32_e32 v18, 4, v18
	v_lshlrev_b32_e32 v16, 23, v16
	v_add_u32_e32 v17, 0x1000000, v15
	v_sub_u32_e32 v16, v18, v16
	v_ashrrev_i32_e32 v17, 8, v17
	v_add_u32_e32 v16, 0x3c000000, v16
	v_and_or_b32 v16, v17, s4, v16
	v_cmp_ne_u32_e64 s[0:1], 0, v15
	v_cndmask_b32_e64 v15, 0, v16, s[0:1]
	v_and_or_b32 v2, v2, s3, v15
	v_cmp_eq_f32_e64 s[0:1], s5, v2
	v_cndmask_b32_e64 v15, 0, 1, s[0:1]
	v_cmp_neq_f32_e64 s[0:1], s5, v2
	v_cndmask_b32_e64 v2, 0, 1, s[0:1]
	v_cndmask_b32_e32 v2, v2, v15, vcc
	v_and_b32_sdwa v15, v2, v6 dst_sel:BYTE_1 dst_unused:UNUSED_PAD src0_sel:DWORD src1_sel:DWORD
	v_lshlrev_b32_e32 v2, 8, v3
	v_and_b32_e32 v16, 0x7f000000, v2
	v_ffbh_u32_e32 v17, v16
	v_min_u32_e32 v17, 32, v17
	v_sub_u32_e64 v17, v17, 4 clamp
	v_lshlrev_b32_e32 v19, v17, v16
	v_lshrrev_b32_e32 v19, 4, v19
	v_lshlrev_b32_e32 v17, 23, v17
	v_add_u32_e32 v18, 0x1000000, v16
	v_sub_u32_e32 v17, v19, v17
	v_ashrrev_i32_e32 v18, 8, v18
	v_add_u32_e32 v17, 0x3c000000, v17
	v_and_or_b32 v17, v18, s4, v17
	v_cmp_ne_u32_e64 s[0:1], 0, v16
	v_cndmask_b32_e64 v16, 0, v17, s[0:1]
	v_and_or_b32 v2, v2, s3, v16
	v_cmp_eq_f32_e64 s[0:1], s5, v2
	v_cndmask_b32_e64 v16, 0, 1, s[0:1]
	v_cmp_neq_f32_e64 s[0:1], s5, v2
	v_cndmask_b32_e64 v2, 0, 1, s[0:1]
	v_cndmask_b32_e32 v2, v2, v16, vcc
	v_and_b32_e32 v16, 1, v2
	v_and_b32_e32 v2, 0x7f000000, v3
	v_ffbh_u32_e32 v17, v2
	v_min_u32_e32 v17, 32, v17
	v_sub_u32_e64 v17, v17, 4 clamp
	v_lshlrev_b32_e32 v19, v17, v2
	v_lshrrev_b32_e32 v19, 4, v19
	v_lshlrev_b32_e32 v17, 23, v17
	v_add_u32_e32 v18, 0x1000000, v2
	v_sub_u32_e32 v17, v19, v17
	v_ashrrev_i32_e32 v18, 8, v18
	v_add_u32_e32 v17, 0x3c000000, v17
	v_and_or_b32 v17, v18, s4, v17
	v_cmp_ne_u32_e64 s[0:1], 0, v2
	v_cndmask_b32_e64 v2, 0, v17, s[0:1]
	v_and_or_b32 v2, v3, s3, v2
	v_cmp_eq_f32_e64 s[0:1], s5, v2
	v_cndmask_b32_e64 v3, 0, 1, s[0:1]
	v_cmp_neq_f32_e64 s[0:1], s5, v2
	v_cndmask_b32_e64 v2, 0, 1, s[0:1]
	v_cndmask_b32_e32 v2, v2, v3, vcc
	v_and_b32_sdwa v3, v2, v6 dst_sel:BYTE_1 dst_unused:UNUSED_PAD src0_sel:DWORD src1_sel:DWORD
	v_lshlrev_b32_e32 v2, 24, v4
	v_and_b32_e32 v17, 0x7f000000, v2
	v_ffbh_u32_e32 v18, v17
	v_min_u32_e32 v18, 32, v18
	v_sub_u32_e64 v18, v18, 4 clamp
	v_lshlrev_b32_e32 v20, v18, v17
	v_lshrrev_b32_e32 v20, 4, v20
	v_lshlrev_b32_e32 v18, 23, v18
	v_add_u32_e32 v19, 0x1000000, v17
	v_sub_u32_e32 v18, v20, v18
	v_ashrrev_i32_e32 v19, 8, v19
	v_add_u32_e32 v18, 0x3c000000, v18
	v_and_or_b32 v18, v19, s4, v18
	v_cmp_ne_u32_e64 s[0:1], 0, v17
	v_cndmask_b32_e64 v17, 0, v18, s[0:1]
	v_and_or_b32 v2, v2, s3, v17
	v_cmp_eq_f32_e64 s[0:1], s5, v2
	v_cndmask_b32_e64 v17, 0, 1, s[0:1]
	v_cmp_neq_f32_e64 s[0:1], s5, v2
	v_cndmask_b32_e64 v2, 0, 1, s[0:1]
	v_cndmask_b32_e32 v2, v2, v17, vcc
	v_lshlrev_b32_e32 v17, 16, v4
	v_and_b32_e32 v18, 0x7f000000, v17
	v_ffbh_u32_e32 v19, v18
	v_min_u32_e32 v19, 32, v19
	v_sub_u32_e64 v19, v19, 4 clamp
	v_lshlrev_b32_e32 v21, v19, v18
	v_lshrrev_b32_e32 v21, 4, v21
	v_lshlrev_b32_e32 v19, 23, v19
	v_add_u32_e32 v20, 0x1000000, v18
	v_sub_u32_e32 v19, v21, v19
	v_ashrrev_i32_e32 v20, 8, v20
	v_add_u32_e32 v19, 0x3c000000, v19
	v_and_or_b32 v19, v20, s4, v19
	v_cmp_ne_u32_e64 s[0:1], 0, v18
	v_cndmask_b32_e64 v18, 0, v19, s[0:1]
	v_and_or_b32 v17, v17, s3, v18
	v_cmp_eq_f32_e64 s[0:1], s5, v17
	v_cndmask_b32_e64 v18, 0, 1, s[0:1]
	v_cmp_neq_f32_e64 s[0:1], s5, v17
	v_cndmask_b32_e64 v17, 0, 1, s[0:1]
	v_cndmask_b32_e32 v17, v17, v18, vcc
	;; [unrolled: 21-line block ×3, first 2 shown]
	v_and_b32_e32 v19, 0x7f000000, v4
	v_ffbh_u32_e32 v20, v19
	v_min_u32_e32 v20, 32, v20
	v_sub_u32_e64 v20, v20, 4 clamp
	v_lshlrev_b32_e32 v22, v20, v19
	v_lshrrev_b32_e32 v22, 4, v22
	v_lshlrev_b32_e32 v20, 23, v20
	v_add_u32_e32 v21, 0x1000000, v19
	v_sub_u32_e32 v20, v22, v20
	v_ashrrev_i32_e32 v21, 8, v21
	v_add_u32_e32 v20, 0x3c000000, v20
	v_and_or_b32 v20, v21, s4, v20
	v_cmp_ne_u32_e64 s[0:1], 0, v19
	v_cndmask_b32_e64 v19, 0, v20, s[0:1]
	v_and_or_b32 v4, v4, s3, v19
	v_cmp_eq_f32_e64 s[0:1], s5, v4
	v_cndmask_b32_e64 v19, 0, 1, s[0:1]
	v_cmp_neq_f32_e64 s[0:1], s5, v4
	v_cndmask_b32_e64 v4, 0, 1, s[0:1]
	v_cndmask_b32_e32 v4, v4, v19, vcc
	v_and_b32_e32 v1, 1, v1
	v_and_b32_e32 v2, 1, v2
	v_and_b32_sdwa v17, v17, v6 dst_sel:BYTE_1 dst_unused:UNUSED_PAD src0_sel:DWORD src1_sel:DWORD
	v_and_b32_e32 v18, 1, v18
	v_and_b32_sdwa v4, v4, v6 dst_sel:BYTE_1 dst_unused:UNUSED_PAD src0_sel:DWORD src1_sel:DWORD
	v_or_b32_e32 v2, v2, v17
	v_or_b32_sdwa v4, v18, v4 dst_sel:WORD_1 dst_unused:UNUSED_PAD src0_sel:DWORD src1_sel:DWORD
	v_or_b32_e32 v1, v1, v15
	v_or_b32_sdwa v3, v16, v3 dst_sel:WORD_1 dst_unused:UNUSED_PAD src0_sel:DWORD src1_sel:DWORD
	v_and_b32_e32 v7, 1, v7
	v_and_b32_sdwa v8, v8, v6 dst_sel:BYTE_1 dst_unused:UNUSED_PAD src0_sel:DWORD src1_sel:DWORD
	v_and_b32_e32 v9, 1, v9
	v_or_b32_sdwa v2, v2, v4 dst_sel:DWORD dst_unused:UNUSED_PAD src0_sel:WORD_0 src1_sel:DWORD
	v_or_b32_sdwa v1, v1, v3 dst_sel:DWORD dst_unused:UNUSED_PAD src0_sel:WORD_0 src1_sel:DWORD
	v_or_b32_e32 v3, v11, v12
	v_or_b32_sdwa v4, v13, v14 dst_sel:WORD_1 dst_unused:UNUSED_PAD src0_sel:DWORD src1_sel:DWORD
	v_or_b32_sdwa v4, v3, v4 dst_sel:DWORD dst_unused:UNUSED_PAD src0_sel:WORD_0 src1_sel:DWORD
	v_or_b32_e32 v3, v7, v8
	v_or_b32_sdwa v6, v9, v10 dst_sel:WORD_1 dst_unused:UNUSED_PAD src0_sel:DWORD src1_sel:DWORD
	s_add_u32 s0, s12, s11
	v_or_b32_sdwa v3, v3, v6 dst_sel:DWORD dst_unused:UNUSED_PAD src0_sel:WORD_0 src1_sel:DWORD
	s_addc_u32 s1, s13, s2
	global_store_dwordx2 v5, v[3:4], s[0:1]
	global_store_dwordx2 v5, v[1:2], s[0:1] offset:2048
	s_mov_b64 s[0:1], 0
.LBB278_2:
	s_andn2_b64 vcc, exec, s[0:1]
	s_cbranch_vccnz .LBB278_83
; %bb.3:
	v_cmp_gt_i32_e32 vcc, s8, v0
	v_mov_b32_e32 v6, 0
	v_mov_b32_e32 v3, 0
	v_or_b32_e32 v4, s11, v0
	v_mov_b32_e32 v5, 0
	v_mov_b32_e32 v7, 0
	;; [unrolled: 1-line block ×15, first 2 shown]
	s_and_saveexec_b64 s[2:3], vcc
	s_cbranch_execz .LBB278_35
; %bb.4:
	global_load_ubyte v19, v4, s[14:15]
	v_or_b32_e32 v1, 0x100, v0
	v_cmp_gt_u32_e64 s[0:1], s8, v1
	v_mov_b32_e32 v5, 0
	v_mov_b32_e32 v21, 0
	;; [unrolled: 1-line block ×15, first 2 shown]
	s_and_saveexec_b64 s[4:5], s[0:1]
	s_cbranch_execz .LBB278_34
; %bb.5:
	v_add_u32_e32 v1, s11, v0
	global_load_ubyte v21, v1, s[14:15] offset:256
	v_or_b32_e32 v2, 0x200, v0
	v_mov_b32_e32 v20, 0
	v_cmp_gt_u32_e64 s[0:1], s8, v2
	v_mov_b32_e32 v18, 0
	v_mov_b32_e32 v17, 0
	;; [unrolled: 1-line block ×13, first 2 shown]
	s_and_saveexec_b64 s[6:7], s[0:1]
	s_cbranch_execz .LBB278_33
; %bb.6:
	v_mov_b32_e32 v2, s15
	v_add_co_u32_e64 v1, s[0:1], s14, v1
	v_addc_co_u32_e64 v2, s[0:1], 0, v2, s[0:1]
	global_load_ubyte v20, v[1:2], off offset:512
	v_or_b32_e32 v5, 0x300, v0
	v_cmp_gt_u32_e64 s[0:1], s8, v5
	v_mov_b32_e32 v5, 0
	v_mov_b32_e32 v18, 0
	;; [unrolled: 1-line block ×13, first 2 shown]
	s_and_saveexec_b64 s[14:15], s[0:1]
	s_cbranch_execz .LBB278_32
; %bb.7:
	global_load_ubyte v18, v[1:2], off offset:768
	v_or_b32_e32 v5, 0x400, v0
	v_cmp_gt_u32_e64 s[0:1], s8, v5
	v_mov_b32_e32 v5, 0
	v_mov_b32_e32 v17, 0
	;; [unrolled: 1-line block ×12, first 2 shown]
	s_and_saveexec_b64 s[16:17], s[0:1]
	s_cbranch_execz .LBB278_31
; %bb.8:
	global_load_ubyte v17, v[1:2], off offset:1024
	v_or_b32_e32 v5, 0x500, v0
	v_cmp_gt_u32_e64 s[0:1], s8, v5
	v_mov_b32_e32 v5, 0
	v_mov_b32_e32 v16, 0
	;; [unrolled: 1-line block ×11, first 2 shown]
	s_and_saveexec_b64 s[18:19], s[0:1]
	s_cbranch_execz .LBB278_30
; %bb.9:
	global_load_ubyte v16, v[1:2], off offset:1280
	v_or_b32_e32 v5, 0x600, v0
	v_cmp_gt_u32_e64 s[0:1], s8, v5
	v_mov_b32_e32 v5, 0
	v_mov_b32_e32 v14, 0
	;; [unrolled: 1-line block ×10, first 2 shown]
	s_and_saveexec_b64 s[20:21], s[0:1]
	s_cbranch_execz .LBB278_29
; %bb.10:
	global_load_ubyte v14, v[1:2], off offset:1536
	v_or_b32_e32 v5, 0x700, v0
	v_cmp_gt_u32_e64 s[0:1], s8, v5
	v_mov_b32_e32 v5, 0
	v_mov_b32_e32 v13, 0
	;; [unrolled: 1-line block ×9, first 2 shown]
	s_and_saveexec_b64 s[22:23], s[0:1]
	s_cbranch_execz .LBB278_28
; %bb.11:
	global_load_ubyte v13, v[1:2], off offset:1792
	v_or_b32_e32 v5, 0x800, v0
	v_cmp_gt_u32_e64 s[0:1], s8, v5
	v_mov_b32_e32 v5, 0
	v_mov_b32_e32 v12, 0
	;; [unrolled: 1-line block ×8, first 2 shown]
	s_and_saveexec_b64 s[24:25], s[0:1]
	s_cbranch_execz .LBB278_27
; %bb.12:
	global_load_ubyte v12, v[1:2], off offset:2048
	v_or_b32_e32 v5, 0x900, v0
	v_cmp_gt_u32_e64 s[0:1], s8, v5
	v_mov_b32_e32 v5, 0
	v_mov_b32_e32 v11, 0
	;; [unrolled: 1-line block ×7, first 2 shown]
	s_and_saveexec_b64 s[26:27], s[0:1]
	s_cbranch_execz .LBB278_26
; %bb.13:
	global_load_ubyte v11, v[1:2], off offset:2304
	v_or_b32_e32 v5, 0xa00, v0
	v_cmp_gt_u32_e64 s[0:1], s8, v5
	v_mov_b32_e32 v5, 0
	v_mov_b32_e32 v10, 0
	;; [unrolled: 1-line block ×6, first 2 shown]
	s_and_saveexec_b64 s[28:29], s[0:1]
	s_cbranch_execz .LBB278_25
; %bb.14:
	global_load_ubyte v10, v[1:2], off offset:2560
	v_or_b32_e32 v5, 0xb00, v0
	v_cmp_gt_u32_e64 s[0:1], s8, v5
	v_mov_b32_e32 v5, 0
	v_mov_b32_e32 v9, 0
	;; [unrolled: 1-line block ×5, first 2 shown]
	s_and_saveexec_b64 s[30:31], s[0:1]
	s_cbranch_execz .LBB278_24
; %bb.15:
	global_load_ubyte v9, v[1:2], off offset:2816
	v_or_b32_e32 v5, 0xc00, v0
	v_cmp_gt_u32_e64 s[0:1], s8, v5
	v_mov_b32_e32 v5, 0
	v_mov_b32_e32 v8, 0
	;; [unrolled: 1-line block ×4, first 2 shown]
	s_and_saveexec_b64 s[34:35], s[0:1]
	s_cbranch_execz .LBB278_23
; %bb.16:
	global_load_ubyte v8, v[1:2], off offset:3072
	v_or_b32_e32 v5, 0xd00, v0
	v_cmp_gt_u32_e64 s[0:1], s8, v5
	v_mov_b32_e32 v5, 0
	v_mov_b32_e32 v7, 0
	;; [unrolled: 1-line block ×3, first 2 shown]
	s_and_saveexec_b64 s[36:37], s[0:1]
	s_cbranch_execz .LBB278_22
; %bb.17:
	global_load_ubyte v7, v[1:2], off offset:3328
	v_or_b32_e32 v5, 0xe00, v0
	v_cmp_gt_u32_e64 s[0:1], s8, v5
	v_mov_b32_e32 v5, 0
	v_mov_b32_e32 v6, 0
	s_and_saveexec_b64 s[38:39], s[0:1]
	s_cbranch_execz .LBB278_21
; %bb.18:
	global_load_ubyte v6, v[1:2], off offset:3584
	v_or_b32_e32 v5, 0xf00, v0
	v_cmp_gt_u32_e64 s[0:1], s8, v5
	v_mov_b32_e32 v5, 0
	s_and_saveexec_b64 s[40:41], s[0:1]
	s_cbranch_execz .LBB278_20
; %bb.19:
	global_load_ubyte v1, v[1:2], off offset:3840
	s_waitcnt vmcnt(0)
	v_lshlrev_b32_e32 v5, 24, v1
.LBB278_20:
	s_or_b64 exec, exec, s[40:41]
.LBB278_21:
	s_or_b64 exec, exec, s[38:39]
.LBB278_22:
	s_or_b64 exec, exec, s[36:37]
.LBB278_23:
	s_or_b64 exec, exec, s[34:35]
.LBB278_24:
	s_or_b64 exec, exec, s[30:31]
.LBB278_25:
	s_or_b64 exec, exec, s[28:29]
.LBB278_26:
	s_or_b64 exec, exec, s[26:27]
.LBB278_27:
	s_or_b64 exec, exec, s[24:25]
.LBB278_28:
	s_or_b64 exec, exec, s[22:23]
.LBB278_29:
	s_or_b64 exec, exec, s[20:21]
.LBB278_30:
	s_or_b64 exec, exec, s[18:19]
.LBB278_31:
	s_or_b64 exec, exec, s[16:17]
.LBB278_32:
	s_or_b64 exec, exec, s[14:15]
.LBB278_33:
	s_or_b64 exec, exec, s[6:7]
.LBB278_34:
	s_or_b64 exec, exec, s[4:5]
.LBB278_35:
	s_or_b64 exec, exec, s[2:3]
	s_cmp_eq_u32 s9, 0
	s_cselect_b64 s[0:1], -1, 0
	s_lshl_b32 s2, s10, 24
	s_and_b32 s4, s2, 0x7f000000
	s_and_b32 s3, s2, 0x80000000
	s_flbit_i32_b32 s2, s4
	s_min_u32 s2, s2, 32
	v_sub_u32_e64 v1, s2, 4 clamp
	v_readfirstlane_b32 s6, v1
	s_lshl_b32 s9, s4, s6
	s_add_i32 s2, s4, 0x1000000
	s_lshr_b32 s9, s9, 4
	s_lshl_b32 s6, s6, 23
	s_ashr_i32 s5, s2, 8
	s_sub_i32 s6, s9, s6
	s_and_b32 s5, s5, 0x7f800000
	s_add_i32 s6, s6, 0x3c000000
	s_or_b32 s5, s6, s5
	s_cmp_lg_u32 s4, 0
	s_cselect_b32 s4, s5, 0
	s_brev_b32 s7, 1
	s_mov_b32 s2, 0x7f800000
	s_or_b32 s6, s4, s3
	v_mov_b32_e32 v15, v3
	v_mov_b32_e32 v2, v3
	;; [unrolled: 1-line block ×3, first 2 shown]
	s_and_saveexec_b64 s[4:5], vcc
	s_cbranch_execz .LBB278_37
; %bb.36:
	s_waitcnt vmcnt(0)
	v_lshlrev_b32_e32 v1, 24, v19
	v_and_b32_e32 v2, 0x7f000000, v1
	v_ffbh_u32_e32 v3, v2
	v_min_u32_e32 v3, 32, v3
	v_sub_u32_e64 v3, v3, 4 clamp
	v_lshlrev_b32_e32 v19, v3, v2
	v_lshrrev_b32_e32 v19, 4, v19
	v_lshlrev_b32_e32 v3, 23, v3
	v_add_u32_e32 v15, 0x1000000, v2
	v_sub_u32_e32 v3, v19, v3
	v_ashrrev_i32_e32 v15, 8, v15
	v_add_u32_e32 v3, 0x3c000000, v3
	v_and_or_b32 v3, v15, s2, v3
	v_cmp_ne_u32_e64 s[2:3], 0, v2
	v_cndmask_b32_e64 v2, 0, v3, s[2:3]
	v_and_or_b32 v1, v1, s7, v2
	v_cmp_eq_f32_e64 s[2:3], s6, v1
	v_cndmask_b32_e64 v2, 0, 1, s[2:3]
	v_cmp_neq_f32_e64 s[2:3], s6, v1
	v_cndmask_b32_e64 v1, 0, 1, s[2:3]
	v_cndmask_b32_e64 v1, v1, v2, s[0:1]
	v_and_b32_e32 v1, 1, v1
	v_mov_b32_e32 v15, 0
	v_and_b32_e32 v3, 0xffff, v1
	v_mov_b32_e32 v2, v15
	v_mov_b32_e32 v1, v15
.LBB278_37:
	s_or_b64 exec, exec, s[4:5]
	s_waitcnt vmcnt(0)
	v_or_b32_e32 v19, 0x100, v0
	v_cmp_gt_i32_e64 s[2:3], s8, v19
	s_and_saveexec_b64 s[4:5], s[2:3]
	s_cbranch_execz .LBB278_39
; %bb.38:
	v_lshlrev_b32_e32 v21, 24, v21
	v_and_b32_e32 v22, 0x7f000000, v21
	v_ffbh_u32_e32 v23, v22
	v_min_u32_e32 v23, 32, v23
	v_sub_u32_e64 v23, v23, 4 clamp
	v_lshlrev_b32_e32 v25, v23, v22
	v_lshrrev_b32_e32 v25, 4, v25
	v_lshlrev_b32_e32 v23, 23, v23
	v_add_u32_e32 v24, 0x1000000, v22
	v_sub_u32_e32 v23, v25, v23
	v_ashrrev_i32_e32 v24, 8, v24
	v_add_u32_e32 v23, 0x3c000000, v23
	s_mov_b32 s2, 0x7f800000
	v_and_or_b32 v23, v24, s2, v23
	v_cmp_ne_u32_e64 s[2:3], 0, v22
	v_cndmask_b32_e64 v22, 0, v23, s[2:3]
	s_brev_b32 s2, 1
	v_and_or_b32 v21, v21, s2, v22
	v_cmp_eq_f32_e64 s[2:3], s6, v21
	v_cndmask_b32_e64 v22, 0, 1, s[2:3]
	v_cmp_neq_f32_e64 s[2:3], s6, v21
	v_cndmask_b32_e64 v21, 0, 1, s[2:3]
	v_cndmask_b32_e64 v21, v21, v22, s[0:1]
	v_mov_b32_e32 v22, 1
	v_and_b32_sdwa v21, v21, v22 dst_sel:BYTE_1 dst_unused:UNUSED_PAD src0_sel:DWORD src1_sel:DWORD
	v_or_b32_sdwa v21, v3, v21 dst_sel:DWORD dst_unused:UNUSED_PAD src0_sel:BYTE_0 src1_sel:DWORD
	v_and_b32_e32 v21, 0xffff, v21
	s_mov_b32 s2, 0xffff0000
	v_and_or_b32 v3, v3, s2, v21
.LBB278_39:
	s_or_b64 exec, exec, s[4:5]
	v_or_b32_e32 v21, 0x200, v0
	v_cmp_gt_i32_e64 s[2:3], s8, v21
	s_and_saveexec_b64 s[4:5], s[2:3]
	s_cbranch_execz .LBB278_41
; %bb.40:
	v_lshlrev_b32_e32 v20, 24, v20
	v_and_b32_e32 v22, 0x7f000000, v20
	v_ffbh_u32_e32 v23, v22
	v_min_u32_e32 v23, 32, v23
	v_sub_u32_e64 v23, v23, 4 clamp
	v_lshlrev_b32_e32 v25, v23, v22
	v_lshrrev_b32_e32 v25, 4, v25
	v_lshlrev_b32_e32 v23, 23, v23
	s_movk_i32 s2, 0xff00
	v_add_u32_e32 v24, 0x1000000, v22
	v_sub_u32_e32 v23, v25, v23
	v_and_b32_sdwa v21, v3, s2 dst_sel:DWORD dst_unused:UNUSED_PAD src0_sel:WORD_1 src1_sel:DWORD
	v_ashrrev_i32_e32 v24, 8, v24
	v_add_u32_e32 v23, 0x3c000000, v23
	s_mov_b32 s2, 0x7f800000
	v_and_or_b32 v23, v24, s2, v23
	v_cmp_ne_u32_e64 s[2:3], 0, v22
	v_cndmask_b32_e64 v22, 0, v23, s[2:3]
	s_brev_b32 s2, 1
	v_and_or_b32 v20, v20, s2, v22
	v_cmp_eq_f32_e64 s[2:3], s6, v20
	v_cndmask_b32_e64 v22, 0, 1, s[2:3]
	v_cmp_neq_f32_e64 s[2:3], s6, v20
	v_cndmask_b32_e64 v20, 0, 1, s[2:3]
	v_cndmask_b32_e64 v20, v20, v22, s[0:1]
	v_and_b32_e32 v20, 1, v20
	v_or_b32_sdwa v20, v20, v21 dst_sel:WORD_1 dst_unused:UNUSED_PAD src0_sel:DWORD src1_sel:DWORD
	s_mov_b32 s2, 0xffff
	v_and_or_b32 v3, v3, s2, v20
.LBB278_41:
	s_or_b64 exec, exec, s[4:5]
	v_or_b32_e32 v20, 0x300, v0
	v_cmp_gt_i32_e64 s[2:3], s8, v20
	s_and_saveexec_b64 s[4:5], s[2:3]
	s_cbranch_execz .LBB278_43
; %bb.42:
	v_lshlrev_b32_e32 v18, 24, v18
	v_and_b32_e32 v21, 0x7f000000, v18
	v_ffbh_u32_e32 v22, v21
	v_min_u32_e32 v22, 32, v22
	v_sub_u32_e64 v22, v22, 4 clamp
	v_lshlrev_b32_e32 v24, v22, v21
	v_lshrrev_b32_e32 v24, 4, v24
	v_lshlrev_b32_e32 v22, 23, v22
	s_movk_i32 s2, 0xff
	v_add_u32_e32 v23, 0x1000000, v21
	v_sub_u32_e32 v22, v24, v22
	v_and_b32_sdwa v20, v3, s2 dst_sel:DWORD dst_unused:UNUSED_PAD src0_sel:WORD_1 src1_sel:DWORD
	v_ashrrev_i32_e32 v23, 8, v23
	v_add_u32_e32 v22, 0x3c000000, v22
	s_mov_b32 s2, 0x7f800000
	v_and_or_b32 v22, v23, s2, v22
	v_cmp_ne_u32_e64 s[2:3], 0, v21
	v_cndmask_b32_e64 v21, 0, v22, s[2:3]
	s_brev_b32 s2, 1
	v_and_or_b32 v18, v18, s2, v21
	v_cmp_eq_f32_e64 s[2:3], s6, v18
	v_cndmask_b32_e64 v21, 0, 1, s[2:3]
	v_cmp_neq_f32_e64 s[2:3], s6, v18
	v_cndmask_b32_e64 v18, 0, 1, s[2:3]
	v_cndmask_b32_e64 v18, v18, v21, s[0:1]
	v_mov_b32_e32 v21, 1
	v_and_b32_sdwa v18, v18, v21 dst_sel:BYTE_1 dst_unused:UNUSED_PAD src0_sel:DWORD src1_sel:DWORD
	v_or_b32_sdwa v18, v20, v18 dst_sel:WORD_1 dst_unused:UNUSED_PAD src0_sel:DWORD src1_sel:DWORD
	s_mov_b32 s2, 0xffff
	v_and_or_b32 v3, v3, s2, v18
.LBB278_43:
	s_or_b64 exec, exec, s[4:5]
	v_or_b32_e32 v18, 0x400, v0
	v_cmp_gt_i32_e64 s[2:3], s8, v18
	s_and_saveexec_b64 s[4:5], s[2:3]
	s_cbranch_execz .LBB278_45
; %bb.44:
	v_lshlrev_b32_e32 v17, 24, v17
	v_and_b32_e32 v20, 0x7f000000, v17
	v_ffbh_u32_e32 v21, v20
	v_min_u32_e32 v21, 32, v21
	v_sub_u32_e64 v21, v21, 4 clamp
	v_lshlrev_b32_e32 v23, v21, v20
	v_lshrrev_b32_e32 v23, 4, v23
	v_lshlrev_b32_e32 v21, 23, v21
	v_add_u32_e32 v22, 0x1000000, v20
	v_sub_u32_e32 v21, v23, v21
	v_ashrrev_i32_e32 v22, 8, v22
	v_add_u32_e32 v21, 0x3c000000, v21
	s_mov_b32 s2, 0x7f800000
	v_and_or_b32 v21, v22, s2, v21
	v_cmp_ne_u32_e64 s[2:3], 0, v20
	v_cndmask_b32_e64 v20, 0, v21, s[2:3]
	s_brev_b32 s2, 1
	v_and_or_b32 v17, v17, s2, v20
	v_cmp_eq_f32_e64 s[2:3], s6, v17
	v_cndmask_b32_e64 v20, 0, 1, s[2:3]
	v_cmp_neq_f32_e64 s[2:3], s6, v17
	v_cndmask_b32_e64 v17, 0, 1, s[2:3]
	v_cndmask_b32_e64 v17, v17, v20, s[0:1]
	v_and_b32_e32 v18, 0xffffff00, v15
	v_and_b32_e32 v17, 1, v17
	v_or_b32_e32 v17, v17, v18
	v_and_b32_e32 v17, 0xffff, v17
	s_mov_b32 s2, 0xffff0000
	v_and_or_b32 v15, v15, s2, v17
.LBB278_45:
	s_or_b64 exec, exec, s[4:5]
	v_or_b32_e32 v17, 0x500, v0
	v_cmp_gt_i32_e64 s[2:3], s8, v17
	s_and_saveexec_b64 s[4:5], s[2:3]
	s_cbranch_execz .LBB278_47
; %bb.46:
	v_lshlrev_b32_e32 v16, 24, v16
	v_and_b32_e32 v17, 0x7f000000, v16
	v_ffbh_u32_e32 v18, v17
	v_min_u32_e32 v18, 32, v18
	v_sub_u32_e64 v18, v18, 4 clamp
	v_lshlrev_b32_e32 v21, v18, v17
	v_lshrrev_b32_e32 v21, 4, v21
	v_lshlrev_b32_e32 v18, 23, v18
	v_add_u32_e32 v20, 0x1000000, v17
	v_sub_u32_e32 v18, v21, v18
	v_ashrrev_i32_e32 v20, 8, v20
	v_add_u32_e32 v18, 0x3c000000, v18
	s_mov_b32 s2, 0x7f800000
	v_and_or_b32 v18, v20, s2, v18
	v_cmp_ne_u32_e64 s[2:3], 0, v17
	v_cndmask_b32_e64 v17, 0, v18, s[2:3]
	s_brev_b32 s2, 1
	v_and_or_b32 v16, v16, s2, v17
	v_cmp_eq_f32_e64 s[2:3], s6, v16
	v_cndmask_b32_e64 v17, 0, 1, s[2:3]
	v_cmp_neq_f32_e64 s[2:3], s6, v16
	v_cndmask_b32_e64 v16, 0, 1, s[2:3]
	v_cndmask_b32_e64 v16, v16, v17, s[0:1]
	v_mov_b32_e32 v17, 1
	v_and_b32_sdwa v16, v16, v17 dst_sel:BYTE_1 dst_unused:UNUSED_PAD src0_sel:DWORD src1_sel:DWORD
	v_or_b32_sdwa v16, v15, v16 dst_sel:DWORD dst_unused:UNUSED_PAD src0_sel:BYTE_0 src1_sel:DWORD
	v_and_b32_e32 v16, 0xffff, v16
	s_mov_b32 s2, 0xffff0000
	v_and_or_b32 v15, v15, s2, v16
.LBB278_47:
	s_or_b64 exec, exec, s[4:5]
	v_or_b32_e32 v16, 0x600, v0
	v_cmp_gt_i32_e64 s[2:3], s8, v16
	s_and_saveexec_b64 s[4:5], s[2:3]
	s_cbranch_execz .LBB278_49
; %bb.48:
	v_lshlrev_b32_e32 v14, 24, v14
	v_and_b32_e32 v17, 0x7f000000, v14
	v_ffbh_u32_e32 v18, v17
	v_min_u32_e32 v18, 32, v18
	v_sub_u32_e64 v18, v18, 4 clamp
	v_lshlrev_b32_e32 v21, v18, v17
	v_lshrrev_b32_e32 v21, 4, v21
	v_lshlrev_b32_e32 v18, 23, v18
	s_movk_i32 s2, 0xff00
	v_add_u32_e32 v20, 0x1000000, v17
	v_sub_u32_e32 v18, v21, v18
	v_and_b32_sdwa v16, v15, s2 dst_sel:DWORD dst_unused:UNUSED_PAD src0_sel:WORD_1 src1_sel:DWORD
	v_ashrrev_i32_e32 v20, 8, v20
	v_add_u32_e32 v18, 0x3c000000, v18
	s_mov_b32 s2, 0x7f800000
	v_and_or_b32 v18, v20, s2, v18
	v_cmp_ne_u32_e64 s[2:3], 0, v17
	v_cndmask_b32_e64 v17, 0, v18, s[2:3]
	s_brev_b32 s2, 1
	v_and_or_b32 v14, v14, s2, v17
	v_cmp_eq_f32_e64 s[2:3], s6, v14
	v_cndmask_b32_e64 v17, 0, 1, s[2:3]
	v_cmp_neq_f32_e64 s[2:3], s6, v14
	v_cndmask_b32_e64 v14, 0, 1, s[2:3]
	v_cndmask_b32_e64 v14, v14, v17, s[0:1]
	v_and_b32_e32 v14, 1, v14
	v_or_b32_sdwa v14, v14, v16 dst_sel:WORD_1 dst_unused:UNUSED_PAD src0_sel:DWORD src1_sel:DWORD
	s_mov_b32 s2, 0xffff
	v_and_or_b32 v15, v15, s2, v14
.LBB278_49:
	s_or_b64 exec, exec, s[4:5]
	v_or_b32_e32 v14, 0x700, v0
	v_cmp_gt_i32_e64 s[2:3], s8, v14
	s_and_saveexec_b64 s[4:5], s[2:3]
	s_cbranch_execz .LBB278_51
; %bb.50:
	v_lshlrev_b32_e32 v13, 24, v13
	v_and_b32_e32 v16, 0x7f000000, v13
	v_ffbh_u32_e32 v17, v16
	v_min_u32_e32 v17, 32, v17
	v_sub_u32_e64 v17, v17, 4 clamp
	v_lshlrev_b32_e32 v20, v17, v16
	v_lshrrev_b32_e32 v20, 4, v20
	v_lshlrev_b32_e32 v17, 23, v17
	s_movk_i32 s2, 0xff
	v_add_u32_e32 v18, 0x1000000, v16
	v_sub_u32_e32 v17, v20, v17
	v_and_b32_sdwa v14, v15, s2 dst_sel:DWORD dst_unused:UNUSED_PAD src0_sel:WORD_1 src1_sel:DWORD
	v_ashrrev_i32_e32 v18, 8, v18
	v_add_u32_e32 v17, 0x3c000000, v17
	s_mov_b32 s2, 0x7f800000
	v_and_or_b32 v17, v18, s2, v17
	v_cmp_ne_u32_e64 s[2:3], 0, v16
	v_cndmask_b32_e64 v16, 0, v17, s[2:3]
	s_brev_b32 s2, 1
	v_and_or_b32 v13, v13, s2, v16
	v_cmp_eq_f32_e64 s[2:3], s6, v13
	v_cndmask_b32_e64 v16, 0, 1, s[2:3]
	v_cmp_neq_f32_e64 s[2:3], s6, v13
	v_cndmask_b32_e64 v13, 0, 1, s[2:3]
	v_cndmask_b32_e64 v13, v13, v16, s[0:1]
	v_mov_b32_e32 v16, 1
	v_and_b32_sdwa v13, v13, v16 dst_sel:BYTE_1 dst_unused:UNUSED_PAD src0_sel:DWORD src1_sel:DWORD
	v_or_b32_sdwa v13, v14, v13 dst_sel:WORD_1 dst_unused:UNUSED_PAD src0_sel:DWORD src1_sel:DWORD
	s_mov_b32 s2, 0xffff
	v_and_or_b32 v15, v15, s2, v13
.LBB278_51:
	s_or_b64 exec, exec, s[4:5]
	v_or_b32_e32 v13, 0x800, v0
	v_cmp_gt_i32_e64 s[2:3], s8, v13
	s_and_saveexec_b64 s[4:5], s[2:3]
	s_cbranch_execz .LBB278_53
; %bb.52:
	v_lshlrev_b32_e32 v12, 24, v12
	v_and_b32_e32 v14, 0x7f000000, v12
	v_ffbh_u32_e32 v16, v14
	v_min_u32_e32 v16, 32, v16
	v_sub_u32_e64 v16, v16, 4 clamp
	v_lshlrev_b32_e32 v18, v16, v14
	v_lshrrev_b32_e32 v18, 4, v18
	v_lshlrev_b32_e32 v16, 23, v16
	v_add_u32_e32 v17, 0x1000000, v14
	v_sub_u32_e32 v16, v18, v16
	v_ashrrev_i32_e32 v17, 8, v17
	v_add_u32_e32 v16, 0x3c000000, v16
	s_mov_b32 s2, 0x7f800000
	v_and_or_b32 v16, v17, s2, v16
	v_cmp_ne_u32_e64 s[2:3], 0, v14
	v_cndmask_b32_e64 v14, 0, v16, s[2:3]
	s_brev_b32 s2, 1
	v_and_or_b32 v12, v12, s2, v14
	v_cmp_eq_f32_e64 s[2:3], s6, v12
	v_cndmask_b32_e64 v14, 0, 1, s[2:3]
	v_cmp_neq_f32_e64 s[2:3], s6, v12
	v_cndmask_b32_e64 v12, 0, 1, s[2:3]
	v_cndmask_b32_e64 v12, v12, v14, s[0:1]
	v_and_b32_e32 v13, 0xffffff00, v2
	v_and_b32_e32 v12, 1, v12
	v_or_b32_e32 v12, v12, v13
	v_and_b32_e32 v12, 0xffff, v12
	s_mov_b32 s2, 0xffff0000
	v_and_or_b32 v2, v2, s2, v12
.LBB278_53:
	s_or_b64 exec, exec, s[4:5]
	v_or_b32_e32 v12, 0x900, v0
	v_cmp_gt_i32_e64 s[2:3], s8, v12
	s_and_saveexec_b64 s[4:5], s[2:3]
	s_cbranch_execz .LBB278_55
; %bb.54:
	v_lshlrev_b32_e32 v11, 24, v11
	v_and_b32_e32 v12, 0x7f000000, v11
	v_ffbh_u32_e32 v13, v12
	v_min_u32_e32 v13, 32, v13
	v_sub_u32_e64 v13, v13, 4 clamp
	v_lshlrev_b32_e32 v16, v13, v12
	v_lshrrev_b32_e32 v16, 4, v16
	v_lshlrev_b32_e32 v13, 23, v13
	v_add_u32_e32 v14, 0x1000000, v12
	v_sub_u32_e32 v13, v16, v13
	v_ashrrev_i32_e32 v14, 8, v14
	v_add_u32_e32 v13, 0x3c000000, v13
	s_mov_b32 s2, 0x7f800000
	v_and_or_b32 v13, v14, s2, v13
	v_cmp_ne_u32_e64 s[2:3], 0, v12
	v_cndmask_b32_e64 v12, 0, v13, s[2:3]
	s_brev_b32 s2, 1
	v_and_or_b32 v11, v11, s2, v12
	v_cmp_eq_f32_e64 s[2:3], s6, v11
	v_cndmask_b32_e64 v12, 0, 1, s[2:3]
	v_cmp_neq_f32_e64 s[2:3], s6, v11
	v_cndmask_b32_e64 v11, 0, 1, s[2:3]
	v_cndmask_b32_e64 v11, v11, v12, s[0:1]
	v_mov_b32_e32 v12, 1
	v_and_b32_sdwa v11, v11, v12 dst_sel:BYTE_1 dst_unused:UNUSED_PAD src0_sel:DWORD src1_sel:DWORD
	v_or_b32_sdwa v11, v2, v11 dst_sel:DWORD dst_unused:UNUSED_PAD src0_sel:BYTE_0 src1_sel:DWORD
	v_and_b32_e32 v11, 0xffff, v11
	s_mov_b32 s2, 0xffff0000
	v_and_or_b32 v2, v2, s2, v11
.LBB278_55:
	s_or_b64 exec, exec, s[4:5]
	v_or_b32_e32 v11, 0xa00, v0
	v_cmp_gt_i32_e64 s[2:3], s8, v11
	s_and_saveexec_b64 s[4:5], s[2:3]
	s_cbranch_execz .LBB278_57
; %bb.56:
	v_lshlrev_b32_e32 v10, 24, v10
	v_and_b32_e32 v12, 0x7f000000, v10
	v_ffbh_u32_e32 v13, v12
	v_min_u32_e32 v13, 32, v13
	v_sub_u32_e64 v13, v13, 4 clamp
	v_lshlrev_b32_e32 v16, v13, v12
	v_lshrrev_b32_e32 v16, 4, v16
	v_lshlrev_b32_e32 v13, 23, v13
	s_movk_i32 s2, 0xff00
	v_add_u32_e32 v14, 0x1000000, v12
	v_sub_u32_e32 v13, v16, v13
	v_and_b32_sdwa v11, v2, s2 dst_sel:DWORD dst_unused:UNUSED_PAD src0_sel:WORD_1 src1_sel:DWORD
	v_ashrrev_i32_e32 v14, 8, v14
	v_add_u32_e32 v13, 0x3c000000, v13
	s_mov_b32 s2, 0x7f800000
	v_and_or_b32 v13, v14, s2, v13
	v_cmp_ne_u32_e64 s[2:3], 0, v12
	v_cndmask_b32_e64 v12, 0, v13, s[2:3]
	s_brev_b32 s2, 1
	v_and_or_b32 v10, v10, s2, v12
	v_cmp_eq_f32_e64 s[2:3], s6, v10
	v_cndmask_b32_e64 v12, 0, 1, s[2:3]
	v_cmp_neq_f32_e64 s[2:3], s6, v10
	v_cndmask_b32_e64 v10, 0, 1, s[2:3]
	v_cndmask_b32_e64 v10, v10, v12, s[0:1]
	v_and_b32_e32 v10, 1, v10
	v_or_b32_sdwa v10, v10, v11 dst_sel:WORD_1 dst_unused:UNUSED_PAD src0_sel:DWORD src1_sel:DWORD
	s_mov_b32 s2, 0xffff
	v_and_or_b32 v2, v2, s2, v10
.LBB278_57:
	s_or_b64 exec, exec, s[4:5]
	v_or_b32_e32 v10, 0xb00, v0
	v_cmp_gt_i32_e64 s[2:3], s8, v10
	s_and_saveexec_b64 s[4:5], s[2:3]
	s_cbranch_execz .LBB278_59
; %bb.58:
	v_lshlrev_b32_e32 v9, 24, v9
	v_and_b32_e32 v11, 0x7f000000, v9
	v_ffbh_u32_e32 v12, v11
	v_min_u32_e32 v12, 32, v12
	v_sub_u32_e64 v12, v12, 4 clamp
	v_lshlrev_b32_e32 v14, v12, v11
	v_lshrrev_b32_e32 v14, 4, v14
	v_lshlrev_b32_e32 v12, 23, v12
	s_movk_i32 s2, 0xff
	v_add_u32_e32 v13, 0x1000000, v11
	v_sub_u32_e32 v12, v14, v12
	v_and_b32_sdwa v10, v2, s2 dst_sel:DWORD dst_unused:UNUSED_PAD src0_sel:WORD_1 src1_sel:DWORD
	v_ashrrev_i32_e32 v13, 8, v13
	v_add_u32_e32 v12, 0x3c000000, v12
	s_mov_b32 s2, 0x7f800000
	v_and_or_b32 v12, v13, s2, v12
	v_cmp_ne_u32_e64 s[2:3], 0, v11
	v_cndmask_b32_e64 v11, 0, v12, s[2:3]
	s_brev_b32 s2, 1
	v_and_or_b32 v9, v9, s2, v11
	v_cmp_eq_f32_e64 s[2:3], s6, v9
	v_cndmask_b32_e64 v11, 0, 1, s[2:3]
	v_cmp_neq_f32_e64 s[2:3], s6, v9
	v_cndmask_b32_e64 v9, 0, 1, s[2:3]
	v_cndmask_b32_e64 v9, v9, v11, s[0:1]
	v_mov_b32_e32 v11, 1
	v_and_b32_sdwa v9, v9, v11 dst_sel:BYTE_1 dst_unused:UNUSED_PAD src0_sel:DWORD src1_sel:DWORD
	v_or_b32_sdwa v9, v10, v9 dst_sel:WORD_1 dst_unused:UNUSED_PAD src0_sel:DWORD src1_sel:DWORD
	s_mov_b32 s2, 0xffff
	v_and_or_b32 v2, v2, s2, v9
.LBB278_59:
	s_or_b64 exec, exec, s[4:5]
	v_or_b32_e32 v9, 0xc00, v0
	v_cmp_gt_i32_e64 s[2:3], s8, v9
	s_and_saveexec_b64 s[4:5], s[2:3]
	s_cbranch_execz .LBB278_61
; %bb.60:
	v_lshlrev_b32_e32 v8, 24, v8
	v_and_b32_e32 v10, 0x7f000000, v8
	v_ffbh_u32_e32 v11, v10
	v_min_u32_e32 v11, 32, v11
	v_sub_u32_e64 v11, v11, 4 clamp
	v_lshlrev_b32_e32 v13, v11, v10
	v_lshrrev_b32_e32 v13, 4, v13
	v_lshlrev_b32_e32 v11, 23, v11
	v_add_u32_e32 v12, 0x1000000, v10
	v_sub_u32_e32 v11, v13, v11
	v_ashrrev_i32_e32 v12, 8, v12
	v_add_u32_e32 v11, 0x3c000000, v11
	s_mov_b32 s2, 0x7f800000
	v_and_or_b32 v11, v12, s2, v11
	v_cmp_ne_u32_e64 s[2:3], 0, v10
	v_cndmask_b32_e64 v10, 0, v11, s[2:3]
	s_brev_b32 s2, 1
	v_and_or_b32 v8, v8, s2, v10
	v_cmp_eq_f32_e64 s[2:3], s6, v8
	v_cndmask_b32_e64 v10, 0, 1, s[2:3]
	v_cmp_neq_f32_e64 s[2:3], s6, v8
	v_cndmask_b32_e64 v8, 0, 1, s[2:3]
	v_cndmask_b32_e64 v8, v8, v10, s[0:1]
	v_and_b32_e32 v9, 0xffffff00, v1
	v_and_b32_e32 v8, 1, v8
	v_or_b32_e32 v8, v8, v9
	v_and_b32_e32 v8, 0xffff, v8
	s_mov_b32 s2, 0xffff0000
	v_and_or_b32 v1, v1, s2, v8
.LBB278_61:
	s_or_b64 exec, exec, s[4:5]
	v_or_b32_e32 v8, 0xd00, v0
	v_cmp_gt_i32_e64 s[2:3], s8, v8
	s_and_saveexec_b64 s[4:5], s[2:3]
	s_cbranch_execz .LBB278_63
; %bb.62:
	v_lshlrev_b32_e32 v7, 24, v7
	v_and_b32_e32 v8, 0x7f000000, v7
	v_ffbh_u32_e32 v9, v8
	v_min_u32_e32 v9, 32, v9
	v_sub_u32_e64 v9, v9, 4 clamp
	v_lshlrev_b32_e32 v11, v9, v8
	v_lshrrev_b32_e32 v11, 4, v11
	v_lshlrev_b32_e32 v9, 23, v9
	v_add_u32_e32 v10, 0x1000000, v8
	v_sub_u32_e32 v9, v11, v9
	v_ashrrev_i32_e32 v10, 8, v10
	v_add_u32_e32 v9, 0x3c000000, v9
	s_mov_b32 s2, 0x7f800000
	v_and_or_b32 v9, v10, s2, v9
	v_cmp_ne_u32_e64 s[2:3], 0, v8
	v_cndmask_b32_e64 v8, 0, v9, s[2:3]
	s_brev_b32 s2, 1
	v_and_or_b32 v7, v7, s2, v8
	v_cmp_eq_f32_e64 s[2:3], s6, v7
	v_cndmask_b32_e64 v8, 0, 1, s[2:3]
	v_cmp_neq_f32_e64 s[2:3], s6, v7
	v_cndmask_b32_e64 v7, 0, 1, s[2:3]
	v_cndmask_b32_e64 v7, v7, v8, s[0:1]
	v_mov_b32_e32 v8, 1
	v_and_b32_sdwa v7, v7, v8 dst_sel:BYTE_1 dst_unused:UNUSED_PAD src0_sel:DWORD src1_sel:DWORD
	v_or_b32_sdwa v7, v1, v7 dst_sel:DWORD dst_unused:UNUSED_PAD src0_sel:BYTE_0 src1_sel:DWORD
	v_and_b32_e32 v7, 0xffff, v7
	s_mov_b32 s2, 0xffff0000
	v_and_or_b32 v1, v1, s2, v7
.LBB278_63:
	s_or_b64 exec, exec, s[4:5]
	v_or_b32_e32 v7, 0xe00, v0
	v_cmp_gt_i32_e64 s[2:3], s8, v7
	s_and_saveexec_b64 s[4:5], s[2:3]
	s_cbranch_execz .LBB278_65
; %bb.64:
	v_lshlrev_b32_e32 v6, 24, v6
	v_and_b32_e32 v8, 0x7f000000, v6
	v_ffbh_u32_e32 v9, v8
	v_min_u32_e32 v9, 32, v9
	v_sub_u32_e64 v9, v9, 4 clamp
	v_lshlrev_b32_e32 v11, v9, v8
	v_lshrrev_b32_e32 v11, 4, v11
	v_lshlrev_b32_e32 v9, 23, v9
	s_movk_i32 s2, 0xff00
	v_add_u32_e32 v10, 0x1000000, v8
	v_sub_u32_e32 v9, v11, v9
	v_and_b32_sdwa v7, v1, s2 dst_sel:DWORD dst_unused:UNUSED_PAD src0_sel:WORD_1 src1_sel:DWORD
	v_ashrrev_i32_e32 v10, 8, v10
	v_add_u32_e32 v9, 0x3c000000, v9
	s_mov_b32 s2, 0x7f800000
	v_and_or_b32 v9, v10, s2, v9
	v_cmp_ne_u32_e64 s[2:3], 0, v8
	v_cndmask_b32_e64 v8, 0, v9, s[2:3]
	s_brev_b32 s2, 1
	v_and_or_b32 v6, v6, s2, v8
	v_cmp_eq_f32_e64 s[2:3], s6, v6
	v_cndmask_b32_e64 v8, 0, 1, s[2:3]
	v_cmp_neq_f32_e64 s[2:3], s6, v6
	v_cndmask_b32_e64 v6, 0, 1, s[2:3]
	v_cndmask_b32_e64 v6, v6, v8, s[0:1]
	v_and_b32_e32 v6, 1, v6
	v_or_b32_sdwa v6, v6, v7 dst_sel:WORD_1 dst_unused:UNUSED_PAD src0_sel:DWORD src1_sel:DWORD
	s_mov_b32 s2, 0xffff
	v_and_or_b32 v1, v1, s2, v6
.LBB278_65:
	s_or_b64 exec, exec, s[4:5]
	v_or_b32_e32 v6, 0xf00, v0
	v_cmp_gt_i32_e64 s[2:3], s8, v6
	s_and_saveexec_b64 s[4:5], s[2:3]
	s_cbranch_execnz .LBB278_84
; %bb.66:
	s_or_b64 exec, exec, s[4:5]
	s_and_saveexec_b64 s[0:1], vcc
	s_xor_b64 s[0:1], exec, s[0:1]
	s_cbranch_execnz .LBB278_85
.LBB278_67:
	s_or_b64 exec, exec, s[0:1]
	v_cmp_gt_i32_e32 vcc, s8, v0
	s_and_saveexec_b64 s[0:1], vcc
	s_cbranch_execnz .LBB278_86
.LBB278_68:
	s_or_b64 exec, exec, s[0:1]
	v_cmp_gt_i32_e32 vcc, s8, v0
	s_and_saveexec_b64 s[0:1], vcc
	s_cbranch_execnz .LBB278_87
.LBB278_69:
	s_or_b64 exec, exec, s[0:1]
	v_cmp_gt_i32_e32 vcc, s8, v0
	s_and_saveexec_b64 s[0:1], vcc
	s_cbranch_execnz .LBB278_88
.LBB278_70:
	s_or_b64 exec, exec, s[0:1]
	v_cmp_gt_i32_e32 vcc, s8, v0
	s_and_saveexec_b64 s[0:1], vcc
	s_cbranch_execnz .LBB278_89
.LBB278_71:
	s_or_b64 exec, exec, s[0:1]
	v_cmp_gt_i32_e32 vcc, s8, v0
	s_and_saveexec_b64 s[0:1], vcc
	s_cbranch_execnz .LBB278_90
.LBB278_72:
	s_or_b64 exec, exec, s[0:1]
	v_cmp_gt_i32_e32 vcc, s8, v0
	s_and_saveexec_b64 s[0:1], vcc
	s_cbranch_execnz .LBB278_91
.LBB278_73:
	s_or_b64 exec, exec, s[0:1]
	v_cmp_gt_i32_e32 vcc, s8, v0
	s_and_saveexec_b64 s[0:1], vcc
	s_cbranch_execnz .LBB278_92
.LBB278_74:
	s_or_b64 exec, exec, s[0:1]
	v_cmp_gt_i32_e32 vcc, s8, v0
	s_and_saveexec_b64 s[0:1], vcc
	s_cbranch_execnz .LBB278_93
.LBB278_75:
	s_or_b64 exec, exec, s[0:1]
	v_cmp_gt_i32_e32 vcc, s8, v0
	s_and_saveexec_b64 s[0:1], vcc
	s_cbranch_execnz .LBB278_94
.LBB278_76:
	s_or_b64 exec, exec, s[0:1]
	v_cmp_gt_i32_e32 vcc, s8, v0
	s_and_saveexec_b64 s[0:1], vcc
	s_cbranch_execnz .LBB278_95
.LBB278_77:
	s_or_b64 exec, exec, s[0:1]
	v_cmp_gt_i32_e32 vcc, s8, v0
	s_and_saveexec_b64 s[0:1], vcc
	s_cbranch_execnz .LBB278_96
.LBB278_78:
	s_or_b64 exec, exec, s[0:1]
	v_cmp_gt_i32_e32 vcc, s8, v0
	s_and_saveexec_b64 s[0:1], vcc
	s_cbranch_execnz .LBB278_97
.LBB278_79:
	s_or_b64 exec, exec, s[0:1]
	v_cmp_gt_i32_e32 vcc, s8, v0
	s_and_saveexec_b64 s[0:1], vcc
	s_cbranch_execnz .LBB278_98
.LBB278_80:
	s_or_b64 exec, exec, s[0:1]
	v_cmp_gt_i32_e32 vcc, s8, v0
	s_and_saveexec_b64 s[0:1], vcc
	s_cbranch_execnz .LBB278_99
.LBB278_81:
	s_or_b64 exec, exec, s[0:1]
	v_cmp_gt_i32_e32 vcc, s8, v0
	s_and_saveexec_b64 s[0:1], vcc
	s_cbranch_execz .LBB278_83
.LBB278_82:
	v_lshrrev_b32_e32 v1, 24, v1
	v_add_u32_e32 v0, s11, v0
	global_store_byte v0, v1, s[12:13]
.LBB278_83:
	s_endpgm
.LBB278_84:
	v_and_b32_e32 v7, 0x7f000000, v5
	v_ffbh_u32_e32 v8, v7
	v_min_u32_e32 v8, 32, v8
	v_sub_u32_e64 v8, v8, 4 clamp
	v_lshlrev_b32_e32 v10, v8, v7
	v_lshrrev_b32_e32 v10, 4, v10
	v_lshlrev_b32_e32 v8, 23, v8
	s_movk_i32 s2, 0xff
	v_add_u32_e32 v9, 0x1000000, v7
	v_sub_u32_e32 v8, v10, v8
	v_and_b32_sdwa v6, v1, s2 dst_sel:DWORD dst_unused:UNUSED_PAD src0_sel:WORD_1 src1_sel:DWORD
	v_ashrrev_i32_e32 v9, 8, v9
	v_add_u32_e32 v8, 0x3c000000, v8
	s_mov_b32 s2, 0x7f800000
	v_and_or_b32 v8, v9, s2, v8
	v_cmp_ne_u32_e64 s[2:3], 0, v7
	v_cndmask_b32_e64 v7, 0, v8, s[2:3]
	s_brev_b32 s2, 1
	v_and_or_b32 v5, v5, s2, v7
	v_cmp_eq_f32_e64 s[2:3], s6, v5
	v_cndmask_b32_e64 v7, 0, 1, s[2:3]
	v_cmp_neq_f32_e64 s[2:3], s6, v5
	v_cndmask_b32_e64 v5, 0, 1, s[2:3]
	v_cndmask_b32_e64 v5, v5, v7, s[0:1]
	v_mov_b32_e32 v7, 1
	v_and_b32_sdwa v5, v5, v7 dst_sel:BYTE_1 dst_unused:UNUSED_PAD src0_sel:DWORD src1_sel:DWORD
	v_or_b32_sdwa v5, v6, v5 dst_sel:WORD_1 dst_unused:UNUSED_PAD src0_sel:DWORD src1_sel:DWORD
	s_mov_b32 s0, 0xffff
	v_and_or_b32 v1, v1, s0, v5
	s_or_b64 exec, exec, s[4:5]
	s_and_saveexec_b64 s[0:1], vcc
	s_xor_b64 s[0:1], exec, s[0:1]
	s_cbranch_execz .LBB278_67
.LBB278_85:
	v_mov_b32_e32 v0, v19
	global_store_byte v4, v3, s[12:13]
	s_or_b64 exec, exec, s[0:1]
	v_cmp_gt_i32_e32 vcc, s8, v0
	s_and_saveexec_b64 s[0:1], vcc
	s_cbranch_execz .LBB278_68
.LBB278_86:
	v_lshrrev_b32_e32 v4, 8, v3
	v_add_u32_e32 v5, s11, v0
	v_add_u32_e32 v0, 0x100, v0
	global_store_byte v5, v4, s[12:13]
	s_or_b64 exec, exec, s[0:1]
	v_cmp_gt_i32_e32 vcc, s8, v0
	s_and_saveexec_b64 s[0:1], vcc
	s_cbranch_execz .LBB278_69
.LBB278_87:
	v_add_u32_e32 v4, s11, v0
	v_add_u32_e32 v0, 0x100, v0
	global_store_byte_d16_hi v4, v3, s[12:13]
	s_or_b64 exec, exec, s[0:1]
	v_cmp_gt_i32_e32 vcc, s8, v0
	s_and_saveexec_b64 s[0:1], vcc
	s_cbranch_execz .LBB278_70
.LBB278_88:
	v_lshrrev_b32_e32 v3, 24, v3
	v_add_u32_e32 v4, s11, v0
	v_add_u32_e32 v0, 0x100, v0
	global_store_byte v4, v3, s[12:13]
	s_or_b64 exec, exec, s[0:1]
	v_cmp_gt_i32_e32 vcc, s8, v0
	s_and_saveexec_b64 s[0:1], vcc
	s_cbranch_execz .LBB278_71
.LBB278_89:
	v_add_u32_e32 v3, s11, v0
	v_add_u32_e32 v0, 0x100, v0
	global_store_byte v3, v15, s[12:13]
	s_or_b64 exec, exec, s[0:1]
	v_cmp_gt_i32_e32 vcc, s8, v0
	s_and_saveexec_b64 s[0:1], vcc
	s_cbranch_execz .LBB278_72
.LBB278_90:
	v_lshrrev_b32_e32 v3, 8, v15
	v_add_u32_e32 v4, s11, v0
	v_add_u32_e32 v0, 0x100, v0
	global_store_byte v4, v3, s[12:13]
	s_or_b64 exec, exec, s[0:1]
	v_cmp_gt_i32_e32 vcc, s8, v0
	s_and_saveexec_b64 s[0:1], vcc
	s_cbranch_execz .LBB278_73
.LBB278_91:
	v_add_u32_e32 v3, s11, v0
	v_add_u32_e32 v0, 0x100, v0
	global_store_byte_d16_hi v3, v15, s[12:13]
	s_or_b64 exec, exec, s[0:1]
	v_cmp_gt_i32_e32 vcc, s8, v0
	s_and_saveexec_b64 s[0:1], vcc
	s_cbranch_execz .LBB278_74
.LBB278_92:
	v_lshrrev_b32_e32 v3, 24, v15
	v_add_u32_e32 v4, s11, v0
	v_add_u32_e32 v0, 0x100, v0
	global_store_byte v4, v3, s[12:13]
	s_or_b64 exec, exec, s[0:1]
	v_cmp_gt_i32_e32 vcc, s8, v0
	s_and_saveexec_b64 s[0:1], vcc
	s_cbranch_execz .LBB278_75
.LBB278_93:
	v_add_u32_e32 v3, s11, v0
	v_add_u32_e32 v0, 0x100, v0
	global_store_byte v3, v2, s[12:13]
	s_or_b64 exec, exec, s[0:1]
	v_cmp_gt_i32_e32 vcc, s8, v0
	s_and_saveexec_b64 s[0:1], vcc
	s_cbranch_execz .LBB278_76
.LBB278_94:
	v_lshrrev_b32_e32 v3, 8, v2
	v_add_u32_e32 v4, s11, v0
	v_add_u32_e32 v0, 0x100, v0
	global_store_byte v4, v3, s[12:13]
	s_or_b64 exec, exec, s[0:1]
	v_cmp_gt_i32_e32 vcc, s8, v0
	s_and_saveexec_b64 s[0:1], vcc
	s_cbranch_execz .LBB278_77
.LBB278_95:
	v_add_u32_e32 v3, s11, v0
	v_add_u32_e32 v0, 0x100, v0
	global_store_byte_d16_hi v3, v2, s[12:13]
	s_or_b64 exec, exec, s[0:1]
	v_cmp_gt_i32_e32 vcc, s8, v0
	s_and_saveexec_b64 s[0:1], vcc
	s_cbranch_execz .LBB278_78
.LBB278_96:
	v_lshrrev_b32_e32 v2, 24, v2
	v_add_u32_e32 v3, s11, v0
	v_add_u32_e32 v0, 0x100, v0
	global_store_byte v3, v2, s[12:13]
	s_or_b64 exec, exec, s[0:1]
	v_cmp_gt_i32_e32 vcc, s8, v0
	s_and_saveexec_b64 s[0:1], vcc
	s_cbranch_execz .LBB278_79
.LBB278_97:
	v_add_u32_e32 v2, s11, v0
	v_add_u32_e32 v0, 0x100, v0
	global_store_byte v2, v1, s[12:13]
	s_or_b64 exec, exec, s[0:1]
	v_cmp_gt_i32_e32 vcc, s8, v0
	s_and_saveexec_b64 s[0:1], vcc
	s_cbranch_execz .LBB278_80
.LBB278_98:
	v_lshrrev_b32_e32 v2, 8, v1
	v_add_u32_e32 v3, s11, v0
	v_add_u32_e32 v0, 0x100, v0
	global_store_byte v3, v2, s[12:13]
	s_or_b64 exec, exec, s[0:1]
	v_cmp_gt_i32_e32 vcc, s8, v0
	s_and_saveexec_b64 s[0:1], vcc
	s_cbranch_execz .LBB278_81
.LBB278_99:
	v_add_u32_e32 v2, s11, v0
	v_add_u32_e32 v0, 0x100, v0
	global_store_byte_d16_hi v2, v1, s[12:13]
	s_or_b64 exec, exec, s[0:1]
	v_cmp_gt_i32_e32 vcc, s8, v0
	s_and_saveexec_b64 s[0:1], vcc
	s_cbranch_execnz .LBB278_82
	s_branch .LBB278_83
	.section	.rodata,"a",@progbits
	.p2align	6, 0x0
	.amdhsa_kernel _ZN2at6native29vectorized_elementwise_kernelILi8ENS0_13AUnaryFunctorIN3c1013Float8_e4m3fnES4_bNS0_12_GLOBAL__N_116CompareEqFunctorIS4_EEEESt5arrayIPcLm2EEEEviT0_T1_
		.amdhsa_group_segment_fixed_size 0
		.amdhsa_private_segment_fixed_size 0
		.amdhsa_kernarg_size 32
		.amdhsa_user_sgpr_count 6
		.amdhsa_user_sgpr_private_segment_buffer 1
		.amdhsa_user_sgpr_dispatch_ptr 0
		.amdhsa_user_sgpr_queue_ptr 0
		.amdhsa_user_sgpr_kernarg_segment_ptr 1
		.amdhsa_user_sgpr_dispatch_id 0
		.amdhsa_user_sgpr_flat_scratch_init 0
		.amdhsa_user_sgpr_private_segment_size 0
		.amdhsa_uses_dynamic_stack 0
		.amdhsa_system_sgpr_private_segment_wavefront_offset 0
		.amdhsa_system_sgpr_workgroup_id_x 1
		.amdhsa_system_sgpr_workgroup_id_y 0
		.amdhsa_system_sgpr_workgroup_id_z 0
		.amdhsa_system_sgpr_workgroup_info 0
		.amdhsa_system_vgpr_workitem_id 0
		.amdhsa_next_free_vgpr 26
		.amdhsa_next_free_sgpr 42
		.amdhsa_reserve_vcc 1
		.amdhsa_reserve_flat_scratch 0
		.amdhsa_float_round_mode_32 0
		.amdhsa_float_round_mode_16_64 0
		.amdhsa_float_denorm_mode_32 3
		.amdhsa_float_denorm_mode_16_64 3
		.amdhsa_dx10_clamp 1
		.amdhsa_ieee_mode 1
		.amdhsa_fp16_overflow 0
		.amdhsa_exception_fp_ieee_invalid_op 0
		.amdhsa_exception_fp_denorm_src 0
		.amdhsa_exception_fp_ieee_div_zero 0
		.amdhsa_exception_fp_ieee_overflow 0
		.amdhsa_exception_fp_ieee_underflow 0
		.amdhsa_exception_fp_ieee_inexact 0
		.amdhsa_exception_int_div_zero 0
	.end_amdhsa_kernel
	.section	.text._ZN2at6native29vectorized_elementwise_kernelILi8ENS0_13AUnaryFunctorIN3c1013Float8_e4m3fnES4_bNS0_12_GLOBAL__N_116CompareEqFunctorIS4_EEEESt5arrayIPcLm2EEEEviT0_T1_,"axG",@progbits,_ZN2at6native29vectorized_elementwise_kernelILi8ENS0_13AUnaryFunctorIN3c1013Float8_e4m3fnES4_bNS0_12_GLOBAL__N_116CompareEqFunctorIS4_EEEESt5arrayIPcLm2EEEEviT0_T1_,comdat
.Lfunc_end278:
	.size	_ZN2at6native29vectorized_elementwise_kernelILi8ENS0_13AUnaryFunctorIN3c1013Float8_e4m3fnES4_bNS0_12_GLOBAL__N_116CompareEqFunctorIS4_EEEESt5arrayIPcLm2EEEEviT0_T1_, .Lfunc_end278-_ZN2at6native29vectorized_elementwise_kernelILi8ENS0_13AUnaryFunctorIN3c1013Float8_e4m3fnES4_bNS0_12_GLOBAL__N_116CompareEqFunctorIS4_EEEESt5arrayIPcLm2EEEEviT0_T1_
                                        ; -- End function
	.set _ZN2at6native29vectorized_elementwise_kernelILi8ENS0_13AUnaryFunctorIN3c1013Float8_e4m3fnES4_bNS0_12_GLOBAL__N_116CompareEqFunctorIS4_EEEESt5arrayIPcLm2EEEEviT0_T1_.num_vgpr, 26
	.set _ZN2at6native29vectorized_elementwise_kernelILi8ENS0_13AUnaryFunctorIN3c1013Float8_e4m3fnES4_bNS0_12_GLOBAL__N_116CompareEqFunctorIS4_EEEESt5arrayIPcLm2EEEEviT0_T1_.num_agpr, 0
	.set _ZN2at6native29vectorized_elementwise_kernelILi8ENS0_13AUnaryFunctorIN3c1013Float8_e4m3fnES4_bNS0_12_GLOBAL__N_116CompareEqFunctorIS4_EEEESt5arrayIPcLm2EEEEviT0_T1_.numbered_sgpr, 42
	.set _ZN2at6native29vectorized_elementwise_kernelILi8ENS0_13AUnaryFunctorIN3c1013Float8_e4m3fnES4_bNS0_12_GLOBAL__N_116CompareEqFunctorIS4_EEEESt5arrayIPcLm2EEEEviT0_T1_.num_named_barrier, 0
	.set _ZN2at6native29vectorized_elementwise_kernelILi8ENS0_13AUnaryFunctorIN3c1013Float8_e4m3fnES4_bNS0_12_GLOBAL__N_116CompareEqFunctorIS4_EEEESt5arrayIPcLm2EEEEviT0_T1_.private_seg_size, 0
	.set _ZN2at6native29vectorized_elementwise_kernelILi8ENS0_13AUnaryFunctorIN3c1013Float8_e4m3fnES4_bNS0_12_GLOBAL__N_116CompareEqFunctorIS4_EEEESt5arrayIPcLm2EEEEviT0_T1_.uses_vcc, 1
	.set _ZN2at6native29vectorized_elementwise_kernelILi8ENS0_13AUnaryFunctorIN3c1013Float8_e4m3fnES4_bNS0_12_GLOBAL__N_116CompareEqFunctorIS4_EEEESt5arrayIPcLm2EEEEviT0_T1_.uses_flat_scratch, 0
	.set _ZN2at6native29vectorized_elementwise_kernelILi8ENS0_13AUnaryFunctorIN3c1013Float8_e4m3fnES4_bNS0_12_GLOBAL__N_116CompareEqFunctorIS4_EEEESt5arrayIPcLm2EEEEviT0_T1_.has_dyn_sized_stack, 0
	.set _ZN2at6native29vectorized_elementwise_kernelILi8ENS0_13AUnaryFunctorIN3c1013Float8_e4m3fnES4_bNS0_12_GLOBAL__N_116CompareEqFunctorIS4_EEEESt5arrayIPcLm2EEEEviT0_T1_.has_recursion, 0
	.set _ZN2at6native29vectorized_elementwise_kernelILi8ENS0_13AUnaryFunctorIN3c1013Float8_e4m3fnES4_bNS0_12_GLOBAL__N_116CompareEqFunctorIS4_EEEESt5arrayIPcLm2EEEEviT0_T1_.has_indirect_call, 0
	.section	.AMDGPU.csdata,"",@progbits
; Kernel info:
; codeLenInByte = 8100
; TotalNumSgprs: 46
; NumVgprs: 26
; ScratchSize: 0
; MemoryBound: 0
; FloatMode: 240
; IeeeMode: 1
; LDSByteSize: 0 bytes/workgroup (compile time only)
; SGPRBlocks: 5
; VGPRBlocks: 6
; NumSGPRsForWavesPerEU: 46
; NumVGPRsForWavesPerEU: 26
; Occupancy: 9
; WaveLimiterHint : 1
; COMPUTE_PGM_RSRC2:SCRATCH_EN: 0
; COMPUTE_PGM_RSRC2:USER_SGPR: 6
; COMPUTE_PGM_RSRC2:TRAP_HANDLER: 0
; COMPUTE_PGM_RSRC2:TGID_X_EN: 1
; COMPUTE_PGM_RSRC2:TGID_Y_EN: 0
; COMPUTE_PGM_RSRC2:TGID_Z_EN: 0
; COMPUTE_PGM_RSRC2:TIDIG_COMP_CNT: 0
	.section	.text._ZN2at6native29vectorized_elementwise_kernelILi4ENS0_13AUnaryFunctorIN3c1013Float8_e4m3fnES4_bNS0_12_GLOBAL__N_116CompareEqFunctorIS4_EEEESt5arrayIPcLm2EEEEviT0_T1_,"axG",@progbits,_ZN2at6native29vectorized_elementwise_kernelILi4ENS0_13AUnaryFunctorIN3c1013Float8_e4m3fnES4_bNS0_12_GLOBAL__N_116CompareEqFunctorIS4_EEEESt5arrayIPcLm2EEEEviT0_T1_,comdat
	.globl	_ZN2at6native29vectorized_elementwise_kernelILi4ENS0_13AUnaryFunctorIN3c1013Float8_e4m3fnES4_bNS0_12_GLOBAL__N_116CompareEqFunctorIS4_EEEESt5arrayIPcLm2EEEEviT0_T1_ ; -- Begin function _ZN2at6native29vectorized_elementwise_kernelILi4ENS0_13AUnaryFunctorIN3c1013Float8_e4m3fnES4_bNS0_12_GLOBAL__N_116CompareEqFunctorIS4_EEEESt5arrayIPcLm2EEEEviT0_T1_
	.p2align	8
	.type	_ZN2at6native29vectorized_elementwise_kernelILi4ENS0_13AUnaryFunctorIN3c1013Float8_e4m3fnES4_bNS0_12_GLOBAL__N_116CompareEqFunctorIS4_EEEESt5arrayIPcLm2EEEEviT0_T1_,@function
_ZN2at6native29vectorized_elementwise_kernelILi4ENS0_13AUnaryFunctorIN3c1013Float8_e4m3fnES4_bNS0_12_GLOBAL__N_116CompareEqFunctorIS4_EEEESt5arrayIPcLm2EEEEviT0_T1_: ; @_ZN2at6native29vectorized_elementwise_kernelILi4ENS0_13AUnaryFunctorIN3c1013Float8_e4m3fnES4_bNS0_12_GLOBAL__N_116CompareEqFunctorIS4_EEEESt5arrayIPcLm2EEEEviT0_T1_
; %bb.0:
	s_load_dwordx8 s[8:15], s[4:5], 0x0
	s_waitcnt lgkmcnt(0)
	s_lshl_b32 s11, s6, 12
	s_mov_b64 s[0:1], -1
	s_sub_i32 s8, s8, s11
	s_cmpk_gt_i32 s8, 0xfff
	s_cbranch_scc0 .LBB279_2
; %bb.1:
	s_ashr_i32 s2, s11, 31
	s_add_u32 s0, s14, s11
	s_addc_u32 s1, s15, s2
	v_lshlrev_b32_e32 v1, 2, v0
	global_load_dword v2, v1, s[0:1]
	global_load_dword v4, v1, s[0:1] offset:1024
	global_load_dword v5, v1, s[0:1] offset:2048
	;; [unrolled: 1-line block ×3, first 2 shown]
	s_cmp_eq_u32 s9, 0
	s_cselect_b64 vcc, -1, 0
	s_lshl_b32 s0, s10, 24
	s_and_b32 s1, s0, 0x80000000
	s_and_b32 s0, s0, 0x7f000000
	s_flbit_i32_b32 s5, s0
	s_add_i32 s6, s0, 0x1000000
	s_min_u32 s5, s5, 32
	s_ashr_i32 s6, s6, 8
	v_sub_u32_e64 v7, s5, 4 clamp
	s_and_b32 s5, s6, 0x7f800000
	v_readfirstlane_b32 s6, v7
	s_lshl_b32 s7, s0, s6
	s_lshl_b32 s6, s6, 23
	s_lshr_b32 s7, s7, 4
	s_sub_i32 s6, s7, s6
	s_add_i32 s6, s6, 0x3c000000
	s_or_b32 s5, s6, s5
	s_cmp_lg_u32 s0, 0
	s_mov_b32 s4, 0x7f800000
	s_cselect_b32 s0, s5, 0
	s_or_b32 s5, s0, s1
	s_brev_b32 s3, 1
	v_mov_b32_e32 v3, 1
	s_waitcnt vmcnt(3)
	v_lshlrev_b32_e32 v7, 24, v2
	v_lshlrev_b32_e32 v8, 16, v2
	v_and_b32_e32 v10, 0x7f000000, v7
	v_lshlrev_b32_e32 v9, 8, v2
	v_and_b32_e32 v11, 0x7f000000, v8
	v_ffbh_u32_e32 v13, v10
	v_and_b32_e32 v12, 0x7f000000, v9
	v_ffbh_u32_e32 v15, v11
	v_min_u32_e32 v13, 32, v13
	v_ffbh_u32_e32 v17, v12
	v_min_u32_e32 v15, 32, v15
	v_sub_u32_e64 v13, v13, 4 clamp
	v_min_u32_e32 v17, 32, v17
	v_sub_u32_e64 v15, v15, 4 clamp
	v_lshlrev_b32_e32 v19, v13, v10
	v_sub_u32_e64 v17, v17, 4 clamp
	v_lshlrev_b32_e32 v13, 23, v13
	v_lshlrev_b32_e32 v20, v15, v11
	v_lshrrev_b32_e32 v19, 4, v19
	v_add_u32_e32 v14, 0x1000000, v10
	v_lshlrev_b32_e32 v15, 23, v15
	v_lshlrev_b32_e32 v21, v17, v12
	v_lshrrev_b32_e32 v20, 4, v20
	v_sub_u32_e32 v13, v19, v13
	v_add_u32_e32 v16, 0x1000000, v11
	v_ashrrev_i32_e32 v14, 8, v14
	v_lshlrev_b32_e32 v17, 23, v17
	v_lshrrev_b32_e32 v21, 4, v21
	v_sub_u32_e32 v15, v20, v15
	v_add_u32_e32 v13, 0x3c000000, v13
	v_add_u32_e32 v18, 0x1000000, v12
	v_ashrrev_i32_e32 v16, 8, v16
	v_sub_u32_e32 v17, v21, v17
	v_add_u32_e32 v15, 0x3c000000, v15
	v_and_or_b32 v13, v14, s4, v13
	v_cmp_ne_u32_e64 s[0:1], 0, v10
	v_ashrrev_i32_e32 v18, 8, v18
	v_add_u32_e32 v17, 0x3c000000, v17
	v_and_or_b32 v14, v16, s4, v15
	v_cndmask_b32_e64 v10, 0, v13, s[0:1]
	v_cmp_ne_u32_e64 s[0:1], 0, v11
	v_and_or_b32 v15, v18, s4, v17
	v_cndmask_b32_e64 v11, 0, v14, s[0:1]
	v_cmp_ne_u32_e64 s[0:1], 0, v12
	v_and_or_b32 v7, v7, s3, v10
	v_cndmask_b32_e64 v12, 0, v15, s[0:1]
	v_cmp_eq_f32_e64 s[0:1], s5, v7
	v_and_or_b32 v8, v8, s3, v11
	v_cndmask_b32_e64 v10, 0, 1, s[0:1]
	v_cmp_neq_f32_e64 s[0:1], s5, v7
	v_cndmask_b32_e64 v7, 0, 1, s[0:1]
	v_cmp_eq_f32_e64 s[0:1], s5, v8
	v_cndmask_b32_e64 v11, 0, 1, s[0:1]
	v_cmp_neq_f32_e64 s[0:1], s5, v8
	v_cndmask_b32_e64 v8, 0, 1, s[0:1]
	v_cndmask_b32_e32 v7, v7, v10, vcc
	v_and_b32_e32 v10, 0x7f000000, v2
	v_cndmask_b32_e32 v8, v8, v11, vcc
	v_ffbh_u32_e32 v11, v10
	v_and_or_b32 v9, v9, s3, v12
	v_min_u32_e32 v11, 32, v11
	v_cmp_eq_f32_e64 s[0:1], s5, v9
	v_sub_u32_e64 v11, v11, 4 clamp
	v_cndmask_b32_e64 v12, 0, 1, s[0:1]
	v_cmp_neq_f32_e64 s[0:1], s5, v9
	v_lshlrev_b32_e32 v13, v11, v10
	v_cndmask_b32_e64 v9, 0, 1, s[0:1]
	v_lshrrev_b32_e32 v13, 4, v13
	v_lshlrev_b32_e32 v11, 23, v11
	v_cndmask_b32_e32 v9, v9, v12, vcc
	v_add_u32_e32 v12, 0x1000000, v10
	v_sub_u32_e32 v11, v13, v11
	v_ashrrev_i32_e32 v12, 8, v12
	v_add_u32_e32 v11, 0x3c000000, v11
	v_and_or_b32 v11, v12, s4, v11
	v_cmp_ne_u32_e64 s[0:1], 0, v10
	v_cndmask_b32_e64 v10, 0, v11, s[0:1]
	v_and_or_b32 v2, v2, s3, v10
	v_cmp_eq_f32_e64 s[0:1], s5, v2
	v_cndmask_b32_e64 v10, 0, 1, s[0:1]
	v_cmp_neq_f32_e64 s[0:1], s5, v2
	v_cndmask_b32_e64 v2, 0, 1, s[0:1]
	v_cndmask_b32_e32 v2, v2, v10, vcc
	s_waitcnt vmcnt(2)
	v_lshlrev_b32_e32 v10, 24, v4
	v_and_b32_e32 v11, 0x7f000000, v10
	v_ffbh_u32_e32 v12, v11
	v_min_u32_e32 v12, 32, v12
	v_sub_u32_e64 v12, v12, 4 clamp
	v_lshlrev_b32_e32 v14, v12, v11
	v_lshrrev_b32_e32 v14, 4, v14
	v_lshlrev_b32_e32 v12, 23, v12
	v_add_u32_e32 v13, 0x1000000, v11
	v_sub_u32_e32 v12, v14, v12
	v_ashrrev_i32_e32 v13, 8, v13
	v_add_u32_e32 v12, 0x3c000000, v12
	v_and_or_b32 v12, v13, s4, v12
	v_cmp_ne_u32_e64 s[0:1], 0, v11
	v_cndmask_b32_e64 v11, 0, v12, s[0:1]
	v_and_or_b32 v10, v10, s3, v11
	v_cmp_eq_f32_e64 s[0:1], s5, v10
	v_cndmask_b32_e64 v11, 0, 1, s[0:1]
	v_cmp_neq_f32_e64 s[0:1], s5, v10
	v_cndmask_b32_e64 v10, 0, 1, s[0:1]
	v_cndmask_b32_e32 v10, v10, v11, vcc
	v_lshlrev_b32_e32 v11, 16, v4
	v_and_b32_e32 v12, 0x7f000000, v11
	v_ffbh_u32_e32 v13, v12
	v_min_u32_e32 v13, 32, v13
	v_sub_u32_e64 v13, v13, 4 clamp
	v_lshlrev_b32_e32 v15, v13, v12
	v_lshrrev_b32_e32 v15, 4, v15
	v_lshlrev_b32_e32 v13, 23, v13
	v_add_u32_e32 v14, 0x1000000, v12
	v_sub_u32_e32 v13, v15, v13
	v_ashrrev_i32_e32 v14, 8, v14
	v_add_u32_e32 v13, 0x3c000000, v13
	v_and_or_b32 v13, v14, s4, v13
	v_cmp_ne_u32_e64 s[0:1], 0, v12
	v_cndmask_b32_e64 v12, 0, v13, s[0:1]
	v_and_or_b32 v11, v11, s3, v12
	v_cmp_eq_f32_e64 s[0:1], s5, v11
	v_cndmask_b32_e64 v12, 0, 1, s[0:1]
	v_cmp_neq_f32_e64 s[0:1], s5, v11
	v_cndmask_b32_e64 v11, 0, 1, s[0:1]
	v_cndmask_b32_e32 v11, v11, v12, vcc
	;; [unrolled: 21-line block ×3, first 2 shown]
	v_and_b32_e32 v13, 0x7f000000, v4
	v_ffbh_u32_e32 v14, v13
	v_min_u32_e32 v14, 32, v14
	v_sub_u32_e64 v14, v14, 4 clamp
	v_lshlrev_b32_e32 v16, v14, v13
	v_lshrrev_b32_e32 v16, 4, v16
	v_lshlrev_b32_e32 v14, 23, v14
	v_add_u32_e32 v15, 0x1000000, v13
	v_sub_u32_e32 v14, v16, v14
	v_ashrrev_i32_e32 v15, 8, v15
	v_add_u32_e32 v14, 0x3c000000, v14
	v_and_or_b32 v14, v15, s4, v14
	v_cmp_ne_u32_e64 s[0:1], 0, v13
	v_cndmask_b32_e64 v13, 0, v14, s[0:1]
	v_and_or_b32 v4, v4, s3, v13
	v_cmp_eq_f32_e64 s[0:1], s5, v4
	v_cndmask_b32_e64 v13, 0, 1, s[0:1]
	v_cmp_neq_f32_e64 s[0:1], s5, v4
	v_cndmask_b32_e64 v4, 0, 1, s[0:1]
	v_cndmask_b32_e32 v4, v4, v13, vcc
	s_waitcnt vmcnt(1)
	v_lshlrev_b32_e32 v13, 24, v5
	v_and_b32_e32 v14, 0x7f000000, v13
	v_ffbh_u32_e32 v15, v14
	v_min_u32_e32 v15, 32, v15
	v_sub_u32_e64 v15, v15, 4 clamp
	v_lshlrev_b32_e32 v17, v15, v14
	v_lshrrev_b32_e32 v17, 4, v17
	v_lshlrev_b32_e32 v15, 23, v15
	v_add_u32_e32 v16, 0x1000000, v14
	v_sub_u32_e32 v15, v17, v15
	v_ashrrev_i32_e32 v16, 8, v16
	v_add_u32_e32 v15, 0x3c000000, v15
	v_and_or_b32 v15, v16, s4, v15
	v_cmp_ne_u32_e64 s[0:1], 0, v14
	v_cndmask_b32_e64 v14, 0, v15, s[0:1]
	v_and_or_b32 v13, v13, s3, v14
	v_cmp_eq_f32_e64 s[0:1], s5, v13
	v_cndmask_b32_e64 v14, 0, 1, s[0:1]
	v_cmp_neq_f32_e64 s[0:1], s5, v13
	v_cndmask_b32_e64 v13, 0, 1, s[0:1]
	v_cndmask_b32_e32 v13, v13, v14, vcc
	v_lshlrev_b32_e32 v14, 16, v5
	v_and_b32_e32 v15, 0x7f000000, v14
	v_ffbh_u32_e32 v16, v15
	v_min_u32_e32 v16, 32, v16
	v_sub_u32_e64 v16, v16, 4 clamp
	v_lshlrev_b32_e32 v18, v16, v15
	v_lshrrev_b32_e32 v18, 4, v18
	v_lshlrev_b32_e32 v16, 23, v16
	v_add_u32_e32 v17, 0x1000000, v15
	v_sub_u32_e32 v16, v18, v16
	v_ashrrev_i32_e32 v17, 8, v17
	v_add_u32_e32 v16, 0x3c000000, v16
	v_and_or_b32 v16, v17, s4, v16
	v_cmp_ne_u32_e64 s[0:1], 0, v15
	v_cndmask_b32_e64 v15, 0, v16, s[0:1]
	v_and_or_b32 v14, v14, s3, v15
	v_cmp_eq_f32_e64 s[0:1], s5, v14
	v_cndmask_b32_e64 v15, 0, 1, s[0:1]
	v_cmp_neq_f32_e64 s[0:1], s5, v14
	v_cndmask_b32_e64 v14, 0, 1, s[0:1]
	v_cndmask_b32_e32 v14, v14, v15, vcc
	;; [unrolled: 21-line block ×3, first 2 shown]
	v_and_b32_e32 v16, 0x7f000000, v5
	v_ffbh_u32_e32 v17, v16
	v_min_u32_e32 v17, 32, v17
	v_sub_u32_e64 v17, v17, 4 clamp
	v_lshlrev_b32_e32 v19, v17, v16
	v_lshrrev_b32_e32 v19, 4, v19
	v_lshlrev_b32_e32 v17, 23, v17
	v_add_u32_e32 v18, 0x1000000, v16
	v_sub_u32_e32 v17, v19, v17
	v_ashrrev_i32_e32 v18, 8, v18
	v_add_u32_e32 v17, 0x3c000000, v17
	v_and_or_b32 v17, v18, s4, v17
	v_cmp_ne_u32_e64 s[0:1], 0, v16
	v_cndmask_b32_e64 v16, 0, v17, s[0:1]
	v_and_or_b32 v5, v5, s3, v16
	v_cmp_eq_f32_e64 s[0:1], s5, v5
	v_cndmask_b32_e64 v16, 0, 1, s[0:1]
	v_cmp_neq_f32_e64 s[0:1], s5, v5
	v_cndmask_b32_e64 v5, 0, 1, s[0:1]
	v_cndmask_b32_e32 v5, v5, v16, vcc
	s_waitcnt vmcnt(0)
	v_lshlrev_b32_e32 v16, 24, v6
	v_and_b32_e32 v17, 0x7f000000, v16
	v_ffbh_u32_e32 v18, v17
	v_min_u32_e32 v18, 32, v18
	v_sub_u32_e64 v18, v18, 4 clamp
	v_lshlrev_b32_e32 v20, v18, v17
	v_lshrrev_b32_e32 v20, 4, v20
	v_lshlrev_b32_e32 v18, 23, v18
	v_add_u32_e32 v19, 0x1000000, v17
	v_sub_u32_e32 v18, v20, v18
	v_ashrrev_i32_e32 v19, 8, v19
	v_add_u32_e32 v18, 0x3c000000, v18
	v_and_or_b32 v18, v19, s4, v18
	v_cmp_ne_u32_e64 s[0:1], 0, v17
	v_cndmask_b32_e64 v17, 0, v18, s[0:1]
	v_and_or_b32 v16, v16, s3, v17
	v_cmp_eq_f32_e64 s[0:1], s5, v16
	v_cndmask_b32_e64 v17, 0, 1, s[0:1]
	v_cmp_neq_f32_e64 s[0:1], s5, v16
	v_cndmask_b32_e64 v16, 0, 1, s[0:1]
	v_cndmask_b32_e32 v16, v16, v17, vcc
	v_lshlrev_b32_e32 v17, 16, v6
	v_and_b32_e32 v18, 0x7f000000, v17
	v_ffbh_u32_e32 v19, v18
	v_min_u32_e32 v19, 32, v19
	v_sub_u32_e64 v19, v19, 4 clamp
	v_lshlrev_b32_e32 v21, v19, v18
	v_lshrrev_b32_e32 v21, 4, v21
	v_lshlrev_b32_e32 v19, 23, v19
	v_add_u32_e32 v20, 0x1000000, v18
	v_sub_u32_e32 v19, v21, v19
	v_ashrrev_i32_e32 v20, 8, v20
	v_add_u32_e32 v19, 0x3c000000, v19
	v_and_or_b32 v19, v20, s4, v19
	v_cmp_ne_u32_e64 s[0:1], 0, v18
	v_cndmask_b32_e64 v18, 0, v19, s[0:1]
	v_and_or_b32 v17, v17, s3, v18
	v_cmp_eq_f32_e64 s[0:1], s5, v17
	v_cndmask_b32_e64 v18, 0, 1, s[0:1]
	v_cmp_neq_f32_e64 s[0:1], s5, v17
	v_cndmask_b32_e64 v17, 0, 1, s[0:1]
	v_cndmask_b32_e32 v17, v17, v18, vcc
	;; [unrolled: 21-line block ×3, first 2 shown]
	v_and_b32_e32 v19, 0x7f000000, v6
	v_ffbh_u32_e32 v20, v19
	v_min_u32_e32 v20, 32, v20
	v_sub_u32_e64 v20, v20, 4 clamp
	v_lshlrev_b32_e32 v22, v20, v19
	v_lshrrev_b32_e32 v22, 4, v22
	v_lshlrev_b32_e32 v20, 23, v20
	v_add_u32_e32 v21, 0x1000000, v19
	v_sub_u32_e32 v20, v22, v20
	v_ashrrev_i32_e32 v21, 8, v21
	v_add_u32_e32 v20, 0x3c000000, v20
	v_and_or_b32 v20, v21, s4, v20
	v_cmp_ne_u32_e64 s[0:1], 0, v19
	v_cndmask_b32_e64 v19, 0, v20, s[0:1]
	v_and_or_b32 v6, v6, s3, v19
	v_cmp_eq_f32_e64 s[0:1], s5, v6
	v_cndmask_b32_e64 v19, 0, 1, s[0:1]
	v_cmp_neq_f32_e64 s[0:1], s5, v6
	v_cndmask_b32_e64 v6, 0, 1, s[0:1]
	v_cndmask_b32_e32 v6, v6, v19, vcc
	v_and_b32_sdwa v8, v8, v3 dst_sel:BYTE_1 dst_unused:UNUSED_PAD src0_sel:DWORD src1_sel:DWORD
	v_and_b32_sdwa v2, v2, v3 dst_sel:BYTE_1 dst_unused:UNUSED_PAD src0_sel:DWORD src1_sel:DWORD
	;; [unrolled: 1-line block ×6, first 2 shown]
	v_and_b32_e32 v16, 1, v16
	v_and_b32_sdwa v17, v17, v3 dst_sel:BYTE_1 dst_unused:UNUSED_PAD src0_sel:DWORD src1_sel:DWORD
	v_and_b32_e32 v18, 1, v18
	v_and_b32_sdwa v3, v6, v3 dst_sel:BYTE_1 dst_unused:UNUSED_PAD src0_sel:DWORD src1_sel:DWORD
	v_and_b32_e32 v13, 1, v13
	v_and_b32_e32 v15, 1, v15
	v_or_b32_e32 v6, v16, v17
	v_or_b32_sdwa v3, v18, v3 dst_sel:WORD_1 dst_unused:UNUSED_PAD src0_sel:DWORD src1_sel:DWORD
	v_and_b32_e32 v10, 1, v10
	v_and_b32_e32 v12, 1, v12
	v_or_b32_sdwa v3, v6, v3 dst_sel:DWORD dst_unused:UNUSED_PAD src0_sel:WORD_0 src1_sel:DWORD
	v_or_b32_e32 v6, v13, v14
	v_or_b32_sdwa v5, v15, v5 dst_sel:WORD_1 dst_unused:UNUSED_PAD src0_sel:DWORD src1_sel:DWORD
	v_and_b32_e32 v7, 1, v7
	v_and_b32_e32 v9, 1, v9
	v_or_b32_sdwa v5, v6, v5 dst_sel:DWORD dst_unused:UNUSED_PAD src0_sel:WORD_0 src1_sel:DWORD
	v_or_b32_e32 v6, v10, v11
	v_or_b32_sdwa v4, v12, v4 dst_sel:WORD_1 dst_unused:UNUSED_PAD src0_sel:DWORD src1_sel:DWORD
	v_or_b32_sdwa v4, v6, v4 dst_sel:DWORD dst_unused:UNUSED_PAD src0_sel:WORD_0 src1_sel:DWORD
	v_or_b32_e32 v6, v7, v8
	v_or_b32_sdwa v2, v9, v2 dst_sel:WORD_1 dst_unused:UNUSED_PAD src0_sel:DWORD src1_sel:DWORD
	s_add_u32 s0, s12, s11
	v_or_b32_sdwa v2, v6, v2 dst_sel:DWORD dst_unused:UNUSED_PAD src0_sel:WORD_0 src1_sel:DWORD
	s_addc_u32 s1, s13, s2
	global_store_dword v1, v2, s[0:1]
	global_store_dword v1, v4, s[0:1] offset:1024
	global_store_dword v1, v5, s[0:1] offset:2048
	;; [unrolled: 1-line block ×3, first 2 shown]
	s_mov_b64 s[0:1], 0
.LBB279_2:
	s_andn2_b64 vcc, exec, s[0:1]
	s_cbranch_vccnz .LBB279_83
; %bb.3:
	v_cmp_gt_i32_e32 vcc, s8, v0
	v_mov_b32_e32 v6, 0
	v_mov_b32_e32 v3, 0
	v_or_b32_e32 v4, s11, v0
	v_mov_b32_e32 v5, 0
	v_mov_b32_e32 v7, 0
	;; [unrolled: 1-line block ×15, first 2 shown]
	s_and_saveexec_b64 s[2:3], vcc
	s_cbranch_execz .LBB279_35
; %bb.4:
	global_load_ubyte v19, v4, s[14:15]
	v_or_b32_e32 v1, 0x100, v0
	v_cmp_gt_u32_e64 s[0:1], s8, v1
	v_mov_b32_e32 v5, 0
	v_mov_b32_e32 v21, 0
	;; [unrolled: 1-line block ×15, first 2 shown]
	s_and_saveexec_b64 s[4:5], s[0:1]
	s_cbranch_execz .LBB279_34
; %bb.5:
	v_add_u32_e32 v1, s11, v0
	global_load_ubyte v21, v1, s[14:15] offset:256
	v_or_b32_e32 v2, 0x200, v0
	v_mov_b32_e32 v20, 0
	v_cmp_gt_u32_e64 s[0:1], s8, v2
	v_mov_b32_e32 v18, 0
	v_mov_b32_e32 v17, 0
	;; [unrolled: 1-line block ×13, first 2 shown]
	s_and_saveexec_b64 s[6:7], s[0:1]
	s_cbranch_execz .LBB279_33
; %bb.6:
	v_mov_b32_e32 v2, s15
	v_add_co_u32_e64 v1, s[0:1], s14, v1
	v_addc_co_u32_e64 v2, s[0:1], 0, v2, s[0:1]
	global_load_ubyte v20, v[1:2], off offset:512
	v_or_b32_e32 v5, 0x300, v0
	v_cmp_gt_u32_e64 s[0:1], s8, v5
	v_mov_b32_e32 v5, 0
	v_mov_b32_e32 v18, 0
	;; [unrolled: 1-line block ×13, first 2 shown]
	s_and_saveexec_b64 s[14:15], s[0:1]
	s_cbranch_execz .LBB279_32
; %bb.7:
	global_load_ubyte v18, v[1:2], off offset:768
	v_or_b32_e32 v5, 0x400, v0
	v_cmp_gt_u32_e64 s[0:1], s8, v5
	v_mov_b32_e32 v5, 0
	v_mov_b32_e32 v17, 0
	v_mov_b32_e32 v16, 0
	v_mov_b32_e32 v14, 0
	v_mov_b32_e32 v13, 0
	v_mov_b32_e32 v12, 0
	v_mov_b32_e32 v11, 0
	v_mov_b32_e32 v10, 0
	v_mov_b32_e32 v9, 0
	v_mov_b32_e32 v8, 0
	v_mov_b32_e32 v7, 0
	v_mov_b32_e32 v6, 0
	s_and_saveexec_b64 s[16:17], s[0:1]
	s_cbranch_execz .LBB279_31
; %bb.8:
	global_load_ubyte v17, v[1:2], off offset:1024
	v_or_b32_e32 v5, 0x500, v0
	v_cmp_gt_u32_e64 s[0:1], s8, v5
	v_mov_b32_e32 v5, 0
	v_mov_b32_e32 v16, 0
	v_mov_b32_e32 v14, 0
	v_mov_b32_e32 v13, 0
	v_mov_b32_e32 v12, 0
	v_mov_b32_e32 v11, 0
	v_mov_b32_e32 v10, 0
	v_mov_b32_e32 v9, 0
	v_mov_b32_e32 v8, 0
	v_mov_b32_e32 v7, 0
	v_mov_b32_e32 v6, 0
	s_and_saveexec_b64 s[18:19], s[0:1]
	s_cbranch_execz .LBB279_30
; %bb.9:
	global_load_ubyte v16, v[1:2], off offset:1280
	v_or_b32_e32 v5, 0x600, v0
	v_cmp_gt_u32_e64 s[0:1], s8, v5
	v_mov_b32_e32 v5, 0
	v_mov_b32_e32 v14, 0
	;; [unrolled: 1-line block ×10, first 2 shown]
	s_and_saveexec_b64 s[20:21], s[0:1]
	s_cbranch_execz .LBB279_29
; %bb.10:
	global_load_ubyte v14, v[1:2], off offset:1536
	v_or_b32_e32 v5, 0x700, v0
	v_cmp_gt_u32_e64 s[0:1], s8, v5
	v_mov_b32_e32 v5, 0
	v_mov_b32_e32 v13, 0
	;; [unrolled: 1-line block ×9, first 2 shown]
	s_and_saveexec_b64 s[22:23], s[0:1]
	s_cbranch_execz .LBB279_28
; %bb.11:
	global_load_ubyte v13, v[1:2], off offset:1792
	v_or_b32_e32 v5, 0x800, v0
	v_cmp_gt_u32_e64 s[0:1], s8, v5
	v_mov_b32_e32 v5, 0
	v_mov_b32_e32 v12, 0
	;; [unrolled: 1-line block ×8, first 2 shown]
	s_and_saveexec_b64 s[24:25], s[0:1]
	s_cbranch_execz .LBB279_27
; %bb.12:
	global_load_ubyte v12, v[1:2], off offset:2048
	v_or_b32_e32 v5, 0x900, v0
	v_cmp_gt_u32_e64 s[0:1], s8, v5
	v_mov_b32_e32 v5, 0
	v_mov_b32_e32 v11, 0
	;; [unrolled: 1-line block ×7, first 2 shown]
	s_and_saveexec_b64 s[26:27], s[0:1]
	s_cbranch_execz .LBB279_26
; %bb.13:
	global_load_ubyte v11, v[1:2], off offset:2304
	v_or_b32_e32 v5, 0xa00, v0
	v_cmp_gt_u32_e64 s[0:1], s8, v5
	v_mov_b32_e32 v5, 0
	v_mov_b32_e32 v10, 0
	;; [unrolled: 1-line block ×6, first 2 shown]
	s_and_saveexec_b64 s[28:29], s[0:1]
	s_cbranch_execz .LBB279_25
; %bb.14:
	global_load_ubyte v10, v[1:2], off offset:2560
	v_or_b32_e32 v5, 0xb00, v0
	v_cmp_gt_u32_e64 s[0:1], s8, v5
	v_mov_b32_e32 v5, 0
	v_mov_b32_e32 v9, 0
	;; [unrolled: 1-line block ×5, first 2 shown]
	s_and_saveexec_b64 s[30:31], s[0:1]
	s_cbranch_execz .LBB279_24
; %bb.15:
	global_load_ubyte v9, v[1:2], off offset:2816
	v_or_b32_e32 v5, 0xc00, v0
	v_cmp_gt_u32_e64 s[0:1], s8, v5
	v_mov_b32_e32 v5, 0
	v_mov_b32_e32 v8, 0
	;; [unrolled: 1-line block ×4, first 2 shown]
	s_and_saveexec_b64 s[34:35], s[0:1]
	s_cbranch_execz .LBB279_23
; %bb.16:
	global_load_ubyte v8, v[1:2], off offset:3072
	v_or_b32_e32 v5, 0xd00, v0
	v_cmp_gt_u32_e64 s[0:1], s8, v5
	v_mov_b32_e32 v5, 0
	v_mov_b32_e32 v7, 0
	;; [unrolled: 1-line block ×3, first 2 shown]
	s_and_saveexec_b64 s[36:37], s[0:1]
	s_cbranch_execz .LBB279_22
; %bb.17:
	global_load_ubyte v7, v[1:2], off offset:3328
	v_or_b32_e32 v5, 0xe00, v0
	v_cmp_gt_u32_e64 s[0:1], s8, v5
	v_mov_b32_e32 v5, 0
	v_mov_b32_e32 v6, 0
	s_and_saveexec_b64 s[38:39], s[0:1]
	s_cbranch_execz .LBB279_21
; %bb.18:
	global_load_ubyte v6, v[1:2], off offset:3584
	v_or_b32_e32 v5, 0xf00, v0
	v_cmp_gt_u32_e64 s[0:1], s8, v5
	v_mov_b32_e32 v5, 0
	s_and_saveexec_b64 s[40:41], s[0:1]
	s_cbranch_execz .LBB279_20
; %bb.19:
	global_load_ubyte v1, v[1:2], off offset:3840
	s_waitcnt vmcnt(0)
	v_lshlrev_b32_e32 v5, 24, v1
.LBB279_20:
	s_or_b64 exec, exec, s[40:41]
.LBB279_21:
	s_or_b64 exec, exec, s[38:39]
.LBB279_22:
	s_or_b64 exec, exec, s[36:37]
.LBB279_23:
	s_or_b64 exec, exec, s[34:35]
.LBB279_24:
	s_or_b64 exec, exec, s[30:31]
.LBB279_25:
	s_or_b64 exec, exec, s[28:29]
.LBB279_26:
	s_or_b64 exec, exec, s[26:27]
.LBB279_27:
	s_or_b64 exec, exec, s[24:25]
.LBB279_28:
	s_or_b64 exec, exec, s[22:23]
.LBB279_29:
	s_or_b64 exec, exec, s[20:21]
.LBB279_30:
	s_or_b64 exec, exec, s[18:19]
.LBB279_31:
	s_or_b64 exec, exec, s[16:17]
.LBB279_32:
	s_or_b64 exec, exec, s[14:15]
.LBB279_33:
	s_or_b64 exec, exec, s[6:7]
.LBB279_34:
	s_or_b64 exec, exec, s[4:5]
.LBB279_35:
	s_or_b64 exec, exec, s[2:3]
	s_cmp_eq_u32 s9, 0
	s_cselect_b64 s[0:1], -1, 0
	s_lshl_b32 s2, s10, 24
	s_and_b32 s4, s2, 0x7f000000
	s_and_b32 s3, s2, 0x80000000
	s_flbit_i32_b32 s2, s4
	s_min_u32 s2, s2, 32
	v_sub_u32_e64 v1, s2, 4 clamp
	v_readfirstlane_b32 s6, v1
	s_lshl_b32 s9, s4, s6
	s_add_i32 s2, s4, 0x1000000
	s_lshr_b32 s9, s9, 4
	s_lshl_b32 s6, s6, 23
	s_ashr_i32 s5, s2, 8
	s_sub_i32 s6, s9, s6
	s_and_b32 s5, s5, 0x7f800000
	s_add_i32 s6, s6, 0x3c000000
	s_or_b32 s5, s6, s5
	s_cmp_lg_u32 s4, 0
	s_cselect_b32 s4, s5, 0
	s_brev_b32 s7, 1
	s_mov_b32 s2, 0x7f800000
	s_or_b32 s6, s4, s3
	v_mov_b32_e32 v15, v3
	v_mov_b32_e32 v2, v3
	;; [unrolled: 1-line block ×3, first 2 shown]
	s_and_saveexec_b64 s[4:5], vcc
	s_cbranch_execz .LBB279_37
; %bb.36:
	s_waitcnt vmcnt(0)
	v_lshlrev_b32_e32 v1, 24, v19
	v_and_b32_e32 v2, 0x7f000000, v1
	v_ffbh_u32_e32 v3, v2
	v_min_u32_e32 v3, 32, v3
	v_sub_u32_e64 v3, v3, 4 clamp
	v_lshlrev_b32_e32 v19, v3, v2
	v_lshrrev_b32_e32 v19, 4, v19
	v_lshlrev_b32_e32 v3, 23, v3
	v_add_u32_e32 v15, 0x1000000, v2
	v_sub_u32_e32 v3, v19, v3
	v_ashrrev_i32_e32 v15, 8, v15
	v_add_u32_e32 v3, 0x3c000000, v3
	v_and_or_b32 v3, v15, s2, v3
	v_cmp_ne_u32_e64 s[2:3], 0, v2
	v_cndmask_b32_e64 v2, 0, v3, s[2:3]
	v_and_or_b32 v1, v1, s7, v2
	v_cmp_eq_f32_e64 s[2:3], s6, v1
	v_cndmask_b32_e64 v2, 0, 1, s[2:3]
	v_cmp_neq_f32_e64 s[2:3], s6, v1
	v_cndmask_b32_e64 v1, 0, 1, s[2:3]
	v_cndmask_b32_e64 v1, v1, v2, s[0:1]
	v_and_b32_e32 v1, 1, v1
	v_mov_b32_e32 v15, 0
	v_and_b32_e32 v3, 0xffff, v1
	v_mov_b32_e32 v2, v15
	v_mov_b32_e32 v1, v15
.LBB279_37:
	s_or_b64 exec, exec, s[4:5]
	s_waitcnt vmcnt(0)
	v_or_b32_e32 v19, 0x100, v0
	v_cmp_gt_i32_e64 s[2:3], s8, v19
	s_and_saveexec_b64 s[4:5], s[2:3]
	s_cbranch_execz .LBB279_39
; %bb.38:
	v_lshlrev_b32_e32 v21, 24, v21
	v_and_b32_e32 v22, 0x7f000000, v21
	v_ffbh_u32_e32 v23, v22
	v_min_u32_e32 v23, 32, v23
	v_sub_u32_e64 v23, v23, 4 clamp
	v_lshlrev_b32_e32 v25, v23, v22
	v_lshrrev_b32_e32 v25, 4, v25
	v_lshlrev_b32_e32 v23, 23, v23
	v_add_u32_e32 v24, 0x1000000, v22
	v_sub_u32_e32 v23, v25, v23
	v_ashrrev_i32_e32 v24, 8, v24
	v_add_u32_e32 v23, 0x3c000000, v23
	s_mov_b32 s2, 0x7f800000
	v_and_or_b32 v23, v24, s2, v23
	v_cmp_ne_u32_e64 s[2:3], 0, v22
	v_cndmask_b32_e64 v22, 0, v23, s[2:3]
	s_brev_b32 s2, 1
	v_and_or_b32 v21, v21, s2, v22
	v_cmp_eq_f32_e64 s[2:3], s6, v21
	v_cndmask_b32_e64 v22, 0, 1, s[2:3]
	v_cmp_neq_f32_e64 s[2:3], s6, v21
	v_cndmask_b32_e64 v21, 0, 1, s[2:3]
	v_cndmask_b32_e64 v21, v21, v22, s[0:1]
	v_mov_b32_e32 v22, 1
	v_and_b32_sdwa v21, v21, v22 dst_sel:BYTE_1 dst_unused:UNUSED_PAD src0_sel:DWORD src1_sel:DWORD
	v_or_b32_sdwa v21, v3, v21 dst_sel:DWORD dst_unused:UNUSED_PAD src0_sel:BYTE_0 src1_sel:DWORD
	v_and_b32_e32 v21, 0xffff, v21
	s_mov_b32 s2, 0xffff0000
	v_and_or_b32 v3, v3, s2, v21
.LBB279_39:
	s_or_b64 exec, exec, s[4:5]
	v_or_b32_e32 v21, 0x200, v0
	v_cmp_gt_i32_e64 s[2:3], s8, v21
	s_and_saveexec_b64 s[4:5], s[2:3]
	s_cbranch_execz .LBB279_41
; %bb.40:
	v_lshlrev_b32_e32 v20, 24, v20
	v_and_b32_e32 v22, 0x7f000000, v20
	v_ffbh_u32_e32 v23, v22
	v_min_u32_e32 v23, 32, v23
	v_sub_u32_e64 v23, v23, 4 clamp
	v_lshlrev_b32_e32 v25, v23, v22
	v_lshrrev_b32_e32 v25, 4, v25
	v_lshlrev_b32_e32 v23, 23, v23
	s_movk_i32 s2, 0xff00
	v_add_u32_e32 v24, 0x1000000, v22
	v_sub_u32_e32 v23, v25, v23
	v_and_b32_sdwa v21, v3, s2 dst_sel:DWORD dst_unused:UNUSED_PAD src0_sel:WORD_1 src1_sel:DWORD
	v_ashrrev_i32_e32 v24, 8, v24
	v_add_u32_e32 v23, 0x3c000000, v23
	s_mov_b32 s2, 0x7f800000
	v_and_or_b32 v23, v24, s2, v23
	v_cmp_ne_u32_e64 s[2:3], 0, v22
	v_cndmask_b32_e64 v22, 0, v23, s[2:3]
	s_brev_b32 s2, 1
	v_and_or_b32 v20, v20, s2, v22
	v_cmp_eq_f32_e64 s[2:3], s6, v20
	v_cndmask_b32_e64 v22, 0, 1, s[2:3]
	v_cmp_neq_f32_e64 s[2:3], s6, v20
	v_cndmask_b32_e64 v20, 0, 1, s[2:3]
	v_cndmask_b32_e64 v20, v20, v22, s[0:1]
	v_and_b32_e32 v20, 1, v20
	v_or_b32_sdwa v20, v20, v21 dst_sel:WORD_1 dst_unused:UNUSED_PAD src0_sel:DWORD src1_sel:DWORD
	s_mov_b32 s2, 0xffff
	v_and_or_b32 v3, v3, s2, v20
.LBB279_41:
	s_or_b64 exec, exec, s[4:5]
	v_or_b32_e32 v20, 0x300, v0
	v_cmp_gt_i32_e64 s[2:3], s8, v20
	s_and_saveexec_b64 s[4:5], s[2:3]
	s_cbranch_execz .LBB279_43
; %bb.42:
	v_lshlrev_b32_e32 v18, 24, v18
	v_and_b32_e32 v21, 0x7f000000, v18
	v_ffbh_u32_e32 v22, v21
	v_min_u32_e32 v22, 32, v22
	v_sub_u32_e64 v22, v22, 4 clamp
	v_lshlrev_b32_e32 v24, v22, v21
	v_lshrrev_b32_e32 v24, 4, v24
	v_lshlrev_b32_e32 v22, 23, v22
	s_movk_i32 s2, 0xff
	v_add_u32_e32 v23, 0x1000000, v21
	v_sub_u32_e32 v22, v24, v22
	v_and_b32_sdwa v20, v3, s2 dst_sel:DWORD dst_unused:UNUSED_PAD src0_sel:WORD_1 src1_sel:DWORD
	v_ashrrev_i32_e32 v23, 8, v23
	v_add_u32_e32 v22, 0x3c000000, v22
	s_mov_b32 s2, 0x7f800000
	v_and_or_b32 v22, v23, s2, v22
	v_cmp_ne_u32_e64 s[2:3], 0, v21
	v_cndmask_b32_e64 v21, 0, v22, s[2:3]
	s_brev_b32 s2, 1
	v_and_or_b32 v18, v18, s2, v21
	v_cmp_eq_f32_e64 s[2:3], s6, v18
	v_cndmask_b32_e64 v21, 0, 1, s[2:3]
	v_cmp_neq_f32_e64 s[2:3], s6, v18
	v_cndmask_b32_e64 v18, 0, 1, s[2:3]
	v_cndmask_b32_e64 v18, v18, v21, s[0:1]
	v_mov_b32_e32 v21, 1
	v_and_b32_sdwa v18, v18, v21 dst_sel:BYTE_1 dst_unused:UNUSED_PAD src0_sel:DWORD src1_sel:DWORD
	v_or_b32_sdwa v18, v20, v18 dst_sel:WORD_1 dst_unused:UNUSED_PAD src0_sel:DWORD src1_sel:DWORD
	s_mov_b32 s2, 0xffff
	v_and_or_b32 v3, v3, s2, v18
.LBB279_43:
	s_or_b64 exec, exec, s[4:5]
	v_or_b32_e32 v18, 0x400, v0
	v_cmp_gt_i32_e64 s[2:3], s8, v18
	s_and_saveexec_b64 s[4:5], s[2:3]
	s_cbranch_execz .LBB279_45
; %bb.44:
	v_lshlrev_b32_e32 v17, 24, v17
	v_and_b32_e32 v20, 0x7f000000, v17
	v_ffbh_u32_e32 v21, v20
	v_min_u32_e32 v21, 32, v21
	v_sub_u32_e64 v21, v21, 4 clamp
	v_lshlrev_b32_e32 v23, v21, v20
	v_lshrrev_b32_e32 v23, 4, v23
	v_lshlrev_b32_e32 v21, 23, v21
	v_add_u32_e32 v22, 0x1000000, v20
	v_sub_u32_e32 v21, v23, v21
	v_ashrrev_i32_e32 v22, 8, v22
	v_add_u32_e32 v21, 0x3c000000, v21
	s_mov_b32 s2, 0x7f800000
	v_and_or_b32 v21, v22, s2, v21
	v_cmp_ne_u32_e64 s[2:3], 0, v20
	v_cndmask_b32_e64 v20, 0, v21, s[2:3]
	s_brev_b32 s2, 1
	v_and_or_b32 v17, v17, s2, v20
	v_cmp_eq_f32_e64 s[2:3], s6, v17
	v_cndmask_b32_e64 v20, 0, 1, s[2:3]
	v_cmp_neq_f32_e64 s[2:3], s6, v17
	v_cndmask_b32_e64 v17, 0, 1, s[2:3]
	v_cndmask_b32_e64 v17, v17, v20, s[0:1]
	v_and_b32_e32 v18, 0xffffff00, v15
	v_and_b32_e32 v17, 1, v17
	v_or_b32_e32 v17, v17, v18
	v_and_b32_e32 v17, 0xffff, v17
	s_mov_b32 s2, 0xffff0000
	v_and_or_b32 v15, v15, s2, v17
.LBB279_45:
	s_or_b64 exec, exec, s[4:5]
	v_or_b32_e32 v17, 0x500, v0
	v_cmp_gt_i32_e64 s[2:3], s8, v17
	s_and_saveexec_b64 s[4:5], s[2:3]
	s_cbranch_execz .LBB279_47
; %bb.46:
	v_lshlrev_b32_e32 v16, 24, v16
	v_and_b32_e32 v17, 0x7f000000, v16
	v_ffbh_u32_e32 v18, v17
	v_min_u32_e32 v18, 32, v18
	v_sub_u32_e64 v18, v18, 4 clamp
	v_lshlrev_b32_e32 v21, v18, v17
	v_lshrrev_b32_e32 v21, 4, v21
	v_lshlrev_b32_e32 v18, 23, v18
	v_add_u32_e32 v20, 0x1000000, v17
	v_sub_u32_e32 v18, v21, v18
	v_ashrrev_i32_e32 v20, 8, v20
	v_add_u32_e32 v18, 0x3c000000, v18
	s_mov_b32 s2, 0x7f800000
	v_and_or_b32 v18, v20, s2, v18
	v_cmp_ne_u32_e64 s[2:3], 0, v17
	v_cndmask_b32_e64 v17, 0, v18, s[2:3]
	s_brev_b32 s2, 1
	v_and_or_b32 v16, v16, s2, v17
	v_cmp_eq_f32_e64 s[2:3], s6, v16
	v_cndmask_b32_e64 v17, 0, 1, s[2:3]
	v_cmp_neq_f32_e64 s[2:3], s6, v16
	v_cndmask_b32_e64 v16, 0, 1, s[2:3]
	v_cndmask_b32_e64 v16, v16, v17, s[0:1]
	v_mov_b32_e32 v17, 1
	v_and_b32_sdwa v16, v16, v17 dst_sel:BYTE_1 dst_unused:UNUSED_PAD src0_sel:DWORD src1_sel:DWORD
	v_or_b32_sdwa v16, v15, v16 dst_sel:DWORD dst_unused:UNUSED_PAD src0_sel:BYTE_0 src1_sel:DWORD
	v_and_b32_e32 v16, 0xffff, v16
	s_mov_b32 s2, 0xffff0000
	v_and_or_b32 v15, v15, s2, v16
.LBB279_47:
	s_or_b64 exec, exec, s[4:5]
	v_or_b32_e32 v16, 0x600, v0
	v_cmp_gt_i32_e64 s[2:3], s8, v16
	s_and_saveexec_b64 s[4:5], s[2:3]
	s_cbranch_execz .LBB279_49
; %bb.48:
	v_lshlrev_b32_e32 v14, 24, v14
	v_and_b32_e32 v17, 0x7f000000, v14
	v_ffbh_u32_e32 v18, v17
	v_min_u32_e32 v18, 32, v18
	v_sub_u32_e64 v18, v18, 4 clamp
	v_lshlrev_b32_e32 v21, v18, v17
	v_lshrrev_b32_e32 v21, 4, v21
	v_lshlrev_b32_e32 v18, 23, v18
	s_movk_i32 s2, 0xff00
	v_add_u32_e32 v20, 0x1000000, v17
	v_sub_u32_e32 v18, v21, v18
	v_and_b32_sdwa v16, v15, s2 dst_sel:DWORD dst_unused:UNUSED_PAD src0_sel:WORD_1 src1_sel:DWORD
	v_ashrrev_i32_e32 v20, 8, v20
	v_add_u32_e32 v18, 0x3c000000, v18
	s_mov_b32 s2, 0x7f800000
	v_and_or_b32 v18, v20, s2, v18
	v_cmp_ne_u32_e64 s[2:3], 0, v17
	v_cndmask_b32_e64 v17, 0, v18, s[2:3]
	s_brev_b32 s2, 1
	v_and_or_b32 v14, v14, s2, v17
	v_cmp_eq_f32_e64 s[2:3], s6, v14
	v_cndmask_b32_e64 v17, 0, 1, s[2:3]
	v_cmp_neq_f32_e64 s[2:3], s6, v14
	v_cndmask_b32_e64 v14, 0, 1, s[2:3]
	v_cndmask_b32_e64 v14, v14, v17, s[0:1]
	v_and_b32_e32 v14, 1, v14
	v_or_b32_sdwa v14, v14, v16 dst_sel:WORD_1 dst_unused:UNUSED_PAD src0_sel:DWORD src1_sel:DWORD
	s_mov_b32 s2, 0xffff
	v_and_or_b32 v15, v15, s2, v14
.LBB279_49:
	s_or_b64 exec, exec, s[4:5]
	v_or_b32_e32 v14, 0x700, v0
	v_cmp_gt_i32_e64 s[2:3], s8, v14
	s_and_saveexec_b64 s[4:5], s[2:3]
	s_cbranch_execz .LBB279_51
; %bb.50:
	v_lshlrev_b32_e32 v13, 24, v13
	v_and_b32_e32 v16, 0x7f000000, v13
	v_ffbh_u32_e32 v17, v16
	v_min_u32_e32 v17, 32, v17
	v_sub_u32_e64 v17, v17, 4 clamp
	v_lshlrev_b32_e32 v20, v17, v16
	v_lshrrev_b32_e32 v20, 4, v20
	v_lshlrev_b32_e32 v17, 23, v17
	s_movk_i32 s2, 0xff
	v_add_u32_e32 v18, 0x1000000, v16
	v_sub_u32_e32 v17, v20, v17
	v_and_b32_sdwa v14, v15, s2 dst_sel:DWORD dst_unused:UNUSED_PAD src0_sel:WORD_1 src1_sel:DWORD
	v_ashrrev_i32_e32 v18, 8, v18
	v_add_u32_e32 v17, 0x3c000000, v17
	s_mov_b32 s2, 0x7f800000
	v_and_or_b32 v17, v18, s2, v17
	v_cmp_ne_u32_e64 s[2:3], 0, v16
	v_cndmask_b32_e64 v16, 0, v17, s[2:3]
	s_brev_b32 s2, 1
	v_and_or_b32 v13, v13, s2, v16
	v_cmp_eq_f32_e64 s[2:3], s6, v13
	v_cndmask_b32_e64 v16, 0, 1, s[2:3]
	v_cmp_neq_f32_e64 s[2:3], s6, v13
	v_cndmask_b32_e64 v13, 0, 1, s[2:3]
	v_cndmask_b32_e64 v13, v13, v16, s[0:1]
	v_mov_b32_e32 v16, 1
	v_and_b32_sdwa v13, v13, v16 dst_sel:BYTE_1 dst_unused:UNUSED_PAD src0_sel:DWORD src1_sel:DWORD
	v_or_b32_sdwa v13, v14, v13 dst_sel:WORD_1 dst_unused:UNUSED_PAD src0_sel:DWORD src1_sel:DWORD
	s_mov_b32 s2, 0xffff
	v_and_or_b32 v15, v15, s2, v13
.LBB279_51:
	s_or_b64 exec, exec, s[4:5]
	v_or_b32_e32 v13, 0x800, v0
	v_cmp_gt_i32_e64 s[2:3], s8, v13
	s_and_saveexec_b64 s[4:5], s[2:3]
	s_cbranch_execz .LBB279_53
; %bb.52:
	v_lshlrev_b32_e32 v12, 24, v12
	v_and_b32_e32 v14, 0x7f000000, v12
	v_ffbh_u32_e32 v16, v14
	v_min_u32_e32 v16, 32, v16
	v_sub_u32_e64 v16, v16, 4 clamp
	v_lshlrev_b32_e32 v18, v16, v14
	v_lshrrev_b32_e32 v18, 4, v18
	v_lshlrev_b32_e32 v16, 23, v16
	v_add_u32_e32 v17, 0x1000000, v14
	v_sub_u32_e32 v16, v18, v16
	v_ashrrev_i32_e32 v17, 8, v17
	v_add_u32_e32 v16, 0x3c000000, v16
	s_mov_b32 s2, 0x7f800000
	v_and_or_b32 v16, v17, s2, v16
	v_cmp_ne_u32_e64 s[2:3], 0, v14
	v_cndmask_b32_e64 v14, 0, v16, s[2:3]
	s_brev_b32 s2, 1
	v_and_or_b32 v12, v12, s2, v14
	v_cmp_eq_f32_e64 s[2:3], s6, v12
	v_cndmask_b32_e64 v14, 0, 1, s[2:3]
	v_cmp_neq_f32_e64 s[2:3], s6, v12
	v_cndmask_b32_e64 v12, 0, 1, s[2:3]
	v_cndmask_b32_e64 v12, v12, v14, s[0:1]
	v_and_b32_e32 v13, 0xffffff00, v2
	v_and_b32_e32 v12, 1, v12
	v_or_b32_e32 v12, v12, v13
	v_and_b32_e32 v12, 0xffff, v12
	s_mov_b32 s2, 0xffff0000
	v_and_or_b32 v2, v2, s2, v12
.LBB279_53:
	s_or_b64 exec, exec, s[4:5]
	v_or_b32_e32 v12, 0x900, v0
	v_cmp_gt_i32_e64 s[2:3], s8, v12
	s_and_saveexec_b64 s[4:5], s[2:3]
	s_cbranch_execz .LBB279_55
; %bb.54:
	v_lshlrev_b32_e32 v11, 24, v11
	v_and_b32_e32 v12, 0x7f000000, v11
	v_ffbh_u32_e32 v13, v12
	v_min_u32_e32 v13, 32, v13
	v_sub_u32_e64 v13, v13, 4 clamp
	v_lshlrev_b32_e32 v16, v13, v12
	v_lshrrev_b32_e32 v16, 4, v16
	v_lshlrev_b32_e32 v13, 23, v13
	v_add_u32_e32 v14, 0x1000000, v12
	v_sub_u32_e32 v13, v16, v13
	v_ashrrev_i32_e32 v14, 8, v14
	v_add_u32_e32 v13, 0x3c000000, v13
	s_mov_b32 s2, 0x7f800000
	v_and_or_b32 v13, v14, s2, v13
	v_cmp_ne_u32_e64 s[2:3], 0, v12
	v_cndmask_b32_e64 v12, 0, v13, s[2:3]
	s_brev_b32 s2, 1
	v_and_or_b32 v11, v11, s2, v12
	v_cmp_eq_f32_e64 s[2:3], s6, v11
	v_cndmask_b32_e64 v12, 0, 1, s[2:3]
	v_cmp_neq_f32_e64 s[2:3], s6, v11
	v_cndmask_b32_e64 v11, 0, 1, s[2:3]
	v_cndmask_b32_e64 v11, v11, v12, s[0:1]
	v_mov_b32_e32 v12, 1
	v_and_b32_sdwa v11, v11, v12 dst_sel:BYTE_1 dst_unused:UNUSED_PAD src0_sel:DWORD src1_sel:DWORD
	v_or_b32_sdwa v11, v2, v11 dst_sel:DWORD dst_unused:UNUSED_PAD src0_sel:BYTE_0 src1_sel:DWORD
	v_and_b32_e32 v11, 0xffff, v11
	s_mov_b32 s2, 0xffff0000
	v_and_or_b32 v2, v2, s2, v11
.LBB279_55:
	s_or_b64 exec, exec, s[4:5]
	v_or_b32_e32 v11, 0xa00, v0
	v_cmp_gt_i32_e64 s[2:3], s8, v11
	s_and_saveexec_b64 s[4:5], s[2:3]
	s_cbranch_execz .LBB279_57
; %bb.56:
	v_lshlrev_b32_e32 v10, 24, v10
	v_and_b32_e32 v12, 0x7f000000, v10
	v_ffbh_u32_e32 v13, v12
	v_min_u32_e32 v13, 32, v13
	v_sub_u32_e64 v13, v13, 4 clamp
	v_lshlrev_b32_e32 v16, v13, v12
	v_lshrrev_b32_e32 v16, 4, v16
	v_lshlrev_b32_e32 v13, 23, v13
	s_movk_i32 s2, 0xff00
	v_add_u32_e32 v14, 0x1000000, v12
	v_sub_u32_e32 v13, v16, v13
	v_and_b32_sdwa v11, v2, s2 dst_sel:DWORD dst_unused:UNUSED_PAD src0_sel:WORD_1 src1_sel:DWORD
	v_ashrrev_i32_e32 v14, 8, v14
	v_add_u32_e32 v13, 0x3c000000, v13
	s_mov_b32 s2, 0x7f800000
	v_and_or_b32 v13, v14, s2, v13
	v_cmp_ne_u32_e64 s[2:3], 0, v12
	v_cndmask_b32_e64 v12, 0, v13, s[2:3]
	s_brev_b32 s2, 1
	v_and_or_b32 v10, v10, s2, v12
	v_cmp_eq_f32_e64 s[2:3], s6, v10
	v_cndmask_b32_e64 v12, 0, 1, s[2:3]
	v_cmp_neq_f32_e64 s[2:3], s6, v10
	v_cndmask_b32_e64 v10, 0, 1, s[2:3]
	v_cndmask_b32_e64 v10, v10, v12, s[0:1]
	v_and_b32_e32 v10, 1, v10
	v_or_b32_sdwa v10, v10, v11 dst_sel:WORD_1 dst_unused:UNUSED_PAD src0_sel:DWORD src1_sel:DWORD
	s_mov_b32 s2, 0xffff
	v_and_or_b32 v2, v2, s2, v10
.LBB279_57:
	s_or_b64 exec, exec, s[4:5]
	v_or_b32_e32 v10, 0xb00, v0
	v_cmp_gt_i32_e64 s[2:3], s8, v10
	s_and_saveexec_b64 s[4:5], s[2:3]
	s_cbranch_execz .LBB279_59
; %bb.58:
	v_lshlrev_b32_e32 v9, 24, v9
	v_and_b32_e32 v11, 0x7f000000, v9
	v_ffbh_u32_e32 v12, v11
	v_min_u32_e32 v12, 32, v12
	v_sub_u32_e64 v12, v12, 4 clamp
	v_lshlrev_b32_e32 v14, v12, v11
	v_lshrrev_b32_e32 v14, 4, v14
	v_lshlrev_b32_e32 v12, 23, v12
	s_movk_i32 s2, 0xff
	v_add_u32_e32 v13, 0x1000000, v11
	v_sub_u32_e32 v12, v14, v12
	v_and_b32_sdwa v10, v2, s2 dst_sel:DWORD dst_unused:UNUSED_PAD src0_sel:WORD_1 src1_sel:DWORD
	v_ashrrev_i32_e32 v13, 8, v13
	v_add_u32_e32 v12, 0x3c000000, v12
	s_mov_b32 s2, 0x7f800000
	v_and_or_b32 v12, v13, s2, v12
	v_cmp_ne_u32_e64 s[2:3], 0, v11
	v_cndmask_b32_e64 v11, 0, v12, s[2:3]
	s_brev_b32 s2, 1
	v_and_or_b32 v9, v9, s2, v11
	v_cmp_eq_f32_e64 s[2:3], s6, v9
	v_cndmask_b32_e64 v11, 0, 1, s[2:3]
	v_cmp_neq_f32_e64 s[2:3], s6, v9
	v_cndmask_b32_e64 v9, 0, 1, s[2:3]
	v_cndmask_b32_e64 v9, v9, v11, s[0:1]
	v_mov_b32_e32 v11, 1
	v_and_b32_sdwa v9, v9, v11 dst_sel:BYTE_1 dst_unused:UNUSED_PAD src0_sel:DWORD src1_sel:DWORD
	v_or_b32_sdwa v9, v10, v9 dst_sel:WORD_1 dst_unused:UNUSED_PAD src0_sel:DWORD src1_sel:DWORD
	s_mov_b32 s2, 0xffff
	v_and_or_b32 v2, v2, s2, v9
.LBB279_59:
	s_or_b64 exec, exec, s[4:5]
	v_or_b32_e32 v9, 0xc00, v0
	v_cmp_gt_i32_e64 s[2:3], s8, v9
	s_and_saveexec_b64 s[4:5], s[2:3]
	s_cbranch_execz .LBB279_61
; %bb.60:
	v_lshlrev_b32_e32 v8, 24, v8
	v_and_b32_e32 v10, 0x7f000000, v8
	v_ffbh_u32_e32 v11, v10
	v_min_u32_e32 v11, 32, v11
	v_sub_u32_e64 v11, v11, 4 clamp
	v_lshlrev_b32_e32 v13, v11, v10
	v_lshrrev_b32_e32 v13, 4, v13
	v_lshlrev_b32_e32 v11, 23, v11
	v_add_u32_e32 v12, 0x1000000, v10
	v_sub_u32_e32 v11, v13, v11
	v_ashrrev_i32_e32 v12, 8, v12
	v_add_u32_e32 v11, 0x3c000000, v11
	s_mov_b32 s2, 0x7f800000
	v_and_or_b32 v11, v12, s2, v11
	v_cmp_ne_u32_e64 s[2:3], 0, v10
	v_cndmask_b32_e64 v10, 0, v11, s[2:3]
	s_brev_b32 s2, 1
	v_and_or_b32 v8, v8, s2, v10
	v_cmp_eq_f32_e64 s[2:3], s6, v8
	v_cndmask_b32_e64 v10, 0, 1, s[2:3]
	v_cmp_neq_f32_e64 s[2:3], s6, v8
	v_cndmask_b32_e64 v8, 0, 1, s[2:3]
	v_cndmask_b32_e64 v8, v8, v10, s[0:1]
	v_and_b32_e32 v9, 0xffffff00, v1
	v_and_b32_e32 v8, 1, v8
	v_or_b32_e32 v8, v8, v9
	v_and_b32_e32 v8, 0xffff, v8
	s_mov_b32 s2, 0xffff0000
	v_and_or_b32 v1, v1, s2, v8
.LBB279_61:
	s_or_b64 exec, exec, s[4:5]
	v_or_b32_e32 v8, 0xd00, v0
	v_cmp_gt_i32_e64 s[2:3], s8, v8
	s_and_saveexec_b64 s[4:5], s[2:3]
	s_cbranch_execz .LBB279_63
; %bb.62:
	v_lshlrev_b32_e32 v7, 24, v7
	v_and_b32_e32 v8, 0x7f000000, v7
	v_ffbh_u32_e32 v9, v8
	v_min_u32_e32 v9, 32, v9
	v_sub_u32_e64 v9, v9, 4 clamp
	v_lshlrev_b32_e32 v11, v9, v8
	v_lshrrev_b32_e32 v11, 4, v11
	v_lshlrev_b32_e32 v9, 23, v9
	v_add_u32_e32 v10, 0x1000000, v8
	v_sub_u32_e32 v9, v11, v9
	v_ashrrev_i32_e32 v10, 8, v10
	v_add_u32_e32 v9, 0x3c000000, v9
	s_mov_b32 s2, 0x7f800000
	v_and_or_b32 v9, v10, s2, v9
	v_cmp_ne_u32_e64 s[2:3], 0, v8
	v_cndmask_b32_e64 v8, 0, v9, s[2:3]
	s_brev_b32 s2, 1
	v_and_or_b32 v7, v7, s2, v8
	v_cmp_eq_f32_e64 s[2:3], s6, v7
	v_cndmask_b32_e64 v8, 0, 1, s[2:3]
	v_cmp_neq_f32_e64 s[2:3], s6, v7
	v_cndmask_b32_e64 v7, 0, 1, s[2:3]
	v_cndmask_b32_e64 v7, v7, v8, s[0:1]
	v_mov_b32_e32 v8, 1
	v_and_b32_sdwa v7, v7, v8 dst_sel:BYTE_1 dst_unused:UNUSED_PAD src0_sel:DWORD src1_sel:DWORD
	v_or_b32_sdwa v7, v1, v7 dst_sel:DWORD dst_unused:UNUSED_PAD src0_sel:BYTE_0 src1_sel:DWORD
	v_and_b32_e32 v7, 0xffff, v7
	s_mov_b32 s2, 0xffff0000
	v_and_or_b32 v1, v1, s2, v7
.LBB279_63:
	s_or_b64 exec, exec, s[4:5]
	v_or_b32_e32 v7, 0xe00, v0
	v_cmp_gt_i32_e64 s[2:3], s8, v7
	s_and_saveexec_b64 s[4:5], s[2:3]
	s_cbranch_execz .LBB279_65
; %bb.64:
	v_lshlrev_b32_e32 v6, 24, v6
	v_and_b32_e32 v8, 0x7f000000, v6
	v_ffbh_u32_e32 v9, v8
	v_min_u32_e32 v9, 32, v9
	v_sub_u32_e64 v9, v9, 4 clamp
	v_lshlrev_b32_e32 v11, v9, v8
	v_lshrrev_b32_e32 v11, 4, v11
	v_lshlrev_b32_e32 v9, 23, v9
	s_movk_i32 s2, 0xff00
	v_add_u32_e32 v10, 0x1000000, v8
	v_sub_u32_e32 v9, v11, v9
	v_and_b32_sdwa v7, v1, s2 dst_sel:DWORD dst_unused:UNUSED_PAD src0_sel:WORD_1 src1_sel:DWORD
	v_ashrrev_i32_e32 v10, 8, v10
	v_add_u32_e32 v9, 0x3c000000, v9
	s_mov_b32 s2, 0x7f800000
	v_and_or_b32 v9, v10, s2, v9
	v_cmp_ne_u32_e64 s[2:3], 0, v8
	v_cndmask_b32_e64 v8, 0, v9, s[2:3]
	s_brev_b32 s2, 1
	v_and_or_b32 v6, v6, s2, v8
	v_cmp_eq_f32_e64 s[2:3], s6, v6
	v_cndmask_b32_e64 v8, 0, 1, s[2:3]
	v_cmp_neq_f32_e64 s[2:3], s6, v6
	v_cndmask_b32_e64 v6, 0, 1, s[2:3]
	v_cndmask_b32_e64 v6, v6, v8, s[0:1]
	v_and_b32_e32 v6, 1, v6
	v_or_b32_sdwa v6, v6, v7 dst_sel:WORD_1 dst_unused:UNUSED_PAD src0_sel:DWORD src1_sel:DWORD
	s_mov_b32 s2, 0xffff
	v_and_or_b32 v1, v1, s2, v6
.LBB279_65:
	s_or_b64 exec, exec, s[4:5]
	v_or_b32_e32 v6, 0xf00, v0
	v_cmp_gt_i32_e64 s[2:3], s8, v6
	s_and_saveexec_b64 s[4:5], s[2:3]
	s_cbranch_execnz .LBB279_84
; %bb.66:
	s_or_b64 exec, exec, s[4:5]
	s_and_saveexec_b64 s[0:1], vcc
	s_xor_b64 s[0:1], exec, s[0:1]
	s_cbranch_execnz .LBB279_85
.LBB279_67:
	s_or_b64 exec, exec, s[0:1]
	v_cmp_gt_i32_e32 vcc, s8, v0
	s_and_saveexec_b64 s[0:1], vcc
	s_cbranch_execnz .LBB279_86
.LBB279_68:
	s_or_b64 exec, exec, s[0:1]
	v_cmp_gt_i32_e32 vcc, s8, v0
	s_and_saveexec_b64 s[0:1], vcc
	s_cbranch_execnz .LBB279_87
.LBB279_69:
	s_or_b64 exec, exec, s[0:1]
	v_cmp_gt_i32_e32 vcc, s8, v0
	s_and_saveexec_b64 s[0:1], vcc
	s_cbranch_execnz .LBB279_88
.LBB279_70:
	s_or_b64 exec, exec, s[0:1]
	v_cmp_gt_i32_e32 vcc, s8, v0
	s_and_saveexec_b64 s[0:1], vcc
	s_cbranch_execnz .LBB279_89
.LBB279_71:
	s_or_b64 exec, exec, s[0:1]
	v_cmp_gt_i32_e32 vcc, s8, v0
	s_and_saveexec_b64 s[0:1], vcc
	s_cbranch_execnz .LBB279_90
.LBB279_72:
	s_or_b64 exec, exec, s[0:1]
	v_cmp_gt_i32_e32 vcc, s8, v0
	s_and_saveexec_b64 s[0:1], vcc
	s_cbranch_execnz .LBB279_91
.LBB279_73:
	s_or_b64 exec, exec, s[0:1]
	v_cmp_gt_i32_e32 vcc, s8, v0
	s_and_saveexec_b64 s[0:1], vcc
	s_cbranch_execnz .LBB279_92
.LBB279_74:
	s_or_b64 exec, exec, s[0:1]
	v_cmp_gt_i32_e32 vcc, s8, v0
	s_and_saveexec_b64 s[0:1], vcc
	s_cbranch_execnz .LBB279_93
.LBB279_75:
	s_or_b64 exec, exec, s[0:1]
	v_cmp_gt_i32_e32 vcc, s8, v0
	s_and_saveexec_b64 s[0:1], vcc
	s_cbranch_execnz .LBB279_94
.LBB279_76:
	s_or_b64 exec, exec, s[0:1]
	v_cmp_gt_i32_e32 vcc, s8, v0
	s_and_saveexec_b64 s[0:1], vcc
	s_cbranch_execnz .LBB279_95
.LBB279_77:
	s_or_b64 exec, exec, s[0:1]
	v_cmp_gt_i32_e32 vcc, s8, v0
	s_and_saveexec_b64 s[0:1], vcc
	s_cbranch_execnz .LBB279_96
.LBB279_78:
	s_or_b64 exec, exec, s[0:1]
	v_cmp_gt_i32_e32 vcc, s8, v0
	s_and_saveexec_b64 s[0:1], vcc
	s_cbranch_execnz .LBB279_97
.LBB279_79:
	s_or_b64 exec, exec, s[0:1]
	v_cmp_gt_i32_e32 vcc, s8, v0
	s_and_saveexec_b64 s[0:1], vcc
	s_cbranch_execnz .LBB279_98
.LBB279_80:
	s_or_b64 exec, exec, s[0:1]
	v_cmp_gt_i32_e32 vcc, s8, v0
	s_and_saveexec_b64 s[0:1], vcc
	s_cbranch_execnz .LBB279_99
.LBB279_81:
	s_or_b64 exec, exec, s[0:1]
	v_cmp_gt_i32_e32 vcc, s8, v0
	s_and_saveexec_b64 s[0:1], vcc
	s_cbranch_execz .LBB279_83
.LBB279_82:
	v_lshrrev_b32_e32 v1, 24, v1
	v_add_u32_e32 v0, s11, v0
	global_store_byte v0, v1, s[12:13]
.LBB279_83:
	s_endpgm
.LBB279_84:
	v_and_b32_e32 v7, 0x7f000000, v5
	v_ffbh_u32_e32 v8, v7
	v_min_u32_e32 v8, 32, v8
	v_sub_u32_e64 v8, v8, 4 clamp
	v_lshlrev_b32_e32 v10, v8, v7
	v_lshrrev_b32_e32 v10, 4, v10
	v_lshlrev_b32_e32 v8, 23, v8
	s_movk_i32 s2, 0xff
	v_add_u32_e32 v9, 0x1000000, v7
	v_sub_u32_e32 v8, v10, v8
	v_and_b32_sdwa v6, v1, s2 dst_sel:DWORD dst_unused:UNUSED_PAD src0_sel:WORD_1 src1_sel:DWORD
	v_ashrrev_i32_e32 v9, 8, v9
	v_add_u32_e32 v8, 0x3c000000, v8
	s_mov_b32 s2, 0x7f800000
	v_and_or_b32 v8, v9, s2, v8
	v_cmp_ne_u32_e64 s[2:3], 0, v7
	v_cndmask_b32_e64 v7, 0, v8, s[2:3]
	s_brev_b32 s2, 1
	v_and_or_b32 v5, v5, s2, v7
	v_cmp_eq_f32_e64 s[2:3], s6, v5
	v_cndmask_b32_e64 v7, 0, 1, s[2:3]
	v_cmp_neq_f32_e64 s[2:3], s6, v5
	v_cndmask_b32_e64 v5, 0, 1, s[2:3]
	v_cndmask_b32_e64 v5, v5, v7, s[0:1]
	v_mov_b32_e32 v7, 1
	v_and_b32_sdwa v5, v5, v7 dst_sel:BYTE_1 dst_unused:UNUSED_PAD src0_sel:DWORD src1_sel:DWORD
	v_or_b32_sdwa v5, v6, v5 dst_sel:WORD_1 dst_unused:UNUSED_PAD src0_sel:DWORD src1_sel:DWORD
	s_mov_b32 s0, 0xffff
	v_and_or_b32 v1, v1, s0, v5
	s_or_b64 exec, exec, s[4:5]
	s_and_saveexec_b64 s[0:1], vcc
	s_xor_b64 s[0:1], exec, s[0:1]
	s_cbranch_execz .LBB279_67
.LBB279_85:
	v_mov_b32_e32 v0, v19
	global_store_byte v4, v3, s[12:13]
	s_or_b64 exec, exec, s[0:1]
	v_cmp_gt_i32_e32 vcc, s8, v0
	s_and_saveexec_b64 s[0:1], vcc
	s_cbranch_execz .LBB279_68
.LBB279_86:
	v_lshrrev_b32_e32 v4, 8, v3
	v_add_u32_e32 v5, s11, v0
	v_add_u32_e32 v0, 0x100, v0
	global_store_byte v5, v4, s[12:13]
	s_or_b64 exec, exec, s[0:1]
	v_cmp_gt_i32_e32 vcc, s8, v0
	s_and_saveexec_b64 s[0:1], vcc
	s_cbranch_execz .LBB279_69
.LBB279_87:
	v_add_u32_e32 v4, s11, v0
	v_add_u32_e32 v0, 0x100, v0
	global_store_byte_d16_hi v4, v3, s[12:13]
	s_or_b64 exec, exec, s[0:1]
	v_cmp_gt_i32_e32 vcc, s8, v0
	s_and_saveexec_b64 s[0:1], vcc
	s_cbranch_execz .LBB279_70
.LBB279_88:
	v_lshrrev_b32_e32 v3, 24, v3
	v_add_u32_e32 v4, s11, v0
	v_add_u32_e32 v0, 0x100, v0
	global_store_byte v4, v3, s[12:13]
	s_or_b64 exec, exec, s[0:1]
	v_cmp_gt_i32_e32 vcc, s8, v0
	s_and_saveexec_b64 s[0:1], vcc
	s_cbranch_execz .LBB279_71
.LBB279_89:
	v_add_u32_e32 v3, s11, v0
	v_add_u32_e32 v0, 0x100, v0
	global_store_byte v3, v15, s[12:13]
	s_or_b64 exec, exec, s[0:1]
	v_cmp_gt_i32_e32 vcc, s8, v0
	s_and_saveexec_b64 s[0:1], vcc
	s_cbranch_execz .LBB279_72
.LBB279_90:
	v_lshrrev_b32_e32 v3, 8, v15
	v_add_u32_e32 v4, s11, v0
	v_add_u32_e32 v0, 0x100, v0
	global_store_byte v4, v3, s[12:13]
	s_or_b64 exec, exec, s[0:1]
	v_cmp_gt_i32_e32 vcc, s8, v0
	s_and_saveexec_b64 s[0:1], vcc
	s_cbranch_execz .LBB279_73
.LBB279_91:
	v_add_u32_e32 v3, s11, v0
	v_add_u32_e32 v0, 0x100, v0
	global_store_byte_d16_hi v3, v15, s[12:13]
	s_or_b64 exec, exec, s[0:1]
	v_cmp_gt_i32_e32 vcc, s8, v0
	s_and_saveexec_b64 s[0:1], vcc
	s_cbranch_execz .LBB279_74
.LBB279_92:
	v_lshrrev_b32_e32 v3, 24, v15
	v_add_u32_e32 v4, s11, v0
	v_add_u32_e32 v0, 0x100, v0
	global_store_byte v4, v3, s[12:13]
	s_or_b64 exec, exec, s[0:1]
	v_cmp_gt_i32_e32 vcc, s8, v0
	s_and_saveexec_b64 s[0:1], vcc
	s_cbranch_execz .LBB279_75
.LBB279_93:
	v_add_u32_e32 v3, s11, v0
	v_add_u32_e32 v0, 0x100, v0
	global_store_byte v3, v2, s[12:13]
	s_or_b64 exec, exec, s[0:1]
	v_cmp_gt_i32_e32 vcc, s8, v0
	s_and_saveexec_b64 s[0:1], vcc
	s_cbranch_execz .LBB279_76
.LBB279_94:
	v_lshrrev_b32_e32 v3, 8, v2
	v_add_u32_e32 v4, s11, v0
	v_add_u32_e32 v0, 0x100, v0
	global_store_byte v4, v3, s[12:13]
	s_or_b64 exec, exec, s[0:1]
	v_cmp_gt_i32_e32 vcc, s8, v0
	s_and_saveexec_b64 s[0:1], vcc
	s_cbranch_execz .LBB279_77
.LBB279_95:
	v_add_u32_e32 v3, s11, v0
	v_add_u32_e32 v0, 0x100, v0
	global_store_byte_d16_hi v3, v2, s[12:13]
	s_or_b64 exec, exec, s[0:1]
	v_cmp_gt_i32_e32 vcc, s8, v0
	s_and_saveexec_b64 s[0:1], vcc
	s_cbranch_execz .LBB279_78
.LBB279_96:
	v_lshrrev_b32_e32 v2, 24, v2
	v_add_u32_e32 v3, s11, v0
	v_add_u32_e32 v0, 0x100, v0
	global_store_byte v3, v2, s[12:13]
	s_or_b64 exec, exec, s[0:1]
	v_cmp_gt_i32_e32 vcc, s8, v0
	s_and_saveexec_b64 s[0:1], vcc
	s_cbranch_execz .LBB279_79
.LBB279_97:
	v_add_u32_e32 v2, s11, v0
	v_add_u32_e32 v0, 0x100, v0
	global_store_byte v2, v1, s[12:13]
	s_or_b64 exec, exec, s[0:1]
	v_cmp_gt_i32_e32 vcc, s8, v0
	s_and_saveexec_b64 s[0:1], vcc
	s_cbranch_execz .LBB279_80
.LBB279_98:
	v_lshrrev_b32_e32 v2, 8, v1
	v_add_u32_e32 v3, s11, v0
	v_add_u32_e32 v0, 0x100, v0
	global_store_byte v3, v2, s[12:13]
	s_or_b64 exec, exec, s[0:1]
	v_cmp_gt_i32_e32 vcc, s8, v0
	s_and_saveexec_b64 s[0:1], vcc
	s_cbranch_execz .LBB279_81
.LBB279_99:
	v_add_u32_e32 v2, s11, v0
	v_add_u32_e32 v0, 0x100, v0
	global_store_byte_d16_hi v2, v1, s[12:13]
	s_or_b64 exec, exec, s[0:1]
	v_cmp_gt_i32_e32 vcc, s8, v0
	s_and_saveexec_b64 s[0:1], vcc
	s_cbranch_execnz .LBB279_82
	s_branch .LBB279_83
	.section	.rodata,"a",@progbits
	.p2align	6, 0x0
	.amdhsa_kernel _ZN2at6native29vectorized_elementwise_kernelILi4ENS0_13AUnaryFunctorIN3c1013Float8_e4m3fnES4_bNS0_12_GLOBAL__N_116CompareEqFunctorIS4_EEEESt5arrayIPcLm2EEEEviT0_T1_
		.amdhsa_group_segment_fixed_size 0
		.amdhsa_private_segment_fixed_size 0
		.amdhsa_kernarg_size 32
		.amdhsa_user_sgpr_count 6
		.amdhsa_user_sgpr_private_segment_buffer 1
		.amdhsa_user_sgpr_dispatch_ptr 0
		.amdhsa_user_sgpr_queue_ptr 0
		.amdhsa_user_sgpr_kernarg_segment_ptr 1
		.amdhsa_user_sgpr_dispatch_id 0
		.amdhsa_user_sgpr_flat_scratch_init 0
		.amdhsa_user_sgpr_private_segment_size 0
		.amdhsa_uses_dynamic_stack 0
		.amdhsa_system_sgpr_private_segment_wavefront_offset 0
		.amdhsa_system_sgpr_workgroup_id_x 1
		.amdhsa_system_sgpr_workgroup_id_y 0
		.amdhsa_system_sgpr_workgroup_id_z 0
		.amdhsa_system_sgpr_workgroup_info 0
		.amdhsa_system_vgpr_workitem_id 0
		.amdhsa_next_free_vgpr 26
		.amdhsa_next_free_sgpr 42
		.amdhsa_reserve_vcc 1
		.amdhsa_reserve_flat_scratch 0
		.amdhsa_float_round_mode_32 0
		.amdhsa_float_round_mode_16_64 0
		.amdhsa_float_denorm_mode_32 3
		.amdhsa_float_denorm_mode_16_64 3
		.amdhsa_dx10_clamp 1
		.amdhsa_ieee_mode 1
		.amdhsa_fp16_overflow 0
		.amdhsa_exception_fp_ieee_invalid_op 0
		.amdhsa_exception_fp_denorm_src 0
		.amdhsa_exception_fp_ieee_div_zero 0
		.amdhsa_exception_fp_ieee_overflow 0
		.amdhsa_exception_fp_ieee_underflow 0
		.amdhsa_exception_fp_ieee_inexact 0
		.amdhsa_exception_int_div_zero 0
	.end_amdhsa_kernel
	.section	.text._ZN2at6native29vectorized_elementwise_kernelILi4ENS0_13AUnaryFunctorIN3c1013Float8_e4m3fnES4_bNS0_12_GLOBAL__N_116CompareEqFunctorIS4_EEEESt5arrayIPcLm2EEEEviT0_T1_,"axG",@progbits,_ZN2at6native29vectorized_elementwise_kernelILi4ENS0_13AUnaryFunctorIN3c1013Float8_e4m3fnES4_bNS0_12_GLOBAL__N_116CompareEqFunctorIS4_EEEESt5arrayIPcLm2EEEEviT0_T1_,comdat
.Lfunc_end279:
	.size	_ZN2at6native29vectorized_elementwise_kernelILi4ENS0_13AUnaryFunctorIN3c1013Float8_e4m3fnES4_bNS0_12_GLOBAL__N_116CompareEqFunctorIS4_EEEESt5arrayIPcLm2EEEEviT0_T1_, .Lfunc_end279-_ZN2at6native29vectorized_elementwise_kernelILi4ENS0_13AUnaryFunctorIN3c1013Float8_e4m3fnES4_bNS0_12_GLOBAL__N_116CompareEqFunctorIS4_EEEESt5arrayIPcLm2EEEEviT0_T1_
                                        ; -- End function
	.set _ZN2at6native29vectorized_elementwise_kernelILi4ENS0_13AUnaryFunctorIN3c1013Float8_e4m3fnES4_bNS0_12_GLOBAL__N_116CompareEqFunctorIS4_EEEESt5arrayIPcLm2EEEEviT0_T1_.num_vgpr, 26
	.set _ZN2at6native29vectorized_elementwise_kernelILi4ENS0_13AUnaryFunctorIN3c1013Float8_e4m3fnES4_bNS0_12_GLOBAL__N_116CompareEqFunctorIS4_EEEESt5arrayIPcLm2EEEEviT0_T1_.num_agpr, 0
	.set _ZN2at6native29vectorized_elementwise_kernelILi4ENS0_13AUnaryFunctorIN3c1013Float8_e4m3fnES4_bNS0_12_GLOBAL__N_116CompareEqFunctorIS4_EEEESt5arrayIPcLm2EEEEviT0_T1_.numbered_sgpr, 42
	.set _ZN2at6native29vectorized_elementwise_kernelILi4ENS0_13AUnaryFunctorIN3c1013Float8_e4m3fnES4_bNS0_12_GLOBAL__N_116CompareEqFunctorIS4_EEEESt5arrayIPcLm2EEEEviT0_T1_.num_named_barrier, 0
	.set _ZN2at6native29vectorized_elementwise_kernelILi4ENS0_13AUnaryFunctorIN3c1013Float8_e4m3fnES4_bNS0_12_GLOBAL__N_116CompareEqFunctorIS4_EEEESt5arrayIPcLm2EEEEviT0_T1_.private_seg_size, 0
	.set _ZN2at6native29vectorized_elementwise_kernelILi4ENS0_13AUnaryFunctorIN3c1013Float8_e4m3fnES4_bNS0_12_GLOBAL__N_116CompareEqFunctorIS4_EEEESt5arrayIPcLm2EEEEviT0_T1_.uses_vcc, 1
	.set _ZN2at6native29vectorized_elementwise_kernelILi4ENS0_13AUnaryFunctorIN3c1013Float8_e4m3fnES4_bNS0_12_GLOBAL__N_116CompareEqFunctorIS4_EEEESt5arrayIPcLm2EEEEviT0_T1_.uses_flat_scratch, 0
	.set _ZN2at6native29vectorized_elementwise_kernelILi4ENS0_13AUnaryFunctorIN3c1013Float8_e4m3fnES4_bNS0_12_GLOBAL__N_116CompareEqFunctorIS4_EEEESt5arrayIPcLm2EEEEviT0_T1_.has_dyn_sized_stack, 0
	.set _ZN2at6native29vectorized_elementwise_kernelILi4ENS0_13AUnaryFunctorIN3c1013Float8_e4m3fnES4_bNS0_12_GLOBAL__N_116CompareEqFunctorIS4_EEEESt5arrayIPcLm2EEEEviT0_T1_.has_recursion, 0
	.set _ZN2at6native29vectorized_elementwise_kernelILi4ENS0_13AUnaryFunctorIN3c1013Float8_e4m3fnES4_bNS0_12_GLOBAL__N_116CompareEqFunctorIS4_EEEESt5arrayIPcLm2EEEEviT0_T1_.has_indirect_call, 0
	.section	.AMDGPU.csdata,"",@progbits
; Kernel info:
; codeLenInByte = 8140
; TotalNumSgprs: 46
; NumVgprs: 26
; ScratchSize: 0
; MemoryBound: 0
; FloatMode: 240
; IeeeMode: 1
; LDSByteSize: 0 bytes/workgroup (compile time only)
; SGPRBlocks: 5
; VGPRBlocks: 6
; NumSGPRsForWavesPerEU: 46
; NumVGPRsForWavesPerEU: 26
; Occupancy: 9
; WaveLimiterHint : 1
; COMPUTE_PGM_RSRC2:SCRATCH_EN: 0
; COMPUTE_PGM_RSRC2:USER_SGPR: 6
; COMPUTE_PGM_RSRC2:TRAP_HANDLER: 0
; COMPUTE_PGM_RSRC2:TGID_X_EN: 1
; COMPUTE_PGM_RSRC2:TGID_Y_EN: 0
; COMPUTE_PGM_RSRC2:TGID_Z_EN: 0
; COMPUTE_PGM_RSRC2:TIDIG_COMP_CNT: 0
	.section	.text._ZN2at6native29vectorized_elementwise_kernelILi2ENS0_13AUnaryFunctorIN3c1013Float8_e4m3fnES4_bNS0_12_GLOBAL__N_116CompareEqFunctorIS4_EEEESt5arrayIPcLm2EEEEviT0_T1_,"axG",@progbits,_ZN2at6native29vectorized_elementwise_kernelILi2ENS0_13AUnaryFunctorIN3c1013Float8_e4m3fnES4_bNS0_12_GLOBAL__N_116CompareEqFunctorIS4_EEEESt5arrayIPcLm2EEEEviT0_T1_,comdat
	.globl	_ZN2at6native29vectorized_elementwise_kernelILi2ENS0_13AUnaryFunctorIN3c1013Float8_e4m3fnES4_bNS0_12_GLOBAL__N_116CompareEqFunctorIS4_EEEESt5arrayIPcLm2EEEEviT0_T1_ ; -- Begin function _ZN2at6native29vectorized_elementwise_kernelILi2ENS0_13AUnaryFunctorIN3c1013Float8_e4m3fnES4_bNS0_12_GLOBAL__N_116CompareEqFunctorIS4_EEEESt5arrayIPcLm2EEEEviT0_T1_
	.p2align	8
	.type	_ZN2at6native29vectorized_elementwise_kernelILi2ENS0_13AUnaryFunctorIN3c1013Float8_e4m3fnES4_bNS0_12_GLOBAL__N_116CompareEqFunctorIS4_EEEESt5arrayIPcLm2EEEEviT0_T1_,@function
_ZN2at6native29vectorized_elementwise_kernelILi2ENS0_13AUnaryFunctorIN3c1013Float8_e4m3fnES4_bNS0_12_GLOBAL__N_116CompareEqFunctorIS4_EEEESt5arrayIPcLm2EEEEviT0_T1_: ; @_ZN2at6native29vectorized_elementwise_kernelILi2ENS0_13AUnaryFunctorIN3c1013Float8_e4m3fnES4_bNS0_12_GLOBAL__N_116CompareEqFunctorIS4_EEEESt5arrayIPcLm2EEEEviT0_T1_
; %bb.0:
	s_load_dwordx8 s[8:15], s[4:5], 0x0
	s_waitcnt lgkmcnt(0)
	s_lshl_b32 s11, s6, 12
	s_mov_b64 s[0:1], -1
	s_sub_i32 s8, s8, s11
	s_cmpk_gt_i32 s8, 0xfff
	s_cbranch_scc0 .LBB280_2
; %bb.1:
	s_ashr_i32 s2, s11, 31
	s_add_u32 s0, s14, s11
	s_addc_u32 s1, s15, s2
	v_lshlrev_b32_e32 v1, 1, v0
	global_load_ushort v2, v1, s[0:1]
	global_load_ushort v3, v1, s[0:1] offset:512
	global_load_ushort v5, v1, s[0:1] offset:1024
	;; [unrolled: 1-line block ×7, first 2 shown]
	s_cmp_eq_u32 s9, 0
	s_cselect_b64 vcc, -1, 0
	s_lshl_b32 s0, s10, 24
	s_and_b32 s1, s0, 0x80000000
	s_and_b32 s0, s0, 0x7f000000
	s_flbit_i32_b32 s5, s0
	s_add_i32 s6, s0, 0x1000000
	s_min_u32 s5, s5, 32
	s_ashr_i32 s6, s6, 8
	v_sub_u32_e64 v11, s5, 4 clamp
	s_and_b32 s5, s6, 0x7f800000
	v_readfirstlane_b32 s6, v11
	s_lshl_b32 s7, s0, s6
	s_lshl_b32 s6, s6, 23
	s_lshr_b32 s7, s7, 4
	s_sub_i32 s6, s7, s6
	s_add_i32 s6, s6, 0x3c000000
	s_or_b32 s5, s6, s5
	s_cmp_lg_u32 s0, 0
	s_mov_b32 s4, 0x7f800000
	s_cselect_b32 s0, s5, 0
	s_or_b32 s5, s0, s1
	s_brev_b32 s3, 1
	v_mov_b32_e32 v4, 1
	s_waitcnt vmcnt(7)
	v_lshlrev_b32_e32 v11, 24, v2
	v_lshrrev_b16_e32 v2, 8, v2
	s_waitcnt vmcnt(6)
	v_lshlrev_b32_e32 v12, 24, v3
	v_and_b32_e32 v13, 0x7f000000, v11
	v_lshlrev_b32_e32 v2, 24, v2
	v_and_b32_e32 v14, 0x7f000000, v12
	v_ffbh_u32_e32 v15, v13
	v_and_b32_e32 v17, 0x7f000000, v2
	v_ffbh_u32_e32 v18, v14
	v_min_u32_e32 v15, 32, v15
	v_ffbh_u32_e32 v20, v17
	v_min_u32_e32 v18, 32, v18
	v_sub_u32_e64 v15, v15, 4 clamp
	v_min_u32_e32 v20, 32, v20
	v_sub_u32_e64 v18, v18, 4 clamp
	v_lshlrev_b32_e32 v22, v15, v13
	v_lshlrev_b32_e32 v15, 23, v15
	v_sub_u32_e64 v20, v20, 4 clamp
	v_lshlrev_b32_e32 v23, v18, v14
	v_lshrrev_b32_e32 v22, 4, v22
	v_add_u32_e32 v16, 0x1000000, v13
	v_lshlrev_b32_e32 v18, 23, v18
	v_sub_u32_e32 v15, v22, v15
	v_lshlrev_b32_e32 v22, v20, v17
	v_lshrrev_b32_e32 v23, 4, v23
	v_add_u32_e32 v19, 0x1000000, v14
	v_ashrrev_i32_e32 v16, 8, v16
	v_lshlrev_b32_e32 v20, 23, v20
	v_lshrrev_b32_e32 v22, 4, v22
	v_sub_u32_e32 v18, v23, v18
	v_add_u32_e32 v15, 0x3c000000, v15
	v_add_u32_e32 v21, 0x1000000, v17
	v_ashrrev_i32_e32 v19, 8, v19
	v_sub_u32_e32 v20, v22, v20
	v_add_u32_e32 v18, 0x3c000000, v18
	v_and_or_b32 v15, v16, s4, v15
	v_cmp_ne_u32_e64 s[0:1], 0, v13
	v_ashrrev_i32_e32 v21, 8, v21
	v_add_u32_e32 v16, 0x3c000000, v20
	v_and_or_b32 v18, v19, s4, v18
	v_cndmask_b32_e64 v13, 0, v15, s[0:1]
	v_cmp_ne_u32_e64 s[0:1], 0, v14
	v_and_or_b32 v15, v21, s4, v16
	v_cndmask_b32_e64 v14, 0, v18, s[0:1]
	v_and_or_b32 v11, v11, s3, v13
	v_cmp_ne_u32_e64 s[0:1], 0, v17
	v_cndmask_b32_e64 v13, 0, v15, s[0:1]
	v_cmp_eq_f32_e64 s[0:1], s5, v11
	v_and_or_b32 v12, v12, s3, v14
	v_cndmask_b32_e64 v14, 0, 1, s[0:1]
	v_cmp_neq_f32_e64 s[0:1], s5, v11
	v_cndmask_b32_e64 v11, 0, 1, s[0:1]
	v_and_or_b32 v2, v2, s3, v13
	v_cmp_eq_f32_e64 s[0:1], s5, v12
	v_cndmask_b32_e64 v13, 0, 1, s[0:1]
	v_cmp_eq_f32_e64 s[0:1], s5, v2
	v_cndmask_b32_e32 v11, v11, v14, vcc
	v_cndmask_b32_e64 v14, 0, 1, s[0:1]
	v_cmp_neq_f32_e64 s[0:1], s5, v2
	v_cndmask_b32_e64 v2, 0, 1, s[0:1]
	v_cmp_neq_f32_e64 s[0:1], s5, v12
	v_lshrrev_b16_e32 v3, 8, v3
	v_cndmask_b32_e64 v12, 0, 1, s[0:1]
	v_lshlrev_b32_e32 v3, 24, v3
	v_cndmask_b32_e32 v12, v12, v13, vcc
	v_and_b32_e32 v13, 0x7f000000, v3
	v_cndmask_b32_e32 v2, v2, v14, vcc
	v_ffbh_u32_e32 v14, v13
	v_min_u32_e32 v14, 32, v14
	v_sub_u32_e64 v14, v14, 4 clamp
	v_lshlrev_b32_e32 v16, v14, v13
	v_lshrrev_b32_e32 v16, 4, v16
	v_lshlrev_b32_e32 v14, 23, v14
	v_add_u32_e32 v15, 0x1000000, v13
	v_sub_u32_e32 v14, v16, v14
	v_ashrrev_i32_e32 v15, 8, v15
	v_add_u32_e32 v14, 0x3c000000, v14
	v_and_or_b32 v14, v15, s4, v14
	v_cmp_ne_u32_e64 s[0:1], 0, v13
	v_cndmask_b32_e64 v13, 0, v14, s[0:1]
	v_and_or_b32 v3, v3, s3, v13
	v_cmp_eq_f32_e64 s[0:1], s5, v3
	v_cndmask_b32_e64 v13, 0, 1, s[0:1]
	v_cmp_neq_f32_e64 s[0:1], s5, v3
	v_cndmask_b32_e64 v3, 0, 1, s[0:1]
	v_cndmask_b32_e32 v3, v3, v13, vcc
	s_waitcnt vmcnt(5)
	v_lshlrev_b32_e32 v13, 24, v5
	v_and_b32_e32 v14, 0x7f000000, v13
	v_ffbh_u32_e32 v15, v14
	v_min_u32_e32 v15, 32, v15
	v_sub_u32_e64 v15, v15, 4 clamp
	v_lshlrev_b32_e32 v17, v15, v14
	v_lshrrev_b32_e32 v17, 4, v17
	v_lshlrev_b32_e32 v15, 23, v15
	v_add_u32_e32 v16, 0x1000000, v14
	v_sub_u32_e32 v15, v17, v15
	v_ashrrev_i32_e32 v16, 8, v16
	v_add_u32_e32 v15, 0x3c000000, v15
	v_and_or_b32 v15, v16, s4, v15
	v_cmp_ne_u32_e64 s[0:1], 0, v14
	v_cndmask_b32_e64 v14, 0, v15, s[0:1]
	v_and_or_b32 v13, v13, s3, v14
	v_cmp_eq_f32_e64 s[0:1], s5, v13
	v_cndmask_b32_e64 v14, 0, 1, s[0:1]
	v_cmp_neq_f32_e64 s[0:1], s5, v13
	v_lshrrev_b16_e32 v5, 8, v5
	v_cndmask_b32_e64 v13, 0, 1, s[0:1]
	v_lshlrev_b32_e32 v5, 24, v5
	v_cndmask_b32_e32 v13, v13, v14, vcc
	v_and_b32_e32 v14, 0x7f000000, v5
	v_ffbh_u32_e32 v15, v14
	v_min_u32_e32 v15, 32, v15
	v_sub_u32_e64 v15, v15, 4 clamp
	v_lshlrev_b32_e32 v17, v15, v14
	v_lshrrev_b32_e32 v17, 4, v17
	v_lshlrev_b32_e32 v15, 23, v15
	v_add_u32_e32 v16, 0x1000000, v14
	v_sub_u32_e32 v15, v17, v15
	v_ashrrev_i32_e32 v16, 8, v16
	v_add_u32_e32 v15, 0x3c000000, v15
	v_and_or_b32 v15, v16, s4, v15
	v_cmp_ne_u32_e64 s[0:1], 0, v14
	v_cndmask_b32_e64 v14, 0, v15, s[0:1]
	v_and_or_b32 v5, v5, s3, v14
	v_cmp_eq_f32_e64 s[0:1], s5, v5
	v_cndmask_b32_e64 v14, 0, 1, s[0:1]
	v_cmp_neq_f32_e64 s[0:1], s5, v5
	v_cndmask_b32_e64 v5, 0, 1, s[0:1]
	v_cndmask_b32_e32 v5, v5, v14, vcc
	s_waitcnt vmcnt(4)
	v_lshlrev_b32_e32 v14, 24, v6
	v_and_b32_e32 v15, 0x7f000000, v14
	v_ffbh_u32_e32 v16, v15
	v_min_u32_e32 v16, 32, v16
	v_sub_u32_e64 v16, v16, 4 clamp
	v_lshlrev_b32_e32 v18, v16, v15
	v_lshrrev_b32_e32 v18, 4, v18
	v_lshlrev_b32_e32 v16, 23, v16
	v_add_u32_e32 v17, 0x1000000, v15
	v_sub_u32_e32 v16, v18, v16
	v_ashrrev_i32_e32 v17, 8, v17
	v_add_u32_e32 v16, 0x3c000000, v16
	v_and_or_b32 v16, v17, s4, v16
	v_cmp_ne_u32_e64 s[0:1], 0, v15
	v_cndmask_b32_e64 v15, 0, v16, s[0:1]
	v_and_or_b32 v14, v14, s3, v15
	v_cmp_eq_f32_e64 s[0:1], s5, v14
	v_cndmask_b32_e64 v15, 0, 1, s[0:1]
	v_cmp_neq_f32_e64 s[0:1], s5, v14
	v_lshrrev_b16_e32 v6, 8, v6
	v_cndmask_b32_e64 v14, 0, 1, s[0:1]
	v_lshlrev_b32_e32 v6, 24, v6
	v_cndmask_b32_e32 v14, v14, v15, vcc
	v_and_b32_e32 v15, 0x7f000000, v6
	;; [unrolled: 44-line block ×6, first 2 shown]
	v_ffbh_u32_e32 v20, v19
	v_min_u32_e32 v20, 32, v20
	v_sub_u32_e64 v20, v20, 4 clamp
	v_lshlrev_b32_e32 v22, v20, v19
	v_lshrrev_b32_e32 v22, 4, v22
	v_lshlrev_b32_e32 v20, 23, v20
	v_add_u32_e32 v21, 0x1000000, v19
	v_sub_u32_e32 v20, v22, v20
	v_ashrrev_i32_e32 v21, 8, v21
	v_add_u32_e32 v20, 0x3c000000, v20
	v_and_or_b32 v20, v21, s4, v20
	v_cmp_ne_u32_e64 s[0:1], 0, v19
	v_cndmask_b32_e64 v19, 0, v20, s[0:1]
	v_and_or_b32 v10, v10, s3, v19
	v_cmp_eq_f32_e64 s[0:1], s5, v10
	v_cndmask_b32_e64 v19, 0, 1, s[0:1]
	v_cmp_neq_f32_e64 s[0:1], s5, v10
	v_cndmask_b32_e64 v10, 0, 1, s[0:1]
	v_and_b32_e32 v11, 1, v11
	v_and_b32_sdwa v2, v2, v4 dst_sel:BYTE_1 dst_unused:UNUSED_PAD src0_sel:DWORD src1_sel:DWORD
	v_cndmask_b32_e32 v10, v10, v19, vcc
	s_add_u32 s0, s12, s11
	v_and_b32_e32 v12, 1, v12
	v_and_b32_sdwa v3, v3, v4 dst_sel:BYTE_1 dst_unused:UNUSED_PAD src0_sel:DWORD src1_sel:DWORD
	v_and_b32_e32 v13, 1, v13
	v_and_b32_sdwa v5, v5, v4 dst_sel:BYTE_1 dst_unused:UNUSED_PAD src0_sel:DWORD src1_sel:DWORD
	;; [unrolled: 2-line block ×7, first 2 shown]
	v_or_b32_e32 v2, v11, v2
	s_addc_u32 s1, s13, s2
	v_or_b32_e32 v4, v18, v4
	v_or_b32_e32 v9, v17, v9
	;; [unrolled: 1-line block ×7, first 2 shown]
	global_store_short v1, v2, s[0:1]
	global_store_short v1, v3, s[0:1] offset:512
	global_store_short v1, v5, s[0:1] offset:1024
	;; [unrolled: 1-line block ×7, first 2 shown]
	s_mov_b64 s[0:1], 0
.LBB280_2:
	s_andn2_b64 vcc, exec, s[0:1]
	s_cbranch_vccnz .LBB280_83
; %bb.3:
	v_cmp_gt_i32_e32 vcc, s8, v0
	v_mov_b32_e32 v6, 0
	v_mov_b32_e32 v3, 0
	v_or_b32_e32 v4, s11, v0
	v_mov_b32_e32 v5, 0
	v_mov_b32_e32 v7, 0
	;; [unrolled: 1-line block ×15, first 2 shown]
	s_and_saveexec_b64 s[2:3], vcc
	s_cbranch_execz .LBB280_35
; %bb.4:
	global_load_ubyte v19, v4, s[14:15]
	v_or_b32_e32 v1, 0x100, v0
	v_cmp_gt_u32_e64 s[0:1], s8, v1
	v_mov_b32_e32 v5, 0
	v_mov_b32_e32 v21, 0
	;; [unrolled: 1-line block ×15, first 2 shown]
	s_and_saveexec_b64 s[4:5], s[0:1]
	s_cbranch_execz .LBB280_34
; %bb.5:
	v_add_u32_e32 v1, s11, v0
	global_load_ubyte v21, v1, s[14:15] offset:256
	v_or_b32_e32 v2, 0x200, v0
	v_mov_b32_e32 v20, 0
	v_cmp_gt_u32_e64 s[0:1], s8, v2
	v_mov_b32_e32 v18, 0
	v_mov_b32_e32 v17, 0
	;; [unrolled: 1-line block ×13, first 2 shown]
	s_and_saveexec_b64 s[6:7], s[0:1]
	s_cbranch_execz .LBB280_33
; %bb.6:
	v_mov_b32_e32 v2, s15
	v_add_co_u32_e64 v1, s[0:1], s14, v1
	v_addc_co_u32_e64 v2, s[0:1], 0, v2, s[0:1]
	global_load_ubyte v20, v[1:2], off offset:512
	v_or_b32_e32 v5, 0x300, v0
	v_cmp_gt_u32_e64 s[0:1], s8, v5
	v_mov_b32_e32 v5, 0
	v_mov_b32_e32 v18, 0
	;; [unrolled: 1-line block ×13, first 2 shown]
	s_and_saveexec_b64 s[14:15], s[0:1]
	s_cbranch_execz .LBB280_32
; %bb.7:
	global_load_ubyte v18, v[1:2], off offset:768
	v_or_b32_e32 v5, 0x400, v0
	v_cmp_gt_u32_e64 s[0:1], s8, v5
	v_mov_b32_e32 v5, 0
	v_mov_b32_e32 v17, 0
	;; [unrolled: 1-line block ×12, first 2 shown]
	s_and_saveexec_b64 s[16:17], s[0:1]
	s_cbranch_execz .LBB280_31
; %bb.8:
	global_load_ubyte v17, v[1:2], off offset:1024
	v_or_b32_e32 v5, 0x500, v0
	v_cmp_gt_u32_e64 s[0:1], s8, v5
	v_mov_b32_e32 v5, 0
	v_mov_b32_e32 v16, 0
	;; [unrolled: 1-line block ×11, first 2 shown]
	s_and_saveexec_b64 s[18:19], s[0:1]
	s_cbranch_execz .LBB280_30
; %bb.9:
	global_load_ubyte v16, v[1:2], off offset:1280
	v_or_b32_e32 v5, 0x600, v0
	v_cmp_gt_u32_e64 s[0:1], s8, v5
	v_mov_b32_e32 v5, 0
	v_mov_b32_e32 v14, 0
	;; [unrolled: 1-line block ×10, first 2 shown]
	s_and_saveexec_b64 s[20:21], s[0:1]
	s_cbranch_execz .LBB280_29
; %bb.10:
	global_load_ubyte v14, v[1:2], off offset:1536
	v_or_b32_e32 v5, 0x700, v0
	v_cmp_gt_u32_e64 s[0:1], s8, v5
	v_mov_b32_e32 v5, 0
	v_mov_b32_e32 v13, 0
	;; [unrolled: 1-line block ×9, first 2 shown]
	s_and_saveexec_b64 s[22:23], s[0:1]
	s_cbranch_execz .LBB280_28
; %bb.11:
	global_load_ubyte v13, v[1:2], off offset:1792
	v_or_b32_e32 v5, 0x800, v0
	v_cmp_gt_u32_e64 s[0:1], s8, v5
	v_mov_b32_e32 v5, 0
	v_mov_b32_e32 v12, 0
	;; [unrolled: 1-line block ×8, first 2 shown]
	s_and_saveexec_b64 s[24:25], s[0:1]
	s_cbranch_execz .LBB280_27
; %bb.12:
	global_load_ubyte v12, v[1:2], off offset:2048
	v_or_b32_e32 v5, 0x900, v0
	v_cmp_gt_u32_e64 s[0:1], s8, v5
	v_mov_b32_e32 v5, 0
	v_mov_b32_e32 v11, 0
	;; [unrolled: 1-line block ×7, first 2 shown]
	s_and_saveexec_b64 s[26:27], s[0:1]
	s_cbranch_execz .LBB280_26
; %bb.13:
	global_load_ubyte v11, v[1:2], off offset:2304
	v_or_b32_e32 v5, 0xa00, v0
	v_cmp_gt_u32_e64 s[0:1], s8, v5
	v_mov_b32_e32 v5, 0
	v_mov_b32_e32 v10, 0
	;; [unrolled: 1-line block ×6, first 2 shown]
	s_and_saveexec_b64 s[28:29], s[0:1]
	s_cbranch_execz .LBB280_25
; %bb.14:
	global_load_ubyte v10, v[1:2], off offset:2560
	v_or_b32_e32 v5, 0xb00, v0
	v_cmp_gt_u32_e64 s[0:1], s8, v5
	v_mov_b32_e32 v5, 0
	v_mov_b32_e32 v9, 0
	;; [unrolled: 1-line block ×5, first 2 shown]
	s_and_saveexec_b64 s[30:31], s[0:1]
	s_cbranch_execz .LBB280_24
; %bb.15:
	global_load_ubyte v9, v[1:2], off offset:2816
	v_or_b32_e32 v5, 0xc00, v0
	v_cmp_gt_u32_e64 s[0:1], s8, v5
	v_mov_b32_e32 v5, 0
	v_mov_b32_e32 v8, 0
	;; [unrolled: 1-line block ×4, first 2 shown]
	s_and_saveexec_b64 s[34:35], s[0:1]
	s_cbranch_execz .LBB280_23
; %bb.16:
	global_load_ubyte v8, v[1:2], off offset:3072
	v_or_b32_e32 v5, 0xd00, v0
	v_cmp_gt_u32_e64 s[0:1], s8, v5
	v_mov_b32_e32 v5, 0
	v_mov_b32_e32 v7, 0
	;; [unrolled: 1-line block ×3, first 2 shown]
	s_and_saveexec_b64 s[36:37], s[0:1]
	s_cbranch_execz .LBB280_22
; %bb.17:
	global_load_ubyte v7, v[1:2], off offset:3328
	v_or_b32_e32 v5, 0xe00, v0
	v_cmp_gt_u32_e64 s[0:1], s8, v5
	v_mov_b32_e32 v5, 0
	v_mov_b32_e32 v6, 0
	s_and_saveexec_b64 s[38:39], s[0:1]
	s_cbranch_execz .LBB280_21
; %bb.18:
	global_load_ubyte v6, v[1:2], off offset:3584
	v_or_b32_e32 v5, 0xf00, v0
	v_cmp_gt_u32_e64 s[0:1], s8, v5
	v_mov_b32_e32 v5, 0
	s_and_saveexec_b64 s[40:41], s[0:1]
	s_cbranch_execz .LBB280_20
; %bb.19:
	global_load_ubyte v1, v[1:2], off offset:3840
	s_waitcnt vmcnt(0)
	v_lshlrev_b32_e32 v5, 24, v1
.LBB280_20:
	s_or_b64 exec, exec, s[40:41]
.LBB280_21:
	s_or_b64 exec, exec, s[38:39]
.LBB280_22:
	s_or_b64 exec, exec, s[36:37]
.LBB280_23:
	s_or_b64 exec, exec, s[34:35]
.LBB280_24:
	s_or_b64 exec, exec, s[30:31]
.LBB280_25:
	s_or_b64 exec, exec, s[28:29]
.LBB280_26:
	s_or_b64 exec, exec, s[26:27]
.LBB280_27:
	s_or_b64 exec, exec, s[24:25]
.LBB280_28:
	s_or_b64 exec, exec, s[22:23]
.LBB280_29:
	s_or_b64 exec, exec, s[20:21]
.LBB280_30:
	s_or_b64 exec, exec, s[18:19]
.LBB280_31:
	s_or_b64 exec, exec, s[16:17]
.LBB280_32:
	s_or_b64 exec, exec, s[14:15]
.LBB280_33:
	s_or_b64 exec, exec, s[6:7]
.LBB280_34:
	s_or_b64 exec, exec, s[4:5]
.LBB280_35:
	s_or_b64 exec, exec, s[2:3]
	s_cmp_eq_u32 s9, 0
	s_cselect_b64 s[0:1], -1, 0
	s_lshl_b32 s2, s10, 24
	s_and_b32 s4, s2, 0x7f000000
	s_and_b32 s3, s2, 0x80000000
	s_flbit_i32_b32 s2, s4
	s_min_u32 s2, s2, 32
	v_sub_u32_e64 v1, s2, 4 clamp
	v_readfirstlane_b32 s6, v1
	s_lshl_b32 s9, s4, s6
	s_add_i32 s2, s4, 0x1000000
	s_lshr_b32 s9, s9, 4
	s_lshl_b32 s6, s6, 23
	s_ashr_i32 s5, s2, 8
	s_sub_i32 s6, s9, s6
	s_and_b32 s5, s5, 0x7f800000
	s_add_i32 s6, s6, 0x3c000000
	s_or_b32 s5, s6, s5
	s_cmp_lg_u32 s4, 0
	s_cselect_b32 s4, s5, 0
	s_brev_b32 s7, 1
	s_mov_b32 s2, 0x7f800000
	s_or_b32 s6, s4, s3
	v_mov_b32_e32 v15, v3
	v_mov_b32_e32 v2, v3
	;; [unrolled: 1-line block ×3, first 2 shown]
	s_and_saveexec_b64 s[4:5], vcc
	s_cbranch_execz .LBB280_37
; %bb.36:
	s_waitcnt vmcnt(0)
	v_lshlrev_b32_e32 v1, 24, v19
	v_and_b32_e32 v2, 0x7f000000, v1
	v_ffbh_u32_e32 v3, v2
	v_min_u32_e32 v3, 32, v3
	v_sub_u32_e64 v3, v3, 4 clamp
	v_lshlrev_b32_e32 v19, v3, v2
	v_lshrrev_b32_e32 v19, 4, v19
	v_lshlrev_b32_e32 v3, 23, v3
	v_add_u32_e32 v15, 0x1000000, v2
	v_sub_u32_e32 v3, v19, v3
	v_ashrrev_i32_e32 v15, 8, v15
	v_add_u32_e32 v3, 0x3c000000, v3
	v_and_or_b32 v3, v15, s2, v3
	v_cmp_ne_u32_e64 s[2:3], 0, v2
	v_cndmask_b32_e64 v2, 0, v3, s[2:3]
	v_and_or_b32 v1, v1, s7, v2
	v_cmp_eq_f32_e64 s[2:3], s6, v1
	v_cndmask_b32_e64 v2, 0, 1, s[2:3]
	v_cmp_neq_f32_e64 s[2:3], s6, v1
	v_cndmask_b32_e64 v1, 0, 1, s[2:3]
	v_cndmask_b32_e64 v1, v1, v2, s[0:1]
	v_and_b32_e32 v1, 1, v1
	v_mov_b32_e32 v15, 0
	v_and_b32_e32 v3, 0xffff, v1
	v_mov_b32_e32 v2, v15
	v_mov_b32_e32 v1, v15
.LBB280_37:
	s_or_b64 exec, exec, s[4:5]
	s_waitcnt vmcnt(0)
	v_or_b32_e32 v19, 0x100, v0
	v_cmp_gt_i32_e64 s[2:3], s8, v19
	s_and_saveexec_b64 s[4:5], s[2:3]
	s_cbranch_execz .LBB280_39
; %bb.38:
	v_lshlrev_b32_e32 v21, 24, v21
	v_and_b32_e32 v22, 0x7f000000, v21
	v_ffbh_u32_e32 v23, v22
	v_min_u32_e32 v23, 32, v23
	v_sub_u32_e64 v23, v23, 4 clamp
	v_lshlrev_b32_e32 v25, v23, v22
	v_lshrrev_b32_e32 v25, 4, v25
	v_lshlrev_b32_e32 v23, 23, v23
	v_add_u32_e32 v24, 0x1000000, v22
	v_sub_u32_e32 v23, v25, v23
	v_ashrrev_i32_e32 v24, 8, v24
	v_add_u32_e32 v23, 0x3c000000, v23
	s_mov_b32 s2, 0x7f800000
	v_and_or_b32 v23, v24, s2, v23
	v_cmp_ne_u32_e64 s[2:3], 0, v22
	v_cndmask_b32_e64 v22, 0, v23, s[2:3]
	s_brev_b32 s2, 1
	v_and_or_b32 v21, v21, s2, v22
	v_cmp_eq_f32_e64 s[2:3], s6, v21
	v_cndmask_b32_e64 v22, 0, 1, s[2:3]
	v_cmp_neq_f32_e64 s[2:3], s6, v21
	v_cndmask_b32_e64 v21, 0, 1, s[2:3]
	v_cndmask_b32_e64 v21, v21, v22, s[0:1]
	v_mov_b32_e32 v22, 1
	v_and_b32_sdwa v21, v21, v22 dst_sel:BYTE_1 dst_unused:UNUSED_PAD src0_sel:DWORD src1_sel:DWORD
	v_or_b32_sdwa v21, v3, v21 dst_sel:DWORD dst_unused:UNUSED_PAD src0_sel:BYTE_0 src1_sel:DWORD
	v_and_b32_e32 v21, 0xffff, v21
	s_mov_b32 s2, 0xffff0000
	v_and_or_b32 v3, v3, s2, v21
.LBB280_39:
	s_or_b64 exec, exec, s[4:5]
	v_or_b32_e32 v21, 0x200, v0
	v_cmp_gt_i32_e64 s[2:3], s8, v21
	s_and_saveexec_b64 s[4:5], s[2:3]
	s_cbranch_execz .LBB280_41
; %bb.40:
	v_lshlrev_b32_e32 v20, 24, v20
	v_and_b32_e32 v22, 0x7f000000, v20
	v_ffbh_u32_e32 v23, v22
	v_min_u32_e32 v23, 32, v23
	v_sub_u32_e64 v23, v23, 4 clamp
	v_lshlrev_b32_e32 v25, v23, v22
	v_lshrrev_b32_e32 v25, 4, v25
	v_lshlrev_b32_e32 v23, 23, v23
	s_movk_i32 s2, 0xff00
	v_add_u32_e32 v24, 0x1000000, v22
	v_sub_u32_e32 v23, v25, v23
	v_and_b32_sdwa v21, v3, s2 dst_sel:DWORD dst_unused:UNUSED_PAD src0_sel:WORD_1 src1_sel:DWORD
	v_ashrrev_i32_e32 v24, 8, v24
	v_add_u32_e32 v23, 0x3c000000, v23
	s_mov_b32 s2, 0x7f800000
	v_and_or_b32 v23, v24, s2, v23
	v_cmp_ne_u32_e64 s[2:3], 0, v22
	v_cndmask_b32_e64 v22, 0, v23, s[2:3]
	s_brev_b32 s2, 1
	v_and_or_b32 v20, v20, s2, v22
	v_cmp_eq_f32_e64 s[2:3], s6, v20
	v_cndmask_b32_e64 v22, 0, 1, s[2:3]
	v_cmp_neq_f32_e64 s[2:3], s6, v20
	v_cndmask_b32_e64 v20, 0, 1, s[2:3]
	v_cndmask_b32_e64 v20, v20, v22, s[0:1]
	v_and_b32_e32 v20, 1, v20
	v_or_b32_sdwa v20, v20, v21 dst_sel:WORD_1 dst_unused:UNUSED_PAD src0_sel:DWORD src1_sel:DWORD
	s_mov_b32 s2, 0xffff
	v_and_or_b32 v3, v3, s2, v20
.LBB280_41:
	s_or_b64 exec, exec, s[4:5]
	v_or_b32_e32 v20, 0x300, v0
	v_cmp_gt_i32_e64 s[2:3], s8, v20
	s_and_saveexec_b64 s[4:5], s[2:3]
	s_cbranch_execz .LBB280_43
; %bb.42:
	v_lshlrev_b32_e32 v18, 24, v18
	v_and_b32_e32 v21, 0x7f000000, v18
	v_ffbh_u32_e32 v22, v21
	v_min_u32_e32 v22, 32, v22
	v_sub_u32_e64 v22, v22, 4 clamp
	v_lshlrev_b32_e32 v24, v22, v21
	v_lshrrev_b32_e32 v24, 4, v24
	v_lshlrev_b32_e32 v22, 23, v22
	s_movk_i32 s2, 0xff
	v_add_u32_e32 v23, 0x1000000, v21
	v_sub_u32_e32 v22, v24, v22
	v_and_b32_sdwa v20, v3, s2 dst_sel:DWORD dst_unused:UNUSED_PAD src0_sel:WORD_1 src1_sel:DWORD
	v_ashrrev_i32_e32 v23, 8, v23
	v_add_u32_e32 v22, 0x3c000000, v22
	s_mov_b32 s2, 0x7f800000
	v_and_or_b32 v22, v23, s2, v22
	v_cmp_ne_u32_e64 s[2:3], 0, v21
	v_cndmask_b32_e64 v21, 0, v22, s[2:3]
	s_brev_b32 s2, 1
	v_and_or_b32 v18, v18, s2, v21
	v_cmp_eq_f32_e64 s[2:3], s6, v18
	v_cndmask_b32_e64 v21, 0, 1, s[2:3]
	v_cmp_neq_f32_e64 s[2:3], s6, v18
	v_cndmask_b32_e64 v18, 0, 1, s[2:3]
	v_cndmask_b32_e64 v18, v18, v21, s[0:1]
	v_mov_b32_e32 v21, 1
	v_and_b32_sdwa v18, v18, v21 dst_sel:BYTE_1 dst_unused:UNUSED_PAD src0_sel:DWORD src1_sel:DWORD
	v_or_b32_sdwa v18, v20, v18 dst_sel:WORD_1 dst_unused:UNUSED_PAD src0_sel:DWORD src1_sel:DWORD
	s_mov_b32 s2, 0xffff
	v_and_or_b32 v3, v3, s2, v18
.LBB280_43:
	s_or_b64 exec, exec, s[4:5]
	v_or_b32_e32 v18, 0x400, v0
	v_cmp_gt_i32_e64 s[2:3], s8, v18
	s_and_saveexec_b64 s[4:5], s[2:3]
	s_cbranch_execz .LBB280_45
; %bb.44:
	v_lshlrev_b32_e32 v17, 24, v17
	v_and_b32_e32 v20, 0x7f000000, v17
	v_ffbh_u32_e32 v21, v20
	v_min_u32_e32 v21, 32, v21
	v_sub_u32_e64 v21, v21, 4 clamp
	v_lshlrev_b32_e32 v23, v21, v20
	v_lshrrev_b32_e32 v23, 4, v23
	v_lshlrev_b32_e32 v21, 23, v21
	v_add_u32_e32 v22, 0x1000000, v20
	v_sub_u32_e32 v21, v23, v21
	v_ashrrev_i32_e32 v22, 8, v22
	v_add_u32_e32 v21, 0x3c000000, v21
	s_mov_b32 s2, 0x7f800000
	v_and_or_b32 v21, v22, s2, v21
	v_cmp_ne_u32_e64 s[2:3], 0, v20
	v_cndmask_b32_e64 v20, 0, v21, s[2:3]
	s_brev_b32 s2, 1
	v_and_or_b32 v17, v17, s2, v20
	v_cmp_eq_f32_e64 s[2:3], s6, v17
	v_cndmask_b32_e64 v20, 0, 1, s[2:3]
	v_cmp_neq_f32_e64 s[2:3], s6, v17
	v_cndmask_b32_e64 v17, 0, 1, s[2:3]
	v_cndmask_b32_e64 v17, v17, v20, s[0:1]
	v_and_b32_e32 v18, 0xffffff00, v15
	v_and_b32_e32 v17, 1, v17
	v_or_b32_e32 v17, v17, v18
	v_and_b32_e32 v17, 0xffff, v17
	s_mov_b32 s2, 0xffff0000
	v_and_or_b32 v15, v15, s2, v17
.LBB280_45:
	s_or_b64 exec, exec, s[4:5]
	v_or_b32_e32 v17, 0x500, v0
	v_cmp_gt_i32_e64 s[2:3], s8, v17
	s_and_saveexec_b64 s[4:5], s[2:3]
	s_cbranch_execz .LBB280_47
; %bb.46:
	v_lshlrev_b32_e32 v16, 24, v16
	v_and_b32_e32 v17, 0x7f000000, v16
	v_ffbh_u32_e32 v18, v17
	v_min_u32_e32 v18, 32, v18
	v_sub_u32_e64 v18, v18, 4 clamp
	v_lshlrev_b32_e32 v21, v18, v17
	v_lshrrev_b32_e32 v21, 4, v21
	v_lshlrev_b32_e32 v18, 23, v18
	v_add_u32_e32 v20, 0x1000000, v17
	v_sub_u32_e32 v18, v21, v18
	v_ashrrev_i32_e32 v20, 8, v20
	v_add_u32_e32 v18, 0x3c000000, v18
	s_mov_b32 s2, 0x7f800000
	v_and_or_b32 v18, v20, s2, v18
	v_cmp_ne_u32_e64 s[2:3], 0, v17
	v_cndmask_b32_e64 v17, 0, v18, s[2:3]
	s_brev_b32 s2, 1
	v_and_or_b32 v16, v16, s2, v17
	v_cmp_eq_f32_e64 s[2:3], s6, v16
	v_cndmask_b32_e64 v17, 0, 1, s[2:3]
	v_cmp_neq_f32_e64 s[2:3], s6, v16
	v_cndmask_b32_e64 v16, 0, 1, s[2:3]
	v_cndmask_b32_e64 v16, v16, v17, s[0:1]
	v_mov_b32_e32 v17, 1
	v_and_b32_sdwa v16, v16, v17 dst_sel:BYTE_1 dst_unused:UNUSED_PAD src0_sel:DWORD src1_sel:DWORD
	v_or_b32_sdwa v16, v15, v16 dst_sel:DWORD dst_unused:UNUSED_PAD src0_sel:BYTE_0 src1_sel:DWORD
	v_and_b32_e32 v16, 0xffff, v16
	s_mov_b32 s2, 0xffff0000
	v_and_or_b32 v15, v15, s2, v16
.LBB280_47:
	s_or_b64 exec, exec, s[4:5]
	v_or_b32_e32 v16, 0x600, v0
	v_cmp_gt_i32_e64 s[2:3], s8, v16
	s_and_saveexec_b64 s[4:5], s[2:3]
	s_cbranch_execz .LBB280_49
; %bb.48:
	v_lshlrev_b32_e32 v14, 24, v14
	v_and_b32_e32 v17, 0x7f000000, v14
	v_ffbh_u32_e32 v18, v17
	v_min_u32_e32 v18, 32, v18
	v_sub_u32_e64 v18, v18, 4 clamp
	v_lshlrev_b32_e32 v21, v18, v17
	v_lshrrev_b32_e32 v21, 4, v21
	v_lshlrev_b32_e32 v18, 23, v18
	s_movk_i32 s2, 0xff00
	v_add_u32_e32 v20, 0x1000000, v17
	v_sub_u32_e32 v18, v21, v18
	v_and_b32_sdwa v16, v15, s2 dst_sel:DWORD dst_unused:UNUSED_PAD src0_sel:WORD_1 src1_sel:DWORD
	v_ashrrev_i32_e32 v20, 8, v20
	v_add_u32_e32 v18, 0x3c000000, v18
	s_mov_b32 s2, 0x7f800000
	v_and_or_b32 v18, v20, s2, v18
	v_cmp_ne_u32_e64 s[2:3], 0, v17
	v_cndmask_b32_e64 v17, 0, v18, s[2:3]
	s_brev_b32 s2, 1
	v_and_or_b32 v14, v14, s2, v17
	v_cmp_eq_f32_e64 s[2:3], s6, v14
	v_cndmask_b32_e64 v17, 0, 1, s[2:3]
	v_cmp_neq_f32_e64 s[2:3], s6, v14
	v_cndmask_b32_e64 v14, 0, 1, s[2:3]
	v_cndmask_b32_e64 v14, v14, v17, s[0:1]
	v_and_b32_e32 v14, 1, v14
	v_or_b32_sdwa v14, v14, v16 dst_sel:WORD_1 dst_unused:UNUSED_PAD src0_sel:DWORD src1_sel:DWORD
	s_mov_b32 s2, 0xffff
	v_and_or_b32 v15, v15, s2, v14
.LBB280_49:
	s_or_b64 exec, exec, s[4:5]
	v_or_b32_e32 v14, 0x700, v0
	v_cmp_gt_i32_e64 s[2:3], s8, v14
	s_and_saveexec_b64 s[4:5], s[2:3]
	s_cbranch_execz .LBB280_51
; %bb.50:
	v_lshlrev_b32_e32 v13, 24, v13
	v_and_b32_e32 v16, 0x7f000000, v13
	v_ffbh_u32_e32 v17, v16
	v_min_u32_e32 v17, 32, v17
	v_sub_u32_e64 v17, v17, 4 clamp
	v_lshlrev_b32_e32 v20, v17, v16
	v_lshrrev_b32_e32 v20, 4, v20
	v_lshlrev_b32_e32 v17, 23, v17
	s_movk_i32 s2, 0xff
	v_add_u32_e32 v18, 0x1000000, v16
	v_sub_u32_e32 v17, v20, v17
	v_and_b32_sdwa v14, v15, s2 dst_sel:DWORD dst_unused:UNUSED_PAD src0_sel:WORD_1 src1_sel:DWORD
	v_ashrrev_i32_e32 v18, 8, v18
	v_add_u32_e32 v17, 0x3c000000, v17
	s_mov_b32 s2, 0x7f800000
	v_and_or_b32 v17, v18, s2, v17
	v_cmp_ne_u32_e64 s[2:3], 0, v16
	v_cndmask_b32_e64 v16, 0, v17, s[2:3]
	s_brev_b32 s2, 1
	v_and_or_b32 v13, v13, s2, v16
	v_cmp_eq_f32_e64 s[2:3], s6, v13
	v_cndmask_b32_e64 v16, 0, 1, s[2:3]
	v_cmp_neq_f32_e64 s[2:3], s6, v13
	v_cndmask_b32_e64 v13, 0, 1, s[2:3]
	v_cndmask_b32_e64 v13, v13, v16, s[0:1]
	v_mov_b32_e32 v16, 1
	v_and_b32_sdwa v13, v13, v16 dst_sel:BYTE_1 dst_unused:UNUSED_PAD src0_sel:DWORD src1_sel:DWORD
	v_or_b32_sdwa v13, v14, v13 dst_sel:WORD_1 dst_unused:UNUSED_PAD src0_sel:DWORD src1_sel:DWORD
	s_mov_b32 s2, 0xffff
	v_and_or_b32 v15, v15, s2, v13
.LBB280_51:
	s_or_b64 exec, exec, s[4:5]
	v_or_b32_e32 v13, 0x800, v0
	v_cmp_gt_i32_e64 s[2:3], s8, v13
	s_and_saveexec_b64 s[4:5], s[2:3]
	s_cbranch_execz .LBB280_53
; %bb.52:
	v_lshlrev_b32_e32 v12, 24, v12
	v_and_b32_e32 v14, 0x7f000000, v12
	v_ffbh_u32_e32 v16, v14
	v_min_u32_e32 v16, 32, v16
	v_sub_u32_e64 v16, v16, 4 clamp
	v_lshlrev_b32_e32 v18, v16, v14
	v_lshrrev_b32_e32 v18, 4, v18
	v_lshlrev_b32_e32 v16, 23, v16
	v_add_u32_e32 v17, 0x1000000, v14
	v_sub_u32_e32 v16, v18, v16
	v_ashrrev_i32_e32 v17, 8, v17
	v_add_u32_e32 v16, 0x3c000000, v16
	s_mov_b32 s2, 0x7f800000
	v_and_or_b32 v16, v17, s2, v16
	v_cmp_ne_u32_e64 s[2:3], 0, v14
	v_cndmask_b32_e64 v14, 0, v16, s[2:3]
	s_brev_b32 s2, 1
	v_and_or_b32 v12, v12, s2, v14
	v_cmp_eq_f32_e64 s[2:3], s6, v12
	v_cndmask_b32_e64 v14, 0, 1, s[2:3]
	v_cmp_neq_f32_e64 s[2:3], s6, v12
	v_cndmask_b32_e64 v12, 0, 1, s[2:3]
	v_cndmask_b32_e64 v12, v12, v14, s[0:1]
	v_and_b32_e32 v13, 0xffffff00, v2
	v_and_b32_e32 v12, 1, v12
	v_or_b32_e32 v12, v12, v13
	v_and_b32_e32 v12, 0xffff, v12
	s_mov_b32 s2, 0xffff0000
	v_and_or_b32 v2, v2, s2, v12
.LBB280_53:
	s_or_b64 exec, exec, s[4:5]
	v_or_b32_e32 v12, 0x900, v0
	v_cmp_gt_i32_e64 s[2:3], s8, v12
	s_and_saveexec_b64 s[4:5], s[2:3]
	s_cbranch_execz .LBB280_55
; %bb.54:
	v_lshlrev_b32_e32 v11, 24, v11
	v_and_b32_e32 v12, 0x7f000000, v11
	v_ffbh_u32_e32 v13, v12
	v_min_u32_e32 v13, 32, v13
	v_sub_u32_e64 v13, v13, 4 clamp
	v_lshlrev_b32_e32 v16, v13, v12
	v_lshrrev_b32_e32 v16, 4, v16
	v_lshlrev_b32_e32 v13, 23, v13
	v_add_u32_e32 v14, 0x1000000, v12
	v_sub_u32_e32 v13, v16, v13
	v_ashrrev_i32_e32 v14, 8, v14
	v_add_u32_e32 v13, 0x3c000000, v13
	s_mov_b32 s2, 0x7f800000
	v_and_or_b32 v13, v14, s2, v13
	v_cmp_ne_u32_e64 s[2:3], 0, v12
	v_cndmask_b32_e64 v12, 0, v13, s[2:3]
	s_brev_b32 s2, 1
	v_and_or_b32 v11, v11, s2, v12
	v_cmp_eq_f32_e64 s[2:3], s6, v11
	v_cndmask_b32_e64 v12, 0, 1, s[2:3]
	v_cmp_neq_f32_e64 s[2:3], s6, v11
	v_cndmask_b32_e64 v11, 0, 1, s[2:3]
	v_cndmask_b32_e64 v11, v11, v12, s[0:1]
	v_mov_b32_e32 v12, 1
	v_and_b32_sdwa v11, v11, v12 dst_sel:BYTE_1 dst_unused:UNUSED_PAD src0_sel:DWORD src1_sel:DWORD
	v_or_b32_sdwa v11, v2, v11 dst_sel:DWORD dst_unused:UNUSED_PAD src0_sel:BYTE_0 src1_sel:DWORD
	v_and_b32_e32 v11, 0xffff, v11
	s_mov_b32 s2, 0xffff0000
	v_and_or_b32 v2, v2, s2, v11
.LBB280_55:
	s_or_b64 exec, exec, s[4:5]
	v_or_b32_e32 v11, 0xa00, v0
	v_cmp_gt_i32_e64 s[2:3], s8, v11
	s_and_saveexec_b64 s[4:5], s[2:3]
	s_cbranch_execz .LBB280_57
; %bb.56:
	v_lshlrev_b32_e32 v10, 24, v10
	v_and_b32_e32 v12, 0x7f000000, v10
	v_ffbh_u32_e32 v13, v12
	v_min_u32_e32 v13, 32, v13
	v_sub_u32_e64 v13, v13, 4 clamp
	v_lshlrev_b32_e32 v16, v13, v12
	v_lshrrev_b32_e32 v16, 4, v16
	v_lshlrev_b32_e32 v13, 23, v13
	s_movk_i32 s2, 0xff00
	v_add_u32_e32 v14, 0x1000000, v12
	v_sub_u32_e32 v13, v16, v13
	v_and_b32_sdwa v11, v2, s2 dst_sel:DWORD dst_unused:UNUSED_PAD src0_sel:WORD_1 src1_sel:DWORD
	v_ashrrev_i32_e32 v14, 8, v14
	v_add_u32_e32 v13, 0x3c000000, v13
	s_mov_b32 s2, 0x7f800000
	v_and_or_b32 v13, v14, s2, v13
	v_cmp_ne_u32_e64 s[2:3], 0, v12
	v_cndmask_b32_e64 v12, 0, v13, s[2:3]
	s_brev_b32 s2, 1
	v_and_or_b32 v10, v10, s2, v12
	v_cmp_eq_f32_e64 s[2:3], s6, v10
	v_cndmask_b32_e64 v12, 0, 1, s[2:3]
	v_cmp_neq_f32_e64 s[2:3], s6, v10
	v_cndmask_b32_e64 v10, 0, 1, s[2:3]
	v_cndmask_b32_e64 v10, v10, v12, s[0:1]
	v_and_b32_e32 v10, 1, v10
	v_or_b32_sdwa v10, v10, v11 dst_sel:WORD_1 dst_unused:UNUSED_PAD src0_sel:DWORD src1_sel:DWORD
	s_mov_b32 s2, 0xffff
	v_and_or_b32 v2, v2, s2, v10
.LBB280_57:
	s_or_b64 exec, exec, s[4:5]
	v_or_b32_e32 v10, 0xb00, v0
	v_cmp_gt_i32_e64 s[2:3], s8, v10
	s_and_saveexec_b64 s[4:5], s[2:3]
	s_cbranch_execz .LBB280_59
; %bb.58:
	v_lshlrev_b32_e32 v9, 24, v9
	v_and_b32_e32 v11, 0x7f000000, v9
	v_ffbh_u32_e32 v12, v11
	v_min_u32_e32 v12, 32, v12
	v_sub_u32_e64 v12, v12, 4 clamp
	v_lshlrev_b32_e32 v14, v12, v11
	v_lshrrev_b32_e32 v14, 4, v14
	v_lshlrev_b32_e32 v12, 23, v12
	s_movk_i32 s2, 0xff
	v_add_u32_e32 v13, 0x1000000, v11
	v_sub_u32_e32 v12, v14, v12
	v_and_b32_sdwa v10, v2, s2 dst_sel:DWORD dst_unused:UNUSED_PAD src0_sel:WORD_1 src1_sel:DWORD
	v_ashrrev_i32_e32 v13, 8, v13
	v_add_u32_e32 v12, 0x3c000000, v12
	s_mov_b32 s2, 0x7f800000
	v_and_or_b32 v12, v13, s2, v12
	v_cmp_ne_u32_e64 s[2:3], 0, v11
	v_cndmask_b32_e64 v11, 0, v12, s[2:3]
	s_brev_b32 s2, 1
	v_and_or_b32 v9, v9, s2, v11
	v_cmp_eq_f32_e64 s[2:3], s6, v9
	v_cndmask_b32_e64 v11, 0, 1, s[2:3]
	v_cmp_neq_f32_e64 s[2:3], s6, v9
	v_cndmask_b32_e64 v9, 0, 1, s[2:3]
	v_cndmask_b32_e64 v9, v9, v11, s[0:1]
	v_mov_b32_e32 v11, 1
	v_and_b32_sdwa v9, v9, v11 dst_sel:BYTE_1 dst_unused:UNUSED_PAD src0_sel:DWORD src1_sel:DWORD
	v_or_b32_sdwa v9, v10, v9 dst_sel:WORD_1 dst_unused:UNUSED_PAD src0_sel:DWORD src1_sel:DWORD
	s_mov_b32 s2, 0xffff
	v_and_or_b32 v2, v2, s2, v9
.LBB280_59:
	s_or_b64 exec, exec, s[4:5]
	v_or_b32_e32 v9, 0xc00, v0
	v_cmp_gt_i32_e64 s[2:3], s8, v9
	s_and_saveexec_b64 s[4:5], s[2:3]
	s_cbranch_execz .LBB280_61
; %bb.60:
	v_lshlrev_b32_e32 v8, 24, v8
	v_and_b32_e32 v10, 0x7f000000, v8
	v_ffbh_u32_e32 v11, v10
	v_min_u32_e32 v11, 32, v11
	v_sub_u32_e64 v11, v11, 4 clamp
	v_lshlrev_b32_e32 v13, v11, v10
	v_lshrrev_b32_e32 v13, 4, v13
	v_lshlrev_b32_e32 v11, 23, v11
	v_add_u32_e32 v12, 0x1000000, v10
	v_sub_u32_e32 v11, v13, v11
	v_ashrrev_i32_e32 v12, 8, v12
	v_add_u32_e32 v11, 0x3c000000, v11
	s_mov_b32 s2, 0x7f800000
	v_and_or_b32 v11, v12, s2, v11
	v_cmp_ne_u32_e64 s[2:3], 0, v10
	v_cndmask_b32_e64 v10, 0, v11, s[2:3]
	s_brev_b32 s2, 1
	v_and_or_b32 v8, v8, s2, v10
	v_cmp_eq_f32_e64 s[2:3], s6, v8
	v_cndmask_b32_e64 v10, 0, 1, s[2:3]
	v_cmp_neq_f32_e64 s[2:3], s6, v8
	v_cndmask_b32_e64 v8, 0, 1, s[2:3]
	v_cndmask_b32_e64 v8, v8, v10, s[0:1]
	v_and_b32_e32 v9, 0xffffff00, v1
	v_and_b32_e32 v8, 1, v8
	v_or_b32_e32 v8, v8, v9
	v_and_b32_e32 v8, 0xffff, v8
	s_mov_b32 s2, 0xffff0000
	v_and_or_b32 v1, v1, s2, v8
.LBB280_61:
	s_or_b64 exec, exec, s[4:5]
	v_or_b32_e32 v8, 0xd00, v0
	v_cmp_gt_i32_e64 s[2:3], s8, v8
	s_and_saveexec_b64 s[4:5], s[2:3]
	s_cbranch_execz .LBB280_63
; %bb.62:
	v_lshlrev_b32_e32 v7, 24, v7
	v_and_b32_e32 v8, 0x7f000000, v7
	v_ffbh_u32_e32 v9, v8
	v_min_u32_e32 v9, 32, v9
	v_sub_u32_e64 v9, v9, 4 clamp
	v_lshlrev_b32_e32 v11, v9, v8
	v_lshrrev_b32_e32 v11, 4, v11
	v_lshlrev_b32_e32 v9, 23, v9
	v_add_u32_e32 v10, 0x1000000, v8
	v_sub_u32_e32 v9, v11, v9
	v_ashrrev_i32_e32 v10, 8, v10
	v_add_u32_e32 v9, 0x3c000000, v9
	s_mov_b32 s2, 0x7f800000
	v_and_or_b32 v9, v10, s2, v9
	v_cmp_ne_u32_e64 s[2:3], 0, v8
	v_cndmask_b32_e64 v8, 0, v9, s[2:3]
	s_brev_b32 s2, 1
	v_and_or_b32 v7, v7, s2, v8
	v_cmp_eq_f32_e64 s[2:3], s6, v7
	v_cndmask_b32_e64 v8, 0, 1, s[2:3]
	v_cmp_neq_f32_e64 s[2:3], s6, v7
	v_cndmask_b32_e64 v7, 0, 1, s[2:3]
	v_cndmask_b32_e64 v7, v7, v8, s[0:1]
	v_mov_b32_e32 v8, 1
	v_and_b32_sdwa v7, v7, v8 dst_sel:BYTE_1 dst_unused:UNUSED_PAD src0_sel:DWORD src1_sel:DWORD
	v_or_b32_sdwa v7, v1, v7 dst_sel:DWORD dst_unused:UNUSED_PAD src0_sel:BYTE_0 src1_sel:DWORD
	v_and_b32_e32 v7, 0xffff, v7
	s_mov_b32 s2, 0xffff0000
	v_and_or_b32 v1, v1, s2, v7
.LBB280_63:
	s_or_b64 exec, exec, s[4:5]
	v_or_b32_e32 v7, 0xe00, v0
	v_cmp_gt_i32_e64 s[2:3], s8, v7
	s_and_saveexec_b64 s[4:5], s[2:3]
	s_cbranch_execz .LBB280_65
; %bb.64:
	v_lshlrev_b32_e32 v6, 24, v6
	v_and_b32_e32 v8, 0x7f000000, v6
	v_ffbh_u32_e32 v9, v8
	v_min_u32_e32 v9, 32, v9
	v_sub_u32_e64 v9, v9, 4 clamp
	v_lshlrev_b32_e32 v11, v9, v8
	v_lshrrev_b32_e32 v11, 4, v11
	v_lshlrev_b32_e32 v9, 23, v9
	s_movk_i32 s2, 0xff00
	v_add_u32_e32 v10, 0x1000000, v8
	v_sub_u32_e32 v9, v11, v9
	v_and_b32_sdwa v7, v1, s2 dst_sel:DWORD dst_unused:UNUSED_PAD src0_sel:WORD_1 src1_sel:DWORD
	v_ashrrev_i32_e32 v10, 8, v10
	v_add_u32_e32 v9, 0x3c000000, v9
	s_mov_b32 s2, 0x7f800000
	v_and_or_b32 v9, v10, s2, v9
	v_cmp_ne_u32_e64 s[2:3], 0, v8
	v_cndmask_b32_e64 v8, 0, v9, s[2:3]
	s_brev_b32 s2, 1
	v_and_or_b32 v6, v6, s2, v8
	v_cmp_eq_f32_e64 s[2:3], s6, v6
	v_cndmask_b32_e64 v8, 0, 1, s[2:3]
	v_cmp_neq_f32_e64 s[2:3], s6, v6
	v_cndmask_b32_e64 v6, 0, 1, s[2:3]
	v_cndmask_b32_e64 v6, v6, v8, s[0:1]
	v_and_b32_e32 v6, 1, v6
	v_or_b32_sdwa v6, v6, v7 dst_sel:WORD_1 dst_unused:UNUSED_PAD src0_sel:DWORD src1_sel:DWORD
	s_mov_b32 s2, 0xffff
	v_and_or_b32 v1, v1, s2, v6
.LBB280_65:
	s_or_b64 exec, exec, s[4:5]
	v_or_b32_e32 v6, 0xf00, v0
	v_cmp_gt_i32_e64 s[2:3], s8, v6
	s_and_saveexec_b64 s[4:5], s[2:3]
	s_cbranch_execnz .LBB280_84
; %bb.66:
	s_or_b64 exec, exec, s[4:5]
	s_and_saveexec_b64 s[0:1], vcc
	s_xor_b64 s[0:1], exec, s[0:1]
	s_cbranch_execnz .LBB280_85
.LBB280_67:
	s_or_b64 exec, exec, s[0:1]
	v_cmp_gt_i32_e32 vcc, s8, v0
	s_and_saveexec_b64 s[0:1], vcc
	s_cbranch_execnz .LBB280_86
.LBB280_68:
	s_or_b64 exec, exec, s[0:1]
	v_cmp_gt_i32_e32 vcc, s8, v0
	s_and_saveexec_b64 s[0:1], vcc
	s_cbranch_execnz .LBB280_87
.LBB280_69:
	s_or_b64 exec, exec, s[0:1]
	v_cmp_gt_i32_e32 vcc, s8, v0
	s_and_saveexec_b64 s[0:1], vcc
	s_cbranch_execnz .LBB280_88
.LBB280_70:
	s_or_b64 exec, exec, s[0:1]
	v_cmp_gt_i32_e32 vcc, s8, v0
	s_and_saveexec_b64 s[0:1], vcc
	s_cbranch_execnz .LBB280_89
.LBB280_71:
	s_or_b64 exec, exec, s[0:1]
	v_cmp_gt_i32_e32 vcc, s8, v0
	s_and_saveexec_b64 s[0:1], vcc
	s_cbranch_execnz .LBB280_90
.LBB280_72:
	s_or_b64 exec, exec, s[0:1]
	v_cmp_gt_i32_e32 vcc, s8, v0
	s_and_saveexec_b64 s[0:1], vcc
	s_cbranch_execnz .LBB280_91
.LBB280_73:
	s_or_b64 exec, exec, s[0:1]
	v_cmp_gt_i32_e32 vcc, s8, v0
	s_and_saveexec_b64 s[0:1], vcc
	s_cbranch_execnz .LBB280_92
.LBB280_74:
	s_or_b64 exec, exec, s[0:1]
	v_cmp_gt_i32_e32 vcc, s8, v0
	s_and_saveexec_b64 s[0:1], vcc
	s_cbranch_execnz .LBB280_93
.LBB280_75:
	s_or_b64 exec, exec, s[0:1]
	v_cmp_gt_i32_e32 vcc, s8, v0
	s_and_saveexec_b64 s[0:1], vcc
	s_cbranch_execnz .LBB280_94
.LBB280_76:
	s_or_b64 exec, exec, s[0:1]
	v_cmp_gt_i32_e32 vcc, s8, v0
	s_and_saveexec_b64 s[0:1], vcc
	s_cbranch_execnz .LBB280_95
.LBB280_77:
	s_or_b64 exec, exec, s[0:1]
	v_cmp_gt_i32_e32 vcc, s8, v0
	s_and_saveexec_b64 s[0:1], vcc
	s_cbranch_execnz .LBB280_96
.LBB280_78:
	s_or_b64 exec, exec, s[0:1]
	v_cmp_gt_i32_e32 vcc, s8, v0
	s_and_saveexec_b64 s[0:1], vcc
	s_cbranch_execnz .LBB280_97
.LBB280_79:
	s_or_b64 exec, exec, s[0:1]
	v_cmp_gt_i32_e32 vcc, s8, v0
	s_and_saveexec_b64 s[0:1], vcc
	s_cbranch_execnz .LBB280_98
.LBB280_80:
	s_or_b64 exec, exec, s[0:1]
	v_cmp_gt_i32_e32 vcc, s8, v0
	s_and_saveexec_b64 s[0:1], vcc
	s_cbranch_execnz .LBB280_99
.LBB280_81:
	s_or_b64 exec, exec, s[0:1]
	v_cmp_gt_i32_e32 vcc, s8, v0
	s_and_saveexec_b64 s[0:1], vcc
	s_cbranch_execz .LBB280_83
.LBB280_82:
	v_lshrrev_b32_e32 v1, 24, v1
	v_add_u32_e32 v0, s11, v0
	global_store_byte v0, v1, s[12:13]
.LBB280_83:
	s_endpgm
.LBB280_84:
	v_and_b32_e32 v7, 0x7f000000, v5
	v_ffbh_u32_e32 v8, v7
	v_min_u32_e32 v8, 32, v8
	v_sub_u32_e64 v8, v8, 4 clamp
	v_lshlrev_b32_e32 v10, v8, v7
	v_lshrrev_b32_e32 v10, 4, v10
	v_lshlrev_b32_e32 v8, 23, v8
	s_movk_i32 s2, 0xff
	v_add_u32_e32 v9, 0x1000000, v7
	v_sub_u32_e32 v8, v10, v8
	v_and_b32_sdwa v6, v1, s2 dst_sel:DWORD dst_unused:UNUSED_PAD src0_sel:WORD_1 src1_sel:DWORD
	v_ashrrev_i32_e32 v9, 8, v9
	v_add_u32_e32 v8, 0x3c000000, v8
	s_mov_b32 s2, 0x7f800000
	v_and_or_b32 v8, v9, s2, v8
	v_cmp_ne_u32_e64 s[2:3], 0, v7
	v_cndmask_b32_e64 v7, 0, v8, s[2:3]
	s_brev_b32 s2, 1
	v_and_or_b32 v5, v5, s2, v7
	v_cmp_eq_f32_e64 s[2:3], s6, v5
	v_cndmask_b32_e64 v7, 0, 1, s[2:3]
	v_cmp_neq_f32_e64 s[2:3], s6, v5
	v_cndmask_b32_e64 v5, 0, 1, s[2:3]
	v_cndmask_b32_e64 v5, v5, v7, s[0:1]
	v_mov_b32_e32 v7, 1
	v_and_b32_sdwa v5, v5, v7 dst_sel:BYTE_1 dst_unused:UNUSED_PAD src0_sel:DWORD src1_sel:DWORD
	v_or_b32_sdwa v5, v6, v5 dst_sel:WORD_1 dst_unused:UNUSED_PAD src0_sel:DWORD src1_sel:DWORD
	s_mov_b32 s0, 0xffff
	v_and_or_b32 v1, v1, s0, v5
	s_or_b64 exec, exec, s[4:5]
	s_and_saveexec_b64 s[0:1], vcc
	s_xor_b64 s[0:1], exec, s[0:1]
	s_cbranch_execz .LBB280_67
.LBB280_85:
	v_mov_b32_e32 v0, v19
	global_store_byte v4, v3, s[12:13]
	s_or_b64 exec, exec, s[0:1]
	v_cmp_gt_i32_e32 vcc, s8, v0
	s_and_saveexec_b64 s[0:1], vcc
	s_cbranch_execz .LBB280_68
.LBB280_86:
	v_lshrrev_b32_e32 v4, 8, v3
	v_add_u32_e32 v5, s11, v0
	v_add_u32_e32 v0, 0x100, v0
	global_store_byte v5, v4, s[12:13]
	s_or_b64 exec, exec, s[0:1]
	v_cmp_gt_i32_e32 vcc, s8, v0
	s_and_saveexec_b64 s[0:1], vcc
	s_cbranch_execz .LBB280_69
.LBB280_87:
	v_add_u32_e32 v4, s11, v0
	v_add_u32_e32 v0, 0x100, v0
	global_store_byte_d16_hi v4, v3, s[12:13]
	s_or_b64 exec, exec, s[0:1]
	v_cmp_gt_i32_e32 vcc, s8, v0
	s_and_saveexec_b64 s[0:1], vcc
	s_cbranch_execz .LBB280_70
.LBB280_88:
	v_lshrrev_b32_e32 v3, 24, v3
	v_add_u32_e32 v4, s11, v0
	v_add_u32_e32 v0, 0x100, v0
	global_store_byte v4, v3, s[12:13]
	s_or_b64 exec, exec, s[0:1]
	v_cmp_gt_i32_e32 vcc, s8, v0
	s_and_saveexec_b64 s[0:1], vcc
	s_cbranch_execz .LBB280_71
.LBB280_89:
	v_add_u32_e32 v3, s11, v0
	v_add_u32_e32 v0, 0x100, v0
	global_store_byte v3, v15, s[12:13]
	s_or_b64 exec, exec, s[0:1]
	v_cmp_gt_i32_e32 vcc, s8, v0
	s_and_saveexec_b64 s[0:1], vcc
	s_cbranch_execz .LBB280_72
.LBB280_90:
	v_lshrrev_b32_e32 v3, 8, v15
	v_add_u32_e32 v4, s11, v0
	v_add_u32_e32 v0, 0x100, v0
	global_store_byte v4, v3, s[12:13]
	s_or_b64 exec, exec, s[0:1]
	v_cmp_gt_i32_e32 vcc, s8, v0
	s_and_saveexec_b64 s[0:1], vcc
	s_cbranch_execz .LBB280_73
.LBB280_91:
	v_add_u32_e32 v3, s11, v0
	v_add_u32_e32 v0, 0x100, v0
	global_store_byte_d16_hi v3, v15, s[12:13]
	s_or_b64 exec, exec, s[0:1]
	v_cmp_gt_i32_e32 vcc, s8, v0
	s_and_saveexec_b64 s[0:1], vcc
	s_cbranch_execz .LBB280_74
.LBB280_92:
	v_lshrrev_b32_e32 v3, 24, v15
	v_add_u32_e32 v4, s11, v0
	v_add_u32_e32 v0, 0x100, v0
	global_store_byte v4, v3, s[12:13]
	s_or_b64 exec, exec, s[0:1]
	v_cmp_gt_i32_e32 vcc, s8, v0
	s_and_saveexec_b64 s[0:1], vcc
	s_cbranch_execz .LBB280_75
.LBB280_93:
	v_add_u32_e32 v3, s11, v0
	v_add_u32_e32 v0, 0x100, v0
	global_store_byte v3, v2, s[12:13]
	s_or_b64 exec, exec, s[0:1]
	v_cmp_gt_i32_e32 vcc, s8, v0
	s_and_saveexec_b64 s[0:1], vcc
	s_cbranch_execz .LBB280_76
.LBB280_94:
	v_lshrrev_b32_e32 v3, 8, v2
	v_add_u32_e32 v4, s11, v0
	v_add_u32_e32 v0, 0x100, v0
	global_store_byte v4, v3, s[12:13]
	s_or_b64 exec, exec, s[0:1]
	v_cmp_gt_i32_e32 vcc, s8, v0
	s_and_saveexec_b64 s[0:1], vcc
	s_cbranch_execz .LBB280_77
.LBB280_95:
	v_add_u32_e32 v3, s11, v0
	v_add_u32_e32 v0, 0x100, v0
	global_store_byte_d16_hi v3, v2, s[12:13]
	s_or_b64 exec, exec, s[0:1]
	v_cmp_gt_i32_e32 vcc, s8, v0
	s_and_saveexec_b64 s[0:1], vcc
	s_cbranch_execz .LBB280_78
.LBB280_96:
	v_lshrrev_b32_e32 v2, 24, v2
	v_add_u32_e32 v3, s11, v0
	v_add_u32_e32 v0, 0x100, v0
	global_store_byte v3, v2, s[12:13]
	s_or_b64 exec, exec, s[0:1]
	v_cmp_gt_i32_e32 vcc, s8, v0
	s_and_saveexec_b64 s[0:1], vcc
	s_cbranch_execz .LBB280_79
.LBB280_97:
	v_add_u32_e32 v2, s11, v0
	v_add_u32_e32 v0, 0x100, v0
	global_store_byte v2, v1, s[12:13]
	s_or_b64 exec, exec, s[0:1]
	v_cmp_gt_i32_e32 vcc, s8, v0
	s_and_saveexec_b64 s[0:1], vcc
	s_cbranch_execz .LBB280_80
.LBB280_98:
	v_lshrrev_b32_e32 v2, 8, v1
	v_add_u32_e32 v3, s11, v0
	v_add_u32_e32 v0, 0x100, v0
	global_store_byte v3, v2, s[12:13]
	s_or_b64 exec, exec, s[0:1]
	v_cmp_gt_i32_e32 vcc, s8, v0
	s_and_saveexec_b64 s[0:1], vcc
	s_cbranch_execz .LBB280_81
.LBB280_99:
	v_add_u32_e32 v2, s11, v0
	v_add_u32_e32 v0, 0x100, v0
	global_store_byte_d16_hi v2, v1, s[12:13]
	s_or_b64 exec, exec, s[0:1]
	v_cmp_gt_i32_e32 vcc, s8, v0
	s_and_saveexec_b64 s[0:1], vcc
	s_cbranch_execnz .LBB280_82
	s_branch .LBB280_83
	.section	.rodata,"a",@progbits
	.p2align	6, 0x0
	.amdhsa_kernel _ZN2at6native29vectorized_elementwise_kernelILi2ENS0_13AUnaryFunctorIN3c1013Float8_e4m3fnES4_bNS0_12_GLOBAL__N_116CompareEqFunctorIS4_EEEESt5arrayIPcLm2EEEEviT0_T1_
		.amdhsa_group_segment_fixed_size 0
		.amdhsa_private_segment_fixed_size 0
		.amdhsa_kernarg_size 32
		.amdhsa_user_sgpr_count 6
		.amdhsa_user_sgpr_private_segment_buffer 1
		.amdhsa_user_sgpr_dispatch_ptr 0
		.amdhsa_user_sgpr_queue_ptr 0
		.amdhsa_user_sgpr_kernarg_segment_ptr 1
		.amdhsa_user_sgpr_dispatch_id 0
		.amdhsa_user_sgpr_flat_scratch_init 0
		.amdhsa_user_sgpr_private_segment_size 0
		.amdhsa_uses_dynamic_stack 0
		.amdhsa_system_sgpr_private_segment_wavefront_offset 0
		.amdhsa_system_sgpr_workgroup_id_x 1
		.amdhsa_system_sgpr_workgroup_id_y 0
		.amdhsa_system_sgpr_workgroup_id_z 0
		.amdhsa_system_sgpr_workgroup_info 0
		.amdhsa_system_vgpr_workitem_id 0
		.amdhsa_next_free_vgpr 26
		.amdhsa_next_free_sgpr 42
		.amdhsa_reserve_vcc 1
		.amdhsa_reserve_flat_scratch 0
		.amdhsa_float_round_mode_32 0
		.amdhsa_float_round_mode_16_64 0
		.amdhsa_float_denorm_mode_32 3
		.amdhsa_float_denorm_mode_16_64 3
		.amdhsa_dx10_clamp 1
		.amdhsa_ieee_mode 1
		.amdhsa_fp16_overflow 0
		.amdhsa_exception_fp_ieee_invalid_op 0
		.amdhsa_exception_fp_denorm_src 0
		.amdhsa_exception_fp_ieee_div_zero 0
		.amdhsa_exception_fp_ieee_overflow 0
		.amdhsa_exception_fp_ieee_underflow 0
		.amdhsa_exception_fp_ieee_inexact 0
		.amdhsa_exception_int_div_zero 0
	.end_amdhsa_kernel
	.section	.text._ZN2at6native29vectorized_elementwise_kernelILi2ENS0_13AUnaryFunctorIN3c1013Float8_e4m3fnES4_bNS0_12_GLOBAL__N_116CompareEqFunctorIS4_EEEESt5arrayIPcLm2EEEEviT0_T1_,"axG",@progbits,_ZN2at6native29vectorized_elementwise_kernelILi2ENS0_13AUnaryFunctorIN3c1013Float8_e4m3fnES4_bNS0_12_GLOBAL__N_116CompareEqFunctorIS4_EEEESt5arrayIPcLm2EEEEviT0_T1_,comdat
.Lfunc_end280:
	.size	_ZN2at6native29vectorized_elementwise_kernelILi2ENS0_13AUnaryFunctorIN3c1013Float8_e4m3fnES4_bNS0_12_GLOBAL__N_116CompareEqFunctorIS4_EEEESt5arrayIPcLm2EEEEviT0_T1_, .Lfunc_end280-_ZN2at6native29vectorized_elementwise_kernelILi2ENS0_13AUnaryFunctorIN3c1013Float8_e4m3fnES4_bNS0_12_GLOBAL__N_116CompareEqFunctorIS4_EEEESt5arrayIPcLm2EEEEviT0_T1_
                                        ; -- End function
	.set _ZN2at6native29vectorized_elementwise_kernelILi2ENS0_13AUnaryFunctorIN3c1013Float8_e4m3fnES4_bNS0_12_GLOBAL__N_116CompareEqFunctorIS4_EEEESt5arrayIPcLm2EEEEviT0_T1_.num_vgpr, 26
	.set _ZN2at6native29vectorized_elementwise_kernelILi2ENS0_13AUnaryFunctorIN3c1013Float8_e4m3fnES4_bNS0_12_GLOBAL__N_116CompareEqFunctorIS4_EEEESt5arrayIPcLm2EEEEviT0_T1_.num_agpr, 0
	.set _ZN2at6native29vectorized_elementwise_kernelILi2ENS0_13AUnaryFunctorIN3c1013Float8_e4m3fnES4_bNS0_12_GLOBAL__N_116CompareEqFunctorIS4_EEEESt5arrayIPcLm2EEEEviT0_T1_.numbered_sgpr, 42
	.set _ZN2at6native29vectorized_elementwise_kernelILi2ENS0_13AUnaryFunctorIN3c1013Float8_e4m3fnES4_bNS0_12_GLOBAL__N_116CompareEqFunctorIS4_EEEESt5arrayIPcLm2EEEEviT0_T1_.num_named_barrier, 0
	.set _ZN2at6native29vectorized_elementwise_kernelILi2ENS0_13AUnaryFunctorIN3c1013Float8_e4m3fnES4_bNS0_12_GLOBAL__N_116CompareEqFunctorIS4_EEEESt5arrayIPcLm2EEEEviT0_T1_.private_seg_size, 0
	.set _ZN2at6native29vectorized_elementwise_kernelILi2ENS0_13AUnaryFunctorIN3c1013Float8_e4m3fnES4_bNS0_12_GLOBAL__N_116CompareEqFunctorIS4_EEEESt5arrayIPcLm2EEEEviT0_T1_.uses_vcc, 1
	.set _ZN2at6native29vectorized_elementwise_kernelILi2ENS0_13AUnaryFunctorIN3c1013Float8_e4m3fnES4_bNS0_12_GLOBAL__N_116CompareEqFunctorIS4_EEEESt5arrayIPcLm2EEEEviT0_T1_.uses_flat_scratch, 0
	.set _ZN2at6native29vectorized_elementwise_kernelILi2ENS0_13AUnaryFunctorIN3c1013Float8_e4m3fnES4_bNS0_12_GLOBAL__N_116CompareEqFunctorIS4_EEEESt5arrayIPcLm2EEEEviT0_T1_.has_dyn_sized_stack, 0
	.set _ZN2at6native29vectorized_elementwise_kernelILi2ENS0_13AUnaryFunctorIN3c1013Float8_e4m3fnES4_bNS0_12_GLOBAL__N_116CompareEqFunctorIS4_EEEESt5arrayIPcLm2EEEEviT0_T1_.has_recursion, 0
	.set _ZN2at6native29vectorized_elementwise_kernelILi2ENS0_13AUnaryFunctorIN3c1013Float8_e4m3fnES4_bNS0_12_GLOBAL__N_116CompareEqFunctorIS4_EEEESt5arrayIPcLm2EEEEviT0_T1_.has_indirect_call, 0
	.section	.AMDGPU.csdata,"",@progbits
; Kernel info:
; codeLenInByte = 8220
; TotalNumSgprs: 46
; NumVgprs: 26
; ScratchSize: 0
; MemoryBound: 0
; FloatMode: 240
; IeeeMode: 1
; LDSByteSize: 0 bytes/workgroup (compile time only)
; SGPRBlocks: 5
; VGPRBlocks: 6
; NumSGPRsForWavesPerEU: 46
; NumVGPRsForWavesPerEU: 26
; Occupancy: 9
; WaveLimiterHint : 1
; COMPUTE_PGM_RSRC2:SCRATCH_EN: 0
; COMPUTE_PGM_RSRC2:USER_SGPR: 6
; COMPUTE_PGM_RSRC2:TRAP_HANDLER: 0
; COMPUTE_PGM_RSRC2:TGID_X_EN: 1
; COMPUTE_PGM_RSRC2:TGID_Y_EN: 0
; COMPUTE_PGM_RSRC2:TGID_Z_EN: 0
; COMPUTE_PGM_RSRC2:TIDIG_COMP_CNT: 0
	.section	.text._ZN2at6native27unrolled_elementwise_kernelINS0_13AUnaryFunctorIN3c1013Float8_e4m3fnES4_bNS0_12_GLOBAL__N_116CompareEqFunctorIS4_EEEESt5arrayIPcLm2EELi4E23TrivialOffsetCalculatorILi1EjESD_NS0_6memory15LoadWithoutCastENSE_16StoreWithoutCastEEEviT_T0_T2_T3_T4_T5_,"axG",@progbits,_ZN2at6native27unrolled_elementwise_kernelINS0_13AUnaryFunctorIN3c1013Float8_e4m3fnES4_bNS0_12_GLOBAL__N_116CompareEqFunctorIS4_EEEESt5arrayIPcLm2EELi4E23TrivialOffsetCalculatorILi1EjESD_NS0_6memory15LoadWithoutCastENSE_16StoreWithoutCastEEEviT_T0_T2_T3_T4_T5_,comdat
	.globl	_ZN2at6native27unrolled_elementwise_kernelINS0_13AUnaryFunctorIN3c1013Float8_e4m3fnES4_bNS0_12_GLOBAL__N_116CompareEqFunctorIS4_EEEESt5arrayIPcLm2EELi4E23TrivialOffsetCalculatorILi1EjESD_NS0_6memory15LoadWithoutCastENSE_16StoreWithoutCastEEEviT_T0_T2_T3_T4_T5_ ; -- Begin function _ZN2at6native27unrolled_elementwise_kernelINS0_13AUnaryFunctorIN3c1013Float8_e4m3fnES4_bNS0_12_GLOBAL__N_116CompareEqFunctorIS4_EEEESt5arrayIPcLm2EELi4E23TrivialOffsetCalculatorILi1EjESD_NS0_6memory15LoadWithoutCastENSE_16StoreWithoutCastEEEviT_T0_T2_T3_T4_T5_
	.p2align	8
	.type	_ZN2at6native27unrolled_elementwise_kernelINS0_13AUnaryFunctorIN3c1013Float8_e4m3fnES4_bNS0_12_GLOBAL__N_116CompareEqFunctorIS4_EEEESt5arrayIPcLm2EELi4E23TrivialOffsetCalculatorILi1EjESD_NS0_6memory15LoadWithoutCastENSE_16StoreWithoutCastEEEviT_T0_T2_T3_T4_T5_,@function
_ZN2at6native27unrolled_elementwise_kernelINS0_13AUnaryFunctorIN3c1013Float8_e4m3fnES4_bNS0_12_GLOBAL__N_116CompareEqFunctorIS4_EEEESt5arrayIPcLm2EELi4E23TrivialOffsetCalculatorILi1EjESD_NS0_6memory15LoadWithoutCastENSE_16StoreWithoutCastEEEviT_T0_T2_T3_T4_T5_: ; @_ZN2at6native27unrolled_elementwise_kernelINS0_13AUnaryFunctorIN3c1013Float8_e4m3fnES4_bNS0_12_GLOBAL__N_116CompareEqFunctorIS4_EEEESt5arrayIPcLm2EELi4E23TrivialOffsetCalculatorILi1EjESD_NS0_6memory15LoadWithoutCastENSE_16StoreWithoutCastEEEviT_T0_T2_T3_T4_T5_
; %bb.0:
	s_load_dwordx8 s[8:15], s[4:5], 0x0
	s_waitcnt lgkmcnt(0)
	s_lshl_b32 s11, s6, 10
	v_mov_b32_e32 v4, 0
	v_mov_b32_e32 v1, 0
	v_or_b32_e32 v2, s11, v0
	s_sub_i32 s8, s8, s11
	v_cmp_gt_i32_e32 vcc, s8, v0
	v_mov_b32_e32 v3, 0
	v_mov_b32_e32 v5, 0
	;; [unrolled: 1-line block ×3, first 2 shown]
	s_and_saveexec_b64 s[2:3], vcc
	s_cbranch_execz .LBB281_8
; %bb.1:
	global_load_ubyte v6, v2, s[14:15]
	v_or_b32_e32 v7, 0x100, v0
	v_cmp_gt_u32_e64 s[0:1], s8, v7
	v_mov_b32_e32 v3, 0
	v_mov_b32_e32 v5, 0
	;; [unrolled: 1-line block ×3, first 2 shown]
	s_and_saveexec_b64 s[4:5], s[0:1]
	s_cbranch_execz .LBB281_7
; %bb.2:
	v_add_u32_e32 v3, s11, v7
	global_load_ubyte v5, v3, s[14:15]
	v_or_b32_e32 v7, 0x200, v0
	v_cmp_gt_u32_e64 s[0:1], s8, v7
	v_mov_b32_e32 v3, 0
	v_mov_b32_e32 v4, 0
	s_and_saveexec_b64 s[6:7], s[0:1]
	s_cbranch_execz .LBB281_6
; %bb.3:
	v_add_u32_e32 v3, s11, v7
	global_load_ubyte v4, v3, s[14:15]
	v_or_b32_e32 v7, 0x300, v0
	v_cmp_gt_u32_e64 s[0:1], s8, v7
	v_mov_b32_e32 v3, 0
	s_and_saveexec_b64 s[16:17], s[0:1]
	s_cbranch_execz .LBB281_5
; %bb.4:
	v_add_u32_e32 v3, s11, v7
	global_load_ubyte v3, v3, s[14:15]
	s_waitcnt vmcnt(0)
	v_lshlrev_b32_e32 v3, 24, v3
.LBB281_5:
	s_or_b64 exec, exec, s[16:17]
.LBB281_6:
	s_or_b64 exec, exec, s[6:7]
.LBB281_7:
	s_or_b64 exec, exec, s[4:5]
.LBB281_8:
	s_or_b64 exec, exec, s[2:3]
	s_cmp_eq_u32 s9, 0
	s_cselect_b64 s[0:1], -1, 0
	s_lshl_b32 s2, s10, 24
	s_and_b32 s4, s2, 0x7f000000
	s_and_b32 s3, s2, 0x80000000
	s_flbit_i32_b32 s2, s4
	s_min_u32 s2, s2, 32
	v_sub_u32_e64 v7, s2, 4 clamp
	v_readfirstlane_b32 s6, v7
	s_lshl_b32 s9, s4, s6
	s_add_i32 s2, s4, 0x1000000
	s_lshr_b32 s9, s9, 4
	s_lshl_b32 s6, s6, 23
	s_ashr_i32 s5, s2, 8
	s_sub_i32 s6, s9, s6
	s_and_b32 s5, s5, 0x7f800000
	s_add_i32 s6, s6, 0x3c000000
	s_or_b32 s5, s6, s5
	s_cmp_lg_u32 s4, 0
	s_cselect_b32 s4, s5, 0
	s_brev_b32 s7, 1
	s_mov_b32 s2, 0x7f800000
	s_or_b32 s6, s4, s3
	s_and_saveexec_b64 s[4:5], vcc
	s_cbranch_execz .LBB281_10
; %bb.9:
	s_waitcnt vmcnt(0)
	v_lshlrev_b32_e32 v1, 24, v6
	v_and_b32_e32 v6, 0x7f000000, v1
	v_ffbh_u32_e32 v7, v6
	v_min_u32_e32 v7, 32, v7
	v_sub_u32_e64 v7, v7, 4 clamp
	v_lshlrev_b32_e32 v9, v7, v6
	v_lshrrev_b32_e32 v9, 4, v9
	v_lshlrev_b32_e32 v7, 23, v7
	v_add_u32_e32 v8, 0x1000000, v6
	v_sub_u32_e32 v7, v9, v7
	v_ashrrev_i32_e32 v8, 8, v8
	v_add_u32_e32 v7, 0x3c000000, v7
	v_and_or_b32 v7, v8, s2, v7
	v_cmp_ne_u32_e64 s[2:3], 0, v6
	v_cndmask_b32_e64 v6, 0, v7, s[2:3]
	v_and_or_b32 v1, v1, s7, v6
	v_cmp_eq_f32_e64 s[2:3], s6, v1
	v_cndmask_b32_e64 v6, 0, 1, s[2:3]
	v_cmp_neq_f32_e64 s[2:3], s6, v1
	v_cndmask_b32_e64 v1, 0, 1, s[2:3]
	v_cndmask_b32_e64 v1, v1, v6, s[0:1]
	v_and_b32_e32 v1, 1, v1
.LBB281_10:
	s_or_b64 exec, exec, s[4:5]
	s_waitcnt vmcnt(0)
	v_or_b32_e32 v6, 0x100, v0
	v_cmp_gt_i32_e64 s[2:3], s8, v6
	s_and_saveexec_b64 s[4:5], s[2:3]
	s_cbranch_execz .LBB281_12
; %bb.11:
	v_lshlrev_b32_e32 v5, 24, v5
	v_and_b32_e32 v7, 0x7f000000, v5
	v_ffbh_u32_e32 v8, v7
	v_min_u32_e32 v8, 32, v8
	v_sub_u32_e64 v8, v8, 4 clamp
	v_lshlrev_b32_e32 v10, v8, v7
	v_lshrrev_b32_e32 v10, 4, v10
	v_lshlrev_b32_e32 v8, 23, v8
	v_add_u32_e32 v9, 0x1000000, v7
	v_sub_u32_e32 v8, v10, v8
	v_ashrrev_i32_e32 v9, 8, v9
	v_add_u32_e32 v8, 0x3c000000, v8
	s_mov_b32 s2, 0x7f800000
	v_and_or_b32 v8, v9, s2, v8
	v_cmp_ne_u32_e64 s[2:3], 0, v7
	v_cndmask_b32_e64 v7, 0, v8, s[2:3]
	s_brev_b32 s2, 1
	v_and_or_b32 v5, v5, s2, v7
	v_cmp_eq_f32_e64 s[2:3], s6, v5
	v_cndmask_b32_e64 v7, 0, 1, s[2:3]
	v_cmp_neq_f32_e64 s[2:3], s6, v5
	v_cndmask_b32_e64 v5, 0, 1, s[2:3]
	v_cndmask_b32_e64 v5, v5, v7, s[0:1]
	v_mov_b32_e32 v7, 1
	v_and_b32_sdwa v5, v5, v7 dst_sel:BYTE_1 dst_unused:UNUSED_PAD src0_sel:DWORD src1_sel:DWORD
	v_or_b32_e32 v1, v1, v5
	v_and_b32_e32 v1, 0xffff, v1
.LBB281_12:
	s_or_b64 exec, exec, s[4:5]
	v_or_b32_e32 v5, 0x200, v0
	v_cmp_gt_i32_e64 s[2:3], s8, v5
	s_and_saveexec_b64 s[4:5], s[2:3]
	s_cbranch_execz .LBB281_14
; %bb.13:
	v_lshlrev_b32_e32 v4, 24, v4
	v_and_b32_e32 v5, 0x7f000000, v4
	v_ffbh_u32_e32 v7, v5
	v_min_u32_e32 v7, 32, v7
	v_sub_u32_e64 v7, v7, 4 clamp
	v_lshlrev_b32_e32 v9, v7, v5
	v_lshrrev_b32_e32 v9, 4, v9
	v_lshlrev_b32_e32 v7, 23, v7
	v_add_u32_e32 v8, 0x1000000, v5
	v_sub_u32_e32 v7, v9, v7
	v_ashrrev_i32_e32 v8, 8, v8
	v_add_u32_e32 v7, 0x3c000000, v7
	s_mov_b32 s2, 0x7f800000
	v_and_or_b32 v7, v8, s2, v7
	v_cmp_ne_u32_e64 s[2:3], 0, v5
	v_cndmask_b32_e64 v5, 0, v7, s[2:3]
	s_brev_b32 s2, 1
	v_and_or_b32 v4, v4, s2, v5
	v_cmp_eq_f32_e64 s[2:3], s6, v4
	v_cndmask_b32_e64 v5, 0, 1, s[2:3]
	v_cmp_neq_f32_e64 s[2:3], s6, v4
	v_cndmask_b32_e64 v4, 0, 1, s[2:3]
	v_cndmask_b32_e64 v4, v4, v5, s[0:1]
	v_and_b32_e32 v4, 1, v4
	v_lshl_or_b32 v1, v4, 16, v1
.LBB281_14:
	s_or_b64 exec, exec, s[4:5]
	v_or_b32_e32 v4, 0x300, v0
	v_cmp_gt_i32_e64 s[2:3], s8, v4
	s_and_saveexec_b64 s[4:5], s[2:3]
	s_cbranch_execnz .LBB281_20
; %bb.15:
	s_or_b64 exec, exec, s[4:5]
	s_and_saveexec_b64 s[0:1], vcc
	s_xor_b64 s[0:1], exec, s[0:1]
	s_cbranch_execnz .LBB281_21
.LBB281_16:
	s_or_b64 exec, exec, s[0:1]
	v_cmp_gt_i32_e32 vcc, s8, v0
	s_and_saveexec_b64 s[0:1], vcc
	s_cbranch_execnz .LBB281_22
.LBB281_17:
	s_or_b64 exec, exec, s[0:1]
	v_cmp_gt_i32_e32 vcc, s8, v0
	s_and_saveexec_b64 s[0:1], vcc
	s_cbranch_execnz .LBB281_23
.LBB281_18:
	s_or_b64 exec, exec, s[0:1]
	v_cmp_gt_i32_e32 vcc, s8, v0
	s_and_saveexec_b64 s[0:1], vcc
	s_cbranch_execnz .LBB281_24
.LBB281_19:
	s_endpgm
.LBB281_20:
	v_and_b32_e32 v4, 0x7f000000, v3
	v_ffbh_u32_e32 v5, v4
	v_min_u32_e32 v5, 32, v5
	v_sub_u32_e64 v5, v5, 4 clamp
	v_lshlrev_b32_e32 v8, v5, v4
	v_lshrrev_b32_e32 v8, 4, v8
	v_lshlrev_b32_e32 v5, 23, v5
	v_add_u32_e32 v7, 0x1000000, v4
	v_sub_u32_e32 v5, v8, v5
	v_ashrrev_i32_e32 v7, 8, v7
	v_add_u32_e32 v5, 0x3c000000, v5
	s_mov_b32 s2, 0x7f800000
	v_and_or_b32 v5, v7, s2, v5
	v_cmp_ne_u32_e64 s[2:3], 0, v4
	v_cndmask_b32_e64 v4, 0, v5, s[2:3]
	s_brev_b32 s2, 1
	v_and_or_b32 v3, v3, s2, v4
	v_cmp_eq_f32_e64 s[2:3], s6, v3
	v_cndmask_b32_e64 v4, 0, 1, s[2:3]
	v_cmp_neq_f32_e64 s[2:3], s6, v3
	v_cndmask_b32_e64 v3, 0, 1, s[2:3]
	v_cndmask_b32_e64 v3, v3, v4, s[0:1]
	v_mov_b32_e32 v4, 1
	v_and_b32_sdwa v3, v3, v4 dst_sel:BYTE_1 dst_unused:UNUSED_PAD src0_sel:DWORD src1_sel:DWORD
	v_or_b32_sdwa v3, v1, v3 dst_sel:WORD_1 dst_unused:UNUSED_PAD src0_sel:WORD_1 src1_sel:DWORD
	s_mov_b32 s0, 0xffff
	v_and_or_b32 v1, v1, s0, v3
	s_or_b64 exec, exec, s[4:5]
	s_and_saveexec_b64 s[0:1], vcc
	s_xor_b64 s[0:1], exec, s[0:1]
	s_cbranch_execz .LBB281_16
.LBB281_21:
	v_mov_b32_e32 v0, v6
	global_store_byte v2, v1, s[12:13]
	s_or_b64 exec, exec, s[0:1]
	v_cmp_gt_i32_e32 vcc, s8, v0
	s_and_saveexec_b64 s[0:1], vcc
	s_cbranch_execz .LBB281_17
.LBB281_22:
	v_add_u32_e32 v2, 0x100, v0
	v_add_u32_e32 v0, s11, v0
	v_lshrrev_b32_e32 v3, 8, v1
	global_store_byte v0, v3, s[12:13]
	v_mov_b32_e32 v0, v2
	s_or_b64 exec, exec, s[0:1]
	v_cmp_gt_i32_e32 vcc, s8, v0
	s_and_saveexec_b64 s[0:1], vcc
	s_cbranch_execz .LBB281_18
.LBB281_23:
	v_add_u32_e32 v2, 0x100, v0
	v_add_u32_e32 v0, s11, v0
	global_store_byte_d16_hi v0, v1, s[12:13]
	v_mov_b32_e32 v0, v2
	s_or_b64 exec, exec, s[0:1]
	v_cmp_gt_i32_e32 vcc, s8, v0
	s_and_saveexec_b64 s[0:1], vcc
	s_cbranch_execz .LBB281_19
.LBB281_24:
	v_add_u32_e32 v0, s11, v0
	v_lshrrev_b32_e32 v1, 24, v1
	global_store_byte v0, v1, s[12:13]
	s_endpgm
	.section	.rodata,"a",@progbits
	.p2align	6, 0x0
	.amdhsa_kernel _ZN2at6native27unrolled_elementwise_kernelINS0_13AUnaryFunctorIN3c1013Float8_e4m3fnES4_bNS0_12_GLOBAL__N_116CompareEqFunctorIS4_EEEESt5arrayIPcLm2EELi4E23TrivialOffsetCalculatorILi1EjESD_NS0_6memory15LoadWithoutCastENSE_16StoreWithoutCastEEEviT_T0_T2_T3_T4_T5_
		.amdhsa_group_segment_fixed_size 0
		.amdhsa_private_segment_fixed_size 0
		.amdhsa_kernarg_size 36
		.amdhsa_user_sgpr_count 6
		.amdhsa_user_sgpr_private_segment_buffer 1
		.amdhsa_user_sgpr_dispatch_ptr 0
		.amdhsa_user_sgpr_queue_ptr 0
		.amdhsa_user_sgpr_kernarg_segment_ptr 1
		.amdhsa_user_sgpr_dispatch_id 0
		.amdhsa_user_sgpr_flat_scratch_init 0
		.amdhsa_user_sgpr_private_segment_size 0
		.amdhsa_uses_dynamic_stack 0
		.amdhsa_system_sgpr_private_segment_wavefront_offset 0
		.amdhsa_system_sgpr_workgroup_id_x 1
		.amdhsa_system_sgpr_workgroup_id_y 0
		.amdhsa_system_sgpr_workgroup_id_z 0
		.amdhsa_system_sgpr_workgroup_info 0
		.amdhsa_system_vgpr_workitem_id 0
		.amdhsa_next_free_vgpr 11
		.amdhsa_next_free_sgpr 18
		.amdhsa_reserve_vcc 1
		.amdhsa_reserve_flat_scratch 0
		.amdhsa_float_round_mode_32 0
		.amdhsa_float_round_mode_16_64 0
		.amdhsa_float_denorm_mode_32 3
		.amdhsa_float_denorm_mode_16_64 3
		.amdhsa_dx10_clamp 1
		.amdhsa_ieee_mode 1
		.amdhsa_fp16_overflow 0
		.amdhsa_exception_fp_ieee_invalid_op 0
		.amdhsa_exception_fp_denorm_src 0
		.amdhsa_exception_fp_ieee_div_zero 0
		.amdhsa_exception_fp_ieee_overflow 0
		.amdhsa_exception_fp_ieee_underflow 0
		.amdhsa_exception_fp_ieee_inexact 0
		.amdhsa_exception_int_div_zero 0
	.end_amdhsa_kernel
	.section	.text._ZN2at6native27unrolled_elementwise_kernelINS0_13AUnaryFunctorIN3c1013Float8_e4m3fnES4_bNS0_12_GLOBAL__N_116CompareEqFunctorIS4_EEEESt5arrayIPcLm2EELi4E23TrivialOffsetCalculatorILi1EjESD_NS0_6memory15LoadWithoutCastENSE_16StoreWithoutCastEEEviT_T0_T2_T3_T4_T5_,"axG",@progbits,_ZN2at6native27unrolled_elementwise_kernelINS0_13AUnaryFunctorIN3c1013Float8_e4m3fnES4_bNS0_12_GLOBAL__N_116CompareEqFunctorIS4_EEEESt5arrayIPcLm2EELi4E23TrivialOffsetCalculatorILi1EjESD_NS0_6memory15LoadWithoutCastENSE_16StoreWithoutCastEEEviT_T0_T2_T3_T4_T5_,comdat
.Lfunc_end281:
	.size	_ZN2at6native27unrolled_elementwise_kernelINS0_13AUnaryFunctorIN3c1013Float8_e4m3fnES4_bNS0_12_GLOBAL__N_116CompareEqFunctorIS4_EEEESt5arrayIPcLm2EELi4E23TrivialOffsetCalculatorILi1EjESD_NS0_6memory15LoadWithoutCastENSE_16StoreWithoutCastEEEviT_T0_T2_T3_T4_T5_, .Lfunc_end281-_ZN2at6native27unrolled_elementwise_kernelINS0_13AUnaryFunctorIN3c1013Float8_e4m3fnES4_bNS0_12_GLOBAL__N_116CompareEqFunctorIS4_EEEESt5arrayIPcLm2EELi4E23TrivialOffsetCalculatorILi1EjESD_NS0_6memory15LoadWithoutCastENSE_16StoreWithoutCastEEEviT_T0_T2_T3_T4_T5_
                                        ; -- End function
	.set _ZN2at6native27unrolled_elementwise_kernelINS0_13AUnaryFunctorIN3c1013Float8_e4m3fnES4_bNS0_12_GLOBAL__N_116CompareEqFunctorIS4_EEEESt5arrayIPcLm2EELi4E23TrivialOffsetCalculatorILi1EjESD_NS0_6memory15LoadWithoutCastENSE_16StoreWithoutCastEEEviT_T0_T2_T3_T4_T5_.num_vgpr, 11
	.set _ZN2at6native27unrolled_elementwise_kernelINS0_13AUnaryFunctorIN3c1013Float8_e4m3fnES4_bNS0_12_GLOBAL__N_116CompareEqFunctorIS4_EEEESt5arrayIPcLm2EELi4E23TrivialOffsetCalculatorILi1EjESD_NS0_6memory15LoadWithoutCastENSE_16StoreWithoutCastEEEviT_T0_T2_T3_T4_T5_.num_agpr, 0
	.set _ZN2at6native27unrolled_elementwise_kernelINS0_13AUnaryFunctorIN3c1013Float8_e4m3fnES4_bNS0_12_GLOBAL__N_116CompareEqFunctorIS4_EEEESt5arrayIPcLm2EELi4E23TrivialOffsetCalculatorILi1EjESD_NS0_6memory15LoadWithoutCastENSE_16StoreWithoutCastEEEviT_T0_T2_T3_T4_T5_.numbered_sgpr, 18
	.set _ZN2at6native27unrolled_elementwise_kernelINS0_13AUnaryFunctorIN3c1013Float8_e4m3fnES4_bNS0_12_GLOBAL__N_116CompareEqFunctorIS4_EEEESt5arrayIPcLm2EELi4E23TrivialOffsetCalculatorILi1EjESD_NS0_6memory15LoadWithoutCastENSE_16StoreWithoutCastEEEviT_T0_T2_T3_T4_T5_.num_named_barrier, 0
	.set _ZN2at6native27unrolled_elementwise_kernelINS0_13AUnaryFunctorIN3c1013Float8_e4m3fnES4_bNS0_12_GLOBAL__N_116CompareEqFunctorIS4_EEEESt5arrayIPcLm2EELi4E23TrivialOffsetCalculatorILi1EjESD_NS0_6memory15LoadWithoutCastENSE_16StoreWithoutCastEEEviT_T0_T2_T3_T4_T5_.private_seg_size, 0
	.set _ZN2at6native27unrolled_elementwise_kernelINS0_13AUnaryFunctorIN3c1013Float8_e4m3fnES4_bNS0_12_GLOBAL__N_116CompareEqFunctorIS4_EEEESt5arrayIPcLm2EELi4E23TrivialOffsetCalculatorILi1EjESD_NS0_6memory15LoadWithoutCastENSE_16StoreWithoutCastEEEviT_T0_T2_T3_T4_T5_.uses_vcc, 1
	.set _ZN2at6native27unrolled_elementwise_kernelINS0_13AUnaryFunctorIN3c1013Float8_e4m3fnES4_bNS0_12_GLOBAL__N_116CompareEqFunctorIS4_EEEESt5arrayIPcLm2EELi4E23TrivialOffsetCalculatorILi1EjESD_NS0_6memory15LoadWithoutCastENSE_16StoreWithoutCastEEEviT_T0_T2_T3_T4_T5_.uses_flat_scratch, 0
	.set _ZN2at6native27unrolled_elementwise_kernelINS0_13AUnaryFunctorIN3c1013Float8_e4m3fnES4_bNS0_12_GLOBAL__N_116CompareEqFunctorIS4_EEEESt5arrayIPcLm2EELi4E23TrivialOffsetCalculatorILi1EjESD_NS0_6memory15LoadWithoutCastENSE_16StoreWithoutCastEEEviT_T0_T2_T3_T4_T5_.has_dyn_sized_stack, 0
	.set _ZN2at6native27unrolled_elementwise_kernelINS0_13AUnaryFunctorIN3c1013Float8_e4m3fnES4_bNS0_12_GLOBAL__N_116CompareEqFunctorIS4_EEEESt5arrayIPcLm2EELi4E23TrivialOffsetCalculatorILi1EjESD_NS0_6memory15LoadWithoutCastENSE_16StoreWithoutCastEEEviT_T0_T2_T3_T4_T5_.has_recursion, 0
	.set _ZN2at6native27unrolled_elementwise_kernelINS0_13AUnaryFunctorIN3c1013Float8_e4m3fnES4_bNS0_12_GLOBAL__N_116CompareEqFunctorIS4_EEEESt5arrayIPcLm2EELi4E23TrivialOffsetCalculatorILi1EjESD_NS0_6memory15LoadWithoutCastENSE_16StoreWithoutCastEEEviT_T0_T2_T3_T4_T5_.has_indirect_call, 0
	.section	.AMDGPU.csdata,"",@progbits
; Kernel info:
; codeLenInByte = 1308
; TotalNumSgprs: 22
; NumVgprs: 11
; ScratchSize: 0
; MemoryBound: 0
; FloatMode: 240
; IeeeMode: 1
; LDSByteSize: 0 bytes/workgroup (compile time only)
; SGPRBlocks: 2
; VGPRBlocks: 2
; NumSGPRsForWavesPerEU: 22
; NumVGPRsForWavesPerEU: 11
; Occupancy: 10
; WaveLimiterHint : 0
; COMPUTE_PGM_RSRC2:SCRATCH_EN: 0
; COMPUTE_PGM_RSRC2:USER_SGPR: 6
; COMPUTE_PGM_RSRC2:TRAP_HANDLER: 0
; COMPUTE_PGM_RSRC2:TGID_X_EN: 1
; COMPUTE_PGM_RSRC2:TGID_Y_EN: 0
; COMPUTE_PGM_RSRC2:TGID_Z_EN: 0
; COMPUTE_PGM_RSRC2:TIDIG_COMP_CNT: 0
	.section	.text._ZN2at6native32elementwise_kernel_manual_unrollILi128ELi8EZNS0_22gpu_kernel_impl_nocastINS0_13AUnaryFunctorIN3c1013Float8_e4m3fnES5_bNS0_12_GLOBAL__N_116CompareEqFunctorIS5_EEEEEEvRNS_18TensorIteratorBaseERKT_EUlibE_EEviT1_,"axG",@progbits,_ZN2at6native32elementwise_kernel_manual_unrollILi128ELi8EZNS0_22gpu_kernel_impl_nocastINS0_13AUnaryFunctorIN3c1013Float8_e4m3fnES5_bNS0_12_GLOBAL__N_116CompareEqFunctorIS5_EEEEEEvRNS_18TensorIteratorBaseERKT_EUlibE_EEviT1_,comdat
	.globl	_ZN2at6native32elementwise_kernel_manual_unrollILi128ELi8EZNS0_22gpu_kernel_impl_nocastINS0_13AUnaryFunctorIN3c1013Float8_e4m3fnES5_bNS0_12_GLOBAL__N_116CompareEqFunctorIS5_EEEEEEvRNS_18TensorIteratorBaseERKT_EUlibE_EEviT1_ ; -- Begin function _ZN2at6native32elementwise_kernel_manual_unrollILi128ELi8EZNS0_22gpu_kernel_impl_nocastINS0_13AUnaryFunctorIN3c1013Float8_e4m3fnES5_bNS0_12_GLOBAL__N_116CompareEqFunctorIS5_EEEEEEvRNS_18TensorIteratorBaseERKT_EUlibE_EEviT1_
	.p2align	8
	.type	_ZN2at6native32elementwise_kernel_manual_unrollILi128ELi8EZNS0_22gpu_kernel_impl_nocastINS0_13AUnaryFunctorIN3c1013Float8_e4m3fnES5_bNS0_12_GLOBAL__N_116CompareEqFunctorIS5_EEEEEEvRNS_18TensorIteratorBaseERKT_EUlibE_EEviT1_,@function
_ZN2at6native32elementwise_kernel_manual_unrollILi128ELi8EZNS0_22gpu_kernel_impl_nocastINS0_13AUnaryFunctorIN3c1013Float8_e4m3fnES5_bNS0_12_GLOBAL__N_116CompareEqFunctorIS5_EEEEEEvRNS_18TensorIteratorBaseERKT_EUlibE_EEviT1_: ; @_ZN2at6native32elementwise_kernel_manual_unrollILi128ELi8EZNS0_22gpu_kernel_impl_nocastINS0_13AUnaryFunctorIN3c1013Float8_e4m3fnES5_bNS0_12_GLOBAL__N_116CompareEqFunctorIS5_EEEEEEvRNS_18TensorIteratorBaseERKT_EUlibE_EEviT1_
; %bb.0:
	s_load_dword s58, s[4:5], 0x0
	s_load_dword s33, s[4:5], 0x8
	s_add_u32 s34, s4, 8
	s_addc_u32 s35, s5, 0
	v_lshl_or_b32 v19, s6, 10, v0
	v_or_b32_e32 v25, 0x380, v19
	s_waitcnt lgkmcnt(0)
	s_add_i32 s56, s33, -1
	s_cmp_gt_u32 s56, 1
	v_cmp_le_i32_e32 vcc, s58, v25
	s_cselect_b64 s[2:3], -1, 0
	s_and_saveexec_b64 s[0:1], vcc
	s_xor_b64 s[40:41], exec, s[0:1]
	s_cbranch_execz .LBB282_7
; %bb.1:
	s_load_dwordx4 s[24:27], s[34:35], 0x4
	s_load_dwordx2 s[42:43], s[34:35], 0x14
	s_load_dwordx2 s[4:5], s[34:35], 0x158
	s_cmp_lg_u32 s33, 0
	s_cselect_b64 s[48:49], -1, 0
	s_add_u32 s46, s34, 0xc4
	s_addc_u32 s47, s35, 0
	s_min_u32 s59, s56, 15
	s_cmp_gt_u32 s33, 1
	s_cselect_b64 s[44:45], -1, 0
	s_waitcnt lgkmcnt(0)
	s_cmp_eq_u32 s4, 0
	s_cselect_b64 s[0:1], -1, 0
	s_lshl_b32 s4, s5, 24
	s_and_b32 s5, s4, 0x80000000
	s_and_b32 s4, s4, 0x7f000000
	s_flbit_i32_b32 s6, s4
	s_min_u32 s6, s6, 32
	v_sub_u32_e64 v0, s6, 4 clamp
	v_readfirstlane_b32 s7, v0
	s_lshl_b32 s8, s4, s7
	s_add_i32 s6, s4, 0x1000000
	s_lshr_b32 s8, s8, 4
	s_lshl_b32 s7, s7, 23
	s_ashr_i32 s6, s6, 8
	s_sub_i32 s7, s8, s7
	s_load_dwordx4 s[28:31], s[34:35], 0xc4
	s_load_dwordx4 s[20:23], s[34:35], 0x148
	s_and_b32 s6, s6, 0x7f800000
	s_add_i32 s7, s7, 0x3c000000
	s_or_b32 s6, s7, s6
	s_cmp_lg_u32 s4, 0
	s_cselect_b32 s4, s6, 0
	s_or_b32 s57, s4, s5
	v_cmp_gt_i32_e32 vcc, s58, v19
	s_and_saveexec_b64 s[50:51], vcc
	s_cbranch_execz .LBB282_14
; %bb.2:
	s_andn2_b64 vcc, exec, s[2:3]
	s_cbranch_vccnz .LBB282_21
; %bb.3:
	s_andn2_b64 vcc, exec, s[48:49]
	s_cbranch_vccnz .LBB282_129
; %bb.4:
	s_add_i32 s61, s59, 1
	s_cmp_eq_u32 s56, 2
	s_cbranch_scc1 .LBB282_131
; %bb.5:
	s_and_b32 s60, s61, 28
	v_mov_b32_e32 v2, 0
	s_mov_b32 s62, 0
	s_mov_b64 s[52:53], s[34:35]
	s_mov_b64 s[54:55], s[46:47]
	v_mov_b32_e32 v0, 0
	v_mov_b32_e32 v1, v19
.LBB282_6:                              ; =>This Inner Loop Header: Depth=1
	s_load_dwordx8 s[12:19], s[52:53], 0x4
	s_load_dwordx4 s[36:39], s[52:53], 0x24
	s_load_dwordx8 s[4:11], s[54:55], 0x0
	s_add_u32 s52, s52, 48
	s_addc_u32 s53, s53, 0
	s_waitcnt lgkmcnt(0)
	v_mul_hi_u32 v3, s13, v1
	s_add_i32 s62, s62, 4
	s_add_u32 s54, s54, 32
	s_addc_u32 s55, s55, 0
	v_add_u32_e32 v3, v1, v3
	v_lshrrev_b32_e32 v3, s14, v3
	v_mul_lo_u32 v4, v3, s12
	v_mul_hi_u32 v5, s16, v3
	s_cmp_lg_u32 s60, s62
	v_sub_u32_e32 v1, v1, v4
	v_add_u32_e32 v4, v3, v5
	v_mul_lo_u32 v5, v1, s4
	v_mul_lo_u32 v6, v1, s5
	v_lshrrev_b32_e32 v1, s17, v4
	v_mul_lo_u32 v4, v1, s15
	v_mul_hi_u32 v7, s19, v1
	v_sub_u32_e32 v3, v3, v4
	v_add_u32_e32 v4, v1, v7
	v_lshrrev_b32_e32 v4, s36, v4
	v_mul_hi_u32 v8, s38, v4
	v_mul_lo_u32 v9, v4, s18
	v_mul_lo_u32 v7, v3, s6
	;; [unrolled: 1-line block ×3, first 2 shown]
	v_sub_u32_e32 v9, v1, v9
	v_add_u32_e32 v1, v4, v8
	v_lshrrev_b32_e32 v1, s39, v1
	v_mul_lo_u32 v8, v1, s37
	v_mul_lo_u32 v10, v9, s8
	;; [unrolled: 1-line block ×3, first 2 shown]
	v_add3_u32 v0, v5, v0, v7
	v_sub_u32_e32 v4, v4, v8
	v_mul_lo_u32 v8, v4, s10
	v_mul_lo_u32 v4, v4, s11
	v_add3_u32 v2, v6, v2, v3
	v_add3_u32 v0, v10, v0, v8
	;; [unrolled: 1-line block ×3, first 2 shown]
	s_cbranch_scc1 .LBB282_6
	s_branch .LBB282_132
.LBB282_7:
	s_andn2_saveexec_b64 s[0:1], s[40:41]
	s_cbranch_execz .LBB282_221
.LBB282_8:
	v_cndmask_b32_e64 v0, 0, 1, s[2:3]
	v_cmp_ne_u32_e64 s[0:1], 1, v0
	s_andn2_b64 vcc, exec, s[2:3]
	s_cbranch_vccnz .LBB282_20
; %bb.9:
	s_cmp_lg_u32 s33, 0
	s_mov_b32 s26, 0
	s_cbranch_scc0 .LBB282_23
; %bb.10:
	s_min_u32 s27, s56, 15
	s_add_i32 s27, s27, 1
	s_cmp_eq_u32 s56, 2
	s_cbranch_scc1 .LBB282_24
; %bb.11:
	s_and_b32 s26, s27, 28
	s_add_u32 s2, s34, 0xc4
	s_addc_u32 s3, s35, 0
	v_mov_b32_e32 v2, 0
	s_waitcnt lgkmcnt(0)
	s_mov_b32 s28, 0
	s_mov_b64 s[24:25], s[34:35]
	v_mov_b32_e32 v0, 0
	v_mov_b32_e32 v1, v19
.LBB282_12:                             ; =>This Inner Loop Header: Depth=1
	s_load_dwordx8 s[12:19], s[24:25], 0x4
	s_load_dwordx4 s[20:23], s[24:25], 0x24
	s_load_dwordx8 s[4:11], s[2:3], 0x0
	s_add_u32 s24, s24, 48
	s_addc_u32 s25, s25, 0
	s_waitcnt lgkmcnt(0)
	v_mul_hi_u32 v3, s13, v1
	s_add_i32 s28, s28, 4
	s_add_u32 s2, s2, 32
	s_addc_u32 s3, s3, 0
	v_add_u32_e32 v3, v1, v3
	v_lshrrev_b32_e32 v3, s14, v3
	v_mul_lo_u32 v4, v3, s12
	v_mul_hi_u32 v5, s16, v3
	s_cmp_lg_u32 s26, s28
	v_sub_u32_e32 v1, v1, v4
	v_add_u32_e32 v4, v3, v5
	v_mul_lo_u32 v5, v1, s4
	v_mul_lo_u32 v6, v1, s5
	v_lshrrev_b32_e32 v1, s17, v4
	v_mul_lo_u32 v4, v1, s15
	v_mul_hi_u32 v7, s19, v1
	v_sub_u32_e32 v3, v3, v4
	v_add_u32_e32 v4, v1, v7
	v_lshrrev_b32_e32 v4, s20, v4
	v_mul_hi_u32 v8, s22, v4
	v_mul_lo_u32 v9, v4, s18
	v_mul_lo_u32 v7, v3, s6
	;; [unrolled: 1-line block ×3, first 2 shown]
	v_sub_u32_e32 v9, v1, v9
	v_add_u32_e32 v1, v4, v8
	v_lshrrev_b32_e32 v1, s23, v1
	v_mul_lo_u32 v8, v1, s21
	v_mul_lo_u32 v10, v9, s8
	;; [unrolled: 1-line block ×3, first 2 shown]
	v_add3_u32 v0, v5, v0, v7
	v_sub_u32_e32 v4, v4, v8
	v_mul_lo_u32 v8, v4, s10
	v_mul_lo_u32 v4, v4, s11
	v_add3_u32 v2, v6, v2, v3
	v_add3_u32 v0, v10, v0, v8
	;; [unrolled: 1-line block ×3, first 2 shown]
	s_cbranch_scc1 .LBB282_12
; %bb.13:
	s_and_b32 s6, s27, 3
	s_cmp_eq_u32 s6, 0
	s_cbranch_scc0 .LBB282_25
	s_branch .LBB282_27
.LBB282_14:
	s_or_b64 exec, exec, s[50:51]
	v_cmp_gt_i32_e32 vcc, s58, v19
	s_and_saveexec_b64 s[50:51], vcc
	s_cbranch_execz .LBB282_139
.LBB282_15:
	s_andn2_b64 vcc, exec, s[2:3]
	s_cbranch_vccnz .LBB282_22
; %bb.16:
	s_andn2_b64 vcc, exec, s[48:49]
	s_cbranch_vccnz .LBB282_130
; %bb.17:
	s_add_i32 s61, s59, 1
	s_cmp_eq_u32 s56, 2
	s_cbranch_scc1 .LBB282_147
; %bb.18:
	s_and_b32 s60, s61, 28
	v_mov_b32_e32 v2, 0
	s_mov_b32 s62, 0
	s_mov_b64 s[52:53], s[34:35]
	s_mov_b64 s[54:55], s[46:47]
	v_mov_b32_e32 v0, 0
	v_mov_b32_e32 v1, v19
.LBB282_19:                             ; =>This Inner Loop Header: Depth=1
	s_load_dwordx8 s[12:19], s[52:53], 0x4
	s_load_dwordx4 s[36:39], s[52:53], 0x24
	s_load_dwordx8 s[4:11], s[54:55], 0x0
	s_add_u32 s52, s52, 48
	s_addc_u32 s53, s53, 0
	s_waitcnt lgkmcnt(0)
	v_mul_hi_u32 v3, s13, v1
	s_add_i32 s62, s62, 4
	s_add_u32 s54, s54, 32
	s_addc_u32 s55, s55, 0
	v_add_u32_e32 v3, v1, v3
	v_lshrrev_b32_e32 v3, s14, v3
	v_mul_lo_u32 v4, v3, s12
	v_mul_hi_u32 v5, s16, v3
	s_cmp_eq_u32 s60, s62
	v_sub_u32_e32 v1, v1, v4
	v_add_u32_e32 v4, v3, v5
	v_mul_lo_u32 v5, v1, s4
	v_mul_lo_u32 v6, v1, s5
	v_lshrrev_b32_e32 v1, s17, v4
	v_mul_lo_u32 v4, v1, s15
	v_mul_hi_u32 v7, s19, v1
	v_sub_u32_e32 v3, v3, v4
	v_add_u32_e32 v4, v1, v7
	v_lshrrev_b32_e32 v4, s36, v4
	v_mul_hi_u32 v8, s38, v4
	v_mul_lo_u32 v9, v4, s18
	v_mul_lo_u32 v7, v3, s6
	;; [unrolled: 1-line block ×3, first 2 shown]
	v_sub_u32_e32 v9, v1, v9
	v_add_u32_e32 v1, v4, v8
	v_lshrrev_b32_e32 v1, s39, v1
	v_mul_lo_u32 v8, v1, s37
	v_mul_lo_u32 v10, v9, s8
	;; [unrolled: 1-line block ×3, first 2 shown]
	v_add3_u32 v0, v5, v0, v7
	v_sub_u32_e32 v4, v4, v8
	v_mul_lo_u32 v8, v4, s10
	v_mul_lo_u32 v4, v4, s11
	v_add3_u32 v2, v6, v2, v3
	v_add3_u32 v0, v10, v0, v8
	;; [unrolled: 1-line block ×3, first 2 shown]
	s_cbranch_scc0 .LBB282_19
	s_branch .LBB282_148
.LBB282_20:
                                        ; implicit-def: $vgpr0
                                        ; implicit-def: $vgpr2
	s_branch .LBB282_28
.LBB282_21:
                                        ; implicit-def: $vgpr0
                                        ; implicit-def: $vgpr2
	s_branch .LBB282_136
.LBB282_22:
                                        ; implicit-def: $vgpr0
                                        ; implicit-def: $vgpr2
	s_branch .LBB282_152
.LBB282_23:
	v_mov_b32_e32 v0, 0
	v_mov_b32_e32 v2, 0
	s_branch .LBB282_27
.LBB282_24:
	v_mov_b32_e32 v0, 0
	v_mov_b32_e32 v2, 0
	;; [unrolled: 1-line block ×3, first 2 shown]
	s_and_b32 s6, s27, 3
	s_cmp_eq_u32 s6, 0
	s_cbranch_scc1 .LBB282_27
.LBB282_25:
	s_lshl_b32 s2, s26, 3
	s_add_u32 s2, s34, s2
	s_addc_u32 s3, s35, 0
	s_add_u32 s2, s2, 0xc4
	s_addc_u32 s3, s3, 0
	s_mul_i32 s4, s26, 12
	s_add_u32 s4, s34, s4
	s_addc_u32 s5, s35, 0
.LBB282_26:                             ; =>This Inner Loop Header: Depth=1
	s_load_dwordx2 s[8:9], s[4:5], 0x4
	s_load_dword s7, s[4:5], 0xc
	s_load_dwordx2 s[10:11], s[2:3], 0x0
	s_add_u32 s4, s4, 12
	s_addc_u32 s5, s5, 0
	s_waitcnt lgkmcnt(0)
	v_mul_hi_u32 v4, s9, v1
	s_add_u32 s2, s2, 8
	s_addc_u32 s3, s3, 0
	s_add_i32 s6, s6, -1
	v_add_u32_e32 v4, v1, v4
	v_lshrrev_b32_e32 v4, s7, v4
	v_mul_lo_u32 v5, v4, s8
	s_cmp_lg_u32 s6, 0
	v_sub_u32_e32 v5, v1, v5
	v_mad_u64_u32 v[0:1], s[8:9], v5, s10, v[0:1]
	v_mad_u64_u32 v[2:3], s[8:9], v5, s11, v[2:3]
	v_mov_b32_e32 v1, v4
	s_cbranch_scc1 .LBB282_26
.LBB282_27:
	s_cbranch_execnz .LBB282_30
.LBB282_28:
	s_load_dwordx4 s[4:7], s[34:35], 0x4
	s_load_dwordx2 s[2:3], s[34:35], 0xc4
	s_cmp_lt_u32 s33, 2
	s_waitcnt lgkmcnt(0)
	v_mul_hi_u32 v0, s5, v19
	v_add_u32_e32 v0, v19, v0
	v_lshrrev_b32_e32 v1, s6, v0
	v_mul_lo_u32 v0, v1, s4
	v_sub_u32_e32 v2, v19, v0
	v_mul_lo_u32 v0, v2, s2
	v_mul_lo_u32 v2, v2, s3
	s_cbranch_scc1 .LBB282_30
; %bb.29:
	s_load_dwordx4 s[4:7], s[34:35], 0x10
	s_load_dwordx2 s[2:3], s[34:35], 0xcc
	s_waitcnt lgkmcnt(0)
	v_mul_hi_u32 v3, s5, v1
	v_add_u32_e32 v3, v1, v3
	v_lshrrev_b32_e32 v3, s6, v3
	v_mul_lo_u32 v3, v3, s4
	v_sub_u32_e32 v3, v1, v3
	v_mad_u64_u32 v[0:1], s[4:5], v3, s2, v[0:1]
	v_mad_u64_u32 v[2:3], s[2:3], v3, s3, v[2:3]
.LBB282_30:
	s_and_b64 vcc, exec, s[0:1]
	v_add_u32_e32 v1, 0x80, v19
	s_cbranch_vccnz .LBB282_36
; %bb.31:
	s_cmp_lg_u32 s33, 0
	s_mov_b32 s26, 0
	s_cbranch_scc0 .LBB282_37
; %bb.32:
	s_min_u32 s27, s56, 15
	s_add_i32 s27, s27, 1
	s_cmp_eq_u32 s56, 2
	s_cbranch_scc1 .LBB282_38
; %bb.33:
	s_and_b32 s26, s27, 28
	s_add_u32 s2, s34, 0xc4
	s_addc_u32 s3, s35, 0
	v_mov_b32_e32 v5, 0
	s_waitcnt lgkmcnt(0)
	s_mov_b32 s28, 0
	s_mov_b64 s[24:25], s[34:35]
	v_mov_b32_e32 v3, 0
	v_mov_b32_e32 v4, v1
.LBB282_34:                             ; =>This Inner Loop Header: Depth=1
	s_load_dwordx8 s[12:19], s[24:25], 0x4
	s_load_dwordx4 s[20:23], s[24:25], 0x24
	s_load_dwordx8 s[4:11], s[2:3], 0x0
	s_add_u32 s24, s24, 48
	s_addc_u32 s25, s25, 0
	s_waitcnt lgkmcnt(0)
	v_mul_hi_u32 v6, s13, v4
	s_add_i32 s28, s28, 4
	s_add_u32 s2, s2, 32
	s_addc_u32 s3, s3, 0
	v_add_u32_e32 v6, v4, v6
	v_lshrrev_b32_e32 v6, s14, v6
	v_mul_lo_u32 v7, v6, s12
	v_mul_hi_u32 v8, s16, v6
	s_cmp_lg_u32 s26, s28
	v_sub_u32_e32 v4, v4, v7
	v_add_u32_e32 v7, v6, v8
	v_mul_lo_u32 v8, v4, s4
	v_mul_lo_u32 v9, v4, s5
	v_lshrrev_b32_e32 v4, s17, v7
	v_mul_lo_u32 v7, v4, s15
	v_mul_hi_u32 v10, s19, v4
	v_sub_u32_e32 v6, v6, v7
	v_add_u32_e32 v7, v4, v10
	v_lshrrev_b32_e32 v7, s20, v7
	v_mul_hi_u32 v11, s22, v7
	v_mul_lo_u32 v12, v7, s18
	v_mul_lo_u32 v10, v6, s6
	;; [unrolled: 1-line block ×3, first 2 shown]
	v_sub_u32_e32 v12, v4, v12
	v_add_u32_e32 v4, v7, v11
	v_lshrrev_b32_e32 v4, s23, v4
	v_mul_lo_u32 v11, v4, s21
	v_mul_lo_u32 v13, v12, s8
	v_mul_lo_u32 v12, v12, s9
	v_add3_u32 v3, v8, v3, v10
	v_sub_u32_e32 v7, v7, v11
	v_mul_lo_u32 v11, v7, s10
	v_mul_lo_u32 v7, v7, s11
	v_add3_u32 v5, v9, v5, v6
	v_add3_u32 v3, v13, v3, v11
	;; [unrolled: 1-line block ×3, first 2 shown]
	s_cbranch_scc1 .LBB282_34
; %bb.35:
	s_and_b32 s6, s27, 3
	s_cmp_eq_u32 s6, 0
	s_cbranch_scc0 .LBB282_39
	s_branch .LBB282_41
.LBB282_36:
                                        ; implicit-def: $vgpr3
                                        ; implicit-def: $vgpr5
	s_branch .LBB282_42
.LBB282_37:
	v_mov_b32_e32 v3, 0
	v_mov_b32_e32 v5, 0
	s_branch .LBB282_41
.LBB282_38:
	v_mov_b32_e32 v3, 0
	v_mov_b32_e32 v5, 0
	;; [unrolled: 1-line block ×3, first 2 shown]
	s_and_b32 s6, s27, 3
	s_cmp_eq_u32 s6, 0
	s_cbranch_scc1 .LBB282_41
.LBB282_39:
	s_lshl_b32 s2, s26, 3
	s_add_u32 s2, s34, s2
	s_addc_u32 s3, s35, 0
	s_add_u32 s2, s2, 0xc4
	s_addc_u32 s3, s3, 0
	s_mul_i32 s4, s26, 12
	s_add_u32 s4, s34, s4
	s_addc_u32 s5, s35, 0
.LBB282_40:                             ; =>This Inner Loop Header: Depth=1
	s_load_dwordx2 s[8:9], s[4:5], 0x4
	s_load_dword s7, s[4:5], 0xc
	s_load_dwordx2 s[10:11], s[2:3], 0x0
	s_add_u32 s4, s4, 12
	s_addc_u32 s5, s5, 0
	s_waitcnt lgkmcnt(0)
	v_mul_hi_u32 v7, s9, v4
	s_add_u32 s2, s2, 8
	s_addc_u32 s3, s3, 0
	s_add_i32 s6, s6, -1
	v_add_u32_e32 v7, v4, v7
	v_lshrrev_b32_e32 v7, s7, v7
	v_mul_lo_u32 v8, v7, s8
	s_cmp_lg_u32 s6, 0
	v_sub_u32_e32 v8, v4, v8
	v_mad_u64_u32 v[3:4], s[8:9], v8, s10, v[3:4]
	v_mad_u64_u32 v[5:6], s[8:9], v8, s11, v[5:6]
	v_mov_b32_e32 v4, v7
	s_cbranch_scc1 .LBB282_40
.LBB282_41:
	s_cbranch_execnz .LBB282_44
.LBB282_42:
	s_load_dwordx4 s[4:7], s[34:35], 0x4
	s_load_dwordx2 s[2:3], s[34:35], 0xc4
	s_cmp_lt_u32 s33, 2
	s_waitcnt lgkmcnt(0)
	v_mul_hi_u32 v3, s5, v1
	v_add_u32_e32 v3, v1, v3
	v_lshrrev_b32_e32 v4, s6, v3
	v_mul_lo_u32 v3, v4, s4
	v_sub_u32_e32 v1, v1, v3
	v_mul_lo_u32 v3, v1, s2
	v_mul_lo_u32 v5, v1, s3
	s_cbranch_scc1 .LBB282_44
; %bb.43:
	s_load_dwordx4 s[4:7], s[34:35], 0x10
	s_load_dwordx2 s[2:3], s[34:35], 0xcc
	s_waitcnt lgkmcnt(0)
	v_mul_hi_u32 v1, s5, v4
	v_add_u32_e32 v1, v4, v1
	v_lshrrev_b32_e32 v1, s6, v1
	v_mul_lo_u32 v1, v1, s4
	v_sub_u32_e32 v1, v4, v1
	v_mad_u64_u32 v[3:4], s[4:5], v1, s2, v[3:4]
	v_mad_u64_u32 v[5:6], s[2:3], v1, s3, v[5:6]
.LBB282_44:
	s_and_b64 vcc, exec, s[0:1]
	v_add_u32_e32 v1, 0x100, v19
	s_cbranch_vccnz .LBB282_50
; %bb.45:
	s_cmp_lg_u32 s33, 0
	s_mov_b32 s26, 0
	s_cbranch_scc0 .LBB282_51
; %bb.46:
	s_min_u32 s27, s56, 15
	s_add_i32 s27, s27, 1
	s_cmp_eq_u32 s56, 2
	s_cbranch_scc1 .LBB282_52
; %bb.47:
	s_and_b32 s26, s27, 28
	s_add_u32 s2, s34, 0xc4
	s_addc_u32 s3, s35, 0
	v_mov_b32_e32 v8, 0
	s_waitcnt lgkmcnt(0)
	s_mov_b32 s28, 0
	s_mov_b64 s[24:25], s[34:35]
	v_mov_b32_e32 v6, 0
	v_mov_b32_e32 v4, v1
.LBB282_48:                             ; =>This Inner Loop Header: Depth=1
	s_load_dwordx8 s[12:19], s[24:25], 0x4
	s_load_dwordx4 s[20:23], s[24:25], 0x24
	s_load_dwordx8 s[4:11], s[2:3], 0x0
	s_add_u32 s24, s24, 48
	s_addc_u32 s25, s25, 0
	s_waitcnt lgkmcnt(0)
	v_mul_hi_u32 v7, s13, v4
	s_add_i32 s28, s28, 4
	s_add_u32 s2, s2, 32
	s_addc_u32 s3, s3, 0
	v_add_u32_e32 v7, v4, v7
	v_lshrrev_b32_e32 v7, s14, v7
	v_mul_lo_u32 v9, v7, s12
	v_mul_hi_u32 v10, s16, v7
	s_cmp_lg_u32 s26, s28
	v_sub_u32_e32 v4, v4, v9
	v_add_u32_e32 v9, v7, v10
	v_mul_lo_u32 v10, v4, s4
	v_mul_lo_u32 v11, v4, s5
	v_lshrrev_b32_e32 v4, s17, v9
	v_mul_lo_u32 v9, v4, s15
	v_mul_hi_u32 v12, s19, v4
	v_sub_u32_e32 v7, v7, v9
	v_add_u32_e32 v9, v4, v12
	v_lshrrev_b32_e32 v9, s20, v9
	v_mul_hi_u32 v13, s22, v9
	v_mul_lo_u32 v14, v9, s18
	v_mul_lo_u32 v12, v7, s6
	;; [unrolled: 1-line block ×3, first 2 shown]
	v_sub_u32_e32 v14, v4, v14
	v_add_u32_e32 v4, v9, v13
	v_lshrrev_b32_e32 v4, s23, v4
	v_mul_lo_u32 v13, v4, s21
	v_mul_lo_u32 v15, v14, s8
	;; [unrolled: 1-line block ×3, first 2 shown]
	v_add3_u32 v6, v10, v6, v12
	v_sub_u32_e32 v9, v9, v13
	v_mul_lo_u32 v13, v9, s10
	v_mul_lo_u32 v9, v9, s11
	v_add3_u32 v7, v11, v8, v7
	v_add3_u32 v6, v15, v6, v13
	;; [unrolled: 1-line block ×3, first 2 shown]
	s_cbranch_scc1 .LBB282_48
; %bb.49:
	s_and_b32 s6, s27, 3
	s_cmp_eq_u32 s6, 0
	s_cbranch_scc0 .LBB282_53
	s_branch .LBB282_55
.LBB282_50:
                                        ; implicit-def: $vgpr6
                                        ; implicit-def: $vgpr8
	s_branch .LBB282_56
.LBB282_51:
	v_mov_b32_e32 v6, 0
	v_mov_b32_e32 v8, 0
	s_branch .LBB282_55
.LBB282_52:
	v_mov_b32_e32 v6, 0
	v_mov_b32_e32 v8, 0
	;; [unrolled: 1-line block ×3, first 2 shown]
	s_and_b32 s6, s27, 3
	s_cmp_eq_u32 s6, 0
	s_cbranch_scc1 .LBB282_55
.LBB282_53:
	s_lshl_b32 s2, s26, 3
	s_add_u32 s2, s34, s2
	s_addc_u32 s3, s35, 0
	s_add_u32 s2, s2, 0xc4
	s_addc_u32 s3, s3, 0
	s_mul_i32 s4, s26, 12
	s_add_u32 s4, s34, s4
	s_addc_u32 s5, s35, 0
.LBB282_54:                             ; =>This Inner Loop Header: Depth=1
	s_load_dwordx2 s[8:9], s[4:5], 0x4
	s_load_dword s7, s[4:5], 0xc
	s_load_dwordx2 s[10:11], s[2:3], 0x0
	s_add_u32 s4, s4, 12
	s_addc_u32 s5, s5, 0
	s_waitcnt lgkmcnt(0)
	v_mul_hi_u32 v7, s9, v4
	s_add_u32 s2, s2, 8
	s_addc_u32 s3, s3, 0
	s_add_i32 s6, s6, -1
	v_add_u32_e32 v7, v4, v7
	v_lshrrev_b32_e32 v10, s7, v7
	v_mul_lo_u32 v7, v10, s8
	s_cmp_lg_u32 s6, 0
	v_sub_u32_e32 v4, v4, v7
	v_mad_u64_u32 v[6:7], s[8:9], v4, s10, v[6:7]
	v_mad_u64_u32 v[8:9], s[8:9], v4, s11, v[8:9]
	v_mov_b32_e32 v4, v10
	s_cbranch_scc1 .LBB282_54
.LBB282_55:
	s_cbranch_execnz .LBB282_58
.LBB282_56:
	s_load_dwordx4 s[4:7], s[34:35], 0x4
	s_load_dwordx2 s[2:3], s[34:35], 0xc4
	s_cmp_lt_u32 s33, 2
	s_waitcnt lgkmcnt(0)
	v_mul_hi_u32 v4, s5, v1
	v_add_u32_e32 v4, v1, v4
	v_lshrrev_b32_e32 v4, s6, v4
	v_mul_lo_u32 v6, v4, s4
	v_sub_u32_e32 v1, v1, v6
	v_mul_lo_u32 v6, v1, s2
	v_mul_lo_u32 v8, v1, s3
	s_cbranch_scc1 .LBB282_58
; %bb.57:
	s_load_dwordx4 s[4:7], s[34:35], 0x10
	s_load_dwordx2 s[2:3], s[34:35], 0xcc
	s_waitcnt lgkmcnt(0)
	v_mul_hi_u32 v1, s5, v4
	v_add_u32_e32 v1, v4, v1
	v_lshrrev_b32_e32 v1, s6, v1
	v_mul_lo_u32 v1, v1, s4
	v_sub_u32_e32 v1, v4, v1
	v_mad_u64_u32 v[6:7], s[4:5], v1, s2, v[6:7]
	v_mad_u64_u32 v[8:9], s[2:3], v1, s3, v[8:9]
.LBB282_58:
	s_and_b64 vcc, exec, s[0:1]
	v_add_u32_e32 v1, 0x180, v19
	s_cbranch_vccnz .LBB282_64
; %bb.59:
	s_cmp_lg_u32 s33, 0
	s_mov_b32 s26, 0
	s_cbranch_scc0 .LBB282_65
; %bb.60:
	s_min_u32 s27, s56, 15
	s_add_i32 s27, s27, 1
	s_cmp_eq_u32 s56, 2
	s_cbranch_scc1 .LBB282_66
; %bb.61:
	s_and_b32 s26, s27, 28
	s_add_u32 s2, s34, 0xc4
	s_addc_u32 s3, s35, 0
	v_mov_b32_e32 v11, 0
	s_waitcnt lgkmcnt(0)
	s_mov_b32 s28, 0
	s_mov_b64 s[24:25], s[34:35]
	v_mov_b32_e32 v9, 0
	v_mov_b32_e32 v4, v1
.LBB282_62:                             ; =>This Inner Loop Header: Depth=1
	s_load_dwordx8 s[12:19], s[24:25], 0x4
	s_load_dwordx4 s[20:23], s[24:25], 0x24
	s_load_dwordx8 s[4:11], s[2:3], 0x0
	s_add_u32 s24, s24, 48
	s_addc_u32 s25, s25, 0
	s_waitcnt lgkmcnt(0)
	v_mul_hi_u32 v7, s13, v4
	s_add_i32 s28, s28, 4
	s_add_u32 s2, s2, 32
	s_addc_u32 s3, s3, 0
	v_add_u32_e32 v7, v4, v7
	v_lshrrev_b32_e32 v7, s14, v7
	v_mul_lo_u32 v10, v7, s12
	v_mul_hi_u32 v12, s16, v7
	s_cmp_lg_u32 s26, s28
	v_sub_u32_e32 v4, v4, v10
	v_add_u32_e32 v10, v7, v12
	v_mul_lo_u32 v12, v4, s4
	v_mul_lo_u32 v13, v4, s5
	v_lshrrev_b32_e32 v4, s17, v10
	v_mul_lo_u32 v10, v4, s15
	v_mul_hi_u32 v14, s19, v4
	v_sub_u32_e32 v7, v7, v10
	v_add_u32_e32 v10, v4, v14
	v_lshrrev_b32_e32 v10, s20, v10
	v_mul_hi_u32 v15, s22, v10
	v_mul_lo_u32 v16, v10, s18
	v_mul_lo_u32 v14, v7, s6
	;; [unrolled: 1-line block ×3, first 2 shown]
	v_sub_u32_e32 v16, v4, v16
	v_add_u32_e32 v4, v10, v15
	v_lshrrev_b32_e32 v4, s23, v4
	v_mul_lo_u32 v15, v4, s21
	v_mul_lo_u32 v17, v16, s8
	;; [unrolled: 1-line block ×3, first 2 shown]
	v_add3_u32 v9, v12, v9, v14
	v_sub_u32_e32 v10, v10, v15
	v_mul_lo_u32 v15, v10, s10
	v_mul_lo_u32 v10, v10, s11
	v_add3_u32 v7, v13, v11, v7
	v_add3_u32 v9, v17, v9, v15
	;; [unrolled: 1-line block ×3, first 2 shown]
	s_cbranch_scc1 .LBB282_62
; %bb.63:
	s_and_b32 s6, s27, 3
	s_cmp_eq_u32 s6, 0
	s_cbranch_scc0 .LBB282_67
	s_branch .LBB282_69
.LBB282_64:
                                        ; implicit-def: $vgpr9
                                        ; implicit-def: $vgpr11
	s_branch .LBB282_70
.LBB282_65:
	v_mov_b32_e32 v9, 0
	v_mov_b32_e32 v11, 0
	s_branch .LBB282_69
.LBB282_66:
	v_mov_b32_e32 v9, 0
	v_mov_b32_e32 v11, 0
	;; [unrolled: 1-line block ×3, first 2 shown]
	s_and_b32 s6, s27, 3
	s_cmp_eq_u32 s6, 0
	s_cbranch_scc1 .LBB282_69
.LBB282_67:
	s_lshl_b32 s2, s26, 3
	s_add_u32 s2, s34, s2
	s_addc_u32 s3, s35, 0
	s_add_u32 s2, s2, 0xc4
	s_addc_u32 s3, s3, 0
	s_mul_i32 s4, s26, 12
	s_add_u32 s4, s34, s4
	s_addc_u32 s5, s35, 0
.LBB282_68:                             ; =>This Inner Loop Header: Depth=1
	s_load_dwordx2 s[8:9], s[4:5], 0x4
	s_load_dword s7, s[4:5], 0xc
	s_load_dwordx2 s[10:11], s[2:3], 0x0
	s_add_u32 s4, s4, 12
	s_addc_u32 s5, s5, 0
	s_waitcnt lgkmcnt(0)
	v_mul_hi_u32 v7, s9, v4
	s_add_u32 s2, s2, 8
	s_addc_u32 s3, s3, 0
	s_add_i32 s6, s6, -1
	v_add_u32_e32 v7, v4, v7
	v_lshrrev_b32_e32 v7, s7, v7
	v_mul_lo_u32 v10, v7, s8
	s_cmp_lg_u32 s6, 0
	v_sub_u32_e32 v4, v4, v10
	v_mad_u64_u32 v[9:10], s[8:9], v4, s10, v[9:10]
	v_mad_u64_u32 v[11:12], s[8:9], v4, s11, v[11:12]
	v_mov_b32_e32 v4, v7
	s_cbranch_scc1 .LBB282_68
.LBB282_69:
	s_cbranch_execnz .LBB282_72
.LBB282_70:
	s_load_dwordx4 s[4:7], s[34:35], 0x4
	s_load_dwordx2 s[2:3], s[34:35], 0xc4
	s_cmp_lt_u32 s33, 2
	s_waitcnt lgkmcnt(0)
	v_mul_hi_u32 v4, s5, v1
	v_add_u32_e32 v4, v1, v4
	v_lshrrev_b32_e32 v4, s6, v4
	v_mul_lo_u32 v7, v4, s4
	v_sub_u32_e32 v1, v1, v7
	v_mul_lo_u32 v9, v1, s2
	v_mul_lo_u32 v11, v1, s3
	s_cbranch_scc1 .LBB282_72
; %bb.71:
	s_load_dwordx4 s[4:7], s[34:35], 0x10
	s_load_dwordx2 s[2:3], s[34:35], 0xcc
	s_waitcnt lgkmcnt(0)
	v_mul_hi_u32 v1, s5, v4
	v_add_u32_e32 v1, v4, v1
	v_lshrrev_b32_e32 v1, s6, v1
	v_mul_lo_u32 v1, v1, s4
	v_sub_u32_e32 v1, v4, v1
	v_mad_u64_u32 v[9:10], s[4:5], v1, s2, v[9:10]
	v_mad_u64_u32 v[11:12], s[2:3], v1, s3, v[11:12]
.LBB282_72:
	s_and_b64 vcc, exec, s[0:1]
	v_add_u32_e32 v1, 0x200, v19
	s_cbranch_vccnz .LBB282_78
; %bb.73:
	s_cmp_lg_u32 s33, 0
	s_mov_b32 s26, 0
	s_cbranch_scc0 .LBB282_79
; %bb.74:
	s_min_u32 s27, s56, 15
	s_add_i32 s27, s27, 1
	s_cmp_eq_u32 s56, 2
	s_cbranch_scc1 .LBB282_80
; %bb.75:
	s_and_b32 s26, s27, 28
	s_add_u32 s2, s34, 0xc4
	s_addc_u32 s3, s35, 0
	v_mov_b32_e32 v14, 0
	s_waitcnt lgkmcnt(0)
	s_mov_b32 s28, 0
	s_mov_b64 s[24:25], s[34:35]
	v_mov_b32_e32 v12, 0
	v_mov_b32_e32 v4, v1
.LBB282_76:                             ; =>This Inner Loop Header: Depth=1
	s_load_dwordx8 s[12:19], s[24:25], 0x4
	s_load_dwordx4 s[20:23], s[24:25], 0x24
	s_load_dwordx8 s[4:11], s[2:3], 0x0
	s_add_u32 s24, s24, 48
	s_addc_u32 s25, s25, 0
	s_waitcnt lgkmcnt(0)
	v_mul_hi_u32 v7, s13, v4
	s_add_i32 s28, s28, 4
	s_add_u32 s2, s2, 32
	s_addc_u32 s3, s3, 0
	v_add_u32_e32 v7, v4, v7
	v_lshrrev_b32_e32 v7, s14, v7
	v_mul_lo_u32 v10, v7, s12
	v_mul_hi_u32 v13, s16, v7
	s_cmp_lg_u32 s26, s28
	v_sub_u32_e32 v4, v4, v10
	v_add_u32_e32 v10, v7, v13
	v_mul_lo_u32 v13, v4, s4
	v_mul_lo_u32 v15, v4, s5
	v_lshrrev_b32_e32 v4, s17, v10
	v_mul_lo_u32 v10, v4, s15
	v_mul_hi_u32 v16, s19, v4
	v_sub_u32_e32 v7, v7, v10
	v_add_u32_e32 v10, v4, v16
	v_lshrrev_b32_e32 v10, s20, v10
	v_mul_hi_u32 v17, s22, v10
	v_mul_lo_u32 v18, v10, s18
	v_mul_lo_u32 v16, v7, s6
	;; [unrolled: 1-line block ×3, first 2 shown]
	v_sub_u32_e32 v18, v4, v18
	v_add_u32_e32 v4, v10, v17
	v_lshrrev_b32_e32 v4, s23, v4
	v_mul_lo_u32 v17, v4, s21
	v_mul_lo_u32 v20, v18, s8
	;; [unrolled: 1-line block ×3, first 2 shown]
	v_add3_u32 v12, v13, v12, v16
	v_sub_u32_e32 v10, v10, v17
	v_mul_lo_u32 v17, v10, s10
	v_mul_lo_u32 v10, v10, s11
	v_add3_u32 v7, v15, v14, v7
	v_add3_u32 v12, v20, v12, v17
	;; [unrolled: 1-line block ×3, first 2 shown]
	s_cbranch_scc1 .LBB282_76
; %bb.77:
	s_and_b32 s6, s27, 3
	s_cmp_eq_u32 s6, 0
	s_cbranch_scc0 .LBB282_81
	s_branch .LBB282_83
.LBB282_78:
                                        ; implicit-def: $vgpr12
                                        ; implicit-def: $vgpr14
	s_branch .LBB282_84
.LBB282_79:
	v_mov_b32_e32 v12, 0
	v_mov_b32_e32 v14, 0
	s_branch .LBB282_83
.LBB282_80:
	v_mov_b32_e32 v12, 0
	v_mov_b32_e32 v14, 0
	;; [unrolled: 1-line block ×3, first 2 shown]
	s_and_b32 s6, s27, 3
	s_cmp_eq_u32 s6, 0
	s_cbranch_scc1 .LBB282_83
.LBB282_81:
	s_lshl_b32 s2, s26, 3
	s_add_u32 s2, s34, s2
	s_addc_u32 s3, s35, 0
	s_add_u32 s2, s2, 0xc4
	s_addc_u32 s3, s3, 0
	s_mul_i32 s4, s26, 12
	s_add_u32 s4, s34, s4
	s_addc_u32 s5, s35, 0
.LBB282_82:                             ; =>This Inner Loop Header: Depth=1
	s_load_dwordx2 s[8:9], s[4:5], 0x4
	s_load_dword s7, s[4:5], 0xc
	s_load_dwordx2 s[10:11], s[2:3], 0x0
	s_add_u32 s4, s4, 12
	s_addc_u32 s5, s5, 0
	s_waitcnt lgkmcnt(0)
	v_mul_hi_u32 v7, s9, v4
	s_add_u32 s2, s2, 8
	s_addc_u32 s3, s3, 0
	s_add_i32 s6, s6, -1
	v_add_u32_e32 v7, v4, v7
	v_lshrrev_b32_e32 v7, s7, v7
	v_mul_lo_u32 v10, v7, s8
	s_cmp_lg_u32 s6, 0
	v_sub_u32_e32 v4, v4, v10
	v_mad_u64_u32 v[12:13], s[8:9], v4, s10, v[12:13]
	v_mad_u64_u32 v[14:15], s[8:9], v4, s11, v[14:15]
	v_mov_b32_e32 v4, v7
	s_cbranch_scc1 .LBB282_82
.LBB282_83:
	s_cbranch_execnz .LBB282_86
.LBB282_84:
	s_load_dwordx4 s[4:7], s[34:35], 0x4
	s_load_dwordx2 s[2:3], s[34:35], 0xc4
	s_cmp_lt_u32 s33, 2
	s_waitcnt lgkmcnt(0)
	v_mul_hi_u32 v4, s5, v1
	v_add_u32_e32 v4, v1, v4
	v_lshrrev_b32_e32 v4, s6, v4
	v_mul_lo_u32 v7, v4, s4
	v_sub_u32_e32 v1, v1, v7
	v_mul_lo_u32 v12, v1, s2
	v_mul_lo_u32 v14, v1, s3
	s_cbranch_scc1 .LBB282_86
; %bb.85:
	s_load_dwordx4 s[4:7], s[34:35], 0x10
	s_load_dwordx2 s[2:3], s[34:35], 0xcc
	s_waitcnt lgkmcnt(0)
	v_mul_hi_u32 v1, s5, v4
	v_add_u32_e32 v1, v4, v1
	v_lshrrev_b32_e32 v1, s6, v1
	v_mul_lo_u32 v1, v1, s4
	v_sub_u32_e32 v1, v4, v1
	v_mad_u64_u32 v[12:13], s[4:5], v1, s2, v[12:13]
	v_mad_u64_u32 v[14:15], s[2:3], v1, s3, v[14:15]
.LBB282_86:
	s_and_b64 vcc, exec, s[0:1]
	v_add_u32_e32 v1, 0x280, v19
	s_cbranch_vccnz .LBB282_92
; %bb.87:
	s_cmp_lg_u32 s33, 0
	s_mov_b32 s26, 0
	s_cbranch_scc0 .LBB282_93
; %bb.88:
	s_min_u32 s27, s56, 15
	s_add_i32 s27, s27, 1
	s_cmp_eq_u32 s56, 2
	s_cbranch_scc1 .LBB282_94
; %bb.89:
	s_and_b32 s26, s27, 28
	s_add_u32 s2, s34, 0xc4
	s_addc_u32 s3, s35, 0
	v_mov_b32_e32 v17, 0
	s_waitcnt lgkmcnt(0)
	s_mov_b32 s28, 0
	s_mov_b64 s[24:25], s[34:35]
	v_mov_b32_e32 v15, 0
	v_mov_b32_e32 v4, v1
.LBB282_90:                             ; =>This Inner Loop Header: Depth=1
	s_load_dwordx8 s[12:19], s[24:25], 0x4
	s_load_dwordx4 s[20:23], s[24:25], 0x24
	s_load_dwordx8 s[4:11], s[2:3], 0x0
	s_add_u32 s24, s24, 48
	s_addc_u32 s25, s25, 0
	s_waitcnt lgkmcnt(0)
	v_mul_hi_u32 v7, s13, v4
	s_add_i32 s28, s28, 4
	s_add_u32 s2, s2, 32
	s_addc_u32 s3, s3, 0
	v_add_u32_e32 v7, v4, v7
	v_lshrrev_b32_e32 v7, s14, v7
	v_mul_lo_u32 v10, v7, s12
	v_mul_hi_u32 v13, s16, v7
	s_cmp_lg_u32 s26, s28
	v_sub_u32_e32 v4, v4, v10
	v_add_u32_e32 v10, v7, v13
	v_mul_lo_u32 v13, v4, s4
	v_mul_lo_u32 v16, v4, s5
	v_lshrrev_b32_e32 v4, s17, v10
	v_mul_lo_u32 v10, v4, s15
	v_mul_hi_u32 v18, s19, v4
	v_sub_u32_e32 v7, v7, v10
	v_add_u32_e32 v10, v4, v18
	v_lshrrev_b32_e32 v10, s20, v10
	v_mul_hi_u32 v20, s22, v10
	v_mul_lo_u32 v21, v10, s18
	v_mul_lo_u32 v18, v7, s6
	;; [unrolled: 1-line block ×3, first 2 shown]
	v_sub_u32_e32 v21, v4, v21
	v_add_u32_e32 v4, v10, v20
	v_lshrrev_b32_e32 v4, s23, v4
	v_mul_lo_u32 v20, v4, s21
	v_mul_lo_u32 v22, v21, s8
	;; [unrolled: 1-line block ×3, first 2 shown]
	v_add3_u32 v13, v13, v15, v18
	v_sub_u32_e32 v10, v10, v20
	v_mul_lo_u32 v20, v10, s10
	v_mul_lo_u32 v10, v10, s11
	v_add3_u32 v7, v16, v17, v7
	v_add3_u32 v15, v22, v13, v20
	;; [unrolled: 1-line block ×3, first 2 shown]
	s_cbranch_scc1 .LBB282_90
; %bb.91:
	s_and_b32 s6, s27, 3
	s_cmp_eq_u32 s6, 0
	s_cbranch_scc0 .LBB282_95
	s_branch .LBB282_97
.LBB282_92:
                                        ; implicit-def: $vgpr15
                                        ; implicit-def: $vgpr17
	s_branch .LBB282_98
.LBB282_93:
	v_mov_b32_e32 v15, 0
	v_mov_b32_e32 v17, 0
	s_branch .LBB282_97
.LBB282_94:
	v_mov_b32_e32 v15, 0
	v_mov_b32_e32 v17, 0
	;; [unrolled: 1-line block ×3, first 2 shown]
	s_and_b32 s6, s27, 3
	s_cmp_eq_u32 s6, 0
	s_cbranch_scc1 .LBB282_97
.LBB282_95:
	s_lshl_b32 s2, s26, 3
	s_add_u32 s2, s34, s2
	s_addc_u32 s3, s35, 0
	s_add_u32 s2, s2, 0xc4
	s_addc_u32 s3, s3, 0
	s_mul_i32 s4, s26, 12
	s_add_u32 s4, s34, s4
	s_addc_u32 s5, s35, 0
.LBB282_96:                             ; =>This Inner Loop Header: Depth=1
	s_load_dwordx2 s[8:9], s[4:5], 0x4
	s_load_dword s7, s[4:5], 0xc
	s_load_dwordx2 s[10:11], s[2:3], 0x0
	s_add_u32 s4, s4, 12
	s_addc_u32 s5, s5, 0
	s_waitcnt lgkmcnt(0)
	v_mul_hi_u32 v7, s9, v4
	s_add_u32 s2, s2, 8
	s_addc_u32 s3, s3, 0
	s_add_i32 s6, s6, -1
	v_add_u32_e32 v7, v4, v7
	v_lshrrev_b32_e32 v7, s7, v7
	v_mul_lo_u32 v10, v7, s8
	s_cmp_lg_u32 s6, 0
	v_sub_u32_e32 v4, v4, v10
	v_mad_u64_u32 v[15:16], s[8:9], v4, s10, v[15:16]
	v_mad_u64_u32 v[17:18], s[8:9], v4, s11, v[17:18]
	v_mov_b32_e32 v4, v7
	s_cbranch_scc1 .LBB282_96
.LBB282_97:
	s_cbranch_execnz .LBB282_100
.LBB282_98:
	s_load_dwordx4 s[4:7], s[34:35], 0x4
	s_load_dwordx2 s[2:3], s[34:35], 0xc4
	s_cmp_lt_u32 s33, 2
	s_waitcnt lgkmcnt(0)
	v_mul_hi_u32 v4, s5, v1
	v_add_u32_e32 v4, v1, v4
	v_lshrrev_b32_e32 v4, s6, v4
	v_mul_lo_u32 v7, v4, s4
	v_sub_u32_e32 v1, v1, v7
	v_mul_lo_u32 v15, v1, s2
	v_mul_lo_u32 v17, v1, s3
	s_cbranch_scc1 .LBB282_100
; %bb.99:
	s_load_dwordx4 s[4:7], s[34:35], 0x10
	s_load_dwordx2 s[2:3], s[34:35], 0xcc
	s_waitcnt lgkmcnt(0)
	v_mul_hi_u32 v1, s5, v4
	v_add_u32_e32 v1, v4, v1
	v_lshrrev_b32_e32 v1, s6, v1
	v_mul_lo_u32 v1, v1, s4
	v_sub_u32_e32 v1, v4, v1
	v_mad_u64_u32 v[15:16], s[4:5], v1, s2, v[15:16]
	v_mad_u64_u32 v[17:18], s[2:3], v1, s3, v[17:18]
.LBB282_100:
	s_and_b64 vcc, exec, s[0:1]
	v_add_u32_e32 v1, 0x300, v19
	s_cbranch_vccnz .LBB282_106
; %bb.101:
	s_cmp_lg_u32 s33, 0
	s_mov_b32 s26, 0
	s_cbranch_scc0 .LBB282_107
; %bb.102:
	s_min_u32 s27, s56, 15
	s_add_i32 s27, s27, 1
	s_cmp_eq_u32 s56, 2
	s_cbranch_scc1 .LBB282_108
; %bb.103:
	s_and_b32 s26, s27, 28
	s_add_u32 s2, s34, 0xc4
	s_addc_u32 s3, s35, 0
	v_mov_b32_e32 v20, 0
	s_waitcnt lgkmcnt(0)
	s_mov_b32 s28, 0
	s_mov_b64 s[24:25], s[34:35]
	v_mov_b32_e32 v18, 0
	v_mov_b32_e32 v4, v1
.LBB282_104:                            ; =>This Inner Loop Header: Depth=1
	s_load_dwordx8 s[12:19], s[24:25], 0x4
	s_load_dwordx4 s[20:23], s[24:25], 0x24
	s_load_dwordx8 s[4:11], s[2:3], 0x0
	s_add_u32 s24, s24, 48
	s_addc_u32 s25, s25, 0
	s_waitcnt lgkmcnt(0)
	v_mul_hi_u32 v7, s13, v4
	s_add_i32 s28, s28, 4
	s_add_u32 s2, s2, 32
	s_addc_u32 s3, s3, 0
	v_add_u32_e32 v7, v4, v7
	v_lshrrev_b32_e32 v7, s14, v7
	v_mul_lo_u32 v10, v7, s12
	v_mul_hi_u32 v13, s16, v7
	s_cmp_lg_u32 s26, s28
	v_sub_u32_e32 v4, v4, v10
	v_add_u32_e32 v10, v7, v13
	v_mul_lo_u32 v13, v4, s4
	v_mul_lo_u32 v16, v4, s5
	v_lshrrev_b32_e32 v4, s17, v10
	v_mul_lo_u32 v10, v4, s15
	v_mul_hi_u32 v19, s19, v4
	v_sub_u32_e32 v7, v7, v10
	v_add_u32_e32 v10, v4, v19
	v_lshrrev_b32_e32 v10, s20, v10
	v_mul_hi_u32 v21, s22, v10
	v_mul_lo_u32 v22, v10, s18
	v_mul_lo_u32 v19, v7, s6
	;; [unrolled: 1-line block ×3, first 2 shown]
	v_sub_u32_e32 v22, v4, v22
	v_add_u32_e32 v4, v10, v21
	v_lshrrev_b32_e32 v4, s23, v4
	v_mul_lo_u32 v21, v4, s21
	v_mul_lo_u32 v23, v22, s8
	;; [unrolled: 1-line block ×3, first 2 shown]
	v_add3_u32 v13, v13, v18, v19
	v_sub_u32_e32 v10, v10, v21
	v_mul_lo_u32 v21, v10, s10
	v_mul_lo_u32 v10, v10, s11
	v_add3_u32 v7, v16, v20, v7
	v_add3_u32 v18, v23, v13, v21
	;; [unrolled: 1-line block ×3, first 2 shown]
	s_cbranch_scc1 .LBB282_104
; %bb.105:
	s_and_b32 s6, s27, 3
	s_cmp_eq_u32 s6, 0
	s_cbranch_scc0 .LBB282_109
	s_branch .LBB282_111
.LBB282_106:
                                        ; implicit-def: $vgpr18
                                        ; implicit-def: $vgpr20
	s_branch .LBB282_112
.LBB282_107:
	v_mov_b32_e32 v18, 0
	v_mov_b32_e32 v20, 0
	s_branch .LBB282_111
.LBB282_108:
	v_mov_b32_e32 v18, 0
	v_mov_b32_e32 v20, 0
	v_mov_b32_e32 v4, v1
	s_and_b32 s6, s27, 3
	s_cmp_eq_u32 s6, 0
	s_cbranch_scc1 .LBB282_111
.LBB282_109:
	s_lshl_b32 s2, s26, 3
	s_add_u32 s2, s34, s2
	s_addc_u32 s3, s35, 0
	s_add_u32 s2, s2, 0xc4
	s_addc_u32 s3, s3, 0
	s_mul_i32 s4, s26, 12
	s_add_u32 s4, s34, s4
	s_addc_u32 s5, s35, 0
.LBB282_110:                            ; =>This Inner Loop Header: Depth=1
	s_load_dwordx2 s[8:9], s[4:5], 0x4
	s_load_dword s7, s[4:5], 0xc
	s_load_dwordx2 s[10:11], s[2:3], 0x0
	s_add_u32 s4, s4, 12
	s_addc_u32 s5, s5, 0
	s_waitcnt lgkmcnt(0)
	v_mul_hi_u32 v7, s9, v4
	s_add_u32 s2, s2, 8
	s_addc_u32 s3, s3, 0
	s_add_i32 s6, s6, -1
	v_add_u32_e32 v7, v4, v7
	v_lshrrev_b32_e32 v7, s7, v7
	v_mul_lo_u32 v10, v7, s8
	s_cmp_lg_u32 s6, 0
	v_sub_u32_e32 v4, v4, v10
	v_mad_u64_u32 v[18:19], s[8:9], v4, s10, v[18:19]
	v_mad_u64_u32 v[20:21], s[8:9], v4, s11, v[20:21]
	v_mov_b32_e32 v4, v7
	s_cbranch_scc1 .LBB282_110
.LBB282_111:
	s_cbranch_execnz .LBB282_114
.LBB282_112:
	s_load_dwordx4 s[4:7], s[34:35], 0x4
	s_load_dwordx2 s[2:3], s[34:35], 0xc4
	s_cmp_lt_u32 s33, 2
	s_waitcnt lgkmcnt(0)
	v_mul_hi_u32 v4, s5, v1
	v_add_u32_e32 v4, v1, v4
	v_lshrrev_b32_e32 v4, s6, v4
	v_mul_lo_u32 v7, v4, s4
	v_sub_u32_e32 v1, v1, v7
	v_mul_lo_u32 v18, v1, s2
	v_mul_lo_u32 v20, v1, s3
	s_cbranch_scc1 .LBB282_114
; %bb.113:
	s_load_dwordx4 s[4:7], s[34:35], 0x10
	s_load_dwordx2 s[2:3], s[34:35], 0xcc
	s_waitcnt lgkmcnt(0)
	v_mul_hi_u32 v1, s5, v4
	v_add_u32_e32 v1, v4, v1
	v_lshrrev_b32_e32 v1, s6, v1
	v_mul_lo_u32 v1, v1, s4
	v_sub_u32_e32 v1, v4, v1
	v_mad_u64_u32 v[18:19], s[4:5], v1, s2, v[18:19]
	v_mad_u64_u32 v[20:21], s[2:3], v1, s3, v[20:21]
.LBB282_114:
	s_and_b64 vcc, exec, s[0:1]
	s_cbranch_vccnz .LBB282_120
; %bb.115:
	s_cmp_lg_u32 s33, 0
	s_mov_b32 s24, 0
	s_cbranch_scc0 .LBB282_121
; %bb.116:
	s_min_u32 s25, s56, 15
	s_add_i32 s25, s25, 1
	s_cmp_eq_u32 s56, 2
	s_cbranch_scc1 .LBB282_122
; %bb.117:
	s_and_b32 s24, s25, 28
	s_waitcnt lgkmcnt(0)
	s_add_u32 s20, s34, 0xc4
	s_addc_u32 s21, s35, 0
	v_mov_b32_e32 v23, 0
	s_mov_b32 s26, 0
	s_mov_b64 s[22:23], s[34:35]
	v_mov_b32_e32 v21, 0
	v_mov_b32_e32 v1, v25
.LBB282_118:                            ; =>This Inner Loop Header: Depth=1
	s_load_dwordx8 s[8:15], s[22:23], 0x4
	s_load_dwordx4 s[16:19], s[22:23], 0x24
	s_load_dwordx8 s[0:7], s[20:21], 0x0
	s_add_u32 s22, s22, 48
	s_addc_u32 s23, s23, 0
	s_waitcnt lgkmcnt(0)
	v_mul_hi_u32 v4, s9, v1
	s_add_i32 s26, s26, 4
	s_add_u32 s20, s20, 32
	s_addc_u32 s21, s21, 0
	v_add_u32_e32 v4, v1, v4
	v_lshrrev_b32_e32 v4, s10, v4
	v_mul_lo_u32 v7, v4, s8
	v_mul_hi_u32 v10, s12, v4
	s_cmp_lg_u32 s24, s26
	v_sub_u32_e32 v1, v1, v7
	v_add_u32_e32 v7, v4, v10
	v_mul_lo_u32 v10, v1, s0
	v_mul_lo_u32 v13, v1, s1
	v_lshrrev_b32_e32 v1, s13, v7
	v_mul_lo_u32 v7, v1, s11
	v_mul_hi_u32 v16, s15, v1
	v_sub_u32_e32 v4, v4, v7
	v_add_u32_e32 v7, v1, v16
	v_lshrrev_b32_e32 v7, s16, v7
	v_mul_hi_u32 v19, s18, v7
	v_mul_lo_u32 v22, v7, s14
	v_mul_lo_u32 v16, v4, s2
	;; [unrolled: 1-line block ×3, first 2 shown]
	v_sub_u32_e32 v22, v1, v22
	v_add_u32_e32 v1, v7, v19
	v_lshrrev_b32_e32 v1, s19, v1
	v_mul_lo_u32 v19, v1, s17
	v_mul_lo_u32 v24, v22, s4
	;; [unrolled: 1-line block ×3, first 2 shown]
	v_add3_u32 v10, v10, v21, v16
	v_sub_u32_e32 v7, v7, v19
	v_mul_lo_u32 v19, v7, s6
	v_mul_lo_u32 v7, v7, s7
	v_add3_u32 v4, v13, v23, v4
	v_add3_u32 v21, v24, v10, v19
	;; [unrolled: 1-line block ×3, first 2 shown]
	s_cbranch_scc1 .LBB282_118
; %bb.119:
	s_and_b32 s4, s25, 3
	s_cmp_eq_u32 s4, 0
	s_cbranch_scc0 .LBB282_123
	s_branch .LBB282_125
.LBB282_120:
                                        ; implicit-def: $vgpr21
                                        ; implicit-def: $vgpr23
	s_branch .LBB282_126
.LBB282_121:
	v_mov_b32_e32 v21, 0
	v_mov_b32_e32 v23, 0
	s_branch .LBB282_125
.LBB282_122:
	v_mov_b32_e32 v21, 0
	v_mov_b32_e32 v23, 0
	;; [unrolled: 1-line block ×3, first 2 shown]
	s_and_b32 s4, s25, 3
	s_cmp_eq_u32 s4, 0
	s_cbranch_scc1 .LBB282_125
.LBB282_123:
	s_lshl_b32 s0, s24, 3
	s_add_u32 s0, s34, s0
	s_addc_u32 s1, s35, 0
	s_add_u32 s0, s0, 0xc4
	s_addc_u32 s1, s1, 0
	s_mul_i32 s2, s24, 12
	s_add_u32 s2, s34, s2
	s_addc_u32 s3, s35, 0
.LBB282_124:                            ; =>This Inner Loop Header: Depth=1
	s_load_dwordx2 s[6:7], s[2:3], 0x4
	s_load_dword s5, s[2:3], 0xc
	s_load_dwordx2 s[8:9], s[0:1], 0x0
	s_add_u32 s2, s2, 12
	s_addc_u32 s3, s3, 0
	s_waitcnt lgkmcnt(0)
	v_mul_hi_u32 v4, s7, v1
	s_add_u32 s0, s0, 8
	s_addc_u32 s1, s1, 0
	s_add_i32 s4, s4, -1
	v_add_u32_e32 v4, v1, v4
	v_lshrrev_b32_e32 v4, s5, v4
	v_mul_lo_u32 v7, v4, s6
	s_cmp_lg_u32 s4, 0
	v_sub_u32_e32 v1, v1, v7
	v_mad_u64_u32 v[21:22], s[6:7], v1, s8, v[21:22]
	v_mad_u64_u32 v[23:24], s[6:7], v1, s9, v[23:24]
	v_mov_b32_e32 v1, v4
	s_cbranch_scc1 .LBB282_124
.LBB282_125:
	s_cbranch_execnz .LBB282_128
.LBB282_126:
	s_load_dwordx4 s[0:3], s[34:35], 0x4
	s_load_dwordx2 s[4:5], s[34:35], 0xc4
	s_cmp_lt_u32 s33, 2
	s_waitcnt lgkmcnt(0)
	v_mul_hi_u32 v1, s1, v25
	v_add_u32_e32 v1, v25, v1
	v_lshrrev_b32_e32 v1, s2, v1
	v_mul_lo_u32 v4, v1, s0
	v_sub_u32_e32 v4, v25, v4
	v_mul_lo_u32 v21, v4, s4
	v_mul_lo_u32 v23, v4, s5
	s_cbranch_scc1 .LBB282_128
; %bb.127:
	s_load_dwordx4 s[0:3], s[34:35], 0x10
	s_load_dwordx2 s[4:5], s[34:35], 0xcc
	s_waitcnt lgkmcnt(0)
	v_mul_hi_u32 v4, s1, v1
	v_add_u32_e32 v4, v1, v4
	v_lshrrev_b32_e32 v4, s2, v4
	v_mul_lo_u32 v4, v4, s0
	v_sub_u32_e32 v1, v1, v4
	v_mad_u64_u32 v[21:22], s[0:1], v1, s4, v[21:22]
	v_mad_u64_u32 v[23:24], s[0:1], v1, s5, v[23:24]
.LBB282_128:
	s_load_dwordx4 s[4:7], s[34:35], 0x148
	s_load_dwordx2 s[0:1], s[34:35], 0x158
	s_brev_b32 s8, 1
	s_waitcnt lgkmcnt(0)
	global_load_ubyte v16, v2, s[6:7]
	global_load_ubyte v19, v5, s[6:7]
	;; [unrolled: 1-line block ×8, first 2 shown]
	s_cmp_eq_u32 s0, 0
	s_cselect_b64 vcc, -1, 0
	s_lshl_b32 s2, s1, 24
	s_and_b32 s3, s2, 0x7f000000
	s_flbit_i32_b32 s0, s3
	s_min_u32 s0, s0, 32
	v_sub_u32_e64 v2, s0, 4 clamp
	v_readfirstlane_b32 s6, v2
	s_mov_b32 s7, 0x7f800000
	s_waitcnt vmcnt(7)
	v_lshlrev_b32_e32 v2, 24, v16
	v_and_b32_e32 v5, 0x7f000000, v2
	v_ffbh_u32_e32 v8, v5
	v_min_u32_e32 v8, 32, v8
	v_sub_u32_e64 v8, v8, 4 clamp
	v_lshlrev_b32_e32 v11, v8, v5
	v_lshlrev_b32_e32 v8, 23, v8
	v_lshrrev_b32_e32 v11, 4, v11
	v_sub_u32_e32 v8, v11, v8
	s_waitcnt vmcnt(6)
	v_lshlrev_b32_e32 v11, 24, v19
	v_and_b32_e32 v14, 0x7f000000, v11
	v_ffbh_u32_e32 v16, v14
	v_min_u32_e32 v16, 32, v16
	v_sub_u32_e64 v16, v16, 4 clamp
	v_lshlrev_b32_e32 v17, v16, v14
	v_lshlrev_b32_e32 v16, 23, v16
	v_lshrrev_b32_e32 v17, 4, v17
	v_sub_u32_e32 v16, v17, v16
	;; [unrolled: 10-line block ×3, first 2 shown]
	v_add_u32_e32 v22, 0x1000000, v5
	v_cmp_ne_u32_e64 s[0:1], 0, v5
	v_add_u32_e32 v5, 0x1000000, v14
	v_ashrrev_i32_e32 v22, 8, v22
	v_add_u32_e32 v8, 0x3c000000, v8
	v_ashrrev_i32_e32 v5, 8, v5
	v_add_u32_e32 v16, 0x3c000000, v16
	v_and_or_b32 v8, v22, s7, v8
	v_and_or_b32 v5, v5, s7, v16
	v_add_u32_e32 v16, 0x1000000, v19
	v_ashrrev_i32_e32 v16, 8, v16
	v_add_u32_e32 v20, 0x3c000000, v20
	v_cndmask_b32_e64 v8, 0, v8, s[0:1]
	v_cmp_ne_u32_e64 s[0:1], 0, v14
	v_and_or_b32 v16, v16, s7, v20
	v_cndmask_b32_e64 v5, 0, v5, s[0:1]
	v_cmp_ne_u32_e64 s[0:1], 0, v19
	v_and_or_b32 v2, v2, s8, v8
	v_cndmask_b32_e64 v8, 0, v16, s[0:1]
	s_and_b32 s0, s2, 0x80000000
	s_lshl_b32 s2, s3, s6
	s_add_i32 s1, s3, 0x1000000
	s_lshl_b32 s6, s6, 23
	s_lshr_b32 s2, s2, 4
	s_ashr_i32 s1, s1, 8
	s_sub_i32 s2, s2, s6
	s_and_b32 s1, s1, 0x7f800000
	s_add_i32 s2, s2, 0x3c000000
	s_or_b32 s1, s2, s1
	s_cmp_lg_u32 s3, 0
	s_cselect_b32 s1, s1, 0
	s_or_b32 s6, s1, s0
	v_and_or_b32 v5, v11, s8, v5
	v_cmp_neq_f32_e64 s[0:1], s6, v2
	v_cmp_eq_f32_e64 s[2:3], s6, v2
	v_and_or_b32 v8, v17, s8, v8
	v_cndmask_b32_e64 v2, 0, 1, s[2:3]
	v_cndmask_b32_e64 v11, 0, 1, s[0:1]
	v_cmp_neq_f32_e64 s[0:1], s6, v5
	v_cmp_eq_f32_e64 s[2:3], s6, v5
	v_cndmask_b32_e32 v2, v11, v2, vcc
	v_cndmask_b32_e64 v5, 0, 1, s[2:3]
	v_cndmask_b32_e64 v11, 0, 1, s[0:1]
	v_cmp_neq_f32_e64 s[0:1], s6, v8
	v_cmp_eq_f32_e64 s[2:3], s6, v8
	v_cndmask_b32_e32 v5, v11, v5, vcc
	v_cndmask_b32_e64 v8, 0, 1, s[2:3]
	v_cndmask_b32_e64 v11, 0, 1, s[0:1]
	s_waitcnt vmcnt(4)
	v_lshlrev_b32_e32 v1, 24, v1
	v_cndmask_b32_e32 v8, v11, v8, vcc
	v_and_b32_e32 v11, 0x7f000000, v1
	v_ffbh_u32_e32 v14, v11
	v_min_u32_e32 v14, 32, v14
	v_sub_u32_e64 v14, v14, 4 clamp
	v_lshlrev_b32_e32 v16, v14, v11
	v_lshrrev_b32_e32 v16, 4, v16
	v_lshlrev_b32_e32 v14, 23, v14
	v_sub_u32_e32 v14, v16, v14
	v_add_u32_e32 v16, 0x1000000, v11
	v_ashrrev_i32_e32 v16, 8, v16
	v_add_u32_e32 v14, 0x3c000000, v14
	v_and_or_b32 v14, v16, s7, v14
	v_cmp_ne_u32_e64 s[0:1], 0, v11
	v_cndmask_b32_e64 v11, 0, v14, s[0:1]
	v_and_or_b32 v1, v1, s8, v11
	v_cmp_neq_f32_e64 s[0:1], s6, v1
	v_cmp_eq_f32_e64 s[2:3], s6, v1
	v_cndmask_b32_e64 v1, 0, 1, s[2:3]
	v_cndmask_b32_e64 v11, 0, 1, s[0:1]
	s_waitcnt vmcnt(3)
	v_lshlrev_b32_e32 v4, 24, v4
	v_cndmask_b32_e32 v1, v11, v1, vcc
	v_and_b32_e32 v11, 0x7f000000, v4
	v_ffbh_u32_e32 v14, v11
	v_min_u32_e32 v14, 32, v14
	v_sub_u32_e64 v14, v14, 4 clamp
	v_lshlrev_b32_e32 v16, v14, v11
	v_lshrrev_b32_e32 v16, 4, v16
	v_lshlrev_b32_e32 v14, 23, v14
	v_sub_u32_e32 v14, v16, v14
	v_add_u32_e32 v16, 0x1000000, v11
	v_ashrrev_i32_e32 v16, 8, v16
	v_add_u32_e32 v14, 0x3c000000, v14
	v_and_or_b32 v14, v16, s7, v14
	v_cmp_ne_u32_e64 s[0:1], 0, v11
	v_cndmask_b32_e64 v11, 0, v14, s[0:1]
	v_and_or_b32 v4, v4, s8, v11
	v_cmp_neq_f32_e64 s[0:1], s6, v4
	v_cmp_eq_f32_e64 s[2:3], s6, v4
	;; [unrolled: 22-line block ×4, first 2 shown]
	v_cndmask_b32_e64 v10, 0, 1, s[2:3]
	v_cndmask_b32_e64 v11, 0, 1, s[0:1]
	v_cndmask_b32_e32 v10, v11, v10, vcc
	s_waitcnt vmcnt(0)
	v_lshlrev_b32_e32 v11, 24, v13
	v_and_b32_e32 v13, 0x7f000000, v11
	v_ffbh_u32_e32 v14, v13
	v_min_u32_e32 v14, 32, v14
	v_sub_u32_e64 v14, v14, 4 clamp
	v_lshlrev_b32_e32 v16, v14, v13
	v_lshrrev_b32_e32 v16, 4, v16
	v_lshlrev_b32_e32 v14, 23, v14
	v_sub_u32_e32 v14, v16, v14
	v_add_u32_e32 v16, 0x1000000, v13
	v_ashrrev_i32_e32 v16, 8, v16
	v_add_u32_e32 v14, 0x3c000000, v14
	v_and_or_b32 v14, v16, s7, v14
	v_cmp_ne_u32_e64 s[0:1], 0, v13
	v_cndmask_b32_e64 v13, 0, v14, s[0:1]
	v_and_or_b32 v11, v11, s8, v13
	v_cmp_neq_f32_e64 s[0:1], s6, v11
	v_cmp_eq_f32_e64 s[2:3], s6, v11
	v_cndmask_b32_e64 v11, 0, 1, s[2:3]
	v_cndmask_b32_e64 v13, 0, 1, s[0:1]
	v_cndmask_b32_e32 v11, v13, v11, vcc
	v_and_b32_e32 v2, 1, v2
	v_and_b32_e32 v5, 1, v5
	;; [unrolled: 1-line block ×8, first 2 shown]
	global_store_byte v0, v2, s[4:5]
	global_store_byte v3, v5, s[4:5]
	;; [unrolled: 1-line block ×8, first 2 shown]
	s_endpgm
.LBB282_129:
	v_mov_b32_e32 v0, 0
	v_mov_b32_e32 v2, 0
	s_branch .LBB282_135
.LBB282_130:
	v_mov_b32_e32 v0, 0
	v_mov_b32_e32 v2, 0
	s_branch .LBB282_151
.LBB282_131:
	s_mov_b32 s60, 0
	v_mov_b32_e32 v0, 0
	v_mov_b32_e32 v2, 0
	;; [unrolled: 1-line block ×3, first 2 shown]
.LBB282_132:
	s_and_b32 s8, s61, 3
	s_cmp_eq_u32 s8, 0
	s_cbranch_scc1 .LBB282_135
; %bb.133:
	s_lshl_b32 s4, s60, 3
	s_add_u32 s4, s34, s4
	s_addc_u32 s5, s35, 0
	s_add_u32 s4, s4, 0xc4
	s_addc_u32 s5, s5, 0
	s_mul_i32 s6, s60, 12
	s_add_u32 s6, s34, s6
	s_addc_u32 s7, s35, 0
.LBB282_134:                            ; =>This Inner Loop Header: Depth=1
	s_load_dwordx2 s[10:11], s[6:7], 0x4
	s_load_dword s9, s[6:7], 0xc
	s_load_dwordx2 s[12:13], s[4:5], 0x0
	s_add_u32 s6, s6, 12
	s_addc_u32 s7, s7, 0
	s_waitcnt lgkmcnt(0)
	v_mul_hi_u32 v3, s11, v1
	s_add_u32 s4, s4, 8
	s_addc_u32 s5, s5, 0
	s_add_i32 s8, s8, -1
	v_add_u32_e32 v3, v1, v3
	v_lshrrev_b32_e32 v4, s9, v3
	v_mul_lo_u32 v3, v4, s10
	s_cmp_lg_u32 s8, 0
	v_sub_u32_e32 v3, v1, v3
	v_mad_u64_u32 v[0:1], s[10:11], v3, s12, v[0:1]
	v_mad_u64_u32 v[2:3], s[10:11], v3, s13, v[2:3]
	v_mov_b32_e32 v1, v4
	s_cbranch_scc1 .LBB282_134
.LBB282_135:
	s_cbranch_execnz .LBB282_138
.LBB282_136:
	v_mul_hi_u32 v0, s25, v19
	s_andn2_b64 vcc, exec, s[44:45]
	v_add_u32_e32 v0, v19, v0
	v_lshrrev_b32_e32 v1, s26, v0
	v_mul_lo_u32 v0, v1, s24
	v_sub_u32_e32 v2, v19, v0
	s_waitcnt lgkmcnt(0)
	v_mul_lo_u32 v0, v2, s28
	v_mul_lo_u32 v2, v2, s29
	s_cbranch_vccnz .LBB282_138
; %bb.137:
	v_mul_hi_u32 v3, s42, v1
	v_add_u32_e32 v3, v1, v3
	v_lshrrev_b32_e32 v3, s43, v3
	v_mul_lo_u32 v3, v3, s27
	v_sub_u32_e32 v3, v1, v3
	v_mad_u64_u32 v[0:1], s[4:5], v3, s30, v[0:1]
	v_mad_u64_u32 v[2:3], s[4:5], v3, s31, v[2:3]
.LBB282_138:
	s_waitcnt lgkmcnt(0)
	global_load_ubyte v1, v2, s[22:23]
	s_mov_b32 s4, 0x7f800000
	s_brev_b32 s5, 1
	v_add_u32_e32 v19, 0x80, v19
	s_waitcnt vmcnt(0)
	v_lshlrev_b32_e32 v1, 24, v1
	v_and_b32_e32 v2, 0x7f000000, v1
	v_ffbh_u32_e32 v3, v2
	v_min_u32_e32 v3, 32, v3
	v_sub_u32_e64 v3, v3, 4 clamp
	v_lshlrev_b32_e32 v5, v3, v2
	v_lshlrev_b32_e32 v3, 23, v3
	v_lshrrev_b32_e32 v5, 4, v5
	v_add_u32_e32 v4, 0x1000000, v2
	v_sub_u32_e32 v3, v5, v3
	v_ashrrev_i32_e32 v4, 8, v4
	v_add_u32_e32 v3, 0x3c000000, v3
	v_and_or_b32 v3, v4, s4, v3
	v_cmp_ne_u32_e32 vcc, 0, v2
	v_cndmask_b32_e32 v2, 0, v3, vcc
	v_and_or_b32 v1, v1, s5, v2
	v_cmp_eq_f32_e32 vcc, s57, v1
	v_cndmask_b32_e64 v2, 0, 1, vcc
	v_cmp_neq_f32_e32 vcc, s57, v1
	v_cndmask_b32_e64 v1, 0, 1, vcc
	v_cndmask_b32_e64 v1, v1, v2, s[0:1]
	v_and_b32_e32 v1, 1, v1
	global_store_byte v0, v1, s[20:21]
	s_or_b64 exec, exec, s[50:51]
	v_cmp_gt_i32_e32 vcc, s58, v19
	s_and_saveexec_b64 s[50:51], vcc
	s_cbranch_execnz .LBB282_15
.LBB282_139:
	s_or_b64 exec, exec, s[50:51]
	v_cmp_gt_i32_e32 vcc, s58, v19
	s_and_saveexec_b64 s[50:51], vcc
	s_cbranch_execz .LBB282_155
.LBB282_140:
	s_andn2_b64 vcc, exec, s[2:3]
	s_cbranch_vccnz .LBB282_145
; %bb.141:
	s_andn2_b64 vcc, exec, s[48:49]
	s_cbranch_vccnz .LBB282_146
; %bb.142:
	s_add_i32 s61, s59, 1
	s_cmp_eq_u32 s56, 2
	s_cbranch_scc1 .LBB282_163
; %bb.143:
	s_and_b32 s60, s61, 28
	v_mov_b32_e32 v2, 0
	s_mov_b32 s62, 0
	s_mov_b64 s[52:53], s[34:35]
	s_mov_b64 s[54:55], s[46:47]
	v_mov_b32_e32 v0, 0
	v_mov_b32_e32 v1, v19
.LBB282_144:                            ; =>This Inner Loop Header: Depth=1
	s_load_dwordx8 s[12:19], s[52:53], 0x4
	s_load_dwordx4 s[36:39], s[52:53], 0x24
	s_load_dwordx8 s[4:11], s[54:55], 0x0
	s_add_u32 s52, s52, 48
	s_addc_u32 s53, s53, 0
	s_waitcnt lgkmcnt(0)
	v_mul_hi_u32 v3, s13, v1
	s_add_i32 s62, s62, 4
	s_add_u32 s54, s54, 32
	s_addc_u32 s55, s55, 0
	v_add_u32_e32 v3, v1, v3
	v_lshrrev_b32_e32 v3, s14, v3
	v_mul_lo_u32 v4, v3, s12
	v_mul_hi_u32 v5, s16, v3
	s_cmp_eq_u32 s60, s62
	v_sub_u32_e32 v1, v1, v4
	v_add_u32_e32 v4, v3, v5
	v_mul_lo_u32 v5, v1, s4
	v_mul_lo_u32 v6, v1, s5
	v_lshrrev_b32_e32 v1, s17, v4
	v_mul_lo_u32 v4, v1, s15
	v_mul_hi_u32 v7, s19, v1
	v_sub_u32_e32 v3, v3, v4
	v_add_u32_e32 v4, v1, v7
	v_lshrrev_b32_e32 v4, s36, v4
	v_mul_hi_u32 v8, s38, v4
	v_mul_lo_u32 v9, v4, s18
	v_mul_lo_u32 v7, v3, s6
	;; [unrolled: 1-line block ×3, first 2 shown]
	v_sub_u32_e32 v9, v1, v9
	v_add_u32_e32 v1, v4, v8
	v_lshrrev_b32_e32 v1, s39, v1
	v_mul_lo_u32 v8, v1, s37
	v_mul_lo_u32 v10, v9, s8
	;; [unrolled: 1-line block ×3, first 2 shown]
	v_add3_u32 v0, v5, v0, v7
	v_sub_u32_e32 v4, v4, v8
	v_mul_lo_u32 v8, v4, s10
	v_mul_lo_u32 v4, v4, s11
	v_add3_u32 v2, v6, v2, v3
	v_add3_u32 v0, v10, v0, v8
	;; [unrolled: 1-line block ×3, first 2 shown]
	s_cbranch_scc0 .LBB282_144
	s_branch .LBB282_164
.LBB282_145:
                                        ; implicit-def: $vgpr0
                                        ; implicit-def: $vgpr2
	s_branch .LBB282_168
.LBB282_146:
	v_mov_b32_e32 v0, 0
	v_mov_b32_e32 v2, 0
	s_branch .LBB282_167
.LBB282_147:
	s_mov_b32 s60, 0
	v_mov_b32_e32 v0, 0
	v_mov_b32_e32 v2, 0
	;; [unrolled: 1-line block ×3, first 2 shown]
.LBB282_148:
	s_and_b32 s8, s61, 3
	s_cmp_eq_u32 s8, 0
	s_cbranch_scc1 .LBB282_151
; %bb.149:
	s_lshl_b32 s4, s60, 3
	s_add_u32 s4, s34, s4
	s_addc_u32 s5, s35, 0
	s_add_u32 s4, s4, 0xc4
	s_addc_u32 s5, s5, 0
	s_mul_i32 s6, s60, 12
	s_add_u32 s6, s34, s6
	s_addc_u32 s7, s35, 0
.LBB282_150:                            ; =>This Inner Loop Header: Depth=1
	s_load_dwordx2 s[10:11], s[6:7], 0x4
	s_load_dword s9, s[6:7], 0xc
	s_load_dwordx2 s[12:13], s[4:5], 0x0
	s_add_u32 s6, s6, 12
	s_addc_u32 s7, s7, 0
	s_waitcnt lgkmcnt(0)
	v_mul_hi_u32 v3, s11, v1
	s_add_u32 s4, s4, 8
	s_addc_u32 s5, s5, 0
	s_add_i32 s8, s8, -1
	v_add_u32_e32 v3, v1, v3
	v_lshrrev_b32_e32 v4, s9, v3
	v_mul_lo_u32 v3, v4, s10
	s_cmp_lg_u32 s8, 0
	v_sub_u32_e32 v3, v1, v3
	v_mad_u64_u32 v[0:1], s[10:11], v3, s12, v[0:1]
	v_mad_u64_u32 v[2:3], s[10:11], v3, s13, v[2:3]
	v_mov_b32_e32 v1, v4
	s_cbranch_scc1 .LBB282_150
.LBB282_151:
	s_cbranch_execnz .LBB282_154
.LBB282_152:
	v_mul_hi_u32 v0, s25, v19
	s_andn2_b64 vcc, exec, s[44:45]
	v_add_u32_e32 v0, v19, v0
	v_lshrrev_b32_e32 v1, s26, v0
	v_mul_lo_u32 v0, v1, s24
	v_sub_u32_e32 v2, v19, v0
	s_waitcnt lgkmcnt(0)
	v_mul_lo_u32 v0, v2, s28
	v_mul_lo_u32 v2, v2, s29
	s_cbranch_vccnz .LBB282_154
; %bb.153:
	v_mul_hi_u32 v3, s42, v1
	v_add_u32_e32 v3, v1, v3
	v_lshrrev_b32_e32 v3, s43, v3
	v_mul_lo_u32 v3, v3, s27
	v_sub_u32_e32 v3, v1, v3
	v_mad_u64_u32 v[0:1], s[4:5], v3, s30, v[0:1]
	v_mad_u64_u32 v[2:3], s[4:5], v3, s31, v[2:3]
.LBB282_154:
	s_waitcnt lgkmcnt(0)
	global_load_ubyte v1, v2, s[22:23]
	s_mov_b32 s4, 0x7f800000
	s_brev_b32 s5, 1
	v_add_u32_e32 v19, 0x80, v19
	s_waitcnt vmcnt(0)
	v_lshlrev_b32_e32 v1, 24, v1
	v_and_b32_e32 v2, 0x7f000000, v1
	v_ffbh_u32_e32 v3, v2
	v_min_u32_e32 v3, 32, v3
	v_sub_u32_e64 v3, v3, 4 clamp
	v_lshlrev_b32_e32 v5, v3, v2
	v_lshlrev_b32_e32 v3, 23, v3
	v_lshrrev_b32_e32 v5, 4, v5
	v_add_u32_e32 v4, 0x1000000, v2
	v_sub_u32_e32 v3, v5, v3
	v_ashrrev_i32_e32 v4, 8, v4
	v_add_u32_e32 v3, 0x3c000000, v3
	v_and_or_b32 v3, v4, s4, v3
	v_cmp_ne_u32_e32 vcc, 0, v2
	v_cndmask_b32_e32 v2, 0, v3, vcc
	v_and_or_b32 v1, v1, s5, v2
	v_cmp_eq_f32_e32 vcc, s57, v1
	v_cndmask_b32_e64 v2, 0, 1, vcc
	v_cmp_neq_f32_e32 vcc, s57, v1
	v_cndmask_b32_e64 v1, 0, 1, vcc
	v_cndmask_b32_e64 v1, v1, v2, s[0:1]
	v_and_b32_e32 v1, 1, v1
	global_store_byte v0, v1, s[20:21]
	s_or_b64 exec, exec, s[50:51]
	v_cmp_gt_i32_e32 vcc, s58, v19
	s_and_saveexec_b64 s[50:51], vcc
	s_cbranch_execnz .LBB282_140
.LBB282_155:
	s_or_b64 exec, exec, s[50:51]
	v_cmp_gt_i32_e32 vcc, s58, v19
	s_and_saveexec_b64 s[50:51], vcc
	s_cbranch_execz .LBB282_171
.LBB282_156:
	s_andn2_b64 vcc, exec, s[2:3]
	s_cbranch_vccnz .LBB282_161
; %bb.157:
	s_andn2_b64 vcc, exec, s[48:49]
	s_cbranch_vccnz .LBB282_162
; %bb.158:
	s_add_i32 s61, s59, 1
	s_cmp_eq_u32 s56, 2
	s_cbranch_scc1 .LBB282_179
; %bb.159:
	s_and_b32 s60, s61, 28
	v_mov_b32_e32 v2, 0
	s_mov_b32 s62, 0
	s_mov_b64 s[52:53], s[34:35]
	s_mov_b64 s[54:55], s[46:47]
	v_mov_b32_e32 v0, 0
	v_mov_b32_e32 v1, v19
.LBB282_160:                            ; =>This Inner Loop Header: Depth=1
	s_load_dwordx8 s[12:19], s[52:53], 0x4
	s_load_dwordx4 s[36:39], s[52:53], 0x24
	s_load_dwordx8 s[4:11], s[54:55], 0x0
	s_add_u32 s52, s52, 48
	s_addc_u32 s53, s53, 0
	s_waitcnt lgkmcnt(0)
	v_mul_hi_u32 v3, s13, v1
	s_add_i32 s62, s62, 4
	s_add_u32 s54, s54, 32
	s_addc_u32 s55, s55, 0
	v_add_u32_e32 v3, v1, v3
	v_lshrrev_b32_e32 v3, s14, v3
	v_mul_lo_u32 v4, v3, s12
	v_mul_hi_u32 v5, s16, v3
	s_cmp_eq_u32 s60, s62
	v_sub_u32_e32 v1, v1, v4
	v_add_u32_e32 v4, v3, v5
	v_mul_lo_u32 v5, v1, s4
	v_mul_lo_u32 v6, v1, s5
	v_lshrrev_b32_e32 v1, s17, v4
	v_mul_lo_u32 v4, v1, s15
	v_mul_hi_u32 v7, s19, v1
	v_sub_u32_e32 v3, v3, v4
	v_add_u32_e32 v4, v1, v7
	v_lshrrev_b32_e32 v4, s36, v4
	v_mul_hi_u32 v8, s38, v4
	v_mul_lo_u32 v9, v4, s18
	v_mul_lo_u32 v7, v3, s6
	;; [unrolled: 1-line block ×3, first 2 shown]
	v_sub_u32_e32 v9, v1, v9
	v_add_u32_e32 v1, v4, v8
	v_lshrrev_b32_e32 v1, s39, v1
	v_mul_lo_u32 v8, v1, s37
	v_mul_lo_u32 v10, v9, s8
	;; [unrolled: 1-line block ×3, first 2 shown]
	v_add3_u32 v0, v5, v0, v7
	v_sub_u32_e32 v4, v4, v8
	v_mul_lo_u32 v8, v4, s10
	v_mul_lo_u32 v4, v4, s11
	v_add3_u32 v2, v6, v2, v3
	v_add3_u32 v0, v10, v0, v8
	v_add3_u32 v2, v9, v2, v4
	s_cbranch_scc0 .LBB282_160
	s_branch .LBB282_180
.LBB282_161:
                                        ; implicit-def: $vgpr0
                                        ; implicit-def: $vgpr2
	s_branch .LBB282_184
.LBB282_162:
	v_mov_b32_e32 v0, 0
	v_mov_b32_e32 v2, 0
	s_branch .LBB282_183
.LBB282_163:
	s_mov_b32 s60, 0
	v_mov_b32_e32 v0, 0
	v_mov_b32_e32 v2, 0
	v_mov_b32_e32 v1, v19
.LBB282_164:
	s_and_b32 s8, s61, 3
	s_cmp_eq_u32 s8, 0
	s_cbranch_scc1 .LBB282_167
; %bb.165:
	s_lshl_b32 s4, s60, 3
	s_add_u32 s4, s34, s4
	s_addc_u32 s5, s35, 0
	s_add_u32 s4, s4, 0xc4
	s_addc_u32 s5, s5, 0
	s_mul_i32 s6, s60, 12
	s_add_u32 s6, s34, s6
	s_addc_u32 s7, s35, 0
.LBB282_166:                            ; =>This Inner Loop Header: Depth=1
	s_load_dwordx2 s[10:11], s[6:7], 0x4
	s_load_dword s9, s[6:7], 0xc
	s_load_dwordx2 s[12:13], s[4:5], 0x0
	s_add_u32 s6, s6, 12
	s_addc_u32 s7, s7, 0
	s_waitcnt lgkmcnt(0)
	v_mul_hi_u32 v3, s11, v1
	s_add_u32 s4, s4, 8
	s_addc_u32 s5, s5, 0
	s_add_i32 s8, s8, -1
	v_add_u32_e32 v3, v1, v3
	v_lshrrev_b32_e32 v4, s9, v3
	v_mul_lo_u32 v3, v4, s10
	s_cmp_lg_u32 s8, 0
	v_sub_u32_e32 v3, v1, v3
	v_mad_u64_u32 v[0:1], s[10:11], v3, s12, v[0:1]
	v_mad_u64_u32 v[2:3], s[10:11], v3, s13, v[2:3]
	v_mov_b32_e32 v1, v4
	s_cbranch_scc1 .LBB282_166
.LBB282_167:
	s_cbranch_execnz .LBB282_170
.LBB282_168:
	v_mul_hi_u32 v0, s25, v19
	s_andn2_b64 vcc, exec, s[44:45]
	v_add_u32_e32 v0, v19, v0
	v_lshrrev_b32_e32 v1, s26, v0
	v_mul_lo_u32 v0, v1, s24
	v_sub_u32_e32 v2, v19, v0
	s_waitcnt lgkmcnt(0)
	v_mul_lo_u32 v0, v2, s28
	v_mul_lo_u32 v2, v2, s29
	s_cbranch_vccnz .LBB282_170
; %bb.169:
	v_mul_hi_u32 v3, s42, v1
	v_add_u32_e32 v3, v1, v3
	v_lshrrev_b32_e32 v3, s43, v3
	v_mul_lo_u32 v3, v3, s27
	v_sub_u32_e32 v3, v1, v3
	v_mad_u64_u32 v[0:1], s[4:5], v3, s30, v[0:1]
	v_mad_u64_u32 v[2:3], s[4:5], v3, s31, v[2:3]
.LBB282_170:
	s_waitcnt lgkmcnt(0)
	global_load_ubyte v1, v2, s[22:23]
	s_mov_b32 s4, 0x7f800000
	s_brev_b32 s5, 1
	v_add_u32_e32 v19, 0x80, v19
	s_waitcnt vmcnt(0)
	v_lshlrev_b32_e32 v1, 24, v1
	v_and_b32_e32 v2, 0x7f000000, v1
	v_ffbh_u32_e32 v3, v2
	v_min_u32_e32 v3, 32, v3
	v_sub_u32_e64 v3, v3, 4 clamp
	v_lshlrev_b32_e32 v5, v3, v2
	v_lshlrev_b32_e32 v3, 23, v3
	v_lshrrev_b32_e32 v5, 4, v5
	v_add_u32_e32 v4, 0x1000000, v2
	v_sub_u32_e32 v3, v5, v3
	v_ashrrev_i32_e32 v4, 8, v4
	v_add_u32_e32 v3, 0x3c000000, v3
	v_and_or_b32 v3, v4, s4, v3
	v_cmp_ne_u32_e32 vcc, 0, v2
	v_cndmask_b32_e32 v2, 0, v3, vcc
	v_and_or_b32 v1, v1, s5, v2
	v_cmp_eq_f32_e32 vcc, s57, v1
	v_cndmask_b32_e64 v2, 0, 1, vcc
	v_cmp_neq_f32_e32 vcc, s57, v1
	v_cndmask_b32_e64 v1, 0, 1, vcc
	v_cndmask_b32_e64 v1, v1, v2, s[0:1]
	v_and_b32_e32 v1, 1, v1
	global_store_byte v0, v1, s[20:21]
	s_or_b64 exec, exec, s[50:51]
	v_cmp_gt_i32_e32 vcc, s58, v19
	s_and_saveexec_b64 s[50:51], vcc
	s_cbranch_execnz .LBB282_156
.LBB282_171:
	s_or_b64 exec, exec, s[50:51]
	v_cmp_gt_i32_e32 vcc, s58, v19
	s_and_saveexec_b64 s[50:51], vcc
	s_cbranch_execz .LBB282_187
.LBB282_172:
	s_andn2_b64 vcc, exec, s[2:3]
	s_cbranch_vccnz .LBB282_177
; %bb.173:
	s_andn2_b64 vcc, exec, s[48:49]
	s_cbranch_vccnz .LBB282_178
; %bb.174:
	s_add_i32 s61, s59, 1
	s_cmp_eq_u32 s56, 2
	s_cbranch_scc1 .LBB282_195
; %bb.175:
	s_and_b32 s60, s61, 28
	v_mov_b32_e32 v2, 0
	s_mov_b32 s62, 0
	s_mov_b64 s[52:53], s[34:35]
	s_mov_b64 s[54:55], s[46:47]
	v_mov_b32_e32 v0, 0
	v_mov_b32_e32 v1, v19
.LBB282_176:                            ; =>This Inner Loop Header: Depth=1
	s_load_dwordx8 s[12:19], s[52:53], 0x4
	s_load_dwordx4 s[36:39], s[52:53], 0x24
	s_load_dwordx8 s[4:11], s[54:55], 0x0
	s_add_u32 s52, s52, 48
	s_addc_u32 s53, s53, 0
	s_waitcnt lgkmcnt(0)
	v_mul_hi_u32 v3, s13, v1
	s_add_i32 s62, s62, 4
	s_add_u32 s54, s54, 32
	s_addc_u32 s55, s55, 0
	v_add_u32_e32 v3, v1, v3
	v_lshrrev_b32_e32 v3, s14, v3
	v_mul_lo_u32 v4, v3, s12
	v_mul_hi_u32 v5, s16, v3
	s_cmp_eq_u32 s60, s62
	v_sub_u32_e32 v1, v1, v4
	v_add_u32_e32 v4, v3, v5
	v_mul_lo_u32 v5, v1, s4
	v_mul_lo_u32 v6, v1, s5
	v_lshrrev_b32_e32 v1, s17, v4
	v_mul_lo_u32 v4, v1, s15
	v_mul_hi_u32 v7, s19, v1
	v_sub_u32_e32 v3, v3, v4
	v_add_u32_e32 v4, v1, v7
	v_lshrrev_b32_e32 v4, s36, v4
	v_mul_hi_u32 v8, s38, v4
	v_mul_lo_u32 v9, v4, s18
	v_mul_lo_u32 v7, v3, s6
	;; [unrolled: 1-line block ×3, first 2 shown]
	v_sub_u32_e32 v9, v1, v9
	v_add_u32_e32 v1, v4, v8
	v_lshrrev_b32_e32 v1, s39, v1
	v_mul_lo_u32 v8, v1, s37
	v_mul_lo_u32 v10, v9, s8
	;; [unrolled: 1-line block ×3, first 2 shown]
	v_add3_u32 v0, v5, v0, v7
	v_sub_u32_e32 v4, v4, v8
	v_mul_lo_u32 v8, v4, s10
	v_mul_lo_u32 v4, v4, s11
	v_add3_u32 v2, v6, v2, v3
	v_add3_u32 v0, v10, v0, v8
	;; [unrolled: 1-line block ×3, first 2 shown]
	s_cbranch_scc0 .LBB282_176
	s_branch .LBB282_196
.LBB282_177:
                                        ; implicit-def: $vgpr0
                                        ; implicit-def: $vgpr2
	s_branch .LBB282_200
.LBB282_178:
	v_mov_b32_e32 v0, 0
	v_mov_b32_e32 v2, 0
	s_branch .LBB282_199
.LBB282_179:
	s_mov_b32 s60, 0
	v_mov_b32_e32 v0, 0
	v_mov_b32_e32 v2, 0
	v_mov_b32_e32 v1, v19
.LBB282_180:
	s_and_b32 s8, s61, 3
	s_cmp_eq_u32 s8, 0
	s_cbranch_scc1 .LBB282_183
; %bb.181:
	s_lshl_b32 s4, s60, 3
	s_add_u32 s4, s34, s4
	s_addc_u32 s5, s35, 0
	s_add_u32 s4, s4, 0xc4
	s_addc_u32 s5, s5, 0
	s_mul_i32 s6, s60, 12
	s_add_u32 s6, s34, s6
	s_addc_u32 s7, s35, 0
.LBB282_182:                            ; =>This Inner Loop Header: Depth=1
	s_load_dwordx2 s[10:11], s[6:7], 0x4
	s_load_dword s9, s[6:7], 0xc
	s_load_dwordx2 s[12:13], s[4:5], 0x0
	s_add_u32 s6, s6, 12
	s_addc_u32 s7, s7, 0
	s_waitcnt lgkmcnt(0)
	v_mul_hi_u32 v3, s11, v1
	s_add_u32 s4, s4, 8
	s_addc_u32 s5, s5, 0
	s_add_i32 s8, s8, -1
	v_add_u32_e32 v3, v1, v3
	v_lshrrev_b32_e32 v4, s9, v3
	v_mul_lo_u32 v3, v4, s10
	s_cmp_lg_u32 s8, 0
	v_sub_u32_e32 v3, v1, v3
	v_mad_u64_u32 v[0:1], s[10:11], v3, s12, v[0:1]
	v_mad_u64_u32 v[2:3], s[10:11], v3, s13, v[2:3]
	v_mov_b32_e32 v1, v4
	s_cbranch_scc1 .LBB282_182
.LBB282_183:
	s_cbranch_execnz .LBB282_186
.LBB282_184:
	v_mul_hi_u32 v0, s25, v19
	s_andn2_b64 vcc, exec, s[44:45]
	v_add_u32_e32 v0, v19, v0
	v_lshrrev_b32_e32 v1, s26, v0
	v_mul_lo_u32 v0, v1, s24
	v_sub_u32_e32 v2, v19, v0
	s_waitcnt lgkmcnt(0)
	v_mul_lo_u32 v0, v2, s28
	v_mul_lo_u32 v2, v2, s29
	s_cbranch_vccnz .LBB282_186
; %bb.185:
	v_mul_hi_u32 v3, s42, v1
	v_add_u32_e32 v3, v1, v3
	v_lshrrev_b32_e32 v3, s43, v3
	v_mul_lo_u32 v3, v3, s27
	v_sub_u32_e32 v3, v1, v3
	v_mad_u64_u32 v[0:1], s[4:5], v3, s30, v[0:1]
	v_mad_u64_u32 v[2:3], s[4:5], v3, s31, v[2:3]
.LBB282_186:
	s_waitcnt lgkmcnt(0)
	global_load_ubyte v1, v2, s[22:23]
	s_mov_b32 s4, 0x7f800000
	s_brev_b32 s5, 1
	v_add_u32_e32 v19, 0x80, v19
	s_waitcnt vmcnt(0)
	v_lshlrev_b32_e32 v1, 24, v1
	v_and_b32_e32 v2, 0x7f000000, v1
	v_ffbh_u32_e32 v3, v2
	v_min_u32_e32 v3, 32, v3
	v_sub_u32_e64 v3, v3, 4 clamp
	v_lshlrev_b32_e32 v5, v3, v2
	v_lshlrev_b32_e32 v3, 23, v3
	v_lshrrev_b32_e32 v5, 4, v5
	v_add_u32_e32 v4, 0x1000000, v2
	v_sub_u32_e32 v3, v5, v3
	v_ashrrev_i32_e32 v4, 8, v4
	v_add_u32_e32 v3, 0x3c000000, v3
	v_and_or_b32 v3, v4, s4, v3
	v_cmp_ne_u32_e32 vcc, 0, v2
	v_cndmask_b32_e32 v2, 0, v3, vcc
	v_and_or_b32 v1, v1, s5, v2
	v_cmp_eq_f32_e32 vcc, s57, v1
	v_cndmask_b32_e64 v2, 0, 1, vcc
	v_cmp_neq_f32_e32 vcc, s57, v1
	v_cndmask_b32_e64 v1, 0, 1, vcc
	v_cndmask_b32_e64 v1, v1, v2, s[0:1]
	v_and_b32_e32 v1, 1, v1
	global_store_byte v0, v1, s[20:21]
	s_or_b64 exec, exec, s[50:51]
	v_cmp_gt_i32_e32 vcc, s58, v19
	s_and_saveexec_b64 s[50:51], vcc
	s_cbranch_execnz .LBB282_172
.LBB282_187:
	s_or_b64 exec, exec, s[50:51]
	v_cmp_gt_i32_e32 vcc, s58, v19
	s_and_saveexec_b64 s[50:51], vcc
	s_cbranch_execz .LBB282_203
.LBB282_188:
	s_andn2_b64 vcc, exec, s[2:3]
	s_cbranch_vccnz .LBB282_193
; %bb.189:
	s_andn2_b64 vcc, exec, s[48:49]
	s_cbranch_vccnz .LBB282_194
; %bb.190:
	s_add_i32 s61, s59, 1
	s_cmp_eq_u32 s56, 2
	s_cbranch_scc1 .LBB282_211
; %bb.191:
	s_and_b32 s60, s61, 28
	v_mov_b32_e32 v2, 0
	s_mov_b32 s62, 0
	s_mov_b64 s[52:53], s[34:35]
	s_mov_b64 s[54:55], s[46:47]
	v_mov_b32_e32 v0, 0
	v_mov_b32_e32 v1, v19
.LBB282_192:                            ; =>This Inner Loop Header: Depth=1
	s_load_dwordx8 s[12:19], s[52:53], 0x4
	s_load_dwordx4 s[36:39], s[52:53], 0x24
	s_load_dwordx8 s[4:11], s[54:55], 0x0
	s_add_u32 s52, s52, 48
	s_addc_u32 s53, s53, 0
	s_waitcnt lgkmcnt(0)
	v_mul_hi_u32 v3, s13, v1
	s_add_i32 s62, s62, 4
	s_add_u32 s54, s54, 32
	s_addc_u32 s55, s55, 0
	v_add_u32_e32 v3, v1, v3
	v_lshrrev_b32_e32 v3, s14, v3
	v_mul_lo_u32 v4, v3, s12
	v_mul_hi_u32 v5, s16, v3
	s_cmp_eq_u32 s60, s62
	v_sub_u32_e32 v1, v1, v4
	v_add_u32_e32 v4, v3, v5
	v_mul_lo_u32 v5, v1, s4
	v_mul_lo_u32 v6, v1, s5
	v_lshrrev_b32_e32 v1, s17, v4
	v_mul_lo_u32 v4, v1, s15
	v_mul_hi_u32 v7, s19, v1
	v_sub_u32_e32 v3, v3, v4
	v_add_u32_e32 v4, v1, v7
	v_lshrrev_b32_e32 v4, s36, v4
	v_mul_hi_u32 v8, s38, v4
	v_mul_lo_u32 v9, v4, s18
	v_mul_lo_u32 v7, v3, s6
	;; [unrolled: 1-line block ×3, first 2 shown]
	v_sub_u32_e32 v9, v1, v9
	v_add_u32_e32 v1, v4, v8
	v_lshrrev_b32_e32 v1, s39, v1
	v_mul_lo_u32 v8, v1, s37
	v_mul_lo_u32 v10, v9, s8
	;; [unrolled: 1-line block ×3, first 2 shown]
	v_add3_u32 v0, v5, v0, v7
	v_sub_u32_e32 v4, v4, v8
	v_mul_lo_u32 v8, v4, s10
	v_mul_lo_u32 v4, v4, s11
	v_add3_u32 v2, v6, v2, v3
	v_add3_u32 v0, v10, v0, v8
	;; [unrolled: 1-line block ×3, first 2 shown]
	s_cbranch_scc0 .LBB282_192
	s_branch .LBB282_212
.LBB282_193:
                                        ; implicit-def: $vgpr0
                                        ; implicit-def: $vgpr2
	s_branch .LBB282_216
.LBB282_194:
	v_mov_b32_e32 v0, 0
	v_mov_b32_e32 v2, 0
	s_branch .LBB282_215
.LBB282_195:
	s_mov_b32 s60, 0
	v_mov_b32_e32 v0, 0
	v_mov_b32_e32 v2, 0
	;; [unrolled: 1-line block ×3, first 2 shown]
.LBB282_196:
	s_and_b32 s8, s61, 3
	s_cmp_eq_u32 s8, 0
	s_cbranch_scc1 .LBB282_199
; %bb.197:
	s_lshl_b32 s4, s60, 3
	s_add_u32 s4, s34, s4
	s_addc_u32 s5, s35, 0
	s_add_u32 s4, s4, 0xc4
	s_addc_u32 s5, s5, 0
	s_mul_i32 s6, s60, 12
	s_add_u32 s6, s34, s6
	s_addc_u32 s7, s35, 0
.LBB282_198:                            ; =>This Inner Loop Header: Depth=1
	s_load_dwordx2 s[10:11], s[6:7], 0x4
	s_load_dword s9, s[6:7], 0xc
	s_load_dwordx2 s[12:13], s[4:5], 0x0
	s_add_u32 s6, s6, 12
	s_addc_u32 s7, s7, 0
	s_waitcnt lgkmcnt(0)
	v_mul_hi_u32 v3, s11, v1
	s_add_u32 s4, s4, 8
	s_addc_u32 s5, s5, 0
	s_add_i32 s8, s8, -1
	v_add_u32_e32 v3, v1, v3
	v_lshrrev_b32_e32 v4, s9, v3
	v_mul_lo_u32 v3, v4, s10
	s_cmp_lg_u32 s8, 0
	v_sub_u32_e32 v3, v1, v3
	v_mad_u64_u32 v[0:1], s[10:11], v3, s12, v[0:1]
	v_mad_u64_u32 v[2:3], s[10:11], v3, s13, v[2:3]
	v_mov_b32_e32 v1, v4
	s_cbranch_scc1 .LBB282_198
.LBB282_199:
	s_cbranch_execnz .LBB282_202
.LBB282_200:
	v_mul_hi_u32 v0, s25, v19
	s_andn2_b64 vcc, exec, s[44:45]
	v_add_u32_e32 v0, v19, v0
	v_lshrrev_b32_e32 v1, s26, v0
	v_mul_lo_u32 v0, v1, s24
	v_sub_u32_e32 v2, v19, v0
	s_waitcnt lgkmcnt(0)
	v_mul_lo_u32 v0, v2, s28
	v_mul_lo_u32 v2, v2, s29
	s_cbranch_vccnz .LBB282_202
; %bb.201:
	v_mul_hi_u32 v3, s42, v1
	v_add_u32_e32 v3, v1, v3
	v_lshrrev_b32_e32 v3, s43, v3
	v_mul_lo_u32 v3, v3, s27
	v_sub_u32_e32 v3, v1, v3
	v_mad_u64_u32 v[0:1], s[4:5], v3, s30, v[0:1]
	v_mad_u64_u32 v[2:3], s[4:5], v3, s31, v[2:3]
.LBB282_202:
	s_waitcnt lgkmcnt(0)
	global_load_ubyte v1, v2, s[22:23]
	s_mov_b32 s4, 0x7f800000
	s_brev_b32 s5, 1
	v_add_u32_e32 v19, 0x80, v19
	s_waitcnt vmcnt(0)
	v_lshlrev_b32_e32 v1, 24, v1
	v_and_b32_e32 v2, 0x7f000000, v1
	v_ffbh_u32_e32 v3, v2
	v_min_u32_e32 v3, 32, v3
	v_sub_u32_e64 v3, v3, 4 clamp
	v_lshlrev_b32_e32 v5, v3, v2
	v_lshlrev_b32_e32 v3, 23, v3
	v_lshrrev_b32_e32 v5, 4, v5
	v_add_u32_e32 v4, 0x1000000, v2
	v_sub_u32_e32 v3, v5, v3
	v_ashrrev_i32_e32 v4, 8, v4
	v_add_u32_e32 v3, 0x3c000000, v3
	v_and_or_b32 v3, v4, s4, v3
	v_cmp_ne_u32_e32 vcc, 0, v2
	v_cndmask_b32_e32 v2, 0, v3, vcc
	v_and_or_b32 v1, v1, s5, v2
	v_cmp_eq_f32_e32 vcc, s57, v1
	v_cndmask_b32_e64 v2, 0, 1, vcc
	v_cmp_neq_f32_e32 vcc, s57, v1
	v_cndmask_b32_e64 v1, 0, 1, vcc
	v_cndmask_b32_e64 v1, v1, v2, s[0:1]
	v_and_b32_e32 v1, 1, v1
	global_store_byte v0, v1, s[20:21]
	s_or_b64 exec, exec, s[50:51]
	v_cmp_gt_i32_e32 vcc, s58, v19
	s_and_saveexec_b64 s[50:51], vcc
	s_cbranch_execnz .LBB282_188
.LBB282_203:
	s_or_b64 exec, exec, s[50:51]
	v_cmp_gt_i32_e32 vcc, s58, v19
	s_and_saveexec_b64 s[50:51], vcc
	s_cbranch_execz .LBB282_219
.LBB282_204:
	s_andn2_b64 vcc, exec, s[2:3]
	s_cbranch_vccnz .LBB282_209
; %bb.205:
	s_andn2_b64 vcc, exec, s[48:49]
	s_cbranch_vccnz .LBB282_210
; %bb.206:
	s_add_i32 s61, s59, 1
	s_cmp_eq_u32 s56, 2
	s_cbranch_scc1 .LBB282_222
; %bb.207:
	s_and_b32 s60, s61, 28
	v_mov_b32_e32 v2, 0
	s_mov_b32 s62, 0
	s_mov_b64 s[52:53], s[34:35]
	s_mov_b64 s[54:55], s[46:47]
	v_mov_b32_e32 v0, 0
	v_mov_b32_e32 v1, v19
.LBB282_208:                            ; =>This Inner Loop Header: Depth=1
	s_load_dwordx8 s[12:19], s[52:53], 0x4
	s_load_dwordx4 s[36:39], s[52:53], 0x24
	s_load_dwordx8 s[4:11], s[54:55], 0x0
	s_add_u32 s52, s52, 48
	s_addc_u32 s53, s53, 0
	s_waitcnt lgkmcnt(0)
	v_mul_hi_u32 v3, s13, v1
	s_add_i32 s62, s62, 4
	s_add_u32 s54, s54, 32
	s_addc_u32 s55, s55, 0
	v_add_u32_e32 v3, v1, v3
	v_lshrrev_b32_e32 v3, s14, v3
	v_mul_lo_u32 v4, v3, s12
	v_mul_hi_u32 v5, s16, v3
	s_cmp_eq_u32 s60, s62
	v_sub_u32_e32 v1, v1, v4
	v_add_u32_e32 v4, v3, v5
	v_mul_lo_u32 v5, v1, s4
	v_mul_lo_u32 v6, v1, s5
	v_lshrrev_b32_e32 v1, s17, v4
	v_mul_lo_u32 v4, v1, s15
	v_mul_hi_u32 v7, s19, v1
	v_sub_u32_e32 v3, v3, v4
	v_add_u32_e32 v4, v1, v7
	v_lshrrev_b32_e32 v4, s36, v4
	v_mul_hi_u32 v8, s38, v4
	v_mul_lo_u32 v9, v4, s18
	v_mul_lo_u32 v7, v3, s6
	;; [unrolled: 1-line block ×3, first 2 shown]
	v_sub_u32_e32 v9, v1, v9
	v_add_u32_e32 v1, v4, v8
	v_lshrrev_b32_e32 v1, s39, v1
	v_mul_lo_u32 v8, v1, s37
	v_mul_lo_u32 v10, v9, s8
	;; [unrolled: 1-line block ×3, first 2 shown]
	v_add3_u32 v0, v5, v0, v7
	v_sub_u32_e32 v4, v4, v8
	v_mul_lo_u32 v8, v4, s10
	v_mul_lo_u32 v4, v4, s11
	v_add3_u32 v2, v6, v2, v3
	v_add3_u32 v0, v10, v0, v8
	;; [unrolled: 1-line block ×3, first 2 shown]
	s_cbranch_scc0 .LBB282_208
	s_branch .LBB282_223
.LBB282_209:
                                        ; implicit-def: $vgpr0
                                        ; implicit-def: $vgpr2
	s_branch .LBB282_227
.LBB282_210:
	v_mov_b32_e32 v0, 0
	v_mov_b32_e32 v2, 0
	s_branch .LBB282_226
.LBB282_211:
	s_mov_b32 s60, 0
	v_mov_b32_e32 v0, 0
	v_mov_b32_e32 v2, 0
	;; [unrolled: 1-line block ×3, first 2 shown]
.LBB282_212:
	s_and_b32 s8, s61, 3
	s_cmp_eq_u32 s8, 0
	s_cbranch_scc1 .LBB282_215
; %bb.213:
	s_lshl_b32 s4, s60, 3
	s_add_u32 s4, s34, s4
	s_addc_u32 s5, s35, 0
	s_add_u32 s4, s4, 0xc4
	s_addc_u32 s5, s5, 0
	s_mul_i32 s6, s60, 12
	s_add_u32 s6, s34, s6
	s_addc_u32 s7, s35, 0
.LBB282_214:                            ; =>This Inner Loop Header: Depth=1
	s_load_dwordx2 s[10:11], s[6:7], 0x4
	s_load_dword s9, s[6:7], 0xc
	s_load_dwordx2 s[12:13], s[4:5], 0x0
	s_add_u32 s6, s6, 12
	s_addc_u32 s7, s7, 0
	s_waitcnt lgkmcnt(0)
	v_mul_hi_u32 v3, s11, v1
	s_add_u32 s4, s4, 8
	s_addc_u32 s5, s5, 0
	s_add_i32 s8, s8, -1
	v_add_u32_e32 v3, v1, v3
	v_lshrrev_b32_e32 v4, s9, v3
	v_mul_lo_u32 v3, v4, s10
	s_cmp_lg_u32 s8, 0
	v_sub_u32_e32 v3, v1, v3
	v_mad_u64_u32 v[0:1], s[10:11], v3, s12, v[0:1]
	v_mad_u64_u32 v[2:3], s[10:11], v3, s13, v[2:3]
	v_mov_b32_e32 v1, v4
	s_cbranch_scc1 .LBB282_214
.LBB282_215:
	s_cbranch_execnz .LBB282_218
.LBB282_216:
	v_mul_hi_u32 v0, s25, v19
	s_andn2_b64 vcc, exec, s[44:45]
	v_add_u32_e32 v0, v19, v0
	v_lshrrev_b32_e32 v1, s26, v0
	v_mul_lo_u32 v0, v1, s24
	v_sub_u32_e32 v2, v19, v0
	s_waitcnt lgkmcnt(0)
	v_mul_lo_u32 v0, v2, s28
	v_mul_lo_u32 v2, v2, s29
	s_cbranch_vccnz .LBB282_218
; %bb.217:
	v_mul_hi_u32 v3, s42, v1
	v_add_u32_e32 v3, v1, v3
	v_lshrrev_b32_e32 v3, s43, v3
	v_mul_lo_u32 v3, v3, s27
	v_sub_u32_e32 v3, v1, v3
	v_mad_u64_u32 v[0:1], s[4:5], v3, s30, v[0:1]
	v_mad_u64_u32 v[2:3], s[4:5], v3, s31, v[2:3]
.LBB282_218:
	s_waitcnt lgkmcnt(0)
	global_load_ubyte v1, v2, s[22:23]
	s_mov_b32 s4, 0x7f800000
	s_brev_b32 s5, 1
	v_add_u32_e32 v19, 0x80, v19
	s_waitcnt vmcnt(0)
	v_lshlrev_b32_e32 v1, 24, v1
	v_and_b32_e32 v2, 0x7f000000, v1
	v_ffbh_u32_e32 v3, v2
	v_min_u32_e32 v3, 32, v3
	v_sub_u32_e64 v3, v3, 4 clamp
	v_lshlrev_b32_e32 v5, v3, v2
	v_lshlrev_b32_e32 v3, 23, v3
	v_lshrrev_b32_e32 v5, 4, v5
	v_add_u32_e32 v4, 0x1000000, v2
	v_sub_u32_e32 v3, v5, v3
	v_ashrrev_i32_e32 v4, 8, v4
	v_add_u32_e32 v3, 0x3c000000, v3
	v_and_or_b32 v3, v4, s4, v3
	v_cmp_ne_u32_e32 vcc, 0, v2
	v_cndmask_b32_e32 v2, 0, v3, vcc
	v_and_or_b32 v1, v1, s5, v2
	v_cmp_eq_f32_e32 vcc, s57, v1
	v_cndmask_b32_e64 v2, 0, 1, vcc
	v_cmp_neq_f32_e32 vcc, s57, v1
	v_cndmask_b32_e64 v1, 0, 1, vcc
	v_cndmask_b32_e64 v1, v1, v2, s[0:1]
	v_and_b32_e32 v1, 1, v1
	global_store_byte v0, v1, s[20:21]
	s_or_b64 exec, exec, s[50:51]
	v_cmp_gt_i32_e32 vcc, s58, v19
	s_and_saveexec_b64 s[50:51], vcc
	s_cbranch_execnz .LBB282_204
.LBB282_219:
	s_or_b64 exec, exec, s[50:51]
	v_cmp_gt_i32_e32 vcc, s58, v19
	s_and_saveexec_b64 s[50:51], vcc
	s_cbranch_execnz .LBB282_230
.LBB282_220:
	s_or_b64 exec, exec, s[50:51]
                                        ; implicit-def: $vgpr25
                                        ; implicit-def: $vgpr19
	s_andn2_saveexec_b64 s[0:1], s[40:41]
	s_cbranch_execnz .LBB282_8
.LBB282_221:
	s_endpgm
.LBB282_222:
	s_mov_b32 s60, 0
	v_mov_b32_e32 v0, 0
	v_mov_b32_e32 v2, 0
	;; [unrolled: 1-line block ×3, first 2 shown]
.LBB282_223:
	s_and_b32 s8, s61, 3
	s_cmp_eq_u32 s8, 0
	s_cbranch_scc1 .LBB282_226
; %bb.224:
	s_lshl_b32 s4, s60, 3
	s_add_u32 s4, s34, s4
	s_addc_u32 s5, s35, 0
	s_add_u32 s4, s4, 0xc4
	s_addc_u32 s5, s5, 0
	s_mul_i32 s6, s60, 12
	s_add_u32 s6, s34, s6
	s_addc_u32 s7, s35, 0
.LBB282_225:                            ; =>This Inner Loop Header: Depth=1
	s_load_dwordx2 s[10:11], s[6:7], 0x4
	s_load_dword s9, s[6:7], 0xc
	s_load_dwordx2 s[12:13], s[4:5], 0x0
	s_add_u32 s6, s6, 12
	s_addc_u32 s7, s7, 0
	s_waitcnt lgkmcnt(0)
	v_mul_hi_u32 v3, s11, v1
	s_add_u32 s4, s4, 8
	s_addc_u32 s5, s5, 0
	s_add_i32 s8, s8, -1
	v_add_u32_e32 v3, v1, v3
	v_lshrrev_b32_e32 v4, s9, v3
	v_mul_lo_u32 v3, v4, s10
	s_cmp_lg_u32 s8, 0
	v_sub_u32_e32 v3, v1, v3
	v_mad_u64_u32 v[0:1], s[10:11], v3, s12, v[0:1]
	v_mad_u64_u32 v[2:3], s[10:11], v3, s13, v[2:3]
	v_mov_b32_e32 v1, v4
	s_cbranch_scc1 .LBB282_225
.LBB282_226:
	s_cbranch_execnz .LBB282_229
.LBB282_227:
	v_mul_hi_u32 v0, s25, v19
	s_andn2_b64 vcc, exec, s[44:45]
	v_add_u32_e32 v0, v19, v0
	v_lshrrev_b32_e32 v1, s26, v0
	v_mul_lo_u32 v0, v1, s24
	v_sub_u32_e32 v2, v19, v0
	s_waitcnt lgkmcnt(0)
	v_mul_lo_u32 v0, v2, s28
	v_mul_lo_u32 v2, v2, s29
	s_cbranch_vccnz .LBB282_229
; %bb.228:
	v_mul_hi_u32 v3, s42, v1
	v_add_u32_e32 v3, v1, v3
	v_lshrrev_b32_e32 v3, s43, v3
	v_mul_lo_u32 v3, v3, s27
	v_sub_u32_e32 v3, v1, v3
	v_mad_u64_u32 v[0:1], s[4:5], v3, s30, v[0:1]
	v_mad_u64_u32 v[2:3], s[4:5], v3, s31, v[2:3]
.LBB282_229:
	s_waitcnt lgkmcnt(0)
	global_load_ubyte v1, v2, s[22:23]
	s_mov_b32 s4, 0x7f800000
	s_brev_b32 s5, 1
	v_add_u32_e32 v19, 0x80, v19
	s_waitcnt vmcnt(0)
	v_lshlrev_b32_e32 v1, 24, v1
	v_and_b32_e32 v2, 0x7f000000, v1
	v_ffbh_u32_e32 v3, v2
	v_min_u32_e32 v3, 32, v3
	v_sub_u32_e64 v3, v3, 4 clamp
	v_lshlrev_b32_e32 v5, v3, v2
	v_lshlrev_b32_e32 v3, 23, v3
	v_lshrrev_b32_e32 v5, 4, v5
	v_add_u32_e32 v4, 0x1000000, v2
	v_sub_u32_e32 v3, v5, v3
	v_ashrrev_i32_e32 v4, 8, v4
	v_add_u32_e32 v3, 0x3c000000, v3
	v_and_or_b32 v3, v4, s4, v3
	v_cmp_ne_u32_e32 vcc, 0, v2
	v_cndmask_b32_e32 v2, 0, v3, vcc
	v_and_or_b32 v1, v1, s5, v2
	v_cmp_eq_f32_e32 vcc, s57, v1
	v_cndmask_b32_e64 v2, 0, 1, vcc
	v_cmp_neq_f32_e32 vcc, s57, v1
	v_cndmask_b32_e64 v1, 0, 1, vcc
	v_cndmask_b32_e64 v1, v1, v2, s[0:1]
	v_and_b32_e32 v1, 1, v1
	global_store_byte v0, v1, s[20:21]
	s_or_b64 exec, exec, s[50:51]
	v_cmp_gt_i32_e32 vcc, s58, v19
	s_and_saveexec_b64 s[50:51], vcc
	s_cbranch_execz .LBB282_220
.LBB282_230:
	s_andn2_b64 vcc, exec, s[2:3]
	s_cbranch_vccnz .LBB282_235
; %bb.231:
	s_andn2_b64 vcc, exec, s[48:49]
	s_cbranch_vccnz .LBB282_236
; %bb.232:
	s_add_i32 s59, s59, 1
	s_cmp_eq_u32 s56, 2
	s_cbranch_scc1 .LBB282_237
; %bb.233:
	s_and_b32 s52, s59, 28
	v_mov_b32_e32 v2, 0
	s_mov_b32 s53, 0
	s_mov_b64 s[48:49], s[34:35]
	v_mov_b32_e32 v0, 0
	v_mov_b32_e32 v1, v19
.LBB282_234:                            ; =>This Inner Loop Header: Depth=1
	s_load_dwordx8 s[12:19], s[48:49], 0x4
	s_load_dwordx4 s[36:39], s[48:49], 0x24
	s_load_dwordx8 s[4:11], s[46:47], 0x0
	s_add_u32 s48, s48, 48
	s_addc_u32 s49, s49, 0
	s_waitcnt lgkmcnt(0)
	v_mul_hi_u32 v3, s13, v1
	s_add_i32 s53, s53, 4
	s_add_u32 s46, s46, 32
	s_addc_u32 s47, s47, 0
	v_add_u32_e32 v3, v1, v3
	v_lshrrev_b32_e32 v3, s14, v3
	v_mul_lo_u32 v4, v3, s12
	v_mul_hi_u32 v5, s16, v3
	s_cmp_eq_u32 s52, s53
	v_sub_u32_e32 v1, v1, v4
	v_add_u32_e32 v4, v3, v5
	v_mul_lo_u32 v5, v1, s4
	v_mul_lo_u32 v6, v1, s5
	v_lshrrev_b32_e32 v1, s17, v4
	v_mul_lo_u32 v4, v1, s15
	v_mul_hi_u32 v7, s19, v1
	v_sub_u32_e32 v3, v3, v4
	v_add_u32_e32 v4, v1, v7
	v_lshrrev_b32_e32 v4, s36, v4
	v_mul_hi_u32 v8, s38, v4
	v_mul_lo_u32 v9, v4, s18
	v_mul_lo_u32 v7, v3, s6
	;; [unrolled: 1-line block ×3, first 2 shown]
	v_sub_u32_e32 v9, v1, v9
	v_add_u32_e32 v1, v4, v8
	v_lshrrev_b32_e32 v1, s39, v1
	v_mul_lo_u32 v8, v1, s37
	v_mul_lo_u32 v10, v9, s8
	;; [unrolled: 1-line block ×3, first 2 shown]
	v_add3_u32 v0, v5, v0, v7
	v_sub_u32_e32 v4, v4, v8
	v_mul_lo_u32 v8, v4, s10
	v_mul_lo_u32 v4, v4, s11
	v_add3_u32 v2, v6, v2, v3
	v_add3_u32 v0, v10, v0, v8
	v_add3_u32 v2, v9, v2, v4
	s_cbranch_scc0 .LBB282_234
	s_branch .LBB282_238
.LBB282_235:
                                        ; implicit-def: $vgpr0
                                        ; implicit-def: $vgpr2
	s_branch .LBB282_242
.LBB282_236:
	v_mov_b32_e32 v0, 0
	v_mov_b32_e32 v2, 0
	s_branch .LBB282_241
.LBB282_237:
	s_mov_b32 s52, 0
	v_mov_b32_e32 v0, 0
	v_mov_b32_e32 v2, 0
	;; [unrolled: 1-line block ×3, first 2 shown]
.LBB282_238:
	s_and_b32 s8, s59, 3
	s_cmp_eq_u32 s8, 0
	s_cbranch_scc1 .LBB282_241
; %bb.239:
	s_lshl_b32 s4, s52, 3
	s_add_u32 s4, s34, s4
	s_addc_u32 s5, s35, 0
	s_add_u32 s4, s4, 0xc4
	s_addc_u32 s5, s5, 0
	s_mul_i32 s6, s52, 12
	s_add_u32 s6, s34, s6
	s_addc_u32 s7, s35, 0
.LBB282_240:                            ; =>This Inner Loop Header: Depth=1
	s_load_dwordx2 s[10:11], s[6:7], 0x4
	s_load_dword s9, s[6:7], 0xc
	s_load_dwordx2 s[12:13], s[4:5], 0x0
	s_add_u32 s6, s6, 12
	s_addc_u32 s7, s7, 0
	s_waitcnt lgkmcnt(0)
	v_mul_hi_u32 v3, s11, v1
	s_add_u32 s4, s4, 8
	s_addc_u32 s5, s5, 0
	s_add_i32 s8, s8, -1
	v_add_u32_e32 v3, v1, v3
	v_lshrrev_b32_e32 v4, s9, v3
	v_mul_lo_u32 v3, v4, s10
	s_cmp_lg_u32 s8, 0
	v_sub_u32_e32 v3, v1, v3
	v_mad_u64_u32 v[0:1], s[10:11], v3, s12, v[0:1]
	v_mad_u64_u32 v[2:3], s[10:11], v3, s13, v[2:3]
	v_mov_b32_e32 v1, v4
	s_cbranch_scc1 .LBB282_240
.LBB282_241:
	s_cbranch_execnz .LBB282_244
.LBB282_242:
	v_mul_hi_u32 v0, s25, v19
	s_andn2_b64 vcc, exec, s[44:45]
	v_add_u32_e32 v0, v19, v0
	v_lshrrev_b32_e32 v1, s26, v0
	v_mul_lo_u32 v0, v1, s24
	v_sub_u32_e32 v2, v19, v0
	s_waitcnt lgkmcnt(0)
	v_mul_lo_u32 v0, v2, s28
	v_mul_lo_u32 v2, v2, s29
	s_cbranch_vccnz .LBB282_244
; %bb.243:
	v_mul_hi_u32 v3, s42, v1
	v_add_u32_e32 v3, v1, v3
	v_lshrrev_b32_e32 v3, s43, v3
	v_mul_lo_u32 v3, v3, s27
	v_sub_u32_e32 v3, v1, v3
	v_mad_u64_u32 v[0:1], s[4:5], v3, s30, v[0:1]
	v_mad_u64_u32 v[2:3], s[4:5], v3, s31, v[2:3]
.LBB282_244:
	s_waitcnt lgkmcnt(0)
	global_load_ubyte v1, v2, s[22:23]
	s_mov_b32 s4, 0x7f800000
	s_brev_b32 s5, 1
	s_waitcnt vmcnt(0)
	v_lshlrev_b32_e32 v1, 24, v1
	v_and_b32_e32 v2, 0x7f000000, v1
	v_ffbh_u32_e32 v3, v2
	v_min_u32_e32 v3, 32, v3
	v_sub_u32_e64 v3, v3, 4 clamp
	v_lshlrev_b32_e32 v5, v3, v2
	v_lshlrev_b32_e32 v3, 23, v3
	v_lshrrev_b32_e32 v5, 4, v5
	v_add_u32_e32 v4, 0x1000000, v2
	v_sub_u32_e32 v3, v5, v3
	v_ashrrev_i32_e32 v4, 8, v4
	v_add_u32_e32 v3, 0x3c000000, v3
	v_and_or_b32 v3, v4, s4, v3
	v_cmp_ne_u32_e32 vcc, 0, v2
	v_cndmask_b32_e32 v2, 0, v3, vcc
	v_and_or_b32 v1, v1, s5, v2
	v_cmp_eq_f32_e32 vcc, s57, v1
	v_cndmask_b32_e64 v2, 0, 1, vcc
	v_cmp_neq_f32_e32 vcc, s57, v1
	v_cndmask_b32_e64 v1, 0, 1, vcc
	v_cndmask_b32_e64 v1, v1, v2, s[0:1]
	v_and_b32_e32 v1, 1, v1
	global_store_byte v0, v1, s[20:21]
	s_or_b64 exec, exec, s[50:51]
                                        ; implicit-def: $vgpr25
                                        ; implicit-def: $vgpr19
	s_andn2_saveexec_b64 s[0:1], s[40:41]
	s_cbranch_execz .LBB282_221
	s_branch .LBB282_8
	.section	.rodata,"a",@progbits
	.p2align	6, 0x0
	.amdhsa_kernel _ZN2at6native32elementwise_kernel_manual_unrollILi128ELi8EZNS0_22gpu_kernel_impl_nocastINS0_13AUnaryFunctorIN3c1013Float8_e4m3fnES5_bNS0_12_GLOBAL__N_116CompareEqFunctorIS5_EEEEEEvRNS_18TensorIteratorBaseERKT_EUlibE_EEviT1_
		.amdhsa_group_segment_fixed_size 0
		.amdhsa_private_segment_fixed_size 0
		.amdhsa_kernarg_size 360
		.amdhsa_user_sgpr_count 6
		.amdhsa_user_sgpr_private_segment_buffer 1
		.amdhsa_user_sgpr_dispatch_ptr 0
		.amdhsa_user_sgpr_queue_ptr 0
		.amdhsa_user_sgpr_kernarg_segment_ptr 1
		.amdhsa_user_sgpr_dispatch_id 0
		.amdhsa_user_sgpr_flat_scratch_init 0
		.amdhsa_user_sgpr_private_segment_size 0
		.amdhsa_uses_dynamic_stack 0
		.amdhsa_system_sgpr_private_segment_wavefront_offset 0
		.amdhsa_system_sgpr_workgroup_id_x 1
		.amdhsa_system_sgpr_workgroup_id_y 0
		.amdhsa_system_sgpr_workgroup_id_z 0
		.amdhsa_system_sgpr_workgroup_info 0
		.amdhsa_system_vgpr_workitem_id 0
		.amdhsa_next_free_vgpr 26
		.amdhsa_next_free_sgpr 63
		.amdhsa_reserve_vcc 1
		.amdhsa_reserve_flat_scratch 0
		.amdhsa_float_round_mode_32 0
		.amdhsa_float_round_mode_16_64 0
		.amdhsa_float_denorm_mode_32 3
		.amdhsa_float_denorm_mode_16_64 3
		.amdhsa_dx10_clamp 1
		.amdhsa_ieee_mode 1
		.amdhsa_fp16_overflow 0
		.amdhsa_exception_fp_ieee_invalid_op 0
		.amdhsa_exception_fp_denorm_src 0
		.amdhsa_exception_fp_ieee_div_zero 0
		.amdhsa_exception_fp_ieee_overflow 0
		.amdhsa_exception_fp_ieee_underflow 0
		.amdhsa_exception_fp_ieee_inexact 0
		.amdhsa_exception_int_div_zero 0
	.end_amdhsa_kernel
	.section	.text._ZN2at6native32elementwise_kernel_manual_unrollILi128ELi8EZNS0_22gpu_kernel_impl_nocastINS0_13AUnaryFunctorIN3c1013Float8_e4m3fnES5_bNS0_12_GLOBAL__N_116CompareEqFunctorIS5_EEEEEEvRNS_18TensorIteratorBaseERKT_EUlibE_EEviT1_,"axG",@progbits,_ZN2at6native32elementwise_kernel_manual_unrollILi128ELi8EZNS0_22gpu_kernel_impl_nocastINS0_13AUnaryFunctorIN3c1013Float8_e4m3fnES5_bNS0_12_GLOBAL__N_116CompareEqFunctorIS5_EEEEEEvRNS_18TensorIteratorBaseERKT_EUlibE_EEviT1_,comdat
.Lfunc_end282:
	.size	_ZN2at6native32elementwise_kernel_manual_unrollILi128ELi8EZNS0_22gpu_kernel_impl_nocastINS0_13AUnaryFunctorIN3c1013Float8_e4m3fnES5_bNS0_12_GLOBAL__N_116CompareEqFunctorIS5_EEEEEEvRNS_18TensorIteratorBaseERKT_EUlibE_EEviT1_, .Lfunc_end282-_ZN2at6native32elementwise_kernel_manual_unrollILi128ELi8EZNS0_22gpu_kernel_impl_nocastINS0_13AUnaryFunctorIN3c1013Float8_e4m3fnES5_bNS0_12_GLOBAL__N_116CompareEqFunctorIS5_EEEEEEvRNS_18TensorIteratorBaseERKT_EUlibE_EEviT1_
                                        ; -- End function
	.set _ZN2at6native32elementwise_kernel_manual_unrollILi128ELi8EZNS0_22gpu_kernel_impl_nocastINS0_13AUnaryFunctorIN3c1013Float8_e4m3fnES5_bNS0_12_GLOBAL__N_116CompareEqFunctorIS5_EEEEEEvRNS_18TensorIteratorBaseERKT_EUlibE_EEviT1_.num_vgpr, 26
	.set _ZN2at6native32elementwise_kernel_manual_unrollILi128ELi8EZNS0_22gpu_kernel_impl_nocastINS0_13AUnaryFunctorIN3c1013Float8_e4m3fnES5_bNS0_12_GLOBAL__N_116CompareEqFunctorIS5_EEEEEEvRNS_18TensorIteratorBaseERKT_EUlibE_EEviT1_.num_agpr, 0
	.set _ZN2at6native32elementwise_kernel_manual_unrollILi128ELi8EZNS0_22gpu_kernel_impl_nocastINS0_13AUnaryFunctorIN3c1013Float8_e4m3fnES5_bNS0_12_GLOBAL__N_116CompareEqFunctorIS5_EEEEEEvRNS_18TensorIteratorBaseERKT_EUlibE_EEviT1_.numbered_sgpr, 63
	.set _ZN2at6native32elementwise_kernel_manual_unrollILi128ELi8EZNS0_22gpu_kernel_impl_nocastINS0_13AUnaryFunctorIN3c1013Float8_e4m3fnES5_bNS0_12_GLOBAL__N_116CompareEqFunctorIS5_EEEEEEvRNS_18TensorIteratorBaseERKT_EUlibE_EEviT1_.num_named_barrier, 0
	.set _ZN2at6native32elementwise_kernel_manual_unrollILi128ELi8EZNS0_22gpu_kernel_impl_nocastINS0_13AUnaryFunctorIN3c1013Float8_e4m3fnES5_bNS0_12_GLOBAL__N_116CompareEqFunctorIS5_EEEEEEvRNS_18TensorIteratorBaseERKT_EUlibE_EEviT1_.private_seg_size, 0
	.set _ZN2at6native32elementwise_kernel_manual_unrollILi128ELi8EZNS0_22gpu_kernel_impl_nocastINS0_13AUnaryFunctorIN3c1013Float8_e4m3fnES5_bNS0_12_GLOBAL__N_116CompareEqFunctorIS5_EEEEEEvRNS_18TensorIteratorBaseERKT_EUlibE_EEviT1_.uses_vcc, 1
	.set _ZN2at6native32elementwise_kernel_manual_unrollILi128ELi8EZNS0_22gpu_kernel_impl_nocastINS0_13AUnaryFunctorIN3c1013Float8_e4m3fnES5_bNS0_12_GLOBAL__N_116CompareEqFunctorIS5_EEEEEEvRNS_18TensorIteratorBaseERKT_EUlibE_EEviT1_.uses_flat_scratch, 0
	.set _ZN2at6native32elementwise_kernel_manual_unrollILi128ELi8EZNS0_22gpu_kernel_impl_nocastINS0_13AUnaryFunctorIN3c1013Float8_e4m3fnES5_bNS0_12_GLOBAL__N_116CompareEqFunctorIS5_EEEEEEvRNS_18TensorIteratorBaseERKT_EUlibE_EEviT1_.has_dyn_sized_stack, 0
	.set _ZN2at6native32elementwise_kernel_manual_unrollILi128ELi8EZNS0_22gpu_kernel_impl_nocastINS0_13AUnaryFunctorIN3c1013Float8_e4m3fnES5_bNS0_12_GLOBAL__N_116CompareEqFunctorIS5_EEEEEEvRNS_18TensorIteratorBaseERKT_EUlibE_EEviT1_.has_recursion, 0
	.set _ZN2at6native32elementwise_kernel_manual_unrollILi128ELi8EZNS0_22gpu_kernel_impl_nocastINS0_13AUnaryFunctorIN3c1013Float8_e4m3fnES5_bNS0_12_GLOBAL__N_116CompareEqFunctorIS5_EEEEEEvRNS_18TensorIteratorBaseERKT_EUlibE_EEviT1_.has_indirect_call, 0
	.section	.AMDGPU.csdata,"",@progbits
; Kernel info:
; codeLenInByte = 13624
; TotalNumSgprs: 67
; NumVgprs: 26
; ScratchSize: 0
; MemoryBound: 0
; FloatMode: 240
; IeeeMode: 1
; LDSByteSize: 0 bytes/workgroup (compile time only)
; SGPRBlocks: 8
; VGPRBlocks: 6
; NumSGPRsForWavesPerEU: 67
; NumVGPRsForWavesPerEU: 26
; Occupancy: 9
; WaveLimiterHint : 1
; COMPUTE_PGM_RSRC2:SCRATCH_EN: 0
; COMPUTE_PGM_RSRC2:USER_SGPR: 6
; COMPUTE_PGM_RSRC2:TRAP_HANDLER: 0
; COMPUTE_PGM_RSRC2:TGID_X_EN: 1
; COMPUTE_PGM_RSRC2:TGID_Y_EN: 0
; COMPUTE_PGM_RSRC2:TGID_Z_EN: 0
; COMPUTE_PGM_RSRC2:TIDIG_COMP_CNT: 0
	.text
	.p2align	2                               ; -- Begin function _ZN2at6native6invokeINS0_13AUnaryFunctorIN3c1013Float8_e4m3fnES4_bNS0_12_GLOBAL__N_116CompareEqFunctorIS4_EEEEi15function_traitsIS8_EEENT1_11result_typeERKT_PrKPcPKT0_PKNS3_10ScalarTypeEi
	.type	_ZN2at6native6invokeINS0_13AUnaryFunctorIN3c1013Float8_e4m3fnES4_bNS0_12_GLOBAL__N_116CompareEqFunctorIS4_EEEEi15function_traitsIS8_EEENT1_11result_typeERKT_PrKPcPKT0_PKNS3_10ScalarTypeEi,@function
_ZN2at6native6invokeINS0_13AUnaryFunctorIN3c1013Float8_e4m3fnES4_bNS0_12_GLOBAL__N_116CompareEqFunctorIS4_EEEEi15function_traitsIS8_EEENT1_11result_typeERKT_PrKPcPKT0_PKNS3_10ScalarTypeEi: ; @_ZN2at6native6invokeINS0_13AUnaryFunctorIN3c1013Float8_e4m3fnES4_bNS0_12_GLOBAL__N_116CompareEqFunctorIS4_EEEEi15function_traitsIS8_EEENT1_11result_typeERKT_PrKPcPKT0_PKNS3_10ScalarTypeEi
; %bb.0:
	s_waitcnt vmcnt(0) expcnt(0) lgkmcnt(0)
	v_mul_lo_u32 v4, v6, v4
	s_mov_b64 s[6:7], 0
	v_ashrrev_i32_e32 v6, 31, v4
	v_add_co_u32_e32 v2, vcc, v2, v4
	v_mov_b32_e32 v4, 10
	v_addc_co_u32_e32 v3, vcc, v3, v6, vcc
	v_cmp_gt_i16_sdwa s[4:5], v5, v4 src0_sel:BYTE_0 src1_sel:DWORD
                                        ; implicit-def: $vgpr4
	s_and_saveexec_b64 s[8:9], s[4:5]
	s_xor_b64 s[4:5], exec, s[8:9]
	s_cbranch_execz .LBB283_97
; %bb.1:
	v_mov_b32_e32 v4, 25
	v_cmp_gt_i16_sdwa s[8:9], v5, v4 src0_sel:BYTE_0 src1_sel:DWORD
	s_mov_b64 s[12:13], 0
	s_mov_b64 s[10:11], 0
                                        ; implicit-def: $vgpr4
	s_and_saveexec_b64 s[14:15], s[8:9]
	s_xor_b64 s[8:9], exec, s[14:15]
	s_cbranch_execz .LBB283_228
; %bb.2:
	v_mov_b32_e32 v4, 28
	v_cmp_gt_i16_sdwa s[10:11], v5, v4 src0_sel:BYTE_0 src1_sel:DWORD
	s_mov_b64 s[14:15], 0
                                        ; implicit-def: $vgpr4
	s_and_saveexec_b64 s[16:17], s[10:11]
	s_xor_b64 s[10:11], exec, s[16:17]
	s_cbranch_execz .LBB283_42
; %bb.3:
	v_mov_b32_e32 v4, 43
	v_cmp_gt_i16_sdwa s[12:13], v5, v4 src0_sel:BYTE_0 src1_sel:DWORD
	s_mov_b64 s[16:17], 0
	s_mov_b64 s[18:19], 0
                                        ; implicit-def: $vgpr4
	s_and_saveexec_b64 s[14:15], s[12:13]
	s_xor_b64 s[12:13], exec, s[14:15]
	s_cbranch_execz .LBB283_29
; %bb.4:
	v_mov_b32_e32 v4, 45
	v_cmp_gt_i16_sdwa s[18:19], v5, v4 src0_sel:BYTE_0 src1_sel:DWORD
	s_mov_b64 s[14:15], 0
                                        ; implicit-def: $vgpr4
	s_and_saveexec_b64 s[20:21], s[18:19]
	s_xor_b64 s[18:19], exec, s[20:21]
	s_cbranch_execz .LBB283_16
; %bb.5:
	v_mov_b32_e32 v4, 46
	v_cmp_eq_u16_sdwa s[22:23], v5, v4 src0_sel:BYTE_0 src1_sel:DWORD
	s_mov_b64 s[20:21], -1
                                        ; implicit-def: $vgpr4
	s_and_saveexec_b64 s[14:15], s[22:23]
	s_cbranch_execz .LBB283_15
; %bb.6:
	flat_load_dword v4, v[2:3]
	s_mov_b32 s16, 0x43f00000
                                        ; implicit-def: $vgpr5
	s_waitcnt vmcnt(0) lgkmcnt(0)
	v_lshlrev_b32_e32 v4, 16, v4
	v_and_b32_e32 v6, 0x7fffffff, v4
	v_cmp_gt_u32_e32 vcc, s16, v6
	s_and_saveexec_b64 s[16:17], vcc
	s_xor_b64 s[16:17], exec, s[16:17]
	s_cbranch_execz .LBB283_12
; %bb.7:
	s_mov_b32 s20, 0x3c7fffff
	v_cmp_lt_u32_e32 vcc, s20, v6
                                        ; implicit-def: $vgpr5
	s_and_saveexec_b64 s[20:21], vcc
	s_xor_b64 s[20:21], exec, s[20:21]
; %bb.8:
	v_bfe_u32 v5, v4, 20, 1
	s_mov_b32 s22, 0x407ffff
	v_add3_u32 v5, v4, v5, s22
	v_lshrrev_b32_e32 v6, 20, v5
	v_and_b32_e32 v5, 0xff00000, v5
	s_mov_b32 s22, 0x7f00000
	v_mov_b32_e32 v7, 0x7e
	v_cmp_ne_u32_e32 vcc, s22, v5
	v_cndmask_b32_e32 v5, v7, v6, vcc
; %bb.9:
	s_andn2_saveexec_b64 s[20:21], s[20:21]
; %bb.10:
	s_mov_b32 s22, 0x46800000
	v_add_f32_e64 v5, |v4|, s22
; %bb.11:
	s_or_b64 exec, exec, s[20:21]
                                        ; implicit-def: $vgpr6
.LBB283_12:
	s_andn2_saveexec_b64 s[16:17], s[16:17]
; %bb.13:
	s_mov_b32 s20, 0x7f800000
	v_mov_b32_e32 v5, 0x7e
	v_mov_b32_e32 v7, 0x7f
	v_cmp_lt_u32_e32 vcc, s20, v6
	v_cndmask_b32_e32 v5, v5, v7, vcc
; %bb.14:
	s_or_b64 exec, exec, s[16:17]
	v_lshrrev_b32_e32 v4, 24, v4
	s_movk_i32 s20, 0x80
	s_mov_b64 s[16:17], exec
	v_and_or_b32 v4, v4, s20, v5
	s_xor_b64 s[20:21], exec, -1
.LBB283_15:
	s_or_b64 exec, exec, s[14:15]
	s_and_b64 s[16:17], s[16:17], exec
	s_and_b64 s[14:15], s[20:21], exec
                                        ; implicit-def: $vgpr5
.LBB283_16:
	s_andn2_saveexec_b64 s[18:19], s[18:19]
	s_cbranch_execz .LBB283_28
; %bb.17:
	v_mov_b32_e32 v4, 44
	v_cmp_eq_u16_sdwa s[26:27], v5, v4 src0_sel:BYTE_0 src1_sel:DWORD
	s_mov_b64 s[22:23], -1
	s_mov_b64 s[24:25], s[16:17]
                                        ; implicit-def: $vgpr4
	s_and_saveexec_b64 s[20:21], s[26:27]
	s_cbranch_execz .LBB283_27
; %bb.18:
	flat_load_ubyte v4, v[2:3]
	s_movk_i32 s22, 0xff
	v_mov_b32_e32 v5, 0x7f800001
	v_mov_b32_e32 v6, 0x400000
	s_waitcnt vmcnt(0) lgkmcnt(0)
	v_lshlrev_b32_e32 v7, 23, v4
	v_cmp_ne_u32_e32 vcc, s22, v4
	v_cndmask_b32_e32 v5, v5, v7, vcc
	v_cmp_ne_u32_e32 vcc, 0, v4
	v_cndmask_b32_e32 v5, v6, v5, vcc
	s_mov_b32 s22, 0x43f00000
	v_cmp_gt_u32_e32 vcc, s22, v5
                                        ; implicit-def: $vgpr4
	s_and_saveexec_b64 s[22:23], vcc
	s_xor_b64 s[22:23], exec, s[22:23]
	s_cbranch_execz .LBB283_24
; %bb.19:
	s_mov_b32 s24, 0x3c7fffff
	v_cmp_lt_u32_e32 vcc, s24, v5
                                        ; implicit-def: $vgpr4
	s_and_saveexec_b64 s[24:25], vcc
	s_xor_b64 s[24:25], exec, s[24:25]
; %bb.20:
	v_bfe_u32 v4, v5, 20, 1
	s_mov_b32 s26, 0x407ffff
	v_add3_u32 v4, v5, v4, s26
	v_lshrrev_b32_e32 v5, 20, v4
	v_and_b32_e32 v4, 0xff00000, v4
	s_mov_b32 s26, 0x7f00000
	v_mov_b32_e32 v6, 0x7e
	v_cmp_ne_u32_e32 vcc, s26, v4
	v_cndmask_b32_e32 v4, v6, v5, vcc
                                        ; implicit-def: $vgpr5
; %bb.21:
	s_andn2_saveexec_b64 s[24:25], s[24:25]
; %bb.22:
	v_add_f32_e32 v4, 0x46800000, v5
; %bb.23:
	s_or_b64 exec, exec, s[24:25]
                                        ; implicit-def: $vgpr5
.LBB283_24:
	s_andn2_saveexec_b64 s[22:23], s[22:23]
; %bb.25:
	s_mov_b32 s24, 0x7f800000
	v_mov_b32_e32 v4, 0x7e
	v_mov_b32_e32 v6, 0x7f
	v_cmp_lt_u32_e32 vcc, s24, v5
	v_cndmask_b32_e32 v4, v4, v6, vcc
; %bb.26:
	s_or_b64 exec, exec, s[22:23]
	s_or_b64 s[24:25], s[16:17], exec
	s_xor_b64 s[22:23], exec, -1
.LBB283_27:
	s_or_b64 exec, exec, s[20:21]
	s_andn2_b64 s[16:17], s[16:17], exec
	s_and_b64 s[20:21], s[24:25], exec
	s_or_b64 s[16:17], s[16:17], s[20:21]
	s_andn2_b64 s[14:15], s[14:15], exec
	s_and_b64 s[20:21], s[22:23], exec
	s_or_b64 s[14:15], s[14:15], s[20:21]
.LBB283_28:
	s_or_b64 exec, exec, s[18:19]
	s_and_b64 s[18:19], s[16:17], exec
	s_and_b64 s[16:17], s[14:15], exec
                                        ; implicit-def: $vgpr5
.LBB283_29:
	s_andn2_saveexec_b64 s[12:13], s[12:13]
	s_cbranch_execz .LBB283_41
; %bb.30:
	v_mov_b32_e32 v4, 29
	v_cmp_eq_u16_sdwa s[24:25], v5, v4 src0_sel:BYTE_0 src1_sel:DWORD
	s_mov_b64 s[20:21], -1
	s_mov_b64 s[22:23], s[18:19]
                                        ; implicit-def: $vgpr4
	s_and_saveexec_b64 s[14:15], s[24:25]
	s_cbranch_execz .LBB283_40
; %bb.31:
	flat_load_dwordx2 v[4:5], v[2:3]
	s_mov_b32 s20, 0x43f00000
	s_waitcnt vmcnt(0) lgkmcnt(0)
	v_ffbh_u32_e32 v6, v5
	v_min_u32_e32 v6, 32, v6
	v_lshlrev_b64 v[4:5], v6, v[4:5]
	v_min_u32_e32 v4, 1, v4
	v_or_b32_e32 v4, v5, v4
	v_cvt_f32_u32_e32 v4, v4
	v_sub_u32_e32 v5, 32, v6
	v_ldexp_f32 v5, v4, v5
	v_cmp_gt_u32_e32 vcc, s20, v5
                                        ; implicit-def: $vgpr4
	s_and_saveexec_b64 s[20:21], vcc
	s_xor_b64 s[20:21], exec, s[20:21]
	s_cbranch_execz .LBB283_37
; %bb.32:
	s_mov_b32 s22, 0x3c7fffff
	v_cmp_lt_u32_e32 vcc, s22, v5
                                        ; implicit-def: $vgpr4
	s_and_saveexec_b64 s[22:23], vcc
	s_xor_b64 s[22:23], exec, s[22:23]
; %bb.33:
	v_bfe_u32 v4, v5, 20, 1
	s_mov_b32 s24, 0x407ffff
	v_add3_u32 v4, v5, v4, s24
	v_lshrrev_b32_e32 v5, 20, v4
	v_and_b32_e32 v4, 0xff00000, v4
	s_mov_b32 s24, 0x7f00000
	v_mov_b32_e32 v6, 0x7e
	v_cmp_ne_u32_e32 vcc, s24, v4
	v_cndmask_b32_e32 v4, v6, v5, vcc
                                        ; implicit-def: $vgpr5
; %bb.34:
	s_andn2_saveexec_b64 s[22:23], s[22:23]
; %bb.35:
	v_add_f32_e32 v4, 0x46800000, v5
; %bb.36:
	s_or_b64 exec, exec, s[22:23]
                                        ; implicit-def: $vgpr5
.LBB283_37:
	s_andn2_saveexec_b64 s[20:21], s[20:21]
; %bb.38:
	s_mov_b32 s22, 0x7f800000
	v_mov_b32_e32 v4, 0x7e
	v_mov_b32_e32 v6, 0x7f
	v_cmp_lt_u32_e32 vcc, s22, v5
	v_cndmask_b32_e32 v4, v4, v6, vcc
; %bb.39:
	s_or_b64 exec, exec, s[20:21]
	s_or_b64 s[22:23], s[18:19], exec
	s_xor_b64 s[20:21], exec, -1
.LBB283_40:
	s_or_b64 exec, exec, s[14:15]
	s_andn2_b64 s[14:15], s[18:19], exec
	s_and_b64 s[18:19], s[22:23], exec
	s_or_b64 s[18:19], s[14:15], s[18:19]
	s_andn2_b64 s[14:15], s[16:17], exec
	s_and_b64 s[16:17], s[20:21], exec
	s_or_b64 s[16:17], s[14:15], s[16:17]
.LBB283_41:
	s_or_b64 exec, exec, s[12:13]
	s_and_b64 s[14:15], s[18:19], exec
	s_and_b64 s[12:13], s[16:17], exec
                                        ; implicit-def: $vgpr5
.LBB283_42:
	s_andn2_saveexec_b64 s[10:11], s[10:11]
	s_cbranch_execz .LBB283_82
; %bb.43:
	v_mov_b32_e32 v4, 26
	v_cmp_gt_i16_sdwa s[16:17], v5, v4 src0_sel:BYTE_0 src1_sel:DWORD
                                        ; implicit-def: $vgpr4
	s_and_saveexec_b64 s[18:19], s[16:17]
	s_xor_b64 s[16:17], exec, s[18:19]
	s_cbranch_execz .LBB283_65
; %bb.44:
	v_mov_b32_e32 v4, 27
	v_cmp_gt_i16_sdwa s[18:19], v5, v4 src0_sel:BYTE_0 src1_sel:DWORD
                                        ; implicit-def: $vgpr4
	s_and_saveexec_b64 s[20:21], s[18:19]
	s_xor_b64 s[18:19], exec, s[20:21]
	s_cbranch_execz .LBB283_54
; %bb.45:
	flat_load_dword v4, v[2:3]
	s_mov_b32 s20, 0x43f00000
	s_waitcnt vmcnt(0) lgkmcnt(0)
	v_cvt_f32_u32_e32 v5, v4
                                        ; implicit-def: $vgpr4
	v_cmp_gt_u32_e32 vcc, s20, v5
	s_and_saveexec_b64 s[20:21], vcc
	s_xor_b64 s[20:21], exec, s[20:21]
	s_cbranch_execz .LBB283_51
; %bb.46:
	s_mov_b32 s22, 0x3c7fffff
	v_cmp_lt_u32_e32 vcc, s22, v5
                                        ; implicit-def: $vgpr4
	s_and_saveexec_b64 s[22:23], vcc
	s_xor_b64 s[22:23], exec, s[22:23]
; %bb.47:
	v_bfe_u32 v4, v5, 20, 1
	s_mov_b32 s24, 0x407ffff
	v_add3_u32 v4, v5, v4, s24
	v_lshrrev_b32_e32 v5, 20, v4
	v_and_b32_e32 v4, 0xff00000, v4
	s_mov_b32 s24, 0x7f00000
	v_mov_b32_e32 v6, 0x7e
	v_cmp_ne_u32_e32 vcc, s24, v4
	v_cndmask_b32_e32 v4, v6, v5, vcc
                                        ; implicit-def: $vgpr5
; %bb.48:
	s_andn2_saveexec_b64 s[22:23], s[22:23]
; %bb.49:
	v_add_f32_e32 v4, 0x46800000, v5
; %bb.50:
	s_or_b64 exec, exec, s[22:23]
                                        ; implicit-def: $vgpr5
.LBB283_51:
	s_andn2_saveexec_b64 s[20:21], s[20:21]
; %bb.52:
	s_mov_b32 s22, 0x7f800000
	v_mov_b32_e32 v4, 0x7e
	v_mov_b32_e32 v6, 0x7f
	v_cmp_lt_u32_e32 vcc, s22, v5
	v_cndmask_b32_e32 v4, v4, v6, vcc
; %bb.53:
	s_or_b64 exec, exec, s[20:21]
.LBB283_54:
	s_andn2_saveexec_b64 s[18:19], s[18:19]
	s_cbranch_execz .LBB283_64
; %bb.55:
	flat_load_ushort v4, v[2:3]
	s_mov_b32 s20, 0x43f00000
	s_waitcnt vmcnt(0) lgkmcnt(0)
	v_cvt_f32_u32_e32 v5, v4
                                        ; implicit-def: $vgpr4
	v_cmp_gt_u32_e32 vcc, s20, v5
	s_and_saveexec_b64 s[20:21], vcc
	s_xor_b64 s[20:21], exec, s[20:21]
	s_cbranch_execz .LBB283_61
; %bb.56:
	s_mov_b32 s22, 0x3c7fffff
	v_cmp_lt_u32_e32 vcc, s22, v5
                                        ; implicit-def: $vgpr4
	s_and_saveexec_b64 s[22:23], vcc
	s_xor_b64 s[22:23], exec, s[22:23]
; %bb.57:
	v_bfe_u32 v4, v5, 20, 1
	s_mov_b32 s24, 0x407ffff
	v_add3_u32 v4, v5, v4, s24
	v_lshrrev_b32_e32 v5, 20, v4
	v_and_b32_e32 v4, 0xff00000, v4
	s_mov_b32 s24, 0x7f00000
	v_mov_b32_e32 v6, 0x7e
	v_cmp_ne_u32_e32 vcc, s24, v4
	v_cndmask_b32_e32 v4, v6, v5, vcc
                                        ; implicit-def: $vgpr5
; %bb.58:
	s_andn2_saveexec_b64 s[22:23], s[22:23]
; %bb.59:
	v_add_f32_e32 v4, 0x46800000, v5
; %bb.60:
	s_or_b64 exec, exec, s[22:23]
                                        ; implicit-def: $vgpr5
.LBB283_61:
	s_andn2_saveexec_b64 s[20:21], s[20:21]
; %bb.62:
	s_mov_b32 s22, 0x7f800000
	v_mov_b32_e32 v4, 0x7e
	v_mov_b32_e32 v6, 0x7f
	v_cmp_lt_u32_e32 vcc, s22, v5
	v_cndmask_b32_e32 v4, v4, v6, vcc
; %bb.63:
	s_or_b64 exec, exec, s[20:21]
.LBB283_64:
	s_or_b64 exec, exec, s[18:19]
.LBB283_65:
	s_andn2_saveexec_b64 s[16:17], s[16:17]
	s_cbranch_execz .LBB283_81
; %bb.66:
	flat_load_ubyte v5, v[2:3]
	s_movk_i32 s18, 0x7f
	s_waitcnt vmcnt(0) lgkmcnt(0)
	v_cmp_lt_i16_e32 vcc, s18, v5
	s_mov_b64 s[18:19], 0
	s_and_saveexec_b64 s[20:21], vcc
	s_xor_b64 s[20:21], exec, s[20:21]
	s_cbranch_execz .LBB283_279
; %bb.67:
	s_movk_i32 s18, 0x80
	v_cmp_eq_u16_e32 vcc, s18, v5
	s_mov_b64 s[18:19], -1
	s_and_saveexec_b64 s[22:23], vcc
; %bb.68:
	s_xor_b64 s[18:19], exec, -1
; %bb.69:
	s_or_b64 exec, exec, s[22:23]
	s_and_b64 s[18:19], s[18:19], exec
	s_or_saveexec_b64 s[20:21], s[20:21]
	v_mov_b32_e32 v4, 0x7f800001
	s_xor_b64 exec, exec, s[20:21]
	s_cbranch_execnz .LBB283_280
.LBB283_70:
	s_or_b64 exec, exec, s[20:21]
	s_and_saveexec_b64 s[20:21], s[18:19]
	s_cbranch_execz .LBB283_72
.LBB283_71:
	v_lshlrev_b32_e32 v4, 24, v5
	v_and_b32_e32 v5, 0xffff, v5
	v_and_b32_e32 v6, 7, v5
	v_ffbh_u32_e32 v8, v6
	v_min_u32_e32 v8, 32, v8
	v_subrev_u32_e32 v9, 28, v8
	v_bfe_u32 v7, v5, 3, 4
	v_lshlrev_b32_e32 v5, v9, v5
	v_sub_u32_e32 v8, 29, v8
	v_and_b32_e32 v5, 7, v5
	v_cmp_eq_u32_e32 vcc, 0, v7
	v_cndmask_b32_e32 v7, v7, v8, vcc
	v_cndmask_b32_e32 v5, v6, v5, vcc
	v_mov_b32_e32 v6, 0x3b800000
	v_lshlrev_b32_e32 v5, 20, v5
	v_and_b32_e32 v4, 0x80000000, v4
	v_lshl_add_u32 v6, v7, 23, v6
	v_or3_b32 v4, v4, v6, v5
.LBB283_72:
	s_or_b64 exec, exec, s[20:21]
	v_and_b32_e32 v6, 0x7fffffff, v4
	s_mov_b32 s18, 0x43f00000
	v_cmp_gt_u32_e32 vcc, s18, v6
                                        ; implicit-def: $vgpr5
	s_and_saveexec_b64 s[18:19], vcc
	s_xor_b64 s[18:19], exec, s[18:19]
	s_cbranch_execz .LBB283_78
; %bb.73:
	s_mov_b32 s20, 0x3c7fffff
	v_cmp_lt_u32_e32 vcc, s20, v6
                                        ; implicit-def: $vgpr5
	s_and_saveexec_b64 s[20:21], vcc
	s_xor_b64 s[20:21], exec, s[20:21]
; %bb.74:
	v_bfe_u32 v5, v4, 20, 1
	s_mov_b32 s22, 0x407ffff
	v_add3_u32 v5, v4, v5, s22
	v_lshrrev_b32_e32 v6, 20, v5
	v_and_b32_e32 v5, 0xff00000, v5
	s_mov_b32 s22, 0x7f00000
	v_mov_b32_e32 v7, 0x7e
	v_cmp_ne_u32_e32 vcc, s22, v5
	v_cndmask_b32_e32 v5, v7, v6, vcc
; %bb.75:
	s_andn2_saveexec_b64 s[20:21], s[20:21]
; %bb.76:
	s_mov_b32 s22, 0x46800000
	v_add_f32_e64 v5, |v4|, s22
; %bb.77:
	s_or_b64 exec, exec, s[20:21]
                                        ; implicit-def: $vgpr6
.LBB283_78:
	s_andn2_saveexec_b64 s[18:19], s[18:19]
; %bb.79:
	s_mov_b32 s20, 0x7f800000
	v_mov_b32_e32 v5, 0x7e
	v_mov_b32_e32 v7, 0x7f
	v_cmp_lt_u32_e32 vcc, s20, v6
	v_cndmask_b32_e32 v5, v5, v7, vcc
; %bb.80:
	s_or_b64 exec, exec, s[18:19]
	v_lshrrev_b32_e32 v4, 24, v4
	s_movk_i32 s18, 0x80
	v_and_or_b32 v4, v4, s18, v5
.LBB283_81:
	s_or_b64 exec, exec, s[16:17]
	s_or_b64 s[14:15], s[14:15], exec
.LBB283_82:
	s_or_b64 exec, exec, s[10:11]
	s_and_b64 s[10:11], s[14:15], exec
	s_and_b64 s[12:13], s[12:13], exec
                                        ; implicit-def: $vgpr5
	s_andn2_saveexec_b64 s[8:9], s[8:9]
	s_cbranch_execnz .LBB283_229
.LBB283_83:
	s_or_b64 exec, exec, s[8:9]
	s_and_saveexec_b64 s[8:9], s[12:13]
	s_cbranch_execnz .LBB283_278
.LBB283_84:
	s_or_b64 exec, exec, s[8:9]
	s_and_saveexec_b64 s[8:9], s[6:7]
	s_cbranch_execz .LBB283_94
.LBB283_85:
	flat_load_ubyte v2, v[2:3]
	s_mov_b32 s6, 0x43f00000
                                        ; implicit-def: $vgpr4
	s_waitcnt vmcnt(0) lgkmcnt(0)
	v_cmp_ne_u16_e32 vcc, 0, v2
	v_cndmask_b32_e64 v2, 0, 1.0, vcc
	v_cmp_gt_u32_e32 vcc, s6, v2
	s_and_saveexec_b64 s[6:7], vcc
	s_xor_b64 s[6:7], exec, s[6:7]
	s_cbranch_execz .LBB283_91
; %bb.86:
	s_mov_b32 s12, 0x3c7fffff
	v_cmp_lt_u32_e32 vcc, s12, v2
                                        ; implicit-def: $vgpr4
	s_and_saveexec_b64 s[12:13], vcc
	s_xor_b64 s[12:13], exec, s[12:13]
; %bb.87:
	v_bfe_u32 v3, v2, 20, 1
	s_mov_b32 s14, 0x407ffff
	v_add3_u32 v2, v2, v3, s14
	v_lshrrev_b32_e32 v3, 20, v2
	v_and_b32_e32 v2, 0xff00000, v2
	s_mov_b32 s14, 0x7f00000
	v_mov_b32_e32 v4, 0x7e
	v_cmp_ne_u32_e32 vcc, s14, v2
	v_cndmask_b32_e32 v4, v4, v3, vcc
                                        ; implicit-def: $vgpr2
; %bb.88:
	s_andn2_saveexec_b64 s[12:13], s[12:13]
; %bb.89:
	v_add_f32_e32 v4, 0x46800000, v2
; %bb.90:
	s_or_b64 exec, exec, s[12:13]
                                        ; implicit-def: $vgpr2
.LBB283_91:
	s_andn2_saveexec_b64 s[6:7], s[6:7]
; %bb.92:
	s_mov_b32 s12, 0x7f800000
	v_mov_b32_e32 v3, 0x7e
	v_mov_b32_e32 v4, 0x7f
	v_cmp_lt_u32_e32 vcc, s12, v2
	v_cndmask_b32_e32 v4, v3, v4, vcc
; %bb.93:
	s_or_b64 exec, exec, s[6:7]
	s_or_b64 s[10:11], s[10:11], exec
.LBB283_94:
	s_or_b64 exec, exec, s[8:9]
	s_and_b64 s[6:7], s[10:11], exec
                                        ; implicit-def: $vgpr5
                                        ; implicit-def: $vgpr2_vgpr3
	s_andn2_saveexec_b64 s[4:5], s[4:5]
	s_cbranch_execnz .LBB283_98
.LBB283_95:
	s_or_b64 exec, exec, s[4:5]
                                        ; implicit-def: $sgpr8_sgpr9
	s_and_saveexec_b64 s[4:5], s[6:7]
	s_cbranch_execz .LBB283_227
.LBB283_96:
	v_lshlrev_b32_e32 v1, 24, v1
	v_and_b32_e32 v2, 0x7f000000, v1
	v_ffbh_u32_e32 v3, v2
	v_min_u32_e32 v3, 32, v3
	v_sub_u32_e64 v3, v3, 4 clamp
	v_lshlrev_b32_e32 v6, v3, v2
	v_lshrrev_b32_e32 v6, 4, v6
	v_lshlrev_b32_e32 v3, 23, v3
	v_add_u32_e32 v5, 0x1000000, v2
	v_sub_u32_e32 v3, v6, v3
	v_ashrrev_i32_e32 v5, 8, v5
	v_add_u32_e32 v3, 0x3c000000, v3
	s_mov_b32 s6, 0x7f800000
	v_and_or_b32 v3, v5, s6, v3
	v_cmp_ne_u32_e32 vcc, 0, v2
	v_cndmask_b32_e32 v2, 0, v3, vcc
	s_brev_b32 s7, 1
	v_and_or_b32 v1, v1, s7, v2
	s_waitcnt vmcnt(0) lgkmcnt(0)
	v_lshlrev_b32_e32 v2, 24, v4
	v_and_b32_e32 v3, 0x7f000000, v2
	v_ffbh_u32_e32 v4, v3
	v_min_u32_e32 v4, 32, v4
	v_sub_u32_e64 v4, v4, 4 clamp
	v_lshlrev_b32_e32 v6, v4, v3
	v_lshrrev_b32_e32 v6, 4, v6
	v_lshlrev_b32_e32 v4, 23, v4
	v_add_u32_e32 v5, 0x1000000, v3
	v_sub_u32_e32 v4, v6, v4
	v_ashrrev_i32_e32 v5, 8, v5
	v_add_u32_e32 v4, 0x3c000000, v4
	v_and_or_b32 v4, v5, s6, v4
	v_cmp_ne_u32_e32 vcc, 0, v3
	v_cndmask_b32_e32 v3, 0, v4, vcc
	v_and_or_b32 v2, v2, s7, v3
	v_cmp_eq_f32_e32 vcc, v1, v2
	v_cndmask_b32_e64 v3, 0, 1, vcc
	v_cmp_neq_f32_e32 vcc, v1, v2
	v_cndmask_b32_e64 v1, 0, 1, vcc
	v_cmp_eq_u32_e32 vcc, 0, v0
	v_cndmask_b32_e32 v0, v1, v3, vcc
	v_and_b32_e32 v0, 1, v0
	v_cmp_eq_u32_e64 s[8:9], 1, v0
	s_or_b64 exec, exec, s[4:5]
	v_cndmask_b32_e64 v0, 0, 1, s[8:9]
	s_setpc_b64 s[30:31]
.LBB283_97:
	s_andn2_saveexec_b64 s[4:5], s[4:5]
	s_cbranch_execz .LBB283_95
.LBB283_98:
	s_waitcnt vmcnt(0) lgkmcnt(0)
	v_mov_b32_e32 v4, 4
	v_cmp_gt_i16_sdwa s[8:9], v5, v4 src0_sel:BYTE_0 src1_sel:DWORD
                                        ; implicit-def: $vgpr4
	s_and_saveexec_b64 s[10:11], s[8:9]
	s_xor_b64 s[8:9], exec, s[10:11]
	s_cbranch_execz .LBB283_168
; %bb.99:
	v_mov_b32_e32 v4, 7
	v_cmp_gt_i16_sdwa s[10:11], v5, v4 src0_sel:BYTE_0 src1_sel:DWORD
                                        ; implicit-def: $vgpr4
	s_and_saveexec_b64 s[12:13], s[10:11]
	s_xor_b64 s[10:11], exec, s[12:13]
	s_cbranch_execz .LBB283_133
; %bb.100:
	;; [unrolled: 7-line block ×4, first 2 shown]
	flat_load_dwordx2 v[2:3], v[2:3]
	s_mov_b32 s16, 0x43f00000
	s_waitcnt vmcnt(0) lgkmcnt(0)
	v_cvt_f32_f64_e32 v2, v[2:3]
                                        ; implicit-def: $vgpr3
	v_and_b32_e32 v4, 0x7fffffff, v2
	v_cmp_gt_u32_e32 vcc, s16, v4
	s_and_saveexec_b64 s[16:17], vcc
	s_xor_b64 s[16:17], exec, s[16:17]
	s_cbranch_execz .LBB283_108
; %bb.103:
	s_mov_b32 s18, 0x3c7fffff
	v_cmp_lt_u32_e32 vcc, s18, v4
                                        ; implicit-def: $vgpr3
	s_and_saveexec_b64 s[18:19], vcc
	s_xor_b64 s[18:19], exec, s[18:19]
; %bb.104:
	v_bfe_u32 v3, v2, 20, 1
	s_mov_b32 s20, 0x407ffff
	v_add3_u32 v3, v2, v3, s20
	v_lshrrev_b32_e32 v4, 20, v3
	v_and_b32_e32 v3, 0xff00000, v3
	s_mov_b32 s20, 0x7f00000
	v_mov_b32_e32 v5, 0x7e
	v_cmp_ne_u32_e32 vcc, s20, v3
	v_cndmask_b32_e32 v3, v5, v4, vcc
; %bb.105:
	s_andn2_saveexec_b64 s[18:19], s[18:19]
; %bb.106:
	s_mov_b32 s20, 0x46800000
	v_add_f32_e64 v3, |v2|, s20
; %bb.107:
	s_or_b64 exec, exec, s[18:19]
                                        ; implicit-def: $vgpr4
.LBB283_108:
	s_andn2_saveexec_b64 s[16:17], s[16:17]
; %bb.109:
	s_mov_b32 s18, 0x7f800000
	v_mov_b32_e32 v3, 0x7e
	v_mov_b32_e32 v5, 0x7f
	v_cmp_lt_u32_e32 vcc, s18, v4
	v_cndmask_b32_e32 v3, v3, v5, vcc
; %bb.110:
	s_or_b64 exec, exec, s[16:17]
	v_lshrrev_b32_e32 v2, 24, v2
	s_movk_i32 s16, 0x80
	v_and_or_b32 v4, v2, s16, v3
                                        ; implicit-def: $vgpr2_vgpr3
.LBB283_111:
	s_andn2_saveexec_b64 s[14:15], s[14:15]
	s_cbranch_execz .LBB283_121
; %bb.112:
	flat_load_dword v2, v[2:3]
	s_mov_b32 s16, 0x43f00000
                                        ; implicit-def: $vgpr3
	s_waitcnt vmcnt(0) lgkmcnt(0)
	v_and_b32_e32 v4, 0x7fffffff, v2
	v_cmp_gt_u32_e32 vcc, s16, v4
	s_and_saveexec_b64 s[16:17], vcc
	s_xor_b64 s[16:17], exec, s[16:17]
	s_cbranch_execz .LBB283_118
; %bb.113:
	s_mov_b32 s18, 0x3c7fffff
	v_cmp_lt_u32_e32 vcc, s18, v4
                                        ; implicit-def: $vgpr3
	s_and_saveexec_b64 s[18:19], vcc
	s_xor_b64 s[18:19], exec, s[18:19]
; %bb.114:
	v_bfe_u32 v3, v2, 20, 1
	s_mov_b32 s20, 0x407ffff
	v_add3_u32 v3, v2, v3, s20
	v_lshrrev_b32_e32 v4, 20, v3
	v_and_b32_e32 v3, 0xff00000, v3
	s_mov_b32 s20, 0x7f00000
	v_mov_b32_e32 v5, 0x7e
	v_cmp_ne_u32_e32 vcc, s20, v3
	v_cndmask_b32_e32 v3, v5, v4, vcc
; %bb.115:
	s_andn2_saveexec_b64 s[18:19], s[18:19]
; %bb.116:
	s_mov_b32 s20, 0x46800000
	v_add_f32_e64 v3, |v2|, s20
; %bb.117:
	s_or_b64 exec, exec, s[18:19]
                                        ; implicit-def: $vgpr4
.LBB283_118:
	s_andn2_saveexec_b64 s[16:17], s[16:17]
; %bb.119:
	s_mov_b32 s18, 0x7f800000
	v_mov_b32_e32 v3, 0x7e
	v_mov_b32_e32 v5, 0x7f
	v_cmp_lt_u32_e32 vcc, s18, v4
	v_cndmask_b32_e32 v3, v3, v5, vcc
; %bb.120:
	s_or_b64 exec, exec, s[16:17]
	v_lshrrev_b32_e32 v2, 24, v2
	s_movk_i32 s16, 0x80
	v_and_or_b32 v4, v2, s16, v3
.LBB283_121:
	s_or_b64 exec, exec, s[14:15]
                                        ; implicit-def: $vgpr2_vgpr3
.LBB283_122:
	s_andn2_saveexec_b64 s[12:13], s[12:13]
	s_cbranch_execz .LBB283_132
; %bb.123:
	flat_load_dword v2, v[2:3]
	s_mov_b32 s14, 0x43f00000
                                        ; implicit-def: $vgpr3
	s_waitcnt vmcnt(0) lgkmcnt(0)
	v_cvt_f32_f16_e32 v2, v2
	v_and_b32_e32 v4, 0x7fffffff, v2
	v_cmp_gt_u32_e32 vcc, s14, v4
	s_and_saveexec_b64 s[14:15], vcc
	s_xor_b64 s[14:15], exec, s[14:15]
	s_cbranch_execz .LBB283_129
; %bb.124:
	s_mov_b32 s16, 0x3c7fffff
	v_cmp_lt_u32_e32 vcc, s16, v4
                                        ; implicit-def: $vgpr3
	s_and_saveexec_b64 s[16:17], vcc
	s_xor_b64 s[16:17], exec, s[16:17]
; %bb.125:
	v_bfe_u32 v3, v2, 20, 1
	s_mov_b32 s18, 0x407ffff
	v_add3_u32 v3, v2, v3, s18
	v_lshrrev_b32_e32 v4, 20, v3
	v_and_b32_e32 v3, 0xff00000, v3
	s_mov_b32 s18, 0x7f00000
	v_mov_b32_e32 v5, 0x7e
	v_cmp_ne_u32_e32 vcc, s18, v3
	v_cndmask_b32_e32 v3, v5, v4, vcc
; %bb.126:
	s_andn2_saveexec_b64 s[16:17], s[16:17]
; %bb.127:
	s_mov_b32 s18, 0x46800000
	v_add_f32_e64 v3, |v2|, s18
; %bb.128:
	s_or_b64 exec, exec, s[16:17]
                                        ; implicit-def: $vgpr4
.LBB283_129:
	s_andn2_saveexec_b64 s[14:15], s[14:15]
; %bb.130:
	s_mov_b32 s16, 0x7f800000
	v_mov_b32_e32 v3, 0x7e
	v_mov_b32_e32 v5, 0x7f
	v_cmp_lt_u32_e32 vcc, s16, v4
	v_cndmask_b32_e32 v3, v3, v5, vcc
; %bb.131:
	s_or_b64 exec, exec, s[14:15]
	v_lshrrev_b32_e32 v2, 24, v2
	s_movk_i32 s14, 0x80
	v_and_or_b32 v4, v2, s14, v3
.LBB283_132:
	s_or_b64 exec, exec, s[12:13]
                                        ; implicit-def: $vgpr5
                                        ; implicit-def: $vgpr2_vgpr3
.LBB283_133:
	s_andn2_saveexec_b64 s[10:11], s[10:11]
	s_cbranch_execz .LBB283_167
; %bb.134:
	v_mov_b32_e32 v4, 5
	v_cmp_gt_i16_sdwa s[12:13], v5, v4 src0_sel:BYTE_0 src1_sel:DWORD
                                        ; implicit-def: $vgpr4
	s_and_saveexec_b64 s[14:15], s[12:13]
	s_xor_b64 s[12:13], exec, s[14:15]
	s_cbranch_execz .LBB283_156
; %bb.135:
	v_mov_b32_e32 v4, 6
	v_cmp_gt_i16_sdwa s[14:15], v5, v4 src0_sel:BYTE_0 src1_sel:DWORD
                                        ; implicit-def: $vgpr4
	s_and_saveexec_b64 s[16:17], s[14:15]
	s_xor_b64 s[14:15], exec, s[16:17]
	s_cbranch_execz .LBB283_145
; %bb.136:
	flat_load_dwordx2 v[2:3], v[2:3]
	s_mov_b32 s16, 0x43f00000
	s_waitcnt vmcnt(0) lgkmcnt(0)
	v_cvt_f32_f64_e32 v2, v[2:3]
                                        ; implicit-def: $vgpr3
	v_and_b32_e32 v4, 0x7fffffff, v2
	v_cmp_gt_u32_e32 vcc, s16, v4
	s_and_saveexec_b64 s[16:17], vcc
	s_xor_b64 s[16:17], exec, s[16:17]
	s_cbranch_execz .LBB283_142
; %bb.137:
	s_mov_b32 s18, 0x3c7fffff
	v_cmp_lt_u32_e32 vcc, s18, v4
                                        ; implicit-def: $vgpr3
	s_and_saveexec_b64 s[18:19], vcc
	s_xor_b64 s[18:19], exec, s[18:19]
; %bb.138:
	v_bfe_u32 v3, v2, 20, 1
	s_mov_b32 s20, 0x407ffff
	v_add3_u32 v3, v2, v3, s20
	v_lshrrev_b32_e32 v4, 20, v3
	v_and_b32_e32 v3, 0xff00000, v3
	s_mov_b32 s20, 0x7f00000
	v_mov_b32_e32 v5, 0x7e
	v_cmp_ne_u32_e32 vcc, s20, v3
	v_cndmask_b32_e32 v3, v5, v4, vcc
; %bb.139:
	s_andn2_saveexec_b64 s[18:19], s[18:19]
; %bb.140:
	s_mov_b32 s20, 0x46800000
	v_add_f32_e64 v3, |v2|, s20
; %bb.141:
	s_or_b64 exec, exec, s[18:19]
                                        ; implicit-def: $vgpr4
.LBB283_142:
	s_andn2_saveexec_b64 s[16:17], s[16:17]
; %bb.143:
	s_mov_b32 s18, 0x7f800000
	v_mov_b32_e32 v3, 0x7e
	v_mov_b32_e32 v5, 0x7f
	v_cmp_lt_u32_e32 vcc, s18, v4
	v_cndmask_b32_e32 v3, v3, v5, vcc
; %bb.144:
	s_or_b64 exec, exec, s[16:17]
	v_lshrrev_b32_e32 v2, 24, v2
	s_movk_i32 s16, 0x80
	v_and_or_b32 v4, v2, s16, v3
                                        ; implicit-def: $vgpr2_vgpr3
.LBB283_145:
	s_andn2_saveexec_b64 s[14:15], s[14:15]
	s_cbranch_execz .LBB283_155
; %bb.146:
	flat_load_dword v2, v[2:3]
	s_mov_b32 s16, 0x43f00000
                                        ; implicit-def: $vgpr3
	s_waitcnt vmcnt(0) lgkmcnt(0)
	v_and_b32_e32 v4, 0x7fffffff, v2
	v_cmp_gt_u32_e32 vcc, s16, v4
	s_and_saveexec_b64 s[16:17], vcc
	s_xor_b64 s[16:17], exec, s[16:17]
	s_cbranch_execz .LBB283_152
; %bb.147:
	s_mov_b32 s18, 0x3c7fffff
	v_cmp_lt_u32_e32 vcc, s18, v4
                                        ; implicit-def: $vgpr3
	s_and_saveexec_b64 s[18:19], vcc
	s_xor_b64 s[18:19], exec, s[18:19]
; %bb.148:
	v_bfe_u32 v3, v2, 20, 1
	s_mov_b32 s20, 0x407ffff
	v_add3_u32 v3, v2, v3, s20
	v_lshrrev_b32_e32 v4, 20, v3
	v_and_b32_e32 v3, 0xff00000, v3
	s_mov_b32 s20, 0x7f00000
	v_mov_b32_e32 v5, 0x7e
	v_cmp_ne_u32_e32 vcc, s20, v3
	v_cndmask_b32_e32 v3, v5, v4, vcc
; %bb.149:
	s_andn2_saveexec_b64 s[18:19], s[18:19]
; %bb.150:
	s_mov_b32 s20, 0x46800000
	v_add_f32_e64 v3, |v2|, s20
; %bb.151:
	s_or_b64 exec, exec, s[18:19]
                                        ; implicit-def: $vgpr4
.LBB283_152:
	s_andn2_saveexec_b64 s[16:17], s[16:17]
; %bb.153:
	s_mov_b32 s18, 0x7f800000
	v_mov_b32_e32 v3, 0x7e
	v_mov_b32_e32 v5, 0x7f
	v_cmp_lt_u32_e32 vcc, s18, v4
	v_cndmask_b32_e32 v3, v3, v5, vcc
; %bb.154:
	s_or_b64 exec, exec, s[16:17]
	v_lshrrev_b32_e32 v2, 24, v2
	s_movk_i32 s16, 0x80
	v_and_or_b32 v4, v2, s16, v3
.LBB283_155:
	s_or_b64 exec, exec, s[14:15]
                                        ; implicit-def: $vgpr2_vgpr3
.LBB283_156:
	s_andn2_saveexec_b64 s[12:13], s[12:13]
	s_cbranch_execz .LBB283_166
; %bb.157:
	flat_load_ushort v2, v[2:3]
	s_mov_b32 s14, 0x43f00000
                                        ; implicit-def: $vgpr3
	s_waitcnt vmcnt(0) lgkmcnt(0)
	v_cvt_f32_f16_e32 v2, v2
	v_and_b32_e32 v4, 0x7fffffff, v2
	v_cmp_gt_u32_e32 vcc, s14, v4
	s_and_saveexec_b64 s[14:15], vcc
	s_xor_b64 s[14:15], exec, s[14:15]
	s_cbranch_execz .LBB283_163
; %bb.158:
	s_mov_b32 s16, 0x3c7fffff
	v_cmp_lt_u32_e32 vcc, s16, v4
                                        ; implicit-def: $vgpr3
	s_and_saveexec_b64 s[16:17], vcc
	s_xor_b64 s[16:17], exec, s[16:17]
; %bb.159:
	v_bfe_u32 v3, v2, 20, 1
	s_mov_b32 s18, 0x407ffff
	v_add3_u32 v3, v2, v3, s18
	v_lshrrev_b32_e32 v4, 20, v3
	v_and_b32_e32 v3, 0xff00000, v3
	s_mov_b32 s18, 0x7f00000
	v_mov_b32_e32 v5, 0x7e
	v_cmp_ne_u32_e32 vcc, s18, v3
	v_cndmask_b32_e32 v3, v5, v4, vcc
; %bb.160:
	s_andn2_saveexec_b64 s[16:17], s[16:17]
; %bb.161:
	s_mov_b32 s18, 0x46800000
	v_add_f32_e64 v3, |v2|, s18
; %bb.162:
	s_or_b64 exec, exec, s[16:17]
                                        ; implicit-def: $vgpr4
.LBB283_163:
	s_andn2_saveexec_b64 s[14:15], s[14:15]
; %bb.164:
	s_mov_b32 s16, 0x7f800000
	v_mov_b32_e32 v3, 0x7e
	v_mov_b32_e32 v5, 0x7f
	v_cmp_lt_u32_e32 vcc, s16, v4
	v_cndmask_b32_e32 v3, v3, v5, vcc
; %bb.165:
	s_or_b64 exec, exec, s[14:15]
	v_lshrrev_b32_e32 v2, 24, v2
	s_movk_i32 s14, 0x80
	v_and_or_b32 v4, v2, s14, v3
.LBB283_166:
	s_or_b64 exec, exec, s[12:13]
.LBB283_167:
	s_or_b64 exec, exec, s[10:11]
                                        ; implicit-def: $vgpr5
                                        ; implicit-def: $vgpr2_vgpr3
.LBB283_168:
	s_andn2_saveexec_b64 s[8:9], s[8:9]
	s_cbranch_execz .LBB283_226
; %bb.169:
	v_mov_b32_e32 v4, 1
	v_cmp_gt_i16_sdwa s[10:11], v5, v4 src0_sel:BYTE_0 src1_sel:DWORD
                                        ; implicit-def: $vgpr4
	s_and_saveexec_b64 s[12:13], s[10:11]
	s_xor_b64 s[10:11], exec, s[12:13]
	s_cbranch_execz .LBB283_203
; %bb.170:
	v_mov_b32_e32 v4, 2
	v_cmp_gt_i16_sdwa s[12:13], v5, v4 src0_sel:BYTE_0 src1_sel:DWORD
                                        ; implicit-def: $vgpr4
	s_and_saveexec_b64 s[14:15], s[12:13]
	s_xor_b64 s[12:13], exec, s[14:15]
	;; [unrolled: 7-line block ×3, first 2 shown]
	s_cbranch_execz .LBB283_181
; %bb.172:
	flat_load_dwordx2 v[2:3], v[2:3]
	s_mov_b32 s16, 0x43f00000
	s_waitcnt vmcnt(0) lgkmcnt(0)
	v_xor_b32_e32 v5, v2, v3
	v_ffbh_i32_e32 v4, v3
	v_ashrrev_i32_e32 v5, 31, v5
	v_add_u32_e32 v4, -1, v4
	v_add_u32_e32 v5, 32, v5
	v_min_u32_e32 v4, v4, v5
	v_lshlrev_b64 v[2:3], v4, v[2:3]
	v_min_u32_e32 v2, 1, v2
	v_or_b32_e32 v2, v3, v2
	v_cvt_f32_i32_e32 v2, v2
	v_sub_u32_e32 v3, 32, v4
	v_ldexp_f32 v2, v2, v3
	v_and_b32_e32 v4, 0x7fffffff, v2
	v_cmp_gt_u32_e32 vcc, s16, v4
                                        ; implicit-def: $vgpr3
	s_and_saveexec_b64 s[16:17], vcc
	s_xor_b64 s[16:17], exec, s[16:17]
	s_cbranch_execz .LBB283_178
; %bb.173:
	s_mov_b32 s18, 0x3c7fffff
	v_cmp_lt_u32_e32 vcc, s18, v4
                                        ; implicit-def: $vgpr3
	s_and_saveexec_b64 s[18:19], vcc
	s_xor_b64 s[18:19], exec, s[18:19]
; %bb.174:
	v_bfe_u32 v3, v2, 20, 1
	s_mov_b32 s20, 0x407ffff
	v_add3_u32 v3, v2, v3, s20
	v_lshrrev_b32_e32 v4, 20, v3
	v_and_b32_e32 v3, 0xff00000, v3
	s_mov_b32 s20, 0x7f00000
	v_mov_b32_e32 v5, 0x7e
	v_cmp_ne_u32_e32 vcc, s20, v3
	v_cndmask_b32_e32 v3, v5, v4, vcc
; %bb.175:
	s_andn2_saveexec_b64 s[18:19], s[18:19]
; %bb.176:
	s_mov_b32 s20, 0x46800000
	v_add_f32_e64 v3, |v2|, s20
; %bb.177:
	s_or_b64 exec, exec, s[18:19]
                                        ; implicit-def: $vgpr4
.LBB283_178:
	s_andn2_saveexec_b64 s[16:17], s[16:17]
; %bb.179:
	s_mov_b32 s18, 0x7f800000
	v_mov_b32_e32 v3, 0x7e
	v_mov_b32_e32 v5, 0x7f
	v_cmp_lt_u32_e32 vcc, s18, v4
	v_cndmask_b32_e32 v3, v3, v5, vcc
; %bb.180:
	s_or_b64 exec, exec, s[16:17]
	v_lshrrev_b32_e32 v2, 24, v2
	s_movk_i32 s16, 0x80
	v_and_or_b32 v4, v2, s16, v3
                                        ; implicit-def: $vgpr2_vgpr3
.LBB283_181:
	s_andn2_saveexec_b64 s[14:15], s[14:15]
	s_cbranch_execz .LBB283_191
; %bb.182:
	flat_load_dword v2, v[2:3]
	s_mov_b32 s16, 0x43f00000
                                        ; implicit-def: $vgpr3
	s_waitcnt vmcnt(0) lgkmcnt(0)
	v_cvt_f32_i32_e32 v2, v2
	v_and_b32_e32 v4, 0x7fffffff, v2
	v_cmp_gt_u32_e32 vcc, s16, v4
	s_and_saveexec_b64 s[16:17], vcc
	s_xor_b64 s[16:17], exec, s[16:17]
	s_cbranch_execz .LBB283_188
; %bb.183:
	s_mov_b32 s18, 0x3c7fffff
	v_cmp_lt_u32_e32 vcc, s18, v4
                                        ; implicit-def: $vgpr3
	s_and_saveexec_b64 s[18:19], vcc
	s_xor_b64 s[18:19], exec, s[18:19]
; %bb.184:
	v_bfe_u32 v3, v2, 20, 1
	s_mov_b32 s20, 0x407ffff
	v_add3_u32 v3, v2, v3, s20
	v_lshrrev_b32_e32 v4, 20, v3
	v_and_b32_e32 v3, 0xff00000, v3
	s_mov_b32 s20, 0x7f00000
	v_mov_b32_e32 v5, 0x7e
	v_cmp_ne_u32_e32 vcc, s20, v3
	v_cndmask_b32_e32 v3, v5, v4, vcc
; %bb.185:
	s_andn2_saveexec_b64 s[18:19], s[18:19]
; %bb.186:
	s_mov_b32 s20, 0x46800000
	v_add_f32_e64 v3, |v2|, s20
; %bb.187:
	s_or_b64 exec, exec, s[18:19]
                                        ; implicit-def: $vgpr4
.LBB283_188:
	s_andn2_saveexec_b64 s[16:17], s[16:17]
; %bb.189:
	s_mov_b32 s18, 0x7f800000
	v_mov_b32_e32 v3, 0x7e
	v_mov_b32_e32 v5, 0x7f
	v_cmp_lt_u32_e32 vcc, s18, v4
	v_cndmask_b32_e32 v3, v3, v5, vcc
; %bb.190:
	s_or_b64 exec, exec, s[16:17]
	v_lshrrev_b32_e32 v2, 24, v2
	s_movk_i32 s16, 0x80
	v_and_or_b32 v4, v2, s16, v3
.LBB283_191:
	s_or_b64 exec, exec, s[14:15]
                                        ; implicit-def: $vgpr2_vgpr3
.LBB283_192:
	s_andn2_saveexec_b64 s[12:13], s[12:13]
	s_cbranch_execz .LBB283_202
; %bb.193:
	flat_load_sshort v2, v[2:3]
	s_mov_b32 s14, 0x43f00000
                                        ; implicit-def: $vgpr3
	s_waitcnt vmcnt(0) lgkmcnt(0)
	v_cvt_f32_i32_e32 v2, v2
	v_and_b32_e32 v4, 0x7fffffff, v2
	v_cmp_gt_u32_e32 vcc, s14, v4
	s_and_saveexec_b64 s[14:15], vcc
	s_xor_b64 s[14:15], exec, s[14:15]
	s_cbranch_execz .LBB283_199
; %bb.194:
	s_mov_b32 s16, 0x3c7fffff
	v_cmp_lt_u32_e32 vcc, s16, v4
                                        ; implicit-def: $vgpr3
	s_and_saveexec_b64 s[16:17], vcc
	s_xor_b64 s[16:17], exec, s[16:17]
; %bb.195:
	v_bfe_u32 v3, v2, 20, 1
	s_mov_b32 s18, 0x407ffff
	v_add3_u32 v3, v2, v3, s18
	v_lshrrev_b32_e32 v4, 20, v3
	v_and_b32_e32 v3, 0xff00000, v3
	s_mov_b32 s18, 0x7f00000
	v_mov_b32_e32 v5, 0x7e
	v_cmp_ne_u32_e32 vcc, s18, v3
	v_cndmask_b32_e32 v3, v5, v4, vcc
; %bb.196:
	s_andn2_saveexec_b64 s[16:17], s[16:17]
; %bb.197:
	s_mov_b32 s18, 0x46800000
	v_add_f32_e64 v3, |v2|, s18
; %bb.198:
	s_or_b64 exec, exec, s[16:17]
                                        ; implicit-def: $vgpr4
.LBB283_199:
	s_andn2_saveexec_b64 s[14:15], s[14:15]
; %bb.200:
	s_mov_b32 s16, 0x7f800000
	v_mov_b32_e32 v3, 0x7e
	v_mov_b32_e32 v5, 0x7f
	v_cmp_lt_u32_e32 vcc, s16, v4
	v_cndmask_b32_e32 v3, v3, v5, vcc
; %bb.201:
	s_or_b64 exec, exec, s[14:15]
	v_lshrrev_b32_e32 v2, 24, v2
	s_movk_i32 s14, 0x80
	v_and_or_b32 v4, v2, s14, v3
.LBB283_202:
	s_or_b64 exec, exec, s[12:13]
                                        ; implicit-def: $vgpr5
                                        ; implicit-def: $vgpr2_vgpr3
.LBB283_203:
	s_andn2_saveexec_b64 s[10:11], s[10:11]
	s_cbranch_execz .LBB283_225
; %bb.204:
	v_mov_b32_e32 v4, 0
	v_cmp_gt_i16_sdwa s[12:13], v5, v4 src0_sel:BYTE_0 src1_sel:DWORD
                                        ; implicit-def: $vgpr4
	s_and_saveexec_b64 s[14:15], s[12:13]
	s_xor_b64 s[12:13], exec, s[14:15]
	s_cbranch_execz .LBB283_214
; %bb.205:
	flat_load_sbyte v2, v[2:3]
	s_mov_b32 s14, 0x43f00000
                                        ; implicit-def: $vgpr3
	s_waitcnt vmcnt(0) lgkmcnt(0)
	v_cvt_f32_i32_e32 v2, v2
	v_and_b32_e32 v4, 0x7fffffff, v2
	v_cmp_gt_u32_e32 vcc, s14, v4
	s_and_saveexec_b64 s[14:15], vcc
	s_xor_b64 s[14:15], exec, s[14:15]
	s_cbranch_execz .LBB283_211
; %bb.206:
	s_mov_b32 s16, 0x3c7fffff
	v_cmp_lt_u32_e32 vcc, s16, v4
                                        ; implicit-def: $vgpr3
	s_and_saveexec_b64 s[16:17], vcc
	s_xor_b64 s[16:17], exec, s[16:17]
; %bb.207:
	v_bfe_u32 v3, v2, 20, 1
	s_mov_b32 s18, 0x407ffff
	v_add3_u32 v3, v2, v3, s18
	v_lshrrev_b32_e32 v4, 20, v3
	v_and_b32_e32 v3, 0xff00000, v3
	s_mov_b32 s18, 0x7f00000
	v_mov_b32_e32 v5, 0x7e
	v_cmp_ne_u32_e32 vcc, s18, v3
	v_cndmask_b32_e32 v3, v5, v4, vcc
; %bb.208:
	s_andn2_saveexec_b64 s[16:17], s[16:17]
; %bb.209:
	s_mov_b32 s18, 0x46800000
	v_add_f32_e64 v3, |v2|, s18
; %bb.210:
	s_or_b64 exec, exec, s[16:17]
                                        ; implicit-def: $vgpr4
.LBB283_211:
	s_andn2_saveexec_b64 s[14:15], s[14:15]
; %bb.212:
	s_mov_b32 s16, 0x7f800000
	v_mov_b32_e32 v3, 0x7e
	v_mov_b32_e32 v5, 0x7f
	v_cmp_lt_u32_e32 vcc, s16, v4
	v_cndmask_b32_e32 v3, v3, v5, vcc
; %bb.213:
	s_or_b64 exec, exec, s[14:15]
	v_lshrrev_b32_e32 v2, 24, v2
	s_movk_i32 s14, 0x80
	v_and_or_b32 v4, v2, s14, v3
                                        ; implicit-def: $vgpr2_vgpr3
.LBB283_214:
	s_andn2_saveexec_b64 s[12:13], s[12:13]
	s_cbranch_execz .LBB283_224
; %bb.215:
	flat_load_ubyte v2, v[2:3]
	s_mov_b32 s14, 0x43f00000
                                        ; implicit-def: $vgpr4
	s_waitcnt vmcnt(0) lgkmcnt(0)
	v_cvt_f32_ubyte0_e32 v2, v2
	v_cmp_gt_u32_e32 vcc, s14, v2
	s_and_saveexec_b64 s[14:15], vcc
	s_xor_b64 s[14:15], exec, s[14:15]
	s_cbranch_execz .LBB283_221
; %bb.216:
	s_mov_b32 s16, 0x3c7fffff
	v_cmp_lt_u32_e32 vcc, s16, v2
                                        ; implicit-def: $vgpr4
	s_and_saveexec_b64 s[16:17], vcc
	s_xor_b64 s[16:17], exec, s[16:17]
; %bb.217:
	v_bfe_u32 v3, v2, 20, 1
	s_mov_b32 s18, 0x407ffff
	v_add3_u32 v2, v2, v3, s18
	v_lshrrev_b32_e32 v3, 20, v2
	v_and_b32_e32 v2, 0xff00000, v2
	s_mov_b32 s18, 0x7f00000
	v_mov_b32_e32 v4, 0x7e
	v_cmp_ne_u32_e32 vcc, s18, v2
	v_cndmask_b32_e32 v4, v4, v3, vcc
                                        ; implicit-def: $vgpr2
; %bb.218:
	s_andn2_saveexec_b64 s[16:17], s[16:17]
; %bb.219:
	v_add_f32_e32 v4, 0x46800000, v2
; %bb.220:
	s_or_b64 exec, exec, s[16:17]
                                        ; implicit-def: $vgpr2
.LBB283_221:
	s_andn2_saveexec_b64 s[14:15], s[14:15]
; %bb.222:
	s_mov_b32 s16, 0x7f800000
	v_mov_b32_e32 v3, 0x7e
	v_mov_b32_e32 v4, 0x7f
	v_cmp_lt_u32_e32 vcc, s16, v2
	v_cndmask_b32_e32 v4, v3, v4, vcc
; %bb.223:
	s_or_b64 exec, exec, s[14:15]
.LBB283_224:
	s_or_b64 exec, exec, s[12:13]
.LBB283_225:
	s_or_b64 exec, exec, s[10:11]
.LBB283_226:
	s_or_b64 exec, exec, s[8:9]
	s_or_b64 s[6:7], s[6:7], exec
	s_or_b64 exec, exec, s[4:5]
                                        ; implicit-def: $sgpr8_sgpr9
	s_and_saveexec_b64 s[4:5], s[6:7]
	s_cbranch_execnz .LBB283_96
.LBB283_227:
	s_or_b64 exec, exec, s[4:5]
	v_cndmask_b32_e64 v0, 0, 1, s[8:9]
	s_waitcnt vmcnt(0) lgkmcnt(0)
	s_setpc_b64 s[30:31]
.LBB283_228:
	s_andn2_saveexec_b64 s[8:9], s[8:9]
	s_cbranch_execz .LBB283_83
.LBB283_229:
	v_mov_b32_e32 v4, 22
	v_cmp_gt_i16_sdwa s[6:7], v5, v4 src0_sel:BYTE_0 src1_sel:DWORD
	s_mov_b64 s[14:15], s[10:11]
                                        ; implicit-def: $vgpr4
	s_and_saveexec_b64 s[16:17], s[6:7]
	s_xor_b64 s[6:7], exec, s[16:17]
	s_cbranch_execz .LBB283_261
; %bb.230:
	v_mov_b32_e32 v4, 23
	v_cmp_gt_i16_sdwa s[14:15], v5, v4 src0_sel:BYTE_0 src1_sel:DWORD
                                        ; implicit-def: $vgpr4
	s_and_saveexec_b64 s[16:17], s[14:15]
	s_xor_b64 s[14:15], exec, s[16:17]
	s_cbranch_execz .LBB283_250
; %bb.231:
	v_mov_b32_e32 v4, 24
	v_cmp_gt_i16_sdwa s[16:17], v5, v4 src0_sel:BYTE_0 src1_sel:DWORD
                                        ; implicit-def: $vgpr4
	s_and_saveexec_b64 s[18:19], s[16:17]
	s_xor_b64 s[16:17], exec, s[18:19]
	s_cbranch_execz .LBB283_247
; %bb.232:
	flat_load_ubyte v5, v[2:3]
	s_movk_i32 s18, 0x7f
	s_waitcnt vmcnt(0) lgkmcnt(0)
	v_cmp_lt_i16_e32 vcc, s18, v5
	s_mov_b64 s[18:19], 0
	s_and_saveexec_b64 s[20:21], vcc
	s_xor_b64 s[20:21], exec, s[20:21]
	s_cbranch_execz .LBB283_281
; %bb.233:
	s_movk_i32 s18, 0x80
	v_cmp_eq_u16_e32 vcc, s18, v5
	s_mov_b64 s[18:19], -1
	s_and_saveexec_b64 s[22:23], vcc
; %bb.234:
	s_xor_b64 s[18:19], exec, -1
; %bb.235:
	s_or_b64 exec, exec, s[22:23]
	s_and_b64 s[18:19], s[18:19], exec
	s_or_saveexec_b64 s[20:21], s[20:21]
	v_mov_b32_e32 v4, 0x7f800001
	s_xor_b64 exec, exec, s[20:21]
	s_cbranch_execnz .LBB283_282
.LBB283_236:
	s_or_b64 exec, exec, s[20:21]
	s_and_saveexec_b64 s[20:21], s[18:19]
	s_cbranch_execz .LBB283_238
.LBB283_237:
	v_lshlrev_b32_e32 v4, 24, v5
	v_and_b32_e32 v5, 0xffff, v5
	v_and_b32_e32 v6, 3, v5
	v_ffbh_u32_e32 v8, v6
	v_min_u32_e32 v8, 32, v8
	v_subrev_u32_e32 v9, 29, v8
	v_bfe_u32 v7, v5, 2, 5
	v_lshlrev_b32_e32 v5, v9, v5
	v_sub_u32_e32 v8, 30, v8
	v_and_b32_e32 v5, 3, v5
	v_cmp_eq_u32_e32 vcc, 0, v7
	v_cndmask_b32_e32 v7, v7, v8, vcc
	v_cndmask_b32_e32 v5, v6, v5, vcc
	v_mov_b32_e32 v6, 0x37800000
	v_lshlrev_b32_e32 v5, 21, v5
	v_and_b32_e32 v4, 0x80000000, v4
	v_lshl_add_u32 v6, v7, 23, v6
	v_or3_b32 v4, v4, v6, v5
.LBB283_238:
	s_or_b64 exec, exec, s[20:21]
	v_and_b32_e32 v6, 0x7fffffff, v4
	s_mov_b32 s18, 0x43f00000
	v_cmp_gt_u32_e32 vcc, s18, v6
                                        ; implicit-def: $vgpr5
	s_and_saveexec_b64 s[18:19], vcc
	s_xor_b64 s[18:19], exec, s[18:19]
	s_cbranch_execz .LBB283_244
; %bb.239:
	s_mov_b32 s20, 0x3c7fffff
	v_cmp_lt_u32_e32 vcc, s20, v6
                                        ; implicit-def: $vgpr5
	s_and_saveexec_b64 s[20:21], vcc
	s_xor_b64 s[20:21], exec, s[20:21]
; %bb.240:
	v_bfe_u32 v5, v4, 20, 1
	s_mov_b32 s22, 0x407ffff
	v_add3_u32 v5, v4, v5, s22
	v_lshrrev_b32_e32 v6, 20, v5
	v_and_b32_e32 v5, 0xff00000, v5
	s_mov_b32 s22, 0x7f00000
	v_mov_b32_e32 v7, 0x7e
	v_cmp_ne_u32_e32 vcc, s22, v5
	v_cndmask_b32_e32 v5, v7, v6, vcc
; %bb.241:
	s_andn2_saveexec_b64 s[20:21], s[20:21]
; %bb.242:
	s_mov_b32 s22, 0x46800000
	v_add_f32_e64 v5, |v4|, s22
; %bb.243:
	s_or_b64 exec, exec, s[20:21]
                                        ; implicit-def: $vgpr6
.LBB283_244:
	s_andn2_saveexec_b64 s[18:19], s[18:19]
; %bb.245:
	s_mov_b32 s20, 0x7f800000
	v_mov_b32_e32 v5, 0x7e
	v_mov_b32_e32 v7, 0x7f
	v_cmp_lt_u32_e32 vcc, s20, v6
	v_cndmask_b32_e32 v5, v5, v7, vcc
; %bb.246:
	s_or_b64 exec, exec, s[18:19]
	v_lshrrev_b32_e32 v4, 24, v4
	s_movk_i32 s18, 0x80
	v_and_or_b32 v4, v4, s18, v5
.LBB283_247:
	s_andn2_saveexec_b64 s[16:17], s[16:17]
	s_cbranch_execz .LBB283_249
; %bb.248:
	flat_load_ubyte v4, v[2:3]
.LBB283_249:
	s_or_b64 exec, exec, s[16:17]
.LBB283_250:
	s_andn2_saveexec_b64 s[14:15], s[14:15]
	s_cbranch_execz .LBB283_260
; %bb.251:
	s_waitcnt vmcnt(0) lgkmcnt(0)
	flat_load_ubyte v4, v[2:3]
	s_movk_i32 s16, 0x7f00
	s_brev_b32 s17, 16
	s_brev_b32 s18, 1
	s_waitcnt vmcnt(0) lgkmcnt(0)
	v_lshlrev_b16_e32 v5, 8, v4
	v_lshlrev_b32_e32 v4, 25, v4
	v_lshrrev_b32_e32 v6, 4, v4
	v_and_or_b32 v7, v5, s16, 0.5
	v_or_b32_e32 v6, 0x70000000, v6
	v_add_f32_e32 v7, -0.5, v7
	v_mul_f32_e32 v6, 0x7800000, v6
	v_cmp_gt_u32_e32 vcc, s17, v4
	v_bfe_i32 v5, v5, 0, 16
	v_cndmask_b32_e32 v7, v6, v7, vcc
	v_and_or_b32 v4, v5, s18, v7
	v_and_b32_e32 v6, 0x7fffffff, v4
	s_mov_b32 s16, 0x43f00000
	v_cmp_gt_u32_e32 vcc, s16, v6
                                        ; implicit-def: $vgpr5
	s_and_saveexec_b64 s[16:17], vcc
	s_xor_b64 s[16:17], exec, s[16:17]
	s_cbranch_execz .LBB283_257
; %bb.252:
	s_mov_b32 s18, 0x3c7fffff
	v_cmp_lt_u32_e32 vcc, s18, v6
                                        ; implicit-def: $vgpr5
	s_and_saveexec_b64 s[18:19], vcc
	s_xor_b64 s[18:19], exec, s[18:19]
; %bb.253:
	v_bfe_u32 v5, v7, 20, 1
	s_mov_b32 s20, 0x407ffff
	v_add3_u32 v5, v4, v5, s20
	v_lshrrev_b32_e32 v6, 20, v5
	v_and_b32_e32 v5, 0xff00000, v5
	s_mov_b32 s20, 0x7f00000
	v_mov_b32_e32 v7, 0x7e
	v_cmp_ne_u32_e32 vcc, s20, v5
	v_cndmask_b32_e32 v5, v7, v6, vcc
; %bb.254:
	s_andn2_saveexec_b64 s[18:19], s[18:19]
; %bb.255:
	s_mov_b32 s20, 0x46800000
	v_add_f32_e64 v5, |v4|, s20
; %bb.256:
	s_or_b64 exec, exec, s[18:19]
                                        ; implicit-def: $vgpr6
.LBB283_257:
	s_andn2_saveexec_b64 s[16:17], s[16:17]
; %bb.258:
	s_mov_b32 s18, 0x7f800000
	v_mov_b32_e32 v5, 0x7e
	v_mov_b32_e32 v7, 0x7f
	v_cmp_lt_u32_e32 vcc, s18, v6
	v_cndmask_b32_e32 v5, v5, v7, vcc
; %bb.259:
	s_or_b64 exec, exec, s[16:17]
	v_lshrrev_b32_e32 v4, 24, v4
	s_movk_i32 s16, 0x80
	v_and_or_b32 v4, v4, s16, v5
.LBB283_260:
	s_or_b64 exec, exec, s[14:15]
	s_or_b64 s[14:15], s[10:11], exec
                                        ; implicit-def: $vgpr5
.LBB283_261:
	s_or_saveexec_b64 s[6:7], s[6:7]
	s_mov_b64 s[16:17], 0
	s_mov_b64 s[18:19], s[12:13]
	s_xor_b64 exec, exec, s[6:7]
	s_cbranch_execz .LBB283_277
; %bb.262:
	s_waitcnt vmcnt(0) lgkmcnt(0)
	v_mov_b32_e32 v4, 14
	v_cmp_gt_i16_sdwa s[16:17], v5, v4 src0_sel:BYTE_0 src1_sel:DWORD
	s_mov_b64 s[18:19], s[12:13]
	s_mov_b64 s[20:21], s[14:15]
                                        ; implicit-def: $vgpr4
	s_and_saveexec_b64 s[22:23], s[16:17]
	s_xor_b64 s[16:17], exec, s[22:23]
	s_cbranch_execz .LBB283_274
; %bb.263:
	v_mov_b32_e32 v4, 15
	v_cmp_eq_u16_sdwa s[24:25], v5, v4 src0_sel:BYTE_0 src1_sel:DWORD
	s_mov_b64 s[22:23], -1
	s_mov_b64 s[20:21], s[14:15]
                                        ; implicit-def: $vgpr4
	s_and_saveexec_b64 s[18:19], s[24:25]
	s_cbranch_execz .LBB283_273
; %bb.264:
	flat_load_ushort v4, v[2:3]
	s_mov_b32 s20, 0x43f00000
                                        ; implicit-def: $vgpr5
	s_waitcnt vmcnt(0) lgkmcnt(0)
	v_lshlrev_b32_e32 v6, 16, v4
	v_and_b32_e32 v7, 0x7fffffff, v6
	v_cmp_gt_u32_e32 vcc, s20, v7
	s_and_saveexec_b64 s[20:21], vcc
	s_xor_b64 s[20:21], exec, s[20:21]
	s_cbranch_execz .LBB283_270
; %bb.265:
	s_mov_b32 s22, 0x3c7fffff
	v_cmp_lt_u32_e32 vcc, s22, v7
                                        ; implicit-def: $vgpr5
	s_and_saveexec_b64 s[22:23], vcc
	s_xor_b64 s[22:23], exec, s[22:23]
; %bb.266:
	v_bfe_u32 v5, v4, 4, 1
	s_mov_b32 s24, 0x407ffff
	v_add3_u32 v5, v6, v5, s24
	v_lshrrev_b32_e32 v6, 20, v5
	v_and_b32_e32 v5, 0xff00000, v5
	s_mov_b32 s24, 0x7f00000
	v_mov_b32_e32 v7, 0x7e
	v_cmp_ne_u32_e32 vcc, s24, v5
	v_cndmask_b32_e32 v5, v7, v6, vcc
                                        ; implicit-def: $vgpr6
; %bb.267:
	s_andn2_saveexec_b64 s[22:23], s[22:23]
; %bb.268:
	s_mov_b32 s24, 0x46800000
	v_add_f32_e64 v5, |v6|, s24
; %bb.269:
	s_or_b64 exec, exec, s[22:23]
                                        ; implicit-def: $vgpr7
.LBB283_270:
	s_andn2_saveexec_b64 s[20:21], s[20:21]
; %bb.271:
	s_mov_b32 s22, 0x7f800000
	v_mov_b32_e32 v5, 0x7e
	v_mov_b32_e32 v6, 0x7f
	v_cmp_lt_u32_e32 vcc, s22, v7
	v_cndmask_b32_e32 v5, v5, v6, vcc
; %bb.272:
	s_or_b64 exec, exec, s[20:21]
	v_lshrrev_b32_e32 v4, 8, v4
	s_movk_i32 s20, 0x80
	v_and_or_b32 v4, v4, s20, v5
	s_or_b64 s[20:21], s[14:15], exec
	s_xor_b64 s[22:23], exec, -1
.LBB283_273:
	s_or_b64 exec, exec, s[18:19]
	s_andn2_b64 s[18:19], s[14:15], exec
	s_and_b64 s[20:21], s[20:21], exec
	s_or_b64 s[20:21], s[18:19], s[20:21]
	s_andn2_b64 s[18:19], s[12:13], exec
	s_and_b64 s[22:23], s[22:23], exec
	s_or_b64 s[18:19], s[18:19], s[22:23]
                                        ; implicit-def: $vgpr5
.LBB283_274:
	s_or_saveexec_b64 s[16:17], s[16:17]
	s_mov_b64 s[22:23], 0
	s_xor_b64 exec, exec, s[16:17]
; %bb.275:
	v_mov_b32_e32 v6, 11
	v_cmp_ne_u16_sdwa s[24:25], v5, v6 src0_sel:BYTE_0 src1_sel:DWORD
	s_andn2_b64 s[18:19], s[18:19], exec
	s_and_b64 s[24:25], s[24:25], exec
	s_mov_b64 s[22:23], exec
	s_or_b64 s[18:19], s[18:19], s[24:25]
; %bb.276:
	s_or_b64 exec, exec, s[16:17]
	s_andn2_b64 s[14:15], s[14:15], exec
	s_and_b64 s[16:17], s[20:21], exec
	s_andn2_b64 s[20:21], s[12:13], exec
	s_and_b64 s[18:19], s[18:19], exec
	s_or_b64 s[14:15], s[14:15], s[16:17]
	s_and_b64 s[16:17], s[22:23], exec
	s_or_b64 s[18:19], s[20:21], s[18:19]
.LBB283_277:
	s_or_b64 exec, exec, s[6:7]
	s_andn2_b64 s[6:7], s[10:11], exec
	s_and_b64 s[10:11], s[14:15], exec
	s_andn2_b64 s[12:13], s[12:13], exec
	s_and_b64 s[14:15], s[18:19], exec
	s_or_b64 s[10:11], s[6:7], s[10:11]
	s_and_b64 s[6:7], s[16:17], exec
	s_or_b64 s[12:13], s[12:13], s[14:15]
	s_or_b64 exec, exec, s[8:9]
	s_and_saveexec_b64 s[8:9], s[12:13]
	s_cbranch_execz .LBB283_84
.LBB283_278:
	s_trap 2
	; divergent unreachable
	s_andn2_b64 s[6:7], s[6:7], exec
	s_or_b64 exec, exec, s[8:9]
	s_and_saveexec_b64 s[8:9], s[6:7]
	s_cbranch_execnz .LBB283_85
	s_branch .LBB283_94
.LBB283_279:
	s_or_saveexec_b64 s[20:21], s[20:21]
	v_mov_b32_e32 v4, 0x7f800001
	s_xor_b64 exec, exec, s[20:21]
	s_cbranch_execz .LBB283_70
.LBB283_280:
	v_cmp_ne_u16_e32 vcc, 0, v5
	s_andn2_b64 s[18:19], s[18:19], exec
	s_and_b64 s[22:23], vcc, exec
	v_mov_b32_e32 v4, 0
	s_or_b64 s[18:19], s[18:19], s[22:23]
	s_or_b64 exec, exec, s[20:21]
	s_and_saveexec_b64 s[20:21], s[18:19]
	s_cbranch_execnz .LBB283_71
	s_branch .LBB283_72
.LBB283_281:
	s_or_saveexec_b64 s[20:21], s[20:21]
	v_mov_b32_e32 v4, 0x7f800001
	s_xor_b64 exec, exec, s[20:21]
	s_cbranch_execz .LBB283_236
.LBB283_282:
	v_cmp_ne_u16_e32 vcc, 0, v5
	s_andn2_b64 s[18:19], s[18:19], exec
	s_and_b64 s[22:23], vcc, exec
	v_mov_b32_e32 v4, 0
	s_or_b64 s[18:19], s[18:19], s[22:23]
	s_or_b64 exec, exec, s[20:21]
	s_and_saveexec_b64 s[20:21], s[18:19]
	s_cbranch_execnz .LBB283_237
	s_branch .LBB283_238
.Lfunc_end283:
	.size	_ZN2at6native6invokeINS0_13AUnaryFunctorIN3c1013Float8_e4m3fnES4_bNS0_12_GLOBAL__N_116CompareEqFunctorIS4_EEEEi15function_traitsIS8_EEENT1_11result_typeERKT_PrKPcPKT0_PKNS3_10ScalarTypeEi, .Lfunc_end283-_ZN2at6native6invokeINS0_13AUnaryFunctorIN3c1013Float8_e4m3fnES4_bNS0_12_GLOBAL__N_116CompareEqFunctorIS4_EEEEi15function_traitsIS8_EEENT1_11result_typeERKT_PrKPcPKT0_PKNS3_10ScalarTypeEi
                                        ; -- End function
	.set .L_ZN2at6native6invokeINS0_13AUnaryFunctorIN3c1013Float8_e4m3fnES4_bNS0_12_GLOBAL__N_116CompareEqFunctorIS4_EEEEi15function_traitsIS8_EEENT1_11result_typeERKT_PrKPcPKT0_PKNS3_10ScalarTypeEi.num_vgpr, 10
	.set .L_ZN2at6native6invokeINS0_13AUnaryFunctorIN3c1013Float8_e4m3fnES4_bNS0_12_GLOBAL__N_116CompareEqFunctorIS4_EEEEi15function_traitsIS8_EEENT1_11result_typeERKT_PrKPcPKT0_PKNS3_10ScalarTypeEi.num_agpr, 0
	.set .L_ZN2at6native6invokeINS0_13AUnaryFunctorIN3c1013Float8_e4m3fnES4_bNS0_12_GLOBAL__N_116CompareEqFunctorIS4_EEEEi15function_traitsIS8_EEENT1_11result_typeERKT_PrKPcPKT0_PKNS3_10ScalarTypeEi.numbered_sgpr, 32
	.set .L_ZN2at6native6invokeINS0_13AUnaryFunctorIN3c1013Float8_e4m3fnES4_bNS0_12_GLOBAL__N_116CompareEqFunctorIS4_EEEEi15function_traitsIS8_EEENT1_11result_typeERKT_PrKPcPKT0_PKNS3_10ScalarTypeEi.num_named_barrier, 0
	.set .L_ZN2at6native6invokeINS0_13AUnaryFunctorIN3c1013Float8_e4m3fnES4_bNS0_12_GLOBAL__N_116CompareEqFunctorIS4_EEEEi15function_traitsIS8_EEENT1_11result_typeERKT_PrKPcPKT0_PKNS3_10ScalarTypeEi.private_seg_size, 0
	.set .L_ZN2at6native6invokeINS0_13AUnaryFunctorIN3c1013Float8_e4m3fnES4_bNS0_12_GLOBAL__N_116CompareEqFunctorIS4_EEEEi15function_traitsIS8_EEENT1_11result_typeERKT_PrKPcPKT0_PKNS3_10ScalarTypeEi.uses_vcc, 1
	.set .L_ZN2at6native6invokeINS0_13AUnaryFunctorIN3c1013Float8_e4m3fnES4_bNS0_12_GLOBAL__N_116CompareEqFunctorIS4_EEEEi15function_traitsIS8_EEENT1_11result_typeERKT_PrKPcPKT0_PKNS3_10ScalarTypeEi.uses_flat_scratch, 0
	.set .L_ZN2at6native6invokeINS0_13AUnaryFunctorIN3c1013Float8_e4m3fnES4_bNS0_12_GLOBAL__N_116CompareEqFunctorIS4_EEEEi15function_traitsIS8_EEENT1_11result_typeERKT_PrKPcPKT0_PKNS3_10ScalarTypeEi.has_dyn_sized_stack, 0
	.set .L_ZN2at6native6invokeINS0_13AUnaryFunctorIN3c1013Float8_e4m3fnES4_bNS0_12_GLOBAL__N_116CompareEqFunctorIS4_EEEEi15function_traitsIS8_EEENT1_11result_typeERKT_PrKPcPKT0_PKNS3_10ScalarTypeEi.has_recursion, 0
	.set .L_ZN2at6native6invokeINS0_13AUnaryFunctorIN3c1013Float8_e4m3fnES4_bNS0_12_GLOBAL__N_116CompareEqFunctorIS4_EEEEi15function_traitsIS8_EEENT1_11result_typeERKT_PrKPcPKT0_PKNS3_10ScalarTypeEi.has_indirect_call, 0
	.section	.AMDGPU.csdata,"",@progbits
; Function info:
; codeLenInByte = 6432
; TotalNumSgprs: 36
; NumVgprs: 10
; ScratchSize: 0
; MemoryBound: 0
	.section	.text._ZN2at6native32elementwise_kernel_manual_unrollILi128ELi4EZNS0_15gpu_kernel_implINS0_13AUnaryFunctorIN3c1013Float8_e4m3fnES5_bNS0_12_GLOBAL__N_116CompareEqFunctorIS5_EEEEEEvRNS_18TensorIteratorBaseERKT_EUlibE_EEviT1_,"axG",@progbits,_ZN2at6native32elementwise_kernel_manual_unrollILi128ELi4EZNS0_15gpu_kernel_implINS0_13AUnaryFunctorIN3c1013Float8_e4m3fnES5_bNS0_12_GLOBAL__N_116CompareEqFunctorIS5_EEEEEEvRNS_18TensorIteratorBaseERKT_EUlibE_EEviT1_,comdat
	.globl	_ZN2at6native32elementwise_kernel_manual_unrollILi128ELi4EZNS0_15gpu_kernel_implINS0_13AUnaryFunctorIN3c1013Float8_e4m3fnES5_bNS0_12_GLOBAL__N_116CompareEqFunctorIS5_EEEEEEvRNS_18TensorIteratorBaseERKT_EUlibE_EEviT1_ ; -- Begin function _ZN2at6native32elementwise_kernel_manual_unrollILi128ELi4EZNS0_15gpu_kernel_implINS0_13AUnaryFunctorIN3c1013Float8_e4m3fnES5_bNS0_12_GLOBAL__N_116CompareEqFunctorIS5_EEEEEEvRNS_18TensorIteratorBaseERKT_EUlibE_EEviT1_
	.p2align	8
	.type	_ZN2at6native32elementwise_kernel_manual_unrollILi128ELi4EZNS0_15gpu_kernel_implINS0_13AUnaryFunctorIN3c1013Float8_e4m3fnES5_bNS0_12_GLOBAL__N_116CompareEqFunctorIS5_EEEEEEvRNS_18TensorIteratorBaseERKT_EUlibE_EEviT1_,@function
_ZN2at6native32elementwise_kernel_manual_unrollILi128ELi4EZNS0_15gpu_kernel_implINS0_13AUnaryFunctorIN3c1013Float8_e4m3fnES5_bNS0_12_GLOBAL__N_116CompareEqFunctorIS5_EEEEEEvRNS_18TensorIteratorBaseERKT_EUlibE_EEviT1_: ; @_ZN2at6native32elementwise_kernel_manual_unrollILi128ELi4EZNS0_15gpu_kernel_implINS0_13AUnaryFunctorIN3c1013Float8_e4m3fnES5_bNS0_12_GLOBAL__N_116CompareEqFunctorIS5_EEEEEEvRNS_18TensorIteratorBaseERKT_EUlibE_EEviT1_
; %bb.0:
	s_load_dwordx2 s[38:39], s[4:5], 0x24
	s_load_dword s58, s[4:5], 0x0
	s_load_dwordx8 s[40:47], s[4:5], 0x8
	v_lshl_or_b32 v10, s6, 9, v0
	s_add_u32 s0, s0, s7
	v_or_b32_e32 v11, 0x180, v10
	s_addc_u32 s1, s1, 0
	s_waitcnt lgkmcnt(0)
	s_bfe_u32 s33, s39, 0x80008
	v_cmp_le_i32_e32 vcc, s58, v11
	s_mov_b64 s[28:29], 0
	s_mov_b64 s[48:49], 0
	s_mov_b32 s32, 0
	s_and_saveexec_b64 s[4:5], vcc
	s_xor_b64 s[34:35], exec, s[4:5]
	s_cbranch_execz .LBB284_508
; %bb.1:
	v_cmp_gt_i32_e32 vcc, s58, v10
	s_mov_b64 s[4:5], -1
	s_mov_b64 s[52:53], 0
	s_mov_b64 s[36:37], 0
	s_and_saveexec_b64 s[48:49], vcc
	s_cbranch_execz .LBB284_124
; %bb.2:
	s_getpc_b64 s[4:5]
	s_add_u32 s4, s4, _ZN2at6native6invokeINS0_13AUnaryFunctorIN3c1013Float8_e4m3fnES4_bNS0_12_GLOBAL__N_116CompareEqFunctorIS4_EEEEi15function_traitsIS8_EEENT1_11result_typeERKT_PrKPcPKT0_PKNS3_10ScalarTypeEi@rel32@lo+4
	s_addc_u32 s5, s5, _ZN2at6native6invokeINS0_13AUnaryFunctorIN3c1013Float8_e4m3fnES4_bNS0_12_GLOBAL__N_116CompareEqFunctorIS4_EEEEi15function_traitsIS8_EEENT1_11result_typeERKT_PrKPcPKT0_PKNS3_10ScalarTypeEi@rel32@hi+12
	v_mov_b32_e32 v0, s46
	v_mov_b32_e32 v1, s38
	;; [unrolled: 1-line block ×7, first 2 shown]
	s_swappc_b64 s[30:31], s[4:5]
	v_and_b32_e32 v0, 1, v0
	v_cmp_eq_u32_e64 s[4:5], 1, v0
	v_mul_lo_u32 v0, v10, s44
	v_mov_b32_e32 v1, s41
	s_and_b32 s14, s39, 0xff
	s_cmp_lt_i32 s14, 11
	v_ashrrev_i32_e32 v2, 31, v0
	v_add_co_u32_e32 v0, vcc, s40, v0
	v_addc_co_u32_e32 v1, vcc, v1, v2, vcc
	s_cbranch_scc1 .LBB284_9
; %bb.3:
	s_and_b32 s15, 0xffff, s14
	s_cmp_gt_i32 s15, 25
	s_cbranch_scc0 .LBB284_12
; %bb.4:
	s_cmp_gt_i32 s15, 28
	s_cbranch_scc0 .LBB284_13
; %bb.5:
	;; [unrolled: 3-line block ×4, first 2 shown]
	s_mov_b64 s[10:11], 0
	s_mov_b64 s[6:7], -1
	s_cmp_eq_u32 s15, 46
	s_mov_b64 s[8:9], 0
	s_cbranch_scc0 .LBB284_16
; %bb.8:
	v_cndmask_b32_e64 v2, 0, 1.0, s[4:5]
	v_bfe_u32 v3, v2, 16, 1
	s_movk_i32 s6, 0x7fff
	v_add3_u32 v2, v2, v3, s6
	v_lshrrev_b32_e32 v2, 16, v2
	global_store_dword v[0:1], v2, off
	s_mov_b64 s[8:9], -1
	s_mov_b64 s[6:7], 0
	s_branch .LBB284_16
.LBB284_9:
	s_mov_b64 s[6:7], 0
	s_mov_b64 s[8:9], 0
	s_cbranch_execnz .LBB284_84
.LBB284_10:
	s_andn2_b64 vcc, exec, s[8:9]
	s_cbranch_vccnz .LBB284_122
.LBB284_11:
	v_add_u32_e32 v10, 0x80, v10
	s_mov_b64 s[4:5], -1
	s_branch .LBB284_123
.LBB284_12:
	s_mov_b64 s[6:7], 0
	s_mov_b64 s[8:9], 0
	s_cbranch_execnz .LBB284_43
	s_branch .LBB284_83
.LBB284_13:
	s_mov_b64 s[10:11], -1
	s_mov_b64 s[6:7], 0
	s_mov_b64 s[8:9], 0
	s_branch .LBB284_26
.LBB284_14:
	s_mov_b64 s[10:11], -1
	s_mov_b64 s[6:7], 0
	s_mov_b64 s[8:9], 0
	s_branch .LBB284_22
.LBB284_15:
	s_mov_b64 s[10:11], -1
	s_mov_b64 s[6:7], 0
	s_mov_b64 s[8:9], 0
.LBB284_16:
	s_and_b64 vcc, exec, s[10:11]
	s_cbranch_vccz .LBB284_21
; %bb.17:
	s_cmp_eq_u32 s15, 44
	s_mov_b64 s[6:7], -1
	s_cbranch_scc0 .LBB284_21
; %bb.18:
	v_cndmask_b32_e64 v3, 0, 1.0, s[4:5]
	v_lshrrev_b32_e32 v2, 23, v3
	s_movk_i32 s6, 0xff
	v_cmp_ne_u32_e32 vcc, s6, v2
	v_mov_b32_e32 v4, 0xff
	s_and_saveexec_b64 s[8:9], vcc
; %bb.19:
	s_mov_b32 s6, 0x3fffff
	v_and_b32_e32 v4, 0x400000, v3
	v_and_or_b32 v3, v3, s6, v2
	v_cmp_ne_u32_e32 vcc, 0, v4
	v_cmp_ne_u32_e64 s[6:7], 0, v3
	s_and_b64 s[6:7], vcc, s[6:7]
	v_cndmask_b32_e64 v3, 0, 1, s[6:7]
	v_add_u32_e32 v4, v2, v3
; %bb.20:
	s_or_b64 exec, exec, s[8:9]
	s_mov_b64 s[8:9], -1
	s_mov_b64 s[6:7], 0
	global_store_byte v[0:1], v4, off
.LBB284_21:
	s_mov_b64 s[10:11], 0
.LBB284_22:
	s_and_b64 vcc, exec, s[10:11]
	s_cbranch_vccz .LBB284_25
; %bb.23:
	s_cmp_eq_u32 s15, 29
	s_mov_b64 s[6:7], -1
	s_cbranch_scc0 .LBB284_25
; %bb.24:
	s_mov_b32 s6, 0
	v_cndmask_b32_e64 v2, 0, 1, s[4:5]
	v_mov_b32_e32 v3, s6
	global_store_dwordx2 v[0:1], v[2:3], off
	s_mov_b64 s[8:9], -1
	s_mov_b64 s[6:7], 0
.LBB284_25:
	s_mov_b64 s[10:11], 0
.LBB284_26:
	s_and_b64 vcc, exec, s[10:11]
	s_cbranch_vccz .LBB284_42
; %bb.27:
	s_cmp_lt_i32 s15, 27
	s_mov_b64 s[8:9], -1
	s_cbranch_scc1 .LBB284_33
; %bb.28:
	s_cmp_gt_i32 s15, 27
	s_cbranch_scc0 .LBB284_30
; %bb.29:
	v_cndmask_b32_e64 v2, 0, 1, s[4:5]
	s_mov_b64 s[8:9], 0
	global_store_dword v[0:1], v2, off
.LBB284_30:
	s_andn2_b64 vcc, exec, s[8:9]
	s_cbranch_vccnz .LBB284_32
; %bb.31:
	v_cndmask_b32_e64 v2, 0, 1, s[4:5]
	global_store_short v[0:1], v2, off
.LBB284_32:
	s_mov_b64 s[8:9], 0
.LBB284_33:
	s_andn2_b64 vcc, exec, s[8:9]
	s_cbranch_vccnz .LBB284_41
; %bb.34:
	v_cndmask_b32_e64 v3, 0, 1.0, s[4:5]
	s_mov_b32 s8, 0x43800000
	v_cmp_gt_u32_e32 vcc, s8, v3
	v_mov_b32_e32 v4, 0x80
	s_and_saveexec_b64 s[8:9], vcc
	s_cbranch_execz .LBB284_40
; %bb.35:
	s_mov_b32 s10, 0x3bffffff
	v_cmp_lt_u32_e32 vcc, s10, v3
	s_mov_b64 s[10:11], 0
                                        ; implicit-def: $vgpr2
	s_and_saveexec_b64 s[12:13], vcc
	s_xor_b64 s[12:13], exec, s[12:13]
	s_cbranch_execz .LBB284_141
; %bb.36:
	v_bfe_u32 v2, v3, 20, 1
	s_mov_b32 s16, 0x487ffff
	v_add3_u32 v2, v3, v2, s16
	s_mov_b64 s[10:11], exec
	v_lshrrev_b32_e32 v2, 20, v2
                                        ; implicit-def: $vgpr3
	s_andn2_saveexec_b64 s[12:13], s[12:13]
	s_cbranch_execnz .LBB284_142
.LBB284_37:
	s_or_b64 exec, exec, s[12:13]
	v_mov_b32_e32 v4, 0
	s_and_saveexec_b64 s[12:13], s[10:11]
.LBB284_38:
	v_mov_b32_e32 v4, v2
.LBB284_39:
	s_or_b64 exec, exec, s[12:13]
.LBB284_40:
	s_or_b64 exec, exec, s[8:9]
	global_store_byte v[0:1], v4, off
.LBB284_41:
	s_mov_b64 s[8:9], -1
.LBB284_42:
	s_branch .LBB284_83
.LBB284_43:
	s_cmp_gt_i32 s15, 22
	s_mov_b64 s[10:11], -1
	s_cbranch_scc0 .LBB284_75
; %bb.44:
	s_cmp_lt_i32 s15, 24
	s_mov_b64 s[8:9], -1
	s_cbranch_scc1 .LBB284_64
; %bb.45:
	s_cmp_gt_i32 s15, 24
	s_cbranch_scc0 .LBB284_53
; %bb.46:
	v_cndmask_b32_e64 v3, 0, 1.0, s[4:5]
	s_mov_b32 s8, 0x47800000
	v_cmp_gt_u32_e32 vcc, s8, v3
	v_mov_b32_e32 v4, 0x80
	s_and_saveexec_b64 s[8:9], vcc
	s_cbranch_execz .LBB284_52
; %bb.47:
	s_mov_b32 s10, 0x37ffffff
	v_cmp_lt_u32_e32 vcc, s10, v3
	s_mov_b64 s[10:11], 0
                                        ; implicit-def: $vgpr2
	s_and_saveexec_b64 s[12:13], vcc
	s_xor_b64 s[12:13], exec, s[12:13]
	s_cbranch_execz .LBB284_144
; %bb.48:
	v_bfe_u32 v2, v3, 21, 1
	s_mov_b32 s16, 0x88fffff
	v_add3_u32 v2, v3, v2, s16
	s_mov_b64 s[10:11], exec
	v_lshrrev_b32_e32 v2, 21, v2
                                        ; implicit-def: $vgpr3
	s_andn2_saveexec_b64 s[12:13], s[12:13]
	s_cbranch_execnz .LBB284_145
.LBB284_49:
	s_or_b64 exec, exec, s[12:13]
	v_mov_b32_e32 v4, 0
	s_and_saveexec_b64 s[12:13], s[10:11]
.LBB284_50:
	v_mov_b32_e32 v4, v2
.LBB284_51:
	s_or_b64 exec, exec, s[12:13]
.LBB284_52:
	s_or_b64 exec, exec, s[8:9]
	s_mov_b64 s[8:9], 0
	global_store_byte v[0:1], v4, off
.LBB284_53:
	s_and_b64 vcc, exec, s[8:9]
	s_cbranch_vccz .LBB284_63
; %bb.54:
	v_cndmask_b32_e64 v2, 0, 1.0, s[4:5]
	s_mov_b32 s8, 0x43f00000
	v_cmp_gt_u32_e32 vcc, s8, v2
                                        ; implicit-def: $vgpr3
	s_and_saveexec_b64 s[8:9], vcc
	s_xor_b64 s[8:9], exec, s[8:9]
	s_cbranch_execz .LBB284_60
; %bb.55:
	s_mov_b32 s10, 0x3c7fffff
	v_cmp_lt_u32_e32 vcc, s10, v2
                                        ; implicit-def: $vgpr3
	s_and_saveexec_b64 s[10:11], vcc
	s_xor_b64 s[10:11], exec, s[10:11]
; %bb.56:
	v_bfe_u32 v3, v2, 20, 1
	s_mov_b32 s12, 0x407ffff
	v_add3_u32 v2, v2, v3, s12
	v_lshrrev_b32_e32 v3, 20, v2
	v_and_b32_e32 v2, 0xff00000, v2
	s_mov_b32 s12, 0x7f00000
	v_mov_b32_e32 v4, 0x7e
	v_cmp_ne_u32_e32 vcc, s12, v2
	v_cndmask_b32_e32 v3, v4, v3, vcc
                                        ; implicit-def: $vgpr2
; %bb.57:
	s_andn2_saveexec_b64 s[10:11], s[10:11]
; %bb.58:
	v_add_f32_e32 v3, 0x46800000, v2
; %bb.59:
	s_or_b64 exec, exec, s[10:11]
                                        ; implicit-def: $vgpr2
.LBB284_60:
	s_andn2_saveexec_b64 s[8:9], s[8:9]
; %bb.61:
	s_mov_b32 s10, 0x7f800000
	v_mov_b32_e32 v3, 0x7e
	v_mov_b32_e32 v4, 0x7f
	v_cmp_lt_u32_e32 vcc, s10, v2
	v_cndmask_b32_e32 v3, v3, v4, vcc
; %bb.62:
	s_or_b64 exec, exec, s[8:9]
	global_store_byte v[0:1], v3, off
.LBB284_63:
	s_mov_b64 s[8:9], 0
.LBB284_64:
	s_andn2_b64 vcc, exec, s[8:9]
	s_cbranch_vccnz .LBB284_74
; %bb.65:
	v_cndmask_b32_e64 v2, 0, 1.0, s[4:5]
	s_mov_b32 s8, 0x47800000
	v_cmp_gt_u32_e32 vcc, s8, v2
                                        ; implicit-def: $vgpr3
	s_and_saveexec_b64 s[8:9], vcc
	s_xor_b64 s[8:9], exec, s[8:9]
	s_cbranch_execz .LBB284_71
; %bb.66:
	s_mov_b32 s10, 0x387fffff
	v_cmp_lt_u32_e32 vcc, s10, v2
                                        ; implicit-def: $vgpr3
	s_and_saveexec_b64 s[10:11], vcc
	s_xor_b64 s[10:11], exec, s[10:11]
; %bb.67:
	v_bfe_u32 v3, v2, 21, 1
	s_mov_b32 s12, 0x80fffff
	v_add3_u32 v2, v2, v3, s12
	v_lshrrev_b32_e32 v3, 21, v2
                                        ; implicit-def: $vgpr2
; %bb.68:
	s_andn2_saveexec_b64 s[10:11], s[10:11]
; %bb.69:
	v_add_f32_e32 v3, 0x43000000, v2
; %bb.70:
	s_or_b64 exec, exec, s[10:11]
                                        ; implicit-def: $vgpr2
.LBB284_71:
	s_andn2_saveexec_b64 s[8:9], s[8:9]
; %bb.72:
	s_mov_b32 s10, 0x7f800000
	v_mov_b32_e32 v3, 0x7c
	v_mov_b32_e32 v4, 0x7f
	v_cmp_lt_u32_e32 vcc, s10, v2
	v_cndmask_b32_e32 v3, v3, v4, vcc
; %bb.73:
	s_or_b64 exec, exec, s[8:9]
	global_store_byte v[0:1], v3, off
.LBB284_74:
	s_mov_b64 s[10:11], 0
	s_mov_b64 s[8:9], -1
.LBB284_75:
	s_andn2_b64 vcc, exec, s[10:11]
	s_cbranch_vccnz .LBB284_83
; %bb.76:
	s_cmp_gt_i32 s15, 14
	s_mov_b64 s[10:11], -1
	s_cbranch_scc0 .LBB284_80
; %bb.77:
	s_cmp_eq_u32 s15, 15
	s_mov_b64 s[6:7], -1
	s_cbranch_scc0 .LBB284_79
; %bb.78:
	v_cndmask_b32_e64 v2, 0, 1.0, s[4:5]
	v_bfe_u32 v3, v2, 16, 1
	s_movk_i32 s6, 0x7fff
	v_add3_u32 v2, v2, v3, s6
	global_store_short_d16_hi v[0:1], v2, off
	s_mov_b64 s[8:9], -1
	s_mov_b64 s[6:7], 0
.LBB284_79:
	s_mov_b64 s[10:11], 0
.LBB284_80:
	s_and_b64 vcc, exec, s[10:11]
	s_cbranch_vccz .LBB284_83
; %bb.81:
	s_cmp_eq_u32 s15, 11
	s_mov_b64 s[6:7], -1
	s_cbranch_scc0 .LBB284_83
; %bb.82:
	v_cndmask_b32_e64 v2, 0, 1, s[4:5]
	s_mov_b64 s[8:9], -1
	s_mov_b64 s[6:7], 0
	global_store_byte v[0:1], v2, off
.LBB284_83:
	s_branch .LBB284_10
.LBB284_84:
	s_and_b32 s10, 0xffff, s14
	s_cmp_lt_i32 s10, 5
	s_mov_b64 s[8:9], -1
	s_cbranch_scc1 .LBB284_105
; %bb.85:
	s_cmp_lt_i32 s10, 8
	s_cbranch_scc1 .LBB284_95
; %bb.86:
	s_cmp_lt_i32 s10, 9
	s_cbranch_scc1 .LBB284_92
; %bb.87:
	s_cmp_gt_i32 s10, 9
	s_cbranch_scc0 .LBB284_89
; %bb.88:
	v_cndmask_b32_e64 v2, 0, 1, s[4:5]
	v_cvt_f64_u32_e32 v[2:3], v2
	v_mov_b32_e32 v4, 0
	v_mov_b32_e32 v5, v4
	s_mov_b64 s[8:9], 0
	global_store_dwordx4 v[0:1], v[2:5], off
.LBB284_89:
	s_andn2_b64 vcc, exec, s[8:9]
	s_cbranch_vccnz .LBB284_91
; %bb.90:
	v_cndmask_b32_e64 v2, 0, 1.0, s[4:5]
	v_mov_b32_e32 v3, 0
	global_store_dwordx2 v[0:1], v[2:3], off
.LBB284_91:
	s_mov_b64 s[8:9], 0
.LBB284_92:
	s_andn2_b64 vcc, exec, s[8:9]
	s_cbranch_vccnz .LBB284_94
; %bb.93:
	v_cndmask_b32_e64 v2, 0, 1.0, s[4:5]
	v_cvt_f16_f32_e32 v2, v2
	global_store_dword v[0:1], v2, off
.LBB284_94:
	s_mov_b64 s[8:9], 0
.LBB284_95:
	s_andn2_b64 vcc, exec, s[8:9]
	s_cbranch_vccnz .LBB284_104
; %bb.96:
	s_cmp_lt_i32 s10, 6
	s_mov_b64 s[8:9], -1
	s_cbranch_scc1 .LBB284_102
; %bb.97:
	s_cmp_gt_i32 s10, 6
	s_cbranch_scc0 .LBB284_99
; %bb.98:
	v_cndmask_b32_e64 v2, 0, 1, s[4:5]
	v_cvt_f64_u32_e32 v[2:3], v2
	s_mov_b64 s[8:9], 0
	global_store_dwordx2 v[0:1], v[2:3], off
.LBB284_99:
	s_andn2_b64 vcc, exec, s[8:9]
	s_cbranch_vccnz .LBB284_101
; %bb.100:
	v_cndmask_b32_e64 v2, 0, 1.0, s[4:5]
	global_store_dword v[0:1], v2, off
.LBB284_101:
	s_mov_b64 s[8:9], 0
.LBB284_102:
	s_andn2_b64 vcc, exec, s[8:9]
	s_cbranch_vccnz .LBB284_104
; %bb.103:
	v_cndmask_b32_e64 v2, 0, 1.0, s[4:5]
	v_cvt_f16_f32_e32 v2, v2
	global_store_short v[0:1], v2, off
.LBB284_104:
	s_mov_b64 s[8:9], 0
.LBB284_105:
	s_andn2_b64 vcc, exec, s[8:9]
	s_cbranch_vccnz .LBB284_121
; %bb.106:
	s_cmp_lt_i32 s10, 2
	s_mov_b64 s[8:9], -1
	s_cbranch_scc1 .LBB284_116
; %bb.107:
	s_cmp_lt_i32 s10, 3
	s_cbranch_scc1 .LBB284_113
; %bb.108:
	s_cmp_gt_i32 s10, 3
	s_cbranch_scc0 .LBB284_110
; %bb.109:
	s_mov_b32 s8, 0
	v_cndmask_b32_e64 v2, 0, 1, s[4:5]
	v_mov_b32_e32 v3, s8
	global_store_dwordx2 v[0:1], v[2:3], off
	s_mov_b64 s[8:9], 0
.LBB284_110:
	s_andn2_b64 vcc, exec, s[8:9]
	s_cbranch_vccnz .LBB284_112
; %bb.111:
	v_cndmask_b32_e64 v2, 0, 1, s[4:5]
	global_store_dword v[0:1], v2, off
.LBB284_112:
	s_mov_b64 s[8:9], 0
.LBB284_113:
	s_andn2_b64 vcc, exec, s[8:9]
	s_cbranch_vccnz .LBB284_115
; %bb.114:
	v_cndmask_b32_e64 v2, 0, 1, s[4:5]
	global_store_short v[0:1], v2, off
.LBB284_115:
	s_mov_b64 s[8:9], 0
.LBB284_116:
	s_andn2_b64 vcc, exec, s[8:9]
	s_cbranch_vccnz .LBB284_121
; %bb.117:
	s_mov_b64 s[8:9], -1
	s_cmp_gt_i32 s10, 0
	v_cndmask_b32_e64 v2, 0, 1, s[4:5]
	s_cbranch_scc0 .LBB284_119
; %bb.118:
	global_store_byte v[0:1], v2, off
	s_mov_b64 s[8:9], 0
.LBB284_119:
	s_andn2_b64 vcc, exec, s[8:9]
	s_cbranch_vccnz .LBB284_121
; %bb.120:
	global_store_byte v[0:1], v2, off
.LBB284_121:
	s_branch .LBB284_11
.LBB284_122:
	s_mov_b64 s[4:5], 0
                                        ; implicit-def: $vgpr10
.LBB284_123:
	s_and_b64 s[36:37], s[6:7], exec
	s_orn2_b64 s[4:5], s[4:5], exec
.LBB284_124:
	s_or_b64 exec, exec, s[48:49]
	s_mov_b64 s[8:9], 0
                                        ; implicit-def: $sgpr6_sgpr7
                                        ; implicit-def: $sgpr16
                                        ; implicit-def: $vgpr0_vgpr1
	s_and_saveexec_b64 s[48:49], s[4:5]
	s_cbranch_execz .LBB284_133
; %bb.125:
	v_cmp_gt_i32_e32 vcc, s58, v10
	s_mov_b64 s[10:11], -1
	s_mov_b64 s[50:51], s[36:37]
	s_and_saveexec_b64 s[52:53], vcc
	s_cbranch_execz .LBB284_256
; %bb.126:
	s_getpc_b64 s[4:5]
	s_add_u32 s4, s4, _ZN2at6native6invokeINS0_13AUnaryFunctorIN3c1013Float8_e4m3fnES4_bNS0_12_GLOBAL__N_116CompareEqFunctorIS4_EEEEi15function_traitsIS8_EEENT1_11result_typeERKT_PrKPcPKT0_PKNS3_10ScalarTypeEi@rel32@lo+4
	s_addc_u32 s5, s5, _ZN2at6native6invokeINS0_13AUnaryFunctorIN3c1013Float8_e4m3fnES4_bNS0_12_GLOBAL__N_116CompareEqFunctorIS4_EEEEi15function_traitsIS8_EEENT1_11result_typeERKT_PrKPcPKT0_PKNS3_10ScalarTypeEi@rel32@hi+12
	v_mov_b32_e32 v0, s46
	v_mov_b32_e32 v1, s38
	;; [unrolled: 1-line block ×7, first 2 shown]
	s_swappc_b64 s[30:31], s[4:5]
	v_and_b32_e32 v0, 1, v0
	v_cmp_eq_u32_e64 s[4:5], 1, v0
	v_mul_lo_u32 v0, v10, s44
	v_mov_b32_e32 v1, s41
	s_and_b32 s14, s39, 0xff
	s_cmp_lt_i32 s14, 11
	v_ashrrev_i32_e32 v2, 31, v0
	v_add_co_u32_e32 v0, vcc, s40, v0
	v_addc_co_u32_e32 v1, vcc, v1, v2, vcc
	s_cbranch_scc1 .LBB284_136
; %bb.127:
	s_and_b32 s15, 0xffff, s14
	s_cmp_gt_i32 s15, 25
	s_cbranch_scc0 .LBB284_139
; %bb.128:
	s_cmp_gt_i32 s15, 28
	s_cbranch_scc0 .LBB284_140
; %bb.129:
	;; [unrolled: 3-line block ×4, first 2 shown]
	s_mov_b64 s[10:11], 0
	s_mov_b64 s[6:7], -1
	s_cmp_eq_u32 s15, 46
	s_mov_b64 s[8:9], 0
	s_cbranch_scc0 .LBB284_147
; %bb.132:
	v_cndmask_b32_e64 v2, 0, 1.0, s[4:5]
	v_bfe_u32 v3, v2, 16, 1
	s_movk_i32 s6, 0x7fff
	v_add3_u32 v2, v2, v3, s6
	v_lshrrev_b32_e32 v2, 16, v2
	global_store_dword v[0:1], v2, off
	s_mov_b64 s[8:9], -1
	s_mov_b64 s[6:7], 0
	s_branch .LBB284_147
.LBB284_133:
	s_or_b64 exec, exec, s[48:49]
	s_mov_b64 s[4:5], 0
	s_and_saveexec_b64 s[10:11], s[36:37]
	s_cbranch_execnz .LBB284_468
.LBB284_134:
	s_or_b64 exec, exec, s[10:11]
	s_and_saveexec_b64 s[10:11], s[52:53]
	s_xor_b64 s[10:11], exec, s[10:11]
	s_cbranch_execz .LBB284_469
.LBB284_135:
	v_cndmask_b32_e64 v2, 0, 1, s[6:7]
	global_store_byte v[0:1], v2, off
	s_or_b64 exec, exec, s[10:11]
	s_and_saveexec_b64 s[10:11], s[8:9]
	s_xor_b64 s[8:9], exec, s[10:11]
	s_cbranch_execz .LBB284_507
	s_branch .LBB284_470
.LBB284_136:
	s_mov_b64 s[8:9], 0
	s_mov_b64 s[6:7], s[36:37]
	s_cbranch_execnz .LBB284_216
.LBB284_137:
	s_andn2_b64 vcc, exec, s[8:9]
	s_cbranch_vccnz .LBB284_254
.LBB284_138:
	v_add_u32_e32 v10, 0x80, v10
	s_mov_b64 s[4:5], -1
	s_branch .LBB284_255
.LBB284_139:
	s_mov_b64 s[10:11], -1
	s_mov_b64 s[8:9], 0
	s_mov_b64 s[6:7], s[36:37]
	s_branch .LBB284_174
.LBB284_140:
	s_mov_b64 s[10:11], -1
	s_mov_b64 s[8:9], 0
	s_mov_b64 s[6:7], s[36:37]
	s_branch .LBB284_157
.LBB284_141:
	s_andn2_saveexec_b64 s[12:13], s[12:13]
	s_cbranch_execz .LBB284_37
.LBB284_142:
	v_add_f32_e32 v2, 0x46000000, v3
	v_and_b32_e32 v2, 0xff, v2
	v_cmp_ne_u32_e32 vcc, 0, v2
	s_andn2_b64 s[10:11], s[10:11], exec
	s_and_b64 s[16:17], vcc, exec
	s_or_b64 s[10:11], s[10:11], s[16:17]
	s_or_b64 exec, exec, s[12:13]
	v_mov_b32_e32 v4, 0
	s_and_saveexec_b64 s[12:13], s[10:11]
	s_cbranch_execnz .LBB284_38
	s_branch .LBB284_39
.LBB284_143:
	s_mov_b64 s[10:11], -1
	s_mov_b64 s[8:9], 0
	s_mov_b64 s[6:7], s[36:37]
	s_branch .LBB284_153
.LBB284_144:
	s_andn2_saveexec_b64 s[12:13], s[12:13]
	s_cbranch_execz .LBB284_49
.LBB284_145:
	v_add_f32_e32 v2, 0x42800000, v3
	v_and_b32_e32 v2, 0xff, v2
	v_cmp_ne_u32_e32 vcc, 0, v2
	s_andn2_b64 s[10:11], s[10:11], exec
	s_and_b64 s[16:17], vcc, exec
	s_or_b64 s[10:11], s[10:11], s[16:17]
	s_or_b64 exec, exec, s[12:13]
	v_mov_b32_e32 v4, 0
	s_and_saveexec_b64 s[12:13], s[10:11]
	s_cbranch_execnz .LBB284_50
	s_branch .LBB284_51
.LBB284_146:
	s_mov_b64 s[10:11], -1
	s_mov_b64 s[8:9], 0
	s_mov_b64 s[6:7], s[36:37]
.LBB284_147:
	s_and_b64 vcc, exec, s[10:11]
	s_cbranch_vccz .LBB284_152
; %bb.148:
	s_cmp_eq_u32 s15, 44
	s_mov_b64 s[6:7], -1
	s_cbranch_scc0 .LBB284_152
; %bb.149:
	v_cndmask_b32_e64 v3, 0, 1.0, s[4:5]
	v_lshrrev_b32_e32 v2, 23, v3
	s_movk_i32 s6, 0xff
	v_cmp_ne_u32_e32 vcc, s6, v2
	v_mov_b32_e32 v4, 0xff
	s_and_saveexec_b64 s[8:9], vcc
; %bb.150:
	s_mov_b32 s6, 0x3fffff
	v_and_b32_e32 v4, 0x400000, v3
	v_and_or_b32 v3, v3, s6, v2
	v_cmp_ne_u32_e32 vcc, 0, v4
	v_cmp_ne_u32_e64 s[6:7], 0, v3
	s_and_b64 s[6:7], vcc, s[6:7]
	v_cndmask_b32_e64 v3, 0, 1, s[6:7]
	v_add_u32_e32 v4, v2, v3
; %bb.151:
	s_or_b64 exec, exec, s[8:9]
	s_mov_b64 s[8:9], -1
	s_mov_b64 s[6:7], 0
	global_store_byte v[0:1], v4, off
.LBB284_152:
	s_mov_b64 s[10:11], 0
.LBB284_153:
	s_and_b64 vcc, exec, s[10:11]
	s_cbranch_vccz .LBB284_156
; %bb.154:
	s_cmp_eq_u32 s15, 29
	s_mov_b64 s[6:7], -1
	s_cbranch_scc0 .LBB284_156
; %bb.155:
	s_mov_b32 s6, 0
	v_cndmask_b32_e64 v2, 0, 1, s[4:5]
	v_mov_b32_e32 v3, s6
	global_store_dwordx2 v[0:1], v[2:3], off
	s_mov_b64 s[8:9], -1
	s_mov_b64 s[6:7], 0
.LBB284_156:
	s_mov_b64 s[10:11], 0
.LBB284_157:
	s_and_b64 vcc, exec, s[10:11]
	s_cbranch_vccz .LBB284_173
; %bb.158:
	s_cmp_lt_i32 s15, 27
	s_mov_b64 s[8:9], -1
	s_cbranch_scc1 .LBB284_164
; %bb.159:
	s_cmp_gt_i32 s15, 27
	s_cbranch_scc0 .LBB284_161
; %bb.160:
	v_cndmask_b32_e64 v2, 0, 1, s[4:5]
	s_mov_b64 s[8:9], 0
	global_store_dword v[0:1], v2, off
.LBB284_161:
	s_andn2_b64 vcc, exec, s[8:9]
	s_cbranch_vccnz .LBB284_163
; %bb.162:
	v_cndmask_b32_e64 v2, 0, 1, s[4:5]
	global_store_short v[0:1], v2, off
.LBB284_163:
	s_mov_b64 s[8:9], 0
.LBB284_164:
	s_andn2_b64 vcc, exec, s[8:9]
	s_cbranch_vccnz .LBB284_172
; %bb.165:
	v_cndmask_b32_e64 v3, 0, 1.0, s[4:5]
	s_mov_b32 s8, 0x43800000
	v_cmp_gt_u32_e32 vcc, s8, v3
	v_mov_b32_e32 v4, 0x80
	s_and_saveexec_b64 s[8:9], vcc
	s_cbranch_execz .LBB284_171
; %bb.166:
	s_mov_b32 s10, 0x3bffffff
	v_cmp_lt_u32_e32 vcc, s10, v3
	s_mov_b64 s[10:11], 0
                                        ; implicit-def: $vgpr2
	s_and_saveexec_b64 s[12:13], vcc
	s_xor_b64 s[12:13], exec, s[12:13]
	s_cbranch_execz .LBB284_268
; %bb.167:
	v_bfe_u32 v2, v3, 20, 1
	s_mov_b32 s16, 0x487ffff
	v_add3_u32 v2, v3, v2, s16
	s_mov_b64 s[10:11], exec
	v_lshrrev_b32_e32 v2, 20, v2
                                        ; implicit-def: $vgpr3
	s_andn2_saveexec_b64 s[12:13], s[12:13]
	s_cbranch_execnz .LBB284_269
.LBB284_168:
	s_or_b64 exec, exec, s[12:13]
	v_mov_b32_e32 v4, 0
	s_and_saveexec_b64 s[12:13], s[10:11]
.LBB284_169:
	v_mov_b32_e32 v4, v2
.LBB284_170:
	s_or_b64 exec, exec, s[12:13]
.LBB284_171:
	s_or_b64 exec, exec, s[8:9]
	global_store_byte v[0:1], v4, off
.LBB284_172:
	s_mov_b64 s[8:9], -1
.LBB284_173:
	s_mov_b64 s[10:11], 0
.LBB284_174:
	s_and_b64 vcc, exec, s[10:11]
	s_cbranch_vccz .LBB284_215
; %bb.175:
	s_cmp_gt_i32 s15, 22
	s_mov_b64 s[10:11], -1
	s_cbranch_scc0 .LBB284_207
; %bb.176:
	s_cmp_lt_i32 s15, 24
	s_mov_b64 s[8:9], -1
	s_cbranch_scc1 .LBB284_196
; %bb.177:
	s_cmp_gt_i32 s15, 24
	s_cbranch_scc0 .LBB284_185
; %bb.178:
	v_cndmask_b32_e64 v3, 0, 1.0, s[4:5]
	s_mov_b32 s8, 0x47800000
	v_cmp_gt_u32_e32 vcc, s8, v3
	v_mov_b32_e32 v4, 0x80
	s_and_saveexec_b64 s[8:9], vcc
	s_cbranch_execz .LBB284_184
; %bb.179:
	s_mov_b32 s10, 0x37ffffff
	v_cmp_lt_u32_e32 vcc, s10, v3
	s_mov_b64 s[10:11], 0
                                        ; implicit-def: $vgpr2
	s_and_saveexec_b64 s[12:13], vcc
	s_xor_b64 s[12:13], exec, s[12:13]
	s_cbranch_execz .LBB284_271
; %bb.180:
	v_bfe_u32 v2, v3, 21, 1
	s_mov_b32 s16, 0x88fffff
	v_add3_u32 v2, v3, v2, s16
	s_mov_b64 s[10:11], exec
	v_lshrrev_b32_e32 v2, 21, v2
                                        ; implicit-def: $vgpr3
	s_andn2_saveexec_b64 s[12:13], s[12:13]
	s_cbranch_execnz .LBB284_272
.LBB284_181:
	s_or_b64 exec, exec, s[12:13]
	v_mov_b32_e32 v4, 0
	s_and_saveexec_b64 s[12:13], s[10:11]
.LBB284_182:
	v_mov_b32_e32 v4, v2
.LBB284_183:
	s_or_b64 exec, exec, s[12:13]
.LBB284_184:
	s_or_b64 exec, exec, s[8:9]
	s_mov_b64 s[8:9], 0
	global_store_byte v[0:1], v4, off
.LBB284_185:
	s_and_b64 vcc, exec, s[8:9]
	s_cbranch_vccz .LBB284_195
; %bb.186:
	v_cndmask_b32_e64 v2, 0, 1.0, s[4:5]
	s_mov_b32 s8, 0x43f00000
	v_cmp_gt_u32_e32 vcc, s8, v2
                                        ; implicit-def: $vgpr3
	s_and_saveexec_b64 s[8:9], vcc
	s_xor_b64 s[8:9], exec, s[8:9]
	s_cbranch_execz .LBB284_192
; %bb.187:
	s_mov_b32 s10, 0x3c7fffff
	v_cmp_lt_u32_e32 vcc, s10, v2
                                        ; implicit-def: $vgpr3
	s_and_saveexec_b64 s[10:11], vcc
	s_xor_b64 s[10:11], exec, s[10:11]
; %bb.188:
	v_bfe_u32 v3, v2, 20, 1
	s_mov_b32 s12, 0x407ffff
	v_add3_u32 v2, v2, v3, s12
	v_lshrrev_b32_e32 v3, 20, v2
	v_and_b32_e32 v2, 0xff00000, v2
	s_mov_b32 s12, 0x7f00000
	v_mov_b32_e32 v4, 0x7e
	v_cmp_ne_u32_e32 vcc, s12, v2
	v_cndmask_b32_e32 v3, v4, v3, vcc
                                        ; implicit-def: $vgpr2
; %bb.189:
	s_andn2_saveexec_b64 s[10:11], s[10:11]
; %bb.190:
	v_add_f32_e32 v3, 0x46800000, v2
; %bb.191:
	s_or_b64 exec, exec, s[10:11]
                                        ; implicit-def: $vgpr2
.LBB284_192:
	s_andn2_saveexec_b64 s[8:9], s[8:9]
; %bb.193:
	s_mov_b32 s10, 0x7f800000
	v_mov_b32_e32 v3, 0x7e
	v_mov_b32_e32 v4, 0x7f
	v_cmp_lt_u32_e32 vcc, s10, v2
	v_cndmask_b32_e32 v3, v3, v4, vcc
; %bb.194:
	s_or_b64 exec, exec, s[8:9]
	global_store_byte v[0:1], v3, off
.LBB284_195:
	s_mov_b64 s[8:9], 0
.LBB284_196:
	s_andn2_b64 vcc, exec, s[8:9]
	s_cbranch_vccnz .LBB284_206
; %bb.197:
	v_cndmask_b32_e64 v2, 0, 1.0, s[4:5]
	s_mov_b32 s8, 0x47800000
	v_cmp_gt_u32_e32 vcc, s8, v2
                                        ; implicit-def: $vgpr3
	s_and_saveexec_b64 s[8:9], vcc
	s_xor_b64 s[8:9], exec, s[8:9]
	s_cbranch_execz .LBB284_203
; %bb.198:
	s_mov_b32 s10, 0x387fffff
	v_cmp_lt_u32_e32 vcc, s10, v2
                                        ; implicit-def: $vgpr3
	s_and_saveexec_b64 s[10:11], vcc
	s_xor_b64 s[10:11], exec, s[10:11]
; %bb.199:
	v_bfe_u32 v3, v2, 21, 1
	s_mov_b32 s12, 0x80fffff
	v_add3_u32 v2, v2, v3, s12
	v_lshrrev_b32_e32 v3, 21, v2
                                        ; implicit-def: $vgpr2
; %bb.200:
	s_andn2_saveexec_b64 s[10:11], s[10:11]
; %bb.201:
	v_add_f32_e32 v3, 0x43000000, v2
; %bb.202:
	s_or_b64 exec, exec, s[10:11]
                                        ; implicit-def: $vgpr2
.LBB284_203:
	s_andn2_saveexec_b64 s[8:9], s[8:9]
; %bb.204:
	s_mov_b32 s10, 0x7f800000
	v_mov_b32_e32 v3, 0x7c
	v_mov_b32_e32 v4, 0x7f
	v_cmp_lt_u32_e32 vcc, s10, v2
	v_cndmask_b32_e32 v3, v3, v4, vcc
; %bb.205:
	s_or_b64 exec, exec, s[8:9]
	global_store_byte v[0:1], v3, off
.LBB284_206:
	s_mov_b64 s[10:11], 0
	s_mov_b64 s[8:9], -1
.LBB284_207:
	s_andn2_b64 vcc, exec, s[10:11]
	s_cbranch_vccnz .LBB284_215
; %bb.208:
	s_cmp_gt_i32 s15, 14
	s_mov_b64 s[10:11], -1
	s_cbranch_scc0 .LBB284_212
; %bb.209:
	s_cmp_eq_u32 s15, 15
	s_mov_b64 s[6:7], -1
	s_cbranch_scc0 .LBB284_211
; %bb.210:
	v_cndmask_b32_e64 v2, 0, 1.0, s[4:5]
	v_bfe_u32 v3, v2, 16, 1
	s_movk_i32 s6, 0x7fff
	v_add3_u32 v2, v2, v3, s6
	global_store_short_d16_hi v[0:1], v2, off
	s_mov_b64 s[8:9], -1
	s_mov_b64 s[6:7], 0
.LBB284_211:
	s_mov_b64 s[10:11], 0
.LBB284_212:
	s_and_b64 vcc, exec, s[10:11]
	s_cbranch_vccz .LBB284_215
; %bb.213:
	s_cmp_eq_u32 s15, 11
	s_mov_b64 s[6:7], -1
	s_cbranch_scc0 .LBB284_215
; %bb.214:
	v_cndmask_b32_e64 v2, 0, 1, s[4:5]
	s_mov_b64 s[8:9], -1
	s_mov_b64 s[6:7], 0
	global_store_byte v[0:1], v2, off
.LBB284_215:
	s_branch .LBB284_137
.LBB284_216:
	s_and_b32 s10, 0xffff, s14
	s_cmp_lt_i32 s10, 5
	s_mov_b64 s[8:9], -1
	s_cbranch_scc1 .LBB284_237
; %bb.217:
	s_cmp_lt_i32 s10, 8
	s_cbranch_scc1 .LBB284_227
; %bb.218:
	s_cmp_lt_i32 s10, 9
	s_cbranch_scc1 .LBB284_224
; %bb.219:
	s_cmp_gt_i32 s10, 9
	s_cbranch_scc0 .LBB284_221
; %bb.220:
	v_cndmask_b32_e64 v2, 0, 1, s[4:5]
	v_cvt_f64_u32_e32 v[2:3], v2
	v_mov_b32_e32 v4, 0
	v_mov_b32_e32 v5, v4
	s_mov_b64 s[8:9], 0
	global_store_dwordx4 v[0:1], v[2:5], off
.LBB284_221:
	s_andn2_b64 vcc, exec, s[8:9]
	s_cbranch_vccnz .LBB284_223
; %bb.222:
	v_cndmask_b32_e64 v2, 0, 1.0, s[4:5]
	v_mov_b32_e32 v3, 0
	global_store_dwordx2 v[0:1], v[2:3], off
.LBB284_223:
	s_mov_b64 s[8:9], 0
.LBB284_224:
	s_andn2_b64 vcc, exec, s[8:9]
	s_cbranch_vccnz .LBB284_226
; %bb.225:
	v_cndmask_b32_e64 v2, 0, 1.0, s[4:5]
	v_cvt_f16_f32_e32 v2, v2
	global_store_dword v[0:1], v2, off
.LBB284_226:
	s_mov_b64 s[8:9], 0
.LBB284_227:
	s_andn2_b64 vcc, exec, s[8:9]
	s_cbranch_vccnz .LBB284_236
; %bb.228:
	s_cmp_lt_i32 s10, 6
	s_mov_b64 s[8:9], -1
	s_cbranch_scc1 .LBB284_234
; %bb.229:
	s_cmp_gt_i32 s10, 6
	s_cbranch_scc0 .LBB284_231
; %bb.230:
	v_cndmask_b32_e64 v2, 0, 1, s[4:5]
	v_cvt_f64_u32_e32 v[2:3], v2
	s_mov_b64 s[8:9], 0
	global_store_dwordx2 v[0:1], v[2:3], off
.LBB284_231:
	s_andn2_b64 vcc, exec, s[8:9]
	s_cbranch_vccnz .LBB284_233
; %bb.232:
	v_cndmask_b32_e64 v2, 0, 1.0, s[4:5]
	global_store_dword v[0:1], v2, off
.LBB284_233:
	s_mov_b64 s[8:9], 0
.LBB284_234:
	s_andn2_b64 vcc, exec, s[8:9]
	s_cbranch_vccnz .LBB284_236
; %bb.235:
	v_cndmask_b32_e64 v2, 0, 1.0, s[4:5]
	v_cvt_f16_f32_e32 v2, v2
	global_store_short v[0:1], v2, off
.LBB284_236:
	s_mov_b64 s[8:9], 0
.LBB284_237:
	s_andn2_b64 vcc, exec, s[8:9]
	s_cbranch_vccnz .LBB284_253
; %bb.238:
	s_cmp_lt_i32 s10, 2
	s_mov_b64 s[8:9], -1
	s_cbranch_scc1 .LBB284_248
; %bb.239:
	s_cmp_lt_i32 s10, 3
	s_cbranch_scc1 .LBB284_245
; %bb.240:
	s_cmp_gt_i32 s10, 3
	s_cbranch_scc0 .LBB284_242
; %bb.241:
	s_mov_b32 s8, 0
	v_cndmask_b32_e64 v2, 0, 1, s[4:5]
	v_mov_b32_e32 v3, s8
	s_mov_b64 s[8:9], 0
	global_store_dwordx2 v[0:1], v[2:3], off
.LBB284_242:
	s_andn2_b64 vcc, exec, s[8:9]
	s_cbranch_vccnz .LBB284_244
; %bb.243:
	v_cndmask_b32_e64 v2, 0, 1, s[4:5]
	global_store_dword v[0:1], v2, off
.LBB284_244:
	s_mov_b64 s[8:9], 0
.LBB284_245:
	s_andn2_b64 vcc, exec, s[8:9]
	s_cbranch_vccnz .LBB284_247
; %bb.246:
	v_cndmask_b32_e64 v2, 0, 1, s[4:5]
	global_store_short v[0:1], v2, off
.LBB284_247:
	s_mov_b64 s[8:9], 0
.LBB284_248:
	s_andn2_b64 vcc, exec, s[8:9]
	s_cbranch_vccnz .LBB284_253
; %bb.249:
	s_mov_b64 s[8:9], -1
	s_cmp_gt_i32 s10, 0
	v_cndmask_b32_e64 v2, 0, 1, s[4:5]
	s_cbranch_scc0 .LBB284_251
; %bb.250:
	s_mov_b64 s[8:9], 0
	global_store_byte v[0:1], v2, off
.LBB284_251:
	s_andn2_b64 vcc, exec, s[8:9]
	s_cbranch_vccnz .LBB284_253
; %bb.252:
	global_store_byte v[0:1], v2, off
.LBB284_253:
	s_branch .LBB284_138
.LBB284_254:
	s_mov_b64 s[4:5], 0
                                        ; implicit-def: $vgpr10
.LBB284_255:
	s_andn2_b64 s[8:9], s[36:37], exec
	s_and_b64 s[6:7], s[6:7], exec
	s_or_b64 s[50:51], s[8:9], s[6:7]
	s_orn2_b64 s[10:11], s[4:5], exec
.LBB284_256:
	s_or_b64 exec, exec, s[52:53]
	s_mov_b64 s[4:5], 0
	s_mov_b64 s[8:9], 0
                                        ; implicit-def: $sgpr6_sgpr7
                                        ; implicit-def: $sgpr16
                                        ; implicit-def: $vgpr0_vgpr1
	s_and_saveexec_b64 s[52:53], s[10:11]
	s_cbranch_execz .LBB284_467
; %bb.257:
	v_cmp_gt_i32_e32 vcc, s58, v10
	s_mov_b64 s[8:9], -1
	s_mov_b64 s[56:57], s[50:51]
	s_and_saveexec_b64 s[54:55], vcc
	s_cbranch_execz .LBB284_386
; %bb.258:
	s_getpc_b64 s[4:5]
	s_add_u32 s4, s4, _ZN2at6native6invokeINS0_13AUnaryFunctorIN3c1013Float8_e4m3fnES4_bNS0_12_GLOBAL__N_116CompareEqFunctorIS4_EEEEi15function_traitsIS8_EEENT1_11result_typeERKT_PrKPcPKT0_PKNS3_10ScalarTypeEi@rel32@lo+4
	s_addc_u32 s5, s5, _ZN2at6native6invokeINS0_13AUnaryFunctorIN3c1013Float8_e4m3fnES4_bNS0_12_GLOBAL__N_116CompareEqFunctorIS4_EEEEi15function_traitsIS8_EEENT1_11result_typeERKT_PrKPcPKT0_PKNS3_10ScalarTypeEi@rel32@hi+12
	v_mov_b32_e32 v0, s46
	v_mov_b32_e32 v1, s38
	;; [unrolled: 1-line block ×7, first 2 shown]
	s_swappc_b64 s[30:31], s[4:5]
	v_and_b32_e32 v0, 1, v0
	v_cmp_eq_u32_e64 s[4:5], 1, v0
	v_mul_lo_u32 v0, v10, s44
	v_mov_b32_e32 v1, s41
	s_and_b32 s14, s39, 0xff
	s_cmp_lt_i32 s14, 11
	v_ashrrev_i32_e32 v2, 31, v0
	v_add_co_u32_e32 v0, vcc, s40, v0
	v_addc_co_u32_e32 v1, vcc, v1, v2, vcc
	s_cbranch_scc1 .LBB284_265
; %bb.259:
	s_and_b32 s15, 0xffff, s14
	s_cmp_gt_i32 s15, 25
	s_cbranch_scc0 .LBB284_266
; %bb.260:
	s_cmp_gt_i32 s15, 28
	s_cbranch_scc0 .LBB284_267
; %bb.261:
	;; [unrolled: 3-line block ×4, first 2 shown]
	s_mov_b64 s[10:11], 0
	s_mov_b64 s[6:7], -1
	s_cmp_eq_u32 s15, 46
	s_mov_b64 s[8:9], 0
	s_cbranch_scc0 .LBB284_274
; %bb.264:
	v_cndmask_b32_e64 v2, 0, 1.0, s[4:5]
	v_bfe_u32 v3, v2, 16, 1
	s_movk_i32 s6, 0x7fff
	v_add3_u32 v2, v2, v3, s6
	v_lshrrev_b32_e32 v2, 16, v2
	global_store_dword v[0:1], v2, off
	s_mov_b64 s[8:9], -1
	s_mov_b64 s[6:7], 0
	s_branch .LBB284_274
.LBB284_265:
	s_mov_b64 s[10:11], -1
	s_mov_b64 s[8:9], 0
	s_mov_b64 s[6:7], s[50:51]
	s_branch .LBB284_343
.LBB284_266:
	s_mov_b64 s[10:11], -1
	s_mov_b64 s[8:9], 0
	s_mov_b64 s[6:7], s[50:51]
	s_branch .LBB284_301
.LBB284_267:
	s_mov_b64 s[10:11], -1
	s_mov_b64 s[8:9], 0
	s_mov_b64 s[6:7], s[50:51]
	s_branch .LBB284_284
.LBB284_268:
	s_andn2_saveexec_b64 s[12:13], s[12:13]
	s_cbranch_execz .LBB284_168
.LBB284_269:
	v_add_f32_e32 v2, 0x46000000, v3
	v_and_b32_e32 v2, 0xff, v2
	v_cmp_ne_u32_e32 vcc, 0, v2
	s_andn2_b64 s[10:11], s[10:11], exec
	s_and_b64 s[16:17], vcc, exec
	s_or_b64 s[10:11], s[10:11], s[16:17]
	s_or_b64 exec, exec, s[12:13]
	v_mov_b32_e32 v4, 0
	s_and_saveexec_b64 s[12:13], s[10:11]
	s_cbranch_execnz .LBB284_169
	s_branch .LBB284_170
.LBB284_270:
	s_mov_b64 s[10:11], -1
	s_mov_b64 s[8:9], 0
	s_mov_b64 s[6:7], s[50:51]
	s_branch .LBB284_280
.LBB284_271:
	s_andn2_saveexec_b64 s[12:13], s[12:13]
	s_cbranch_execz .LBB284_181
.LBB284_272:
	v_add_f32_e32 v2, 0x42800000, v3
	v_and_b32_e32 v2, 0xff, v2
	v_cmp_ne_u32_e32 vcc, 0, v2
	s_andn2_b64 s[10:11], s[10:11], exec
	s_and_b64 s[16:17], vcc, exec
	s_or_b64 s[10:11], s[10:11], s[16:17]
	s_or_b64 exec, exec, s[12:13]
	v_mov_b32_e32 v4, 0
	s_and_saveexec_b64 s[12:13], s[10:11]
	s_cbranch_execnz .LBB284_182
	s_branch .LBB284_183
.LBB284_273:
	s_mov_b64 s[10:11], -1
	s_mov_b64 s[8:9], 0
	s_mov_b64 s[6:7], s[50:51]
.LBB284_274:
	s_and_b64 vcc, exec, s[10:11]
	s_cbranch_vccz .LBB284_279
; %bb.275:
	s_cmp_eq_u32 s15, 44
	s_mov_b64 s[6:7], -1
	s_cbranch_scc0 .LBB284_279
; %bb.276:
	v_cndmask_b32_e64 v3, 0, 1.0, s[4:5]
	v_lshrrev_b32_e32 v2, 23, v3
	s_movk_i32 s6, 0xff
	v_cmp_ne_u32_e32 vcc, s6, v2
	v_mov_b32_e32 v4, 0xff
	s_and_saveexec_b64 s[8:9], vcc
; %bb.277:
	s_mov_b32 s6, 0x3fffff
	v_and_b32_e32 v4, 0x400000, v3
	v_and_or_b32 v3, v3, s6, v2
	v_cmp_ne_u32_e32 vcc, 0, v4
	v_cmp_ne_u32_e64 s[6:7], 0, v3
	s_and_b64 s[6:7], vcc, s[6:7]
	v_cndmask_b32_e64 v3, 0, 1, s[6:7]
	v_add_u32_e32 v4, v2, v3
; %bb.278:
	s_or_b64 exec, exec, s[8:9]
	s_mov_b64 s[8:9], -1
	s_mov_b64 s[6:7], 0
	global_store_byte v[0:1], v4, off
.LBB284_279:
	s_mov_b64 s[10:11], 0
.LBB284_280:
	s_and_b64 vcc, exec, s[10:11]
	s_cbranch_vccz .LBB284_283
; %bb.281:
	s_cmp_eq_u32 s15, 29
	s_mov_b64 s[6:7], -1
	s_cbranch_scc0 .LBB284_283
; %bb.282:
	s_mov_b32 s6, 0
	v_cndmask_b32_e64 v2, 0, 1, s[4:5]
	v_mov_b32_e32 v3, s6
	global_store_dwordx2 v[0:1], v[2:3], off
	s_mov_b64 s[8:9], -1
	s_mov_b64 s[6:7], 0
.LBB284_283:
	s_mov_b64 s[10:11], 0
.LBB284_284:
	s_and_b64 vcc, exec, s[10:11]
	s_cbranch_vccz .LBB284_300
; %bb.285:
	s_cmp_lt_i32 s15, 27
	s_mov_b64 s[8:9], -1
	s_cbranch_scc1 .LBB284_291
; %bb.286:
	s_cmp_gt_i32 s15, 27
	s_cbranch_scc0 .LBB284_288
; %bb.287:
	v_cndmask_b32_e64 v2, 0, 1, s[4:5]
	s_mov_b64 s[8:9], 0
	global_store_dword v[0:1], v2, off
.LBB284_288:
	s_andn2_b64 vcc, exec, s[8:9]
	s_cbranch_vccnz .LBB284_290
; %bb.289:
	v_cndmask_b32_e64 v2, 0, 1, s[4:5]
	global_store_short v[0:1], v2, off
.LBB284_290:
	s_mov_b64 s[8:9], 0
.LBB284_291:
	s_andn2_b64 vcc, exec, s[8:9]
	s_cbranch_vccnz .LBB284_299
; %bb.292:
	v_cndmask_b32_e64 v3, 0, 1.0, s[4:5]
	s_mov_b32 s8, 0x43800000
	v_cmp_gt_u32_e32 vcc, s8, v3
	v_mov_b32_e32 v4, 0x80
	s_and_saveexec_b64 s[8:9], vcc
	s_cbranch_execz .LBB284_298
; %bb.293:
	s_mov_b32 s10, 0x3bffffff
	v_cmp_lt_u32_e32 vcc, s10, v3
	s_mov_b64 s[10:11], 0
                                        ; implicit-def: $vgpr2
	s_and_saveexec_b64 s[12:13], vcc
	s_xor_b64 s[12:13], exec, s[12:13]
	s_cbranch_execz .LBB284_998
; %bb.294:
	v_bfe_u32 v2, v3, 20, 1
	s_mov_b32 s16, 0x487ffff
	v_add3_u32 v2, v3, v2, s16
	s_mov_b64 s[10:11], exec
	v_lshrrev_b32_e32 v2, 20, v2
                                        ; implicit-def: $vgpr3
	s_andn2_saveexec_b64 s[12:13], s[12:13]
	s_cbranch_execnz .LBB284_999
.LBB284_295:
	s_or_b64 exec, exec, s[12:13]
	v_mov_b32_e32 v4, 0
	s_and_saveexec_b64 s[12:13], s[10:11]
.LBB284_296:
	v_mov_b32_e32 v4, v2
.LBB284_297:
	s_or_b64 exec, exec, s[12:13]
.LBB284_298:
	s_or_b64 exec, exec, s[8:9]
	global_store_byte v[0:1], v4, off
.LBB284_299:
	s_mov_b64 s[8:9], -1
.LBB284_300:
	s_mov_b64 s[10:11], 0
.LBB284_301:
	s_and_b64 vcc, exec, s[10:11]
	s_cbranch_vccz .LBB284_342
; %bb.302:
	s_cmp_gt_i32 s15, 22
	s_mov_b64 s[10:11], -1
	s_cbranch_scc0 .LBB284_334
; %bb.303:
	s_cmp_lt_i32 s15, 24
	s_mov_b64 s[8:9], -1
	s_cbranch_scc1 .LBB284_323
; %bb.304:
	s_cmp_gt_i32 s15, 24
	s_cbranch_scc0 .LBB284_312
; %bb.305:
	v_cndmask_b32_e64 v3, 0, 1.0, s[4:5]
	s_mov_b32 s8, 0x47800000
	v_cmp_gt_u32_e32 vcc, s8, v3
	v_mov_b32_e32 v4, 0x80
	s_and_saveexec_b64 s[8:9], vcc
	s_cbranch_execz .LBB284_311
; %bb.306:
	s_mov_b32 s10, 0x37ffffff
	v_cmp_lt_u32_e32 vcc, s10, v3
	s_mov_b64 s[10:11], 0
                                        ; implicit-def: $vgpr2
	s_and_saveexec_b64 s[12:13], vcc
	s_xor_b64 s[12:13], exec, s[12:13]
	s_cbranch_execz .LBB284_1005
; %bb.307:
	v_bfe_u32 v2, v3, 21, 1
	s_mov_b32 s16, 0x88fffff
	v_add3_u32 v2, v3, v2, s16
	s_mov_b64 s[10:11], exec
	v_lshrrev_b32_e32 v2, 21, v2
                                        ; implicit-def: $vgpr3
	s_andn2_saveexec_b64 s[12:13], s[12:13]
	s_cbranch_execnz .LBB284_1006
.LBB284_308:
	s_or_b64 exec, exec, s[12:13]
	v_mov_b32_e32 v4, 0
	s_and_saveexec_b64 s[12:13], s[10:11]
.LBB284_309:
	v_mov_b32_e32 v4, v2
.LBB284_310:
	s_or_b64 exec, exec, s[12:13]
.LBB284_311:
	s_or_b64 exec, exec, s[8:9]
	s_mov_b64 s[8:9], 0
	global_store_byte v[0:1], v4, off
.LBB284_312:
	s_and_b64 vcc, exec, s[8:9]
	s_cbranch_vccz .LBB284_322
; %bb.313:
	v_cndmask_b32_e64 v2, 0, 1.0, s[4:5]
	s_mov_b32 s8, 0x43f00000
	v_cmp_gt_u32_e32 vcc, s8, v2
                                        ; implicit-def: $vgpr3
	s_and_saveexec_b64 s[8:9], vcc
	s_xor_b64 s[8:9], exec, s[8:9]
	s_cbranch_execz .LBB284_319
; %bb.314:
	s_mov_b32 s10, 0x3c7fffff
	v_cmp_lt_u32_e32 vcc, s10, v2
                                        ; implicit-def: $vgpr3
	s_and_saveexec_b64 s[10:11], vcc
	s_xor_b64 s[10:11], exec, s[10:11]
; %bb.315:
	v_bfe_u32 v3, v2, 20, 1
	s_mov_b32 s12, 0x407ffff
	v_add3_u32 v2, v2, v3, s12
	v_lshrrev_b32_e32 v3, 20, v2
	v_and_b32_e32 v2, 0xff00000, v2
	s_mov_b32 s12, 0x7f00000
	v_mov_b32_e32 v4, 0x7e
	v_cmp_ne_u32_e32 vcc, s12, v2
	v_cndmask_b32_e32 v3, v4, v3, vcc
                                        ; implicit-def: $vgpr2
; %bb.316:
	s_andn2_saveexec_b64 s[10:11], s[10:11]
; %bb.317:
	v_add_f32_e32 v3, 0x46800000, v2
; %bb.318:
	s_or_b64 exec, exec, s[10:11]
                                        ; implicit-def: $vgpr2
.LBB284_319:
	s_andn2_saveexec_b64 s[8:9], s[8:9]
; %bb.320:
	s_mov_b32 s10, 0x7f800000
	v_mov_b32_e32 v3, 0x7e
	v_mov_b32_e32 v4, 0x7f
	v_cmp_lt_u32_e32 vcc, s10, v2
	v_cndmask_b32_e32 v3, v3, v4, vcc
; %bb.321:
	s_or_b64 exec, exec, s[8:9]
	global_store_byte v[0:1], v3, off
.LBB284_322:
	s_mov_b64 s[8:9], 0
.LBB284_323:
	s_andn2_b64 vcc, exec, s[8:9]
	s_cbranch_vccnz .LBB284_333
; %bb.324:
	v_cndmask_b32_e64 v2, 0, 1.0, s[4:5]
	s_mov_b32 s8, 0x47800000
	v_cmp_gt_u32_e32 vcc, s8, v2
                                        ; implicit-def: $vgpr3
	s_and_saveexec_b64 s[8:9], vcc
	s_xor_b64 s[8:9], exec, s[8:9]
	s_cbranch_execz .LBB284_330
; %bb.325:
	s_mov_b32 s10, 0x387fffff
	v_cmp_lt_u32_e32 vcc, s10, v2
                                        ; implicit-def: $vgpr3
	s_and_saveexec_b64 s[10:11], vcc
	s_xor_b64 s[10:11], exec, s[10:11]
; %bb.326:
	v_bfe_u32 v3, v2, 21, 1
	s_mov_b32 s12, 0x80fffff
	v_add3_u32 v2, v2, v3, s12
	v_lshrrev_b32_e32 v3, 21, v2
                                        ; implicit-def: $vgpr2
; %bb.327:
	s_andn2_saveexec_b64 s[10:11], s[10:11]
; %bb.328:
	v_add_f32_e32 v3, 0x43000000, v2
; %bb.329:
	s_or_b64 exec, exec, s[10:11]
                                        ; implicit-def: $vgpr2
.LBB284_330:
	s_andn2_saveexec_b64 s[8:9], s[8:9]
; %bb.331:
	s_mov_b32 s10, 0x7f800000
	v_mov_b32_e32 v3, 0x7c
	v_mov_b32_e32 v4, 0x7f
	v_cmp_lt_u32_e32 vcc, s10, v2
	v_cndmask_b32_e32 v3, v3, v4, vcc
; %bb.332:
	s_or_b64 exec, exec, s[8:9]
	global_store_byte v[0:1], v3, off
.LBB284_333:
	s_mov_b64 s[10:11], 0
	s_mov_b64 s[8:9], -1
.LBB284_334:
	s_andn2_b64 vcc, exec, s[10:11]
	s_cbranch_vccnz .LBB284_342
; %bb.335:
	s_cmp_gt_i32 s15, 14
	s_mov_b64 s[10:11], -1
	s_cbranch_scc0 .LBB284_339
; %bb.336:
	s_cmp_eq_u32 s15, 15
	s_mov_b64 s[6:7], -1
	s_cbranch_scc0 .LBB284_338
; %bb.337:
	v_cndmask_b32_e64 v2, 0, 1.0, s[4:5]
	v_bfe_u32 v3, v2, 16, 1
	s_movk_i32 s6, 0x7fff
	v_add3_u32 v2, v2, v3, s6
	global_store_short_d16_hi v[0:1], v2, off
	s_mov_b64 s[8:9], -1
	s_mov_b64 s[6:7], 0
.LBB284_338:
	s_mov_b64 s[10:11], 0
.LBB284_339:
	s_and_b64 vcc, exec, s[10:11]
	s_cbranch_vccz .LBB284_342
; %bb.340:
	s_cmp_eq_u32 s15, 11
	s_mov_b64 s[6:7], -1
	s_cbranch_scc0 .LBB284_342
; %bb.341:
	v_cndmask_b32_e64 v2, 0, 1, s[4:5]
	s_mov_b64 s[8:9], -1
	s_mov_b64 s[6:7], 0
	global_store_byte v[0:1], v2, off
.LBB284_342:
	s_mov_b64 s[10:11], 0
.LBB284_343:
	s_and_b64 vcc, exec, s[10:11]
	s_cbranch_vccz .LBB284_382
; %bb.344:
	s_and_b32 s10, 0xffff, s14
	s_cmp_lt_i32 s10, 5
	s_mov_b64 s[8:9], -1
	s_cbranch_scc1 .LBB284_365
; %bb.345:
	s_cmp_lt_i32 s10, 8
	s_cbranch_scc1 .LBB284_355
; %bb.346:
	s_cmp_lt_i32 s10, 9
	s_cbranch_scc1 .LBB284_352
; %bb.347:
	s_cmp_gt_i32 s10, 9
	s_cbranch_scc0 .LBB284_349
; %bb.348:
	v_cndmask_b32_e64 v2, 0, 1, s[4:5]
	v_cvt_f64_u32_e32 v[2:3], v2
	v_mov_b32_e32 v4, 0
	v_mov_b32_e32 v5, v4
	s_mov_b64 s[8:9], 0
	global_store_dwordx4 v[0:1], v[2:5], off
.LBB284_349:
	s_andn2_b64 vcc, exec, s[8:9]
	s_cbranch_vccnz .LBB284_351
; %bb.350:
	v_cndmask_b32_e64 v2, 0, 1.0, s[4:5]
	v_mov_b32_e32 v3, 0
	global_store_dwordx2 v[0:1], v[2:3], off
.LBB284_351:
	s_mov_b64 s[8:9], 0
.LBB284_352:
	s_andn2_b64 vcc, exec, s[8:9]
	s_cbranch_vccnz .LBB284_354
; %bb.353:
	v_cndmask_b32_e64 v2, 0, 1.0, s[4:5]
	v_cvt_f16_f32_e32 v2, v2
	global_store_dword v[0:1], v2, off
.LBB284_354:
	s_mov_b64 s[8:9], 0
.LBB284_355:
	s_andn2_b64 vcc, exec, s[8:9]
	s_cbranch_vccnz .LBB284_364
; %bb.356:
	s_cmp_lt_i32 s10, 6
	s_mov_b64 s[8:9], -1
	s_cbranch_scc1 .LBB284_362
; %bb.357:
	s_cmp_gt_i32 s10, 6
	s_cbranch_scc0 .LBB284_359
; %bb.358:
	v_cndmask_b32_e64 v2, 0, 1, s[4:5]
	v_cvt_f64_u32_e32 v[2:3], v2
	s_mov_b64 s[8:9], 0
	global_store_dwordx2 v[0:1], v[2:3], off
.LBB284_359:
	s_andn2_b64 vcc, exec, s[8:9]
	s_cbranch_vccnz .LBB284_361
; %bb.360:
	v_cndmask_b32_e64 v2, 0, 1.0, s[4:5]
	global_store_dword v[0:1], v2, off
.LBB284_361:
	s_mov_b64 s[8:9], 0
.LBB284_362:
	s_andn2_b64 vcc, exec, s[8:9]
	s_cbranch_vccnz .LBB284_364
; %bb.363:
	v_cndmask_b32_e64 v2, 0, 1.0, s[4:5]
	v_cvt_f16_f32_e32 v2, v2
	global_store_short v[0:1], v2, off
.LBB284_364:
	s_mov_b64 s[8:9], 0
.LBB284_365:
	s_andn2_b64 vcc, exec, s[8:9]
	s_cbranch_vccnz .LBB284_381
; %bb.366:
	s_cmp_lt_i32 s10, 2
	s_mov_b64 s[8:9], -1
	s_cbranch_scc1 .LBB284_376
; %bb.367:
	s_cmp_lt_i32 s10, 3
	s_cbranch_scc1 .LBB284_373
; %bb.368:
	s_cmp_gt_i32 s10, 3
	s_cbranch_scc0 .LBB284_370
; %bb.369:
	s_mov_b32 s8, 0
	v_cndmask_b32_e64 v2, 0, 1, s[4:5]
	v_mov_b32_e32 v3, s8
	s_mov_b64 s[8:9], 0
	global_store_dwordx2 v[0:1], v[2:3], off
.LBB284_370:
	s_andn2_b64 vcc, exec, s[8:9]
	s_cbranch_vccnz .LBB284_372
; %bb.371:
	v_cndmask_b32_e64 v2, 0, 1, s[4:5]
	global_store_dword v[0:1], v2, off
.LBB284_372:
	s_mov_b64 s[8:9], 0
.LBB284_373:
	s_andn2_b64 vcc, exec, s[8:9]
	s_cbranch_vccnz .LBB284_375
; %bb.374:
	v_cndmask_b32_e64 v2, 0, 1, s[4:5]
	global_store_short v[0:1], v2, off
.LBB284_375:
	s_mov_b64 s[8:9], 0
.LBB284_376:
	s_andn2_b64 vcc, exec, s[8:9]
	s_cbranch_vccnz .LBB284_381
; %bb.377:
	s_mov_b64 s[8:9], -1
	s_cmp_gt_i32 s10, 0
	v_cndmask_b32_e64 v2, 0, 1, s[4:5]
	s_cbranch_scc0 .LBB284_379
; %bb.378:
	s_mov_b64 s[8:9], 0
	global_store_byte v[0:1], v2, off
.LBB284_379:
	s_andn2_b64 vcc, exec, s[8:9]
	s_cbranch_vccnz .LBB284_381
; %bb.380:
	global_store_byte v[0:1], v2, off
.LBB284_381:
	s_mov_b64 s[8:9], -1
.LBB284_382:
	s_andn2_b64 vcc, exec, s[8:9]
	s_cbranch_vccnz .LBB284_384
; %bb.383:
	v_add_u32_e32 v10, 0x80, v10
	s_mov_b64 s[4:5], -1
	s_branch .LBB284_385
.LBB284_384:
	s_mov_b64 s[4:5], 0
                                        ; implicit-def: $vgpr10
.LBB284_385:
	s_andn2_b64 s[8:9], s[50:51], exec
	s_and_b64 s[6:7], s[6:7], exec
	s_or_b64 s[56:57], s[8:9], s[6:7]
	s_orn2_b64 s[8:9], s[4:5], exec
.LBB284_386:
	s_or_b64 exec, exec, s[54:55]
	s_mov_b64 s[4:5], 0
	s_mov_b64 s[12:13], 0
                                        ; implicit-def: $sgpr6_sgpr7
                                        ; implicit-def: $sgpr16
                                        ; implicit-def: $vgpr0_vgpr1
	s_and_saveexec_b64 s[54:55], s[8:9]
	s_cbranch_execz .LBB284_466
; %bb.387:
	v_cmp_gt_i32_e32 vcc, s58, v10
	s_mov_b64 s[8:9], 0
	s_mov_b64 s[10:11], s[56:57]
                                        ; implicit-def: $sgpr6_sgpr7
                                        ; implicit-def: $sgpr16
                                        ; implicit-def: $vgpr0_vgpr1
	s_and_saveexec_b64 s[58:59], vcc
	s_cbranch_execz .LBB284_465
; %bb.388:
	s_getpc_b64 s[4:5]
	s_add_u32 s4, s4, _ZN2at6native6invokeINS0_13AUnaryFunctorIN3c1013Float8_e4m3fnES4_bNS0_12_GLOBAL__N_116CompareEqFunctorIS4_EEEEi15function_traitsIS8_EEENT1_11result_typeERKT_PrKPcPKT0_PKNS3_10ScalarTypeEi@rel32@lo+4
	s_addc_u32 s5, s5, _ZN2at6native6invokeINS0_13AUnaryFunctorIN3c1013Float8_e4m3fnES4_bNS0_12_GLOBAL__N_116CompareEqFunctorIS4_EEEEi15function_traitsIS8_EEENT1_11result_typeERKT_PrKPcPKT0_PKNS3_10ScalarTypeEi@rel32@hi+12
	v_mov_b32_e32 v0, s46
	v_mov_b32_e32 v1, s38
	;; [unrolled: 1-line block ×7, first 2 shown]
	s_swappc_b64 s[30:31], s[4:5]
	v_and_b32_e32 v0, 1, v0
	v_cmp_eq_u32_e64 s[6:7], 1, v0
	v_mul_lo_u32 v0, v10, s44
	v_mov_b32_e32 v1, s41
	s_and_b32 s16, s39, 0xff
	s_cmp_lt_i32 s16, 11
	v_ashrrev_i32_e32 v2, 31, v0
	v_add_co_u32_e32 v0, vcc, s40, v0
	v_addc_co_u32_e32 v1, vcc, v1, v2, vcc
	s_cbranch_scc1 .LBB284_462
; %bb.389:
	s_and_b32 s17, 0xffff, s16
	s_mov_b64 s[10:11], -1
	s_cmp_gt_i32 s17, 25
	s_mov_b64 s[4:5], s[56:57]
	s_cbranch_scc0 .LBB284_422
; %bb.390:
	s_mov_b64 s[8:9], -1
	s_cmp_gt_i32 s17, 28
	s_mov_b64 s[4:5], s[56:57]
	s_cbranch_scc0 .LBB284_406
; %bb.391:
	s_cmp_gt_i32 s17, 43
	s_mov_b64 s[4:5], s[56:57]
	s_cbranch_scc0 .LBB284_402
; %bb.392:
	;; [unrolled: 4-line block ×3, first 2 shown]
	s_cmp_eq_u32 s17, 46
	s_mov_b64 s[4:5], -1
	s_cbranch_scc0 .LBB284_395
; %bb.394:
	v_cndmask_b32_e64 v2, 0, 1.0, s[6:7]
	v_bfe_u32 v3, v2, 16, 1
	s_movk_i32 s4, 0x7fff
	v_add3_u32 v2, v2, v3, s4
	v_lshrrev_b32_e32 v2, 16, v2
	global_store_dword v[0:1], v2, off
	s_mov_b64 s[4:5], 0
.LBB284_395:
	s_mov_b64 s[8:9], 0
.LBB284_396:
	s_and_b64 vcc, exec, s[8:9]
	s_cbranch_vccz .LBB284_401
; %bb.397:
	s_cmp_eq_u32 s17, 44
	s_mov_b64 s[4:5], -1
	s_cbranch_scc0 .LBB284_401
; %bb.398:
	v_cndmask_b32_e64 v3, 0, 1.0, s[6:7]
	v_lshrrev_b32_e32 v2, 23, v3
	s_movk_i32 s4, 0xff
	v_cmp_ne_u32_e32 vcc, s4, v2
	v_mov_b32_e32 v4, 0xff
	s_and_saveexec_b64 s[8:9], vcc
; %bb.399:
	s_mov_b32 s4, 0x3fffff
	v_and_b32_e32 v4, 0x400000, v3
	v_and_or_b32 v3, v3, s4, v2
	v_cmp_ne_u32_e32 vcc, 0, v4
	v_cmp_ne_u32_e64 s[4:5], 0, v3
	s_and_b64 s[4:5], vcc, s[4:5]
	v_cndmask_b32_e64 v3, 0, 1, s[4:5]
	v_add_u32_e32 v4, v2, v3
; %bb.400:
	s_or_b64 exec, exec, s[8:9]
	s_mov_b64 s[4:5], 0
	global_store_byte v[0:1], v4, off
.LBB284_401:
	s_mov_b64 s[8:9], 0
.LBB284_402:
	s_and_b64 vcc, exec, s[8:9]
	s_cbranch_vccz .LBB284_405
; %bb.403:
	s_cmp_eq_u32 s17, 29
	s_mov_b64 s[4:5], -1
	s_cbranch_scc0 .LBB284_405
; %bb.404:
	s_mov_b32 s4, 0
	v_cndmask_b32_e64 v2, 0, 1, s[6:7]
	v_mov_b32_e32 v3, s4
	global_store_dwordx2 v[0:1], v[2:3], off
	s_mov_b64 s[4:5], 0
.LBB284_405:
	s_mov_b64 s[8:9], 0
.LBB284_406:
	s_and_b64 vcc, exec, s[8:9]
	s_cbranch_vccz .LBB284_421
; %bb.407:
	s_cmp_lt_i32 s17, 27
	s_mov_b64 s[8:9], -1
	s_cbranch_scc1 .LBB284_413
; %bb.408:
	s_cmp_gt_i32 s17, 27
	v_cndmask_b32_e64 v2, 0, 1, s[6:7]
	s_cbranch_scc0 .LBB284_410
; %bb.409:
	s_mov_b64 s[8:9], 0
	global_store_dword v[0:1], v2, off
.LBB284_410:
	s_andn2_b64 vcc, exec, s[8:9]
	s_cbranch_vccnz .LBB284_412
; %bb.411:
	global_store_short v[0:1], v2, off
.LBB284_412:
	s_mov_b64 s[8:9], 0
.LBB284_413:
	s_andn2_b64 vcc, exec, s[8:9]
	s_cbranch_vccnz .LBB284_421
; %bb.414:
	v_cndmask_b32_e64 v3, 0, 1.0, s[6:7]
	s_mov_b32 s8, 0x43800000
	v_cmp_gt_u32_e32 vcc, s8, v3
	v_mov_b32_e32 v4, 0x80
	s_and_saveexec_b64 s[8:9], vcc
	s_cbranch_execz .LBB284_420
; %bb.415:
	s_mov_b32 s10, 0x3bffffff
	v_cmp_lt_u32_e32 vcc, s10, v3
	s_mov_b64 s[10:11], 0
                                        ; implicit-def: $vgpr2
	s_and_saveexec_b64 s[12:13], vcc
	s_xor_b64 s[12:13], exec, s[12:13]
	s_cbranch_execz .LBB284_1007
; %bb.416:
	v_bfe_u32 v2, v3, 20, 1
	s_mov_b32 s14, 0x487ffff
	v_add3_u32 v2, v3, v2, s14
	s_mov_b64 s[10:11], exec
	v_lshrrev_b32_e32 v2, 20, v2
                                        ; implicit-def: $vgpr3
	s_andn2_saveexec_b64 s[12:13], s[12:13]
	s_cbranch_execnz .LBB284_1008
.LBB284_417:
	s_or_b64 exec, exec, s[12:13]
	v_mov_b32_e32 v4, 0
	s_and_saveexec_b64 s[12:13], s[10:11]
.LBB284_418:
	v_mov_b32_e32 v4, v2
.LBB284_419:
	s_or_b64 exec, exec, s[12:13]
.LBB284_420:
	s_or_b64 exec, exec, s[8:9]
	global_store_byte v[0:1], v4, off
.LBB284_421:
	s_mov_b64 s[10:11], 0
.LBB284_422:
	s_mov_b64 s[8:9], 0
	s_and_b64 vcc, exec, s[10:11]
	s_cbranch_vccz .LBB284_463
; %bb.423:
	s_cmp_gt_i32 s17, 22
	s_mov_b64 s[10:11], -1
	s_cbranch_scc0 .LBB284_455
; %bb.424:
	s_cmp_lt_i32 s17, 24
	s_cbranch_scc1 .LBB284_444
; %bb.425:
	s_cmp_gt_i32 s17, 24
	s_cbranch_scc0 .LBB284_433
; %bb.426:
	v_cndmask_b32_e64 v3, 0, 1.0, s[6:7]
	s_mov_b32 s10, 0x47800000
	v_cmp_gt_u32_e32 vcc, s10, v3
	v_mov_b32_e32 v4, 0x80
	s_and_saveexec_b64 s[10:11], vcc
	s_cbranch_execz .LBB284_432
; %bb.427:
	s_mov_b32 s12, 0x37ffffff
	v_cmp_lt_u32_e32 vcc, s12, v3
	s_mov_b64 s[12:13], 0
                                        ; implicit-def: $vgpr2
	s_and_saveexec_b64 s[14:15], vcc
	s_xor_b64 s[14:15], exec, s[14:15]
	s_cbranch_execz .LBB284_1011
; %bb.428:
	v_bfe_u32 v2, v3, 21, 1
	s_mov_b32 s18, 0x88fffff
	v_add3_u32 v2, v3, v2, s18
	s_mov_b64 s[12:13], exec
	v_lshrrev_b32_e32 v2, 21, v2
                                        ; implicit-def: $vgpr3
	s_andn2_saveexec_b64 s[14:15], s[14:15]
	s_cbranch_execnz .LBB284_1012
.LBB284_429:
	s_or_b64 exec, exec, s[14:15]
	v_mov_b32_e32 v4, 0
	s_and_saveexec_b64 s[14:15], s[12:13]
.LBB284_430:
	v_mov_b32_e32 v4, v2
.LBB284_431:
	s_or_b64 exec, exec, s[14:15]
.LBB284_432:
	s_or_b64 exec, exec, s[10:11]
	s_mov_b64 s[10:11], 0
	global_store_byte v[0:1], v4, off
.LBB284_433:
	s_and_b64 vcc, exec, s[10:11]
	s_cbranch_vccz .LBB284_443
; %bb.434:
	v_cndmask_b32_e64 v2, 0, 1.0, s[6:7]
	s_mov_b32 s10, 0x43f00000
	v_cmp_gt_u32_e32 vcc, s10, v2
                                        ; implicit-def: $vgpr3
	s_and_saveexec_b64 s[10:11], vcc
	s_xor_b64 s[10:11], exec, s[10:11]
	s_cbranch_execz .LBB284_440
; %bb.435:
	s_mov_b32 s12, 0x3c7fffff
	v_cmp_lt_u32_e32 vcc, s12, v2
                                        ; implicit-def: $vgpr3
	s_and_saveexec_b64 s[12:13], vcc
	s_xor_b64 s[12:13], exec, s[12:13]
; %bb.436:
	v_bfe_u32 v3, v2, 20, 1
	s_mov_b32 s14, 0x407ffff
	v_add3_u32 v2, v2, v3, s14
	v_lshrrev_b32_e32 v3, 20, v2
	v_and_b32_e32 v2, 0xff00000, v2
	s_mov_b32 s14, 0x7f00000
	v_mov_b32_e32 v4, 0x7e
	v_cmp_ne_u32_e32 vcc, s14, v2
	v_cndmask_b32_e32 v3, v4, v3, vcc
                                        ; implicit-def: $vgpr2
; %bb.437:
	s_andn2_saveexec_b64 s[12:13], s[12:13]
; %bb.438:
	v_add_f32_e32 v3, 0x46800000, v2
; %bb.439:
	s_or_b64 exec, exec, s[12:13]
                                        ; implicit-def: $vgpr2
.LBB284_440:
	s_andn2_saveexec_b64 s[10:11], s[10:11]
; %bb.441:
	s_mov_b32 s12, 0x7f800000
	v_mov_b32_e32 v3, 0x7e
	v_mov_b32_e32 v4, 0x7f
	v_cmp_lt_u32_e32 vcc, s12, v2
	v_cndmask_b32_e32 v3, v3, v4, vcc
; %bb.442:
	s_or_b64 exec, exec, s[10:11]
	global_store_byte v[0:1], v3, off
.LBB284_443:
	s_mov_b64 s[10:11], 0
.LBB284_444:
	s_andn2_b64 vcc, exec, s[10:11]
	s_cbranch_vccnz .LBB284_454
; %bb.445:
	v_cndmask_b32_e64 v2, 0, 1.0, s[6:7]
	s_mov_b32 s10, 0x47800000
	v_cmp_gt_u32_e32 vcc, s10, v2
                                        ; implicit-def: $vgpr3
	s_and_saveexec_b64 s[10:11], vcc
	s_xor_b64 s[10:11], exec, s[10:11]
	s_cbranch_execz .LBB284_451
; %bb.446:
	s_mov_b32 s12, 0x387fffff
	v_cmp_lt_u32_e32 vcc, s12, v2
                                        ; implicit-def: $vgpr3
	s_and_saveexec_b64 s[12:13], vcc
	s_xor_b64 s[12:13], exec, s[12:13]
; %bb.447:
	v_bfe_u32 v3, v2, 21, 1
	s_mov_b32 s14, 0x80fffff
	v_add3_u32 v2, v2, v3, s14
	v_lshrrev_b32_e32 v3, 21, v2
                                        ; implicit-def: $vgpr2
; %bb.448:
	s_andn2_saveexec_b64 s[12:13], s[12:13]
; %bb.449:
	v_add_f32_e32 v3, 0x43000000, v2
; %bb.450:
	s_or_b64 exec, exec, s[12:13]
                                        ; implicit-def: $vgpr2
.LBB284_451:
	s_andn2_saveexec_b64 s[10:11], s[10:11]
; %bb.452:
	s_mov_b32 s12, 0x7f800000
	v_mov_b32_e32 v3, 0x7c
	v_mov_b32_e32 v4, 0x7f
	v_cmp_lt_u32_e32 vcc, s12, v2
	v_cndmask_b32_e32 v3, v3, v4, vcc
; %bb.453:
	s_or_b64 exec, exec, s[10:11]
	global_store_byte v[0:1], v3, off
.LBB284_454:
	s_mov_b64 s[10:11], 0
.LBB284_455:
	s_andn2_b64 vcc, exec, s[10:11]
	s_mov_b64 s[10:11], 0
	s_cbranch_vccnz .LBB284_464
; %bb.456:
	s_cmp_gt_i32 s17, 14
	s_mov_b64 s[12:13], -1
	s_cbranch_scc0 .LBB284_460
; %bb.457:
	s_cmp_eq_u32 s17, 15
	s_mov_b64 s[4:5], -1
	s_cbranch_scc0 .LBB284_459
; %bb.458:
	v_cndmask_b32_e64 v2, 0, 1.0, s[6:7]
	v_bfe_u32 v3, v2, 16, 1
	s_movk_i32 s4, 0x7fff
	v_add3_u32 v2, v2, v3, s4
	global_store_short_d16_hi v[0:1], v2, off
	s_mov_b64 s[4:5], 0
.LBB284_459:
	s_mov_b64 s[12:13], 0
.LBB284_460:
	s_and_b64 vcc, exec, s[12:13]
	s_cbranch_vccz .LBB284_464
; %bb.461:
	s_cmp_lg_u32 s17, 11
	s_cselect_b64 s[12:13], -1, 0
	s_andn2_b64 s[4:5], s[4:5], exec
	s_and_b64 s[12:13], s[12:13], exec
	s_mov_b64 s[10:11], -1
	s_or_b64 s[4:5], s[4:5], s[12:13]
	s_branch .LBB284_464
.LBB284_462:
	s_mov_b64 s[10:11], 0
	s_mov_b64 s[8:9], -1
	s_mov_b64 s[4:5], s[56:57]
	s_branch .LBB284_464
.LBB284_463:
	s_mov_b64 s[10:11], 0
.LBB284_464:
	s_and_b64 s[12:13], s[8:9], exec
	s_and_b64 s[8:9], s[10:11], exec
	s_andn2_b64 s[10:11], s[56:57], exec
	s_and_b64 s[4:5], s[4:5], exec
	s_or_b64 s[10:11], s[10:11], s[4:5]
.LBB284_465:
	s_or_b64 exec, exec, s[58:59]
	s_and_b64 s[4:5], s[8:9], exec
	s_andn2_b64 s[8:9], s[56:57], exec
	s_and_b64 s[10:11], s[10:11], exec
	s_and_b64 s[12:13], s[12:13], exec
	s_or_b64 s[56:57], s[8:9], s[10:11]
.LBB284_466:
	s_or_b64 exec, exec, s[54:55]
	s_and_b64 s[8:9], s[12:13], exec
	s_andn2_b64 s[10:11], s[50:51], exec
	s_and_b64 s[12:13], s[56:57], exec
	s_and_b64 s[4:5], s[4:5], exec
	s_or_b64 s[50:51], s[10:11], s[12:13]
.LBB284_467:
	s_or_b64 exec, exec, s[52:53]
	s_and_b64 s[52:53], s[4:5], exec
	s_andn2_b64 s[4:5], s[36:37], exec
	s_and_b64 s[10:11], s[50:51], exec
	s_and_b64 s[8:9], s[8:9], exec
	s_or_b64 s[36:37], s[4:5], s[10:11]
	s_or_b64 exec, exec, s[48:49]
	s_mov_b64 s[4:5], 0
	s_and_saveexec_b64 s[10:11], s[36:37]
	s_cbranch_execz .LBB284_134
.LBB284_468:
	s_mov_b64 s[4:5], exec
	s_andn2_b64 s[52:53], s[52:53], exec
	s_trap 2
	s_or_b64 exec, exec, s[10:11]
	s_and_saveexec_b64 s[10:11], s[52:53]
	s_xor_b64 s[10:11], exec, s[10:11]
	s_cbranch_execnz .LBB284_135
.LBB284_469:
	s_or_b64 exec, exec, s[10:11]
	s_and_saveexec_b64 s[10:11], s[8:9]
	s_xor_b64 s[8:9], exec, s[10:11]
	s_cbranch_execz .LBB284_507
.LBB284_470:
	s_sext_i32_i16 s12, s16
	s_cmp_lt_i32 s12, 5
	s_mov_b64 s[10:11], -1
	s_cbranch_scc1 .LBB284_491
; %bb.471:
	s_cmp_lt_i32 s12, 8
	s_cbranch_scc1 .LBB284_481
; %bb.472:
	s_cmp_lt_i32 s12, 9
	s_cbranch_scc1 .LBB284_478
; %bb.473:
	s_cmp_gt_i32 s12, 9
	s_cbranch_scc0 .LBB284_475
; %bb.474:
	v_cndmask_b32_e64 v2, 0, 1, s[6:7]
	v_cvt_f64_u32_e32 v[2:3], v2
	v_mov_b32_e32 v4, 0
	v_mov_b32_e32 v5, v4
	s_mov_b64 s[10:11], 0
	global_store_dwordx4 v[0:1], v[2:5], off
.LBB284_475:
	s_andn2_b64 vcc, exec, s[10:11]
	s_cbranch_vccnz .LBB284_477
; %bb.476:
	v_cndmask_b32_e64 v2, 0, 1.0, s[6:7]
	v_mov_b32_e32 v3, 0
	global_store_dwordx2 v[0:1], v[2:3], off
.LBB284_477:
	s_mov_b64 s[10:11], 0
.LBB284_478:
	s_andn2_b64 vcc, exec, s[10:11]
	s_cbranch_vccnz .LBB284_480
; %bb.479:
	v_cndmask_b32_e64 v2, 0, 1.0, s[6:7]
	v_cvt_f16_f32_e32 v2, v2
	global_store_dword v[0:1], v2, off
.LBB284_480:
	s_mov_b64 s[10:11], 0
.LBB284_481:
	s_andn2_b64 vcc, exec, s[10:11]
	s_cbranch_vccnz .LBB284_490
; %bb.482:
	s_sext_i32_i16 s12, s16
	s_cmp_lt_i32 s12, 6
	s_mov_b64 s[10:11], -1
	s_cbranch_scc1 .LBB284_488
; %bb.483:
	s_cmp_gt_i32 s12, 6
	s_cbranch_scc0 .LBB284_485
; %bb.484:
	v_cndmask_b32_e64 v2, 0, 1, s[6:7]
	v_cvt_f64_u32_e32 v[2:3], v2
	s_mov_b64 s[10:11], 0
	global_store_dwordx2 v[0:1], v[2:3], off
.LBB284_485:
	s_andn2_b64 vcc, exec, s[10:11]
	s_cbranch_vccnz .LBB284_487
; %bb.486:
	v_cndmask_b32_e64 v2, 0, 1.0, s[6:7]
	global_store_dword v[0:1], v2, off
.LBB284_487:
	s_mov_b64 s[10:11], 0
.LBB284_488:
	s_andn2_b64 vcc, exec, s[10:11]
	s_cbranch_vccnz .LBB284_490
; %bb.489:
	v_cndmask_b32_e64 v2, 0, 1.0, s[6:7]
	v_cvt_f16_f32_e32 v2, v2
	global_store_short v[0:1], v2, off
.LBB284_490:
	s_mov_b64 s[10:11], 0
.LBB284_491:
	s_andn2_b64 vcc, exec, s[10:11]
	s_cbranch_vccnz .LBB284_507
; %bb.492:
	s_sext_i32_i16 s12, s16
	s_cmp_lt_i32 s12, 2
	s_mov_b64 s[10:11], -1
	s_cbranch_scc1 .LBB284_502
; %bb.493:
	s_cmp_lt_i32 s12, 3
	s_cbranch_scc1 .LBB284_499
; %bb.494:
	s_cmp_gt_i32 s12, 3
	s_cbranch_scc0 .LBB284_496
; %bb.495:
	s_mov_b32 s10, 0
	v_cndmask_b32_e64 v2, 0, 1, s[6:7]
	v_mov_b32_e32 v3, s10
	s_mov_b64 s[10:11], 0
	global_store_dwordx2 v[0:1], v[2:3], off
.LBB284_496:
	s_andn2_b64 vcc, exec, s[10:11]
	s_cbranch_vccnz .LBB284_498
; %bb.497:
	v_cndmask_b32_e64 v2, 0, 1, s[6:7]
	global_store_dword v[0:1], v2, off
.LBB284_498:
	s_mov_b64 s[10:11], 0
.LBB284_499:
	s_andn2_b64 vcc, exec, s[10:11]
	s_cbranch_vccnz .LBB284_501
; %bb.500:
	v_cndmask_b32_e64 v2, 0, 1, s[6:7]
	global_store_short v[0:1], v2, off
.LBB284_501:
	s_mov_b64 s[10:11], 0
.LBB284_502:
	s_andn2_b64 vcc, exec, s[10:11]
	s_cbranch_vccnz .LBB284_507
; %bb.503:
	s_sext_i32_i16 s12, s16
	s_mov_b64 s[10:11], -1
	s_cmp_gt_i32 s12, 0
	v_cndmask_b32_e64 v2, 0, 1, s[6:7]
	s_cbranch_scc0 .LBB284_505
; %bb.504:
	s_mov_b64 s[10:11], 0
	global_store_byte v[0:1], v2, off
.LBB284_505:
	s_andn2_b64 vcc, exec, s[10:11]
	s_cbranch_vccnz .LBB284_507
; %bb.506:
	global_store_byte v[0:1], v2, off
.LBB284_507:
	s_or_b64 exec, exec, s[8:9]
	s_and_b64 s[48:49], s[4:5], exec
                                        ; implicit-def: $vgpr10
                                        ; implicit-def: $vgpr11
.LBB284_508:
	s_or_saveexec_b64 s[50:51], s[34:35]
	s_mov_b64 s[4:5], 0
                                        ; implicit-def: $sgpr6_sgpr7
                                        ; implicit-def: $sgpr18
                                        ; implicit-def: $vgpr0_vgpr1
	s_xor_b64 exec, exec, s[50:51]
	s_cbranch_execz .LBB284_941
; %bb.509:
	s_getpc_b64 s[52:53]
	s_add_u32 s52, s52, _ZN2at6native6invokeINS0_13AUnaryFunctorIN3c1013Float8_e4m3fnES4_bNS0_12_GLOBAL__N_116CompareEqFunctorIS4_EEEEi15function_traitsIS8_EEENT1_11result_typeERKT_PrKPcPKT0_PKNS3_10ScalarTypeEi@rel32@lo+4
	s_addc_u32 s53, s53, _ZN2at6native6invokeINS0_13AUnaryFunctorIN3c1013Float8_e4m3fnES4_bNS0_12_GLOBAL__N_116CompareEqFunctorIS4_EEEEi15function_traitsIS8_EEENT1_11result_typeERKT_PrKPcPKT0_PKNS3_10ScalarTypeEi@rel32@hi+12
	v_mov_b32_e32 v0, s46
	v_mov_b32_e32 v1, s38
	;; [unrolled: 1-line block ×7, first 2 shown]
	v_add_u32_e32 v12, 0x80, v10
	v_add_u32_e32 v13, 0x100, v10
	s_swappc_b64 s[30:31], s[52:53]
	v_and_b32_e32 v0, 1, v0
	v_cmp_eq_u32_e64 s[36:37], 1, v0
	v_mov_b32_e32 v0, s46
	v_mov_b32_e32 v1, s38
	v_mov_b32_e32 v2, s42
	v_mov_b32_e32 v3, s43
	v_mov_b32_e32 v4, s45
	v_mov_b32_e32 v5, s33
	v_mov_b32_e32 v6, v12
	s_swappc_b64 s[30:31], s[52:53]
	v_and_b32_e32 v0, 1, v0
	v_cmp_eq_u32_e64 s[34:35], 1, v0
	v_mov_b32_e32 v0, s46
	v_mov_b32_e32 v1, s38
	v_mov_b32_e32 v2, s42
	v_mov_b32_e32 v3, s43
	v_mov_b32_e32 v4, s45
	v_mov_b32_e32 v5, s33
	v_mov_b32_e32 v6, v13
	;; [unrolled: 10-line block ×3, first 2 shown]
	s_swappc_b64 s[30:31], s[52:53]
	v_mul_lo_u32 v2, s44, v10
	v_and_b32_e32 v0, 1, v0
	v_cmp_eq_u32_e64 s[6:7], 1, v0
	v_mov_b32_e32 v1, s41
	s_and_b32 s18, s39, 0xff
	v_ashrrev_i32_e32 v3, 31, v2
	v_add_co_u32_e32 v0, vcc, s40, v2
	s_cmp_lt_i32 s18, 11
	v_addc_co_u32_e32 v1, vcc, v1, v3, vcc
	s_cbranch_scc1 .LBB284_588
; %bb.510:
	s_and_b32 s16, 0xffff, s18
	s_mov_b64 s[8:9], -1
	s_mov_b64 s[10:11], 0
	s_cmp_gt_i32 s16, 25
	s_mov_b64 s[12:13], 0
	s_mov_b64 s[4:5], 0
	s_cbranch_scc0 .LBB284_543
; %bb.511:
	s_cmp_gt_i32 s16, 28
	s_cbranch_scc0 .LBB284_526
; %bb.512:
	s_cmp_gt_i32 s16, 43
	s_cbranch_scc0 .LBB284_522
; %bb.513:
	s_cmp_gt_i32 s16, 45
	s_cbranch_scc0 .LBB284_516
; %bb.514:
	s_mov_b64 s[4:5], -1
	s_mov_b64 s[8:9], 0
	s_cmp_eq_u32 s16, 46
	s_cbranch_scc0 .LBB284_516
; %bb.515:
	v_cndmask_b32_e64 v3, 0, 1.0, s[36:37]
	v_bfe_u32 v4, v3, 16, 1
	s_movk_i32 s4, 0x7fff
	v_add3_u32 v3, v3, v4, s4
	v_lshrrev_b32_e32 v3, 16, v3
	global_store_dword v[0:1], v3, off
	s_mov_b64 s[4:5], 0
	s_mov_b64 s[12:13], -1
.LBB284_516:
	s_and_b64 vcc, exec, s[8:9]
	s_cbranch_vccz .LBB284_521
; %bb.517:
	s_cmp_eq_u32 s16, 44
	s_mov_b64 s[4:5], -1
	s_cbranch_scc0 .LBB284_521
; %bb.518:
	v_cndmask_b32_e64 v4, 0, 1.0, s[36:37]
	v_lshrrev_b32_e32 v3, 23, v4
	s_movk_i32 s4, 0xff
	v_cmp_ne_u32_e32 vcc, s4, v3
	v_mov_b32_e32 v5, 0xff
	s_and_saveexec_b64 s[8:9], vcc
; %bb.519:
	s_mov_b32 s4, 0x3fffff
	v_and_b32_e32 v5, 0x400000, v4
	v_and_or_b32 v4, v4, s4, v3
	v_cmp_ne_u32_e32 vcc, 0, v5
	v_cmp_ne_u32_e64 s[4:5], 0, v4
	s_and_b64 s[4:5], vcc, s[4:5]
	v_cndmask_b32_e64 v4, 0, 1, s[4:5]
	v_add_u32_e32 v5, v3, v4
; %bb.520:
	s_or_b64 exec, exec, s[8:9]
	s_mov_b64 s[4:5], 0
	s_mov_b64 s[12:13], -1
	global_store_byte v[0:1], v5, off
.LBB284_521:
	s_mov_b64 s[8:9], 0
.LBB284_522:
	s_and_b64 vcc, exec, s[8:9]
	s_cbranch_vccz .LBB284_525
; %bb.523:
	s_cmp_eq_u32 s16, 29
	s_mov_b64 s[4:5], -1
	s_cbranch_scc0 .LBB284_525
; %bb.524:
	s_mov_b32 s4, 0
	v_cndmask_b32_e64 v3, 0, 1, s[36:37]
	v_mov_b32_e32 v4, s4
	global_store_dwordx2 v[0:1], v[3:4], off
	s_mov_b64 s[4:5], 0
	s_mov_b64 s[12:13], -1
.LBB284_525:
	s_mov_b64 s[8:9], 0
.LBB284_526:
	s_and_b64 vcc, exec, s[8:9]
	s_cbranch_vccz .LBB284_542
; %bb.527:
	s_cmp_lt_i32 s16, 27
	s_mov_b64 s[8:9], -1
	s_cbranch_scc1 .LBB284_533
; %bb.528:
	s_cmp_gt_i32 s16, 27
	s_cbranch_scc0 .LBB284_530
; %bb.529:
	v_cndmask_b32_e64 v3, 0, 1, s[36:37]
	s_mov_b64 s[8:9], 0
	global_store_dword v[0:1], v3, off
.LBB284_530:
	s_andn2_b64 vcc, exec, s[8:9]
	s_cbranch_vccnz .LBB284_532
; %bb.531:
	v_cndmask_b32_e64 v3, 0, 1, s[36:37]
	global_store_short v[0:1], v3, off
.LBB284_532:
	s_mov_b64 s[8:9], 0
.LBB284_533:
	s_andn2_b64 vcc, exec, s[8:9]
	s_cbranch_vccnz .LBB284_541
; %bb.534:
	v_cndmask_b32_e64 v4, 0, 1.0, s[36:37]
	s_mov_b32 s8, 0x43800000
	v_cmp_gt_u32_e32 vcc, s8, v4
	v_mov_b32_e32 v5, 0x80
	s_and_saveexec_b64 s[8:9], vcc
	s_cbranch_execz .LBB284_540
; %bb.535:
	s_mov_b32 s12, 0x3bffffff
	v_cmp_lt_u32_e32 vcc, s12, v4
	s_mov_b64 s[12:13], 0
                                        ; implicit-def: $vgpr3
	s_and_saveexec_b64 s[14:15], vcc
	s_xor_b64 s[14:15], exec, s[14:15]
	s_cbranch_execz .LBB284_985
; %bb.536:
	v_bfe_u32 v3, v4, 20, 1
	s_mov_b32 s17, 0x487ffff
	v_add3_u32 v3, v4, v3, s17
	s_mov_b64 s[12:13], exec
	v_lshrrev_b32_e32 v3, 20, v3
                                        ; implicit-def: $vgpr4
	s_andn2_saveexec_b64 s[14:15], s[14:15]
	s_cbranch_execnz .LBB284_986
.LBB284_537:
	s_or_b64 exec, exec, s[14:15]
	v_mov_b32_e32 v5, 0
	s_and_saveexec_b64 s[14:15], s[12:13]
.LBB284_538:
	v_mov_b32_e32 v5, v3
.LBB284_539:
	s_or_b64 exec, exec, s[14:15]
.LBB284_540:
	s_or_b64 exec, exec, s[8:9]
	global_store_byte v[0:1], v5, off
.LBB284_541:
	s_mov_b64 s[12:13], -1
.LBB284_542:
	s_mov_b64 s[8:9], 0
.LBB284_543:
	s_and_b64 vcc, exec, s[8:9]
	s_cbranch_vccz .LBB284_583
; %bb.544:
	s_cmp_gt_i32 s16, 22
	s_mov_b64 s[8:9], -1
	s_cbranch_scc0 .LBB284_576
; %bb.545:
	s_cmp_lt_i32 s16, 24
	s_cbranch_scc1 .LBB284_565
; %bb.546:
	s_cmp_gt_i32 s16, 24
	s_cbranch_scc0 .LBB284_554
; %bb.547:
	v_cndmask_b32_e64 v4, 0, 1.0, s[36:37]
	s_mov_b32 s8, 0x47800000
	v_cmp_gt_u32_e32 vcc, s8, v4
	v_mov_b32_e32 v5, 0x80
	s_and_saveexec_b64 s[8:9], vcc
	s_cbranch_execz .LBB284_553
; %bb.548:
	s_mov_b32 s10, 0x37ffffff
	v_cmp_lt_u32_e32 vcc, s10, v4
	s_mov_b64 s[10:11], 0
                                        ; implicit-def: $vgpr3
	s_and_saveexec_b64 s[12:13], vcc
	s_xor_b64 s[12:13], exec, s[12:13]
	s_cbranch_execz .LBB284_988
; %bb.549:
	v_bfe_u32 v3, v4, 21, 1
	s_mov_b32 s14, 0x88fffff
	v_add3_u32 v3, v4, v3, s14
	s_mov_b64 s[10:11], exec
	v_lshrrev_b32_e32 v3, 21, v3
                                        ; implicit-def: $vgpr4
	s_andn2_saveexec_b64 s[12:13], s[12:13]
	s_cbranch_execnz .LBB284_989
.LBB284_550:
	s_or_b64 exec, exec, s[12:13]
	v_mov_b32_e32 v5, 0
	s_and_saveexec_b64 s[12:13], s[10:11]
.LBB284_551:
	v_mov_b32_e32 v5, v3
.LBB284_552:
	s_or_b64 exec, exec, s[12:13]
.LBB284_553:
	s_or_b64 exec, exec, s[8:9]
	s_mov_b64 s[8:9], 0
	global_store_byte v[0:1], v5, off
.LBB284_554:
	s_and_b64 vcc, exec, s[8:9]
	s_cbranch_vccz .LBB284_564
; %bb.555:
	v_cndmask_b32_e64 v3, 0, 1.0, s[36:37]
	s_mov_b32 s8, 0x43f00000
	v_cmp_gt_u32_e32 vcc, s8, v3
                                        ; implicit-def: $vgpr4
	s_and_saveexec_b64 s[8:9], vcc
	s_xor_b64 s[8:9], exec, s[8:9]
	s_cbranch_execz .LBB284_561
; %bb.556:
	s_mov_b32 s10, 0x3c7fffff
	v_cmp_lt_u32_e32 vcc, s10, v3
                                        ; implicit-def: $vgpr4
	s_and_saveexec_b64 s[10:11], vcc
	s_xor_b64 s[10:11], exec, s[10:11]
; %bb.557:
	v_bfe_u32 v4, v3, 20, 1
	s_mov_b32 s12, 0x407ffff
	v_add3_u32 v3, v3, v4, s12
	v_lshrrev_b32_e32 v4, 20, v3
	v_and_b32_e32 v3, 0xff00000, v3
	s_mov_b32 s12, 0x7f00000
	v_mov_b32_e32 v5, 0x7e
	v_cmp_ne_u32_e32 vcc, s12, v3
	v_cndmask_b32_e32 v4, v5, v4, vcc
                                        ; implicit-def: $vgpr3
; %bb.558:
	s_andn2_saveexec_b64 s[10:11], s[10:11]
; %bb.559:
	v_add_f32_e32 v4, 0x46800000, v3
; %bb.560:
	s_or_b64 exec, exec, s[10:11]
                                        ; implicit-def: $vgpr3
.LBB284_561:
	s_andn2_saveexec_b64 s[8:9], s[8:9]
; %bb.562:
	s_mov_b32 s10, 0x7f800000
	v_mov_b32_e32 v4, 0x7e
	v_mov_b32_e32 v5, 0x7f
	v_cmp_lt_u32_e32 vcc, s10, v3
	v_cndmask_b32_e32 v4, v4, v5, vcc
; %bb.563:
	s_or_b64 exec, exec, s[8:9]
	global_store_byte v[0:1], v4, off
.LBB284_564:
	s_mov_b64 s[8:9], 0
.LBB284_565:
	s_andn2_b64 vcc, exec, s[8:9]
	s_cbranch_vccnz .LBB284_575
; %bb.566:
	v_cndmask_b32_e64 v3, 0, 1.0, s[36:37]
	s_mov_b32 s8, 0x47800000
	v_cmp_gt_u32_e32 vcc, s8, v3
                                        ; implicit-def: $vgpr4
	s_and_saveexec_b64 s[8:9], vcc
	s_xor_b64 s[8:9], exec, s[8:9]
	s_cbranch_execz .LBB284_572
; %bb.567:
	s_mov_b32 s10, 0x387fffff
	v_cmp_lt_u32_e32 vcc, s10, v3
                                        ; implicit-def: $vgpr4
	s_and_saveexec_b64 s[10:11], vcc
	s_xor_b64 s[10:11], exec, s[10:11]
; %bb.568:
	v_bfe_u32 v4, v3, 21, 1
	s_mov_b32 s12, 0x80fffff
	v_add3_u32 v3, v3, v4, s12
	v_lshrrev_b32_e32 v4, 21, v3
                                        ; implicit-def: $vgpr3
; %bb.569:
	s_andn2_saveexec_b64 s[10:11], s[10:11]
; %bb.570:
	v_add_f32_e32 v4, 0x43000000, v3
; %bb.571:
	s_or_b64 exec, exec, s[10:11]
                                        ; implicit-def: $vgpr3
.LBB284_572:
	s_andn2_saveexec_b64 s[8:9], s[8:9]
; %bb.573:
	s_mov_b32 s10, 0x7f800000
	v_mov_b32_e32 v4, 0x7c
	v_mov_b32_e32 v5, 0x7f
	v_cmp_lt_u32_e32 vcc, s10, v3
	v_cndmask_b32_e32 v4, v4, v5, vcc
; %bb.574:
	s_or_b64 exec, exec, s[8:9]
	global_store_byte v[0:1], v4, off
.LBB284_575:
	s_mov_b64 s[8:9], 0
	s_mov_b64 s[12:13], -1
.LBB284_576:
	s_andn2_b64 vcc, exec, s[8:9]
	s_mov_b64 s[10:11], 0
	s_cbranch_vccnz .LBB284_583
; %bb.577:
	s_cmp_gt_i32 s16, 14
	s_mov_b64 s[8:9], -1
	s_cbranch_scc0 .LBB284_581
; %bb.578:
	s_cmp_eq_u32 s16, 15
	s_mov_b64 s[4:5], -1
	s_cbranch_scc0 .LBB284_580
; %bb.579:
	v_cndmask_b32_e64 v3, 0, 1.0, s[36:37]
	v_bfe_u32 v4, v3, 16, 1
	s_movk_i32 s4, 0x7fff
	v_add3_u32 v3, v3, v4, s4
	global_store_short_d16_hi v[0:1], v3, off
	s_mov_b64 s[4:5], 0
	s_mov_b64 s[12:13], -1
.LBB284_580:
	s_mov_b64 s[8:9], 0
.LBB284_581:
	s_and_b64 vcc, exec, s[8:9]
	s_cbranch_vccz .LBB284_583
; %bb.582:
	s_cmp_lg_u32 s16, 11
	s_mov_b64 s[10:11], -1
	s_cselect_b64 s[4:5], -1, 0
.LBB284_583:
	s_and_b64 vcc, exec, s[4:5]
	s_mov_b64 s[8:9], s[48:49]
	s_cbranch_vccnz .LBB284_987
; %bb.584:
	s_andn2_b64 vcc, exec, s[10:11]
	s_cbranch_vccnz .LBB284_586
.LBB284_585:
	v_cndmask_b32_e64 v3, 0, 1, s[36:37]
	global_store_byte v[0:1], v3, off
	s_mov_b64 s[12:13], -1
.LBB284_586:
.LBB284_587:
	s_andn2_b64 vcc, exec, s[12:13]
	s_cbranch_vccz .LBB284_627
	s_branch .LBB284_939
.LBB284_588:
	s_mov_b64 s[12:13], 0
	s_mov_b64 s[8:9], s[48:49]
	s_cbranch_execz .LBB284_587
; %bb.589:
	s_and_b32 s10, 0xffff, s18
	s_cmp_lt_i32 s10, 5
	s_mov_b64 s[4:5], -1
	s_cbranch_scc1 .LBB284_610
; %bb.590:
	s_cmp_lt_i32 s10, 8
	s_cbranch_scc1 .LBB284_600
; %bb.591:
	s_cmp_lt_i32 s10, 9
	s_cbranch_scc1 .LBB284_597
; %bb.592:
	s_cmp_gt_i32 s10, 9
	s_cbranch_scc0 .LBB284_594
; %bb.593:
	v_cndmask_b32_e64 v3, 0, 1, s[36:37]
	v_cvt_f64_u32_e32 v[3:4], v3
	v_mov_b32_e32 v5, 0
	v_mov_b32_e32 v6, v5
	s_mov_b64 s[4:5], 0
	global_store_dwordx4 v[0:1], v[3:6], off
.LBB284_594:
	s_andn2_b64 vcc, exec, s[4:5]
	s_cbranch_vccnz .LBB284_596
; %bb.595:
	v_cndmask_b32_e64 v3, 0, 1.0, s[36:37]
	v_mov_b32_e32 v4, 0
	global_store_dwordx2 v[0:1], v[3:4], off
.LBB284_596:
	s_mov_b64 s[4:5], 0
.LBB284_597:
	s_andn2_b64 vcc, exec, s[4:5]
	s_cbranch_vccnz .LBB284_599
; %bb.598:
	v_cndmask_b32_e64 v3, 0, 1.0, s[36:37]
	v_cvt_f16_f32_e32 v3, v3
	global_store_dword v[0:1], v3, off
.LBB284_599:
	s_mov_b64 s[4:5], 0
.LBB284_600:
	s_andn2_b64 vcc, exec, s[4:5]
	s_cbranch_vccnz .LBB284_609
; %bb.601:
	s_cmp_lt_i32 s10, 6
	s_mov_b64 s[4:5], -1
	s_cbranch_scc1 .LBB284_607
; %bb.602:
	s_cmp_gt_i32 s10, 6
	s_cbranch_scc0 .LBB284_604
; %bb.603:
	v_cndmask_b32_e64 v3, 0, 1, s[36:37]
	v_cvt_f64_u32_e32 v[3:4], v3
	s_mov_b64 s[4:5], 0
	global_store_dwordx2 v[0:1], v[3:4], off
.LBB284_604:
	s_andn2_b64 vcc, exec, s[4:5]
	s_cbranch_vccnz .LBB284_606
; %bb.605:
	v_cndmask_b32_e64 v3, 0, 1.0, s[36:37]
	global_store_dword v[0:1], v3, off
.LBB284_606:
	s_mov_b64 s[4:5], 0
.LBB284_607:
	s_andn2_b64 vcc, exec, s[4:5]
	s_cbranch_vccnz .LBB284_609
; %bb.608:
	v_cndmask_b32_e64 v3, 0, 1.0, s[36:37]
	v_cvt_f16_f32_e32 v3, v3
	global_store_short v[0:1], v3, off
.LBB284_609:
	s_mov_b64 s[4:5], 0
.LBB284_610:
	s_andn2_b64 vcc, exec, s[4:5]
	s_cbranch_vccnz .LBB284_626
; %bb.611:
	s_cmp_lt_i32 s10, 2
	s_mov_b64 s[4:5], -1
	s_cbranch_scc1 .LBB284_621
; %bb.612:
	s_cmp_lt_i32 s10, 3
	s_cbranch_scc1 .LBB284_618
; %bb.613:
	s_cmp_gt_i32 s10, 3
	s_cbranch_scc0 .LBB284_615
; %bb.614:
	s_mov_b32 s4, 0
	v_cndmask_b32_e64 v3, 0, 1, s[36:37]
	v_mov_b32_e32 v4, s4
	global_store_dwordx2 v[0:1], v[3:4], off
	s_mov_b64 s[4:5], 0
.LBB284_615:
	s_andn2_b64 vcc, exec, s[4:5]
	s_cbranch_vccnz .LBB284_617
; %bb.616:
	v_cndmask_b32_e64 v3, 0, 1, s[36:37]
	global_store_dword v[0:1], v3, off
.LBB284_617:
	s_mov_b64 s[4:5], 0
.LBB284_618:
	s_andn2_b64 vcc, exec, s[4:5]
	s_cbranch_vccnz .LBB284_620
; %bb.619:
	v_cndmask_b32_e64 v3, 0, 1, s[36:37]
	global_store_short v[0:1], v3, off
.LBB284_620:
	s_mov_b64 s[4:5], 0
.LBB284_621:
	s_andn2_b64 vcc, exec, s[4:5]
	s_cbranch_vccnz .LBB284_626
; %bb.622:
	s_mov_b64 s[4:5], -1
	s_cmp_gt_i32 s10, 0
	v_cndmask_b32_e64 v3, 0, 1, s[36:37]
	s_cbranch_scc0 .LBB284_624
; %bb.623:
	global_store_byte v[0:1], v3, off
	s_mov_b64 s[4:5], 0
.LBB284_624:
	s_andn2_b64 vcc, exec, s[4:5]
	s_cbranch_vccnz .LBB284_626
; %bb.625:
	global_store_byte v[0:1], v3, off
.LBB284_626:
.LBB284_627:
	s_lshl_b32 s19, s44, 7
	v_add_u32_e32 v2, s19, v2
	v_ashrrev_i32_e32 v1, 31, v2
	v_mov_b32_e32 v3, s41
	v_add_co_u32_e32 v0, vcc, s40, v2
	s_cmp_lt_i32 s18, 11
	v_addc_co_u32_e32 v1, vcc, v3, v1, vcc
	s_cbranch_scc1 .LBB284_706
; %bb.628:
	s_and_b32 s20, 0xffff, s18
	s_mov_b64 s[14:15], -1
	s_mov_b64 s[10:11], 0
	s_cmp_gt_i32 s20, 25
	s_mov_b64 s[12:13], 0
	s_mov_b64 s[4:5], 0
	s_cbranch_scc0 .LBB284_661
; %bb.629:
	s_cmp_gt_i32 s20, 28
	s_cbranch_scc0 .LBB284_644
; %bb.630:
	s_cmp_gt_i32 s20, 43
	s_cbranch_scc0 .LBB284_640
; %bb.631:
	s_cmp_gt_i32 s20, 45
	s_cbranch_scc0 .LBB284_634
; %bb.632:
	s_mov_b64 s[4:5], -1
	s_mov_b64 s[14:15], 0
	s_cmp_eq_u32 s20, 46
	s_cbranch_scc0 .LBB284_634
; %bb.633:
	v_cndmask_b32_e64 v3, 0, 1.0, s[34:35]
	v_bfe_u32 v4, v3, 16, 1
	s_movk_i32 s4, 0x7fff
	v_add3_u32 v3, v3, v4, s4
	v_lshrrev_b32_e32 v3, 16, v3
	global_store_dword v[0:1], v3, off
	s_mov_b64 s[4:5], 0
	s_mov_b64 s[12:13], -1
.LBB284_634:
	s_and_b64 vcc, exec, s[14:15]
	s_cbranch_vccz .LBB284_639
; %bb.635:
	s_cmp_eq_u32 s20, 44
	s_mov_b64 s[4:5], -1
	s_cbranch_scc0 .LBB284_639
; %bb.636:
	v_cndmask_b32_e64 v4, 0, 1.0, s[34:35]
	v_lshrrev_b32_e32 v3, 23, v4
	s_movk_i32 s4, 0xff
	v_cmp_ne_u32_e32 vcc, s4, v3
	v_mov_b32_e32 v5, 0xff
	s_and_saveexec_b64 s[12:13], vcc
; %bb.637:
	s_mov_b32 s4, 0x3fffff
	v_and_b32_e32 v5, 0x400000, v4
	v_and_or_b32 v4, v4, s4, v3
	v_cmp_ne_u32_e32 vcc, 0, v5
	v_cmp_ne_u32_e64 s[4:5], 0, v4
	s_and_b64 s[4:5], vcc, s[4:5]
	v_cndmask_b32_e64 v4, 0, 1, s[4:5]
	v_add_u32_e32 v5, v3, v4
; %bb.638:
	s_or_b64 exec, exec, s[12:13]
	s_mov_b64 s[4:5], 0
	s_mov_b64 s[12:13], -1
	global_store_byte v[0:1], v5, off
.LBB284_639:
	s_mov_b64 s[14:15], 0
.LBB284_640:
	s_and_b64 vcc, exec, s[14:15]
	s_cbranch_vccz .LBB284_643
; %bb.641:
	s_cmp_eq_u32 s20, 29
	s_mov_b64 s[4:5], -1
	s_cbranch_scc0 .LBB284_643
; %bb.642:
	s_mov_b32 s4, 0
	v_cndmask_b32_e64 v3, 0, 1, s[34:35]
	v_mov_b32_e32 v4, s4
	global_store_dwordx2 v[0:1], v[3:4], off
	s_mov_b64 s[4:5], 0
	s_mov_b64 s[12:13], -1
.LBB284_643:
	s_mov_b64 s[14:15], 0
.LBB284_644:
	s_and_b64 vcc, exec, s[14:15]
	s_cbranch_vccz .LBB284_660
; %bb.645:
	s_cmp_lt_i32 s20, 27
	s_mov_b64 s[12:13], -1
	s_cbranch_scc1 .LBB284_651
; %bb.646:
	s_cmp_gt_i32 s20, 27
	s_cbranch_scc0 .LBB284_648
; %bb.647:
	v_cndmask_b32_e64 v3, 0, 1, s[34:35]
	s_mov_b64 s[12:13], 0
	global_store_dword v[0:1], v3, off
.LBB284_648:
	s_andn2_b64 vcc, exec, s[12:13]
	s_cbranch_vccnz .LBB284_650
; %bb.649:
	v_cndmask_b32_e64 v3, 0, 1, s[34:35]
	global_store_short v[0:1], v3, off
.LBB284_650:
	s_mov_b64 s[12:13], 0
.LBB284_651:
	s_andn2_b64 vcc, exec, s[12:13]
	s_cbranch_vccnz .LBB284_659
; %bb.652:
	v_cndmask_b32_e64 v4, 0, 1.0, s[34:35]
	s_mov_b32 s12, 0x43800000
	v_cmp_gt_u32_e32 vcc, s12, v4
	v_mov_b32_e32 v5, 0x80
	s_and_saveexec_b64 s[12:13], vcc
	s_cbranch_execz .LBB284_658
; %bb.653:
	s_mov_b32 s14, 0x3bffffff
	v_cmp_lt_u32_e32 vcc, s14, v4
	s_mov_b64 s[14:15], 0
                                        ; implicit-def: $vgpr3
	s_and_saveexec_b64 s[16:17], vcc
	s_xor_b64 s[16:17], exec, s[16:17]
	s_cbranch_execz .LBB284_990
; %bb.654:
	v_bfe_u32 v3, v4, 20, 1
	s_mov_b32 s21, 0x487ffff
	v_add3_u32 v3, v4, v3, s21
	s_mov_b64 s[14:15], exec
	v_lshrrev_b32_e32 v3, 20, v3
                                        ; implicit-def: $vgpr4
	s_andn2_saveexec_b64 s[16:17], s[16:17]
	s_cbranch_execnz .LBB284_991
.LBB284_655:
	s_or_b64 exec, exec, s[16:17]
	v_mov_b32_e32 v5, 0
	s_and_saveexec_b64 s[16:17], s[14:15]
.LBB284_656:
	v_mov_b32_e32 v5, v3
.LBB284_657:
	s_or_b64 exec, exec, s[16:17]
.LBB284_658:
	s_or_b64 exec, exec, s[12:13]
	global_store_byte v[0:1], v5, off
.LBB284_659:
	s_mov_b64 s[12:13], -1
.LBB284_660:
	s_mov_b64 s[14:15], 0
.LBB284_661:
	s_and_b64 vcc, exec, s[14:15]
	s_cbranch_vccz .LBB284_701
; %bb.662:
	s_cmp_gt_i32 s20, 22
	s_mov_b64 s[10:11], -1
	s_cbranch_scc0 .LBB284_694
; %bb.663:
	s_cmp_lt_i32 s20, 24
	s_cbranch_scc1 .LBB284_683
; %bb.664:
	s_cmp_gt_i32 s20, 24
	s_cbranch_scc0 .LBB284_672
; %bb.665:
	v_cndmask_b32_e64 v4, 0, 1.0, s[34:35]
	s_mov_b32 s10, 0x47800000
	v_cmp_gt_u32_e32 vcc, s10, v4
	v_mov_b32_e32 v5, 0x80
	s_and_saveexec_b64 s[10:11], vcc
	s_cbranch_execz .LBB284_671
; %bb.666:
	s_mov_b32 s12, 0x37ffffff
	v_cmp_lt_u32_e32 vcc, s12, v4
	s_mov_b64 s[12:13], 0
                                        ; implicit-def: $vgpr3
	s_and_saveexec_b64 s[14:15], vcc
	s_xor_b64 s[14:15], exec, s[14:15]
	s_cbranch_execz .LBB284_993
; %bb.667:
	v_bfe_u32 v3, v4, 21, 1
	s_mov_b32 s16, 0x88fffff
	v_add3_u32 v3, v4, v3, s16
	s_mov_b64 s[12:13], exec
	v_lshrrev_b32_e32 v3, 21, v3
                                        ; implicit-def: $vgpr4
	s_andn2_saveexec_b64 s[14:15], s[14:15]
	s_cbranch_execnz .LBB284_994
.LBB284_668:
	s_or_b64 exec, exec, s[14:15]
	v_mov_b32_e32 v5, 0
	s_and_saveexec_b64 s[14:15], s[12:13]
.LBB284_669:
	v_mov_b32_e32 v5, v3
.LBB284_670:
	s_or_b64 exec, exec, s[14:15]
.LBB284_671:
	s_or_b64 exec, exec, s[10:11]
	s_mov_b64 s[10:11], 0
	global_store_byte v[0:1], v5, off
.LBB284_672:
	s_and_b64 vcc, exec, s[10:11]
	s_cbranch_vccz .LBB284_682
; %bb.673:
	v_cndmask_b32_e64 v3, 0, 1.0, s[34:35]
	s_mov_b32 s10, 0x43f00000
	v_cmp_gt_u32_e32 vcc, s10, v3
                                        ; implicit-def: $vgpr4
	s_and_saveexec_b64 s[10:11], vcc
	s_xor_b64 s[10:11], exec, s[10:11]
	s_cbranch_execz .LBB284_679
; %bb.674:
	s_mov_b32 s12, 0x3c7fffff
	v_cmp_lt_u32_e32 vcc, s12, v3
                                        ; implicit-def: $vgpr4
	s_and_saveexec_b64 s[12:13], vcc
	s_xor_b64 s[12:13], exec, s[12:13]
; %bb.675:
	v_bfe_u32 v4, v3, 20, 1
	s_mov_b32 s14, 0x407ffff
	v_add3_u32 v3, v3, v4, s14
	v_lshrrev_b32_e32 v4, 20, v3
	v_and_b32_e32 v3, 0xff00000, v3
	s_mov_b32 s14, 0x7f00000
	v_mov_b32_e32 v5, 0x7e
	v_cmp_ne_u32_e32 vcc, s14, v3
	v_cndmask_b32_e32 v4, v5, v4, vcc
                                        ; implicit-def: $vgpr3
; %bb.676:
	s_andn2_saveexec_b64 s[12:13], s[12:13]
; %bb.677:
	v_add_f32_e32 v4, 0x46800000, v3
; %bb.678:
	s_or_b64 exec, exec, s[12:13]
                                        ; implicit-def: $vgpr3
.LBB284_679:
	s_andn2_saveexec_b64 s[10:11], s[10:11]
; %bb.680:
	s_mov_b32 s12, 0x7f800000
	v_mov_b32_e32 v4, 0x7e
	v_mov_b32_e32 v5, 0x7f
	v_cmp_lt_u32_e32 vcc, s12, v3
	v_cndmask_b32_e32 v4, v4, v5, vcc
; %bb.681:
	s_or_b64 exec, exec, s[10:11]
	global_store_byte v[0:1], v4, off
.LBB284_682:
	s_mov_b64 s[10:11], 0
.LBB284_683:
	s_andn2_b64 vcc, exec, s[10:11]
	s_cbranch_vccnz .LBB284_693
; %bb.684:
	v_cndmask_b32_e64 v3, 0, 1.0, s[34:35]
	s_mov_b32 s10, 0x47800000
	v_cmp_gt_u32_e32 vcc, s10, v3
                                        ; implicit-def: $vgpr4
	s_and_saveexec_b64 s[10:11], vcc
	s_xor_b64 s[10:11], exec, s[10:11]
	s_cbranch_execz .LBB284_690
; %bb.685:
	s_mov_b32 s12, 0x387fffff
	v_cmp_lt_u32_e32 vcc, s12, v3
                                        ; implicit-def: $vgpr4
	s_and_saveexec_b64 s[12:13], vcc
	s_xor_b64 s[12:13], exec, s[12:13]
; %bb.686:
	v_bfe_u32 v4, v3, 21, 1
	s_mov_b32 s14, 0x80fffff
	v_add3_u32 v3, v3, v4, s14
	v_lshrrev_b32_e32 v4, 21, v3
                                        ; implicit-def: $vgpr3
; %bb.687:
	s_andn2_saveexec_b64 s[12:13], s[12:13]
; %bb.688:
	v_add_f32_e32 v4, 0x43000000, v3
; %bb.689:
	s_or_b64 exec, exec, s[12:13]
                                        ; implicit-def: $vgpr3
.LBB284_690:
	s_andn2_saveexec_b64 s[10:11], s[10:11]
; %bb.691:
	s_mov_b32 s12, 0x7f800000
	v_mov_b32_e32 v4, 0x7c
	v_mov_b32_e32 v5, 0x7f
	v_cmp_lt_u32_e32 vcc, s12, v3
	v_cndmask_b32_e32 v4, v4, v5, vcc
; %bb.692:
	s_or_b64 exec, exec, s[10:11]
	global_store_byte v[0:1], v4, off
.LBB284_693:
	s_mov_b64 s[10:11], 0
	s_mov_b64 s[12:13], -1
.LBB284_694:
	s_andn2_b64 vcc, exec, s[10:11]
	s_mov_b64 s[10:11], 0
	s_cbranch_vccnz .LBB284_701
; %bb.695:
	s_cmp_gt_i32 s20, 14
	s_mov_b64 s[14:15], -1
	s_cbranch_scc0 .LBB284_699
; %bb.696:
	s_cmp_eq_u32 s20, 15
	s_mov_b64 s[4:5], -1
	s_cbranch_scc0 .LBB284_698
; %bb.697:
	v_cndmask_b32_e64 v3, 0, 1.0, s[34:35]
	v_bfe_u32 v4, v3, 16, 1
	s_movk_i32 s4, 0x7fff
	v_add3_u32 v3, v3, v4, s4
	global_store_short_d16_hi v[0:1], v3, off
	s_mov_b64 s[4:5], 0
	s_mov_b64 s[12:13], -1
.LBB284_698:
	s_mov_b64 s[14:15], 0
.LBB284_699:
	s_and_b64 vcc, exec, s[14:15]
	s_cbranch_vccz .LBB284_701
; %bb.700:
	s_cmp_lg_u32 s20, 11
	s_mov_b64 s[10:11], -1
	s_cselect_b64 s[4:5], -1, 0
.LBB284_701:
	s_and_b64 vcc, exec, s[4:5]
	s_cbranch_vccnz .LBB284_992
; %bb.702:
	s_andn2_b64 vcc, exec, s[10:11]
	s_cbranch_vccnz .LBB284_704
.LBB284_703:
	v_cndmask_b32_e64 v3, 0, 1, s[34:35]
	s_mov_b64 s[12:13], -1
	global_store_byte v[0:1], v3, off
.LBB284_704:
.LBB284_705:
	s_andn2_b64 vcc, exec, s[12:13]
	s_cbranch_vccz .LBB284_745
	s_branch .LBB284_939
.LBB284_706:
	s_mov_b64 s[12:13], 0
	s_cbranch_execz .LBB284_705
; %bb.707:
	s_and_b32 s10, 0xffff, s18
	s_cmp_lt_i32 s10, 5
	s_mov_b64 s[4:5], -1
	s_cbranch_scc1 .LBB284_728
; %bb.708:
	s_cmp_lt_i32 s10, 8
	s_cbranch_scc1 .LBB284_718
; %bb.709:
	s_cmp_lt_i32 s10, 9
	s_cbranch_scc1 .LBB284_715
; %bb.710:
	s_cmp_gt_i32 s10, 9
	s_cbranch_scc0 .LBB284_712
; %bb.711:
	v_cndmask_b32_e64 v3, 0, 1, s[34:35]
	v_cvt_f64_u32_e32 v[3:4], v3
	v_mov_b32_e32 v5, 0
	v_mov_b32_e32 v6, v5
	s_mov_b64 s[4:5], 0
	global_store_dwordx4 v[0:1], v[3:6], off
.LBB284_712:
	s_andn2_b64 vcc, exec, s[4:5]
	s_cbranch_vccnz .LBB284_714
; %bb.713:
	v_cndmask_b32_e64 v3, 0, 1.0, s[34:35]
	v_mov_b32_e32 v4, 0
	global_store_dwordx2 v[0:1], v[3:4], off
.LBB284_714:
	s_mov_b64 s[4:5], 0
.LBB284_715:
	s_andn2_b64 vcc, exec, s[4:5]
	s_cbranch_vccnz .LBB284_717
; %bb.716:
	v_cndmask_b32_e64 v3, 0, 1.0, s[34:35]
	v_cvt_f16_f32_e32 v3, v3
	global_store_dword v[0:1], v3, off
.LBB284_717:
	s_mov_b64 s[4:5], 0
.LBB284_718:
	s_andn2_b64 vcc, exec, s[4:5]
	s_cbranch_vccnz .LBB284_727
; %bb.719:
	s_cmp_lt_i32 s10, 6
	s_mov_b64 s[4:5], -1
	s_cbranch_scc1 .LBB284_725
; %bb.720:
	s_cmp_gt_i32 s10, 6
	s_cbranch_scc0 .LBB284_722
; %bb.721:
	v_cndmask_b32_e64 v3, 0, 1, s[34:35]
	v_cvt_f64_u32_e32 v[3:4], v3
	s_mov_b64 s[4:5], 0
	global_store_dwordx2 v[0:1], v[3:4], off
.LBB284_722:
	s_andn2_b64 vcc, exec, s[4:5]
	s_cbranch_vccnz .LBB284_724
; %bb.723:
	v_cndmask_b32_e64 v3, 0, 1.0, s[34:35]
	global_store_dword v[0:1], v3, off
.LBB284_724:
	s_mov_b64 s[4:5], 0
.LBB284_725:
	s_andn2_b64 vcc, exec, s[4:5]
	s_cbranch_vccnz .LBB284_727
; %bb.726:
	v_cndmask_b32_e64 v3, 0, 1.0, s[34:35]
	v_cvt_f16_f32_e32 v3, v3
	global_store_short v[0:1], v3, off
.LBB284_727:
	s_mov_b64 s[4:5], 0
.LBB284_728:
	s_andn2_b64 vcc, exec, s[4:5]
	s_cbranch_vccnz .LBB284_744
; %bb.729:
	s_cmp_lt_i32 s10, 2
	s_mov_b64 s[4:5], -1
	s_cbranch_scc1 .LBB284_739
; %bb.730:
	s_cmp_lt_i32 s10, 3
	s_cbranch_scc1 .LBB284_736
; %bb.731:
	s_cmp_gt_i32 s10, 3
	s_cbranch_scc0 .LBB284_733
; %bb.732:
	s_mov_b32 s4, 0
	v_cndmask_b32_e64 v3, 0, 1, s[34:35]
	v_mov_b32_e32 v4, s4
	global_store_dwordx2 v[0:1], v[3:4], off
	s_mov_b64 s[4:5], 0
.LBB284_733:
	s_andn2_b64 vcc, exec, s[4:5]
	s_cbranch_vccnz .LBB284_735
; %bb.734:
	v_cndmask_b32_e64 v3, 0, 1, s[34:35]
	global_store_dword v[0:1], v3, off
.LBB284_735:
	s_mov_b64 s[4:5], 0
.LBB284_736:
	s_andn2_b64 vcc, exec, s[4:5]
	s_cbranch_vccnz .LBB284_738
; %bb.737:
	v_cndmask_b32_e64 v3, 0, 1, s[34:35]
	global_store_short v[0:1], v3, off
.LBB284_738:
	s_mov_b64 s[4:5], 0
.LBB284_739:
	s_andn2_b64 vcc, exec, s[4:5]
	s_cbranch_vccnz .LBB284_744
; %bb.740:
	s_mov_b64 s[4:5], -1
	s_cmp_gt_i32 s10, 0
	v_cndmask_b32_e64 v3, 0, 1, s[34:35]
	s_cbranch_scc0 .LBB284_742
; %bb.741:
	global_store_byte v[0:1], v3, off
	s_mov_b64 s[4:5], 0
.LBB284_742:
	s_andn2_b64 vcc, exec, s[4:5]
	s_cbranch_vccnz .LBB284_744
; %bb.743:
	global_store_byte v[0:1], v3, off
.LBB284_744:
.LBB284_745:
	v_add_u32_e32 v2, s19, v2
	v_ashrrev_i32_e32 v1, 31, v2
	v_mov_b32_e32 v3, s41
	v_add_co_u32_e32 v0, vcc, s40, v2
	s_cmp_lt_i32 s18, 11
	v_addc_co_u32_e32 v1, vcc, v3, v1, vcc
	s_cbranch_scc1 .LBB284_900
; %bb.746:
	s_and_b32 s20, 0xffff, s18
	s_mov_b64 s[14:15], -1
	s_mov_b64 s[10:11], 0
	s_cmp_gt_i32 s20, 25
	s_mov_b64 s[12:13], 0
	s_mov_b64 s[4:5], 0
	s_cbranch_scc0 .LBB284_779
; %bb.747:
	s_cmp_gt_i32 s20, 28
	s_cbranch_scc0 .LBB284_762
; %bb.748:
	s_cmp_gt_i32 s20, 43
	;; [unrolled: 3-line block ×3, first 2 shown]
	s_cbranch_scc0 .LBB284_752
; %bb.750:
	s_mov_b64 s[4:5], -1
	s_mov_b64 s[14:15], 0
	s_cmp_eq_u32 s20, 46
	s_cbranch_scc0 .LBB284_752
; %bb.751:
	v_cndmask_b32_e64 v3, 0, 1.0, s[28:29]
	v_bfe_u32 v4, v3, 16, 1
	s_movk_i32 s4, 0x7fff
	v_add3_u32 v3, v3, v4, s4
	v_lshrrev_b32_e32 v3, 16, v3
	global_store_dword v[0:1], v3, off
	s_mov_b64 s[4:5], 0
	s_mov_b64 s[12:13], -1
.LBB284_752:
	s_and_b64 vcc, exec, s[14:15]
	s_cbranch_vccz .LBB284_757
; %bb.753:
	s_cmp_eq_u32 s20, 44
	s_mov_b64 s[4:5], -1
	s_cbranch_scc0 .LBB284_757
; %bb.754:
	v_cndmask_b32_e64 v4, 0, 1.0, s[28:29]
	v_lshrrev_b32_e32 v3, 23, v4
	s_movk_i32 s4, 0xff
	v_cmp_ne_u32_e32 vcc, s4, v3
	v_mov_b32_e32 v5, 0xff
	s_and_saveexec_b64 s[12:13], vcc
; %bb.755:
	s_mov_b32 s4, 0x3fffff
	v_and_b32_e32 v5, 0x400000, v4
	v_and_or_b32 v4, v4, s4, v3
	v_cmp_ne_u32_e32 vcc, 0, v5
	v_cmp_ne_u32_e64 s[4:5], 0, v4
	s_and_b64 s[4:5], vcc, s[4:5]
	v_cndmask_b32_e64 v4, 0, 1, s[4:5]
	v_add_u32_e32 v5, v3, v4
; %bb.756:
	s_or_b64 exec, exec, s[12:13]
	s_mov_b64 s[4:5], 0
	s_mov_b64 s[12:13], -1
	global_store_byte v[0:1], v5, off
.LBB284_757:
	s_mov_b64 s[14:15], 0
.LBB284_758:
	s_and_b64 vcc, exec, s[14:15]
	s_cbranch_vccz .LBB284_761
; %bb.759:
	s_cmp_eq_u32 s20, 29
	s_mov_b64 s[4:5], -1
	s_cbranch_scc0 .LBB284_761
; %bb.760:
	s_mov_b32 s4, 0
	v_cndmask_b32_e64 v3, 0, 1, s[28:29]
	v_mov_b32_e32 v4, s4
	global_store_dwordx2 v[0:1], v[3:4], off
	s_mov_b64 s[4:5], 0
	s_mov_b64 s[12:13], -1
.LBB284_761:
	s_mov_b64 s[14:15], 0
.LBB284_762:
	s_and_b64 vcc, exec, s[14:15]
	s_cbranch_vccz .LBB284_778
; %bb.763:
	s_cmp_lt_i32 s20, 27
	s_mov_b64 s[12:13], -1
	s_cbranch_scc1 .LBB284_769
; %bb.764:
	s_cmp_gt_i32 s20, 27
	s_cbranch_scc0 .LBB284_766
; %bb.765:
	v_cndmask_b32_e64 v3, 0, 1, s[28:29]
	s_mov_b64 s[12:13], 0
	global_store_dword v[0:1], v3, off
.LBB284_766:
	s_andn2_b64 vcc, exec, s[12:13]
	s_cbranch_vccnz .LBB284_768
; %bb.767:
	v_cndmask_b32_e64 v3, 0, 1, s[28:29]
	global_store_short v[0:1], v3, off
.LBB284_768:
	s_mov_b64 s[12:13], 0
.LBB284_769:
	s_andn2_b64 vcc, exec, s[12:13]
	s_cbranch_vccnz .LBB284_777
; %bb.770:
	v_cndmask_b32_e64 v4, 0, 1.0, s[28:29]
	s_mov_b32 s12, 0x43800000
	v_cmp_gt_u32_e32 vcc, s12, v4
	v_mov_b32_e32 v5, 0x80
	s_and_saveexec_b64 s[12:13], vcc
	s_cbranch_execz .LBB284_776
; %bb.771:
	s_mov_b32 s14, 0x3bffffff
	v_cmp_lt_u32_e32 vcc, s14, v4
	s_mov_b64 s[14:15], 0
                                        ; implicit-def: $vgpr3
	s_and_saveexec_b64 s[16:17], vcc
	s_xor_b64 s[16:17], exec, s[16:17]
	s_cbranch_execz .LBB284_995
; %bb.772:
	v_bfe_u32 v3, v4, 20, 1
	s_mov_b32 s21, 0x487ffff
	v_add3_u32 v3, v4, v3, s21
	s_mov_b64 s[14:15], exec
	v_lshrrev_b32_e32 v3, 20, v3
                                        ; implicit-def: $vgpr4
	s_andn2_saveexec_b64 s[16:17], s[16:17]
	s_cbranch_execnz .LBB284_996
.LBB284_773:
	s_or_b64 exec, exec, s[16:17]
	v_mov_b32_e32 v5, 0
	s_and_saveexec_b64 s[16:17], s[14:15]
.LBB284_774:
	v_mov_b32_e32 v5, v3
.LBB284_775:
	s_or_b64 exec, exec, s[16:17]
.LBB284_776:
	s_or_b64 exec, exec, s[12:13]
	global_store_byte v[0:1], v5, off
.LBB284_777:
	s_mov_b64 s[12:13], -1
.LBB284_778:
	s_mov_b64 s[14:15], 0
.LBB284_779:
	s_and_b64 vcc, exec, s[14:15]
	s_cbranch_vccz .LBB284_819
; %bb.780:
	s_cmp_gt_i32 s20, 22
	s_mov_b64 s[10:11], -1
	s_cbranch_scc0 .LBB284_812
; %bb.781:
	s_cmp_lt_i32 s20, 24
	s_cbranch_scc1 .LBB284_801
; %bb.782:
	s_cmp_gt_i32 s20, 24
	s_cbranch_scc0 .LBB284_790
; %bb.783:
	v_cndmask_b32_e64 v4, 0, 1.0, s[28:29]
	s_mov_b32 s10, 0x47800000
	v_cmp_gt_u32_e32 vcc, s10, v4
	v_mov_b32_e32 v5, 0x80
	s_and_saveexec_b64 s[10:11], vcc
	s_cbranch_execz .LBB284_789
; %bb.784:
	s_mov_b32 s12, 0x37ffffff
	v_cmp_lt_u32_e32 vcc, s12, v4
	s_mov_b64 s[12:13], 0
                                        ; implicit-def: $vgpr3
	s_and_saveexec_b64 s[14:15], vcc
	s_xor_b64 s[14:15], exec, s[14:15]
	s_cbranch_execz .LBB284_1000
; %bb.785:
	v_bfe_u32 v3, v4, 21, 1
	s_mov_b32 s16, 0x88fffff
	v_add3_u32 v3, v4, v3, s16
	s_mov_b64 s[12:13], exec
	v_lshrrev_b32_e32 v3, 21, v3
                                        ; implicit-def: $vgpr4
	s_andn2_saveexec_b64 s[14:15], s[14:15]
	s_cbranch_execnz .LBB284_1001
.LBB284_786:
	s_or_b64 exec, exec, s[14:15]
	v_mov_b32_e32 v5, 0
	s_and_saveexec_b64 s[14:15], s[12:13]
.LBB284_787:
	v_mov_b32_e32 v5, v3
.LBB284_788:
	s_or_b64 exec, exec, s[14:15]
.LBB284_789:
	s_or_b64 exec, exec, s[10:11]
	s_mov_b64 s[10:11], 0
	global_store_byte v[0:1], v5, off
.LBB284_790:
	s_and_b64 vcc, exec, s[10:11]
	s_cbranch_vccz .LBB284_800
; %bb.791:
	v_cndmask_b32_e64 v3, 0, 1.0, s[28:29]
	s_mov_b32 s10, 0x43f00000
	v_cmp_gt_u32_e32 vcc, s10, v3
                                        ; implicit-def: $vgpr4
	s_and_saveexec_b64 s[10:11], vcc
	s_xor_b64 s[10:11], exec, s[10:11]
	s_cbranch_execz .LBB284_797
; %bb.792:
	s_mov_b32 s12, 0x3c7fffff
	v_cmp_lt_u32_e32 vcc, s12, v3
                                        ; implicit-def: $vgpr4
	s_and_saveexec_b64 s[12:13], vcc
	s_xor_b64 s[12:13], exec, s[12:13]
; %bb.793:
	v_bfe_u32 v4, v3, 20, 1
	s_mov_b32 s14, 0x407ffff
	v_add3_u32 v3, v3, v4, s14
	v_lshrrev_b32_e32 v4, 20, v3
	v_and_b32_e32 v3, 0xff00000, v3
	s_mov_b32 s14, 0x7f00000
	v_mov_b32_e32 v5, 0x7e
	v_cmp_ne_u32_e32 vcc, s14, v3
	v_cndmask_b32_e32 v4, v5, v4, vcc
                                        ; implicit-def: $vgpr3
; %bb.794:
	s_andn2_saveexec_b64 s[12:13], s[12:13]
; %bb.795:
	v_add_f32_e32 v4, 0x46800000, v3
; %bb.796:
	s_or_b64 exec, exec, s[12:13]
                                        ; implicit-def: $vgpr3
.LBB284_797:
	s_andn2_saveexec_b64 s[10:11], s[10:11]
; %bb.798:
	s_mov_b32 s12, 0x7f800000
	v_mov_b32_e32 v4, 0x7e
	v_mov_b32_e32 v5, 0x7f
	v_cmp_lt_u32_e32 vcc, s12, v3
	v_cndmask_b32_e32 v4, v4, v5, vcc
; %bb.799:
	s_or_b64 exec, exec, s[10:11]
	global_store_byte v[0:1], v4, off
.LBB284_800:
	s_mov_b64 s[10:11], 0
.LBB284_801:
	s_andn2_b64 vcc, exec, s[10:11]
	s_cbranch_vccnz .LBB284_811
; %bb.802:
	v_cndmask_b32_e64 v3, 0, 1.0, s[28:29]
	s_mov_b32 s10, 0x47800000
	v_cmp_gt_u32_e32 vcc, s10, v3
                                        ; implicit-def: $vgpr4
	s_and_saveexec_b64 s[10:11], vcc
	s_xor_b64 s[10:11], exec, s[10:11]
	s_cbranch_execz .LBB284_808
; %bb.803:
	s_mov_b32 s12, 0x387fffff
	v_cmp_lt_u32_e32 vcc, s12, v3
                                        ; implicit-def: $vgpr4
	s_and_saveexec_b64 s[12:13], vcc
	s_xor_b64 s[12:13], exec, s[12:13]
; %bb.804:
	v_bfe_u32 v4, v3, 21, 1
	s_mov_b32 s14, 0x80fffff
	v_add3_u32 v3, v3, v4, s14
	v_lshrrev_b32_e32 v4, 21, v3
                                        ; implicit-def: $vgpr3
; %bb.805:
	s_andn2_saveexec_b64 s[12:13], s[12:13]
; %bb.806:
	v_add_f32_e32 v4, 0x43000000, v3
; %bb.807:
	s_or_b64 exec, exec, s[12:13]
                                        ; implicit-def: $vgpr3
.LBB284_808:
	s_andn2_saveexec_b64 s[10:11], s[10:11]
; %bb.809:
	s_mov_b32 s12, 0x7f800000
	v_mov_b32_e32 v4, 0x7c
	v_mov_b32_e32 v5, 0x7f
	v_cmp_lt_u32_e32 vcc, s12, v3
	v_cndmask_b32_e32 v4, v4, v5, vcc
; %bb.810:
	s_or_b64 exec, exec, s[10:11]
	global_store_byte v[0:1], v4, off
.LBB284_811:
	s_mov_b64 s[10:11], 0
	s_mov_b64 s[12:13], -1
.LBB284_812:
	s_andn2_b64 vcc, exec, s[10:11]
	s_mov_b64 s[10:11], 0
	s_cbranch_vccnz .LBB284_819
; %bb.813:
	s_cmp_gt_i32 s20, 14
	s_mov_b64 s[14:15], -1
	s_cbranch_scc0 .LBB284_817
; %bb.814:
	s_cmp_eq_u32 s20, 15
	s_mov_b64 s[4:5], -1
	s_cbranch_scc0 .LBB284_816
; %bb.815:
	v_cndmask_b32_e64 v3, 0, 1.0, s[28:29]
	v_bfe_u32 v4, v3, 16, 1
	s_movk_i32 s4, 0x7fff
	v_add3_u32 v3, v3, v4, s4
	global_store_short_d16_hi v[0:1], v3, off
	s_mov_b64 s[4:5], 0
	s_mov_b64 s[12:13], -1
.LBB284_816:
	s_mov_b64 s[14:15], 0
.LBB284_817:
	s_and_b64 vcc, exec, s[14:15]
	s_cbranch_vccz .LBB284_819
; %bb.818:
	s_cmp_lg_u32 s20, 11
	s_mov_b64 s[10:11], -1
	s_cselect_b64 s[4:5], -1, 0
.LBB284_819:
	s_and_b64 vcc, exec, s[4:5]
	s_cbranch_vccnz .LBB284_997
; %bb.820:
	s_andn2_b64 vcc, exec, s[10:11]
	s_cbranch_vccnz .LBB284_822
.LBB284_821:
	v_cndmask_b32_e64 v3, 0, 1, s[28:29]
	s_mov_b64 s[12:13], -1
	global_store_byte v[0:1], v3, off
.LBB284_822:
.LBB284_823:
	s_andn2_b64 vcc, exec, s[12:13]
	s_cbranch_vccnz .LBB284_939
.LBB284_824:
	v_add_u32_e32 v0, s19, v2
	v_ashrrev_i32_e32 v1, 31, v0
	v_mov_b32_e32 v2, s41
	v_add_co_u32_e32 v0, vcc, s40, v0
	s_cmp_lt_i32 s18, 11
	v_addc_co_u32_e32 v1, vcc, v2, v1, vcc
	s_cbranch_scc1 .LBB284_984
; %bb.825:
	s_and_b32 s19, 0xffff, s18
	s_mov_b64 s[12:13], -1
	s_mov_b64 s[10:11], 0
	s_cmp_gt_i32 s19, 25
	s_mov_b64 s[4:5], 0
	s_cbranch_scc0 .LBB284_858
; %bb.826:
	s_cmp_gt_i32 s19, 28
	s_cbranch_scc0 .LBB284_842
; %bb.827:
	s_cmp_gt_i32 s19, 43
	;; [unrolled: 3-line block ×3, first 2 shown]
	s_cbranch_scc0 .LBB284_832
; %bb.829:
	s_cmp_eq_u32 s19, 46
	s_mov_b64 s[4:5], -1
	s_cbranch_scc0 .LBB284_831
; %bb.830:
	v_cndmask_b32_e64 v2, 0, 1.0, s[6:7]
	v_bfe_u32 v3, v2, 16, 1
	s_movk_i32 s4, 0x7fff
	v_add3_u32 v2, v2, v3, s4
	v_lshrrev_b32_e32 v2, 16, v2
	global_store_dword v[0:1], v2, off
	s_mov_b64 s[4:5], 0
.LBB284_831:
	s_mov_b64 s[12:13], 0
.LBB284_832:
	s_and_b64 vcc, exec, s[12:13]
	s_cbranch_vccz .LBB284_837
; %bb.833:
	s_cmp_eq_u32 s19, 44
	s_mov_b64 s[4:5], -1
	s_cbranch_scc0 .LBB284_837
; %bb.834:
	v_cndmask_b32_e64 v3, 0, 1.0, s[6:7]
	v_lshrrev_b32_e32 v2, 23, v3
	s_movk_i32 s4, 0xff
	v_cmp_ne_u32_e32 vcc, s4, v2
	v_mov_b32_e32 v4, 0xff
	s_and_saveexec_b64 s[12:13], vcc
; %bb.835:
	s_mov_b32 s4, 0x3fffff
	v_and_b32_e32 v4, 0x400000, v3
	v_and_or_b32 v3, v3, s4, v2
	v_cmp_ne_u32_e32 vcc, 0, v4
	v_cmp_ne_u32_e64 s[4:5], 0, v3
	s_and_b64 s[4:5], vcc, s[4:5]
	v_cndmask_b32_e64 v3, 0, 1, s[4:5]
	v_add_u32_e32 v4, v2, v3
; %bb.836:
	s_or_b64 exec, exec, s[12:13]
	s_mov_b64 s[4:5], 0
	global_store_byte v[0:1], v4, off
.LBB284_837:
	s_mov_b64 s[12:13], 0
.LBB284_838:
	s_and_b64 vcc, exec, s[12:13]
	s_cbranch_vccz .LBB284_841
; %bb.839:
	s_cmp_eq_u32 s19, 29
	s_mov_b64 s[4:5], -1
	s_cbranch_scc0 .LBB284_841
; %bb.840:
	s_mov_b32 s4, 0
	v_cndmask_b32_e64 v2, 0, 1, s[6:7]
	v_mov_b32_e32 v3, s4
	global_store_dwordx2 v[0:1], v[2:3], off
	s_mov_b64 s[4:5], 0
.LBB284_841:
	s_mov_b64 s[12:13], 0
.LBB284_842:
	s_and_b64 vcc, exec, s[12:13]
	s_cbranch_vccz .LBB284_857
; %bb.843:
	s_cmp_lt_i32 s19, 27
	s_mov_b64 s[12:13], -1
	s_cbranch_scc1 .LBB284_849
; %bb.844:
	s_cmp_gt_i32 s19, 27
	v_cndmask_b32_e64 v2, 0, 1, s[6:7]
	s_cbranch_scc0 .LBB284_846
; %bb.845:
	global_store_dword v[0:1], v2, off
	s_mov_b64 s[12:13], 0
.LBB284_846:
	s_andn2_b64 vcc, exec, s[12:13]
	s_cbranch_vccnz .LBB284_848
; %bb.847:
	global_store_short v[0:1], v2, off
.LBB284_848:
	s_mov_b64 s[12:13], 0
.LBB284_849:
	s_andn2_b64 vcc, exec, s[12:13]
	s_cbranch_vccnz .LBB284_857
; %bb.850:
	v_cndmask_b32_e64 v3, 0, 1.0, s[6:7]
	s_mov_b32 s12, 0x43800000
	v_cmp_gt_u32_e32 vcc, s12, v3
	v_mov_b32_e32 v4, 0x80
	s_and_saveexec_b64 s[12:13], vcc
	s_cbranch_execz .LBB284_856
; %bb.851:
	s_mov_b32 s14, 0x3bffffff
	v_cmp_lt_u32_e32 vcc, s14, v3
	s_mov_b64 s[14:15], 0
                                        ; implicit-def: $vgpr2
	s_and_saveexec_b64 s[16:17], vcc
	s_xor_b64 s[16:17], exec, s[16:17]
	s_cbranch_execz .LBB284_1002
; %bb.852:
	v_bfe_u32 v2, v3, 20, 1
	s_mov_b32 s20, 0x487ffff
	v_add3_u32 v2, v3, v2, s20
	s_mov_b64 s[14:15], exec
	v_lshrrev_b32_e32 v2, 20, v2
                                        ; implicit-def: $vgpr3
	s_andn2_saveexec_b64 s[16:17], s[16:17]
	s_cbranch_execnz .LBB284_1003
.LBB284_853:
	s_or_b64 exec, exec, s[16:17]
	v_mov_b32_e32 v4, 0
	s_and_saveexec_b64 s[16:17], s[14:15]
.LBB284_854:
	v_mov_b32_e32 v4, v2
.LBB284_855:
	s_or_b64 exec, exec, s[16:17]
.LBB284_856:
	s_or_b64 exec, exec, s[12:13]
	global_store_byte v[0:1], v4, off
.LBB284_857:
	s_mov_b64 s[12:13], 0
.LBB284_858:
	s_and_b64 vcc, exec, s[12:13]
	s_cbranch_vccz .LBB284_898
; %bb.859:
	s_cmp_gt_i32 s19, 22
	s_mov_b64 s[10:11], -1
	s_cbranch_scc0 .LBB284_891
; %bb.860:
	s_cmp_lt_i32 s19, 24
	s_cbranch_scc1 .LBB284_880
; %bb.861:
	s_cmp_gt_i32 s19, 24
	s_cbranch_scc0 .LBB284_869
; %bb.862:
	v_cndmask_b32_e64 v3, 0, 1.0, s[6:7]
	s_mov_b32 s10, 0x47800000
	v_cmp_gt_u32_e32 vcc, s10, v3
	v_mov_b32_e32 v4, 0x80
	s_and_saveexec_b64 s[10:11], vcc
	s_cbranch_execz .LBB284_868
; %bb.863:
	s_mov_b32 s12, 0x37ffffff
	v_cmp_lt_u32_e32 vcc, s12, v3
	s_mov_b64 s[12:13], 0
                                        ; implicit-def: $vgpr2
	s_and_saveexec_b64 s[14:15], vcc
	s_xor_b64 s[14:15], exec, s[14:15]
	s_cbranch_execz .LBB284_1009
; %bb.864:
	v_bfe_u32 v2, v3, 21, 1
	s_mov_b32 s16, 0x88fffff
	v_add3_u32 v2, v3, v2, s16
	s_mov_b64 s[12:13], exec
	v_lshrrev_b32_e32 v2, 21, v2
                                        ; implicit-def: $vgpr3
	s_andn2_saveexec_b64 s[14:15], s[14:15]
	s_cbranch_execnz .LBB284_1010
.LBB284_865:
	s_or_b64 exec, exec, s[14:15]
	v_mov_b32_e32 v4, 0
	s_and_saveexec_b64 s[14:15], s[12:13]
.LBB284_866:
	v_mov_b32_e32 v4, v2
.LBB284_867:
	s_or_b64 exec, exec, s[14:15]
.LBB284_868:
	s_or_b64 exec, exec, s[10:11]
	s_mov_b64 s[10:11], 0
	global_store_byte v[0:1], v4, off
.LBB284_869:
	s_and_b64 vcc, exec, s[10:11]
	s_cbranch_vccz .LBB284_879
; %bb.870:
	v_cndmask_b32_e64 v2, 0, 1.0, s[6:7]
	s_mov_b32 s10, 0x43f00000
	v_cmp_gt_u32_e32 vcc, s10, v2
                                        ; implicit-def: $vgpr3
	s_and_saveexec_b64 s[10:11], vcc
	s_xor_b64 s[10:11], exec, s[10:11]
	s_cbranch_execz .LBB284_876
; %bb.871:
	s_mov_b32 s12, 0x3c7fffff
	v_cmp_lt_u32_e32 vcc, s12, v2
                                        ; implicit-def: $vgpr3
	s_and_saveexec_b64 s[12:13], vcc
	s_xor_b64 s[12:13], exec, s[12:13]
; %bb.872:
	v_bfe_u32 v3, v2, 20, 1
	s_mov_b32 s14, 0x407ffff
	v_add3_u32 v2, v2, v3, s14
	v_lshrrev_b32_e32 v3, 20, v2
	v_and_b32_e32 v2, 0xff00000, v2
	s_mov_b32 s14, 0x7f00000
	v_mov_b32_e32 v4, 0x7e
	v_cmp_ne_u32_e32 vcc, s14, v2
	v_cndmask_b32_e32 v3, v4, v3, vcc
                                        ; implicit-def: $vgpr2
; %bb.873:
	s_andn2_saveexec_b64 s[12:13], s[12:13]
; %bb.874:
	v_add_f32_e32 v3, 0x46800000, v2
; %bb.875:
	s_or_b64 exec, exec, s[12:13]
                                        ; implicit-def: $vgpr2
.LBB284_876:
	s_andn2_saveexec_b64 s[10:11], s[10:11]
; %bb.877:
	s_mov_b32 s12, 0x7f800000
	v_mov_b32_e32 v3, 0x7e
	v_mov_b32_e32 v4, 0x7f
	v_cmp_lt_u32_e32 vcc, s12, v2
	v_cndmask_b32_e32 v3, v3, v4, vcc
; %bb.878:
	s_or_b64 exec, exec, s[10:11]
	global_store_byte v[0:1], v3, off
.LBB284_879:
	s_mov_b64 s[10:11], 0
.LBB284_880:
	s_andn2_b64 vcc, exec, s[10:11]
	s_cbranch_vccnz .LBB284_890
; %bb.881:
	v_cndmask_b32_e64 v2, 0, 1.0, s[6:7]
	s_mov_b32 s10, 0x47800000
	v_cmp_gt_u32_e32 vcc, s10, v2
                                        ; implicit-def: $vgpr3
	s_and_saveexec_b64 s[10:11], vcc
	s_xor_b64 s[10:11], exec, s[10:11]
	s_cbranch_execz .LBB284_887
; %bb.882:
	s_mov_b32 s12, 0x387fffff
	v_cmp_lt_u32_e32 vcc, s12, v2
                                        ; implicit-def: $vgpr3
	s_and_saveexec_b64 s[12:13], vcc
	s_xor_b64 s[12:13], exec, s[12:13]
; %bb.883:
	v_bfe_u32 v3, v2, 21, 1
	s_mov_b32 s14, 0x80fffff
	v_add3_u32 v2, v2, v3, s14
	v_lshrrev_b32_e32 v3, 21, v2
                                        ; implicit-def: $vgpr2
; %bb.884:
	s_andn2_saveexec_b64 s[12:13], s[12:13]
; %bb.885:
	v_add_f32_e32 v3, 0x43000000, v2
; %bb.886:
	s_or_b64 exec, exec, s[12:13]
                                        ; implicit-def: $vgpr2
.LBB284_887:
	s_andn2_saveexec_b64 s[10:11], s[10:11]
; %bb.888:
	s_mov_b32 s12, 0x7f800000
	v_mov_b32_e32 v3, 0x7c
	v_mov_b32_e32 v4, 0x7f
	v_cmp_lt_u32_e32 vcc, s12, v2
	v_cndmask_b32_e32 v3, v3, v4, vcc
; %bb.889:
	s_or_b64 exec, exec, s[10:11]
	global_store_byte v[0:1], v3, off
.LBB284_890:
	s_mov_b64 s[10:11], 0
.LBB284_891:
	s_andn2_b64 vcc, exec, s[10:11]
	s_mov_b64 s[10:11], 0
	s_cbranch_vccnz .LBB284_898
; %bb.892:
	s_cmp_gt_i32 s19, 14
	s_mov_b64 s[12:13], -1
	s_cbranch_scc0 .LBB284_896
; %bb.893:
	s_cmp_eq_u32 s19, 15
	s_mov_b64 s[4:5], -1
	s_cbranch_scc0 .LBB284_895
; %bb.894:
	v_cndmask_b32_e64 v2, 0, 1.0, s[6:7]
	v_bfe_u32 v3, v2, 16, 1
	s_movk_i32 s4, 0x7fff
	v_add3_u32 v2, v2, v3, s4
	global_store_short_d16_hi v[0:1], v2, off
	s_mov_b64 s[4:5], 0
.LBB284_895:
	s_mov_b64 s[12:13], 0
.LBB284_896:
	s_and_b64 vcc, exec, s[12:13]
	s_cbranch_vccz .LBB284_898
; %bb.897:
	s_cmp_lg_u32 s19, 11
	s_mov_b64 s[10:11], -1
	s_cselect_b64 s[4:5], -1, 0
.LBB284_898:
	s_and_b64 vcc, exec, s[4:5]
	s_cbranch_vccnz .LBB284_1004
.LBB284_899:
	s_mov_b64 s[4:5], 0
	s_branch .LBB284_940
.LBB284_900:
	s_mov_b64 s[12:13], 0
	s_cbranch_execz .LBB284_823
; %bb.901:
	s_and_b32 s10, 0xffff, s18
	s_cmp_lt_i32 s10, 5
	s_mov_b64 s[4:5], -1
	s_cbranch_scc1 .LBB284_922
; %bb.902:
	s_cmp_lt_i32 s10, 8
	s_cbranch_scc1 .LBB284_912
; %bb.903:
	s_cmp_lt_i32 s10, 9
	s_cbranch_scc1 .LBB284_909
; %bb.904:
	s_cmp_gt_i32 s10, 9
	s_cbranch_scc0 .LBB284_906
; %bb.905:
	v_cndmask_b32_e64 v3, 0, 1, s[28:29]
	v_cvt_f64_u32_e32 v[3:4], v3
	v_mov_b32_e32 v5, 0
	v_mov_b32_e32 v6, v5
	s_mov_b64 s[4:5], 0
	global_store_dwordx4 v[0:1], v[3:6], off
.LBB284_906:
	s_andn2_b64 vcc, exec, s[4:5]
	s_cbranch_vccnz .LBB284_908
; %bb.907:
	v_cndmask_b32_e64 v3, 0, 1.0, s[28:29]
	v_mov_b32_e32 v4, 0
	global_store_dwordx2 v[0:1], v[3:4], off
.LBB284_908:
	s_mov_b64 s[4:5], 0
.LBB284_909:
	s_andn2_b64 vcc, exec, s[4:5]
	s_cbranch_vccnz .LBB284_911
; %bb.910:
	v_cndmask_b32_e64 v3, 0, 1.0, s[28:29]
	v_cvt_f16_f32_e32 v3, v3
	global_store_dword v[0:1], v3, off
.LBB284_911:
	s_mov_b64 s[4:5], 0
.LBB284_912:
	s_andn2_b64 vcc, exec, s[4:5]
	s_cbranch_vccnz .LBB284_921
; %bb.913:
	s_cmp_lt_i32 s10, 6
	s_mov_b64 s[4:5], -1
	s_cbranch_scc1 .LBB284_919
; %bb.914:
	s_cmp_gt_i32 s10, 6
	s_cbranch_scc0 .LBB284_916
; %bb.915:
	v_cndmask_b32_e64 v3, 0, 1, s[28:29]
	v_cvt_f64_u32_e32 v[3:4], v3
	s_mov_b64 s[4:5], 0
	global_store_dwordx2 v[0:1], v[3:4], off
.LBB284_916:
	s_andn2_b64 vcc, exec, s[4:5]
	s_cbranch_vccnz .LBB284_918
; %bb.917:
	v_cndmask_b32_e64 v3, 0, 1.0, s[28:29]
	global_store_dword v[0:1], v3, off
.LBB284_918:
	s_mov_b64 s[4:5], 0
.LBB284_919:
	s_andn2_b64 vcc, exec, s[4:5]
	s_cbranch_vccnz .LBB284_921
; %bb.920:
	v_cndmask_b32_e64 v3, 0, 1.0, s[28:29]
	v_cvt_f16_f32_e32 v3, v3
	global_store_short v[0:1], v3, off
.LBB284_921:
	s_mov_b64 s[4:5], 0
.LBB284_922:
	s_andn2_b64 vcc, exec, s[4:5]
	s_cbranch_vccnz .LBB284_938
; %bb.923:
	s_cmp_lt_i32 s10, 2
	s_mov_b64 s[4:5], -1
	s_cbranch_scc1 .LBB284_933
; %bb.924:
	s_cmp_lt_i32 s10, 3
	s_cbranch_scc1 .LBB284_930
; %bb.925:
	s_cmp_gt_i32 s10, 3
	s_cbranch_scc0 .LBB284_927
; %bb.926:
	s_mov_b32 s4, 0
	v_cndmask_b32_e64 v3, 0, 1, s[28:29]
	v_mov_b32_e32 v4, s4
	global_store_dwordx2 v[0:1], v[3:4], off
	s_mov_b64 s[4:5], 0
.LBB284_927:
	s_andn2_b64 vcc, exec, s[4:5]
	s_cbranch_vccnz .LBB284_929
; %bb.928:
	v_cndmask_b32_e64 v3, 0, 1, s[28:29]
	global_store_dword v[0:1], v3, off
.LBB284_929:
	s_mov_b64 s[4:5], 0
.LBB284_930:
	s_andn2_b64 vcc, exec, s[4:5]
	s_cbranch_vccnz .LBB284_932
; %bb.931:
	v_cndmask_b32_e64 v3, 0, 1, s[28:29]
	global_store_short v[0:1], v3, off
.LBB284_932:
	s_mov_b64 s[4:5], 0
.LBB284_933:
	s_andn2_b64 vcc, exec, s[4:5]
	s_cbranch_vccnz .LBB284_938
; %bb.934:
	s_mov_b64 s[4:5], -1
	s_cmp_gt_i32 s10, 0
	v_cndmask_b32_e64 v3, 0, 1, s[28:29]
	s_cbranch_scc0 .LBB284_936
; %bb.935:
	global_store_byte v[0:1], v3, off
	s_mov_b64 s[4:5], 0
.LBB284_936:
	s_andn2_b64 vcc, exec, s[4:5]
	s_cbranch_vccnz .LBB284_938
; %bb.937:
	global_store_byte v[0:1], v3, off
.LBB284_938:
	s_branch .LBB284_824
.LBB284_939:
	s_mov_b64 s[4:5], 0
	s_mov_b64 s[10:11], 0
                                        ; implicit-def: $sgpr18
                                        ; implicit-def: $vgpr0_vgpr1
.LBB284_940:
	s_and_b64 s[28:29], s[10:11], exec
	s_andn2_b64 s[10:11], s[48:49], exec
	s_and_b64 s[8:9], s[8:9], exec
	s_and_b64 s[4:5], s[4:5], exec
	s_or_b64 s[48:49], s[10:11], s[8:9]
.LBB284_941:
	s_or_b64 exec, exec, s[50:51]
	s_and_saveexec_b64 s[8:9], s[48:49]
	s_cbranch_execz .LBB284_944
; %bb.942:
	; divergent unreachable
	s_or_b64 exec, exec, s[8:9]
	s_and_saveexec_b64 s[8:9], s[28:29]
	s_xor_b64 s[8:9], exec, s[8:9]
	s_cbranch_execnz .LBB284_945
.LBB284_943:
	s_or_b64 exec, exec, s[8:9]
	s_and_saveexec_b64 s[8:9], s[4:5]
	s_cbranch_execnz .LBB284_946
	s_branch .LBB284_983
.LBB284_944:
	s_or_b64 exec, exec, s[8:9]
	s_and_saveexec_b64 s[8:9], s[28:29]
	s_xor_b64 s[8:9], exec, s[8:9]
	s_cbranch_execz .LBB284_943
.LBB284_945:
	v_cndmask_b32_e64 v2, 0, 1, s[6:7]
	global_store_byte v[0:1], v2, off
	s_or_b64 exec, exec, s[8:9]
	s_and_saveexec_b64 s[8:9], s[4:5]
	s_cbranch_execz .LBB284_983
.LBB284_946:
	s_sext_i32_i16 s8, s18
	s_cmp_lt_i32 s8, 5
	s_mov_b64 s[4:5], -1
	s_cbranch_scc1 .LBB284_967
; %bb.947:
	s_cmp_lt_i32 s8, 8
	s_cbranch_scc1 .LBB284_957
; %bb.948:
	s_cmp_lt_i32 s8, 9
	s_cbranch_scc1 .LBB284_954
; %bb.949:
	s_cmp_gt_i32 s8, 9
	s_cbranch_scc0 .LBB284_951
; %bb.950:
	v_cndmask_b32_e64 v2, 0, 1, s[6:7]
	v_cvt_f64_u32_e32 v[2:3], v2
	v_mov_b32_e32 v4, 0
	v_mov_b32_e32 v5, v4
	s_mov_b64 s[4:5], 0
	global_store_dwordx4 v[0:1], v[2:5], off
.LBB284_951:
	s_andn2_b64 vcc, exec, s[4:5]
	s_cbranch_vccnz .LBB284_953
; %bb.952:
	v_cndmask_b32_e64 v2, 0, 1.0, s[6:7]
	v_mov_b32_e32 v3, 0
	global_store_dwordx2 v[0:1], v[2:3], off
.LBB284_953:
	s_mov_b64 s[4:5], 0
.LBB284_954:
	s_andn2_b64 vcc, exec, s[4:5]
	s_cbranch_vccnz .LBB284_956
; %bb.955:
	v_cndmask_b32_e64 v2, 0, 1.0, s[6:7]
	v_cvt_f16_f32_e32 v2, v2
	global_store_dword v[0:1], v2, off
.LBB284_956:
	s_mov_b64 s[4:5], 0
.LBB284_957:
	s_andn2_b64 vcc, exec, s[4:5]
	s_cbranch_vccnz .LBB284_966
; %bb.958:
	s_sext_i32_i16 s8, s18
	s_cmp_lt_i32 s8, 6
	s_mov_b64 s[4:5], -1
	s_cbranch_scc1 .LBB284_964
; %bb.959:
	s_cmp_gt_i32 s8, 6
	s_cbranch_scc0 .LBB284_961
; %bb.960:
	v_cndmask_b32_e64 v2, 0, 1, s[6:7]
	v_cvt_f64_u32_e32 v[2:3], v2
	s_mov_b64 s[4:5], 0
	global_store_dwordx2 v[0:1], v[2:3], off
.LBB284_961:
	s_andn2_b64 vcc, exec, s[4:5]
	s_cbranch_vccnz .LBB284_963
; %bb.962:
	v_cndmask_b32_e64 v2, 0, 1.0, s[6:7]
	global_store_dword v[0:1], v2, off
.LBB284_963:
	s_mov_b64 s[4:5], 0
.LBB284_964:
	s_andn2_b64 vcc, exec, s[4:5]
	s_cbranch_vccnz .LBB284_966
; %bb.965:
	v_cndmask_b32_e64 v2, 0, 1.0, s[6:7]
	v_cvt_f16_f32_e32 v2, v2
	global_store_short v[0:1], v2, off
.LBB284_966:
	s_mov_b64 s[4:5], 0
.LBB284_967:
	s_andn2_b64 vcc, exec, s[4:5]
	s_cbranch_vccnz .LBB284_983
; %bb.968:
	s_sext_i32_i16 s8, s18
	s_cmp_lt_i32 s8, 2
	s_mov_b64 s[4:5], -1
	s_cbranch_scc1 .LBB284_978
; %bb.969:
	s_cmp_lt_i32 s8, 3
	s_cbranch_scc1 .LBB284_975
; %bb.970:
	s_cmp_gt_i32 s8, 3
	s_cbranch_scc0 .LBB284_972
; %bb.971:
	s_mov_b32 s4, 0
	v_cndmask_b32_e64 v2, 0, 1, s[6:7]
	v_mov_b32_e32 v3, s4
	global_store_dwordx2 v[0:1], v[2:3], off
	s_mov_b64 s[4:5], 0
.LBB284_972:
	s_andn2_b64 vcc, exec, s[4:5]
	s_cbranch_vccnz .LBB284_974
; %bb.973:
	v_cndmask_b32_e64 v2, 0, 1, s[6:7]
	global_store_dword v[0:1], v2, off
.LBB284_974:
	s_mov_b64 s[4:5], 0
.LBB284_975:
	s_andn2_b64 vcc, exec, s[4:5]
	s_cbranch_vccnz .LBB284_977
; %bb.976:
	v_cndmask_b32_e64 v2, 0, 1, s[6:7]
	global_store_short v[0:1], v2, off
.LBB284_977:
	s_mov_b64 s[4:5], 0
.LBB284_978:
	s_andn2_b64 vcc, exec, s[4:5]
	s_cbranch_vccnz .LBB284_983
; %bb.979:
	s_sext_i32_i16 s8, s18
	s_mov_b64 s[4:5], -1
	s_cmp_gt_i32 s8, 0
	v_cndmask_b32_e64 v2, 0, 1, s[6:7]
	s_cbranch_scc0 .LBB284_981
; %bb.980:
	global_store_byte v[0:1], v2, off
	s_mov_b64 s[4:5], 0
.LBB284_981:
	s_andn2_b64 vcc, exec, s[4:5]
	s_cbranch_vccnz .LBB284_983
; %bb.982:
	global_store_byte v[0:1], v2, off
	s_endpgm
.LBB284_983:
	s_endpgm
.LBB284_984:
	s_mov_b64 s[10:11], 0
	s_mov_b64 s[4:5], -1
	s_branch .LBB284_940
.LBB284_985:
	s_andn2_saveexec_b64 s[14:15], s[14:15]
	s_cbranch_execz .LBB284_537
.LBB284_986:
	v_add_f32_e32 v3, 0x46000000, v4
	v_and_b32_e32 v3, 0xff, v3
	v_cmp_ne_u32_e32 vcc, 0, v3
	s_andn2_b64 s[12:13], s[12:13], exec
	s_and_b64 s[20:21], vcc, exec
	s_or_b64 s[12:13], s[12:13], s[20:21]
	s_or_b64 exec, exec, s[14:15]
	v_mov_b32_e32 v5, 0
	s_and_saveexec_b64 s[14:15], s[12:13]
	s_cbranch_execnz .LBB284_538
	s_branch .LBB284_539
.LBB284_987:
	s_or_b64 s[8:9], s[48:49], exec
	s_trap 2
	s_cbranch_execz .LBB284_585
	s_branch .LBB284_586
.LBB284_988:
	s_andn2_saveexec_b64 s[12:13], s[12:13]
	s_cbranch_execz .LBB284_550
.LBB284_989:
	v_add_f32_e32 v3, 0x42800000, v4
	v_and_b32_e32 v3, 0xff, v3
	v_cmp_ne_u32_e32 vcc, 0, v3
	s_andn2_b64 s[10:11], s[10:11], exec
	s_and_b64 s[14:15], vcc, exec
	s_or_b64 s[10:11], s[10:11], s[14:15]
	s_or_b64 exec, exec, s[12:13]
	v_mov_b32_e32 v5, 0
	s_and_saveexec_b64 s[12:13], s[10:11]
	s_cbranch_execnz .LBB284_551
	s_branch .LBB284_552
.LBB284_990:
	s_andn2_saveexec_b64 s[16:17], s[16:17]
	s_cbranch_execz .LBB284_655
.LBB284_991:
	v_add_f32_e32 v3, 0x46000000, v4
	v_and_b32_e32 v3, 0xff, v3
	v_cmp_ne_u32_e32 vcc, 0, v3
	s_andn2_b64 s[14:15], s[14:15], exec
	s_and_b64 s[22:23], vcc, exec
	s_or_b64 s[14:15], s[14:15], s[22:23]
	s_or_b64 exec, exec, s[16:17]
	v_mov_b32_e32 v5, 0
	s_and_saveexec_b64 s[16:17], s[14:15]
	s_cbranch_execnz .LBB284_656
	s_branch .LBB284_657
.LBB284_992:
	s_trap 2
	s_or_b64 s[8:9], s[8:9], exec
	s_cbranch_execz .LBB284_703
	s_branch .LBB284_704
.LBB284_993:
	s_andn2_saveexec_b64 s[14:15], s[14:15]
	s_cbranch_execz .LBB284_668
.LBB284_994:
	v_add_f32_e32 v3, 0x42800000, v4
	v_and_b32_e32 v3, 0xff, v3
	v_cmp_ne_u32_e32 vcc, 0, v3
	s_andn2_b64 s[12:13], s[12:13], exec
	s_and_b64 s[16:17], vcc, exec
	s_or_b64 s[12:13], s[12:13], s[16:17]
	s_or_b64 exec, exec, s[14:15]
	v_mov_b32_e32 v5, 0
	s_and_saveexec_b64 s[14:15], s[12:13]
	s_cbranch_execnz .LBB284_669
	s_branch .LBB284_670
.LBB284_995:
	s_andn2_saveexec_b64 s[16:17], s[16:17]
	s_cbranch_execz .LBB284_773
.LBB284_996:
	v_add_f32_e32 v3, 0x46000000, v4
	v_and_b32_e32 v3, 0xff, v3
	v_cmp_ne_u32_e32 vcc, 0, v3
	s_andn2_b64 s[14:15], s[14:15], exec
	s_and_b64 s[22:23], vcc, exec
	s_or_b64 s[14:15], s[14:15], s[22:23]
	s_or_b64 exec, exec, s[16:17]
	v_mov_b32_e32 v5, 0
	s_and_saveexec_b64 s[16:17], s[14:15]
	s_cbranch_execnz .LBB284_774
	s_branch .LBB284_775
.LBB284_997:
	s_trap 2
	s_or_b64 s[8:9], s[8:9], exec
	s_cbranch_execz .LBB284_821
	s_branch .LBB284_822
.LBB284_998:
	s_andn2_saveexec_b64 s[12:13], s[12:13]
	s_cbranch_execz .LBB284_295
.LBB284_999:
	v_add_f32_e32 v2, 0x46000000, v3
	v_and_b32_e32 v2, 0xff, v2
	v_cmp_ne_u32_e32 vcc, 0, v2
	s_andn2_b64 s[10:11], s[10:11], exec
	s_and_b64 s[16:17], vcc, exec
	s_or_b64 s[10:11], s[10:11], s[16:17]
	s_or_b64 exec, exec, s[12:13]
	v_mov_b32_e32 v4, 0
	s_and_saveexec_b64 s[12:13], s[10:11]
	s_cbranch_execnz .LBB284_296
	s_branch .LBB284_297
.LBB284_1000:
	s_andn2_saveexec_b64 s[14:15], s[14:15]
	s_cbranch_execz .LBB284_786
.LBB284_1001:
	v_add_f32_e32 v3, 0x42800000, v4
	v_and_b32_e32 v3, 0xff, v3
	v_cmp_ne_u32_e32 vcc, 0, v3
	s_andn2_b64 s[12:13], s[12:13], exec
	s_and_b64 s[16:17], vcc, exec
	s_or_b64 s[12:13], s[12:13], s[16:17]
	s_or_b64 exec, exec, s[14:15]
	v_mov_b32_e32 v5, 0
	s_and_saveexec_b64 s[14:15], s[12:13]
	s_cbranch_execnz .LBB284_787
	s_branch .LBB284_788
.LBB284_1002:
	s_andn2_saveexec_b64 s[16:17], s[16:17]
	s_cbranch_execz .LBB284_853
.LBB284_1003:
	v_add_f32_e32 v2, 0x46000000, v3
	v_and_b32_e32 v2, 0xff, v2
	v_cmp_ne_u32_e32 vcc, 0, v2
	s_andn2_b64 s[14:15], s[14:15], exec
	s_and_b64 s[20:21], vcc, exec
	s_or_b64 s[14:15], s[14:15], s[20:21]
	s_or_b64 exec, exec, s[16:17]
	v_mov_b32_e32 v4, 0
	s_and_saveexec_b64 s[16:17], s[14:15]
	s_cbranch_execnz .LBB284_854
	s_branch .LBB284_855
.LBB284_1004:
	s_mov_b64 s[10:11], 0
	s_or_b64 s[8:9], s[8:9], exec
	s_trap 2
	s_branch .LBB284_899
.LBB284_1005:
	s_andn2_saveexec_b64 s[12:13], s[12:13]
	s_cbranch_execz .LBB284_308
.LBB284_1006:
	v_add_f32_e32 v2, 0x42800000, v3
	v_and_b32_e32 v2, 0xff, v2
	v_cmp_ne_u32_e32 vcc, 0, v2
	s_andn2_b64 s[10:11], s[10:11], exec
	s_and_b64 s[16:17], vcc, exec
	s_or_b64 s[10:11], s[10:11], s[16:17]
	s_or_b64 exec, exec, s[12:13]
	v_mov_b32_e32 v4, 0
	s_and_saveexec_b64 s[12:13], s[10:11]
	s_cbranch_execnz .LBB284_309
	s_branch .LBB284_310
.LBB284_1007:
	s_andn2_saveexec_b64 s[12:13], s[12:13]
	s_cbranch_execz .LBB284_417
.LBB284_1008:
	v_add_f32_e32 v2, 0x46000000, v3
	v_and_b32_e32 v2, 0xff, v2
	v_cmp_ne_u32_e32 vcc, 0, v2
	s_andn2_b64 s[10:11], s[10:11], exec
	s_and_b64 s[14:15], vcc, exec
	s_or_b64 s[10:11], s[10:11], s[14:15]
	s_or_b64 exec, exec, s[12:13]
	v_mov_b32_e32 v4, 0
	s_and_saveexec_b64 s[12:13], s[10:11]
	s_cbranch_execnz .LBB284_418
	s_branch .LBB284_419
.LBB284_1009:
	s_andn2_saveexec_b64 s[14:15], s[14:15]
	s_cbranch_execz .LBB284_865
.LBB284_1010:
	v_add_f32_e32 v2, 0x42800000, v3
	v_and_b32_e32 v2, 0xff, v2
	v_cmp_ne_u32_e32 vcc, 0, v2
	s_andn2_b64 s[12:13], s[12:13], exec
	s_and_b64 s[16:17], vcc, exec
	s_or_b64 s[12:13], s[12:13], s[16:17]
	s_or_b64 exec, exec, s[14:15]
	v_mov_b32_e32 v4, 0
	s_and_saveexec_b64 s[14:15], s[12:13]
	s_cbranch_execnz .LBB284_866
	s_branch .LBB284_867
.LBB284_1011:
	s_andn2_saveexec_b64 s[14:15], s[14:15]
	s_cbranch_execz .LBB284_429
.LBB284_1012:
	v_add_f32_e32 v2, 0x42800000, v3
	v_and_b32_e32 v2, 0xff, v2
	v_cmp_ne_u32_e32 vcc, 0, v2
	s_andn2_b64 s[12:13], s[12:13], exec
	s_and_b64 s[18:19], vcc, exec
	s_or_b64 s[12:13], s[12:13], s[18:19]
	s_or_b64 exec, exec, s[14:15]
	v_mov_b32_e32 v4, 0
	s_and_saveexec_b64 s[14:15], s[12:13]
	s_cbranch_execnz .LBB284_430
	s_branch .LBB284_431
	.section	.rodata,"a",@progbits
	.p2align	6, 0x0
	.amdhsa_kernel _ZN2at6native32elementwise_kernel_manual_unrollILi128ELi4EZNS0_15gpu_kernel_implINS0_13AUnaryFunctorIN3c1013Float8_e4m3fnES5_bNS0_12_GLOBAL__N_116CompareEqFunctorIS5_EEEEEEvRNS_18TensorIteratorBaseERKT_EUlibE_EEviT1_
		.amdhsa_group_segment_fixed_size 0
		.amdhsa_private_segment_fixed_size 0
		.amdhsa_kernarg_size 48
		.amdhsa_user_sgpr_count 6
		.amdhsa_user_sgpr_private_segment_buffer 1
		.amdhsa_user_sgpr_dispatch_ptr 0
		.amdhsa_user_sgpr_queue_ptr 0
		.amdhsa_user_sgpr_kernarg_segment_ptr 1
		.amdhsa_user_sgpr_dispatch_id 0
		.amdhsa_user_sgpr_flat_scratch_init 0
		.amdhsa_user_sgpr_private_segment_size 0
		.amdhsa_uses_dynamic_stack 0
		.amdhsa_system_sgpr_private_segment_wavefront_offset 0
		.amdhsa_system_sgpr_workgroup_id_x 1
		.amdhsa_system_sgpr_workgroup_id_y 0
		.amdhsa_system_sgpr_workgroup_id_z 0
		.amdhsa_system_sgpr_workgroup_info 0
		.amdhsa_system_vgpr_workitem_id 0
		.amdhsa_next_free_vgpr 14
		.amdhsa_next_free_sgpr 60
		.amdhsa_reserve_vcc 1
		.amdhsa_reserve_flat_scratch 0
		.amdhsa_float_round_mode_32 0
		.amdhsa_float_round_mode_16_64 0
		.amdhsa_float_denorm_mode_32 3
		.amdhsa_float_denorm_mode_16_64 3
		.amdhsa_dx10_clamp 1
		.amdhsa_ieee_mode 1
		.amdhsa_fp16_overflow 0
		.amdhsa_exception_fp_ieee_invalid_op 0
		.amdhsa_exception_fp_denorm_src 0
		.amdhsa_exception_fp_ieee_div_zero 0
		.amdhsa_exception_fp_ieee_overflow 0
		.amdhsa_exception_fp_ieee_underflow 0
		.amdhsa_exception_fp_ieee_inexact 0
		.amdhsa_exception_int_div_zero 0
	.end_amdhsa_kernel
	.section	.text._ZN2at6native32elementwise_kernel_manual_unrollILi128ELi4EZNS0_15gpu_kernel_implINS0_13AUnaryFunctorIN3c1013Float8_e4m3fnES5_bNS0_12_GLOBAL__N_116CompareEqFunctorIS5_EEEEEEvRNS_18TensorIteratorBaseERKT_EUlibE_EEviT1_,"axG",@progbits,_ZN2at6native32elementwise_kernel_manual_unrollILi128ELi4EZNS0_15gpu_kernel_implINS0_13AUnaryFunctorIN3c1013Float8_e4m3fnES5_bNS0_12_GLOBAL__N_116CompareEqFunctorIS5_EEEEEEvRNS_18TensorIteratorBaseERKT_EUlibE_EEviT1_,comdat
.Lfunc_end284:
	.size	_ZN2at6native32elementwise_kernel_manual_unrollILi128ELi4EZNS0_15gpu_kernel_implINS0_13AUnaryFunctorIN3c1013Float8_e4m3fnES5_bNS0_12_GLOBAL__N_116CompareEqFunctorIS5_EEEEEEvRNS_18TensorIteratorBaseERKT_EUlibE_EEviT1_, .Lfunc_end284-_ZN2at6native32elementwise_kernel_manual_unrollILi128ELi4EZNS0_15gpu_kernel_implINS0_13AUnaryFunctorIN3c1013Float8_e4m3fnES5_bNS0_12_GLOBAL__N_116CompareEqFunctorIS5_EEEEEEvRNS_18TensorIteratorBaseERKT_EUlibE_EEviT1_
                                        ; -- End function
	.set _ZN2at6native32elementwise_kernel_manual_unrollILi128ELi4EZNS0_15gpu_kernel_implINS0_13AUnaryFunctorIN3c1013Float8_e4m3fnES5_bNS0_12_GLOBAL__N_116CompareEqFunctorIS5_EEEEEEvRNS_18TensorIteratorBaseERKT_EUlibE_EEviT1_.num_vgpr, max(14, .L_ZN2at6native6invokeINS0_13AUnaryFunctorIN3c1013Float8_e4m3fnES4_bNS0_12_GLOBAL__N_116CompareEqFunctorIS4_EEEEi15function_traitsIS8_EEENT1_11result_typeERKT_PrKPcPKT0_PKNS3_10ScalarTypeEi.num_vgpr)
	.set _ZN2at6native32elementwise_kernel_manual_unrollILi128ELi4EZNS0_15gpu_kernel_implINS0_13AUnaryFunctorIN3c1013Float8_e4m3fnES5_bNS0_12_GLOBAL__N_116CompareEqFunctorIS5_EEEEEEvRNS_18TensorIteratorBaseERKT_EUlibE_EEviT1_.num_agpr, max(0, .L_ZN2at6native6invokeINS0_13AUnaryFunctorIN3c1013Float8_e4m3fnES4_bNS0_12_GLOBAL__N_116CompareEqFunctorIS4_EEEEi15function_traitsIS8_EEENT1_11result_typeERKT_PrKPcPKT0_PKNS3_10ScalarTypeEi.num_agpr)
	.set _ZN2at6native32elementwise_kernel_manual_unrollILi128ELi4EZNS0_15gpu_kernel_implINS0_13AUnaryFunctorIN3c1013Float8_e4m3fnES5_bNS0_12_GLOBAL__N_116CompareEqFunctorIS5_EEEEEEvRNS_18TensorIteratorBaseERKT_EUlibE_EEviT1_.numbered_sgpr, max(60, .L_ZN2at6native6invokeINS0_13AUnaryFunctorIN3c1013Float8_e4m3fnES4_bNS0_12_GLOBAL__N_116CompareEqFunctorIS4_EEEEi15function_traitsIS8_EEENT1_11result_typeERKT_PrKPcPKT0_PKNS3_10ScalarTypeEi.numbered_sgpr)
	.set _ZN2at6native32elementwise_kernel_manual_unrollILi128ELi4EZNS0_15gpu_kernel_implINS0_13AUnaryFunctorIN3c1013Float8_e4m3fnES5_bNS0_12_GLOBAL__N_116CompareEqFunctorIS5_EEEEEEvRNS_18TensorIteratorBaseERKT_EUlibE_EEviT1_.num_named_barrier, max(0, .L_ZN2at6native6invokeINS0_13AUnaryFunctorIN3c1013Float8_e4m3fnES4_bNS0_12_GLOBAL__N_116CompareEqFunctorIS4_EEEEi15function_traitsIS8_EEENT1_11result_typeERKT_PrKPcPKT0_PKNS3_10ScalarTypeEi.num_named_barrier)
	.set _ZN2at6native32elementwise_kernel_manual_unrollILi128ELi4EZNS0_15gpu_kernel_implINS0_13AUnaryFunctorIN3c1013Float8_e4m3fnES5_bNS0_12_GLOBAL__N_116CompareEqFunctorIS5_EEEEEEvRNS_18TensorIteratorBaseERKT_EUlibE_EEviT1_.private_seg_size, 0+max(.L_ZN2at6native6invokeINS0_13AUnaryFunctorIN3c1013Float8_e4m3fnES4_bNS0_12_GLOBAL__N_116CompareEqFunctorIS4_EEEEi15function_traitsIS8_EEENT1_11result_typeERKT_PrKPcPKT0_PKNS3_10ScalarTypeEi.private_seg_size)
	.set _ZN2at6native32elementwise_kernel_manual_unrollILi128ELi4EZNS0_15gpu_kernel_implINS0_13AUnaryFunctorIN3c1013Float8_e4m3fnES5_bNS0_12_GLOBAL__N_116CompareEqFunctorIS5_EEEEEEvRNS_18TensorIteratorBaseERKT_EUlibE_EEviT1_.uses_vcc, or(1, .L_ZN2at6native6invokeINS0_13AUnaryFunctorIN3c1013Float8_e4m3fnES4_bNS0_12_GLOBAL__N_116CompareEqFunctorIS4_EEEEi15function_traitsIS8_EEENT1_11result_typeERKT_PrKPcPKT0_PKNS3_10ScalarTypeEi.uses_vcc)
	.set _ZN2at6native32elementwise_kernel_manual_unrollILi128ELi4EZNS0_15gpu_kernel_implINS0_13AUnaryFunctorIN3c1013Float8_e4m3fnES5_bNS0_12_GLOBAL__N_116CompareEqFunctorIS5_EEEEEEvRNS_18TensorIteratorBaseERKT_EUlibE_EEviT1_.uses_flat_scratch, or(0, .L_ZN2at6native6invokeINS0_13AUnaryFunctorIN3c1013Float8_e4m3fnES4_bNS0_12_GLOBAL__N_116CompareEqFunctorIS4_EEEEi15function_traitsIS8_EEENT1_11result_typeERKT_PrKPcPKT0_PKNS3_10ScalarTypeEi.uses_flat_scratch)
	.set _ZN2at6native32elementwise_kernel_manual_unrollILi128ELi4EZNS0_15gpu_kernel_implINS0_13AUnaryFunctorIN3c1013Float8_e4m3fnES5_bNS0_12_GLOBAL__N_116CompareEqFunctorIS5_EEEEEEvRNS_18TensorIteratorBaseERKT_EUlibE_EEviT1_.has_dyn_sized_stack, or(0, .L_ZN2at6native6invokeINS0_13AUnaryFunctorIN3c1013Float8_e4m3fnES4_bNS0_12_GLOBAL__N_116CompareEqFunctorIS4_EEEEi15function_traitsIS8_EEENT1_11result_typeERKT_PrKPcPKT0_PKNS3_10ScalarTypeEi.has_dyn_sized_stack)
	.set _ZN2at6native32elementwise_kernel_manual_unrollILi128ELi4EZNS0_15gpu_kernel_implINS0_13AUnaryFunctorIN3c1013Float8_e4m3fnES5_bNS0_12_GLOBAL__N_116CompareEqFunctorIS5_EEEEEEvRNS_18TensorIteratorBaseERKT_EUlibE_EEviT1_.has_recursion, or(0, .L_ZN2at6native6invokeINS0_13AUnaryFunctorIN3c1013Float8_e4m3fnES4_bNS0_12_GLOBAL__N_116CompareEqFunctorIS4_EEEEi15function_traitsIS8_EEENT1_11result_typeERKT_PrKPcPKT0_PKNS3_10ScalarTypeEi.has_recursion)
	.set _ZN2at6native32elementwise_kernel_manual_unrollILi128ELi4EZNS0_15gpu_kernel_implINS0_13AUnaryFunctorIN3c1013Float8_e4m3fnES5_bNS0_12_GLOBAL__N_116CompareEqFunctorIS5_EEEEEEvRNS_18TensorIteratorBaseERKT_EUlibE_EEviT1_.has_indirect_call, or(0, .L_ZN2at6native6invokeINS0_13AUnaryFunctorIN3c1013Float8_e4m3fnES4_bNS0_12_GLOBAL__N_116CompareEqFunctorIS4_EEEEi15function_traitsIS8_EEENT1_11result_typeERKT_PrKPcPKT0_PKNS3_10ScalarTypeEi.has_indirect_call)
	.section	.AMDGPU.csdata,"",@progbits
; Kernel info:
; codeLenInByte = 15696
; TotalNumSgprs: 64
; NumVgprs: 14
; ScratchSize: 0
; MemoryBound: 0
; FloatMode: 240
; IeeeMode: 1
; LDSByteSize: 0 bytes/workgroup (compile time only)
; SGPRBlocks: 7
; VGPRBlocks: 3
; NumSGPRsForWavesPerEU: 64
; NumVGPRsForWavesPerEU: 14
; Occupancy: 10
; WaveLimiterHint : 0
; COMPUTE_PGM_RSRC2:SCRATCH_EN: 0
; COMPUTE_PGM_RSRC2:USER_SGPR: 6
; COMPUTE_PGM_RSRC2:TRAP_HANDLER: 0
; COMPUTE_PGM_RSRC2:TGID_X_EN: 1
; COMPUTE_PGM_RSRC2:TGID_Y_EN: 0
; COMPUTE_PGM_RSRC2:TGID_Z_EN: 0
; COMPUTE_PGM_RSRC2:TIDIG_COMP_CNT: 0
	.text
	.p2align	2                               ; -- Begin function _ZN2at6native6invokeINS0_13AUnaryFunctorIN3c1013Float8_e4m3fnES4_bNS0_12_GLOBAL__N_116CompareEqFunctorIS4_EEEEj15function_traitsIS8_EEENT1_11result_typeERKT_PrKPcPKT0_PKNS3_10ScalarTypeEi
	.type	_ZN2at6native6invokeINS0_13AUnaryFunctorIN3c1013Float8_e4m3fnES4_bNS0_12_GLOBAL__N_116CompareEqFunctorIS4_EEEEj15function_traitsIS8_EEENT1_11result_typeERKT_PrKPcPKT0_PKNS3_10ScalarTypeEi,@function
_ZN2at6native6invokeINS0_13AUnaryFunctorIN3c1013Float8_e4m3fnES4_bNS0_12_GLOBAL__N_116CompareEqFunctorIS4_EEEEj15function_traitsIS8_EEENT1_11result_typeERKT_PrKPcPKT0_PKNS3_10ScalarTypeEi: ; @_ZN2at6native6invokeINS0_13AUnaryFunctorIN3c1013Float8_e4m3fnES4_bNS0_12_GLOBAL__N_116CompareEqFunctorIS4_EEEEj15function_traitsIS8_EEENT1_11result_typeERKT_PrKPcPKT0_PKNS3_10ScalarTypeEi
; %bb.0:
	s_waitcnt vmcnt(0) expcnt(0) lgkmcnt(0)
	v_add_co_u32_e32 v2, vcc, v2, v4
	v_mov_b32_e32 v4, 10
	v_addc_co_u32_e32 v3, vcc, 0, v3, vcc
	v_cmp_gt_i16_sdwa s[4:5], v5, v4 src0_sel:BYTE_0 src1_sel:DWORD
	s_mov_b64 s[6:7], 0
                                        ; implicit-def: $vgpr4
	s_and_saveexec_b64 s[8:9], s[4:5]
	s_xor_b64 s[4:5], exec, s[8:9]
	s_cbranch_execz .LBB285_97
; %bb.1:
	v_mov_b32_e32 v4, 25
	v_cmp_gt_i16_sdwa s[8:9], v5, v4 src0_sel:BYTE_0 src1_sel:DWORD
	s_mov_b64 s[12:13], 0
	s_mov_b64 s[10:11], 0
                                        ; implicit-def: $vgpr4
	s_and_saveexec_b64 s[14:15], s[8:9]
	s_xor_b64 s[8:9], exec, s[14:15]
	s_cbranch_execz .LBB285_228
; %bb.2:
	v_mov_b32_e32 v4, 28
	v_cmp_gt_i16_sdwa s[10:11], v5, v4 src0_sel:BYTE_0 src1_sel:DWORD
	s_mov_b64 s[14:15], 0
                                        ; implicit-def: $vgpr4
	s_and_saveexec_b64 s[16:17], s[10:11]
	s_xor_b64 s[10:11], exec, s[16:17]
	s_cbranch_execz .LBB285_42
; %bb.3:
	v_mov_b32_e32 v4, 43
	v_cmp_gt_i16_sdwa s[12:13], v5, v4 src0_sel:BYTE_0 src1_sel:DWORD
	s_mov_b64 s[16:17], 0
	s_mov_b64 s[18:19], 0
                                        ; implicit-def: $vgpr4
	s_and_saveexec_b64 s[14:15], s[12:13]
	s_xor_b64 s[12:13], exec, s[14:15]
	s_cbranch_execz .LBB285_29
; %bb.4:
	v_mov_b32_e32 v4, 45
	v_cmp_gt_i16_sdwa s[18:19], v5, v4 src0_sel:BYTE_0 src1_sel:DWORD
	s_mov_b64 s[14:15], 0
                                        ; implicit-def: $vgpr4
	s_and_saveexec_b64 s[20:21], s[18:19]
	s_xor_b64 s[18:19], exec, s[20:21]
	s_cbranch_execz .LBB285_16
; %bb.5:
	v_mov_b32_e32 v4, 46
	v_cmp_eq_u16_sdwa s[22:23], v5, v4 src0_sel:BYTE_0 src1_sel:DWORD
	s_mov_b64 s[20:21], -1
                                        ; implicit-def: $vgpr4
	s_and_saveexec_b64 s[14:15], s[22:23]
	s_cbranch_execz .LBB285_15
; %bb.6:
	flat_load_dword v4, v[2:3]
	s_mov_b32 s16, 0x43f00000
                                        ; implicit-def: $vgpr5
	s_waitcnt vmcnt(0) lgkmcnt(0)
	v_lshlrev_b32_e32 v4, 16, v4
	v_and_b32_e32 v6, 0x7fffffff, v4
	v_cmp_gt_u32_e32 vcc, s16, v6
	s_and_saveexec_b64 s[16:17], vcc
	s_xor_b64 s[16:17], exec, s[16:17]
	s_cbranch_execz .LBB285_12
; %bb.7:
	s_mov_b32 s20, 0x3c7fffff
	v_cmp_lt_u32_e32 vcc, s20, v6
                                        ; implicit-def: $vgpr5
	s_and_saveexec_b64 s[20:21], vcc
	s_xor_b64 s[20:21], exec, s[20:21]
; %bb.8:
	v_bfe_u32 v5, v4, 20, 1
	s_mov_b32 s22, 0x407ffff
	v_add3_u32 v5, v4, v5, s22
	v_lshrrev_b32_e32 v6, 20, v5
	v_and_b32_e32 v5, 0xff00000, v5
	s_mov_b32 s22, 0x7f00000
	v_mov_b32_e32 v7, 0x7e
	v_cmp_ne_u32_e32 vcc, s22, v5
	v_cndmask_b32_e32 v5, v7, v6, vcc
; %bb.9:
	s_andn2_saveexec_b64 s[20:21], s[20:21]
; %bb.10:
	s_mov_b32 s22, 0x46800000
	v_add_f32_e64 v5, |v4|, s22
; %bb.11:
	s_or_b64 exec, exec, s[20:21]
                                        ; implicit-def: $vgpr6
.LBB285_12:
	s_andn2_saveexec_b64 s[16:17], s[16:17]
; %bb.13:
	s_mov_b32 s20, 0x7f800000
	v_mov_b32_e32 v5, 0x7e
	v_mov_b32_e32 v7, 0x7f
	v_cmp_lt_u32_e32 vcc, s20, v6
	v_cndmask_b32_e32 v5, v5, v7, vcc
; %bb.14:
	s_or_b64 exec, exec, s[16:17]
	v_lshrrev_b32_e32 v4, 24, v4
	s_movk_i32 s20, 0x80
	s_mov_b64 s[16:17], exec
	v_and_or_b32 v4, v4, s20, v5
	s_xor_b64 s[20:21], exec, -1
.LBB285_15:
	s_or_b64 exec, exec, s[14:15]
	s_and_b64 s[16:17], s[16:17], exec
	s_and_b64 s[14:15], s[20:21], exec
                                        ; implicit-def: $vgpr5
.LBB285_16:
	s_andn2_saveexec_b64 s[18:19], s[18:19]
	s_cbranch_execz .LBB285_28
; %bb.17:
	v_mov_b32_e32 v4, 44
	v_cmp_eq_u16_sdwa s[26:27], v5, v4 src0_sel:BYTE_0 src1_sel:DWORD
	s_mov_b64 s[22:23], -1
	s_mov_b64 s[24:25], s[16:17]
                                        ; implicit-def: $vgpr4
	s_and_saveexec_b64 s[20:21], s[26:27]
	s_cbranch_execz .LBB285_27
; %bb.18:
	flat_load_ubyte v4, v[2:3]
	s_movk_i32 s22, 0xff
	v_mov_b32_e32 v5, 0x7f800001
	v_mov_b32_e32 v6, 0x400000
	s_waitcnt vmcnt(0) lgkmcnt(0)
	v_lshlrev_b32_e32 v7, 23, v4
	v_cmp_ne_u32_e32 vcc, s22, v4
	v_cndmask_b32_e32 v5, v5, v7, vcc
	v_cmp_ne_u32_e32 vcc, 0, v4
	v_cndmask_b32_e32 v5, v6, v5, vcc
	s_mov_b32 s22, 0x43f00000
	v_cmp_gt_u32_e32 vcc, s22, v5
                                        ; implicit-def: $vgpr4
	s_and_saveexec_b64 s[22:23], vcc
	s_xor_b64 s[22:23], exec, s[22:23]
	s_cbranch_execz .LBB285_24
; %bb.19:
	s_mov_b32 s24, 0x3c7fffff
	v_cmp_lt_u32_e32 vcc, s24, v5
                                        ; implicit-def: $vgpr4
	s_and_saveexec_b64 s[24:25], vcc
	s_xor_b64 s[24:25], exec, s[24:25]
; %bb.20:
	v_bfe_u32 v4, v5, 20, 1
	s_mov_b32 s26, 0x407ffff
	v_add3_u32 v4, v5, v4, s26
	v_lshrrev_b32_e32 v5, 20, v4
	v_and_b32_e32 v4, 0xff00000, v4
	s_mov_b32 s26, 0x7f00000
	v_mov_b32_e32 v6, 0x7e
	v_cmp_ne_u32_e32 vcc, s26, v4
	v_cndmask_b32_e32 v4, v6, v5, vcc
                                        ; implicit-def: $vgpr5
; %bb.21:
	s_andn2_saveexec_b64 s[24:25], s[24:25]
; %bb.22:
	v_add_f32_e32 v4, 0x46800000, v5
; %bb.23:
	s_or_b64 exec, exec, s[24:25]
                                        ; implicit-def: $vgpr5
.LBB285_24:
	s_andn2_saveexec_b64 s[22:23], s[22:23]
; %bb.25:
	s_mov_b32 s24, 0x7f800000
	v_mov_b32_e32 v4, 0x7e
	v_mov_b32_e32 v6, 0x7f
	v_cmp_lt_u32_e32 vcc, s24, v5
	v_cndmask_b32_e32 v4, v4, v6, vcc
; %bb.26:
	s_or_b64 exec, exec, s[22:23]
	s_or_b64 s[24:25], s[16:17], exec
	s_xor_b64 s[22:23], exec, -1
.LBB285_27:
	s_or_b64 exec, exec, s[20:21]
	s_andn2_b64 s[16:17], s[16:17], exec
	s_and_b64 s[20:21], s[24:25], exec
	s_or_b64 s[16:17], s[16:17], s[20:21]
	s_andn2_b64 s[14:15], s[14:15], exec
	s_and_b64 s[20:21], s[22:23], exec
	s_or_b64 s[14:15], s[14:15], s[20:21]
.LBB285_28:
	s_or_b64 exec, exec, s[18:19]
	s_and_b64 s[18:19], s[16:17], exec
	s_and_b64 s[16:17], s[14:15], exec
                                        ; implicit-def: $vgpr5
.LBB285_29:
	s_andn2_saveexec_b64 s[12:13], s[12:13]
	s_cbranch_execz .LBB285_41
; %bb.30:
	v_mov_b32_e32 v4, 29
	v_cmp_eq_u16_sdwa s[24:25], v5, v4 src0_sel:BYTE_0 src1_sel:DWORD
	s_mov_b64 s[20:21], -1
	s_mov_b64 s[22:23], s[18:19]
                                        ; implicit-def: $vgpr4
	s_and_saveexec_b64 s[14:15], s[24:25]
	s_cbranch_execz .LBB285_40
; %bb.31:
	flat_load_dwordx2 v[4:5], v[2:3]
	s_mov_b32 s20, 0x43f00000
	s_waitcnt vmcnt(0) lgkmcnt(0)
	v_ffbh_u32_e32 v6, v5
	v_min_u32_e32 v6, 32, v6
	v_lshlrev_b64 v[4:5], v6, v[4:5]
	v_min_u32_e32 v4, 1, v4
	v_or_b32_e32 v4, v5, v4
	v_cvt_f32_u32_e32 v4, v4
	v_sub_u32_e32 v5, 32, v6
	v_ldexp_f32 v5, v4, v5
	v_cmp_gt_u32_e32 vcc, s20, v5
                                        ; implicit-def: $vgpr4
	s_and_saveexec_b64 s[20:21], vcc
	s_xor_b64 s[20:21], exec, s[20:21]
	s_cbranch_execz .LBB285_37
; %bb.32:
	s_mov_b32 s22, 0x3c7fffff
	v_cmp_lt_u32_e32 vcc, s22, v5
                                        ; implicit-def: $vgpr4
	s_and_saveexec_b64 s[22:23], vcc
	s_xor_b64 s[22:23], exec, s[22:23]
; %bb.33:
	v_bfe_u32 v4, v5, 20, 1
	s_mov_b32 s24, 0x407ffff
	v_add3_u32 v4, v5, v4, s24
	v_lshrrev_b32_e32 v5, 20, v4
	v_and_b32_e32 v4, 0xff00000, v4
	s_mov_b32 s24, 0x7f00000
	v_mov_b32_e32 v6, 0x7e
	v_cmp_ne_u32_e32 vcc, s24, v4
	v_cndmask_b32_e32 v4, v6, v5, vcc
                                        ; implicit-def: $vgpr5
; %bb.34:
	s_andn2_saveexec_b64 s[22:23], s[22:23]
; %bb.35:
	v_add_f32_e32 v4, 0x46800000, v5
; %bb.36:
	s_or_b64 exec, exec, s[22:23]
                                        ; implicit-def: $vgpr5
.LBB285_37:
	s_andn2_saveexec_b64 s[20:21], s[20:21]
; %bb.38:
	s_mov_b32 s22, 0x7f800000
	v_mov_b32_e32 v4, 0x7e
	v_mov_b32_e32 v6, 0x7f
	v_cmp_lt_u32_e32 vcc, s22, v5
	v_cndmask_b32_e32 v4, v4, v6, vcc
; %bb.39:
	s_or_b64 exec, exec, s[20:21]
	s_or_b64 s[22:23], s[18:19], exec
	s_xor_b64 s[20:21], exec, -1
.LBB285_40:
	s_or_b64 exec, exec, s[14:15]
	s_andn2_b64 s[14:15], s[18:19], exec
	s_and_b64 s[18:19], s[22:23], exec
	s_or_b64 s[18:19], s[14:15], s[18:19]
	s_andn2_b64 s[14:15], s[16:17], exec
	s_and_b64 s[16:17], s[20:21], exec
	s_or_b64 s[16:17], s[14:15], s[16:17]
.LBB285_41:
	s_or_b64 exec, exec, s[12:13]
	s_and_b64 s[14:15], s[18:19], exec
	s_and_b64 s[12:13], s[16:17], exec
                                        ; implicit-def: $vgpr5
.LBB285_42:
	s_andn2_saveexec_b64 s[10:11], s[10:11]
	s_cbranch_execz .LBB285_82
; %bb.43:
	v_mov_b32_e32 v4, 26
	v_cmp_gt_i16_sdwa s[16:17], v5, v4 src0_sel:BYTE_0 src1_sel:DWORD
                                        ; implicit-def: $vgpr4
	s_and_saveexec_b64 s[18:19], s[16:17]
	s_xor_b64 s[16:17], exec, s[18:19]
	s_cbranch_execz .LBB285_65
; %bb.44:
	v_mov_b32_e32 v4, 27
	v_cmp_gt_i16_sdwa s[18:19], v5, v4 src0_sel:BYTE_0 src1_sel:DWORD
                                        ; implicit-def: $vgpr4
	s_and_saveexec_b64 s[20:21], s[18:19]
	s_xor_b64 s[18:19], exec, s[20:21]
	s_cbranch_execz .LBB285_54
; %bb.45:
	flat_load_dword v4, v[2:3]
	s_mov_b32 s20, 0x43f00000
	s_waitcnt vmcnt(0) lgkmcnt(0)
	v_cvt_f32_u32_e32 v5, v4
                                        ; implicit-def: $vgpr4
	v_cmp_gt_u32_e32 vcc, s20, v5
	s_and_saveexec_b64 s[20:21], vcc
	s_xor_b64 s[20:21], exec, s[20:21]
	s_cbranch_execz .LBB285_51
; %bb.46:
	s_mov_b32 s22, 0x3c7fffff
	v_cmp_lt_u32_e32 vcc, s22, v5
                                        ; implicit-def: $vgpr4
	s_and_saveexec_b64 s[22:23], vcc
	s_xor_b64 s[22:23], exec, s[22:23]
; %bb.47:
	v_bfe_u32 v4, v5, 20, 1
	s_mov_b32 s24, 0x407ffff
	v_add3_u32 v4, v5, v4, s24
	v_lshrrev_b32_e32 v5, 20, v4
	v_and_b32_e32 v4, 0xff00000, v4
	s_mov_b32 s24, 0x7f00000
	v_mov_b32_e32 v6, 0x7e
	v_cmp_ne_u32_e32 vcc, s24, v4
	v_cndmask_b32_e32 v4, v6, v5, vcc
                                        ; implicit-def: $vgpr5
; %bb.48:
	s_andn2_saveexec_b64 s[22:23], s[22:23]
; %bb.49:
	v_add_f32_e32 v4, 0x46800000, v5
; %bb.50:
	s_or_b64 exec, exec, s[22:23]
                                        ; implicit-def: $vgpr5
.LBB285_51:
	s_andn2_saveexec_b64 s[20:21], s[20:21]
; %bb.52:
	s_mov_b32 s22, 0x7f800000
	v_mov_b32_e32 v4, 0x7e
	v_mov_b32_e32 v6, 0x7f
	v_cmp_lt_u32_e32 vcc, s22, v5
	v_cndmask_b32_e32 v4, v4, v6, vcc
; %bb.53:
	s_or_b64 exec, exec, s[20:21]
.LBB285_54:
	s_andn2_saveexec_b64 s[18:19], s[18:19]
	s_cbranch_execz .LBB285_64
; %bb.55:
	flat_load_ushort v4, v[2:3]
	s_mov_b32 s20, 0x43f00000
	s_waitcnt vmcnt(0) lgkmcnt(0)
	v_cvt_f32_u32_e32 v5, v4
                                        ; implicit-def: $vgpr4
	v_cmp_gt_u32_e32 vcc, s20, v5
	s_and_saveexec_b64 s[20:21], vcc
	s_xor_b64 s[20:21], exec, s[20:21]
	s_cbranch_execz .LBB285_61
; %bb.56:
	s_mov_b32 s22, 0x3c7fffff
	v_cmp_lt_u32_e32 vcc, s22, v5
                                        ; implicit-def: $vgpr4
	s_and_saveexec_b64 s[22:23], vcc
	s_xor_b64 s[22:23], exec, s[22:23]
; %bb.57:
	v_bfe_u32 v4, v5, 20, 1
	s_mov_b32 s24, 0x407ffff
	v_add3_u32 v4, v5, v4, s24
	v_lshrrev_b32_e32 v5, 20, v4
	v_and_b32_e32 v4, 0xff00000, v4
	s_mov_b32 s24, 0x7f00000
	v_mov_b32_e32 v6, 0x7e
	v_cmp_ne_u32_e32 vcc, s24, v4
	v_cndmask_b32_e32 v4, v6, v5, vcc
                                        ; implicit-def: $vgpr5
; %bb.58:
	s_andn2_saveexec_b64 s[22:23], s[22:23]
; %bb.59:
	v_add_f32_e32 v4, 0x46800000, v5
; %bb.60:
	s_or_b64 exec, exec, s[22:23]
                                        ; implicit-def: $vgpr5
.LBB285_61:
	s_andn2_saveexec_b64 s[20:21], s[20:21]
; %bb.62:
	s_mov_b32 s22, 0x7f800000
	v_mov_b32_e32 v4, 0x7e
	v_mov_b32_e32 v6, 0x7f
	v_cmp_lt_u32_e32 vcc, s22, v5
	v_cndmask_b32_e32 v4, v4, v6, vcc
; %bb.63:
	s_or_b64 exec, exec, s[20:21]
.LBB285_64:
	s_or_b64 exec, exec, s[18:19]
.LBB285_65:
	s_andn2_saveexec_b64 s[16:17], s[16:17]
	s_cbranch_execz .LBB285_81
; %bb.66:
	flat_load_ubyte v5, v[2:3]
	s_movk_i32 s18, 0x7f
	s_waitcnt vmcnt(0) lgkmcnt(0)
	v_cmp_lt_i16_e32 vcc, s18, v5
	s_mov_b64 s[18:19], 0
	s_and_saveexec_b64 s[20:21], vcc
	s_xor_b64 s[20:21], exec, s[20:21]
	s_cbranch_execz .LBB285_279
; %bb.67:
	s_movk_i32 s18, 0x80
	v_cmp_eq_u16_e32 vcc, s18, v5
	s_mov_b64 s[18:19], -1
	s_and_saveexec_b64 s[22:23], vcc
; %bb.68:
	s_xor_b64 s[18:19], exec, -1
; %bb.69:
	s_or_b64 exec, exec, s[22:23]
	s_and_b64 s[18:19], s[18:19], exec
	s_or_saveexec_b64 s[20:21], s[20:21]
	v_mov_b32_e32 v4, 0x7f800001
	s_xor_b64 exec, exec, s[20:21]
	s_cbranch_execnz .LBB285_280
.LBB285_70:
	s_or_b64 exec, exec, s[20:21]
	s_and_saveexec_b64 s[20:21], s[18:19]
	s_cbranch_execz .LBB285_72
.LBB285_71:
	v_lshlrev_b32_e32 v4, 24, v5
	v_and_b32_e32 v5, 0xffff, v5
	v_and_b32_e32 v6, 7, v5
	v_ffbh_u32_e32 v8, v6
	v_min_u32_e32 v8, 32, v8
	v_subrev_u32_e32 v9, 28, v8
	v_bfe_u32 v7, v5, 3, 4
	v_lshlrev_b32_e32 v5, v9, v5
	v_sub_u32_e32 v8, 29, v8
	v_and_b32_e32 v5, 7, v5
	v_cmp_eq_u32_e32 vcc, 0, v7
	v_cndmask_b32_e32 v7, v7, v8, vcc
	v_cndmask_b32_e32 v5, v6, v5, vcc
	v_mov_b32_e32 v6, 0x3b800000
	v_lshlrev_b32_e32 v5, 20, v5
	v_and_b32_e32 v4, 0x80000000, v4
	v_lshl_add_u32 v6, v7, 23, v6
	v_or3_b32 v4, v4, v6, v5
.LBB285_72:
	s_or_b64 exec, exec, s[20:21]
	v_and_b32_e32 v6, 0x7fffffff, v4
	s_mov_b32 s18, 0x43f00000
	v_cmp_gt_u32_e32 vcc, s18, v6
                                        ; implicit-def: $vgpr5
	s_and_saveexec_b64 s[18:19], vcc
	s_xor_b64 s[18:19], exec, s[18:19]
	s_cbranch_execz .LBB285_78
; %bb.73:
	s_mov_b32 s20, 0x3c7fffff
	v_cmp_lt_u32_e32 vcc, s20, v6
                                        ; implicit-def: $vgpr5
	s_and_saveexec_b64 s[20:21], vcc
	s_xor_b64 s[20:21], exec, s[20:21]
; %bb.74:
	v_bfe_u32 v5, v4, 20, 1
	s_mov_b32 s22, 0x407ffff
	v_add3_u32 v5, v4, v5, s22
	v_lshrrev_b32_e32 v6, 20, v5
	v_and_b32_e32 v5, 0xff00000, v5
	s_mov_b32 s22, 0x7f00000
	v_mov_b32_e32 v7, 0x7e
	v_cmp_ne_u32_e32 vcc, s22, v5
	v_cndmask_b32_e32 v5, v7, v6, vcc
; %bb.75:
	s_andn2_saveexec_b64 s[20:21], s[20:21]
; %bb.76:
	s_mov_b32 s22, 0x46800000
	v_add_f32_e64 v5, |v4|, s22
; %bb.77:
	s_or_b64 exec, exec, s[20:21]
                                        ; implicit-def: $vgpr6
.LBB285_78:
	s_andn2_saveexec_b64 s[18:19], s[18:19]
; %bb.79:
	s_mov_b32 s20, 0x7f800000
	v_mov_b32_e32 v5, 0x7e
	v_mov_b32_e32 v7, 0x7f
	v_cmp_lt_u32_e32 vcc, s20, v6
	v_cndmask_b32_e32 v5, v5, v7, vcc
; %bb.80:
	s_or_b64 exec, exec, s[18:19]
	v_lshrrev_b32_e32 v4, 24, v4
	s_movk_i32 s18, 0x80
	v_and_or_b32 v4, v4, s18, v5
.LBB285_81:
	s_or_b64 exec, exec, s[16:17]
	s_or_b64 s[14:15], s[14:15], exec
.LBB285_82:
	s_or_b64 exec, exec, s[10:11]
	s_and_b64 s[10:11], s[14:15], exec
	s_and_b64 s[12:13], s[12:13], exec
                                        ; implicit-def: $vgpr5
	s_andn2_saveexec_b64 s[8:9], s[8:9]
	s_cbranch_execnz .LBB285_229
.LBB285_83:
	s_or_b64 exec, exec, s[8:9]
	s_and_saveexec_b64 s[8:9], s[12:13]
	s_cbranch_execnz .LBB285_278
.LBB285_84:
	s_or_b64 exec, exec, s[8:9]
	s_and_saveexec_b64 s[8:9], s[6:7]
	s_cbranch_execz .LBB285_94
.LBB285_85:
	flat_load_ubyte v2, v[2:3]
	s_mov_b32 s6, 0x43f00000
                                        ; implicit-def: $vgpr4
	s_waitcnt vmcnt(0) lgkmcnt(0)
	v_cmp_ne_u16_e32 vcc, 0, v2
	v_cndmask_b32_e64 v2, 0, 1.0, vcc
	v_cmp_gt_u32_e32 vcc, s6, v2
	s_and_saveexec_b64 s[6:7], vcc
	s_xor_b64 s[6:7], exec, s[6:7]
	s_cbranch_execz .LBB285_91
; %bb.86:
	s_mov_b32 s12, 0x3c7fffff
	v_cmp_lt_u32_e32 vcc, s12, v2
                                        ; implicit-def: $vgpr4
	s_and_saveexec_b64 s[12:13], vcc
	s_xor_b64 s[12:13], exec, s[12:13]
; %bb.87:
	v_bfe_u32 v3, v2, 20, 1
	s_mov_b32 s14, 0x407ffff
	v_add3_u32 v2, v2, v3, s14
	v_lshrrev_b32_e32 v3, 20, v2
	v_and_b32_e32 v2, 0xff00000, v2
	s_mov_b32 s14, 0x7f00000
	v_mov_b32_e32 v4, 0x7e
	v_cmp_ne_u32_e32 vcc, s14, v2
	v_cndmask_b32_e32 v4, v4, v3, vcc
                                        ; implicit-def: $vgpr2
; %bb.88:
	s_andn2_saveexec_b64 s[12:13], s[12:13]
; %bb.89:
	v_add_f32_e32 v4, 0x46800000, v2
; %bb.90:
	s_or_b64 exec, exec, s[12:13]
                                        ; implicit-def: $vgpr2
.LBB285_91:
	s_andn2_saveexec_b64 s[6:7], s[6:7]
; %bb.92:
	s_mov_b32 s12, 0x7f800000
	v_mov_b32_e32 v3, 0x7e
	v_mov_b32_e32 v4, 0x7f
	v_cmp_lt_u32_e32 vcc, s12, v2
	v_cndmask_b32_e32 v4, v3, v4, vcc
; %bb.93:
	s_or_b64 exec, exec, s[6:7]
	s_or_b64 s[10:11], s[10:11], exec
.LBB285_94:
	s_or_b64 exec, exec, s[8:9]
	s_and_b64 s[6:7], s[10:11], exec
                                        ; implicit-def: $vgpr5
                                        ; implicit-def: $vgpr2_vgpr3
	s_andn2_saveexec_b64 s[4:5], s[4:5]
	s_cbranch_execnz .LBB285_98
.LBB285_95:
	s_or_b64 exec, exec, s[4:5]
                                        ; implicit-def: $sgpr8_sgpr9
	s_and_saveexec_b64 s[4:5], s[6:7]
	s_cbranch_execz .LBB285_227
.LBB285_96:
	v_lshlrev_b32_e32 v1, 24, v1
	v_and_b32_e32 v2, 0x7f000000, v1
	v_ffbh_u32_e32 v3, v2
	v_min_u32_e32 v3, 32, v3
	v_sub_u32_e64 v3, v3, 4 clamp
	v_lshlrev_b32_e32 v6, v3, v2
	v_lshrrev_b32_e32 v6, 4, v6
	v_lshlrev_b32_e32 v3, 23, v3
	v_add_u32_e32 v5, 0x1000000, v2
	v_sub_u32_e32 v3, v6, v3
	v_ashrrev_i32_e32 v5, 8, v5
	v_add_u32_e32 v3, 0x3c000000, v3
	s_mov_b32 s6, 0x7f800000
	v_and_or_b32 v3, v5, s6, v3
	v_cmp_ne_u32_e32 vcc, 0, v2
	v_cndmask_b32_e32 v2, 0, v3, vcc
	s_brev_b32 s7, 1
	v_and_or_b32 v1, v1, s7, v2
	s_waitcnt vmcnt(0) lgkmcnt(0)
	v_lshlrev_b32_e32 v2, 24, v4
	v_and_b32_e32 v3, 0x7f000000, v2
	v_ffbh_u32_e32 v4, v3
	v_min_u32_e32 v4, 32, v4
	v_sub_u32_e64 v4, v4, 4 clamp
	v_lshlrev_b32_e32 v6, v4, v3
	v_lshrrev_b32_e32 v6, 4, v6
	v_lshlrev_b32_e32 v4, 23, v4
	v_add_u32_e32 v5, 0x1000000, v3
	v_sub_u32_e32 v4, v6, v4
	v_ashrrev_i32_e32 v5, 8, v5
	v_add_u32_e32 v4, 0x3c000000, v4
	v_and_or_b32 v4, v5, s6, v4
	v_cmp_ne_u32_e32 vcc, 0, v3
	v_cndmask_b32_e32 v3, 0, v4, vcc
	v_and_or_b32 v2, v2, s7, v3
	v_cmp_eq_f32_e32 vcc, v1, v2
	v_cndmask_b32_e64 v3, 0, 1, vcc
	v_cmp_neq_f32_e32 vcc, v1, v2
	v_cndmask_b32_e64 v1, 0, 1, vcc
	v_cmp_eq_u32_e32 vcc, 0, v0
	v_cndmask_b32_e32 v0, v1, v3, vcc
	v_and_b32_e32 v0, 1, v0
	v_cmp_eq_u32_e64 s[8:9], 1, v0
	s_or_b64 exec, exec, s[4:5]
	v_cndmask_b32_e64 v0, 0, 1, s[8:9]
	s_setpc_b64 s[30:31]
.LBB285_97:
	s_andn2_saveexec_b64 s[4:5], s[4:5]
	s_cbranch_execz .LBB285_95
.LBB285_98:
	s_waitcnt vmcnt(0) lgkmcnt(0)
	v_mov_b32_e32 v4, 4
	v_cmp_gt_i16_sdwa s[8:9], v5, v4 src0_sel:BYTE_0 src1_sel:DWORD
                                        ; implicit-def: $vgpr4
	s_and_saveexec_b64 s[10:11], s[8:9]
	s_xor_b64 s[8:9], exec, s[10:11]
	s_cbranch_execz .LBB285_168
; %bb.99:
	v_mov_b32_e32 v4, 7
	v_cmp_gt_i16_sdwa s[10:11], v5, v4 src0_sel:BYTE_0 src1_sel:DWORD
                                        ; implicit-def: $vgpr4
	s_and_saveexec_b64 s[12:13], s[10:11]
	s_xor_b64 s[10:11], exec, s[12:13]
	s_cbranch_execz .LBB285_133
; %bb.100:
	;; [unrolled: 7-line block ×4, first 2 shown]
	flat_load_dwordx2 v[2:3], v[2:3]
	s_mov_b32 s16, 0x43f00000
	s_waitcnt vmcnt(0) lgkmcnt(0)
	v_cvt_f32_f64_e32 v2, v[2:3]
                                        ; implicit-def: $vgpr3
	v_and_b32_e32 v4, 0x7fffffff, v2
	v_cmp_gt_u32_e32 vcc, s16, v4
	s_and_saveexec_b64 s[16:17], vcc
	s_xor_b64 s[16:17], exec, s[16:17]
	s_cbranch_execz .LBB285_108
; %bb.103:
	s_mov_b32 s18, 0x3c7fffff
	v_cmp_lt_u32_e32 vcc, s18, v4
                                        ; implicit-def: $vgpr3
	s_and_saveexec_b64 s[18:19], vcc
	s_xor_b64 s[18:19], exec, s[18:19]
; %bb.104:
	v_bfe_u32 v3, v2, 20, 1
	s_mov_b32 s20, 0x407ffff
	v_add3_u32 v3, v2, v3, s20
	v_lshrrev_b32_e32 v4, 20, v3
	v_and_b32_e32 v3, 0xff00000, v3
	s_mov_b32 s20, 0x7f00000
	v_mov_b32_e32 v5, 0x7e
	v_cmp_ne_u32_e32 vcc, s20, v3
	v_cndmask_b32_e32 v3, v5, v4, vcc
; %bb.105:
	s_andn2_saveexec_b64 s[18:19], s[18:19]
; %bb.106:
	s_mov_b32 s20, 0x46800000
	v_add_f32_e64 v3, |v2|, s20
; %bb.107:
	s_or_b64 exec, exec, s[18:19]
                                        ; implicit-def: $vgpr4
.LBB285_108:
	s_andn2_saveexec_b64 s[16:17], s[16:17]
; %bb.109:
	s_mov_b32 s18, 0x7f800000
	v_mov_b32_e32 v3, 0x7e
	v_mov_b32_e32 v5, 0x7f
	v_cmp_lt_u32_e32 vcc, s18, v4
	v_cndmask_b32_e32 v3, v3, v5, vcc
; %bb.110:
	s_or_b64 exec, exec, s[16:17]
	v_lshrrev_b32_e32 v2, 24, v2
	s_movk_i32 s16, 0x80
	v_and_or_b32 v4, v2, s16, v3
                                        ; implicit-def: $vgpr2_vgpr3
.LBB285_111:
	s_andn2_saveexec_b64 s[14:15], s[14:15]
	s_cbranch_execz .LBB285_121
; %bb.112:
	flat_load_dword v2, v[2:3]
	s_mov_b32 s16, 0x43f00000
                                        ; implicit-def: $vgpr3
	s_waitcnt vmcnt(0) lgkmcnt(0)
	v_and_b32_e32 v4, 0x7fffffff, v2
	v_cmp_gt_u32_e32 vcc, s16, v4
	s_and_saveexec_b64 s[16:17], vcc
	s_xor_b64 s[16:17], exec, s[16:17]
	s_cbranch_execz .LBB285_118
; %bb.113:
	s_mov_b32 s18, 0x3c7fffff
	v_cmp_lt_u32_e32 vcc, s18, v4
                                        ; implicit-def: $vgpr3
	s_and_saveexec_b64 s[18:19], vcc
	s_xor_b64 s[18:19], exec, s[18:19]
; %bb.114:
	v_bfe_u32 v3, v2, 20, 1
	s_mov_b32 s20, 0x407ffff
	v_add3_u32 v3, v2, v3, s20
	v_lshrrev_b32_e32 v4, 20, v3
	v_and_b32_e32 v3, 0xff00000, v3
	s_mov_b32 s20, 0x7f00000
	v_mov_b32_e32 v5, 0x7e
	v_cmp_ne_u32_e32 vcc, s20, v3
	v_cndmask_b32_e32 v3, v5, v4, vcc
; %bb.115:
	s_andn2_saveexec_b64 s[18:19], s[18:19]
; %bb.116:
	s_mov_b32 s20, 0x46800000
	v_add_f32_e64 v3, |v2|, s20
; %bb.117:
	s_or_b64 exec, exec, s[18:19]
                                        ; implicit-def: $vgpr4
.LBB285_118:
	s_andn2_saveexec_b64 s[16:17], s[16:17]
; %bb.119:
	s_mov_b32 s18, 0x7f800000
	v_mov_b32_e32 v3, 0x7e
	v_mov_b32_e32 v5, 0x7f
	v_cmp_lt_u32_e32 vcc, s18, v4
	v_cndmask_b32_e32 v3, v3, v5, vcc
; %bb.120:
	s_or_b64 exec, exec, s[16:17]
	v_lshrrev_b32_e32 v2, 24, v2
	s_movk_i32 s16, 0x80
	v_and_or_b32 v4, v2, s16, v3
.LBB285_121:
	s_or_b64 exec, exec, s[14:15]
                                        ; implicit-def: $vgpr2_vgpr3
.LBB285_122:
	s_andn2_saveexec_b64 s[12:13], s[12:13]
	s_cbranch_execz .LBB285_132
; %bb.123:
	flat_load_dword v2, v[2:3]
	s_mov_b32 s14, 0x43f00000
                                        ; implicit-def: $vgpr3
	s_waitcnt vmcnt(0) lgkmcnt(0)
	v_cvt_f32_f16_e32 v2, v2
	v_and_b32_e32 v4, 0x7fffffff, v2
	v_cmp_gt_u32_e32 vcc, s14, v4
	s_and_saveexec_b64 s[14:15], vcc
	s_xor_b64 s[14:15], exec, s[14:15]
	s_cbranch_execz .LBB285_129
; %bb.124:
	s_mov_b32 s16, 0x3c7fffff
	v_cmp_lt_u32_e32 vcc, s16, v4
                                        ; implicit-def: $vgpr3
	s_and_saveexec_b64 s[16:17], vcc
	s_xor_b64 s[16:17], exec, s[16:17]
; %bb.125:
	v_bfe_u32 v3, v2, 20, 1
	s_mov_b32 s18, 0x407ffff
	v_add3_u32 v3, v2, v3, s18
	v_lshrrev_b32_e32 v4, 20, v3
	v_and_b32_e32 v3, 0xff00000, v3
	s_mov_b32 s18, 0x7f00000
	v_mov_b32_e32 v5, 0x7e
	v_cmp_ne_u32_e32 vcc, s18, v3
	v_cndmask_b32_e32 v3, v5, v4, vcc
; %bb.126:
	s_andn2_saveexec_b64 s[16:17], s[16:17]
; %bb.127:
	s_mov_b32 s18, 0x46800000
	v_add_f32_e64 v3, |v2|, s18
; %bb.128:
	s_or_b64 exec, exec, s[16:17]
                                        ; implicit-def: $vgpr4
.LBB285_129:
	s_andn2_saveexec_b64 s[14:15], s[14:15]
; %bb.130:
	s_mov_b32 s16, 0x7f800000
	v_mov_b32_e32 v3, 0x7e
	v_mov_b32_e32 v5, 0x7f
	v_cmp_lt_u32_e32 vcc, s16, v4
	v_cndmask_b32_e32 v3, v3, v5, vcc
; %bb.131:
	s_or_b64 exec, exec, s[14:15]
	v_lshrrev_b32_e32 v2, 24, v2
	s_movk_i32 s14, 0x80
	v_and_or_b32 v4, v2, s14, v3
.LBB285_132:
	s_or_b64 exec, exec, s[12:13]
                                        ; implicit-def: $vgpr5
                                        ; implicit-def: $vgpr2_vgpr3
.LBB285_133:
	s_andn2_saveexec_b64 s[10:11], s[10:11]
	s_cbranch_execz .LBB285_167
; %bb.134:
	v_mov_b32_e32 v4, 5
	v_cmp_gt_i16_sdwa s[12:13], v5, v4 src0_sel:BYTE_0 src1_sel:DWORD
                                        ; implicit-def: $vgpr4
	s_and_saveexec_b64 s[14:15], s[12:13]
	s_xor_b64 s[12:13], exec, s[14:15]
	s_cbranch_execz .LBB285_156
; %bb.135:
	v_mov_b32_e32 v4, 6
	v_cmp_gt_i16_sdwa s[14:15], v5, v4 src0_sel:BYTE_0 src1_sel:DWORD
                                        ; implicit-def: $vgpr4
	s_and_saveexec_b64 s[16:17], s[14:15]
	s_xor_b64 s[14:15], exec, s[16:17]
	s_cbranch_execz .LBB285_145
; %bb.136:
	flat_load_dwordx2 v[2:3], v[2:3]
	s_mov_b32 s16, 0x43f00000
	s_waitcnt vmcnt(0) lgkmcnt(0)
	v_cvt_f32_f64_e32 v2, v[2:3]
                                        ; implicit-def: $vgpr3
	v_and_b32_e32 v4, 0x7fffffff, v2
	v_cmp_gt_u32_e32 vcc, s16, v4
	s_and_saveexec_b64 s[16:17], vcc
	s_xor_b64 s[16:17], exec, s[16:17]
	s_cbranch_execz .LBB285_142
; %bb.137:
	s_mov_b32 s18, 0x3c7fffff
	v_cmp_lt_u32_e32 vcc, s18, v4
                                        ; implicit-def: $vgpr3
	s_and_saveexec_b64 s[18:19], vcc
	s_xor_b64 s[18:19], exec, s[18:19]
; %bb.138:
	v_bfe_u32 v3, v2, 20, 1
	s_mov_b32 s20, 0x407ffff
	v_add3_u32 v3, v2, v3, s20
	v_lshrrev_b32_e32 v4, 20, v3
	v_and_b32_e32 v3, 0xff00000, v3
	s_mov_b32 s20, 0x7f00000
	v_mov_b32_e32 v5, 0x7e
	v_cmp_ne_u32_e32 vcc, s20, v3
	v_cndmask_b32_e32 v3, v5, v4, vcc
; %bb.139:
	s_andn2_saveexec_b64 s[18:19], s[18:19]
; %bb.140:
	s_mov_b32 s20, 0x46800000
	v_add_f32_e64 v3, |v2|, s20
; %bb.141:
	s_or_b64 exec, exec, s[18:19]
                                        ; implicit-def: $vgpr4
.LBB285_142:
	s_andn2_saveexec_b64 s[16:17], s[16:17]
; %bb.143:
	s_mov_b32 s18, 0x7f800000
	v_mov_b32_e32 v3, 0x7e
	v_mov_b32_e32 v5, 0x7f
	v_cmp_lt_u32_e32 vcc, s18, v4
	v_cndmask_b32_e32 v3, v3, v5, vcc
; %bb.144:
	s_or_b64 exec, exec, s[16:17]
	v_lshrrev_b32_e32 v2, 24, v2
	s_movk_i32 s16, 0x80
	v_and_or_b32 v4, v2, s16, v3
                                        ; implicit-def: $vgpr2_vgpr3
.LBB285_145:
	s_andn2_saveexec_b64 s[14:15], s[14:15]
	s_cbranch_execz .LBB285_155
; %bb.146:
	flat_load_dword v2, v[2:3]
	s_mov_b32 s16, 0x43f00000
                                        ; implicit-def: $vgpr3
	s_waitcnt vmcnt(0) lgkmcnt(0)
	v_and_b32_e32 v4, 0x7fffffff, v2
	v_cmp_gt_u32_e32 vcc, s16, v4
	s_and_saveexec_b64 s[16:17], vcc
	s_xor_b64 s[16:17], exec, s[16:17]
	s_cbranch_execz .LBB285_152
; %bb.147:
	s_mov_b32 s18, 0x3c7fffff
	v_cmp_lt_u32_e32 vcc, s18, v4
                                        ; implicit-def: $vgpr3
	s_and_saveexec_b64 s[18:19], vcc
	s_xor_b64 s[18:19], exec, s[18:19]
; %bb.148:
	v_bfe_u32 v3, v2, 20, 1
	s_mov_b32 s20, 0x407ffff
	v_add3_u32 v3, v2, v3, s20
	v_lshrrev_b32_e32 v4, 20, v3
	v_and_b32_e32 v3, 0xff00000, v3
	s_mov_b32 s20, 0x7f00000
	v_mov_b32_e32 v5, 0x7e
	v_cmp_ne_u32_e32 vcc, s20, v3
	v_cndmask_b32_e32 v3, v5, v4, vcc
; %bb.149:
	s_andn2_saveexec_b64 s[18:19], s[18:19]
; %bb.150:
	s_mov_b32 s20, 0x46800000
	v_add_f32_e64 v3, |v2|, s20
; %bb.151:
	s_or_b64 exec, exec, s[18:19]
                                        ; implicit-def: $vgpr4
.LBB285_152:
	s_andn2_saveexec_b64 s[16:17], s[16:17]
; %bb.153:
	s_mov_b32 s18, 0x7f800000
	v_mov_b32_e32 v3, 0x7e
	v_mov_b32_e32 v5, 0x7f
	v_cmp_lt_u32_e32 vcc, s18, v4
	v_cndmask_b32_e32 v3, v3, v5, vcc
; %bb.154:
	s_or_b64 exec, exec, s[16:17]
	v_lshrrev_b32_e32 v2, 24, v2
	s_movk_i32 s16, 0x80
	v_and_or_b32 v4, v2, s16, v3
.LBB285_155:
	s_or_b64 exec, exec, s[14:15]
                                        ; implicit-def: $vgpr2_vgpr3
.LBB285_156:
	s_andn2_saveexec_b64 s[12:13], s[12:13]
	s_cbranch_execz .LBB285_166
; %bb.157:
	flat_load_ushort v2, v[2:3]
	s_mov_b32 s14, 0x43f00000
                                        ; implicit-def: $vgpr3
	s_waitcnt vmcnt(0) lgkmcnt(0)
	v_cvt_f32_f16_e32 v2, v2
	v_and_b32_e32 v4, 0x7fffffff, v2
	v_cmp_gt_u32_e32 vcc, s14, v4
	s_and_saveexec_b64 s[14:15], vcc
	s_xor_b64 s[14:15], exec, s[14:15]
	s_cbranch_execz .LBB285_163
; %bb.158:
	s_mov_b32 s16, 0x3c7fffff
	v_cmp_lt_u32_e32 vcc, s16, v4
                                        ; implicit-def: $vgpr3
	s_and_saveexec_b64 s[16:17], vcc
	s_xor_b64 s[16:17], exec, s[16:17]
; %bb.159:
	v_bfe_u32 v3, v2, 20, 1
	s_mov_b32 s18, 0x407ffff
	v_add3_u32 v3, v2, v3, s18
	v_lshrrev_b32_e32 v4, 20, v3
	v_and_b32_e32 v3, 0xff00000, v3
	s_mov_b32 s18, 0x7f00000
	v_mov_b32_e32 v5, 0x7e
	v_cmp_ne_u32_e32 vcc, s18, v3
	v_cndmask_b32_e32 v3, v5, v4, vcc
; %bb.160:
	s_andn2_saveexec_b64 s[16:17], s[16:17]
; %bb.161:
	s_mov_b32 s18, 0x46800000
	v_add_f32_e64 v3, |v2|, s18
; %bb.162:
	s_or_b64 exec, exec, s[16:17]
                                        ; implicit-def: $vgpr4
.LBB285_163:
	s_andn2_saveexec_b64 s[14:15], s[14:15]
; %bb.164:
	s_mov_b32 s16, 0x7f800000
	v_mov_b32_e32 v3, 0x7e
	v_mov_b32_e32 v5, 0x7f
	v_cmp_lt_u32_e32 vcc, s16, v4
	v_cndmask_b32_e32 v3, v3, v5, vcc
; %bb.165:
	s_or_b64 exec, exec, s[14:15]
	v_lshrrev_b32_e32 v2, 24, v2
	s_movk_i32 s14, 0x80
	v_and_or_b32 v4, v2, s14, v3
.LBB285_166:
	s_or_b64 exec, exec, s[12:13]
.LBB285_167:
	s_or_b64 exec, exec, s[10:11]
                                        ; implicit-def: $vgpr5
                                        ; implicit-def: $vgpr2_vgpr3
.LBB285_168:
	s_andn2_saveexec_b64 s[8:9], s[8:9]
	s_cbranch_execz .LBB285_226
; %bb.169:
	v_mov_b32_e32 v4, 1
	v_cmp_gt_i16_sdwa s[10:11], v5, v4 src0_sel:BYTE_0 src1_sel:DWORD
                                        ; implicit-def: $vgpr4
	s_and_saveexec_b64 s[12:13], s[10:11]
	s_xor_b64 s[10:11], exec, s[12:13]
	s_cbranch_execz .LBB285_203
; %bb.170:
	v_mov_b32_e32 v4, 2
	v_cmp_gt_i16_sdwa s[12:13], v5, v4 src0_sel:BYTE_0 src1_sel:DWORD
                                        ; implicit-def: $vgpr4
	s_and_saveexec_b64 s[14:15], s[12:13]
	s_xor_b64 s[12:13], exec, s[14:15]
	s_cbranch_execz .LBB285_192
; %bb.171:
	v_mov_b32_e32 v4, 3
	v_cmp_gt_i16_sdwa s[14:15], v5, v4 src0_sel:BYTE_0 src1_sel:DWORD
                                        ; implicit-def: $vgpr4
	s_and_saveexec_b64 s[16:17], s[14:15]
	s_xor_b64 s[14:15], exec, s[16:17]
	s_cbranch_execz .LBB285_181
; %bb.172:
	flat_load_dwordx2 v[2:3], v[2:3]
	s_mov_b32 s16, 0x43f00000
	s_waitcnt vmcnt(0) lgkmcnt(0)
	v_xor_b32_e32 v5, v2, v3
	v_ffbh_i32_e32 v4, v3
	v_ashrrev_i32_e32 v5, 31, v5
	v_add_u32_e32 v4, -1, v4
	v_add_u32_e32 v5, 32, v5
	v_min_u32_e32 v4, v4, v5
	v_lshlrev_b64 v[2:3], v4, v[2:3]
	v_min_u32_e32 v2, 1, v2
	v_or_b32_e32 v2, v3, v2
	v_cvt_f32_i32_e32 v2, v2
	v_sub_u32_e32 v3, 32, v4
	v_ldexp_f32 v2, v2, v3
	v_and_b32_e32 v4, 0x7fffffff, v2
	v_cmp_gt_u32_e32 vcc, s16, v4
                                        ; implicit-def: $vgpr3
	s_and_saveexec_b64 s[16:17], vcc
	s_xor_b64 s[16:17], exec, s[16:17]
	s_cbranch_execz .LBB285_178
; %bb.173:
	s_mov_b32 s18, 0x3c7fffff
	v_cmp_lt_u32_e32 vcc, s18, v4
                                        ; implicit-def: $vgpr3
	s_and_saveexec_b64 s[18:19], vcc
	s_xor_b64 s[18:19], exec, s[18:19]
; %bb.174:
	v_bfe_u32 v3, v2, 20, 1
	s_mov_b32 s20, 0x407ffff
	v_add3_u32 v3, v2, v3, s20
	v_lshrrev_b32_e32 v4, 20, v3
	v_and_b32_e32 v3, 0xff00000, v3
	s_mov_b32 s20, 0x7f00000
	v_mov_b32_e32 v5, 0x7e
	v_cmp_ne_u32_e32 vcc, s20, v3
	v_cndmask_b32_e32 v3, v5, v4, vcc
; %bb.175:
	s_andn2_saveexec_b64 s[18:19], s[18:19]
; %bb.176:
	s_mov_b32 s20, 0x46800000
	v_add_f32_e64 v3, |v2|, s20
; %bb.177:
	s_or_b64 exec, exec, s[18:19]
                                        ; implicit-def: $vgpr4
.LBB285_178:
	s_andn2_saveexec_b64 s[16:17], s[16:17]
; %bb.179:
	s_mov_b32 s18, 0x7f800000
	v_mov_b32_e32 v3, 0x7e
	v_mov_b32_e32 v5, 0x7f
	v_cmp_lt_u32_e32 vcc, s18, v4
	v_cndmask_b32_e32 v3, v3, v5, vcc
; %bb.180:
	s_or_b64 exec, exec, s[16:17]
	v_lshrrev_b32_e32 v2, 24, v2
	s_movk_i32 s16, 0x80
	v_and_or_b32 v4, v2, s16, v3
                                        ; implicit-def: $vgpr2_vgpr3
.LBB285_181:
	s_andn2_saveexec_b64 s[14:15], s[14:15]
	s_cbranch_execz .LBB285_191
; %bb.182:
	flat_load_dword v2, v[2:3]
	s_mov_b32 s16, 0x43f00000
                                        ; implicit-def: $vgpr3
	s_waitcnt vmcnt(0) lgkmcnt(0)
	v_cvt_f32_i32_e32 v2, v2
	v_and_b32_e32 v4, 0x7fffffff, v2
	v_cmp_gt_u32_e32 vcc, s16, v4
	s_and_saveexec_b64 s[16:17], vcc
	s_xor_b64 s[16:17], exec, s[16:17]
	s_cbranch_execz .LBB285_188
; %bb.183:
	s_mov_b32 s18, 0x3c7fffff
	v_cmp_lt_u32_e32 vcc, s18, v4
                                        ; implicit-def: $vgpr3
	s_and_saveexec_b64 s[18:19], vcc
	s_xor_b64 s[18:19], exec, s[18:19]
; %bb.184:
	v_bfe_u32 v3, v2, 20, 1
	s_mov_b32 s20, 0x407ffff
	v_add3_u32 v3, v2, v3, s20
	v_lshrrev_b32_e32 v4, 20, v3
	v_and_b32_e32 v3, 0xff00000, v3
	s_mov_b32 s20, 0x7f00000
	v_mov_b32_e32 v5, 0x7e
	v_cmp_ne_u32_e32 vcc, s20, v3
	v_cndmask_b32_e32 v3, v5, v4, vcc
; %bb.185:
	s_andn2_saveexec_b64 s[18:19], s[18:19]
; %bb.186:
	s_mov_b32 s20, 0x46800000
	v_add_f32_e64 v3, |v2|, s20
; %bb.187:
	s_or_b64 exec, exec, s[18:19]
                                        ; implicit-def: $vgpr4
.LBB285_188:
	s_andn2_saveexec_b64 s[16:17], s[16:17]
; %bb.189:
	s_mov_b32 s18, 0x7f800000
	v_mov_b32_e32 v3, 0x7e
	v_mov_b32_e32 v5, 0x7f
	v_cmp_lt_u32_e32 vcc, s18, v4
	v_cndmask_b32_e32 v3, v3, v5, vcc
; %bb.190:
	s_or_b64 exec, exec, s[16:17]
	v_lshrrev_b32_e32 v2, 24, v2
	s_movk_i32 s16, 0x80
	v_and_or_b32 v4, v2, s16, v3
.LBB285_191:
	s_or_b64 exec, exec, s[14:15]
                                        ; implicit-def: $vgpr2_vgpr3
.LBB285_192:
	s_andn2_saveexec_b64 s[12:13], s[12:13]
	s_cbranch_execz .LBB285_202
; %bb.193:
	flat_load_sshort v2, v[2:3]
	s_mov_b32 s14, 0x43f00000
                                        ; implicit-def: $vgpr3
	s_waitcnt vmcnt(0) lgkmcnt(0)
	v_cvt_f32_i32_e32 v2, v2
	v_and_b32_e32 v4, 0x7fffffff, v2
	v_cmp_gt_u32_e32 vcc, s14, v4
	s_and_saveexec_b64 s[14:15], vcc
	s_xor_b64 s[14:15], exec, s[14:15]
	s_cbranch_execz .LBB285_199
; %bb.194:
	s_mov_b32 s16, 0x3c7fffff
	v_cmp_lt_u32_e32 vcc, s16, v4
                                        ; implicit-def: $vgpr3
	s_and_saveexec_b64 s[16:17], vcc
	s_xor_b64 s[16:17], exec, s[16:17]
; %bb.195:
	v_bfe_u32 v3, v2, 20, 1
	s_mov_b32 s18, 0x407ffff
	v_add3_u32 v3, v2, v3, s18
	v_lshrrev_b32_e32 v4, 20, v3
	v_and_b32_e32 v3, 0xff00000, v3
	s_mov_b32 s18, 0x7f00000
	v_mov_b32_e32 v5, 0x7e
	v_cmp_ne_u32_e32 vcc, s18, v3
	v_cndmask_b32_e32 v3, v5, v4, vcc
; %bb.196:
	s_andn2_saveexec_b64 s[16:17], s[16:17]
; %bb.197:
	s_mov_b32 s18, 0x46800000
	v_add_f32_e64 v3, |v2|, s18
; %bb.198:
	s_or_b64 exec, exec, s[16:17]
                                        ; implicit-def: $vgpr4
.LBB285_199:
	s_andn2_saveexec_b64 s[14:15], s[14:15]
; %bb.200:
	s_mov_b32 s16, 0x7f800000
	v_mov_b32_e32 v3, 0x7e
	v_mov_b32_e32 v5, 0x7f
	v_cmp_lt_u32_e32 vcc, s16, v4
	v_cndmask_b32_e32 v3, v3, v5, vcc
; %bb.201:
	s_or_b64 exec, exec, s[14:15]
	v_lshrrev_b32_e32 v2, 24, v2
	s_movk_i32 s14, 0x80
	v_and_or_b32 v4, v2, s14, v3
.LBB285_202:
	s_or_b64 exec, exec, s[12:13]
                                        ; implicit-def: $vgpr5
                                        ; implicit-def: $vgpr2_vgpr3
.LBB285_203:
	s_andn2_saveexec_b64 s[10:11], s[10:11]
	s_cbranch_execz .LBB285_225
; %bb.204:
	v_mov_b32_e32 v4, 0
	v_cmp_gt_i16_sdwa s[12:13], v5, v4 src0_sel:BYTE_0 src1_sel:DWORD
                                        ; implicit-def: $vgpr4
	s_and_saveexec_b64 s[14:15], s[12:13]
	s_xor_b64 s[12:13], exec, s[14:15]
	s_cbranch_execz .LBB285_214
; %bb.205:
	flat_load_sbyte v2, v[2:3]
	s_mov_b32 s14, 0x43f00000
                                        ; implicit-def: $vgpr3
	s_waitcnt vmcnt(0) lgkmcnt(0)
	v_cvt_f32_i32_e32 v2, v2
	v_and_b32_e32 v4, 0x7fffffff, v2
	v_cmp_gt_u32_e32 vcc, s14, v4
	s_and_saveexec_b64 s[14:15], vcc
	s_xor_b64 s[14:15], exec, s[14:15]
	s_cbranch_execz .LBB285_211
; %bb.206:
	s_mov_b32 s16, 0x3c7fffff
	v_cmp_lt_u32_e32 vcc, s16, v4
                                        ; implicit-def: $vgpr3
	s_and_saveexec_b64 s[16:17], vcc
	s_xor_b64 s[16:17], exec, s[16:17]
; %bb.207:
	v_bfe_u32 v3, v2, 20, 1
	s_mov_b32 s18, 0x407ffff
	v_add3_u32 v3, v2, v3, s18
	v_lshrrev_b32_e32 v4, 20, v3
	v_and_b32_e32 v3, 0xff00000, v3
	s_mov_b32 s18, 0x7f00000
	v_mov_b32_e32 v5, 0x7e
	v_cmp_ne_u32_e32 vcc, s18, v3
	v_cndmask_b32_e32 v3, v5, v4, vcc
; %bb.208:
	s_andn2_saveexec_b64 s[16:17], s[16:17]
; %bb.209:
	s_mov_b32 s18, 0x46800000
	v_add_f32_e64 v3, |v2|, s18
; %bb.210:
	s_or_b64 exec, exec, s[16:17]
                                        ; implicit-def: $vgpr4
.LBB285_211:
	s_andn2_saveexec_b64 s[14:15], s[14:15]
; %bb.212:
	s_mov_b32 s16, 0x7f800000
	v_mov_b32_e32 v3, 0x7e
	v_mov_b32_e32 v5, 0x7f
	v_cmp_lt_u32_e32 vcc, s16, v4
	v_cndmask_b32_e32 v3, v3, v5, vcc
; %bb.213:
	s_or_b64 exec, exec, s[14:15]
	v_lshrrev_b32_e32 v2, 24, v2
	s_movk_i32 s14, 0x80
	v_and_or_b32 v4, v2, s14, v3
                                        ; implicit-def: $vgpr2_vgpr3
.LBB285_214:
	s_andn2_saveexec_b64 s[12:13], s[12:13]
	s_cbranch_execz .LBB285_224
; %bb.215:
	flat_load_ubyte v2, v[2:3]
	s_mov_b32 s14, 0x43f00000
                                        ; implicit-def: $vgpr4
	s_waitcnt vmcnt(0) lgkmcnt(0)
	v_cvt_f32_ubyte0_e32 v2, v2
	v_cmp_gt_u32_e32 vcc, s14, v2
	s_and_saveexec_b64 s[14:15], vcc
	s_xor_b64 s[14:15], exec, s[14:15]
	s_cbranch_execz .LBB285_221
; %bb.216:
	s_mov_b32 s16, 0x3c7fffff
	v_cmp_lt_u32_e32 vcc, s16, v2
                                        ; implicit-def: $vgpr4
	s_and_saveexec_b64 s[16:17], vcc
	s_xor_b64 s[16:17], exec, s[16:17]
; %bb.217:
	v_bfe_u32 v3, v2, 20, 1
	s_mov_b32 s18, 0x407ffff
	v_add3_u32 v2, v2, v3, s18
	v_lshrrev_b32_e32 v3, 20, v2
	v_and_b32_e32 v2, 0xff00000, v2
	s_mov_b32 s18, 0x7f00000
	v_mov_b32_e32 v4, 0x7e
	v_cmp_ne_u32_e32 vcc, s18, v2
	v_cndmask_b32_e32 v4, v4, v3, vcc
                                        ; implicit-def: $vgpr2
; %bb.218:
	s_andn2_saveexec_b64 s[16:17], s[16:17]
; %bb.219:
	v_add_f32_e32 v4, 0x46800000, v2
; %bb.220:
	s_or_b64 exec, exec, s[16:17]
                                        ; implicit-def: $vgpr2
.LBB285_221:
	s_andn2_saveexec_b64 s[14:15], s[14:15]
; %bb.222:
	s_mov_b32 s16, 0x7f800000
	v_mov_b32_e32 v3, 0x7e
	v_mov_b32_e32 v4, 0x7f
	v_cmp_lt_u32_e32 vcc, s16, v2
	v_cndmask_b32_e32 v4, v3, v4, vcc
; %bb.223:
	s_or_b64 exec, exec, s[14:15]
.LBB285_224:
	s_or_b64 exec, exec, s[12:13]
.LBB285_225:
	s_or_b64 exec, exec, s[10:11]
.LBB285_226:
	s_or_b64 exec, exec, s[8:9]
	s_or_b64 s[6:7], s[6:7], exec
	s_or_b64 exec, exec, s[4:5]
                                        ; implicit-def: $sgpr8_sgpr9
	s_and_saveexec_b64 s[4:5], s[6:7]
	s_cbranch_execnz .LBB285_96
.LBB285_227:
	s_or_b64 exec, exec, s[4:5]
	v_cndmask_b32_e64 v0, 0, 1, s[8:9]
	s_waitcnt vmcnt(0) lgkmcnt(0)
	s_setpc_b64 s[30:31]
.LBB285_228:
	s_andn2_saveexec_b64 s[8:9], s[8:9]
	s_cbranch_execz .LBB285_83
.LBB285_229:
	v_mov_b32_e32 v4, 22
	v_cmp_gt_i16_sdwa s[6:7], v5, v4 src0_sel:BYTE_0 src1_sel:DWORD
	s_mov_b64 s[14:15], s[10:11]
                                        ; implicit-def: $vgpr4
	s_and_saveexec_b64 s[16:17], s[6:7]
	s_xor_b64 s[6:7], exec, s[16:17]
	s_cbranch_execz .LBB285_261
; %bb.230:
	v_mov_b32_e32 v4, 23
	v_cmp_gt_i16_sdwa s[14:15], v5, v4 src0_sel:BYTE_0 src1_sel:DWORD
                                        ; implicit-def: $vgpr4
	s_and_saveexec_b64 s[16:17], s[14:15]
	s_xor_b64 s[14:15], exec, s[16:17]
	s_cbranch_execz .LBB285_250
; %bb.231:
	v_mov_b32_e32 v4, 24
	v_cmp_gt_i16_sdwa s[16:17], v5, v4 src0_sel:BYTE_0 src1_sel:DWORD
                                        ; implicit-def: $vgpr4
	s_and_saveexec_b64 s[18:19], s[16:17]
	s_xor_b64 s[16:17], exec, s[18:19]
	s_cbranch_execz .LBB285_247
; %bb.232:
	flat_load_ubyte v5, v[2:3]
	s_movk_i32 s18, 0x7f
	s_waitcnt vmcnt(0) lgkmcnt(0)
	v_cmp_lt_i16_e32 vcc, s18, v5
	s_mov_b64 s[18:19], 0
	s_and_saveexec_b64 s[20:21], vcc
	s_xor_b64 s[20:21], exec, s[20:21]
	s_cbranch_execz .LBB285_281
; %bb.233:
	s_movk_i32 s18, 0x80
	v_cmp_eq_u16_e32 vcc, s18, v5
	s_mov_b64 s[18:19], -1
	s_and_saveexec_b64 s[22:23], vcc
; %bb.234:
	s_xor_b64 s[18:19], exec, -1
; %bb.235:
	s_or_b64 exec, exec, s[22:23]
	s_and_b64 s[18:19], s[18:19], exec
	s_or_saveexec_b64 s[20:21], s[20:21]
	v_mov_b32_e32 v4, 0x7f800001
	s_xor_b64 exec, exec, s[20:21]
	s_cbranch_execnz .LBB285_282
.LBB285_236:
	s_or_b64 exec, exec, s[20:21]
	s_and_saveexec_b64 s[20:21], s[18:19]
	s_cbranch_execz .LBB285_238
.LBB285_237:
	v_lshlrev_b32_e32 v4, 24, v5
	v_and_b32_e32 v5, 0xffff, v5
	v_and_b32_e32 v6, 3, v5
	v_ffbh_u32_e32 v8, v6
	v_min_u32_e32 v8, 32, v8
	v_subrev_u32_e32 v9, 29, v8
	v_bfe_u32 v7, v5, 2, 5
	v_lshlrev_b32_e32 v5, v9, v5
	v_sub_u32_e32 v8, 30, v8
	v_and_b32_e32 v5, 3, v5
	v_cmp_eq_u32_e32 vcc, 0, v7
	v_cndmask_b32_e32 v7, v7, v8, vcc
	v_cndmask_b32_e32 v5, v6, v5, vcc
	v_mov_b32_e32 v6, 0x37800000
	v_lshlrev_b32_e32 v5, 21, v5
	v_and_b32_e32 v4, 0x80000000, v4
	v_lshl_add_u32 v6, v7, 23, v6
	v_or3_b32 v4, v4, v6, v5
.LBB285_238:
	s_or_b64 exec, exec, s[20:21]
	v_and_b32_e32 v6, 0x7fffffff, v4
	s_mov_b32 s18, 0x43f00000
	v_cmp_gt_u32_e32 vcc, s18, v6
                                        ; implicit-def: $vgpr5
	s_and_saveexec_b64 s[18:19], vcc
	s_xor_b64 s[18:19], exec, s[18:19]
	s_cbranch_execz .LBB285_244
; %bb.239:
	s_mov_b32 s20, 0x3c7fffff
	v_cmp_lt_u32_e32 vcc, s20, v6
                                        ; implicit-def: $vgpr5
	s_and_saveexec_b64 s[20:21], vcc
	s_xor_b64 s[20:21], exec, s[20:21]
; %bb.240:
	v_bfe_u32 v5, v4, 20, 1
	s_mov_b32 s22, 0x407ffff
	v_add3_u32 v5, v4, v5, s22
	v_lshrrev_b32_e32 v6, 20, v5
	v_and_b32_e32 v5, 0xff00000, v5
	s_mov_b32 s22, 0x7f00000
	v_mov_b32_e32 v7, 0x7e
	v_cmp_ne_u32_e32 vcc, s22, v5
	v_cndmask_b32_e32 v5, v7, v6, vcc
; %bb.241:
	s_andn2_saveexec_b64 s[20:21], s[20:21]
; %bb.242:
	s_mov_b32 s22, 0x46800000
	v_add_f32_e64 v5, |v4|, s22
; %bb.243:
	s_or_b64 exec, exec, s[20:21]
                                        ; implicit-def: $vgpr6
.LBB285_244:
	s_andn2_saveexec_b64 s[18:19], s[18:19]
; %bb.245:
	s_mov_b32 s20, 0x7f800000
	v_mov_b32_e32 v5, 0x7e
	v_mov_b32_e32 v7, 0x7f
	v_cmp_lt_u32_e32 vcc, s20, v6
	v_cndmask_b32_e32 v5, v5, v7, vcc
; %bb.246:
	s_or_b64 exec, exec, s[18:19]
	v_lshrrev_b32_e32 v4, 24, v4
	s_movk_i32 s18, 0x80
	v_and_or_b32 v4, v4, s18, v5
.LBB285_247:
	s_andn2_saveexec_b64 s[16:17], s[16:17]
	s_cbranch_execz .LBB285_249
; %bb.248:
	flat_load_ubyte v4, v[2:3]
.LBB285_249:
	s_or_b64 exec, exec, s[16:17]
.LBB285_250:
	s_andn2_saveexec_b64 s[14:15], s[14:15]
	s_cbranch_execz .LBB285_260
; %bb.251:
	s_waitcnt vmcnt(0) lgkmcnt(0)
	flat_load_ubyte v4, v[2:3]
	s_movk_i32 s16, 0x7f00
	s_brev_b32 s17, 16
	s_brev_b32 s18, 1
	s_waitcnt vmcnt(0) lgkmcnt(0)
	v_lshlrev_b16_e32 v5, 8, v4
	v_lshlrev_b32_e32 v4, 25, v4
	v_lshrrev_b32_e32 v6, 4, v4
	v_and_or_b32 v7, v5, s16, 0.5
	v_or_b32_e32 v6, 0x70000000, v6
	v_add_f32_e32 v7, -0.5, v7
	v_mul_f32_e32 v6, 0x7800000, v6
	v_cmp_gt_u32_e32 vcc, s17, v4
	v_bfe_i32 v5, v5, 0, 16
	v_cndmask_b32_e32 v7, v6, v7, vcc
	v_and_or_b32 v4, v5, s18, v7
	v_and_b32_e32 v6, 0x7fffffff, v4
	s_mov_b32 s16, 0x43f00000
	v_cmp_gt_u32_e32 vcc, s16, v6
                                        ; implicit-def: $vgpr5
	s_and_saveexec_b64 s[16:17], vcc
	s_xor_b64 s[16:17], exec, s[16:17]
	s_cbranch_execz .LBB285_257
; %bb.252:
	s_mov_b32 s18, 0x3c7fffff
	v_cmp_lt_u32_e32 vcc, s18, v6
                                        ; implicit-def: $vgpr5
	s_and_saveexec_b64 s[18:19], vcc
	s_xor_b64 s[18:19], exec, s[18:19]
; %bb.253:
	v_bfe_u32 v5, v7, 20, 1
	s_mov_b32 s20, 0x407ffff
	v_add3_u32 v5, v4, v5, s20
	v_lshrrev_b32_e32 v6, 20, v5
	v_and_b32_e32 v5, 0xff00000, v5
	s_mov_b32 s20, 0x7f00000
	v_mov_b32_e32 v7, 0x7e
	v_cmp_ne_u32_e32 vcc, s20, v5
	v_cndmask_b32_e32 v5, v7, v6, vcc
; %bb.254:
	s_andn2_saveexec_b64 s[18:19], s[18:19]
; %bb.255:
	s_mov_b32 s20, 0x46800000
	v_add_f32_e64 v5, |v4|, s20
; %bb.256:
	s_or_b64 exec, exec, s[18:19]
                                        ; implicit-def: $vgpr6
.LBB285_257:
	s_andn2_saveexec_b64 s[16:17], s[16:17]
; %bb.258:
	s_mov_b32 s18, 0x7f800000
	v_mov_b32_e32 v5, 0x7e
	v_mov_b32_e32 v7, 0x7f
	v_cmp_lt_u32_e32 vcc, s18, v6
	v_cndmask_b32_e32 v5, v5, v7, vcc
; %bb.259:
	s_or_b64 exec, exec, s[16:17]
	v_lshrrev_b32_e32 v4, 24, v4
	s_movk_i32 s16, 0x80
	v_and_or_b32 v4, v4, s16, v5
.LBB285_260:
	s_or_b64 exec, exec, s[14:15]
	s_or_b64 s[14:15], s[10:11], exec
                                        ; implicit-def: $vgpr5
.LBB285_261:
	s_or_saveexec_b64 s[6:7], s[6:7]
	s_mov_b64 s[16:17], 0
	s_mov_b64 s[18:19], s[12:13]
	s_xor_b64 exec, exec, s[6:7]
	s_cbranch_execz .LBB285_277
; %bb.262:
	s_waitcnt vmcnt(0) lgkmcnt(0)
	v_mov_b32_e32 v4, 14
	v_cmp_gt_i16_sdwa s[16:17], v5, v4 src0_sel:BYTE_0 src1_sel:DWORD
	s_mov_b64 s[18:19], s[12:13]
	s_mov_b64 s[20:21], s[14:15]
                                        ; implicit-def: $vgpr4
	s_and_saveexec_b64 s[22:23], s[16:17]
	s_xor_b64 s[16:17], exec, s[22:23]
	s_cbranch_execz .LBB285_274
; %bb.263:
	v_mov_b32_e32 v4, 15
	v_cmp_eq_u16_sdwa s[24:25], v5, v4 src0_sel:BYTE_0 src1_sel:DWORD
	s_mov_b64 s[22:23], -1
	s_mov_b64 s[20:21], s[14:15]
                                        ; implicit-def: $vgpr4
	s_and_saveexec_b64 s[18:19], s[24:25]
	s_cbranch_execz .LBB285_273
; %bb.264:
	flat_load_ushort v4, v[2:3]
	s_mov_b32 s20, 0x43f00000
                                        ; implicit-def: $vgpr5
	s_waitcnt vmcnt(0) lgkmcnt(0)
	v_lshlrev_b32_e32 v6, 16, v4
	v_and_b32_e32 v7, 0x7fffffff, v6
	v_cmp_gt_u32_e32 vcc, s20, v7
	s_and_saveexec_b64 s[20:21], vcc
	s_xor_b64 s[20:21], exec, s[20:21]
	s_cbranch_execz .LBB285_270
; %bb.265:
	s_mov_b32 s22, 0x3c7fffff
	v_cmp_lt_u32_e32 vcc, s22, v7
                                        ; implicit-def: $vgpr5
	s_and_saveexec_b64 s[22:23], vcc
	s_xor_b64 s[22:23], exec, s[22:23]
; %bb.266:
	v_bfe_u32 v5, v4, 4, 1
	s_mov_b32 s24, 0x407ffff
	v_add3_u32 v5, v6, v5, s24
	v_lshrrev_b32_e32 v6, 20, v5
	v_and_b32_e32 v5, 0xff00000, v5
	s_mov_b32 s24, 0x7f00000
	v_mov_b32_e32 v7, 0x7e
	v_cmp_ne_u32_e32 vcc, s24, v5
	v_cndmask_b32_e32 v5, v7, v6, vcc
                                        ; implicit-def: $vgpr6
; %bb.267:
	s_andn2_saveexec_b64 s[22:23], s[22:23]
; %bb.268:
	s_mov_b32 s24, 0x46800000
	v_add_f32_e64 v5, |v6|, s24
; %bb.269:
	s_or_b64 exec, exec, s[22:23]
                                        ; implicit-def: $vgpr7
.LBB285_270:
	s_andn2_saveexec_b64 s[20:21], s[20:21]
; %bb.271:
	s_mov_b32 s22, 0x7f800000
	v_mov_b32_e32 v5, 0x7e
	v_mov_b32_e32 v6, 0x7f
	v_cmp_lt_u32_e32 vcc, s22, v7
	v_cndmask_b32_e32 v5, v5, v6, vcc
; %bb.272:
	s_or_b64 exec, exec, s[20:21]
	v_lshrrev_b32_e32 v4, 8, v4
	s_movk_i32 s20, 0x80
	v_and_or_b32 v4, v4, s20, v5
	s_or_b64 s[20:21], s[14:15], exec
	s_xor_b64 s[22:23], exec, -1
.LBB285_273:
	s_or_b64 exec, exec, s[18:19]
	s_andn2_b64 s[18:19], s[14:15], exec
	s_and_b64 s[20:21], s[20:21], exec
	s_or_b64 s[20:21], s[18:19], s[20:21]
	s_andn2_b64 s[18:19], s[12:13], exec
	s_and_b64 s[22:23], s[22:23], exec
	s_or_b64 s[18:19], s[18:19], s[22:23]
                                        ; implicit-def: $vgpr5
.LBB285_274:
	s_or_saveexec_b64 s[16:17], s[16:17]
	s_mov_b64 s[22:23], 0
	s_xor_b64 exec, exec, s[16:17]
; %bb.275:
	v_mov_b32_e32 v6, 11
	v_cmp_ne_u16_sdwa s[24:25], v5, v6 src0_sel:BYTE_0 src1_sel:DWORD
	s_andn2_b64 s[18:19], s[18:19], exec
	s_and_b64 s[24:25], s[24:25], exec
	s_mov_b64 s[22:23], exec
	s_or_b64 s[18:19], s[18:19], s[24:25]
; %bb.276:
	s_or_b64 exec, exec, s[16:17]
	s_andn2_b64 s[14:15], s[14:15], exec
	s_and_b64 s[16:17], s[20:21], exec
	s_andn2_b64 s[20:21], s[12:13], exec
	s_and_b64 s[18:19], s[18:19], exec
	s_or_b64 s[14:15], s[14:15], s[16:17]
	s_and_b64 s[16:17], s[22:23], exec
	s_or_b64 s[18:19], s[20:21], s[18:19]
.LBB285_277:
	s_or_b64 exec, exec, s[6:7]
	s_andn2_b64 s[6:7], s[10:11], exec
	s_and_b64 s[10:11], s[14:15], exec
	s_andn2_b64 s[12:13], s[12:13], exec
	s_and_b64 s[14:15], s[18:19], exec
	s_or_b64 s[10:11], s[6:7], s[10:11]
	s_and_b64 s[6:7], s[16:17], exec
	s_or_b64 s[12:13], s[12:13], s[14:15]
	s_or_b64 exec, exec, s[8:9]
	s_and_saveexec_b64 s[8:9], s[12:13]
	s_cbranch_execz .LBB285_84
.LBB285_278:
	s_trap 2
	; divergent unreachable
	s_andn2_b64 s[6:7], s[6:7], exec
	s_or_b64 exec, exec, s[8:9]
	s_and_saveexec_b64 s[8:9], s[6:7]
	s_cbranch_execnz .LBB285_85
	s_branch .LBB285_94
.LBB285_279:
	s_or_saveexec_b64 s[20:21], s[20:21]
	v_mov_b32_e32 v4, 0x7f800001
	s_xor_b64 exec, exec, s[20:21]
	s_cbranch_execz .LBB285_70
.LBB285_280:
	v_cmp_ne_u16_e32 vcc, 0, v5
	s_andn2_b64 s[18:19], s[18:19], exec
	s_and_b64 s[22:23], vcc, exec
	v_mov_b32_e32 v4, 0
	s_or_b64 s[18:19], s[18:19], s[22:23]
	s_or_b64 exec, exec, s[20:21]
	s_and_saveexec_b64 s[20:21], s[18:19]
	s_cbranch_execnz .LBB285_71
	s_branch .LBB285_72
.LBB285_281:
	s_or_saveexec_b64 s[20:21], s[20:21]
	v_mov_b32_e32 v4, 0x7f800001
	s_xor_b64 exec, exec, s[20:21]
	s_cbranch_execz .LBB285_236
.LBB285_282:
	v_cmp_ne_u16_e32 vcc, 0, v5
	s_andn2_b64 s[18:19], s[18:19], exec
	s_and_b64 s[22:23], vcc, exec
	v_mov_b32_e32 v4, 0
	s_or_b64 s[18:19], s[18:19], s[22:23]
	s_or_b64 exec, exec, s[20:21]
	s_and_saveexec_b64 s[20:21], s[18:19]
	s_cbranch_execnz .LBB285_237
	s_branch .LBB285_238
.Lfunc_end285:
	.size	_ZN2at6native6invokeINS0_13AUnaryFunctorIN3c1013Float8_e4m3fnES4_bNS0_12_GLOBAL__N_116CompareEqFunctorIS4_EEEEj15function_traitsIS8_EEENT1_11result_typeERKT_PrKPcPKT0_PKNS3_10ScalarTypeEi, .Lfunc_end285-_ZN2at6native6invokeINS0_13AUnaryFunctorIN3c1013Float8_e4m3fnES4_bNS0_12_GLOBAL__N_116CompareEqFunctorIS4_EEEEj15function_traitsIS8_EEENT1_11result_typeERKT_PrKPcPKT0_PKNS3_10ScalarTypeEi
                                        ; -- End function
	.set .L_ZN2at6native6invokeINS0_13AUnaryFunctorIN3c1013Float8_e4m3fnES4_bNS0_12_GLOBAL__N_116CompareEqFunctorIS4_EEEEj15function_traitsIS8_EEENT1_11result_typeERKT_PrKPcPKT0_PKNS3_10ScalarTypeEi.num_vgpr, 10
	.set .L_ZN2at6native6invokeINS0_13AUnaryFunctorIN3c1013Float8_e4m3fnES4_bNS0_12_GLOBAL__N_116CompareEqFunctorIS4_EEEEj15function_traitsIS8_EEENT1_11result_typeERKT_PrKPcPKT0_PKNS3_10ScalarTypeEi.num_agpr, 0
	.set .L_ZN2at6native6invokeINS0_13AUnaryFunctorIN3c1013Float8_e4m3fnES4_bNS0_12_GLOBAL__N_116CompareEqFunctorIS4_EEEEj15function_traitsIS8_EEENT1_11result_typeERKT_PrKPcPKT0_PKNS3_10ScalarTypeEi.numbered_sgpr, 32
	.set .L_ZN2at6native6invokeINS0_13AUnaryFunctorIN3c1013Float8_e4m3fnES4_bNS0_12_GLOBAL__N_116CompareEqFunctorIS4_EEEEj15function_traitsIS8_EEENT1_11result_typeERKT_PrKPcPKT0_PKNS3_10ScalarTypeEi.num_named_barrier, 0
	.set .L_ZN2at6native6invokeINS0_13AUnaryFunctorIN3c1013Float8_e4m3fnES4_bNS0_12_GLOBAL__N_116CompareEqFunctorIS4_EEEEj15function_traitsIS8_EEENT1_11result_typeERKT_PrKPcPKT0_PKNS3_10ScalarTypeEi.private_seg_size, 0
	.set .L_ZN2at6native6invokeINS0_13AUnaryFunctorIN3c1013Float8_e4m3fnES4_bNS0_12_GLOBAL__N_116CompareEqFunctorIS4_EEEEj15function_traitsIS8_EEENT1_11result_typeERKT_PrKPcPKT0_PKNS3_10ScalarTypeEi.uses_vcc, 1
	.set .L_ZN2at6native6invokeINS0_13AUnaryFunctorIN3c1013Float8_e4m3fnES4_bNS0_12_GLOBAL__N_116CompareEqFunctorIS4_EEEEj15function_traitsIS8_EEENT1_11result_typeERKT_PrKPcPKT0_PKNS3_10ScalarTypeEi.uses_flat_scratch, 0
	.set .L_ZN2at6native6invokeINS0_13AUnaryFunctorIN3c1013Float8_e4m3fnES4_bNS0_12_GLOBAL__N_116CompareEqFunctorIS4_EEEEj15function_traitsIS8_EEENT1_11result_typeERKT_PrKPcPKT0_PKNS3_10ScalarTypeEi.has_dyn_sized_stack, 0
	.set .L_ZN2at6native6invokeINS0_13AUnaryFunctorIN3c1013Float8_e4m3fnES4_bNS0_12_GLOBAL__N_116CompareEqFunctorIS4_EEEEj15function_traitsIS8_EEENT1_11result_typeERKT_PrKPcPKT0_PKNS3_10ScalarTypeEi.has_recursion, 0
	.set .L_ZN2at6native6invokeINS0_13AUnaryFunctorIN3c1013Float8_e4m3fnES4_bNS0_12_GLOBAL__N_116CompareEqFunctorIS4_EEEEj15function_traitsIS8_EEENT1_11result_typeERKT_PrKPcPKT0_PKNS3_10ScalarTypeEi.has_indirect_call, 0
	.section	.AMDGPU.csdata,"",@progbits
; Function info:
; codeLenInByte = 6420
; TotalNumSgprs: 36
; NumVgprs: 10
; ScratchSize: 0
; MemoryBound: 0
	.section	.text._ZN2at6native32elementwise_kernel_manual_unrollILi128ELi4EZNS0_15gpu_kernel_implINS0_13AUnaryFunctorIN3c1013Float8_e4m3fnES5_bNS0_12_GLOBAL__N_116CompareEqFunctorIS5_EEEEEEvRNS_18TensorIteratorBaseERKT_EUlibE0_EEviT1_,"axG",@progbits,_ZN2at6native32elementwise_kernel_manual_unrollILi128ELi4EZNS0_15gpu_kernel_implINS0_13AUnaryFunctorIN3c1013Float8_e4m3fnES5_bNS0_12_GLOBAL__N_116CompareEqFunctorIS5_EEEEEEvRNS_18TensorIteratorBaseERKT_EUlibE0_EEviT1_,comdat
	.globl	_ZN2at6native32elementwise_kernel_manual_unrollILi128ELi4EZNS0_15gpu_kernel_implINS0_13AUnaryFunctorIN3c1013Float8_e4m3fnES5_bNS0_12_GLOBAL__N_116CompareEqFunctorIS5_EEEEEEvRNS_18TensorIteratorBaseERKT_EUlibE0_EEviT1_ ; -- Begin function _ZN2at6native32elementwise_kernel_manual_unrollILi128ELi4EZNS0_15gpu_kernel_implINS0_13AUnaryFunctorIN3c1013Float8_e4m3fnES5_bNS0_12_GLOBAL__N_116CompareEqFunctorIS5_EEEEEEvRNS_18TensorIteratorBaseERKT_EUlibE0_EEviT1_
	.p2align	8
	.type	_ZN2at6native32elementwise_kernel_manual_unrollILi128ELi4EZNS0_15gpu_kernel_implINS0_13AUnaryFunctorIN3c1013Float8_e4m3fnES5_bNS0_12_GLOBAL__N_116CompareEqFunctorIS5_EEEEEEvRNS_18TensorIteratorBaseERKT_EUlibE0_EEviT1_,@function
_ZN2at6native32elementwise_kernel_manual_unrollILi128ELi4EZNS0_15gpu_kernel_implINS0_13AUnaryFunctorIN3c1013Float8_e4m3fnES5_bNS0_12_GLOBAL__N_116CompareEqFunctorIS5_EEEEEEvRNS_18TensorIteratorBaseERKT_EUlibE0_EEviT1_: ; @_ZN2at6native32elementwise_kernel_manual_unrollILi128ELi4EZNS0_15gpu_kernel_implINS0_13AUnaryFunctorIN3c1013Float8_e4m3fnES5_bNS0_12_GLOBAL__N_116CompareEqFunctorIS5_EEEEEEvRNS_18TensorIteratorBaseERKT_EUlibE0_EEviT1_
; %bb.0:
	s_load_dword s76, s[4:5], 0x0
	s_load_dword s33, s[4:5], 0x8
	s_add_u32 s0, s0, s7
	s_addc_u32 s1, s1, 0
	s_mov_b64 s[28:29], s[4:5]
	s_add_u32 s48, s28, 8
	s_addc_u32 s49, s29, 0
	v_lshl_or_b32 v12, s6, 9, v0
	s_waitcnt lgkmcnt(0)
	s_add_i32 s78, s33, -1
	v_or_b32_e32 v2, 0x180, v12
	s_cmp_gt_u32 s78, 1
	v_cmp_le_i32_e32 vcc, s76, v2
	s_cselect_b64 s[50:51], -1, 0
	s_mov_b64 s[34:35], 0
	s_mov_b64 s[38:39], 0
	s_mov_b32 s32, 0
	s_and_saveexec_b64 s[4:5], vcc
	s_xor_b64 s[52:53], exec, s[4:5]
	s_cbranch_execz .LBB286_566
; %bb.1:
	s_load_dwordx4 s[40:43], s[48:49], 0x4
	s_load_dwordx2 s[56:57], s[48:49], 0x14
	s_load_dwordx2 s[54:55], s[48:49], 0x158
	s_load_dword s79, s[48:49], 0x160
	s_cmp_lg_u32 s33, 0
	s_load_dwordx4 s[44:47], s[48:49], 0xc4
	s_load_dwordx4 s[36:39], s[48:49], 0x148
	s_cselect_b64 s[62:63], -1, 0
	s_add_u32 s60, s48, 0xc4
	s_addc_u32 s61, s49, 0
	s_min_u32 s81, s78, 15
	s_cmp_gt_u32 s33, 1
	s_cselect_b64 s[58:59], -1, 0
	s_waitcnt lgkmcnt(0)
	s_bfe_u32 s80, s79, 0x80008
	v_cmp_gt_i32_e32 vcc, s76, v12
	s_mov_b64 s[4:5], -1
	s_mov_b64 s[70:71], 0
	s_mov_b64 s[64:65], 0
	s_and_saveexec_b64 s[66:67], vcc
	s_cbranch_execz .LBB286_138
; %bb.2:
	s_andn2_b64 vcc, exec, s[50:51]
	s_cbranch_vccnz .LBB286_7
; %bb.3:
	s_andn2_b64 vcc, exec, s[62:63]
	s_cbranch_vccnz .LBB286_8
; %bb.4:
	s_add_i32 s31, s81, 1
	s_cmp_eq_u32 s78, 2
	s_cbranch_scc1 .LBB286_9
; %bb.5:
	s_and_b32 s30, s31, 28
	v_mov_b32_e32 v4, 0
	s_mov_b32 s64, 0
	s_mov_b64 s[24:25], s[48:49]
	s_mov_b64 s[26:27], s[60:61]
	v_mov_b32_e32 v10, 0
	v_mov_b32_e32 v0, v12
.LBB286_6:                              ; =>This Inner Loop Header: Depth=1
	s_load_dwordx8 s[12:19], s[24:25], 0x4
	s_load_dwordx4 s[20:23], s[24:25], 0x24
	s_load_dwordx8 s[4:11], s[26:27], 0x0
	s_add_u32 s24, s24, 48
	s_addc_u32 s25, s25, 0
	s_waitcnt lgkmcnt(0)
	v_mul_hi_u32 v1, s13, v0
	s_add_i32 s64, s64, 4
	s_add_u32 s26, s26, 32
	s_addc_u32 s27, s27, 0
	v_add_u32_e32 v1, v0, v1
	v_lshrrev_b32_e32 v1, s14, v1
	v_mul_lo_u32 v2, v1, s12
	v_mul_hi_u32 v3, s16, v1
	s_cmp_lg_u32 s30, s64
	v_sub_u32_e32 v0, v0, v2
	v_add_u32_e32 v2, v1, v3
	v_mul_lo_u32 v3, v0, s4
	v_mul_lo_u32 v5, v0, s5
	v_lshrrev_b32_e32 v0, s17, v2
	v_mul_lo_u32 v2, v0, s15
	v_mul_hi_u32 v6, s19, v0
	v_sub_u32_e32 v1, v1, v2
	v_add_u32_e32 v2, v0, v6
	v_lshrrev_b32_e32 v2, s20, v2
	v_mul_hi_u32 v7, s22, v2
	v_mul_lo_u32 v8, v2, s18
	v_mul_lo_u32 v6, v1, s6
	;; [unrolled: 1-line block ×3, first 2 shown]
	v_sub_u32_e32 v8, v0, v8
	v_add_u32_e32 v0, v2, v7
	v_lshrrev_b32_e32 v0, s23, v0
	v_mul_lo_u32 v7, v0, s21
	v_mul_lo_u32 v9, v8, s8
	;; [unrolled: 1-line block ×3, first 2 shown]
	v_add3_u32 v3, v3, v10, v6
	v_sub_u32_e32 v2, v2, v7
	v_mul_lo_u32 v7, v2, s10
	v_mul_lo_u32 v2, v2, s11
	v_add3_u32 v1, v5, v4, v1
	v_add3_u32 v10, v9, v3, v7
	;; [unrolled: 1-line block ×3, first 2 shown]
	s_cbranch_scc1 .LBB286_6
	s_branch .LBB286_10
.LBB286_7:
                                        ; implicit-def: $vgpr10
                                        ; implicit-def: $vgpr4
	s_andn2_b64 vcc, exec, s[4:5]
	s_cbranch_vccz .LBB286_14
	s_branch .LBB286_16
.LBB286_8:
	v_mov_b32_e32 v10, 0
	v_mov_b32_e32 v4, 0
	s_branch .LBB286_13
.LBB286_9:
	s_mov_b32 s30, 0
	v_mov_b32_e32 v10, 0
	v_mov_b32_e32 v4, 0
	;; [unrolled: 1-line block ×3, first 2 shown]
.LBB286_10:
	s_and_b32 s8, s31, 3
	s_cmp_eq_u32 s8, 0
	s_cbranch_scc1 .LBB286_13
; %bb.11:
	s_lshl_b32 s4, s30, 3
	s_add_u32 s4, s48, s4
	s_addc_u32 s5, s49, 0
	s_add_u32 s4, s4, 0xc4
	s_addc_u32 s5, s5, 0
	s_mul_i32 s6, s30, 12
	s_add_u32 s6, s48, s6
	s_addc_u32 s7, s49, 0
.LBB286_12:                             ; =>This Inner Loop Header: Depth=1
	s_load_dwordx2 s[10:11], s[6:7], 0x4
	s_load_dword s9, s[6:7], 0xc
	s_load_dwordx2 s[12:13], s[4:5], 0x0
	s_add_u32 s6, s6, 12
	s_addc_u32 s7, s7, 0
	s_waitcnt lgkmcnt(0)
	v_mul_hi_u32 v1, s11, v0
	s_add_u32 s4, s4, 8
	s_addc_u32 s5, s5, 0
	s_add_i32 s8, s8, -1
	v_add_u32_e32 v1, v0, v1
	v_lshrrev_b32_e32 v1, s9, v1
	v_mul_lo_u32 v2, v1, s10
	s_cmp_lg_u32 s8, 0
	v_sub_u32_e32 v0, v0, v2
	v_mad_u64_u32 v[10:11], s[10:11], v0, s12, v[10:11]
	v_mad_u64_u32 v[4:5], s[10:11], v0, s13, v[4:5]
	v_mov_b32_e32 v0, v1
	s_cbranch_scc1 .LBB286_12
.LBB286_13:
	s_cbranch_execnz .LBB286_16
.LBB286_14:
	v_mul_hi_u32 v0, s41, v12
	s_andn2_b64 vcc, exec, s[58:59]
	v_add_u32_e32 v0, v12, v0
	v_lshrrev_b32_e32 v0, s42, v0
	v_mul_lo_u32 v1, v0, s40
	v_sub_u32_e32 v1, v12, v1
	v_mul_lo_u32 v10, v1, s44
	v_mul_lo_u32 v4, v1, s45
	s_cbranch_vccnz .LBB286_16
; %bb.15:
	v_mul_hi_u32 v1, s56, v0
	v_add_u32_e32 v1, v0, v1
	v_lshrrev_b32_e32 v1, s57, v1
	v_mul_lo_u32 v1, v1, s43
	v_sub_u32_e32 v0, v0, v1
	v_mad_u64_u32 v[10:11], s[4:5], v0, s46, v[10:11]
	v_mad_u64_u32 v[4:5], s[4:5], v0, s47, v[4:5]
.LBB286_16:
	s_getpc_b64 s[4:5]
	s_add_u32 s4, s4, _ZN2at6native6invokeINS0_13AUnaryFunctorIN3c1013Float8_e4m3fnES4_bNS0_12_GLOBAL__N_116CompareEqFunctorIS4_EEEEj15function_traitsIS8_EEENT1_11result_typeERKT_PrKPcPKT0_PKNS3_10ScalarTypeEi@rel32@lo+4
	s_addc_u32 s5, s5, _ZN2at6native6invokeINS0_13AUnaryFunctorIN3c1013Float8_e4m3fnES4_bNS0_12_GLOBAL__N_116CompareEqFunctorIS4_EEEEj15function_traitsIS8_EEENT1_11result_typeERKT_PrKPcPKT0_PKNS3_10ScalarTypeEi@rel32@hi+12
	v_mov_b32_e32 v0, s54
	v_mov_b32_e32 v1, s55
	;; [unrolled: 1-line block ×5, first 2 shown]
	s_swappc_b64 s[30:31], s[4:5]
	v_and_b32_e32 v0, 1, v0
	v_cmp_eq_u32_e64 s[4:5], 1, v0
	v_mov_b32_e32 v1, s37
	s_and_b32 s14, s79, 0xff
	v_add_co_u32_e32 v0, vcc, s36, v10
	s_cmp_lt_i32 s14, 11
	v_addc_co_u32_e32 v1, vcc, 0, v1, vcc
	s_cbranch_scc1 .LBB286_23
; %bb.17:
	s_and_b32 s15, 0xffff, s14
	s_cmp_gt_i32 s15, 25
	s_cbranch_scc0 .LBB286_26
; %bb.18:
	s_cmp_gt_i32 s15, 28
	s_cbranch_scc0 .LBB286_27
; %bb.19:
	;; [unrolled: 3-line block ×4, first 2 shown]
	s_mov_b64 s[10:11], 0
	s_mov_b64 s[6:7], -1
	s_cmp_eq_u32 s15, 46
	s_mov_b64 s[8:9], 0
	s_cbranch_scc0 .LBB286_30
; %bb.22:
	v_cndmask_b32_e64 v2, 0, 1.0, s[4:5]
	v_bfe_u32 v3, v2, 16, 1
	s_movk_i32 s6, 0x7fff
	v_add3_u32 v2, v2, v3, s6
	v_lshrrev_b32_e32 v2, 16, v2
	global_store_dword v[0:1], v2, off
	s_mov_b64 s[8:9], -1
	s_mov_b64 s[6:7], 0
	s_branch .LBB286_30
.LBB286_23:
	s_mov_b64 s[6:7], 0
	s_mov_b64 s[8:9], 0
	s_cbranch_execnz .LBB286_98
.LBB286_24:
	s_andn2_b64 vcc, exec, s[8:9]
	s_cbranch_vccnz .LBB286_136
.LBB286_25:
	v_add_u32_e32 v12, 0x80, v12
	s_mov_b64 s[4:5], -1
	s_branch .LBB286_137
.LBB286_26:
	s_mov_b64 s[6:7], 0
	s_mov_b64 s[8:9], 0
	s_cbranch_execnz .LBB286_57
	s_branch .LBB286_97
.LBB286_27:
	s_mov_b64 s[10:11], -1
	s_mov_b64 s[6:7], 0
	s_mov_b64 s[8:9], 0
	s_branch .LBB286_40
.LBB286_28:
	s_mov_b64 s[10:11], -1
	s_mov_b64 s[6:7], 0
	s_mov_b64 s[8:9], 0
	s_branch .LBB286_36
.LBB286_29:
	s_mov_b64 s[10:11], -1
	s_mov_b64 s[6:7], 0
	s_mov_b64 s[8:9], 0
.LBB286_30:
	s_and_b64 vcc, exec, s[10:11]
	s_cbranch_vccz .LBB286_35
; %bb.31:
	s_cmp_eq_u32 s15, 44
	s_mov_b64 s[6:7], -1
	s_cbranch_scc0 .LBB286_35
; %bb.32:
	v_cndmask_b32_e64 v3, 0, 1.0, s[4:5]
	v_lshrrev_b32_e32 v2, 23, v3
	s_movk_i32 s6, 0xff
	v_cmp_ne_u32_e32 vcc, s6, v2
	v_mov_b32_e32 v4, 0xff
	s_and_saveexec_b64 s[8:9], vcc
; %bb.33:
	s_mov_b32 s6, 0x3fffff
	v_and_b32_e32 v4, 0x400000, v3
	v_and_or_b32 v3, v3, s6, v2
	v_cmp_ne_u32_e32 vcc, 0, v4
	v_cmp_ne_u32_e64 s[6:7], 0, v3
	s_and_b64 s[6:7], vcc, s[6:7]
	v_cndmask_b32_e64 v3, 0, 1, s[6:7]
	v_add_u32_e32 v4, v2, v3
; %bb.34:
	s_or_b64 exec, exec, s[8:9]
	s_mov_b64 s[8:9], -1
	s_mov_b64 s[6:7], 0
	global_store_byte v[0:1], v4, off
.LBB286_35:
	s_mov_b64 s[10:11], 0
.LBB286_36:
	s_and_b64 vcc, exec, s[10:11]
	s_cbranch_vccz .LBB286_39
; %bb.37:
	s_cmp_eq_u32 s15, 29
	s_mov_b64 s[6:7], -1
	s_cbranch_scc0 .LBB286_39
; %bb.38:
	s_mov_b32 s6, 0
	v_cndmask_b32_e64 v2, 0, 1, s[4:5]
	v_mov_b32_e32 v3, s6
	global_store_dwordx2 v[0:1], v[2:3], off
	s_mov_b64 s[8:9], -1
	s_mov_b64 s[6:7], 0
.LBB286_39:
	s_mov_b64 s[10:11], 0
.LBB286_40:
	s_and_b64 vcc, exec, s[10:11]
	s_cbranch_vccz .LBB286_56
; %bb.41:
	s_cmp_lt_i32 s15, 27
	s_mov_b64 s[8:9], -1
	s_cbranch_scc1 .LBB286_47
; %bb.42:
	s_cmp_gt_i32 s15, 27
	s_cbranch_scc0 .LBB286_44
; %bb.43:
	v_cndmask_b32_e64 v2, 0, 1, s[4:5]
	s_mov_b64 s[8:9], 0
	global_store_dword v[0:1], v2, off
.LBB286_44:
	s_andn2_b64 vcc, exec, s[8:9]
	s_cbranch_vccnz .LBB286_46
; %bb.45:
	v_cndmask_b32_e64 v2, 0, 1, s[4:5]
	global_store_short v[0:1], v2, off
.LBB286_46:
	s_mov_b64 s[8:9], 0
.LBB286_47:
	s_andn2_b64 vcc, exec, s[8:9]
	s_cbranch_vccnz .LBB286_55
; %bb.48:
	v_cndmask_b32_e64 v3, 0, 1.0, s[4:5]
	s_mov_b32 s8, 0x43800000
	v_cmp_gt_u32_e32 vcc, s8, v3
	v_mov_b32_e32 v4, 0x80
	s_and_saveexec_b64 s[8:9], vcc
	s_cbranch_execz .LBB286_54
; %bb.49:
	s_mov_b32 s10, 0x3bffffff
	v_cmp_lt_u32_e32 vcc, s10, v3
	s_mov_b64 s[10:11], 0
                                        ; implicit-def: $vgpr2
	s_and_saveexec_b64 s[12:13], vcc
	s_xor_b64 s[12:13], exec, s[12:13]
	s_cbranch_execz .LBB286_169
; %bb.50:
	v_bfe_u32 v2, v3, 20, 1
	s_mov_b32 s16, 0x487ffff
	v_add3_u32 v2, v3, v2, s16
	s_mov_b64 s[10:11], exec
	v_lshrrev_b32_e32 v2, 20, v2
                                        ; implicit-def: $vgpr3
	s_andn2_saveexec_b64 s[12:13], s[12:13]
	s_cbranch_execnz .LBB286_170
.LBB286_51:
	s_or_b64 exec, exec, s[12:13]
	v_mov_b32_e32 v4, 0
	s_and_saveexec_b64 s[12:13], s[10:11]
.LBB286_52:
	v_mov_b32_e32 v4, v2
.LBB286_53:
	s_or_b64 exec, exec, s[12:13]
.LBB286_54:
	s_or_b64 exec, exec, s[8:9]
	global_store_byte v[0:1], v4, off
.LBB286_55:
	s_mov_b64 s[8:9], -1
.LBB286_56:
	s_branch .LBB286_97
.LBB286_57:
	s_cmp_gt_i32 s15, 22
	s_mov_b64 s[10:11], -1
	s_cbranch_scc0 .LBB286_89
; %bb.58:
	s_cmp_lt_i32 s15, 24
	s_mov_b64 s[8:9], -1
	s_cbranch_scc1 .LBB286_78
; %bb.59:
	s_cmp_gt_i32 s15, 24
	s_cbranch_scc0 .LBB286_67
; %bb.60:
	v_cndmask_b32_e64 v3, 0, 1.0, s[4:5]
	s_mov_b32 s8, 0x47800000
	v_cmp_gt_u32_e32 vcc, s8, v3
	v_mov_b32_e32 v4, 0x80
	s_and_saveexec_b64 s[8:9], vcc
	s_cbranch_execz .LBB286_66
; %bb.61:
	s_mov_b32 s10, 0x37ffffff
	v_cmp_lt_u32_e32 vcc, s10, v3
	s_mov_b64 s[10:11], 0
                                        ; implicit-def: $vgpr2
	s_and_saveexec_b64 s[12:13], vcc
	s_xor_b64 s[12:13], exec, s[12:13]
	s_cbranch_execz .LBB286_172
; %bb.62:
	v_bfe_u32 v2, v3, 21, 1
	s_mov_b32 s16, 0x88fffff
	v_add3_u32 v2, v3, v2, s16
	s_mov_b64 s[10:11], exec
	v_lshrrev_b32_e32 v2, 21, v2
                                        ; implicit-def: $vgpr3
	s_andn2_saveexec_b64 s[12:13], s[12:13]
	s_cbranch_execnz .LBB286_173
.LBB286_63:
	s_or_b64 exec, exec, s[12:13]
	v_mov_b32_e32 v4, 0
	s_and_saveexec_b64 s[12:13], s[10:11]
.LBB286_64:
	v_mov_b32_e32 v4, v2
.LBB286_65:
	s_or_b64 exec, exec, s[12:13]
.LBB286_66:
	s_or_b64 exec, exec, s[8:9]
	s_mov_b64 s[8:9], 0
	global_store_byte v[0:1], v4, off
.LBB286_67:
	s_and_b64 vcc, exec, s[8:9]
	s_cbranch_vccz .LBB286_77
; %bb.68:
	v_cndmask_b32_e64 v2, 0, 1.0, s[4:5]
	s_mov_b32 s8, 0x43f00000
	v_cmp_gt_u32_e32 vcc, s8, v2
                                        ; implicit-def: $vgpr3
	s_and_saveexec_b64 s[8:9], vcc
	s_xor_b64 s[8:9], exec, s[8:9]
	s_cbranch_execz .LBB286_74
; %bb.69:
	s_mov_b32 s10, 0x3c7fffff
	v_cmp_lt_u32_e32 vcc, s10, v2
                                        ; implicit-def: $vgpr3
	s_and_saveexec_b64 s[10:11], vcc
	s_xor_b64 s[10:11], exec, s[10:11]
; %bb.70:
	v_bfe_u32 v3, v2, 20, 1
	s_mov_b32 s12, 0x407ffff
	v_add3_u32 v2, v2, v3, s12
	v_lshrrev_b32_e32 v3, 20, v2
	v_and_b32_e32 v2, 0xff00000, v2
	s_mov_b32 s12, 0x7f00000
	v_mov_b32_e32 v4, 0x7e
	v_cmp_ne_u32_e32 vcc, s12, v2
	v_cndmask_b32_e32 v3, v4, v3, vcc
                                        ; implicit-def: $vgpr2
; %bb.71:
	s_andn2_saveexec_b64 s[10:11], s[10:11]
; %bb.72:
	v_add_f32_e32 v3, 0x46800000, v2
; %bb.73:
	s_or_b64 exec, exec, s[10:11]
                                        ; implicit-def: $vgpr2
.LBB286_74:
	s_andn2_saveexec_b64 s[8:9], s[8:9]
; %bb.75:
	s_mov_b32 s10, 0x7f800000
	v_mov_b32_e32 v3, 0x7e
	v_mov_b32_e32 v4, 0x7f
	v_cmp_lt_u32_e32 vcc, s10, v2
	v_cndmask_b32_e32 v3, v3, v4, vcc
; %bb.76:
	s_or_b64 exec, exec, s[8:9]
	global_store_byte v[0:1], v3, off
.LBB286_77:
	s_mov_b64 s[8:9], 0
.LBB286_78:
	s_andn2_b64 vcc, exec, s[8:9]
	s_cbranch_vccnz .LBB286_88
; %bb.79:
	v_cndmask_b32_e64 v2, 0, 1.0, s[4:5]
	s_mov_b32 s8, 0x47800000
	v_cmp_gt_u32_e32 vcc, s8, v2
                                        ; implicit-def: $vgpr3
	s_and_saveexec_b64 s[8:9], vcc
	s_xor_b64 s[8:9], exec, s[8:9]
	s_cbranch_execz .LBB286_85
; %bb.80:
	s_mov_b32 s10, 0x387fffff
	v_cmp_lt_u32_e32 vcc, s10, v2
                                        ; implicit-def: $vgpr3
	s_and_saveexec_b64 s[10:11], vcc
	s_xor_b64 s[10:11], exec, s[10:11]
; %bb.81:
	v_bfe_u32 v3, v2, 21, 1
	s_mov_b32 s12, 0x80fffff
	v_add3_u32 v2, v2, v3, s12
	v_lshrrev_b32_e32 v3, 21, v2
                                        ; implicit-def: $vgpr2
; %bb.82:
	s_andn2_saveexec_b64 s[10:11], s[10:11]
; %bb.83:
	v_add_f32_e32 v3, 0x43000000, v2
; %bb.84:
	s_or_b64 exec, exec, s[10:11]
                                        ; implicit-def: $vgpr2
.LBB286_85:
	s_andn2_saveexec_b64 s[8:9], s[8:9]
; %bb.86:
	s_mov_b32 s10, 0x7f800000
	v_mov_b32_e32 v3, 0x7c
	v_mov_b32_e32 v4, 0x7f
	v_cmp_lt_u32_e32 vcc, s10, v2
	v_cndmask_b32_e32 v3, v3, v4, vcc
; %bb.87:
	s_or_b64 exec, exec, s[8:9]
	global_store_byte v[0:1], v3, off
.LBB286_88:
	s_mov_b64 s[10:11], 0
	s_mov_b64 s[8:9], -1
.LBB286_89:
	s_andn2_b64 vcc, exec, s[10:11]
	s_cbranch_vccnz .LBB286_97
; %bb.90:
	s_cmp_gt_i32 s15, 14
	s_mov_b64 s[10:11], -1
	s_cbranch_scc0 .LBB286_94
; %bb.91:
	s_cmp_eq_u32 s15, 15
	s_mov_b64 s[6:7], -1
	s_cbranch_scc0 .LBB286_93
; %bb.92:
	v_cndmask_b32_e64 v2, 0, 1.0, s[4:5]
	v_bfe_u32 v3, v2, 16, 1
	s_movk_i32 s6, 0x7fff
	v_add3_u32 v2, v2, v3, s6
	global_store_short_d16_hi v[0:1], v2, off
	s_mov_b64 s[8:9], -1
	s_mov_b64 s[6:7], 0
.LBB286_93:
	s_mov_b64 s[10:11], 0
.LBB286_94:
	s_and_b64 vcc, exec, s[10:11]
	s_cbranch_vccz .LBB286_97
; %bb.95:
	s_cmp_eq_u32 s15, 11
	s_mov_b64 s[6:7], -1
	s_cbranch_scc0 .LBB286_97
; %bb.96:
	v_cndmask_b32_e64 v2, 0, 1, s[4:5]
	s_mov_b64 s[8:9], -1
	s_mov_b64 s[6:7], 0
	global_store_byte v[0:1], v2, off
.LBB286_97:
	s_branch .LBB286_24
.LBB286_98:
	s_and_b32 s10, 0xffff, s14
	s_cmp_lt_i32 s10, 5
	s_mov_b64 s[8:9], -1
	s_cbranch_scc1 .LBB286_119
; %bb.99:
	s_cmp_lt_i32 s10, 8
	s_cbranch_scc1 .LBB286_109
; %bb.100:
	s_cmp_lt_i32 s10, 9
	s_cbranch_scc1 .LBB286_106
; %bb.101:
	s_cmp_gt_i32 s10, 9
	s_cbranch_scc0 .LBB286_103
; %bb.102:
	v_cndmask_b32_e64 v2, 0, 1, s[4:5]
	v_cvt_f64_u32_e32 v[2:3], v2
	v_mov_b32_e32 v4, 0
	v_mov_b32_e32 v5, v4
	s_mov_b64 s[8:9], 0
	global_store_dwordx4 v[0:1], v[2:5], off
.LBB286_103:
	s_andn2_b64 vcc, exec, s[8:9]
	s_cbranch_vccnz .LBB286_105
; %bb.104:
	v_cndmask_b32_e64 v2, 0, 1.0, s[4:5]
	v_mov_b32_e32 v3, 0
	global_store_dwordx2 v[0:1], v[2:3], off
.LBB286_105:
	s_mov_b64 s[8:9], 0
.LBB286_106:
	s_andn2_b64 vcc, exec, s[8:9]
	s_cbranch_vccnz .LBB286_108
; %bb.107:
	v_cndmask_b32_e64 v2, 0, 1.0, s[4:5]
	v_cvt_f16_f32_e32 v2, v2
	global_store_dword v[0:1], v2, off
.LBB286_108:
	s_mov_b64 s[8:9], 0
.LBB286_109:
	s_andn2_b64 vcc, exec, s[8:9]
	s_cbranch_vccnz .LBB286_118
; %bb.110:
	s_cmp_lt_i32 s10, 6
	s_mov_b64 s[8:9], -1
	s_cbranch_scc1 .LBB286_116
; %bb.111:
	s_cmp_gt_i32 s10, 6
	s_cbranch_scc0 .LBB286_113
; %bb.112:
	v_cndmask_b32_e64 v2, 0, 1, s[4:5]
	v_cvt_f64_u32_e32 v[2:3], v2
	s_mov_b64 s[8:9], 0
	global_store_dwordx2 v[0:1], v[2:3], off
.LBB286_113:
	s_andn2_b64 vcc, exec, s[8:9]
	s_cbranch_vccnz .LBB286_115
; %bb.114:
	v_cndmask_b32_e64 v2, 0, 1.0, s[4:5]
	global_store_dword v[0:1], v2, off
.LBB286_115:
	s_mov_b64 s[8:9], 0
.LBB286_116:
	s_andn2_b64 vcc, exec, s[8:9]
	s_cbranch_vccnz .LBB286_118
; %bb.117:
	v_cndmask_b32_e64 v2, 0, 1.0, s[4:5]
	v_cvt_f16_f32_e32 v2, v2
	global_store_short v[0:1], v2, off
.LBB286_118:
	s_mov_b64 s[8:9], 0
.LBB286_119:
	s_andn2_b64 vcc, exec, s[8:9]
	s_cbranch_vccnz .LBB286_135
; %bb.120:
	s_cmp_lt_i32 s10, 2
	s_mov_b64 s[8:9], -1
	s_cbranch_scc1 .LBB286_130
; %bb.121:
	s_cmp_lt_i32 s10, 3
	s_cbranch_scc1 .LBB286_127
; %bb.122:
	s_cmp_gt_i32 s10, 3
	s_cbranch_scc0 .LBB286_124
; %bb.123:
	s_mov_b32 s8, 0
	v_cndmask_b32_e64 v2, 0, 1, s[4:5]
	v_mov_b32_e32 v3, s8
	global_store_dwordx2 v[0:1], v[2:3], off
	s_mov_b64 s[8:9], 0
.LBB286_124:
	s_andn2_b64 vcc, exec, s[8:9]
	s_cbranch_vccnz .LBB286_126
; %bb.125:
	v_cndmask_b32_e64 v2, 0, 1, s[4:5]
	global_store_dword v[0:1], v2, off
.LBB286_126:
	s_mov_b64 s[8:9], 0
.LBB286_127:
	s_andn2_b64 vcc, exec, s[8:9]
	s_cbranch_vccnz .LBB286_129
; %bb.128:
	v_cndmask_b32_e64 v2, 0, 1, s[4:5]
	global_store_short v[0:1], v2, off
.LBB286_129:
	s_mov_b64 s[8:9], 0
.LBB286_130:
	s_andn2_b64 vcc, exec, s[8:9]
	s_cbranch_vccnz .LBB286_135
; %bb.131:
	s_cmp_gt_i32 s10, 0
	s_mov_b64 s[8:9], -1
	s_cbranch_scc0 .LBB286_133
; %bb.132:
	v_cndmask_b32_e64 v2, 0, 1, s[4:5]
	global_store_byte v[0:1], v2, off
	s_mov_b64 s[8:9], 0
.LBB286_133:
	s_andn2_b64 vcc, exec, s[8:9]
	s_cbranch_vccnz .LBB286_135
; %bb.134:
	v_cndmask_b32_e64 v2, 0, 1, s[4:5]
	global_store_byte v[0:1], v2, off
.LBB286_135:
	s_branch .LBB286_25
.LBB286_136:
	s_mov_b64 s[4:5], 0
                                        ; implicit-def: $vgpr12
.LBB286_137:
	s_and_b64 s[64:65], s[6:7], exec
	s_orn2_b64 s[4:5], s[4:5], exec
.LBB286_138:
	s_or_b64 exec, exec, s[66:67]
	s_mov_b64 s[8:9], 0
                                        ; implicit-def: $sgpr6_sgpr7
                                        ; implicit-def: $sgpr16
                                        ; implicit-def: $vgpr0_vgpr1
	s_and_saveexec_b64 s[66:67], s[4:5]
	s_cbranch_execz .LBB286_145
; %bb.139:
	v_cmp_gt_i32_e32 vcc, s76, v12
	s_mov_b64 s[10:11], -1
	s_mov_b64 s[68:69], s[64:65]
	s_and_saveexec_b64 s[70:71], vcc
	s_cbranch_execz .LBB286_284
; %bb.140:
	s_andn2_b64 vcc, exec, s[50:51]
	s_cbranch_vccnz .LBB286_148
; %bb.141:
	s_andn2_b64 vcc, exec, s[62:63]
	s_cbranch_vccnz .LBB286_149
; %bb.142:
	s_add_i32 s31, s81, 1
	s_cmp_eq_u32 s78, 2
	s_cbranch_scc1 .LBB286_150
; %bb.143:
	s_and_b32 s30, s31, 28
	v_mov_b32_e32 v4, 0
	s_mov_b32 s68, 0
	s_mov_b64 s[24:25], s[48:49]
	s_mov_b64 s[26:27], s[60:61]
	v_mov_b32_e32 v10, 0
	v_mov_b32_e32 v0, v12
.LBB286_144:                            ; =>This Inner Loop Header: Depth=1
	s_load_dwordx8 s[12:19], s[24:25], 0x4
	s_load_dwordx4 s[20:23], s[24:25], 0x24
	s_load_dwordx8 s[4:11], s[26:27], 0x0
	s_add_u32 s24, s24, 48
	s_addc_u32 s25, s25, 0
	s_waitcnt lgkmcnt(0)
	v_mul_hi_u32 v1, s13, v0
	s_add_i32 s68, s68, 4
	s_add_u32 s26, s26, 32
	s_addc_u32 s27, s27, 0
	v_add_u32_e32 v1, v0, v1
	v_lshrrev_b32_e32 v1, s14, v1
	v_mul_lo_u32 v2, v1, s12
	v_mul_hi_u32 v3, s16, v1
	s_cmp_eq_u32 s30, s68
	v_sub_u32_e32 v0, v0, v2
	v_add_u32_e32 v2, v1, v3
	v_mul_lo_u32 v3, v0, s4
	v_mul_lo_u32 v5, v0, s5
	v_lshrrev_b32_e32 v0, s17, v2
	v_mul_lo_u32 v2, v0, s15
	v_mul_hi_u32 v6, s19, v0
	v_sub_u32_e32 v1, v1, v2
	v_add_u32_e32 v2, v0, v6
	v_lshrrev_b32_e32 v2, s20, v2
	v_mul_hi_u32 v7, s22, v2
	v_mul_lo_u32 v8, v2, s18
	v_mul_lo_u32 v6, v1, s6
	;; [unrolled: 1-line block ×3, first 2 shown]
	v_sub_u32_e32 v8, v0, v8
	v_add_u32_e32 v0, v2, v7
	v_lshrrev_b32_e32 v0, s23, v0
	v_mul_lo_u32 v7, v0, s21
	v_mul_lo_u32 v9, v8, s8
	v_mul_lo_u32 v8, v8, s9
	v_add3_u32 v3, v3, v10, v6
	v_sub_u32_e32 v2, v2, v7
	v_mul_lo_u32 v7, v2, s10
	v_mul_lo_u32 v2, v2, s11
	v_add3_u32 v1, v5, v4, v1
	v_add3_u32 v10, v9, v3, v7
	;; [unrolled: 1-line block ×3, first 2 shown]
	s_cbranch_scc0 .LBB286_144
	s_branch .LBB286_151
.LBB286_145:
	s_or_b64 exec, exec, s[66:67]
	s_mov_b64 s[4:5], 0
	s_and_saveexec_b64 s[10:11], s[64:65]
	s_cbranch_execnz .LBB286_526
.LBB286_146:
	s_or_b64 exec, exec, s[10:11]
	s_and_saveexec_b64 s[10:11], s[70:71]
	s_xor_b64 s[10:11], exec, s[10:11]
	s_cbranch_execz .LBB286_527
.LBB286_147:
	v_cndmask_b32_e64 v2, 0, 1, s[6:7]
	global_store_byte v[0:1], v2, off
	s_or_b64 exec, exec, s[10:11]
	s_and_saveexec_b64 s[10:11], s[8:9]
	s_xor_b64 s[8:9], exec, s[10:11]
	s_cbranch_execz .LBB286_565
	s_branch .LBB286_528
.LBB286_148:
                                        ; implicit-def: $vgpr10
                                        ; implicit-def: $vgpr4
	s_branch .LBB286_155
.LBB286_149:
	v_mov_b32_e32 v10, 0
	v_mov_b32_e32 v4, 0
	s_branch .LBB286_154
.LBB286_150:
	s_mov_b32 s30, 0
	v_mov_b32_e32 v10, 0
	v_mov_b32_e32 v4, 0
	;; [unrolled: 1-line block ×3, first 2 shown]
.LBB286_151:
	s_and_b32 s8, s31, 3
	s_cmp_eq_u32 s8, 0
	s_cbranch_scc1 .LBB286_154
; %bb.152:
	s_lshl_b32 s4, s30, 3
	s_add_u32 s4, s48, s4
	s_addc_u32 s5, s49, 0
	s_add_u32 s4, s4, 0xc4
	s_addc_u32 s5, s5, 0
	s_mul_i32 s6, s30, 12
	s_add_u32 s6, s48, s6
	s_addc_u32 s7, s49, 0
.LBB286_153:                            ; =>This Inner Loop Header: Depth=1
	s_load_dwordx2 s[10:11], s[6:7], 0x4
	s_load_dword s9, s[6:7], 0xc
	s_load_dwordx2 s[12:13], s[4:5], 0x0
	s_add_u32 s6, s6, 12
	s_addc_u32 s7, s7, 0
	s_waitcnt lgkmcnt(0)
	v_mul_hi_u32 v1, s11, v0
	s_add_u32 s4, s4, 8
	s_addc_u32 s5, s5, 0
	s_add_i32 s8, s8, -1
	v_add_u32_e32 v1, v0, v1
	v_lshrrev_b32_e32 v1, s9, v1
	v_mul_lo_u32 v2, v1, s10
	s_cmp_lg_u32 s8, 0
	v_sub_u32_e32 v0, v0, v2
	v_mad_u64_u32 v[10:11], s[10:11], v0, s12, v[10:11]
	v_mad_u64_u32 v[4:5], s[10:11], v0, s13, v[4:5]
	v_mov_b32_e32 v0, v1
	s_cbranch_scc1 .LBB286_153
.LBB286_154:
	s_cbranch_execnz .LBB286_157
.LBB286_155:
	v_mul_hi_u32 v0, s41, v12
	s_andn2_b64 vcc, exec, s[58:59]
	v_add_u32_e32 v0, v12, v0
	v_lshrrev_b32_e32 v0, s42, v0
	v_mul_lo_u32 v1, v0, s40
	v_sub_u32_e32 v1, v12, v1
	v_mul_lo_u32 v10, v1, s44
	v_mul_lo_u32 v4, v1, s45
	s_cbranch_vccnz .LBB286_157
; %bb.156:
	v_mul_hi_u32 v1, s56, v0
	v_add_u32_e32 v1, v0, v1
	v_lshrrev_b32_e32 v1, s57, v1
	v_mul_lo_u32 v1, v1, s43
	v_sub_u32_e32 v0, v0, v1
	v_mad_u64_u32 v[10:11], s[4:5], v0, s46, v[10:11]
	v_mad_u64_u32 v[4:5], s[4:5], v0, s47, v[4:5]
.LBB286_157:
	s_getpc_b64 s[4:5]
	s_add_u32 s4, s4, _ZN2at6native6invokeINS0_13AUnaryFunctorIN3c1013Float8_e4m3fnES4_bNS0_12_GLOBAL__N_116CompareEqFunctorIS4_EEEEj15function_traitsIS8_EEENT1_11result_typeERKT_PrKPcPKT0_PKNS3_10ScalarTypeEi@rel32@lo+4
	s_addc_u32 s5, s5, _ZN2at6native6invokeINS0_13AUnaryFunctorIN3c1013Float8_e4m3fnES4_bNS0_12_GLOBAL__N_116CompareEqFunctorIS4_EEEEj15function_traitsIS8_EEENT1_11result_typeERKT_PrKPcPKT0_PKNS3_10ScalarTypeEi@rel32@hi+12
	v_mov_b32_e32 v0, s54
	v_mov_b32_e32 v1, s55
	;; [unrolled: 1-line block ×5, first 2 shown]
	s_swappc_b64 s[30:31], s[4:5]
	v_and_b32_e32 v0, 1, v0
	v_cmp_eq_u32_e64 s[4:5], 1, v0
	v_mov_b32_e32 v1, s37
	s_and_b32 s14, s79, 0xff
	v_add_co_u32_e32 v0, vcc, s36, v10
	s_cmp_lt_i32 s14, 11
	v_addc_co_u32_e32 v1, vcc, 0, v1, vcc
	s_cbranch_scc1 .LBB286_164
; %bb.158:
	s_and_b32 s15, 0xffff, s14
	s_cmp_gt_i32 s15, 25
	s_cbranch_scc0 .LBB286_167
; %bb.159:
	s_cmp_gt_i32 s15, 28
	s_cbranch_scc0 .LBB286_168
; %bb.160:
	;; [unrolled: 3-line block ×4, first 2 shown]
	s_mov_b64 s[10:11], 0
	s_mov_b64 s[6:7], -1
	s_cmp_eq_u32 s15, 46
	s_mov_b64 s[8:9], 0
	s_cbranch_scc0 .LBB286_175
; %bb.163:
	v_cndmask_b32_e64 v2, 0, 1.0, s[4:5]
	v_bfe_u32 v3, v2, 16, 1
	s_movk_i32 s6, 0x7fff
	v_add3_u32 v2, v2, v3, s6
	v_lshrrev_b32_e32 v2, 16, v2
	global_store_dword v[0:1], v2, off
	s_mov_b64 s[8:9], -1
	s_mov_b64 s[6:7], 0
	s_branch .LBB286_175
.LBB286_164:
	s_mov_b64 s[8:9], 0
	s_mov_b64 s[6:7], s[64:65]
	s_cbranch_execnz .LBB286_244
.LBB286_165:
	s_andn2_b64 vcc, exec, s[8:9]
	s_cbranch_vccnz .LBB286_282
.LBB286_166:
	v_add_u32_e32 v12, 0x80, v12
	s_mov_b64 s[4:5], -1
	s_branch .LBB286_283
.LBB286_167:
	s_mov_b64 s[10:11], -1
	s_mov_b64 s[8:9], 0
	s_mov_b64 s[6:7], s[64:65]
	s_branch .LBB286_202
.LBB286_168:
	s_mov_b64 s[10:11], -1
	s_mov_b64 s[8:9], 0
	s_mov_b64 s[6:7], s[64:65]
	s_branch .LBB286_185
.LBB286_169:
	s_andn2_saveexec_b64 s[12:13], s[12:13]
	s_cbranch_execz .LBB286_51
.LBB286_170:
	v_add_f32_e32 v2, 0x46000000, v3
	v_and_b32_e32 v2, 0xff, v2
	v_cmp_ne_u32_e32 vcc, 0, v2
	s_andn2_b64 s[10:11], s[10:11], exec
	s_and_b64 s[16:17], vcc, exec
	s_or_b64 s[10:11], s[10:11], s[16:17]
	s_or_b64 exec, exec, s[12:13]
	v_mov_b32_e32 v4, 0
	s_and_saveexec_b64 s[12:13], s[10:11]
	s_cbranch_execnz .LBB286_52
	s_branch .LBB286_53
.LBB286_171:
	s_mov_b64 s[10:11], -1
	s_mov_b64 s[8:9], 0
	s_mov_b64 s[6:7], s[64:65]
	s_branch .LBB286_181
.LBB286_172:
	s_andn2_saveexec_b64 s[12:13], s[12:13]
	s_cbranch_execz .LBB286_63
.LBB286_173:
	v_add_f32_e32 v2, 0x42800000, v3
	v_and_b32_e32 v2, 0xff, v2
	v_cmp_ne_u32_e32 vcc, 0, v2
	s_andn2_b64 s[10:11], s[10:11], exec
	s_and_b64 s[16:17], vcc, exec
	s_or_b64 s[10:11], s[10:11], s[16:17]
	s_or_b64 exec, exec, s[12:13]
	v_mov_b32_e32 v4, 0
	s_and_saveexec_b64 s[12:13], s[10:11]
	s_cbranch_execnz .LBB286_64
	s_branch .LBB286_65
.LBB286_174:
	s_mov_b64 s[10:11], -1
	s_mov_b64 s[8:9], 0
	s_mov_b64 s[6:7], s[64:65]
.LBB286_175:
	s_and_b64 vcc, exec, s[10:11]
	s_cbranch_vccz .LBB286_180
; %bb.176:
	s_cmp_eq_u32 s15, 44
	s_mov_b64 s[6:7], -1
	s_cbranch_scc0 .LBB286_180
; %bb.177:
	v_cndmask_b32_e64 v3, 0, 1.0, s[4:5]
	v_lshrrev_b32_e32 v2, 23, v3
	s_movk_i32 s6, 0xff
	v_cmp_ne_u32_e32 vcc, s6, v2
	v_mov_b32_e32 v4, 0xff
	s_and_saveexec_b64 s[8:9], vcc
; %bb.178:
	s_mov_b32 s6, 0x3fffff
	v_and_b32_e32 v4, 0x400000, v3
	v_and_or_b32 v3, v3, s6, v2
	v_cmp_ne_u32_e32 vcc, 0, v4
	v_cmp_ne_u32_e64 s[6:7], 0, v3
	s_and_b64 s[6:7], vcc, s[6:7]
	v_cndmask_b32_e64 v3, 0, 1, s[6:7]
	v_add_u32_e32 v4, v2, v3
; %bb.179:
	s_or_b64 exec, exec, s[8:9]
	s_mov_b64 s[8:9], -1
	s_mov_b64 s[6:7], 0
	global_store_byte v[0:1], v4, off
.LBB286_180:
	s_mov_b64 s[10:11], 0
.LBB286_181:
	s_and_b64 vcc, exec, s[10:11]
	s_cbranch_vccz .LBB286_184
; %bb.182:
	s_cmp_eq_u32 s15, 29
	s_mov_b64 s[6:7], -1
	s_cbranch_scc0 .LBB286_184
; %bb.183:
	s_mov_b32 s6, 0
	v_cndmask_b32_e64 v2, 0, 1, s[4:5]
	v_mov_b32_e32 v3, s6
	global_store_dwordx2 v[0:1], v[2:3], off
	s_mov_b64 s[8:9], -1
	s_mov_b64 s[6:7], 0
.LBB286_184:
	s_mov_b64 s[10:11], 0
.LBB286_185:
	s_and_b64 vcc, exec, s[10:11]
	s_cbranch_vccz .LBB286_201
; %bb.186:
	s_cmp_lt_i32 s15, 27
	s_mov_b64 s[8:9], -1
	s_cbranch_scc1 .LBB286_192
; %bb.187:
	s_cmp_gt_i32 s15, 27
	s_cbranch_scc0 .LBB286_189
; %bb.188:
	v_cndmask_b32_e64 v2, 0, 1, s[4:5]
	s_mov_b64 s[8:9], 0
	global_store_dword v[0:1], v2, off
.LBB286_189:
	s_andn2_b64 vcc, exec, s[8:9]
	s_cbranch_vccnz .LBB286_191
; %bb.190:
	v_cndmask_b32_e64 v2, 0, 1, s[4:5]
	global_store_short v[0:1], v2, off
.LBB286_191:
	s_mov_b64 s[8:9], 0
.LBB286_192:
	s_andn2_b64 vcc, exec, s[8:9]
	s_cbranch_vccnz .LBB286_200
; %bb.193:
	v_cndmask_b32_e64 v3, 0, 1.0, s[4:5]
	s_mov_b32 s8, 0x43800000
	v_cmp_gt_u32_e32 vcc, s8, v3
	v_mov_b32_e32 v4, 0x80
	s_and_saveexec_b64 s[8:9], vcc
	s_cbranch_execz .LBB286_199
; %bb.194:
	s_mov_b32 s10, 0x3bffffff
	v_cmp_lt_u32_e32 vcc, s10, v3
	s_mov_b64 s[10:11], 0
                                        ; implicit-def: $vgpr2
	s_and_saveexec_b64 s[12:13], vcc
	s_xor_b64 s[12:13], exec, s[12:13]
	s_cbranch_execz .LBB286_311
; %bb.195:
	v_bfe_u32 v2, v3, 20, 1
	s_mov_b32 s16, 0x487ffff
	v_add3_u32 v2, v3, v2, s16
	s_mov_b64 s[10:11], exec
	v_lshrrev_b32_e32 v2, 20, v2
                                        ; implicit-def: $vgpr3
	s_andn2_saveexec_b64 s[12:13], s[12:13]
	s_cbranch_execnz .LBB286_312
.LBB286_196:
	s_or_b64 exec, exec, s[12:13]
	v_mov_b32_e32 v4, 0
	s_and_saveexec_b64 s[12:13], s[10:11]
.LBB286_197:
	v_mov_b32_e32 v4, v2
.LBB286_198:
	s_or_b64 exec, exec, s[12:13]
.LBB286_199:
	s_or_b64 exec, exec, s[8:9]
	global_store_byte v[0:1], v4, off
.LBB286_200:
	s_mov_b64 s[8:9], -1
.LBB286_201:
	s_mov_b64 s[10:11], 0
.LBB286_202:
	s_and_b64 vcc, exec, s[10:11]
	s_cbranch_vccz .LBB286_243
; %bb.203:
	s_cmp_gt_i32 s15, 22
	s_mov_b64 s[10:11], -1
	s_cbranch_scc0 .LBB286_235
; %bb.204:
	s_cmp_lt_i32 s15, 24
	s_mov_b64 s[8:9], -1
	s_cbranch_scc1 .LBB286_224
; %bb.205:
	s_cmp_gt_i32 s15, 24
	s_cbranch_scc0 .LBB286_213
; %bb.206:
	v_cndmask_b32_e64 v3, 0, 1.0, s[4:5]
	s_mov_b32 s8, 0x47800000
	v_cmp_gt_u32_e32 vcc, s8, v3
	v_mov_b32_e32 v4, 0x80
	s_and_saveexec_b64 s[8:9], vcc
	s_cbranch_execz .LBB286_212
; %bb.207:
	s_mov_b32 s10, 0x37ffffff
	v_cmp_lt_u32_e32 vcc, s10, v3
	s_mov_b64 s[10:11], 0
                                        ; implicit-def: $vgpr2
	s_and_saveexec_b64 s[12:13], vcc
	s_xor_b64 s[12:13], exec, s[12:13]
	s_cbranch_execz .LBB286_314
; %bb.208:
	v_bfe_u32 v2, v3, 21, 1
	s_mov_b32 s16, 0x88fffff
	v_add3_u32 v2, v3, v2, s16
	s_mov_b64 s[10:11], exec
	v_lshrrev_b32_e32 v2, 21, v2
                                        ; implicit-def: $vgpr3
	s_andn2_saveexec_b64 s[12:13], s[12:13]
	s_cbranch_execnz .LBB286_315
.LBB286_209:
	s_or_b64 exec, exec, s[12:13]
	v_mov_b32_e32 v4, 0
	s_and_saveexec_b64 s[12:13], s[10:11]
.LBB286_210:
	v_mov_b32_e32 v4, v2
.LBB286_211:
	s_or_b64 exec, exec, s[12:13]
.LBB286_212:
	s_or_b64 exec, exec, s[8:9]
	s_mov_b64 s[8:9], 0
	global_store_byte v[0:1], v4, off
.LBB286_213:
	s_and_b64 vcc, exec, s[8:9]
	s_cbranch_vccz .LBB286_223
; %bb.214:
	v_cndmask_b32_e64 v2, 0, 1.0, s[4:5]
	s_mov_b32 s8, 0x43f00000
	v_cmp_gt_u32_e32 vcc, s8, v2
                                        ; implicit-def: $vgpr3
	s_and_saveexec_b64 s[8:9], vcc
	s_xor_b64 s[8:9], exec, s[8:9]
	s_cbranch_execz .LBB286_220
; %bb.215:
	s_mov_b32 s10, 0x3c7fffff
	v_cmp_lt_u32_e32 vcc, s10, v2
                                        ; implicit-def: $vgpr3
	s_and_saveexec_b64 s[10:11], vcc
	s_xor_b64 s[10:11], exec, s[10:11]
; %bb.216:
	v_bfe_u32 v3, v2, 20, 1
	s_mov_b32 s12, 0x407ffff
	v_add3_u32 v2, v2, v3, s12
	v_lshrrev_b32_e32 v3, 20, v2
	v_and_b32_e32 v2, 0xff00000, v2
	s_mov_b32 s12, 0x7f00000
	v_mov_b32_e32 v4, 0x7e
	v_cmp_ne_u32_e32 vcc, s12, v2
	v_cndmask_b32_e32 v3, v4, v3, vcc
                                        ; implicit-def: $vgpr2
; %bb.217:
	s_andn2_saveexec_b64 s[10:11], s[10:11]
; %bb.218:
	v_add_f32_e32 v3, 0x46800000, v2
; %bb.219:
	s_or_b64 exec, exec, s[10:11]
                                        ; implicit-def: $vgpr2
.LBB286_220:
	s_andn2_saveexec_b64 s[8:9], s[8:9]
; %bb.221:
	s_mov_b32 s10, 0x7f800000
	v_mov_b32_e32 v3, 0x7e
	v_mov_b32_e32 v4, 0x7f
	v_cmp_lt_u32_e32 vcc, s10, v2
	v_cndmask_b32_e32 v3, v3, v4, vcc
; %bb.222:
	s_or_b64 exec, exec, s[8:9]
	global_store_byte v[0:1], v3, off
.LBB286_223:
	s_mov_b64 s[8:9], 0
.LBB286_224:
	s_andn2_b64 vcc, exec, s[8:9]
	s_cbranch_vccnz .LBB286_234
; %bb.225:
	v_cndmask_b32_e64 v2, 0, 1.0, s[4:5]
	s_mov_b32 s8, 0x47800000
	v_cmp_gt_u32_e32 vcc, s8, v2
                                        ; implicit-def: $vgpr3
	s_and_saveexec_b64 s[8:9], vcc
	s_xor_b64 s[8:9], exec, s[8:9]
	s_cbranch_execz .LBB286_231
; %bb.226:
	s_mov_b32 s10, 0x387fffff
	v_cmp_lt_u32_e32 vcc, s10, v2
                                        ; implicit-def: $vgpr3
	s_and_saveexec_b64 s[10:11], vcc
	s_xor_b64 s[10:11], exec, s[10:11]
; %bb.227:
	v_bfe_u32 v3, v2, 21, 1
	s_mov_b32 s12, 0x80fffff
	v_add3_u32 v2, v2, v3, s12
	v_lshrrev_b32_e32 v3, 21, v2
                                        ; implicit-def: $vgpr2
; %bb.228:
	s_andn2_saveexec_b64 s[10:11], s[10:11]
; %bb.229:
	v_add_f32_e32 v3, 0x43000000, v2
; %bb.230:
	s_or_b64 exec, exec, s[10:11]
                                        ; implicit-def: $vgpr2
.LBB286_231:
	s_andn2_saveexec_b64 s[8:9], s[8:9]
; %bb.232:
	s_mov_b32 s10, 0x7f800000
	v_mov_b32_e32 v3, 0x7c
	v_mov_b32_e32 v4, 0x7f
	v_cmp_lt_u32_e32 vcc, s10, v2
	v_cndmask_b32_e32 v3, v3, v4, vcc
; %bb.233:
	s_or_b64 exec, exec, s[8:9]
	global_store_byte v[0:1], v3, off
.LBB286_234:
	s_mov_b64 s[10:11], 0
	s_mov_b64 s[8:9], -1
.LBB286_235:
	s_andn2_b64 vcc, exec, s[10:11]
	s_cbranch_vccnz .LBB286_243
; %bb.236:
	s_cmp_gt_i32 s15, 14
	s_mov_b64 s[10:11], -1
	s_cbranch_scc0 .LBB286_240
; %bb.237:
	s_cmp_eq_u32 s15, 15
	s_mov_b64 s[6:7], -1
	s_cbranch_scc0 .LBB286_239
; %bb.238:
	v_cndmask_b32_e64 v2, 0, 1.0, s[4:5]
	v_bfe_u32 v3, v2, 16, 1
	s_movk_i32 s6, 0x7fff
	v_add3_u32 v2, v2, v3, s6
	global_store_short_d16_hi v[0:1], v2, off
	s_mov_b64 s[8:9], -1
	s_mov_b64 s[6:7], 0
.LBB286_239:
	s_mov_b64 s[10:11], 0
.LBB286_240:
	s_and_b64 vcc, exec, s[10:11]
	s_cbranch_vccz .LBB286_243
; %bb.241:
	s_cmp_eq_u32 s15, 11
	s_mov_b64 s[6:7], -1
	s_cbranch_scc0 .LBB286_243
; %bb.242:
	v_cndmask_b32_e64 v2, 0, 1, s[4:5]
	s_mov_b64 s[8:9], -1
	s_mov_b64 s[6:7], 0
	global_store_byte v[0:1], v2, off
.LBB286_243:
	s_branch .LBB286_165
.LBB286_244:
	s_and_b32 s10, 0xffff, s14
	s_cmp_lt_i32 s10, 5
	s_mov_b64 s[8:9], -1
	s_cbranch_scc1 .LBB286_265
; %bb.245:
	s_cmp_lt_i32 s10, 8
	s_cbranch_scc1 .LBB286_255
; %bb.246:
	s_cmp_lt_i32 s10, 9
	s_cbranch_scc1 .LBB286_252
; %bb.247:
	s_cmp_gt_i32 s10, 9
	s_cbranch_scc0 .LBB286_249
; %bb.248:
	v_cndmask_b32_e64 v2, 0, 1, s[4:5]
	v_cvt_f64_u32_e32 v[2:3], v2
	v_mov_b32_e32 v4, 0
	v_mov_b32_e32 v5, v4
	s_mov_b64 s[8:9], 0
	global_store_dwordx4 v[0:1], v[2:5], off
.LBB286_249:
	s_andn2_b64 vcc, exec, s[8:9]
	s_cbranch_vccnz .LBB286_251
; %bb.250:
	v_cndmask_b32_e64 v2, 0, 1.0, s[4:5]
	v_mov_b32_e32 v3, 0
	global_store_dwordx2 v[0:1], v[2:3], off
.LBB286_251:
	s_mov_b64 s[8:9], 0
.LBB286_252:
	s_andn2_b64 vcc, exec, s[8:9]
	s_cbranch_vccnz .LBB286_254
; %bb.253:
	v_cndmask_b32_e64 v2, 0, 1.0, s[4:5]
	v_cvt_f16_f32_e32 v2, v2
	global_store_dword v[0:1], v2, off
.LBB286_254:
	s_mov_b64 s[8:9], 0
.LBB286_255:
	s_andn2_b64 vcc, exec, s[8:9]
	s_cbranch_vccnz .LBB286_264
; %bb.256:
	s_cmp_lt_i32 s10, 6
	s_mov_b64 s[8:9], -1
	s_cbranch_scc1 .LBB286_262
; %bb.257:
	s_cmp_gt_i32 s10, 6
	s_cbranch_scc0 .LBB286_259
; %bb.258:
	v_cndmask_b32_e64 v2, 0, 1, s[4:5]
	v_cvt_f64_u32_e32 v[2:3], v2
	s_mov_b64 s[8:9], 0
	global_store_dwordx2 v[0:1], v[2:3], off
.LBB286_259:
	s_andn2_b64 vcc, exec, s[8:9]
	s_cbranch_vccnz .LBB286_261
; %bb.260:
	v_cndmask_b32_e64 v2, 0, 1.0, s[4:5]
	global_store_dword v[0:1], v2, off
.LBB286_261:
	s_mov_b64 s[8:9], 0
.LBB286_262:
	s_andn2_b64 vcc, exec, s[8:9]
	s_cbranch_vccnz .LBB286_264
; %bb.263:
	v_cndmask_b32_e64 v2, 0, 1.0, s[4:5]
	v_cvt_f16_f32_e32 v2, v2
	global_store_short v[0:1], v2, off
.LBB286_264:
	s_mov_b64 s[8:9], 0
.LBB286_265:
	s_andn2_b64 vcc, exec, s[8:9]
	s_cbranch_vccnz .LBB286_281
; %bb.266:
	s_cmp_lt_i32 s10, 2
	s_mov_b64 s[8:9], -1
	s_cbranch_scc1 .LBB286_276
; %bb.267:
	s_cmp_lt_i32 s10, 3
	s_cbranch_scc1 .LBB286_273
; %bb.268:
	s_cmp_gt_i32 s10, 3
	s_cbranch_scc0 .LBB286_270
; %bb.269:
	s_mov_b32 s8, 0
	v_cndmask_b32_e64 v2, 0, 1, s[4:5]
	v_mov_b32_e32 v3, s8
	s_mov_b64 s[8:9], 0
	global_store_dwordx2 v[0:1], v[2:3], off
.LBB286_270:
	s_andn2_b64 vcc, exec, s[8:9]
	s_cbranch_vccnz .LBB286_272
; %bb.271:
	v_cndmask_b32_e64 v2, 0, 1, s[4:5]
	global_store_dword v[0:1], v2, off
.LBB286_272:
	s_mov_b64 s[8:9], 0
.LBB286_273:
	s_andn2_b64 vcc, exec, s[8:9]
	s_cbranch_vccnz .LBB286_275
; %bb.274:
	v_cndmask_b32_e64 v2, 0, 1, s[4:5]
	global_store_short v[0:1], v2, off
.LBB286_275:
	s_mov_b64 s[8:9], 0
.LBB286_276:
	s_andn2_b64 vcc, exec, s[8:9]
	s_cbranch_vccnz .LBB286_281
; %bb.277:
	s_cmp_gt_i32 s10, 0
	s_mov_b64 s[8:9], -1
	s_cbranch_scc0 .LBB286_279
; %bb.278:
	v_cndmask_b32_e64 v2, 0, 1, s[4:5]
	s_mov_b64 s[8:9], 0
	global_store_byte v[0:1], v2, off
.LBB286_279:
	s_andn2_b64 vcc, exec, s[8:9]
	s_cbranch_vccnz .LBB286_281
; %bb.280:
	v_cndmask_b32_e64 v2, 0, 1, s[4:5]
	global_store_byte v[0:1], v2, off
.LBB286_281:
	s_branch .LBB286_166
.LBB286_282:
	s_mov_b64 s[4:5], 0
                                        ; implicit-def: $vgpr12
.LBB286_283:
	s_andn2_b64 s[8:9], s[64:65], exec
	s_and_b64 s[6:7], s[6:7], exec
	s_or_b64 s[68:69], s[8:9], s[6:7]
	s_orn2_b64 s[10:11], s[4:5], exec
.LBB286_284:
	s_or_b64 exec, exec, s[70:71]
	s_mov_b64 s[4:5], 0
	s_mov_b64 s[8:9], 0
                                        ; implicit-def: $sgpr6_sgpr7
                                        ; implicit-def: $sgpr16
                                        ; implicit-def: $vgpr0_vgpr1
	s_and_saveexec_b64 s[70:71], s[10:11]
	s_cbranch_execz .LBB286_525
; %bb.285:
	v_cmp_gt_i32_e32 vcc, s76, v12
	s_mov_b64 s[8:9], -1
	s_mov_b64 s[74:75], s[68:69]
	s_and_saveexec_b64 s[72:73], vcc
	s_cbranch_execz .LBB286_429
; %bb.286:
	s_andn2_b64 vcc, exec, s[50:51]
	s_cbranch_vccnz .LBB286_291
; %bb.287:
	s_andn2_b64 vcc, exec, s[62:63]
	s_cbranch_vccnz .LBB286_292
; %bb.288:
	s_add_i32 s31, s81, 1
	s_cmp_eq_u32 s78, 2
	s_cbranch_scc1 .LBB286_293
; %bb.289:
	s_and_b32 s30, s31, 28
	v_mov_b32_e32 v4, 0
	s_mov_b32 s74, 0
	s_mov_b64 s[24:25], s[48:49]
	s_mov_b64 s[26:27], s[60:61]
	v_mov_b32_e32 v10, 0
	v_mov_b32_e32 v0, v12
.LBB286_290:                            ; =>This Inner Loop Header: Depth=1
	s_load_dwordx8 s[12:19], s[24:25], 0x4
	s_load_dwordx4 s[20:23], s[24:25], 0x24
	s_load_dwordx8 s[4:11], s[26:27], 0x0
	s_add_u32 s24, s24, 48
	s_addc_u32 s25, s25, 0
	s_waitcnt lgkmcnt(0)
	v_mul_hi_u32 v1, s13, v0
	s_add_i32 s74, s74, 4
	s_add_u32 s26, s26, 32
	s_addc_u32 s27, s27, 0
	v_add_u32_e32 v1, v0, v1
	v_lshrrev_b32_e32 v1, s14, v1
	v_mul_lo_u32 v2, v1, s12
	v_mul_hi_u32 v3, s16, v1
	s_cmp_eq_u32 s30, s74
	v_sub_u32_e32 v0, v0, v2
	v_add_u32_e32 v2, v1, v3
	v_mul_lo_u32 v3, v0, s4
	v_mul_lo_u32 v5, v0, s5
	v_lshrrev_b32_e32 v0, s17, v2
	v_mul_lo_u32 v2, v0, s15
	v_mul_hi_u32 v6, s19, v0
	v_sub_u32_e32 v1, v1, v2
	v_add_u32_e32 v2, v0, v6
	v_lshrrev_b32_e32 v2, s20, v2
	v_mul_hi_u32 v7, s22, v2
	v_mul_lo_u32 v8, v2, s18
	v_mul_lo_u32 v6, v1, s6
	v_mul_lo_u32 v1, v1, s7
	v_sub_u32_e32 v8, v0, v8
	v_add_u32_e32 v0, v2, v7
	v_lshrrev_b32_e32 v0, s23, v0
	v_mul_lo_u32 v7, v0, s21
	v_mul_lo_u32 v9, v8, s8
	;; [unrolled: 1-line block ×3, first 2 shown]
	v_add3_u32 v3, v3, v10, v6
	v_sub_u32_e32 v2, v2, v7
	v_mul_lo_u32 v7, v2, s10
	v_mul_lo_u32 v2, v2, s11
	v_add3_u32 v1, v5, v4, v1
	v_add3_u32 v10, v9, v3, v7
	;; [unrolled: 1-line block ×3, first 2 shown]
	s_cbranch_scc0 .LBB286_290
	s_branch .LBB286_294
.LBB286_291:
	s_mov_b64 s[4:5], -1
                                        ; implicit-def: $vgpr10
                                        ; implicit-def: $vgpr4
	s_branch .LBB286_298
.LBB286_292:
	v_mov_b32_e32 v10, 0
	v_mov_b32_e32 v4, 0
	s_branch .LBB286_297
.LBB286_293:
	s_mov_b32 s30, 0
	v_mov_b32_e32 v10, 0
	v_mov_b32_e32 v4, 0
	v_mov_b32_e32 v0, v12
.LBB286_294:
	s_and_b32 s8, s31, 3
	s_cmp_eq_u32 s8, 0
	s_cbranch_scc1 .LBB286_297
; %bb.295:
	s_lshl_b32 s4, s30, 3
	s_add_u32 s4, s48, s4
	s_addc_u32 s5, s49, 0
	s_add_u32 s4, s4, 0xc4
	s_addc_u32 s5, s5, 0
	s_mul_i32 s6, s30, 12
	s_add_u32 s6, s48, s6
	s_addc_u32 s7, s49, 0
.LBB286_296:                            ; =>This Inner Loop Header: Depth=1
	s_load_dwordx2 s[10:11], s[6:7], 0x4
	s_load_dword s9, s[6:7], 0xc
	s_load_dwordx2 s[12:13], s[4:5], 0x0
	s_add_u32 s6, s6, 12
	s_addc_u32 s7, s7, 0
	s_waitcnt lgkmcnt(0)
	v_mul_hi_u32 v1, s11, v0
	s_add_u32 s4, s4, 8
	s_addc_u32 s5, s5, 0
	s_add_i32 s8, s8, -1
	v_add_u32_e32 v1, v0, v1
	v_lshrrev_b32_e32 v1, s9, v1
	v_mul_lo_u32 v2, v1, s10
	s_cmp_lg_u32 s8, 0
	v_sub_u32_e32 v0, v0, v2
	v_mad_u64_u32 v[10:11], s[10:11], v0, s12, v[10:11]
	v_mad_u64_u32 v[4:5], s[10:11], v0, s13, v[4:5]
	v_mov_b32_e32 v0, v1
	s_cbranch_scc1 .LBB286_296
.LBB286_297:
	s_mov_b64 s[4:5], 0
.LBB286_298:
	s_andn2_b64 vcc, exec, s[4:5]
	s_cbranch_vccnz .LBB286_301
; %bb.299:
	v_mul_hi_u32 v0, s41, v12
	s_andn2_b64 vcc, exec, s[58:59]
	v_add_u32_e32 v0, v12, v0
	v_lshrrev_b32_e32 v0, s42, v0
	v_mul_lo_u32 v1, v0, s40
	v_sub_u32_e32 v1, v12, v1
	v_mul_lo_u32 v10, v1, s44
	v_mul_lo_u32 v4, v1, s45
	s_cbranch_vccnz .LBB286_301
; %bb.300:
	v_mul_hi_u32 v1, s56, v0
	v_add_u32_e32 v1, v0, v1
	v_lshrrev_b32_e32 v1, s57, v1
	v_mul_lo_u32 v1, v1, s43
	v_sub_u32_e32 v0, v0, v1
	v_mad_u64_u32 v[10:11], s[4:5], v0, s46, v[10:11]
	v_mad_u64_u32 v[4:5], s[4:5], v0, s47, v[4:5]
.LBB286_301:
	s_getpc_b64 s[4:5]
	s_add_u32 s4, s4, _ZN2at6native6invokeINS0_13AUnaryFunctorIN3c1013Float8_e4m3fnES4_bNS0_12_GLOBAL__N_116CompareEqFunctorIS4_EEEEj15function_traitsIS8_EEENT1_11result_typeERKT_PrKPcPKT0_PKNS3_10ScalarTypeEi@rel32@lo+4
	s_addc_u32 s5, s5, _ZN2at6native6invokeINS0_13AUnaryFunctorIN3c1013Float8_e4m3fnES4_bNS0_12_GLOBAL__N_116CompareEqFunctorIS4_EEEEj15function_traitsIS8_EEENT1_11result_typeERKT_PrKPcPKT0_PKNS3_10ScalarTypeEi@rel32@hi+12
	v_mov_b32_e32 v0, s54
	v_mov_b32_e32 v1, s55
	v_mov_b32_e32 v2, s38
	v_mov_b32_e32 v3, s39
	v_mov_b32_e32 v5, s80
	s_swappc_b64 s[30:31], s[4:5]
	v_and_b32_e32 v0, 1, v0
	v_cmp_eq_u32_e64 s[4:5], 1, v0
	v_mov_b32_e32 v1, s37
	s_and_b32 s14, s79, 0xff
	v_add_co_u32_e32 v0, vcc, s36, v10
	s_cmp_lt_i32 s14, 11
	v_addc_co_u32_e32 v1, vcc, 0, v1, vcc
	s_cbranch_scc1 .LBB286_308
; %bb.302:
	s_and_b32 s15, 0xffff, s14
	s_cmp_gt_i32 s15, 25
	s_cbranch_scc0 .LBB286_309
; %bb.303:
	s_cmp_gt_i32 s15, 28
	s_cbranch_scc0 .LBB286_310
; %bb.304:
	s_cmp_gt_i32 s15, 43
	s_cbranch_scc0 .LBB286_313
; %bb.305:
	s_cmp_gt_i32 s15, 45
	s_cbranch_scc0 .LBB286_316
; %bb.306:
	s_mov_b64 s[10:11], 0
	s_mov_b64 s[6:7], -1
	s_cmp_eq_u32 s15, 46
	s_mov_b64 s[8:9], 0
	s_cbranch_scc0 .LBB286_317
; %bb.307:
	v_cndmask_b32_e64 v2, 0, 1.0, s[4:5]
	v_bfe_u32 v3, v2, 16, 1
	s_movk_i32 s6, 0x7fff
	v_add3_u32 v2, v2, v3, s6
	v_lshrrev_b32_e32 v2, 16, v2
	global_store_dword v[0:1], v2, off
	s_mov_b64 s[8:9], -1
	s_mov_b64 s[6:7], 0
	s_branch .LBB286_317
.LBB286_308:
	s_mov_b64 s[10:11], -1
	s_mov_b64 s[8:9], 0
	s_mov_b64 s[6:7], s[68:69]
	s_branch .LBB286_386
.LBB286_309:
	s_mov_b64 s[10:11], -1
	s_mov_b64 s[8:9], 0
	s_mov_b64 s[6:7], s[68:69]
	s_branch .LBB286_344
.LBB286_310:
	s_mov_b64 s[10:11], -1
	s_mov_b64 s[8:9], 0
	s_mov_b64 s[6:7], s[68:69]
	s_branch .LBB286_327
.LBB286_311:
	s_andn2_saveexec_b64 s[12:13], s[12:13]
	s_cbranch_execz .LBB286_196
.LBB286_312:
	v_add_f32_e32 v2, 0x46000000, v3
	v_and_b32_e32 v2, 0xff, v2
	v_cmp_ne_u32_e32 vcc, 0, v2
	s_andn2_b64 s[10:11], s[10:11], exec
	s_and_b64 s[16:17], vcc, exec
	s_or_b64 s[10:11], s[10:11], s[16:17]
	s_or_b64 exec, exec, s[12:13]
	v_mov_b32_e32 v4, 0
	s_and_saveexec_b64 s[12:13], s[10:11]
	s_cbranch_execnz .LBB286_197
	s_branch .LBB286_198
.LBB286_313:
	s_mov_b64 s[10:11], -1
	s_mov_b64 s[8:9], 0
	s_mov_b64 s[6:7], s[68:69]
	s_branch .LBB286_323
.LBB286_314:
	s_andn2_saveexec_b64 s[12:13], s[12:13]
	s_cbranch_execz .LBB286_209
.LBB286_315:
	v_add_f32_e32 v2, 0x42800000, v3
	v_and_b32_e32 v2, 0xff, v2
	v_cmp_ne_u32_e32 vcc, 0, v2
	s_andn2_b64 s[10:11], s[10:11], exec
	s_and_b64 s[16:17], vcc, exec
	s_or_b64 s[10:11], s[10:11], s[16:17]
	s_or_b64 exec, exec, s[12:13]
	v_mov_b32_e32 v4, 0
	s_and_saveexec_b64 s[12:13], s[10:11]
	s_cbranch_execnz .LBB286_210
	s_branch .LBB286_211
.LBB286_316:
	s_mov_b64 s[10:11], -1
	s_mov_b64 s[8:9], 0
	s_mov_b64 s[6:7], s[68:69]
.LBB286_317:
	s_and_b64 vcc, exec, s[10:11]
	s_cbranch_vccz .LBB286_322
; %bb.318:
	s_cmp_eq_u32 s15, 44
	s_mov_b64 s[6:7], -1
	s_cbranch_scc0 .LBB286_322
; %bb.319:
	v_cndmask_b32_e64 v3, 0, 1.0, s[4:5]
	v_lshrrev_b32_e32 v2, 23, v3
	s_movk_i32 s6, 0xff
	v_cmp_ne_u32_e32 vcc, s6, v2
	v_mov_b32_e32 v4, 0xff
	s_and_saveexec_b64 s[8:9], vcc
; %bb.320:
	s_mov_b32 s6, 0x3fffff
	v_and_b32_e32 v4, 0x400000, v3
	v_and_or_b32 v3, v3, s6, v2
	v_cmp_ne_u32_e32 vcc, 0, v4
	v_cmp_ne_u32_e64 s[6:7], 0, v3
	s_and_b64 s[6:7], vcc, s[6:7]
	v_cndmask_b32_e64 v3, 0, 1, s[6:7]
	v_add_u32_e32 v4, v2, v3
; %bb.321:
	s_or_b64 exec, exec, s[8:9]
	s_mov_b64 s[8:9], -1
	s_mov_b64 s[6:7], 0
	global_store_byte v[0:1], v4, off
.LBB286_322:
	s_mov_b64 s[10:11], 0
.LBB286_323:
	s_and_b64 vcc, exec, s[10:11]
	s_cbranch_vccz .LBB286_326
; %bb.324:
	s_cmp_eq_u32 s15, 29
	s_mov_b64 s[6:7], -1
	s_cbranch_scc0 .LBB286_326
; %bb.325:
	s_mov_b32 s6, 0
	v_cndmask_b32_e64 v2, 0, 1, s[4:5]
	v_mov_b32_e32 v3, s6
	global_store_dwordx2 v[0:1], v[2:3], off
	s_mov_b64 s[8:9], -1
	s_mov_b64 s[6:7], 0
.LBB286_326:
	s_mov_b64 s[10:11], 0
.LBB286_327:
	s_and_b64 vcc, exec, s[10:11]
	s_cbranch_vccz .LBB286_343
; %bb.328:
	s_cmp_lt_i32 s15, 27
	s_mov_b64 s[8:9], -1
	s_cbranch_scc1 .LBB286_334
; %bb.329:
	s_cmp_gt_i32 s15, 27
	s_cbranch_scc0 .LBB286_331
; %bb.330:
	v_cndmask_b32_e64 v2, 0, 1, s[4:5]
	s_mov_b64 s[8:9], 0
	global_store_dword v[0:1], v2, off
.LBB286_331:
	s_andn2_b64 vcc, exec, s[8:9]
	s_cbranch_vccnz .LBB286_333
; %bb.332:
	v_cndmask_b32_e64 v2, 0, 1, s[4:5]
	global_store_short v[0:1], v2, off
.LBB286_333:
	s_mov_b64 s[8:9], 0
.LBB286_334:
	s_andn2_b64 vcc, exec, s[8:9]
	s_cbranch_vccnz .LBB286_342
; %bb.335:
	v_cndmask_b32_e64 v3, 0, 1.0, s[4:5]
	s_mov_b32 s8, 0x43800000
	v_cmp_gt_u32_e32 vcc, s8, v3
	v_mov_b32_e32 v4, 0x80
	s_and_saveexec_b64 s[8:9], vcc
	s_cbranch_execz .LBB286_341
; %bb.336:
	s_mov_b32 s10, 0x3bffffff
	v_cmp_lt_u32_e32 vcc, s10, v3
	s_mov_b64 s[10:11], 0
                                        ; implicit-def: $vgpr2
	s_and_saveexec_b64 s[12:13], vcc
	s_xor_b64 s[12:13], exec, s[12:13]
	s_cbranch_execz .LBB286_1112
; %bb.337:
	v_bfe_u32 v2, v3, 20, 1
	s_mov_b32 s16, 0x487ffff
	v_add3_u32 v2, v3, v2, s16
	s_mov_b64 s[10:11], exec
	v_lshrrev_b32_e32 v2, 20, v2
                                        ; implicit-def: $vgpr3
	s_andn2_saveexec_b64 s[12:13], s[12:13]
	s_cbranch_execnz .LBB286_1113
.LBB286_338:
	s_or_b64 exec, exec, s[12:13]
	v_mov_b32_e32 v4, 0
	s_and_saveexec_b64 s[12:13], s[10:11]
.LBB286_339:
	v_mov_b32_e32 v4, v2
.LBB286_340:
	s_or_b64 exec, exec, s[12:13]
.LBB286_341:
	s_or_b64 exec, exec, s[8:9]
	global_store_byte v[0:1], v4, off
.LBB286_342:
	s_mov_b64 s[8:9], -1
.LBB286_343:
	s_mov_b64 s[10:11], 0
.LBB286_344:
	s_and_b64 vcc, exec, s[10:11]
	s_cbranch_vccz .LBB286_385
; %bb.345:
	s_cmp_gt_i32 s15, 22
	s_mov_b64 s[10:11], -1
	s_cbranch_scc0 .LBB286_377
; %bb.346:
	s_cmp_lt_i32 s15, 24
	s_mov_b64 s[8:9], -1
	s_cbranch_scc1 .LBB286_366
; %bb.347:
	s_cmp_gt_i32 s15, 24
	s_cbranch_scc0 .LBB286_355
; %bb.348:
	v_cndmask_b32_e64 v3, 0, 1.0, s[4:5]
	s_mov_b32 s8, 0x47800000
	v_cmp_gt_u32_e32 vcc, s8, v3
	v_mov_b32_e32 v4, 0x80
	s_and_saveexec_b64 s[8:9], vcc
	s_cbranch_execz .LBB286_354
; %bb.349:
	s_mov_b32 s10, 0x37ffffff
	v_cmp_lt_u32_e32 vcc, s10, v3
	s_mov_b64 s[10:11], 0
                                        ; implicit-def: $vgpr2
	s_and_saveexec_b64 s[12:13], vcc
	s_xor_b64 s[12:13], exec, s[12:13]
	s_cbranch_execz .LBB286_1119
; %bb.350:
	v_bfe_u32 v2, v3, 21, 1
	s_mov_b32 s16, 0x88fffff
	v_add3_u32 v2, v3, v2, s16
	s_mov_b64 s[10:11], exec
	v_lshrrev_b32_e32 v2, 21, v2
                                        ; implicit-def: $vgpr3
	s_andn2_saveexec_b64 s[12:13], s[12:13]
	s_cbranch_execnz .LBB286_1120
.LBB286_351:
	s_or_b64 exec, exec, s[12:13]
	v_mov_b32_e32 v4, 0
	s_and_saveexec_b64 s[12:13], s[10:11]
.LBB286_352:
	v_mov_b32_e32 v4, v2
.LBB286_353:
	s_or_b64 exec, exec, s[12:13]
.LBB286_354:
	s_or_b64 exec, exec, s[8:9]
	s_mov_b64 s[8:9], 0
	global_store_byte v[0:1], v4, off
.LBB286_355:
	s_and_b64 vcc, exec, s[8:9]
	s_cbranch_vccz .LBB286_365
; %bb.356:
	v_cndmask_b32_e64 v2, 0, 1.0, s[4:5]
	s_mov_b32 s8, 0x43f00000
	v_cmp_gt_u32_e32 vcc, s8, v2
                                        ; implicit-def: $vgpr3
	s_and_saveexec_b64 s[8:9], vcc
	s_xor_b64 s[8:9], exec, s[8:9]
	s_cbranch_execz .LBB286_362
; %bb.357:
	s_mov_b32 s10, 0x3c7fffff
	v_cmp_lt_u32_e32 vcc, s10, v2
                                        ; implicit-def: $vgpr3
	s_and_saveexec_b64 s[10:11], vcc
	s_xor_b64 s[10:11], exec, s[10:11]
; %bb.358:
	v_bfe_u32 v3, v2, 20, 1
	s_mov_b32 s12, 0x407ffff
	v_add3_u32 v2, v2, v3, s12
	v_lshrrev_b32_e32 v3, 20, v2
	v_and_b32_e32 v2, 0xff00000, v2
	s_mov_b32 s12, 0x7f00000
	v_mov_b32_e32 v4, 0x7e
	v_cmp_ne_u32_e32 vcc, s12, v2
	v_cndmask_b32_e32 v3, v4, v3, vcc
                                        ; implicit-def: $vgpr2
; %bb.359:
	s_andn2_saveexec_b64 s[10:11], s[10:11]
; %bb.360:
	v_add_f32_e32 v3, 0x46800000, v2
; %bb.361:
	s_or_b64 exec, exec, s[10:11]
                                        ; implicit-def: $vgpr2
.LBB286_362:
	s_andn2_saveexec_b64 s[8:9], s[8:9]
; %bb.363:
	s_mov_b32 s10, 0x7f800000
	v_mov_b32_e32 v3, 0x7e
	v_mov_b32_e32 v4, 0x7f
	v_cmp_lt_u32_e32 vcc, s10, v2
	v_cndmask_b32_e32 v3, v3, v4, vcc
; %bb.364:
	s_or_b64 exec, exec, s[8:9]
	global_store_byte v[0:1], v3, off
.LBB286_365:
	s_mov_b64 s[8:9], 0
.LBB286_366:
	s_andn2_b64 vcc, exec, s[8:9]
	s_cbranch_vccnz .LBB286_376
; %bb.367:
	v_cndmask_b32_e64 v2, 0, 1.0, s[4:5]
	s_mov_b32 s8, 0x47800000
	v_cmp_gt_u32_e32 vcc, s8, v2
                                        ; implicit-def: $vgpr3
	s_and_saveexec_b64 s[8:9], vcc
	s_xor_b64 s[8:9], exec, s[8:9]
	s_cbranch_execz .LBB286_373
; %bb.368:
	s_mov_b32 s10, 0x387fffff
	v_cmp_lt_u32_e32 vcc, s10, v2
                                        ; implicit-def: $vgpr3
	s_and_saveexec_b64 s[10:11], vcc
	s_xor_b64 s[10:11], exec, s[10:11]
; %bb.369:
	v_bfe_u32 v3, v2, 21, 1
	s_mov_b32 s12, 0x80fffff
	v_add3_u32 v2, v2, v3, s12
	v_lshrrev_b32_e32 v3, 21, v2
                                        ; implicit-def: $vgpr2
; %bb.370:
	s_andn2_saveexec_b64 s[10:11], s[10:11]
; %bb.371:
	v_add_f32_e32 v3, 0x43000000, v2
; %bb.372:
	s_or_b64 exec, exec, s[10:11]
                                        ; implicit-def: $vgpr2
.LBB286_373:
	s_andn2_saveexec_b64 s[8:9], s[8:9]
; %bb.374:
	s_mov_b32 s10, 0x7f800000
	v_mov_b32_e32 v3, 0x7c
	v_mov_b32_e32 v4, 0x7f
	v_cmp_lt_u32_e32 vcc, s10, v2
	v_cndmask_b32_e32 v3, v3, v4, vcc
; %bb.375:
	s_or_b64 exec, exec, s[8:9]
	global_store_byte v[0:1], v3, off
.LBB286_376:
	s_mov_b64 s[10:11], 0
	s_mov_b64 s[8:9], -1
.LBB286_377:
	s_andn2_b64 vcc, exec, s[10:11]
	s_cbranch_vccnz .LBB286_385
; %bb.378:
	s_cmp_gt_i32 s15, 14
	s_mov_b64 s[10:11], -1
	s_cbranch_scc0 .LBB286_382
; %bb.379:
	s_cmp_eq_u32 s15, 15
	s_mov_b64 s[6:7], -1
	s_cbranch_scc0 .LBB286_381
; %bb.380:
	v_cndmask_b32_e64 v2, 0, 1.0, s[4:5]
	v_bfe_u32 v3, v2, 16, 1
	s_movk_i32 s6, 0x7fff
	v_add3_u32 v2, v2, v3, s6
	global_store_short_d16_hi v[0:1], v2, off
	s_mov_b64 s[8:9], -1
	s_mov_b64 s[6:7], 0
.LBB286_381:
	s_mov_b64 s[10:11], 0
.LBB286_382:
	s_and_b64 vcc, exec, s[10:11]
	s_cbranch_vccz .LBB286_385
; %bb.383:
	s_cmp_eq_u32 s15, 11
	s_mov_b64 s[6:7], -1
	s_cbranch_scc0 .LBB286_385
; %bb.384:
	v_cndmask_b32_e64 v2, 0, 1, s[4:5]
	s_mov_b64 s[8:9], -1
	s_mov_b64 s[6:7], 0
	global_store_byte v[0:1], v2, off
.LBB286_385:
	s_mov_b64 s[10:11], 0
.LBB286_386:
	s_and_b64 vcc, exec, s[10:11]
	s_cbranch_vccz .LBB286_425
; %bb.387:
	s_and_b32 s10, 0xffff, s14
	s_cmp_lt_i32 s10, 5
	s_mov_b64 s[8:9], -1
	s_cbranch_scc1 .LBB286_408
; %bb.388:
	s_cmp_lt_i32 s10, 8
	s_cbranch_scc1 .LBB286_398
; %bb.389:
	s_cmp_lt_i32 s10, 9
	s_cbranch_scc1 .LBB286_395
; %bb.390:
	s_cmp_gt_i32 s10, 9
	s_cbranch_scc0 .LBB286_392
; %bb.391:
	v_cndmask_b32_e64 v2, 0, 1, s[4:5]
	v_cvt_f64_u32_e32 v[2:3], v2
	v_mov_b32_e32 v4, 0
	v_mov_b32_e32 v5, v4
	s_mov_b64 s[8:9], 0
	global_store_dwordx4 v[0:1], v[2:5], off
.LBB286_392:
	s_andn2_b64 vcc, exec, s[8:9]
	s_cbranch_vccnz .LBB286_394
; %bb.393:
	v_cndmask_b32_e64 v2, 0, 1.0, s[4:5]
	v_mov_b32_e32 v3, 0
	global_store_dwordx2 v[0:1], v[2:3], off
.LBB286_394:
	s_mov_b64 s[8:9], 0
.LBB286_395:
	s_andn2_b64 vcc, exec, s[8:9]
	s_cbranch_vccnz .LBB286_397
; %bb.396:
	v_cndmask_b32_e64 v2, 0, 1.0, s[4:5]
	v_cvt_f16_f32_e32 v2, v2
	global_store_dword v[0:1], v2, off
.LBB286_397:
	s_mov_b64 s[8:9], 0
.LBB286_398:
	s_andn2_b64 vcc, exec, s[8:9]
	s_cbranch_vccnz .LBB286_407
; %bb.399:
	s_cmp_lt_i32 s10, 6
	s_mov_b64 s[8:9], -1
	s_cbranch_scc1 .LBB286_405
; %bb.400:
	s_cmp_gt_i32 s10, 6
	s_cbranch_scc0 .LBB286_402
; %bb.401:
	v_cndmask_b32_e64 v2, 0, 1, s[4:5]
	v_cvt_f64_u32_e32 v[2:3], v2
	s_mov_b64 s[8:9], 0
	global_store_dwordx2 v[0:1], v[2:3], off
.LBB286_402:
	s_andn2_b64 vcc, exec, s[8:9]
	s_cbranch_vccnz .LBB286_404
; %bb.403:
	v_cndmask_b32_e64 v2, 0, 1.0, s[4:5]
	global_store_dword v[0:1], v2, off
.LBB286_404:
	s_mov_b64 s[8:9], 0
.LBB286_405:
	s_andn2_b64 vcc, exec, s[8:9]
	s_cbranch_vccnz .LBB286_407
; %bb.406:
	v_cndmask_b32_e64 v2, 0, 1.0, s[4:5]
	v_cvt_f16_f32_e32 v2, v2
	global_store_short v[0:1], v2, off
.LBB286_407:
	s_mov_b64 s[8:9], 0
.LBB286_408:
	s_andn2_b64 vcc, exec, s[8:9]
	s_cbranch_vccnz .LBB286_424
; %bb.409:
	s_cmp_lt_i32 s10, 2
	s_mov_b64 s[8:9], -1
	s_cbranch_scc1 .LBB286_419
; %bb.410:
	s_cmp_lt_i32 s10, 3
	s_cbranch_scc1 .LBB286_416
; %bb.411:
	s_cmp_gt_i32 s10, 3
	s_cbranch_scc0 .LBB286_413
; %bb.412:
	s_mov_b32 s8, 0
	v_cndmask_b32_e64 v2, 0, 1, s[4:5]
	v_mov_b32_e32 v3, s8
	s_mov_b64 s[8:9], 0
	global_store_dwordx2 v[0:1], v[2:3], off
.LBB286_413:
	s_andn2_b64 vcc, exec, s[8:9]
	s_cbranch_vccnz .LBB286_415
; %bb.414:
	v_cndmask_b32_e64 v2, 0, 1, s[4:5]
	global_store_dword v[0:1], v2, off
.LBB286_415:
	s_mov_b64 s[8:9], 0
.LBB286_416:
	s_andn2_b64 vcc, exec, s[8:9]
	s_cbranch_vccnz .LBB286_418
; %bb.417:
	v_cndmask_b32_e64 v2, 0, 1, s[4:5]
	global_store_short v[0:1], v2, off
.LBB286_418:
	s_mov_b64 s[8:9], 0
.LBB286_419:
	s_andn2_b64 vcc, exec, s[8:9]
	s_cbranch_vccnz .LBB286_424
; %bb.420:
	s_mov_b64 s[8:9], -1
	s_cmp_gt_i32 s10, 0
	v_cndmask_b32_e64 v2, 0, 1, s[4:5]
	s_cbranch_scc0 .LBB286_422
; %bb.421:
	s_mov_b64 s[8:9], 0
	global_store_byte v[0:1], v2, off
.LBB286_422:
	s_andn2_b64 vcc, exec, s[8:9]
	s_cbranch_vccnz .LBB286_424
; %bb.423:
	global_store_byte v[0:1], v2, off
.LBB286_424:
	s_mov_b64 s[8:9], -1
.LBB286_425:
	s_andn2_b64 vcc, exec, s[8:9]
	s_cbranch_vccnz .LBB286_427
; %bb.426:
	v_add_u32_e32 v12, 0x80, v12
	s_mov_b64 s[4:5], -1
	s_branch .LBB286_428
.LBB286_427:
	s_mov_b64 s[4:5], 0
                                        ; implicit-def: $vgpr12
.LBB286_428:
	s_andn2_b64 s[8:9], s[68:69], exec
	s_and_b64 s[6:7], s[6:7], exec
	s_or_b64 s[74:75], s[8:9], s[6:7]
	s_orn2_b64 s[8:9], s[4:5], exec
.LBB286_429:
	s_or_b64 exec, exec, s[72:73]
	s_mov_b64 s[4:5], 0
	s_mov_b64 s[12:13], 0
                                        ; implicit-def: $sgpr6_sgpr7
                                        ; implicit-def: $sgpr16
                                        ; implicit-def: $vgpr0_vgpr1
	s_and_saveexec_b64 s[72:73], s[8:9]
	s_cbranch_execz .LBB286_524
; %bb.430:
	v_cmp_gt_i32_e32 vcc, s76, v12
	s_mov_b64 s[8:9], 0
	s_mov_b64 s[10:11], s[74:75]
                                        ; implicit-def: $sgpr6_sgpr7
                                        ; implicit-def: $sgpr16
                                        ; implicit-def: $vgpr0_vgpr1
	s_and_saveexec_b64 s[76:77], vcc
	s_cbranch_execz .LBB286_523
; %bb.431:
	s_andn2_b64 vcc, exec, s[50:51]
	s_cbranch_vccnz .LBB286_436
; %bb.432:
	s_andn2_b64 vcc, exec, s[62:63]
	s_cbranch_vccnz .LBB286_437
; %bb.433:
	s_add_i32 s81, s81, 1
	s_cmp_eq_u32 s78, 2
	s_cbranch_scc1 .LBB286_438
; %bb.434:
	s_and_b32 s26, s81, 28
	v_mov_b32_e32 v4, 0
	s_mov_b32 s27, 0
	s_mov_b64 s[24:25], s[48:49]
	v_mov_b32_e32 v10, 0
	v_mov_b32_e32 v0, v12
.LBB286_435:                            ; =>This Inner Loop Header: Depth=1
	s_load_dwordx8 s[12:19], s[24:25], 0x4
	s_load_dwordx4 s[20:23], s[24:25], 0x24
	s_load_dwordx8 s[4:11], s[60:61], 0x0
	s_add_u32 s24, s24, 48
	s_addc_u32 s25, s25, 0
	s_waitcnt lgkmcnt(0)
	v_mul_hi_u32 v1, s13, v0
	s_add_i32 s27, s27, 4
	s_add_u32 s60, s60, 32
	s_addc_u32 s61, s61, 0
	v_add_u32_e32 v1, v0, v1
	v_lshrrev_b32_e32 v1, s14, v1
	v_mul_lo_u32 v2, v1, s12
	v_mul_hi_u32 v3, s16, v1
	s_cmp_eq_u32 s26, s27
	v_sub_u32_e32 v0, v0, v2
	v_add_u32_e32 v2, v1, v3
	v_mul_lo_u32 v3, v0, s4
	v_mul_lo_u32 v5, v0, s5
	v_lshrrev_b32_e32 v0, s17, v2
	v_mul_lo_u32 v2, v0, s15
	v_mul_hi_u32 v6, s19, v0
	v_sub_u32_e32 v1, v1, v2
	v_add_u32_e32 v2, v0, v6
	v_lshrrev_b32_e32 v2, s20, v2
	v_mul_hi_u32 v7, s22, v2
	v_mul_lo_u32 v8, v2, s18
	v_mul_lo_u32 v6, v1, s6
	;; [unrolled: 1-line block ×3, first 2 shown]
	v_sub_u32_e32 v8, v0, v8
	v_add_u32_e32 v0, v2, v7
	v_lshrrev_b32_e32 v0, s23, v0
	v_mul_lo_u32 v7, v0, s21
	v_mul_lo_u32 v9, v8, s8
	;; [unrolled: 1-line block ×3, first 2 shown]
	v_add3_u32 v3, v3, v10, v6
	v_sub_u32_e32 v2, v2, v7
	v_mul_lo_u32 v7, v2, s10
	v_mul_lo_u32 v2, v2, s11
	v_add3_u32 v1, v5, v4, v1
	v_add3_u32 v10, v9, v3, v7
	;; [unrolled: 1-line block ×3, first 2 shown]
	s_cbranch_scc0 .LBB286_435
	s_branch .LBB286_439
.LBB286_436:
	s_mov_b64 s[4:5], -1
                                        ; implicit-def: $vgpr10
                                        ; implicit-def: $vgpr4
	s_branch .LBB286_443
.LBB286_437:
	v_mov_b32_e32 v10, 0
	v_mov_b32_e32 v4, 0
	s_branch .LBB286_442
.LBB286_438:
	s_mov_b32 s26, 0
	v_mov_b32_e32 v10, 0
	v_mov_b32_e32 v4, 0
	;; [unrolled: 1-line block ×3, first 2 shown]
.LBB286_439:
	s_and_b32 s8, s81, 3
	s_cmp_eq_u32 s8, 0
	s_cbranch_scc1 .LBB286_442
; %bb.440:
	s_lshl_b32 s4, s26, 3
	s_add_u32 s4, s48, s4
	s_addc_u32 s5, s49, 0
	s_add_u32 s4, s4, 0xc4
	s_addc_u32 s5, s5, 0
	s_mul_i32 s6, s26, 12
	s_add_u32 s6, s48, s6
	s_addc_u32 s7, s49, 0
.LBB286_441:                            ; =>This Inner Loop Header: Depth=1
	s_load_dwordx2 s[10:11], s[6:7], 0x4
	s_load_dword s9, s[6:7], 0xc
	s_load_dwordx2 s[12:13], s[4:5], 0x0
	s_add_u32 s6, s6, 12
	s_addc_u32 s7, s7, 0
	s_waitcnt lgkmcnt(0)
	v_mul_hi_u32 v1, s11, v0
	s_add_u32 s4, s4, 8
	s_addc_u32 s5, s5, 0
	s_add_i32 s8, s8, -1
	v_add_u32_e32 v1, v0, v1
	v_lshrrev_b32_e32 v1, s9, v1
	v_mul_lo_u32 v2, v1, s10
	s_cmp_lg_u32 s8, 0
	v_sub_u32_e32 v0, v0, v2
	v_mad_u64_u32 v[10:11], s[10:11], v0, s12, v[10:11]
	v_mad_u64_u32 v[4:5], s[10:11], v0, s13, v[4:5]
	v_mov_b32_e32 v0, v1
	s_cbranch_scc1 .LBB286_441
.LBB286_442:
	s_mov_b64 s[4:5], 0
.LBB286_443:
	s_andn2_b64 vcc, exec, s[4:5]
	s_cbranch_vccnz .LBB286_446
; %bb.444:
	v_mul_hi_u32 v0, s41, v12
	s_andn2_b64 vcc, exec, s[58:59]
	v_add_u32_e32 v0, v12, v0
	v_lshrrev_b32_e32 v0, s42, v0
	v_mul_lo_u32 v1, v0, s40
	v_sub_u32_e32 v1, v12, v1
	v_mul_lo_u32 v10, v1, s44
	v_mul_lo_u32 v4, v1, s45
	s_cbranch_vccnz .LBB286_446
; %bb.445:
	v_mul_hi_u32 v1, s56, v0
	v_add_u32_e32 v1, v0, v1
	v_lshrrev_b32_e32 v1, s57, v1
	v_mul_lo_u32 v1, v1, s43
	v_sub_u32_e32 v0, v0, v1
	v_mad_u64_u32 v[10:11], s[4:5], v0, s46, v[10:11]
	v_mad_u64_u32 v[4:5], s[4:5], v0, s47, v[4:5]
.LBB286_446:
	s_getpc_b64 s[4:5]
	s_add_u32 s4, s4, _ZN2at6native6invokeINS0_13AUnaryFunctorIN3c1013Float8_e4m3fnES4_bNS0_12_GLOBAL__N_116CompareEqFunctorIS4_EEEEj15function_traitsIS8_EEENT1_11result_typeERKT_PrKPcPKT0_PKNS3_10ScalarTypeEi@rel32@lo+4
	s_addc_u32 s5, s5, _ZN2at6native6invokeINS0_13AUnaryFunctorIN3c1013Float8_e4m3fnES4_bNS0_12_GLOBAL__N_116CompareEqFunctorIS4_EEEEj15function_traitsIS8_EEENT1_11result_typeERKT_PrKPcPKT0_PKNS3_10ScalarTypeEi@rel32@hi+12
	v_mov_b32_e32 v0, s54
	v_mov_b32_e32 v1, s55
	;; [unrolled: 1-line block ×5, first 2 shown]
	s_swappc_b64 s[30:31], s[4:5]
	v_and_b32_e32 v0, 1, v0
	v_cmp_eq_u32_e64 s[6:7], 1, v0
	v_mov_b32_e32 v1, s37
	s_and_b32 s16, s79, 0xff
	v_add_co_u32_e32 v0, vcc, s36, v10
	s_cmp_lt_i32 s16, 11
	v_addc_co_u32_e32 v1, vcc, 0, v1, vcc
	s_cbranch_scc1 .LBB286_520
; %bb.447:
	s_and_b32 s17, 0xffff, s16
	s_mov_b64 s[10:11], -1
	s_cmp_gt_i32 s17, 25
	s_mov_b64 s[4:5], s[74:75]
	s_cbranch_scc0 .LBB286_480
; %bb.448:
	s_mov_b64 s[8:9], -1
	s_cmp_gt_i32 s17, 28
	s_mov_b64 s[4:5], s[74:75]
	s_cbranch_scc0 .LBB286_464
; %bb.449:
	s_cmp_gt_i32 s17, 43
	s_mov_b64 s[4:5], s[74:75]
	s_cbranch_scc0 .LBB286_460
; %bb.450:
	;; [unrolled: 4-line block ×3, first 2 shown]
	s_cmp_eq_u32 s17, 46
	s_mov_b64 s[4:5], -1
	s_cbranch_scc0 .LBB286_453
; %bb.452:
	v_cndmask_b32_e64 v2, 0, 1.0, s[6:7]
	v_bfe_u32 v3, v2, 16, 1
	s_movk_i32 s4, 0x7fff
	v_add3_u32 v2, v2, v3, s4
	v_lshrrev_b32_e32 v2, 16, v2
	global_store_dword v[0:1], v2, off
	s_mov_b64 s[4:5], 0
.LBB286_453:
	s_mov_b64 s[8:9], 0
.LBB286_454:
	s_and_b64 vcc, exec, s[8:9]
	s_cbranch_vccz .LBB286_459
; %bb.455:
	s_cmp_eq_u32 s17, 44
	s_mov_b64 s[4:5], -1
	s_cbranch_scc0 .LBB286_459
; %bb.456:
	v_cndmask_b32_e64 v3, 0, 1.0, s[6:7]
	v_lshrrev_b32_e32 v2, 23, v3
	s_movk_i32 s4, 0xff
	v_cmp_ne_u32_e32 vcc, s4, v2
	v_mov_b32_e32 v4, 0xff
	s_and_saveexec_b64 s[8:9], vcc
; %bb.457:
	s_mov_b32 s4, 0x3fffff
	v_and_b32_e32 v4, 0x400000, v3
	v_and_or_b32 v3, v3, s4, v2
	v_cmp_ne_u32_e32 vcc, 0, v4
	v_cmp_ne_u32_e64 s[4:5], 0, v3
	s_and_b64 s[4:5], vcc, s[4:5]
	v_cndmask_b32_e64 v3, 0, 1, s[4:5]
	v_add_u32_e32 v4, v2, v3
; %bb.458:
	s_or_b64 exec, exec, s[8:9]
	s_mov_b64 s[4:5], 0
	global_store_byte v[0:1], v4, off
.LBB286_459:
	s_mov_b64 s[8:9], 0
.LBB286_460:
	s_and_b64 vcc, exec, s[8:9]
	s_cbranch_vccz .LBB286_463
; %bb.461:
	s_cmp_eq_u32 s17, 29
	s_mov_b64 s[4:5], -1
	s_cbranch_scc0 .LBB286_463
; %bb.462:
	s_mov_b32 s4, 0
	v_cndmask_b32_e64 v2, 0, 1, s[6:7]
	v_mov_b32_e32 v3, s4
	global_store_dwordx2 v[0:1], v[2:3], off
	s_mov_b64 s[4:5], 0
.LBB286_463:
	s_mov_b64 s[8:9], 0
.LBB286_464:
	s_and_b64 vcc, exec, s[8:9]
	s_cbranch_vccz .LBB286_479
; %bb.465:
	s_cmp_lt_i32 s17, 27
	s_mov_b64 s[8:9], -1
	s_cbranch_scc1 .LBB286_471
; %bb.466:
	s_cmp_gt_i32 s17, 27
	v_cndmask_b32_e64 v2, 0, 1, s[6:7]
	s_cbranch_scc0 .LBB286_468
; %bb.467:
	s_mov_b64 s[8:9], 0
	global_store_dword v[0:1], v2, off
.LBB286_468:
	s_andn2_b64 vcc, exec, s[8:9]
	s_cbranch_vccnz .LBB286_470
; %bb.469:
	global_store_short v[0:1], v2, off
.LBB286_470:
	s_mov_b64 s[8:9], 0
.LBB286_471:
	s_andn2_b64 vcc, exec, s[8:9]
	s_cbranch_vccnz .LBB286_479
; %bb.472:
	v_cndmask_b32_e64 v3, 0, 1.0, s[6:7]
	s_mov_b32 s8, 0x43800000
	v_cmp_gt_u32_e32 vcc, s8, v3
	v_mov_b32_e32 v4, 0x80
	s_and_saveexec_b64 s[8:9], vcc
	s_cbranch_execz .LBB286_478
; %bb.473:
	s_mov_b32 s10, 0x3bffffff
	v_cmp_lt_u32_e32 vcc, s10, v3
	s_mov_b64 s[10:11], 0
                                        ; implicit-def: $vgpr2
	s_and_saveexec_b64 s[12:13], vcc
	s_xor_b64 s[12:13], exec, s[12:13]
	s_cbranch_execz .LBB286_1121
; %bb.474:
	v_bfe_u32 v2, v3, 20, 1
	s_mov_b32 s14, 0x487ffff
	v_add3_u32 v2, v3, v2, s14
	s_mov_b64 s[10:11], exec
	v_lshrrev_b32_e32 v2, 20, v2
                                        ; implicit-def: $vgpr3
	s_andn2_saveexec_b64 s[12:13], s[12:13]
	s_cbranch_execnz .LBB286_1122
.LBB286_475:
	s_or_b64 exec, exec, s[12:13]
	v_mov_b32_e32 v4, 0
	s_and_saveexec_b64 s[12:13], s[10:11]
.LBB286_476:
	v_mov_b32_e32 v4, v2
.LBB286_477:
	s_or_b64 exec, exec, s[12:13]
.LBB286_478:
	s_or_b64 exec, exec, s[8:9]
	global_store_byte v[0:1], v4, off
.LBB286_479:
	s_mov_b64 s[10:11], 0
.LBB286_480:
	s_mov_b64 s[8:9], 0
	s_and_b64 vcc, exec, s[10:11]
	s_cbranch_vccz .LBB286_521
; %bb.481:
	s_cmp_gt_i32 s17, 22
	s_mov_b64 s[10:11], -1
	s_cbranch_scc0 .LBB286_513
; %bb.482:
	s_cmp_lt_i32 s17, 24
	s_cbranch_scc1 .LBB286_502
; %bb.483:
	s_cmp_gt_i32 s17, 24
	s_cbranch_scc0 .LBB286_491
; %bb.484:
	v_cndmask_b32_e64 v3, 0, 1.0, s[6:7]
	s_mov_b32 s10, 0x47800000
	v_cmp_gt_u32_e32 vcc, s10, v3
	v_mov_b32_e32 v4, 0x80
	s_and_saveexec_b64 s[10:11], vcc
	s_cbranch_execz .LBB286_490
; %bb.485:
	s_mov_b32 s12, 0x37ffffff
	v_cmp_lt_u32_e32 vcc, s12, v3
	s_mov_b64 s[12:13], 0
                                        ; implicit-def: $vgpr2
	s_and_saveexec_b64 s[14:15], vcc
	s_xor_b64 s[14:15], exec, s[14:15]
	s_cbranch_execz .LBB286_1125
; %bb.486:
	v_bfe_u32 v2, v3, 21, 1
	s_mov_b32 s18, 0x88fffff
	v_add3_u32 v2, v3, v2, s18
	s_mov_b64 s[12:13], exec
	v_lshrrev_b32_e32 v2, 21, v2
                                        ; implicit-def: $vgpr3
	s_andn2_saveexec_b64 s[14:15], s[14:15]
	s_cbranch_execnz .LBB286_1126
.LBB286_487:
	s_or_b64 exec, exec, s[14:15]
	v_mov_b32_e32 v4, 0
	s_and_saveexec_b64 s[14:15], s[12:13]
.LBB286_488:
	v_mov_b32_e32 v4, v2
.LBB286_489:
	s_or_b64 exec, exec, s[14:15]
.LBB286_490:
	s_or_b64 exec, exec, s[10:11]
	s_mov_b64 s[10:11], 0
	global_store_byte v[0:1], v4, off
.LBB286_491:
	s_and_b64 vcc, exec, s[10:11]
	s_cbranch_vccz .LBB286_501
; %bb.492:
	v_cndmask_b32_e64 v2, 0, 1.0, s[6:7]
	s_mov_b32 s10, 0x43f00000
	v_cmp_gt_u32_e32 vcc, s10, v2
                                        ; implicit-def: $vgpr3
	s_and_saveexec_b64 s[10:11], vcc
	s_xor_b64 s[10:11], exec, s[10:11]
	s_cbranch_execz .LBB286_498
; %bb.493:
	s_mov_b32 s12, 0x3c7fffff
	v_cmp_lt_u32_e32 vcc, s12, v2
                                        ; implicit-def: $vgpr3
	s_and_saveexec_b64 s[12:13], vcc
	s_xor_b64 s[12:13], exec, s[12:13]
; %bb.494:
	v_bfe_u32 v3, v2, 20, 1
	s_mov_b32 s14, 0x407ffff
	v_add3_u32 v2, v2, v3, s14
	v_lshrrev_b32_e32 v3, 20, v2
	v_and_b32_e32 v2, 0xff00000, v2
	s_mov_b32 s14, 0x7f00000
	v_mov_b32_e32 v4, 0x7e
	v_cmp_ne_u32_e32 vcc, s14, v2
	v_cndmask_b32_e32 v3, v4, v3, vcc
                                        ; implicit-def: $vgpr2
; %bb.495:
	s_andn2_saveexec_b64 s[12:13], s[12:13]
; %bb.496:
	v_add_f32_e32 v3, 0x46800000, v2
; %bb.497:
	s_or_b64 exec, exec, s[12:13]
                                        ; implicit-def: $vgpr2
.LBB286_498:
	s_andn2_saveexec_b64 s[10:11], s[10:11]
; %bb.499:
	s_mov_b32 s12, 0x7f800000
	v_mov_b32_e32 v3, 0x7e
	v_mov_b32_e32 v4, 0x7f
	v_cmp_lt_u32_e32 vcc, s12, v2
	v_cndmask_b32_e32 v3, v3, v4, vcc
; %bb.500:
	s_or_b64 exec, exec, s[10:11]
	global_store_byte v[0:1], v3, off
.LBB286_501:
	s_mov_b64 s[10:11], 0
.LBB286_502:
	s_andn2_b64 vcc, exec, s[10:11]
	s_cbranch_vccnz .LBB286_512
; %bb.503:
	v_cndmask_b32_e64 v2, 0, 1.0, s[6:7]
	s_mov_b32 s10, 0x47800000
	v_cmp_gt_u32_e32 vcc, s10, v2
                                        ; implicit-def: $vgpr3
	s_and_saveexec_b64 s[10:11], vcc
	s_xor_b64 s[10:11], exec, s[10:11]
	s_cbranch_execz .LBB286_509
; %bb.504:
	s_mov_b32 s12, 0x387fffff
	v_cmp_lt_u32_e32 vcc, s12, v2
                                        ; implicit-def: $vgpr3
	s_and_saveexec_b64 s[12:13], vcc
	s_xor_b64 s[12:13], exec, s[12:13]
; %bb.505:
	v_bfe_u32 v3, v2, 21, 1
	s_mov_b32 s14, 0x80fffff
	v_add3_u32 v2, v2, v3, s14
	v_lshrrev_b32_e32 v3, 21, v2
                                        ; implicit-def: $vgpr2
; %bb.506:
	s_andn2_saveexec_b64 s[12:13], s[12:13]
; %bb.507:
	v_add_f32_e32 v3, 0x43000000, v2
; %bb.508:
	s_or_b64 exec, exec, s[12:13]
                                        ; implicit-def: $vgpr2
.LBB286_509:
	s_andn2_saveexec_b64 s[10:11], s[10:11]
; %bb.510:
	s_mov_b32 s12, 0x7f800000
	v_mov_b32_e32 v3, 0x7c
	v_mov_b32_e32 v4, 0x7f
	v_cmp_lt_u32_e32 vcc, s12, v2
	v_cndmask_b32_e32 v3, v3, v4, vcc
; %bb.511:
	s_or_b64 exec, exec, s[10:11]
	global_store_byte v[0:1], v3, off
.LBB286_512:
	s_mov_b64 s[10:11], 0
.LBB286_513:
	s_andn2_b64 vcc, exec, s[10:11]
	s_mov_b64 s[10:11], 0
	s_cbranch_vccnz .LBB286_522
; %bb.514:
	s_cmp_gt_i32 s17, 14
	s_mov_b64 s[12:13], -1
	s_cbranch_scc0 .LBB286_518
; %bb.515:
	s_cmp_eq_u32 s17, 15
	s_mov_b64 s[4:5], -1
	s_cbranch_scc0 .LBB286_517
; %bb.516:
	v_cndmask_b32_e64 v2, 0, 1.0, s[6:7]
	v_bfe_u32 v3, v2, 16, 1
	s_movk_i32 s4, 0x7fff
	v_add3_u32 v2, v2, v3, s4
	global_store_short_d16_hi v[0:1], v2, off
	s_mov_b64 s[4:5], 0
.LBB286_517:
	s_mov_b64 s[12:13], 0
.LBB286_518:
	s_and_b64 vcc, exec, s[12:13]
	s_cbranch_vccz .LBB286_522
; %bb.519:
	s_cmp_lg_u32 s17, 11
	s_cselect_b64 s[12:13], -1, 0
	s_andn2_b64 s[4:5], s[4:5], exec
	s_and_b64 s[12:13], s[12:13], exec
	s_mov_b64 s[10:11], -1
	s_or_b64 s[4:5], s[4:5], s[12:13]
	s_branch .LBB286_522
.LBB286_520:
	s_mov_b64 s[10:11], 0
	s_mov_b64 s[8:9], -1
	s_mov_b64 s[4:5], s[74:75]
	s_branch .LBB286_522
.LBB286_521:
	s_mov_b64 s[10:11], 0
.LBB286_522:
	s_and_b64 s[12:13], s[8:9], exec
	s_and_b64 s[8:9], s[10:11], exec
	s_andn2_b64 s[10:11], s[74:75], exec
	s_and_b64 s[4:5], s[4:5], exec
	s_or_b64 s[10:11], s[10:11], s[4:5]
.LBB286_523:
	s_or_b64 exec, exec, s[76:77]
	s_and_b64 s[4:5], s[8:9], exec
	s_andn2_b64 s[8:9], s[74:75], exec
	s_and_b64 s[10:11], s[10:11], exec
	s_and_b64 s[12:13], s[12:13], exec
	s_or_b64 s[74:75], s[8:9], s[10:11]
.LBB286_524:
	s_or_b64 exec, exec, s[72:73]
	s_and_b64 s[8:9], s[12:13], exec
	s_andn2_b64 s[10:11], s[68:69], exec
	s_and_b64 s[12:13], s[74:75], exec
	s_and_b64 s[4:5], s[4:5], exec
	s_or_b64 s[68:69], s[10:11], s[12:13]
.LBB286_525:
	s_or_b64 exec, exec, s[70:71]
	s_and_b64 s[70:71], s[4:5], exec
	s_andn2_b64 s[4:5], s[64:65], exec
	s_and_b64 s[10:11], s[68:69], exec
	s_and_b64 s[8:9], s[8:9], exec
	s_or_b64 s[64:65], s[4:5], s[10:11]
	s_or_b64 exec, exec, s[66:67]
	s_mov_b64 s[4:5], 0
	s_and_saveexec_b64 s[10:11], s[64:65]
	s_cbranch_execz .LBB286_146
.LBB286_526:
	s_mov_b64 s[4:5], exec
	s_andn2_b64 s[70:71], s[70:71], exec
	s_trap 2
	s_or_b64 exec, exec, s[10:11]
	s_and_saveexec_b64 s[10:11], s[70:71]
	s_xor_b64 s[10:11], exec, s[10:11]
	s_cbranch_execnz .LBB286_147
.LBB286_527:
	s_or_b64 exec, exec, s[10:11]
	s_and_saveexec_b64 s[10:11], s[8:9]
	s_xor_b64 s[8:9], exec, s[10:11]
	s_cbranch_execz .LBB286_565
.LBB286_528:
	s_sext_i32_i16 s12, s16
	s_cmp_lt_i32 s12, 5
	s_mov_b64 s[10:11], -1
	s_cbranch_scc1 .LBB286_549
; %bb.529:
	s_cmp_lt_i32 s12, 8
	s_cbranch_scc1 .LBB286_539
; %bb.530:
	s_cmp_lt_i32 s12, 9
	s_cbranch_scc1 .LBB286_536
; %bb.531:
	s_cmp_gt_i32 s12, 9
	s_cbranch_scc0 .LBB286_533
; %bb.532:
	v_cndmask_b32_e64 v2, 0, 1, s[6:7]
	v_cvt_f64_u32_e32 v[2:3], v2
	v_mov_b32_e32 v4, 0
	v_mov_b32_e32 v5, v4
	s_mov_b64 s[10:11], 0
	global_store_dwordx4 v[0:1], v[2:5], off
.LBB286_533:
	s_andn2_b64 vcc, exec, s[10:11]
	s_cbranch_vccnz .LBB286_535
; %bb.534:
	v_cndmask_b32_e64 v2, 0, 1.0, s[6:7]
	v_mov_b32_e32 v3, 0
	global_store_dwordx2 v[0:1], v[2:3], off
.LBB286_535:
	s_mov_b64 s[10:11], 0
.LBB286_536:
	s_andn2_b64 vcc, exec, s[10:11]
	s_cbranch_vccnz .LBB286_538
; %bb.537:
	v_cndmask_b32_e64 v2, 0, 1.0, s[6:7]
	v_cvt_f16_f32_e32 v2, v2
	global_store_dword v[0:1], v2, off
.LBB286_538:
	s_mov_b64 s[10:11], 0
.LBB286_539:
	s_andn2_b64 vcc, exec, s[10:11]
	s_cbranch_vccnz .LBB286_548
; %bb.540:
	s_sext_i32_i16 s12, s16
	s_cmp_lt_i32 s12, 6
	s_mov_b64 s[10:11], -1
	s_cbranch_scc1 .LBB286_546
; %bb.541:
	s_cmp_gt_i32 s12, 6
	s_cbranch_scc0 .LBB286_543
; %bb.542:
	v_cndmask_b32_e64 v2, 0, 1, s[6:7]
	v_cvt_f64_u32_e32 v[2:3], v2
	s_mov_b64 s[10:11], 0
	global_store_dwordx2 v[0:1], v[2:3], off
.LBB286_543:
	s_andn2_b64 vcc, exec, s[10:11]
	s_cbranch_vccnz .LBB286_545
; %bb.544:
	v_cndmask_b32_e64 v2, 0, 1.0, s[6:7]
	global_store_dword v[0:1], v2, off
.LBB286_545:
	s_mov_b64 s[10:11], 0
.LBB286_546:
	s_andn2_b64 vcc, exec, s[10:11]
	s_cbranch_vccnz .LBB286_548
; %bb.547:
	v_cndmask_b32_e64 v2, 0, 1.0, s[6:7]
	v_cvt_f16_f32_e32 v2, v2
	global_store_short v[0:1], v2, off
.LBB286_548:
	s_mov_b64 s[10:11], 0
.LBB286_549:
	s_andn2_b64 vcc, exec, s[10:11]
	s_cbranch_vccnz .LBB286_565
; %bb.550:
	s_sext_i32_i16 s12, s16
	s_cmp_lt_i32 s12, 2
	s_mov_b64 s[10:11], -1
	s_cbranch_scc1 .LBB286_560
; %bb.551:
	s_cmp_lt_i32 s12, 3
	s_cbranch_scc1 .LBB286_557
; %bb.552:
	s_cmp_gt_i32 s12, 3
	s_cbranch_scc0 .LBB286_554
; %bb.553:
	s_mov_b32 s10, 0
	v_cndmask_b32_e64 v2, 0, 1, s[6:7]
	v_mov_b32_e32 v3, s10
	s_mov_b64 s[10:11], 0
	global_store_dwordx2 v[0:1], v[2:3], off
.LBB286_554:
	s_andn2_b64 vcc, exec, s[10:11]
	s_cbranch_vccnz .LBB286_556
; %bb.555:
	v_cndmask_b32_e64 v2, 0, 1, s[6:7]
	global_store_dword v[0:1], v2, off
.LBB286_556:
	s_mov_b64 s[10:11], 0
.LBB286_557:
	s_andn2_b64 vcc, exec, s[10:11]
	s_cbranch_vccnz .LBB286_559
; %bb.558:
	v_cndmask_b32_e64 v2, 0, 1, s[6:7]
	global_store_short v[0:1], v2, off
.LBB286_559:
	s_mov_b64 s[10:11], 0
.LBB286_560:
	s_andn2_b64 vcc, exec, s[10:11]
	s_cbranch_vccnz .LBB286_565
; %bb.561:
	s_sext_i32_i16 s10, s16
	s_cmp_gt_i32 s10, 0
	s_mov_b64 s[10:11], -1
	s_cbranch_scc0 .LBB286_563
; %bb.562:
	v_cndmask_b32_e64 v2, 0, 1, s[6:7]
	s_mov_b64 s[10:11], 0
	global_store_byte v[0:1], v2, off
.LBB286_563:
	s_andn2_b64 vcc, exec, s[10:11]
	s_cbranch_vccnz .LBB286_565
; %bb.564:
	v_cndmask_b32_e64 v2, 0, 1, s[6:7]
	global_store_byte v[0:1], v2, off
.LBB286_565:
	s_or_b64 exec, exec, s[8:9]
	s_and_b64 s[38:39], s[4:5], exec
                                        ; implicit-def: $vgpr2
                                        ; implicit-def: $vgpr12
.LBB286_566:
	s_or_saveexec_b64 s[44:45], s[52:53]
	s_mov_b64 s[4:5], 0
                                        ; implicit-def: $sgpr6_sgpr7
                                        ; implicit-def: $sgpr18
                                        ; implicit-def: $vgpr0_vgpr1
	s_xor_b64 exec, exec, s[44:45]
	s_cbranch_execz .LBB286_1055
; %bb.567:
	v_cndmask_b32_e64 v0, 0, 1, s[50:51]
	v_cmp_ne_u32_e64 s[4:5], 1, v0
	s_andn2_b64 vcc, exec, s[50:51]
	s_cbranch_vccnz .LBB286_573
; %bb.568:
	s_cmp_lg_u32 s33, 0
	s_mov_b32 s34, 0
	s_cbranch_scc0 .LBB286_574
; %bb.569:
	s_min_u32 s35, s78, 15
	s_add_i32 s35, s35, 1
	s_cmp_eq_u32 s78, 2
	s_cbranch_scc1 .LBB286_575
; %bb.570:
	s_and_b32 s34, s35, 28
	s_add_u32 s6, s48, 0xc4
	s_addc_u32 s7, s49, 0
	v_mov_b32_e32 v4, 0
	s_mov_b32 s36, 0
	s_mov_b64 s[30:31], s[48:49]
	v_mov_b32_e32 v20, 0
	v_mov_b32_e32 v0, v12
.LBB286_571:                            ; =>This Inner Loop Header: Depth=1
	s_load_dwordx8 s[16:23], s[30:31], 0x4
	s_load_dwordx4 s[24:27], s[30:31], 0x24
	s_load_dwordx8 s[8:15], s[6:7], 0x0
	s_add_u32 s30, s30, 48
	s_addc_u32 s31, s31, 0
	s_waitcnt lgkmcnt(0)
	v_mul_hi_u32 v1, s17, v0
	s_add_i32 s36, s36, 4
	s_add_u32 s6, s6, 32
	s_addc_u32 s7, s7, 0
	v_add_u32_e32 v1, v0, v1
	v_lshrrev_b32_e32 v1, s18, v1
	v_mul_lo_u32 v3, v1, s16
	v_mul_hi_u32 v5, s20, v1
	s_cmp_lg_u32 s34, s36
	v_sub_u32_e32 v0, v0, v3
	v_add_u32_e32 v3, v1, v5
	v_mul_lo_u32 v5, v0, s8
	v_mul_lo_u32 v6, v0, s9
	v_lshrrev_b32_e32 v0, s21, v3
	v_mul_lo_u32 v3, v0, s19
	v_mul_hi_u32 v7, s23, v0
	v_sub_u32_e32 v1, v1, v3
	v_add_u32_e32 v3, v0, v7
	v_lshrrev_b32_e32 v3, s24, v3
	v_mul_hi_u32 v8, s26, v3
	v_mul_lo_u32 v9, v3, s22
	v_mul_lo_u32 v7, v1, s10
	;; [unrolled: 1-line block ×3, first 2 shown]
	v_sub_u32_e32 v9, v0, v9
	v_add_u32_e32 v0, v3, v8
	v_lshrrev_b32_e32 v0, s27, v0
	v_mul_lo_u32 v8, v0, s25
	v_mul_lo_u32 v10, v9, s12
	;; [unrolled: 1-line block ×3, first 2 shown]
	v_add3_u32 v5, v5, v20, v7
	v_sub_u32_e32 v3, v3, v8
	v_mul_lo_u32 v8, v3, s14
	v_mul_lo_u32 v3, v3, s15
	v_add3_u32 v1, v6, v4, v1
	v_add3_u32 v20, v10, v5, v8
	;; [unrolled: 1-line block ×3, first 2 shown]
	s_cbranch_scc1 .LBB286_571
; %bb.572:
	s_and_b32 s10, s35, 3
	s_cmp_eq_u32 s10, 0
	s_cbranch_scc0 .LBB286_576
	s_branch .LBB286_578
.LBB286_573:
                                        ; implicit-def: $vgpr20
                                        ; implicit-def: $vgpr4
	s_branch .LBB286_579
.LBB286_574:
	v_mov_b32_e32 v20, 0
	v_mov_b32_e32 v4, 0
	s_branch .LBB286_578
.LBB286_575:
	v_mov_b32_e32 v20, 0
	v_mov_b32_e32 v4, 0
	;; [unrolled: 1-line block ×3, first 2 shown]
	s_and_b32 s10, s35, 3
	s_cmp_eq_u32 s10, 0
	s_cbranch_scc1 .LBB286_578
.LBB286_576:
	s_lshl_b32 s6, s34, 3
	s_add_u32 s6, s48, s6
	s_addc_u32 s7, s49, 0
	s_add_u32 s6, s6, 0xc4
	s_addc_u32 s7, s7, 0
	s_mul_i32 s8, s34, 12
	s_add_u32 s8, s48, s8
	s_addc_u32 s9, s49, 0
.LBB286_577:                            ; =>This Inner Loop Header: Depth=1
	s_load_dwordx2 s[12:13], s[8:9], 0x4
	s_load_dword s11, s[8:9], 0xc
	s_load_dwordx2 s[14:15], s[6:7], 0x0
	s_add_u32 s8, s8, 12
	s_addc_u32 s9, s9, 0
	s_waitcnt lgkmcnt(0)
	v_mul_hi_u32 v1, s13, v0
	s_add_u32 s6, s6, 8
	s_addc_u32 s7, s7, 0
	s_add_i32 s10, s10, -1
	v_add_u32_e32 v1, v0, v1
	v_lshrrev_b32_e32 v1, s11, v1
	v_mul_lo_u32 v3, v1, s12
	s_cmp_lg_u32 s10, 0
	v_sub_u32_e32 v0, v0, v3
	v_mad_u64_u32 v[20:21], s[12:13], v0, s14, v[20:21]
	v_mad_u64_u32 v[4:5], s[12:13], v0, s15, v[4:5]
	v_mov_b32_e32 v0, v1
	s_cbranch_scc1 .LBB286_577
.LBB286_578:
	s_cbranch_execnz .LBB286_581
.LBB286_579:
	s_load_dwordx4 s[8:11], s[48:49], 0x4
	s_load_dwordx2 s[6:7], s[48:49], 0xc4
	s_cmp_lt_u32 s33, 2
	s_waitcnt lgkmcnt(0)
	v_mul_hi_u32 v0, s9, v12
	v_add_u32_e32 v0, v12, v0
	v_lshrrev_b32_e32 v0, s10, v0
	v_mul_lo_u32 v1, v0, s8
	v_sub_u32_e32 v1, v12, v1
	v_mul_lo_u32 v20, v1, s6
	v_mul_lo_u32 v4, v1, s7
	s_cbranch_scc1 .LBB286_581
; %bb.580:
	s_load_dwordx4 s[8:11], s[48:49], 0x10
	s_load_dwordx2 s[6:7], s[48:49], 0xcc
	s_waitcnt lgkmcnt(0)
	v_mul_hi_u32 v1, s9, v0
	v_add_u32_e32 v1, v0, v1
	v_lshrrev_b32_e32 v1, s10, v1
	v_mul_lo_u32 v1, v1, s8
	v_sub_u32_e32 v0, v0, v1
	v_mad_u64_u32 v[20:21], s[8:9], v0, s6, v[20:21]
	v_mad_u64_u32 v[4:5], s[6:7], v0, s7, v[4:5]
.LBB286_581:
	s_and_b64 vcc, exec, s[4:5]
	v_add_u32_e32 v0, 0x80, v12
	s_cbranch_vccnz .LBB286_587
; %bb.582:
	s_cmp_lg_u32 s33, 0
	s_mov_b32 s34, 0
	s_cbranch_scc0 .LBB286_588
; %bb.583:
	s_min_u32 s35, s78, 15
	s_add_i32 s35, s35, 1
	s_cmp_eq_u32 s78, 2
	s_cbranch_scc1 .LBB286_589
; %bb.584:
	s_and_b32 s34, s35, 28
	s_add_u32 s6, s48, 0xc4
	s_addc_u32 s7, s49, 0
	v_mov_b32_e32 v10, 0
	s_mov_b32 s36, 0
	s_mov_b64 s[30:31], s[48:49]
	v_mov_b32_e32 v18, 0
	v_mov_b32_e32 v1, v0
.LBB286_585:                            ; =>This Inner Loop Header: Depth=1
	s_load_dwordx8 s[16:23], s[30:31], 0x4
	s_load_dwordx4 s[24:27], s[30:31], 0x24
	s_load_dwordx8 s[8:15], s[6:7], 0x0
	s_add_u32 s30, s30, 48
	s_addc_u32 s31, s31, 0
	s_waitcnt lgkmcnt(0)
	v_mul_hi_u32 v3, s17, v1
	s_add_i32 s36, s36, 4
	s_add_u32 s6, s6, 32
	s_addc_u32 s7, s7, 0
	v_add_u32_e32 v3, v1, v3
	v_lshrrev_b32_e32 v3, s18, v3
	v_mul_lo_u32 v5, v3, s16
	v_mul_hi_u32 v6, s20, v3
	s_cmp_lg_u32 s34, s36
	v_sub_u32_e32 v1, v1, v5
	v_add_u32_e32 v5, v3, v6
	v_mul_lo_u32 v6, v1, s8
	v_mul_lo_u32 v7, v1, s9
	v_lshrrev_b32_e32 v1, s21, v5
	v_mul_lo_u32 v5, v1, s19
	v_mul_hi_u32 v8, s23, v1
	v_sub_u32_e32 v3, v3, v5
	v_add_u32_e32 v5, v1, v8
	v_lshrrev_b32_e32 v5, s24, v5
	v_mul_hi_u32 v9, s26, v5
	v_mul_lo_u32 v11, v5, s22
	v_mul_lo_u32 v8, v3, s10
	;; [unrolled: 1-line block ×3, first 2 shown]
	v_sub_u32_e32 v11, v1, v11
	v_add_u32_e32 v1, v5, v9
	v_lshrrev_b32_e32 v1, s27, v1
	v_mul_lo_u32 v9, v1, s25
	v_mul_lo_u32 v13, v11, s12
	;; [unrolled: 1-line block ×3, first 2 shown]
	v_add3_u32 v6, v6, v18, v8
	v_sub_u32_e32 v5, v5, v9
	v_mul_lo_u32 v9, v5, s14
	v_mul_lo_u32 v5, v5, s15
	v_add3_u32 v3, v7, v10, v3
	v_add3_u32 v18, v13, v6, v9
	;; [unrolled: 1-line block ×3, first 2 shown]
	s_cbranch_scc1 .LBB286_585
; %bb.586:
	s_and_b32 s10, s35, 3
	s_cmp_eq_u32 s10, 0
	s_cbranch_scc0 .LBB286_590
	s_branch .LBB286_592
.LBB286_587:
                                        ; implicit-def: $vgpr18
                                        ; implicit-def: $vgpr10
	s_branch .LBB286_593
.LBB286_588:
	v_mov_b32_e32 v18, 0
	v_mov_b32_e32 v10, 0
	s_branch .LBB286_592
.LBB286_589:
	v_mov_b32_e32 v18, 0
	v_mov_b32_e32 v10, 0
	v_mov_b32_e32 v1, v0
	s_and_b32 s10, s35, 3
	s_cmp_eq_u32 s10, 0
	s_cbranch_scc1 .LBB286_592
.LBB286_590:
	s_lshl_b32 s6, s34, 3
	s_add_u32 s6, s48, s6
	s_addc_u32 s7, s49, 0
	s_add_u32 s6, s6, 0xc4
	s_addc_u32 s7, s7, 0
	s_mul_i32 s8, s34, 12
	s_add_u32 s8, s48, s8
	s_addc_u32 s9, s49, 0
.LBB286_591:                            ; =>This Inner Loop Header: Depth=1
	s_load_dwordx2 s[12:13], s[8:9], 0x4
	s_load_dword s11, s[8:9], 0xc
	s_load_dwordx2 s[14:15], s[6:7], 0x0
	s_add_u32 s8, s8, 12
	s_addc_u32 s9, s9, 0
	s_waitcnt lgkmcnt(0)
	v_mul_hi_u32 v3, s13, v1
	s_add_u32 s6, s6, 8
	s_addc_u32 s7, s7, 0
	s_add_i32 s10, s10, -1
	v_add_u32_e32 v3, v1, v3
	v_lshrrev_b32_e32 v3, s11, v3
	v_mul_lo_u32 v5, v3, s12
	s_cmp_lg_u32 s10, 0
	v_sub_u32_e32 v1, v1, v5
	v_mad_u64_u32 v[18:19], s[12:13], v1, s14, v[18:19]
	v_mad_u64_u32 v[10:11], s[12:13], v1, s15, v[10:11]
	v_mov_b32_e32 v1, v3
	s_cbranch_scc1 .LBB286_591
.LBB286_592:
	s_cbranch_execnz .LBB286_595
.LBB286_593:
	s_load_dwordx4 s[8:11], s[48:49], 0x4
	s_load_dwordx2 s[6:7], s[48:49], 0xc4
	s_cmp_lt_u32 s33, 2
	s_waitcnt lgkmcnt(0)
	v_mul_hi_u32 v1, s9, v0
	v_add_u32_e32 v1, v0, v1
	v_lshrrev_b32_e32 v1, s10, v1
	v_mul_lo_u32 v3, v1, s8
	v_sub_u32_e32 v0, v0, v3
	v_mul_lo_u32 v18, v0, s6
	v_mul_lo_u32 v10, v0, s7
	s_cbranch_scc1 .LBB286_595
; %bb.594:
	s_load_dwordx4 s[8:11], s[48:49], 0x10
	s_load_dwordx2 s[6:7], s[48:49], 0xcc
	s_waitcnt lgkmcnt(0)
	v_mul_hi_u32 v0, s9, v1
	v_add_u32_e32 v0, v1, v0
	v_lshrrev_b32_e32 v0, s10, v0
	v_mul_lo_u32 v0, v0, s8
	v_sub_u32_e32 v0, v1, v0
	v_mad_u64_u32 v[18:19], s[8:9], v0, s6, v[18:19]
	v_mad_u64_u32 v[10:11], s[6:7], v0, s7, v[10:11]
.LBB286_595:
	s_and_b64 vcc, exec, s[4:5]
	v_add_u32_e32 v0, 0x100, v12
	s_cbranch_vccnz .LBB286_601
; %bb.596:
	s_cmp_lg_u32 s33, 0
	s_mov_b32 s34, 0
	s_cbranch_scc0 .LBB286_602
; %bb.597:
	s_min_u32 s35, s78, 15
	s_add_i32 s35, s35, 1
	s_cmp_eq_u32 s78, 2
	s_cbranch_scc1 .LBB286_603
; %bb.598:
	s_and_b32 s34, s35, 28
	s_add_u32 s6, s48, 0xc4
	s_addc_u32 s7, s49, 0
	v_mov_b32_e32 v11, 0
	s_mov_b32 s36, 0
	s_mov_b64 s[30:31], s[48:49]
	v_mov_b32_e32 v16, 0
	v_mov_b32_e32 v1, v0
.LBB286_599:                            ; =>This Inner Loop Header: Depth=1
	s_load_dwordx8 s[16:23], s[30:31], 0x4
	s_load_dwordx4 s[24:27], s[30:31], 0x24
	s_load_dwordx8 s[8:15], s[6:7], 0x0
	s_add_u32 s30, s30, 48
	s_addc_u32 s31, s31, 0
	s_waitcnt lgkmcnt(0)
	v_mul_hi_u32 v3, s17, v1
	s_add_i32 s36, s36, 4
	s_add_u32 s6, s6, 32
	s_addc_u32 s7, s7, 0
	v_add_u32_e32 v3, v1, v3
	v_lshrrev_b32_e32 v3, s18, v3
	v_mul_lo_u32 v5, v3, s16
	v_mul_hi_u32 v6, s20, v3
	s_cmp_lg_u32 s34, s36
	v_sub_u32_e32 v1, v1, v5
	v_add_u32_e32 v5, v3, v6
	v_mul_lo_u32 v6, v1, s8
	v_mul_lo_u32 v7, v1, s9
	v_lshrrev_b32_e32 v1, s21, v5
	v_mul_lo_u32 v5, v1, s19
	v_mul_hi_u32 v8, s23, v1
	v_sub_u32_e32 v3, v3, v5
	v_add_u32_e32 v5, v1, v8
	v_lshrrev_b32_e32 v5, s24, v5
	v_mul_hi_u32 v9, s26, v5
	v_mul_lo_u32 v12, v5, s22
	v_mul_lo_u32 v8, v3, s10
	;; [unrolled: 1-line block ×3, first 2 shown]
	v_sub_u32_e32 v12, v1, v12
	v_add_u32_e32 v1, v5, v9
	v_lshrrev_b32_e32 v1, s27, v1
	v_mul_lo_u32 v9, v1, s25
	v_mul_lo_u32 v13, v12, s12
	;; [unrolled: 1-line block ×3, first 2 shown]
	v_add3_u32 v6, v6, v16, v8
	v_sub_u32_e32 v5, v5, v9
	v_mul_lo_u32 v9, v5, s14
	v_mul_lo_u32 v5, v5, s15
	v_add3_u32 v3, v7, v11, v3
	v_add3_u32 v16, v13, v6, v9
	v_add3_u32 v11, v12, v3, v5
	s_cbranch_scc1 .LBB286_599
; %bb.600:
	s_and_b32 s10, s35, 3
	s_cmp_eq_u32 s10, 0
	s_cbranch_scc0 .LBB286_604
	s_branch .LBB286_606
.LBB286_601:
                                        ; implicit-def: $vgpr16
                                        ; implicit-def: $vgpr11
	s_branch .LBB286_607
.LBB286_602:
	v_mov_b32_e32 v16, 0
	v_mov_b32_e32 v11, 0
	s_branch .LBB286_606
.LBB286_603:
	v_mov_b32_e32 v16, 0
	v_mov_b32_e32 v11, 0
	;; [unrolled: 1-line block ×3, first 2 shown]
	s_and_b32 s10, s35, 3
	s_cmp_eq_u32 s10, 0
	s_cbranch_scc1 .LBB286_606
.LBB286_604:
	s_lshl_b32 s6, s34, 3
	s_add_u32 s6, s48, s6
	s_addc_u32 s7, s49, 0
	s_add_u32 s6, s6, 0xc4
	s_addc_u32 s7, s7, 0
	s_mul_i32 s8, s34, 12
	s_add_u32 s8, s48, s8
	s_addc_u32 s9, s49, 0
.LBB286_605:                            ; =>This Inner Loop Header: Depth=1
	s_load_dwordx2 s[12:13], s[8:9], 0x4
	s_load_dword s11, s[8:9], 0xc
	s_load_dwordx2 s[14:15], s[6:7], 0x0
	s_add_u32 s8, s8, 12
	s_addc_u32 s9, s9, 0
	s_waitcnt lgkmcnt(0)
	v_mul_hi_u32 v3, s13, v1
	s_add_u32 s6, s6, 8
	s_addc_u32 s7, s7, 0
	s_add_i32 s10, s10, -1
	v_add_u32_e32 v3, v1, v3
	v_lshrrev_b32_e32 v3, s11, v3
	v_mul_lo_u32 v5, v3, s12
	s_cmp_lg_u32 s10, 0
	v_sub_u32_e32 v1, v1, v5
	v_mad_u64_u32 v[16:17], s[12:13], v1, s14, v[16:17]
	v_mad_u64_u32 v[11:12], s[12:13], v1, s15, v[11:12]
	v_mov_b32_e32 v1, v3
	s_cbranch_scc1 .LBB286_605
.LBB286_606:
	s_cbranch_execnz .LBB286_609
.LBB286_607:
	s_load_dwordx4 s[8:11], s[48:49], 0x4
	s_load_dwordx2 s[6:7], s[48:49], 0xc4
	s_cmp_lt_u32 s33, 2
	s_waitcnt lgkmcnt(0)
	v_mul_hi_u32 v1, s9, v0
	v_add_u32_e32 v1, v0, v1
	v_lshrrev_b32_e32 v1, s10, v1
	v_mul_lo_u32 v3, v1, s8
	v_sub_u32_e32 v0, v0, v3
	v_mul_lo_u32 v16, v0, s6
	v_mul_lo_u32 v11, v0, s7
	s_cbranch_scc1 .LBB286_609
; %bb.608:
	s_load_dwordx4 s[8:11], s[48:49], 0x10
	s_load_dwordx2 s[6:7], s[48:49], 0xcc
	s_waitcnt lgkmcnt(0)
	v_mul_hi_u32 v0, s9, v1
	v_add_u32_e32 v0, v1, v0
	v_lshrrev_b32_e32 v0, s10, v0
	v_mul_lo_u32 v0, v0, s8
	v_sub_u32_e32 v0, v1, v0
	v_mad_u64_u32 v[16:17], s[8:9], v0, s6, v[16:17]
	v_mad_u64_u32 v[11:12], s[6:7], v0, s7, v[11:12]
.LBB286_609:
	s_and_b64 vcc, exec, s[4:5]
	s_cbranch_vccnz .LBB286_615
; %bb.610:
	s_cmp_lg_u32 s33, 0
	s_mov_b32 s30, 0
	s_cbranch_scc0 .LBB286_616
; %bb.611:
	s_min_u32 s31, s78, 15
	s_add_i32 s31, s31, 1
	s_cmp_eq_u32 s78, 2
	s_cbranch_scc1 .LBB286_617
; %bb.612:
	s_and_b32 s30, s31, 28
	s_add_u32 s24, s48, 0xc4
	s_addc_u32 s25, s49, 0
	v_mov_b32_e32 v12, 0
	s_mov_b32 s34, 0
	s_mov_b64 s[26:27], s[48:49]
	v_mov_b32_e32 v14, 0
	v_mov_b32_e32 v0, v2
.LBB286_613:                            ; =>This Inner Loop Header: Depth=1
	s_load_dwordx8 s[12:19], s[26:27], 0x4
	s_load_dwordx4 s[20:23], s[26:27], 0x24
	s_load_dwordx8 s[4:11], s[24:25], 0x0
	s_add_u32 s26, s26, 48
	s_addc_u32 s27, s27, 0
	s_waitcnt lgkmcnt(0)
	v_mul_hi_u32 v1, s13, v0
	s_add_i32 s34, s34, 4
	s_add_u32 s24, s24, 32
	s_addc_u32 s25, s25, 0
	v_add_u32_e32 v1, v0, v1
	v_lshrrev_b32_e32 v1, s14, v1
	v_mul_lo_u32 v3, v1, s12
	v_mul_hi_u32 v5, s16, v1
	s_cmp_lg_u32 s30, s34
	v_sub_u32_e32 v0, v0, v3
	v_add_u32_e32 v3, v1, v5
	v_mul_lo_u32 v5, v0, s4
	v_mul_lo_u32 v6, v0, s5
	v_lshrrev_b32_e32 v0, s17, v3
	v_mul_lo_u32 v3, v0, s15
	v_mul_hi_u32 v7, s19, v0
	v_sub_u32_e32 v1, v1, v3
	v_add_u32_e32 v3, v0, v7
	v_lshrrev_b32_e32 v3, s20, v3
	v_mul_hi_u32 v8, s22, v3
	v_mul_lo_u32 v9, v3, s18
	v_mul_lo_u32 v7, v1, s6
	;; [unrolled: 1-line block ×3, first 2 shown]
	v_sub_u32_e32 v9, v0, v9
	v_add_u32_e32 v0, v3, v8
	v_lshrrev_b32_e32 v0, s23, v0
	v_mul_lo_u32 v8, v0, s21
	v_mul_lo_u32 v13, v9, s8
	v_mul_lo_u32 v9, v9, s9
	v_add3_u32 v5, v5, v14, v7
	v_sub_u32_e32 v3, v3, v8
	v_mul_lo_u32 v8, v3, s10
	v_mul_lo_u32 v3, v3, s11
	v_add3_u32 v1, v6, v12, v1
	v_add3_u32 v14, v13, v5, v8
	;; [unrolled: 1-line block ×3, first 2 shown]
	s_cbranch_scc1 .LBB286_613
; %bb.614:
	s_and_b32 s8, s31, 3
	s_cmp_eq_u32 s8, 0
	s_cbranch_scc0 .LBB286_618
	s_branch .LBB286_620
.LBB286_615:
                                        ; implicit-def: $vgpr14
                                        ; implicit-def: $vgpr12
	s_branch .LBB286_621
.LBB286_616:
	v_mov_b32_e32 v14, 0
	v_mov_b32_e32 v12, 0
	s_branch .LBB286_620
.LBB286_617:
	v_mov_b32_e32 v14, 0
	v_mov_b32_e32 v12, 0
	;; [unrolled: 1-line block ×3, first 2 shown]
	s_and_b32 s8, s31, 3
	s_cmp_eq_u32 s8, 0
	s_cbranch_scc1 .LBB286_620
.LBB286_618:
	s_lshl_b32 s4, s30, 3
	s_add_u32 s4, s48, s4
	s_addc_u32 s5, s49, 0
	s_add_u32 s4, s4, 0xc4
	s_addc_u32 s5, s5, 0
	s_mul_i32 s6, s30, 12
	s_add_u32 s6, s48, s6
	s_addc_u32 s7, s49, 0
.LBB286_619:                            ; =>This Inner Loop Header: Depth=1
	s_load_dwordx2 s[10:11], s[6:7], 0x4
	s_load_dword s9, s[6:7], 0xc
	s_load_dwordx2 s[12:13], s[4:5], 0x0
	s_add_u32 s6, s6, 12
	s_addc_u32 s7, s7, 0
	s_waitcnt lgkmcnt(0)
	v_mul_hi_u32 v1, s11, v0
	s_add_u32 s4, s4, 8
	s_addc_u32 s5, s5, 0
	s_add_i32 s8, s8, -1
	v_add_u32_e32 v1, v0, v1
	v_lshrrev_b32_e32 v1, s9, v1
	v_mul_lo_u32 v3, v1, s10
	s_cmp_lg_u32 s8, 0
	v_sub_u32_e32 v0, v0, v3
	v_mad_u64_u32 v[14:15], s[10:11], v0, s12, v[14:15]
	v_mad_u64_u32 v[12:13], s[10:11], v0, s13, v[12:13]
	v_mov_b32_e32 v0, v1
	s_cbranch_scc1 .LBB286_619
.LBB286_620:
	s_cbranch_execnz .LBB286_623
.LBB286_621:
	s_load_dwordx4 s[4:7], s[48:49], 0x4
	s_load_dwordx2 s[8:9], s[48:49], 0xc4
	s_cmp_lt_u32 s33, 2
	s_waitcnt lgkmcnt(0)
	v_mul_hi_u32 v0, s5, v2
	v_add_u32_e32 v0, v2, v0
	v_lshrrev_b32_e32 v0, s6, v0
	v_mul_lo_u32 v1, v0, s4
	v_sub_u32_e32 v1, v2, v1
	v_mul_lo_u32 v14, v1, s8
	v_mul_lo_u32 v12, v1, s9
	s_cbranch_scc1 .LBB286_623
; %bb.622:
	s_load_dwordx4 s[4:7], s[48:49], 0x10
	s_load_dwordx2 s[8:9], s[48:49], 0xcc
	s_waitcnt lgkmcnt(0)
	v_mul_hi_u32 v1, s5, v0
	v_add_u32_e32 v1, v0, v1
	v_lshrrev_b32_e32 v1, s6, v1
	v_mul_lo_u32 v1, v1, s4
	v_sub_u32_e32 v0, v0, v1
	v_mad_u64_u32 v[14:15], s[4:5], v0, s8, v[14:15]
	v_mad_u64_u32 v[12:13], s[4:5], v0, s9, v[12:13]
.LBB286_623:
	s_load_dword s4, s[28:29], 0x168
	s_load_dwordx2 s[46:47], s[48:49], 0x158
	s_load_dwordx4 s[40:43], s[48:49], 0x148
	s_getpc_b64 s[50:51]
	s_add_u32 s50, s50, _ZN2at6native6invokeINS0_13AUnaryFunctorIN3c1013Float8_e4m3fnES4_bNS0_12_GLOBAL__N_116CompareEqFunctorIS4_EEEEj15function_traitsIS8_EEENT1_11result_typeERKT_PrKPcPKT0_PKNS3_10ScalarTypeEi@rel32@lo+4
	s_addc_u32 s51, s51, _ZN2at6native6invokeINS0_13AUnaryFunctorIN3c1013Float8_e4m3fnES4_bNS0_12_GLOBAL__N_116CompareEqFunctorIS4_EEEEj15function_traitsIS8_EEENT1_11result_typeERKT_PrKPcPKT0_PKNS3_10ScalarTypeEi@rel32@hi+12
	s_waitcnt lgkmcnt(0)
	s_lshr_b32 s33, s4, 8
	v_mov_b32_e32 v0, s46
	v_mov_b32_e32 v1, s47
	v_mov_b32_e32 v2, s42
	v_mov_b32_e32 v3, s43
	v_mov_b32_e32 v5, s33
	s_swappc_b64 s[30:31], s[50:51]
	v_and_b32_e32 v0, 1, v0
	v_cmp_eq_u32_e64 s[36:37], 1, v0
	v_mov_b32_e32 v0, s46
	v_mov_b32_e32 v1, s47
	v_mov_b32_e32 v2, s42
	v_mov_b32_e32 v3, s43
	v_mov_b32_e32 v4, v10
	v_mov_b32_e32 v5, s33
	s_swappc_b64 s[30:31], s[50:51]
	v_and_b32_e32 v0, 1, v0
	v_cmp_eq_u32_e64 s[34:35], 1, v0
	v_mov_b32_e32 v0, s46
	;; [unrolled: 9-line block ×3, first 2 shown]
	v_mov_b32_e32 v1, s47
	v_mov_b32_e32 v2, s42
	;; [unrolled: 1-line block ×5, first 2 shown]
	s_swappc_b64 s[30:31], s[50:51]
	s_load_dword s4, s[48:49], 0x160
	v_and_b32_e32 v0, 1, v0
	v_cmp_eq_u32_e64 s[6:7], 1, v0
	v_mov_b32_e32 v1, s41
	v_add_co_u32_e32 v0, vcc, s40, v20
	s_waitcnt lgkmcnt(0)
	s_and_b32 s18, s4, 0xff
	s_cmp_lt_i32 s18, 11
	v_addc_co_u32_e32 v1, vcc, 0, v1, vcc
	s_cbranch_scc1 .LBB286_702
; %bb.624:
	s_and_b32 s16, 0xffff, s18
	s_mov_b64 s[8:9], -1
	s_mov_b64 s[10:11], 0
	s_cmp_gt_i32 s16, 25
	s_mov_b64 s[12:13], 0
	s_mov_b64 s[4:5], 0
	s_cbranch_scc0 .LBB286_657
; %bb.625:
	s_cmp_gt_i32 s16, 28
	s_cbranch_scc0 .LBB286_640
; %bb.626:
	s_cmp_gt_i32 s16, 43
	;; [unrolled: 3-line block ×3, first 2 shown]
	s_cbranch_scc0 .LBB286_630
; %bb.628:
	s_mov_b64 s[4:5], -1
	s_mov_b64 s[8:9], 0
	s_cmp_eq_u32 s16, 46
	s_cbranch_scc0 .LBB286_630
; %bb.629:
	v_cndmask_b32_e64 v2, 0, 1.0, s[36:37]
	v_bfe_u32 v3, v2, 16, 1
	s_movk_i32 s4, 0x7fff
	v_add3_u32 v2, v2, v3, s4
	v_lshrrev_b32_e32 v2, 16, v2
	global_store_dword v[0:1], v2, off
	s_mov_b64 s[4:5], 0
	s_mov_b64 s[12:13], -1
.LBB286_630:
	s_and_b64 vcc, exec, s[8:9]
	s_cbranch_vccz .LBB286_635
; %bb.631:
	s_cmp_eq_u32 s16, 44
	s_mov_b64 s[4:5], -1
	s_cbranch_scc0 .LBB286_635
; %bb.632:
	v_cndmask_b32_e64 v3, 0, 1.0, s[36:37]
	v_lshrrev_b32_e32 v2, 23, v3
	s_movk_i32 s4, 0xff
	v_cmp_ne_u32_e32 vcc, s4, v2
	v_mov_b32_e32 v4, 0xff
	s_and_saveexec_b64 s[8:9], vcc
; %bb.633:
	s_mov_b32 s4, 0x3fffff
	v_and_b32_e32 v4, 0x400000, v3
	v_and_or_b32 v3, v3, s4, v2
	v_cmp_ne_u32_e32 vcc, 0, v4
	v_cmp_ne_u32_e64 s[4:5], 0, v3
	s_and_b64 s[4:5], vcc, s[4:5]
	v_cndmask_b32_e64 v3, 0, 1, s[4:5]
	v_add_u32_e32 v4, v2, v3
; %bb.634:
	s_or_b64 exec, exec, s[8:9]
	s_mov_b64 s[4:5], 0
	s_mov_b64 s[12:13], -1
	global_store_byte v[0:1], v4, off
.LBB286_635:
	s_mov_b64 s[8:9], 0
.LBB286_636:
	s_and_b64 vcc, exec, s[8:9]
	s_cbranch_vccz .LBB286_639
; %bb.637:
	s_cmp_eq_u32 s16, 29
	s_mov_b64 s[4:5], -1
	s_cbranch_scc0 .LBB286_639
; %bb.638:
	s_mov_b32 s4, 0
	v_cndmask_b32_e64 v2, 0, 1, s[36:37]
	v_mov_b32_e32 v3, s4
	global_store_dwordx2 v[0:1], v[2:3], off
	s_mov_b64 s[4:5], 0
	s_mov_b64 s[12:13], -1
.LBB286_639:
	s_mov_b64 s[8:9], 0
.LBB286_640:
	s_and_b64 vcc, exec, s[8:9]
	s_cbranch_vccz .LBB286_656
; %bb.641:
	s_cmp_lt_i32 s16, 27
	s_mov_b64 s[8:9], -1
	s_cbranch_scc1 .LBB286_647
; %bb.642:
	s_cmp_gt_i32 s16, 27
	s_cbranch_scc0 .LBB286_644
; %bb.643:
	v_cndmask_b32_e64 v2, 0, 1, s[36:37]
	s_mov_b64 s[8:9], 0
	global_store_dword v[0:1], v2, off
.LBB286_644:
	s_andn2_b64 vcc, exec, s[8:9]
	s_cbranch_vccnz .LBB286_646
; %bb.645:
	v_cndmask_b32_e64 v2, 0, 1, s[36:37]
	global_store_short v[0:1], v2, off
.LBB286_646:
	s_mov_b64 s[8:9], 0
.LBB286_647:
	s_andn2_b64 vcc, exec, s[8:9]
	s_cbranch_vccnz .LBB286_655
; %bb.648:
	v_cndmask_b32_e64 v3, 0, 1.0, s[36:37]
	s_mov_b32 s8, 0x43800000
	v_cmp_gt_u32_e32 vcc, s8, v3
	v_mov_b32_e32 v4, 0x80
	s_and_saveexec_b64 s[8:9], vcc
	s_cbranch_execz .LBB286_654
; %bb.649:
	s_mov_b32 s12, 0x3bffffff
	v_cmp_lt_u32_e32 vcc, s12, v3
	s_mov_b64 s[12:13], 0
                                        ; implicit-def: $vgpr2
	s_and_saveexec_b64 s[14:15], vcc
	s_xor_b64 s[14:15], exec, s[14:15]
	s_cbranch_execz .LBB286_1099
; %bb.650:
	v_bfe_u32 v2, v3, 20, 1
	s_mov_b32 s17, 0x487ffff
	v_add3_u32 v2, v3, v2, s17
	s_mov_b64 s[12:13], exec
	v_lshrrev_b32_e32 v2, 20, v2
                                        ; implicit-def: $vgpr3
	s_andn2_saveexec_b64 s[14:15], s[14:15]
	s_cbranch_execnz .LBB286_1100
.LBB286_651:
	s_or_b64 exec, exec, s[14:15]
	v_mov_b32_e32 v4, 0
	s_and_saveexec_b64 s[14:15], s[12:13]
.LBB286_652:
	v_mov_b32_e32 v4, v2
.LBB286_653:
	s_or_b64 exec, exec, s[14:15]
.LBB286_654:
	s_or_b64 exec, exec, s[8:9]
	global_store_byte v[0:1], v4, off
.LBB286_655:
	s_mov_b64 s[12:13], -1
.LBB286_656:
	s_mov_b64 s[8:9], 0
.LBB286_657:
	s_and_b64 vcc, exec, s[8:9]
	s_cbranch_vccz .LBB286_697
; %bb.658:
	s_cmp_gt_i32 s16, 22
	s_mov_b64 s[8:9], -1
	s_cbranch_scc0 .LBB286_690
; %bb.659:
	s_cmp_lt_i32 s16, 24
	s_cbranch_scc1 .LBB286_679
; %bb.660:
	s_cmp_gt_i32 s16, 24
	s_cbranch_scc0 .LBB286_668
; %bb.661:
	v_cndmask_b32_e64 v3, 0, 1.0, s[36:37]
	s_mov_b32 s8, 0x47800000
	v_cmp_gt_u32_e32 vcc, s8, v3
	v_mov_b32_e32 v4, 0x80
	s_and_saveexec_b64 s[8:9], vcc
	s_cbranch_execz .LBB286_667
; %bb.662:
	s_mov_b32 s10, 0x37ffffff
	v_cmp_lt_u32_e32 vcc, s10, v3
	s_mov_b64 s[10:11], 0
                                        ; implicit-def: $vgpr2
	s_and_saveexec_b64 s[12:13], vcc
	s_xor_b64 s[12:13], exec, s[12:13]
	s_cbranch_execz .LBB286_1102
; %bb.663:
	v_bfe_u32 v2, v3, 21, 1
	s_mov_b32 s14, 0x88fffff
	v_add3_u32 v2, v3, v2, s14
	s_mov_b64 s[10:11], exec
	v_lshrrev_b32_e32 v2, 21, v2
                                        ; implicit-def: $vgpr3
	s_andn2_saveexec_b64 s[12:13], s[12:13]
	s_cbranch_execnz .LBB286_1103
.LBB286_664:
	s_or_b64 exec, exec, s[12:13]
	v_mov_b32_e32 v4, 0
	s_and_saveexec_b64 s[12:13], s[10:11]
.LBB286_665:
	v_mov_b32_e32 v4, v2
.LBB286_666:
	s_or_b64 exec, exec, s[12:13]
.LBB286_667:
	s_or_b64 exec, exec, s[8:9]
	s_mov_b64 s[8:9], 0
	global_store_byte v[0:1], v4, off
.LBB286_668:
	s_and_b64 vcc, exec, s[8:9]
	s_cbranch_vccz .LBB286_678
; %bb.669:
	v_cndmask_b32_e64 v2, 0, 1.0, s[36:37]
	s_mov_b32 s8, 0x43f00000
	v_cmp_gt_u32_e32 vcc, s8, v2
                                        ; implicit-def: $vgpr3
	s_and_saveexec_b64 s[8:9], vcc
	s_xor_b64 s[8:9], exec, s[8:9]
	s_cbranch_execz .LBB286_675
; %bb.670:
	s_mov_b32 s10, 0x3c7fffff
	v_cmp_lt_u32_e32 vcc, s10, v2
                                        ; implicit-def: $vgpr3
	s_and_saveexec_b64 s[10:11], vcc
	s_xor_b64 s[10:11], exec, s[10:11]
; %bb.671:
	v_bfe_u32 v3, v2, 20, 1
	s_mov_b32 s12, 0x407ffff
	v_add3_u32 v2, v2, v3, s12
	v_lshrrev_b32_e32 v3, 20, v2
	v_and_b32_e32 v2, 0xff00000, v2
	s_mov_b32 s12, 0x7f00000
	v_mov_b32_e32 v4, 0x7e
	v_cmp_ne_u32_e32 vcc, s12, v2
	v_cndmask_b32_e32 v3, v4, v3, vcc
                                        ; implicit-def: $vgpr2
; %bb.672:
	s_andn2_saveexec_b64 s[10:11], s[10:11]
; %bb.673:
	v_add_f32_e32 v3, 0x46800000, v2
; %bb.674:
	s_or_b64 exec, exec, s[10:11]
                                        ; implicit-def: $vgpr2
.LBB286_675:
	s_andn2_saveexec_b64 s[8:9], s[8:9]
; %bb.676:
	s_mov_b32 s10, 0x7f800000
	v_mov_b32_e32 v3, 0x7e
	v_mov_b32_e32 v4, 0x7f
	v_cmp_lt_u32_e32 vcc, s10, v2
	v_cndmask_b32_e32 v3, v3, v4, vcc
; %bb.677:
	s_or_b64 exec, exec, s[8:9]
	global_store_byte v[0:1], v3, off
.LBB286_678:
	s_mov_b64 s[8:9], 0
.LBB286_679:
	s_andn2_b64 vcc, exec, s[8:9]
	s_cbranch_vccnz .LBB286_689
; %bb.680:
	v_cndmask_b32_e64 v2, 0, 1.0, s[36:37]
	s_mov_b32 s8, 0x47800000
	v_cmp_gt_u32_e32 vcc, s8, v2
                                        ; implicit-def: $vgpr3
	s_and_saveexec_b64 s[8:9], vcc
	s_xor_b64 s[8:9], exec, s[8:9]
	s_cbranch_execz .LBB286_686
; %bb.681:
	s_mov_b32 s10, 0x387fffff
	v_cmp_lt_u32_e32 vcc, s10, v2
                                        ; implicit-def: $vgpr3
	s_and_saveexec_b64 s[10:11], vcc
	s_xor_b64 s[10:11], exec, s[10:11]
; %bb.682:
	v_bfe_u32 v3, v2, 21, 1
	s_mov_b32 s12, 0x80fffff
	v_add3_u32 v2, v2, v3, s12
	v_lshrrev_b32_e32 v3, 21, v2
                                        ; implicit-def: $vgpr2
; %bb.683:
	s_andn2_saveexec_b64 s[10:11], s[10:11]
; %bb.684:
	v_add_f32_e32 v3, 0x43000000, v2
; %bb.685:
	s_or_b64 exec, exec, s[10:11]
                                        ; implicit-def: $vgpr2
.LBB286_686:
	s_andn2_saveexec_b64 s[8:9], s[8:9]
; %bb.687:
	s_mov_b32 s10, 0x7f800000
	v_mov_b32_e32 v3, 0x7c
	v_mov_b32_e32 v4, 0x7f
	v_cmp_lt_u32_e32 vcc, s10, v2
	v_cndmask_b32_e32 v3, v3, v4, vcc
; %bb.688:
	s_or_b64 exec, exec, s[8:9]
	global_store_byte v[0:1], v3, off
.LBB286_689:
	s_mov_b64 s[8:9], 0
	s_mov_b64 s[12:13], -1
.LBB286_690:
	s_andn2_b64 vcc, exec, s[8:9]
	s_mov_b64 s[10:11], 0
	s_cbranch_vccnz .LBB286_697
; %bb.691:
	s_cmp_gt_i32 s16, 14
	s_mov_b64 s[8:9], -1
	s_cbranch_scc0 .LBB286_695
; %bb.692:
	s_cmp_eq_u32 s16, 15
	s_mov_b64 s[4:5], -1
	s_cbranch_scc0 .LBB286_694
; %bb.693:
	v_cndmask_b32_e64 v2, 0, 1.0, s[36:37]
	v_bfe_u32 v3, v2, 16, 1
	s_movk_i32 s4, 0x7fff
	v_add3_u32 v2, v2, v3, s4
	global_store_short_d16_hi v[0:1], v2, off
	s_mov_b64 s[4:5], 0
	s_mov_b64 s[12:13], -1
.LBB286_694:
	s_mov_b64 s[8:9], 0
.LBB286_695:
	s_and_b64 vcc, exec, s[8:9]
	s_cbranch_vccz .LBB286_697
; %bb.696:
	s_cmp_lg_u32 s16, 11
	s_mov_b64 s[10:11], -1
	s_cselect_b64 s[4:5], -1, 0
.LBB286_697:
	s_and_b64 vcc, exec, s[4:5]
	s_mov_b64 s[8:9], s[38:39]
	s_cbranch_vccnz .LBB286_1101
; %bb.698:
	s_andn2_b64 vcc, exec, s[10:11]
	s_cbranch_vccnz .LBB286_700
.LBB286_699:
	v_cndmask_b32_e64 v2, 0, 1, s[36:37]
	global_store_byte v[0:1], v2, off
	s_mov_b64 s[12:13], -1
.LBB286_700:
.LBB286_701:
	s_andn2_b64 vcc, exec, s[12:13]
	s_cbranch_vccz .LBB286_741
	s_branch .LBB286_1053
.LBB286_702:
	s_mov_b64 s[12:13], 0
	s_mov_b64 s[8:9], s[38:39]
	s_cbranch_execz .LBB286_701
; %bb.703:
	s_and_b32 s10, 0xffff, s18
	s_cmp_lt_i32 s10, 5
	s_mov_b64 s[4:5], -1
	s_cbranch_scc1 .LBB286_724
; %bb.704:
	s_cmp_lt_i32 s10, 8
	s_cbranch_scc1 .LBB286_714
; %bb.705:
	s_cmp_lt_i32 s10, 9
	s_cbranch_scc1 .LBB286_711
; %bb.706:
	s_cmp_gt_i32 s10, 9
	s_cbranch_scc0 .LBB286_708
; %bb.707:
	v_cndmask_b32_e64 v2, 0, 1, s[36:37]
	v_cvt_f64_u32_e32 v[2:3], v2
	v_mov_b32_e32 v4, 0
	v_mov_b32_e32 v5, v4
	s_mov_b64 s[4:5], 0
	global_store_dwordx4 v[0:1], v[2:5], off
.LBB286_708:
	s_andn2_b64 vcc, exec, s[4:5]
	s_cbranch_vccnz .LBB286_710
; %bb.709:
	v_cndmask_b32_e64 v2, 0, 1.0, s[36:37]
	v_mov_b32_e32 v3, 0
	global_store_dwordx2 v[0:1], v[2:3], off
.LBB286_710:
	s_mov_b64 s[4:5], 0
.LBB286_711:
	s_andn2_b64 vcc, exec, s[4:5]
	s_cbranch_vccnz .LBB286_713
; %bb.712:
	v_cndmask_b32_e64 v2, 0, 1.0, s[36:37]
	v_cvt_f16_f32_e32 v2, v2
	global_store_dword v[0:1], v2, off
.LBB286_713:
	s_mov_b64 s[4:5], 0
.LBB286_714:
	s_andn2_b64 vcc, exec, s[4:5]
	s_cbranch_vccnz .LBB286_723
; %bb.715:
	s_cmp_lt_i32 s10, 6
	s_mov_b64 s[4:5], -1
	s_cbranch_scc1 .LBB286_721
; %bb.716:
	s_cmp_gt_i32 s10, 6
	s_cbranch_scc0 .LBB286_718
; %bb.717:
	v_cndmask_b32_e64 v2, 0, 1, s[36:37]
	v_cvt_f64_u32_e32 v[2:3], v2
	s_mov_b64 s[4:5], 0
	global_store_dwordx2 v[0:1], v[2:3], off
.LBB286_718:
	s_andn2_b64 vcc, exec, s[4:5]
	s_cbranch_vccnz .LBB286_720
; %bb.719:
	v_cndmask_b32_e64 v2, 0, 1.0, s[36:37]
	global_store_dword v[0:1], v2, off
.LBB286_720:
	s_mov_b64 s[4:5], 0
.LBB286_721:
	s_andn2_b64 vcc, exec, s[4:5]
	s_cbranch_vccnz .LBB286_723
; %bb.722:
	v_cndmask_b32_e64 v2, 0, 1.0, s[36:37]
	v_cvt_f16_f32_e32 v2, v2
	global_store_short v[0:1], v2, off
.LBB286_723:
	s_mov_b64 s[4:5], 0
.LBB286_724:
	s_andn2_b64 vcc, exec, s[4:5]
	s_cbranch_vccnz .LBB286_740
; %bb.725:
	s_cmp_lt_i32 s10, 2
	s_mov_b64 s[4:5], -1
	s_cbranch_scc1 .LBB286_735
; %bb.726:
	s_cmp_lt_i32 s10, 3
	s_cbranch_scc1 .LBB286_732
; %bb.727:
	s_cmp_gt_i32 s10, 3
	s_cbranch_scc0 .LBB286_729
; %bb.728:
	s_mov_b32 s4, 0
	v_cndmask_b32_e64 v2, 0, 1, s[36:37]
	v_mov_b32_e32 v3, s4
	global_store_dwordx2 v[0:1], v[2:3], off
	s_mov_b64 s[4:5], 0
.LBB286_729:
	s_andn2_b64 vcc, exec, s[4:5]
	s_cbranch_vccnz .LBB286_731
; %bb.730:
	v_cndmask_b32_e64 v2, 0, 1, s[36:37]
	global_store_dword v[0:1], v2, off
.LBB286_731:
	s_mov_b64 s[4:5], 0
.LBB286_732:
	s_andn2_b64 vcc, exec, s[4:5]
	s_cbranch_vccnz .LBB286_734
; %bb.733:
	v_cndmask_b32_e64 v2, 0, 1, s[36:37]
	global_store_short v[0:1], v2, off
.LBB286_734:
	s_mov_b64 s[4:5], 0
.LBB286_735:
	s_andn2_b64 vcc, exec, s[4:5]
	s_cbranch_vccnz .LBB286_740
; %bb.736:
	s_cmp_gt_i32 s10, 0
	s_mov_b64 s[4:5], -1
	s_cbranch_scc0 .LBB286_738
; %bb.737:
	v_cndmask_b32_e64 v2, 0, 1, s[36:37]
	global_store_byte v[0:1], v2, off
	s_mov_b64 s[4:5], 0
.LBB286_738:
	s_andn2_b64 vcc, exec, s[4:5]
	s_cbranch_vccnz .LBB286_740
; %bb.739:
	v_cndmask_b32_e64 v2, 0, 1, s[36:37]
	global_store_byte v[0:1], v2, off
.LBB286_740:
.LBB286_741:
	v_mov_b32_e32 v1, s41
	s_and_b32 s19, 0xffff, s18
	v_add_co_u32_e32 v0, vcc, s40, v18
	s_cmp_lt_i32 s19, 11
	v_addc_co_u32_e32 v1, vcc, 0, v1, vcc
	s_cbranch_scc1 .LBB286_820
; %bb.742:
	s_mov_b64 s[14:15], -1
	s_mov_b64 s[10:11], 0
	s_cmp_gt_i32 s19, 25
	s_mov_b64 s[12:13], 0
	s_mov_b64 s[4:5], 0
	s_cbranch_scc0 .LBB286_775
; %bb.743:
	s_cmp_gt_i32 s19, 28
	s_cbranch_scc0 .LBB286_758
; %bb.744:
	s_cmp_gt_i32 s19, 43
	;; [unrolled: 3-line block ×3, first 2 shown]
	s_cbranch_scc0 .LBB286_748
; %bb.746:
	s_mov_b64 s[4:5], -1
	s_mov_b64 s[14:15], 0
	s_cmp_eq_u32 s19, 46
	s_cbranch_scc0 .LBB286_748
; %bb.747:
	v_cndmask_b32_e64 v2, 0, 1.0, s[34:35]
	v_bfe_u32 v3, v2, 16, 1
	s_movk_i32 s4, 0x7fff
	v_add3_u32 v2, v2, v3, s4
	v_lshrrev_b32_e32 v2, 16, v2
	global_store_dword v[0:1], v2, off
	s_mov_b64 s[4:5], 0
	s_mov_b64 s[12:13], -1
.LBB286_748:
	s_and_b64 vcc, exec, s[14:15]
	s_cbranch_vccz .LBB286_753
; %bb.749:
	s_cmp_eq_u32 s19, 44
	s_mov_b64 s[4:5], -1
	s_cbranch_scc0 .LBB286_753
; %bb.750:
	v_cndmask_b32_e64 v3, 0, 1.0, s[34:35]
	v_lshrrev_b32_e32 v2, 23, v3
	s_movk_i32 s4, 0xff
	v_cmp_ne_u32_e32 vcc, s4, v2
	v_mov_b32_e32 v4, 0xff
	s_and_saveexec_b64 s[12:13], vcc
; %bb.751:
	s_mov_b32 s4, 0x3fffff
	v_and_b32_e32 v4, 0x400000, v3
	v_and_or_b32 v3, v3, s4, v2
	v_cmp_ne_u32_e32 vcc, 0, v4
	v_cmp_ne_u32_e64 s[4:5], 0, v3
	s_and_b64 s[4:5], vcc, s[4:5]
	v_cndmask_b32_e64 v3, 0, 1, s[4:5]
	v_add_u32_e32 v4, v2, v3
; %bb.752:
	s_or_b64 exec, exec, s[12:13]
	s_mov_b64 s[4:5], 0
	s_mov_b64 s[12:13], -1
	global_store_byte v[0:1], v4, off
.LBB286_753:
	s_mov_b64 s[14:15], 0
.LBB286_754:
	s_and_b64 vcc, exec, s[14:15]
	s_cbranch_vccz .LBB286_757
; %bb.755:
	s_cmp_eq_u32 s19, 29
	s_mov_b64 s[4:5], -1
	s_cbranch_scc0 .LBB286_757
; %bb.756:
	s_mov_b32 s4, 0
	v_cndmask_b32_e64 v2, 0, 1, s[34:35]
	v_mov_b32_e32 v3, s4
	global_store_dwordx2 v[0:1], v[2:3], off
	s_mov_b64 s[4:5], 0
	s_mov_b64 s[12:13], -1
.LBB286_757:
	s_mov_b64 s[14:15], 0
.LBB286_758:
	s_and_b64 vcc, exec, s[14:15]
	s_cbranch_vccz .LBB286_774
; %bb.759:
	s_cmp_lt_i32 s19, 27
	s_mov_b64 s[12:13], -1
	s_cbranch_scc1 .LBB286_765
; %bb.760:
	s_cmp_gt_i32 s19, 27
	s_cbranch_scc0 .LBB286_762
; %bb.761:
	v_cndmask_b32_e64 v2, 0, 1, s[34:35]
	s_mov_b64 s[12:13], 0
	global_store_dword v[0:1], v2, off
.LBB286_762:
	s_andn2_b64 vcc, exec, s[12:13]
	s_cbranch_vccnz .LBB286_764
; %bb.763:
	v_cndmask_b32_e64 v2, 0, 1, s[34:35]
	global_store_short v[0:1], v2, off
.LBB286_764:
	s_mov_b64 s[12:13], 0
.LBB286_765:
	s_andn2_b64 vcc, exec, s[12:13]
	s_cbranch_vccnz .LBB286_773
; %bb.766:
	v_cndmask_b32_e64 v3, 0, 1.0, s[34:35]
	s_mov_b32 s12, 0x43800000
	v_cmp_gt_u32_e32 vcc, s12, v3
	v_mov_b32_e32 v4, 0x80
	s_and_saveexec_b64 s[12:13], vcc
	s_cbranch_execz .LBB286_772
; %bb.767:
	s_mov_b32 s14, 0x3bffffff
	v_cmp_lt_u32_e32 vcc, s14, v3
	s_mov_b64 s[14:15], 0
                                        ; implicit-def: $vgpr2
	s_and_saveexec_b64 s[16:17], vcc
	s_xor_b64 s[16:17], exec, s[16:17]
	s_cbranch_execz .LBB286_1104
; %bb.768:
	v_bfe_u32 v2, v3, 20, 1
	s_mov_b32 s20, 0x487ffff
	v_add3_u32 v2, v3, v2, s20
	s_mov_b64 s[14:15], exec
	v_lshrrev_b32_e32 v2, 20, v2
                                        ; implicit-def: $vgpr3
	s_andn2_saveexec_b64 s[16:17], s[16:17]
	s_cbranch_execnz .LBB286_1105
.LBB286_769:
	s_or_b64 exec, exec, s[16:17]
	v_mov_b32_e32 v4, 0
	s_and_saveexec_b64 s[16:17], s[14:15]
.LBB286_770:
	v_mov_b32_e32 v4, v2
.LBB286_771:
	s_or_b64 exec, exec, s[16:17]
.LBB286_772:
	s_or_b64 exec, exec, s[12:13]
	global_store_byte v[0:1], v4, off
.LBB286_773:
	s_mov_b64 s[12:13], -1
.LBB286_774:
	s_mov_b64 s[14:15], 0
.LBB286_775:
	s_and_b64 vcc, exec, s[14:15]
	s_cbranch_vccz .LBB286_815
; %bb.776:
	s_cmp_gt_i32 s19, 22
	s_mov_b64 s[10:11], -1
	s_cbranch_scc0 .LBB286_808
; %bb.777:
	s_cmp_lt_i32 s19, 24
	s_cbranch_scc1 .LBB286_797
; %bb.778:
	s_cmp_gt_i32 s19, 24
	s_cbranch_scc0 .LBB286_786
; %bb.779:
	v_cndmask_b32_e64 v3, 0, 1.0, s[34:35]
	s_mov_b32 s10, 0x47800000
	v_cmp_gt_u32_e32 vcc, s10, v3
	v_mov_b32_e32 v4, 0x80
	s_and_saveexec_b64 s[10:11], vcc
	s_cbranch_execz .LBB286_785
; %bb.780:
	s_mov_b32 s12, 0x37ffffff
	v_cmp_lt_u32_e32 vcc, s12, v3
	s_mov_b64 s[12:13], 0
                                        ; implicit-def: $vgpr2
	s_and_saveexec_b64 s[14:15], vcc
	s_xor_b64 s[14:15], exec, s[14:15]
	s_cbranch_execz .LBB286_1107
; %bb.781:
	v_bfe_u32 v2, v3, 21, 1
	s_mov_b32 s16, 0x88fffff
	v_add3_u32 v2, v3, v2, s16
	s_mov_b64 s[12:13], exec
	v_lshrrev_b32_e32 v2, 21, v2
                                        ; implicit-def: $vgpr3
	s_andn2_saveexec_b64 s[14:15], s[14:15]
	s_cbranch_execnz .LBB286_1108
.LBB286_782:
	s_or_b64 exec, exec, s[14:15]
	v_mov_b32_e32 v4, 0
	s_and_saveexec_b64 s[14:15], s[12:13]
.LBB286_783:
	v_mov_b32_e32 v4, v2
.LBB286_784:
	s_or_b64 exec, exec, s[14:15]
.LBB286_785:
	s_or_b64 exec, exec, s[10:11]
	s_mov_b64 s[10:11], 0
	global_store_byte v[0:1], v4, off
.LBB286_786:
	s_and_b64 vcc, exec, s[10:11]
	s_cbranch_vccz .LBB286_796
; %bb.787:
	v_cndmask_b32_e64 v2, 0, 1.0, s[34:35]
	s_mov_b32 s10, 0x43f00000
	v_cmp_gt_u32_e32 vcc, s10, v2
                                        ; implicit-def: $vgpr3
	s_and_saveexec_b64 s[10:11], vcc
	s_xor_b64 s[10:11], exec, s[10:11]
	s_cbranch_execz .LBB286_793
; %bb.788:
	s_mov_b32 s12, 0x3c7fffff
	v_cmp_lt_u32_e32 vcc, s12, v2
                                        ; implicit-def: $vgpr3
	s_and_saveexec_b64 s[12:13], vcc
	s_xor_b64 s[12:13], exec, s[12:13]
; %bb.789:
	v_bfe_u32 v3, v2, 20, 1
	s_mov_b32 s14, 0x407ffff
	v_add3_u32 v2, v2, v3, s14
	v_lshrrev_b32_e32 v3, 20, v2
	v_and_b32_e32 v2, 0xff00000, v2
	s_mov_b32 s14, 0x7f00000
	v_mov_b32_e32 v4, 0x7e
	v_cmp_ne_u32_e32 vcc, s14, v2
	v_cndmask_b32_e32 v3, v4, v3, vcc
                                        ; implicit-def: $vgpr2
; %bb.790:
	s_andn2_saveexec_b64 s[12:13], s[12:13]
; %bb.791:
	v_add_f32_e32 v3, 0x46800000, v2
; %bb.792:
	s_or_b64 exec, exec, s[12:13]
                                        ; implicit-def: $vgpr2
.LBB286_793:
	s_andn2_saveexec_b64 s[10:11], s[10:11]
; %bb.794:
	s_mov_b32 s12, 0x7f800000
	v_mov_b32_e32 v3, 0x7e
	v_mov_b32_e32 v4, 0x7f
	v_cmp_lt_u32_e32 vcc, s12, v2
	v_cndmask_b32_e32 v3, v3, v4, vcc
; %bb.795:
	s_or_b64 exec, exec, s[10:11]
	global_store_byte v[0:1], v3, off
.LBB286_796:
	s_mov_b64 s[10:11], 0
.LBB286_797:
	s_andn2_b64 vcc, exec, s[10:11]
	s_cbranch_vccnz .LBB286_807
; %bb.798:
	v_cndmask_b32_e64 v2, 0, 1.0, s[34:35]
	s_mov_b32 s10, 0x47800000
	v_cmp_gt_u32_e32 vcc, s10, v2
                                        ; implicit-def: $vgpr3
	s_and_saveexec_b64 s[10:11], vcc
	s_xor_b64 s[10:11], exec, s[10:11]
	s_cbranch_execz .LBB286_804
; %bb.799:
	s_mov_b32 s12, 0x387fffff
	v_cmp_lt_u32_e32 vcc, s12, v2
                                        ; implicit-def: $vgpr3
	s_and_saveexec_b64 s[12:13], vcc
	s_xor_b64 s[12:13], exec, s[12:13]
; %bb.800:
	v_bfe_u32 v3, v2, 21, 1
	s_mov_b32 s14, 0x80fffff
	v_add3_u32 v2, v2, v3, s14
	v_lshrrev_b32_e32 v3, 21, v2
                                        ; implicit-def: $vgpr2
; %bb.801:
	s_andn2_saveexec_b64 s[12:13], s[12:13]
; %bb.802:
	v_add_f32_e32 v3, 0x43000000, v2
; %bb.803:
	s_or_b64 exec, exec, s[12:13]
                                        ; implicit-def: $vgpr2
.LBB286_804:
	s_andn2_saveexec_b64 s[10:11], s[10:11]
; %bb.805:
	s_mov_b32 s12, 0x7f800000
	v_mov_b32_e32 v3, 0x7c
	v_mov_b32_e32 v4, 0x7f
	v_cmp_lt_u32_e32 vcc, s12, v2
	v_cndmask_b32_e32 v3, v3, v4, vcc
; %bb.806:
	s_or_b64 exec, exec, s[10:11]
	global_store_byte v[0:1], v3, off
.LBB286_807:
	s_mov_b64 s[10:11], 0
	s_mov_b64 s[12:13], -1
.LBB286_808:
	s_andn2_b64 vcc, exec, s[10:11]
	s_mov_b64 s[10:11], 0
	s_cbranch_vccnz .LBB286_815
; %bb.809:
	s_cmp_gt_i32 s19, 14
	s_mov_b64 s[14:15], -1
	s_cbranch_scc0 .LBB286_813
; %bb.810:
	s_cmp_eq_u32 s19, 15
	s_mov_b64 s[4:5], -1
	s_cbranch_scc0 .LBB286_812
; %bb.811:
	v_cndmask_b32_e64 v2, 0, 1.0, s[34:35]
	v_bfe_u32 v3, v2, 16, 1
	s_movk_i32 s4, 0x7fff
	v_add3_u32 v2, v2, v3, s4
	global_store_short_d16_hi v[0:1], v2, off
	s_mov_b64 s[4:5], 0
	s_mov_b64 s[12:13], -1
.LBB286_812:
	s_mov_b64 s[14:15], 0
.LBB286_813:
	s_and_b64 vcc, exec, s[14:15]
	s_cbranch_vccz .LBB286_815
; %bb.814:
	s_cmp_lg_u32 s19, 11
	s_mov_b64 s[10:11], -1
	s_cselect_b64 s[4:5], -1, 0
.LBB286_815:
	s_and_b64 vcc, exec, s[4:5]
	s_cbranch_vccnz .LBB286_1106
; %bb.816:
	s_andn2_b64 vcc, exec, s[10:11]
	s_cbranch_vccnz .LBB286_818
.LBB286_817:
	v_cndmask_b32_e64 v2, 0, 1, s[34:35]
	s_mov_b64 s[12:13], -1
	global_store_byte v[0:1], v2, off
.LBB286_818:
.LBB286_819:
	s_andn2_b64 vcc, exec, s[12:13]
	s_cbranch_vccz .LBB286_859
	s_branch .LBB286_1053
.LBB286_820:
	s_mov_b64 s[12:13], 0
	s_cbranch_execz .LBB286_819
; %bb.821:
	s_cmp_lt_i32 s19, 5
	s_mov_b64 s[4:5], -1
	s_cbranch_scc1 .LBB286_842
; %bb.822:
	s_cmp_lt_i32 s19, 8
	s_cbranch_scc1 .LBB286_832
; %bb.823:
	s_cmp_lt_i32 s19, 9
	s_cbranch_scc1 .LBB286_829
; %bb.824:
	s_cmp_gt_i32 s19, 9
	s_cbranch_scc0 .LBB286_826
; %bb.825:
	v_cndmask_b32_e64 v2, 0, 1, s[34:35]
	v_cvt_f64_u32_e32 v[2:3], v2
	v_mov_b32_e32 v4, 0
	v_mov_b32_e32 v5, v4
	s_mov_b64 s[4:5], 0
	global_store_dwordx4 v[0:1], v[2:5], off
.LBB286_826:
	s_andn2_b64 vcc, exec, s[4:5]
	s_cbranch_vccnz .LBB286_828
; %bb.827:
	v_cndmask_b32_e64 v2, 0, 1.0, s[34:35]
	v_mov_b32_e32 v3, 0
	global_store_dwordx2 v[0:1], v[2:3], off
.LBB286_828:
	s_mov_b64 s[4:5], 0
.LBB286_829:
	s_andn2_b64 vcc, exec, s[4:5]
	s_cbranch_vccnz .LBB286_831
; %bb.830:
	v_cndmask_b32_e64 v2, 0, 1.0, s[34:35]
	v_cvt_f16_f32_e32 v2, v2
	global_store_dword v[0:1], v2, off
.LBB286_831:
	s_mov_b64 s[4:5], 0
.LBB286_832:
	s_andn2_b64 vcc, exec, s[4:5]
	s_cbranch_vccnz .LBB286_841
; %bb.833:
	s_cmp_lt_i32 s19, 6
	s_mov_b64 s[4:5], -1
	s_cbranch_scc1 .LBB286_839
; %bb.834:
	s_cmp_gt_i32 s19, 6
	s_cbranch_scc0 .LBB286_836
; %bb.835:
	v_cndmask_b32_e64 v2, 0, 1, s[34:35]
	v_cvt_f64_u32_e32 v[2:3], v2
	s_mov_b64 s[4:5], 0
	global_store_dwordx2 v[0:1], v[2:3], off
.LBB286_836:
	s_andn2_b64 vcc, exec, s[4:5]
	s_cbranch_vccnz .LBB286_838
; %bb.837:
	v_cndmask_b32_e64 v2, 0, 1.0, s[34:35]
	global_store_dword v[0:1], v2, off
.LBB286_838:
	s_mov_b64 s[4:5], 0
.LBB286_839:
	s_andn2_b64 vcc, exec, s[4:5]
	s_cbranch_vccnz .LBB286_841
; %bb.840:
	v_cndmask_b32_e64 v2, 0, 1.0, s[34:35]
	v_cvt_f16_f32_e32 v2, v2
	global_store_short v[0:1], v2, off
.LBB286_841:
	s_mov_b64 s[4:5], 0
.LBB286_842:
	s_andn2_b64 vcc, exec, s[4:5]
	s_cbranch_vccnz .LBB286_858
; %bb.843:
	s_cmp_lt_i32 s19, 2
	s_mov_b64 s[4:5], -1
	s_cbranch_scc1 .LBB286_853
; %bb.844:
	s_cmp_lt_i32 s19, 3
	s_cbranch_scc1 .LBB286_850
; %bb.845:
	s_cmp_gt_i32 s19, 3
	s_cbranch_scc0 .LBB286_847
; %bb.846:
	s_mov_b32 s4, 0
	v_cndmask_b32_e64 v2, 0, 1, s[34:35]
	v_mov_b32_e32 v3, s4
	global_store_dwordx2 v[0:1], v[2:3], off
	s_mov_b64 s[4:5], 0
.LBB286_847:
	s_andn2_b64 vcc, exec, s[4:5]
	s_cbranch_vccnz .LBB286_849
; %bb.848:
	v_cndmask_b32_e64 v2, 0, 1, s[34:35]
	global_store_dword v[0:1], v2, off
.LBB286_849:
	s_mov_b64 s[4:5], 0
.LBB286_850:
	s_andn2_b64 vcc, exec, s[4:5]
	s_cbranch_vccnz .LBB286_852
; %bb.851:
	v_cndmask_b32_e64 v2, 0, 1, s[34:35]
	global_store_short v[0:1], v2, off
.LBB286_852:
	s_mov_b64 s[4:5], 0
.LBB286_853:
	s_andn2_b64 vcc, exec, s[4:5]
	s_cbranch_vccnz .LBB286_858
; %bb.854:
	s_cmp_gt_i32 s19, 0
	s_mov_b64 s[4:5], -1
	s_cbranch_scc0 .LBB286_856
; %bb.855:
	v_cndmask_b32_e64 v2, 0, 1, s[34:35]
	global_store_byte v[0:1], v2, off
	s_mov_b64 s[4:5], 0
.LBB286_856:
	s_andn2_b64 vcc, exec, s[4:5]
	s_cbranch_vccnz .LBB286_858
; %bb.857:
	v_cndmask_b32_e64 v2, 0, 1, s[34:35]
	global_store_byte v[0:1], v2, off
.LBB286_858:
.LBB286_859:
	v_mov_b32_e32 v1, s41
	v_add_co_u32_e32 v0, vcc, s40, v16
	s_cmp_lt_i32 s19, 11
	v_addc_co_u32_e32 v1, vcc, 0, v1, vcc
	s_cbranch_scc1 .LBB286_1014
; %bb.860:
	s_mov_b64 s[14:15], -1
	s_mov_b64 s[10:11], 0
	s_cmp_gt_i32 s19, 25
	s_mov_b64 s[12:13], 0
	s_mov_b64 s[4:5], 0
	s_cbranch_scc0 .LBB286_893
; %bb.861:
	s_cmp_gt_i32 s19, 28
	s_cbranch_scc0 .LBB286_876
; %bb.862:
	s_cmp_gt_i32 s19, 43
	;; [unrolled: 3-line block ×3, first 2 shown]
	s_cbranch_scc0 .LBB286_866
; %bb.864:
	s_mov_b64 s[4:5], -1
	s_mov_b64 s[14:15], 0
	s_cmp_eq_u32 s19, 46
	s_cbranch_scc0 .LBB286_866
; %bb.865:
	v_cndmask_b32_e64 v2, 0, 1.0, s[28:29]
	v_bfe_u32 v3, v2, 16, 1
	s_movk_i32 s4, 0x7fff
	v_add3_u32 v2, v2, v3, s4
	v_lshrrev_b32_e32 v2, 16, v2
	global_store_dword v[0:1], v2, off
	s_mov_b64 s[4:5], 0
	s_mov_b64 s[12:13], -1
.LBB286_866:
	s_and_b64 vcc, exec, s[14:15]
	s_cbranch_vccz .LBB286_871
; %bb.867:
	s_cmp_eq_u32 s19, 44
	s_mov_b64 s[4:5], -1
	s_cbranch_scc0 .LBB286_871
; %bb.868:
	v_cndmask_b32_e64 v3, 0, 1.0, s[28:29]
	v_lshrrev_b32_e32 v2, 23, v3
	s_movk_i32 s4, 0xff
	v_cmp_ne_u32_e32 vcc, s4, v2
	v_mov_b32_e32 v4, 0xff
	s_and_saveexec_b64 s[12:13], vcc
; %bb.869:
	s_mov_b32 s4, 0x3fffff
	v_and_b32_e32 v4, 0x400000, v3
	v_and_or_b32 v3, v3, s4, v2
	v_cmp_ne_u32_e32 vcc, 0, v4
	v_cmp_ne_u32_e64 s[4:5], 0, v3
	s_and_b64 s[4:5], vcc, s[4:5]
	v_cndmask_b32_e64 v3, 0, 1, s[4:5]
	v_add_u32_e32 v4, v2, v3
; %bb.870:
	s_or_b64 exec, exec, s[12:13]
	s_mov_b64 s[4:5], 0
	s_mov_b64 s[12:13], -1
	global_store_byte v[0:1], v4, off
.LBB286_871:
	s_mov_b64 s[14:15], 0
.LBB286_872:
	s_and_b64 vcc, exec, s[14:15]
	s_cbranch_vccz .LBB286_875
; %bb.873:
	s_cmp_eq_u32 s19, 29
	s_mov_b64 s[4:5], -1
	s_cbranch_scc0 .LBB286_875
; %bb.874:
	s_mov_b32 s4, 0
	v_cndmask_b32_e64 v2, 0, 1, s[28:29]
	v_mov_b32_e32 v3, s4
	global_store_dwordx2 v[0:1], v[2:3], off
	s_mov_b64 s[4:5], 0
	s_mov_b64 s[12:13], -1
.LBB286_875:
	s_mov_b64 s[14:15], 0
.LBB286_876:
	s_and_b64 vcc, exec, s[14:15]
	s_cbranch_vccz .LBB286_892
; %bb.877:
	s_cmp_lt_i32 s19, 27
	s_mov_b64 s[12:13], -1
	s_cbranch_scc1 .LBB286_883
; %bb.878:
	s_cmp_gt_i32 s19, 27
	s_cbranch_scc0 .LBB286_880
; %bb.879:
	v_cndmask_b32_e64 v2, 0, 1, s[28:29]
	s_mov_b64 s[12:13], 0
	global_store_dword v[0:1], v2, off
.LBB286_880:
	s_andn2_b64 vcc, exec, s[12:13]
	s_cbranch_vccnz .LBB286_882
; %bb.881:
	v_cndmask_b32_e64 v2, 0, 1, s[28:29]
	global_store_short v[0:1], v2, off
.LBB286_882:
	s_mov_b64 s[12:13], 0
.LBB286_883:
	s_andn2_b64 vcc, exec, s[12:13]
	s_cbranch_vccnz .LBB286_891
; %bb.884:
	v_cndmask_b32_e64 v3, 0, 1.0, s[28:29]
	s_mov_b32 s12, 0x43800000
	v_cmp_gt_u32_e32 vcc, s12, v3
	v_mov_b32_e32 v4, 0x80
	s_and_saveexec_b64 s[12:13], vcc
	s_cbranch_execz .LBB286_890
; %bb.885:
	s_mov_b32 s14, 0x3bffffff
	v_cmp_lt_u32_e32 vcc, s14, v3
	s_mov_b64 s[14:15], 0
                                        ; implicit-def: $vgpr2
	s_and_saveexec_b64 s[16:17], vcc
	s_xor_b64 s[16:17], exec, s[16:17]
	s_cbranch_execz .LBB286_1109
; %bb.886:
	v_bfe_u32 v2, v3, 20, 1
	s_mov_b32 s20, 0x487ffff
	v_add3_u32 v2, v3, v2, s20
	s_mov_b64 s[14:15], exec
	v_lshrrev_b32_e32 v2, 20, v2
                                        ; implicit-def: $vgpr3
	s_andn2_saveexec_b64 s[16:17], s[16:17]
	s_cbranch_execnz .LBB286_1110
.LBB286_887:
	s_or_b64 exec, exec, s[16:17]
	v_mov_b32_e32 v4, 0
	s_and_saveexec_b64 s[16:17], s[14:15]
.LBB286_888:
	v_mov_b32_e32 v4, v2
.LBB286_889:
	s_or_b64 exec, exec, s[16:17]
.LBB286_890:
	s_or_b64 exec, exec, s[12:13]
	global_store_byte v[0:1], v4, off
.LBB286_891:
	s_mov_b64 s[12:13], -1
.LBB286_892:
	s_mov_b64 s[14:15], 0
.LBB286_893:
	s_and_b64 vcc, exec, s[14:15]
	s_cbranch_vccz .LBB286_933
; %bb.894:
	s_cmp_gt_i32 s19, 22
	s_mov_b64 s[10:11], -1
	s_cbranch_scc0 .LBB286_926
; %bb.895:
	s_cmp_lt_i32 s19, 24
	s_cbranch_scc1 .LBB286_915
; %bb.896:
	s_cmp_gt_i32 s19, 24
	s_cbranch_scc0 .LBB286_904
; %bb.897:
	v_cndmask_b32_e64 v3, 0, 1.0, s[28:29]
	s_mov_b32 s10, 0x47800000
	v_cmp_gt_u32_e32 vcc, s10, v3
	v_mov_b32_e32 v4, 0x80
	s_and_saveexec_b64 s[10:11], vcc
	s_cbranch_execz .LBB286_903
; %bb.898:
	s_mov_b32 s12, 0x37ffffff
	v_cmp_lt_u32_e32 vcc, s12, v3
	s_mov_b64 s[12:13], 0
                                        ; implicit-def: $vgpr2
	s_and_saveexec_b64 s[14:15], vcc
	s_xor_b64 s[14:15], exec, s[14:15]
	s_cbranch_execz .LBB286_1114
; %bb.899:
	v_bfe_u32 v2, v3, 21, 1
	s_mov_b32 s16, 0x88fffff
	v_add3_u32 v2, v3, v2, s16
	s_mov_b64 s[12:13], exec
	v_lshrrev_b32_e32 v2, 21, v2
                                        ; implicit-def: $vgpr3
	s_andn2_saveexec_b64 s[14:15], s[14:15]
	s_cbranch_execnz .LBB286_1115
.LBB286_900:
	s_or_b64 exec, exec, s[14:15]
	v_mov_b32_e32 v4, 0
	s_and_saveexec_b64 s[14:15], s[12:13]
.LBB286_901:
	v_mov_b32_e32 v4, v2
.LBB286_902:
	s_or_b64 exec, exec, s[14:15]
.LBB286_903:
	s_or_b64 exec, exec, s[10:11]
	s_mov_b64 s[10:11], 0
	global_store_byte v[0:1], v4, off
.LBB286_904:
	s_and_b64 vcc, exec, s[10:11]
	s_cbranch_vccz .LBB286_914
; %bb.905:
	v_cndmask_b32_e64 v2, 0, 1.0, s[28:29]
	s_mov_b32 s10, 0x43f00000
	v_cmp_gt_u32_e32 vcc, s10, v2
                                        ; implicit-def: $vgpr3
	s_and_saveexec_b64 s[10:11], vcc
	s_xor_b64 s[10:11], exec, s[10:11]
	s_cbranch_execz .LBB286_911
; %bb.906:
	s_mov_b32 s12, 0x3c7fffff
	v_cmp_lt_u32_e32 vcc, s12, v2
                                        ; implicit-def: $vgpr3
	s_and_saveexec_b64 s[12:13], vcc
	s_xor_b64 s[12:13], exec, s[12:13]
; %bb.907:
	v_bfe_u32 v3, v2, 20, 1
	s_mov_b32 s14, 0x407ffff
	v_add3_u32 v2, v2, v3, s14
	v_lshrrev_b32_e32 v3, 20, v2
	v_and_b32_e32 v2, 0xff00000, v2
	s_mov_b32 s14, 0x7f00000
	v_mov_b32_e32 v4, 0x7e
	v_cmp_ne_u32_e32 vcc, s14, v2
	v_cndmask_b32_e32 v3, v4, v3, vcc
                                        ; implicit-def: $vgpr2
; %bb.908:
	s_andn2_saveexec_b64 s[12:13], s[12:13]
; %bb.909:
	v_add_f32_e32 v3, 0x46800000, v2
; %bb.910:
	s_or_b64 exec, exec, s[12:13]
                                        ; implicit-def: $vgpr2
.LBB286_911:
	s_andn2_saveexec_b64 s[10:11], s[10:11]
; %bb.912:
	s_mov_b32 s12, 0x7f800000
	v_mov_b32_e32 v3, 0x7e
	v_mov_b32_e32 v4, 0x7f
	v_cmp_lt_u32_e32 vcc, s12, v2
	v_cndmask_b32_e32 v3, v3, v4, vcc
; %bb.913:
	s_or_b64 exec, exec, s[10:11]
	global_store_byte v[0:1], v3, off
.LBB286_914:
	s_mov_b64 s[10:11], 0
.LBB286_915:
	s_andn2_b64 vcc, exec, s[10:11]
	s_cbranch_vccnz .LBB286_925
; %bb.916:
	v_cndmask_b32_e64 v2, 0, 1.0, s[28:29]
	s_mov_b32 s10, 0x47800000
	v_cmp_gt_u32_e32 vcc, s10, v2
                                        ; implicit-def: $vgpr3
	s_and_saveexec_b64 s[10:11], vcc
	s_xor_b64 s[10:11], exec, s[10:11]
	s_cbranch_execz .LBB286_922
; %bb.917:
	s_mov_b32 s12, 0x387fffff
	v_cmp_lt_u32_e32 vcc, s12, v2
                                        ; implicit-def: $vgpr3
	s_and_saveexec_b64 s[12:13], vcc
	s_xor_b64 s[12:13], exec, s[12:13]
; %bb.918:
	v_bfe_u32 v3, v2, 21, 1
	s_mov_b32 s14, 0x80fffff
	v_add3_u32 v2, v2, v3, s14
	v_lshrrev_b32_e32 v3, 21, v2
                                        ; implicit-def: $vgpr2
; %bb.919:
	s_andn2_saveexec_b64 s[12:13], s[12:13]
; %bb.920:
	v_add_f32_e32 v3, 0x43000000, v2
; %bb.921:
	s_or_b64 exec, exec, s[12:13]
                                        ; implicit-def: $vgpr2
.LBB286_922:
	s_andn2_saveexec_b64 s[10:11], s[10:11]
; %bb.923:
	s_mov_b32 s12, 0x7f800000
	v_mov_b32_e32 v3, 0x7c
	v_mov_b32_e32 v4, 0x7f
	v_cmp_lt_u32_e32 vcc, s12, v2
	v_cndmask_b32_e32 v3, v3, v4, vcc
; %bb.924:
	s_or_b64 exec, exec, s[10:11]
	global_store_byte v[0:1], v3, off
.LBB286_925:
	s_mov_b64 s[10:11], 0
	s_mov_b64 s[12:13], -1
.LBB286_926:
	s_andn2_b64 vcc, exec, s[10:11]
	s_mov_b64 s[10:11], 0
	s_cbranch_vccnz .LBB286_933
; %bb.927:
	s_cmp_gt_i32 s19, 14
	s_mov_b64 s[14:15], -1
	s_cbranch_scc0 .LBB286_931
; %bb.928:
	s_cmp_eq_u32 s19, 15
	s_mov_b64 s[4:5], -1
	s_cbranch_scc0 .LBB286_930
; %bb.929:
	v_cndmask_b32_e64 v2, 0, 1.0, s[28:29]
	v_bfe_u32 v3, v2, 16, 1
	s_movk_i32 s4, 0x7fff
	v_add3_u32 v2, v2, v3, s4
	global_store_short_d16_hi v[0:1], v2, off
	s_mov_b64 s[4:5], 0
	s_mov_b64 s[12:13], -1
.LBB286_930:
	s_mov_b64 s[14:15], 0
.LBB286_931:
	s_and_b64 vcc, exec, s[14:15]
	s_cbranch_vccz .LBB286_933
; %bb.932:
	s_cmp_lg_u32 s19, 11
	s_mov_b64 s[10:11], -1
	s_cselect_b64 s[4:5], -1, 0
.LBB286_933:
	s_and_b64 vcc, exec, s[4:5]
	s_cbranch_vccnz .LBB286_1111
; %bb.934:
	s_andn2_b64 vcc, exec, s[10:11]
	s_cbranch_vccnz .LBB286_936
.LBB286_935:
	v_cndmask_b32_e64 v2, 0, 1, s[28:29]
	s_mov_b64 s[12:13], -1
	global_store_byte v[0:1], v2, off
.LBB286_936:
.LBB286_937:
	s_andn2_b64 vcc, exec, s[12:13]
	s_cbranch_vccnz .LBB286_1053
.LBB286_938:
	v_mov_b32_e32 v1, s41
	v_add_co_u32_e32 v0, vcc, s40, v14
	s_cmp_lt_i32 s19, 11
	v_addc_co_u32_e32 v1, vcc, 0, v1, vcc
	s_cbranch_scc1 .LBB286_1098
; %bb.939:
	s_mov_b64 s[12:13], -1
	s_mov_b64 s[10:11], 0
	s_cmp_gt_i32 s19, 25
	s_mov_b64 s[4:5], 0
	s_cbranch_scc0 .LBB286_972
; %bb.940:
	s_cmp_gt_i32 s19, 28
	s_cbranch_scc0 .LBB286_956
; %bb.941:
	s_cmp_gt_i32 s19, 43
	;; [unrolled: 3-line block ×3, first 2 shown]
	s_cbranch_scc0 .LBB286_946
; %bb.943:
	s_cmp_eq_u32 s19, 46
	s_mov_b64 s[4:5], -1
	s_cbranch_scc0 .LBB286_945
; %bb.944:
	v_cndmask_b32_e64 v2, 0, 1.0, s[6:7]
	v_bfe_u32 v3, v2, 16, 1
	s_movk_i32 s4, 0x7fff
	v_add3_u32 v2, v2, v3, s4
	v_lshrrev_b32_e32 v2, 16, v2
	global_store_dword v[0:1], v2, off
	s_mov_b64 s[4:5], 0
.LBB286_945:
	s_mov_b64 s[12:13], 0
.LBB286_946:
	s_and_b64 vcc, exec, s[12:13]
	s_cbranch_vccz .LBB286_951
; %bb.947:
	s_cmp_eq_u32 s19, 44
	s_mov_b64 s[4:5], -1
	s_cbranch_scc0 .LBB286_951
; %bb.948:
	v_cndmask_b32_e64 v3, 0, 1.0, s[6:7]
	v_lshrrev_b32_e32 v2, 23, v3
	s_movk_i32 s4, 0xff
	v_cmp_ne_u32_e32 vcc, s4, v2
	v_mov_b32_e32 v4, 0xff
	s_and_saveexec_b64 s[12:13], vcc
; %bb.949:
	s_mov_b32 s4, 0x3fffff
	v_and_b32_e32 v4, 0x400000, v3
	v_and_or_b32 v3, v3, s4, v2
	v_cmp_ne_u32_e32 vcc, 0, v4
	v_cmp_ne_u32_e64 s[4:5], 0, v3
	s_and_b64 s[4:5], vcc, s[4:5]
	v_cndmask_b32_e64 v3, 0, 1, s[4:5]
	v_add_u32_e32 v4, v2, v3
; %bb.950:
	s_or_b64 exec, exec, s[12:13]
	s_mov_b64 s[4:5], 0
	global_store_byte v[0:1], v4, off
.LBB286_951:
	s_mov_b64 s[12:13], 0
.LBB286_952:
	s_and_b64 vcc, exec, s[12:13]
	s_cbranch_vccz .LBB286_955
; %bb.953:
	s_cmp_eq_u32 s19, 29
	s_mov_b64 s[4:5], -1
	s_cbranch_scc0 .LBB286_955
; %bb.954:
	s_mov_b32 s4, 0
	v_cndmask_b32_e64 v2, 0, 1, s[6:7]
	v_mov_b32_e32 v3, s4
	global_store_dwordx2 v[0:1], v[2:3], off
	s_mov_b64 s[4:5], 0
.LBB286_955:
	s_mov_b64 s[12:13], 0
.LBB286_956:
	s_and_b64 vcc, exec, s[12:13]
	s_cbranch_vccz .LBB286_971
; %bb.957:
	s_cmp_lt_i32 s19, 27
	s_mov_b64 s[12:13], -1
	s_cbranch_scc1 .LBB286_963
; %bb.958:
	s_cmp_gt_i32 s19, 27
	v_cndmask_b32_e64 v2, 0, 1, s[6:7]
	s_cbranch_scc0 .LBB286_960
; %bb.959:
	global_store_dword v[0:1], v2, off
	s_mov_b64 s[12:13], 0
.LBB286_960:
	s_andn2_b64 vcc, exec, s[12:13]
	s_cbranch_vccnz .LBB286_962
; %bb.961:
	global_store_short v[0:1], v2, off
.LBB286_962:
	s_mov_b64 s[12:13], 0
.LBB286_963:
	s_andn2_b64 vcc, exec, s[12:13]
	s_cbranch_vccnz .LBB286_971
; %bb.964:
	v_cndmask_b32_e64 v3, 0, 1.0, s[6:7]
	s_mov_b32 s12, 0x43800000
	v_cmp_gt_u32_e32 vcc, s12, v3
	v_mov_b32_e32 v4, 0x80
	s_and_saveexec_b64 s[12:13], vcc
	s_cbranch_execz .LBB286_970
; %bb.965:
	s_mov_b32 s14, 0x3bffffff
	v_cmp_lt_u32_e32 vcc, s14, v3
	s_mov_b64 s[14:15], 0
                                        ; implicit-def: $vgpr2
	s_and_saveexec_b64 s[16:17], vcc
	s_xor_b64 s[16:17], exec, s[16:17]
	s_cbranch_execz .LBB286_1116
; %bb.966:
	v_bfe_u32 v2, v3, 20, 1
	s_mov_b32 s20, 0x487ffff
	v_add3_u32 v2, v3, v2, s20
	s_mov_b64 s[14:15], exec
	v_lshrrev_b32_e32 v2, 20, v2
                                        ; implicit-def: $vgpr3
	s_andn2_saveexec_b64 s[16:17], s[16:17]
	s_cbranch_execnz .LBB286_1117
.LBB286_967:
	s_or_b64 exec, exec, s[16:17]
	v_mov_b32_e32 v4, 0
	s_and_saveexec_b64 s[16:17], s[14:15]
.LBB286_968:
	v_mov_b32_e32 v4, v2
.LBB286_969:
	s_or_b64 exec, exec, s[16:17]
.LBB286_970:
	s_or_b64 exec, exec, s[12:13]
	global_store_byte v[0:1], v4, off
.LBB286_971:
	s_mov_b64 s[12:13], 0
.LBB286_972:
	s_and_b64 vcc, exec, s[12:13]
	s_cbranch_vccz .LBB286_1012
; %bb.973:
	s_cmp_gt_i32 s19, 22
	s_mov_b64 s[10:11], -1
	s_cbranch_scc0 .LBB286_1005
; %bb.974:
	s_cmp_lt_i32 s19, 24
	s_cbranch_scc1 .LBB286_994
; %bb.975:
	s_cmp_gt_i32 s19, 24
	s_cbranch_scc0 .LBB286_983
; %bb.976:
	v_cndmask_b32_e64 v3, 0, 1.0, s[6:7]
	s_mov_b32 s10, 0x47800000
	v_cmp_gt_u32_e32 vcc, s10, v3
	v_mov_b32_e32 v4, 0x80
	s_and_saveexec_b64 s[10:11], vcc
	s_cbranch_execz .LBB286_982
; %bb.977:
	s_mov_b32 s12, 0x37ffffff
	v_cmp_lt_u32_e32 vcc, s12, v3
	s_mov_b64 s[12:13], 0
                                        ; implicit-def: $vgpr2
	s_and_saveexec_b64 s[14:15], vcc
	s_xor_b64 s[14:15], exec, s[14:15]
	s_cbranch_execz .LBB286_1123
; %bb.978:
	v_bfe_u32 v2, v3, 21, 1
	s_mov_b32 s16, 0x88fffff
	v_add3_u32 v2, v3, v2, s16
	s_mov_b64 s[12:13], exec
	v_lshrrev_b32_e32 v2, 21, v2
                                        ; implicit-def: $vgpr3
	s_andn2_saveexec_b64 s[14:15], s[14:15]
	s_cbranch_execnz .LBB286_1124
.LBB286_979:
	s_or_b64 exec, exec, s[14:15]
	v_mov_b32_e32 v4, 0
	s_and_saveexec_b64 s[14:15], s[12:13]
.LBB286_980:
	v_mov_b32_e32 v4, v2
.LBB286_981:
	s_or_b64 exec, exec, s[14:15]
.LBB286_982:
	s_or_b64 exec, exec, s[10:11]
	s_mov_b64 s[10:11], 0
	global_store_byte v[0:1], v4, off
.LBB286_983:
	s_and_b64 vcc, exec, s[10:11]
	s_cbranch_vccz .LBB286_993
; %bb.984:
	v_cndmask_b32_e64 v2, 0, 1.0, s[6:7]
	s_mov_b32 s10, 0x43f00000
	v_cmp_gt_u32_e32 vcc, s10, v2
                                        ; implicit-def: $vgpr3
	s_and_saveexec_b64 s[10:11], vcc
	s_xor_b64 s[10:11], exec, s[10:11]
	s_cbranch_execz .LBB286_990
; %bb.985:
	s_mov_b32 s12, 0x3c7fffff
	v_cmp_lt_u32_e32 vcc, s12, v2
                                        ; implicit-def: $vgpr3
	s_and_saveexec_b64 s[12:13], vcc
	s_xor_b64 s[12:13], exec, s[12:13]
; %bb.986:
	v_bfe_u32 v3, v2, 20, 1
	s_mov_b32 s14, 0x407ffff
	v_add3_u32 v2, v2, v3, s14
	v_lshrrev_b32_e32 v3, 20, v2
	v_and_b32_e32 v2, 0xff00000, v2
	s_mov_b32 s14, 0x7f00000
	v_mov_b32_e32 v4, 0x7e
	v_cmp_ne_u32_e32 vcc, s14, v2
	v_cndmask_b32_e32 v3, v4, v3, vcc
                                        ; implicit-def: $vgpr2
; %bb.987:
	s_andn2_saveexec_b64 s[12:13], s[12:13]
; %bb.988:
	v_add_f32_e32 v3, 0x46800000, v2
; %bb.989:
	s_or_b64 exec, exec, s[12:13]
                                        ; implicit-def: $vgpr2
.LBB286_990:
	s_andn2_saveexec_b64 s[10:11], s[10:11]
; %bb.991:
	s_mov_b32 s12, 0x7f800000
	v_mov_b32_e32 v3, 0x7e
	v_mov_b32_e32 v4, 0x7f
	v_cmp_lt_u32_e32 vcc, s12, v2
	v_cndmask_b32_e32 v3, v3, v4, vcc
; %bb.992:
	s_or_b64 exec, exec, s[10:11]
	global_store_byte v[0:1], v3, off
.LBB286_993:
	s_mov_b64 s[10:11], 0
.LBB286_994:
	s_andn2_b64 vcc, exec, s[10:11]
	s_cbranch_vccnz .LBB286_1004
; %bb.995:
	v_cndmask_b32_e64 v2, 0, 1.0, s[6:7]
	s_mov_b32 s10, 0x47800000
	v_cmp_gt_u32_e32 vcc, s10, v2
                                        ; implicit-def: $vgpr3
	s_and_saveexec_b64 s[10:11], vcc
	s_xor_b64 s[10:11], exec, s[10:11]
	s_cbranch_execz .LBB286_1001
; %bb.996:
	s_mov_b32 s12, 0x387fffff
	v_cmp_lt_u32_e32 vcc, s12, v2
                                        ; implicit-def: $vgpr3
	s_and_saveexec_b64 s[12:13], vcc
	s_xor_b64 s[12:13], exec, s[12:13]
; %bb.997:
	v_bfe_u32 v3, v2, 21, 1
	s_mov_b32 s14, 0x80fffff
	v_add3_u32 v2, v2, v3, s14
	v_lshrrev_b32_e32 v3, 21, v2
                                        ; implicit-def: $vgpr2
; %bb.998:
	s_andn2_saveexec_b64 s[12:13], s[12:13]
; %bb.999:
	v_add_f32_e32 v3, 0x43000000, v2
; %bb.1000:
	s_or_b64 exec, exec, s[12:13]
                                        ; implicit-def: $vgpr2
.LBB286_1001:
	s_andn2_saveexec_b64 s[10:11], s[10:11]
; %bb.1002:
	s_mov_b32 s12, 0x7f800000
	v_mov_b32_e32 v3, 0x7c
	v_mov_b32_e32 v4, 0x7f
	v_cmp_lt_u32_e32 vcc, s12, v2
	v_cndmask_b32_e32 v3, v3, v4, vcc
; %bb.1003:
	s_or_b64 exec, exec, s[10:11]
	global_store_byte v[0:1], v3, off
.LBB286_1004:
	s_mov_b64 s[10:11], 0
.LBB286_1005:
	s_andn2_b64 vcc, exec, s[10:11]
	s_mov_b64 s[10:11], 0
	s_cbranch_vccnz .LBB286_1012
; %bb.1006:
	s_cmp_gt_i32 s19, 14
	s_mov_b64 s[12:13], -1
	s_cbranch_scc0 .LBB286_1010
; %bb.1007:
	s_cmp_eq_u32 s19, 15
	s_mov_b64 s[4:5], -1
	s_cbranch_scc0 .LBB286_1009
; %bb.1008:
	v_cndmask_b32_e64 v2, 0, 1.0, s[6:7]
	v_bfe_u32 v3, v2, 16, 1
	s_movk_i32 s4, 0x7fff
	v_add3_u32 v2, v2, v3, s4
	global_store_short_d16_hi v[0:1], v2, off
	s_mov_b64 s[4:5], 0
.LBB286_1009:
	s_mov_b64 s[12:13], 0
.LBB286_1010:
	s_and_b64 vcc, exec, s[12:13]
	s_cbranch_vccz .LBB286_1012
; %bb.1011:
	s_cmp_lg_u32 s19, 11
	s_mov_b64 s[10:11], -1
	s_cselect_b64 s[4:5], -1, 0
.LBB286_1012:
	s_and_b64 vcc, exec, s[4:5]
	s_cbranch_vccnz .LBB286_1118
.LBB286_1013:
	s_mov_b64 s[4:5], 0
	s_branch .LBB286_1054
.LBB286_1014:
	s_mov_b64 s[12:13], 0
	s_cbranch_execz .LBB286_937
; %bb.1015:
	s_cmp_lt_i32 s19, 5
	s_mov_b64 s[4:5], -1
	s_cbranch_scc1 .LBB286_1036
; %bb.1016:
	s_cmp_lt_i32 s19, 8
	s_cbranch_scc1 .LBB286_1026
; %bb.1017:
	s_cmp_lt_i32 s19, 9
	s_cbranch_scc1 .LBB286_1023
; %bb.1018:
	s_cmp_gt_i32 s19, 9
	s_cbranch_scc0 .LBB286_1020
; %bb.1019:
	v_cndmask_b32_e64 v2, 0, 1, s[28:29]
	v_cvt_f64_u32_e32 v[2:3], v2
	v_mov_b32_e32 v4, 0
	v_mov_b32_e32 v5, v4
	s_mov_b64 s[4:5], 0
	global_store_dwordx4 v[0:1], v[2:5], off
.LBB286_1020:
	s_andn2_b64 vcc, exec, s[4:5]
	s_cbranch_vccnz .LBB286_1022
; %bb.1021:
	v_cndmask_b32_e64 v2, 0, 1.0, s[28:29]
	v_mov_b32_e32 v3, 0
	global_store_dwordx2 v[0:1], v[2:3], off
.LBB286_1022:
	s_mov_b64 s[4:5], 0
.LBB286_1023:
	s_andn2_b64 vcc, exec, s[4:5]
	s_cbranch_vccnz .LBB286_1025
; %bb.1024:
	v_cndmask_b32_e64 v2, 0, 1.0, s[28:29]
	v_cvt_f16_f32_e32 v2, v2
	global_store_dword v[0:1], v2, off
.LBB286_1025:
	s_mov_b64 s[4:5], 0
.LBB286_1026:
	s_andn2_b64 vcc, exec, s[4:5]
	s_cbranch_vccnz .LBB286_1035
; %bb.1027:
	s_cmp_lt_i32 s19, 6
	s_mov_b64 s[4:5], -1
	s_cbranch_scc1 .LBB286_1033
; %bb.1028:
	s_cmp_gt_i32 s19, 6
	s_cbranch_scc0 .LBB286_1030
; %bb.1029:
	v_cndmask_b32_e64 v2, 0, 1, s[28:29]
	v_cvt_f64_u32_e32 v[2:3], v2
	s_mov_b64 s[4:5], 0
	global_store_dwordx2 v[0:1], v[2:3], off
.LBB286_1030:
	s_andn2_b64 vcc, exec, s[4:5]
	s_cbranch_vccnz .LBB286_1032
; %bb.1031:
	v_cndmask_b32_e64 v2, 0, 1.0, s[28:29]
	global_store_dword v[0:1], v2, off
.LBB286_1032:
	s_mov_b64 s[4:5], 0
.LBB286_1033:
	s_andn2_b64 vcc, exec, s[4:5]
	s_cbranch_vccnz .LBB286_1035
; %bb.1034:
	v_cndmask_b32_e64 v2, 0, 1.0, s[28:29]
	v_cvt_f16_f32_e32 v2, v2
	global_store_short v[0:1], v2, off
.LBB286_1035:
	s_mov_b64 s[4:5], 0
.LBB286_1036:
	s_andn2_b64 vcc, exec, s[4:5]
	s_cbranch_vccnz .LBB286_1052
; %bb.1037:
	s_cmp_lt_i32 s19, 2
	s_mov_b64 s[4:5], -1
	s_cbranch_scc1 .LBB286_1047
; %bb.1038:
	s_cmp_lt_i32 s19, 3
	s_cbranch_scc1 .LBB286_1044
; %bb.1039:
	s_cmp_gt_i32 s19, 3
	s_cbranch_scc0 .LBB286_1041
; %bb.1040:
	s_mov_b32 s4, 0
	v_cndmask_b32_e64 v2, 0, 1, s[28:29]
	v_mov_b32_e32 v3, s4
	global_store_dwordx2 v[0:1], v[2:3], off
	s_mov_b64 s[4:5], 0
.LBB286_1041:
	s_andn2_b64 vcc, exec, s[4:5]
	s_cbranch_vccnz .LBB286_1043
; %bb.1042:
	v_cndmask_b32_e64 v2, 0, 1, s[28:29]
	global_store_dword v[0:1], v2, off
.LBB286_1043:
	s_mov_b64 s[4:5], 0
.LBB286_1044:
	s_andn2_b64 vcc, exec, s[4:5]
	s_cbranch_vccnz .LBB286_1046
; %bb.1045:
	v_cndmask_b32_e64 v2, 0, 1, s[28:29]
	global_store_short v[0:1], v2, off
.LBB286_1046:
	s_mov_b64 s[4:5], 0
.LBB286_1047:
	s_andn2_b64 vcc, exec, s[4:5]
	s_cbranch_vccnz .LBB286_1052
; %bb.1048:
	s_cmp_gt_i32 s19, 0
	s_mov_b64 s[4:5], -1
	s_cbranch_scc0 .LBB286_1050
; %bb.1049:
	v_cndmask_b32_e64 v2, 0, 1, s[28:29]
	global_store_byte v[0:1], v2, off
	s_mov_b64 s[4:5], 0
.LBB286_1050:
	s_andn2_b64 vcc, exec, s[4:5]
	s_cbranch_vccnz .LBB286_1052
; %bb.1051:
	v_cndmask_b32_e64 v2, 0, 1, s[28:29]
	global_store_byte v[0:1], v2, off
.LBB286_1052:
	s_branch .LBB286_938
.LBB286_1053:
	s_mov_b64 s[4:5], 0
	s_mov_b64 s[10:11], 0
                                        ; implicit-def: $sgpr18
                                        ; implicit-def: $vgpr0_vgpr1
.LBB286_1054:
	s_and_b64 s[34:35], s[10:11], exec
	s_andn2_b64 s[10:11], s[38:39], exec
	s_and_b64 s[8:9], s[8:9], exec
	s_and_b64 s[4:5], s[4:5], exec
	s_or_b64 s[38:39], s[10:11], s[8:9]
.LBB286_1055:
	s_or_b64 exec, exec, s[44:45]
	s_and_saveexec_b64 s[8:9], s[38:39]
	s_cbranch_execz .LBB286_1058
; %bb.1056:
	; divergent unreachable
	s_or_b64 exec, exec, s[8:9]
	s_and_saveexec_b64 s[8:9], s[34:35]
	s_xor_b64 s[8:9], exec, s[8:9]
	s_cbranch_execnz .LBB286_1059
.LBB286_1057:
	s_or_b64 exec, exec, s[8:9]
	s_and_saveexec_b64 s[8:9], s[4:5]
	s_cbranch_execnz .LBB286_1060
	s_branch .LBB286_1097
.LBB286_1058:
	s_or_b64 exec, exec, s[8:9]
	s_and_saveexec_b64 s[8:9], s[34:35]
	s_xor_b64 s[8:9], exec, s[8:9]
	s_cbranch_execz .LBB286_1057
.LBB286_1059:
	v_cndmask_b32_e64 v2, 0, 1, s[6:7]
	global_store_byte v[0:1], v2, off
	s_or_b64 exec, exec, s[8:9]
	s_and_saveexec_b64 s[8:9], s[4:5]
	s_cbranch_execz .LBB286_1097
.LBB286_1060:
	s_sext_i32_i16 s8, s18
	s_cmp_lt_i32 s8, 5
	s_mov_b64 s[4:5], -1
	s_cbranch_scc1 .LBB286_1081
; %bb.1061:
	s_cmp_lt_i32 s8, 8
	s_cbranch_scc1 .LBB286_1071
; %bb.1062:
	s_cmp_lt_i32 s8, 9
	s_cbranch_scc1 .LBB286_1068
; %bb.1063:
	s_cmp_gt_i32 s8, 9
	s_cbranch_scc0 .LBB286_1065
; %bb.1064:
	v_cndmask_b32_e64 v2, 0, 1, s[6:7]
	v_cvt_f64_u32_e32 v[2:3], v2
	v_mov_b32_e32 v4, 0
	v_mov_b32_e32 v5, v4
	s_mov_b64 s[4:5], 0
	global_store_dwordx4 v[0:1], v[2:5], off
.LBB286_1065:
	s_andn2_b64 vcc, exec, s[4:5]
	s_cbranch_vccnz .LBB286_1067
; %bb.1066:
	v_cndmask_b32_e64 v2, 0, 1.0, s[6:7]
	v_mov_b32_e32 v3, 0
	global_store_dwordx2 v[0:1], v[2:3], off
.LBB286_1067:
	s_mov_b64 s[4:5], 0
.LBB286_1068:
	s_andn2_b64 vcc, exec, s[4:5]
	s_cbranch_vccnz .LBB286_1070
; %bb.1069:
	v_cndmask_b32_e64 v2, 0, 1.0, s[6:7]
	v_cvt_f16_f32_e32 v2, v2
	global_store_dword v[0:1], v2, off
.LBB286_1070:
	s_mov_b64 s[4:5], 0
.LBB286_1071:
	s_andn2_b64 vcc, exec, s[4:5]
	s_cbranch_vccnz .LBB286_1080
; %bb.1072:
	s_sext_i32_i16 s8, s18
	s_cmp_lt_i32 s8, 6
	s_mov_b64 s[4:5], -1
	s_cbranch_scc1 .LBB286_1078
; %bb.1073:
	s_cmp_gt_i32 s8, 6
	s_cbranch_scc0 .LBB286_1075
; %bb.1074:
	v_cndmask_b32_e64 v2, 0, 1, s[6:7]
	v_cvt_f64_u32_e32 v[2:3], v2
	s_mov_b64 s[4:5], 0
	global_store_dwordx2 v[0:1], v[2:3], off
.LBB286_1075:
	s_andn2_b64 vcc, exec, s[4:5]
	s_cbranch_vccnz .LBB286_1077
; %bb.1076:
	v_cndmask_b32_e64 v2, 0, 1.0, s[6:7]
	global_store_dword v[0:1], v2, off
.LBB286_1077:
	s_mov_b64 s[4:5], 0
.LBB286_1078:
	s_andn2_b64 vcc, exec, s[4:5]
	s_cbranch_vccnz .LBB286_1080
; %bb.1079:
	v_cndmask_b32_e64 v2, 0, 1.0, s[6:7]
	v_cvt_f16_f32_e32 v2, v2
	global_store_short v[0:1], v2, off
.LBB286_1080:
	s_mov_b64 s[4:5], 0
.LBB286_1081:
	s_andn2_b64 vcc, exec, s[4:5]
	s_cbranch_vccnz .LBB286_1097
; %bb.1082:
	s_sext_i32_i16 s8, s18
	s_cmp_lt_i32 s8, 2
	s_mov_b64 s[4:5], -1
	s_cbranch_scc1 .LBB286_1092
; %bb.1083:
	s_cmp_lt_i32 s8, 3
	s_cbranch_scc1 .LBB286_1089
; %bb.1084:
	s_cmp_gt_i32 s8, 3
	s_cbranch_scc0 .LBB286_1086
; %bb.1085:
	s_mov_b32 s4, 0
	v_cndmask_b32_e64 v2, 0, 1, s[6:7]
	v_mov_b32_e32 v3, s4
	global_store_dwordx2 v[0:1], v[2:3], off
	s_mov_b64 s[4:5], 0
.LBB286_1086:
	s_andn2_b64 vcc, exec, s[4:5]
	s_cbranch_vccnz .LBB286_1088
; %bb.1087:
	v_cndmask_b32_e64 v2, 0, 1, s[6:7]
	global_store_dword v[0:1], v2, off
.LBB286_1088:
	s_mov_b64 s[4:5], 0
.LBB286_1089:
	s_andn2_b64 vcc, exec, s[4:5]
	s_cbranch_vccnz .LBB286_1091
; %bb.1090:
	v_cndmask_b32_e64 v2, 0, 1, s[6:7]
	global_store_short v[0:1], v2, off
.LBB286_1091:
	s_mov_b64 s[4:5], 0
.LBB286_1092:
	s_andn2_b64 vcc, exec, s[4:5]
	s_cbranch_vccnz .LBB286_1097
; %bb.1093:
	s_sext_i32_i16 s4, s18
	s_cmp_gt_i32 s4, 0
	s_mov_b64 s[4:5], -1
	s_cbranch_scc0 .LBB286_1095
; %bb.1094:
	v_cndmask_b32_e64 v2, 0, 1, s[6:7]
	global_store_byte v[0:1], v2, off
	s_mov_b64 s[4:5], 0
.LBB286_1095:
	s_andn2_b64 vcc, exec, s[4:5]
	s_cbranch_vccnz .LBB286_1097
; %bb.1096:
	v_cndmask_b32_e64 v2, 0, 1, s[6:7]
	global_store_byte v[0:1], v2, off
	s_endpgm
.LBB286_1097:
	s_endpgm
.LBB286_1098:
	s_mov_b64 s[10:11], 0
	s_mov_b64 s[4:5], -1
	s_branch .LBB286_1054
.LBB286_1099:
	s_andn2_saveexec_b64 s[14:15], s[14:15]
	s_cbranch_execz .LBB286_651
.LBB286_1100:
	v_add_f32_e32 v2, 0x46000000, v3
	v_and_b32_e32 v2, 0xff, v2
	v_cmp_ne_u32_e32 vcc, 0, v2
	s_andn2_b64 s[12:13], s[12:13], exec
	s_and_b64 s[20:21], vcc, exec
	s_or_b64 s[12:13], s[12:13], s[20:21]
	s_or_b64 exec, exec, s[14:15]
	v_mov_b32_e32 v4, 0
	s_and_saveexec_b64 s[14:15], s[12:13]
	s_cbranch_execnz .LBB286_652
	s_branch .LBB286_653
.LBB286_1101:
	s_or_b64 s[8:9], s[38:39], exec
	s_trap 2
	s_cbranch_execz .LBB286_699
	s_branch .LBB286_700
.LBB286_1102:
	s_andn2_saveexec_b64 s[12:13], s[12:13]
	s_cbranch_execz .LBB286_664
.LBB286_1103:
	v_add_f32_e32 v2, 0x42800000, v3
	v_and_b32_e32 v2, 0xff, v2
	v_cmp_ne_u32_e32 vcc, 0, v2
	s_andn2_b64 s[10:11], s[10:11], exec
	s_and_b64 s[14:15], vcc, exec
	s_or_b64 s[10:11], s[10:11], s[14:15]
	s_or_b64 exec, exec, s[12:13]
	v_mov_b32_e32 v4, 0
	s_and_saveexec_b64 s[12:13], s[10:11]
	s_cbranch_execnz .LBB286_665
	s_branch .LBB286_666
.LBB286_1104:
	s_andn2_saveexec_b64 s[16:17], s[16:17]
	s_cbranch_execz .LBB286_769
.LBB286_1105:
	v_add_f32_e32 v2, 0x46000000, v3
	v_and_b32_e32 v2, 0xff, v2
	v_cmp_ne_u32_e32 vcc, 0, v2
	s_andn2_b64 s[14:15], s[14:15], exec
	s_and_b64 s[20:21], vcc, exec
	s_or_b64 s[14:15], s[14:15], s[20:21]
	s_or_b64 exec, exec, s[16:17]
	v_mov_b32_e32 v4, 0
	s_and_saveexec_b64 s[16:17], s[14:15]
	s_cbranch_execnz .LBB286_770
	s_branch .LBB286_771
.LBB286_1106:
	s_trap 2
	s_or_b64 s[8:9], s[8:9], exec
	s_cbranch_execz .LBB286_817
	s_branch .LBB286_818
.LBB286_1107:
	s_andn2_saveexec_b64 s[14:15], s[14:15]
	s_cbranch_execz .LBB286_782
.LBB286_1108:
	v_add_f32_e32 v2, 0x42800000, v3
	v_and_b32_e32 v2, 0xff, v2
	v_cmp_ne_u32_e32 vcc, 0, v2
	s_andn2_b64 s[12:13], s[12:13], exec
	s_and_b64 s[16:17], vcc, exec
	s_or_b64 s[12:13], s[12:13], s[16:17]
	s_or_b64 exec, exec, s[14:15]
	v_mov_b32_e32 v4, 0
	s_and_saveexec_b64 s[14:15], s[12:13]
	s_cbranch_execnz .LBB286_783
	s_branch .LBB286_784
.LBB286_1109:
	s_andn2_saveexec_b64 s[16:17], s[16:17]
	s_cbranch_execz .LBB286_887
.LBB286_1110:
	v_add_f32_e32 v2, 0x46000000, v3
	v_and_b32_e32 v2, 0xff, v2
	v_cmp_ne_u32_e32 vcc, 0, v2
	s_andn2_b64 s[14:15], s[14:15], exec
	s_and_b64 s[20:21], vcc, exec
	s_or_b64 s[14:15], s[14:15], s[20:21]
	s_or_b64 exec, exec, s[16:17]
	v_mov_b32_e32 v4, 0
	s_and_saveexec_b64 s[16:17], s[14:15]
	s_cbranch_execnz .LBB286_888
	s_branch .LBB286_889
.LBB286_1111:
	s_trap 2
	s_or_b64 s[8:9], s[8:9], exec
	s_cbranch_execz .LBB286_935
	s_branch .LBB286_936
.LBB286_1112:
	s_andn2_saveexec_b64 s[12:13], s[12:13]
	s_cbranch_execz .LBB286_338
.LBB286_1113:
	v_add_f32_e32 v2, 0x46000000, v3
	v_and_b32_e32 v2, 0xff, v2
	v_cmp_ne_u32_e32 vcc, 0, v2
	s_andn2_b64 s[10:11], s[10:11], exec
	s_and_b64 s[16:17], vcc, exec
	s_or_b64 s[10:11], s[10:11], s[16:17]
	s_or_b64 exec, exec, s[12:13]
	v_mov_b32_e32 v4, 0
	s_and_saveexec_b64 s[12:13], s[10:11]
	s_cbranch_execnz .LBB286_339
	s_branch .LBB286_340
.LBB286_1114:
	s_andn2_saveexec_b64 s[14:15], s[14:15]
	s_cbranch_execz .LBB286_900
.LBB286_1115:
	v_add_f32_e32 v2, 0x42800000, v3
	v_and_b32_e32 v2, 0xff, v2
	v_cmp_ne_u32_e32 vcc, 0, v2
	s_andn2_b64 s[12:13], s[12:13], exec
	s_and_b64 s[16:17], vcc, exec
	s_or_b64 s[12:13], s[12:13], s[16:17]
	s_or_b64 exec, exec, s[14:15]
	v_mov_b32_e32 v4, 0
	s_and_saveexec_b64 s[14:15], s[12:13]
	s_cbranch_execnz .LBB286_901
	s_branch .LBB286_902
.LBB286_1116:
	s_andn2_saveexec_b64 s[16:17], s[16:17]
	s_cbranch_execz .LBB286_967
.LBB286_1117:
	v_add_f32_e32 v2, 0x46000000, v3
	v_and_b32_e32 v2, 0xff, v2
	v_cmp_ne_u32_e32 vcc, 0, v2
	s_andn2_b64 s[14:15], s[14:15], exec
	s_and_b64 s[20:21], vcc, exec
	s_or_b64 s[14:15], s[14:15], s[20:21]
	s_or_b64 exec, exec, s[16:17]
	v_mov_b32_e32 v4, 0
	s_and_saveexec_b64 s[16:17], s[14:15]
	s_cbranch_execnz .LBB286_968
	s_branch .LBB286_969
.LBB286_1118:
	s_mov_b64 s[10:11], 0
	s_or_b64 s[8:9], s[8:9], exec
	s_trap 2
	s_branch .LBB286_1013
.LBB286_1119:
	s_andn2_saveexec_b64 s[12:13], s[12:13]
	s_cbranch_execz .LBB286_351
.LBB286_1120:
	v_add_f32_e32 v2, 0x42800000, v3
	v_and_b32_e32 v2, 0xff, v2
	v_cmp_ne_u32_e32 vcc, 0, v2
	s_andn2_b64 s[10:11], s[10:11], exec
	s_and_b64 s[16:17], vcc, exec
	s_or_b64 s[10:11], s[10:11], s[16:17]
	s_or_b64 exec, exec, s[12:13]
	v_mov_b32_e32 v4, 0
	s_and_saveexec_b64 s[12:13], s[10:11]
	s_cbranch_execnz .LBB286_352
	s_branch .LBB286_353
.LBB286_1121:
	s_andn2_saveexec_b64 s[12:13], s[12:13]
	s_cbranch_execz .LBB286_475
.LBB286_1122:
	v_add_f32_e32 v2, 0x46000000, v3
	v_and_b32_e32 v2, 0xff, v2
	v_cmp_ne_u32_e32 vcc, 0, v2
	s_andn2_b64 s[10:11], s[10:11], exec
	s_and_b64 s[14:15], vcc, exec
	s_or_b64 s[10:11], s[10:11], s[14:15]
	s_or_b64 exec, exec, s[12:13]
	v_mov_b32_e32 v4, 0
	s_and_saveexec_b64 s[12:13], s[10:11]
	s_cbranch_execnz .LBB286_476
	s_branch .LBB286_477
.LBB286_1123:
	s_andn2_saveexec_b64 s[14:15], s[14:15]
	s_cbranch_execz .LBB286_979
.LBB286_1124:
	v_add_f32_e32 v2, 0x42800000, v3
	v_and_b32_e32 v2, 0xff, v2
	v_cmp_ne_u32_e32 vcc, 0, v2
	s_andn2_b64 s[12:13], s[12:13], exec
	s_and_b64 s[16:17], vcc, exec
	s_or_b64 s[12:13], s[12:13], s[16:17]
	s_or_b64 exec, exec, s[14:15]
	v_mov_b32_e32 v4, 0
	s_and_saveexec_b64 s[14:15], s[12:13]
	s_cbranch_execnz .LBB286_980
	s_branch .LBB286_981
.LBB286_1125:
	s_andn2_saveexec_b64 s[14:15], s[14:15]
	s_cbranch_execz .LBB286_487
.LBB286_1126:
	v_add_f32_e32 v2, 0x42800000, v3
	v_and_b32_e32 v2, 0xff, v2
	v_cmp_ne_u32_e32 vcc, 0, v2
	s_andn2_b64 s[12:13], s[12:13], exec
	s_and_b64 s[18:19], vcc, exec
	s_or_b64 s[12:13], s[12:13], s[18:19]
	s_or_b64 exec, exec, s[14:15]
	v_mov_b32_e32 v4, 0
	s_and_saveexec_b64 s[14:15], s[12:13]
	s_cbranch_execnz .LBB286_488
	s_branch .LBB286_489
	.section	.rodata,"a",@progbits
	.p2align	6, 0x0
	.amdhsa_kernel _ZN2at6native32elementwise_kernel_manual_unrollILi128ELi4EZNS0_15gpu_kernel_implINS0_13AUnaryFunctorIN3c1013Float8_e4m3fnES5_bNS0_12_GLOBAL__N_116CompareEqFunctorIS5_EEEEEEvRNS_18TensorIteratorBaseERKT_EUlibE0_EEviT1_
		.amdhsa_group_segment_fixed_size 0
		.amdhsa_private_segment_fixed_size 0
		.amdhsa_kernarg_size 368
		.amdhsa_user_sgpr_count 6
		.amdhsa_user_sgpr_private_segment_buffer 1
		.amdhsa_user_sgpr_dispatch_ptr 0
		.amdhsa_user_sgpr_queue_ptr 0
		.amdhsa_user_sgpr_kernarg_segment_ptr 1
		.amdhsa_user_sgpr_dispatch_id 0
		.amdhsa_user_sgpr_flat_scratch_init 0
		.amdhsa_user_sgpr_private_segment_size 0
		.amdhsa_uses_dynamic_stack 0
		.amdhsa_system_sgpr_private_segment_wavefront_offset 0
		.amdhsa_system_sgpr_workgroup_id_x 1
		.amdhsa_system_sgpr_workgroup_id_y 0
		.amdhsa_system_sgpr_workgroup_id_z 0
		.amdhsa_system_sgpr_workgroup_info 0
		.amdhsa_system_vgpr_workitem_id 0
		.amdhsa_next_free_vgpr 22
		.amdhsa_next_free_sgpr 82
		.amdhsa_reserve_vcc 1
		.amdhsa_reserve_flat_scratch 0
		.amdhsa_float_round_mode_32 0
		.amdhsa_float_round_mode_16_64 0
		.amdhsa_float_denorm_mode_32 3
		.amdhsa_float_denorm_mode_16_64 3
		.amdhsa_dx10_clamp 1
		.amdhsa_ieee_mode 1
		.amdhsa_fp16_overflow 0
		.amdhsa_exception_fp_ieee_invalid_op 0
		.amdhsa_exception_fp_denorm_src 0
		.amdhsa_exception_fp_ieee_div_zero 0
		.amdhsa_exception_fp_ieee_overflow 0
		.amdhsa_exception_fp_ieee_underflow 0
		.amdhsa_exception_fp_ieee_inexact 0
		.amdhsa_exception_int_div_zero 0
	.end_amdhsa_kernel
	.section	.text._ZN2at6native32elementwise_kernel_manual_unrollILi128ELi4EZNS0_15gpu_kernel_implINS0_13AUnaryFunctorIN3c1013Float8_e4m3fnES5_bNS0_12_GLOBAL__N_116CompareEqFunctorIS5_EEEEEEvRNS_18TensorIteratorBaseERKT_EUlibE0_EEviT1_,"axG",@progbits,_ZN2at6native32elementwise_kernel_manual_unrollILi128ELi4EZNS0_15gpu_kernel_implINS0_13AUnaryFunctorIN3c1013Float8_e4m3fnES5_bNS0_12_GLOBAL__N_116CompareEqFunctorIS5_EEEEEEvRNS_18TensorIteratorBaseERKT_EUlibE0_EEviT1_,comdat
.Lfunc_end286:
	.size	_ZN2at6native32elementwise_kernel_manual_unrollILi128ELi4EZNS0_15gpu_kernel_implINS0_13AUnaryFunctorIN3c1013Float8_e4m3fnES5_bNS0_12_GLOBAL__N_116CompareEqFunctorIS5_EEEEEEvRNS_18TensorIteratorBaseERKT_EUlibE0_EEviT1_, .Lfunc_end286-_ZN2at6native32elementwise_kernel_manual_unrollILi128ELi4EZNS0_15gpu_kernel_implINS0_13AUnaryFunctorIN3c1013Float8_e4m3fnES5_bNS0_12_GLOBAL__N_116CompareEqFunctorIS5_EEEEEEvRNS_18TensorIteratorBaseERKT_EUlibE0_EEviT1_
                                        ; -- End function
	.set _ZN2at6native32elementwise_kernel_manual_unrollILi128ELi4EZNS0_15gpu_kernel_implINS0_13AUnaryFunctorIN3c1013Float8_e4m3fnES5_bNS0_12_GLOBAL__N_116CompareEqFunctorIS5_EEEEEEvRNS_18TensorIteratorBaseERKT_EUlibE0_EEviT1_.num_vgpr, max(22, .L_ZN2at6native6invokeINS0_13AUnaryFunctorIN3c1013Float8_e4m3fnES4_bNS0_12_GLOBAL__N_116CompareEqFunctorIS4_EEEEj15function_traitsIS8_EEENT1_11result_typeERKT_PrKPcPKT0_PKNS3_10ScalarTypeEi.num_vgpr)
	.set _ZN2at6native32elementwise_kernel_manual_unrollILi128ELi4EZNS0_15gpu_kernel_implINS0_13AUnaryFunctorIN3c1013Float8_e4m3fnES5_bNS0_12_GLOBAL__N_116CompareEqFunctorIS5_EEEEEEvRNS_18TensorIteratorBaseERKT_EUlibE0_EEviT1_.num_agpr, max(0, .L_ZN2at6native6invokeINS0_13AUnaryFunctorIN3c1013Float8_e4m3fnES4_bNS0_12_GLOBAL__N_116CompareEqFunctorIS4_EEEEj15function_traitsIS8_EEENT1_11result_typeERKT_PrKPcPKT0_PKNS3_10ScalarTypeEi.num_agpr)
	.set _ZN2at6native32elementwise_kernel_manual_unrollILi128ELi4EZNS0_15gpu_kernel_implINS0_13AUnaryFunctorIN3c1013Float8_e4m3fnES5_bNS0_12_GLOBAL__N_116CompareEqFunctorIS5_EEEEEEvRNS_18TensorIteratorBaseERKT_EUlibE0_EEviT1_.numbered_sgpr, max(82, .L_ZN2at6native6invokeINS0_13AUnaryFunctorIN3c1013Float8_e4m3fnES4_bNS0_12_GLOBAL__N_116CompareEqFunctorIS4_EEEEj15function_traitsIS8_EEENT1_11result_typeERKT_PrKPcPKT0_PKNS3_10ScalarTypeEi.numbered_sgpr)
	.set _ZN2at6native32elementwise_kernel_manual_unrollILi128ELi4EZNS0_15gpu_kernel_implINS0_13AUnaryFunctorIN3c1013Float8_e4m3fnES5_bNS0_12_GLOBAL__N_116CompareEqFunctorIS5_EEEEEEvRNS_18TensorIteratorBaseERKT_EUlibE0_EEviT1_.num_named_barrier, max(0, .L_ZN2at6native6invokeINS0_13AUnaryFunctorIN3c1013Float8_e4m3fnES4_bNS0_12_GLOBAL__N_116CompareEqFunctorIS4_EEEEj15function_traitsIS8_EEENT1_11result_typeERKT_PrKPcPKT0_PKNS3_10ScalarTypeEi.num_named_barrier)
	.set _ZN2at6native32elementwise_kernel_manual_unrollILi128ELi4EZNS0_15gpu_kernel_implINS0_13AUnaryFunctorIN3c1013Float8_e4m3fnES5_bNS0_12_GLOBAL__N_116CompareEqFunctorIS5_EEEEEEvRNS_18TensorIteratorBaseERKT_EUlibE0_EEviT1_.private_seg_size, 0+max(.L_ZN2at6native6invokeINS0_13AUnaryFunctorIN3c1013Float8_e4m3fnES4_bNS0_12_GLOBAL__N_116CompareEqFunctorIS4_EEEEj15function_traitsIS8_EEENT1_11result_typeERKT_PrKPcPKT0_PKNS3_10ScalarTypeEi.private_seg_size)
	.set _ZN2at6native32elementwise_kernel_manual_unrollILi128ELi4EZNS0_15gpu_kernel_implINS0_13AUnaryFunctorIN3c1013Float8_e4m3fnES5_bNS0_12_GLOBAL__N_116CompareEqFunctorIS5_EEEEEEvRNS_18TensorIteratorBaseERKT_EUlibE0_EEviT1_.uses_vcc, or(1, .L_ZN2at6native6invokeINS0_13AUnaryFunctorIN3c1013Float8_e4m3fnES4_bNS0_12_GLOBAL__N_116CompareEqFunctorIS4_EEEEj15function_traitsIS8_EEENT1_11result_typeERKT_PrKPcPKT0_PKNS3_10ScalarTypeEi.uses_vcc)
	.set _ZN2at6native32elementwise_kernel_manual_unrollILi128ELi4EZNS0_15gpu_kernel_implINS0_13AUnaryFunctorIN3c1013Float8_e4m3fnES5_bNS0_12_GLOBAL__N_116CompareEqFunctorIS5_EEEEEEvRNS_18TensorIteratorBaseERKT_EUlibE0_EEviT1_.uses_flat_scratch, or(0, .L_ZN2at6native6invokeINS0_13AUnaryFunctorIN3c1013Float8_e4m3fnES4_bNS0_12_GLOBAL__N_116CompareEqFunctorIS4_EEEEj15function_traitsIS8_EEENT1_11result_typeERKT_PrKPcPKT0_PKNS3_10ScalarTypeEi.uses_flat_scratch)
	.set _ZN2at6native32elementwise_kernel_manual_unrollILi128ELi4EZNS0_15gpu_kernel_implINS0_13AUnaryFunctorIN3c1013Float8_e4m3fnES5_bNS0_12_GLOBAL__N_116CompareEqFunctorIS5_EEEEEEvRNS_18TensorIteratorBaseERKT_EUlibE0_EEviT1_.has_dyn_sized_stack, or(0, .L_ZN2at6native6invokeINS0_13AUnaryFunctorIN3c1013Float8_e4m3fnES4_bNS0_12_GLOBAL__N_116CompareEqFunctorIS4_EEEEj15function_traitsIS8_EEENT1_11result_typeERKT_PrKPcPKT0_PKNS3_10ScalarTypeEi.has_dyn_sized_stack)
	.set _ZN2at6native32elementwise_kernel_manual_unrollILi128ELi4EZNS0_15gpu_kernel_implINS0_13AUnaryFunctorIN3c1013Float8_e4m3fnES5_bNS0_12_GLOBAL__N_116CompareEqFunctorIS5_EEEEEEvRNS_18TensorIteratorBaseERKT_EUlibE0_EEviT1_.has_recursion, or(0, .L_ZN2at6native6invokeINS0_13AUnaryFunctorIN3c1013Float8_e4m3fnES4_bNS0_12_GLOBAL__N_116CompareEqFunctorIS4_EEEEj15function_traitsIS8_EEENT1_11result_typeERKT_PrKPcPKT0_PKNS3_10ScalarTypeEi.has_recursion)
	.set _ZN2at6native32elementwise_kernel_manual_unrollILi128ELi4EZNS0_15gpu_kernel_implINS0_13AUnaryFunctorIN3c1013Float8_e4m3fnES5_bNS0_12_GLOBAL__N_116CompareEqFunctorIS5_EEEEEEvRNS_18TensorIteratorBaseERKT_EUlibE0_EEviT1_.has_indirect_call, or(0, .L_ZN2at6native6invokeINS0_13AUnaryFunctorIN3c1013Float8_e4m3fnES4_bNS0_12_GLOBAL__N_116CompareEqFunctorIS4_EEEEj15function_traitsIS8_EEENT1_11result_typeERKT_PrKPcPKT0_PKNS3_10ScalarTypeEi.has_indirect_call)
	.section	.AMDGPU.csdata,"",@progbits
; Kernel info:
; codeLenInByte = 20888
; TotalNumSgprs: 86
; NumVgprs: 22
; ScratchSize: 0
; MemoryBound: 0
; FloatMode: 240
; IeeeMode: 1
; LDSByteSize: 0 bytes/workgroup (compile time only)
; SGPRBlocks: 10
; VGPRBlocks: 5
; NumSGPRsForWavesPerEU: 86
; NumVGPRsForWavesPerEU: 22
; Occupancy: 9
; WaveLimiterHint : 1
; COMPUTE_PGM_RSRC2:SCRATCH_EN: 0
; COMPUTE_PGM_RSRC2:USER_SGPR: 6
; COMPUTE_PGM_RSRC2:TRAP_HANDLER: 0
; COMPUTE_PGM_RSRC2:TGID_X_EN: 1
; COMPUTE_PGM_RSRC2:TGID_Y_EN: 0
; COMPUTE_PGM_RSRC2:TGID_Z_EN: 0
; COMPUTE_PGM_RSRC2:TIDIG_COMP_CNT: 0
	.text
	.p2align	2                               ; -- Begin function _ZN2at6native25elementwise_kernel_helperILb0ENS0_13BinaryFunctorIN3c1015Float8_e4m3fnuzES4_bNS0_12_GLOBAL__N_116CompareEqFunctorIS4_EEEENS0_6memory8policies11unroll_baseILi256ESt5arrayIPcLm3EE23TrivialOffsetCalculatorILi2EjESF_ILi1EjENS9_15LoadWithoutCastENS9_16StoreWithoutCastELi16ELi1EEEEEvT0_T1_
	.type	_ZN2at6native25elementwise_kernel_helperILb0ENS0_13BinaryFunctorIN3c1015Float8_e4m3fnuzES4_bNS0_12_GLOBAL__N_116CompareEqFunctorIS4_EEEENS0_6memory8policies11unroll_baseILi256ESt5arrayIPcLm3EE23TrivialOffsetCalculatorILi2EjESF_ILi1EjENS9_15LoadWithoutCastENS9_16StoreWithoutCastELi16ELi1EEEEEvT0_T1_,@function
_ZN2at6native25elementwise_kernel_helperILb0ENS0_13BinaryFunctorIN3c1015Float8_e4m3fnuzES4_bNS0_12_GLOBAL__N_116CompareEqFunctorIS4_EEEENS0_6memory8policies11unroll_baseILi256ESt5arrayIPcLm3EE23TrivialOffsetCalculatorILi2EjESF_ILi1EjENS9_15LoadWithoutCastENS9_16StoreWithoutCastELi16ELi1EEEEEvT0_T1_: ; @_ZN2at6native25elementwise_kernel_helperILb0ENS0_13BinaryFunctorIN3c1015Float8_e4m3fnuzES4_bNS0_12_GLOBAL__N_116CompareEqFunctorIS4_EEEENS0_6memory8policies11unroll_baseILi256ESt5arrayIPcLm3EE23TrivialOffsetCalculatorILi2EjESF_ILi1EjENS9_15LoadWithoutCastENS9_16StoreWithoutCastELi16ELi1EEEEEvT0_T1_
; %bb.0:
	s_waitcnt vmcnt(0) expcnt(0) lgkmcnt(0)
	v_and_b32_e32 v12, 0x3ff, v31
	s_lshl_b32 s56, s12, 12
	v_cmp_lt_i32_e32 vcc, v12, v7
	v_mov_b32_e32 v14, 0
	v_or_b32_e32 v13, s56, v12
	v_mov_b32_e32 v16, 0
	v_mov_b32_e32 v15, 0
	;; [unrolled: 1-line block ×32, first 2 shown]
	s_and_saveexec_b64 s[6:7], vcc
	s_cbranch_execz .LBB287_32
; %bb.1:
	v_add_co_u32_e64 v8, s[4:5], v3, v13
	v_addc_co_u32_e64 v9, s[4:5], 0, v4, s[4:5]
	flat_load_ubyte v54, v[8:9]
	v_add_co_u32_e64 v8, s[4:5], v5, v13
	v_addc_co_u32_e64 v9, s[4:5], 0, v6, s[4:5]
	flat_load_ubyte v53, v[8:9]
	v_add_u32_e32 v8, 0x100, v12
	v_mov_b32_e32 v51, 0
	v_cmp_lt_u32_e64 s[4:5], v8, v7
	v_mov_b32_e32 v52, 0
	v_mov_b32_e32 v49, 0
	;; [unrolled: 1-line block ×29, first 2 shown]
	s_and_saveexec_b64 s[8:9], s[4:5]
	s_cbranch_execz .LBB287_31
; %bb.2:
	v_add_u32_e32 v10, s56, v12
	v_add_co_u32_e64 v8, s[4:5], v3, v10
	v_addc_co_u32_e64 v9, s[4:5], 0, v4, s[4:5]
	v_add_co_u32_e64 v10, s[4:5], v5, v10
	v_addc_co_u32_e64 v11, s[4:5], 0, v6, s[4:5]
	flat_load_ubyte v52, v[8:9] offset:256
	flat_load_ubyte v51, v[10:11] offset:256
	v_add_u32_e32 v15, 0x200, v12
	v_mov_b32_e32 v49, 0
	v_cmp_lt_u32_e64 s[4:5], v15, v7
	v_mov_b32_e32 v50, 0
	v_mov_b32_e32 v39, 0
	;; [unrolled: 1-line block ×27, first 2 shown]
	s_and_saveexec_b64 s[10:11], s[4:5]
	s_cbranch_execz .LBB287_30
; %bb.3:
	flat_load_ubyte v50, v[8:9] offset:512
	flat_load_ubyte v49, v[10:11] offset:512
	v_add_u32_e32 v15, 0x300, v12
	v_cmp_lt_u32_e64 s[4:5], v15, v7
	v_mov_b32_e32 v39, 0
	v_mov_b32_e32 v48, 0
	;; [unrolled: 1-line block ×26, first 2 shown]
	s_and_saveexec_b64 s[12:13], s[4:5]
	s_cbranch_execz .LBB287_29
; %bb.4:
	flat_load_ubyte v48, v[8:9] offset:768
	flat_load_ubyte v39, v[10:11] offset:768
	v_or_b32_e32 v15, 0x400, v12
	v_cmp_lt_u32_e64 s[4:5], v15, v7
	v_mov_b32_e32 v37, 0
	v_mov_b32_e32 v38, 0
	;; [unrolled: 1-line block ×24, first 2 shown]
	s_and_saveexec_b64 s[14:15], s[4:5]
	s_cbranch_execz .LBB287_28
; %bb.5:
	flat_load_ubyte v38, v[8:9] offset:1024
	flat_load_ubyte v37, v[10:11] offset:1024
	v_add_u32_e32 v15, 0x500, v12
	v_cmp_lt_u32_e64 s[4:5], v15, v7
	v_mov_b32_e32 v35, 0
	v_mov_b32_e32 v36, 0
	;; [unrolled: 1-line block ×22, first 2 shown]
	s_and_saveexec_b64 s[16:17], s[4:5]
	s_cbranch_execz .LBB287_27
; %bb.6:
	flat_load_ubyte v36, v[8:9] offset:1280
	flat_load_ubyte v35, v[10:11] offset:1280
	v_add_u32_e32 v15, 0x600, v12
	v_cmp_lt_u32_e64 s[4:5], v15, v7
	v_mov_b32_e32 v33, 0
	v_mov_b32_e32 v34, 0
	;; [unrolled: 1-line block ×20, first 2 shown]
	s_and_saveexec_b64 s[18:19], s[4:5]
	s_cbranch_execz .LBB287_26
; %bb.7:
	flat_load_ubyte v34, v[8:9] offset:1536
	flat_load_ubyte v33, v[10:11] offset:1536
	v_add_u32_e32 v15, 0x700, v12
	v_cmp_lt_u32_e64 s[4:5], v15, v7
	v_mov_b32_e32 v31, 0
	v_mov_b32_e32 v32, 0
	v_mov_b32_e32 v29, 0
	v_mov_b32_e32 v30, 0
	v_mov_b32_e32 v27, 0
	v_mov_b32_e32 v28, 0
	v_mov_b32_e32 v25, 0
	v_mov_b32_e32 v26, 0
	v_mov_b32_e32 v23, 0
	v_mov_b32_e32 v24, 0
	v_mov_b32_e32 v21, 0
	v_mov_b32_e32 v22, 0
	v_mov_b32_e32 v19, 0
	v_mov_b32_e32 v20, 0
	v_mov_b32_e32 v17, 0
	v_mov_b32_e32 v18, 0
	v_mov_b32_e32 v15, 0
	v_mov_b32_e32 v16, 0
	s_and_saveexec_b64 s[20:21], s[4:5]
	s_cbranch_execz .LBB287_25
; %bb.8:
	flat_load_ubyte v32, v[8:9] offset:1792
	flat_load_ubyte v31, v[10:11] offset:1792
	v_or_b32_e32 v15, 0x800, v12
	v_cmp_lt_u32_e64 s[4:5], v15, v7
	v_mov_b32_e32 v29, 0
	v_mov_b32_e32 v30, 0
	;; [unrolled: 1-line block ×16, first 2 shown]
	s_and_saveexec_b64 s[22:23], s[4:5]
	s_cbranch_execz .LBB287_24
; %bb.9:
	flat_load_ubyte v30, v[8:9] offset:2048
	flat_load_ubyte v29, v[10:11] offset:2048
	v_add_u32_e32 v15, 0x900, v12
	v_cmp_lt_u32_e64 s[4:5], v15, v7
	v_mov_b32_e32 v27, 0
	v_mov_b32_e32 v28, 0
	;; [unrolled: 1-line block ×14, first 2 shown]
	s_and_saveexec_b64 s[24:25], s[4:5]
	s_cbranch_execz .LBB287_23
; %bb.10:
	flat_load_ubyte v28, v[8:9] offset:2304
	flat_load_ubyte v27, v[10:11] offset:2304
	v_add_u32_e32 v15, 0xa00, v12
	v_cmp_lt_u32_e64 s[4:5], v15, v7
	v_mov_b32_e32 v25, 0
	v_mov_b32_e32 v26, 0
	;; [unrolled: 1-line block ×12, first 2 shown]
	s_and_saveexec_b64 s[26:27], s[4:5]
	s_cbranch_execz .LBB287_22
; %bb.11:
	flat_load_ubyte v26, v[8:9] offset:2560
	flat_load_ubyte v25, v[10:11] offset:2560
	v_add_u32_e32 v15, 0xb00, v12
	v_cmp_lt_u32_e64 s[4:5], v15, v7
	v_mov_b32_e32 v23, 0
	v_mov_b32_e32 v24, 0
	;; [unrolled: 1-line block ×10, first 2 shown]
	s_and_saveexec_b64 s[28:29], s[4:5]
	s_cbranch_execz .LBB287_21
; %bb.12:
	flat_load_ubyte v24, v[8:9] offset:2816
	flat_load_ubyte v23, v[10:11] offset:2816
	v_or_b32_e32 v15, 0xc00, v12
	v_cmp_lt_u32_e64 s[4:5], v15, v7
	v_mov_b32_e32 v21, 0
	v_mov_b32_e32 v22, 0
	;; [unrolled: 1-line block ×8, first 2 shown]
	s_and_saveexec_b64 s[40:41], s[4:5]
	s_cbranch_execz .LBB287_20
; %bb.13:
	flat_load_ubyte v22, v[8:9] offset:3072
	flat_load_ubyte v21, v[10:11] offset:3072
	v_add_u32_e32 v8, 0xd00, v12
	v_cmp_lt_u32_e64 s[4:5], v8, v7
	v_mov_b32_e32 v19, 0
	v_mov_b32_e32 v20, 0
	;; [unrolled: 1-line block ×6, first 2 shown]
	s_and_saveexec_b64 s[42:43], s[4:5]
	s_cbranch_execz .LBB287_19
; %bb.14:
	v_add_u32_e32 v10, s56, v8
	v_add_co_u32_e64 v8, s[4:5], v3, v10
	v_addc_co_u32_e64 v9, s[4:5], 0, v4, s[4:5]
	flat_load_ubyte v20, v[8:9]
	v_add_co_u32_e64 v8, s[4:5], v5, v10
	v_addc_co_u32_e64 v9, s[4:5], 0, v6, s[4:5]
	flat_load_ubyte v19, v[8:9]
	v_add_u32_e32 v8, 0xe00, v12
	v_mov_b32_e32 v17, 0
	v_cmp_lt_u32_e64 s[4:5], v8, v7
	v_mov_b32_e32 v18, 0
	v_mov_b32_e32 v15, 0
	;; [unrolled: 1-line block ×3, first 2 shown]
	s_and_saveexec_b64 s[44:45], s[4:5]
	s_cbranch_execz .LBB287_18
; %bb.15:
	v_add_u32_e32 v10, s56, v8
	v_add_co_u32_e64 v8, s[4:5], v3, v10
	v_addc_co_u32_e64 v9, s[4:5], 0, v4, s[4:5]
	flat_load_ubyte v18, v[8:9]
	v_add_co_u32_e64 v8, s[4:5], v5, v10
	v_addc_co_u32_e64 v9, s[4:5], 0, v6, s[4:5]
	flat_load_ubyte v17, v[8:9]
	v_add_u32_e32 v8, 0xf00, v12
	v_mov_b32_e32 v15, 0
	v_cmp_lt_u32_e64 s[4:5], v8, v7
	v_mov_b32_e32 v16, 0
	s_and_saveexec_b64 s[46:47], s[4:5]
	s_cbranch_execz .LBB287_17
; %bb.16:
	v_add_u32_e32 v8, s56, v8
	v_add_co_u32_e64 v5, s[4:5], v5, v8
	v_addc_co_u32_e64 v6, s[4:5], 0, v6, s[4:5]
	v_add_co_u32_e64 v3, s[4:5], v3, v8
	v_addc_co_u32_e64 v4, s[4:5], 0, v4, s[4:5]
	flat_load_ubyte v16, v[3:4]
	flat_load_ubyte v15, v[5:6]
.LBB287_17:
	s_or_b64 exec, exec, s[46:47]
.LBB287_18:
	s_or_b64 exec, exec, s[44:45]
.LBB287_19:
	s_or_b64 exec, exec, s[42:43]
.LBB287_20:
	s_or_b64 exec, exec, s[40:41]
.LBB287_21:
	s_or_b64 exec, exec, s[28:29]
.LBB287_22:
	s_or_b64 exec, exec, s[26:27]
.LBB287_23:
	s_or_b64 exec, exec, s[24:25]
.LBB287_24:
	s_or_b64 exec, exec, s[22:23]
.LBB287_25:
	s_or_b64 exec, exec, s[20:21]
.LBB287_26:
	s_or_b64 exec, exec, s[18:19]
.LBB287_27:
	s_or_b64 exec, exec, s[16:17]
.LBB287_28:
	s_or_b64 exec, exec, s[14:15]
.LBB287_29:
	s_or_b64 exec, exec, s[12:13]
.LBB287_30:
	s_or_b64 exec, exec, s[10:11]
.LBB287_31:
	s_or_b64 exec, exec, s[8:9]
.LBB287_32:
	s_or_b64 exec, exec, s[6:7]
	v_cmp_ne_u32_e64 s[4:5], 0, v0
	v_mov_b32_e32 v4, v14
	v_mov_b32_e32 v3, v14
	;; [unrolled: 1-line block ×3, first 2 shown]
	s_and_saveexec_b64 s[8:9], vcc
	s_cbranch_execz .LBB287_54
; %bb.33:
                                        ; implicit-def: $sgpr10_sgpr11
	s_and_saveexec_b64 s[6:7], s[4:5]
	s_xor_b64 s[12:13], exec, s[6:7]
	s_cbranch_execz .LBB287_43
; %bb.34:
	s_movk_i32 s6, 0x7f
	s_waitcnt vmcnt(0) lgkmcnt(0)
	v_cmp_gt_i16_sdwa s[10:11], v54, s6 src0_sel:BYTE_0 src1_sel:DWORD
	s_mov_b64 s[6:7], 0
	s_and_saveexec_b64 s[14:15], s[10:11]
	s_xor_b64 s[10:11], exec, s[14:15]
	s_cbranch_execnz .LBB287_417
; %bb.35:
	s_or_saveexec_b64 s[10:11], s[10:11]
	v_mov_b32_e32 v0, 0x7f800001
	s_xor_b64 exec, exec, s[10:11]
	s_cbranch_execnz .LBB287_420
.LBB287_36:
	s_or_b64 exec, exec, s[10:11]
	s_and_saveexec_b64 s[10:11], s[6:7]
	s_cbranch_execz .LBB287_38
.LBB287_37:
	v_and_b32_e32 v3, 7, v54
	v_ffbh_u32_e32 v4, v3
	v_min_u32_e32 v4, 32, v4
	v_lshrrev_b16_e32 v0, 3, v54
	v_subrev_u32_e32 v5, 28, v4
	v_and_b32_e32 v0, 15, v0
	v_lshlrev_b32_e32 v5, v5, v54
	v_sub_u32_e32 v4, 29, v4
	v_and_b32_e32 v5, 7, v5
	v_cmp_eq_u32_e64 s[6:7], 0, v0
	v_cndmask_b32_e64 v0, v0, v4, s[6:7]
	v_cndmask_b32_e64 v3, v3, v5, s[6:7]
	v_lshlrev_b32_e32 v4, 24, v54
	v_mov_b32_e32 v5, 0x3b800000
	v_lshlrev_b32_e32 v3, 20, v3
	v_and_b32_e32 v4, 0x80000000, v4
	v_lshl_add_u32 v0, v0, 23, v5
	v_or3_b32 v0, v4, v0, v3
.LBB287_38:
	s_or_b64 exec, exec, s[10:11]
	s_movk_i32 s6, 0x7f
	v_cmp_gt_i16_sdwa s[10:11], v53, s6 src0_sel:BYTE_0 src1_sel:DWORD
	s_mov_b64 s[6:7], 0
	s_and_saveexec_b64 s[14:15], s[10:11]
	s_xor_b64 s[10:11], exec, s[14:15]
	s_cbranch_execnz .LBB287_421
; %bb.39:
	s_or_saveexec_b64 s[10:11], s[10:11]
	v_mov_b32_e32 v3, 0x7f800001
	s_xor_b64 exec, exec, s[10:11]
	s_cbranch_execnz .LBB287_424
.LBB287_40:
	s_or_b64 exec, exec, s[10:11]
	s_and_saveexec_b64 s[10:11], s[6:7]
	s_cbranch_execz .LBB287_42
.LBB287_41:
	v_and_b32_e32 v4, 7, v53
	v_ffbh_u32_e32 v5, v4
	v_min_u32_e32 v5, 32, v5
	v_lshrrev_b16_e32 v3, 3, v53
	v_subrev_u32_e32 v6, 28, v5
	v_and_b32_e32 v3, 15, v3
	v_lshlrev_b32_e32 v6, v6, v53
	v_sub_u32_e32 v5, 29, v5
	v_and_b32_e32 v6, 7, v6
	v_cmp_eq_u32_e64 s[6:7], 0, v3
	v_cndmask_b32_e64 v3, v3, v5, s[6:7]
	v_cndmask_b32_e64 v4, v4, v6, s[6:7]
	v_lshlrev_b32_e32 v5, 24, v53
	v_mov_b32_e32 v6, 0x3b800000
	v_lshlrev_b32_e32 v4, 20, v4
	v_and_b32_e32 v5, 0x80000000, v5
	v_lshl_add_u32 v3, v3, 23, v6
	v_or3_b32 v3, v5, v3, v4
.LBB287_42:
	s_or_b64 exec, exec, s[10:11]
	v_cmp_neq_f32_e64 s[10:11], v0, v3
                                        ; implicit-def: $vgpr53
                                        ; implicit-def: $vgpr54
.LBB287_43:
	s_andn2_saveexec_b64 s[12:13], s[12:13]
	s_cbranch_execz .LBB287_53
; %bb.44:
	s_movk_i32 s6, 0x7f
	s_waitcnt vmcnt(0) lgkmcnt(0)
	v_cmp_gt_i16_sdwa s[14:15], v54, s6 src0_sel:BYTE_0 src1_sel:DWORD
	s_mov_b64 s[6:7], 0
	s_and_saveexec_b64 s[16:17], s[14:15]
	s_xor_b64 s[14:15], exec, s[16:17]
	s_cbranch_execnz .LBB287_425
; %bb.45:
	s_or_saveexec_b64 s[14:15], s[14:15]
	v_mov_b32_e32 v0, 0x7f800001
	s_xor_b64 exec, exec, s[14:15]
	s_cbranch_execnz .LBB287_428
.LBB287_46:
	s_or_b64 exec, exec, s[14:15]
	s_and_saveexec_b64 s[14:15], s[6:7]
	s_cbranch_execz .LBB287_48
.LBB287_47:
	v_and_b32_e32 v3, 7, v54
	v_ffbh_u32_e32 v4, v3
	v_min_u32_e32 v4, 32, v4
	v_lshrrev_b16_e32 v0, 3, v54
	v_subrev_u32_e32 v5, 28, v4
	v_and_b32_e32 v0, 15, v0
	v_lshlrev_b32_e32 v5, v5, v54
	v_sub_u32_e32 v4, 29, v4
	v_and_b32_e32 v5, 7, v5
	v_cmp_eq_u32_e64 s[6:7], 0, v0
	v_cndmask_b32_e64 v0, v0, v4, s[6:7]
	v_cndmask_b32_e64 v3, v3, v5, s[6:7]
	v_lshlrev_b32_e32 v4, 24, v54
	v_mov_b32_e32 v5, 0x3b800000
	v_lshlrev_b32_e32 v3, 20, v3
	v_and_b32_e32 v4, 0x80000000, v4
	v_lshl_add_u32 v0, v0, 23, v5
	v_or3_b32 v0, v4, v0, v3
.LBB287_48:
	s_or_b64 exec, exec, s[14:15]
	s_movk_i32 s6, 0x7f
	v_cmp_gt_i16_sdwa s[14:15], v53, s6 src0_sel:BYTE_0 src1_sel:DWORD
	s_mov_b64 s[6:7], 0
	s_and_saveexec_b64 s[16:17], s[14:15]
	s_xor_b64 s[14:15], exec, s[16:17]
	s_cbranch_execnz .LBB287_429
; %bb.49:
	s_or_saveexec_b64 s[14:15], s[14:15]
	v_mov_b32_e32 v3, 0x7f800001
	s_xor_b64 exec, exec, s[14:15]
	s_cbranch_execnz .LBB287_432
.LBB287_50:
	s_or_b64 exec, exec, s[14:15]
	s_and_saveexec_b64 s[14:15], s[6:7]
	s_cbranch_execz .LBB287_52
.LBB287_51:
	v_and_b32_e32 v4, 7, v53
	v_ffbh_u32_e32 v5, v4
	v_min_u32_e32 v5, 32, v5
	v_lshrrev_b16_e32 v3, 3, v53
	v_subrev_u32_e32 v6, 28, v5
	v_and_b32_e32 v3, 15, v3
	v_lshlrev_b32_e32 v6, v6, v53
	v_sub_u32_e32 v5, 29, v5
	v_and_b32_e32 v6, 7, v6
	v_cmp_eq_u32_e64 s[6:7], 0, v3
	v_cndmask_b32_e64 v3, v3, v5, s[6:7]
	v_cndmask_b32_e64 v4, v4, v6, s[6:7]
	v_lshlrev_b32_e32 v5, 24, v53
	v_mov_b32_e32 v6, 0x3b800000
	v_lshlrev_b32_e32 v4, 20, v4
	v_and_b32_e32 v5, 0x80000000, v5
	v_lshl_add_u32 v3, v3, 23, v6
	v_or3_b32 v3, v5, v3, v4
.LBB287_52:
	s_or_b64 exec, exec, s[14:15]
	v_cmp_eq_f32_e64 s[6:7], v0, v3
	s_andn2_b64 s[10:11], s[10:11], exec
	s_and_b64 s[6:7], s[6:7], exec
	s_or_b64 s[10:11], s[10:11], s[6:7]
.LBB287_53:
	s_or_b64 exec, exec, s[12:13]
	v_cndmask_b32_e64 v0, 0, 1, s[10:11]
	v_mov_b32_e32 v4, 0
	v_and_b32_e32 v14, 0xffff, v0
	v_mov_b32_e32 v3, v4
	v_mov_b32_e32 v0, v4
.LBB287_54:
	s_or_b64 exec, exec, s[8:9]
	v_add_u32_e32 v5, 0x100, v12
	v_cmp_lt_i32_e64 s[6:7], v5, v7
	s_and_saveexec_b64 s[8:9], s[6:7]
	s_cbranch_execz .LBB287_76
; %bb.55:
                                        ; implicit-def: $sgpr10_sgpr11
	s_and_saveexec_b64 s[6:7], s[4:5]
	s_xor_b64 s[12:13], exec, s[6:7]
	s_cbranch_execz .LBB287_65
; %bb.56:
	s_movk_i32 s6, 0x7f
	s_waitcnt vmcnt(0) lgkmcnt(0)
	v_cmp_gt_i16_sdwa s[10:11], v52, s6 src0_sel:BYTE_0 src1_sel:DWORD
	s_mov_b64 s[6:7], 0
	s_and_saveexec_b64 s[14:15], s[10:11]
	s_xor_b64 s[10:11], exec, s[14:15]
	s_cbranch_execnz .LBB287_433
; %bb.57:
	s_or_saveexec_b64 s[10:11], s[10:11]
	v_mov_b32_e32 v6, 0x7f800001
	s_xor_b64 exec, exec, s[10:11]
	s_cbranch_execnz .LBB287_436
.LBB287_58:
	s_or_b64 exec, exec, s[10:11]
	s_and_saveexec_b64 s[10:11], s[6:7]
	s_cbranch_execz .LBB287_60
.LBB287_59:
	v_and_b32_e32 v8, 7, v52
	v_ffbh_u32_e32 v9, v8
	v_min_u32_e32 v9, 32, v9
	v_lshrrev_b16_e32 v6, 3, v52
	v_subrev_u32_e32 v10, 28, v9
	v_and_b32_e32 v6, 15, v6
	v_lshlrev_b32_e32 v10, v10, v52
	v_sub_u32_e32 v9, 29, v9
	v_and_b32_e32 v10, 7, v10
	v_cmp_eq_u32_e64 s[6:7], 0, v6
	v_cndmask_b32_e64 v6, v6, v9, s[6:7]
	v_cndmask_b32_e64 v8, v8, v10, s[6:7]
	v_lshlrev_b32_e32 v9, 24, v52
	v_mov_b32_e32 v10, 0x3b800000
	v_lshlrev_b32_e32 v8, 20, v8
	v_and_b32_e32 v9, 0x80000000, v9
	v_lshl_add_u32 v6, v6, 23, v10
	v_or3_b32 v6, v9, v6, v8
.LBB287_60:
	s_or_b64 exec, exec, s[10:11]
	s_movk_i32 s6, 0x7f
	v_cmp_gt_i16_sdwa s[10:11], v51, s6 src0_sel:BYTE_0 src1_sel:DWORD
	s_mov_b64 s[6:7], 0
	s_and_saveexec_b64 s[14:15], s[10:11]
	s_xor_b64 s[10:11], exec, s[14:15]
	s_cbranch_execnz .LBB287_437
; %bb.61:
	s_or_saveexec_b64 s[10:11], s[10:11]
	v_mov_b32_e32 v8, 0x7f800001
	s_xor_b64 exec, exec, s[10:11]
	s_cbranch_execnz .LBB287_440
.LBB287_62:
	s_or_b64 exec, exec, s[10:11]
	s_and_saveexec_b64 s[10:11], s[6:7]
	s_cbranch_execz .LBB287_64
.LBB287_63:
	v_and_b32_e32 v9, 7, v51
	v_ffbh_u32_e32 v10, v9
	v_min_u32_e32 v10, 32, v10
	v_lshrrev_b16_e32 v8, 3, v51
	v_subrev_u32_e32 v11, 28, v10
	v_and_b32_e32 v8, 15, v8
	v_lshlrev_b32_e32 v11, v11, v51
	v_sub_u32_e32 v10, 29, v10
	v_and_b32_e32 v11, 7, v11
	v_cmp_eq_u32_e64 s[6:7], 0, v8
	v_cndmask_b32_e64 v8, v8, v10, s[6:7]
	v_cndmask_b32_e64 v9, v9, v11, s[6:7]
	v_lshlrev_b32_e32 v10, 24, v51
	v_mov_b32_e32 v11, 0x3b800000
	v_lshlrev_b32_e32 v9, 20, v9
	v_and_b32_e32 v10, 0x80000000, v10
	v_lshl_add_u32 v8, v8, 23, v11
	v_or3_b32 v8, v10, v8, v9
.LBB287_64:
	s_or_b64 exec, exec, s[10:11]
	v_cmp_neq_f32_e64 s[10:11], v6, v8
                                        ; implicit-def: $vgpr51
                                        ; implicit-def: $vgpr52
.LBB287_65:
	s_andn2_saveexec_b64 s[12:13], s[12:13]
	s_cbranch_execz .LBB287_75
; %bb.66:
	s_movk_i32 s6, 0x7f
	s_waitcnt vmcnt(0) lgkmcnt(0)
	v_cmp_gt_i16_sdwa s[14:15], v52, s6 src0_sel:BYTE_0 src1_sel:DWORD
	s_mov_b64 s[6:7], 0
	s_and_saveexec_b64 s[16:17], s[14:15]
	s_xor_b64 s[14:15], exec, s[16:17]
	s_cbranch_execnz .LBB287_441
; %bb.67:
	s_or_saveexec_b64 s[14:15], s[14:15]
	v_mov_b32_e32 v6, 0x7f800001
	s_xor_b64 exec, exec, s[14:15]
	s_cbranch_execnz .LBB287_444
.LBB287_68:
	s_or_b64 exec, exec, s[14:15]
	s_and_saveexec_b64 s[14:15], s[6:7]
	s_cbranch_execz .LBB287_70
.LBB287_69:
	v_and_b32_e32 v8, 7, v52
	v_ffbh_u32_e32 v9, v8
	v_min_u32_e32 v9, 32, v9
	v_lshrrev_b16_e32 v6, 3, v52
	v_subrev_u32_e32 v10, 28, v9
	v_and_b32_e32 v6, 15, v6
	v_lshlrev_b32_e32 v10, v10, v52
	v_sub_u32_e32 v9, 29, v9
	v_and_b32_e32 v10, 7, v10
	v_cmp_eq_u32_e64 s[6:7], 0, v6
	v_cndmask_b32_e64 v6, v6, v9, s[6:7]
	v_cndmask_b32_e64 v8, v8, v10, s[6:7]
	v_lshlrev_b32_e32 v9, 24, v52
	v_mov_b32_e32 v10, 0x3b800000
	v_lshlrev_b32_e32 v8, 20, v8
	v_and_b32_e32 v9, 0x80000000, v9
	v_lshl_add_u32 v6, v6, 23, v10
	v_or3_b32 v6, v9, v6, v8
.LBB287_70:
	s_or_b64 exec, exec, s[14:15]
	s_movk_i32 s6, 0x7f
	v_cmp_gt_i16_sdwa s[14:15], v51, s6 src0_sel:BYTE_0 src1_sel:DWORD
	s_mov_b64 s[6:7], 0
	s_and_saveexec_b64 s[16:17], s[14:15]
	s_xor_b64 s[14:15], exec, s[16:17]
	s_cbranch_execnz .LBB287_445
; %bb.71:
	s_or_saveexec_b64 s[14:15], s[14:15]
	v_mov_b32_e32 v8, 0x7f800001
	s_xor_b64 exec, exec, s[14:15]
	s_cbranch_execnz .LBB287_448
.LBB287_72:
	s_or_b64 exec, exec, s[14:15]
	s_and_saveexec_b64 s[14:15], s[6:7]
	s_cbranch_execz .LBB287_74
.LBB287_73:
	v_and_b32_e32 v9, 7, v51
	v_ffbh_u32_e32 v10, v9
	v_min_u32_e32 v10, 32, v10
	v_lshrrev_b16_e32 v8, 3, v51
	v_subrev_u32_e32 v11, 28, v10
	v_and_b32_e32 v8, 15, v8
	v_lshlrev_b32_e32 v11, v11, v51
	v_sub_u32_e32 v10, 29, v10
	v_and_b32_e32 v11, 7, v11
	v_cmp_eq_u32_e64 s[6:7], 0, v8
	v_cndmask_b32_e64 v8, v8, v10, s[6:7]
	v_cndmask_b32_e64 v9, v9, v11, s[6:7]
	v_lshlrev_b32_e32 v10, 24, v51
	v_mov_b32_e32 v11, 0x3b800000
	v_lshlrev_b32_e32 v9, 20, v9
	v_and_b32_e32 v10, 0x80000000, v10
	v_lshl_add_u32 v8, v8, 23, v11
	v_or3_b32 v8, v10, v8, v9
.LBB287_74:
	s_or_b64 exec, exec, s[14:15]
	v_cmp_eq_f32_e64 s[6:7], v6, v8
	s_andn2_b64 s[10:11], s[10:11], exec
	s_and_b64 s[6:7], s[6:7], exec
	s_or_b64 s[10:11], s[10:11], s[6:7]
.LBB287_75:
	s_or_b64 exec, exec, s[12:13]
	v_cndmask_b32_e64 v6, 0, 1, s[10:11]
	v_lshlrev_b16_e32 v6, 8, v6
	v_or_b32_sdwa v6, v14, v6 dst_sel:DWORD dst_unused:UNUSED_PAD src0_sel:BYTE_0 src1_sel:DWORD
	v_and_b32_e32 v6, 0xffff, v6
	s_mov_b32 s6, 0xffff0000
	v_and_or_b32 v14, v14, s6, v6
.LBB287_76:
	s_or_b64 exec, exec, s[8:9]
	v_add_u32_e32 v6, 0x200, v12
	v_cmp_lt_i32_e64 s[6:7], v6, v7
	s_and_saveexec_b64 s[8:9], s[6:7]
	s_cbranch_execz .LBB287_98
; %bb.77:
                                        ; implicit-def: $sgpr10_sgpr11
	s_and_saveexec_b64 s[6:7], s[4:5]
	s_xor_b64 s[12:13], exec, s[6:7]
	s_cbranch_execz .LBB287_87
; %bb.78:
	s_movk_i32 s6, 0x7f
	s_waitcnt vmcnt(0) lgkmcnt(0)
	v_cmp_gt_i16_sdwa s[10:11], v50, s6 src0_sel:BYTE_0 src1_sel:DWORD
	s_mov_b64 s[6:7], 0
	s_and_saveexec_b64 s[14:15], s[10:11]
	s_xor_b64 s[10:11], exec, s[14:15]
	s_cbranch_execnz .LBB287_449
; %bb.79:
	s_or_saveexec_b64 s[10:11], s[10:11]
	v_mov_b32_e32 v6, 0x7f800001
	s_xor_b64 exec, exec, s[10:11]
	s_cbranch_execnz .LBB287_452
.LBB287_80:
	s_or_b64 exec, exec, s[10:11]
	s_and_saveexec_b64 s[10:11], s[6:7]
	s_cbranch_execz .LBB287_82
.LBB287_81:
	v_and_b32_e32 v8, 7, v50
	v_ffbh_u32_e32 v9, v8
	v_min_u32_e32 v9, 32, v9
	v_lshrrev_b16_e32 v6, 3, v50
	v_subrev_u32_e32 v10, 28, v9
	v_and_b32_e32 v6, 15, v6
	v_lshlrev_b32_e32 v10, v10, v50
	v_sub_u32_e32 v9, 29, v9
	v_and_b32_e32 v10, 7, v10
	v_cmp_eq_u32_e64 s[6:7], 0, v6
	v_cndmask_b32_e64 v6, v6, v9, s[6:7]
	v_cndmask_b32_e64 v8, v8, v10, s[6:7]
	v_lshlrev_b32_e32 v9, 24, v50
	v_mov_b32_e32 v10, 0x3b800000
	v_lshlrev_b32_e32 v8, 20, v8
	v_and_b32_e32 v9, 0x80000000, v9
	v_lshl_add_u32 v6, v6, 23, v10
	v_or3_b32 v6, v9, v6, v8
.LBB287_82:
	s_or_b64 exec, exec, s[10:11]
	s_movk_i32 s6, 0x7f
	v_cmp_gt_i16_sdwa s[10:11], v49, s6 src0_sel:BYTE_0 src1_sel:DWORD
	s_mov_b64 s[6:7], 0
	s_and_saveexec_b64 s[14:15], s[10:11]
	s_xor_b64 s[10:11], exec, s[14:15]
	s_cbranch_execnz .LBB287_453
; %bb.83:
	s_or_saveexec_b64 s[10:11], s[10:11]
	v_mov_b32_e32 v8, 0x7f800001
	s_xor_b64 exec, exec, s[10:11]
	s_cbranch_execnz .LBB287_456
.LBB287_84:
	s_or_b64 exec, exec, s[10:11]
	s_and_saveexec_b64 s[10:11], s[6:7]
	s_cbranch_execz .LBB287_86
.LBB287_85:
	v_and_b32_e32 v9, 7, v49
	v_ffbh_u32_e32 v10, v9
	v_min_u32_e32 v10, 32, v10
	v_lshrrev_b16_e32 v8, 3, v49
	v_subrev_u32_e32 v11, 28, v10
	v_and_b32_e32 v8, 15, v8
	v_lshlrev_b32_e32 v11, v11, v49
	v_sub_u32_e32 v10, 29, v10
	v_and_b32_e32 v11, 7, v11
	v_cmp_eq_u32_e64 s[6:7], 0, v8
	v_cndmask_b32_e64 v8, v8, v10, s[6:7]
	v_cndmask_b32_e64 v9, v9, v11, s[6:7]
	v_lshlrev_b32_e32 v10, 24, v49
	v_mov_b32_e32 v11, 0x3b800000
	v_lshlrev_b32_e32 v9, 20, v9
	v_and_b32_e32 v10, 0x80000000, v10
	v_lshl_add_u32 v8, v8, 23, v11
	v_or3_b32 v8, v10, v8, v9
.LBB287_86:
	s_or_b64 exec, exec, s[10:11]
	v_cmp_neq_f32_e64 s[10:11], v6, v8
                                        ; implicit-def: $vgpr49
                                        ; implicit-def: $vgpr50
.LBB287_87:
	s_andn2_saveexec_b64 s[12:13], s[12:13]
	s_cbranch_execz .LBB287_97
; %bb.88:
	s_movk_i32 s6, 0x7f
	s_waitcnt vmcnt(0) lgkmcnt(0)
	v_cmp_gt_i16_sdwa s[14:15], v50, s6 src0_sel:BYTE_0 src1_sel:DWORD
	s_mov_b64 s[6:7], 0
	s_and_saveexec_b64 s[16:17], s[14:15]
	s_xor_b64 s[14:15], exec, s[16:17]
	s_cbranch_execnz .LBB287_457
; %bb.89:
	s_or_saveexec_b64 s[14:15], s[14:15]
	v_mov_b32_e32 v6, 0x7f800001
	s_xor_b64 exec, exec, s[14:15]
	s_cbranch_execnz .LBB287_460
.LBB287_90:
	s_or_b64 exec, exec, s[14:15]
	s_and_saveexec_b64 s[14:15], s[6:7]
	s_cbranch_execz .LBB287_92
.LBB287_91:
	v_and_b32_e32 v8, 7, v50
	v_ffbh_u32_e32 v9, v8
	v_min_u32_e32 v9, 32, v9
	v_lshrrev_b16_e32 v6, 3, v50
	v_subrev_u32_e32 v10, 28, v9
	v_and_b32_e32 v6, 15, v6
	v_lshlrev_b32_e32 v10, v10, v50
	v_sub_u32_e32 v9, 29, v9
	v_and_b32_e32 v10, 7, v10
	v_cmp_eq_u32_e64 s[6:7], 0, v6
	v_cndmask_b32_e64 v6, v6, v9, s[6:7]
	v_cndmask_b32_e64 v8, v8, v10, s[6:7]
	v_lshlrev_b32_e32 v9, 24, v50
	v_mov_b32_e32 v10, 0x3b800000
	v_lshlrev_b32_e32 v8, 20, v8
	v_and_b32_e32 v9, 0x80000000, v9
	v_lshl_add_u32 v6, v6, 23, v10
	v_or3_b32 v6, v9, v6, v8
.LBB287_92:
	s_or_b64 exec, exec, s[14:15]
	s_movk_i32 s6, 0x7f
	v_cmp_gt_i16_sdwa s[14:15], v49, s6 src0_sel:BYTE_0 src1_sel:DWORD
	s_mov_b64 s[6:7], 0
	s_and_saveexec_b64 s[16:17], s[14:15]
	s_xor_b64 s[14:15], exec, s[16:17]
	s_cbranch_execnz .LBB287_461
; %bb.93:
	s_or_saveexec_b64 s[14:15], s[14:15]
	v_mov_b32_e32 v8, 0x7f800001
	s_xor_b64 exec, exec, s[14:15]
	s_cbranch_execnz .LBB287_464
.LBB287_94:
	s_or_b64 exec, exec, s[14:15]
	s_and_saveexec_b64 s[14:15], s[6:7]
	s_cbranch_execz .LBB287_96
.LBB287_95:
	v_and_b32_e32 v9, 7, v49
	v_ffbh_u32_e32 v10, v9
	v_min_u32_e32 v10, 32, v10
	v_lshrrev_b16_e32 v8, 3, v49
	v_subrev_u32_e32 v11, 28, v10
	v_and_b32_e32 v8, 15, v8
	v_lshlrev_b32_e32 v11, v11, v49
	v_sub_u32_e32 v10, 29, v10
	v_and_b32_e32 v11, 7, v11
	v_cmp_eq_u32_e64 s[6:7], 0, v8
	v_cndmask_b32_e64 v8, v8, v10, s[6:7]
	v_cndmask_b32_e64 v9, v9, v11, s[6:7]
	v_lshlrev_b32_e32 v10, 24, v49
	v_mov_b32_e32 v11, 0x3b800000
	v_lshlrev_b32_e32 v9, 20, v9
	v_and_b32_e32 v10, 0x80000000, v10
	v_lshl_add_u32 v8, v8, 23, v11
	v_or3_b32 v8, v10, v8, v9
.LBB287_96:
	s_or_b64 exec, exec, s[14:15]
	v_cmp_eq_f32_e64 s[6:7], v6, v8
	s_andn2_b64 s[10:11], s[10:11], exec
	s_and_b64 s[6:7], s[6:7], exec
	s_or_b64 s[10:11], s[10:11], s[6:7]
.LBB287_97:
	s_or_b64 exec, exec, s[12:13]
	s_movk_i32 s6, 0xff00
	v_and_b32_sdwa v6, v14, s6 dst_sel:DWORD dst_unused:UNUSED_PAD src0_sel:WORD_1 src1_sel:DWORD
	v_cndmask_b32_e64 v8, 0, 1, s[10:11]
	v_or_b32_sdwa v6, v8, v6 dst_sel:WORD_1 dst_unused:UNUSED_PAD src0_sel:DWORD src1_sel:DWORD
	s_mov_b32 s6, 0xffff
	v_and_or_b32 v14, v14, s6, v6
.LBB287_98:
	s_or_b64 exec, exec, s[8:9]
	v_add_u32_e32 v6, 0x300, v12
	v_cmp_lt_i32_e64 s[6:7], v6, v7
	s_and_saveexec_b64 s[8:9], s[6:7]
	s_cbranch_execz .LBB287_120
; %bb.99:
                                        ; implicit-def: $sgpr10_sgpr11
	s_and_saveexec_b64 s[6:7], s[4:5]
	s_xor_b64 s[12:13], exec, s[6:7]
	s_cbranch_execz .LBB287_109
; %bb.100:
	s_movk_i32 s6, 0x7f
	s_waitcnt vmcnt(0) lgkmcnt(0)
	v_cmp_gt_i16_sdwa s[10:11], v48, s6 src0_sel:BYTE_0 src1_sel:DWORD
	s_mov_b64 s[6:7], 0
	s_and_saveexec_b64 s[14:15], s[10:11]
	s_xor_b64 s[10:11], exec, s[14:15]
	s_cbranch_execnz .LBB287_465
; %bb.101:
	s_or_saveexec_b64 s[10:11], s[10:11]
	v_mov_b32_e32 v6, 0x7f800001
	s_xor_b64 exec, exec, s[10:11]
	s_cbranch_execnz .LBB287_468
.LBB287_102:
	s_or_b64 exec, exec, s[10:11]
	s_and_saveexec_b64 s[10:11], s[6:7]
	s_cbranch_execz .LBB287_104
.LBB287_103:
	v_and_b32_e32 v8, 7, v48
	v_ffbh_u32_e32 v9, v8
	v_min_u32_e32 v9, 32, v9
	v_lshrrev_b16_e32 v6, 3, v48
	v_subrev_u32_e32 v10, 28, v9
	v_and_b32_e32 v6, 15, v6
	v_lshlrev_b32_e32 v10, v10, v48
	v_sub_u32_e32 v9, 29, v9
	v_and_b32_e32 v10, 7, v10
	v_cmp_eq_u32_e64 s[6:7], 0, v6
	v_cndmask_b32_e64 v6, v6, v9, s[6:7]
	v_cndmask_b32_e64 v8, v8, v10, s[6:7]
	v_lshlrev_b32_e32 v9, 24, v48
	v_mov_b32_e32 v10, 0x3b800000
	v_lshlrev_b32_e32 v8, 20, v8
	v_and_b32_e32 v9, 0x80000000, v9
	v_lshl_add_u32 v6, v6, 23, v10
	v_or3_b32 v6, v9, v6, v8
.LBB287_104:
	s_or_b64 exec, exec, s[10:11]
	s_movk_i32 s6, 0x7f
	v_cmp_gt_i16_sdwa s[10:11], v39, s6 src0_sel:BYTE_0 src1_sel:DWORD
	s_mov_b64 s[6:7], 0
	s_and_saveexec_b64 s[14:15], s[10:11]
	s_xor_b64 s[10:11], exec, s[14:15]
	s_cbranch_execnz .LBB287_469
; %bb.105:
	s_or_saveexec_b64 s[10:11], s[10:11]
	v_mov_b32_e32 v8, 0x7f800001
	s_xor_b64 exec, exec, s[10:11]
	s_cbranch_execnz .LBB287_472
.LBB287_106:
	s_or_b64 exec, exec, s[10:11]
	s_and_saveexec_b64 s[10:11], s[6:7]
	s_cbranch_execz .LBB287_108
.LBB287_107:
	v_and_b32_e32 v9, 7, v39
	v_ffbh_u32_e32 v10, v9
	v_min_u32_e32 v10, 32, v10
	v_lshrrev_b16_e32 v8, 3, v39
	v_subrev_u32_e32 v11, 28, v10
	v_and_b32_e32 v8, 15, v8
	v_lshlrev_b32_e32 v11, v11, v39
	v_sub_u32_e32 v10, 29, v10
	v_and_b32_e32 v11, 7, v11
	v_cmp_eq_u32_e64 s[6:7], 0, v8
	v_cndmask_b32_e64 v8, v8, v10, s[6:7]
	v_cndmask_b32_e64 v9, v9, v11, s[6:7]
	v_lshlrev_b32_e32 v10, 24, v39
	v_mov_b32_e32 v11, 0x3b800000
	v_lshlrev_b32_e32 v9, 20, v9
	v_and_b32_e32 v10, 0x80000000, v10
	v_lshl_add_u32 v8, v8, 23, v11
	v_or3_b32 v8, v10, v8, v9
.LBB287_108:
	s_or_b64 exec, exec, s[10:11]
	v_cmp_neq_f32_e64 s[10:11], v6, v8
                                        ; implicit-def: $vgpr39
                                        ; implicit-def: $vgpr48
.LBB287_109:
	s_andn2_saveexec_b64 s[12:13], s[12:13]
	s_cbranch_execz .LBB287_119
; %bb.110:
	s_movk_i32 s6, 0x7f
	s_waitcnt vmcnt(0) lgkmcnt(0)
	v_cmp_gt_i16_sdwa s[14:15], v48, s6 src0_sel:BYTE_0 src1_sel:DWORD
	s_mov_b64 s[6:7], 0
	s_and_saveexec_b64 s[16:17], s[14:15]
	s_xor_b64 s[14:15], exec, s[16:17]
	s_cbranch_execnz .LBB287_473
; %bb.111:
	s_or_saveexec_b64 s[14:15], s[14:15]
	v_mov_b32_e32 v6, 0x7f800001
	s_xor_b64 exec, exec, s[14:15]
	s_cbranch_execnz .LBB287_476
.LBB287_112:
	s_or_b64 exec, exec, s[14:15]
	s_and_saveexec_b64 s[14:15], s[6:7]
	s_cbranch_execz .LBB287_114
.LBB287_113:
	v_and_b32_e32 v8, 7, v48
	v_ffbh_u32_e32 v9, v8
	v_min_u32_e32 v9, 32, v9
	v_lshrrev_b16_e32 v6, 3, v48
	v_subrev_u32_e32 v10, 28, v9
	v_and_b32_e32 v6, 15, v6
	v_lshlrev_b32_e32 v10, v10, v48
	v_sub_u32_e32 v9, 29, v9
	v_and_b32_e32 v10, 7, v10
	v_cmp_eq_u32_e64 s[6:7], 0, v6
	v_cndmask_b32_e64 v6, v6, v9, s[6:7]
	v_cndmask_b32_e64 v8, v8, v10, s[6:7]
	v_lshlrev_b32_e32 v9, 24, v48
	v_mov_b32_e32 v10, 0x3b800000
	v_lshlrev_b32_e32 v8, 20, v8
	v_and_b32_e32 v9, 0x80000000, v9
	v_lshl_add_u32 v6, v6, 23, v10
	v_or3_b32 v6, v9, v6, v8
.LBB287_114:
	s_or_b64 exec, exec, s[14:15]
	s_movk_i32 s6, 0x7f
	v_cmp_gt_i16_sdwa s[14:15], v39, s6 src0_sel:BYTE_0 src1_sel:DWORD
	s_mov_b64 s[6:7], 0
	s_and_saveexec_b64 s[16:17], s[14:15]
	s_xor_b64 s[14:15], exec, s[16:17]
	s_cbranch_execnz .LBB287_477
; %bb.115:
	s_or_saveexec_b64 s[14:15], s[14:15]
	v_mov_b32_e32 v8, 0x7f800001
	s_xor_b64 exec, exec, s[14:15]
	s_cbranch_execnz .LBB287_480
.LBB287_116:
	s_or_b64 exec, exec, s[14:15]
	s_and_saveexec_b64 s[14:15], s[6:7]
	s_cbranch_execz .LBB287_118
.LBB287_117:
	v_and_b32_e32 v9, 7, v39
	v_ffbh_u32_e32 v10, v9
	v_min_u32_e32 v10, 32, v10
	v_lshrrev_b16_e32 v8, 3, v39
	v_subrev_u32_e32 v11, 28, v10
	v_and_b32_e32 v8, 15, v8
	v_lshlrev_b32_e32 v11, v11, v39
	v_sub_u32_e32 v10, 29, v10
	v_and_b32_e32 v11, 7, v11
	v_cmp_eq_u32_e64 s[6:7], 0, v8
	v_cndmask_b32_e64 v8, v8, v10, s[6:7]
	v_cndmask_b32_e64 v9, v9, v11, s[6:7]
	v_lshlrev_b32_e32 v10, 24, v39
	v_mov_b32_e32 v11, 0x3b800000
	v_lshlrev_b32_e32 v9, 20, v9
	v_and_b32_e32 v10, 0x80000000, v10
	v_lshl_add_u32 v8, v8, 23, v11
	v_or3_b32 v8, v10, v8, v9
.LBB287_118:
	s_or_b64 exec, exec, s[14:15]
	v_cmp_eq_f32_e64 s[6:7], v6, v8
	s_andn2_b64 s[10:11], s[10:11], exec
	s_and_b64 s[6:7], s[6:7], exec
	s_or_b64 s[10:11], s[10:11], s[6:7]
.LBB287_119:
	s_or_b64 exec, exec, s[12:13]
	s_movk_i32 s6, 0xff
	v_cndmask_b32_e64 v8, 0, 1, s[10:11]
	v_and_b32_sdwa v6, v14, s6 dst_sel:DWORD dst_unused:UNUSED_PAD src0_sel:WORD_1 src1_sel:DWORD
	v_lshlrev_b16_e32 v8, 8, v8
	v_or_b32_sdwa v6, v6, v8 dst_sel:WORD_1 dst_unused:UNUSED_PAD src0_sel:DWORD src1_sel:DWORD
	s_mov_b32 s6, 0xffff
	v_and_or_b32 v14, v14, s6, v6
.LBB287_120:
	s_or_b64 exec, exec, s[8:9]
	v_or_b32_e32 v6, 0x400, v12
	v_cmp_lt_i32_e64 s[6:7], v6, v7
	s_and_saveexec_b64 s[8:9], s[6:7]
	s_cbranch_execz .LBB287_142
; %bb.121:
                                        ; implicit-def: $sgpr10_sgpr11
	s_and_saveexec_b64 s[6:7], s[4:5]
	s_xor_b64 s[12:13], exec, s[6:7]
	s_cbranch_execz .LBB287_131
; %bb.122:
	s_movk_i32 s6, 0x7f
	s_waitcnt vmcnt(0) lgkmcnt(0)
	v_cmp_gt_i16_sdwa s[10:11], v38, s6 src0_sel:BYTE_0 src1_sel:DWORD
	s_mov_b64 s[6:7], 0
	s_and_saveexec_b64 s[14:15], s[10:11]
	s_xor_b64 s[10:11], exec, s[14:15]
	s_cbranch_execnz .LBB287_481
; %bb.123:
	s_or_saveexec_b64 s[10:11], s[10:11]
	v_mov_b32_e32 v6, 0x7f800001
	s_xor_b64 exec, exec, s[10:11]
	s_cbranch_execnz .LBB287_484
.LBB287_124:
	s_or_b64 exec, exec, s[10:11]
	s_and_saveexec_b64 s[10:11], s[6:7]
	s_cbranch_execz .LBB287_126
.LBB287_125:
	v_and_b32_e32 v8, 7, v38
	v_ffbh_u32_e32 v9, v8
	v_min_u32_e32 v9, 32, v9
	v_lshrrev_b16_e32 v6, 3, v38
	v_subrev_u32_e32 v10, 28, v9
	v_and_b32_e32 v6, 15, v6
	v_lshlrev_b32_e32 v10, v10, v38
	v_sub_u32_e32 v9, 29, v9
	v_and_b32_e32 v10, 7, v10
	v_cmp_eq_u32_e64 s[6:7], 0, v6
	v_cndmask_b32_e64 v6, v6, v9, s[6:7]
	v_cndmask_b32_e64 v8, v8, v10, s[6:7]
	v_lshlrev_b32_e32 v9, 24, v38
	v_mov_b32_e32 v10, 0x3b800000
	v_lshlrev_b32_e32 v8, 20, v8
	v_and_b32_e32 v9, 0x80000000, v9
	v_lshl_add_u32 v6, v6, 23, v10
	v_or3_b32 v6, v9, v6, v8
.LBB287_126:
	s_or_b64 exec, exec, s[10:11]
	s_movk_i32 s6, 0x7f
	v_cmp_gt_i16_sdwa s[10:11], v37, s6 src0_sel:BYTE_0 src1_sel:DWORD
	s_mov_b64 s[6:7], 0
	s_and_saveexec_b64 s[14:15], s[10:11]
	s_xor_b64 s[10:11], exec, s[14:15]
	s_cbranch_execnz .LBB287_485
; %bb.127:
	s_or_saveexec_b64 s[10:11], s[10:11]
	v_mov_b32_e32 v8, 0x7f800001
	s_xor_b64 exec, exec, s[10:11]
	s_cbranch_execnz .LBB287_488
.LBB287_128:
	s_or_b64 exec, exec, s[10:11]
	s_and_saveexec_b64 s[10:11], s[6:7]
	s_cbranch_execz .LBB287_130
.LBB287_129:
	v_and_b32_e32 v9, 7, v37
	v_ffbh_u32_e32 v10, v9
	v_min_u32_e32 v10, 32, v10
	v_lshrrev_b16_e32 v8, 3, v37
	v_subrev_u32_e32 v11, 28, v10
	v_and_b32_e32 v8, 15, v8
	v_lshlrev_b32_e32 v11, v11, v37
	v_sub_u32_e32 v10, 29, v10
	v_and_b32_e32 v11, 7, v11
	v_cmp_eq_u32_e64 s[6:7], 0, v8
	v_cndmask_b32_e64 v8, v8, v10, s[6:7]
	v_cndmask_b32_e64 v9, v9, v11, s[6:7]
	v_lshlrev_b32_e32 v10, 24, v37
	v_mov_b32_e32 v11, 0x3b800000
	v_lshlrev_b32_e32 v9, 20, v9
	v_and_b32_e32 v10, 0x80000000, v10
	v_lshl_add_u32 v8, v8, 23, v11
	v_or3_b32 v8, v10, v8, v9
.LBB287_130:
	s_or_b64 exec, exec, s[10:11]
	v_cmp_neq_f32_e64 s[10:11], v6, v8
                                        ; implicit-def: $vgpr37
                                        ; implicit-def: $vgpr38
.LBB287_131:
	s_andn2_saveexec_b64 s[12:13], s[12:13]
	s_cbranch_execz .LBB287_141
; %bb.132:
	s_movk_i32 s6, 0x7f
	s_waitcnt vmcnt(0) lgkmcnt(0)
	v_cmp_gt_i16_sdwa s[14:15], v38, s6 src0_sel:BYTE_0 src1_sel:DWORD
	s_mov_b64 s[6:7], 0
	s_and_saveexec_b64 s[16:17], s[14:15]
	s_xor_b64 s[14:15], exec, s[16:17]
	s_cbranch_execnz .LBB287_489
; %bb.133:
	s_or_saveexec_b64 s[14:15], s[14:15]
	v_mov_b32_e32 v6, 0x7f800001
	s_xor_b64 exec, exec, s[14:15]
	s_cbranch_execnz .LBB287_492
.LBB287_134:
	s_or_b64 exec, exec, s[14:15]
	s_and_saveexec_b64 s[14:15], s[6:7]
	s_cbranch_execz .LBB287_136
.LBB287_135:
	v_and_b32_e32 v8, 7, v38
	v_ffbh_u32_e32 v9, v8
	v_min_u32_e32 v9, 32, v9
	v_lshrrev_b16_e32 v6, 3, v38
	v_subrev_u32_e32 v10, 28, v9
	v_and_b32_e32 v6, 15, v6
	v_lshlrev_b32_e32 v10, v10, v38
	v_sub_u32_e32 v9, 29, v9
	v_and_b32_e32 v10, 7, v10
	v_cmp_eq_u32_e64 s[6:7], 0, v6
	v_cndmask_b32_e64 v6, v6, v9, s[6:7]
	v_cndmask_b32_e64 v8, v8, v10, s[6:7]
	v_lshlrev_b32_e32 v9, 24, v38
	v_mov_b32_e32 v10, 0x3b800000
	v_lshlrev_b32_e32 v8, 20, v8
	v_and_b32_e32 v9, 0x80000000, v9
	v_lshl_add_u32 v6, v6, 23, v10
	v_or3_b32 v6, v9, v6, v8
.LBB287_136:
	s_or_b64 exec, exec, s[14:15]
	s_movk_i32 s6, 0x7f
	v_cmp_gt_i16_sdwa s[14:15], v37, s6 src0_sel:BYTE_0 src1_sel:DWORD
	s_mov_b64 s[6:7], 0
	s_and_saveexec_b64 s[16:17], s[14:15]
	s_xor_b64 s[14:15], exec, s[16:17]
	s_cbranch_execnz .LBB287_493
; %bb.137:
	s_or_saveexec_b64 s[14:15], s[14:15]
	v_mov_b32_e32 v8, 0x7f800001
	s_xor_b64 exec, exec, s[14:15]
	s_cbranch_execnz .LBB287_496
.LBB287_138:
	s_or_b64 exec, exec, s[14:15]
	s_and_saveexec_b64 s[14:15], s[6:7]
	s_cbranch_execz .LBB287_140
.LBB287_139:
	v_and_b32_e32 v9, 7, v37
	v_ffbh_u32_e32 v10, v9
	v_min_u32_e32 v10, 32, v10
	v_lshrrev_b16_e32 v8, 3, v37
	v_subrev_u32_e32 v11, 28, v10
	v_and_b32_e32 v8, 15, v8
	v_lshlrev_b32_e32 v11, v11, v37
	v_sub_u32_e32 v10, 29, v10
	v_and_b32_e32 v11, 7, v11
	v_cmp_eq_u32_e64 s[6:7], 0, v8
	v_cndmask_b32_e64 v8, v8, v10, s[6:7]
	v_cndmask_b32_e64 v9, v9, v11, s[6:7]
	v_lshlrev_b32_e32 v10, 24, v37
	v_mov_b32_e32 v11, 0x3b800000
	v_lshlrev_b32_e32 v9, 20, v9
	v_and_b32_e32 v10, 0x80000000, v10
	v_lshl_add_u32 v8, v8, 23, v11
	v_or3_b32 v8, v10, v8, v9
.LBB287_140:
	s_or_b64 exec, exec, s[14:15]
	v_cmp_eq_f32_e64 s[6:7], v6, v8
	s_andn2_b64 s[10:11], s[10:11], exec
	s_and_b64 s[6:7], s[6:7], exec
	s_or_b64 s[10:11], s[10:11], s[6:7]
.LBB287_141:
	s_or_b64 exec, exec, s[12:13]
	v_and_b32_e32 v6, 0xffffff00, v4
	v_cndmask_b32_e64 v8, 0, 1, s[10:11]
	v_or_b32_e32 v6, v8, v6
	v_and_b32_e32 v6, 0xffff, v6
	s_mov_b32 s6, 0xffff0000
	v_and_or_b32 v4, v4, s6, v6
.LBB287_142:
	s_or_b64 exec, exec, s[8:9]
	v_add_u32_e32 v6, 0x500, v12
	v_cmp_lt_i32_e64 s[6:7], v6, v7
	s_and_saveexec_b64 s[8:9], s[6:7]
	s_cbranch_execz .LBB287_164
; %bb.143:
                                        ; implicit-def: $sgpr10_sgpr11
	s_and_saveexec_b64 s[6:7], s[4:5]
	s_xor_b64 s[12:13], exec, s[6:7]
	s_cbranch_execz .LBB287_153
; %bb.144:
	s_movk_i32 s6, 0x7f
	s_waitcnt vmcnt(0) lgkmcnt(0)
	v_cmp_gt_i16_sdwa s[10:11], v36, s6 src0_sel:BYTE_0 src1_sel:DWORD
	s_mov_b64 s[6:7], 0
	s_and_saveexec_b64 s[14:15], s[10:11]
	s_xor_b64 s[10:11], exec, s[14:15]
	s_cbranch_execnz .LBB287_497
; %bb.145:
	s_or_saveexec_b64 s[10:11], s[10:11]
	v_mov_b32_e32 v6, 0x7f800001
	s_xor_b64 exec, exec, s[10:11]
	s_cbranch_execnz .LBB287_500
.LBB287_146:
	s_or_b64 exec, exec, s[10:11]
	s_and_saveexec_b64 s[10:11], s[6:7]
	s_cbranch_execz .LBB287_148
.LBB287_147:
	v_and_b32_e32 v8, 7, v36
	v_ffbh_u32_e32 v9, v8
	v_min_u32_e32 v9, 32, v9
	v_lshrrev_b16_e32 v6, 3, v36
	v_subrev_u32_e32 v10, 28, v9
	v_and_b32_e32 v6, 15, v6
	v_lshlrev_b32_e32 v10, v10, v36
	v_sub_u32_e32 v9, 29, v9
	v_and_b32_e32 v10, 7, v10
	v_cmp_eq_u32_e64 s[6:7], 0, v6
	v_cndmask_b32_e64 v6, v6, v9, s[6:7]
	v_cndmask_b32_e64 v8, v8, v10, s[6:7]
	v_lshlrev_b32_e32 v9, 24, v36
	v_mov_b32_e32 v10, 0x3b800000
	v_lshlrev_b32_e32 v8, 20, v8
	v_and_b32_e32 v9, 0x80000000, v9
	v_lshl_add_u32 v6, v6, 23, v10
	v_or3_b32 v6, v9, v6, v8
.LBB287_148:
	s_or_b64 exec, exec, s[10:11]
	s_movk_i32 s6, 0x7f
	v_cmp_gt_i16_sdwa s[10:11], v35, s6 src0_sel:BYTE_0 src1_sel:DWORD
	s_mov_b64 s[6:7], 0
	s_and_saveexec_b64 s[14:15], s[10:11]
	s_xor_b64 s[10:11], exec, s[14:15]
	s_cbranch_execnz .LBB287_501
; %bb.149:
	s_or_saveexec_b64 s[10:11], s[10:11]
	v_mov_b32_e32 v8, 0x7f800001
	s_xor_b64 exec, exec, s[10:11]
	s_cbranch_execnz .LBB287_504
.LBB287_150:
	s_or_b64 exec, exec, s[10:11]
	s_and_saveexec_b64 s[10:11], s[6:7]
	s_cbranch_execz .LBB287_152
.LBB287_151:
	v_and_b32_e32 v9, 7, v35
	v_ffbh_u32_e32 v10, v9
	v_min_u32_e32 v10, 32, v10
	v_lshrrev_b16_e32 v8, 3, v35
	v_subrev_u32_e32 v11, 28, v10
	v_and_b32_e32 v8, 15, v8
	v_lshlrev_b32_e32 v11, v11, v35
	v_sub_u32_e32 v10, 29, v10
	v_and_b32_e32 v11, 7, v11
	v_cmp_eq_u32_e64 s[6:7], 0, v8
	v_cndmask_b32_e64 v8, v8, v10, s[6:7]
	v_cndmask_b32_e64 v9, v9, v11, s[6:7]
	v_lshlrev_b32_e32 v10, 24, v35
	v_mov_b32_e32 v11, 0x3b800000
	v_lshlrev_b32_e32 v9, 20, v9
	v_and_b32_e32 v10, 0x80000000, v10
	v_lshl_add_u32 v8, v8, 23, v11
	v_or3_b32 v8, v10, v8, v9
.LBB287_152:
	s_or_b64 exec, exec, s[10:11]
	v_cmp_neq_f32_e64 s[10:11], v6, v8
                                        ; implicit-def: $vgpr35
                                        ; implicit-def: $vgpr36
.LBB287_153:
	s_andn2_saveexec_b64 s[12:13], s[12:13]
	s_cbranch_execz .LBB287_163
; %bb.154:
	s_movk_i32 s6, 0x7f
	s_waitcnt vmcnt(0) lgkmcnt(0)
	v_cmp_gt_i16_sdwa s[14:15], v36, s6 src0_sel:BYTE_0 src1_sel:DWORD
	s_mov_b64 s[6:7], 0
	s_and_saveexec_b64 s[16:17], s[14:15]
	s_xor_b64 s[14:15], exec, s[16:17]
	s_cbranch_execnz .LBB287_505
; %bb.155:
	s_or_saveexec_b64 s[14:15], s[14:15]
	v_mov_b32_e32 v6, 0x7f800001
	s_xor_b64 exec, exec, s[14:15]
	s_cbranch_execnz .LBB287_508
.LBB287_156:
	s_or_b64 exec, exec, s[14:15]
	s_and_saveexec_b64 s[14:15], s[6:7]
	s_cbranch_execz .LBB287_158
.LBB287_157:
	v_and_b32_e32 v8, 7, v36
	v_ffbh_u32_e32 v9, v8
	v_min_u32_e32 v9, 32, v9
	v_lshrrev_b16_e32 v6, 3, v36
	v_subrev_u32_e32 v10, 28, v9
	v_and_b32_e32 v6, 15, v6
	v_lshlrev_b32_e32 v10, v10, v36
	v_sub_u32_e32 v9, 29, v9
	v_and_b32_e32 v10, 7, v10
	v_cmp_eq_u32_e64 s[6:7], 0, v6
	v_cndmask_b32_e64 v6, v6, v9, s[6:7]
	v_cndmask_b32_e64 v8, v8, v10, s[6:7]
	v_lshlrev_b32_e32 v9, 24, v36
	v_mov_b32_e32 v10, 0x3b800000
	v_lshlrev_b32_e32 v8, 20, v8
	v_and_b32_e32 v9, 0x80000000, v9
	v_lshl_add_u32 v6, v6, 23, v10
	v_or3_b32 v6, v9, v6, v8
.LBB287_158:
	s_or_b64 exec, exec, s[14:15]
	s_movk_i32 s6, 0x7f
	v_cmp_gt_i16_sdwa s[14:15], v35, s6 src0_sel:BYTE_0 src1_sel:DWORD
	s_mov_b64 s[6:7], 0
	s_and_saveexec_b64 s[16:17], s[14:15]
	s_xor_b64 s[14:15], exec, s[16:17]
	s_cbranch_execnz .LBB287_509
; %bb.159:
	s_or_saveexec_b64 s[14:15], s[14:15]
	v_mov_b32_e32 v8, 0x7f800001
	s_xor_b64 exec, exec, s[14:15]
	s_cbranch_execnz .LBB287_512
.LBB287_160:
	s_or_b64 exec, exec, s[14:15]
	s_and_saveexec_b64 s[14:15], s[6:7]
	s_cbranch_execz .LBB287_162
.LBB287_161:
	v_and_b32_e32 v9, 7, v35
	v_ffbh_u32_e32 v10, v9
	v_min_u32_e32 v10, 32, v10
	v_lshrrev_b16_e32 v8, 3, v35
	v_subrev_u32_e32 v11, 28, v10
	v_and_b32_e32 v8, 15, v8
	v_lshlrev_b32_e32 v11, v11, v35
	v_sub_u32_e32 v10, 29, v10
	v_and_b32_e32 v11, 7, v11
	v_cmp_eq_u32_e64 s[6:7], 0, v8
	v_cndmask_b32_e64 v8, v8, v10, s[6:7]
	v_cndmask_b32_e64 v9, v9, v11, s[6:7]
	v_lshlrev_b32_e32 v10, 24, v35
	v_mov_b32_e32 v11, 0x3b800000
	v_lshlrev_b32_e32 v9, 20, v9
	v_and_b32_e32 v10, 0x80000000, v10
	v_lshl_add_u32 v8, v8, 23, v11
	v_or3_b32 v8, v10, v8, v9
.LBB287_162:
	s_or_b64 exec, exec, s[14:15]
	v_cmp_eq_f32_e64 s[6:7], v6, v8
	s_andn2_b64 s[10:11], s[10:11], exec
	s_and_b64 s[6:7], s[6:7], exec
	s_or_b64 s[10:11], s[10:11], s[6:7]
.LBB287_163:
	s_or_b64 exec, exec, s[12:13]
	v_cndmask_b32_e64 v6, 0, 1, s[10:11]
	v_lshlrev_b16_e32 v6, 8, v6
	v_or_b32_sdwa v6, v4, v6 dst_sel:DWORD dst_unused:UNUSED_PAD src0_sel:BYTE_0 src1_sel:DWORD
	v_and_b32_e32 v6, 0xffff, v6
	s_mov_b32 s6, 0xffff0000
	v_and_or_b32 v4, v4, s6, v6
.LBB287_164:
	s_or_b64 exec, exec, s[8:9]
	v_add_u32_e32 v6, 0x600, v12
	v_cmp_lt_i32_e64 s[6:7], v6, v7
	s_and_saveexec_b64 s[8:9], s[6:7]
	s_cbranch_execz .LBB287_186
; %bb.165:
                                        ; implicit-def: $sgpr10_sgpr11
	s_and_saveexec_b64 s[6:7], s[4:5]
	s_xor_b64 s[12:13], exec, s[6:7]
	s_cbranch_execz .LBB287_175
; %bb.166:
	s_movk_i32 s6, 0x7f
	s_waitcnt vmcnt(0) lgkmcnt(0)
	v_cmp_gt_i16_sdwa s[10:11], v34, s6 src0_sel:BYTE_0 src1_sel:DWORD
	s_mov_b64 s[6:7], 0
	s_and_saveexec_b64 s[14:15], s[10:11]
	s_xor_b64 s[10:11], exec, s[14:15]
	s_cbranch_execnz .LBB287_513
; %bb.167:
	s_or_saveexec_b64 s[10:11], s[10:11]
	v_mov_b32_e32 v6, 0x7f800001
	s_xor_b64 exec, exec, s[10:11]
	s_cbranch_execnz .LBB287_516
.LBB287_168:
	s_or_b64 exec, exec, s[10:11]
	s_and_saveexec_b64 s[10:11], s[6:7]
	s_cbranch_execz .LBB287_170
.LBB287_169:
	v_and_b32_e32 v8, 7, v34
	v_ffbh_u32_e32 v9, v8
	v_min_u32_e32 v9, 32, v9
	v_lshrrev_b16_e32 v6, 3, v34
	v_subrev_u32_e32 v10, 28, v9
	v_and_b32_e32 v6, 15, v6
	v_lshlrev_b32_e32 v10, v10, v34
	v_sub_u32_e32 v9, 29, v9
	v_and_b32_e32 v10, 7, v10
	v_cmp_eq_u32_e64 s[6:7], 0, v6
	v_cndmask_b32_e64 v6, v6, v9, s[6:7]
	v_cndmask_b32_e64 v8, v8, v10, s[6:7]
	v_lshlrev_b32_e32 v9, 24, v34
	v_mov_b32_e32 v10, 0x3b800000
	v_lshlrev_b32_e32 v8, 20, v8
	v_and_b32_e32 v9, 0x80000000, v9
	v_lshl_add_u32 v6, v6, 23, v10
	v_or3_b32 v6, v9, v6, v8
.LBB287_170:
	s_or_b64 exec, exec, s[10:11]
	s_movk_i32 s6, 0x7f
	v_cmp_gt_i16_sdwa s[10:11], v33, s6 src0_sel:BYTE_0 src1_sel:DWORD
	s_mov_b64 s[6:7], 0
	s_and_saveexec_b64 s[14:15], s[10:11]
	s_xor_b64 s[10:11], exec, s[14:15]
	s_cbranch_execnz .LBB287_517
; %bb.171:
	s_or_saveexec_b64 s[10:11], s[10:11]
	v_mov_b32_e32 v8, 0x7f800001
	s_xor_b64 exec, exec, s[10:11]
	s_cbranch_execnz .LBB287_520
.LBB287_172:
	s_or_b64 exec, exec, s[10:11]
	s_and_saveexec_b64 s[10:11], s[6:7]
	s_cbranch_execz .LBB287_174
.LBB287_173:
	v_and_b32_e32 v9, 7, v33
	v_ffbh_u32_e32 v10, v9
	v_min_u32_e32 v10, 32, v10
	v_lshrrev_b16_e32 v8, 3, v33
	v_subrev_u32_e32 v11, 28, v10
	v_and_b32_e32 v8, 15, v8
	v_lshlrev_b32_e32 v11, v11, v33
	v_sub_u32_e32 v10, 29, v10
	v_and_b32_e32 v11, 7, v11
	v_cmp_eq_u32_e64 s[6:7], 0, v8
	v_cndmask_b32_e64 v8, v8, v10, s[6:7]
	v_cndmask_b32_e64 v9, v9, v11, s[6:7]
	v_lshlrev_b32_e32 v10, 24, v33
	v_mov_b32_e32 v11, 0x3b800000
	v_lshlrev_b32_e32 v9, 20, v9
	v_and_b32_e32 v10, 0x80000000, v10
	v_lshl_add_u32 v8, v8, 23, v11
	v_or3_b32 v8, v10, v8, v9
.LBB287_174:
	s_or_b64 exec, exec, s[10:11]
	v_cmp_neq_f32_e64 s[10:11], v6, v8
                                        ; implicit-def: $vgpr33
                                        ; implicit-def: $vgpr34
.LBB287_175:
	s_andn2_saveexec_b64 s[12:13], s[12:13]
	s_cbranch_execz .LBB287_185
; %bb.176:
	s_movk_i32 s6, 0x7f
	s_waitcnt vmcnt(0) lgkmcnt(0)
	v_cmp_gt_i16_sdwa s[14:15], v34, s6 src0_sel:BYTE_0 src1_sel:DWORD
	s_mov_b64 s[6:7], 0
	s_and_saveexec_b64 s[16:17], s[14:15]
	s_xor_b64 s[14:15], exec, s[16:17]
	s_cbranch_execnz .LBB287_521
; %bb.177:
	s_or_saveexec_b64 s[14:15], s[14:15]
	v_mov_b32_e32 v6, 0x7f800001
	s_xor_b64 exec, exec, s[14:15]
	s_cbranch_execnz .LBB287_524
.LBB287_178:
	s_or_b64 exec, exec, s[14:15]
	s_and_saveexec_b64 s[14:15], s[6:7]
	s_cbranch_execz .LBB287_180
.LBB287_179:
	v_and_b32_e32 v8, 7, v34
	v_ffbh_u32_e32 v9, v8
	v_min_u32_e32 v9, 32, v9
	v_lshrrev_b16_e32 v6, 3, v34
	v_subrev_u32_e32 v10, 28, v9
	v_and_b32_e32 v6, 15, v6
	v_lshlrev_b32_e32 v10, v10, v34
	v_sub_u32_e32 v9, 29, v9
	v_and_b32_e32 v10, 7, v10
	v_cmp_eq_u32_e64 s[6:7], 0, v6
	v_cndmask_b32_e64 v6, v6, v9, s[6:7]
	v_cndmask_b32_e64 v8, v8, v10, s[6:7]
	v_lshlrev_b32_e32 v9, 24, v34
	v_mov_b32_e32 v10, 0x3b800000
	v_lshlrev_b32_e32 v8, 20, v8
	v_and_b32_e32 v9, 0x80000000, v9
	v_lshl_add_u32 v6, v6, 23, v10
	v_or3_b32 v6, v9, v6, v8
.LBB287_180:
	s_or_b64 exec, exec, s[14:15]
	s_movk_i32 s6, 0x7f
	v_cmp_gt_i16_sdwa s[14:15], v33, s6 src0_sel:BYTE_0 src1_sel:DWORD
	s_mov_b64 s[6:7], 0
	s_and_saveexec_b64 s[16:17], s[14:15]
	s_xor_b64 s[14:15], exec, s[16:17]
	s_cbranch_execnz .LBB287_525
; %bb.181:
	s_or_saveexec_b64 s[14:15], s[14:15]
	v_mov_b32_e32 v8, 0x7f800001
	s_xor_b64 exec, exec, s[14:15]
	s_cbranch_execnz .LBB287_528
.LBB287_182:
	s_or_b64 exec, exec, s[14:15]
	s_and_saveexec_b64 s[14:15], s[6:7]
	s_cbranch_execz .LBB287_184
.LBB287_183:
	v_and_b32_e32 v9, 7, v33
	v_ffbh_u32_e32 v10, v9
	v_min_u32_e32 v10, 32, v10
	v_lshrrev_b16_e32 v8, 3, v33
	v_subrev_u32_e32 v11, 28, v10
	v_and_b32_e32 v8, 15, v8
	v_lshlrev_b32_e32 v11, v11, v33
	v_sub_u32_e32 v10, 29, v10
	v_and_b32_e32 v11, 7, v11
	v_cmp_eq_u32_e64 s[6:7], 0, v8
	v_cndmask_b32_e64 v8, v8, v10, s[6:7]
	v_cndmask_b32_e64 v9, v9, v11, s[6:7]
	v_lshlrev_b32_e32 v10, 24, v33
	v_mov_b32_e32 v11, 0x3b800000
	v_lshlrev_b32_e32 v9, 20, v9
	v_and_b32_e32 v10, 0x80000000, v10
	v_lshl_add_u32 v8, v8, 23, v11
	v_or3_b32 v8, v10, v8, v9
.LBB287_184:
	s_or_b64 exec, exec, s[14:15]
	v_cmp_eq_f32_e64 s[6:7], v6, v8
	s_andn2_b64 s[10:11], s[10:11], exec
	s_and_b64 s[6:7], s[6:7], exec
	s_or_b64 s[10:11], s[10:11], s[6:7]
.LBB287_185:
	s_or_b64 exec, exec, s[12:13]
	s_movk_i32 s6, 0xff00
	v_and_b32_sdwa v6, v4, s6 dst_sel:DWORD dst_unused:UNUSED_PAD src0_sel:WORD_1 src1_sel:DWORD
	v_cndmask_b32_e64 v8, 0, 1, s[10:11]
	v_or_b32_sdwa v6, v8, v6 dst_sel:WORD_1 dst_unused:UNUSED_PAD src0_sel:DWORD src1_sel:DWORD
	s_mov_b32 s6, 0xffff
	v_and_or_b32 v4, v4, s6, v6
.LBB287_186:
	s_or_b64 exec, exec, s[8:9]
	v_add_u32_e32 v6, 0x700, v12
	v_cmp_lt_i32_e64 s[6:7], v6, v7
	s_and_saveexec_b64 s[8:9], s[6:7]
	s_cbranch_execz .LBB287_208
; %bb.187:
                                        ; implicit-def: $sgpr10_sgpr11
	s_and_saveexec_b64 s[6:7], s[4:5]
	s_xor_b64 s[12:13], exec, s[6:7]
	s_cbranch_execz .LBB287_197
; %bb.188:
	s_movk_i32 s6, 0x7f
	s_waitcnt vmcnt(0) lgkmcnt(0)
	v_cmp_gt_i16_sdwa s[10:11], v32, s6 src0_sel:BYTE_0 src1_sel:DWORD
	s_mov_b64 s[6:7], 0
	s_and_saveexec_b64 s[14:15], s[10:11]
	s_xor_b64 s[10:11], exec, s[14:15]
	s_cbranch_execnz .LBB287_529
; %bb.189:
	s_or_saveexec_b64 s[10:11], s[10:11]
	v_mov_b32_e32 v6, 0x7f800001
	s_xor_b64 exec, exec, s[10:11]
	s_cbranch_execnz .LBB287_532
.LBB287_190:
	s_or_b64 exec, exec, s[10:11]
	s_and_saveexec_b64 s[10:11], s[6:7]
	s_cbranch_execz .LBB287_192
.LBB287_191:
	v_and_b32_e32 v8, 7, v32
	v_ffbh_u32_e32 v9, v8
	v_min_u32_e32 v9, 32, v9
	v_lshrrev_b16_e32 v6, 3, v32
	v_subrev_u32_e32 v10, 28, v9
	v_and_b32_e32 v6, 15, v6
	v_lshlrev_b32_e32 v10, v10, v32
	v_sub_u32_e32 v9, 29, v9
	v_and_b32_e32 v10, 7, v10
	v_cmp_eq_u32_e64 s[6:7], 0, v6
	v_cndmask_b32_e64 v6, v6, v9, s[6:7]
	v_cndmask_b32_e64 v8, v8, v10, s[6:7]
	v_lshlrev_b32_e32 v9, 24, v32
	v_mov_b32_e32 v10, 0x3b800000
	v_lshlrev_b32_e32 v8, 20, v8
	v_and_b32_e32 v9, 0x80000000, v9
	v_lshl_add_u32 v6, v6, 23, v10
	v_or3_b32 v6, v9, v6, v8
.LBB287_192:
	s_or_b64 exec, exec, s[10:11]
	s_movk_i32 s6, 0x7f
	v_cmp_gt_i16_sdwa s[10:11], v31, s6 src0_sel:BYTE_0 src1_sel:DWORD
	s_mov_b64 s[6:7], 0
	s_and_saveexec_b64 s[14:15], s[10:11]
	s_xor_b64 s[10:11], exec, s[14:15]
	s_cbranch_execnz .LBB287_533
; %bb.193:
	s_or_saveexec_b64 s[10:11], s[10:11]
	v_mov_b32_e32 v8, 0x7f800001
	s_xor_b64 exec, exec, s[10:11]
	s_cbranch_execnz .LBB287_536
.LBB287_194:
	s_or_b64 exec, exec, s[10:11]
	s_and_saveexec_b64 s[10:11], s[6:7]
	s_cbranch_execz .LBB287_196
.LBB287_195:
	v_and_b32_e32 v9, 7, v31
	v_ffbh_u32_e32 v10, v9
	v_min_u32_e32 v10, 32, v10
	v_lshrrev_b16_e32 v8, 3, v31
	v_subrev_u32_e32 v11, 28, v10
	v_and_b32_e32 v8, 15, v8
	v_lshlrev_b32_e32 v11, v11, v31
	v_sub_u32_e32 v10, 29, v10
	v_and_b32_e32 v11, 7, v11
	v_cmp_eq_u32_e64 s[6:7], 0, v8
	v_cndmask_b32_e64 v8, v8, v10, s[6:7]
	v_cndmask_b32_e64 v9, v9, v11, s[6:7]
	v_lshlrev_b32_e32 v10, 24, v31
	v_mov_b32_e32 v11, 0x3b800000
	v_lshlrev_b32_e32 v9, 20, v9
	v_and_b32_e32 v10, 0x80000000, v10
	v_lshl_add_u32 v8, v8, 23, v11
	v_or3_b32 v8, v10, v8, v9
.LBB287_196:
	s_or_b64 exec, exec, s[10:11]
	v_cmp_neq_f32_e64 s[10:11], v6, v8
                                        ; implicit-def: $vgpr31
                                        ; implicit-def: $vgpr32
.LBB287_197:
	s_andn2_saveexec_b64 s[12:13], s[12:13]
	s_cbranch_execz .LBB287_207
; %bb.198:
	s_movk_i32 s6, 0x7f
	s_waitcnt vmcnt(0) lgkmcnt(0)
	v_cmp_gt_i16_sdwa s[14:15], v32, s6 src0_sel:BYTE_0 src1_sel:DWORD
	s_mov_b64 s[6:7], 0
	s_and_saveexec_b64 s[16:17], s[14:15]
	s_xor_b64 s[14:15], exec, s[16:17]
	s_cbranch_execnz .LBB287_537
; %bb.199:
	s_or_saveexec_b64 s[14:15], s[14:15]
	v_mov_b32_e32 v6, 0x7f800001
	s_xor_b64 exec, exec, s[14:15]
	s_cbranch_execnz .LBB287_540
.LBB287_200:
	s_or_b64 exec, exec, s[14:15]
	s_and_saveexec_b64 s[14:15], s[6:7]
	s_cbranch_execz .LBB287_202
.LBB287_201:
	v_and_b32_e32 v8, 7, v32
	v_ffbh_u32_e32 v9, v8
	v_min_u32_e32 v9, 32, v9
	v_lshrrev_b16_e32 v6, 3, v32
	v_subrev_u32_e32 v10, 28, v9
	v_and_b32_e32 v6, 15, v6
	v_lshlrev_b32_e32 v10, v10, v32
	v_sub_u32_e32 v9, 29, v9
	v_and_b32_e32 v10, 7, v10
	v_cmp_eq_u32_e64 s[6:7], 0, v6
	v_cndmask_b32_e64 v6, v6, v9, s[6:7]
	v_cndmask_b32_e64 v8, v8, v10, s[6:7]
	v_lshlrev_b32_e32 v9, 24, v32
	v_mov_b32_e32 v10, 0x3b800000
	v_lshlrev_b32_e32 v8, 20, v8
	v_and_b32_e32 v9, 0x80000000, v9
	v_lshl_add_u32 v6, v6, 23, v10
	v_or3_b32 v6, v9, v6, v8
.LBB287_202:
	s_or_b64 exec, exec, s[14:15]
	s_movk_i32 s6, 0x7f
	v_cmp_gt_i16_sdwa s[14:15], v31, s6 src0_sel:BYTE_0 src1_sel:DWORD
	s_mov_b64 s[6:7], 0
	s_and_saveexec_b64 s[16:17], s[14:15]
	s_xor_b64 s[14:15], exec, s[16:17]
	s_cbranch_execnz .LBB287_541
; %bb.203:
	s_or_saveexec_b64 s[14:15], s[14:15]
	v_mov_b32_e32 v8, 0x7f800001
	s_xor_b64 exec, exec, s[14:15]
	s_cbranch_execnz .LBB287_544
.LBB287_204:
	s_or_b64 exec, exec, s[14:15]
	s_and_saveexec_b64 s[14:15], s[6:7]
	s_cbranch_execz .LBB287_206
.LBB287_205:
	v_and_b32_e32 v9, 7, v31
	v_ffbh_u32_e32 v10, v9
	v_min_u32_e32 v10, 32, v10
	v_lshrrev_b16_e32 v8, 3, v31
	v_subrev_u32_e32 v11, 28, v10
	v_and_b32_e32 v8, 15, v8
	v_lshlrev_b32_e32 v11, v11, v31
	v_sub_u32_e32 v10, 29, v10
	v_and_b32_e32 v11, 7, v11
	v_cmp_eq_u32_e64 s[6:7], 0, v8
	v_cndmask_b32_e64 v8, v8, v10, s[6:7]
	v_cndmask_b32_e64 v9, v9, v11, s[6:7]
	v_lshlrev_b32_e32 v10, 24, v31
	v_mov_b32_e32 v11, 0x3b800000
	v_lshlrev_b32_e32 v9, 20, v9
	v_and_b32_e32 v10, 0x80000000, v10
	v_lshl_add_u32 v8, v8, 23, v11
	v_or3_b32 v8, v10, v8, v9
.LBB287_206:
	s_or_b64 exec, exec, s[14:15]
	v_cmp_eq_f32_e64 s[6:7], v6, v8
	s_andn2_b64 s[10:11], s[10:11], exec
	s_and_b64 s[6:7], s[6:7], exec
	s_or_b64 s[10:11], s[10:11], s[6:7]
.LBB287_207:
	s_or_b64 exec, exec, s[12:13]
	s_movk_i32 s6, 0xff
	v_cndmask_b32_e64 v8, 0, 1, s[10:11]
	v_and_b32_sdwa v6, v4, s6 dst_sel:DWORD dst_unused:UNUSED_PAD src0_sel:WORD_1 src1_sel:DWORD
	v_lshlrev_b16_e32 v8, 8, v8
	v_or_b32_sdwa v6, v6, v8 dst_sel:WORD_1 dst_unused:UNUSED_PAD src0_sel:DWORD src1_sel:DWORD
	s_mov_b32 s6, 0xffff
	v_and_or_b32 v4, v4, s6, v6
.LBB287_208:
	s_or_b64 exec, exec, s[8:9]
	v_or_b32_e32 v6, 0x800, v12
	v_cmp_lt_i32_e64 s[6:7], v6, v7
	s_and_saveexec_b64 s[8:9], s[6:7]
	s_cbranch_execz .LBB287_230
; %bb.209:
                                        ; implicit-def: $sgpr10_sgpr11
	s_and_saveexec_b64 s[6:7], s[4:5]
	s_xor_b64 s[12:13], exec, s[6:7]
	s_cbranch_execz .LBB287_219
; %bb.210:
	s_movk_i32 s6, 0x7f
	s_waitcnt vmcnt(0) lgkmcnt(0)
	v_cmp_gt_i16_sdwa s[10:11], v30, s6 src0_sel:BYTE_0 src1_sel:DWORD
	s_mov_b64 s[6:7], 0
	s_and_saveexec_b64 s[14:15], s[10:11]
	s_xor_b64 s[10:11], exec, s[14:15]
	s_cbranch_execnz .LBB287_545
; %bb.211:
	s_or_saveexec_b64 s[10:11], s[10:11]
	v_mov_b32_e32 v6, 0x7f800001
	s_xor_b64 exec, exec, s[10:11]
	s_cbranch_execnz .LBB287_548
.LBB287_212:
	s_or_b64 exec, exec, s[10:11]
	s_and_saveexec_b64 s[10:11], s[6:7]
	s_cbranch_execz .LBB287_214
.LBB287_213:
	v_and_b32_e32 v8, 7, v30
	v_ffbh_u32_e32 v9, v8
	v_min_u32_e32 v9, 32, v9
	v_lshrrev_b16_e32 v6, 3, v30
	v_subrev_u32_e32 v10, 28, v9
	v_and_b32_e32 v6, 15, v6
	v_lshlrev_b32_e32 v10, v10, v30
	v_sub_u32_e32 v9, 29, v9
	v_and_b32_e32 v10, 7, v10
	v_cmp_eq_u32_e64 s[6:7], 0, v6
	v_cndmask_b32_e64 v6, v6, v9, s[6:7]
	v_cndmask_b32_e64 v8, v8, v10, s[6:7]
	v_lshlrev_b32_e32 v9, 24, v30
	v_mov_b32_e32 v10, 0x3b800000
	v_lshlrev_b32_e32 v8, 20, v8
	v_and_b32_e32 v9, 0x80000000, v9
	v_lshl_add_u32 v6, v6, 23, v10
	v_or3_b32 v6, v9, v6, v8
.LBB287_214:
	s_or_b64 exec, exec, s[10:11]
	s_movk_i32 s6, 0x7f
	v_cmp_gt_i16_sdwa s[10:11], v29, s6 src0_sel:BYTE_0 src1_sel:DWORD
	s_mov_b64 s[6:7], 0
	s_and_saveexec_b64 s[14:15], s[10:11]
	s_xor_b64 s[10:11], exec, s[14:15]
	s_cbranch_execnz .LBB287_549
; %bb.215:
	s_or_saveexec_b64 s[10:11], s[10:11]
	v_mov_b32_e32 v8, 0x7f800001
	s_xor_b64 exec, exec, s[10:11]
	s_cbranch_execnz .LBB287_552
.LBB287_216:
	s_or_b64 exec, exec, s[10:11]
	s_and_saveexec_b64 s[10:11], s[6:7]
	s_cbranch_execz .LBB287_218
.LBB287_217:
	v_and_b32_e32 v9, 7, v29
	v_ffbh_u32_e32 v10, v9
	v_min_u32_e32 v10, 32, v10
	v_lshrrev_b16_e32 v8, 3, v29
	v_subrev_u32_e32 v11, 28, v10
	v_and_b32_e32 v8, 15, v8
	v_lshlrev_b32_e32 v11, v11, v29
	v_sub_u32_e32 v10, 29, v10
	v_and_b32_e32 v11, 7, v11
	v_cmp_eq_u32_e64 s[6:7], 0, v8
	v_cndmask_b32_e64 v8, v8, v10, s[6:7]
	v_cndmask_b32_e64 v9, v9, v11, s[6:7]
	v_lshlrev_b32_e32 v10, 24, v29
	v_mov_b32_e32 v11, 0x3b800000
	v_lshlrev_b32_e32 v9, 20, v9
	v_and_b32_e32 v10, 0x80000000, v10
	v_lshl_add_u32 v8, v8, 23, v11
	v_or3_b32 v8, v10, v8, v9
.LBB287_218:
	s_or_b64 exec, exec, s[10:11]
	v_cmp_neq_f32_e64 s[10:11], v6, v8
                                        ; implicit-def: $vgpr29
                                        ; implicit-def: $vgpr30
.LBB287_219:
	s_andn2_saveexec_b64 s[12:13], s[12:13]
	s_cbranch_execz .LBB287_229
; %bb.220:
	s_movk_i32 s6, 0x7f
	s_waitcnt vmcnt(0) lgkmcnt(0)
	v_cmp_gt_i16_sdwa s[14:15], v30, s6 src0_sel:BYTE_0 src1_sel:DWORD
	s_mov_b64 s[6:7], 0
	s_and_saveexec_b64 s[16:17], s[14:15]
	s_xor_b64 s[14:15], exec, s[16:17]
	s_cbranch_execnz .LBB287_553
; %bb.221:
	s_or_saveexec_b64 s[14:15], s[14:15]
	v_mov_b32_e32 v6, 0x7f800001
	s_xor_b64 exec, exec, s[14:15]
	s_cbranch_execnz .LBB287_556
.LBB287_222:
	s_or_b64 exec, exec, s[14:15]
	s_and_saveexec_b64 s[14:15], s[6:7]
	s_cbranch_execz .LBB287_224
.LBB287_223:
	v_and_b32_e32 v8, 7, v30
	v_ffbh_u32_e32 v9, v8
	v_min_u32_e32 v9, 32, v9
	v_lshrrev_b16_e32 v6, 3, v30
	v_subrev_u32_e32 v10, 28, v9
	v_and_b32_e32 v6, 15, v6
	v_lshlrev_b32_e32 v10, v10, v30
	v_sub_u32_e32 v9, 29, v9
	v_and_b32_e32 v10, 7, v10
	v_cmp_eq_u32_e64 s[6:7], 0, v6
	v_cndmask_b32_e64 v6, v6, v9, s[6:7]
	v_cndmask_b32_e64 v8, v8, v10, s[6:7]
	v_lshlrev_b32_e32 v9, 24, v30
	v_mov_b32_e32 v10, 0x3b800000
	v_lshlrev_b32_e32 v8, 20, v8
	v_and_b32_e32 v9, 0x80000000, v9
	v_lshl_add_u32 v6, v6, 23, v10
	v_or3_b32 v6, v9, v6, v8
.LBB287_224:
	s_or_b64 exec, exec, s[14:15]
	s_movk_i32 s6, 0x7f
	v_cmp_gt_i16_sdwa s[14:15], v29, s6 src0_sel:BYTE_0 src1_sel:DWORD
	s_mov_b64 s[6:7], 0
	s_and_saveexec_b64 s[16:17], s[14:15]
	s_xor_b64 s[14:15], exec, s[16:17]
	s_cbranch_execnz .LBB287_557
; %bb.225:
	s_or_saveexec_b64 s[14:15], s[14:15]
	v_mov_b32_e32 v8, 0x7f800001
	s_xor_b64 exec, exec, s[14:15]
	s_cbranch_execnz .LBB287_560
.LBB287_226:
	s_or_b64 exec, exec, s[14:15]
	s_and_saveexec_b64 s[14:15], s[6:7]
	s_cbranch_execz .LBB287_228
.LBB287_227:
	v_and_b32_e32 v9, 7, v29
	v_ffbh_u32_e32 v10, v9
	v_min_u32_e32 v10, 32, v10
	v_lshrrev_b16_e32 v8, 3, v29
	v_subrev_u32_e32 v11, 28, v10
	v_and_b32_e32 v8, 15, v8
	v_lshlrev_b32_e32 v11, v11, v29
	v_sub_u32_e32 v10, 29, v10
	v_and_b32_e32 v11, 7, v11
	v_cmp_eq_u32_e64 s[6:7], 0, v8
	v_cndmask_b32_e64 v8, v8, v10, s[6:7]
	v_cndmask_b32_e64 v9, v9, v11, s[6:7]
	v_lshlrev_b32_e32 v10, 24, v29
	v_mov_b32_e32 v11, 0x3b800000
	v_lshlrev_b32_e32 v9, 20, v9
	v_and_b32_e32 v10, 0x80000000, v10
	v_lshl_add_u32 v8, v8, 23, v11
	v_or3_b32 v8, v10, v8, v9
.LBB287_228:
	s_or_b64 exec, exec, s[14:15]
	v_cmp_eq_f32_e64 s[6:7], v6, v8
	s_andn2_b64 s[10:11], s[10:11], exec
	s_and_b64 s[6:7], s[6:7], exec
	s_or_b64 s[10:11], s[10:11], s[6:7]
.LBB287_229:
	s_or_b64 exec, exec, s[12:13]
	v_and_b32_e32 v6, 0xffffff00, v3
	v_cndmask_b32_e64 v8, 0, 1, s[10:11]
	v_or_b32_e32 v6, v8, v6
	v_and_b32_e32 v6, 0xffff, v6
	s_mov_b32 s6, 0xffff0000
	v_and_or_b32 v3, v3, s6, v6
.LBB287_230:
	s_or_b64 exec, exec, s[8:9]
	v_add_u32_e32 v6, 0x900, v12
	v_cmp_lt_i32_e64 s[6:7], v6, v7
	s_and_saveexec_b64 s[8:9], s[6:7]
	s_cbranch_execz .LBB287_252
; %bb.231:
                                        ; implicit-def: $sgpr10_sgpr11
	s_and_saveexec_b64 s[6:7], s[4:5]
	s_xor_b64 s[12:13], exec, s[6:7]
	s_cbranch_execz .LBB287_241
; %bb.232:
	s_movk_i32 s6, 0x7f
	s_waitcnt vmcnt(0) lgkmcnt(0)
	v_cmp_gt_i16_sdwa s[10:11], v28, s6 src0_sel:BYTE_0 src1_sel:DWORD
	s_mov_b64 s[6:7], 0
	s_and_saveexec_b64 s[14:15], s[10:11]
	s_xor_b64 s[10:11], exec, s[14:15]
	s_cbranch_execnz .LBB287_561
; %bb.233:
	s_or_saveexec_b64 s[10:11], s[10:11]
	v_mov_b32_e32 v6, 0x7f800001
	s_xor_b64 exec, exec, s[10:11]
	s_cbranch_execnz .LBB287_564
.LBB287_234:
	s_or_b64 exec, exec, s[10:11]
	s_and_saveexec_b64 s[10:11], s[6:7]
	s_cbranch_execz .LBB287_236
.LBB287_235:
	v_and_b32_e32 v8, 7, v28
	v_ffbh_u32_e32 v9, v8
	v_min_u32_e32 v9, 32, v9
	v_lshrrev_b16_e32 v6, 3, v28
	v_subrev_u32_e32 v10, 28, v9
	v_and_b32_e32 v6, 15, v6
	v_lshlrev_b32_e32 v10, v10, v28
	v_sub_u32_e32 v9, 29, v9
	v_and_b32_e32 v10, 7, v10
	v_cmp_eq_u32_e64 s[6:7], 0, v6
	v_cndmask_b32_e64 v6, v6, v9, s[6:7]
	v_cndmask_b32_e64 v8, v8, v10, s[6:7]
	v_lshlrev_b32_e32 v9, 24, v28
	v_mov_b32_e32 v10, 0x3b800000
	v_lshlrev_b32_e32 v8, 20, v8
	v_and_b32_e32 v9, 0x80000000, v9
	v_lshl_add_u32 v6, v6, 23, v10
	v_or3_b32 v6, v9, v6, v8
.LBB287_236:
	s_or_b64 exec, exec, s[10:11]
	s_movk_i32 s6, 0x7f
	v_cmp_gt_i16_sdwa s[10:11], v27, s6 src0_sel:BYTE_0 src1_sel:DWORD
	s_mov_b64 s[6:7], 0
	s_and_saveexec_b64 s[14:15], s[10:11]
	s_xor_b64 s[10:11], exec, s[14:15]
	s_cbranch_execnz .LBB287_565
; %bb.237:
	s_or_saveexec_b64 s[10:11], s[10:11]
	v_mov_b32_e32 v8, 0x7f800001
	s_xor_b64 exec, exec, s[10:11]
	s_cbranch_execnz .LBB287_568
.LBB287_238:
	s_or_b64 exec, exec, s[10:11]
	s_and_saveexec_b64 s[10:11], s[6:7]
	s_cbranch_execz .LBB287_240
.LBB287_239:
	v_and_b32_e32 v9, 7, v27
	v_ffbh_u32_e32 v10, v9
	v_min_u32_e32 v10, 32, v10
	v_lshrrev_b16_e32 v8, 3, v27
	v_subrev_u32_e32 v11, 28, v10
	v_and_b32_e32 v8, 15, v8
	v_lshlrev_b32_e32 v11, v11, v27
	v_sub_u32_e32 v10, 29, v10
	v_and_b32_e32 v11, 7, v11
	v_cmp_eq_u32_e64 s[6:7], 0, v8
	v_cndmask_b32_e64 v8, v8, v10, s[6:7]
	v_cndmask_b32_e64 v9, v9, v11, s[6:7]
	v_lshlrev_b32_e32 v10, 24, v27
	v_mov_b32_e32 v11, 0x3b800000
	v_lshlrev_b32_e32 v9, 20, v9
	v_and_b32_e32 v10, 0x80000000, v10
	v_lshl_add_u32 v8, v8, 23, v11
	v_or3_b32 v8, v10, v8, v9
.LBB287_240:
	s_or_b64 exec, exec, s[10:11]
	v_cmp_neq_f32_e64 s[10:11], v6, v8
                                        ; implicit-def: $vgpr27
                                        ; implicit-def: $vgpr28
.LBB287_241:
	s_andn2_saveexec_b64 s[12:13], s[12:13]
	s_cbranch_execz .LBB287_251
; %bb.242:
	s_movk_i32 s6, 0x7f
	s_waitcnt vmcnt(0) lgkmcnt(0)
	v_cmp_gt_i16_sdwa s[14:15], v28, s6 src0_sel:BYTE_0 src1_sel:DWORD
	s_mov_b64 s[6:7], 0
	s_and_saveexec_b64 s[16:17], s[14:15]
	s_xor_b64 s[14:15], exec, s[16:17]
	s_cbranch_execnz .LBB287_569
; %bb.243:
	s_or_saveexec_b64 s[14:15], s[14:15]
	v_mov_b32_e32 v6, 0x7f800001
	s_xor_b64 exec, exec, s[14:15]
	s_cbranch_execnz .LBB287_572
.LBB287_244:
	s_or_b64 exec, exec, s[14:15]
	s_and_saveexec_b64 s[14:15], s[6:7]
	s_cbranch_execz .LBB287_246
.LBB287_245:
	v_and_b32_e32 v8, 7, v28
	v_ffbh_u32_e32 v9, v8
	v_min_u32_e32 v9, 32, v9
	v_lshrrev_b16_e32 v6, 3, v28
	v_subrev_u32_e32 v10, 28, v9
	v_and_b32_e32 v6, 15, v6
	v_lshlrev_b32_e32 v10, v10, v28
	v_sub_u32_e32 v9, 29, v9
	v_and_b32_e32 v10, 7, v10
	v_cmp_eq_u32_e64 s[6:7], 0, v6
	v_cndmask_b32_e64 v6, v6, v9, s[6:7]
	v_cndmask_b32_e64 v8, v8, v10, s[6:7]
	v_lshlrev_b32_e32 v9, 24, v28
	v_mov_b32_e32 v10, 0x3b800000
	v_lshlrev_b32_e32 v8, 20, v8
	v_and_b32_e32 v9, 0x80000000, v9
	v_lshl_add_u32 v6, v6, 23, v10
	v_or3_b32 v6, v9, v6, v8
.LBB287_246:
	s_or_b64 exec, exec, s[14:15]
	s_movk_i32 s6, 0x7f
	v_cmp_gt_i16_sdwa s[14:15], v27, s6 src0_sel:BYTE_0 src1_sel:DWORD
	s_mov_b64 s[6:7], 0
	s_and_saveexec_b64 s[16:17], s[14:15]
	s_xor_b64 s[14:15], exec, s[16:17]
	s_cbranch_execnz .LBB287_573
; %bb.247:
	s_or_saveexec_b64 s[14:15], s[14:15]
	v_mov_b32_e32 v8, 0x7f800001
	s_xor_b64 exec, exec, s[14:15]
	s_cbranch_execnz .LBB287_576
.LBB287_248:
	s_or_b64 exec, exec, s[14:15]
	s_and_saveexec_b64 s[14:15], s[6:7]
	s_cbranch_execz .LBB287_250
.LBB287_249:
	v_and_b32_e32 v9, 7, v27
	v_ffbh_u32_e32 v10, v9
	v_min_u32_e32 v10, 32, v10
	v_lshrrev_b16_e32 v8, 3, v27
	v_subrev_u32_e32 v11, 28, v10
	v_and_b32_e32 v8, 15, v8
	v_lshlrev_b32_e32 v11, v11, v27
	v_sub_u32_e32 v10, 29, v10
	v_and_b32_e32 v11, 7, v11
	v_cmp_eq_u32_e64 s[6:7], 0, v8
	v_cndmask_b32_e64 v8, v8, v10, s[6:7]
	v_cndmask_b32_e64 v9, v9, v11, s[6:7]
	v_lshlrev_b32_e32 v10, 24, v27
	v_mov_b32_e32 v11, 0x3b800000
	v_lshlrev_b32_e32 v9, 20, v9
	v_and_b32_e32 v10, 0x80000000, v10
	v_lshl_add_u32 v8, v8, 23, v11
	v_or3_b32 v8, v10, v8, v9
.LBB287_250:
	s_or_b64 exec, exec, s[14:15]
	v_cmp_eq_f32_e64 s[6:7], v6, v8
	s_andn2_b64 s[10:11], s[10:11], exec
	s_and_b64 s[6:7], s[6:7], exec
	s_or_b64 s[10:11], s[10:11], s[6:7]
.LBB287_251:
	s_or_b64 exec, exec, s[12:13]
	v_cndmask_b32_e64 v6, 0, 1, s[10:11]
	v_lshlrev_b16_e32 v6, 8, v6
	v_or_b32_sdwa v6, v3, v6 dst_sel:DWORD dst_unused:UNUSED_PAD src0_sel:BYTE_0 src1_sel:DWORD
	v_and_b32_e32 v6, 0xffff, v6
	s_mov_b32 s6, 0xffff0000
	v_and_or_b32 v3, v3, s6, v6
.LBB287_252:
	s_or_b64 exec, exec, s[8:9]
	v_add_u32_e32 v6, 0xa00, v12
	v_cmp_lt_i32_e64 s[6:7], v6, v7
	s_and_saveexec_b64 s[8:9], s[6:7]
	s_cbranch_execz .LBB287_274
; %bb.253:
                                        ; implicit-def: $sgpr10_sgpr11
	s_and_saveexec_b64 s[6:7], s[4:5]
	s_xor_b64 s[12:13], exec, s[6:7]
	s_cbranch_execz .LBB287_263
; %bb.254:
	s_movk_i32 s6, 0x7f
	s_waitcnt vmcnt(0) lgkmcnt(0)
	v_cmp_gt_i16_sdwa s[10:11], v26, s6 src0_sel:BYTE_0 src1_sel:DWORD
	s_mov_b64 s[6:7], 0
	s_and_saveexec_b64 s[14:15], s[10:11]
	s_xor_b64 s[10:11], exec, s[14:15]
	s_cbranch_execnz .LBB287_577
; %bb.255:
	s_or_saveexec_b64 s[10:11], s[10:11]
	v_mov_b32_e32 v6, 0x7f800001
	s_xor_b64 exec, exec, s[10:11]
	s_cbranch_execnz .LBB287_580
.LBB287_256:
	s_or_b64 exec, exec, s[10:11]
	s_and_saveexec_b64 s[10:11], s[6:7]
	s_cbranch_execz .LBB287_258
.LBB287_257:
	v_and_b32_e32 v8, 7, v26
	v_ffbh_u32_e32 v9, v8
	v_min_u32_e32 v9, 32, v9
	v_lshrrev_b16_e32 v6, 3, v26
	v_subrev_u32_e32 v10, 28, v9
	v_and_b32_e32 v6, 15, v6
	v_lshlrev_b32_e32 v10, v10, v26
	v_sub_u32_e32 v9, 29, v9
	v_and_b32_e32 v10, 7, v10
	v_cmp_eq_u32_e64 s[6:7], 0, v6
	v_cndmask_b32_e64 v6, v6, v9, s[6:7]
	v_cndmask_b32_e64 v8, v8, v10, s[6:7]
	v_lshlrev_b32_e32 v9, 24, v26
	v_mov_b32_e32 v10, 0x3b800000
	v_lshlrev_b32_e32 v8, 20, v8
	v_and_b32_e32 v9, 0x80000000, v9
	v_lshl_add_u32 v6, v6, 23, v10
	v_or3_b32 v6, v9, v6, v8
.LBB287_258:
	s_or_b64 exec, exec, s[10:11]
	s_movk_i32 s6, 0x7f
	v_cmp_gt_i16_sdwa s[10:11], v25, s6 src0_sel:BYTE_0 src1_sel:DWORD
	s_mov_b64 s[6:7], 0
	s_and_saveexec_b64 s[14:15], s[10:11]
	s_xor_b64 s[10:11], exec, s[14:15]
	s_cbranch_execnz .LBB287_581
; %bb.259:
	s_or_saveexec_b64 s[10:11], s[10:11]
	v_mov_b32_e32 v8, 0x7f800001
	s_xor_b64 exec, exec, s[10:11]
	s_cbranch_execnz .LBB287_584
.LBB287_260:
	s_or_b64 exec, exec, s[10:11]
	s_and_saveexec_b64 s[10:11], s[6:7]
	s_cbranch_execz .LBB287_262
.LBB287_261:
	v_and_b32_e32 v9, 7, v25
	v_ffbh_u32_e32 v10, v9
	v_min_u32_e32 v10, 32, v10
	v_lshrrev_b16_e32 v8, 3, v25
	v_subrev_u32_e32 v11, 28, v10
	v_and_b32_e32 v8, 15, v8
	v_lshlrev_b32_e32 v11, v11, v25
	v_sub_u32_e32 v10, 29, v10
	v_and_b32_e32 v11, 7, v11
	v_cmp_eq_u32_e64 s[6:7], 0, v8
	v_cndmask_b32_e64 v8, v8, v10, s[6:7]
	v_cndmask_b32_e64 v9, v9, v11, s[6:7]
	v_lshlrev_b32_e32 v10, 24, v25
	v_mov_b32_e32 v11, 0x3b800000
	v_lshlrev_b32_e32 v9, 20, v9
	v_and_b32_e32 v10, 0x80000000, v10
	v_lshl_add_u32 v8, v8, 23, v11
	v_or3_b32 v8, v10, v8, v9
.LBB287_262:
	s_or_b64 exec, exec, s[10:11]
	v_cmp_neq_f32_e64 s[10:11], v6, v8
                                        ; implicit-def: $vgpr25
                                        ; implicit-def: $vgpr26
.LBB287_263:
	s_andn2_saveexec_b64 s[12:13], s[12:13]
	s_cbranch_execz .LBB287_273
; %bb.264:
	s_movk_i32 s6, 0x7f
	s_waitcnt vmcnt(0) lgkmcnt(0)
	v_cmp_gt_i16_sdwa s[14:15], v26, s6 src0_sel:BYTE_0 src1_sel:DWORD
	s_mov_b64 s[6:7], 0
	s_and_saveexec_b64 s[16:17], s[14:15]
	s_xor_b64 s[14:15], exec, s[16:17]
	s_cbranch_execnz .LBB287_585
; %bb.265:
	s_or_saveexec_b64 s[14:15], s[14:15]
	v_mov_b32_e32 v6, 0x7f800001
	s_xor_b64 exec, exec, s[14:15]
	s_cbranch_execnz .LBB287_588
.LBB287_266:
	s_or_b64 exec, exec, s[14:15]
	s_and_saveexec_b64 s[14:15], s[6:7]
	s_cbranch_execz .LBB287_268
.LBB287_267:
	v_and_b32_e32 v8, 7, v26
	v_ffbh_u32_e32 v9, v8
	v_min_u32_e32 v9, 32, v9
	v_lshrrev_b16_e32 v6, 3, v26
	v_subrev_u32_e32 v10, 28, v9
	v_and_b32_e32 v6, 15, v6
	v_lshlrev_b32_e32 v10, v10, v26
	v_sub_u32_e32 v9, 29, v9
	v_and_b32_e32 v10, 7, v10
	v_cmp_eq_u32_e64 s[6:7], 0, v6
	v_cndmask_b32_e64 v6, v6, v9, s[6:7]
	v_cndmask_b32_e64 v8, v8, v10, s[6:7]
	v_lshlrev_b32_e32 v9, 24, v26
	v_mov_b32_e32 v10, 0x3b800000
	v_lshlrev_b32_e32 v8, 20, v8
	v_and_b32_e32 v9, 0x80000000, v9
	v_lshl_add_u32 v6, v6, 23, v10
	v_or3_b32 v6, v9, v6, v8
.LBB287_268:
	s_or_b64 exec, exec, s[14:15]
	s_movk_i32 s6, 0x7f
	v_cmp_gt_i16_sdwa s[14:15], v25, s6 src0_sel:BYTE_0 src1_sel:DWORD
	s_mov_b64 s[6:7], 0
	s_and_saveexec_b64 s[16:17], s[14:15]
	s_xor_b64 s[14:15], exec, s[16:17]
	s_cbranch_execnz .LBB287_589
; %bb.269:
	s_or_saveexec_b64 s[14:15], s[14:15]
	v_mov_b32_e32 v8, 0x7f800001
	s_xor_b64 exec, exec, s[14:15]
	s_cbranch_execnz .LBB287_592
.LBB287_270:
	s_or_b64 exec, exec, s[14:15]
	s_and_saveexec_b64 s[14:15], s[6:7]
	s_cbranch_execz .LBB287_272
.LBB287_271:
	v_and_b32_e32 v9, 7, v25
	v_ffbh_u32_e32 v10, v9
	v_min_u32_e32 v10, 32, v10
	v_lshrrev_b16_e32 v8, 3, v25
	v_subrev_u32_e32 v11, 28, v10
	v_and_b32_e32 v8, 15, v8
	v_lshlrev_b32_e32 v11, v11, v25
	v_sub_u32_e32 v10, 29, v10
	v_and_b32_e32 v11, 7, v11
	v_cmp_eq_u32_e64 s[6:7], 0, v8
	v_cndmask_b32_e64 v8, v8, v10, s[6:7]
	v_cndmask_b32_e64 v9, v9, v11, s[6:7]
	v_lshlrev_b32_e32 v10, 24, v25
	v_mov_b32_e32 v11, 0x3b800000
	v_lshlrev_b32_e32 v9, 20, v9
	v_and_b32_e32 v10, 0x80000000, v10
	v_lshl_add_u32 v8, v8, 23, v11
	v_or3_b32 v8, v10, v8, v9
.LBB287_272:
	s_or_b64 exec, exec, s[14:15]
	v_cmp_eq_f32_e64 s[6:7], v6, v8
	s_andn2_b64 s[10:11], s[10:11], exec
	s_and_b64 s[6:7], s[6:7], exec
	s_or_b64 s[10:11], s[10:11], s[6:7]
.LBB287_273:
	s_or_b64 exec, exec, s[12:13]
	s_movk_i32 s6, 0xff00
	v_and_b32_sdwa v6, v3, s6 dst_sel:DWORD dst_unused:UNUSED_PAD src0_sel:WORD_1 src1_sel:DWORD
	v_cndmask_b32_e64 v8, 0, 1, s[10:11]
	v_or_b32_sdwa v6, v8, v6 dst_sel:WORD_1 dst_unused:UNUSED_PAD src0_sel:DWORD src1_sel:DWORD
	s_mov_b32 s6, 0xffff
	v_and_or_b32 v3, v3, s6, v6
.LBB287_274:
	s_or_b64 exec, exec, s[8:9]
	v_add_u32_e32 v6, 0xb00, v12
	v_cmp_lt_i32_e64 s[6:7], v6, v7
	s_and_saveexec_b64 s[8:9], s[6:7]
	s_cbranch_execz .LBB287_296
; %bb.275:
                                        ; implicit-def: $sgpr10_sgpr11
	s_and_saveexec_b64 s[6:7], s[4:5]
	s_xor_b64 s[12:13], exec, s[6:7]
	s_cbranch_execz .LBB287_285
; %bb.276:
	s_movk_i32 s6, 0x7f
	s_waitcnt vmcnt(0) lgkmcnt(0)
	v_cmp_gt_i16_sdwa s[10:11], v24, s6 src0_sel:BYTE_0 src1_sel:DWORD
	s_mov_b64 s[6:7], 0
	s_and_saveexec_b64 s[14:15], s[10:11]
	s_xor_b64 s[10:11], exec, s[14:15]
	s_cbranch_execnz .LBB287_593
; %bb.277:
	s_or_saveexec_b64 s[10:11], s[10:11]
	v_mov_b32_e32 v6, 0x7f800001
	s_xor_b64 exec, exec, s[10:11]
	s_cbranch_execnz .LBB287_596
.LBB287_278:
	s_or_b64 exec, exec, s[10:11]
	s_and_saveexec_b64 s[10:11], s[6:7]
	s_cbranch_execz .LBB287_280
.LBB287_279:
	v_and_b32_e32 v8, 7, v24
	v_ffbh_u32_e32 v9, v8
	v_min_u32_e32 v9, 32, v9
	v_lshrrev_b16_e32 v6, 3, v24
	v_subrev_u32_e32 v10, 28, v9
	v_and_b32_e32 v6, 15, v6
	v_lshlrev_b32_e32 v10, v10, v24
	v_sub_u32_e32 v9, 29, v9
	v_and_b32_e32 v10, 7, v10
	v_cmp_eq_u32_e64 s[6:7], 0, v6
	v_cndmask_b32_e64 v6, v6, v9, s[6:7]
	v_cndmask_b32_e64 v8, v8, v10, s[6:7]
	v_lshlrev_b32_e32 v9, 24, v24
	v_mov_b32_e32 v10, 0x3b800000
	v_lshlrev_b32_e32 v8, 20, v8
	v_and_b32_e32 v9, 0x80000000, v9
	v_lshl_add_u32 v6, v6, 23, v10
	v_or3_b32 v6, v9, v6, v8
.LBB287_280:
	s_or_b64 exec, exec, s[10:11]
	s_movk_i32 s6, 0x7f
	v_cmp_gt_i16_sdwa s[10:11], v23, s6 src0_sel:BYTE_0 src1_sel:DWORD
	s_mov_b64 s[6:7], 0
	s_and_saveexec_b64 s[14:15], s[10:11]
	s_xor_b64 s[10:11], exec, s[14:15]
	s_cbranch_execnz .LBB287_597
; %bb.281:
	s_or_saveexec_b64 s[10:11], s[10:11]
	v_mov_b32_e32 v8, 0x7f800001
	s_xor_b64 exec, exec, s[10:11]
	s_cbranch_execnz .LBB287_600
.LBB287_282:
	s_or_b64 exec, exec, s[10:11]
	s_and_saveexec_b64 s[10:11], s[6:7]
	s_cbranch_execz .LBB287_284
.LBB287_283:
	v_and_b32_e32 v9, 7, v23
	v_ffbh_u32_e32 v10, v9
	v_min_u32_e32 v10, 32, v10
	v_lshrrev_b16_e32 v8, 3, v23
	v_subrev_u32_e32 v11, 28, v10
	v_and_b32_e32 v8, 15, v8
	v_lshlrev_b32_e32 v11, v11, v23
	v_sub_u32_e32 v10, 29, v10
	v_and_b32_e32 v11, 7, v11
	v_cmp_eq_u32_e64 s[6:7], 0, v8
	v_cndmask_b32_e64 v8, v8, v10, s[6:7]
	v_cndmask_b32_e64 v9, v9, v11, s[6:7]
	v_lshlrev_b32_e32 v10, 24, v23
	v_mov_b32_e32 v11, 0x3b800000
	v_lshlrev_b32_e32 v9, 20, v9
	v_and_b32_e32 v10, 0x80000000, v10
	v_lshl_add_u32 v8, v8, 23, v11
	v_or3_b32 v8, v10, v8, v9
.LBB287_284:
	s_or_b64 exec, exec, s[10:11]
	v_cmp_neq_f32_e64 s[10:11], v6, v8
                                        ; implicit-def: $vgpr23
                                        ; implicit-def: $vgpr24
.LBB287_285:
	s_andn2_saveexec_b64 s[12:13], s[12:13]
	s_cbranch_execz .LBB287_295
; %bb.286:
	s_movk_i32 s6, 0x7f
	s_waitcnt vmcnt(0) lgkmcnt(0)
	v_cmp_gt_i16_sdwa s[14:15], v24, s6 src0_sel:BYTE_0 src1_sel:DWORD
	s_mov_b64 s[6:7], 0
	s_and_saveexec_b64 s[16:17], s[14:15]
	s_xor_b64 s[14:15], exec, s[16:17]
	s_cbranch_execnz .LBB287_601
; %bb.287:
	s_or_saveexec_b64 s[14:15], s[14:15]
	v_mov_b32_e32 v6, 0x7f800001
	s_xor_b64 exec, exec, s[14:15]
	s_cbranch_execnz .LBB287_604
.LBB287_288:
	s_or_b64 exec, exec, s[14:15]
	s_and_saveexec_b64 s[14:15], s[6:7]
	s_cbranch_execz .LBB287_290
.LBB287_289:
	v_and_b32_e32 v8, 7, v24
	v_ffbh_u32_e32 v9, v8
	v_min_u32_e32 v9, 32, v9
	v_lshrrev_b16_e32 v6, 3, v24
	v_subrev_u32_e32 v10, 28, v9
	v_and_b32_e32 v6, 15, v6
	v_lshlrev_b32_e32 v10, v10, v24
	v_sub_u32_e32 v9, 29, v9
	v_and_b32_e32 v10, 7, v10
	v_cmp_eq_u32_e64 s[6:7], 0, v6
	v_cndmask_b32_e64 v6, v6, v9, s[6:7]
	v_cndmask_b32_e64 v8, v8, v10, s[6:7]
	v_lshlrev_b32_e32 v9, 24, v24
	v_mov_b32_e32 v10, 0x3b800000
	v_lshlrev_b32_e32 v8, 20, v8
	v_and_b32_e32 v9, 0x80000000, v9
	v_lshl_add_u32 v6, v6, 23, v10
	v_or3_b32 v6, v9, v6, v8
.LBB287_290:
	s_or_b64 exec, exec, s[14:15]
	s_movk_i32 s6, 0x7f
	v_cmp_gt_i16_sdwa s[14:15], v23, s6 src0_sel:BYTE_0 src1_sel:DWORD
	s_mov_b64 s[6:7], 0
	s_and_saveexec_b64 s[16:17], s[14:15]
	s_xor_b64 s[14:15], exec, s[16:17]
	s_cbranch_execnz .LBB287_605
; %bb.291:
	s_or_saveexec_b64 s[14:15], s[14:15]
	v_mov_b32_e32 v8, 0x7f800001
	s_xor_b64 exec, exec, s[14:15]
	s_cbranch_execnz .LBB287_608
.LBB287_292:
	s_or_b64 exec, exec, s[14:15]
	s_and_saveexec_b64 s[14:15], s[6:7]
	s_cbranch_execz .LBB287_294
.LBB287_293:
	v_and_b32_e32 v9, 7, v23
	v_ffbh_u32_e32 v10, v9
	v_min_u32_e32 v10, 32, v10
	v_lshrrev_b16_e32 v8, 3, v23
	v_subrev_u32_e32 v11, 28, v10
	v_and_b32_e32 v8, 15, v8
	v_lshlrev_b32_e32 v11, v11, v23
	v_sub_u32_e32 v10, 29, v10
	v_and_b32_e32 v11, 7, v11
	v_cmp_eq_u32_e64 s[6:7], 0, v8
	v_cndmask_b32_e64 v8, v8, v10, s[6:7]
	v_cndmask_b32_e64 v9, v9, v11, s[6:7]
	v_lshlrev_b32_e32 v10, 24, v23
	v_mov_b32_e32 v11, 0x3b800000
	v_lshlrev_b32_e32 v9, 20, v9
	v_and_b32_e32 v10, 0x80000000, v10
	v_lshl_add_u32 v8, v8, 23, v11
	v_or3_b32 v8, v10, v8, v9
.LBB287_294:
	s_or_b64 exec, exec, s[14:15]
	v_cmp_eq_f32_e64 s[6:7], v6, v8
	s_andn2_b64 s[10:11], s[10:11], exec
	s_and_b64 s[6:7], s[6:7], exec
	s_or_b64 s[10:11], s[10:11], s[6:7]
.LBB287_295:
	s_or_b64 exec, exec, s[12:13]
	s_movk_i32 s6, 0xff
	v_cndmask_b32_e64 v8, 0, 1, s[10:11]
	v_and_b32_sdwa v6, v3, s6 dst_sel:DWORD dst_unused:UNUSED_PAD src0_sel:WORD_1 src1_sel:DWORD
	v_lshlrev_b16_e32 v8, 8, v8
	v_or_b32_sdwa v6, v6, v8 dst_sel:WORD_1 dst_unused:UNUSED_PAD src0_sel:DWORD src1_sel:DWORD
	s_mov_b32 s6, 0xffff
	v_and_or_b32 v3, v3, s6, v6
.LBB287_296:
	s_or_b64 exec, exec, s[8:9]
	v_or_b32_e32 v6, 0xc00, v12
	v_cmp_lt_i32_e64 s[6:7], v6, v7
	s_and_saveexec_b64 s[8:9], s[6:7]
	s_cbranch_execz .LBB287_318
; %bb.297:
                                        ; implicit-def: $sgpr10_sgpr11
	s_and_saveexec_b64 s[6:7], s[4:5]
	s_xor_b64 s[12:13], exec, s[6:7]
	s_cbranch_execz .LBB287_307
; %bb.298:
	s_movk_i32 s6, 0x7f
	s_waitcnt vmcnt(0) lgkmcnt(0)
	v_cmp_gt_i16_sdwa s[10:11], v22, s6 src0_sel:BYTE_0 src1_sel:DWORD
	s_mov_b64 s[6:7], 0
	s_and_saveexec_b64 s[14:15], s[10:11]
	s_xor_b64 s[10:11], exec, s[14:15]
	s_cbranch_execnz .LBB287_609
; %bb.299:
	s_or_saveexec_b64 s[10:11], s[10:11]
	v_mov_b32_e32 v6, 0x7f800001
	s_xor_b64 exec, exec, s[10:11]
	s_cbranch_execnz .LBB287_612
.LBB287_300:
	s_or_b64 exec, exec, s[10:11]
	s_and_saveexec_b64 s[10:11], s[6:7]
	s_cbranch_execz .LBB287_302
.LBB287_301:
	v_and_b32_e32 v8, 7, v22
	v_ffbh_u32_e32 v9, v8
	v_min_u32_e32 v9, 32, v9
	v_lshrrev_b16_e32 v6, 3, v22
	v_subrev_u32_e32 v10, 28, v9
	v_and_b32_e32 v6, 15, v6
	v_lshlrev_b32_e32 v10, v10, v22
	v_sub_u32_e32 v9, 29, v9
	v_and_b32_e32 v10, 7, v10
	v_cmp_eq_u32_e64 s[6:7], 0, v6
	v_cndmask_b32_e64 v6, v6, v9, s[6:7]
	v_cndmask_b32_e64 v8, v8, v10, s[6:7]
	v_lshlrev_b32_e32 v9, 24, v22
	v_mov_b32_e32 v10, 0x3b800000
	v_lshlrev_b32_e32 v8, 20, v8
	v_and_b32_e32 v9, 0x80000000, v9
	v_lshl_add_u32 v6, v6, 23, v10
	v_or3_b32 v6, v9, v6, v8
.LBB287_302:
	s_or_b64 exec, exec, s[10:11]
	s_movk_i32 s6, 0x7f
	v_cmp_gt_i16_sdwa s[10:11], v21, s6 src0_sel:BYTE_0 src1_sel:DWORD
	s_mov_b64 s[6:7], 0
	s_and_saveexec_b64 s[14:15], s[10:11]
	s_xor_b64 s[10:11], exec, s[14:15]
	s_cbranch_execnz .LBB287_613
; %bb.303:
	s_or_saveexec_b64 s[10:11], s[10:11]
	v_mov_b32_e32 v8, 0x7f800001
	s_xor_b64 exec, exec, s[10:11]
	s_cbranch_execnz .LBB287_616
.LBB287_304:
	s_or_b64 exec, exec, s[10:11]
	s_and_saveexec_b64 s[10:11], s[6:7]
	s_cbranch_execz .LBB287_306
.LBB287_305:
	v_and_b32_e32 v9, 7, v21
	v_ffbh_u32_e32 v10, v9
	v_min_u32_e32 v10, 32, v10
	v_lshrrev_b16_e32 v8, 3, v21
	v_subrev_u32_e32 v11, 28, v10
	v_and_b32_e32 v8, 15, v8
	v_lshlrev_b32_e32 v11, v11, v21
	v_sub_u32_e32 v10, 29, v10
	v_and_b32_e32 v11, 7, v11
	v_cmp_eq_u32_e64 s[6:7], 0, v8
	v_cndmask_b32_e64 v8, v8, v10, s[6:7]
	v_cndmask_b32_e64 v9, v9, v11, s[6:7]
	v_lshlrev_b32_e32 v10, 24, v21
	v_mov_b32_e32 v11, 0x3b800000
	v_lshlrev_b32_e32 v9, 20, v9
	v_and_b32_e32 v10, 0x80000000, v10
	v_lshl_add_u32 v8, v8, 23, v11
	v_or3_b32 v8, v10, v8, v9
.LBB287_306:
	s_or_b64 exec, exec, s[10:11]
	v_cmp_neq_f32_e64 s[10:11], v6, v8
                                        ; implicit-def: $vgpr21
                                        ; implicit-def: $vgpr22
.LBB287_307:
	s_andn2_saveexec_b64 s[12:13], s[12:13]
	s_cbranch_execz .LBB287_317
; %bb.308:
	s_movk_i32 s6, 0x7f
	s_waitcnt vmcnt(0) lgkmcnt(0)
	v_cmp_gt_i16_sdwa s[14:15], v22, s6 src0_sel:BYTE_0 src1_sel:DWORD
	s_mov_b64 s[6:7], 0
	s_and_saveexec_b64 s[16:17], s[14:15]
	s_xor_b64 s[14:15], exec, s[16:17]
	s_cbranch_execnz .LBB287_617
; %bb.309:
	s_or_saveexec_b64 s[14:15], s[14:15]
	v_mov_b32_e32 v6, 0x7f800001
	s_xor_b64 exec, exec, s[14:15]
	s_cbranch_execnz .LBB287_620
.LBB287_310:
	s_or_b64 exec, exec, s[14:15]
	s_and_saveexec_b64 s[14:15], s[6:7]
	s_cbranch_execz .LBB287_312
.LBB287_311:
	v_and_b32_e32 v8, 7, v22
	v_ffbh_u32_e32 v9, v8
	v_min_u32_e32 v9, 32, v9
	v_lshrrev_b16_e32 v6, 3, v22
	v_subrev_u32_e32 v10, 28, v9
	v_and_b32_e32 v6, 15, v6
	v_lshlrev_b32_e32 v10, v10, v22
	v_sub_u32_e32 v9, 29, v9
	v_and_b32_e32 v10, 7, v10
	v_cmp_eq_u32_e64 s[6:7], 0, v6
	v_cndmask_b32_e64 v6, v6, v9, s[6:7]
	v_cndmask_b32_e64 v8, v8, v10, s[6:7]
	v_lshlrev_b32_e32 v9, 24, v22
	v_mov_b32_e32 v10, 0x3b800000
	v_lshlrev_b32_e32 v8, 20, v8
	v_and_b32_e32 v9, 0x80000000, v9
	v_lshl_add_u32 v6, v6, 23, v10
	v_or3_b32 v6, v9, v6, v8
.LBB287_312:
	s_or_b64 exec, exec, s[14:15]
	s_movk_i32 s6, 0x7f
	v_cmp_gt_i16_sdwa s[14:15], v21, s6 src0_sel:BYTE_0 src1_sel:DWORD
	s_mov_b64 s[6:7], 0
	s_and_saveexec_b64 s[16:17], s[14:15]
	s_xor_b64 s[14:15], exec, s[16:17]
	s_cbranch_execnz .LBB287_621
; %bb.313:
	s_or_saveexec_b64 s[14:15], s[14:15]
	v_mov_b32_e32 v8, 0x7f800001
	s_xor_b64 exec, exec, s[14:15]
	s_cbranch_execnz .LBB287_624
.LBB287_314:
	s_or_b64 exec, exec, s[14:15]
	s_and_saveexec_b64 s[14:15], s[6:7]
	s_cbranch_execz .LBB287_316
.LBB287_315:
	v_and_b32_e32 v9, 7, v21
	v_ffbh_u32_e32 v10, v9
	v_min_u32_e32 v10, 32, v10
	v_lshrrev_b16_e32 v8, 3, v21
	v_subrev_u32_e32 v11, 28, v10
	v_and_b32_e32 v8, 15, v8
	v_lshlrev_b32_e32 v11, v11, v21
	v_sub_u32_e32 v10, 29, v10
	v_and_b32_e32 v11, 7, v11
	v_cmp_eq_u32_e64 s[6:7], 0, v8
	v_cndmask_b32_e64 v8, v8, v10, s[6:7]
	v_cndmask_b32_e64 v9, v9, v11, s[6:7]
	v_lshlrev_b32_e32 v10, 24, v21
	v_mov_b32_e32 v11, 0x3b800000
	v_lshlrev_b32_e32 v9, 20, v9
	v_and_b32_e32 v10, 0x80000000, v10
	v_lshl_add_u32 v8, v8, 23, v11
	v_or3_b32 v8, v10, v8, v9
.LBB287_316:
	s_or_b64 exec, exec, s[14:15]
	v_cmp_eq_f32_e64 s[6:7], v6, v8
	s_andn2_b64 s[10:11], s[10:11], exec
	s_and_b64 s[6:7], s[6:7], exec
	s_or_b64 s[10:11], s[10:11], s[6:7]
.LBB287_317:
	s_or_b64 exec, exec, s[12:13]
	v_and_b32_e32 v6, 0xffffff00, v0
	v_cndmask_b32_e64 v8, 0, 1, s[10:11]
	v_or_b32_e32 v6, v8, v6
	v_and_b32_e32 v6, 0xffff, v6
	s_mov_b32 s6, 0xffff0000
	v_and_or_b32 v0, v0, s6, v6
.LBB287_318:
	s_or_b64 exec, exec, s[8:9]
	v_add_u32_e32 v6, 0xd00, v12
	v_cmp_lt_i32_e64 s[6:7], v6, v7
	s_and_saveexec_b64 s[8:9], s[6:7]
	s_cbranch_execz .LBB287_340
; %bb.319:
                                        ; implicit-def: $sgpr10_sgpr11
	s_and_saveexec_b64 s[6:7], s[4:5]
	s_xor_b64 s[12:13], exec, s[6:7]
	s_cbranch_execz .LBB287_329
; %bb.320:
	s_movk_i32 s6, 0x7f
	s_waitcnt vmcnt(0) lgkmcnt(0)
	v_cmp_gt_i16_sdwa s[10:11], v20, s6 src0_sel:BYTE_0 src1_sel:DWORD
	s_mov_b64 s[6:7], 0
	s_and_saveexec_b64 s[14:15], s[10:11]
	s_xor_b64 s[10:11], exec, s[14:15]
	s_cbranch_execnz .LBB287_625
; %bb.321:
	s_or_saveexec_b64 s[10:11], s[10:11]
	v_mov_b32_e32 v6, 0x7f800001
	s_xor_b64 exec, exec, s[10:11]
	s_cbranch_execnz .LBB287_628
.LBB287_322:
	s_or_b64 exec, exec, s[10:11]
	s_and_saveexec_b64 s[10:11], s[6:7]
	s_cbranch_execz .LBB287_324
.LBB287_323:
	v_and_b32_e32 v8, 7, v20
	v_ffbh_u32_e32 v9, v8
	v_min_u32_e32 v9, 32, v9
	v_lshrrev_b16_e32 v6, 3, v20
	v_subrev_u32_e32 v10, 28, v9
	v_and_b32_e32 v6, 15, v6
	v_lshlrev_b32_e32 v10, v10, v20
	v_sub_u32_e32 v9, 29, v9
	v_and_b32_e32 v10, 7, v10
	v_cmp_eq_u32_e64 s[6:7], 0, v6
	v_cndmask_b32_e64 v6, v6, v9, s[6:7]
	v_cndmask_b32_e64 v8, v8, v10, s[6:7]
	v_lshlrev_b32_e32 v9, 24, v20
	v_mov_b32_e32 v10, 0x3b800000
	v_lshlrev_b32_e32 v8, 20, v8
	v_and_b32_e32 v9, 0x80000000, v9
	v_lshl_add_u32 v6, v6, 23, v10
	v_or3_b32 v6, v9, v6, v8
.LBB287_324:
	s_or_b64 exec, exec, s[10:11]
	s_movk_i32 s6, 0x7f
	v_cmp_gt_i16_sdwa s[10:11], v19, s6 src0_sel:BYTE_0 src1_sel:DWORD
	s_mov_b64 s[6:7], 0
	s_and_saveexec_b64 s[14:15], s[10:11]
	s_xor_b64 s[10:11], exec, s[14:15]
	s_cbranch_execnz .LBB287_629
; %bb.325:
	s_or_saveexec_b64 s[10:11], s[10:11]
	v_mov_b32_e32 v8, 0x7f800001
	s_xor_b64 exec, exec, s[10:11]
	s_cbranch_execnz .LBB287_632
.LBB287_326:
	s_or_b64 exec, exec, s[10:11]
	s_and_saveexec_b64 s[10:11], s[6:7]
	s_cbranch_execz .LBB287_328
.LBB287_327:
	v_and_b32_e32 v9, 7, v19
	v_ffbh_u32_e32 v10, v9
	v_min_u32_e32 v10, 32, v10
	v_lshrrev_b16_e32 v8, 3, v19
	v_subrev_u32_e32 v11, 28, v10
	v_and_b32_e32 v8, 15, v8
	v_lshlrev_b32_e32 v11, v11, v19
	v_sub_u32_e32 v10, 29, v10
	v_and_b32_e32 v11, 7, v11
	v_cmp_eq_u32_e64 s[6:7], 0, v8
	v_cndmask_b32_e64 v8, v8, v10, s[6:7]
	v_cndmask_b32_e64 v9, v9, v11, s[6:7]
	v_lshlrev_b32_e32 v10, 24, v19
	v_mov_b32_e32 v11, 0x3b800000
	v_lshlrev_b32_e32 v9, 20, v9
	v_and_b32_e32 v10, 0x80000000, v10
	v_lshl_add_u32 v8, v8, 23, v11
	v_or3_b32 v8, v10, v8, v9
.LBB287_328:
	s_or_b64 exec, exec, s[10:11]
	v_cmp_neq_f32_e64 s[10:11], v6, v8
                                        ; implicit-def: $vgpr19
                                        ; implicit-def: $vgpr20
.LBB287_329:
	s_andn2_saveexec_b64 s[12:13], s[12:13]
	s_cbranch_execz .LBB287_339
; %bb.330:
	s_movk_i32 s6, 0x7f
	s_waitcnt vmcnt(0) lgkmcnt(0)
	v_cmp_gt_i16_sdwa s[14:15], v20, s6 src0_sel:BYTE_0 src1_sel:DWORD
	s_mov_b64 s[6:7], 0
	s_and_saveexec_b64 s[16:17], s[14:15]
	s_xor_b64 s[14:15], exec, s[16:17]
	s_cbranch_execnz .LBB287_633
; %bb.331:
	s_or_saveexec_b64 s[14:15], s[14:15]
	v_mov_b32_e32 v6, 0x7f800001
	s_xor_b64 exec, exec, s[14:15]
	s_cbranch_execnz .LBB287_636
.LBB287_332:
	s_or_b64 exec, exec, s[14:15]
	s_and_saveexec_b64 s[14:15], s[6:7]
	s_cbranch_execz .LBB287_334
.LBB287_333:
	v_and_b32_e32 v8, 7, v20
	v_ffbh_u32_e32 v9, v8
	v_min_u32_e32 v9, 32, v9
	v_lshrrev_b16_e32 v6, 3, v20
	v_subrev_u32_e32 v10, 28, v9
	v_and_b32_e32 v6, 15, v6
	v_lshlrev_b32_e32 v10, v10, v20
	v_sub_u32_e32 v9, 29, v9
	v_and_b32_e32 v10, 7, v10
	v_cmp_eq_u32_e64 s[6:7], 0, v6
	v_cndmask_b32_e64 v6, v6, v9, s[6:7]
	v_cndmask_b32_e64 v8, v8, v10, s[6:7]
	v_lshlrev_b32_e32 v9, 24, v20
	v_mov_b32_e32 v10, 0x3b800000
	v_lshlrev_b32_e32 v8, 20, v8
	v_and_b32_e32 v9, 0x80000000, v9
	v_lshl_add_u32 v6, v6, 23, v10
	v_or3_b32 v6, v9, v6, v8
.LBB287_334:
	s_or_b64 exec, exec, s[14:15]
	s_movk_i32 s6, 0x7f
	v_cmp_gt_i16_sdwa s[14:15], v19, s6 src0_sel:BYTE_0 src1_sel:DWORD
	s_mov_b64 s[6:7], 0
	s_and_saveexec_b64 s[16:17], s[14:15]
	s_xor_b64 s[14:15], exec, s[16:17]
	s_cbranch_execnz .LBB287_637
; %bb.335:
	s_or_saveexec_b64 s[14:15], s[14:15]
	v_mov_b32_e32 v8, 0x7f800001
	s_xor_b64 exec, exec, s[14:15]
	s_cbranch_execnz .LBB287_640
.LBB287_336:
	s_or_b64 exec, exec, s[14:15]
	s_and_saveexec_b64 s[14:15], s[6:7]
	s_cbranch_execz .LBB287_338
.LBB287_337:
	v_and_b32_e32 v9, 7, v19
	v_ffbh_u32_e32 v10, v9
	v_min_u32_e32 v10, 32, v10
	v_lshrrev_b16_e32 v8, 3, v19
	v_subrev_u32_e32 v11, 28, v10
	v_and_b32_e32 v8, 15, v8
	v_lshlrev_b32_e32 v11, v11, v19
	v_sub_u32_e32 v10, 29, v10
	v_and_b32_e32 v11, 7, v11
	v_cmp_eq_u32_e64 s[6:7], 0, v8
	v_cndmask_b32_e64 v8, v8, v10, s[6:7]
	v_cndmask_b32_e64 v9, v9, v11, s[6:7]
	v_lshlrev_b32_e32 v10, 24, v19
	v_mov_b32_e32 v11, 0x3b800000
	v_lshlrev_b32_e32 v9, 20, v9
	v_and_b32_e32 v10, 0x80000000, v10
	v_lshl_add_u32 v8, v8, 23, v11
	v_or3_b32 v8, v10, v8, v9
.LBB287_338:
	s_or_b64 exec, exec, s[14:15]
	v_cmp_eq_f32_e64 s[6:7], v6, v8
	s_andn2_b64 s[10:11], s[10:11], exec
	s_and_b64 s[6:7], s[6:7], exec
	s_or_b64 s[10:11], s[10:11], s[6:7]
.LBB287_339:
	s_or_b64 exec, exec, s[12:13]
	v_cndmask_b32_e64 v6, 0, 1, s[10:11]
	v_lshlrev_b16_e32 v6, 8, v6
	v_or_b32_sdwa v6, v0, v6 dst_sel:DWORD dst_unused:UNUSED_PAD src0_sel:BYTE_0 src1_sel:DWORD
	v_and_b32_e32 v6, 0xffff, v6
	s_mov_b32 s6, 0xffff0000
	v_and_or_b32 v0, v0, s6, v6
.LBB287_340:
	s_or_b64 exec, exec, s[8:9]
	v_add_u32_e32 v6, 0xe00, v12
	v_cmp_lt_i32_e64 s[6:7], v6, v7
	s_and_saveexec_b64 s[8:9], s[6:7]
	s_cbranch_execz .LBB287_362
; %bb.341:
                                        ; implicit-def: $sgpr10_sgpr11
	s_and_saveexec_b64 s[6:7], s[4:5]
	s_xor_b64 s[12:13], exec, s[6:7]
	s_cbranch_execz .LBB287_351
; %bb.342:
	s_movk_i32 s6, 0x7f
	s_waitcnt vmcnt(0) lgkmcnt(0)
	v_cmp_gt_i16_sdwa s[10:11], v18, s6 src0_sel:BYTE_0 src1_sel:DWORD
	s_mov_b64 s[6:7], 0
	s_and_saveexec_b64 s[14:15], s[10:11]
	s_xor_b64 s[10:11], exec, s[14:15]
	s_cbranch_execnz .LBB287_641
; %bb.343:
	s_or_saveexec_b64 s[10:11], s[10:11]
	v_mov_b32_e32 v6, 0x7f800001
	s_xor_b64 exec, exec, s[10:11]
	s_cbranch_execnz .LBB287_644
.LBB287_344:
	s_or_b64 exec, exec, s[10:11]
	s_and_saveexec_b64 s[10:11], s[6:7]
	s_cbranch_execz .LBB287_346
.LBB287_345:
	v_and_b32_e32 v8, 7, v18
	v_ffbh_u32_e32 v9, v8
	v_min_u32_e32 v9, 32, v9
	v_lshrrev_b16_e32 v6, 3, v18
	v_subrev_u32_e32 v10, 28, v9
	v_and_b32_e32 v6, 15, v6
	v_lshlrev_b32_e32 v10, v10, v18
	v_sub_u32_e32 v9, 29, v9
	v_and_b32_e32 v10, 7, v10
	v_cmp_eq_u32_e64 s[6:7], 0, v6
	v_cndmask_b32_e64 v6, v6, v9, s[6:7]
	v_cndmask_b32_e64 v8, v8, v10, s[6:7]
	v_lshlrev_b32_e32 v9, 24, v18
	v_mov_b32_e32 v10, 0x3b800000
	v_lshlrev_b32_e32 v8, 20, v8
	v_and_b32_e32 v9, 0x80000000, v9
	v_lshl_add_u32 v6, v6, 23, v10
	v_or3_b32 v6, v9, v6, v8
.LBB287_346:
	s_or_b64 exec, exec, s[10:11]
	s_movk_i32 s6, 0x7f
	v_cmp_gt_i16_sdwa s[10:11], v17, s6 src0_sel:BYTE_0 src1_sel:DWORD
	s_mov_b64 s[6:7], 0
	s_and_saveexec_b64 s[14:15], s[10:11]
	s_xor_b64 s[10:11], exec, s[14:15]
	s_cbranch_execnz .LBB287_645
; %bb.347:
	s_or_saveexec_b64 s[10:11], s[10:11]
	v_mov_b32_e32 v8, 0x7f800001
	s_xor_b64 exec, exec, s[10:11]
	s_cbranch_execnz .LBB287_648
.LBB287_348:
	s_or_b64 exec, exec, s[10:11]
	s_and_saveexec_b64 s[10:11], s[6:7]
	s_cbranch_execz .LBB287_350
.LBB287_349:
	v_and_b32_e32 v9, 7, v17
	v_ffbh_u32_e32 v10, v9
	v_min_u32_e32 v10, 32, v10
	v_lshrrev_b16_e32 v8, 3, v17
	v_subrev_u32_e32 v11, 28, v10
	v_and_b32_e32 v8, 15, v8
	v_lshlrev_b32_e32 v11, v11, v17
	v_sub_u32_e32 v10, 29, v10
	v_and_b32_e32 v11, 7, v11
	v_cmp_eq_u32_e64 s[6:7], 0, v8
	v_cndmask_b32_e64 v8, v8, v10, s[6:7]
	v_cndmask_b32_e64 v9, v9, v11, s[6:7]
	v_lshlrev_b32_e32 v10, 24, v17
	v_mov_b32_e32 v11, 0x3b800000
	v_lshlrev_b32_e32 v9, 20, v9
	v_and_b32_e32 v10, 0x80000000, v10
	v_lshl_add_u32 v8, v8, 23, v11
	v_or3_b32 v8, v10, v8, v9
.LBB287_350:
	s_or_b64 exec, exec, s[10:11]
	v_cmp_neq_f32_e64 s[10:11], v6, v8
                                        ; implicit-def: $vgpr17
                                        ; implicit-def: $vgpr18
.LBB287_351:
	s_andn2_saveexec_b64 s[12:13], s[12:13]
	s_cbranch_execz .LBB287_361
; %bb.352:
	s_movk_i32 s6, 0x7f
	s_waitcnt vmcnt(0) lgkmcnt(0)
	v_cmp_gt_i16_sdwa s[14:15], v18, s6 src0_sel:BYTE_0 src1_sel:DWORD
	s_mov_b64 s[6:7], 0
	s_and_saveexec_b64 s[16:17], s[14:15]
	s_xor_b64 s[14:15], exec, s[16:17]
	s_cbranch_execnz .LBB287_649
; %bb.353:
	s_or_saveexec_b64 s[14:15], s[14:15]
	v_mov_b32_e32 v6, 0x7f800001
	s_xor_b64 exec, exec, s[14:15]
	s_cbranch_execnz .LBB287_652
.LBB287_354:
	s_or_b64 exec, exec, s[14:15]
	s_and_saveexec_b64 s[14:15], s[6:7]
	s_cbranch_execz .LBB287_356
.LBB287_355:
	v_and_b32_e32 v8, 7, v18
	v_ffbh_u32_e32 v9, v8
	v_min_u32_e32 v9, 32, v9
	v_lshrrev_b16_e32 v6, 3, v18
	v_subrev_u32_e32 v10, 28, v9
	v_and_b32_e32 v6, 15, v6
	v_lshlrev_b32_e32 v10, v10, v18
	v_sub_u32_e32 v9, 29, v9
	v_and_b32_e32 v10, 7, v10
	v_cmp_eq_u32_e64 s[6:7], 0, v6
	v_cndmask_b32_e64 v6, v6, v9, s[6:7]
	v_cndmask_b32_e64 v8, v8, v10, s[6:7]
	v_lshlrev_b32_e32 v9, 24, v18
	v_mov_b32_e32 v10, 0x3b800000
	v_lshlrev_b32_e32 v8, 20, v8
	v_and_b32_e32 v9, 0x80000000, v9
	v_lshl_add_u32 v6, v6, 23, v10
	v_or3_b32 v6, v9, v6, v8
.LBB287_356:
	s_or_b64 exec, exec, s[14:15]
	s_movk_i32 s6, 0x7f
	v_cmp_gt_i16_sdwa s[14:15], v17, s6 src0_sel:BYTE_0 src1_sel:DWORD
	s_mov_b64 s[6:7], 0
	s_and_saveexec_b64 s[16:17], s[14:15]
	s_xor_b64 s[14:15], exec, s[16:17]
	s_cbranch_execnz .LBB287_653
; %bb.357:
	s_or_saveexec_b64 s[14:15], s[14:15]
	v_mov_b32_e32 v8, 0x7f800001
	s_xor_b64 exec, exec, s[14:15]
	s_cbranch_execnz .LBB287_656
.LBB287_358:
	s_or_b64 exec, exec, s[14:15]
	s_and_saveexec_b64 s[14:15], s[6:7]
	s_cbranch_execz .LBB287_360
.LBB287_359:
	v_and_b32_e32 v9, 7, v17
	v_ffbh_u32_e32 v10, v9
	v_min_u32_e32 v10, 32, v10
	v_lshrrev_b16_e32 v8, 3, v17
	v_subrev_u32_e32 v11, 28, v10
	v_and_b32_e32 v8, 15, v8
	v_lshlrev_b32_e32 v11, v11, v17
	v_sub_u32_e32 v10, 29, v10
	v_and_b32_e32 v11, 7, v11
	v_cmp_eq_u32_e64 s[6:7], 0, v8
	v_cndmask_b32_e64 v8, v8, v10, s[6:7]
	v_cndmask_b32_e64 v9, v9, v11, s[6:7]
	v_lshlrev_b32_e32 v10, 24, v17
	v_mov_b32_e32 v11, 0x3b800000
	v_lshlrev_b32_e32 v9, 20, v9
	v_and_b32_e32 v10, 0x80000000, v10
	v_lshl_add_u32 v8, v8, 23, v11
	v_or3_b32 v8, v10, v8, v9
.LBB287_360:
	s_or_b64 exec, exec, s[14:15]
	v_cmp_eq_f32_e64 s[6:7], v6, v8
	s_andn2_b64 s[10:11], s[10:11], exec
	s_and_b64 s[6:7], s[6:7], exec
	s_or_b64 s[10:11], s[10:11], s[6:7]
.LBB287_361:
	s_or_b64 exec, exec, s[12:13]
	s_movk_i32 s6, 0xff00
	v_and_b32_sdwa v6, v0, s6 dst_sel:DWORD dst_unused:UNUSED_PAD src0_sel:WORD_1 src1_sel:DWORD
	v_cndmask_b32_e64 v8, 0, 1, s[10:11]
	v_or_b32_sdwa v6, v8, v6 dst_sel:WORD_1 dst_unused:UNUSED_PAD src0_sel:DWORD src1_sel:DWORD
	s_mov_b32 s6, 0xffff
	v_and_or_b32 v0, v0, s6, v6
.LBB287_362:
	s_or_b64 exec, exec, s[8:9]
	v_add_u32_e32 v6, 0xf00, v12
	v_cmp_lt_i32_e64 s[6:7], v6, v7
	s_and_saveexec_b64 s[8:9], s[6:7]
	s_cbranch_execnz .LBB287_380
; %bb.363:
	s_or_b64 exec, exec, s[8:9]
	s_and_saveexec_b64 s[4:5], vcc
	s_xor_b64 s[4:5], exec, s[4:5]
	s_cbranch_execnz .LBB287_401
.LBB287_364:
	s_or_b64 exec, exec, s[4:5]
	v_cmp_lt_i32_e32 vcc, v12, v7
	s_and_saveexec_b64 s[4:5], vcc
	s_cbranch_execnz .LBB287_402
.LBB287_365:
	s_or_b64 exec, exec, s[4:5]
	v_cmp_lt_i32_e32 vcc, v12, v7
	s_and_saveexec_b64 s[4:5], vcc
	s_cbranch_execnz .LBB287_403
.LBB287_366:
	s_or_b64 exec, exec, s[4:5]
	v_cmp_lt_i32_e32 vcc, v12, v7
	s_and_saveexec_b64 s[4:5], vcc
	s_cbranch_execnz .LBB287_404
.LBB287_367:
	s_or_b64 exec, exec, s[4:5]
	v_cmp_lt_i32_e32 vcc, v12, v7
	s_and_saveexec_b64 s[4:5], vcc
	s_cbranch_execnz .LBB287_405
.LBB287_368:
	s_or_b64 exec, exec, s[4:5]
	v_cmp_lt_i32_e32 vcc, v12, v7
	s_and_saveexec_b64 s[4:5], vcc
	s_cbranch_execnz .LBB287_406
.LBB287_369:
	s_or_b64 exec, exec, s[4:5]
	v_cmp_lt_i32_e32 vcc, v12, v7
	s_and_saveexec_b64 s[4:5], vcc
	s_cbranch_execnz .LBB287_407
.LBB287_370:
	s_or_b64 exec, exec, s[4:5]
	v_cmp_lt_i32_e32 vcc, v12, v7
	s_and_saveexec_b64 s[4:5], vcc
	s_cbranch_execnz .LBB287_408
.LBB287_371:
	s_or_b64 exec, exec, s[4:5]
	v_cmp_lt_i32_e32 vcc, v12, v7
	s_and_saveexec_b64 s[4:5], vcc
	s_cbranch_execnz .LBB287_409
.LBB287_372:
	s_or_b64 exec, exec, s[4:5]
	v_cmp_lt_i32_e32 vcc, v12, v7
	s_and_saveexec_b64 s[4:5], vcc
	s_cbranch_execnz .LBB287_410
.LBB287_373:
	s_or_b64 exec, exec, s[4:5]
	v_cmp_lt_i32_e32 vcc, v12, v7
	s_and_saveexec_b64 s[4:5], vcc
	s_cbranch_execnz .LBB287_411
.LBB287_374:
	s_or_b64 exec, exec, s[4:5]
	v_cmp_lt_i32_e32 vcc, v12, v7
	s_and_saveexec_b64 s[4:5], vcc
	s_cbranch_execnz .LBB287_412
.LBB287_375:
	s_or_b64 exec, exec, s[4:5]
	v_cmp_lt_i32_e32 vcc, v12, v7
	s_and_saveexec_b64 s[4:5], vcc
	s_cbranch_execnz .LBB287_413
.LBB287_376:
	s_or_b64 exec, exec, s[4:5]
	v_cmp_lt_i32_e32 vcc, v12, v7
	s_and_saveexec_b64 s[4:5], vcc
	s_cbranch_execnz .LBB287_414
.LBB287_377:
	s_or_b64 exec, exec, s[4:5]
	v_cmp_lt_i32_e32 vcc, v12, v7
	s_and_saveexec_b64 s[4:5], vcc
	s_cbranch_execnz .LBB287_415
.LBB287_378:
	s_or_b64 exec, exec, s[4:5]
	v_cmp_lt_i32_e32 vcc, v12, v7
	s_and_saveexec_b64 s[4:5], vcc
	s_cbranch_execnz .LBB287_416
.LBB287_379:
	s_or_b64 exec, exec, s[4:5]
	s_waitcnt vmcnt(0) lgkmcnt(0)
	s_setpc_b64 s[30:31]
.LBB287_380:
                                        ; implicit-def: $sgpr6_sgpr7
	s_and_saveexec_b64 s[10:11], s[4:5]
	s_xor_b64 s[10:11], exec, s[10:11]
	s_cbranch_execz .LBB287_390
; %bb.381:
	s_movk_i32 s4, 0x7f
	s_waitcnt vmcnt(0) lgkmcnt(0)
	v_cmp_gt_i16_sdwa s[6:7], v16, s4 src0_sel:BYTE_0 src1_sel:DWORD
	s_mov_b64 s[4:5], 0
	s_and_saveexec_b64 s[12:13], s[6:7]
	s_xor_b64 s[6:7], exec, s[12:13]
	s_cbranch_execnz .LBB287_657
; %bb.382:
	s_or_saveexec_b64 s[6:7], s[6:7]
	v_mov_b32_e32 v6, 0x7f800001
	s_xor_b64 exec, exec, s[6:7]
	s_cbranch_execnz .LBB287_660
.LBB287_383:
	s_or_b64 exec, exec, s[6:7]
	s_and_saveexec_b64 s[6:7], s[4:5]
	s_cbranch_execz .LBB287_385
.LBB287_384:
	v_and_b32_e32 v8, 7, v16
	v_ffbh_u32_e32 v9, v8
	v_min_u32_e32 v9, 32, v9
	v_lshrrev_b16_e32 v6, 3, v16
	v_subrev_u32_e32 v10, 28, v9
	v_and_b32_e32 v6, 15, v6
	v_lshlrev_b32_e32 v10, v10, v16
	v_sub_u32_e32 v9, 29, v9
	v_and_b32_e32 v10, 7, v10
	v_cmp_eq_u32_e64 s[4:5], 0, v6
	v_cndmask_b32_e64 v6, v6, v9, s[4:5]
	v_cndmask_b32_e64 v8, v8, v10, s[4:5]
	v_lshlrev_b32_e32 v9, 24, v16
	v_mov_b32_e32 v10, 0x3b800000
	v_lshlrev_b32_e32 v8, 20, v8
	v_and_b32_e32 v9, 0x80000000, v9
	v_lshl_add_u32 v6, v6, 23, v10
	v_or3_b32 v6, v9, v6, v8
.LBB287_385:
	s_or_b64 exec, exec, s[6:7]
	s_movk_i32 s4, 0x7f
	v_cmp_gt_i16_sdwa s[6:7], v15, s4 src0_sel:BYTE_0 src1_sel:DWORD
	s_mov_b64 s[4:5], 0
	s_and_saveexec_b64 s[12:13], s[6:7]
	s_xor_b64 s[6:7], exec, s[12:13]
	s_cbranch_execnz .LBB287_661
; %bb.386:
	s_or_saveexec_b64 s[6:7], s[6:7]
	v_mov_b32_e32 v8, 0x7f800001
	s_xor_b64 exec, exec, s[6:7]
	s_cbranch_execnz .LBB287_664
.LBB287_387:
	s_or_b64 exec, exec, s[6:7]
	s_and_saveexec_b64 s[6:7], s[4:5]
	s_cbranch_execz .LBB287_389
.LBB287_388:
	v_and_b32_e32 v9, 7, v15
	v_ffbh_u32_e32 v10, v9
	v_min_u32_e32 v10, 32, v10
	v_lshrrev_b16_e32 v8, 3, v15
	v_subrev_u32_e32 v11, 28, v10
	v_and_b32_e32 v8, 15, v8
	v_lshlrev_b32_e32 v11, v11, v15
	v_sub_u32_e32 v10, 29, v10
	v_and_b32_e32 v11, 7, v11
	v_cmp_eq_u32_e64 s[4:5], 0, v8
	v_cndmask_b32_e64 v8, v8, v10, s[4:5]
	v_cndmask_b32_e64 v9, v9, v11, s[4:5]
	v_lshlrev_b32_e32 v10, 24, v15
	v_mov_b32_e32 v11, 0x3b800000
	v_lshlrev_b32_e32 v9, 20, v9
	v_and_b32_e32 v10, 0x80000000, v10
	v_lshl_add_u32 v8, v8, 23, v11
	v_or3_b32 v8, v10, v8, v9
.LBB287_389:
	s_or_b64 exec, exec, s[6:7]
	v_cmp_neq_f32_e64 s[6:7], v6, v8
                                        ; implicit-def: $vgpr15
                                        ; implicit-def: $vgpr16
.LBB287_390:
	s_andn2_saveexec_b64 s[10:11], s[10:11]
	s_cbranch_execz .LBB287_400
; %bb.391:
	s_movk_i32 s4, 0x7f
	s_waitcnt vmcnt(0) lgkmcnt(0)
	v_cmp_gt_i16_sdwa s[12:13], v16, s4 src0_sel:BYTE_0 src1_sel:DWORD
	s_mov_b64 s[4:5], 0
	s_and_saveexec_b64 s[14:15], s[12:13]
	s_xor_b64 s[12:13], exec, s[14:15]
	s_cbranch_execnz .LBB287_665
; %bb.392:
	s_or_saveexec_b64 s[12:13], s[12:13]
	v_mov_b32_e32 v6, 0x7f800001
	s_xor_b64 exec, exec, s[12:13]
	s_cbranch_execnz .LBB287_668
.LBB287_393:
	s_or_b64 exec, exec, s[12:13]
	s_and_saveexec_b64 s[12:13], s[4:5]
	s_cbranch_execz .LBB287_395
.LBB287_394:
	v_and_b32_e32 v8, 7, v16
	v_ffbh_u32_e32 v9, v8
	v_min_u32_e32 v9, 32, v9
	v_lshrrev_b16_e32 v6, 3, v16
	v_subrev_u32_e32 v10, 28, v9
	v_and_b32_e32 v6, 15, v6
	v_lshlrev_b32_e32 v10, v10, v16
	v_sub_u32_e32 v9, 29, v9
	v_and_b32_e32 v10, 7, v10
	v_cmp_eq_u32_e64 s[4:5], 0, v6
	v_cndmask_b32_e64 v6, v6, v9, s[4:5]
	v_cndmask_b32_e64 v8, v8, v10, s[4:5]
	v_lshlrev_b32_e32 v9, 24, v16
	v_mov_b32_e32 v10, 0x3b800000
	v_lshlrev_b32_e32 v8, 20, v8
	v_and_b32_e32 v9, 0x80000000, v9
	v_lshl_add_u32 v6, v6, 23, v10
	v_or3_b32 v6, v9, v6, v8
.LBB287_395:
	s_or_b64 exec, exec, s[12:13]
	s_movk_i32 s4, 0x7f
	v_cmp_gt_i16_sdwa s[12:13], v15, s4 src0_sel:BYTE_0 src1_sel:DWORD
	s_mov_b64 s[4:5], 0
	s_and_saveexec_b64 s[14:15], s[12:13]
	s_xor_b64 s[12:13], exec, s[14:15]
	s_cbranch_execnz .LBB287_669
; %bb.396:
	s_or_saveexec_b64 s[12:13], s[12:13]
	v_mov_b32_e32 v8, 0x7f800001
	s_xor_b64 exec, exec, s[12:13]
	s_cbranch_execnz .LBB287_672
.LBB287_397:
	s_or_b64 exec, exec, s[12:13]
	s_and_saveexec_b64 s[12:13], s[4:5]
	s_cbranch_execz .LBB287_399
.LBB287_398:
	v_and_b32_e32 v9, 7, v15
	v_ffbh_u32_e32 v10, v9
	v_min_u32_e32 v10, 32, v10
	v_lshrrev_b16_e32 v8, 3, v15
	v_subrev_u32_e32 v11, 28, v10
	v_and_b32_e32 v8, 15, v8
	v_lshlrev_b32_e32 v11, v11, v15
	v_sub_u32_e32 v10, 29, v10
	v_and_b32_e32 v11, 7, v11
	v_cmp_eq_u32_e64 s[4:5], 0, v8
	v_cndmask_b32_e64 v8, v8, v10, s[4:5]
	v_cndmask_b32_e64 v9, v9, v11, s[4:5]
	v_lshlrev_b32_e32 v10, 24, v15
	v_mov_b32_e32 v11, 0x3b800000
	v_lshlrev_b32_e32 v9, 20, v9
	v_and_b32_e32 v10, 0x80000000, v10
	v_lshl_add_u32 v8, v8, 23, v11
	v_or3_b32 v8, v10, v8, v9
.LBB287_399:
	s_or_b64 exec, exec, s[12:13]
	v_cmp_eq_f32_e64 s[4:5], v6, v8
	s_andn2_b64 s[6:7], s[6:7], exec
	s_and_b64 s[4:5], s[4:5], exec
	s_or_b64 s[6:7], s[6:7], s[4:5]
.LBB287_400:
	s_or_b64 exec, exec, s[10:11]
	s_movk_i32 s4, 0xff
	v_cndmask_b32_e64 v8, 0, 1, s[6:7]
	v_and_b32_sdwa v6, v0, s4 dst_sel:DWORD dst_unused:UNUSED_PAD src0_sel:WORD_1 src1_sel:DWORD
	v_lshlrev_b16_e32 v8, 8, v8
	v_or_b32_sdwa v6, v6, v8 dst_sel:WORD_1 dst_unused:UNUSED_PAD src0_sel:DWORD src1_sel:DWORD
	s_mov_b32 s4, 0xffff
	v_and_or_b32 v0, v0, s4, v6
	s_or_b64 exec, exec, s[8:9]
	s_and_saveexec_b64 s[4:5], vcc
	s_xor_b64 s[4:5], exec, s[4:5]
	s_cbranch_execz .LBB287_364
.LBB287_401:
	v_add_co_u32_e32 v8, vcc, v1, v13
	v_addc_co_u32_e32 v9, vcc, 0, v2, vcc
	v_mov_b32_e32 v12, v5
	flat_store_byte v[8:9], v14
	s_or_b64 exec, exec, s[4:5]
	v_cmp_lt_i32_e32 vcc, v12, v7
	s_and_saveexec_b64 s[4:5], vcc
	s_cbranch_execz .LBB287_365
.LBB287_402:
	v_add_u32_e32 v5, s56, v12
	v_add_co_u32_e32 v5, vcc, v1, v5
	v_lshrrev_b32_e32 v8, 8, v14
	v_addc_co_u32_e32 v6, vcc, 0, v2, vcc
	v_add_u32_e32 v12, 0x100, v12
	flat_store_byte v[5:6], v8
	s_or_b64 exec, exec, s[4:5]
	v_cmp_lt_i32_e32 vcc, v12, v7
	s_and_saveexec_b64 s[4:5], vcc
	s_cbranch_execz .LBB287_366
.LBB287_403:
	v_add_u32_e32 v5, s56, v12
	v_add_co_u32_e32 v5, vcc, v1, v5
	v_addc_co_u32_e32 v6, vcc, 0, v2, vcc
	v_add_u32_e32 v12, 0x100, v12
	flat_store_byte_d16_hi v[5:6], v14
	s_or_b64 exec, exec, s[4:5]
	v_cmp_lt_i32_e32 vcc, v12, v7
	s_and_saveexec_b64 s[4:5], vcc
	s_cbranch_execz .LBB287_367
.LBB287_404:
	v_add_u32_e32 v5, s56, v12
	v_add_co_u32_e32 v5, vcc, v1, v5
	v_lshrrev_b32_e32 v8, 24, v14
	v_addc_co_u32_e32 v6, vcc, 0, v2, vcc
	v_add_u32_e32 v12, 0x100, v12
	flat_store_byte v[5:6], v8
	s_or_b64 exec, exec, s[4:5]
	v_cmp_lt_i32_e32 vcc, v12, v7
	s_and_saveexec_b64 s[4:5], vcc
	s_cbranch_execz .LBB287_368
.LBB287_405:
	v_add_u32_e32 v5, s56, v12
	v_add_co_u32_e32 v5, vcc, v1, v5
	v_addc_co_u32_e32 v6, vcc, 0, v2, vcc
	v_add_u32_e32 v12, 0x100, v12
	flat_store_byte v[5:6], v4
	s_or_b64 exec, exec, s[4:5]
	v_cmp_lt_i32_e32 vcc, v12, v7
	s_and_saveexec_b64 s[4:5], vcc
	s_cbranch_execz .LBB287_369
.LBB287_406:
	v_add_u32_e32 v5, s56, v12
	v_add_co_u32_e32 v5, vcc, v1, v5
	v_lshrrev_b32_e32 v8, 8, v4
	v_addc_co_u32_e32 v6, vcc, 0, v2, vcc
	v_add_u32_e32 v12, 0x100, v12
	flat_store_byte v[5:6], v8
	s_or_b64 exec, exec, s[4:5]
	v_cmp_lt_i32_e32 vcc, v12, v7
	s_and_saveexec_b64 s[4:5], vcc
	s_cbranch_execz .LBB287_370
.LBB287_407:
	v_add_u32_e32 v5, s56, v12
	v_add_co_u32_e32 v5, vcc, v1, v5
	v_addc_co_u32_e32 v6, vcc, 0, v2, vcc
	v_add_u32_e32 v12, 0x100, v12
	flat_store_byte_d16_hi v[5:6], v4
	s_or_b64 exec, exec, s[4:5]
	v_cmp_lt_i32_e32 vcc, v12, v7
	s_and_saveexec_b64 s[4:5], vcc
	s_cbranch_execz .LBB287_371
.LBB287_408:
	v_lshrrev_b32_e32 v6, 24, v4
	v_add_u32_e32 v4, s56, v12
	v_add_co_u32_e32 v4, vcc, v1, v4
	v_addc_co_u32_e32 v5, vcc, 0, v2, vcc
	v_add_u32_e32 v12, 0x100, v12
	flat_store_byte v[4:5], v6
	s_or_b64 exec, exec, s[4:5]
	v_cmp_lt_i32_e32 vcc, v12, v7
	s_and_saveexec_b64 s[4:5], vcc
	s_cbranch_execz .LBB287_372
.LBB287_409:
	v_add_u32_e32 v4, s56, v12
	v_add_co_u32_e32 v4, vcc, v1, v4
	v_addc_co_u32_e32 v5, vcc, 0, v2, vcc
	v_add_u32_e32 v12, 0x100, v12
	flat_store_byte v[4:5], v3
	s_or_b64 exec, exec, s[4:5]
	v_cmp_lt_i32_e32 vcc, v12, v7
	s_and_saveexec_b64 s[4:5], vcc
	s_cbranch_execz .LBB287_373
.LBB287_410:
	v_add_u32_e32 v4, s56, v12
	v_add_co_u32_e32 v4, vcc, v1, v4
	v_lshrrev_b32_e32 v6, 8, v3
	v_addc_co_u32_e32 v5, vcc, 0, v2, vcc
	v_add_u32_e32 v12, 0x100, v12
	flat_store_byte v[4:5], v6
	s_or_b64 exec, exec, s[4:5]
	v_cmp_lt_i32_e32 vcc, v12, v7
	s_and_saveexec_b64 s[4:5], vcc
	s_cbranch_execz .LBB287_374
.LBB287_411:
	v_add_u32_e32 v4, s56, v12
	v_add_co_u32_e32 v4, vcc, v1, v4
	v_addc_co_u32_e32 v5, vcc, 0, v2, vcc
	v_add_u32_e32 v12, 0x100, v12
	flat_store_byte_d16_hi v[4:5], v3
	s_or_b64 exec, exec, s[4:5]
	v_cmp_lt_i32_e32 vcc, v12, v7
	s_and_saveexec_b64 s[4:5], vcc
	s_cbranch_execz .LBB287_375
.LBB287_412:
	v_lshrrev_b32_e32 v5, 24, v3
	v_add_u32_e32 v3, s56, v12
	v_add_co_u32_e32 v3, vcc, v1, v3
	v_addc_co_u32_e32 v4, vcc, 0, v2, vcc
	v_add_u32_e32 v12, 0x100, v12
	flat_store_byte v[3:4], v5
	s_or_b64 exec, exec, s[4:5]
	v_cmp_lt_i32_e32 vcc, v12, v7
	s_and_saveexec_b64 s[4:5], vcc
	s_cbranch_execz .LBB287_376
.LBB287_413:
	v_add_u32_e32 v3, s56, v12
	v_add_co_u32_e32 v3, vcc, v1, v3
	v_addc_co_u32_e32 v4, vcc, 0, v2, vcc
	v_add_u32_e32 v12, 0x100, v12
	flat_store_byte v[3:4], v0
	s_or_b64 exec, exec, s[4:5]
	v_cmp_lt_i32_e32 vcc, v12, v7
	s_and_saveexec_b64 s[4:5], vcc
	s_cbranch_execz .LBB287_377
.LBB287_414:
	v_add_u32_e32 v3, s56, v12
	v_add_co_u32_e32 v3, vcc, v1, v3
	v_lshrrev_b32_e32 v5, 8, v0
	v_addc_co_u32_e32 v4, vcc, 0, v2, vcc
	v_add_u32_e32 v12, 0x100, v12
	flat_store_byte v[3:4], v5
	s_or_b64 exec, exec, s[4:5]
	v_cmp_lt_i32_e32 vcc, v12, v7
	s_and_saveexec_b64 s[4:5], vcc
	s_cbranch_execz .LBB287_378
.LBB287_415:
	v_add_u32_e32 v3, s56, v12
	v_add_co_u32_e32 v3, vcc, v1, v3
	v_addc_co_u32_e32 v4, vcc, 0, v2, vcc
	v_add_u32_e32 v12, 0x100, v12
	flat_store_byte_d16_hi v[3:4], v0
	s_or_b64 exec, exec, s[4:5]
	v_cmp_lt_i32_e32 vcc, v12, v7
	s_and_saveexec_b64 s[4:5], vcc
	s_cbranch_execz .LBB287_379
.LBB287_416:
	v_lshrrev_b32_e32 v3, 24, v0
	v_add_u32_e32 v0, s56, v12
	v_add_co_u32_e32 v0, vcc, v1, v0
	v_addc_co_u32_e32 v1, vcc, 0, v2, vcc
	flat_store_byte v[0:1], v3
	s_or_b64 exec, exec, s[4:5]
	s_waitcnt vmcnt(0) lgkmcnt(0)
	s_setpc_b64 s[30:31]
.LBB287_417:
	s_movk_i32 s6, 0x80
	v_cmp_eq_u16_sdwa s[16:17], v54, s6 src0_sel:BYTE_0 src1_sel:DWORD
	s_mov_b64 s[6:7], -1
	s_and_saveexec_b64 s[14:15], s[16:17]
; %bb.418:
	s_xor_b64 s[6:7], exec, -1
; %bb.419:
	s_or_b64 exec, exec, s[14:15]
	s_and_b64 s[6:7], s[6:7], exec
	s_or_saveexec_b64 s[10:11], s[10:11]
	v_mov_b32_e32 v0, 0x7f800001
	s_xor_b64 exec, exec, s[10:11]
	s_cbranch_execz .LBB287_36
.LBB287_420:
	v_mov_b32_e32 v0, 0
	v_cmp_ne_u16_sdwa s[14:15], v54, v0 src0_sel:BYTE_0 src1_sel:DWORD
	s_andn2_b64 s[6:7], s[6:7], exec
	s_and_b64 s[14:15], s[14:15], exec
	s_or_b64 s[6:7], s[6:7], s[14:15]
	s_or_b64 exec, exec, s[10:11]
	s_and_saveexec_b64 s[10:11], s[6:7]
	s_cbranch_execnz .LBB287_37
	s_branch .LBB287_38
.LBB287_421:
	s_movk_i32 s6, 0x80
	v_cmp_eq_u16_sdwa s[16:17], v53, s6 src0_sel:BYTE_0 src1_sel:DWORD
	s_mov_b64 s[6:7], -1
	s_and_saveexec_b64 s[14:15], s[16:17]
; %bb.422:
	s_xor_b64 s[6:7], exec, -1
; %bb.423:
	s_or_b64 exec, exec, s[14:15]
	s_and_b64 s[6:7], s[6:7], exec
	s_or_saveexec_b64 s[10:11], s[10:11]
	v_mov_b32_e32 v3, 0x7f800001
	s_xor_b64 exec, exec, s[10:11]
	s_cbranch_execz .LBB287_40
.LBB287_424:
	v_mov_b32_e32 v3, 0
	v_cmp_ne_u16_sdwa s[14:15], v53, v3 src0_sel:BYTE_0 src1_sel:DWORD
	s_andn2_b64 s[6:7], s[6:7], exec
	s_and_b64 s[14:15], s[14:15], exec
	s_or_b64 s[6:7], s[6:7], s[14:15]
	s_or_b64 exec, exec, s[10:11]
	s_and_saveexec_b64 s[10:11], s[6:7]
	s_cbranch_execnz .LBB287_41
	s_branch .LBB287_42
.LBB287_425:
	s_movk_i32 s6, 0x80
	v_cmp_eq_u16_sdwa s[18:19], v54, s6 src0_sel:BYTE_0 src1_sel:DWORD
	s_mov_b64 s[6:7], -1
	s_and_saveexec_b64 s[16:17], s[18:19]
; %bb.426:
	s_xor_b64 s[6:7], exec, -1
; %bb.427:
	s_or_b64 exec, exec, s[16:17]
	s_and_b64 s[6:7], s[6:7], exec
	s_or_saveexec_b64 s[14:15], s[14:15]
	v_mov_b32_e32 v0, 0x7f800001
	s_xor_b64 exec, exec, s[14:15]
	s_cbranch_execz .LBB287_46
.LBB287_428:
	v_mov_b32_e32 v0, 0
	v_cmp_ne_u16_sdwa s[16:17], v54, v0 src0_sel:BYTE_0 src1_sel:DWORD
	s_andn2_b64 s[6:7], s[6:7], exec
	s_and_b64 s[16:17], s[16:17], exec
	s_or_b64 s[6:7], s[6:7], s[16:17]
	s_or_b64 exec, exec, s[14:15]
	s_and_saveexec_b64 s[14:15], s[6:7]
	s_cbranch_execnz .LBB287_47
	s_branch .LBB287_48
.LBB287_429:
	s_movk_i32 s6, 0x80
	v_cmp_eq_u16_sdwa s[18:19], v53, s6 src0_sel:BYTE_0 src1_sel:DWORD
	s_mov_b64 s[6:7], -1
	s_and_saveexec_b64 s[16:17], s[18:19]
; %bb.430:
	s_xor_b64 s[6:7], exec, -1
; %bb.431:
	s_or_b64 exec, exec, s[16:17]
	s_and_b64 s[6:7], s[6:7], exec
	s_or_saveexec_b64 s[14:15], s[14:15]
	v_mov_b32_e32 v3, 0x7f800001
	s_xor_b64 exec, exec, s[14:15]
	s_cbranch_execz .LBB287_50
.LBB287_432:
	v_mov_b32_e32 v3, 0
	v_cmp_ne_u16_sdwa s[16:17], v53, v3 src0_sel:BYTE_0 src1_sel:DWORD
	s_andn2_b64 s[6:7], s[6:7], exec
	s_and_b64 s[16:17], s[16:17], exec
	s_or_b64 s[6:7], s[6:7], s[16:17]
	s_or_b64 exec, exec, s[14:15]
	s_and_saveexec_b64 s[14:15], s[6:7]
	s_cbranch_execnz .LBB287_51
	s_branch .LBB287_52
.LBB287_433:
	s_movk_i32 s6, 0x80
	v_cmp_eq_u16_sdwa s[16:17], v52, s6 src0_sel:BYTE_0 src1_sel:DWORD
	s_mov_b64 s[6:7], -1
	s_and_saveexec_b64 s[14:15], s[16:17]
; %bb.434:
	s_xor_b64 s[6:7], exec, -1
; %bb.435:
	s_or_b64 exec, exec, s[14:15]
	s_and_b64 s[6:7], s[6:7], exec
	s_or_saveexec_b64 s[10:11], s[10:11]
	v_mov_b32_e32 v6, 0x7f800001
	s_xor_b64 exec, exec, s[10:11]
	s_cbranch_execz .LBB287_58
.LBB287_436:
	v_mov_b32_e32 v6, 0
	v_cmp_ne_u16_sdwa s[14:15], v52, v6 src0_sel:BYTE_0 src1_sel:DWORD
	s_andn2_b64 s[6:7], s[6:7], exec
	s_and_b64 s[14:15], s[14:15], exec
	s_or_b64 s[6:7], s[6:7], s[14:15]
	s_or_b64 exec, exec, s[10:11]
	s_and_saveexec_b64 s[10:11], s[6:7]
	s_cbranch_execnz .LBB287_59
	s_branch .LBB287_60
.LBB287_437:
	s_movk_i32 s6, 0x80
	v_cmp_eq_u16_sdwa s[16:17], v51, s6 src0_sel:BYTE_0 src1_sel:DWORD
	s_mov_b64 s[6:7], -1
	s_and_saveexec_b64 s[14:15], s[16:17]
; %bb.438:
	s_xor_b64 s[6:7], exec, -1
; %bb.439:
	s_or_b64 exec, exec, s[14:15]
	s_and_b64 s[6:7], s[6:7], exec
	s_or_saveexec_b64 s[10:11], s[10:11]
	v_mov_b32_e32 v8, 0x7f800001
	s_xor_b64 exec, exec, s[10:11]
	s_cbranch_execz .LBB287_62
.LBB287_440:
	v_mov_b32_e32 v8, 0
	v_cmp_ne_u16_sdwa s[14:15], v51, v8 src0_sel:BYTE_0 src1_sel:DWORD
	s_andn2_b64 s[6:7], s[6:7], exec
	s_and_b64 s[14:15], s[14:15], exec
	s_or_b64 s[6:7], s[6:7], s[14:15]
	s_or_b64 exec, exec, s[10:11]
	s_and_saveexec_b64 s[10:11], s[6:7]
	s_cbranch_execnz .LBB287_63
	s_branch .LBB287_64
.LBB287_441:
	s_movk_i32 s6, 0x80
	v_cmp_eq_u16_sdwa s[18:19], v52, s6 src0_sel:BYTE_0 src1_sel:DWORD
	s_mov_b64 s[6:7], -1
	s_and_saveexec_b64 s[16:17], s[18:19]
; %bb.442:
	s_xor_b64 s[6:7], exec, -1
; %bb.443:
	s_or_b64 exec, exec, s[16:17]
	s_and_b64 s[6:7], s[6:7], exec
	s_or_saveexec_b64 s[14:15], s[14:15]
	v_mov_b32_e32 v6, 0x7f800001
	s_xor_b64 exec, exec, s[14:15]
	s_cbranch_execz .LBB287_68
.LBB287_444:
	v_mov_b32_e32 v6, 0
	v_cmp_ne_u16_sdwa s[16:17], v52, v6 src0_sel:BYTE_0 src1_sel:DWORD
	s_andn2_b64 s[6:7], s[6:7], exec
	s_and_b64 s[16:17], s[16:17], exec
	s_or_b64 s[6:7], s[6:7], s[16:17]
	s_or_b64 exec, exec, s[14:15]
	s_and_saveexec_b64 s[14:15], s[6:7]
	s_cbranch_execnz .LBB287_69
	s_branch .LBB287_70
.LBB287_445:
	s_movk_i32 s6, 0x80
	v_cmp_eq_u16_sdwa s[18:19], v51, s6 src0_sel:BYTE_0 src1_sel:DWORD
	s_mov_b64 s[6:7], -1
	s_and_saveexec_b64 s[16:17], s[18:19]
; %bb.446:
	s_xor_b64 s[6:7], exec, -1
; %bb.447:
	s_or_b64 exec, exec, s[16:17]
	s_and_b64 s[6:7], s[6:7], exec
	s_or_saveexec_b64 s[14:15], s[14:15]
	v_mov_b32_e32 v8, 0x7f800001
	s_xor_b64 exec, exec, s[14:15]
	s_cbranch_execz .LBB287_72
.LBB287_448:
	v_mov_b32_e32 v8, 0
	v_cmp_ne_u16_sdwa s[16:17], v51, v8 src0_sel:BYTE_0 src1_sel:DWORD
	s_andn2_b64 s[6:7], s[6:7], exec
	s_and_b64 s[16:17], s[16:17], exec
	s_or_b64 s[6:7], s[6:7], s[16:17]
	s_or_b64 exec, exec, s[14:15]
	s_and_saveexec_b64 s[14:15], s[6:7]
	s_cbranch_execnz .LBB287_73
	s_branch .LBB287_74
.LBB287_449:
	s_movk_i32 s6, 0x80
	v_cmp_eq_u16_sdwa s[16:17], v50, s6 src0_sel:BYTE_0 src1_sel:DWORD
	s_mov_b64 s[6:7], -1
	s_and_saveexec_b64 s[14:15], s[16:17]
; %bb.450:
	s_xor_b64 s[6:7], exec, -1
; %bb.451:
	s_or_b64 exec, exec, s[14:15]
	s_and_b64 s[6:7], s[6:7], exec
	s_or_saveexec_b64 s[10:11], s[10:11]
	v_mov_b32_e32 v6, 0x7f800001
	s_xor_b64 exec, exec, s[10:11]
	s_cbranch_execz .LBB287_80
.LBB287_452:
	v_mov_b32_e32 v6, 0
	v_cmp_ne_u16_sdwa s[14:15], v50, v6 src0_sel:BYTE_0 src1_sel:DWORD
	s_andn2_b64 s[6:7], s[6:7], exec
	s_and_b64 s[14:15], s[14:15], exec
	s_or_b64 s[6:7], s[6:7], s[14:15]
	s_or_b64 exec, exec, s[10:11]
	s_and_saveexec_b64 s[10:11], s[6:7]
	s_cbranch_execnz .LBB287_81
	s_branch .LBB287_82
.LBB287_453:
	s_movk_i32 s6, 0x80
	v_cmp_eq_u16_sdwa s[16:17], v49, s6 src0_sel:BYTE_0 src1_sel:DWORD
	s_mov_b64 s[6:7], -1
	s_and_saveexec_b64 s[14:15], s[16:17]
; %bb.454:
	s_xor_b64 s[6:7], exec, -1
; %bb.455:
	s_or_b64 exec, exec, s[14:15]
	s_and_b64 s[6:7], s[6:7], exec
	s_or_saveexec_b64 s[10:11], s[10:11]
	v_mov_b32_e32 v8, 0x7f800001
	s_xor_b64 exec, exec, s[10:11]
	s_cbranch_execz .LBB287_84
.LBB287_456:
	v_mov_b32_e32 v8, 0
	v_cmp_ne_u16_sdwa s[14:15], v49, v8 src0_sel:BYTE_0 src1_sel:DWORD
	s_andn2_b64 s[6:7], s[6:7], exec
	s_and_b64 s[14:15], s[14:15], exec
	s_or_b64 s[6:7], s[6:7], s[14:15]
	s_or_b64 exec, exec, s[10:11]
	s_and_saveexec_b64 s[10:11], s[6:7]
	s_cbranch_execnz .LBB287_85
	s_branch .LBB287_86
.LBB287_457:
	s_movk_i32 s6, 0x80
	v_cmp_eq_u16_sdwa s[18:19], v50, s6 src0_sel:BYTE_0 src1_sel:DWORD
	s_mov_b64 s[6:7], -1
	s_and_saveexec_b64 s[16:17], s[18:19]
; %bb.458:
	s_xor_b64 s[6:7], exec, -1
; %bb.459:
	s_or_b64 exec, exec, s[16:17]
	s_and_b64 s[6:7], s[6:7], exec
	s_or_saveexec_b64 s[14:15], s[14:15]
	v_mov_b32_e32 v6, 0x7f800001
	s_xor_b64 exec, exec, s[14:15]
	s_cbranch_execz .LBB287_90
.LBB287_460:
	v_mov_b32_e32 v6, 0
	v_cmp_ne_u16_sdwa s[16:17], v50, v6 src0_sel:BYTE_0 src1_sel:DWORD
	s_andn2_b64 s[6:7], s[6:7], exec
	s_and_b64 s[16:17], s[16:17], exec
	s_or_b64 s[6:7], s[6:7], s[16:17]
	s_or_b64 exec, exec, s[14:15]
	s_and_saveexec_b64 s[14:15], s[6:7]
	s_cbranch_execnz .LBB287_91
	s_branch .LBB287_92
.LBB287_461:
	s_movk_i32 s6, 0x80
	v_cmp_eq_u16_sdwa s[18:19], v49, s6 src0_sel:BYTE_0 src1_sel:DWORD
	s_mov_b64 s[6:7], -1
	s_and_saveexec_b64 s[16:17], s[18:19]
; %bb.462:
	s_xor_b64 s[6:7], exec, -1
; %bb.463:
	s_or_b64 exec, exec, s[16:17]
	s_and_b64 s[6:7], s[6:7], exec
	s_or_saveexec_b64 s[14:15], s[14:15]
	v_mov_b32_e32 v8, 0x7f800001
	s_xor_b64 exec, exec, s[14:15]
	s_cbranch_execz .LBB287_94
.LBB287_464:
	v_mov_b32_e32 v8, 0
	v_cmp_ne_u16_sdwa s[16:17], v49, v8 src0_sel:BYTE_0 src1_sel:DWORD
	s_andn2_b64 s[6:7], s[6:7], exec
	s_and_b64 s[16:17], s[16:17], exec
	s_or_b64 s[6:7], s[6:7], s[16:17]
	s_or_b64 exec, exec, s[14:15]
	s_and_saveexec_b64 s[14:15], s[6:7]
	s_cbranch_execnz .LBB287_95
	s_branch .LBB287_96
.LBB287_465:
	s_movk_i32 s6, 0x80
	v_cmp_eq_u16_sdwa s[16:17], v48, s6 src0_sel:BYTE_0 src1_sel:DWORD
	s_mov_b64 s[6:7], -1
	s_and_saveexec_b64 s[14:15], s[16:17]
; %bb.466:
	s_xor_b64 s[6:7], exec, -1
; %bb.467:
	s_or_b64 exec, exec, s[14:15]
	s_and_b64 s[6:7], s[6:7], exec
	s_or_saveexec_b64 s[10:11], s[10:11]
	v_mov_b32_e32 v6, 0x7f800001
	s_xor_b64 exec, exec, s[10:11]
	s_cbranch_execz .LBB287_102
.LBB287_468:
	v_mov_b32_e32 v6, 0
	v_cmp_ne_u16_sdwa s[14:15], v48, v6 src0_sel:BYTE_0 src1_sel:DWORD
	s_andn2_b64 s[6:7], s[6:7], exec
	s_and_b64 s[14:15], s[14:15], exec
	s_or_b64 s[6:7], s[6:7], s[14:15]
	s_or_b64 exec, exec, s[10:11]
	s_and_saveexec_b64 s[10:11], s[6:7]
	s_cbranch_execnz .LBB287_103
	s_branch .LBB287_104
.LBB287_469:
	s_movk_i32 s6, 0x80
	v_cmp_eq_u16_sdwa s[16:17], v39, s6 src0_sel:BYTE_0 src1_sel:DWORD
	s_mov_b64 s[6:7], -1
	s_and_saveexec_b64 s[14:15], s[16:17]
; %bb.470:
	s_xor_b64 s[6:7], exec, -1
; %bb.471:
	s_or_b64 exec, exec, s[14:15]
	s_and_b64 s[6:7], s[6:7], exec
	s_or_saveexec_b64 s[10:11], s[10:11]
	v_mov_b32_e32 v8, 0x7f800001
	s_xor_b64 exec, exec, s[10:11]
	s_cbranch_execz .LBB287_106
.LBB287_472:
	v_mov_b32_e32 v8, 0
	v_cmp_ne_u16_sdwa s[14:15], v39, v8 src0_sel:BYTE_0 src1_sel:DWORD
	s_andn2_b64 s[6:7], s[6:7], exec
	s_and_b64 s[14:15], s[14:15], exec
	s_or_b64 s[6:7], s[6:7], s[14:15]
	s_or_b64 exec, exec, s[10:11]
	s_and_saveexec_b64 s[10:11], s[6:7]
	s_cbranch_execnz .LBB287_107
	s_branch .LBB287_108
.LBB287_473:
	s_movk_i32 s6, 0x80
	v_cmp_eq_u16_sdwa s[18:19], v48, s6 src0_sel:BYTE_0 src1_sel:DWORD
	s_mov_b64 s[6:7], -1
	s_and_saveexec_b64 s[16:17], s[18:19]
; %bb.474:
	s_xor_b64 s[6:7], exec, -1
; %bb.475:
	s_or_b64 exec, exec, s[16:17]
	s_and_b64 s[6:7], s[6:7], exec
	s_or_saveexec_b64 s[14:15], s[14:15]
	v_mov_b32_e32 v6, 0x7f800001
	s_xor_b64 exec, exec, s[14:15]
	s_cbranch_execz .LBB287_112
.LBB287_476:
	v_mov_b32_e32 v6, 0
	v_cmp_ne_u16_sdwa s[16:17], v48, v6 src0_sel:BYTE_0 src1_sel:DWORD
	s_andn2_b64 s[6:7], s[6:7], exec
	s_and_b64 s[16:17], s[16:17], exec
	s_or_b64 s[6:7], s[6:7], s[16:17]
	s_or_b64 exec, exec, s[14:15]
	s_and_saveexec_b64 s[14:15], s[6:7]
	s_cbranch_execnz .LBB287_113
	s_branch .LBB287_114
.LBB287_477:
	s_movk_i32 s6, 0x80
	v_cmp_eq_u16_sdwa s[18:19], v39, s6 src0_sel:BYTE_0 src1_sel:DWORD
	s_mov_b64 s[6:7], -1
	s_and_saveexec_b64 s[16:17], s[18:19]
; %bb.478:
	s_xor_b64 s[6:7], exec, -1
; %bb.479:
	s_or_b64 exec, exec, s[16:17]
	s_and_b64 s[6:7], s[6:7], exec
	s_or_saveexec_b64 s[14:15], s[14:15]
	v_mov_b32_e32 v8, 0x7f800001
	s_xor_b64 exec, exec, s[14:15]
	s_cbranch_execz .LBB287_116
.LBB287_480:
	v_mov_b32_e32 v8, 0
	v_cmp_ne_u16_sdwa s[16:17], v39, v8 src0_sel:BYTE_0 src1_sel:DWORD
	s_andn2_b64 s[6:7], s[6:7], exec
	s_and_b64 s[16:17], s[16:17], exec
	s_or_b64 s[6:7], s[6:7], s[16:17]
	s_or_b64 exec, exec, s[14:15]
	s_and_saveexec_b64 s[14:15], s[6:7]
	s_cbranch_execnz .LBB287_117
	s_branch .LBB287_118
.LBB287_481:
	s_movk_i32 s6, 0x80
	v_cmp_eq_u16_sdwa s[16:17], v38, s6 src0_sel:BYTE_0 src1_sel:DWORD
	s_mov_b64 s[6:7], -1
	s_and_saveexec_b64 s[14:15], s[16:17]
; %bb.482:
	s_xor_b64 s[6:7], exec, -1
; %bb.483:
	s_or_b64 exec, exec, s[14:15]
	s_and_b64 s[6:7], s[6:7], exec
	s_or_saveexec_b64 s[10:11], s[10:11]
	v_mov_b32_e32 v6, 0x7f800001
	s_xor_b64 exec, exec, s[10:11]
	s_cbranch_execz .LBB287_124
.LBB287_484:
	v_mov_b32_e32 v6, 0
	v_cmp_ne_u16_sdwa s[14:15], v38, v6 src0_sel:BYTE_0 src1_sel:DWORD
	s_andn2_b64 s[6:7], s[6:7], exec
	s_and_b64 s[14:15], s[14:15], exec
	s_or_b64 s[6:7], s[6:7], s[14:15]
	s_or_b64 exec, exec, s[10:11]
	s_and_saveexec_b64 s[10:11], s[6:7]
	s_cbranch_execnz .LBB287_125
	s_branch .LBB287_126
.LBB287_485:
	s_movk_i32 s6, 0x80
	v_cmp_eq_u16_sdwa s[16:17], v37, s6 src0_sel:BYTE_0 src1_sel:DWORD
	s_mov_b64 s[6:7], -1
	s_and_saveexec_b64 s[14:15], s[16:17]
; %bb.486:
	s_xor_b64 s[6:7], exec, -1
; %bb.487:
	s_or_b64 exec, exec, s[14:15]
	s_and_b64 s[6:7], s[6:7], exec
	s_or_saveexec_b64 s[10:11], s[10:11]
	v_mov_b32_e32 v8, 0x7f800001
	s_xor_b64 exec, exec, s[10:11]
	s_cbranch_execz .LBB287_128
.LBB287_488:
	v_mov_b32_e32 v8, 0
	v_cmp_ne_u16_sdwa s[14:15], v37, v8 src0_sel:BYTE_0 src1_sel:DWORD
	s_andn2_b64 s[6:7], s[6:7], exec
	s_and_b64 s[14:15], s[14:15], exec
	s_or_b64 s[6:7], s[6:7], s[14:15]
	s_or_b64 exec, exec, s[10:11]
	s_and_saveexec_b64 s[10:11], s[6:7]
	s_cbranch_execnz .LBB287_129
	s_branch .LBB287_130
.LBB287_489:
	s_movk_i32 s6, 0x80
	v_cmp_eq_u16_sdwa s[18:19], v38, s6 src0_sel:BYTE_0 src1_sel:DWORD
	s_mov_b64 s[6:7], -1
	s_and_saveexec_b64 s[16:17], s[18:19]
; %bb.490:
	s_xor_b64 s[6:7], exec, -1
; %bb.491:
	s_or_b64 exec, exec, s[16:17]
	s_and_b64 s[6:7], s[6:7], exec
	s_or_saveexec_b64 s[14:15], s[14:15]
	v_mov_b32_e32 v6, 0x7f800001
	s_xor_b64 exec, exec, s[14:15]
	s_cbranch_execz .LBB287_134
.LBB287_492:
	v_mov_b32_e32 v6, 0
	v_cmp_ne_u16_sdwa s[16:17], v38, v6 src0_sel:BYTE_0 src1_sel:DWORD
	s_andn2_b64 s[6:7], s[6:7], exec
	s_and_b64 s[16:17], s[16:17], exec
	s_or_b64 s[6:7], s[6:7], s[16:17]
	s_or_b64 exec, exec, s[14:15]
	s_and_saveexec_b64 s[14:15], s[6:7]
	s_cbranch_execnz .LBB287_135
	s_branch .LBB287_136
.LBB287_493:
	s_movk_i32 s6, 0x80
	v_cmp_eq_u16_sdwa s[18:19], v37, s6 src0_sel:BYTE_0 src1_sel:DWORD
	s_mov_b64 s[6:7], -1
	s_and_saveexec_b64 s[16:17], s[18:19]
; %bb.494:
	s_xor_b64 s[6:7], exec, -1
; %bb.495:
	s_or_b64 exec, exec, s[16:17]
	s_and_b64 s[6:7], s[6:7], exec
	s_or_saveexec_b64 s[14:15], s[14:15]
	v_mov_b32_e32 v8, 0x7f800001
	s_xor_b64 exec, exec, s[14:15]
	s_cbranch_execz .LBB287_138
.LBB287_496:
	v_mov_b32_e32 v8, 0
	v_cmp_ne_u16_sdwa s[16:17], v37, v8 src0_sel:BYTE_0 src1_sel:DWORD
	s_andn2_b64 s[6:7], s[6:7], exec
	s_and_b64 s[16:17], s[16:17], exec
	s_or_b64 s[6:7], s[6:7], s[16:17]
	s_or_b64 exec, exec, s[14:15]
	s_and_saveexec_b64 s[14:15], s[6:7]
	s_cbranch_execnz .LBB287_139
	s_branch .LBB287_140
.LBB287_497:
	s_movk_i32 s6, 0x80
	v_cmp_eq_u16_sdwa s[16:17], v36, s6 src0_sel:BYTE_0 src1_sel:DWORD
	s_mov_b64 s[6:7], -1
	s_and_saveexec_b64 s[14:15], s[16:17]
; %bb.498:
	s_xor_b64 s[6:7], exec, -1
; %bb.499:
	s_or_b64 exec, exec, s[14:15]
	s_and_b64 s[6:7], s[6:7], exec
	s_or_saveexec_b64 s[10:11], s[10:11]
	v_mov_b32_e32 v6, 0x7f800001
	s_xor_b64 exec, exec, s[10:11]
	s_cbranch_execz .LBB287_146
.LBB287_500:
	v_mov_b32_e32 v6, 0
	v_cmp_ne_u16_sdwa s[14:15], v36, v6 src0_sel:BYTE_0 src1_sel:DWORD
	s_andn2_b64 s[6:7], s[6:7], exec
	s_and_b64 s[14:15], s[14:15], exec
	s_or_b64 s[6:7], s[6:7], s[14:15]
	s_or_b64 exec, exec, s[10:11]
	s_and_saveexec_b64 s[10:11], s[6:7]
	s_cbranch_execnz .LBB287_147
	s_branch .LBB287_148
.LBB287_501:
	s_movk_i32 s6, 0x80
	v_cmp_eq_u16_sdwa s[16:17], v35, s6 src0_sel:BYTE_0 src1_sel:DWORD
	s_mov_b64 s[6:7], -1
	s_and_saveexec_b64 s[14:15], s[16:17]
; %bb.502:
	s_xor_b64 s[6:7], exec, -1
; %bb.503:
	s_or_b64 exec, exec, s[14:15]
	s_and_b64 s[6:7], s[6:7], exec
	s_or_saveexec_b64 s[10:11], s[10:11]
	v_mov_b32_e32 v8, 0x7f800001
	s_xor_b64 exec, exec, s[10:11]
	s_cbranch_execz .LBB287_150
.LBB287_504:
	v_mov_b32_e32 v8, 0
	v_cmp_ne_u16_sdwa s[14:15], v35, v8 src0_sel:BYTE_0 src1_sel:DWORD
	s_andn2_b64 s[6:7], s[6:7], exec
	s_and_b64 s[14:15], s[14:15], exec
	s_or_b64 s[6:7], s[6:7], s[14:15]
	s_or_b64 exec, exec, s[10:11]
	s_and_saveexec_b64 s[10:11], s[6:7]
	s_cbranch_execnz .LBB287_151
	s_branch .LBB287_152
.LBB287_505:
	s_movk_i32 s6, 0x80
	v_cmp_eq_u16_sdwa s[18:19], v36, s6 src0_sel:BYTE_0 src1_sel:DWORD
	s_mov_b64 s[6:7], -1
	s_and_saveexec_b64 s[16:17], s[18:19]
; %bb.506:
	s_xor_b64 s[6:7], exec, -1
; %bb.507:
	s_or_b64 exec, exec, s[16:17]
	s_and_b64 s[6:7], s[6:7], exec
	s_or_saveexec_b64 s[14:15], s[14:15]
	v_mov_b32_e32 v6, 0x7f800001
	s_xor_b64 exec, exec, s[14:15]
	s_cbranch_execz .LBB287_156
.LBB287_508:
	v_mov_b32_e32 v6, 0
	v_cmp_ne_u16_sdwa s[16:17], v36, v6 src0_sel:BYTE_0 src1_sel:DWORD
	s_andn2_b64 s[6:7], s[6:7], exec
	s_and_b64 s[16:17], s[16:17], exec
	s_or_b64 s[6:7], s[6:7], s[16:17]
	s_or_b64 exec, exec, s[14:15]
	s_and_saveexec_b64 s[14:15], s[6:7]
	s_cbranch_execnz .LBB287_157
	s_branch .LBB287_158
.LBB287_509:
	s_movk_i32 s6, 0x80
	v_cmp_eq_u16_sdwa s[18:19], v35, s6 src0_sel:BYTE_0 src1_sel:DWORD
	s_mov_b64 s[6:7], -1
	s_and_saveexec_b64 s[16:17], s[18:19]
; %bb.510:
	s_xor_b64 s[6:7], exec, -1
; %bb.511:
	s_or_b64 exec, exec, s[16:17]
	s_and_b64 s[6:7], s[6:7], exec
	s_or_saveexec_b64 s[14:15], s[14:15]
	v_mov_b32_e32 v8, 0x7f800001
	s_xor_b64 exec, exec, s[14:15]
	s_cbranch_execz .LBB287_160
.LBB287_512:
	v_mov_b32_e32 v8, 0
	v_cmp_ne_u16_sdwa s[16:17], v35, v8 src0_sel:BYTE_0 src1_sel:DWORD
	s_andn2_b64 s[6:7], s[6:7], exec
	s_and_b64 s[16:17], s[16:17], exec
	s_or_b64 s[6:7], s[6:7], s[16:17]
	s_or_b64 exec, exec, s[14:15]
	s_and_saveexec_b64 s[14:15], s[6:7]
	s_cbranch_execnz .LBB287_161
	s_branch .LBB287_162
.LBB287_513:
	s_movk_i32 s6, 0x80
	v_cmp_eq_u16_sdwa s[16:17], v34, s6 src0_sel:BYTE_0 src1_sel:DWORD
	s_mov_b64 s[6:7], -1
	s_and_saveexec_b64 s[14:15], s[16:17]
; %bb.514:
	s_xor_b64 s[6:7], exec, -1
; %bb.515:
	s_or_b64 exec, exec, s[14:15]
	s_and_b64 s[6:7], s[6:7], exec
	s_or_saveexec_b64 s[10:11], s[10:11]
	v_mov_b32_e32 v6, 0x7f800001
	s_xor_b64 exec, exec, s[10:11]
	s_cbranch_execz .LBB287_168
.LBB287_516:
	v_mov_b32_e32 v6, 0
	v_cmp_ne_u16_sdwa s[14:15], v34, v6 src0_sel:BYTE_0 src1_sel:DWORD
	s_andn2_b64 s[6:7], s[6:7], exec
	s_and_b64 s[14:15], s[14:15], exec
	s_or_b64 s[6:7], s[6:7], s[14:15]
	s_or_b64 exec, exec, s[10:11]
	s_and_saveexec_b64 s[10:11], s[6:7]
	s_cbranch_execnz .LBB287_169
	s_branch .LBB287_170
.LBB287_517:
	s_movk_i32 s6, 0x80
	v_cmp_eq_u16_sdwa s[16:17], v33, s6 src0_sel:BYTE_0 src1_sel:DWORD
	s_mov_b64 s[6:7], -1
	s_and_saveexec_b64 s[14:15], s[16:17]
; %bb.518:
	s_xor_b64 s[6:7], exec, -1
; %bb.519:
	s_or_b64 exec, exec, s[14:15]
	s_and_b64 s[6:7], s[6:7], exec
	s_or_saveexec_b64 s[10:11], s[10:11]
	v_mov_b32_e32 v8, 0x7f800001
	s_xor_b64 exec, exec, s[10:11]
	s_cbranch_execz .LBB287_172
.LBB287_520:
	v_mov_b32_e32 v8, 0
	v_cmp_ne_u16_sdwa s[14:15], v33, v8 src0_sel:BYTE_0 src1_sel:DWORD
	s_andn2_b64 s[6:7], s[6:7], exec
	s_and_b64 s[14:15], s[14:15], exec
	s_or_b64 s[6:7], s[6:7], s[14:15]
	s_or_b64 exec, exec, s[10:11]
	s_and_saveexec_b64 s[10:11], s[6:7]
	s_cbranch_execnz .LBB287_173
	s_branch .LBB287_174
.LBB287_521:
	s_movk_i32 s6, 0x80
	v_cmp_eq_u16_sdwa s[18:19], v34, s6 src0_sel:BYTE_0 src1_sel:DWORD
	s_mov_b64 s[6:7], -1
	s_and_saveexec_b64 s[16:17], s[18:19]
; %bb.522:
	s_xor_b64 s[6:7], exec, -1
; %bb.523:
	s_or_b64 exec, exec, s[16:17]
	s_and_b64 s[6:7], s[6:7], exec
	s_or_saveexec_b64 s[14:15], s[14:15]
	v_mov_b32_e32 v6, 0x7f800001
	s_xor_b64 exec, exec, s[14:15]
	s_cbranch_execz .LBB287_178
.LBB287_524:
	v_mov_b32_e32 v6, 0
	v_cmp_ne_u16_sdwa s[16:17], v34, v6 src0_sel:BYTE_0 src1_sel:DWORD
	s_andn2_b64 s[6:7], s[6:7], exec
	s_and_b64 s[16:17], s[16:17], exec
	s_or_b64 s[6:7], s[6:7], s[16:17]
	s_or_b64 exec, exec, s[14:15]
	s_and_saveexec_b64 s[14:15], s[6:7]
	s_cbranch_execnz .LBB287_179
	s_branch .LBB287_180
.LBB287_525:
	s_movk_i32 s6, 0x80
	v_cmp_eq_u16_sdwa s[18:19], v33, s6 src0_sel:BYTE_0 src1_sel:DWORD
	s_mov_b64 s[6:7], -1
	s_and_saveexec_b64 s[16:17], s[18:19]
; %bb.526:
	s_xor_b64 s[6:7], exec, -1
; %bb.527:
	s_or_b64 exec, exec, s[16:17]
	s_and_b64 s[6:7], s[6:7], exec
	s_or_saveexec_b64 s[14:15], s[14:15]
	v_mov_b32_e32 v8, 0x7f800001
	s_xor_b64 exec, exec, s[14:15]
	s_cbranch_execz .LBB287_182
.LBB287_528:
	v_mov_b32_e32 v8, 0
	v_cmp_ne_u16_sdwa s[16:17], v33, v8 src0_sel:BYTE_0 src1_sel:DWORD
	s_andn2_b64 s[6:7], s[6:7], exec
	s_and_b64 s[16:17], s[16:17], exec
	s_or_b64 s[6:7], s[6:7], s[16:17]
	s_or_b64 exec, exec, s[14:15]
	s_and_saveexec_b64 s[14:15], s[6:7]
	s_cbranch_execnz .LBB287_183
	s_branch .LBB287_184
.LBB287_529:
	s_movk_i32 s6, 0x80
	v_cmp_eq_u16_sdwa s[16:17], v32, s6 src0_sel:BYTE_0 src1_sel:DWORD
	s_mov_b64 s[6:7], -1
	s_and_saveexec_b64 s[14:15], s[16:17]
; %bb.530:
	s_xor_b64 s[6:7], exec, -1
; %bb.531:
	s_or_b64 exec, exec, s[14:15]
	s_and_b64 s[6:7], s[6:7], exec
	s_or_saveexec_b64 s[10:11], s[10:11]
	v_mov_b32_e32 v6, 0x7f800001
	s_xor_b64 exec, exec, s[10:11]
	s_cbranch_execz .LBB287_190
.LBB287_532:
	v_mov_b32_e32 v6, 0
	v_cmp_ne_u16_sdwa s[14:15], v32, v6 src0_sel:BYTE_0 src1_sel:DWORD
	s_andn2_b64 s[6:7], s[6:7], exec
	s_and_b64 s[14:15], s[14:15], exec
	s_or_b64 s[6:7], s[6:7], s[14:15]
	s_or_b64 exec, exec, s[10:11]
	s_and_saveexec_b64 s[10:11], s[6:7]
	s_cbranch_execnz .LBB287_191
	s_branch .LBB287_192
.LBB287_533:
	s_movk_i32 s6, 0x80
	v_cmp_eq_u16_sdwa s[16:17], v31, s6 src0_sel:BYTE_0 src1_sel:DWORD
	s_mov_b64 s[6:7], -1
	s_and_saveexec_b64 s[14:15], s[16:17]
; %bb.534:
	s_xor_b64 s[6:7], exec, -1
; %bb.535:
	s_or_b64 exec, exec, s[14:15]
	s_and_b64 s[6:7], s[6:7], exec
	s_or_saveexec_b64 s[10:11], s[10:11]
	v_mov_b32_e32 v8, 0x7f800001
	s_xor_b64 exec, exec, s[10:11]
	s_cbranch_execz .LBB287_194
.LBB287_536:
	v_mov_b32_e32 v8, 0
	v_cmp_ne_u16_sdwa s[14:15], v31, v8 src0_sel:BYTE_0 src1_sel:DWORD
	s_andn2_b64 s[6:7], s[6:7], exec
	s_and_b64 s[14:15], s[14:15], exec
	s_or_b64 s[6:7], s[6:7], s[14:15]
	s_or_b64 exec, exec, s[10:11]
	s_and_saveexec_b64 s[10:11], s[6:7]
	s_cbranch_execnz .LBB287_195
	s_branch .LBB287_196
.LBB287_537:
	s_movk_i32 s6, 0x80
	v_cmp_eq_u16_sdwa s[18:19], v32, s6 src0_sel:BYTE_0 src1_sel:DWORD
	s_mov_b64 s[6:7], -1
	s_and_saveexec_b64 s[16:17], s[18:19]
; %bb.538:
	s_xor_b64 s[6:7], exec, -1
; %bb.539:
	s_or_b64 exec, exec, s[16:17]
	s_and_b64 s[6:7], s[6:7], exec
	s_or_saveexec_b64 s[14:15], s[14:15]
	v_mov_b32_e32 v6, 0x7f800001
	s_xor_b64 exec, exec, s[14:15]
	s_cbranch_execz .LBB287_200
.LBB287_540:
	v_mov_b32_e32 v6, 0
	v_cmp_ne_u16_sdwa s[16:17], v32, v6 src0_sel:BYTE_0 src1_sel:DWORD
	s_andn2_b64 s[6:7], s[6:7], exec
	s_and_b64 s[16:17], s[16:17], exec
	s_or_b64 s[6:7], s[6:7], s[16:17]
	s_or_b64 exec, exec, s[14:15]
	s_and_saveexec_b64 s[14:15], s[6:7]
	s_cbranch_execnz .LBB287_201
	s_branch .LBB287_202
.LBB287_541:
	s_movk_i32 s6, 0x80
	v_cmp_eq_u16_sdwa s[18:19], v31, s6 src0_sel:BYTE_0 src1_sel:DWORD
	s_mov_b64 s[6:7], -1
	s_and_saveexec_b64 s[16:17], s[18:19]
; %bb.542:
	s_xor_b64 s[6:7], exec, -1
; %bb.543:
	s_or_b64 exec, exec, s[16:17]
	s_and_b64 s[6:7], s[6:7], exec
	s_or_saveexec_b64 s[14:15], s[14:15]
	v_mov_b32_e32 v8, 0x7f800001
	s_xor_b64 exec, exec, s[14:15]
	s_cbranch_execz .LBB287_204
.LBB287_544:
	v_mov_b32_e32 v8, 0
	v_cmp_ne_u16_sdwa s[16:17], v31, v8 src0_sel:BYTE_0 src1_sel:DWORD
	s_andn2_b64 s[6:7], s[6:7], exec
	s_and_b64 s[16:17], s[16:17], exec
	s_or_b64 s[6:7], s[6:7], s[16:17]
	s_or_b64 exec, exec, s[14:15]
	s_and_saveexec_b64 s[14:15], s[6:7]
	s_cbranch_execnz .LBB287_205
	s_branch .LBB287_206
.LBB287_545:
	s_movk_i32 s6, 0x80
	v_cmp_eq_u16_sdwa s[16:17], v30, s6 src0_sel:BYTE_0 src1_sel:DWORD
	s_mov_b64 s[6:7], -1
	s_and_saveexec_b64 s[14:15], s[16:17]
; %bb.546:
	s_xor_b64 s[6:7], exec, -1
; %bb.547:
	s_or_b64 exec, exec, s[14:15]
	s_and_b64 s[6:7], s[6:7], exec
	s_or_saveexec_b64 s[10:11], s[10:11]
	v_mov_b32_e32 v6, 0x7f800001
	s_xor_b64 exec, exec, s[10:11]
	s_cbranch_execz .LBB287_212
.LBB287_548:
	v_mov_b32_e32 v6, 0
	v_cmp_ne_u16_sdwa s[14:15], v30, v6 src0_sel:BYTE_0 src1_sel:DWORD
	s_andn2_b64 s[6:7], s[6:7], exec
	s_and_b64 s[14:15], s[14:15], exec
	s_or_b64 s[6:7], s[6:7], s[14:15]
	s_or_b64 exec, exec, s[10:11]
	s_and_saveexec_b64 s[10:11], s[6:7]
	s_cbranch_execnz .LBB287_213
	s_branch .LBB287_214
.LBB287_549:
	s_movk_i32 s6, 0x80
	v_cmp_eq_u16_sdwa s[16:17], v29, s6 src0_sel:BYTE_0 src1_sel:DWORD
	s_mov_b64 s[6:7], -1
	s_and_saveexec_b64 s[14:15], s[16:17]
; %bb.550:
	s_xor_b64 s[6:7], exec, -1
; %bb.551:
	s_or_b64 exec, exec, s[14:15]
	s_and_b64 s[6:7], s[6:7], exec
	s_or_saveexec_b64 s[10:11], s[10:11]
	v_mov_b32_e32 v8, 0x7f800001
	s_xor_b64 exec, exec, s[10:11]
	s_cbranch_execz .LBB287_216
.LBB287_552:
	v_mov_b32_e32 v8, 0
	v_cmp_ne_u16_sdwa s[14:15], v29, v8 src0_sel:BYTE_0 src1_sel:DWORD
	s_andn2_b64 s[6:7], s[6:7], exec
	s_and_b64 s[14:15], s[14:15], exec
	s_or_b64 s[6:7], s[6:7], s[14:15]
	s_or_b64 exec, exec, s[10:11]
	s_and_saveexec_b64 s[10:11], s[6:7]
	s_cbranch_execnz .LBB287_217
	s_branch .LBB287_218
.LBB287_553:
	s_movk_i32 s6, 0x80
	v_cmp_eq_u16_sdwa s[18:19], v30, s6 src0_sel:BYTE_0 src1_sel:DWORD
	s_mov_b64 s[6:7], -1
	s_and_saveexec_b64 s[16:17], s[18:19]
; %bb.554:
	s_xor_b64 s[6:7], exec, -1
; %bb.555:
	s_or_b64 exec, exec, s[16:17]
	s_and_b64 s[6:7], s[6:7], exec
	s_or_saveexec_b64 s[14:15], s[14:15]
	v_mov_b32_e32 v6, 0x7f800001
	s_xor_b64 exec, exec, s[14:15]
	s_cbranch_execz .LBB287_222
.LBB287_556:
	v_mov_b32_e32 v6, 0
	v_cmp_ne_u16_sdwa s[16:17], v30, v6 src0_sel:BYTE_0 src1_sel:DWORD
	s_andn2_b64 s[6:7], s[6:7], exec
	s_and_b64 s[16:17], s[16:17], exec
	s_or_b64 s[6:7], s[6:7], s[16:17]
	s_or_b64 exec, exec, s[14:15]
	s_and_saveexec_b64 s[14:15], s[6:7]
	s_cbranch_execnz .LBB287_223
	s_branch .LBB287_224
.LBB287_557:
	s_movk_i32 s6, 0x80
	v_cmp_eq_u16_sdwa s[18:19], v29, s6 src0_sel:BYTE_0 src1_sel:DWORD
	s_mov_b64 s[6:7], -1
	s_and_saveexec_b64 s[16:17], s[18:19]
; %bb.558:
	s_xor_b64 s[6:7], exec, -1
; %bb.559:
	s_or_b64 exec, exec, s[16:17]
	s_and_b64 s[6:7], s[6:7], exec
	s_or_saveexec_b64 s[14:15], s[14:15]
	v_mov_b32_e32 v8, 0x7f800001
	s_xor_b64 exec, exec, s[14:15]
	s_cbranch_execz .LBB287_226
.LBB287_560:
	v_mov_b32_e32 v8, 0
	v_cmp_ne_u16_sdwa s[16:17], v29, v8 src0_sel:BYTE_0 src1_sel:DWORD
	s_andn2_b64 s[6:7], s[6:7], exec
	s_and_b64 s[16:17], s[16:17], exec
	s_or_b64 s[6:7], s[6:7], s[16:17]
	s_or_b64 exec, exec, s[14:15]
	s_and_saveexec_b64 s[14:15], s[6:7]
	s_cbranch_execnz .LBB287_227
	s_branch .LBB287_228
.LBB287_561:
	s_movk_i32 s6, 0x80
	v_cmp_eq_u16_sdwa s[16:17], v28, s6 src0_sel:BYTE_0 src1_sel:DWORD
	s_mov_b64 s[6:7], -1
	s_and_saveexec_b64 s[14:15], s[16:17]
; %bb.562:
	s_xor_b64 s[6:7], exec, -1
; %bb.563:
	s_or_b64 exec, exec, s[14:15]
	s_and_b64 s[6:7], s[6:7], exec
	s_or_saveexec_b64 s[10:11], s[10:11]
	v_mov_b32_e32 v6, 0x7f800001
	s_xor_b64 exec, exec, s[10:11]
	s_cbranch_execz .LBB287_234
.LBB287_564:
	v_mov_b32_e32 v6, 0
	v_cmp_ne_u16_sdwa s[14:15], v28, v6 src0_sel:BYTE_0 src1_sel:DWORD
	s_andn2_b64 s[6:7], s[6:7], exec
	s_and_b64 s[14:15], s[14:15], exec
	s_or_b64 s[6:7], s[6:7], s[14:15]
	s_or_b64 exec, exec, s[10:11]
	s_and_saveexec_b64 s[10:11], s[6:7]
	s_cbranch_execnz .LBB287_235
	s_branch .LBB287_236
.LBB287_565:
	s_movk_i32 s6, 0x80
	v_cmp_eq_u16_sdwa s[16:17], v27, s6 src0_sel:BYTE_0 src1_sel:DWORD
	s_mov_b64 s[6:7], -1
	s_and_saveexec_b64 s[14:15], s[16:17]
; %bb.566:
	s_xor_b64 s[6:7], exec, -1
; %bb.567:
	s_or_b64 exec, exec, s[14:15]
	s_and_b64 s[6:7], s[6:7], exec
	s_or_saveexec_b64 s[10:11], s[10:11]
	v_mov_b32_e32 v8, 0x7f800001
	s_xor_b64 exec, exec, s[10:11]
	s_cbranch_execz .LBB287_238
.LBB287_568:
	v_mov_b32_e32 v8, 0
	v_cmp_ne_u16_sdwa s[14:15], v27, v8 src0_sel:BYTE_0 src1_sel:DWORD
	s_andn2_b64 s[6:7], s[6:7], exec
	s_and_b64 s[14:15], s[14:15], exec
	s_or_b64 s[6:7], s[6:7], s[14:15]
	s_or_b64 exec, exec, s[10:11]
	s_and_saveexec_b64 s[10:11], s[6:7]
	s_cbranch_execnz .LBB287_239
	s_branch .LBB287_240
.LBB287_569:
	s_movk_i32 s6, 0x80
	v_cmp_eq_u16_sdwa s[18:19], v28, s6 src0_sel:BYTE_0 src1_sel:DWORD
	s_mov_b64 s[6:7], -1
	s_and_saveexec_b64 s[16:17], s[18:19]
; %bb.570:
	s_xor_b64 s[6:7], exec, -1
; %bb.571:
	s_or_b64 exec, exec, s[16:17]
	s_and_b64 s[6:7], s[6:7], exec
	s_or_saveexec_b64 s[14:15], s[14:15]
	v_mov_b32_e32 v6, 0x7f800001
	s_xor_b64 exec, exec, s[14:15]
	s_cbranch_execz .LBB287_244
.LBB287_572:
	v_mov_b32_e32 v6, 0
	v_cmp_ne_u16_sdwa s[16:17], v28, v6 src0_sel:BYTE_0 src1_sel:DWORD
	s_andn2_b64 s[6:7], s[6:7], exec
	s_and_b64 s[16:17], s[16:17], exec
	s_or_b64 s[6:7], s[6:7], s[16:17]
	s_or_b64 exec, exec, s[14:15]
	s_and_saveexec_b64 s[14:15], s[6:7]
	s_cbranch_execnz .LBB287_245
	s_branch .LBB287_246
.LBB287_573:
	s_movk_i32 s6, 0x80
	v_cmp_eq_u16_sdwa s[18:19], v27, s6 src0_sel:BYTE_0 src1_sel:DWORD
	s_mov_b64 s[6:7], -1
	s_and_saveexec_b64 s[16:17], s[18:19]
; %bb.574:
	s_xor_b64 s[6:7], exec, -1
; %bb.575:
	s_or_b64 exec, exec, s[16:17]
	s_and_b64 s[6:7], s[6:7], exec
	s_or_saveexec_b64 s[14:15], s[14:15]
	v_mov_b32_e32 v8, 0x7f800001
	s_xor_b64 exec, exec, s[14:15]
	s_cbranch_execz .LBB287_248
.LBB287_576:
	v_mov_b32_e32 v8, 0
	v_cmp_ne_u16_sdwa s[16:17], v27, v8 src0_sel:BYTE_0 src1_sel:DWORD
	s_andn2_b64 s[6:7], s[6:7], exec
	s_and_b64 s[16:17], s[16:17], exec
	s_or_b64 s[6:7], s[6:7], s[16:17]
	s_or_b64 exec, exec, s[14:15]
	s_and_saveexec_b64 s[14:15], s[6:7]
	s_cbranch_execnz .LBB287_249
	s_branch .LBB287_250
.LBB287_577:
	s_movk_i32 s6, 0x80
	v_cmp_eq_u16_sdwa s[16:17], v26, s6 src0_sel:BYTE_0 src1_sel:DWORD
	s_mov_b64 s[6:7], -1
	s_and_saveexec_b64 s[14:15], s[16:17]
; %bb.578:
	s_xor_b64 s[6:7], exec, -1
; %bb.579:
	s_or_b64 exec, exec, s[14:15]
	s_and_b64 s[6:7], s[6:7], exec
	s_or_saveexec_b64 s[10:11], s[10:11]
	v_mov_b32_e32 v6, 0x7f800001
	s_xor_b64 exec, exec, s[10:11]
	s_cbranch_execz .LBB287_256
.LBB287_580:
	v_mov_b32_e32 v6, 0
	v_cmp_ne_u16_sdwa s[14:15], v26, v6 src0_sel:BYTE_0 src1_sel:DWORD
	s_andn2_b64 s[6:7], s[6:7], exec
	s_and_b64 s[14:15], s[14:15], exec
	s_or_b64 s[6:7], s[6:7], s[14:15]
	s_or_b64 exec, exec, s[10:11]
	s_and_saveexec_b64 s[10:11], s[6:7]
	s_cbranch_execnz .LBB287_257
	s_branch .LBB287_258
.LBB287_581:
	s_movk_i32 s6, 0x80
	v_cmp_eq_u16_sdwa s[16:17], v25, s6 src0_sel:BYTE_0 src1_sel:DWORD
	s_mov_b64 s[6:7], -1
	s_and_saveexec_b64 s[14:15], s[16:17]
; %bb.582:
	s_xor_b64 s[6:7], exec, -1
; %bb.583:
	s_or_b64 exec, exec, s[14:15]
	s_and_b64 s[6:7], s[6:7], exec
	s_or_saveexec_b64 s[10:11], s[10:11]
	v_mov_b32_e32 v8, 0x7f800001
	s_xor_b64 exec, exec, s[10:11]
	s_cbranch_execz .LBB287_260
.LBB287_584:
	v_mov_b32_e32 v8, 0
	v_cmp_ne_u16_sdwa s[14:15], v25, v8 src0_sel:BYTE_0 src1_sel:DWORD
	s_andn2_b64 s[6:7], s[6:7], exec
	s_and_b64 s[14:15], s[14:15], exec
	s_or_b64 s[6:7], s[6:7], s[14:15]
	s_or_b64 exec, exec, s[10:11]
	s_and_saveexec_b64 s[10:11], s[6:7]
	s_cbranch_execnz .LBB287_261
	s_branch .LBB287_262
.LBB287_585:
	s_movk_i32 s6, 0x80
	v_cmp_eq_u16_sdwa s[18:19], v26, s6 src0_sel:BYTE_0 src1_sel:DWORD
	s_mov_b64 s[6:7], -1
	s_and_saveexec_b64 s[16:17], s[18:19]
; %bb.586:
	s_xor_b64 s[6:7], exec, -1
; %bb.587:
	s_or_b64 exec, exec, s[16:17]
	s_and_b64 s[6:7], s[6:7], exec
	s_or_saveexec_b64 s[14:15], s[14:15]
	v_mov_b32_e32 v6, 0x7f800001
	s_xor_b64 exec, exec, s[14:15]
	s_cbranch_execz .LBB287_266
.LBB287_588:
	v_mov_b32_e32 v6, 0
	v_cmp_ne_u16_sdwa s[16:17], v26, v6 src0_sel:BYTE_0 src1_sel:DWORD
	s_andn2_b64 s[6:7], s[6:7], exec
	s_and_b64 s[16:17], s[16:17], exec
	s_or_b64 s[6:7], s[6:7], s[16:17]
	s_or_b64 exec, exec, s[14:15]
	s_and_saveexec_b64 s[14:15], s[6:7]
	s_cbranch_execnz .LBB287_267
	s_branch .LBB287_268
.LBB287_589:
	s_movk_i32 s6, 0x80
	v_cmp_eq_u16_sdwa s[18:19], v25, s6 src0_sel:BYTE_0 src1_sel:DWORD
	s_mov_b64 s[6:7], -1
	s_and_saveexec_b64 s[16:17], s[18:19]
; %bb.590:
	s_xor_b64 s[6:7], exec, -1
; %bb.591:
	s_or_b64 exec, exec, s[16:17]
	s_and_b64 s[6:7], s[6:7], exec
	s_or_saveexec_b64 s[14:15], s[14:15]
	v_mov_b32_e32 v8, 0x7f800001
	s_xor_b64 exec, exec, s[14:15]
	s_cbranch_execz .LBB287_270
.LBB287_592:
	v_mov_b32_e32 v8, 0
	v_cmp_ne_u16_sdwa s[16:17], v25, v8 src0_sel:BYTE_0 src1_sel:DWORD
	s_andn2_b64 s[6:7], s[6:7], exec
	s_and_b64 s[16:17], s[16:17], exec
	s_or_b64 s[6:7], s[6:7], s[16:17]
	s_or_b64 exec, exec, s[14:15]
	s_and_saveexec_b64 s[14:15], s[6:7]
	s_cbranch_execnz .LBB287_271
	s_branch .LBB287_272
.LBB287_593:
	s_movk_i32 s6, 0x80
	v_cmp_eq_u16_sdwa s[16:17], v24, s6 src0_sel:BYTE_0 src1_sel:DWORD
	s_mov_b64 s[6:7], -1
	s_and_saveexec_b64 s[14:15], s[16:17]
; %bb.594:
	s_xor_b64 s[6:7], exec, -1
; %bb.595:
	s_or_b64 exec, exec, s[14:15]
	s_and_b64 s[6:7], s[6:7], exec
	s_or_saveexec_b64 s[10:11], s[10:11]
	v_mov_b32_e32 v6, 0x7f800001
	s_xor_b64 exec, exec, s[10:11]
	s_cbranch_execz .LBB287_278
.LBB287_596:
	v_mov_b32_e32 v6, 0
	v_cmp_ne_u16_sdwa s[14:15], v24, v6 src0_sel:BYTE_0 src1_sel:DWORD
	s_andn2_b64 s[6:7], s[6:7], exec
	s_and_b64 s[14:15], s[14:15], exec
	s_or_b64 s[6:7], s[6:7], s[14:15]
	s_or_b64 exec, exec, s[10:11]
	s_and_saveexec_b64 s[10:11], s[6:7]
	s_cbranch_execnz .LBB287_279
	s_branch .LBB287_280
.LBB287_597:
	s_movk_i32 s6, 0x80
	v_cmp_eq_u16_sdwa s[16:17], v23, s6 src0_sel:BYTE_0 src1_sel:DWORD
	s_mov_b64 s[6:7], -1
	s_and_saveexec_b64 s[14:15], s[16:17]
; %bb.598:
	s_xor_b64 s[6:7], exec, -1
; %bb.599:
	s_or_b64 exec, exec, s[14:15]
	s_and_b64 s[6:7], s[6:7], exec
	s_or_saveexec_b64 s[10:11], s[10:11]
	v_mov_b32_e32 v8, 0x7f800001
	s_xor_b64 exec, exec, s[10:11]
	s_cbranch_execz .LBB287_282
.LBB287_600:
	v_mov_b32_e32 v8, 0
	v_cmp_ne_u16_sdwa s[14:15], v23, v8 src0_sel:BYTE_0 src1_sel:DWORD
	s_andn2_b64 s[6:7], s[6:7], exec
	s_and_b64 s[14:15], s[14:15], exec
	s_or_b64 s[6:7], s[6:7], s[14:15]
	s_or_b64 exec, exec, s[10:11]
	s_and_saveexec_b64 s[10:11], s[6:7]
	s_cbranch_execnz .LBB287_283
	s_branch .LBB287_284
.LBB287_601:
	s_movk_i32 s6, 0x80
	v_cmp_eq_u16_sdwa s[18:19], v24, s6 src0_sel:BYTE_0 src1_sel:DWORD
	s_mov_b64 s[6:7], -1
	s_and_saveexec_b64 s[16:17], s[18:19]
; %bb.602:
	s_xor_b64 s[6:7], exec, -1
; %bb.603:
	s_or_b64 exec, exec, s[16:17]
	s_and_b64 s[6:7], s[6:7], exec
	s_or_saveexec_b64 s[14:15], s[14:15]
	v_mov_b32_e32 v6, 0x7f800001
	s_xor_b64 exec, exec, s[14:15]
	s_cbranch_execz .LBB287_288
.LBB287_604:
	v_mov_b32_e32 v6, 0
	v_cmp_ne_u16_sdwa s[16:17], v24, v6 src0_sel:BYTE_0 src1_sel:DWORD
	s_andn2_b64 s[6:7], s[6:7], exec
	s_and_b64 s[16:17], s[16:17], exec
	s_or_b64 s[6:7], s[6:7], s[16:17]
	s_or_b64 exec, exec, s[14:15]
	s_and_saveexec_b64 s[14:15], s[6:7]
	s_cbranch_execnz .LBB287_289
	s_branch .LBB287_290
.LBB287_605:
	s_movk_i32 s6, 0x80
	v_cmp_eq_u16_sdwa s[18:19], v23, s6 src0_sel:BYTE_0 src1_sel:DWORD
	s_mov_b64 s[6:7], -1
	s_and_saveexec_b64 s[16:17], s[18:19]
; %bb.606:
	s_xor_b64 s[6:7], exec, -1
; %bb.607:
	s_or_b64 exec, exec, s[16:17]
	s_and_b64 s[6:7], s[6:7], exec
	s_or_saveexec_b64 s[14:15], s[14:15]
	v_mov_b32_e32 v8, 0x7f800001
	s_xor_b64 exec, exec, s[14:15]
	s_cbranch_execz .LBB287_292
.LBB287_608:
	v_mov_b32_e32 v8, 0
	v_cmp_ne_u16_sdwa s[16:17], v23, v8 src0_sel:BYTE_0 src1_sel:DWORD
	s_andn2_b64 s[6:7], s[6:7], exec
	s_and_b64 s[16:17], s[16:17], exec
	s_or_b64 s[6:7], s[6:7], s[16:17]
	s_or_b64 exec, exec, s[14:15]
	s_and_saveexec_b64 s[14:15], s[6:7]
	s_cbranch_execnz .LBB287_293
	s_branch .LBB287_294
.LBB287_609:
	s_movk_i32 s6, 0x80
	v_cmp_eq_u16_sdwa s[16:17], v22, s6 src0_sel:BYTE_0 src1_sel:DWORD
	s_mov_b64 s[6:7], -1
	s_and_saveexec_b64 s[14:15], s[16:17]
; %bb.610:
	s_xor_b64 s[6:7], exec, -1
; %bb.611:
	s_or_b64 exec, exec, s[14:15]
	s_and_b64 s[6:7], s[6:7], exec
	s_or_saveexec_b64 s[10:11], s[10:11]
	v_mov_b32_e32 v6, 0x7f800001
	s_xor_b64 exec, exec, s[10:11]
	s_cbranch_execz .LBB287_300
.LBB287_612:
	v_mov_b32_e32 v6, 0
	v_cmp_ne_u16_sdwa s[14:15], v22, v6 src0_sel:BYTE_0 src1_sel:DWORD
	s_andn2_b64 s[6:7], s[6:7], exec
	s_and_b64 s[14:15], s[14:15], exec
	s_or_b64 s[6:7], s[6:7], s[14:15]
	s_or_b64 exec, exec, s[10:11]
	s_and_saveexec_b64 s[10:11], s[6:7]
	s_cbranch_execnz .LBB287_301
	s_branch .LBB287_302
.LBB287_613:
	s_movk_i32 s6, 0x80
	v_cmp_eq_u16_sdwa s[16:17], v21, s6 src0_sel:BYTE_0 src1_sel:DWORD
	s_mov_b64 s[6:7], -1
	s_and_saveexec_b64 s[14:15], s[16:17]
; %bb.614:
	s_xor_b64 s[6:7], exec, -1
; %bb.615:
	s_or_b64 exec, exec, s[14:15]
	s_and_b64 s[6:7], s[6:7], exec
	s_or_saveexec_b64 s[10:11], s[10:11]
	v_mov_b32_e32 v8, 0x7f800001
	s_xor_b64 exec, exec, s[10:11]
	s_cbranch_execz .LBB287_304
.LBB287_616:
	v_mov_b32_e32 v8, 0
	v_cmp_ne_u16_sdwa s[14:15], v21, v8 src0_sel:BYTE_0 src1_sel:DWORD
	s_andn2_b64 s[6:7], s[6:7], exec
	s_and_b64 s[14:15], s[14:15], exec
	s_or_b64 s[6:7], s[6:7], s[14:15]
	s_or_b64 exec, exec, s[10:11]
	s_and_saveexec_b64 s[10:11], s[6:7]
	s_cbranch_execnz .LBB287_305
	s_branch .LBB287_306
.LBB287_617:
	s_movk_i32 s6, 0x80
	v_cmp_eq_u16_sdwa s[18:19], v22, s6 src0_sel:BYTE_0 src1_sel:DWORD
	s_mov_b64 s[6:7], -1
	s_and_saveexec_b64 s[16:17], s[18:19]
; %bb.618:
	s_xor_b64 s[6:7], exec, -1
; %bb.619:
	s_or_b64 exec, exec, s[16:17]
	s_and_b64 s[6:7], s[6:7], exec
	s_or_saveexec_b64 s[14:15], s[14:15]
	v_mov_b32_e32 v6, 0x7f800001
	s_xor_b64 exec, exec, s[14:15]
	s_cbranch_execz .LBB287_310
.LBB287_620:
	v_mov_b32_e32 v6, 0
	v_cmp_ne_u16_sdwa s[16:17], v22, v6 src0_sel:BYTE_0 src1_sel:DWORD
	s_andn2_b64 s[6:7], s[6:7], exec
	s_and_b64 s[16:17], s[16:17], exec
	s_or_b64 s[6:7], s[6:7], s[16:17]
	s_or_b64 exec, exec, s[14:15]
	s_and_saveexec_b64 s[14:15], s[6:7]
	s_cbranch_execnz .LBB287_311
	s_branch .LBB287_312
.LBB287_621:
	s_movk_i32 s6, 0x80
	v_cmp_eq_u16_sdwa s[18:19], v21, s6 src0_sel:BYTE_0 src1_sel:DWORD
	s_mov_b64 s[6:7], -1
	s_and_saveexec_b64 s[16:17], s[18:19]
; %bb.622:
	s_xor_b64 s[6:7], exec, -1
; %bb.623:
	s_or_b64 exec, exec, s[16:17]
	s_and_b64 s[6:7], s[6:7], exec
	s_or_saveexec_b64 s[14:15], s[14:15]
	v_mov_b32_e32 v8, 0x7f800001
	s_xor_b64 exec, exec, s[14:15]
	s_cbranch_execz .LBB287_314
.LBB287_624:
	v_mov_b32_e32 v8, 0
	v_cmp_ne_u16_sdwa s[16:17], v21, v8 src0_sel:BYTE_0 src1_sel:DWORD
	s_andn2_b64 s[6:7], s[6:7], exec
	s_and_b64 s[16:17], s[16:17], exec
	s_or_b64 s[6:7], s[6:7], s[16:17]
	s_or_b64 exec, exec, s[14:15]
	s_and_saveexec_b64 s[14:15], s[6:7]
	s_cbranch_execnz .LBB287_315
	s_branch .LBB287_316
.LBB287_625:
	s_movk_i32 s6, 0x80
	v_cmp_eq_u16_sdwa s[16:17], v20, s6 src0_sel:BYTE_0 src1_sel:DWORD
	s_mov_b64 s[6:7], -1
	s_and_saveexec_b64 s[14:15], s[16:17]
; %bb.626:
	s_xor_b64 s[6:7], exec, -1
; %bb.627:
	s_or_b64 exec, exec, s[14:15]
	s_and_b64 s[6:7], s[6:7], exec
	s_or_saveexec_b64 s[10:11], s[10:11]
	v_mov_b32_e32 v6, 0x7f800001
	s_xor_b64 exec, exec, s[10:11]
	s_cbranch_execz .LBB287_322
.LBB287_628:
	v_mov_b32_e32 v6, 0
	v_cmp_ne_u16_sdwa s[14:15], v20, v6 src0_sel:BYTE_0 src1_sel:DWORD
	s_andn2_b64 s[6:7], s[6:7], exec
	s_and_b64 s[14:15], s[14:15], exec
	s_or_b64 s[6:7], s[6:7], s[14:15]
	s_or_b64 exec, exec, s[10:11]
	s_and_saveexec_b64 s[10:11], s[6:7]
	s_cbranch_execnz .LBB287_323
	s_branch .LBB287_324
.LBB287_629:
	s_movk_i32 s6, 0x80
	v_cmp_eq_u16_sdwa s[16:17], v19, s6 src0_sel:BYTE_0 src1_sel:DWORD
	s_mov_b64 s[6:7], -1
	s_and_saveexec_b64 s[14:15], s[16:17]
; %bb.630:
	s_xor_b64 s[6:7], exec, -1
; %bb.631:
	s_or_b64 exec, exec, s[14:15]
	s_and_b64 s[6:7], s[6:7], exec
	s_or_saveexec_b64 s[10:11], s[10:11]
	v_mov_b32_e32 v8, 0x7f800001
	s_xor_b64 exec, exec, s[10:11]
	s_cbranch_execz .LBB287_326
.LBB287_632:
	v_mov_b32_e32 v8, 0
	v_cmp_ne_u16_sdwa s[14:15], v19, v8 src0_sel:BYTE_0 src1_sel:DWORD
	s_andn2_b64 s[6:7], s[6:7], exec
	s_and_b64 s[14:15], s[14:15], exec
	s_or_b64 s[6:7], s[6:7], s[14:15]
	s_or_b64 exec, exec, s[10:11]
	s_and_saveexec_b64 s[10:11], s[6:7]
	s_cbranch_execnz .LBB287_327
	s_branch .LBB287_328
.LBB287_633:
	s_movk_i32 s6, 0x80
	v_cmp_eq_u16_sdwa s[18:19], v20, s6 src0_sel:BYTE_0 src1_sel:DWORD
	s_mov_b64 s[6:7], -1
	s_and_saveexec_b64 s[16:17], s[18:19]
; %bb.634:
	s_xor_b64 s[6:7], exec, -1
; %bb.635:
	s_or_b64 exec, exec, s[16:17]
	s_and_b64 s[6:7], s[6:7], exec
	s_or_saveexec_b64 s[14:15], s[14:15]
	v_mov_b32_e32 v6, 0x7f800001
	s_xor_b64 exec, exec, s[14:15]
	s_cbranch_execz .LBB287_332
.LBB287_636:
	v_mov_b32_e32 v6, 0
	v_cmp_ne_u16_sdwa s[16:17], v20, v6 src0_sel:BYTE_0 src1_sel:DWORD
	s_andn2_b64 s[6:7], s[6:7], exec
	s_and_b64 s[16:17], s[16:17], exec
	s_or_b64 s[6:7], s[6:7], s[16:17]
	s_or_b64 exec, exec, s[14:15]
	s_and_saveexec_b64 s[14:15], s[6:7]
	s_cbranch_execnz .LBB287_333
	s_branch .LBB287_334
.LBB287_637:
	s_movk_i32 s6, 0x80
	v_cmp_eq_u16_sdwa s[18:19], v19, s6 src0_sel:BYTE_0 src1_sel:DWORD
	s_mov_b64 s[6:7], -1
	s_and_saveexec_b64 s[16:17], s[18:19]
; %bb.638:
	s_xor_b64 s[6:7], exec, -1
; %bb.639:
	s_or_b64 exec, exec, s[16:17]
	s_and_b64 s[6:7], s[6:7], exec
	s_or_saveexec_b64 s[14:15], s[14:15]
	v_mov_b32_e32 v8, 0x7f800001
	s_xor_b64 exec, exec, s[14:15]
	s_cbranch_execz .LBB287_336
.LBB287_640:
	v_mov_b32_e32 v8, 0
	v_cmp_ne_u16_sdwa s[16:17], v19, v8 src0_sel:BYTE_0 src1_sel:DWORD
	s_andn2_b64 s[6:7], s[6:7], exec
	s_and_b64 s[16:17], s[16:17], exec
	s_or_b64 s[6:7], s[6:7], s[16:17]
	s_or_b64 exec, exec, s[14:15]
	s_and_saveexec_b64 s[14:15], s[6:7]
	s_cbranch_execnz .LBB287_337
	s_branch .LBB287_338
.LBB287_641:
	s_movk_i32 s6, 0x80
	v_cmp_eq_u16_sdwa s[16:17], v18, s6 src0_sel:BYTE_0 src1_sel:DWORD
	s_mov_b64 s[6:7], -1
	s_and_saveexec_b64 s[14:15], s[16:17]
; %bb.642:
	s_xor_b64 s[6:7], exec, -1
; %bb.643:
	s_or_b64 exec, exec, s[14:15]
	s_and_b64 s[6:7], s[6:7], exec
	s_or_saveexec_b64 s[10:11], s[10:11]
	v_mov_b32_e32 v6, 0x7f800001
	s_xor_b64 exec, exec, s[10:11]
	s_cbranch_execz .LBB287_344
.LBB287_644:
	v_mov_b32_e32 v6, 0
	v_cmp_ne_u16_sdwa s[14:15], v18, v6 src0_sel:BYTE_0 src1_sel:DWORD
	s_andn2_b64 s[6:7], s[6:7], exec
	s_and_b64 s[14:15], s[14:15], exec
	s_or_b64 s[6:7], s[6:7], s[14:15]
	s_or_b64 exec, exec, s[10:11]
	s_and_saveexec_b64 s[10:11], s[6:7]
	s_cbranch_execnz .LBB287_345
	s_branch .LBB287_346
.LBB287_645:
	s_movk_i32 s6, 0x80
	v_cmp_eq_u16_sdwa s[16:17], v17, s6 src0_sel:BYTE_0 src1_sel:DWORD
	s_mov_b64 s[6:7], -1
	s_and_saveexec_b64 s[14:15], s[16:17]
; %bb.646:
	s_xor_b64 s[6:7], exec, -1
; %bb.647:
	s_or_b64 exec, exec, s[14:15]
	s_and_b64 s[6:7], s[6:7], exec
	s_or_saveexec_b64 s[10:11], s[10:11]
	v_mov_b32_e32 v8, 0x7f800001
	s_xor_b64 exec, exec, s[10:11]
	s_cbranch_execz .LBB287_348
.LBB287_648:
	v_mov_b32_e32 v8, 0
	v_cmp_ne_u16_sdwa s[14:15], v17, v8 src0_sel:BYTE_0 src1_sel:DWORD
	s_andn2_b64 s[6:7], s[6:7], exec
	s_and_b64 s[14:15], s[14:15], exec
	s_or_b64 s[6:7], s[6:7], s[14:15]
	s_or_b64 exec, exec, s[10:11]
	s_and_saveexec_b64 s[10:11], s[6:7]
	s_cbranch_execnz .LBB287_349
	s_branch .LBB287_350
.LBB287_649:
	s_movk_i32 s6, 0x80
	v_cmp_eq_u16_sdwa s[18:19], v18, s6 src0_sel:BYTE_0 src1_sel:DWORD
	s_mov_b64 s[6:7], -1
	s_and_saveexec_b64 s[16:17], s[18:19]
; %bb.650:
	s_xor_b64 s[6:7], exec, -1
; %bb.651:
	s_or_b64 exec, exec, s[16:17]
	s_and_b64 s[6:7], s[6:7], exec
	s_or_saveexec_b64 s[14:15], s[14:15]
	v_mov_b32_e32 v6, 0x7f800001
	s_xor_b64 exec, exec, s[14:15]
	s_cbranch_execz .LBB287_354
.LBB287_652:
	v_mov_b32_e32 v6, 0
	v_cmp_ne_u16_sdwa s[16:17], v18, v6 src0_sel:BYTE_0 src1_sel:DWORD
	s_andn2_b64 s[6:7], s[6:7], exec
	s_and_b64 s[16:17], s[16:17], exec
	s_or_b64 s[6:7], s[6:7], s[16:17]
	s_or_b64 exec, exec, s[14:15]
	s_and_saveexec_b64 s[14:15], s[6:7]
	s_cbranch_execnz .LBB287_355
	s_branch .LBB287_356
.LBB287_653:
	s_movk_i32 s6, 0x80
	v_cmp_eq_u16_sdwa s[18:19], v17, s6 src0_sel:BYTE_0 src1_sel:DWORD
	s_mov_b64 s[6:7], -1
	s_and_saveexec_b64 s[16:17], s[18:19]
; %bb.654:
	s_xor_b64 s[6:7], exec, -1
; %bb.655:
	s_or_b64 exec, exec, s[16:17]
	s_and_b64 s[6:7], s[6:7], exec
	s_or_saveexec_b64 s[14:15], s[14:15]
	v_mov_b32_e32 v8, 0x7f800001
	s_xor_b64 exec, exec, s[14:15]
	s_cbranch_execz .LBB287_358
.LBB287_656:
	v_mov_b32_e32 v8, 0
	v_cmp_ne_u16_sdwa s[16:17], v17, v8 src0_sel:BYTE_0 src1_sel:DWORD
	s_andn2_b64 s[6:7], s[6:7], exec
	s_and_b64 s[16:17], s[16:17], exec
	s_or_b64 s[6:7], s[6:7], s[16:17]
	s_or_b64 exec, exec, s[14:15]
	s_and_saveexec_b64 s[14:15], s[6:7]
	s_cbranch_execnz .LBB287_359
	s_branch .LBB287_360
.LBB287_657:
	s_movk_i32 s4, 0x80
	v_cmp_eq_u16_sdwa s[14:15], v16, s4 src0_sel:BYTE_0 src1_sel:DWORD
	s_mov_b64 s[4:5], -1
	s_and_saveexec_b64 s[12:13], s[14:15]
; %bb.658:
	s_xor_b64 s[4:5], exec, -1
; %bb.659:
	s_or_b64 exec, exec, s[12:13]
	s_and_b64 s[4:5], s[4:5], exec
	s_or_saveexec_b64 s[6:7], s[6:7]
	v_mov_b32_e32 v6, 0x7f800001
	s_xor_b64 exec, exec, s[6:7]
	s_cbranch_execz .LBB287_383
.LBB287_660:
	v_mov_b32_e32 v6, 0
	v_cmp_ne_u16_sdwa s[12:13], v16, v6 src0_sel:BYTE_0 src1_sel:DWORD
	s_andn2_b64 s[4:5], s[4:5], exec
	s_and_b64 s[12:13], s[12:13], exec
	s_or_b64 s[4:5], s[4:5], s[12:13]
	s_or_b64 exec, exec, s[6:7]
	s_and_saveexec_b64 s[6:7], s[4:5]
	s_cbranch_execnz .LBB287_384
	s_branch .LBB287_385
.LBB287_661:
	s_movk_i32 s4, 0x80
	v_cmp_eq_u16_sdwa s[14:15], v15, s4 src0_sel:BYTE_0 src1_sel:DWORD
	s_mov_b64 s[4:5], -1
	s_and_saveexec_b64 s[12:13], s[14:15]
; %bb.662:
	s_xor_b64 s[4:5], exec, -1
; %bb.663:
	s_or_b64 exec, exec, s[12:13]
	s_and_b64 s[4:5], s[4:5], exec
	s_or_saveexec_b64 s[6:7], s[6:7]
	v_mov_b32_e32 v8, 0x7f800001
	s_xor_b64 exec, exec, s[6:7]
	s_cbranch_execz .LBB287_387
.LBB287_664:
	v_mov_b32_e32 v8, 0
	v_cmp_ne_u16_sdwa s[12:13], v15, v8 src0_sel:BYTE_0 src1_sel:DWORD
	s_andn2_b64 s[4:5], s[4:5], exec
	s_and_b64 s[12:13], s[12:13], exec
	s_or_b64 s[4:5], s[4:5], s[12:13]
	s_or_b64 exec, exec, s[6:7]
	s_and_saveexec_b64 s[6:7], s[4:5]
	s_cbranch_execnz .LBB287_388
	s_branch .LBB287_389
.LBB287_665:
	s_movk_i32 s4, 0x80
	v_cmp_eq_u16_sdwa s[16:17], v16, s4 src0_sel:BYTE_0 src1_sel:DWORD
	s_mov_b64 s[4:5], -1
	s_and_saveexec_b64 s[14:15], s[16:17]
; %bb.666:
	s_xor_b64 s[4:5], exec, -1
; %bb.667:
	s_or_b64 exec, exec, s[14:15]
	s_and_b64 s[4:5], s[4:5], exec
	s_or_saveexec_b64 s[12:13], s[12:13]
	v_mov_b32_e32 v6, 0x7f800001
	s_xor_b64 exec, exec, s[12:13]
	s_cbranch_execz .LBB287_393
.LBB287_668:
	v_mov_b32_e32 v6, 0
	v_cmp_ne_u16_sdwa s[14:15], v16, v6 src0_sel:BYTE_0 src1_sel:DWORD
	s_andn2_b64 s[4:5], s[4:5], exec
	s_and_b64 s[14:15], s[14:15], exec
	s_or_b64 s[4:5], s[4:5], s[14:15]
	s_or_b64 exec, exec, s[12:13]
	s_and_saveexec_b64 s[12:13], s[4:5]
	s_cbranch_execnz .LBB287_394
	s_branch .LBB287_395
.LBB287_669:
	s_movk_i32 s4, 0x80
	v_cmp_eq_u16_sdwa s[16:17], v15, s4 src0_sel:BYTE_0 src1_sel:DWORD
	s_mov_b64 s[4:5], -1
	s_and_saveexec_b64 s[14:15], s[16:17]
; %bb.670:
	s_xor_b64 s[4:5], exec, -1
; %bb.671:
	s_or_b64 exec, exec, s[14:15]
	s_and_b64 s[4:5], s[4:5], exec
	s_or_saveexec_b64 s[12:13], s[12:13]
	v_mov_b32_e32 v8, 0x7f800001
	s_xor_b64 exec, exec, s[12:13]
	s_cbranch_execz .LBB287_397
.LBB287_672:
	v_mov_b32_e32 v8, 0
	v_cmp_ne_u16_sdwa s[14:15], v15, v8 src0_sel:BYTE_0 src1_sel:DWORD
	s_andn2_b64 s[4:5], s[4:5], exec
	s_and_b64 s[14:15], s[14:15], exec
	s_or_b64 s[4:5], s[4:5], s[14:15]
	s_or_b64 exec, exec, s[12:13]
	s_and_saveexec_b64 s[12:13], s[4:5]
	s_cbranch_execnz .LBB287_398
	s_branch .LBB287_399
.Lfunc_end287:
	.size	_ZN2at6native25elementwise_kernel_helperILb0ENS0_13BinaryFunctorIN3c1015Float8_e4m3fnuzES4_bNS0_12_GLOBAL__N_116CompareEqFunctorIS4_EEEENS0_6memory8policies11unroll_baseILi256ESt5arrayIPcLm3EE23TrivialOffsetCalculatorILi2EjESF_ILi1EjENS9_15LoadWithoutCastENS9_16StoreWithoutCastELi16ELi1EEEEEvT0_T1_, .Lfunc_end287-_ZN2at6native25elementwise_kernel_helperILb0ENS0_13BinaryFunctorIN3c1015Float8_e4m3fnuzES4_bNS0_12_GLOBAL__N_116CompareEqFunctorIS4_EEEENS0_6memory8policies11unroll_baseILi256ESt5arrayIPcLm3EE23TrivialOffsetCalculatorILi2EjESF_ILi1EjENS9_15LoadWithoutCastENS9_16StoreWithoutCastELi16ELi1EEEEEvT0_T1_
                                        ; -- End function
	.set .L_ZN2at6native25elementwise_kernel_helperILb0ENS0_13BinaryFunctorIN3c1015Float8_e4m3fnuzES4_bNS0_12_GLOBAL__N_116CompareEqFunctorIS4_EEEENS0_6memory8policies11unroll_baseILi256ESt5arrayIPcLm3EE23TrivialOffsetCalculatorILi2EjESF_ILi1EjENS9_15LoadWithoutCastENS9_16StoreWithoutCastELi16ELi1EEEEEvT0_T1_.num_vgpr, 55
	.set .L_ZN2at6native25elementwise_kernel_helperILb0ENS0_13BinaryFunctorIN3c1015Float8_e4m3fnuzES4_bNS0_12_GLOBAL__N_116CompareEqFunctorIS4_EEEENS0_6memory8policies11unroll_baseILi256ESt5arrayIPcLm3EE23TrivialOffsetCalculatorILi2EjESF_ILi1EjENS9_15LoadWithoutCastENS9_16StoreWithoutCastELi16ELi1EEEEEvT0_T1_.num_agpr, 0
	.set .L_ZN2at6native25elementwise_kernel_helperILb0ENS0_13BinaryFunctorIN3c1015Float8_e4m3fnuzES4_bNS0_12_GLOBAL__N_116CompareEqFunctorIS4_EEEENS0_6memory8policies11unroll_baseILi256ESt5arrayIPcLm3EE23TrivialOffsetCalculatorILi2EjESF_ILi1EjENS9_15LoadWithoutCastENS9_16StoreWithoutCastELi16ELi1EEEEEvT0_T1_.numbered_sgpr, 57
	.set .L_ZN2at6native25elementwise_kernel_helperILb0ENS0_13BinaryFunctorIN3c1015Float8_e4m3fnuzES4_bNS0_12_GLOBAL__N_116CompareEqFunctorIS4_EEEENS0_6memory8policies11unroll_baseILi256ESt5arrayIPcLm3EE23TrivialOffsetCalculatorILi2EjESF_ILi1EjENS9_15LoadWithoutCastENS9_16StoreWithoutCastELi16ELi1EEEEEvT0_T1_.num_named_barrier, 0
	.set .L_ZN2at6native25elementwise_kernel_helperILb0ENS0_13BinaryFunctorIN3c1015Float8_e4m3fnuzES4_bNS0_12_GLOBAL__N_116CompareEqFunctorIS4_EEEENS0_6memory8policies11unroll_baseILi256ESt5arrayIPcLm3EE23TrivialOffsetCalculatorILi2EjESF_ILi1EjENS9_15LoadWithoutCastENS9_16StoreWithoutCastELi16ELi1EEEEEvT0_T1_.private_seg_size, 0
	.set .L_ZN2at6native25elementwise_kernel_helperILb0ENS0_13BinaryFunctorIN3c1015Float8_e4m3fnuzES4_bNS0_12_GLOBAL__N_116CompareEqFunctorIS4_EEEENS0_6memory8policies11unroll_baseILi256ESt5arrayIPcLm3EE23TrivialOffsetCalculatorILi2EjESF_ILi1EjENS9_15LoadWithoutCastENS9_16StoreWithoutCastELi16ELi1EEEEEvT0_T1_.uses_vcc, 1
	.set .L_ZN2at6native25elementwise_kernel_helperILb0ENS0_13BinaryFunctorIN3c1015Float8_e4m3fnuzES4_bNS0_12_GLOBAL__N_116CompareEqFunctorIS4_EEEENS0_6memory8policies11unroll_baseILi256ESt5arrayIPcLm3EE23TrivialOffsetCalculatorILi2EjESF_ILi1EjENS9_15LoadWithoutCastENS9_16StoreWithoutCastELi16ELi1EEEEEvT0_T1_.uses_flat_scratch, 0
	.set .L_ZN2at6native25elementwise_kernel_helperILb0ENS0_13BinaryFunctorIN3c1015Float8_e4m3fnuzES4_bNS0_12_GLOBAL__N_116CompareEqFunctorIS4_EEEENS0_6memory8policies11unroll_baseILi256ESt5arrayIPcLm3EE23TrivialOffsetCalculatorILi2EjESF_ILi1EjENS9_15LoadWithoutCastENS9_16StoreWithoutCastELi16ELi1EEEEEvT0_T1_.has_dyn_sized_stack, 0
	.set .L_ZN2at6native25elementwise_kernel_helperILb0ENS0_13BinaryFunctorIN3c1015Float8_e4m3fnuzES4_bNS0_12_GLOBAL__N_116CompareEqFunctorIS4_EEEENS0_6memory8policies11unroll_baseILi256ESt5arrayIPcLm3EE23TrivialOffsetCalculatorILi2EjESF_ILi1EjENS9_15LoadWithoutCastENS9_16StoreWithoutCastELi16ELi1EEEEEvT0_T1_.has_recursion, 0
	.set .L_ZN2at6native25elementwise_kernel_helperILb0ENS0_13BinaryFunctorIN3c1015Float8_e4m3fnuzES4_bNS0_12_GLOBAL__N_116CompareEqFunctorIS4_EEEENS0_6memory8policies11unroll_baseILi256ESt5arrayIPcLm3EE23TrivialOffsetCalculatorILi2EjESF_ILi1EjENS9_15LoadWithoutCastENS9_16StoreWithoutCastELi16ELi1EEEEEvT0_T1_.has_indirect_call, 0
	.section	.AMDGPU.csdata,"",@progbits
; Function info:
; codeLenInByte = 21476
; TotalNumSgprs: 61
; NumVgprs: 55
; ScratchSize: 0
; MemoryBound: 0
	.section	.text._ZN2at6native29vectorized_elementwise_kernelILi16ENS0_13BinaryFunctorIN3c1015Float8_e4m3fnuzES4_bNS0_12_GLOBAL__N_116CompareEqFunctorIS4_EEEESt5arrayIPcLm3EEEEviT0_T1_,"axG",@progbits,_ZN2at6native29vectorized_elementwise_kernelILi16ENS0_13BinaryFunctorIN3c1015Float8_e4m3fnuzES4_bNS0_12_GLOBAL__N_116CompareEqFunctorIS4_EEEESt5arrayIPcLm3EEEEviT0_T1_,comdat
	.globl	_ZN2at6native29vectorized_elementwise_kernelILi16ENS0_13BinaryFunctorIN3c1015Float8_e4m3fnuzES4_bNS0_12_GLOBAL__N_116CompareEqFunctorIS4_EEEESt5arrayIPcLm3EEEEviT0_T1_ ; -- Begin function _ZN2at6native29vectorized_elementwise_kernelILi16ENS0_13BinaryFunctorIN3c1015Float8_e4m3fnuzES4_bNS0_12_GLOBAL__N_116CompareEqFunctorIS4_EEEESt5arrayIPcLm3EEEEviT0_T1_
	.p2align	8
	.type	_ZN2at6native29vectorized_elementwise_kernelILi16ENS0_13BinaryFunctorIN3c1015Float8_e4m3fnuzES4_bNS0_12_GLOBAL__N_116CompareEqFunctorIS4_EEEESt5arrayIPcLm3EEEEviT0_T1_,@function
_ZN2at6native29vectorized_elementwise_kernelILi16ENS0_13BinaryFunctorIN3c1015Float8_e4m3fnuzES4_bNS0_12_GLOBAL__N_116CompareEqFunctorIS4_EEEESt5arrayIPcLm3EEEEviT0_T1_: ; @_ZN2at6native29vectorized_elementwise_kernelILi16ENS0_13BinaryFunctorIN3c1015Float8_e4m3fnuzES4_bNS0_12_GLOBAL__N_116CompareEqFunctorIS4_EEEESt5arrayIPcLm3EEEEviT0_T1_
; %bb.0:
	s_load_dwordx2 s[12:13], s[4:5], 0x0
	s_load_dwordx4 s[8:11], s[4:5], 0x8
	s_load_dwordx2 s[14:15], s[4:5], 0x18
	s_add_u32 s0, s0, s7
	s_addc_u32 s1, s1, 0
	s_lshl_b32 s33, s6, 12
	s_waitcnt lgkmcnt(0)
	s_sub_i32 s7, s12, s33
	s_cmpk_gt_i32 s7, 0xfff
	s_mov_b64 s[4:5], -1
	s_mov_b32 s32, 0
	s_cbranch_scc1 .LBB288_3
; %bb.1:
	s_and_b64 vcc, exec, s[4:5]
	s_cbranch_vccnz .LBB288_324
.LBB288_2:
	s_endpgm
.LBB288_3:
	s_ashr_i32 s12, s33, 31
	s_add_u32 s4, s10, s33
	s_addc_u32 s5, s11, s12
	v_lshlrev_b32_e32 v9, 4, v0
	s_add_u32 s16, s14, s33
	s_addc_u32 s17, s15, s12
	global_load_dwordx4 v[5:8], v9, s[4:5]
	global_load_dwordx4 v[1:4], v9, s[16:17]
	s_cmp_lg_u32 s13, 0
	s_cselect_b64 s[18:19], -1, 0
	s_and_b64 vcc, exec, s[18:19]
	s_cbranch_vccz .LBB288_13
; %bb.4:
	s_movk_i32 s4, 0x7f
	s_waitcnt vmcnt(1)
	v_cmp_gt_i16_sdwa s[16:17], v5, s4 src0_sel:BYTE_0 src1_sel:DWORD
	s_mov_b64 s[4:5], 0
	s_and_saveexec_b64 s[20:21], s[16:17]
	s_xor_b64 s[16:17], exec, s[20:21]
	s_cbranch_execnz .LBB288_325
; %bb.5:
	s_or_saveexec_b64 s[16:17], s[16:17]
	v_mov_b32_e32 v10, 0x7f800001
	s_xor_b64 exec, exec, s[16:17]
	s_cbranch_execnz .LBB288_328
.LBB288_6:
	s_or_b64 exec, exec, s[16:17]
	s_and_saveexec_b64 s[16:17], s[4:5]
	s_cbranch_execz .LBB288_8
.LBB288_7:
	v_and_b32_e32 v12, 7, v5
	v_ffbh_u32_e32 v13, v12
	v_min_u32_e32 v13, 32, v13
	v_lshrrev_b16_e32 v11, 3, v5
	v_subrev_u32_e32 v14, 28, v13
	v_and_b32_e32 v11, 15, v11
	v_lshlrev_b32_e32 v14, v14, v5
	v_sub_u32_e32 v13, 29, v13
	v_and_b32_e32 v14, 7, v14
	v_cmp_eq_u32_e32 vcc, 0, v11
	v_lshlrev_b32_e32 v10, 24, v5
	v_cndmask_b32_e32 v11, v11, v13, vcc
	v_cndmask_b32_e32 v12, v12, v14, vcc
	v_mov_b32_e32 v13, 0x3b800000
	v_lshlrev_b32_e32 v12, 20, v12
	v_and_b32_e32 v10, 0x80000000, v10
	v_lshl_add_u32 v11, v11, 23, v13
	v_or3_b32 v10, v10, v11, v12
.LBB288_8:
	s_or_b64 exec, exec, s[16:17]
	s_movk_i32 s4, 0x7f
	s_waitcnt vmcnt(0)
	v_cmp_gt_i16_sdwa s[16:17], v1, s4 src0_sel:BYTE_0 src1_sel:DWORD
	s_mov_b64 s[4:5], 0
	s_and_saveexec_b64 s[20:21], s[16:17]
	s_xor_b64 s[16:17], exec, s[20:21]
	s_cbranch_execnz .LBB288_329
; %bb.9:
	s_or_saveexec_b64 s[16:17], s[16:17]
	v_mov_b32_e32 v11, 0x7f800001
	s_xor_b64 exec, exec, s[16:17]
	s_cbranch_execnz .LBB288_332
.LBB288_10:
	s_or_b64 exec, exec, s[16:17]
	s_and_saveexec_b64 s[16:17], s[4:5]
	s_cbranch_execz .LBB288_12
.LBB288_11:
	v_and_b32_e32 v13, 7, v1
	v_ffbh_u32_e32 v14, v13
	v_min_u32_e32 v14, 32, v14
	v_lshrrev_b16_e32 v12, 3, v1
	v_subrev_u32_e32 v15, 28, v14
	v_and_b32_e32 v12, 15, v12
	v_lshlrev_b32_e32 v15, v15, v1
	v_sub_u32_e32 v14, 29, v14
	v_and_b32_e32 v15, 7, v15
	v_cmp_eq_u32_e32 vcc, 0, v12
	v_lshlrev_b32_e32 v11, 24, v1
	v_cndmask_b32_e32 v12, v12, v14, vcc
	v_cndmask_b32_e32 v13, v13, v15, vcc
	v_mov_b32_e32 v14, 0x3b800000
	v_lshlrev_b32_e32 v13, 20, v13
	v_and_b32_e32 v11, 0x80000000, v11
	v_lshl_add_u32 v12, v12, 23, v14
	v_or3_b32 v11, v11, v12, v13
.LBB288_12:
	s_or_b64 exec, exec, s[16:17]
	v_cmp_neq_f32_e64 s[16:17], v10, v11
	s_branch .LBB288_23
.LBB288_13:
                                        ; implicit-def: $sgpr16_sgpr17
	s_cbranch_execz .LBB288_23
; %bb.14:
	s_movk_i32 s4, 0x7f
	s_waitcnt vmcnt(1)
	v_cmp_gt_i16_sdwa s[16:17], v5, s4 src0_sel:BYTE_0 src1_sel:DWORD
	s_mov_b64 s[4:5], 0
	s_and_saveexec_b64 s[20:21], s[16:17]
	s_xor_b64 s[16:17], exec, s[20:21]
	s_cbranch_execnz .LBB288_453
; %bb.15:
	s_or_saveexec_b64 s[16:17], s[16:17]
	v_mov_b32_e32 v10, 0x7f800001
	s_xor_b64 exec, exec, s[16:17]
	s_cbranch_execnz .LBB288_456
.LBB288_16:
	s_or_b64 exec, exec, s[16:17]
	s_and_saveexec_b64 s[16:17], s[4:5]
	s_cbranch_execz .LBB288_18
.LBB288_17:
	v_and_b32_e32 v12, 7, v5
	v_ffbh_u32_e32 v13, v12
	v_min_u32_e32 v13, 32, v13
	v_lshrrev_b16_e32 v11, 3, v5
	v_subrev_u32_e32 v14, 28, v13
	v_and_b32_e32 v11, 15, v11
	v_lshlrev_b32_e32 v14, v14, v5
	v_sub_u32_e32 v13, 29, v13
	v_and_b32_e32 v14, 7, v14
	v_cmp_eq_u32_e32 vcc, 0, v11
	v_lshlrev_b32_e32 v10, 24, v5
	v_cndmask_b32_e32 v11, v11, v13, vcc
	v_cndmask_b32_e32 v12, v12, v14, vcc
	v_mov_b32_e32 v13, 0x3b800000
	v_lshlrev_b32_e32 v12, 20, v12
	v_and_b32_e32 v10, 0x80000000, v10
	v_lshl_add_u32 v11, v11, 23, v13
	v_or3_b32 v10, v10, v11, v12
.LBB288_18:
	s_or_b64 exec, exec, s[16:17]
	s_movk_i32 s4, 0x7f
	s_waitcnt vmcnt(0)
	v_cmp_gt_i16_sdwa s[16:17], v1, s4 src0_sel:BYTE_0 src1_sel:DWORD
	s_mov_b64 s[4:5], 0
	s_and_saveexec_b64 s[20:21], s[16:17]
	s_xor_b64 s[16:17], exec, s[20:21]
	s_cbranch_execnz .LBB288_457
; %bb.19:
	s_or_saveexec_b64 s[16:17], s[16:17]
	v_mov_b32_e32 v11, 0x7f800001
	s_xor_b64 exec, exec, s[16:17]
	s_cbranch_execnz .LBB288_460
.LBB288_20:
	s_or_b64 exec, exec, s[16:17]
	s_and_saveexec_b64 s[16:17], s[4:5]
	s_cbranch_execz .LBB288_22
.LBB288_21:
	v_and_b32_e32 v13, 7, v1
	v_ffbh_u32_e32 v14, v13
	v_min_u32_e32 v14, 32, v14
	v_lshrrev_b16_e32 v12, 3, v1
	v_subrev_u32_e32 v15, 28, v14
	v_and_b32_e32 v12, 15, v12
	v_lshlrev_b32_e32 v15, v15, v1
	v_sub_u32_e32 v14, 29, v14
	v_and_b32_e32 v15, 7, v15
	v_cmp_eq_u32_e32 vcc, 0, v12
	v_lshlrev_b32_e32 v11, 24, v1
	v_cndmask_b32_e32 v12, v12, v14, vcc
	v_cndmask_b32_e32 v13, v13, v15, vcc
	v_mov_b32_e32 v14, 0x3b800000
	v_lshlrev_b32_e32 v13, 20, v13
	v_and_b32_e32 v11, 0x80000000, v11
	v_lshl_add_u32 v12, v12, 23, v14
	v_or3_b32 v11, v11, v12, v13
.LBB288_22:
	s_or_b64 exec, exec, s[16:17]
	v_cmp_eq_f32_e64 s[16:17], v10, v11
.LBB288_23:
	v_cndmask_b32_e64 v18, 0, 1, s[18:19]
	s_waitcnt vmcnt(1)
	v_lshrrev_b32_e32 v11, 8, v8
	v_lshrrev_b32_e32 v13, 8, v7
	;; [unrolled: 1-line block ×4, first 2 shown]
	s_waitcnt vmcnt(0)
	v_lshrrev_b32_e32 v10, 8, v4
	v_lshrrev_b32_e32 v12, 8, v3
	;; [unrolled: 1-line block ×4, first 2 shown]
	v_cmp_ne_u32_e64 s[4:5], 1, v18
	s_andn2_b64 vcc, exec, s[18:19]
	s_cbranch_vccnz .LBB288_173
; %bb.24:
	s_movk_i32 s18, 0x7f
	v_cmp_gt_i16_sdwa s[20:21], v17, s18 src0_sel:BYTE_0 src1_sel:DWORD
	s_mov_b64 s[18:19], 0
	s_and_saveexec_b64 s[22:23], s[20:21]
	s_xor_b64 s[20:21], exec, s[22:23]
	s_cbranch_execnz .LBB288_333
; %bb.25:
	s_or_saveexec_b64 s[20:21], s[20:21]
	v_mov_b32_e32 v18, 0x7f800001
	s_xor_b64 exec, exec, s[20:21]
	s_cbranch_execnz .LBB288_336
.LBB288_26:
	s_or_b64 exec, exec, s[20:21]
	s_and_saveexec_b64 s[20:21], s[18:19]
	s_cbranch_execz .LBB288_28
.LBB288_27:
	v_and_b32_e32 v20, 7, v17
	v_ffbh_u32_e32 v21, v20
	v_min_u32_e32 v21, 32, v21
	v_lshrrev_b16_e32 v19, 3, v17
	v_subrev_u32_e32 v22, 28, v21
	v_and_b32_e32 v19, 15, v19
	v_lshlrev_b32_e32 v22, v22, v17
	v_sub_u32_e32 v21, 29, v21
	v_and_b32_e32 v22, 7, v22
	v_cmp_eq_u32_e32 vcc, 0, v19
	v_lshlrev_b32_e32 v18, 24, v17
	v_cndmask_b32_e32 v19, v19, v21, vcc
	v_cndmask_b32_e32 v20, v20, v22, vcc
	v_mov_b32_e32 v21, 0x3b800000
	v_lshlrev_b32_e32 v20, 20, v20
	v_and_b32_e32 v18, 0x80000000, v18
	v_lshl_add_u32 v19, v19, 23, v21
	v_or3_b32 v18, v18, v19, v20
.LBB288_28:
	s_or_b64 exec, exec, s[20:21]
	s_movk_i32 s18, 0x7f
	v_cmp_gt_i16_sdwa s[20:21], v16, s18 src0_sel:BYTE_0 src1_sel:DWORD
	s_mov_b64 s[18:19], 0
	s_and_saveexec_b64 s[22:23], s[20:21]
	s_xor_b64 s[20:21], exec, s[22:23]
	s_cbranch_execnz .LBB288_337
; %bb.29:
	s_or_saveexec_b64 s[20:21], s[20:21]
	v_mov_b32_e32 v19, 0x7f800001
	s_xor_b64 exec, exec, s[20:21]
	s_cbranch_execnz .LBB288_340
.LBB288_30:
	s_or_b64 exec, exec, s[20:21]
	s_and_saveexec_b64 s[20:21], s[18:19]
	s_cbranch_execz .LBB288_32
.LBB288_31:
	v_and_b32_e32 v21, 7, v16
	v_ffbh_u32_e32 v22, v21
	v_min_u32_e32 v22, 32, v22
	v_lshrrev_b16_e32 v20, 3, v16
	v_subrev_u32_e32 v23, 28, v22
	v_and_b32_e32 v20, 15, v20
	v_lshlrev_b32_e32 v23, v23, v16
	v_sub_u32_e32 v22, 29, v22
	v_and_b32_e32 v23, 7, v23
	v_cmp_eq_u32_e32 vcc, 0, v20
	v_lshlrev_b32_e32 v19, 24, v16
	v_cndmask_b32_e32 v20, v20, v22, vcc
	v_cndmask_b32_e32 v21, v21, v23, vcc
	v_mov_b32_e32 v22, 0x3b800000
	v_lshlrev_b32_e32 v21, 20, v21
	v_and_b32_e32 v19, 0x80000000, v19
	v_lshl_add_u32 v20, v20, 23, v22
	v_or3_b32 v19, v19, v20, v21
.LBB288_32:
	s_or_b64 exec, exec, s[20:21]
	v_cmp_neq_f32_e64 s[18:19], v18, v19
.LBB288_33:
	s_and_b64 vcc, exec, s[4:5]
	s_cbranch_vccnz .LBB288_183
.LBB288_34:
	s_movk_i32 s20, 0xff
	v_and_b32_sdwa v17, v5, s20 dst_sel:DWORD dst_unused:UNUSED_PAD src0_sel:WORD_1 src1_sel:DWORD
	s_movk_i32 s20, 0x7f
	v_cmp_lt_i16_e32 vcc, s20, v17
	s_mov_b64 s[20:21], 0
	s_and_saveexec_b64 s[22:23], vcc
	s_xor_b64 s[22:23], exec, s[22:23]
	s_cbranch_execnz .LBB288_341
; %bb.35:
	s_or_saveexec_b64 s[22:23], s[22:23]
	v_mov_b32_e32 v16, 0x7f800001
	s_xor_b64 exec, exec, s[22:23]
	s_cbranch_execnz .LBB288_344
.LBB288_36:
	s_or_b64 exec, exec, s[22:23]
	s_and_saveexec_b64 s[22:23], s[20:21]
	s_cbranch_execz .LBB288_38
.LBB288_37:
	v_mov_b32_e32 v18, 7
	v_and_b32_sdwa v18, v5, v18 dst_sel:DWORD dst_unused:UNUSED_PAD src0_sel:WORD_1 src1_sel:DWORD
	v_ffbh_u32_e32 v19, v18
	v_mov_b32_e32 v17, 3
	v_min_u32_e32 v19, 32, v19
	v_lshrrev_b16_sdwa v17, v17, v5 dst_sel:DWORD dst_unused:UNUSED_PAD src0_sel:DWORD src1_sel:WORD_1
	v_subrev_u32_e32 v20, 28, v19
	v_and_b32_e32 v17, 15, v17
	v_lshlrev_b32_sdwa v20, v20, v5 dst_sel:DWORD dst_unused:UNUSED_PAD src0_sel:DWORD src1_sel:WORD_1
	v_mov_b32_e32 v16, 24
	v_sub_u32_e32 v19, 29, v19
	v_and_b32_e32 v20, 7, v20
	v_cmp_eq_u32_e32 vcc, 0, v17
	v_lshlrev_b32_sdwa v16, v16, v5 dst_sel:DWORD dst_unused:UNUSED_PAD src0_sel:DWORD src1_sel:WORD_1
	v_cndmask_b32_e32 v17, v17, v19, vcc
	v_cndmask_b32_e32 v18, v18, v20, vcc
	v_mov_b32_e32 v19, 0x3b800000
	v_lshlrev_b32_e32 v18, 20, v18
	v_and_b32_e32 v16, 0x80000000, v16
	v_lshl_add_u32 v17, v17, 23, v19
	v_or3_b32 v16, v16, v17, v18
.LBB288_38:
	s_or_b64 exec, exec, s[22:23]
	s_movk_i32 s20, 0xff
	v_and_b32_sdwa v17, v1, s20 dst_sel:DWORD dst_unused:UNUSED_PAD src0_sel:WORD_1 src1_sel:DWORD
	s_movk_i32 s20, 0x7f
	v_cmp_lt_i16_e32 vcc, s20, v17
	s_mov_b64 s[20:21], 0
	s_and_saveexec_b64 s[22:23], vcc
	s_xor_b64 s[22:23], exec, s[22:23]
	s_cbranch_execnz .LBB288_345
; %bb.39:
	s_or_saveexec_b64 s[22:23], s[22:23]
	v_mov_b32_e32 v18, 0x7f800001
	s_xor_b64 exec, exec, s[22:23]
	s_cbranch_execnz .LBB288_348
.LBB288_40:
	s_or_b64 exec, exec, s[22:23]
	s_and_saveexec_b64 s[22:23], s[20:21]
	s_cbranch_execz .LBB288_42
.LBB288_41:
	v_mov_b32_e32 v19, 7
	v_and_b32_sdwa v19, v1, v19 dst_sel:DWORD dst_unused:UNUSED_PAD src0_sel:WORD_1 src1_sel:DWORD
	v_ffbh_u32_e32 v20, v19
	v_mov_b32_e32 v18, 3
	v_min_u32_e32 v20, 32, v20
	v_lshrrev_b16_sdwa v18, v18, v1 dst_sel:DWORD dst_unused:UNUSED_PAD src0_sel:DWORD src1_sel:WORD_1
	v_subrev_u32_e32 v21, 28, v20
	v_and_b32_e32 v18, 15, v18
	v_lshlrev_b32_sdwa v21, v21, v1 dst_sel:DWORD dst_unused:UNUSED_PAD src0_sel:DWORD src1_sel:WORD_1
	v_mov_b32_e32 v17, 24
	v_sub_u32_e32 v20, 29, v20
	v_and_b32_e32 v21, 7, v21
	v_cmp_eq_u32_e32 vcc, 0, v18
	v_lshlrev_b32_sdwa v17, v17, v1 dst_sel:DWORD dst_unused:UNUSED_PAD src0_sel:DWORD src1_sel:WORD_1
	v_cndmask_b32_e32 v18, v18, v20, vcc
	v_cndmask_b32_e32 v19, v19, v21, vcc
	v_mov_b32_e32 v20, 0x3b800000
	v_lshlrev_b32_e32 v19, 20, v19
	v_and_b32_e32 v17, 0x80000000, v17
	v_lshl_add_u32 v18, v18, 23, v20
	v_or3_b32 v18, v17, v18, v19
.LBB288_42:
	s_or_b64 exec, exec, s[22:23]
	v_cmp_neq_f32_e64 s[20:21], v16, v18
.LBB288_43:
	s_and_b64 vcc, exec, s[4:5]
	s_cbranch_vccnz .LBB288_193
.LBB288_44:
	s_movk_i32 s22, 0x7f
	v_cmp_gt_i16_sdwa s[24:25], v5, s22 src0_sel:BYTE_3 src1_sel:DWORD
	s_mov_b64 s[22:23], 0
	s_and_saveexec_b64 s[26:27], s[24:25]
	s_xor_b64 s[24:25], exec, s[26:27]
	s_cbranch_execnz .LBB288_349
; %bb.45:
	s_or_saveexec_b64 s[24:25], s[24:25]
	v_mov_b32_e32 v16, 0x7f800001
	s_xor_b64 exec, exec, s[24:25]
	s_cbranch_execnz .LBB288_352
.LBB288_46:
	s_or_b64 exec, exec, s[24:25]
	s_and_saveexec_b64 s[24:25], s[22:23]
	s_cbranch_execz .LBB288_48
.LBB288_47:
	s_mov_b32 s22, 0xffff
	v_and_b32_sdwa v17, s22, v5 dst_sel:DWORD dst_unused:UNUSED_PAD src0_sel:DWORD src1_sel:BYTE_3
	v_and_b32_e32 v18, 7, v17
	v_ffbh_u32_e32 v20, v18
	v_min_u32_e32 v20, 32, v20
	v_subrev_u32_e32 v21, 28, v20
	v_bfe_u32 v19, v17, 3, 4
	v_lshlrev_b32_e32 v17, v21, v17
	v_mov_b32_e32 v16, 24
	v_sub_u32_e32 v20, 29, v20
	v_and_b32_e32 v17, 7, v17
	v_cmp_eq_u32_e32 vcc, 0, v19
	v_lshlrev_b32_sdwa v16, v16, v5 dst_sel:DWORD dst_unused:UNUSED_PAD src0_sel:DWORD src1_sel:BYTE_3
	v_cndmask_b32_e32 v19, v19, v20, vcc
	v_cndmask_b32_e32 v17, v18, v17, vcc
	v_mov_b32_e32 v18, 0x3b800000
	v_lshlrev_b32_e32 v17, 20, v17
	v_and_b32_e32 v16, 0x80000000, v16
	v_lshl_add_u32 v18, v19, 23, v18
	v_or3_b32 v16, v16, v18, v17
.LBB288_48:
	s_or_b64 exec, exec, s[24:25]
	s_movk_i32 s22, 0x7f
	v_cmp_gt_i16_sdwa s[24:25], v1, s22 src0_sel:BYTE_3 src1_sel:DWORD
	s_mov_b64 s[22:23], 0
	s_and_saveexec_b64 s[26:27], s[24:25]
	s_xor_b64 s[24:25], exec, s[26:27]
	s_cbranch_execnz .LBB288_353
; %bb.49:
	s_or_saveexec_b64 s[24:25], s[24:25]
	v_mov_b32_e32 v17, 0x7f800001
	s_xor_b64 exec, exec, s[24:25]
	s_cbranch_execnz .LBB288_356
.LBB288_50:
	s_or_b64 exec, exec, s[24:25]
	s_and_saveexec_b64 s[24:25], s[22:23]
	s_cbranch_execz .LBB288_52
.LBB288_51:
	s_mov_b32 s22, 0xffff
	v_and_b32_sdwa v18, s22, v1 dst_sel:DWORD dst_unused:UNUSED_PAD src0_sel:DWORD src1_sel:BYTE_3
	v_and_b32_e32 v19, 7, v18
	v_ffbh_u32_e32 v21, v19
	v_min_u32_e32 v21, 32, v21
	v_subrev_u32_e32 v22, 28, v21
	v_bfe_u32 v20, v18, 3, 4
	v_lshlrev_b32_e32 v18, v22, v18
	v_mov_b32_e32 v17, 24
	v_sub_u32_e32 v21, 29, v21
	v_and_b32_e32 v18, 7, v18
	v_cmp_eq_u32_e32 vcc, 0, v20
	v_lshlrev_b32_sdwa v17, v17, v1 dst_sel:DWORD dst_unused:UNUSED_PAD src0_sel:DWORD src1_sel:BYTE_3
	v_cndmask_b32_e32 v20, v20, v21, vcc
	v_cndmask_b32_e32 v18, v19, v18, vcc
	v_mov_b32_e32 v19, 0x3b800000
	v_lshlrev_b32_e32 v18, 20, v18
	v_and_b32_e32 v17, 0x80000000, v17
	v_lshl_add_u32 v19, v20, 23, v19
	v_or3_b32 v17, v17, v19, v18
.LBB288_52:
	s_or_b64 exec, exec, s[24:25]
	v_cmp_neq_f32_e64 s[22:23], v16, v17
.LBB288_53:
	s_and_b64 vcc, exec, s[4:5]
	s_cbranch_vccnz .LBB288_203
.LBB288_54:
	s_movk_i32 s24, 0x7f
	v_cmp_gt_i16_sdwa s[26:27], v6, s24 src0_sel:BYTE_0 src1_sel:DWORD
	s_mov_b64 s[24:25], 0
	s_and_saveexec_b64 s[28:29], s[26:27]
	s_xor_b64 s[26:27], exec, s[28:29]
	s_cbranch_execnz .LBB288_357
; %bb.55:
	s_or_saveexec_b64 s[26:27], s[26:27]
	v_mov_b32_e32 v1, 0x7f800001
	s_xor_b64 exec, exec, s[26:27]
	s_cbranch_execnz .LBB288_360
.LBB288_56:
	s_or_b64 exec, exec, s[26:27]
	s_and_saveexec_b64 s[26:27], s[24:25]
	s_cbranch_execz .LBB288_58
.LBB288_57:
	v_and_b32_e32 v16, 7, v6
	v_ffbh_u32_e32 v17, v16
	v_min_u32_e32 v17, 32, v17
	v_lshrrev_b16_e32 v5, 3, v6
	v_subrev_u32_e32 v18, 28, v17
	v_and_b32_e32 v5, 15, v5
	v_lshlrev_b32_e32 v18, v18, v6
	v_sub_u32_e32 v17, 29, v17
	v_and_b32_e32 v18, 7, v18
	v_cmp_eq_u32_e32 vcc, 0, v5
	v_lshlrev_b32_e32 v1, 24, v6
	v_cndmask_b32_e32 v5, v5, v17, vcc
	v_cndmask_b32_e32 v16, v16, v18, vcc
	v_mov_b32_e32 v17, 0x3b800000
	v_lshlrev_b32_e32 v16, 20, v16
	v_and_b32_e32 v1, 0x80000000, v1
	v_lshl_add_u32 v5, v5, 23, v17
	v_or3_b32 v1, v1, v5, v16
.LBB288_58:
	s_or_b64 exec, exec, s[26:27]
	s_movk_i32 s24, 0x7f
	v_cmp_gt_i16_sdwa s[26:27], v2, s24 src0_sel:BYTE_0 src1_sel:DWORD
	s_mov_b64 s[24:25], 0
	s_and_saveexec_b64 s[28:29], s[26:27]
	s_xor_b64 s[26:27], exec, s[28:29]
	s_cbranch_execnz .LBB288_361
; %bb.59:
	s_or_saveexec_b64 s[26:27], s[26:27]
	v_mov_b32_e32 v5, 0x7f800001
	s_xor_b64 exec, exec, s[26:27]
	s_cbranch_execnz .LBB288_364
.LBB288_60:
	s_or_b64 exec, exec, s[26:27]
	s_and_saveexec_b64 s[26:27], s[24:25]
	s_cbranch_execz .LBB288_62
.LBB288_61:
	v_and_b32_e32 v17, 7, v2
	v_ffbh_u32_e32 v18, v17
	v_min_u32_e32 v18, 32, v18
	v_lshrrev_b16_e32 v16, 3, v2
	v_subrev_u32_e32 v19, 28, v18
	v_and_b32_e32 v16, 15, v16
	v_lshlrev_b32_e32 v19, v19, v2
	v_sub_u32_e32 v18, 29, v18
	v_and_b32_e32 v19, 7, v19
	v_cmp_eq_u32_e32 vcc, 0, v16
	v_lshlrev_b32_e32 v5, 24, v2
	v_cndmask_b32_e32 v16, v16, v18, vcc
	v_cndmask_b32_e32 v17, v17, v19, vcc
	v_mov_b32_e32 v18, 0x3b800000
	v_lshlrev_b32_e32 v17, 20, v17
	v_and_b32_e32 v5, 0x80000000, v5
	v_lshl_add_u32 v16, v16, 23, v18
	v_or3_b32 v5, v5, v16, v17
.LBB288_62:
	s_or_b64 exec, exec, s[26:27]
	v_cmp_neq_f32_e64 s[24:25], v1, v5
.LBB288_63:
	s_and_b64 vcc, exec, s[4:5]
	s_cbranch_vccnz .LBB288_213
.LBB288_64:
	s_movk_i32 s26, 0x7f
	v_cmp_gt_i16_sdwa s[28:29], v15, s26 src0_sel:BYTE_0 src1_sel:DWORD
	s_mov_b64 s[26:27], 0
	s_and_saveexec_b64 s[30:31], s[28:29]
	s_xor_b64 s[28:29], exec, s[30:31]
	s_cbranch_execnz .LBB288_365
; %bb.65:
	s_or_saveexec_b64 s[28:29], s[28:29]
	v_mov_b32_e32 v1, 0x7f800001
	s_xor_b64 exec, exec, s[28:29]
	s_cbranch_execnz .LBB288_368
.LBB288_66:
	s_or_b64 exec, exec, s[28:29]
	s_and_saveexec_b64 s[28:29], s[26:27]
	s_cbranch_execz .LBB288_68
.LBB288_67:
	v_and_b32_e32 v16, 7, v15
	v_ffbh_u32_e32 v17, v16
	v_min_u32_e32 v17, 32, v17
	v_lshrrev_b16_e32 v5, 3, v15
	v_subrev_u32_e32 v18, 28, v17
	v_and_b32_e32 v5, 15, v5
	v_lshlrev_b32_e32 v18, v18, v15
	v_sub_u32_e32 v17, 29, v17
	v_and_b32_e32 v18, 7, v18
	v_cmp_eq_u32_e32 vcc, 0, v5
	v_lshlrev_b32_e32 v1, 24, v15
	v_cndmask_b32_e32 v5, v5, v17, vcc
	v_cndmask_b32_e32 v16, v16, v18, vcc
	v_mov_b32_e32 v17, 0x3b800000
	v_lshlrev_b32_e32 v16, 20, v16
	v_and_b32_e32 v1, 0x80000000, v1
	v_lshl_add_u32 v5, v5, 23, v17
	v_or3_b32 v1, v1, v5, v16
.LBB288_68:
	s_or_b64 exec, exec, s[28:29]
	s_movk_i32 s26, 0x7f
	v_cmp_gt_i16_sdwa s[28:29], v14, s26 src0_sel:BYTE_0 src1_sel:DWORD
	s_mov_b64 s[26:27], 0
	s_and_saveexec_b64 s[30:31], s[28:29]
	s_xor_b64 s[28:29], exec, s[30:31]
	s_cbranch_execnz .LBB288_369
; %bb.69:
	s_or_saveexec_b64 s[28:29], s[28:29]
	v_mov_b32_e32 v5, 0x7f800001
	s_xor_b64 exec, exec, s[28:29]
	s_cbranch_execnz .LBB288_372
.LBB288_70:
	s_or_b64 exec, exec, s[28:29]
	s_and_saveexec_b64 s[28:29], s[26:27]
	s_cbranch_execz .LBB288_72
.LBB288_71:
	v_and_b32_e32 v17, 7, v14
	v_ffbh_u32_e32 v18, v17
	v_min_u32_e32 v18, 32, v18
	v_lshrrev_b16_e32 v16, 3, v14
	v_subrev_u32_e32 v19, 28, v18
	v_and_b32_e32 v16, 15, v16
	v_lshlrev_b32_e32 v19, v19, v14
	v_sub_u32_e32 v18, 29, v18
	v_and_b32_e32 v19, 7, v19
	v_cmp_eq_u32_e32 vcc, 0, v16
	v_lshlrev_b32_e32 v5, 24, v14
	v_cndmask_b32_e32 v16, v16, v18, vcc
	v_cndmask_b32_e32 v17, v17, v19, vcc
	v_mov_b32_e32 v18, 0x3b800000
	v_lshlrev_b32_e32 v17, 20, v17
	v_and_b32_e32 v5, 0x80000000, v5
	v_lshl_add_u32 v16, v16, 23, v18
	v_or3_b32 v5, v5, v16, v17
.LBB288_72:
	s_or_b64 exec, exec, s[28:29]
	v_cmp_neq_f32_e64 s[26:27], v1, v5
.LBB288_73:
	s_and_b64 vcc, exec, s[4:5]
	s_cbranch_vccnz .LBB288_223
.LBB288_74:
	s_movk_i32 s28, 0xff
	v_and_b32_sdwa v5, v6, s28 dst_sel:DWORD dst_unused:UNUSED_PAD src0_sel:WORD_1 src1_sel:DWORD
	s_movk_i32 s28, 0x7f
	v_cmp_lt_i16_e32 vcc, s28, v5
	s_mov_b64 s[28:29], 0
	s_and_saveexec_b64 s[30:31], vcc
	s_xor_b64 s[30:31], exec, s[30:31]
	s_cbranch_execnz .LBB288_373
; %bb.75:
	s_or_saveexec_b64 s[30:31], s[30:31]
	v_mov_b32_e32 v1, 0x7f800001
	s_xor_b64 exec, exec, s[30:31]
	s_cbranch_execnz .LBB288_376
.LBB288_76:
	s_or_b64 exec, exec, s[30:31]
	s_and_saveexec_b64 s[30:31], s[28:29]
	s_cbranch_execz .LBB288_78
.LBB288_77:
	v_mov_b32_e32 v14, 7
	v_and_b32_sdwa v14, v6, v14 dst_sel:DWORD dst_unused:UNUSED_PAD src0_sel:WORD_1 src1_sel:DWORD
	v_ffbh_u32_e32 v15, v14
	v_mov_b32_e32 v5, 3
	v_min_u32_e32 v15, 32, v15
	v_lshrrev_b16_sdwa v5, v5, v6 dst_sel:DWORD dst_unused:UNUSED_PAD src0_sel:DWORD src1_sel:WORD_1
	v_subrev_u32_e32 v16, 28, v15
	v_and_b32_e32 v5, 15, v5
	v_lshlrev_b32_sdwa v16, v16, v6 dst_sel:DWORD dst_unused:UNUSED_PAD src0_sel:DWORD src1_sel:WORD_1
	v_mov_b32_e32 v1, 24
	v_sub_u32_e32 v15, 29, v15
	v_and_b32_e32 v16, 7, v16
	v_cmp_eq_u32_e32 vcc, 0, v5
	v_lshlrev_b32_sdwa v1, v1, v6 dst_sel:DWORD dst_unused:UNUSED_PAD src0_sel:DWORD src1_sel:WORD_1
	v_cndmask_b32_e32 v5, v5, v15, vcc
	v_cndmask_b32_e32 v14, v14, v16, vcc
	v_mov_b32_e32 v15, 0x3b800000
	v_lshlrev_b32_e32 v14, 20, v14
	v_and_b32_e32 v1, 0x80000000, v1
	v_lshl_add_u32 v5, v5, 23, v15
	v_or3_b32 v1, v1, v5, v14
.LBB288_78:
	s_or_b64 exec, exec, s[30:31]
	s_movk_i32 s28, 0xff
	v_and_b32_sdwa v5, v2, s28 dst_sel:DWORD dst_unused:UNUSED_PAD src0_sel:WORD_1 src1_sel:DWORD
	s_movk_i32 s28, 0x7f
	v_cmp_lt_i16_e32 vcc, s28, v5
	s_mov_b64 s[28:29], 0
	s_and_saveexec_b64 s[30:31], vcc
	s_xor_b64 s[30:31], exec, s[30:31]
	s_cbranch_execnz .LBB288_377
; %bb.79:
	s_or_saveexec_b64 s[30:31], s[30:31]
	v_mov_b32_e32 v14, 0x7f800001
	s_xor_b64 exec, exec, s[30:31]
	s_cbranch_execnz .LBB288_380
.LBB288_80:
	s_or_b64 exec, exec, s[30:31]
	s_and_saveexec_b64 s[30:31], s[28:29]
	s_cbranch_execz .LBB288_82
.LBB288_81:
	v_mov_b32_e32 v15, 7
	v_and_b32_sdwa v15, v2, v15 dst_sel:DWORD dst_unused:UNUSED_PAD src0_sel:WORD_1 src1_sel:DWORD
	v_ffbh_u32_e32 v16, v15
	v_mov_b32_e32 v14, 3
	v_min_u32_e32 v16, 32, v16
	v_lshrrev_b16_sdwa v14, v14, v2 dst_sel:DWORD dst_unused:UNUSED_PAD src0_sel:DWORD src1_sel:WORD_1
	v_subrev_u32_e32 v17, 28, v16
	v_and_b32_e32 v14, 15, v14
	v_lshlrev_b32_sdwa v17, v17, v2 dst_sel:DWORD dst_unused:UNUSED_PAD src0_sel:DWORD src1_sel:WORD_1
	v_mov_b32_e32 v5, 24
	v_sub_u32_e32 v16, 29, v16
	v_and_b32_e32 v17, 7, v17
	v_cmp_eq_u32_e32 vcc, 0, v14
	v_lshlrev_b32_sdwa v5, v5, v2 dst_sel:DWORD dst_unused:UNUSED_PAD src0_sel:DWORD src1_sel:WORD_1
	v_cndmask_b32_e32 v14, v14, v16, vcc
	v_cndmask_b32_e32 v15, v15, v17, vcc
	v_mov_b32_e32 v16, 0x3b800000
	v_lshlrev_b32_e32 v15, 20, v15
	v_and_b32_e32 v5, 0x80000000, v5
	v_lshl_add_u32 v14, v14, 23, v16
	v_or3_b32 v14, v5, v14, v15
.LBB288_82:
	s_or_b64 exec, exec, s[30:31]
	v_cmp_neq_f32_e64 s[28:29], v1, v14
.LBB288_83:
	s_and_b64 vcc, exec, s[4:5]
	s_cbranch_vccnz .LBB288_233
.LBB288_84:
	s_movk_i32 s30, 0x7f
	v_cmp_gt_i16_sdwa s[34:35], v6, s30 src0_sel:BYTE_3 src1_sel:DWORD
	s_mov_b64 s[30:31], 0
	s_and_saveexec_b64 s[36:37], s[34:35]
	s_xor_b64 s[34:35], exec, s[36:37]
	s_cbranch_execnz .LBB288_381
; %bb.85:
	s_or_saveexec_b64 s[34:35], s[34:35]
	v_mov_b32_e32 v1, 0x7f800001
	s_xor_b64 exec, exec, s[34:35]
	s_cbranch_execnz .LBB288_384
.LBB288_86:
	s_or_b64 exec, exec, s[34:35]
	s_and_saveexec_b64 s[34:35], s[30:31]
	s_cbranch_execz .LBB288_88
.LBB288_87:
	s_mov_b32 s30, 0xffff
	v_and_b32_sdwa v5, s30, v6 dst_sel:DWORD dst_unused:UNUSED_PAD src0_sel:DWORD src1_sel:BYTE_3
	v_and_b32_e32 v14, 7, v5
	v_ffbh_u32_e32 v16, v14
	v_min_u32_e32 v16, 32, v16
	v_subrev_u32_e32 v17, 28, v16
	v_bfe_u32 v15, v5, 3, 4
	v_lshlrev_b32_e32 v5, v17, v5
	v_mov_b32_e32 v1, 24
	v_sub_u32_e32 v16, 29, v16
	v_and_b32_e32 v5, 7, v5
	v_cmp_eq_u32_e32 vcc, 0, v15
	v_lshlrev_b32_sdwa v1, v1, v6 dst_sel:DWORD dst_unused:UNUSED_PAD src0_sel:DWORD src1_sel:BYTE_3
	v_cndmask_b32_e32 v15, v15, v16, vcc
	v_cndmask_b32_e32 v5, v14, v5, vcc
	v_mov_b32_e32 v14, 0x3b800000
	v_lshlrev_b32_e32 v5, 20, v5
	v_and_b32_e32 v1, 0x80000000, v1
	v_lshl_add_u32 v14, v15, 23, v14
	v_or3_b32 v1, v1, v14, v5
.LBB288_88:
	s_or_b64 exec, exec, s[34:35]
	s_movk_i32 s30, 0x7f
	v_cmp_gt_i16_sdwa s[34:35], v2, s30 src0_sel:BYTE_3 src1_sel:DWORD
	s_mov_b64 s[30:31], 0
	s_and_saveexec_b64 s[36:37], s[34:35]
	s_xor_b64 s[34:35], exec, s[36:37]
	s_cbranch_execnz .LBB288_385
; %bb.89:
	s_or_saveexec_b64 s[34:35], s[34:35]
	v_mov_b32_e32 v5, 0x7f800001
	s_xor_b64 exec, exec, s[34:35]
	s_cbranch_execnz .LBB288_388
.LBB288_90:
	s_or_b64 exec, exec, s[34:35]
	s_and_saveexec_b64 s[34:35], s[30:31]
	s_cbranch_execz .LBB288_92
.LBB288_91:
	s_mov_b32 s30, 0xffff
	v_and_b32_sdwa v14, s30, v2 dst_sel:DWORD dst_unused:UNUSED_PAD src0_sel:DWORD src1_sel:BYTE_3
	v_and_b32_e32 v15, 7, v14
	v_ffbh_u32_e32 v17, v15
	v_min_u32_e32 v17, 32, v17
	v_subrev_u32_e32 v18, 28, v17
	v_bfe_u32 v16, v14, 3, 4
	v_lshlrev_b32_e32 v14, v18, v14
	v_mov_b32_e32 v5, 24
	v_sub_u32_e32 v17, 29, v17
	v_and_b32_e32 v14, 7, v14
	v_cmp_eq_u32_e32 vcc, 0, v16
	v_lshlrev_b32_sdwa v5, v5, v2 dst_sel:DWORD dst_unused:UNUSED_PAD src0_sel:DWORD src1_sel:BYTE_3
	v_cndmask_b32_e32 v16, v16, v17, vcc
	v_cndmask_b32_e32 v14, v15, v14, vcc
	v_mov_b32_e32 v15, 0x3b800000
	v_lshlrev_b32_e32 v14, 20, v14
	v_and_b32_e32 v5, 0x80000000, v5
	v_lshl_add_u32 v15, v16, 23, v15
	v_or3_b32 v5, v5, v15, v14
.LBB288_92:
	s_or_b64 exec, exec, s[34:35]
	v_cmp_neq_f32_e64 s[30:31], v1, v5
.LBB288_93:
	s_and_b64 vcc, exec, s[4:5]
	s_cbranch_vccnz .LBB288_243
.LBB288_94:
	s_movk_i32 s34, 0x7f
	v_cmp_gt_i16_sdwa s[36:37], v7, s34 src0_sel:BYTE_0 src1_sel:DWORD
	s_mov_b64 s[34:35], 0
	s_and_saveexec_b64 s[38:39], s[36:37]
	s_xor_b64 s[36:37], exec, s[38:39]
	s_cbranch_execnz .LBB288_389
; %bb.95:
	s_or_saveexec_b64 s[36:37], s[36:37]
	v_mov_b32_e32 v1, 0x7f800001
	s_xor_b64 exec, exec, s[36:37]
	s_cbranch_execnz .LBB288_392
.LBB288_96:
	s_or_b64 exec, exec, s[36:37]
	s_and_saveexec_b64 s[36:37], s[34:35]
	s_cbranch_execz .LBB288_98
.LBB288_97:
	v_and_b32_e32 v5, 7, v7
	v_ffbh_u32_e32 v6, v5
	v_min_u32_e32 v6, 32, v6
	v_lshrrev_b16_e32 v2, 3, v7
	v_subrev_u32_e32 v14, 28, v6
	v_and_b32_e32 v2, 15, v2
	v_lshlrev_b32_e32 v14, v14, v7
	v_sub_u32_e32 v6, 29, v6
	v_and_b32_e32 v14, 7, v14
	v_cmp_eq_u32_e32 vcc, 0, v2
	v_lshlrev_b32_e32 v1, 24, v7
	v_cndmask_b32_e32 v2, v2, v6, vcc
	v_cndmask_b32_e32 v5, v5, v14, vcc
	v_mov_b32_e32 v6, 0x3b800000
	v_lshlrev_b32_e32 v5, 20, v5
	v_and_b32_e32 v1, 0x80000000, v1
	v_lshl_add_u32 v2, v2, 23, v6
	v_or3_b32 v1, v1, v2, v5
.LBB288_98:
	s_or_b64 exec, exec, s[36:37]
	s_movk_i32 s34, 0x7f
	v_cmp_gt_i16_sdwa s[36:37], v3, s34 src0_sel:BYTE_0 src1_sel:DWORD
	s_mov_b64 s[34:35], 0
	s_and_saveexec_b64 s[38:39], s[36:37]
	s_xor_b64 s[36:37], exec, s[38:39]
	s_cbranch_execnz .LBB288_393
; %bb.99:
	s_or_saveexec_b64 s[36:37], s[36:37]
	v_mov_b32_e32 v2, 0x7f800001
	s_xor_b64 exec, exec, s[36:37]
	s_cbranch_execnz .LBB288_396
.LBB288_100:
	s_or_b64 exec, exec, s[36:37]
	s_and_saveexec_b64 s[36:37], s[34:35]
	s_cbranch_execz .LBB288_102
.LBB288_101:
	v_and_b32_e32 v6, 7, v3
	v_ffbh_u32_e32 v14, v6
	v_min_u32_e32 v14, 32, v14
	v_lshrrev_b16_e32 v5, 3, v3
	v_subrev_u32_e32 v15, 28, v14
	v_and_b32_e32 v5, 15, v5
	v_lshlrev_b32_e32 v15, v15, v3
	v_sub_u32_e32 v14, 29, v14
	v_and_b32_e32 v15, 7, v15
	v_cmp_eq_u32_e32 vcc, 0, v5
	v_lshlrev_b32_e32 v2, 24, v3
	v_cndmask_b32_e32 v5, v5, v14, vcc
	v_cndmask_b32_e32 v6, v6, v15, vcc
	v_mov_b32_e32 v14, 0x3b800000
	v_lshlrev_b32_e32 v6, 20, v6
	v_and_b32_e32 v2, 0x80000000, v2
	v_lshl_add_u32 v5, v5, 23, v14
	v_or3_b32 v2, v2, v5, v6
.LBB288_102:
	s_or_b64 exec, exec, s[36:37]
	v_cmp_neq_f32_e64 s[34:35], v1, v2
.LBB288_103:
	s_and_b64 vcc, exec, s[4:5]
	s_cbranch_vccnz .LBB288_253
.LBB288_104:
	s_movk_i32 s36, 0x7f
	v_cmp_gt_i16_sdwa s[38:39], v13, s36 src0_sel:BYTE_0 src1_sel:DWORD
	s_mov_b64 s[36:37], 0
	s_and_saveexec_b64 s[40:41], s[38:39]
	s_xor_b64 s[38:39], exec, s[40:41]
	s_cbranch_execnz .LBB288_397
; %bb.105:
	s_or_saveexec_b64 s[38:39], s[38:39]
	v_mov_b32_e32 v1, 0x7f800001
	s_xor_b64 exec, exec, s[38:39]
	s_cbranch_execnz .LBB288_400
.LBB288_106:
	s_or_b64 exec, exec, s[38:39]
	s_and_saveexec_b64 s[38:39], s[36:37]
	s_cbranch_execz .LBB288_108
.LBB288_107:
	v_and_b32_e32 v5, 7, v13
	v_ffbh_u32_e32 v6, v5
	v_min_u32_e32 v6, 32, v6
	v_lshrrev_b16_e32 v2, 3, v13
	v_subrev_u32_e32 v14, 28, v6
	v_and_b32_e32 v2, 15, v2
	v_lshlrev_b32_e32 v14, v14, v13
	v_sub_u32_e32 v6, 29, v6
	v_and_b32_e32 v14, 7, v14
	v_cmp_eq_u32_e32 vcc, 0, v2
	v_lshlrev_b32_e32 v1, 24, v13
	v_cndmask_b32_e32 v2, v2, v6, vcc
	v_cndmask_b32_e32 v5, v5, v14, vcc
	v_mov_b32_e32 v6, 0x3b800000
	v_lshlrev_b32_e32 v5, 20, v5
	v_and_b32_e32 v1, 0x80000000, v1
	v_lshl_add_u32 v2, v2, 23, v6
	v_or3_b32 v1, v1, v2, v5
.LBB288_108:
	s_or_b64 exec, exec, s[38:39]
	s_movk_i32 s36, 0x7f
	v_cmp_gt_i16_sdwa s[38:39], v12, s36 src0_sel:BYTE_0 src1_sel:DWORD
	s_mov_b64 s[36:37], 0
	s_and_saveexec_b64 s[40:41], s[38:39]
	s_xor_b64 s[38:39], exec, s[40:41]
	s_cbranch_execnz .LBB288_401
; %bb.109:
	s_or_saveexec_b64 s[38:39], s[38:39]
	v_mov_b32_e32 v2, 0x7f800001
	s_xor_b64 exec, exec, s[38:39]
	s_cbranch_execnz .LBB288_404
.LBB288_110:
	s_or_b64 exec, exec, s[38:39]
	s_and_saveexec_b64 s[38:39], s[36:37]
	s_cbranch_execz .LBB288_112
.LBB288_111:
	v_and_b32_e32 v6, 7, v12
	v_ffbh_u32_e32 v14, v6
	v_min_u32_e32 v14, 32, v14
	v_lshrrev_b16_e32 v5, 3, v12
	v_subrev_u32_e32 v15, 28, v14
	v_and_b32_e32 v5, 15, v5
	v_lshlrev_b32_e32 v15, v15, v12
	v_sub_u32_e32 v14, 29, v14
	v_and_b32_e32 v15, 7, v15
	v_cmp_eq_u32_e32 vcc, 0, v5
	v_lshlrev_b32_e32 v2, 24, v12
	v_cndmask_b32_e32 v5, v5, v14, vcc
	v_cndmask_b32_e32 v6, v6, v15, vcc
	v_mov_b32_e32 v14, 0x3b800000
	v_lshlrev_b32_e32 v6, 20, v6
	v_and_b32_e32 v2, 0x80000000, v2
	v_lshl_add_u32 v5, v5, 23, v14
	v_or3_b32 v2, v2, v5, v6
.LBB288_112:
	s_or_b64 exec, exec, s[38:39]
	v_cmp_neq_f32_e64 s[36:37], v1, v2
.LBB288_113:
	s_and_b64 vcc, exec, s[4:5]
	s_cbranch_vccnz .LBB288_263
.LBB288_114:
	s_movk_i32 s38, 0xff
	v_and_b32_sdwa v2, v7, s38 dst_sel:DWORD dst_unused:UNUSED_PAD src0_sel:WORD_1 src1_sel:DWORD
	s_movk_i32 s38, 0x7f
	v_cmp_lt_i16_e32 vcc, s38, v2
	s_mov_b64 s[38:39], 0
	s_and_saveexec_b64 s[40:41], vcc
	s_xor_b64 s[40:41], exec, s[40:41]
	s_cbranch_execnz .LBB288_405
; %bb.115:
	s_or_saveexec_b64 s[40:41], s[40:41]
	v_mov_b32_e32 v1, 0x7f800001
	s_xor_b64 exec, exec, s[40:41]
	s_cbranch_execnz .LBB288_408
.LBB288_116:
	s_or_b64 exec, exec, s[40:41]
	s_and_saveexec_b64 s[40:41], s[38:39]
	s_cbranch_execz .LBB288_118
.LBB288_117:
	v_mov_b32_e32 v5, 7
	v_and_b32_sdwa v5, v7, v5 dst_sel:DWORD dst_unused:UNUSED_PAD src0_sel:WORD_1 src1_sel:DWORD
	v_ffbh_u32_e32 v6, v5
	v_mov_b32_e32 v2, 3
	v_min_u32_e32 v6, 32, v6
	v_lshrrev_b16_sdwa v2, v2, v7 dst_sel:DWORD dst_unused:UNUSED_PAD src0_sel:DWORD src1_sel:WORD_1
	v_subrev_u32_e32 v12, 28, v6
	v_and_b32_e32 v2, 15, v2
	v_lshlrev_b32_sdwa v12, v12, v7 dst_sel:DWORD dst_unused:UNUSED_PAD src0_sel:DWORD src1_sel:WORD_1
	v_mov_b32_e32 v1, 24
	v_sub_u32_e32 v6, 29, v6
	v_and_b32_e32 v12, 7, v12
	v_cmp_eq_u32_e32 vcc, 0, v2
	v_lshlrev_b32_sdwa v1, v1, v7 dst_sel:DWORD dst_unused:UNUSED_PAD src0_sel:DWORD src1_sel:WORD_1
	v_cndmask_b32_e32 v2, v2, v6, vcc
	v_cndmask_b32_e32 v5, v5, v12, vcc
	v_mov_b32_e32 v6, 0x3b800000
	v_lshlrev_b32_e32 v5, 20, v5
	v_and_b32_e32 v1, 0x80000000, v1
	v_lshl_add_u32 v2, v2, 23, v6
	v_or3_b32 v1, v1, v2, v5
.LBB288_118:
	s_or_b64 exec, exec, s[40:41]
	s_movk_i32 s38, 0xff
	v_and_b32_sdwa v2, v3, s38 dst_sel:DWORD dst_unused:UNUSED_PAD src0_sel:WORD_1 src1_sel:DWORD
	s_movk_i32 s38, 0x7f
	v_cmp_lt_i16_e32 vcc, s38, v2
	s_mov_b64 s[38:39], 0
	s_and_saveexec_b64 s[40:41], vcc
	s_xor_b64 s[40:41], exec, s[40:41]
	s_cbranch_execnz .LBB288_409
; %bb.119:
	s_or_saveexec_b64 s[40:41], s[40:41]
	v_mov_b32_e32 v5, 0x7f800001
	s_xor_b64 exec, exec, s[40:41]
	s_cbranch_execnz .LBB288_412
.LBB288_120:
	s_or_b64 exec, exec, s[40:41]
	s_and_saveexec_b64 s[40:41], s[38:39]
	s_cbranch_execz .LBB288_122
.LBB288_121:
	v_mov_b32_e32 v6, 7
	v_and_b32_sdwa v6, v3, v6 dst_sel:DWORD dst_unused:UNUSED_PAD src0_sel:WORD_1 src1_sel:DWORD
	v_ffbh_u32_e32 v12, v6
	v_mov_b32_e32 v5, 3
	v_min_u32_e32 v12, 32, v12
	v_lshrrev_b16_sdwa v5, v5, v3 dst_sel:DWORD dst_unused:UNUSED_PAD src0_sel:DWORD src1_sel:WORD_1
	v_subrev_u32_e32 v13, 28, v12
	v_and_b32_e32 v5, 15, v5
	v_lshlrev_b32_sdwa v13, v13, v3 dst_sel:DWORD dst_unused:UNUSED_PAD src0_sel:DWORD src1_sel:WORD_1
	v_mov_b32_e32 v2, 24
	v_sub_u32_e32 v12, 29, v12
	v_and_b32_e32 v13, 7, v13
	v_cmp_eq_u32_e32 vcc, 0, v5
	v_lshlrev_b32_sdwa v2, v2, v3 dst_sel:DWORD dst_unused:UNUSED_PAD src0_sel:DWORD src1_sel:WORD_1
	v_cndmask_b32_e32 v5, v5, v12, vcc
	v_cndmask_b32_e32 v6, v6, v13, vcc
	v_mov_b32_e32 v12, 0x3b800000
	v_lshlrev_b32_e32 v6, 20, v6
	v_and_b32_e32 v2, 0x80000000, v2
	v_lshl_add_u32 v5, v5, 23, v12
	v_or3_b32 v5, v2, v5, v6
.LBB288_122:
	s_or_b64 exec, exec, s[40:41]
	v_cmp_neq_f32_e64 s[38:39], v1, v5
.LBB288_123:
	s_and_b64 vcc, exec, s[4:5]
	s_cbranch_vccnz .LBB288_273
.LBB288_124:
	s_movk_i32 s40, 0x7f
	v_cmp_gt_i16_sdwa s[42:43], v7, s40 src0_sel:BYTE_3 src1_sel:DWORD
	s_mov_b64 s[40:41], 0
	s_and_saveexec_b64 s[44:45], s[42:43]
	s_xor_b64 s[42:43], exec, s[44:45]
	s_cbranch_execnz .LBB288_413
; %bb.125:
	s_or_saveexec_b64 s[42:43], s[42:43]
	v_mov_b32_e32 v1, 0x7f800001
	s_xor_b64 exec, exec, s[42:43]
	s_cbranch_execnz .LBB288_416
.LBB288_126:
	s_or_b64 exec, exec, s[42:43]
	s_and_saveexec_b64 s[42:43], s[40:41]
	s_cbranch_execz .LBB288_128
.LBB288_127:
	s_mov_b32 s40, 0xffff
	v_and_b32_sdwa v2, s40, v7 dst_sel:DWORD dst_unused:UNUSED_PAD src0_sel:DWORD src1_sel:BYTE_3
	v_and_b32_e32 v5, 7, v2
	v_ffbh_u32_e32 v12, v5
	v_min_u32_e32 v12, 32, v12
	v_subrev_u32_e32 v13, 28, v12
	v_bfe_u32 v6, v2, 3, 4
	v_lshlrev_b32_e32 v2, v13, v2
	v_mov_b32_e32 v1, 24
	v_sub_u32_e32 v12, 29, v12
	v_and_b32_e32 v2, 7, v2
	v_cmp_eq_u32_e32 vcc, 0, v6
	v_lshlrev_b32_sdwa v1, v1, v7 dst_sel:DWORD dst_unused:UNUSED_PAD src0_sel:DWORD src1_sel:BYTE_3
	v_cndmask_b32_e32 v6, v6, v12, vcc
	v_cndmask_b32_e32 v2, v5, v2, vcc
	v_mov_b32_e32 v5, 0x3b800000
	v_lshlrev_b32_e32 v2, 20, v2
	v_and_b32_e32 v1, 0x80000000, v1
	v_lshl_add_u32 v5, v6, 23, v5
	v_or3_b32 v1, v1, v5, v2
.LBB288_128:
	s_or_b64 exec, exec, s[42:43]
	s_movk_i32 s40, 0x7f
	v_cmp_gt_i16_sdwa s[42:43], v3, s40 src0_sel:BYTE_3 src1_sel:DWORD
	s_mov_b64 s[40:41], 0
	s_and_saveexec_b64 s[44:45], s[42:43]
	s_xor_b64 s[42:43], exec, s[44:45]
	s_cbranch_execnz .LBB288_417
; %bb.129:
	s_or_saveexec_b64 s[42:43], s[42:43]
	v_mov_b32_e32 v2, 0x7f800001
	s_xor_b64 exec, exec, s[42:43]
	s_cbranch_execnz .LBB288_420
.LBB288_130:
	s_or_b64 exec, exec, s[42:43]
	s_and_saveexec_b64 s[42:43], s[40:41]
	s_cbranch_execz .LBB288_132
.LBB288_131:
	s_mov_b32 s40, 0xffff
	v_and_b32_sdwa v5, s40, v3 dst_sel:DWORD dst_unused:UNUSED_PAD src0_sel:DWORD src1_sel:BYTE_3
	v_and_b32_e32 v6, 7, v5
	v_ffbh_u32_e32 v13, v6
	v_min_u32_e32 v13, 32, v13
	v_subrev_u32_e32 v14, 28, v13
	v_bfe_u32 v12, v5, 3, 4
	v_lshlrev_b32_e32 v5, v14, v5
	v_mov_b32_e32 v2, 24
	v_sub_u32_e32 v13, 29, v13
	v_and_b32_e32 v5, 7, v5
	v_cmp_eq_u32_e32 vcc, 0, v12
	v_lshlrev_b32_sdwa v2, v2, v3 dst_sel:DWORD dst_unused:UNUSED_PAD src0_sel:DWORD src1_sel:BYTE_3
	v_cndmask_b32_e32 v12, v12, v13, vcc
	v_cndmask_b32_e32 v5, v6, v5, vcc
	v_mov_b32_e32 v6, 0x3b800000
	v_lshlrev_b32_e32 v5, 20, v5
	v_and_b32_e32 v2, 0x80000000, v2
	v_lshl_add_u32 v6, v12, 23, v6
	v_or3_b32 v2, v2, v6, v5
.LBB288_132:
	s_or_b64 exec, exec, s[42:43]
	v_cmp_neq_f32_e64 s[40:41], v1, v2
.LBB288_133:
	s_and_b64 vcc, exec, s[4:5]
	s_cbranch_vccnz .LBB288_283
.LBB288_134:
	s_movk_i32 s42, 0x7f
	v_cmp_gt_i16_sdwa s[44:45], v8, s42 src0_sel:BYTE_0 src1_sel:DWORD
	s_mov_b64 s[42:43], 0
	s_and_saveexec_b64 s[46:47], s[44:45]
	s_xor_b64 s[44:45], exec, s[46:47]
	s_cbranch_execnz .LBB288_421
; %bb.135:
	s_or_saveexec_b64 s[44:45], s[44:45]
	v_mov_b32_e32 v1, 0x7f800001
	s_xor_b64 exec, exec, s[44:45]
	s_cbranch_execnz .LBB288_424
.LBB288_136:
	s_or_b64 exec, exec, s[44:45]
	s_and_saveexec_b64 s[44:45], s[42:43]
	s_cbranch_execz .LBB288_138
.LBB288_137:
	v_and_b32_e32 v3, 7, v8
	v_ffbh_u32_e32 v5, v3
	v_min_u32_e32 v5, 32, v5
	v_lshrrev_b16_e32 v2, 3, v8
	v_subrev_u32_e32 v6, 28, v5
	v_and_b32_e32 v2, 15, v2
	v_lshlrev_b32_e32 v6, v6, v8
	v_sub_u32_e32 v5, 29, v5
	v_and_b32_e32 v6, 7, v6
	v_cmp_eq_u32_e32 vcc, 0, v2
	v_lshlrev_b32_e32 v1, 24, v8
	v_cndmask_b32_e32 v2, v2, v5, vcc
	v_cndmask_b32_e32 v3, v3, v6, vcc
	v_mov_b32_e32 v5, 0x3b800000
	v_lshlrev_b32_e32 v3, 20, v3
	v_and_b32_e32 v1, 0x80000000, v1
	v_lshl_add_u32 v2, v2, 23, v5
	v_or3_b32 v1, v1, v2, v3
.LBB288_138:
	s_or_b64 exec, exec, s[44:45]
	s_movk_i32 s42, 0x7f
	v_cmp_gt_i16_sdwa s[44:45], v4, s42 src0_sel:BYTE_0 src1_sel:DWORD
	s_mov_b64 s[42:43], 0
	s_and_saveexec_b64 s[46:47], s[44:45]
	s_xor_b64 s[44:45], exec, s[46:47]
	s_cbranch_execnz .LBB288_425
; %bb.139:
	s_or_saveexec_b64 s[44:45], s[44:45]
	v_mov_b32_e32 v2, 0x7f800001
	s_xor_b64 exec, exec, s[44:45]
	s_cbranch_execnz .LBB288_428
.LBB288_140:
	s_or_b64 exec, exec, s[44:45]
	s_and_saveexec_b64 s[44:45], s[42:43]
	s_cbranch_execz .LBB288_142
.LBB288_141:
	v_and_b32_e32 v5, 7, v4
	v_ffbh_u32_e32 v6, v5
	v_min_u32_e32 v6, 32, v6
	v_lshrrev_b16_e32 v3, 3, v4
	v_subrev_u32_e32 v7, 28, v6
	v_and_b32_e32 v3, 15, v3
	v_lshlrev_b32_e32 v7, v7, v4
	v_sub_u32_e32 v6, 29, v6
	v_and_b32_e32 v7, 7, v7
	v_cmp_eq_u32_e32 vcc, 0, v3
	v_lshlrev_b32_e32 v2, 24, v4
	v_cndmask_b32_e32 v3, v3, v6, vcc
	v_cndmask_b32_e32 v5, v5, v7, vcc
	v_mov_b32_e32 v6, 0x3b800000
	v_lshlrev_b32_e32 v5, 20, v5
	v_and_b32_e32 v2, 0x80000000, v2
	v_lshl_add_u32 v3, v3, 23, v6
	v_or3_b32 v2, v2, v3, v5
.LBB288_142:
	s_or_b64 exec, exec, s[44:45]
	v_cmp_neq_f32_e64 s[42:43], v1, v2
.LBB288_143:
	s_and_b64 vcc, exec, s[4:5]
	s_cbranch_vccnz .LBB288_293
.LBB288_144:
	s_movk_i32 s44, 0x7f
	v_cmp_gt_i16_sdwa s[46:47], v11, s44 src0_sel:BYTE_0 src1_sel:DWORD
	s_mov_b64 s[44:45], 0
	s_and_saveexec_b64 s[48:49], s[46:47]
	s_xor_b64 s[46:47], exec, s[48:49]
	s_cbranch_execnz .LBB288_429
; %bb.145:
	s_or_saveexec_b64 s[46:47], s[46:47]
	v_mov_b32_e32 v1, 0x7f800001
	s_xor_b64 exec, exec, s[46:47]
	s_cbranch_execnz .LBB288_432
.LBB288_146:
	s_or_b64 exec, exec, s[46:47]
	s_and_saveexec_b64 s[46:47], s[44:45]
	s_cbranch_execz .LBB288_148
.LBB288_147:
	v_and_b32_e32 v3, 7, v11
	v_ffbh_u32_e32 v5, v3
	v_min_u32_e32 v5, 32, v5
	v_lshrrev_b16_e32 v2, 3, v11
	v_subrev_u32_e32 v6, 28, v5
	v_and_b32_e32 v2, 15, v2
	v_lshlrev_b32_e32 v6, v6, v11
	v_sub_u32_e32 v5, 29, v5
	v_and_b32_e32 v6, 7, v6
	v_cmp_eq_u32_e32 vcc, 0, v2
	v_lshlrev_b32_e32 v1, 24, v11
	v_cndmask_b32_e32 v2, v2, v5, vcc
	v_cndmask_b32_e32 v3, v3, v6, vcc
	v_mov_b32_e32 v5, 0x3b800000
	v_lshlrev_b32_e32 v3, 20, v3
	v_and_b32_e32 v1, 0x80000000, v1
	v_lshl_add_u32 v2, v2, 23, v5
	v_or3_b32 v1, v1, v2, v3
.LBB288_148:
	s_or_b64 exec, exec, s[46:47]
	s_movk_i32 s44, 0x7f
	v_cmp_gt_i16_sdwa s[46:47], v10, s44 src0_sel:BYTE_0 src1_sel:DWORD
	s_mov_b64 s[44:45], 0
	s_and_saveexec_b64 s[48:49], s[46:47]
	s_xor_b64 s[46:47], exec, s[48:49]
	s_cbranch_execnz .LBB288_433
; %bb.149:
	s_or_saveexec_b64 s[46:47], s[46:47]
	v_mov_b32_e32 v2, 0x7f800001
	s_xor_b64 exec, exec, s[46:47]
	s_cbranch_execnz .LBB288_436
.LBB288_150:
	s_or_b64 exec, exec, s[46:47]
	s_and_saveexec_b64 s[46:47], s[44:45]
	s_cbranch_execz .LBB288_152
.LBB288_151:
	v_and_b32_e32 v5, 7, v10
	v_ffbh_u32_e32 v6, v5
	v_min_u32_e32 v6, 32, v6
	v_lshrrev_b16_e32 v3, 3, v10
	v_subrev_u32_e32 v7, 28, v6
	v_and_b32_e32 v3, 15, v3
	v_lshlrev_b32_e32 v7, v7, v10
	v_sub_u32_e32 v6, 29, v6
	v_and_b32_e32 v7, 7, v7
	v_cmp_eq_u32_e32 vcc, 0, v3
	v_lshlrev_b32_e32 v2, 24, v10
	v_cndmask_b32_e32 v3, v3, v6, vcc
	v_cndmask_b32_e32 v5, v5, v7, vcc
	v_mov_b32_e32 v6, 0x3b800000
	v_lshlrev_b32_e32 v5, 20, v5
	v_and_b32_e32 v2, 0x80000000, v2
	v_lshl_add_u32 v3, v3, 23, v6
	v_or3_b32 v2, v2, v3, v5
.LBB288_152:
	s_or_b64 exec, exec, s[46:47]
	v_cmp_neq_f32_e64 s[44:45], v1, v2
.LBB288_153:
	s_and_b64 vcc, exec, s[4:5]
	s_cbranch_vccnz .LBB288_303
.LBB288_154:
	s_movk_i32 s46, 0xff
	v_and_b32_sdwa v2, v8, s46 dst_sel:DWORD dst_unused:UNUSED_PAD src0_sel:WORD_1 src1_sel:DWORD
	s_movk_i32 s46, 0x7f
	v_cmp_lt_i16_e32 vcc, s46, v2
	s_mov_b64 s[46:47], 0
	s_and_saveexec_b64 s[48:49], vcc
	s_xor_b64 s[48:49], exec, s[48:49]
	s_cbranch_execnz .LBB288_437
; %bb.155:
	s_or_saveexec_b64 s[48:49], s[48:49]
	v_mov_b32_e32 v1, 0x7f800001
	s_xor_b64 exec, exec, s[48:49]
	s_cbranch_execnz .LBB288_440
.LBB288_156:
	s_or_b64 exec, exec, s[48:49]
	s_and_saveexec_b64 s[48:49], s[46:47]
	s_cbranch_execz .LBB288_158
.LBB288_157:
	v_mov_b32_e32 v3, 7
	v_and_b32_sdwa v3, v8, v3 dst_sel:DWORD dst_unused:UNUSED_PAD src0_sel:WORD_1 src1_sel:DWORD
	v_ffbh_u32_e32 v5, v3
	v_mov_b32_e32 v2, 3
	v_min_u32_e32 v5, 32, v5
	v_lshrrev_b16_sdwa v2, v2, v8 dst_sel:DWORD dst_unused:UNUSED_PAD src0_sel:DWORD src1_sel:WORD_1
	v_subrev_u32_e32 v6, 28, v5
	v_and_b32_e32 v2, 15, v2
	v_lshlrev_b32_sdwa v6, v6, v8 dst_sel:DWORD dst_unused:UNUSED_PAD src0_sel:DWORD src1_sel:WORD_1
	v_mov_b32_e32 v1, 24
	v_sub_u32_e32 v5, 29, v5
	v_and_b32_e32 v6, 7, v6
	v_cmp_eq_u32_e32 vcc, 0, v2
	v_lshlrev_b32_sdwa v1, v1, v8 dst_sel:DWORD dst_unused:UNUSED_PAD src0_sel:DWORD src1_sel:WORD_1
	v_cndmask_b32_e32 v2, v2, v5, vcc
	v_cndmask_b32_e32 v3, v3, v6, vcc
	v_mov_b32_e32 v5, 0x3b800000
	v_lshlrev_b32_e32 v3, 20, v3
	v_and_b32_e32 v1, 0x80000000, v1
	v_lshl_add_u32 v2, v2, 23, v5
	v_or3_b32 v1, v1, v2, v3
.LBB288_158:
	s_or_b64 exec, exec, s[48:49]
	s_movk_i32 s46, 0xff
	v_and_b32_sdwa v2, v4, s46 dst_sel:DWORD dst_unused:UNUSED_PAD src0_sel:WORD_1 src1_sel:DWORD
	s_movk_i32 s46, 0x7f
	v_cmp_lt_i16_e32 vcc, s46, v2
	s_mov_b64 s[46:47], 0
	s_and_saveexec_b64 s[48:49], vcc
	s_xor_b64 s[48:49], exec, s[48:49]
	s_cbranch_execnz .LBB288_441
; %bb.159:
	s_or_saveexec_b64 s[48:49], s[48:49]
	v_mov_b32_e32 v3, 0x7f800001
	s_xor_b64 exec, exec, s[48:49]
	s_cbranch_execnz .LBB288_444
.LBB288_160:
	s_or_b64 exec, exec, s[48:49]
	s_and_saveexec_b64 s[48:49], s[46:47]
	s_cbranch_execz .LBB288_162
.LBB288_161:
	v_mov_b32_e32 v5, 7
	v_and_b32_sdwa v5, v4, v5 dst_sel:DWORD dst_unused:UNUSED_PAD src0_sel:WORD_1 src1_sel:DWORD
	v_ffbh_u32_e32 v6, v5
	v_mov_b32_e32 v3, 3
	v_min_u32_e32 v6, 32, v6
	v_lshrrev_b16_sdwa v3, v3, v4 dst_sel:DWORD dst_unused:UNUSED_PAD src0_sel:DWORD src1_sel:WORD_1
	v_subrev_u32_e32 v7, 28, v6
	v_and_b32_e32 v3, 15, v3
	v_lshlrev_b32_sdwa v7, v7, v4 dst_sel:DWORD dst_unused:UNUSED_PAD src0_sel:DWORD src1_sel:WORD_1
	v_mov_b32_e32 v2, 24
	v_sub_u32_e32 v6, 29, v6
	v_and_b32_e32 v7, 7, v7
	v_cmp_eq_u32_e32 vcc, 0, v3
	v_lshlrev_b32_sdwa v2, v2, v4 dst_sel:DWORD dst_unused:UNUSED_PAD src0_sel:DWORD src1_sel:WORD_1
	v_cndmask_b32_e32 v3, v3, v6, vcc
	v_cndmask_b32_e32 v5, v5, v7, vcc
	v_mov_b32_e32 v6, 0x3b800000
	v_lshlrev_b32_e32 v5, 20, v5
	v_and_b32_e32 v2, 0x80000000, v2
	v_lshl_add_u32 v3, v3, 23, v6
	v_or3_b32 v3, v2, v3, v5
.LBB288_162:
	s_or_b64 exec, exec, s[48:49]
	v_cmp_neq_f32_e64 s[46:47], v1, v3
.LBB288_163:
	s_and_b64 vcc, exec, s[4:5]
	s_cbranch_vccnz .LBB288_313
.LBB288_164:
	s_movk_i32 s4, 0x7f
	v_cmp_gt_i16_sdwa s[48:49], v8, s4 src0_sel:BYTE_3 src1_sel:DWORD
	s_mov_b64 s[4:5], 0
	s_and_saveexec_b64 s[50:51], s[48:49]
	s_xor_b64 s[48:49], exec, s[50:51]
	s_cbranch_execnz .LBB288_445
; %bb.165:
	s_or_saveexec_b64 s[48:49], s[48:49]
	v_mov_b32_e32 v1, 0x7f800001
	s_xor_b64 exec, exec, s[48:49]
	s_cbranch_execnz .LBB288_448
.LBB288_166:
	s_or_b64 exec, exec, s[48:49]
	s_and_saveexec_b64 s[48:49], s[4:5]
	s_cbranch_execz .LBB288_168
.LBB288_167:
	s_mov_b32 s4, 0xffff
	v_and_b32_sdwa v2, s4, v8 dst_sel:DWORD dst_unused:UNUSED_PAD src0_sel:DWORD src1_sel:BYTE_3
	v_and_b32_e32 v3, 7, v2
	v_ffbh_u32_e32 v6, v3
	v_min_u32_e32 v6, 32, v6
	v_subrev_u32_e32 v7, 28, v6
	v_bfe_u32 v5, v2, 3, 4
	v_lshlrev_b32_e32 v2, v7, v2
	v_mov_b32_e32 v1, 24
	v_sub_u32_e32 v6, 29, v6
	v_and_b32_e32 v2, 7, v2
	v_cmp_eq_u32_e32 vcc, 0, v5
	v_lshlrev_b32_sdwa v1, v1, v8 dst_sel:DWORD dst_unused:UNUSED_PAD src0_sel:DWORD src1_sel:BYTE_3
	v_cndmask_b32_e32 v5, v5, v6, vcc
	v_cndmask_b32_e32 v2, v3, v2, vcc
	v_mov_b32_e32 v3, 0x3b800000
	v_lshlrev_b32_e32 v2, 20, v2
	v_and_b32_e32 v1, 0x80000000, v1
	v_lshl_add_u32 v3, v5, 23, v3
	v_or3_b32 v1, v1, v3, v2
.LBB288_168:
	s_or_b64 exec, exec, s[48:49]
	s_movk_i32 s4, 0x7f
	v_cmp_gt_i16_sdwa s[48:49], v4, s4 src0_sel:BYTE_3 src1_sel:DWORD
	s_mov_b64 s[4:5], 0
	s_and_saveexec_b64 s[50:51], s[48:49]
	s_xor_b64 s[48:49], exec, s[50:51]
	s_cbranch_execnz .LBB288_449
; %bb.169:
	s_or_saveexec_b64 s[48:49], s[48:49]
	v_mov_b32_e32 v2, 0x7f800001
	s_xor_b64 exec, exec, s[48:49]
	s_cbranch_execnz .LBB288_452
.LBB288_170:
	s_or_b64 exec, exec, s[48:49]
	s_and_saveexec_b64 s[48:49], s[4:5]
	s_cbranch_execz .LBB288_172
.LBB288_171:
	s_mov_b32 s4, 0xffff
	v_and_b32_sdwa v3, s4, v4 dst_sel:DWORD dst_unused:UNUSED_PAD src0_sel:DWORD src1_sel:BYTE_3
	v_and_b32_e32 v5, 7, v3
	v_ffbh_u32_e32 v7, v5
	v_min_u32_e32 v7, 32, v7
	v_subrev_u32_e32 v10, 28, v7
	v_bfe_u32 v6, v3, 3, 4
	v_lshlrev_b32_e32 v3, v10, v3
	v_mov_b32_e32 v2, 24
	v_sub_u32_e32 v7, 29, v7
	v_and_b32_e32 v3, 7, v3
	v_cmp_eq_u32_e32 vcc, 0, v6
	v_lshlrev_b32_sdwa v2, v2, v4 dst_sel:DWORD dst_unused:UNUSED_PAD src0_sel:DWORD src1_sel:BYTE_3
	v_cndmask_b32_e32 v6, v6, v7, vcc
	v_cndmask_b32_e32 v3, v5, v3, vcc
	v_mov_b32_e32 v5, 0x3b800000
	v_lshlrev_b32_e32 v3, 20, v3
	v_and_b32_e32 v2, 0x80000000, v2
	v_lshl_add_u32 v5, v6, 23, v5
	v_or3_b32 v2, v2, v5, v3
.LBB288_172:
	s_or_b64 exec, exec, s[48:49]
	v_cmp_neq_f32_e64 s[4:5], v1, v2
	s_branch .LBB288_323
.LBB288_173:
                                        ; implicit-def: $sgpr18_sgpr19
	s_cbranch_execz .LBB288_33
; %bb.174:
	s_movk_i32 s18, 0x7f
	v_cmp_gt_i16_sdwa s[20:21], v17, s18 src0_sel:BYTE_0 src1_sel:DWORD
	s_mov_b64 s[18:19], 0
	s_and_saveexec_b64 s[22:23], s[20:21]
	s_xor_b64 s[20:21], exec, s[22:23]
	s_cbranch_execnz .LBB288_461
; %bb.175:
	s_or_saveexec_b64 s[20:21], s[20:21]
	v_mov_b32_e32 v18, 0x7f800001
	s_xor_b64 exec, exec, s[20:21]
	s_cbranch_execnz .LBB288_464
.LBB288_176:
	s_or_b64 exec, exec, s[20:21]
	s_and_saveexec_b64 s[20:21], s[18:19]
	s_cbranch_execz .LBB288_178
.LBB288_177:
	v_and_b32_e32 v20, 7, v17
	v_ffbh_u32_e32 v21, v20
	v_min_u32_e32 v21, 32, v21
	v_lshrrev_b16_e32 v19, 3, v17
	v_subrev_u32_e32 v22, 28, v21
	v_lshlrev_b32_e32 v18, 24, v17
	v_and_b32_e32 v19, 15, v19
	v_lshlrev_b32_e32 v17, v22, v17
	v_sub_u32_e32 v21, 29, v21
	v_and_b32_e32 v17, 7, v17
	v_cmp_eq_u32_e32 vcc, 0, v19
	v_cndmask_b32_e32 v19, v19, v21, vcc
	v_cndmask_b32_e32 v17, v20, v17, vcc
	v_mov_b32_e32 v20, 0x3b800000
	v_lshlrev_b32_e32 v17, 20, v17
	v_and_b32_e32 v18, 0x80000000, v18
	v_lshl_add_u32 v19, v19, 23, v20
	v_or3_b32 v18, v18, v19, v17
.LBB288_178:
	s_or_b64 exec, exec, s[20:21]
	s_movk_i32 s18, 0x7f
	v_cmp_gt_i16_sdwa s[20:21], v16, s18 src0_sel:BYTE_0 src1_sel:DWORD
	s_mov_b64 s[18:19], 0
	s_and_saveexec_b64 s[22:23], s[20:21]
	s_xor_b64 s[20:21], exec, s[22:23]
	s_cbranch_execnz .LBB288_465
; %bb.179:
	s_or_saveexec_b64 s[20:21], s[20:21]
	v_mov_b32_e32 v17, 0x7f800001
	s_xor_b64 exec, exec, s[20:21]
	s_cbranch_execnz .LBB288_468
.LBB288_180:
	s_or_b64 exec, exec, s[20:21]
	s_and_saveexec_b64 s[20:21], s[18:19]
	s_cbranch_execz .LBB288_182
.LBB288_181:
	v_and_b32_e32 v20, 7, v16
	v_ffbh_u32_e32 v21, v20
	v_min_u32_e32 v21, 32, v21
	v_lshrrev_b16_e32 v19, 3, v16
	v_subrev_u32_e32 v22, 28, v21
	v_lshlrev_b32_e32 v17, 24, v16
	v_and_b32_e32 v19, 15, v19
	v_lshlrev_b32_e32 v16, v22, v16
	v_sub_u32_e32 v21, 29, v21
	v_and_b32_e32 v16, 7, v16
	v_cmp_eq_u32_e32 vcc, 0, v19
	v_cndmask_b32_e32 v19, v19, v21, vcc
	v_cndmask_b32_e32 v16, v20, v16, vcc
	v_mov_b32_e32 v20, 0x3b800000
	v_lshlrev_b32_e32 v16, 20, v16
	v_and_b32_e32 v17, 0x80000000, v17
	v_lshl_add_u32 v19, v19, 23, v20
	v_or3_b32 v17, v17, v19, v16
.LBB288_182:
	s_or_b64 exec, exec, s[20:21]
	v_cmp_eq_f32_e64 s[18:19], v18, v17
	s_and_b64 vcc, exec, s[4:5]
	s_cbranch_vccz .LBB288_34
.LBB288_183:
                                        ; implicit-def: $sgpr20_sgpr21
	s_cbranch_execz .LBB288_43
; %bb.184:
	s_movk_i32 s20, 0xff
	v_and_b32_sdwa v17, v5, s20 dst_sel:DWORD dst_unused:UNUSED_PAD src0_sel:WORD_1 src1_sel:DWORD
	s_movk_i32 s20, 0x7f
	v_cmp_lt_i16_e32 vcc, s20, v17
	s_mov_b64 s[20:21], 0
	s_and_saveexec_b64 s[22:23], vcc
	s_xor_b64 s[22:23], exec, s[22:23]
	s_cbranch_execnz .LBB288_469
; %bb.185:
	s_or_saveexec_b64 s[22:23], s[22:23]
	v_mov_b32_e32 v16, 0x7f800001
	s_xor_b64 exec, exec, s[22:23]
	s_cbranch_execnz .LBB288_472
.LBB288_186:
	s_or_b64 exec, exec, s[22:23]
	s_and_saveexec_b64 s[22:23], s[20:21]
	s_cbranch_execz .LBB288_188
.LBB288_187:
	v_mov_b32_e32 v18, 7
	v_and_b32_sdwa v18, v5, v18 dst_sel:DWORD dst_unused:UNUSED_PAD src0_sel:WORD_1 src1_sel:DWORD
	v_ffbh_u32_e32 v19, v18
	v_mov_b32_e32 v17, 3
	v_min_u32_e32 v19, 32, v19
	v_lshrrev_b16_sdwa v17, v17, v5 dst_sel:DWORD dst_unused:UNUSED_PAD src0_sel:DWORD src1_sel:WORD_1
	v_subrev_u32_e32 v20, 28, v19
	v_and_b32_e32 v17, 15, v17
	v_lshlrev_b32_sdwa v20, v20, v5 dst_sel:DWORD dst_unused:UNUSED_PAD src0_sel:DWORD src1_sel:WORD_1
	v_mov_b32_e32 v16, 24
	v_sub_u32_e32 v19, 29, v19
	v_and_b32_e32 v20, 7, v20
	v_cmp_eq_u32_e32 vcc, 0, v17
	v_lshlrev_b32_sdwa v16, v16, v5 dst_sel:DWORD dst_unused:UNUSED_PAD src0_sel:DWORD src1_sel:WORD_1
	v_cndmask_b32_e32 v17, v17, v19, vcc
	v_cndmask_b32_e32 v18, v18, v20, vcc
	v_mov_b32_e32 v19, 0x3b800000
	v_lshlrev_b32_e32 v18, 20, v18
	v_and_b32_e32 v16, 0x80000000, v16
	v_lshl_add_u32 v17, v17, 23, v19
	v_or3_b32 v16, v16, v17, v18
.LBB288_188:
	s_or_b64 exec, exec, s[22:23]
	s_movk_i32 s20, 0xff
	v_and_b32_sdwa v17, v1, s20 dst_sel:DWORD dst_unused:UNUSED_PAD src0_sel:WORD_1 src1_sel:DWORD
	s_movk_i32 s20, 0x7f
	v_cmp_lt_i16_e32 vcc, s20, v17
	s_mov_b64 s[20:21], 0
	s_and_saveexec_b64 s[22:23], vcc
	s_xor_b64 s[22:23], exec, s[22:23]
	s_cbranch_execnz .LBB288_473
; %bb.189:
	s_or_saveexec_b64 s[22:23], s[22:23]
	v_mov_b32_e32 v18, 0x7f800001
	s_xor_b64 exec, exec, s[22:23]
	s_cbranch_execnz .LBB288_476
.LBB288_190:
	s_or_b64 exec, exec, s[22:23]
	s_and_saveexec_b64 s[22:23], s[20:21]
	s_cbranch_execz .LBB288_192
.LBB288_191:
	v_mov_b32_e32 v19, 7
	v_and_b32_sdwa v19, v1, v19 dst_sel:DWORD dst_unused:UNUSED_PAD src0_sel:WORD_1 src1_sel:DWORD
	v_ffbh_u32_e32 v20, v19
	v_mov_b32_e32 v18, 3
	v_min_u32_e32 v20, 32, v20
	v_lshrrev_b16_sdwa v18, v18, v1 dst_sel:DWORD dst_unused:UNUSED_PAD src0_sel:DWORD src1_sel:WORD_1
	v_subrev_u32_e32 v21, 28, v20
	v_and_b32_e32 v18, 15, v18
	v_lshlrev_b32_sdwa v21, v21, v1 dst_sel:DWORD dst_unused:UNUSED_PAD src0_sel:DWORD src1_sel:WORD_1
	v_mov_b32_e32 v17, 24
	v_sub_u32_e32 v20, 29, v20
	v_and_b32_e32 v21, 7, v21
	v_cmp_eq_u32_e32 vcc, 0, v18
	v_lshlrev_b32_sdwa v17, v17, v1 dst_sel:DWORD dst_unused:UNUSED_PAD src0_sel:DWORD src1_sel:WORD_1
	v_cndmask_b32_e32 v18, v18, v20, vcc
	v_cndmask_b32_e32 v19, v19, v21, vcc
	v_mov_b32_e32 v20, 0x3b800000
	v_lshlrev_b32_e32 v19, 20, v19
	v_and_b32_e32 v17, 0x80000000, v17
	v_lshl_add_u32 v18, v18, 23, v20
	v_or3_b32 v18, v17, v18, v19
.LBB288_192:
	s_or_b64 exec, exec, s[22:23]
	v_cmp_eq_f32_e64 s[20:21], v16, v18
	s_and_b64 vcc, exec, s[4:5]
	s_cbranch_vccz .LBB288_44
.LBB288_193:
                                        ; implicit-def: $sgpr22_sgpr23
	s_cbranch_execz .LBB288_53
; %bb.194:
	s_movk_i32 s22, 0x7f
	v_cmp_gt_i16_sdwa s[24:25], v5, s22 src0_sel:BYTE_3 src1_sel:DWORD
	s_mov_b64 s[22:23], 0
	s_and_saveexec_b64 s[26:27], s[24:25]
	s_xor_b64 s[24:25], exec, s[26:27]
	s_cbranch_execnz .LBB288_477
; %bb.195:
	s_or_saveexec_b64 s[24:25], s[24:25]
	v_mov_b32_e32 v16, 0x7f800001
	s_xor_b64 exec, exec, s[24:25]
	s_cbranch_execnz .LBB288_480
.LBB288_196:
	s_or_b64 exec, exec, s[24:25]
	s_and_saveexec_b64 s[24:25], s[22:23]
	s_cbranch_execz .LBB288_198
.LBB288_197:
	v_mov_b32_e32 v16, 24
	s_mov_b32 s22, 0xffff
	v_lshlrev_b32_sdwa v16, v16, v5 dst_sel:DWORD dst_unused:UNUSED_PAD src0_sel:DWORD src1_sel:BYTE_3
	v_and_b32_sdwa v5, s22, v5 dst_sel:DWORD dst_unused:UNUSED_PAD src0_sel:DWORD src1_sel:BYTE_3
	v_and_b32_e32 v17, 7, v5
	v_ffbh_u32_e32 v19, v17
	v_min_u32_e32 v19, 32, v19
	v_subrev_u32_e32 v20, 28, v19
	v_bfe_u32 v18, v5, 3, 4
	v_lshlrev_b32_e32 v5, v20, v5
	v_sub_u32_e32 v19, 29, v19
	v_and_b32_e32 v5, 7, v5
	v_cmp_eq_u32_e32 vcc, 0, v18
	v_cndmask_b32_e32 v18, v18, v19, vcc
	v_cndmask_b32_e32 v5, v17, v5, vcc
	v_mov_b32_e32 v17, 0x3b800000
	v_lshlrev_b32_e32 v5, 20, v5
	v_and_b32_e32 v16, 0x80000000, v16
	v_lshl_add_u32 v17, v18, 23, v17
	v_or3_b32 v16, v16, v17, v5
.LBB288_198:
	s_or_b64 exec, exec, s[24:25]
	s_movk_i32 s22, 0x7f
	v_cmp_gt_i16_sdwa s[24:25], v1, s22 src0_sel:BYTE_3 src1_sel:DWORD
	s_mov_b64 s[22:23], 0
	s_and_saveexec_b64 s[26:27], s[24:25]
	s_xor_b64 s[24:25], exec, s[26:27]
	s_cbranch_execnz .LBB288_481
; %bb.199:
	s_or_saveexec_b64 s[24:25], s[24:25]
	v_mov_b32_e32 v5, 0x7f800001
	s_xor_b64 exec, exec, s[24:25]
	s_cbranch_execnz .LBB288_484
.LBB288_200:
	s_or_b64 exec, exec, s[24:25]
	s_and_saveexec_b64 s[24:25], s[22:23]
	s_cbranch_execz .LBB288_202
.LBB288_201:
	v_mov_b32_e32 v5, 24
	s_mov_b32 s22, 0xffff
	v_lshlrev_b32_sdwa v5, v5, v1 dst_sel:DWORD dst_unused:UNUSED_PAD src0_sel:DWORD src1_sel:BYTE_3
	v_and_b32_sdwa v1, s22, v1 dst_sel:DWORD dst_unused:UNUSED_PAD src0_sel:DWORD src1_sel:BYTE_3
	v_and_b32_e32 v17, 7, v1
	v_ffbh_u32_e32 v19, v17
	v_min_u32_e32 v19, 32, v19
	v_subrev_u32_e32 v20, 28, v19
	v_bfe_u32 v18, v1, 3, 4
	v_lshlrev_b32_e32 v1, v20, v1
	v_sub_u32_e32 v19, 29, v19
	v_and_b32_e32 v1, 7, v1
	v_cmp_eq_u32_e32 vcc, 0, v18
	v_cndmask_b32_e32 v18, v18, v19, vcc
	v_cndmask_b32_e32 v1, v17, v1, vcc
	v_mov_b32_e32 v17, 0x3b800000
	v_lshlrev_b32_e32 v1, 20, v1
	v_and_b32_e32 v5, 0x80000000, v5
	v_lshl_add_u32 v17, v18, 23, v17
	v_or3_b32 v5, v5, v17, v1
.LBB288_202:
	s_or_b64 exec, exec, s[24:25]
	v_cmp_eq_f32_e64 s[22:23], v16, v5
	s_and_b64 vcc, exec, s[4:5]
	s_cbranch_vccz .LBB288_54
.LBB288_203:
                                        ; implicit-def: $sgpr24_sgpr25
	s_cbranch_execz .LBB288_63
; %bb.204:
	s_movk_i32 s24, 0x7f
	v_cmp_gt_i16_sdwa s[26:27], v6, s24 src0_sel:BYTE_0 src1_sel:DWORD
	s_mov_b64 s[24:25], 0
	s_and_saveexec_b64 s[28:29], s[26:27]
	s_xor_b64 s[26:27], exec, s[28:29]
	s_cbranch_execnz .LBB288_485
; %bb.205:
	s_or_saveexec_b64 s[26:27], s[26:27]
	v_mov_b32_e32 v1, 0x7f800001
	s_xor_b64 exec, exec, s[26:27]
	s_cbranch_execnz .LBB288_488
.LBB288_206:
	s_or_b64 exec, exec, s[26:27]
	s_and_saveexec_b64 s[26:27], s[24:25]
	s_cbranch_execz .LBB288_208
.LBB288_207:
	v_and_b32_e32 v16, 7, v6
	v_ffbh_u32_e32 v17, v16
	v_min_u32_e32 v17, 32, v17
	v_lshrrev_b16_e32 v5, 3, v6
	v_subrev_u32_e32 v18, 28, v17
	v_and_b32_e32 v5, 15, v5
	v_lshlrev_b32_e32 v18, v18, v6
	v_sub_u32_e32 v17, 29, v17
	v_and_b32_e32 v18, 7, v18
	v_cmp_eq_u32_e32 vcc, 0, v5
	v_lshlrev_b32_e32 v1, 24, v6
	v_cndmask_b32_e32 v5, v5, v17, vcc
	v_cndmask_b32_e32 v16, v16, v18, vcc
	v_mov_b32_e32 v17, 0x3b800000
	v_lshlrev_b32_e32 v16, 20, v16
	v_and_b32_e32 v1, 0x80000000, v1
	v_lshl_add_u32 v5, v5, 23, v17
	v_or3_b32 v1, v1, v5, v16
.LBB288_208:
	s_or_b64 exec, exec, s[26:27]
	s_movk_i32 s24, 0x7f
	v_cmp_gt_i16_sdwa s[26:27], v2, s24 src0_sel:BYTE_0 src1_sel:DWORD
	s_mov_b64 s[24:25], 0
	s_and_saveexec_b64 s[28:29], s[26:27]
	s_xor_b64 s[26:27], exec, s[28:29]
	s_cbranch_execnz .LBB288_489
; %bb.209:
	s_or_saveexec_b64 s[26:27], s[26:27]
	v_mov_b32_e32 v5, 0x7f800001
	s_xor_b64 exec, exec, s[26:27]
	s_cbranch_execnz .LBB288_492
.LBB288_210:
	s_or_b64 exec, exec, s[26:27]
	s_and_saveexec_b64 s[26:27], s[24:25]
	s_cbranch_execz .LBB288_212
.LBB288_211:
	v_and_b32_e32 v17, 7, v2
	v_ffbh_u32_e32 v18, v17
	v_min_u32_e32 v18, 32, v18
	v_lshrrev_b16_e32 v16, 3, v2
	v_subrev_u32_e32 v19, 28, v18
	v_and_b32_e32 v16, 15, v16
	v_lshlrev_b32_e32 v19, v19, v2
	v_sub_u32_e32 v18, 29, v18
	v_and_b32_e32 v19, 7, v19
	v_cmp_eq_u32_e32 vcc, 0, v16
	v_lshlrev_b32_e32 v5, 24, v2
	v_cndmask_b32_e32 v16, v16, v18, vcc
	v_cndmask_b32_e32 v17, v17, v19, vcc
	v_mov_b32_e32 v18, 0x3b800000
	v_lshlrev_b32_e32 v17, 20, v17
	v_and_b32_e32 v5, 0x80000000, v5
	v_lshl_add_u32 v16, v16, 23, v18
	v_or3_b32 v5, v5, v16, v17
.LBB288_212:
	s_or_b64 exec, exec, s[26:27]
	v_cmp_eq_f32_e64 s[24:25], v1, v5
	s_and_b64 vcc, exec, s[4:5]
	s_cbranch_vccz .LBB288_64
.LBB288_213:
                                        ; implicit-def: $sgpr26_sgpr27
	s_cbranch_execz .LBB288_73
; %bb.214:
	s_movk_i32 s26, 0x7f
	v_cmp_gt_i16_sdwa s[28:29], v15, s26 src0_sel:BYTE_0 src1_sel:DWORD
	s_mov_b64 s[26:27], 0
	s_and_saveexec_b64 s[30:31], s[28:29]
	s_xor_b64 s[28:29], exec, s[30:31]
	s_cbranch_execnz .LBB288_493
; %bb.215:
	s_or_saveexec_b64 s[28:29], s[28:29]
	v_mov_b32_e32 v1, 0x7f800001
	s_xor_b64 exec, exec, s[28:29]
	s_cbranch_execnz .LBB288_496
.LBB288_216:
	s_or_b64 exec, exec, s[28:29]
	s_and_saveexec_b64 s[28:29], s[26:27]
	s_cbranch_execz .LBB288_218
.LBB288_217:
	v_and_b32_e32 v16, 7, v15
	v_ffbh_u32_e32 v17, v16
	v_min_u32_e32 v17, 32, v17
	v_lshrrev_b16_e32 v5, 3, v15
	v_subrev_u32_e32 v18, 28, v17
	v_lshlrev_b32_e32 v1, 24, v15
	v_and_b32_e32 v5, 15, v5
	v_lshlrev_b32_e32 v15, v18, v15
	v_sub_u32_e32 v17, 29, v17
	v_and_b32_e32 v15, 7, v15
	v_cmp_eq_u32_e32 vcc, 0, v5
	v_cndmask_b32_e32 v5, v5, v17, vcc
	v_cndmask_b32_e32 v15, v16, v15, vcc
	v_mov_b32_e32 v16, 0x3b800000
	v_lshlrev_b32_e32 v15, 20, v15
	v_and_b32_e32 v1, 0x80000000, v1
	v_lshl_add_u32 v5, v5, 23, v16
	v_or3_b32 v1, v1, v5, v15
.LBB288_218:
	s_or_b64 exec, exec, s[28:29]
	s_movk_i32 s26, 0x7f
	v_cmp_gt_i16_sdwa s[28:29], v14, s26 src0_sel:BYTE_0 src1_sel:DWORD
	s_mov_b64 s[26:27], 0
	s_and_saveexec_b64 s[30:31], s[28:29]
	s_xor_b64 s[28:29], exec, s[30:31]
	s_cbranch_execnz .LBB288_497
; %bb.219:
	s_or_saveexec_b64 s[28:29], s[28:29]
	v_mov_b32_e32 v5, 0x7f800001
	s_xor_b64 exec, exec, s[28:29]
	s_cbranch_execnz .LBB288_500
.LBB288_220:
	s_or_b64 exec, exec, s[28:29]
	s_and_saveexec_b64 s[28:29], s[26:27]
	s_cbranch_execz .LBB288_222
.LBB288_221:
	v_and_b32_e32 v16, 7, v14
	v_ffbh_u32_e32 v17, v16
	v_min_u32_e32 v17, 32, v17
	v_lshrrev_b16_e32 v15, 3, v14
	v_subrev_u32_e32 v18, 28, v17
	v_lshlrev_b32_e32 v5, 24, v14
	v_and_b32_e32 v15, 15, v15
	v_lshlrev_b32_e32 v14, v18, v14
	v_sub_u32_e32 v17, 29, v17
	v_and_b32_e32 v14, 7, v14
	v_cmp_eq_u32_e32 vcc, 0, v15
	v_cndmask_b32_e32 v15, v15, v17, vcc
	v_cndmask_b32_e32 v14, v16, v14, vcc
	v_mov_b32_e32 v16, 0x3b800000
	v_lshlrev_b32_e32 v14, 20, v14
	v_and_b32_e32 v5, 0x80000000, v5
	v_lshl_add_u32 v15, v15, 23, v16
	v_or3_b32 v5, v5, v15, v14
.LBB288_222:
	s_or_b64 exec, exec, s[28:29]
	v_cmp_eq_f32_e64 s[26:27], v1, v5
	s_and_b64 vcc, exec, s[4:5]
	s_cbranch_vccz .LBB288_74
.LBB288_223:
                                        ; implicit-def: $sgpr28_sgpr29
	s_cbranch_execz .LBB288_83
; %bb.224:
	s_movk_i32 s28, 0xff
	v_and_b32_sdwa v5, v6, s28 dst_sel:DWORD dst_unused:UNUSED_PAD src0_sel:WORD_1 src1_sel:DWORD
	s_movk_i32 s28, 0x7f
	v_cmp_lt_i16_e32 vcc, s28, v5
	s_mov_b64 s[28:29], 0
	s_and_saveexec_b64 s[30:31], vcc
	s_xor_b64 s[30:31], exec, s[30:31]
	s_cbranch_execnz .LBB288_501
; %bb.225:
	s_or_saveexec_b64 s[30:31], s[30:31]
	v_mov_b32_e32 v1, 0x7f800001
	s_xor_b64 exec, exec, s[30:31]
	s_cbranch_execnz .LBB288_504
.LBB288_226:
	s_or_b64 exec, exec, s[30:31]
	s_and_saveexec_b64 s[30:31], s[28:29]
	s_cbranch_execz .LBB288_228
.LBB288_227:
	v_mov_b32_e32 v14, 7
	v_and_b32_sdwa v14, v6, v14 dst_sel:DWORD dst_unused:UNUSED_PAD src0_sel:WORD_1 src1_sel:DWORD
	v_ffbh_u32_e32 v15, v14
	v_mov_b32_e32 v5, 3
	v_min_u32_e32 v15, 32, v15
	v_lshrrev_b16_sdwa v5, v5, v6 dst_sel:DWORD dst_unused:UNUSED_PAD src0_sel:DWORD src1_sel:WORD_1
	v_subrev_u32_e32 v16, 28, v15
	v_and_b32_e32 v5, 15, v5
	v_lshlrev_b32_sdwa v16, v16, v6 dst_sel:DWORD dst_unused:UNUSED_PAD src0_sel:DWORD src1_sel:WORD_1
	v_mov_b32_e32 v1, 24
	v_sub_u32_e32 v15, 29, v15
	v_and_b32_e32 v16, 7, v16
	v_cmp_eq_u32_e32 vcc, 0, v5
	v_lshlrev_b32_sdwa v1, v1, v6 dst_sel:DWORD dst_unused:UNUSED_PAD src0_sel:DWORD src1_sel:WORD_1
	v_cndmask_b32_e32 v5, v5, v15, vcc
	v_cndmask_b32_e32 v14, v14, v16, vcc
	v_mov_b32_e32 v15, 0x3b800000
	v_lshlrev_b32_e32 v14, 20, v14
	v_and_b32_e32 v1, 0x80000000, v1
	v_lshl_add_u32 v5, v5, 23, v15
	v_or3_b32 v1, v1, v5, v14
.LBB288_228:
	s_or_b64 exec, exec, s[30:31]
	s_movk_i32 s28, 0xff
	v_and_b32_sdwa v5, v2, s28 dst_sel:DWORD dst_unused:UNUSED_PAD src0_sel:WORD_1 src1_sel:DWORD
	s_movk_i32 s28, 0x7f
	v_cmp_lt_i16_e32 vcc, s28, v5
	s_mov_b64 s[28:29], 0
	s_and_saveexec_b64 s[30:31], vcc
	s_xor_b64 s[30:31], exec, s[30:31]
	s_cbranch_execnz .LBB288_505
; %bb.229:
	s_or_saveexec_b64 s[30:31], s[30:31]
	v_mov_b32_e32 v14, 0x7f800001
	s_xor_b64 exec, exec, s[30:31]
	s_cbranch_execnz .LBB288_508
.LBB288_230:
	s_or_b64 exec, exec, s[30:31]
	s_and_saveexec_b64 s[30:31], s[28:29]
	s_cbranch_execz .LBB288_232
.LBB288_231:
	v_mov_b32_e32 v15, 7
	v_and_b32_sdwa v15, v2, v15 dst_sel:DWORD dst_unused:UNUSED_PAD src0_sel:WORD_1 src1_sel:DWORD
	v_ffbh_u32_e32 v16, v15
	v_mov_b32_e32 v14, 3
	v_min_u32_e32 v16, 32, v16
	v_lshrrev_b16_sdwa v14, v14, v2 dst_sel:DWORD dst_unused:UNUSED_PAD src0_sel:DWORD src1_sel:WORD_1
	v_subrev_u32_e32 v17, 28, v16
	v_and_b32_e32 v14, 15, v14
	v_lshlrev_b32_sdwa v17, v17, v2 dst_sel:DWORD dst_unused:UNUSED_PAD src0_sel:DWORD src1_sel:WORD_1
	v_mov_b32_e32 v5, 24
	v_sub_u32_e32 v16, 29, v16
	v_and_b32_e32 v17, 7, v17
	v_cmp_eq_u32_e32 vcc, 0, v14
	v_lshlrev_b32_sdwa v5, v5, v2 dst_sel:DWORD dst_unused:UNUSED_PAD src0_sel:DWORD src1_sel:WORD_1
	v_cndmask_b32_e32 v14, v14, v16, vcc
	v_cndmask_b32_e32 v15, v15, v17, vcc
	v_mov_b32_e32 v16, 0x3b800000
	v_lshlrev_b32_e32 v15, 20, v15
	v_and_b32_e32 v5, 0x80000000, v5
	v_lshl_add_u32 v14, v14, 23, v16
	v_or3_b32 v14, v5, v14, v15
.LBB288_232:
	s_or_b64 exec, exec, s[30:31]
	v_cmp_eq_f32_e64 s[28:29], v1, v14
	s_and_b64 vcc, exec, s[4:5]
	s_cbranch_vccz .LBB288_84
.LBB288_233:
                                        ; implicit-def: $sgpr30_sgpr31
	s_cbranch_execz .LBB288_93
; %bb.234:
	s_movk_i32 s30, 0x7f
	v_cmp_gt_i16_sdwa s[34:35], v6, s30 src0_sel:BYTE_3 src1_sel:DWORD
	s_mov_b64 s[30:31], 0
	s_and_saveexec_b64 s[36:37], s[34:35]
	s_xor_b64 s[34:35], exec, s[36:37]
	s_cbranch_execnz .LBB288_509
; %bb.235:
	s_or_saveexec_b64 s[34:35], s[34:35]
	v_mov_b32_e32 v1, 0x7f800001
	s_xor_b64 exec, exec, s[34:35]
	s_cbranch_execnz .LBB288_512
.LBB288_236:
	s_or_b64 exec, exec, s[34:35]
	s_and_saveexec_b64 s[34:35], s[30:31]
	s_cbranch_execz .LBB288_238
.LBB288_237:
	s_mov_b32 s30, 0xffff
	v_mov_b32_e32 v1, 24
	v_and_b32_sdwa v5, s30, v6 dst_sel:DWORD dst_unused:UNUSED_PAD src0_sel:DWORD src1_sel:BYTE_3
	v_lshlrev_b32_sdwa v1, v1, v6 dst_sel:DWORD dst_unused:UNUSED_PAD src0_sel:DWORD src1_sel:BYTE_3
	v_and_b32_e32 v6, 7, v5
	v_ffbh_u32_e32 v15, v6
	v_min_u32_e32 v15, 32, v15
	v_subrev_u32_e32 v16, 28, v15
	v_bfe_u32 v14, v5, 3, 4
	v_lshlrev_b32_e32 v5, v16, v5
	v_sub_u32_e32 v15, 29, v15
	v_and_b32_e32 v5, 7, v5
	v_cmp_eq_u32_e32 vcc, 0, v14
	v_cndmask_b32_e32 v14, v14, v15, vcc
	v_cndmask_b32_e32 v5, v6, v5, vcc
	v_mov_b32_e32 v6, 0x3b800000
	v_lshlrev_b32_e32 v5, 20, v5
	v_and_b32_e32 v1, 0x80000000, v1
	v_lshl_add_u32 v6, v14, 23, v6
	v_or3_b32 v1, v1, v6, v5
.LBB288_238:
	s_or_b64 exec, exec, s[34:35]
	s_movk_i32 s30, 0x7f
	v_cmp_gt_i16_sdwa s[34:35], v2, s30 src0_sel:BYTE_3 src1_sel:DWORD
	s_mov_b64 s[30:31], 0
	s_and_saveexec_b64 s[36:37], s[34:35]
	s_xor_b64 s[34:35], exec, s[36:37]
	s_cbranch_execnz .LBB288_513
; %bb.239:
	s_or_saveexec_b64 s[34:35], s[34:35]
	v_mov_b32_e32 v5, 0x7f800001
	s_xor_b64 exec, exec, s[34:35]
	s_cbranch_execnz .LBB288_516
.LBB288_240:
	s_or_b64 exec, exec, s[34:35]
	s_and_saveexec_b64 s[34:35], s[30:31]
	s_cbranch_execz .LBB288_242
.LBB288_241:
	v_mov_b32_e32 v5, 24
	s_mov_b32 s30, 0xffff
	v_lshlrev_b32_sdwa v5, v5, v2 dst_sel:DWORD dst_unused:UNUSED_PAD src0_sel:DWORD src1_sel:BYTE_3
	v_and_b32_sdwa v2, s30, v2 dst_sel:DWORD dst_unused:UNUSED_PAD src0_sel:DWORD src1_sel:BYTE_3
	v_and_b32_e32 v6, 7, v2
	v_ffbh_u32_e32 v15, v6
	v_min_u32_e32 v15, 32, v15
	v_subrev_u32_e32 v16, 28, v15
	v_bfe_u32 v14, v2, 3, 4
	v_lshlrev_b32_e32 v2, v16, v2
	v_sub_u32_e32 v15, 29, v15
	v_and_b32_e32 v2, 7, v2
	v_cmp_eq_u32_e32 vcc, 0, v14
	v_cndmask_b32_e32 v14, v14, v15, vcc
	v_cndmask_b32_e32 v2, v6, v2, vcc
	v_mov_b32_e32 v6, 0x3b800000
	v_lshlrev_b32_e32 v2, 20, v2
	v_and_b32_e32 v5, 0x80000000, v5
	v_lshl_add_u32 v6, v14, 23, v6
	v_or3_b32 v5, v5, v6, v2
.LBB288_242:
	s_or_b64 exec, exec, s[34:35]
	v_cmp_eq_f32_e64 s[30:31], v1, v5
	s_and_b64 vcc, exec, s[4:5]
	s_cbranch_vccz .LBB288_94
.LBB288_243:
                                        ; implicit-def: $sgpr34_sgpr35
	s_cbranch_execz .LBB288_103
; %bb.244:
	s_movk_i32 s34, 0x7f
	v_cmp_gt_i16_sdwa s[36:37], v7, s34 src0_sel:BYTE_0 src1_sel:DWORD
	s_mov_b64 s[34:35], 0
	s_and_saveexec_b64 s[38:39], s[36:37]
	s_xor_b64 s[36:37], exec, s[38:39]
	s_cbranch_execnz .LBB288_517
; %bb.245:
	s_or_saveexec_b64 s[36:37], s[36:37]
	v_mov_b32_e32 v1, 0x7f800001
	s_xor_b64 exec, exec, s[36:37]
	s_cbranch_execnz .LBB288_520
.LBB288_246:
	s_or_b64 exec, exec, s[36:37]
	s_and_saveexec_b64 s[36:37], s[34:35]
	s_cbranch_execz .LBB288_248
.LBB288_247:
	v_and_b32_e32 v5, 7, v7
	v_ffbh_u32_e32 v6, v5
	v_min_u32_e32 v6, 32, v6
	v_lshrrev_b16_e32 v2, 3, v7
	v_subrev_u32_e32 v14, 28, v6
	v_and_b32_e32 v2, 15, v2
	v_lshlrev_b32_e32 v14, v14, v7
	v_sub_u32_e32 v6, 29, v6
	v_and_b32_e32 v14, 7, v14
	v_cmp_eq_u32_e32 vcc, 0, v2
	v_lshlrev_b32_e32 v1, 24, v7
	v_cndmask_b32_e32 v2, v2, v6, vcc
	v_cndmask_b32_e32 v5, v5, v14, vcc
	v_mov_b32_e32 v6, 0x3b800000
	v_lshlrev_b32_e32 v5, 20, v5
	v_and_b32_e32 v1, 0x80000000, v1
	v_lshl_add_u32 v2, v2, 23, v6
	v_or3_b32 v1, v1, v2, v5
.LBB288_248:
	s_or_b64 exec, exec, s[36:37]
	s_movk_i32 s34, 0x7f
	v_cmp_gt_i16_sdwa s[36:37], v3, s34 src0_sel:BYTE_0 src1_sel:DWORD
	s_mov_b64 s[34:35], 0
	s_and_saveexec_b64 s[38:39], s[36:37]
	s_xor_b64 s[36:37], exec, s[38:39]
	s_cbranch_execnz .LBB288_521
; %bb.249:
	s_or_saveexec_b64 s[36:37], s[36:37]
	v_mov_b32_e32 v2, 0x7f800001
	s_xor_b64 exec, exec, s[36:37]
	s_cbranch_execnz .LBB288_524
.LBB288_250:
	s_or_b64 exec, exec, s[36:37]
	s_and_saveexec_b64 s[36:37], s[34:35]
	s_cbranch_execz .LBB288_252
.LBB288_251:
	v_and_b32_e32 v6, 7, v3
	v_ffbh_u32_e32 v14, v6
	v_min_u32_e32 v14, 32, v14
	v_lshrrev_b16_e32 v5, 3, v3
	v_subrev_u32_e32 v15, 28, v14
	v_and_b32_e32 v5, 15, v5
	v_lshlrev_b32_e32 v15, v15, v3
	v_sub_u32_e32 v14, 29, v14
	v_and_b32_e32 v15, 7, v15
	v_cmp_eq_u32_e32 vcc, 0, v5
	v_lshlrev_b32_e32 v2, 24, v3
	v_cndmask_b32_e32 v5, v5, v14, vcc
	v_cndmask_b32_e32 v6, v6, v15, vcc
	v_mov_b32_e32 v14, 0x3b800000
	v_lshlrev_b32_e32 v6, 20, v6
	v_and_b32_e32 v2, 0x80000000, v2
	v_lshl_add_u32 v5, v5, 23, v14
	v_or3_b32 v2, v2, v5, v6
.LBB288_252:
	s_or_b64 exec, exec, s[36:37]
	v_cmp_eq_f32_e64 s[34:35], v1, v2
	s_and_b64 vcc, exec, s[4:5]
	s_cbranch_vccz .LBB288_104
.LBB288_253:
                                        ; implicit-def: $sgpr36_sgpr37
	s_cbranch_execz .LBB288_113
; %bb.254:
	s_movk_i32 s36, 0x7f
	v_cmp_gt_i16_sdwa s[38:39], v13, s36 src0_sel:BYTE_0 src1_sel:DWORD
	s_mov_b64 s[36:37], 0
	s_and_saveexec_b64 s[40:41], s[38:39]
	s_xor_b64 s[38:39], exec, s[40:41]
	s_cbranch_execnz .LBB288_525
; %bb.255:
	s_or_saveexec_b64 s[38:39], s[38:39]
	v_mov_b32_e32 v1, 0x7f800001
	s_xor_b64 exec, exec, s[38:39]
	s_cbranch_execnz .LBB288_528
.LBB288_256:
	s_or_b64 exec, exec, s[38:39]
	s_and_saveexec_b64 s[38:39], s[36:37]
	s_cbranch_execz .LBB288_258
.LBB288_257:
	v_and_b32_e32 v5, 7, v13
	v_ffbh_u32_e32 v6, v5
	v_min_u32_e32 v6, 32, v6
	v_lshrrev_b16_e32 v2, 3, v13
	v_subrev_u32_e32 v14, 28, v6
	v_lshlrev_b32_e32 v1, 24, v13
	v_and_b32_e32 v2, 15, v2
	v_lshlrev_b32_e32 v13, v14, v13
	v_sub_u32_e32 v6, 29, v6
	v_and_b32_e32 v13, 7, v13
	v_cmp_eq_u32_e32 vcc, 0, v2
	v_cndmask_b32_e32 v2, v2, v6, vcc
	v_cndmask_b32_e32 v5, v5, v13, vcc
	v_mov_b32_e32 v6, 0x3b800000
	v_lshlrev_b32_e32 v5, 20, v5
	v_and_b32_e32 v1, 0x80000000, v1
	v_lshl_add_u32 v2, v2, 23, v6
	v_or3_b32 v1, v1, v2, v5
.LBB288_258:
	s_or_b64 exec, exec, s[38:39]
	s_movk_i32 s36, 0x7f
	v_cmp_gt_i16_sdwa s[38:39], v12, s36 src0_sel:BYTE_0 src1_sel:DWORD
	s_mov_b64 s[36:37], 0
	s_and_saveexec_b64 s[40:41], s[38:39]
	s_xor_b64 s[38:39], exec, s[40:41]
	s_cbranch_execnz .LBB288_529
; %bb.259:
	s_or_saveexec_b64 s[38:39], s[38:39]
	v_mov_b32_e32 v2, 0x7f800001
	s_xor_b64 exec, exec, s[38:39]
	s_cbranch_execnz .LBB288_532
.LBB288_260:
	s_or_b64 exec, exec, s[38:39]
	s_and_saveexec_b64 s[38:39], s[36:37]
	s_cbranch_execz .LBB288_262
.LBB288_261:
	v_and_b32_e32 v6, 7, v12
	v_ffbh_u32_e32 v13, v6
	v_min_u32_e32 v13, 32, v13
	v_lshrrev_b16_e32 v5, 3, v12
	v_subrev_u32_e32 v14, 28, v13
	v_lshlrev_b32_e32 v2, 24, v12
	v_and_b32_e32 v5, 15, v5
	v_lshlrev_b32_e32 v12, v14, v12
	v_sub_u32_e32 v13, 29, v13
	v_and_b32_e32 v12, 7, v12
	v_cmp_eq_u32_e32 vcc, 0, v5
	v_cndmask_b32_e32 v5, v5, v13, vcc
	v_cndmask_b32_e32 v6, v6, v12, vcc
	v_mov_b32_e32 v12, 0x3b800000
	v_lshlrev_b32_e32 v6, 20, v6
	v_and_b32_e32 v2, 0x80000000, v2
	v_lshl_add_u32 v5, v5, 23, v12
	v_or3_b32 v2, v2, v5, v6
.LBB288_262:
	s_or_b64 exec, exec, s[38:39]
	v_cmp_eq_f32_e64 s[36:37], v1, v2
	s_and_b64 vcc, exec, s[4:5]
	s_cbranch_vccz .LBB288_114
.LBB288_263:
                                        ; implicit-def: $sgpr38_sgpr39
	s_cbranch_execz .LBB288_123
; %bb.264:
	s_movk_i32 s38, 0xff
	v_and_b32_sdwa v2, v7, s38 dst_sel:DWORD dst_unused:UNUSED_PAD src0_sel:WORD_1 src1_sel:DWORD
	s_movk_i32 s38, 0x7f
	v_cmp_lt_i16_e32 vcc, s38, v2
	s_mov_b64 s[38:39], 0
	s_and_saveexec_b64 s[40:41], vcc
	s_xor_b64 s[40:41], exec, s[40:41]
	s_cbranch_execnz .LBB288_533
; %bb.265:
	s_or_saveexec_b64 s[40:41], s[40:41]
	v_mov_b32_e32 v1, 0x7f800001
	s_xor_b64 exec, exec, s[40:41]
	s_cbranch_execnz .LBB288_536
.LBB288_266:
	s_or_b64 exec, exec, s[40:41]
	s_and_saveexec_b64 s[40:41], s[38:39]
	s_cbranch_execz .LBB288_268
.LBB288_267:
	v_mov_b32_e32 v5, 7
	v_and_b32_sdwa v5, v7, v5 dst_sel:DWORD dst_unused:UNUSED_PAD src0_sel:WORD_1 src1_sel:DWORD
	v_ffbh_u32_e32 v6, v5
	v_mov_b32_e32 v2, 3
	v_min_u32_e32 v6, 32, v6
	v_lshrrev_b16_sdwa v2, v2, v7 dst_sel:DWORD dst_unused:UNUSED_PAD src0_sel:DWORD src1_sel:WORD_1
	v_subrev_u32_e32 v12, 28, v6
	v_and_b32_e32 v2, 15, v2
	v_lshlrev_b32_sdwa v12, v12, v7 dst_sel:DWORD dst_unused:UNUSED_PAD src0_sel:DWORD src1_sel:WORD_1
	v_mov_b32_e32 v1, 24
	v_sub_u32_e32 v6, 29, v6
	v_and_b32_e32 v12, 7, v12
	v_cmp_eq_u32_e32 vcc, 0, v2
	v_lshlrev_b32_sdwa v1, v1, v7 dst_sel:DWORD dst_unused:UNUSED_PAD src0_sel:DWORD src1_sel:WORD_1
	v_cndmask_b32_e32 v2, v2, v6, vcc
	v_cndmask_b32_e32 v5, v5, v12, vcc
	v_mov_b32_e32 v6, 0x3b800000
	v_lshlrev_b32_e32 v5, 20, v5
	v_and_b32_e32 v1, 0x80000000, v1
	v_lshl_add_u32 v2, v2, 23, v6
	v_or3_b32 v1, v1, v2, v5
.LBB288_268:
	s_or_b64 exec, exec, s[40:41]
	s_movk_i32 s38, 0xff
	v_and_b32_sdwa v2, v3, s38 dst_sel:DWORD dst_unused:UNUSED_PAD src0_sel:WORD_1 src1_sel:DWORD
	s_movk_i32 s38, 0x7f
	v_cmp_lt_i16_e32 vcc, s38, v2
	s_mov_b64 s[38:39], 0
	s_and_saveexec_b64 s[40:41], vcc
	s_xor_b64 s[40:41], exec, s[40:41]
	s_cbranch_execnz .LBB288_537
; %bb.269:
	s_or_saveexec_b64 s[40:41], s[40:41]
	v_mov_b32_e32 v5, 0x7f800001
	s_xor_b64 exec, exec, s[40:41]
	s_cbranch_execnz .LBB288_540
.LBB288_270:
	s_or_b64 exec, exec, s[40:41]
	s_and_saveexec_b64 s[40:41], s[38:39]
	s_cbranch_execz .LBB288_272
.LBB288_271:
	v_mov_b32_e32 v6, 7
	v_and_b32_sdwa v6, v3, v6 dst_sel:DWORD dst_unused:UNUSED_PAD src0_sel:WORD_1 src1_sel:DWORD
	v_ffbh_u32_e32 v12, v6
	v_mov_b32_e32 v5, 3
	v_min_u32_e32 v12, 32, v12
	v_lshrrev_b16_sdwa v5, v5, v3 dst_sel:DWORD dst_unused:UNUSED_PAD src0_sel:DWORD src1_sel:WORD_1
	v_subrev_u32_e32 v13, 28, v12
	v_and_b32_e32 v5, 15, v5
	v_lshlrev_b32_sdwa v13, v13, v3 dst_sel:DWORD dst_unused:UNUSED_PAD src0_sel:DWORD src1_sel:WORD_1
	v_mov_b32_e32 v2, 24
	v_sub_u32_e32 v12, 29, v12
	v_and_b32_e32 v13, 7, v13
	v_cmp_eq_u32_e32 vcc, 0, v5
	v_lshlrev_b32_sdwa v2, v2, v3 dst_sel:DWORD dst_unused:UNUSED_PAD src0_sel:DWORD src1_sel:WORD_1
	v_cndmask_b32_e32 v5, v5, v12, vcc
	v_cndmask_b32_e32 v6, v6, v13, vcc
	v_mov_b32_e32 v12, 0x3b800000
	v_lshlrev_b32_e32 v6, 20, v6
	v_and_b32_e32 v2, 0x80000000, v2
	v_lshl_add_u32 v5, v5, 23, v12
	v_or3_b32 v5, v2, v5, v6
.LBB288_272:
	s_or_b64 exec, exec, s[40:41]
	v_cmp_eq_f32_e64 s[38:39], v1, v5
	s_and_b64 vcc, exec, s[4:5]
	s_cbranch_vccz .LBB288_124
.LBB288_273:
                                        ; implicit-def: $sgpr40_sgpr41
	s_cbranch_execz .LBB288_133
; %bb.274:
	s_movk_i32 s40, 0x7f
	v_cmp_gt_i16_sdwa s[42:43], v7, s40 src0_sel:BYTE_3 src1_sel:DWORD
	s_mov_b64 s[40:41], 0
	s_and_saveexec_b64 s[44:45], s[42:43]
	s_xor_b64 s[42:43], exec, s[44:45]
	s_cbranch_execnz .LBB288_541
; %bb.275:
	s_or_saveexec_b64 s[42:43], s[42:43]
	v_mov_b32_e32 v1, 0x7f800001
	s_xor_b64 exec, exec, s[42:43]
	s_cbranch_execnz .LBB288_544
.LBB288_276:
	s_or_b64 exec, exec, s[42:43]
	s_and_saveexec_b64 s[42:43], s[40:41]
	s_cbranch_execz .LBB288_278
.LBB288_277:
	s_mov_b32 s40, 0xffff
	v_and_b32_sdwa v2, s40, v7 dst_sel:DWORD dst_unused:UNUSED_PAD src0_sel:DWORD src1_sel:BYTE_3
	v_mov_b32_e32 v1, 24
	v_and_b32_e32 v5, 7, v2
	v_lshlrev_b32_sdwa v1, v1, v7 dst_sel:DWORD dst_unused:UNUSED_PAD src0_sel:DWORD src1_sel:BYTE_3
	v_ffbh_u32_e32 v7, v5
	v_min_u32_e32 v7, 32, v7
	v_subrev_u32_e32 v12, 28, v7
	v_bfe_u32 v6, v2, 3, 4
	v_lshlrev_b32_e32 v2, v12, v2
	v_sub_u32_e32 v7, 29, v7
	v_and_b32_e32 v2, 7, v2
	v_cmp_eq_u32_e32 vcc, 0, v6
	v_cndmask_b32_e32 v6, v6, v7, vcc
	v_cndmask_b32_e32 v2, v5, v2, vcc
	v_mov_b32_e32 v5, 0x3b800000
	v_lshlrev_b32_e32 v2, 20, v2
	v_and_b32_e32 v1, 0x80000000, v1
	v_lshl_add_u32 v5, v6, 23, v5
	v_or3_b32 v1, v1, v5, v2
.LBB288_278:
	s_or_b64 exec, exec, s[42:43]
	s_movk_i32 s40, 0x7f
	v_cmp_gt_i16_sdwa s[42:43], v3, s40 src0_sel:BYTE_3 src1_sel:DWORD
	s_mov_b64 s[40:41], 0
	s_and_saveexec_b64 s[44:45], s[42:43]
	s_xor_b64 s[42:43], exec, s[44:45]
	s_cbranch_execnz .LBB288_545
; %bb.279:
	s_or_saveexec_b64 s[42:43], s[42:43]
	v_mov_b32_e32 v2, 0x7f800001
	s_xor_b64 exec, exec, s[42:43]
	s_cbranch_execnz .LBB288_548
.LBB288_280:
	s_or_b64 exec, exec, s[42:43]
	s_and_saveexec_b64 s[42:43], s[40:41]
	s_cbranch_execz .LBB288_282
.LBB288_281:
	v_mov_b32_e32 v2, 24
	s_mov_b32 s40, 0xffff
	v_lshlrev_b32_sdwa v2, v2, v3 dst_sel:DWORD dst_unused:UNUSED_PAD src0_sel:DWORD src1_sel:BYTE_3
	v_and_b32_sdwa v3, s40, v3 dst_sel:DWORD dst_unused:UNUSED_PAD src0_sel:DWORD src1_sel:BYTE_3
	v_and_b32_e32 v5, 7, v3
	v_ffbh_u32_e32 v7, v5
	v_min_u32_e32 v7, 32, v7
	v_subrev_u32_e32 v12, 28, v7
	v_bfe_u32 v6, v3, 3, 4
	v_lshlrev_b32_e32 v3, v12, v3
	v_sub_u32_e32 v7, 29, v7
	v_and_b32_e32 v3, 7, v3
	v_cmp_eq_u32_e32 vcc, 0, v6
	v_cndmask_b32_e32 v6, v6, v7, vcc
	v_cndmask_b32_e32 v3, v5, v3, vcc
	v_mov_b32_e32 v5, 0x3b800000
	v_lshlrev_b32_e32 v3, 20, v3
	v_and_b32_e32 v2, 0x80000000, v2
	v_lshl_add_u32 v5, v6, 23, v5
	v_or3_b32 v2, v2, v5, v3
.LBB288_282:
	s_or_b64 exec, exec, s[42:43]
	v_cmp_eq_f32_e64 s[40:41], v1, v2
	s_and_b64 vcc, exec, s[4:5]
	s_cbranch_vccz .LBB288_134
.LBB288_283:
                                        ; implicit-def: $sgpr42_sgpr43
	s_cbranch_execz .LBB288_143
; %bb.284:
	s_movk_i32 s42, 0x7f
	v_cmp_gt_i16_sdwa s[44:45], v8, s42 src0_sel:BYTE_0 src1_sel:DWORD
	s_mov_b64 s[42:43], 0
	s_and_saveexec_b64 s[46:47], s[44:45]
	s_xor_b64 s[44:45], exec, s[46:47]
	s_cbranch_execnz .LBB288_549
; %bb.285:
	s_or_saveexec_b64 s[44:45], s[44:45]
	v_mov_b32_e32 v1, 0x7f800001
	s_xor_b64 exec, exec, s[44:45]
	s_cbranch_execnz .LBB288_552
.LBB288_286:
	s_or_b64 exec, exec, s[44:45]
	s_and_saveexec_b64 s[44:45], s[42:43]
	s_cbranch_execz .LBB288_288
.LBB288_287:
	v_and_b32_e32 v3, 7, v8
	v_ffbh_u32_e32 v5, v3
	v_min_u32_e32 v5, 32, v5
	v_lshrrev_b16_e32 v2, 3, v8
	v_subrev_u32_e32 v6, 28, v5
	v_and_b32_e32 v2, 15, v2
	v_lshlrev_b32_e32 v6, v6, v8
	v_sub_u32_e32 v5, 29, v5
	v_and_b32_e32 v6, 7, v6
	v_cmp_eq_u32_e32 vcc, 0, v2
	v_lshlrev_b32_e32 v1, 24, v8
	v_cndmask_b32_e32 v2, v2, v5, vcc
	v_cndmask_b32_e32 v3, v3, v6, vcc
	v_mov_b32_e32 v5, 0x3b800000
	v_lshlrev_b32_e32 v3, 20, v3
	v_and_b32_e32 v1, 0x80000000, v1
	v_lshl_add_u32 v2, v2, 23, v5
	v_or3_b32 v1, v1, v2, v3
.LBB288_288:
	s_or_b64 exec, exec, s[44:45]
	s_movk_i32 s42, 0x7f
	v_cmp_gt_i16_sdwa s[44:45], v4, s42 src0_sel:BYTE_0 src1_sel:DWORD
	s_mov_b64 s[42:43], 0
	s_and_saveexec_b64 s[46:47], s[44:45]
	s_xor_b64 s[44:45], exec, s[46:47]
	s_cbranch_execnz .LBB288_553
; %bb.289:
	s_or_saveexec_b64 s[44:45], s[44:45]
	v_mov_b32_e32 v2, 0x7f800001
	s_xor_b64 exec, exec, s[44:45]
	s_cbranch_execnz .LBB288_556
.LBB288_290:
	s_or_b64 exec, exec, s[44:45]
	s_and_saveexec_b64 s[44:45], s[42:43]
	s_cbranch_execz .LBB288_292
.LBB288_291:
	v_and_b32_e32 v5, 7, v4
	v_ffbh_u32_e32 v6, v5
	v_min_u32_e32 v6, 32, v6
	v_lshrrev_b16_e32 v3, 3, v4
	v_subrev_u32_e32 v7, 28, v6
	v_and_b32_e32 v3, 15, v3
	v_lshlrev_b32_e32 v7, v7, v4
	v_sub_u32_e32 v6, 29, v6
	v_and_b32_e32 v7, 7, v7
	v_cmp_eq_u32_e32 vcc, 0, v3
	v_lshlrev_b32_e32 v2, 24, v4
	v_cndmask_b32_e32 v3, v3, v6, vcc
	v_cndmask_b32_e32 v5, v5, v7, vcc
	v_mov_b32_e32 v6, 0x3b800000
	v_lshlrev_b32_e32 v5, 20, v5
	v_and_b32_e32 v2, 0x80000000, v2
	v_lshl_add_u32 v3, v3, 23, v6
	v_or3_b32 v2, v2, v3, v5
.LBB288_292:
	s_or_b64 exec, exec, s[44:45]
	v_cmp_eq_f32_e64 s[42:43], v1, v2
	s_and_b64 vcc, exec, s[4:5]
	s_cbranch_vccz .LBB288_144
.LBB288_293:
                                        ; implicit-def: $sgpr44_sgpr45
	s_cbranch_execz .LBB288_153
; %bb.294:
	s_movk_i32 s44, 0x7f
	v_cmp_gt_i16_sdwa s[46:47], v11, s44 src0_sel:BYTE_0 src1_sel:DWORD
	s_mov_b64 s[44:45], 0
	s_and_saveexec_b64 s[48:49], s[46:47]
	s_xor_b64 s[46:47], exec, s[48:49]
	s_cbranch_execnz .LBB288_557
; %bb.295:
	s_or_saveexec_b64 s[46:47], s[46:47]
	v_mov_b32_e32 v1, 0x7f800001
	s_xor_b64 exec, exec, s[46:47]
	s_cbranch_execnz .LBB288_560
.LBB288_296:
	s_or_b64 exec, exec, s[46:47]
	s_and_saveexec_b64 s[46:47], s[44:45]
	s_cbranch_execz .LBB288_298
.LBB288_297:
	v_and_b32_e32 v3, 7, v11
	v_ffbh_u32_e32 v5, v3
	v_min_u32_e32 v5, 32, v5
	v_lshrrev_b16_e32 v2, 3, v11
	v_subrev_u32_e32 v6, 28, v5
	v_and_b32_e32 v2, 15, v2
	v_lshlrev_b32_e32 v6, v6, v11
	v_sub_u32_e32 v5, 29, v5
	v_and_b32_e32 v6, 7, v6
	v_cmp_eq_u32_e32 vcc, 0, v2
	v_lshlrev_b32_e32 v1, 24, v11
	v_cndmask_b32_e32 v2, v2, v5, vcc
	v_cndmask_b32_e32 v3, v3, v6, vcc
	v_mov_b32_e32 v5, 0x3b800000
	v_lshlrev_b32_e32 v3, 20, v3
	v_and_b32_e32 v1, 0x80000000, v1
	v_lshl_add_u32 v2, v2, 23, v5
	v_or3_b32 v1, v1, v2, v3
.LBB288_298:
	s_or_b64 exec, exec, s[46:47]
	s_movk_i32 s44, 0x7f
	v_cmp_gt_i16_sdwa s[46:47], v10, s44 src0_sel:BYTE_0 src1_sel:DWORD
	s_mov_b64 s[44:45], 0
	s_and_saveexec_b64 s[48:49], s[46:47]
	s_xor_b64 s[46:47], exec, s[48:49]
	s_cbranch_execnz .LBB288_561
; %bb.299:
	s_or_saveexec_b64 s[46:47], s[46:47]
	v_mov_b32_e32 v2, 0x7f800001
	s_xor_b64 exec, exec, s[46:47]
	s_cbranch_execnz .LBB288_564
.LBB288_300:
	s_or_b64 exec, exec, s[46:47]
	s_and_saveexec_b64 s[46:47], s[44:45]
	s_cbranch_execz .LBB288_302
.LBB288_301:
	v_and_b32_e32 v5, 7, v10
	v_ffbh_u32_e32 v6, v5
	v_min_u32_e32 v6, 32, v6
	v_lshrrev_b16_e32 v3, 3, v10
	v_subrev_u32_e32 v7, 28, v6
	v_and_b32_e32 v3, 15, v3
	v_lshlrev_b32_e32 v7, v7, v10
	v_sub_u32_e32 v6, 29, v6
	v_and_b32_e32 v7, 7, v7
	v_cmp_eq_u32_e32 vcc, 0, v3
	v_lshlrev_b32_e32 v2, 24, v10
	v_cndmask_b32_e32 v3, v3, v6, vcc
	v_cndmask_b32_e32 v5, v5, v7, vcc
	v_mov_b32_e32 v6, 0x3b800000
	v_lshlrev_b32_e32 v5, 20, v5
	v_and_b32_e32 v2, 0x80000000, v2
	v_lshl_add_u32 v3, v3, 23, v6
	v_or3_b32 v2, v2, v3, v5
.LBB288_302:
	s_or_b64 exec, exec, s[46:47]
	v_cmp_eq_f32_e64 s[44:45], v1, v2
	s_and_b64 vcc, exec, s[4:5]
	s_cbranch_vccz .LBB288_154
.LBB288_303:
                                        ; implicit-def: $sgpr46_sgpr47
	s_cbranch_execz .LBB288_163
; %bb.304:
	s_movk_i32 s46, 0xff
	v_and_b32_sdwa v2, v8, s46 dst_sel:DWORD dst_unused:UNUSED_PAD src0_sel:WORD_1 src1_sel:DWORD
	s_movk_i32 s46, 0x7f
	v_cmp_lt_i16_e32 vcc, s46, v2
	s_mov_b64 s[46:47], 0
	s_and_saveexec_b64 s[48:49], vcc
	s_xor_b64 s[48:49], exec, s[48:49]
	s_cbranch_execnz .LBB288_565
; %bb.305:
	s_or_saveexec_b64 s[48:49], s[48:49]
	v_mov_b32_e32 v1, 0x7f800001
	s_xor_b64 exec, exec, s[48:49]
	s_cbranch_execnz .LBB288_568
.LBB288_306:
	s_or_b64 exec, exec, s[48:49]
	s_and_saveexec_b64 s[48:49], s[46:47]
	s_cbranch_execz .LBB288_308
.LBB288_307:
	v_mov_b32_e32 v3, 7
	v_and_b32_sdwa v3, v8, v3 dst_sel:DWORD dst_unused:UNUSED_PAD src0_sel:WORD_1 src1_sel:DWORD
	v_ffbh_u32_e32 v5, v3
	v_mov_b32_e32 v2, 3
	v_min_u32_e32 v5, 32, v5
	v_lshrrev_b16_sdwa v2, v2, v8 dst_sel:DWORD dst_unused:UNUSED_PAD src0_sel:DWORD src1_sel:WORD_1
	v_subrev_u32_e32 v6, 28, v5
	v_and_b32_e32 v2, 15, v2
	v_lshlrev_b32_sdwa v6, v6, v8 dst_sel:DWORD dst_unused:UNUSED_PAD src0_sel:DWORD src1_sel:WORD_1
	v_mov_b32_e32 v1, 24
	v_sub_u32_e32 v5, 29, v5
	v_and_b32_e32 v6, 7, v6
	v_cmp_eq_u32_e32 vcc, 0, v2
	v_lshlrev_b32_sdwa v1, v1, v8 dst_sel:DWORD dst_unused:UNUSED_PAD src0_sel:DWORD src1_sel:WORD_1
	v_cndmask_b32_e32 v2, v2, v5, vcc
	v_cndmask_b32_e32 v3, v3, v6, vcc
	v_mov_b32_e32 v5, 0x3b800000
	v_lshlrev_b32_e32 v3, 20, v3
	v_and_b32_e32 v1, 0x80000000, v1
	v_lshl_add_u32 v2, v2, 23, v5
	v_or3_b32 v1, v1, v2, v3
.LBB288_308:
	s_or_b64 exec, exec, s[48:49]
	s_movk_i32 s46, 0xff
	v_and_b32_sdwa v2, v4, s46 dst_sel:DWORD dst_unused:UNUSED_PAD src0_sel:WORD_1 src1_sel:DWORD
	s_movk_i32 s46, 0x7f
	v_cmp_lt_i16_e32 vcc, s46, v2
	s_mov_b64 s[46:47], 0
	s_and_saveexec_b64 s[48:49], vcc
	s_xor_b64 s[48:49], exec, s[48:49]
	s_cbranch_execnz .LBB288_569
; %bb.309:
	s_or_saveexec_b64 s[48:49], s[48:49]
	v_mov_b32_e32 v3, 0x7f800001
	s_xor_b64 exec, exec, s[48:49]
	s_cbranch_execnz .LBB288_572
.LBB288_310:
	s_or_b64 exec, exec, s[48:49]
	s_and_saveexec_b64 s[48:49], s[46:47]
	s_cbranch_execz .LBB288_312
.LBB288_311:
	v_mov_b32_e32 v5, 7
	v_and_b32_sdwa v5, v4, v5 dst_sel:DWORD dst_unused:UNUSED_PAD src0_sel:WORD_1 src1_sel:DWORD
	v_ffbh_u32_e32 v6, v5
	v_mov_b32_e32 v3, 3
	v_min_u32_e32 v6, 32, v6
	v_lshrrev_b16_sdwa v3, v3, v4 dst_sel:DWORD dst_unused:UNUSED_PAD src0_sel:DWORD src1_sel:WORD_1
	v_subrev_u32_e32 v7, 28, v6
	v_and_b32_e32 v3, 15, v3
	v_lshlrev_b32_sdwa v7, v7, v4 dst_sel:DWORD dst_unused:UNUSED_PAD src0_sel:DWORD src1_sel:WORD_1
	v_mov_b32_e32 v2, 24
	v_sub_u32_e32 v6, 29, v6
	v_and_b32_e32 v7, 7, v7
	v_cmp_eq_u32_e32 vcc, 0, v3
	v_lshlrev_b32_sdwa v2, v2, v4 dst_sel:DWORD dst_unused:UNUSED_PAD src0_sel:DWORD src1_sel:WORD_1
	v_cndmask_b32_e32 v3, v3, v6, vcc
	v_cndmask_b32_e32 v5, v5, v7, vcc
	v_mov_b32_e32 v6, 0x3b800000
	v_lshlrev_b32_e32 v5, 20, v5
	v_and_b32_e32 v2, 0x80000000, v2
	v_lshl_add_u32 v3, v3, 23, v6
	v_or3_b32 v3, v2, v3, v5
.LBB288_312:
	s_or_b64 exec, exec, s[48:49]
	v_cmp_eq_f32_e64 s[46:47], v1, v3
	s_and_b64 vcc, exec, s[4:5]
	s_cbranch_vccz .LBB288_164
.LBB288_313:
                                        ; implicit-def: $sgpr4_sgpr5
	s_cbranch_execz .LBB288_323
; %bb.314:
	s_movk_i32 s4, 0x7f
	v_cmp_gt_i16_sdwa s[48:49], v8, s4 src0_sel:BYTE_3 src1_sel:DWORD
	s_mov_b64 s[4:5], 0
	s_and_saveexec_b64 s[50:51], s[48:49]
	s_xor_b64 s[48:49], exec, s[50:51]
	s_cbranch_execnz .LBB288_573
; %bb.315:
	s_or_saveexec_b64 s[48:49], s[48:49]
	v_mov_b32_e32 v1, 0x7f800001
	s_xor_b64 exec, exec, s[48:49]
	s_cbranch_execnz .LBB288_576
.LBB288_316:
	s_or_b64 exec, exec, s[48:49]
	s_and_saveexec_b64 s[48:49], s[4:5]
	s_cbranch_execz .LBB288_318
.LBB288_317:
	s_mov_b32 s4, 0xffff
	v_and_b32_sdwa v2, s4, v8 dst_sel:DWORD dst_unused:UNUSED_PAD src0_sel:DWORD src1_sel:BYTE_3
	v_and_b32_e32 v3, 7, v2
	v_ffbh_u32_e32 v6, v3
	v_min_u32_e32 v6, 32, v6
	v_subrev_u32_e32 v7, 28, v6
	v_bfe_u32 v5, v2, 3, 4
	v_lshlrev_b32_e32 v2, v7, v2
	v_mov_b32_e32 v1, 24
	v_sub_u32_e32 v6, 29, v6
	v_and_b32_e32 v2, 7, v2
	v_cmp_eq_u32_e32 vcc, 0, v5
	v_lshlrev_b32_sdwa v1, v1, v8 dst_sel:DWORD dst_unused:UNUSED_PAD src0_sel:DWORD src1_sel:BYTE_3
	v_cndmask_b32_e32 v5, v5, v6, vcc
	v_cndmask_b32_e32 v2, v3, v2, vcc
	v_mov_b32_e32 v3, 0x3b800000
	v_lshlrev_b32_e32 v2, 20, v2
	v_and_b32_e32 v1, 0x80000000, v1
	v_lshl_add_u32 v3, v5, 23, v3
	v_or3_b32 v1, v1, v3, v2
.LBB288_318:
	s_or_b64 exec, exec, s[48:49]
	s_movk_i32 s4, 0x7f
	v_cmp_gt_i16_sdwa s[48:49], v4, s4 src0_sel:BYTE_3 src1_sel:DWORD
	s_mov_b64 s[4:5], 0
	s_and_saveexec_b64 s[50:51], s[48:49]
	s_xor_b64 s[48:49], exec, s[50:51]
	s_cbranch_execnz .LBB288_577
; %bb.319:
	s_or_saveexec_b64 s[48:49], s[48:49]
	v_mov_b32_e32 v2, 0x7f800001
	s_xor_b64 exec, exec, s[48:49]
	s_cbranch_execnz .LBB288_580
.LBB288_320:
	s_or_b64 exec, exec, s[48:49]
	s_and_saveexec_b64 s[48:49], s[4:5]
	s_cbranch_execz .LBB288_322
.LBB288_321:
	s_mov_b32 s4, 0xffff
	v_mov_b32_e32 v2, 24
	v_and_b32_sdwa v3, s4, v4 dst_sel:DWORD dst_unused:UNUSED_PAD src0_sel:DWORD src1_sel:BYTE_3
	v_lshlrev_b32_sdwa v2, v2, v4 dst_sel:DWORD dst_unused:UNUSED_PAD src0_sel:DWORD src1_sel:BYTE_3
	v_and_b32_e32 v4, 7, v3
	v_ffbh_u32_e32 v6, v4
	v_min_u32_e32 v6, 32, v6
	v_subrev_u32_e32 v7, 28, v6
	v_bfe_u32 v5, v3, 3, 4
	v_lshlrev_b32_e32 v3, v7, v3
	v_sub_u32_e32 v6, 29, v6
	v_and_b32_e32 v3, 7, v3
	v_cmp_eq_u32_e32 vcc, 0, v5
	v_cndmask_b32_e32 v5, v5, v6, vcc
	v_cndmask_b32_e32 v3, v4, v3, vcc
	v_mov_b32_e32 v4, 0x3b800000
	v_lshlrev_b32_e32 v3, 20, v3
	v_and_b32_e32 v2, 0x80000000, v2
	v_lshl_add_u32 v4, v5, 23, v4
	v_or3_b32 v2, v2, v4, v3
.LBB288_322:
	s_or_b64 exec, exec, s[48:49]
	v_cmp_eq_f32_e64 s[4:5], v1, v2
.LBB288_323:
	v_cndmask_b32_e64 v1, 0, 1, s[18:19]
	v_lshlrev_b16_e32 v1, 8, v1
	v_cndmask_b32_e64 v2, 0, 1, s[16:17]
	v_or_b32_e32 v1, v2, v1
	v_cndmask_b32_e64 v2, 0, 1, s[22:23]
	v_lshlrev_b16_e32 v2, 8, v2
	v_cndmask_b32_e64 v3, 0, 1, s[20:21]
	v_or_b32_sdwa v2, v3, v2 dst_sel:WORD_1 dst_unused:UNUSED_PAD src0_sel:DWORD src1_sel:DWORD
	v_or_b32_sdwa v1, v1, v2 dst_sel:DWORD dst_unused:UNUSED_PAD src0_sel:WORD_0 src1_sel:DWORD
	v_cndmask_b32_e64 v2, 0, 1, s[26:27]
	v_lshlrev_b16_e32 v2, 8, v2
	v_cndmask_b32_e64 v3, 0, 1, s[24:25]
	v_or_b32_e32 v2, v3, v2
	v_cndmask_b32_e64 v3, 0, 1, s[30:31]
	v_lshlrev_b16_e32 v3, 8, v3
	v_cndmask_b32_e64 v4, 0, 1, s[28:29]
	v_or_b32_sdwa v3, v4, v3 dst_sel:WORD_1 dst_unused:UNUSED_PAD src0_sel:DWORD src1_sel:DWORD
	v_or_b32_sdwa v2, v2, v3 dst_sel:DWORD dst_unused:UNUSED_PAD src0_sel:WORD_0 src1_sel:DWORD
	;; [unrolled: 9-line block ×3, first 2 shown]
	v_cndmask_b32_e64 v4, 0, 1, s[44:45]
	v_lshlrev_b16_e32 v4, 8, v4
	v_cndmask_b32_e64 v5, 0, 1, s[42:43]
	v_or_b32_e32 v4, v5, v4
	v_cndmask_b32_e64 v5, 0, 1, s[4:5]
	v_lshlrev_b16_e32 v5, 8, v5
	v_cndmask_b32_e64 v6, 0, 1, s[46:47]
	s_add_u32 s48, s8, s33
	v_or_b32_sdwa v5, v6, v5 dst_sel:WORD_1 dst_unused:UNUSED_PAD src0_sel:DWORD src1_sel:DWORD
	s_addc_u32 s49, s9, s12
	v_or_b32_sdwa v4, v4, v5 dst_sel:DWORD dst_unused:UNUSED_PAD src0_sel:WORD_0 src1_sel:DWORD
	global_store_dwordx4 v9, v[1:4], s[48:49]
	s_branch .LBB288_2
.LBB288_324:
	s_getpc_b64 s[4:5]
	s_add_u32 s4, s4, _ZN2at6native25elementwise_kernel_helperILb0ENS0_13BinaryFunctorIN3c1015Float8_e4m3fnuzES4_bNS0_12_GLOBAL__N_116CompareEqFunctorIS4_EEEENS0_6memory8policies11unroll_baseILi256ESt5arrayIPcLm3EE23TrivialOffsetCalculatorILi2EjESF_ILi1EjENS9_15LoadWithoutCastENS9_16StoreWithoutCastELi16ELi1EEEEEvT0_T1_@rel32@lo+4
	s_addc_u32 s5, s5, _ZN2at6native25elementwise_kernel_helperILb0ENS0_13BinaryFunctorIN3c1015Float8_e4m3fnuzES4_bNS0_12_GLOBAL__N_116CompareEqFunctorIS4_EEEENS0_6memory8policies11unroll_baseILi256ESt5arrayIPcLm3EE23TrivialOffsetCalculatorILi2EjESF_ILi1EjENS9_15LoadWithoutCastENS9_16StoreWithoutCastELi16ELi1EEEEEvT0_T1_@rel32@hi+12
	s_mov_b32 s12, s6
	v_mov_b32_e32 v31, v0
	v_mov_b32_e32 v0, s13
	;; [unrolled: 1-line block ×9, first 2 shown]
	s_swappc_b64 s[30:31], s[4:5]
	s_endpgm
.LBB288_325:
	s_movk_i32 s4, 0x80
	v_cmp_eq_u16_sdwa s[22:23], v5, s4 src0_sel:BYTE_0 src1_sel:DWORD
	s_mov_b64 s[4:5], -1
	s_and_saveexec_b64 s[20:21], s[22:23]
; %bb.326:
	s_xor_b64 s[4:5], exec, -1
; %bb.327:
	s_or_b64 exec, exec, s[20:21]
	s_and_b64 s[4:5], s[4:5], exec
	s_or_saveexec_b64 s[16:17], s[16:17]
	v_mov_b32_e32 v10, 0x7f800001
	s_xor_b64 exec, exec, s[16:17]
	s_cbranch_execz .LBB288_6
.LBB288_328:
	v_mov_b32_e32 v10, 0
	v_cmp_ne_u16_sdwa s[20:21], v5, v10 src0_sel:BYTE_0 src1_sel:DWORD
	s_andn2_b64 s[4:5], s[4:5], exec
	s_and_b64 s[20:21], s[20:21], exec
	s_or_b64 s[4:5], s[4:5], s[20:21]
	s_or_b64 exec, exec, s[16:17]
	s_and_saveexec_b64 s[16:17], s[4:5]
	s_cbranch_execnz .LBB288_7
	s_branch .LBB288_8
.LBB288_329:
	s_movk_i32 s4, 0x80
	v_cmp_eq_u16_sdwa s[22:23], v1, s4 src0_sel:BYTE_0 src1_sel:DWORD
	s_mov_b64 s[4:5], -1
	s_and_saveexec_b64 s[20:21], s[22:23]
; %bb.330:
	s_xor_b64 s[4:5], exec, -1
; %bb.331:
	s_or_b64 exec, exec, s[20:21]
	s_and_b64 s[4:5], s[4:5], exec
	s_or_saveexec_b64 s[16:17], s[16:17]
	v_mov_b32_e32 v11, 0x7f800001
	s_xor_b64 exec, exec, s[16:17]
	s_cbranch_execz .LBB288_10
.LBB288_332:
	v_mov_b32_e32 v11, 0
	v_cmp_ne_u16_sdwa s[20:21], v1, v11 src0_sel:BYTE_0 src1_sel:DWORD
	s_andn2_b64 s[4:5], s[4:5], exec
	s_and_b64 s[20:21], s[20:21], exec
	s_or_b64 s[4:5], s[4:5], s[20:21]
	s_or_b64 exec, exec, s[16:17]
	s_and_saveexec_b64 s[16:17], s[4:5]
	s_cbranch_execnz .LBB288_11
	s_branch .LBB288_12
.LBB288_333:
	s_movk_i32 s18, 0x80
	v_cmp_eq_u16_sdwa s[24:25], v17, s18 src0_sel:BYTE_0 src1_sel:DWORD
	s_mov_b64 s[18:19], -1
	s_and_saveexec_b64 s[22:23], s[24:25]
; %bb.334:
	s_xor_b64 s[18:19], exec, -1
; %bb.335:
	s_or_b64 exec, exec, s[22:23]
	s_and_b64 s[18:19], s[18:19], exec
	s_or_saveexec_b64 s[20:21], s[20:21]
	v_mov_b32_e32 v18, 0x7f800001
	s_xor_b64 exec, exec, s[20:21]
	s_cbranch_execz .LBB288_26
.LBB288_336:
	v_mov_b32_e32 v18, 0
	v_cmp_ne_u16_sdwa s[22:23], v17, v18 src0_sel:BYTE_0 src1_sel:DWORD
	s_andn2_b64 s[18:19], s[18:19], exec
	s_and_b64 s[22:23], s[22:23], exec
	s_or_b64 s[18:19], s[18:19], s[22:23]
	s_or_b64 exec, exec, s[20:21]
	s_and_saveexec_b64 s[20:21], s[18:19]
	s_cbranch_execnz .LBB288_27
	s_branch .LBB288_28
.LBB288_337:
	s_movk_i32 s18, 0x80
	v_cmp_eq_u16_sdwa s[24:25], v16, s18 src0_sel:BYTE_0 src1_sel:DWORD
	s_mov_b64 s[18:19], -1
	s_and_saveexec_b64 s[22:23], s[24:25]
; %bb.338:
	s_xor_b64 s[18:19], exec, -1
; %bb.339:
	s_or_b64 exec, exec, s[22:23]
	s_and_b64 s[18:19], s[18:19], exec
	s_or_saveexec_b64 s[20:21], s[20:21]
	v_mov_b32_e32 v19, 0x7f800001
	s_xor_b64 exec, exec, s[20:21]
	s_cbranch_execz .LBB288_30
.LBB288_340:
	v_mov_b32_e32 v19, 0
	v_cmp_ne_u16_sdwa s[22:23], v16, v19 src0_sel:BYTE_0 src1_sel:DWORD
	s_andn2_b64 s[18:19], s[18:19], exec
	s_and_b64 s[22:23], s[22:23], exec
	s_or_b64 s[18:19], s[18:19], s[22:23]
	s_or_b64 exec, exec, s[20:21]
	s_and_saveexec_b64 s[20:21], s[18:19]
	s_cbranch_execnz .LBB288_31
	s_branch .LBB288_32
.LBB288_341:
	s_movk_i32 s20, 0x80
	v_cmp_eq_u16_e32 vcc, s20, v17
	s_mov_b64 s[20:21], -1
	s_and_saveexec_b64 s[24:25], vcc
; %bb.342:
	s_xor_b64 s[20:21], exec, -1
; %bb.343:
	s_or_b64 exec, exec, s[24:25]
	s_and_b64 s[20:21], s[20:21], exec
                                        ; implicit-def: $vgpr17
	s_or_saveexec_b64 s[22:23], s[22:23]
	v_mov_b32_e32 v16, 0x7f800001
	s_xor_b64 exec, exec, s[22:23]
	s_cbranch_execz .LBB288_36
.LBB288_344:
	v_cmp_ne_u16_e32 vcc, 0, v17
	s_andn2_b64 s[20:21], s[20:21], exec
	s_and_b64 s[24:25], vcc, exec
	v_mov_b32_e32 v16, 0
	s_or_b64 s[20:21], s[20:21], s[24:25]
	s_or_b64 exec, exec, s[22:23]
	s_and_saveexec_b64 s[22:23], s[20:21]
	s_cbranch_execnz .LBB288_37
	s_branch .LBB288_38
.LBB288_345:
	s_movk_i32 s20, 0x80
	v_cmp_eq_u16_e32 vcc, s20, v17
	s_mov_b64 s[20:21], -1
	s_and_saveexec_b64 s[24:25], vcc
; %bb.346:
	s_xor_b64 s[20:21], exec, -1
; %bb.347:
	s_or_b64 exec, exec, s[24:25]
	s_and_b64 s[20:21], s[20:21], exec
                                        ; implicit-def: $vgpr17
	s_or_saveexec_b64 s[22:23], s[22:23]
	v_mov_b32_e32 v18, 0x7f800001
	s_xor_b64 exec, exec, s[22:23]
	s_cbranch_execz .LBB288_40
.LBB288_348:
	v_cmp_ne_u16_e32 vcc, 0, v17
	s_andn2_b64 s[20:21], s[20:21], exec
	s_and_b64 s[24:25], vcc, exec
	v_mov_b32_e32 v18, 0
	s_or_b64 s[20:21], s[20:21], s[24:25]
	s_or_b64 exec, exec, s[22:23]
	s_and_saveexec_b64 s[22:23], s[20:21]
	s_cbranch_execnz .LBB288_41
	s_branch .LBB288_42
.LBB288_349:
	s_movk_i32 s22, 0x80
	v_cmp_eq_u16_sdwa s[28:29], v5, s22 src0_sel:BYTE_3 src1_sel:DWORD
	s_mov_b64 s[22:23], -1
	s_and_saveexec_b64 s[26:27], s[28:29]
; %bb.350:
	s_xor_b64 s[22:23], exec, -1
; %bb.351:
	s_or_b64 exec, exec, s[26:27]
	s_and_b64 s[22:23], s[22:23], exec
	s_or_saveexec_b64 s[24:25], s[24:25]
	v_mov_b32_e32 v16, 0x7f800001
	s_xor_b64 exec, exec, s[24:25]
	s_cbranch_execz .LBB288_46
.LBB288_352:
	v_mov_b32_e32 v16, 0
	v_cmp_ne_u16_sdwa s[26:27], v5, v16 src0_sel:BYTE_3 src1_sel:DWORD
	s_andn2_b64 s[22:23], s[22:23], exec
	s_and_b64 s[26:27], s[26:27], exec
	s_or_b64 s[22:23], s[22:23], s[26:27]
	s_or_b64 exec, exec, s[24:25]
	s_and_saveexec_b64 s[24:25], s[22:23]
	s_cbranch_execnz .LBB288_47
	s_branch .LBB288_48
.LBB288_353:
	s_movk_i32 s22, 0x80
	v_cmp_eq_u16_sdwa s[28:29], v1, s22 src0_sel:BYTE_3 src1_sel:DWORD
	s_mov_b64 s[22:23], -1
	s_and_saveexec_b64 s[26:27], s[28:29]
; %bb.354:
	s_xor_b64 s[22:23], exec, -1
; %bb.355:
	s_or_b64 exec, exec, s[26:27]
	s_and_b64 s[22:23], s[22:23], exec
	s_or_saveexec_b64 s[24:25], s[24:25]
	v_mov_b32_e32 v17, 0x7f800001
	s_xor_b64 exec, exec, s[24:25]
	s_cbranch_execz .LBB288_50
.LBB288_356:
	v_mov_b32_e32 v17, 0
	v_cmp_ne_u16_sdwa s[26:27], v1, v17 src0_sel:BYTE_3 src1_sel:DWORD
	s_andn2_b64 s[22:23], s[22:23], exec
	s_and_b64 s[26:27], s[26:27], exec
	s_or_b64 s[22:23], s[22:23], s[26:27]
	s_or_b64 exec, exec, s[24:25]
	s_and_saveexec_b64 s[24:25], s[22:23]
	s_cbranch_execnz .LBB288_51
	s_branch .LBB288_52
.LBB288_357:
	s_movk_i32 s24, 0x80
	v_cmp_eq_u16_sdwa s[30:31], v6, s24 src0_sel:BYTE_0 src1_sel:DWORD
	s_mov_b64 s[24:25], -1
	s_and_saveexec_b64 s[28:29], s[30:31]
; %bb.358:
	s_xor_b64 s[24:25], exec, -1
; %bb.359:
	s_or_b64 exec, exec, s[28:29]
	s_and_b64 s[24:25], s[24:25], exec
	s_or_saveexec_b64 s[26:27], s[26:27]
	v_mov_b32_e32 v1, 0x7f800001
	s_xor_b64 exec, exec, s[26:27]
	s_cbranch_execz .LBB288_56
.LBB288_360:
	v_mov_b32_e32 v1, 0
	v_cmp_ne_u16_sdwa s[28:29], v6, v1 src0_sel:BYTE_0 src1_sel:DWORD
	s_andn2_b64 s[24:25], s[24:25], exec
	s_and_b64 s[28:29], s[28:29], exec
	s_or_b64 s[24:25], s[24:25], s[28:29]
	s_or_b64 exec, exec, s[26:27]
	s_and_saveexec_b64 s[26:27], s[24:25]
	s_cbranch_execnz .LBB288_57
	s_branch .LBB288_58
.LBB288_361:
	s_movk_i32 s24, 0x80
	v_cmp_eq_u16_sdwa s[30:31], v2, s24 src0_sel:BYTE_0 src1_sel:DWORD
	s_mov_b64 s[24:25], -1
	s_and_saveexec_b64 s[28:29], s[30:31]
; %bb.362:
	s_xor_b64 s[24:25], exec, -1
; %bb.363:
	s_or_b64 exec, exec, s[28:29]
	s_and_b64 s[24:25], s[24:25], exec
	s_or_saveexec_b64 s[26:27], s[26:27]
	v_mov_b32_e32 v5, 0x7f800001
	s_xor_b64 exec, exec, s[26:27]
	s_cbranch_execz .LBB288_60
.LBB288_364:
	v_mov_b32_e32 v5, 0
	v_cmp_ne_u16_sdwa s[28:29], v2, v5 src0_sel:BYTE_0 src1_sel:DWORD
	s_andn2_b64 s[24:25], s[24:25], exec
	s_and_b64 s[28:29], s[28:29], exec
	s_or_b64 s[24:25], s[24:25], s[28:29]
	s_or_b64 exec, exec, s[26:27]
	s_and_saveexec_b64 s[26:27], s[24:25]
	s_cbranch_execnz .LBB288_61
	s_branch .LBB288_62
.LBB288_365:
	s_movk_i32 s26, 0x80
	v_cmp_eq_u16_sdwa s[34:35], v15, s26 src0_sel:BYTE_0 src1_sel:DWORD
	s_mov_b64 s[26:27], -1
	s_and_saveexec_b64 s[30:31], s[34:35]
; %bb.366:
	s_xor_b64 s[26:27], exec, -1
; %bb.367:
	s_or_b64 exec, exec, s[30:31]
	s_and_b64 s[26:27], s[26:27], exec
	s_or_saveexec_b64 s[28:29], s[28:29]
	v_mov_b32_e32 v1, 0x7f800001
	s_xor_b64 exec, exec, s[28:29]
	s_cbranch_execz .LBB288_66
.LBB288_368:
	v_mov_b32_e32 v1, 0
	v_cmp_ne_u16_sdwa s[30:31], v15, v1 src0_sel:BYTE_0 src1_sel:DWORD
	s_andn2_b64 s[26:27], s[26:27], exec
	s_and_b64 s[30:31], s[30:31], exec
	s_or_b64 s[26:27], s[26:27], s[30:31]
	s_or_b64 exec, exec, s[28:29]
	s_and_saveexec_b64 s[28:29], s[26:27]
	s_cbranch_execnz .LBB288_67
	s_branch .LBB288_68
.LBB288_369:
	s_movk_i32 s26, 0x80
	v_cmp_eq_u16_sdwa s[34:35], v14, s26 src0_sel:BYTE_0 src1_sel:DWORD
	s_mov_b64 s[26:27], -1
	s_and_saveexec_b64 s[30:31], s[34:35]
; %bb.370:
	s_xor_b64 s[26:27], exec, -1
; %bb.371:
	s_or_b64 exec, exec, s[30:31]
	s_and_b64 s[26:27], s[26:27], exec
	s_or_saveexec_b64 s[28:29], s[28:29]
	v_mov_b32_e32 v5, 0x7f800001
	s_xor_b64 exec, exec, s[28:29]
	s_cbranch_execz .LBB288_70
.LBB288_372:
	v_mov_b32_e32 v5, 0
	v_cmp_ne_u16_sdwa s[30:31], v14, v5 src0_sel:BYTE_0 src1_sel:DWORD
	s_andn2_b64 s[26:27], s[26:27], exec
	s_and_b64 s[30:31], s[30:31], exec
	s_or_b64 s[26:27], s[26:27], s[30:31]
	s_or_b64 exec, exec, s[28:29]
	s_and_saveexec_b64 s[28:29], s[26:27]
	s_cbranch_execnz .LBB288_71
	s_branch .LBB288_72
.LBB288_373:
	s_movk_i32 s28, 0x80
	v_cmp_eq_u16_e32 vcc, s28, v5
	s_mov_b64 s[28:29], -1
	s_and_saveexec_b64 s[34:35], vcc
; %bb.374:
	s_xor_b64 s[28:29], exec, -1
; %bb.375:
	s_or_b64 exec, exec, s[34:35]
	s_and_b64 s[28:29], s[28:29], exec
                                        ; implicit-def: $vgpr5
	s_or_saveexec_b64 s[30:31], s[30:31]
	v_mov_b32_e32 v1, 0x7f800001
	s_xor_b64 exec, exec, s[30:31]
	s_cbranch_execz .LBB288_76
.LBB288_376:
	v_cmp_ne_u16_e32 vcc, 0, v5
	s_andn2_b64 s[28:29], s[28:29], exec
	s_and_b64 s[34:35], vcc, exec
	v_mov_b32_e32 v1, 0
	s_or_b64 s[28:29], s[28:29], s[34:35]
	s_or_b64 exec, exec, s[30:31]
	s_and_saveexec_b64 s[30:31], s[28:29]
	s_cbranch_execnz .LBB288_77
	s_branch .LBB288_78
.LBB288_377:
	s_movk_i32 s28, 0x80
	v_cmp_eq_u16_e32 vcc, s28, v5
	s_mov_b64 s[28:29], -1
	s_and_saveexec_b64 s[34:35], vcc
; %bb.378:
	s_xor_b64 s[28:29], exec, -1
; %bb.379:
	s_or_b64 exec, exec, s[34:35]
	s_and_b64 s[28:29], s[28:29], exec
                                        ; implicit-def: $vgpr5
	s_or_saveexec_b64 s[30:31], s[30:31]
	v_mov_b32_e32 v14, 0x7f800001
	s_xor_b64 exec, exec, s[30:31]
	s_cbranch_execz .LBB288_80
.LBB288_380:
	v_cmp_ne_u16_e32 vcc, 0, v5
	s_andn2_b64 s[28:29], s[28:29], exec
	s_and_b64 s[34:35], vcc, exec
	v_mov_b32_e32 v14, 0
	s_or_b64 s[28:29], s[28:29], s[34:35]
	s_or_b64 exec, exec, s[30:31]
	s_and_saveexec_b64 s[30:31], s[28:29]
	s_cbranch_execnz .LBB288_81
	s_branch .LBB288_82
.LBB288_381:
	s_movk_i32 s30, 0x80
	v_cmp_eq_u16_sdwa s[38:39], v6, s30 src0_sel:BYTE_3 src1_sel:DWORD
	s_mov_b64 s[30:31], -1
	s_and_saveexec_b64 s[36:37], s[38:39]
; %bb.382:
	s_xor_b64 s[30:31], exec, -1
; %bb.383:
	s_or_b64 exec, exec, s[36:37]
	s_and_b64 s[30:31], s[30:31], exec
	s_or_saveexec_b64 s[34:35], s[34:35]
	v_mov_b32_e32 v1, 0x7f800001
	s_xor_b64 exec, exec, s[34:35]
	s_cbranch_execz .LBB288_86
.LBB288_384:
	v_mov_b32_e32 v1, 0
	v_cmp_ne_u16_sdwa s[36:37], v6, v1 src0_sel:BYTE_3 src1_sel:DWORD
	s_andn2_b64 s[30:31], s[30:31], exec
	s_and_b64 s[36:37], s[36:37], exec
	s_or_b64 s[30:31], s[30:31], s[36:37]
	s_or_b64 exec, exec, s[34:35]
	s_and_saveexec_b64 s[34:35], s[30:31]
	s_cbranch_execnz .LBB288_87
	s_branch .LBB288_88
.LBB288_385:
	s_movk_i32 s30, 0x80
	v_cmp_eq_u16_sdwa s[38:39], v2, s30 src0_sel:BYTE_3 src1_sel:DWORD
	s_mov_b64 s[30:31], -1
	s_and_saveexec_b64 s[36:37], s[38:39]
; %bb.386:
	s_xor_b64 s[30:31], exec, -1
; %bb.387:
	s_or_b64 exec, exec, s[36:37]
	s_and_b64 s[30:31], s[30:31], exec
	s_or_saveexec_b64 s[34:35], s[34:35]
	v_mov_b32_e32 v5, 0x7f800001
	s_xor_b64 exec, exec, s[34:35]
	s_cbranch_execz .LBB288_90
.LBB288_388:
	v_mov_b32_e32 v5, 0
	v_cmp_ne_u16_sdwa s[36:37], v2, v5 src0_sel:BYTE_3 src1_sel:DWORD
	s_andn2_b64 s[30:31], s[30:31], exec
	s_and_b64 s[36:37], s[36:37], exec
	s_or_b64 s[30:31], s[30:31], s[36:37]
	s_or_b64 exec, exec, s[34:35]
	s_and_saveexec_b64 s[34:35], s[30:31]
	s_cbranch_execnz .LBB288_91
	s_branch .LBB288_92
.LBB288_389:
	s_movk_i32 s34, 0x80
	v_cmp_eq_u16_sdwa s[40:41], v7, s34 src0_sel:BYTE_0 src1_sel:DWORD
	s_mov_b64 s[34:35], -1
	s_and_saveexec_b64 s[38:39], s[40:41]
; %bb.390:
	s_xor_b64 s[34:35], exec, -1
; %bb.391:
	s_or_b64 exec, exec, s[38:39]
	s_and_b64 s[34:35], s[34:35], exec
	s_or_saveexec_b64 s[36:37], s[36:37]
	v_mov_b32_e32 v1, 0x7f800001
	s_xor_b64 exec, exec, s[36:37]
	s_cbranch_execz .LBB288_96
.LBB288_392:
	v_mov_b32_e32 v1, 0
	v_cmp_ne_u16_sdwa s[38:39], v7, v1 src0_sel:BYTE_0 src1_sel:DWORD
	s_andn2_b64 s[34:35], s[34:35], exec
	s_and_b64 s[38:39], s[38:39], exec
	s_or_b64 s[34:35], s[34:35], s[38:39]
	s_or_b64 exec, exec, s[36:37]
	s_and_saveexec_b64 s[36:37], s[34:35]
	s_cbranch_execnz .LBB288_97
	s_branch .LBB288_98
.LBB288_393:
	s_movk_i32 s34, 0x80
	v_cmp_eq_u16_sdwa s[40:41], v3, s34 src0_sel:BYTE_0 src1_sel:DWORD
	s_mov_b64 s[34:35], -1
	s_and_saveexec_b64 s[38:39], s[40:41]
; %bb.394:
	s_xor_b64 s[34:35], exec, -1
; %bb.395:
	s_or_b64 exec, exec, s[38:39]
	s_and_b64 s[34:35], s[34:35], exec
	s_or_saveexec_b64 s[36:37], s[36:37]
	v_mov_b32_e32 v2, 0x7f800001
	s_xor_b64 exec, exec, s[36:37]
	s_cbranch_execz .LBB288_100
.LBB288_396:
	v_mov_b32_e32 v2, 0
	v_cmp_ne_u16_sdwa s[38:39], v3, v2 src0_sel:BYTE_0 src1_sel:DWORD
	s_andn2_b64 s[34:35], s[34:35], exec
	s_and_b64 s[38:39], s[38:39], exec
	s_or_b64 s[34:35], s[34:35], s[38:39]
	s_or_b64 exec, exec, s[36:37]
	s_and_saveexec_b64 s[36:37], s[34:35]
	s_cbranch_execnz .LBB288_101
	s_branch .LBB288_102
.LBB288_397:
	s_movk_i32 s36, 0x80
	v_cmp_eq_u16_sdwa s[42:43], v13, s36 src0_sel:BYTE_0 src1_sel:DWORD
	s_mov_b64 s[36:37], -1
	s_and_saveexec_b64 s[40:41], s[42:43]
; %bb.398:
	s_xor_b64 s[36:37], exec, -1
; %bb.399:
	s_or_b64 exec, exec, s[40:41]
	s_and_b64 s[36:37], s[36:37], exec
	s_or_saveexec_b64 s[38:39], s[38:39]
	v_mov_b32_e32 v1, 0x7f800001
	s_xor_b64 exec, exec, s[38:39]
	s_cbranch_execz .LBB288_106
.LBB288_400:
	v_mov_b32_e32 v1, 0
	v_cmp_ne_u16_sdwa s[40:41], v13, v1 src0_sel:BYTE_0 src1_sel:DWORD
	s_andn2_b64 s[36:37], s[36:37], exec
	s_and_b64 s[40:41], s[40:41], exec
	s_or_b64 s[36:37], s[36:37], s[40:41]
	s_or_b64 exec, exec, s[38:39]
	s_and_saveexec_b64 s[38:39], s[36:37]
	s_cbranch_execnz .LBB288_107
	s_branch .LBB288_108
.LBB288_401:
	s_movk_i32 s36, 0x80
	v_cmp_eq_u16_sdwa s[42:43], v12, s36 src0_sel:BYTE_0 src1_sel:DWORD
	s_mov_b64 s[36:37], -1
	s_and_saveexec_b64 s[40:41], s[42:43]
; %bb.402:
	s_xor_b64 s[36:37], exec, -1
; %bb.403:
	s_or_b64 exec, exec, s[40:41]
	s_and_b64 s[36:37], s[36:37], exec
	s_or_saveexec_b64 s[38:39], s[38:39]
	v_mov_b32_e32 v2, 0x7f800001
	s_xor_b64 exec, exec, s[38:39]
	s_cbranch_execz .LBB288_110
.LBB288_404:
	v_mov_b32_e32 v2, 0
	v_cmp_ne_u16_sdwa s[40:41], v12, v2 src0_sel:BYTE_0 src1_sel:DWORD
	s_andn2_b64 s[36:37], s[36:37], exec
	s_and_b64 s[40:41], s[40:41], exec
	s_or_b64 s[36:37], s[36:37], s[40:41]
	s_or_b64 exec, exec, s[38:39]
	s_and_saveexec_b64 s[38:39], s[36:37]
	s_cbranch_execnz .LBB288_111
	s_branch .LBB288_112
.LBB288_405:
	s_movk_i32 s38, 0x80
	v_cmp_eq_u16_e32 vcc, s38, v2
	s_mov_b64 s[38:39], -1
	s_and_saveexec_b64 s[42:43], vcc
; %bb.406:
	s_xor_b64 s[38:39], exec, -1
; %bb.407:
	s_or_b64 exec, exec, s[42:43]
	s_and_b64 s[38:39], s[38:39], exec
                                        ; implicit-def: $vgpr2
	s_or_saveexec_b64 s[40:41], s[40:41]
	v_mov_b32_e32 v1, 0x7f800001
	s_xor_b64 exec, exec, s[40:41]
	s_cbranch_execz .LBB288_116
.LBB288_408:
	v_cmp_ne_u16_e32 vcc, 0, v2
	s_andn2_b64 s[38:39], s[38:39], exec
	s_and_b64 s[42:43], vcc, exec
	v_mov_b32_e32 v1, 0
	s_or_b64 s[38:39], s[38:39], s[42:43]
	s_or_b64 exec, exec, s[40:41]
	s_and_saveexec_b64 s[40:41], s[38:39]
	s_cbranch_execnz .LBB288_117
	s_branch .LBB288_118
.LBB288_409:
	s_movk_i32 s38, 0x80
	v_cmp_eq_u16_e32 vcc, s38, v2
	s_mov_b64 s[38:39], -1
	s_and_saveexec_b64 s[42:43], vcc
; %bb.410:
	s_xor_b64 s[38:39], exec, -1
; %bb.411:
	s_or_b64 exec, exec, s[42:43]
	s_and_b64 s[38:39], s[38:39], exec
                                        ; implicit-def: $vgpr2
	s_or_saveexec_b64 s[40:41], s[40:41]
	v_mov_b32_e32 v5, 0x7f800001
	s_xor_b64 exec, exec, s[40:41]
	s_cbranch_execz .LBB288_120
.LBB288_412:
	v_cmp_ne_u16_e32 vcc, 0, v2
	s_andn2_b64 s[38:39], s[38:39], exec
	s_and_b64 s[42:43], vcc, exec
	v_mov_b32_e32 v5, 0
	s_or_b64 s[38:39], s[38:39], s[42:43]
	s_or_b64 exec, exec, s[40:41]
	s_and_saveexec_b64 s[40:41], s[38:39]
	s_cbranch_execnz .LBB288_121
	s_branch .LBB288_122
.LBB288_413:
	s_movk_i32 s40, 0x80
	v_cmp_eq_u16_sdwa s[46:47], v7, s40 src0_sel:BYTE_3 src1_sel:DWORD
	s_mov_b64 s[40:41], -1
	s_and_saveexec_b64 s[44:45], s[46:47]
; %bb.414:
	s_xor_b64 s[40:41], exec, -1
; %bb.415:
	s_or_b64 exec, exec, s[44:45]
	s_and_b64 s[40:41], s[40:41], exec
	s_or_saveexec_b64 s[42:43], s[42:43]
	v_mov_b32_e32 v1, 0x7f800001
	s_xor_b64 exec, exec, s[42:43]
	s_cbranch_execz .LBB288_126
.LBB288_416:
	v_mov_b32_e32 v1, 0
	v_cmp_ne_u16_sdwa s[44:45], v7, v1 src0_sel:BYTE_3 src1_sel:DWORD
	s_andn2_b64 s[40:41], s[40:41], exec
	s_and_b64 s[44:45], s[44:45], exec
	s_or_b64 s[40:41], s[40:41], s[44:45]
	s_or_b64 exec, exec, s[42:43]
	s_and_saveexec_b64 s[42:43], s[40:41]
	s_cbranch_execnz .LBB288_127
	s_branch .LBB288_128
.LBB288_417:
	s_movk_i32 s40, 0x80
	v_cmp_eq_u16_sdwa s[46:47], v3, s40 src0_sel:BYTE_3 src1_sel:DWORD
	s_mov_b64 s[40:41], -1
	s_and_saveexec_b64 s[44:45], s[46:47]
; %bb.418:
	s_xor_b64 s[40:41], exec, -1
; %bb.419:
	s_or_b64 exec, exec, s[44:45]
	s_and_b64 s[40:41], s[40:41], exec
	s_or_saveexec_b64 s[42:43], s[42:43]
	v_mov_b32_e32 v2, 0x7f800001
	s_xor_b64 exec, exec, s[42:43]
	s_cbranch_execz .LBB288_130
.LBB288_420:
	v_mov_b32_e32 v2, 0
	v_cmp_ne_u16_sdwa s[44:45], v3, v2 src0_sel:BYTE_3 src1_sel:DWORD
	s_andn2_b64 s[40:41], s[40:41], exec
	s_and_b64 s[44:45], s[44:45], exec
	s_or_b64 s[40:41], s[40:41], s[44:45]
	s_or_b64 exec, exec, s[42:43]
	s_and_saveexec_b64 s[42:43], s[40:41]
	s_cbranch_execnz .LBB288_131
	s_branch .LBB288_132
.LBB288_421:
	s_movk_i32 s42, 0x80
	v_cmp_eq_u16_sdwa s[48:49], v8, s42 src0_sel:BYTE_0 src1_sel:DWORD
	s_mov_b64 s[42:43], -1
	s_and_saveexec_b64 s[46:47], s[48:49]
; %bb.422:
	s_xor_b64 s[42:43], exec, -1
; %bb.423:
	s_or_b64 exec, exec, s[46:47]
	s_and_b64 s[42:43], s[42:43], exec
	s_or_saveexec_b64 s[44:45], s[44:45]
	v_mov_b32_e32 v1, 0x7f800001
	s_xor_b64 exec, exec, s[44:45]
	s_cbranch_execz .LBB288_136
.LBB288_424:
	v_mov_b32_e32 v1, 0
	v_cmp_ne_u16_sdwa s[46:47], v8, v1 src0_sel:BYTE_0 src1_sel:DWORD
	s_andn2_b64 s[42:43], s[42:43], exec
	s_and_b64 s[46:47], s[46:47], exec
	s_or_b64 s[42:43], s[42:43], s[46:47]
	s_or_b64 exec, exec, s[44:45]
	s_and_saveexec_b64 s[44:45], s[42:43]
	s_cbranch_execnz .LBB288_137
	s_branch .LBB288_138
.LBB288_425:
	s_movk_i32 s42, 0x80
	v_cmp_eq_u16_sdwa s[48:49], v4, s42 src0_sel:BYTE_0 src1_sel:DWORD
	s_mov_b64 s[42:43], -1
	s_and_saveexec_b64 s[46:47], s[48:49]
; %bb.426:
	s_xor_b64 s[42:43], exec, -1
; %bb.427:
	s_or_b64 exec, exec, s[46:47]
	s_and_b64 s[42:43], s[42:43], exec
	s_or_saveexec_b64 s[44:45], s[44:45]
	v_mov_b32_e32 v2, 0x7f800001
	s_xor_b64 exec, exec, s[44:45]
	s_cbranch_execz .LBB288_140
.LBB288_428:
	v_mov_b32_e32 v2, 0
	v_cmp_ne_u16_sdwa s[46:47], v4, v2 src0_sel:BYTE_0 src1_sel:DWORD
	s_andn2_b64 s[42:43], s[42:43], exec
	s_and_b64 s[46:47], s[46:47], exec
	s_or_b64 s[42:43], s[42:43], s[46:47]
	s_or_b64 exec, exec, s[44:45]
	s_and_saveexec_b64 s[44:45], s[42:43]
	s_cbranch_execnz .LBB288_141
	s_branch .LBB288_142
.LBB288_429:
	s_movk_i32 s44, 0x80
	v_cmp_eq_u16_sdwa s[50:51], v11, s44 src0_sel:BYTE_0 src1_sel:DWORD
	s_mov_b64 s[44:45], -1
	s_and_saveexec_b64 s[48:49], s[50:51]
; %bb.430:
	s_xor_b64 s[44:45], exec, -1
; %bb.431:
	s_or_b64 exec, exec, s[48:49]
	s_and_b64 s[44:45], s[44:45], exec
	s_or_saveexec_b64 s[46:47], s[46:47]
	v_mov_b32_e32 v1, 0x7f800001
	s_xor_b64 exec, exec, s[46:47]
	s_cbranch_execz .LBB288_146
.LBB288_432:
	v_mov_b32_e32 v1, 0
	v_cmp_ne_u16_sdwa s[48:49], v11, v1 src0_sel:BYTE_0 src1_sel:DWORD
	s_andn2_b64 s[44:45], s[44:45], exec
	s_and_b64 s[48:49], s[48:49], exec
	s_or_b64 s[44:45], s[44:45], s[48:49]
	s_or_b64 exec, exec, s[46:47]
	s_and_saveexec_b64 s[46:47], s[44:45]
	s_cbranch_execnz .LBB288_147
	s_branch .LBB288_148
.LBB288_433:
	s_movk_i32 s44, 0x80
	v_cmp_eq_u16_sdwa s[50:51], v10, s44 src0_sel:BYTE_0 src1_sel:DWORD
	s_mov_b64 s[44:45], -1
	s_and_saveexec_b64 s[48:49], s[50:51]
; %bb.434:
	s_xor_b64 s[44:45], exec, -1
; %bb.435:
	s_or_b64 exec, exec, s[48:49]
	s_and_b64 s[44:45], s[44:45], exec
	s_or_saveexec_b64 s[46:47], s[46:47]
	v_mov_b32_e32 v2, 0x7f800001
	s_xor_b64 exec, exec, s[46:47]
	s_cbranch_execz .LBB288_150
.LBB288_436:
	v_mov_b32_e32 v2, 0
	v_cmp_ne_u16_sdwa s[48:49], v10, v2 src0_sel:BYTE_0 src1_sel:DWORD
	s_andn2_b64 s[44:45], s[44:45], exec
	s_and_b64 s[48:49], s[48:49], exec
	s_or_b64 s[44:45], s[44:45], s[48:49]
	s_or_b64 exec, exec, s[46:47]
	s_and_saveexec_b64 s[46:47], s[44:45]
	s_cbranch_execnz .LBB288_151
	s_branch .LBB288_152
.LBB288_437:
	s_movk_i32 s46, 0x80
	v_cmp_eq_u16_e32 vcc, s46, v2
	s_mov_b64 s[46:47], -1
	s_and_saveexec_b64 s[50:51], vcc
; %bb.438:
	s_xor_b64 s[46:47], exec, -1
; %bb.439:
	s_or_b64 exec, exec, s[50:51]
	s_and_b64 s[46:47], s[46:47], exec
                                        ; implicit-def: $vgpr2
	s_or_saveexec_b64 s[48:49], s[48:49]
	v_mov_b32_e32 v1, 0x7f800001
	s_xor_b64 exec, exec, s[48:49]
	s_cbranch_execz .LBB288_156
.LBB288_440:
	v_cmp_ne_u16_e32 vcc, 0, v2
	s_andn2_b64 s[46:47], s[46:47], exec
	s_and_b64 s[50:51], vcc, exec
	v_mov_b32_e32 v1, 0
	s_or_b64 s[46:47], s[46:47], s[50:51]
	s_or_b64 exec, exec, s[48:49]
	s_and_saveexec_b64 s[48:49], s[46:47]
	s_cbranch_execnz .LBB288_157
	s_branch .LBB288_158
.LBB288_441:
	s_movk_i32 s46, 0x80
	v_cmp_eq_u16_e32 vcc, s46, v2
	s_mov_b64 s[46:47], -1
	s_and_saveexec_b64 s[50:51], vcc
; %bb.442:
	s_xor_b64 s[46:47], exec, -1
; %bb.443:
	s_or_b64 exec, exec, s[50:51]
	s_and_b64 s[46:47], s[46:47], exec
                                        ; implicit-def: $vgpr2
	s_or_saveexec_b64 s[48:49], s[48:49]
	v_mov_b32_e32 v3, 0x7f800001
	s_xor_b64 exec, exec, s[48:49]
	s_cbranch_execz .LBB288_160
.LBB288_444:
	v_cmp_ne_u16_e32 vcc, 0, v2
	s_andn2_b64 s[46:47], s[46:47], exec
	s_and_b64 s[50:51], vcc, exec
	v_mov_b32_e32 v3, 0
	s_or_b64 s[46:47], s[46:47], s[50:51]
	s_or_b64 exec, exec, s[48:49]
	s_and_saveexec_b64 s[48:49], s[46:47]
	s_cbranch_execnz .LBB288_161
	s_branch .LBB288_162
.LBB288_445:
	s_movk_i32 s4, 0x80
	v_cmp_eq_u16_sdwa s[52:53], v8, s4 src0_sel:BYTE_3 src1_sel:DWORD
	s_mov_b64 s[4:5], -1
	s_and_saveexec_b64 s[50:51], s[52:53]
; %bb.446:
	s_xor_b64 s[4:5], exec, -1
; %bb.447:
	s_or_b64 exec, exec, s[50:51]
	s_and_b64 s[4:5], s[4:5], exec
	s_or_saveexec_b64 s[48:49], s[48:49]
	v_mov_b32_e32 v1, 0x7f800001
	s_xor_b64 exec, exec, s[48:49]
	s_cbranch_execz .LBB288_166
.LBB288_448:
	v_mov_b32_e32 v1, 0
	v_cmp_ne_u16_sdwa s[50:51], v8, v1 src0_sel:BYTE_3 src1_sel:DWORD
	s_andn2_b64 s[4:5], s[4:5], exec
	s_and_b64 s[50:51], s[50:51], exec
	s_or_b64 s[4:5], s[4:5], s[50:51]
	s_or_b64 exec, exec, s[48:49]
	s_and_saveexec_b64 s[48:49], s[4:5]
	s_cbranch_execnz .LBB288_167
	s_branch .LBB288_168
.LBB288_449:
	s_movk_i32 s4, 0x80
	v_cmp_eq_u16_sdwa s[52:53], v4, s4 src0_sel:BYTE_3 src1_sel:DWORD
	s_mov_b64 s[4:5], -1
	s_and_saveexec_b64 s[50:51], s[52:53]
; %bb.450:
	s_xor_b64 s[4:5], exec, -1
; %bb.451:
	s_or_b64 exec, exec, s[50:51]
	s_and_b64 s[4:5], s[4:5], exec
	s_or_saveexec_b64 s[48:49], s[48:49]
	v_mov_b32_e32 v2, 0x7f800001
	s_xor_b64 exec, exec, s[48:49]
	s_cbranch_execz .LBB288_170
.LBB288_452:
	v_mov_b32_e32 v2, 0
	v_cmp_ne_u16_sdwa s[50:51], v4, v2 src0_sel:BYTE_3 src1_sel:DWORD
	s_andn2_b64 s[4:5], s[4:5], exec
	s_and_b64 s[50:51], s[50:51], exec
	s_or_b64 s[4:5], s[4:5], s[50:51]
	s_or_b64 exec, exec, s[48:49]
	s_and_saveexec_b64 s[48:49], s[4:5]
	s_cbranch_execnz .LBB288_171
	s_branch .LBB288_172
.LBB288_453:
	s_movk_i32 s4, 0x80
	v_cmp_eq_u16_sdwa s[22:23], v5, s4 src0_sel:BYTE_0 src1_sel:DWORD
	s_mov_b64 s[4:5], -1
	s_and_saveexec_b64 s[20:21], s[22:23]
; %bb.454:
	s_xor_b64 s[4:5], exec, -1
; %bb.455:
	s_or_b64 exec, exec, s[20:21]
	s_and_b64 s[4:5], s[4:5], exec
	s_or_saveexec_b64 s[16:17], s[16:17]
	v_mov_b32_e32 v10, 0x7f800001
	s_xor_b64 exec, exec, s[16:17]
	s_cbranch_execz .LBB288_16
.LBB288_456:
	v_mov_b32_e32 v10, 0
	v_cmp_ne_u16_sdwa s[20:21], v5, v10 src0_sel:BYTE_0 src1_sel:DWORD
	s_andn2_b64 s[4:5], s[4:5], exec
	s_and_b64 s[20:21], s[20:21], exec
	s_or_b64 s[4:5], s[4:5], s[20:21]
	s_or_b64 exec, exec, s[16:17]
	s_and_saveexec_b64 s[16:17], s[4:5]
	s_cbranch_execnz .LBB288_17
	s_branch .LBB288_18
.LBB288_457:
	s_movk_i32 s4, 0x80
	v_cmp_eq_u16_sdwa s[22:23], v1, s4 src0_sel:BYTE_0 src1_sel:DWORD
	s_mov_b64 s[4:5], -1
	s_and_saveexec_b64 s[20:21], s[22:23]
; %bb.458:
	s_xor_b64 s[4:5], exec, -1
; %bb.459:
	s_or_b64 exec, exec, s[20:21]
	s_and_b64 s[4:5], s[4:5], exec
	s_or_saveexec_b64 s[16:17], s[16:17]
	v_mov_b32_e32 v11, 0x7f800001
	s_xor_b64 exec, exec, s[16:17]
	s_cbranch_execz .LBB288_20
.LBB288_460:
	v_mov_b32_e32 v11, 0
	v_cmp_ne_u16_sdwa s[20:21], v1, v11 src0_sel:BYTE_0 src1_sel:DWORD
	s_andn2_b64 s[4:5], s[4:5], exec
	s_and_b64 s[20:21], s[20:21], exec
	s_or_b64 s[4:5], s[4:5], s[20:21]
	s_or_b64 exec, exec, s[16:17]
	s_and_saveexec_b64 s[16:17], s[4:5]
	s_cbranch_execnz .LBB288_21
	s_branch .LBB288_22
.LBB288_461:
	s_movk_i32 s18, 0x80
	v_cmp_eq_u16_sdwa s[24:25], v17, s18 src0_sel:BYTE_0 src1_sel:DWORD
	s_mov_b64 s[18:19], -1
	s_and_saveexec_b64 s[22:23], s[24:25]
; %bb.462:
	s_xor_b64 s[18:19], exec, -1
; %bb.463:
	s_or_b64 exec, exec, s[22:23]
	s_and_b64 s[18:19], s[18:19], exec
	s_or_saveexec_b64 s[20:21], s[20:21]
	v_mov_b32_e32 v18, 0x7f800001
	s_xor_b64 exec, exec, s[20:21]
	s_cbranch_execz .LBB288_176
.LBB288_464:
	v_mov_b32_e32 v18, 0
	v_cmp_ne_u16_sdwa s[22:23], v17, v18 src0_sel:BYTE_0 src1_sel:DWORD
	s_andn2_b64 s[18:19], s[18:19], exec
	s_and_b64 s[22:23], s[22:23], exec
	s_or_b64 s[18:19], s[18:19], s[22:23]
	s_or_b64 exec, exec, s[20:21]
	s_and_saveexec_b64 s[20:21], s[18:19]
	s_cbranch_execnz .LBB288_177
	s_branch .LBB288_178
.LBB288_465:
	s_movk_i32 s18, 0x80
	v_cmp_eq_u16_sdwa s[24:25], v16, s18 src0_sel:BYTE_0 src1_sel:DWORD
	s_mov_b64 s[18:19], -1
	s_and_saveexec_b64 s[22:23], s[24:25]
; %bb.466:
	s_xor_b64 s[18:19], exec, -1
; %bb.467:
	s_or_b64 exec, exec, s[22:23]
	s_and_b64 s[18:19], s[18:19], exec
	s_or_saveexec_b64 s[20:21], s[20:21]
	v_mov_b32_e32 v17, 0x7f800001
	s_xor_b64 exec, exec, s[20:21]
	s_cbranch_execz .LBB288_180
.LBB288_468:
	v_mov_b32_e32 v17, 0
	v_cmp_ne_u16_sdwa s[22:23], v16, v17 src0_sel:BYTE_0 src1_sel:DWORD
	s_andn2_b64 s[18:19], s[18:19], exec
	s_and_b64 s[22:23], s[22:23], exec
	s_or_b64 s[18:19], s[18:19], s[22:23]
	s_or_b64 exec, exec, s[20:21]
	s_and_saveexec_b64 s[20:21], s[18:19]
	s_cbranch_execnz .LBB288_181
	s_branch .LBB288_182
.LBB288_469:
	s_movk_i32 s20, 0x80
	v_cmp_eq_u16_e32 vcc, s20, v17
	s_mov_b64 s[20:21], -1
	s_and_saveexec_b64 s[24:25], vcc
; %bb.470:
	s_xor_b64 s[20:21], exec, -1
; %bb.471:
	s_or_b64 exec, exec, s[24:25]
	s_and_b64 s[20:21], s[20:21], exec
                                        ; implicit-def: $vgpr17
	s_or_saveexec_b64 s[22:23], s[22:23]
	v_mov_b32_e32 v16, 0x7f800001
	s_xor_b64 exec, exec, s[22:23]
	s_cbranch_execz .LBB288_186
.LBB288_472:
	v_cmp_ne_u16_e32 vcc, 0, v17
	s_andn2_b64 s[20:21], s[20:21], exec
	s_and_b64 s[24:25], vcc, exec
	v_mov_b32_e32 v16, 0
	s_or_b64 s[20:21], s[20:21], s[24:25]
	s_or_b64 exec, exec, s[22:23]
	s_and_saveexec_b64 s[22:23], s[20:21]
	s_cbranch_execnz .LBB288_187
	s_branch .LBB288_188
.LBB288_473:
	s_movk_i32 s20, 0x80
	v_cmp_eq_u16_e32 vcc, s20, v17
	s_mov_b64 s[20:21], -1
	s_and_saveexec_b64 s[24:25], vcc
; %bb.474:
	s_xor_b64 s[20:21], exec, -1
; %bb.475:
	s_or_b64 exec, exec, s[24:25]
	s_and_b64 s[20:21], s[20:21], exec
                                        ; implicit-def: $vgpr17
	s_or_saveexec_b64 s[22:23], s[22:23]
	v_mov_b32_e32 v18, 0x7f800001
	s_xor_b64 exec, exec, s[22:23]
	s_cbranch_execz .LBB288_190
.LBB288_476:
	v_cmp_ne_u16_e32 vcc, 0, v17
	s_andn2_b64 s[20:21], s[20:21], exec
	s_and_b64 s[24:25], vcc, exec
	v_mov_b32_e32 v18, 0
	s_or_b64 s[20:21], s[20:21], s[24:25]
	s_or_b64 exec, exec, s[22:23]
	s_and_saveexec_b64 s[22:23], s[20:21]
	s_cbranch_execnz .LBB288_191
	s_branch .LBB288_192
.LBB288_477:
	s_movk_i32 s22, 0x80
	v_cmp_eq_u16_sdwa s[28:29], v5, s22 src0_sel:BYTE_3 src1_sel:DWORD
	s_mov_b64 s[22:23], -1
	s_and_saveexec_b64 s[26:27], s[28:29]
; %bb.478:
	s_xor_b64 s[22:23], exec, -1
; %bb.479:
	s_or_b64 exec, exec, s[26:27]
	s_and_b64 s[22:23], s[22:23], exec
	s_or_saveexec_b64 s[24:25], s[24:25]
	v_mov_b32_e32 v16, 0x7f800001
	s_xor_b64 exec, exec, s[24:25]
	s_cbranch_execz .LBB288_196
.LBB288_480:
	v_mov_b32_e32 v16, 0
	v_cmp_ne_u16_sdwa s[26:27], v5, v16 src0_sel:BYTE_3 src1_sel:DWORD
	s_andn2_b64 s[22:23], s[22:23], exec
	s_and_b64 s[26:27], s[26:27], exec
	s_or_b64 s[22:23], s[22:23], s[26:27]
	s_or_b64 exec, exec, s[24:25]
	s_and_saveexec_b64 s[24:25], s[22:23]
	s_cbranch_execnz .LBB288_197
	s_branch .LBB288_198
.LBB288_481:
	s_movk_i32 s22, 0x80
	v_cmp_eq_u16_sdwa s[28:29], v1, s22 src0_sel:BYTE_3 src1_sel:DWORD
	s_mov_b64 s[22:23], -1
	s_and_saveexec_b64 s[26:27], s[28:29]
; %bb.482:
	s_xor_b64 s[22:23], exec, -1
; %bb.483:
	s_or_b64 exec, exec, s[26:27]
	s_and_b64 s[22:23], s[22:23], exec
	s_or_saveexec_b64 s[24:25], s[24:25]
	v_mov_b32_e32 v5, 0x7f800001
	s_xor_b64 exec, exec, s[24:25]
	s_cbranch_execz .LBB288_200
.LBB288_484:
	v_mov_b32_e32 v5, 0
	v_cmp_ne_u16_sdwa s[26:27], v1, v5 src0_sel:BYTE_3 src1_sel:DWORD
	s_andn2_b64 s[22:23], s[22:23], exec
	s_and_b64 s[26:27], s[26:27], exec
	s_or_b64 s[22:23], s[22:23], s[26:27]
	s_or_b64 exec, exec, s[24:25]
	s_and_saveexec_b64 s[24:25], s[22:23]
	s_cbranch_execnz .LBB288_201
	s_branch .LBB288_202
.LBB288_485:
	s_movk_i32 s24, 0x80
	v_cmp_eq_u16_sdwa s[30:31], v6, s24 src0_sel:BYTE_0 src1_sel:DWORD
	s_mov_b64 s[24:25], -1
	s_and_saveexec_b64 s[28:29], s[30:31]
; %bb.486:
	s_xor_b64 s[24:25], exec, -1
; %bb.487:
	s_or_b64 exec, exec, s[28:29]
	s_and_b64 s[24:25], s[24:25], exec
	s_or_saveexec_b64 s[26:27], s[26:27]
	v_mov_b32_e32 v1, 0x7f800001
	s_xor_b64 exec, exec, s[26:27]
	s_cbranch_execz .LBB288_206
.LBB288_488:
	v_mov_b32_e32 v1, 0
	v_cmp_ne_u16_sdwa s[28:29], v6, v1 src0_sel:BYTE_0 src1_sel:DWORD
	s_andn2_b64 s[24:25], s[24:25], exec
	s_and_b64 s[28:29], s[28:29], exec
	s_or_b64 s[24:25], s[24:25], s[28:29]
	s_or_b64 exec, exec, s[26:27]
	s_and_saveexec_b64 s[26:27], s[24:25]
	s_cbranch_execnz .LBB288_207
	s_branch .LBB288_208
.LBB288_489:
	s_movk_i32 s24, 0x80
	v_cmp_eq_u16_sdwa s[30:31], v2, s24 src0_sel:BYTE_0 src1_sel:DWORD
	s_mov_b64 s[24:25], -1
	s_and_saveexec_b64 s[28:29], s[30:31]
; %bb.490:
	s_xor_b64 s[24:25], exec, -1
; %bb.491:
	s_or_b64 exec, exec, s[28:29]
	s_and_b64 s[24:25], s[24:25], exec
	s_or_saveexec_b64 s[26:27], s[26:27]
	v_mov_b32_e32 v5, 0x7f800001
	s_xor_b64 exec, exec, s[26:27]
	s_cbranch_execz .LBB288_210
.LBB288_492:
	v_mov_b32_e32 v5, 0
	v_cmp_ne_u16_sdwa s[28:29], v2, v5 src0_sel:BYTE_0 src1_sel:DWORD
	s_andn2_b64 s[24:25], s[24:25], exec
	s_and_b64 s[28:29], s[28:29], exec
	s_or_b64 s[24:25], s[24:25], s[28:29]
	s_or_b64 exec, exec, s[26:27]
	s_and_saveexec_b64 s[26:27], s[24:25]
	s_cbranch_execnz .LBB288_211
	s_branch .LBB288_212
.LBB288_493:
	s_movk_i32 s26, 0x80
	v_cmp_eq_u16_sdwa s[34:35], v15, s26 src0_sel:BYTE_0 src1_sel:DWORD
	s_mov_b64 s[26:27], -1
	s_and_saveexec_b64 s[30:31], s[34:35]
; %bb.494:
	s_xor_b64 s[26:27], exec, -1
; %bb.495:
	s_or_b64 exec, exec, s[30:31]
	s_and_b64 s[26:27], s[26:27], exec
	s_or_saveexec_b64 s[28:29], s[28:29]
	v_mov_b32_e32 v1, 0x7f800001
	s_xor_b64 exec, exec, s[28:29]
	s_cbranch_execz .LBB288_216
.LBB288_496:
	v_mov_b32_e32 v1, 0
	v_cmp_ne_u16_sdwa s[30:31], v15, v1 src0_sel:BYTE_0 src1_sel:DWORD
	s_andn2_b64 s[26:27], s[26:27], exec
	s_and_b64 s[30:31], s[30:31], exec
	s_or_b64 s[26:27], s[26:27], s[30:31]
	s_or_b64 exec, exec, s[28:29]
	s_and_saveexec_b64 s[28:29], s[26:27]
	s_cbranch_execnz .LBB288_217
	s_branch .LBB288_218
.LBB288_497:
	s_movk_i32 s26, 0x80
	v_cmp_eq_u16_sdwa s[34:35], v14, s26 src0_sel:BYTE_0 src1_sel:DWORD
	s_mov_b64 s[26:27], -1
	s_and_saveexec_b64 s[30:31], s[34:35]
; %bb.498:
	s_xor_b64 s[26:27], exec, -1
; %bb.499:
	s_or_b64 exec, exec, s[30:31]
	s_and_b64 s[26:27], s[26:27], exec
	s_or_saveexec_b64 s[28:29], s[28:29]
	v_mov_b32_e32 v5, 0x7f800001
	s_xor_b64 exec, exec, s[28:29]
	s_cbranch_execz .LBB288_220
.LBB288_500:
	v_mov_b32_e32 v5, 0
	v_cmp_ne_u16_sdwa s[30:31], v14, v5 src0_sel:BYTE_0 src1_sel:DWORD
	s_andn2_b64 s[26:27], s[26:27], exec
	s_and_b64 s[30:31], s[30:31], exec
	s_or_b64 s[26:27], s[26:27], s[30:31]
	s_or_b64 exec, exec, s[28:29]
	s_and_saveexec_b64 s[28:29], s[26:27]
	s_cbranch_execnz .LBB288_221
	s_branch .LBB288_222
.LBB288_501:
	s_movk_i32 s28, 0x80
	v_cmp_eq_u16_e32 vcc, s28, v5
	s_mov_b64 s[28:29], -1
	s_and_saveexec_b64 s[34:35], vcc
; %bb.502:
	s_xor_b64 s[28:29], exec, -1
; %bb.503:
	s_or_b64 exec, exec, s[34:35]
	s_and_b64 s[28:29], s[28:29], exec
                                        ; implicit-def: $vgpr5
	s_or_saveexec_b64 s[30:31], s[30:31]
	v_mov_b32_e32 v1, 0x7f800001
	s_xor_b64 exec, exec, s[30:31]
	s_cbranch_execz .LBB288_226
.LBB288_504:
	v_cmp_ne_u16_e32 vcc, 0, v5
	s_andn2_b64 s[28:29], s[28:29], exec
	s_and_b64 s[34:35], vcc, exec
	v_mov_b32_e32 v1, 0
	s_or_b64 s[28:29], s[28:29], s[34:35]
	s_or_b64 exec, exec, s[30:31]
	s_and_saveexec_b64 s[30:31], s[28:29]
	s_cbranch_execnz .LBB288_227
	s_branch .LBB288_228
.LBB288_505:
	s_movk_i32 s28, 0x80
	v_cmp_eq_u16_e32 vcc, s28, v5
	s_mov_b64 s[28:29], -1
	s_and_saveexec_b64 s[34:35], vcc
; %bb.506:
	s_xor_b64 s[28:29], exec, -1
; %bb.507:
	s_or_b64 exec, exec, s[34:35]
	s_and_b64 s[28:29], s[28:29], exec
                                        ; implicit-def: $vgpr5
	s_or_saveexec_b64 s[30:31], s[30:31]
	v_mov_b32_e32 v14, 0x7f800001
	s_xor_b64 exec, exec, s[30:31]
	s_cbranch_execz .LBB288_230
.LBB288_508:
	v_cmp_ne_u16_e32 vcc, 0, v5
	s_andn2_b64 s[28:29], s[28:29], exec
	s_and_b64 s[34:35], vcc, exec
	v_mov_b32_e32 v14, 0
	s_or_b64 s[28:29], s[28:29], s[34:35]
	s_or_b64 exec, exec, s[30:31]
	s_and_saveexec_b64 s[30:31], s[28:29]
	s_cbranch_execnz .LBB288_231
	s_branch .LBB288_232
.LBB288_509:
	s_movk_i32 s30, 0x80
	v_cmp_eq_u16_sdwa s[38:39], v6, s30 src0_sel:BYTE_3 src1_sel:DWORD
	s_mov_b64 s[30:31], -1
	s_and_saveexec_b64 s[36:37], s[38:39]
; %bb.510:
	s_xor_b64 s[30:31], exec, -1
; %bb.511:
	s_or_b64 exec, exec, s[36:37]
	s_and_b64 s[30:31], s[30:31], exec
	s_or_saveexec_b64 s[34:35], s[34:35]
	v_mov_b32_e32 v1, 0x7f800001
	s_xor_b64 exec, exec, s[34:35]
	s_cbranch_execz .LBB288_236
.LBB288_512:
	v_mov_b32_e32 v1, 0
	v_cmp_ne_u16_sdwa s[36:37], v6, v1 src0_sel:BYTE_3 src1_sel:DWORD
	s_andn2_b64 s[30:31], s[30:31], exec
	s_and_b64 s[36:37], s[36:37], exec
	s_or_b64 s[30:31], s[30:31], s[36:37]
	s_or_b64 exec, exec, s[34:35]
	s_and_saveexec_b64 s[34:35], s[30:31]
	s_cbranch_execnz .LBB288_237
	s_branch .LBB288_238
.LBB288_513:
	s_movk_i32 s30, 0x80
	v_cmp_eq_u16_sdwa s[38:39], v2, s30 src0_sel:BYTE_3 src1_sel:DWORD
	s_mov_b64 s[30:31], -1
	s_and_saveexec_b64 s[36:37], s[38:39]
; %bb.514:
	s_xor_b64 s[30:31], exec, -1
; %bb.515:
	s_or_b64 exec, exec, s[36:37]
	s_and_b64 s[30:31], s[30:31], exec
	s_or_saveexec_b64 s[34:35], s[34:35]
	v_mov_b32_e32 v5, 0x7f800001
	s_xor_b64 exec, exec, s[34:35]
	s_cbranch_execz .LBB288_240
.LBB288_516:
	v_mov_b32_e32 v5, 0
	v_cmp_ne_u16_sdwa s[36:37], v2, v5 src0_sel:BYTE_3 src1_sel:DWORD
	s_andn2_b64 s[30:31], s[30:31], exec
	s_and_b64 s[36:37], s[36:37], exec
	s_or_b64 s[30:31], s[30:31], s[36:37]
	s_or_b64 exec, exec, s[34:35]
	s_and_saveexec_b64 s[34:35], s[30:31]
	s_cbranch_execnz .LBB288_241
	s_branch .LBB288_242
.LBB288_517:
	s_movk_i32 s34, 0x80
	v_cmp_eq_u16_sdwa s[40:41], v7, s34 src0_sel:BYTE_0 src1_sel:DWORD
	s_mov_b64 s[34:35], -1
	s_and_saveexec_b64 s[38:39], s[40:41]
; %bb.518:
	s_xor_b64 s[34:35], exec, -1
; %bb.519:
	s_or_b64 exec, exec, s[38:39]
	s_and_b64 s[34:35], s[34:35], exec
	s_or_saveexec_b64 s[36:37], s[36:37]
	v_mov_b32_e32 v1, 0x7f800001
	s_xor_b64 exec, exec, s[36:37]
	s_cbranch_execz .LBB288_246
.LBB288_520:
	v_mov_b32_e32 v1, 0
	v_cmp_ne_u16_sdwa s[38:39], v7, v1 src0_sel:BYTE_0 src1_sel:DWORD
	s_andn2_b64 s[34:35], s[34:35], exec
	s_and_b64 s[38:39], s[38:39], exec
	s_or_b64 s[34:35], s[34:35], s[38:39]
	s_or_b64 exec, exec, s[36:37]
	s_and_saveexec_b64 s[36:37], s[34:35]
	s_cbranch_execnz .LBB288_247
	s_branch .LBB288_248
.LBB288_521:
	s_movk_i32 s34, 0x80
	v_cmp_eq_u16_sdwa s[40:41], v3, s34 src0_sel:BYTE_0 src1_sel:DWORD
	s_mov_b64 s[34:35], -1
	s_and_saveexec_b64 s[38:39], s[40:41]
; %bb.522:
	s_xor_b64 s[34:35], exec, -1
; %bb.523:
	s_or_b64 exec, exec, s[38:39]
	s_and_b64 s[34:35], s[34:35], exec
	s_or_saveexec_b64 s[36:37], s[36:37]
	v_mov_b32_e32 v2, 0x7f800001
	s_xor_b64 exec, exec, s[36:37]
	s_cbranch_execz .LBB288_250
.LBB288_524:
	v_mov_b32_e32 v2, 0
	v_cmp_ne_u16_sdwa s[38:39], v3, v2 src0_sel:BYTE_0 src1_sel:DWORD
	s_andn2_b64 s[34:35], s[34:35], exec
	s_and_b64 s[38:39], s[38:39], exec
	s_or_b64 s[34:35], s[34:35], s[38:39]
	s_or_b64 exec, exec, s[36:37]
	s_and_saveexec_b64 s[36:37], s[34:35]
	s_cbranch_execnz .LBB288_251
	s_branch .LBB288_252
.LBB288_525:
	s_movk_i32 s36, 0x80
	v_cmp_eq_u16_sdwa s[42:43], v13, s36 src0_sel:BYTE_0 src1_sel:DWORD
	s_mov_b64 s[36:37], -1
	s_and_saveexec_b64 s[40:41], s[42:43]
; %bb.526:
	s_xor_b64 s[36:37], exec, -1
; %bb.527:
	s_or_b64 exec, exec, s[40:41]
	s_and_b64 s[36:37], s[36:37], exec
	s_or_saveexec_b64 s[38:39], s[38:39]
	v_mov_b32_e32 v1, 0x7f800001
	s_xor_b64 exec, exec, s[38:39]
	s_cbranch_execz .LBB288_256
.LBB288_528:
	v_mov_b32_e32 v1, 0
	v_cmp_ne_u16_sdwa s[40:41], v13, v1 src0_sel:BYTE_0 src1_sel:DWORD
	s_andn2_b64 s[36:37], s[36:37], exec
	s_and_b64 s[40:41], s[40:41], exec
	s_or_b64 s[36:37], s[36:37], s[40:41]
	s_or_b64 exec, exec, s[38:39]
	s_and_saveexec_b64 s[38:39], s[36:37]
	s_cbranch_execnz .LBB288_257
	s_branch .LBB288_258
.LBB288_529:
	s_movk_i32 s36, 0x80
	v_cmp_eq_u16_sdwa s[42:43], v12, s36 src0_sel:BYTE_0 src1_sel:DWORD
	s_mov_b64 s[36:37], -1
	s_and_saveexec_b64 s[40:41], s[42:43]
; %bb.530:
	s_xor_b64 s[36:37], exec, -1
; %bb.531:
	s_or_b64 exec, exec, s[40:41]
	s_and_b64 s[36:37], s[36:37], exec
	s_or_saveexec_b64 s[38:39], s[38:39]
	v_mov_b32_e32 v2, 0x7f800001
	s_xor_b64 exec, exec, s[38:39]
	s_cbranch_execz .LBB288_260
.LBB288_532:
	v_mov_b32_e32 v2, 0
	v_cmp_ne_u16_sdwa s[40:41], v12, v2 src0_sel:BYTE_0 src1_sel:DWORD
	s_andn2_b64 s[36:37], s[36:37], exec
	s_and_b64 s[40:41], s[40:41], exec
	s_or_b64 s[36:37], s[36:37], s[40:41]
	s_or_b64 exec, exec, s[38:39]
	s_and_saveexec_b64 s[38:39], s[36:37]
	s_cbranch_execnz .LBB288_261
	s_branch .LBB288_262
.LBB288_533:
	s_movk_i32 s38, 0x80
	v_cmp_eq_u16_e32 vcc, s38, v2
	s_mov_b64 s[38:39], -1
	s_and_saveexec_b64 s[42:43], vcc
; %bb.534:
	s_xor_b64 s[38:39], exec, -1
; %bb.535:
	s_or_b64 exec, exec, s[42:43]
	s_and_b64 s[38:39], s[38:39], exec
                                        ; implicit-def: $vgpr2
	s_or_saveexec_b64 s[40:41], s[40:41]
	v_mov_b32_e32 v1, 0x7f800001
	s_xor_b64 exec, exec, s[40:41]
	s_cbranch_execz .LBB288_266
.LBB288_536:
	v_cmp_ne_u16_e32 vcc, 0, v2
	s_andn2_b64 s[38:39], s[38:39], exec
	s_and_b64 s[42:43], vcc, exec
	v_mov_b32_e32 v1, 0
	s_or_b64 s[38:39], s[38:39], s[42:43]
	s_or_b64 exec, exec, s[40:41]
	s_and_saveexec_b64 s[40:41], s[38:39]
	s_cbranch_execnz .LBB288_267
	s_branch .LBB288_268
.LBB288_537:
	s_movk_i32 s38, 0x80
	v_cmp_eq_u16_e32 vcc, s38, v2
	s_mov_b64 s[38:39], -1
	s_and_saveexec_b64 s[42:43], vcc
; %bb.538:
	s_xor_b64 s[38:39], exec, -1
; %bb.539:
	s_or_b64 exec, exec, s[42:43]
	s_and_b64 s[38:39], s[38:39], exec
                                        ; implicit-def: $vgpr2
	s_or_saveexec_b64 s[40:41], s[40:41]
	v_mov_b32_e32 v5, 0x7f800001
	s_xor_b64 exec, exec, s[40:41]
	s_cbranch_execz .LBB288_270
.LBB288_540:
	v_cmp_ne_u16_e32 vcc, 0, v2
	s_andn2_b64 s[38:39], s[38:39], exec
	s_and_b64 s[42:43], vcc, exec
	v_mov_b32_e32 v5, 0
	s_or_b64 s[38:39], s[38:39], s[42:43]
	s_or_b64 exec, exec, s[40:41]
	s_and_saveexec_b64 s[40:41], s[38:39]
	s_cbranch_execnz .LBB288_271
	s_branch .LBB288_272
.LBB288_541:
	s_movk_i32 s40, 0x80
	v_cmp_eq_u16_sdwa s[46:47], v7, s40 src0_sel:BYTE_3 src1_sel:DWORD
	s_mov_b64 s[40:41], -1
	s_and_saveexec_b64 s[44:45], s[46:47]
; %bb.542:
	s_xor_b64 s[40:41], exec, -1
; %bb.543:
	s_or_b64 exec, exec, s[44:45]
	s_and_b64 s[40:41], s[40:41], exec
	s_or_saveexec_b64 s[42:43], s[42:43]
	v_mov_b32_e32 v1, 0x7f800001
	s_xor_b64 exec, exec, s[42:43]
	s_cbranch_execz .LBB288_276
.LBB288_544:
	v_mov_b32_e32 v1, 0
	v_cmp_ne_u16_sdwa s[44:45], v7, v1 src0_sel:BYTE_3 src1_sel:DWORD
	s_andn2_b64 s[40:41], s[40:41], exec
	s_and_b64 s[44:45], s[44:45], exec
	s_or_b64 s[40:41], s[40:41], s[44:45]
	s_or_b64 exec, exec, s[42:43]
	s_and_saveexec_b64 s[42:43], s[40:41]
	s_cbranch_execnz .LBB288_277
	s_branch .LBB288_278
.LBB288_545:
	s_movk_i32 s40, 0x80
	v_cmp_eq_u16_sdwa s[46:47], v3, s40 src0_sel:BYTE_3 src1_sel:DWORD
	s_mov_b64 s[40:41], -1
	s_and_saveexec_b64 s[44:45], s[46:47]
; %bb.546:
	s_xor_b64 s[40:41], exec, -1
; %bb.547:
	s_or_b64 exec, exec, s[44:45]
	s_and_b64 s[40:41], s[40:41], exec
	s_or_saveexec_b64 s[42:43], s[42:43]
	v_mov_b32_e32 v2, 0x7f800001
	s_xor_b64 exec, exec, s[42:43]
	s_cbranch_execz .LBB288_280
.LBB288_548:
	v_mov_b32_e32 v2, 0
	v_cmp_ne_u16_sdwa s[44:45], v3, v2 src0_sel:BYTE_3 src1_sel:DWORD
	s_andn2_b64 s[40:41], s[40:41], exec
	s_and_b64 s[44:45], s[44:45], exec
	s_or_b64 s[40:41], s[40:41], s[44:45]
	s_or_b64 exec, exec, s[42:43]
	s_and_saveexec_b64 s[42:43], s[40:41]
	s_cbranch_execnz .LBB288_281
	s_branch .LBB288_282
.LBB288_549:
	s_movk_i32 s42, 0x80
	v_cmp_eq_u16_sdwa s[48:49], v8, s42 src0_sel:BYTE_0 src1_sel:DWORD
	s_mov_b64 s[42:43], -1
	s_and_saveexec_b64 s[46:47], s[48:49]
; %bb.550:
	s_xor_b64 s[42:43], exec, -1
; %bb.551:
	s_or_b64 exec, exec, s[46:47]
	s_and_b64 s[42:43], s[42:43], exec
	s_or_saveexec_b64 s[44:45], s[44:45]
	v_mov_b32_e32 v1, 0x7f800001
	s_xor_b64 exec, exec, s[44:45]
	s_cbranch_execz .LBB288_286
.LBB288_552:
	v_mov_b32_e32 v1, 0
	v_cmp_ne_u16_sdwa s[46:47], v8, v1 src0_sel:BYTE_0 src1_sel:DWORD
	s_andn2_b64 s[42:43], s[42:43], exec
	s_and_b64 s[46:47], s[46:47], exec
	s_or_b64 s[42:43], s[42:43], s[46:47]
	s_or_b64 exec, exec, s[44:45]
	s_and_saveexec_b64 s[44:45], s[42:43]
	s_cbranch_execnz .LBB288_287
	s_branch .LBB288_288
.LBB288_553:
	s_movk_i32 s42, 0x80
	v_cmp_eq_u16_sdwa s[48:49], v4, s42 src0_sel:BYTE_0 src1_sel:DWORD
	s_mov_b64 s[42:43], -1
	s_and_saveexec_b64 s[46:47], s[48:49]
; %bb.554:
	s_xor_b64 s[42:43], exec, -1
; %bb.555:
	s_or_b64 exec, exec, s[46:47]
	s_and_b64 s[42:43], s[42:43], exec
	s_or_saveexec_b64 s[44:45], s[44:45]
	v_mov_b32_e32 v2, 0x7f800001
	s_xor_b64 exec, exec, s[44:45]
	s_cbranch_execz .LBB288_290
.LBB288_556:
	v_mov_b32_e32 v2, 0
	v_cmp_ne_u16_sdwa s[46:47], v4, v2 src0_sel:BYTE_0 src1_sel:DWORD
	s_andn2_b64 s[42:43], s[42:43], exec
	s_and_b64 s[46:47], s[46:47], exec
	s_or_b64 s[42:43], s[42:43], s[46:47]
	s_or_b64 exec, exec, s[44:45]
	s_and_saveexec_b64 s[44:45], s[42:43]
	s_cbranch_execnz .LBB288_291
	s_branch .LBB288_292
.LBB288_557:
	s_movk_i32 s44, 0x80
	v_cmp_eq_u16_sdwa s[50:51], v11, s44 src0_sel:BYTE_0 src1_sel:DWORD
	s_mov_b64 s[44:45], -1
	s_and_saveexec_b64 s[48:49], s[50:51]
; %bb.558:
	s_xor_b64 s[44:45], exec, -1
; %bb.559:
	s_or_b64 exec, exec, s[48:49]
	s_and_b64 s[44:45], s[44:45], exec
	s_or_saveexec_b64 s[46:47], s[46:47]
	v_mov_b32_e32 v1, 0x7f800001
	s_xor_b64 exec, exec, s[46:47]
	s_cbranch_execz .LBB288_296
.LBB288_560:
	v_mov_b32_e32 v1, 0
	v_cmp_ne_u16_sdwa s[48:49], v11, v1 src0_sel:BYTE_0 src1_sel:DWORD
	s_andn2_b64 s[44:45], s[44:45], exec
	s_and_b64 s[48:49], s[48:49], exec
	s_or_b64 s[44:45], s[44:45], s[48:49]
	s_or_b64 exec, exec, s[46:47]
	s_and_saveexec_b64 s[46:47], s[44:45]
	s_cbranch_execnz .LBB288_297
	s_branch .LBB288_298
.LBB288_561:
	s_movk_i32 s44, 0x80
	v_cmp_eq_u16_sdwa s[50:51], v10, s44 src0_sel:BYTE_0 src1_sel:DWORD
	s_mov_b64 s[44:45], -1
	s_and_saveexec_b64 s[48:49], s[50:51]
; %bb.562:
	s_xor_b64 s[44:45], exec, -1
; %bb.563:
	s_or_b64 exec, exec, s[48:49]
	s_and_b64 s[44:45], s[44:45], exec
	s_or_saveexec_b64 s[46:47], s[46:47]
	v_mov_b32_e32 v2, 0x7f800001
	s_xor_b64 exec, exec, s[46:47]
	s_cbranch_execz .LBB288_300
.LBB288_564:
	v_mov_b32_e32 v2, 0
	v_cmp_ne_u16_sdwa s[48:49], v10, v2 src0_sel:BYTE_0 src1_sel:DWORD
	s_andn2_b64 s[44:45], s[44:45], exec
	s_and_b64 s[48:49], s[48:49], exec
	s_or_b64 s[44:45], s[44:45], s[48:49]
	s_or_b64 exec, exec, s[46:47]
	s_and_saveexec_b64 s[46:47], s[44:45]
	s_cbranch_execnz .LBB288_301
	s_branch .LBB288_302
.LBB288_565:
	s_movk_i32 s46, 0x80
	v_cmp_eq_u16_e32 vcc, s46, v2
	s_mov_b64 s[46:47], -1
	s_and_saveexec_b64 s[50:51], vcc
; %bb.566:
	s_xor_b64 s[46:47], exec, -1
; %bb.567:
	s_or_b64 exec, exec, s[50:51]
	s_and_b64 s[46:47], s[46:47], exec
                                        ; implicit-def: $vgpr2
	s_or_saveexec_b64 s[48:49], s[48:49]
	v_mov_b32_e32 v1, 0x7f800001
	s_xor_b64 exec, exec, s[48:49]
	s_cbranch_execz .LBB288_306
.LBB288_568:
	v_cmp_ne_u16_e32 vcc, 0, v2
	s_andn2_b64 s[46:47], s[46:47], exec
	s_and_b64 s[50:51], vcc, exec
	v_mov_b32_e32 v1, 0
	s_or_b64 s[46:47], s[46:47], s[50:51]
	s_or_b64 exec, exec, s[48:49]
	s_and_saveexec_b64 s[48:49], s[46:47]
	s_cbranch_execnz .LBB288_307
	s_branch .LBB288_308
.LBB288_569:
	s_movk_i32 s46, 0x80
	v_cmp_eq_u16_e32 vcc, s46, v2
	s_mov_b64 s[46:47], -1
	s_and_saveexec_b64 s[50:51], vcc
; %bb.570:
	s_xor_b64 s[46:47], exec, -1
; %bb.571:
	s_or_b64 exec, exec, s[50:51]
	s_and_b64 s[46:47], s[46:47], exec
                                        ; implicit-def: $vgpr2
	s_or_saveexec_b64 s[48:49], s[48:49]
	v_mov_b32_e32 v3, 0x7f800001
	s_xor_b64 exec, exec, s[48:49]
	s_cbranch_execz .LBB288_310
.LBB288_572:
	v_cmp_ne_u16_e32 vcc, 0, v2
	s_andn2_b64 s[46:47], s[46:47], exec
	s_and_b64 s[50:51], vcc, exec
	v_mov_b32_e32 v3, 0
	s_or_b64 s[46:47], s[46:47], s[50:51]
	s_or_b64 exec, exec, s[48:49]
	s_and_saveexec_b64 s[48:49], s[46:47]
	s_cbranch_execnz .LBB288_311
	s_branch .LBB288_312
.LBB288_573:
	s_movk_i32 s4, 0x80
	v_cmp_eq_u16_sdwa s[52:53], v8, s4 src0_sel:BYTE_3 src1_sel:DWORD
	s_mov_b64 s[4:5], -1
	s_and_saveexec_b64 s[50:51], s[52:53]
; %bb.574:
	s_xor_b64 s[4:5], exec, -1
; %bb.575:
	s_or_b64 exec, exec, s[50:51]
	s_and_b64 s[4:5], s[4:5], exec
	s_or_saveexec_b64 s[48:49], s[48:49]
	v_mov_b32_e32 v1, 0x7f800001
	s_xor_b64 exec, exec, s[48:49]
	s_cbranch_execz .LBB288_316
.LBB288_576:
	v_mov_b32_e32 v1, 0
	v_cmp_ne_u16_sdwa s[50:51], v8, v1 src0_sel:BYTE_3 src1_sel:DWORD
	s_andn2_b64 s[4:5], s[4:5], exec
	s_and_b64 s[50:51], s[50:51], exec
	s_or_b64 s[4:5], s[4:5], s[50:51]
	s_or_b64 exec, exec, s[48:49]
	s_and_saveexec_b64 s[48:49], s[4:5]
	s_cbranch_execnz .LBB288_317
	s_branch .LBB288_318
.LBB288_577:
	s_movk_i32 s4, 0x80
	v_cmp_eq_u16_sdwa s[52:53], v4, s4 src0_sel:BYTE_3 src1_sel:DWORD
	s_mov_b64 s[4:5], -1
	s_and_saveexec_b64 s[50:51], s[52:53]
; %bb.578:
	s_xor_b64 s[4:5], exec, -1
; %bb.579:
	s_or_b64 exec, exec, s[50:51]
	s_and_b64 s[4:5], s[4:5], exec
	s_or_saveexec_b64 s[48:49], s[48:49]
	v_mov_b32_e32 v2, 0x7f800001
	s_xor_b64 exec, exec, s[48:49]
	s_cbranch_execz .LBB288_320
.LBB288_580:
	v_mov_b32_e32 v2, 0
	v_cmp_ne_u16_sdwa s[50:51], v4, v2 src0_sel:BYTE_3 src1_sel:DWORD
	s_andn2_b64 s[4:5], s[4:5], exec
	s_and_b64 s[50:51], s[50:51], exec
	s_or_b64 s[4:5], s[4:5], s[50:51]
	s_or_b64 exec, exec, s[48:49]
	s_and_saveexec_b64 s[48:49], s[4:5]
	s_cbranch_execnz .LBB288_321
	s_branch .LBB288_322
	.section	.rodata,"a",@progbits
	.p2align	6, 0x0
	.amdhsa_kernel _ZN2at6native29vectorized_elementwise_kernelILi16ENS0_13BinaryFunctorIN3c1015Float8_e4m3fnuzES4_bNS0_12_GLOBAL__N_116CompareEqFunctorIS4_EEEESt5arrayIPcLm3EEEEviT0_T1_
		.amdhsa_group_segment_fixed_size 0
		.amdhsa_private_segment_fixed_size 0
		.amdhsa_kernarg_size 32
		.amdhsa_user_sgpr_count 6
		.amdhsa_user_sgpr_private_segment_buffer 1
		.amdhsa_user_sgpr_dispatch_ptr 0
		.amdhsa_user_sgpr_queue_ptr 0
		.amdhsa_user_sgpr_kernarg_segment_ptr 1
		.amdhsa_user_sgpr_dispatch_id 0
		.amdhsa_user_sgpr_flat_scratch_init 0
		.amdhsa_user_sgpr_private_segment_size 0
		.amdhsa_uses_dynamic_stack 0
		.amdhsa_system_sgpr_private_segment_wavefront_offset 0
		.amdhsa_system_sgpr_workgroup_id_x 1
		.amdhsa_system_sgpr_workgroup_id_y 0
		.amdhsa_system_sgpr_workgroup_id_z 0
		.amdhsa_system_sgpr_workgroup_info 0
		.amdhsa_system_vgpr_workitem_id 0
		.amdhsa_next_free_vgpr 55
		.amdhsa_next_free_sgpr 57
		.amdhsa_reserve_vcc 1
		.amdhsa_reserve_flat_scratch 0
		.amdhsa_float_round_mode_32 0
		.amdhsa_float_round_mode_16_64 0
		.amdhsa_float_denorm_mode_32 3
		.amdhsa_float_denorm_mode_16_64 3
		.amdhsa_dx10_clamp 1
		.amdhsa_ieee_mode 1
		.amdhsa_fp16_overflow 0
		.amdhsa_exception_fp_ieee_invalid_op 0
		.amdhsa_exception_fp_denorm_src 0
		.amdhsa_exception_fp_ieee_div_zero 0
		.amdhsa_exception_fp_ieee_overflow 0
		.amdhsa_exception_fp_ieee_underflow 0
		.amdhsa_exception_fp_ieee_inexact 0
		.amdhsa_exception_int_div_zero 0
	.end_amdhsa_kernel
	.section	.text._ZN2at6native29vectorized_elementwise_kernelILi16ENS0_13BinaryFunctorIN3c1015Float8_e4m3fnuzES4_bNS0_12_GLOBAL__N_116CompareEqFunctorIS4_EEEESt5arrayIPcLm3EEEEviT0_T1_,"axG",@progbits,_ZN2at6native29vectorized_elementwise_kernelILi16ENS0_13BinaryFunctorIN3c1015Float8_e4m3fnuzES4_bNS0_12_GLOBAL__N_116CompareEqFunctorIS4_EEEESt5arrayIPcLm3EEEEviT0_T1_,comdat
.Lfunc_end288:
	.size	_ZN2at6native29vectorized_elementwise_kernelILi16ENS0_13BinaryFunctorIN3c1015Float8_e4m3fnuzES4_bNS0_12_GLOBAL__N_116CompareEqFunctorIS4_EEEESt5arrayIPcLm3EEEEviT0_T1_, .Lfunc_end288-_ZN2at6native29vectorized_elementwise_kernelILi16ENS0_13BinaryFunctorIN3c1015Float8_e4m3fnuzES4_bNS0_12_GLOBAL__N_116CompareEqFunctorIS4_EEEESt5arrayIPcLm3EEEEviT0_T1_
                                        ; -- End function
	.set _ZN2at6native29vectorized_elementwise_kernelILi16ENS0_13BinaryFunctorIN3c1015Float8_e4m3fnuzES4_bNS0_12_GLOBAL__N_116CompareEqFunctorIS4_EEEESt5arrayIPcLm3EEEEviT0_T1_.num_vgpr, max(32, .L_ZN2at6native25elementwise_kernel_helperILb0ENS0_13BinaryFunctorIN3c1015Float8_e4m3fnuzES4_bNS0_12_GLOBAL__N_116CompareEqFunctorIS4_EEEENS0_6memory8policies11unroll_baseILi256ESt5arrayIPcLm3EE23TrivialOffsetCalculatorILi2EjESF_ILi1EjENS9_15LoadWithoutCastENS9_16StoreWithoutCastELi16ELi1EEEEEvT0_T1_.num_vgpr)
	.set _ZN2at6native29vectorized_elementwise_kernelILi16ENS0_13BinaryFunctorIN3c1015Float8_e4m3fnuzES4_bNS0_12_GLOBAL__N_116CompareEqFunctorIS4_EEEESt5arrayIPcLm3EEEEviT0_T1_.num_agpr, max(0, .L_ZN2at6native25elementwise_kernel_helperILb0ENS0_13BinaryFunctorIN3c1015Float8_e4m3fnuzES4_bNS0_12_GLOBAL__N_116CompareEqFunctorIS4_EEEENS0_6memory8policies11unroll_baseILi256ESt5arrayIPcLm3EE23TrivialOffsetCalculatorILi2EjESF_ILi1EjENS9_15LoadWithoutCastENS9_16StoreWithoutCastELi16ELi1EEEEEvT0_T1_.num_agpr)
	.set _ZN2at6native29vectorized_elementwise_kernelILi16ENS0_13BinaryFunctorIN3c1015Float8_e4m3fnuzES4_bNS0_12_GLOBAL__N_116CompareEqFunctorIS4_EEEESt5arrayIPcLm3EEEEviT0_T1_.numbered_sgpr, max(54, .L_ZN2at6native25elementwise_kernel_helperILb0ENS0_13BinaryFunctorIN3c1015Float8_e4m3fnuzES4_bNS0_12_GLOBAL__N_116CompareEqFunctorIS4_EEEENS0_6memory8policies11unroll_baseILi256ESt5arrayIPcLm3EE23TrivialOffsetCalculatorILi2EjESF_ILi1EjENS9_15LoadWithoutCastENS9_16StoreWithoutCastELi16ELi1EEEEEvT0_T1_.numbered_sgpr)
	.set _ZN2at6native29vectorized_elementwise_kernelILi16ENS0_13BinaryFunctorIN3c1015Float8_e4m3fnuzES4_bNS0_12_GLOBAL__N_116CompareEqFunctorIS4_EEEESt5arrayIPcLm3EEEEviT0_T1_.num_named_barrier, max(0, .L_ZN2at6native25elementwise_kernel_helperILb0ENS0_13BinaryFunctorIN3c1015Float8_e4m3fnuzES4_bNS0_12_GLOBAL__N_116CompareEqFunctorIS4_EEEENS0_6memory8policies11unroll_baseILi256ESt5arrayIPcLm3EE23TrivialOffsetCalculatorILi2EjESF_ILi1EjENS9_15LoadWithoutCastENS9_16StoreWithoutCastELi16ELi1EEEEEvT0_T1_.num_named_barrier)
	.set _ZN2at6native29vectorized_elementwise_kernelILi16ENS0_13BinaryFunctorIN3c1015Float8_e4m3fnuzES4_bNS0_12_GLOBAL__N_116CompareEqFunctorIS4_EEEESt5arrayIPcLm3EEEEviT0_T1_.private_seg_size, 0+max(.L_ZN2at6native25elementwise_kernel_helperILb0ENS0_13BinaryFunctorIN3c1015Float8_e4m3fnuzES4_bNS0_12_GLOBAL__N_116CompareEqFunctorIS4_EEEENS0_6memory8policies11unroll_baseILi256ESt5arrayIPcLm3EE23TrivialOffsetCalculatorILi2EjESF_ILi1EjENS9_15LoadWithoutCastENS9_16StoreWithoutCastELi16ELi1EEEEEvT0_T1_.private_seg_size)
	.set _ZN2at6native29vectorized_elementwise_kernelILi16ENS0_13BinaryFunctorIN3c1015Float8_e4m3fnuzES4_bNS0_12_GLOBAL__N_116CompareEqFunctorIS4_EEEESt5arrayIPcLm3EEEEviT0_T1_.uses_vcc, or(1, .L_ZN2at6native25elementwise_kernel_helperILb0ENS0_13BinaryFunctorIN3c1015Float8_e4m3fnuzES4_bNS0_12_GLOBAL__N_116CompareEqFunctorIS4_EEEENS0_6memory8policies11unroll_baseILi256ESt5arrayIPcLm3EE23TrivialOffsetCalculatorILi2EjESF_ILi1EjENS9_15LoadWithoutCastENS9_16StoreWithoutCastELi16ELi1EEEEEvT0_T1_.uses_vcc)
	.set _ZN2at6native29vectorized_elementwise_kernelILi16ENS0_13BinaryFunctorIN3c1015Float8_e4m3fnuzES4_bNS0_12_GLOBAL__N_116CompareEqFunctorIS4_EEEESt5arrayIPcLm3EEEEviT0_T1_.uses_flat_scratch, or(0, .L_ZN2at6native25elementwise_kernel_helperILb0ENS0_13BinaryFunctorIN3c1015Float8_e4m3fnuzES4_bNS0_12_GLOBAL__N_116CompareEqFunctorIS4_EEEENS0_6memory8policies11unroll_baseILi256ESt5arrayIPcLm3EE23TrivialOffsetCalculatorILi2EjESF_ILi1EjENS9_15LoadWithoutCastENS9_16StoreWithoutCastELi16ELi1EEEEEvT0_T1_.uses_flat_scratch)
	.set _ZN2at6native29vectorized_elementwise_kernelILi16ENS0_13BinaryFunctorIN3c1015Float8_e4m3fnuzES4_bNS0_12_GLOBAL__N_116CompareEqFunctorIS4_EEEESt5arrayIPcLm3EEEEviT0_T1_.has_dyn_sized_stack, or(0, .L_ZN2at6native25elementwise_kernel_helperILb0ENS0_13BinaryFunctorIN3c1015Float8_e4m3fnuzES4_bNS0_12_GLOBAL__N_116CompareEqFunctorIS4_EEEENS0_6memory8policies11unroll_baseILi256ESt5arrayIPcLm3EE23TrivialOffsetCalculatorILi2EjESF_ILi1EjENS9_15LoadWithoutCastENS9_16StoreWithoutCastELi16ELi1EEEEEvT0_T1_.has_dyn_sized_stack)
	.set _ZN2at6native29vectorized_elementwise_kernelILi16ENS0_13BinaryFunctorIN3c1015Float8_e4m3fnuzES4_bNS0_12_GLOBAL__N_116CompareEqFunctorIS4_EEEESt5arrayIPcLm3EEEEviT0_T1_.has_recursion, or(0, .L_ZN2at6native25elementwise_kernel_helperILb0ENS0_13BinaryFunctorIN3c1015Float8_e4m3fnuzES4_bNS0_12_GLOBAL__N_116CompareEqFunctorIS4_EEEENS0_6memory8policies11unroll_baseILi256ESt5arrayIPcLm3EE23TrivialOffsetCalculatorILi2EjESF_ILi1EjENS9_15LoadWithoutCastENS9_16StoreWithoutCastELi16ELi1EEEEEvT0_T1_.has_recursion)
	.set _ZN2at6native29vectorized_elementwise_kernelILi16ENS0_13BinaryFunctorIN3c1015Float8_e4m3fnuzES4_bNS0_12_GLOBAL__N_116CompareEqFunctorIS4_EEEESt5arrayIPcLm3EEEEviT0_T1_.has_indirect_call, or(0, .L_ZN2at6native25elementwise_kernel_helperILb0ENS0_13BinaryFunctorIN3c1015Float8_e4m3fnuzES4_bNS0_12_GLOBAL__N_116CompareEqFunctorIS4_EEEENS0_6memory8policies11unroll_baseILi256ESt5arrayIPcLm3EE23TrivialOffsetCalculatorILi2EjESF_ILi1EjENS9_15LoadWithoutCastENS9_16StoreWithoutCastELi16ELi1EEEEEvT0_T1_.has_indirect_call)
	.section	.AMDGPU.csdata,"",@progbits
; Kernel info:
; codeLenInByte = 17536
; TotalNumSgprs: 61
; NumVgprs: 55
; ScratchSize: 0
; MemoryBound: 1
; FloatMode: 240
; IeeeMode: 1
; LDSByteSize: 0 bytes/workgroup (compile time only)
; SGPRBlocks: 7
; VGPRBlocks: 13
; NumSGPRsForWavesPerEU: 61
; NumVGPRsForWavesPerEU: 55
; Occupancy: 4
; WaveLimiterHint : 0
; COMPUTE_PGM_RSRC2:SCRATCH_EN: 0
; COMPUTE_PGM_RSRC2:USER_SGPR: 6
; COMPUTE_PGM_RSRC2:TRAP_HANDLER: 0
; COMPUTE_PGM_RSRC2:TGID_X_EN: 1
; COMPUTE_PGM_RSRC2:TGID_Y_EN: 0
; COMPUTE_PGM_RSRC2:TGID_Z_EN: 0
; COMPUTE_PGM_RSRC2:TIDIG_COMP_CNT: 0
	.section	.text._ZN2at6native29vectorized_elementwise_kernelILi8ENS0_13BinaryFunctorIN3c1015Float8_e4m3fnuzES4_bNS0_12_GLOBAL__N_116CompareEqFunctorIS4_EEEESt5arrayIPcLm3EEEEviT0_T1_,"axG",@progbits,_ZN2at6native29vectorized_elementwise_kernelILi8ENS0_13BinaryFunctorIN3c1015Float8_e4m3fnuzES4_bNS0_12_GLOBAL__N_116CompareEqFunctorIS4_EEEESt5arrayIPcLm3EEEEviT0_T1_,comdat
	.globl	_ZN2at6native29vectorized_elementwise_kernelILi8ENS0_13BinaryFunctorIN3c1015Float8_e4m3fnuzES4_bNS0_12_GLOBAL__N_116CompareEqFunctorIS4_EEEESt5arrayIPcLm3EEEEviT0_T1_ ; -- Begin function _ZN2at6native29vectorized_elementwise_kernelILi8ENS0_13BinaryFunctorIN3c1015Float8_e4m3fnuzES4_bNS0_12_GLOBAL__N_116CompareEqFunctorIS4_EEEESt5arrayIPcLm3EEEEviT0_T1_
	.p2align	8
	.type	_ZN2at6native29vectorized_elementwise_kernelILi8ENS0_13BinaryFunctorIN3c1015Float8_e4m3fnuzES4_bNS0_12_GLOBAL__N_116CompareEqFunctorIS4_EEEESt5arrayIPcLm3EEEEviT0_T1_,@function
_ZN2at6native29vectorized_elementwise_kernelILi8ENS0_13BinaryFunctorIN3c1015Float8_e4m3fnuzES4_bNS0_12_GLOBAL__N_116CompareEqFunctorIS4_EEEESt5arrayIPcLm3EEEEviT0_T1_: ; @_ZN2at6native29vectorized_elementwise_kernelILi8ENS0_13BinaryFunctorIN3c1015Float8_e4m3fnuzES4_bNS0_12_GLOBAL__N_116CompareEqFunctorIS4_EEEESt5arrayIPcLm3EEEEviT0_T1_
; %bb.0:
	s_load_dwordx2 s[12:13], s[4:5], 0x0
	s_load_dwordx4 s[8:11], s[4:5], 0x8
	s_load_dwordx2 s[14:15], s[4:5], 0x18
	s_add_u32 s0, s0, s7
	s_addc_u32 s1, s1, 0
	s_lshl_b32 s33, s6, 12
	s_waitcnt lgkmcnt(0)
	s_sub_i32 s7, s12, s33
	s_cmpk_gt_i32 s7, 0xfff
	s_mov_b64 s[4:5], -1
	s_mov_b32 s32, 0
	s_cbranch_scc1 .LBB289_3
; %bb.1:
	s_and_b64 vcc, exec, s[4:5]
	s_cbranch_vccnz .LBB289_324
.LBB289_2:
	s_endpgm
.LBB289_3:
	s_ashr_i32 s12, s33, 31
	s_add_u32 s4, s10, s33
	s_addc_u32 s5, s11, s12
	v_lshlrev_b32_e32 v9, 3, v0
	s_add_u32 s16, s14, s33
	s_addc_u32 s17, s15, s12
	global_load_dwordx2 v[7:8], v9, s[4:5]
	global_load_dwordx2 v[3:4], v9, s[4:5] offset:2048
	global_load_dwordx2 v[5:6], v9, s[16:17]
	global_load_dwordx2 v[1:2], v9, s[16:17] offset:2048
	s_cmp_lg_u32 s13, 0
	s_cselect_b64 s[18:19], -1, 0
	s_and_b64 vcc, exec, s[18:19]
	s_cbranch_vccz .LBB289_13
; %bb.4:
	s_movk_i32 s4, 0x7f
	s_waitcnt vmcnt(3)
	v_cmp_gt_i16_sdwa s[16:17], v7, s4 src0_sel:BYTE_0 src1_sel:DWORD
	s_mov_b64 s[4:5], 0
	s_and_saveexec_b64 s[20:21], s[16:17]
	s_xor_b64 s[16:17], exec, s[20:21]
	s_cbranch_execnz .LBB289_325
; %bb.5:
	s_or_saveexec_b64 s[16:17], s[16:17]
	v_mov_b32_e32 v10, 0x7f800001
	s_xor_b64 exec, exec, s[16:17]
	s_cbranch_execnz .LBB289_328
.LBB289_6:
	s_or_b64 exec, exec, s[16:17]
	s_and_saveexec_b64 s[16:17], s[4:5]
	s_cbranch_execz .LBB289_8
.LBB289_7:
	v_and_b32_e32 v10, 7, v7
	v_ffbh_u32_e32 v12, v10
	v_min_u32_e32 v12, 32, v12
	v_subrev_u32_e32 v13, 28, v12
	v_bfe_u32 v11, v7, 3, 4
	v_lshlrev_b32_e32 v13, v13, v7
	v_sub_u32_e32 v12, 29, v12
	v_and_b32_e32 v13, 7, v13
	v_cmp_eq_u32_e32 vcc, 0, v11
	v_cndmask_b32_e32 v11, v11, v12, vcc
	v_cndmask_b32_e32 v10, v10, v13, vcc
	v_lshlrev_b32_e32 v12, 24, v7
	v_mov_b32_e32 v13, 0x3b800000
	v_lshlrev_b32_e32 v10, 20, v10
	v_and_b32_e32 v12, 0x80000000, v12
	v_lshl_add_u32 v11, v11, 23, v13
	v_or3_b32 v10, v12, v11, v10
.LBB289_8:
	s_or_b64 exec, exec, s[16:17]
	s_movk_i32 s4, 0x7f
	s_waitcnt vmcnt(1)
	v_cmp_gt_i16_sdwa s[16:17], v5, s4 src0_sel:BYTE_0 src1_sel:DWORD
	s_mov_b64 s[4:5], 0
	s_and_saveexec_b64 s[20:21], s[16:17]
	s_xor_b64 s[16:17], exec, s[20:21]
	s_cbranch_execnz .LBB289_329
; %bb.9:
	s_or_saveexec_b64 s[16:17], s[16:17]
	v_mov_b32_e32 v11, 0x7f800001
	s_xor_b64 exec, exec, s[16:17]
	s_cbranch_execnz .LBB289_332
.LBB289_10:
	s_or_b64 exec, exec, s[16:17]
	s_and_saveexec_b64 s[16:17], s[4:5]
	s_cbranch_execz .LBB289_12
.LBB289_11:
	v_and_b32_e32 v11, 7, v5
	v_ffbh_u32_e32 v13, v11
	v_min_u32_e32 v13, 32, v13
	v_subrev_u32_e32 v14, 28, v13
	v_bfe_u32 v12, v5, 3, 4
	v_lshlrev_b32_e32 v14, v14, v5
	v_sub_u32_e32 v13, 29, v13
	v_and_b32_e32 v14, 7, v14
	v_cmp_eq_u32_e32 vcc, 0, v12
	v_cndmask_b32_e32 v12, v12, v13, vcc
	v_cndmask_b32_e32 v11, v11, v14, vcc
	v_lshlrev_b32_e32 v13, 24, v5
	v_mov_b32_e32 v14, 0x3b800000
	v_lshlrev_b32_e32 v11, 20, v11
	v_and_b32_e32 v13, 0x80000000, v13
	v_lshl_add_u32 v12, v12, 23, v14
	v_or3_b32 v11, v13, v12, v11
.LBB289_12:
	s_or_b64 exec, exec, s[16:17]
	v_cmp_neq_f32_e64 s[16:17], v10, v11
	s_branch .LBB289_23
.LBB289_13:
                                        ; implicit-def: $sgpr16_sgpr17
	s_cbranch_execz .LBB289_23
; %bb.14:
	s_movk_i32 s4, 0x7f
	s_waitcnt vmcnt(3)
	v_cmp_gt_i16_sdwa s[16:17], v7, s4 src0_sel:BYTE_0 src1_sel:DWORD
	s_mov_b64 s[4:5], 0
	s_and_saveexec_b64 s[20:21], s[16:17]
	s_xor_b64 s[16:17], exec, s[20:21]
	s_cbranch_execnz .LBB289_453
; %bb.15:
	s_or_saveexec_b64 s[16:17], s[16:17]
	v_mov_b32_e32 v10, 0x7f800001
	s_xor_b64 exec, exec, s[16:17]
	s_cbranch_execnz .LBB289_456
.LBB289_16:
	s_or_b64 exec, exec, s[16:17]
	s_and_saveexec_b64 s[16:17], s[4:5]
	s_cbranch_execz .LBB289_18
.LBB289_17:
	v_and_b32_e32 v10, 7, v7
	v_ffbh_u32_e32 v12, v10
	v_min_u32_e32 v12, 32, v12
	v_subrev_u32_e32 v13, 28, v12
	v_bfe_u32 v11, v7, 3, 4
	v_lshlrev_b32_e32 v13, v13, v7
	v_sub_u32_e32 v12, 29, v12
	v_and_b32_e32 v13, 7, v13
	v_cmp_eq_u32_e32 vcc, 0, v11
	v_cndmask_b32_e32 v11, v11, v12, vcc
	v_cndmask_b32_e32 v10, v10, v13, vcc
	v_lshlrev_b32_e32 v12, 24, v7
	v_mov_b32_e32 v13, 0x3b800000
	v_lshlrev_b32_e32 v10, 20, v10
	v_and_b32_e32 v12, 0x80000000, v12
	v_lshl_add_u32 v11, v11, 23, v13
	v_or3_b32 v10, v12, v11, v10
.LBB289_18:
	s_or_b64 exec, exec, s[16:17]
	s_movk_i32 s4, 0x7f
	s_waitcnt vmcnt(1)
	v_cmp_gt_i16_sdwa s[16:17], v5, s4 src0_sel:BYTE_0 src1_sel:DWORD
	s_mov_b64 s[4:5], 0
	s_and_saveexec_b64 s[20:21], s[16:17]
	s_xor_b64 s[16:17], exec, s[20:21]
	s_cbranch_execnz .LBB289_457
; %bb.19:
	s_or_saveexec_b64 s[16:17], s[16:17]
	v_mov_b32_e32 v11, 0x7f800001
	s_xor_b64 exec, exec, s[16:17]
	s_cbranch_execnz .LBB289_460
.LBB289_20:
	s_or_b64 exec, exec, s[16:17]
	s_and_saveexec_b64 s[16:17], s[4:5]
	s_cbranch_execz .LBB289_22
.LBB289_21:
	v_and_b32_e32 v11, 7, v5
	v_ffbh_u32_e32 v13, v11
	v_min_u32_e32 v13, 32, v13
	v_subrev_u32_e32 v14, 28, v13
	v_bfe_u32 v12, v5, 3, 4
	v_lshlrev_b32_e32 v14, v14, v5
	v_sub_u32_e32 v13, 29, v13
	v_and_b32_e32 v14, 7, v14
	v_cmp_eq_u32_e32 vcc, 0, v12
	v_cndmask_b32_e32 v12, v12, v13, vcc
	v_cndmask_b32_e32 v11, v11, v14, vcc
	v_lshlrev_b32_e32 v13, 24, v5
	v_mov_b32_e32 v14, 0x3b800000
	v_lshlrev_b32_e32 v11, 20, v11
	v_and_b32_e32 v13, 0x80000000, v13
	v_lshl_add_u32 v12, v12, 23, v14
	v_or3_b32 v11, v13, v12, v11
.LBB289_22:
	s_or_b64 exec, exec, s[16:17]
	v_cmp_eq_f32_e64 s[16:17], v10, v11
.LBB289_23:
	v_cndmask_b32_e64 v10, 0, 1, s[18:19]
	s_waitcnt vmcnt(3)
	v_lshrrev_b32_e32 v11, 8, v7
	v_cmp_ne_u32_e64 s[4:5], 1, v10
	s_andn2_b64 vcc, exec, s[18:19]
	s_waitcnt vmcnt(1)
	v_lshrrev_b32_e32 v10, 8, v5
	s_cbranch_vccnz .LBB289_173
; %bb.24:
	s_movk_i32 s18, 0x7f
	v_cmp_gt_i16_sdwa s[20:21], v11, s18 src0_sel:BYTE_0 src1_sel:DWORD
	s_mov_b64 s[18:19], 0
	s_and_saveexec_b64 s[22:23], s[20:21]
	s_xor_b64 s[20:21], exec, s[22:23]
	s_cbranch_execnz .LBB289_333
; %bb.25:
	s_or_saveexec_b64 s[20:21], s[20:21]
	v_mov_b32_e32 v12, 0x7f800001
	s_xor_b64 exec, exec, s[20:21]
	s_cbranch_execnz .LBB289_336
.LBB289_26:
	s_or_b64 exec, exec, s[20:21]
	s_and_saveexec_b64 s[20:21], s[18:19]
	s_cbranch_execz .LBB289_28
.LBB289_27:
	v_bfe_u32 v12, v7, 8, 3
	v_ffbh_u32_e32 v14, v12
	v_min_u32_e32 v14, 32, v14
	v_subrev_u32_e32 v15, 28, v14
	v_bfe_u32 v13, v7, 11, 4
	v_lshlrev_b32_e32 v15, v15, v11
	v_sub_u32_e32 v14, 29, v14
	v_and_b32_e32 v15, 7, v15
	v_cmp_eq_u32_e32 vcc, 0, v13
	v_cndmask_b32_e32 v13, v13, v14, vcc
	v_cndmask_b32_e32 v12, v12, v15, vcc
	v_lshlrev_b32_e32 v14, 24, v11
	v_mov_b32_e32 v15, 0x3b800000
	v_lshlrev_b32_e32 v12, 20, v12
	v_and_b32_e32 v14, 0x80000000, v14
	v_lshl_add_u32 v13, v13, 23, v15
	v_or3_b32 v12, v14, v13, v12
.LBB289_28:
	s_or_b64 exec, exec, s[20:21]
	s_movk_i32 s18, 0x7f
	v_cmp_gt_i16_sdwa s[20:21], v10, s18 src0_sel:BYTE_0 src1_sel:DWORD
	s_mov_b64 s[18:19], 0
	s_and_saveexec_b64 s[22:23], s[20:21]
	s_xor_b64 s[20:21], exec, s[22:23]
	s_cbranch_execnz .LBB289_337
; %bb.29:
	s_or_saveexec_b64 s[20:21], s[20:21]
	v_mov_b32_e32 v13, 0x7f800001
	s_xor_b64 exec, exec, s[20:21]
	s_cbranch_execnz .LBB289_340
.LBB289_30:
	s_or_b64 exec, exec, s[20:21]
	s_and_saveexec_b64 s[20:21], s[18:19]
	s_cbranch_execz .LBB289_32
.LBB289_31:
	v_bfe_u32 v13, v5, 8, 3
	v_ffbh_u32_e32 v15, v13
	v_min_u32_e32 v15, 32, v15
	v_subrev_u32_e32 v16, 28, v15
	v_bfe_u32 v14, v5, 11, 4
	v_lshlrev_b32_e32 v16, v16, v10
	v_sub_u32_e32 v15, 29, v15
	v_and_b32_e32 v16, 7, v16
	v_cmp_eq_u32_e32 vcc, 0, v14
	v_cndmask_b32_e32 v14, v14, v15, vcc
	v_cndmask_b32_e32 v13, v13, v16, vcc
	v_lshlrev_b32_e32 v15, 24, v10
	v_mov_b32_e32 v16, 0x3b800000
	v_lshlrev_b32_e32 v13, 20, v13
	v_and_b32_e32 v15, 0x80000000, v15
	v_lshl_add_u32 v14, v14, 23, v16
	v_or3_b32 v13, v15, v14, v13
.LBB289_32:
	s_or_b64 exec, exec, s[20:21]
	v_cmp_neq_f32_e64 s[18:19], v12, v13
.LBB289_33:
	s_and_b64 vcc, exec, s[4:5]
	s_cbranch_vccnz .LBB289_183
.LBB289_34:
	s_movk_i32 s20, 0xff
	v_and_b32_sdwa v11, v7, s20 dst_sel:DWORD dst_unused:UNUSED_PAD src0_sel:WORD_1 src1_sel:DWORD
	s_movk_i32 s20, 0x7f
	v_cmp_lt_i16_e32 vcc, s20, v11
	s_mov_b64 s[20:21], 0
	s_and_saveexec_b64 s[22:23], vcc
	s_xor_b64 s[22:23], exec, s[22:23]
	s_cbranch_execnz .LBB289_341
; %bb.35:
	s_or_saveexec_b64 s[22:23], s[22:23]
	v_mov_b32_e32 v10, 0x7f800001
	s_xor_b64 exec, exec, s[22:23]
	s_cbranch_execnz .LBB289_344
.LBB289_36:
	s_or_b64 exec, exec, s[22:23]
	s_and_saveexec_b64 s[22:23], s[20:21]
	s_cbranch_execz .LBB289_38
.LBB289_37:
	v_bfe_u32 v10, v7, 16, 3
	v_ffbh_u32_e32 v12, v10
	v_min_u32_e32 v12, 32, v12
	v_bfe_u32 v11, v7, 19, 4
	v_subrev_u32_e32 v13, 28, v12
	v_lshlrev_b32_sdwa v13, v13, v7 dst_sel:DWORD dst_unused:UNUSED_PAD src0_sel:DWORD src1_sel:WORD_1
	v_sub_u32_e32 v12, 29, v12
	v_cmp_eq_u32_e32 vcc, 0, v11
	v_and_b32_e32 v13, 7, v13
	v_cndmask_b32_e32 v11, v11, v12, vcc
	v_mov_b32_e32 v12, 24
	v_cndmask_b32_e32 v10, v10, v13, vcc
	v_lshlrev_b32_sdwa v12, v12, v7 dst_sel:DWORD dst_unused:UNUSED_PAD src0_sel:DWORD src1_sel:WORD_1
	v_mov_b32_e32 v13, 0x3b800000
	v_lshlrev_b32_e32 v10, 20, v10
	v_and_b32_e32 v12, 0x80000000, v12
	v_lshl_add_u32 v11, v11, 23, v13
	v_or3_b32 v10, v12, v11, v10
.LBB289_38:
	s_or_b64 exec, exec, s[22:23]
	s_movk_i32 s20, 0xff
	v_and_b32_sdwa v11, v5, s20 dst_sel:DWORD dst_unused:UNUSED_PAD src0_sel:WORD_1 src1_sel:DWORD
	s_movk_i32 s20, 0x7f
	v_cmp_lt_i16_e32 vcc, s20, v11
	s_mov_b64 s[20:21], 0
	s_and_saveexec_b64 s[22:23], vcc
	s_xor_b64 s[22:23], exec, s[22:23]
	s_cbranch_execnz .LBB289_345
; %bb.39:
	s_or_saveexec_b64 s[22:23], s[22:23]
	v_mov_b32_e32 v12, 0x7f800001
	s_xor_b64 exec, exec, s[22:23]
	s_cbranch_execnz .LBB289_348
.LBB289_40:
	s_or_b64 exec, exec, s[22:23]
	s_and_saveexec_b64 s[22:23], s[20:21]
	s_cbranch_execz .LBB289_42
.LBB289_41:
	v_bfe_u32 v11, v5, 16, 3
	v_ffbh_u32_e32 v13, v11
	v_min_u32_e32 v13, 32, v13
	v_bfe_u32 v12, v5, 19, 4
	v_subrev_u32_e32 v14, 28, v13
	v_lshlrev_b32_sdwa v14, v14, v5 dst_sel:DWORD dst_unused:UNUSED_PAD src0_sel:DWORD src1_sel:WORD_1
	v_sub_u32_e32 v13, 29, v13
	v_cmp_eq_u32_e32 vcc, 0, v12
	v_and_b32_e32 v14, 7, v14
	v_cndmask_b32_e32 v12, v12, v13, vcc
	v_mov_b32_e32 v13, 24
	v_cndmask_b32_e32 v11, v11, v14, vcc
	v_lshlrev_b32_sdwa v13, v13, v5 dst_sel:DWORD dst_unused:UNUSED_PAD src0_sel:DWORD src1_sel:WORD_1
	v_mov_b32_e32 v14, 0x3b800000
	v_lshlrev_b32_e32 v11, 20, v11
	v_and_b32_e32 v13, 0x80000000, v13
	v_lshl_add_u32 v12, v12, 23, v14
	v_or3_b32 v12, v13, v12, v11
.LBB289_42:
	s_or_b64 exec, exec, s[22:23]
	v_cmp_neq_f32_e64 s[20:21], v10, v12
.LBB289_43:
	s_and_b64 vcc, exec, s[4:5]
	s_cbranch_vccnz .LBB289_193
.LBB289_44:
	s_movk_i32 s22, 0x7f
	v_cmp_gt_i16_sdwa s[24:25], v7, s22 src0_sel:BYTE_3 src1_sel:DWORD
	s_mov_b64 s[22:23], 0
	s_and_saveexec_b64 s[26:27], s[24:25]
	s_xor_b64 s[24:25], exec, s[26:27]
	s_cbranch_execnz .LBB289_349
; %bb.45:
	s_or_saveexec_b64 s[24:25], s[24:25]
	v_mov_b32_e32 v10, 0x7f800001
	s_xor_b64 exec, exec, s[24:25]
	s_cbranch_execnz .LBB289_352
.LBB289_46:
	s_or_b64 exec, exec, s[24:25]
	s_and_saveexec_b64 s[24:25], s[22:23]
	s_cbranch_execz .LBB289_48
.LBB289_47:
	v_bfe_u32 v10, v7, 24, 3
	v_ffbh_u32_e32 v12, v10
	v_min_u32_e32 v12, 32, v12
	v_subrev_u32_e32 v13, 28, v12
	v_bfe_u32 v11, v7, 27, 4
	v_lshlrev_b32_sdwa v13, v13, v7 dst_sel:DWORD dst_unused:UNUSED_PAD src0_sel:DWORD src1_sel:BYTE_3
	v_sub_u32_e32 v12, 29, v12
	v_and_b32_e32 v13, 7, v13
	v_cmp_eq_u32_e32 vcc, 0, v11
	v_cndmask_b32_e32 v11, v11, v12, vcc
	v_cndmask_b32_e32 v10, v10, v13, vcc
	v_mov_b32_e32 v13, 0x3b800000
	v_lshlrev_b32_e32 v10, 20, v10
	v_and_b32_e32 v12, 0x80000000, v7
	v_lshl_add_u32 v11, v11, 23, v13
	v_or3_b32 v10, v12, v11, v10
.LBB289_48:
	s_or_b64 exec, exec, s[24:25]
	s_movk_i32 s22, 0x7f
	v_cmp_gt_i16_sdwa s[24:25], v5, s22 src0_sel:BYTE_3 src1_sel:DWORD
	s_mov_b64 s[22:23], 0
	s_and_saveexec_b64 s[26:27], s[24:25]
	s_xor_b64 s[24:25], exec, s[26:27]
	s_cbranch_execnz .LBB289_353
; %bb.49:
	s_or_saveexec_b64 s[24:25], s[24:25]
	v_mov_b32_e32 v11, 0x7f800001
	s_xor_b64 exec, exec, s[24:25]
	s_cbranch_execnz .LBB289_356
.LBB289_50:
	s_or_b64 exec, exec, s[24:25]
	s_and_saveexec_b64 s[24:25], s[22:23]
	s_cbranch_execz .LBB289_52
.LBB289_51:
	v_bfe_u32 v11, v5, 24, 3
	v_ffbh_u32_e32 v13, v11
	v_min_u32_e32 v13, 32, v13
	v_subrev_u32_e32 v14, 28, v13
	v_bfe_u32 v12, v5, 27, 4
	v_lshlrev_b32_sdwa v14, v14, v5 dst_sel:DWORD dst_unused:UNUSED_PAD src0_sel:DWORD src1_sel:BYTE_3
	v_sub_u32_e32 v13, 29, v13
	v_and_b32_e32 v14, 7, v14
	v_cmp_eq_u32_e32 vcc, 0, v12
	v_cndmask_b32_e32 v12, v12, v13, vcc
	v_cndmask_b32_e32 v11, v11, v14, vcc
	v_mov_b32_e32 v14, 0x3b800000
	v_lshlrev_b32_e32 v11, 20, v11
	v_and_b32_e32 v13, 0x80000000, v5
	v_lshl_add_u32 v12, v12, 23, v14
	v_or3_b32 v11, v13, v12, v11
.LBB289_52:
	s_or_b64 exec, exec, s[24:25]
	v_cmp_neq_f32_e64 s[22:23], v10, v11
.LBB289_53:
	s_and_b64 vcc, exec, s[4:5]
	s_cbranch_vccnz .LBB289_203
.LBB289_54:
	s_movk_i32 s24, 0x7f
	v_cmp_gt_i16_sdwa s[26:27], v8, s24 src0_sel:BYTE_0 src1_sel:DWORD
	s_mov_b64 s[24:25], 0
	s_and_saveexec_b64 s[28:29], s[26:27]
	s_xor_b64 s[26:27], exec, s[28:29]
	s_cbranch_execnz .LBB289_357
; %bb.55:
	s_or_saveexec_b64 s[26:27], s[26:27]
	v_mov_b32_e32 v5, 0x7f800001
	s_xor_b64 exec, exec, s[26:27]
	s_cbranch_execnz .LBB289_360
.LBB289_56:
	s_or_b64 exec, exec, s[26:27]
	s_and_saveexec_b64 s[26:27], s[24:25]
	s_cbranch_execz .LBB289_58
.LBB289_57:
	v_and_b32_e32 v5, 7, v8
	v_ffbh_u32_e32 v10, v5
	v_min_u32_e32 v10, 32, v10
	v_subrev_u32_e32 v11, 28, v10
	v_bfe_u32 v7, v8, 3, 4
	v_lshlrev_b32_e32 v11, v11, v8
	v_sub_u32_e32 v10, 29, v10
	v_and_b32_e32 v11, 7, v11
	v_cmp_eq_u32_e32 vcc, 0, v7
	v_cndmask_b32_e32 v7, v7, v10, vcc
	v_cndmask_b32_e32 v5, v5, v11, vcc
	v_lshlrev_b32_e32 v10, 24, v8
	v_mov_b32_e32 v11, 0x3b800000
	v_lshlrev_b32_e32 v5, 20, v5
	v_and_b32_e32 v10, 0x80000000, v10
	v_lshl_add_u32 v7, v7, 23, v11
	v_or3_b32 v5, v10, v7, v5
.LBB289_58:
	s_or_b64 exec, exec, s[26:27]
	s_movk_i32 s24, 0x7f
	v_cmp_gt_i16_sdwa s[26:27], v6, s24 src0_sel:BYTE_0 src1_sel:DWORD
	s_mov_b64 s[24:25], 0
	s_and_saveexec_b64 s[28:29], s[26:27]
	s_xor_b64 s[26:27], exec, s[28:29]
	s_cbranch_execnz .LBB289_361
; %bb.59:
	s_or_saveexec_b64 s[26:27], s[26:27]
	v_mov_b32_e32 v7, 0x7f800001
	s_xor_b64 exec, exec, s[26:27]
	s_cbranch_execnz .LBB289_364
.LBB289_60:
	s_or_b64 exec, exec, s[26:27]
	s_and_saveexec_b64 s[26:27], s[24:25]
	s_cbranch_execz .LBB289_62
.LBB289_61:
	v_and_b32_e32 v7, 7, v6
	v_ffbh_u32_e32 v11, v7
	v_min_u32_e32 v11, 32, v11
	v_subrev_u32_e32 v12, 28, v11
	v_bfe_u32 v10, v6, 3, 4
	v_lshlrev_b32_e32 v12, v12, v6
	v_sub_u32_e32 v11, 29, v11
	v_and_b32_e32 v12, 7, v12
	v_cmp_eq_u32_e32 vcc, 0, v10
	v_cndmask_b32_e32 v10, v10, v11, vcc
	v_cndmask_b32_e32 v7, v7, v12, vcc
	v_lshlrev_b32_e32 v11, 24, v6
	v_mov_b32_e32 v12, 0x3b800000
	v_lshlrev_b32_e32 v7, 20, v7
	v_and_b32_e32 v11, 0x80000000, v11
	v_lshl_add_u32 v10, v10, 23, v12
	v_or3_b32 v7, v11, v10, v7
.LBB289_62:
	s_or_b64 exec, exec, s[26:27]
	v_cmp_neq_f32_e64 s[24:25], v5, v7
.LBB289_63:
	v_lshrrev_b32_e32 v7, 8, v8
	s_and_b64 vcc, exec, s[4:5]
	v_lshrrev_b32_e32 v5, 8, v6
	s_cbranch_vccnz .LBB289_213
.LBB289_64:
	s_movk_i32 s26, 0x7f
	v_cmp_gt_i16_sdwa s[28:29], v7, s26 src0_sel:BYTE_0 src1_sel:DWORD
	s_mov_b64 s[26:27], 0
	s_and_saveexec_b64 s[30:31], s[28:29]
	s_xor_b64 s[28:29], exec, s[30:31]
	s_cbranch_execnz .LBB289_365
; %bb.65:
	s_or_saveexec_b64 s[28:29], s[28:29]
	v_mov_b32_e32 v10, 0x7f800001
	s_xor_b64 exec, exec, s[28:29]
	s_cbranch_execnz .LBB289_368
.LBB289_66:
	s_or_b64 exec, exec, s[28:29]
	s_and_saveexec_b64 s[28:29], s[26:27]
	s_cbranch_execz .LBB289_68
.LBB289_67:
	v_bfe_u32 v10, v8, 8, 3
	v_ffbh_u32_e32 v12, v10
	v_min_u32_e32 v12, 32, v12
	v_subrev_u32_e32 v13, 28, v12
	v_bfe_u32 v11, v8, 11, 4
	v_lshlrev_b32_e32 v13, v13, v7
	v_sub_u32_e32 v12, 29, v12
	v_and_b32_e32 v13, 7, v13
	v_cmp_eq_u32_e32 vcc, 0, v11
	v_cndmask_b32_e32 v11, v11, v12, vcc
	v_cndmask_b32_e32 v10, v10, v13, vcc
	v_lshlrev_b32_e32 v12, 24, v7
	v_mov_b32_e32 v13, 0x3b800000
	v_lshlrev_b32_e32 v10, 20, v10
	v_and_b32_e32 v12, 0x80000000, v12
	v_lshl_add_u32 v11, v11, 23, v13
	v_or3_b32 v10, v12, v11, v10
.LBB289_68:
	s_or_b64 exec, exec, s[28:29]
	s_movk_i32 s26, 0x7f
	v_cmp_gt_i16_sdwa s[28:29], v5, s26 src0_sel:BYTE_0 src1_sel:DWORD
	s_mov_b64 s[26:27], 0
	s_and_saveexec_b64 s[30:31], s[28:29]
	s_xor_b64 s[28:29], exec, s[30:31]
	s_cbranch_execnz .LBB289_369
; %bb.69:
	s_or_saveexec_b64 s[28:29], s[28:29]
	v_mov_b32_e32 v11, 0x7f800001
	s_xor_b64 exec, exec, s[28:29]
	s_cbranch_execnz .LBB289_372
.LBB289_70:
	s_or_b64 exec, exec, s[28:29]
	s_and_saveexec_b64 s[28:29], s[26:27]
	s_cbranch_execz .LBB289_72
.LBB289_71:
	v_bfe_u32 v11, v6, 8, 3
	v_ffbh_u32_e32 v13, v11
	v_min_u32_e32 v13, 32, v13
	v_subrev_u32_e32 v14, 28, v13
	v_bfe_u32 v12, v6, 11, 4
	v_lshlrev_b32_e32 v14, v14, v5
	v_sub_u32_e32 v13, 29, v13
	v_and_b32_e32 v14, 7, v14
	v_cmp_eq_u32_e32 vcc, 0, v12
	v_cndmask_b32_e32 v12, v12, v13, vcc
	v_cndmask_b32_e32 v11, v11, v14, vcc
	v_lshlrev_b32_e32 v13, 24, v5
	v_mov_b32_e32 v14, 0x3b800000
	v_lshlrev_b32_e32 v11, 20, v11
	v_and_b32_e32 v13, 0x80000000, v13
	v_lshl_add_u32 v12, v12, 23, v14
	v_or3_b32 v11, v13, v12, v11
.LBB289_72:
	s_or_b64 exec, exec, s[28:29]
	v_cmp_neq_f32_e64 s[26:27], v10, v11
.LBB289_73:
	s_and_b64 vcc, exec, s[4:5]
	s_cbranch_vccnz .LBB289_223
.LBB289_74:
	s_movk_i32 s28, 0xff
	v_and_b32_sdwa v7, v8, s28 dst_sel:DWORD dst_unused:UNUSED_PAD src0_sel:WORD_1 src1_sel:DWORD
	s_movk_i32 s28, 0x7f
	v_cmp_lt_i16_e32 vcc, s28, v7
	s_mov_b64 s[28:29], 0
	s_and_saveexec_b64 s[30:31], vcc
	s_xor_b64 s[30:31], exec, s[30:31]
	s_cbranch_execnz .LBB289_373
; %bb.75:
	s_or_saveexec_b64 s[30:31], s[30:31]
	v_mov_b32_e32 v5, 0x7f800001
	s_xor_b64 exec, exec, s[30:31]
	s_cbranch_execnz .LBB289_376
.LBB289_76:
	s_or_b64 exec, exec, s[30:31]
	s_and_saveexec_b64 s[30:31], s[28:29]
	s_cbranch_execz .LBB289_78
.LBB289_77:
	v_bfe_u32 v5, v8, 16, 3
	v_ffbh_u32_e32 v10, v5
	v_min_u32_e32 v10, 32, v10
	v_bfe_u32 v7, v8, 19, 4
	v_subrev_u32_e32 v11, 28, v10
	v_lshlrev_b32_sdwa v11, v11, v8 dst_sel:DWORD dst_unused:UNUSED_PAD src0_sel:DWORD src1_sel:WORD_1
	v_sub_u32_e32 v10, 29, v10
	v_cmp_eq_u32_e32 vcc, 0, v7
	v_and_b32_e32 v11, 7, v11
	v_cndmask_b32_e32 v7, v7, v10, vcc
	v_mov_b32_e32 v10, 24
	v_cndmask_b32_e32 v5, v5, v11, vcc
	v_lshlrev_b32_sdwa v10, v10, v8 dst_sel:DWORD dst_unused:UNUSED_PAD src0_sel:DWORD src1_sel:WORD_1
	v_mov_b32_e32 v11, 0x3b800000
	v_lshlrev_b32_e32 v5, 20, v5
	v_and_b32_e32 v10, 0x80000000, v10
	v_lshl_add_u32 v7, v7, 23, v11
	v_or3_b32 v5, v10, v7, v5
.LBB289_78:
	s_or_b64 exec, exec, s[30:31]
	s_movk_i32 s28, 0xff
	v_and_b32_sdwa v7, v6, s28 dst_sel:DWORD dst_unused:UNUSED_PAD src0_sel:WORD_1 src1_sel:DWORD
	s_movk_i32 s28, 0x7f
	v_cmp_lt_i16_e32 vcc, s28, v7
	s_mov_b64 s[28:29], 0
	s_and_saveexec_b64 s[30:31], vcc
	s_xor_b64 s[30:31], exec, s[30:31]
	s_cbranch_execnz .LBB289_377
; %bb.79:
	s_or_saveexec_b64 s[30:31], s[30:31]
	v_mov_b32_e32 v10, 0x7f800001
	s_xor_b64 exec, exec, s[30:31]
	s_cbranch_execnz .LBB289_380
.LBB289_80:
	s_or_b64 exec, exec, s[30:31]
	s_and_saveexec_b64 s[30:31], s[28:29]
	s_cbranch_execz .LBB289_82
.LBB289_81:
	v_bfe_u32 v7, v6, 16, 3
	v_ffbh_u32_e32 v11, v7
	v_min_u32_e32 v11, 32, v11
	v_bfe_u32 v10, v6, 19, 4
	v_subrev_u32_e32 v12, 28, v11
	v_lshlrev_b32_sdwa v12, v12, v6 dst_sel:DWORD dst_unused:UNUSED_PAD src0_sel:DWORD src1_sel:WORD_1
	v_sub_u32_e32 v11, 29, v11
	v_cmp_eq_u32_e32 vcc, 0, v10
	v_and_b32_e32 v12, 7, v12
	v_cndmask_b32_e32 v10, v10, v11, vcc
	v_mov_b32_e32 v11, 24
	v_cndmask_b32_e32 v7, v7, v12, vcc
	v_lshlrev_b32_sdwa v11, v11, v6 dst_sel:DWORD dst_unused:UNUSED_PAD src0_sel:DWORD src1_sel:WORD_1
	v_mov_b32_e32 v12, 0x3b800000
	v_lshlrev_b32_e32 v7, 20, v7
	v_and_b32_e32 v11, 0x80000000, v11
	v_lshl_add_u32 v10, v10, 23, v12
	v_or3_b32 v10, v11, v10, v7
.LBB289_82:
	s_or_b64 exec, exec, s[30:31]
	v_cmp_neq_f32_e64 s[28:29], v5, v10
.LBB289_83:
	s_and_b64 vcc, exec, s[4:5]
	s_cbranch_vccnz .LBB289_233
.LBB289_84:
	s_movk_i32 s30, 0x7f
	v_cmp_gt_i16_sdwa s[34:35], v8, s30 src0_sel:BYTE_3 src1_sel:DWORD
	s_mov_b64 s[30:31], 0
	s_and_saveexec_b64 s[36:37], s[34:35]
	s_xor_b64 s[34:35], exec, s[36:37]
	s_cbranch_execnz .LBB289_381
; %bb.85:
	s_or_saveexec_b64 s[34:35], s[34:35]
	v_mov_b32_e32 v5, 0x7f800001
	s_xor_b64 exec, exec, s[34:35]
	s_cbranch_execnz .LBB289_384
.LBB289_86:
	s_or_b64 exec, exec, s[34:35]
	s_and_saveexec_b64 s[34:35], s[30:31]
	s_cbranch_execz .LBB289_88
.LBB289_87:
	v_bfe_u32 v5, v8, 24, 3
	v_ffbh_u32_e32 v10, v5
	v_min_u32_e32 v10, 32, v10
	v_subrev_u32_e32 v11, 28, v10
	v_bfe_u32 v7, v8, 27, 4
	v_lshlrev_b32_sdwa v11, v11, v8 dst_sel:DWORD dst_unused:UNUSED_PAD src0_sel:DWORD src1_sel:BYTE_3
	v_sub_u32_e32 v10, 29, v10
	v_and_b32_e32 v11, 7, v11
	v_cmp_eq_u32_e32 vcc, 0, v7
	v_cndmask_b32_e32 v7, v7, v10, vcc
	v_cndmask_b32_e32 v5, v5, v11, vcc
	v_mov_b32_e32 v11, 0x3b800000
	v_lshlrev_b32_e32 v5, 20, v5
	v_and_b32_e32 v10, 0x80000000, v8
	v_lshl_add_u32 v7, v7, 23, v11
	v_or3_b32 v5, v10, v7, v5
.LBB289_88:
	s_or_b64 exec, exec, s[34:35]
	s_movk_i32 s30, 0x7f
	v_cmp_gt_i16_sdwa s[34:35], v6, s30 src0_sel:BYTE_3 src1_sel:DWORD
	s_mov_b64 s[30:31], 0
	s_and_saveexec_b64 s[36:37], s[34:35]
	s_xor_b64 s[34:35], exec, s[36:37]
	s_cbranch_execnz .LBB289_385
; %bb.89:
	s_or_saveexec_b64 s[34:35], s[34:35]
	v_mov_b32_e32 v7, 0x7f800001
	s_xor_b64 exec, exec, s[34:35]
	s_cbranch_execnz .LBB289_388
.LBB289_90:
	s_or_b64 exec, exec, s[34:35]
	s_and_saveexec_b64 s[34:35], s[30:31]
	s_cbranch_execz .LBB289_92
.LBB289_91:
	v_bfe_u32 v7, v6, 24, 3
	v_ffbh_u32_e32 v11, v7
	v_min_u32_e32 v11, 32, v11
	v_subrev_u32_e32 v12, 28, v11
	v_bfe_u32 v10, v6, 27, 4
	v_lshlrev_b32_sdwa v12, v12, v6 dst_sel:DWORD dst_unused:UNUSED_PAD src0_sel:DWORD src1_sel:BYTE_3
	v_sub_u32_e32 v11, 29, v11
	v_and_b32_e32 v12, 7, v12
	v_cmp_eq_u32_e32 vcc, 0, v10
	v_cndmask_b32_e32 v10, v10, v11, vcc
	v_cndmask_b32_e32 v7, v7, v12, vcc
	v_mov_b32_e32 v12, 0x3b800000
	v_lshlrev_b32_e32 v7, 20, v7
	v_and_b32_e32 v11, 0x80000000, v6
	v_lshl_add_u32 v10, v10, 23, v12
	v_or3_b32 v7, v11, v10, v7
.LBB289_92:
	s_or_b64 exec, exec, s[34:35]
	v_cmp_neq_f32_e64 s[30:31], v5, v7
.LBB289_93:
	s_and_b64 vcc, exec, s[4:5]
	s_cbranch_vccnz .LBB289_243
.LBB289_94:
	s_movk_i32 s34, 0x7f
	v_cmp_gt_i16_sdwa s[36:37], v3, s34 src0_sel:BYTE_0 src1_sel:DWORD
	s_mov_b64 s[34:35], 0
	s_and_saveexec_b64 s[38:39], s[36:37]
	s_xor_b64 s[36:37], exec, s[38:39]
	s_cbranch_execnz .LBB289_389
; %bb.95:
	s_or_saveexec_b64 s[36:37], s[36:37]
	v_mov_b32_e32 v5, 0x7f800001
	s_xor_b64 exec, exec, s[36:37]
	s_cbranch_execnz .LBB289_392
.LBB289_96:
	s_or_b64 exec, exec, s[36:37]
	s_and_saveexec_b64 s[36:37], s[34:35]
	s_cbranch_execz .LBB289_98
.LBB289_97:
	v_and_b32_e32 v5, 7, v3
	v_ffbh_u32_e32 v7, v5
	v_min_u32_e32 v7, 32, v7
	v_subrev_u32_e32 v8, 28, v7
	v_bfe_u32 v6, v3, 3, 4
	v_lshlrev_b32_e32 v8, v8, v3
	v_sub_u32_e32 v7, 29, v7
	v_and_b32_e32 v8, 7, v8
	v_cmp_eq_u32_e32 vcc, 0, v6
	v_cndmask_b32_e32 v6, v6, v7, vcc
	v_cndmask_b32_e32 v5, v5, v8, vcc
	v_lshlrev_b32_e32 v7, 24, v3
	v_mov_b32_e32 v8, 0x3b800000
	v_lshlrev_b32_e32 v5, 20, v5
	v_and_b32_e32 v7, 0x80000000, v7
	v_lshl_add_u32 v6, v6, 23, v8
	v_or3_b32 v5, v7, v6, v5
.LBB289_98:
	s_or_b64 exec, exec, s[36:37]
	s_movk_i32 s34, 0x7f
	s_waitcnt vmcnt(0)
	v_cmp_gt_i16_sdwa s[36:37], v1, s34 src0_sel:BYTE_0 src1_sel:DWORD
	s_mov_b64 s[34:35], 0
	s_and_saveexec_b64 s[38:39], s[36:37]
	s_xor_b64 s[36:37], exec, s[38:39]
	s_cbranch_execnz .LBB289_393
; %bb.99:
	s_or_saveexec_b64 s[36:37], s[36:37]
	v_mov_b32_e32 v6, 0x7f800001
	s_xor_b64 exec, exec, s[36:37]
	s_cbranch_execnz .LBB289_396
.LBB289_100:
	s_or_b64 exec, exec, s[36:37]
	s_and_saveexec_b64 s[36:37], s[34:35]
	s_cbranch_execz .LBB289_102
.LBB289_101:
	v_and_b32_e32 v6, 7, v1
	v_ffbh_u32_e32 v8, v6
	v_min_u32_e32 v8, 32, v8
	v_subrev_u32_e32 v10, 28, v8
	v_bfe_u32 v7, v1, 3, 4
	v_lshlrev_b32_e32 v10, v10, v1
	v_sub_u32_e32 v8, 29, v8
	v_and_b32_e32 v10, 7, v10
	v_cmp_eq_u32_e32 vcc, 0, v7
	v_cndmask_b32_e32 v7, v7, v8, vcc
	v_cndmask_b32_e32 v6, v6, v10, vcc
	v_lshlrev_b32_e32 v8, 24, v1
	v_mov_b32_e32 v10, 0x3b800000
	v_lshlrev_b32_e32 v6, 20, v6
	v_and_b32_e32 v8, 0x80000000, v8
	v_lshl_add_u32 v7, v7, 23, v10
	v_or3_b32 v6, v8, v7, v6
.LBB289_102:
	s_or_b64 exec, exec, s[36:37]
	v_cmp_neq_f32_e64 s[34:35], v5, v6
.LBB289_103:
	v_lshrrev_b32_e32 v6, 8, v3
	s_and_b64 vcc, exec, s[4:5]
	s_waitcnt vmcnt(0)
	v_lshrrev_b32_e32 v5, 8, v1
	s_cbranch_vccnz .LBB289_253
.LBB289_104:
	s_movk_i32 s36, 0x7f
	v_cmp_gt_i16_sdwa s[38:39], v6, s36 src0_sel:BYTE_0 src1_sel:DWORD
	s_mov_b64 s[36:37], 0
	s_and_saveexec_b64 s[40:41], s[38:39]
	s_xor_b64 s[38:39], exec, s[40:41]
	s_cbranch_execnz .LBB289_397
; %bb.105:
	s_or_saveexec_b64 s[38:39], s[38:39]
	v_mov_b32_e32 v7, 0x7f800001
	s_xor_b64 exec, exec, s[38:39]
	s_cbranch_execnz .LBB289_400
.LBB289_106:
	s_or_b64 exec, exec, s[38:39]
	s_and_saveexec_b64 s[38:39], s[36:37]
	s_cbranch_execz .LBB289_108
.LBB289_107:
	v_bfe_u32 v7, v3, 8, 3
	v_ffbh_u32_e32 v10, v7
	v_min_u32_e32 v10, 32, v10
	v_subrev_u32_e32 v11, 28, v10
	v_bfe_u32 v8, v3, 11, 4
	v_lshlrev_b32_e32 v11, v11, v6
	v_sub_u32_e32 v10, 29, v10
	v_and_b32_e32 v11, 7, v11
	v_cmp_eq_u32_e32 vcc, 0, v8
	v_cndmask_b32_e32 v8, v8, v10, vcc
	v_cndmask_b32_e32 v7, v7, v11, vcc
	v_lshlrev_b32_e32 v10, 24, v6
	v_mov_b32_e32 v11, 0x3b800000
	v_lshlrev_b32_e32 v7, 20, v7
	v_and_b32_e32 v10, 0x80000000, v10
	v_lshl_add_u32 v8, v8, 23, v11
	v_or3_b32 v7, v10, v8, v7
.LBB289_108:
	s_or_b64 exec, exec, s[38:39]
	s_movk_i32 s36, 0x7f
	v_cmp_gt_i16_sdwa s[38:39], v5, s36 src0_sel:BYTE_0 src1_sel:DWORD
	s_mov_b64 s[36:37], 0
	s_and_saveexec_b64 s[40:41], s[38:39]
	s_xor_b64 s[38:39], exec, s[40:41]
	s_cbranch_execnz .LBB289_401
; %bb.109:
	s_or_saveexec_b64 s[38:39], s[38:39]
	v_mov_b32_e32 v8, 0x7f800001
	s_xor_b64 exec, exec, s[38:39]
	s_cbranch_execnz .LBB289_404
.LBB289_110:
	s_or_b64 exec, exec, s[38:39]
	s_and_saveexec_b64 s[38:39], s[36:37]
	s_cbranch_execz .LBB289_112
.LBB289_111:
	v_bfe_u32 v8, v1, 8, 3
	v_ffbh_u32_e32 v11, v8
	v_min_u32_e32 v11, 32, v11
	v_subrev_u32_e32 v12, 28, v11
	v_bfe_u32 v10, v1, 11, 4
	v_lshlrev_b32_e32 v12, v12, v5
	v_sub_u32_e32 v11, 29, v11
	v_and_b32_e32 v12, 7, v12
	v_cmp_eq_u32_e32 vcc, 0, v10
	v_cndmask_b32_e32 v10, v10, v11, vcc
	v_cndmask_b32_e32 v8, v8, v12, vcc
	v_lshlrev_b32_e32 v11, 24, v5
	v_mov_b32_e32 v12, 0x3b800000
	v_lshlrev_b32_e32 v8, 20, v8
	v_and_b32_e32 v11, 0x80000000, v11
	v_lshl_add_u32 v10, v10, 23, v12
	v_or3_b32 v8, v11, v10, v8
.LBB289_112:
	s_or_b64 exec, exec, s[38:39]
	v_cmp_neq_f32_e64 s[36:37], v7, v8
.LBB289_113:
	s_and_b64 vcc, exec, s[4:5]
	s_cbranch_vccnz .LBB289_263
.LBB289_114:
	s_movk_i32 s38, 0xff
	v_and_b32_sdwa v6, v3, s38 dst_sel:DWORD dst_unused:UNUSED_PAD src0_sel:WORD_1 src1_sel:DWORD
	s_movk_i32 s38, 0x7f
	v_cmp_lt_i16_e32 vcc, s38, v6
	s_mov_b64 s[38:39], 0
	s_and_saveexec_b64 s[40:41], vcc
	s_xor_b64 s[40:41], exec, s[40:41]
	s_cbranch_execnz .LBB289_405
; %bb.115:
	s_or_saveexec_b64 s[40:41], s[40:41]
	v_mov_b32_e32 v5, 0x7f800001
	s_xor_b64 exec, exec, s[40:41]
	s_cbranch_execnz .LBB289_408
.LBB289_116:
	s_or_b64 exec, exec, s[40:41]
	s_and_saveexec_b64 s[40:41], s[38:39]
	s_cbranch_execz .LBB289_118
.LBB289_117:
	v_bfe_u32 v5, v3, 16, 3
	v_ffbh_u32_e32 v7, v5
	v_min_u32_e32 v7, 32, v7
	v_bfe_u32 v6, v3, 19, 4
	v_subrev_u32_e32 v8, 28, v7
	v_lshlrev_b32_sdwa v8, v8, v3 dst_sel:DWORD dst_unused:UNUSED_PAD src0_sel:DWORD src1_sel:WORD_1
	v_sub_u32_e32 v7, 29, v7
	v_cmp_eq_u32_e32 vcc, 0, v6
	v_and_b32_e32 v8, 7, v8
	v_cndmask_b32_e32 v6, v6, v7, vcc
	v_mov_b32_e32 v7, 24
	v_cndmask_b32_e32 v5, v5, v8, vcc
	v_lshlrev_b32_sdwa v7, v7, v3 dst_sel:DWORD dst_unused:UNUSED_PAD src0_sel:DWORD src1_sel:WORD_1
	v_mov_b32_e32 v8, 0x3b800000
	v_lshlrev_b32_e32 v5, 20, v5
	v_and_b32_e32 v7, 0x80000000, v7
	v_lshl_add_u32 v6, v6, 23, v8
	v_or3_b32 v5, v7, v6, v5
.LBB289_118:
	s_or_b64 exec, exec, s[40:41]
	s_movk_i32 s38, 0xff
	v_and_b32_sdwa v6, v1, s38 dst_sel:DWORD dst_unused:UNUSED_PAD src0_sel:WORD_1 src1_sel:DWORD
	s_movk_i32 s38, 0x7f
	v_cmp_lt_i16_e32 vcc, s38, v6
	s_mov_b64 s[38:39], 0
	s_and_saveexec_b64 s[40:41], vcc
	s_xor_b64 s[40:41], exec, s[40:41]
	s_cbranch_execnz .LBB289_409
; %bb.119:
	s_or_saveexec_b64 s[40:41], s[40:41]
	v_mov_b32_e32 v7, 0x7f800001
	s_xor_b64 exec, exec, s[40:41]
	s_cbranch_execnz .LBB289_412
.LBB289_120:
	s_or_b64 exec, exec, s[40:41]
	s_and_saveexec_b64 s[40:41], s[38:39]
	s_cbranch_execz .LBB289_122
.LBB289_121:
	v_bfe_u32 v6, v1, 16, 3
	v_ffbh_u32_e32 v8, v6
	v_min_u32_e32 v8, 32, v8
	v_bfe_u32 v7, v1, 19, 4
	v_subrev_u32_e32 v10, 28, v8
	v_lshlrev_b32_sdwa v10, v10, v1 dst_sel:DWORD dst_unused:UNUSED_PAD src0_sel:DWORD src1_sel:WORD_1
	v_sub_u32_e32 v8, 29, v8
	v_cmp_eq_u32_e32 vcc, 0, v7
	v_and_b32_e32 v10, 7, v10
	v_cndmask_b32_e32 v7, v7, v8, vcc
	v_mov_b32_e32 v8, 24
	v_cndmask_b32_e32 v6, v6, v10, vcc
	v_lshlrev_b32_sdwa v8, v8, v1 dst_sel:DWORD dst_unused:UNUSED_PAD src0_sel:DWORD src1_sel:WORD_1
	v_mov_b32_e32 v10, 0x3b800000
	v_lshlrev_b32_e32 v6, 20, v6
	v_and_b32_e32 v8, 0x80000000, v8
	v_lshl_add_u32 v7, v7, 23, v10
	v_or3_b32 v7, v8, v7, v6
.LBB289_122:
	s_or_b64 exec, exec, s[40:41]
	v_cmp_neq_f32_e64 s[38:39], v5, v7
.LBB289_123:
	s_and_b64 vcc, exec, s[4:5]
	s_cbranch_vccnz .LBB289_273
.LBB289_124:
	s_movk_i32 s40, 0x7f
	v_cmp_gt_i16_sdwa s[42:43], v3, s40 src0_sel:BYTE_3 src1_sel:DWORD
	s_mov_b64 s[40:41], 0
	s_and_saveexec_b64 s[44:45], s[42:43]
	s_xor_b64 s[42:43], exec, s[44:45]
	s_cbranch_execnz .LBB289_413
; %bb.125:
	s_or_saveexec_b64 s[42:43], s[42:43]
	v_mov_b32_e32 v5, 0x7f800001
	s_xor_b64 exec, exec, s[42:43]
	s_cbranch_execnz .LBB289_416
.LBB289_126:
	s_or_b64 exec, exec, s[42:43]
	s_and_saveexec_b64 s[42:43], s[40:41]
	s_cbranch_execz .LBB289_128
.LBB289_127:
	v_bfe_u32 v5, v3, 24, 3
	v_ffbh_u32_e32 v7, v5
	v_min_u32_e32 v7, 32, v7
	v_subrev_u32_e32 v8, 28, v7
	v_bfe_u32 v6, v3, 27, 4
	v_lshlrev_b32_sdwa v8, v8, v3 dst_sel:DWORD dst_unused:UNUSED_PAD src0_sel:DWORD src1_sel:BYTE_3
	v_sub_u32_e32 v7, 29, v7
	v_and_b32_e32 v8, 7, v8
	v_cmp_eq_u32_e32 vcc, 0, v6
	v_cndmask_b32_e32 v6, v6, v7, vcc
	v_cndmask_b32_e32 v5, v5, v8, vcc
	v_mov_b32_e32 v8, 0x3b800000
	v_lshlrev_b32_e32 v5, 20, v5
	v_and_b32_e32 v7, 0x80000000, v3
	v_lshl_add_u32 v6, v6, 23, v8
	v_or3_b32 v5, v7, v6, v5
.LBB289_128:
	s_or_b64 exec, exec, s[42:43]
	s_movk_i32 s40, 0x7f
	v_cmp_gt_i16_sdwa s[42:43], v1, s40 src0_sel:BYTE_3 src1_sel:DWORD
	s_mov_b64 s[40:41], 0
	s_and_saveexec_b64 s[44:45], s[42:43]
	s_xor_b64 s[42:43], exec, s[44:45]
	s_cbranch_execnz .LBB289_417
; %bb.129:
	s_or_saveexec_b64 s[42:43], s[42:43]
	v_mov_b32_e32 v6, 0x7f800001
	s_xor_b64 exec, exec, s[42:43]
	s_cbranch_execnz .LBB289_420
.LBB289_130:
	s_or_b64 exec, exec, s[42:43]
	s_and_saveexec_b64 s[42:43], s[40:41]
	s_cbranch_execz .LBB289_132
.LBB289_131:
	v_bfe_u32 v6, v1, 24, 3
	v_ffbh_u32_e32 v8, v6
	v_min_u32_e32 v8, 32, v8
	v_subrev_u32_e32 v10, 28, v8
	v_bfe_u32 v7, v1, 27, 4
	v_lshlrev_b32_sdwa v10, v10, v1 dst_sel:DWORD dst_unused:UNUSED_PAD src0_sel:DWORD src1_sel:BYTE_3
	v_sub_u32_e32 v8, 29, v8
	v_and_b32_e32 v10, 7, v10
	v_cmp_eq_u32_e32 vcc, 0, v7
	v_cndmask_b32_e32 v7, v7, v8, vcc
	v_cndmask_b32_e32 v6, v6, v10, vcc
	v_mov_b32_e32 v10, 0x3b800000
	v_lshlrev_b32_e32 v6, 20, v6
	v_and_b32_e32 v8, 0x80000000, v1
	v_lshl_add_u32 v7, v7, 23, v10
	v_or3_b32 v6, v8, v7, v6
.LBB289_132:
	s_or_b64 exec, exec, s[42:43]
	v_cmp_neq_f32_e64 s[40:41], v5, v6
.LBB289_133:
	s_and_b64 vcc, exec, s[4:5]
	s_cbranch_vccnz .LBB289_283
.LBB289_134:
	s_movk_i32 s42, 0x7f
	v_cmp_gt_i16_sdwa s[44:45], v4, s42 src0_sel:BYTE_0 src1_sel:DWORD
	s_mov_b64 s[42:43], 0
	s_and_saveexec_b64 s[46:47], s[44:45]
	s_xor_b64 s[44:45], exec, s[46:47]
	s_cbranch_execnz .LBB289_421
; %bb.135:
	s_or_saveexec_b64 s[44:45], s[44:45]
	v_mov_b32_e32 v1, 0x7f800001
	s_xor_b64 exec, exec, s[44:45]
	s_cbranch_execnz .LBB289_424
.LBB289_136:
	s_or_b64 exec, exec, s[44:45]
	s_and_saveexec_b64 s[44:45], s[42:43]
	s_cbranch_execz .LBB289_138
.LBB289_137:
	v_and_b32_e32 v1, 7, v4
	v_ffbh_u32_e32 v5, v1
	v_min_u32_e32 v5, 32, v5
	v_subrev_u32_e32 v6, 28, v5
	v_bfe_u32 v3, v4, 3, 4
	v_lshlrev_b32_e32 v6, v6, v4
	v_sub_u32_e32 v5, 29, v5
	v_and_b32_e32 v6, 7, v6
	v_cmp_eq_u32_e32 vcc, 0, v3
	v_cndmask_b32_e32 v3, v3, v5, vcc
	v_cndmask_b32_e32 v1, v1, v6, vcc
	v_lshlrev_b32_e32 v5, 24, v4
	v_mov_b32_e32 v6, 0x3b800000
	v_lshlrev_b32_e32 v1, 20, v1
	v_and_b32_e32 v5, 0x80000000, v5
	v_lshl_add_u32 v3, v3, 23, v6
	v_or3_b32 v1, v5, v3, v1
.LBB289_138:
	s_or_b64 exec, exec, s[44:45]
	s_movk_i32 s42, 0x7f
	v_cmp_gt_i16_sdwa s[44:45], v2, s42 src0_sel:BYTE_0 src1_sel:DWORD
	s_mov_b64 s[42:43], 0
	s_and_saveexec_b64 s[46:47], s[44:45]
	s_xor_b64 s[44:45], exec, s[46:47]
	s_cbranch_execnz .LBB289_425
; %bb.139:
	s_or_saveexec_b64 s[44:45], s[44:45]
	v_mov_b32_e32 v3, 0x7f800001
	s_xor_b64 exec, exec, s[44:45]
	s_cbranch_execnz .LBB289_428
.LBB289_140:
	s_or_b64 exec, exec, s[44:45]
	s_and_saveexec_b64 s[44:45], s[42:43]
	s_cbranch_execz .LBB289_142
.LBB289_141:
	v_and_b32_e32 v3, 7, v2
	v_ffbh_u32_e32 v6, v3
	v_min_u32_e32 v6, 32, v6
	v_subrev_u32_e32 v7, 28, v6
	v_bfe_u32 v5, v2, 3, 4
	v_lshlrev_b32_e32 v7, v7, v2
	v_sub_u32_e32 v6, 29, v6
	v_and_b32_e32 v7, 7, v7
	v_cmp_eq_u32_e32 vcc, 0, v5
	v_cndmask_b32_e32 v5, v5, v6, vcc
	v_cndmask_b32_e32 v3, v3, v7, vcc
	v_lshlrev_b32_e32 v6, 24, v2
	v_mov_b32_e32 v7, 0x3b800000
	v_lshlrev_b32_e32 v3, 20, v3
	v_and_b32_e32 v6, 0x80000000, v6
	v_lshl_add_u32 v5, v5, 23, v7
	v_or3_b32 v3, v6, v5, v3
.LBB289_142:
	s_or_b64 exec, exec, s[44:45]
	v_cmp_neq_f32_e64 s[42:43], v1, v3
.LBB289_143:
	v_lshrrev_b32_e32 v3, 8, v4
	s_and_b64 vcc, exec, s[4:5]
	v_lshrrev_b32_e32 v1, 8, v2
	s_cbranch_vccnz .LBB289_293
.LBB289_144:
	s_movk_i32 s44, 0x7f
	v_cmp_gt_i16_sdwa s[46:47], v3, s44 src0_sel:BYTE_0 src1_sel:DWORD
	s_mov_b64 s[44:45], 0
	s_and_saveexec_b64 s[48:49], s[46:47]
	s_xor_b64 s[46:47], exec, s[48:49]
	s_cbranch_execnz .LBB289_429
; %bb.145:
	s_or_saveexec_b64 s[46:47], s[46:47]
	v_mov_b32_e32 v5, 0x7f800001
	s_xor_b64 exec, exec, s[46:47]
	s_cbranch_execnz .LBB289_432
.LBB289_146:
	s_or_b64 exec, exec, s[46:47]
	s_and_saveexec_b64 s[46:47], s[44:45]
	s_cbranch_execz .LBB289_148
.LBB289_147:
	v_bfe_u32 v5, v4, 8, 3
	v_ffbh_u32_e32 v7, v5
	v_min_u32_e32 v7, 32, v7
	v_subrev_u32_e32 v8, 28, v7
	v_bfe_u32 v6, v4, 11, 4
	v_lshlrev_b32_e32 v8, v8, v3
	v_sub_u32_e32 v7, 29, v7
	v_and_b32_e32 v8, 7, v8
	v_cmp_eq_u32_e32 vcc, 0, v6
	v_cndmask_b32_e32 v6, v6, v7, vcc
	v_cndmask_b32_e32 v5, v5, v8, vcc
	v_lshlrev_b32_e32 v7, 24, v3
	v_mov_b32_e32 v8, 0x3b800000
	v_lshlrev_b32_e32 v5, 20, v5
	v_and_b32_e32 v7, 0x80000000, v7
	v_lshl_add_u32 v6, v6, 23, v8
	v_or3_b32 v5, v7, v6, v5
.LBB289_148:
	s_or_b64 exec, exec, s[46:47]
	s_movk_i32 s44, 0x7f
	v_cmp_gt_i16_sdwa s[46:47], v1, s44 src0_sel:BYTE_0 src1_sel:DWORD
	s_mov_b64 s[44:45], 0
	s_and_saveexec_b64 s[48:49], s[46:47]
	s_xor_b64 s[46:47], exec, s[48:49]
	s_cbranch_execnz .LBB289_433
; %bb.149:
	s_or_saveexec_b64 s[46:47], s[46:47]
	v_mov_b32_e32 v6, 0x7f800001
	s_xor_b64 exec, exec, s[46:47]
	s_cbranch_execnz .LBB289_436
.LBB289_150:
	s_or_b64 exec, exec, s[46:47]
	s_and_saveexec_b64 s[46:47], s[44:45]
	s_cbranch_execz .LBB289_152
.LBB289_151:
	v_bfe_u32 v6, v2, 8, 3
	v_ffbh_u32_e32 v8, v6
	v_min_u32_e32 v8, 32, v8
	v_subrev_u32_e32 v10, 28, v8
	v_bfe_u32 v7, v2, 11, 4
	v_lshlrev_b32_e32 v10, v10, v1
	v_sub_u32_e32 v8, 29, v8
	v_and_b32_e32 v10, 7, v10
	v_cmp_eq_u32_e32 vcc, 0, v7
	v_cndmask_b32_e32 v7, v7, v8, vcc
	v_cndmask_b32_e32 v6, v6, v10, vcc
	v_lshlrev_b32_e32 v8, 24, v1
	v_mov_b32_e32 v10, 0x3b800000
	v_lshlrev_b32_e32 v6, 20, v6
	v_and_b32_e32 v8, 0x80000000, v8
	v_lshl_add_u32 v7, v7, 23, v10
	v_or3_b32 v6, v8, v7, v6
.LBB289_152:
	s_or_b64 exec, exec, s[46:47]
	v_cmp_neq_f32_e64 s[44:45], v5, v6
.LBB289_153:
	s_and_b64 vcc, exec, s[4:5]
	s_cbranch_vccnz .LBB289_303
.LBB289_154:
	s_movk_i32 s46, 0xff
	v_and_b32_sdwa v3, v4, s46 dst_sel:DWORD dst_unused:UNUSED_PAD src0_sel:WORD_1 src1_sel:DWORD
	s_movk_i32 s46, 0x7f
	v_cmp_lt_i16_e32 vcc, s46, v3
	s_mov_b64 s[46:47], 0
	s_and_saveexec_b64 s[48:49], vcc
	s_xor_b64 s[48:49], exec, s[48:49]
	s_cbranch_execnz .LBB289_437
; %bb.155:
	s_or_saveexec_b64 s[48:49], s[48:49]
	v_mov_b32_e32 v1, 0x7f800001
	s_xor_b64 exec, exec, s[48:49]
	s_cbranch_execnz .LBB289_440
.LBB289_156:
	s_or_b64 exec, exec, s[48:49]
	s_and_saveexec_b64 s[48:49], s[46:47]
	s_cbranch_execz .LBB289_158
.LBB289_157:
	v_bfe_u32 v1, v4, 16, 3
	v_ffbh_u32_e32 v5, v1
	v_min_u32_e32 v5, 32, v5
	v_bfe_u32 v3, v4, 19, 4
	v_subrev_u32_e32 v6, 28, v5
	v_lshlrev_b32_sdwa v6, v6, v4 dst_sel:DWORD dst_unused:UNUSED_PAD src0_sel:DWORD src1_sel:WORD_1
	v_sub_u32_e32 v5, 29, v5
	v_cmp_eq_u32_e32 vcc, 0, v3
	v_and_b32_e32 v6, 7, v6
	v_cndmask_b32_e32 v3, v3, v5, vcc
	v_mov_b32_e32 v5, 24
	v_cndmask_b32_e32 v1, v1, v6, vcc
	v_lshlrev_b32_sdwa v5, v5, v4 dst_sel:DWORD dst_unused:UNUSED_PAD src0_sel:DWORD src1_sel:WORD_1
	v_mov_b32_e32 v6, 0x3b800000
	v_lshlrev_b32_e32 v1, 20, v1
	v_and_b32_e32 v5, 0x80000000, v5
	v_lshl_add_u32 v3, v3, 23, v6
	v_or3_b32 v1, v5, v3, v1
.LBB289_158:
	s_or_b64 exec, exec, s[48:49]
	s_movk_i32 s46, 0xff
	v_and_b32_sdwa v3, v2, s46 dst_sel:DWORD dst_unused:UNUSED_PAD src0_sel:WORD_1 src1_sel:DWORD
	s_movk_i32 s46, 0x7f
	v_cmp_lt_i16_e32 vcc, s46, v3
	s_mov_b64 s[46:47], 0
	s_and_saveexec_b64 s[48:49], vcc
	s_xor_b64 s[48:49], exec, s[48:49]
	s_cbranch_execnz .LBB289_441
; %bb.159:
	s_or_saveexec_b64 s[48:49], s[48:49]
	v_mov_b32_e32 v5, 0x7f800001
	s_xor_b64 exec, exec, s[48:49]
	s_cbranch_execnz .LBB289_444
.LBB289_160:
	s_or_b64 exec, exec, s[48:49]
	s_and_saveexec_b64 s[48:49], s[46:47]
	s_cbranch_execz .LBB289_162
.LBB289_161:
	v_bfe_u32 v3, v2, 16, 3
	v_ffbh_u32_e32 v6, v3
	v_min_u32_e32 v6, 32, v6
	v_bfe_u32 v5, v2, 19, 4
	v_subrev_u32_e32 v7, 28, v6
	v_lshlrev_b32_sdwa v7, v7, v2 dst_sel:DWORD dst_unused:UNUSED_PAD src0_sel:DWORD src1_sel:WORD_1
	v_sub_u32_e32 v6, 29, v6
	v_cmp_eq_u32_e32 vcc, 0, v5
	v_and_b32_e32 v7, 7, v7
	v_cndmask_b32_e32 v5, v5, v6, vcc
	v_mov_b32_e32 v6, 24
	v_cndmask_b32_e32 v3, v3, v7, vcc
	v_lshlrev_b32_sdwa v6, v6, v2 dst_sel:DWORD dst_unused:UNUSED_PAD src0_sel:DWORD src1_sel:WORD_1
	v_mov_b32_e32 v7, 0x3b800000
	v_lshlrev_b32_e32 v3, 20, v3
	v_and_b32_e32 v6, 0x80000000, v6
	v_lshl_add_u32 v5, v5, 23, v7
	v_or3_b32 v5, v6, v5, v3
.LBB289_162:
	s_or_b64 exec, exec, s[48:49]
	v_cmp_neq_f32_e64 s[46:47], v1, v5
.LBB289_163:
	s_and_b64 vcc, exec, s[4:5]
	s_cbranch_vccnz .LBB289_313
.LBB289_164:
	s_movk_i32 s4, 0x7f
	v_cmp_gt_i16_sdwa s[48:49], v4, s4 src0_sel:BYTE_3 src1_sel:DWORD
	s_mov_b64 s[4:5], 0
	s_and_saveexec_b64 s[50:51], s[48:49]
	s_xor_b64 s[48:49], exec, s[50:51]
	s_cbranch_execnz .LBB289_445
; %bb.165:
	s_or_saveexec_b64 s[48:49], s[48:49]
	v_mov_b32_e32 v1, 0x7f800001
	s_xor_b64 exec, exec, s[48:49]
	s_cbranch_execnz .LBB289_448
.LBB289_166:
	s_or_b64 exec, exec, s[48:49]
	s_and_saveexec_b64 s[48:49], s[4:5]
	s_cbranch_execz .LBB289_168
.LBB289_167:
	v_bfe_u32 v1, v4, 24, 3
	v_ffbh_u32_e32 v5, v1
	v_min_u32_e32 v5, 32, v5
	v_subrev_u32_e32 v6, 28, v5
	v_bfe_u32 v3, v4, 27, 4
	v_lshlrev_b32_sdwa v6, v6, v4 dst_sel:DWORD dst_unused:UNUSED_PAD src0_sel:DWORD src1_sel:BYTE_3
	v_sub_u32_e32 v5, 29, v5
	v_and_b32_e32 v6, 7, v6
	v_cmp_eq_u32_e32 vcc, 0, v3
	v_cndmask_b32_e32 v3, v3, v5, vcc
	v_cndmask_b32_e32 v1, v1, v6, vcc
	v_mov_b32_e32 v6, 0x3b800000
	v_lshlrev_b32_e32 v1, 20, v1
	v_and_b32_e32 v5, 0x80000000, v4
	v_lshl_add_u32 v3, v3, 23, v6
	v_or3_b32 v1, v5, v3, v1
.LBB289_168:
	s_or_b64 exec, exec, s[48:49]
	s_movk_i32 s4, 0x7f
	v_cmp_gt_i16_sdwa s[48:49], v2, s4 src0_sel:BYTE_3 src1_sel:DWORD
	s_mov_b64 s[4:5], 0
	s_and_saveexec_b64 s[50:51], s[48:49]
	s_xor_b64 s[48:49], exec, s[50:51]
	s_cbranch_execnz .LBB289_449
; %bb.169:
	s_or_saveexec_b64 s[48:49], s[48:49]
	v_mov_b32_e32 v3, 0x7f800001
	s_xor_b64 exec, exec, s[48:49]
	s_cbranch_execnz .LBB289_452
.LBB289_170:
	s_or_b64 exec, exec, s[48:49]
	s_and_saveexec_b64 s[48:49], s[4:5]
	s_cbranch_execz .LBB289_172
.LBB289_171:
	v_bfe_u32 v3, v2, 24, 3
	v_ffbh_u32_e32 v6, v3
	v_min_u32_e32 v6, 32, v6
	v_subrev_u32_e32 v7, 28, v6
	v_bfe_u32 v5, v2, 27, 4
	v_lshlrev_b32_sdwa v7, v7, v2 dst_sel:DWORD dst_unused:UNUSED_PAD src0_sel:DWORD src1_sel:BYTE_3
	v_sub_u32_e32 v6, 29, v6
	v_and_b32_e32 v7, 7, v7
	v_cmp_eq_u32_e32 vcc, 0, v5
	v_cndmask_b32_e32 v5, v5, v6, vcc
	v_cndmask_b32_e32 v3, v3, v7, vcc
	v_mov_b32_e32 v7, 0x3b800000
	v_lshlrev_b32_e32 v3, 20, v3
	v_and_b32_e32 v6, 0x80000000, v2
	v_lshl_add_u32 v5, v5, 23, v7
	v_or3_b32 v3, v6, v5, v3
.LBB289_172:
	s_or_b64 exec, exec, s[48:49]
	v_cmp_neq_f32_e64 s[4:5], v1, v3
	s_branch .LBB289_323
.LBB289_173:
                                        ; implicit-def: $sgpr18_sgpr19
	s_cbranch_execz .LBB289_33
; %bb.174:
	s_movk_i32 s18, 0x7f
	v_cmp_gt_i16_sdwa s[20:21], v11, s18 src0_sel:BYTE_0 src1_sel:DWORD
	s_mov_b64 s[18:19], 0
	s_and_saveexec_b64 s[22:23], s[20:21]
	s_xor_b64 s[20:21], exec, s[22:23]
	s_cbranch_execnz .LBB289_461
; %bb.175:
	s_or_saveexec_b64 s[20:21], s[20:21]
	v_mov_b32_e32 v12, 0x7f800001
	s_xor_b64 exec, exec, s[20:21]
	s_cbranch_execnz .LBB289_464
.LBB289_176:
	s_or_b64 exec, exec, s[20:21]
	s_and_saveexec_b64 s[20:21], s[18:19]
	s_cbranch_execz .LBB289_178
.LBB289_177:
	v_bfe_u32 v12, v7, 8, 3
	v_ffbh_u32_e32 v14, v12
	v_min_u32_e32 v14, 32, v14
	v_subrev_u32_e32 v15, 28, v14
	v_bfe_u32 v13, v7, 11, 4
	v_lshlrev_b32_e32 v15, v15, v11
	v_sub_u32_e32 v14, 29, v14
	v_and_b32_e32 v15, 7, v15
	v_cmp_eq_u32_e32 vcc, 0, v13
	v_cndmask_b32_e32 v13, v13, v14, vcc
	v_cndmask_b32_e32 v12, v12, v15, vcc
	v_lshlrev_b32_e32 v11, 24, v11
	v_mov_b32_e32 v14, 0x3b800000
	v_lshlrev_b32_e32 v12, 20, v12
	v_and_b32_e32 v11, 0x80000000, v11
	v_lshl_add_u32 v13, v13, 23, v14
	v_or3_b32 v12, v11, v13, v12
.LBB289_178:
	s_or_b64 exec, exec, s[20:21]
	s_movk_i32 s18, 0x7f
	v_cmp_gt_i16_sdwa s[20:21], v10, s18 src0_sel:BYTE_0 src1_sel:DWORD
	s_mov_b64 s[18:19], 0
	s_and_saveexec_b64 s[22:23], s[20:21]
	s_xor_b64 s[20:21], exec, s[22:23]
	s_cbranch_execnz .LBB289_465
; %bb.179:
	s_or_saveexec_b64 s[20:21], s[20:21]
	v_mov_b32_e32 v11, 0x7f800001
	s_xor_b64 exec, exec, s[20:21]
	s_cbranch_execnz .LBB289_468
.LBB289_180:
	s_or_b64 exec, exec, s[20:21]
	s_and_saveexec_b64 s[20:21], s[18:19]
	s_cbranch_execz .LBB289_182
.LBB289_181:
	v_bfe_u32 v11, v5, 8, 3
	v_ffbh_u32_e32 v14, v11
	v_min_u32_e32 v14, 32, v14
	v_subrev_u32_e32 v15, 28, v14
	v_bfe_u32 v13, v5, 11, 4
	v_lshlrev_b32_e32 v15, v15, v10
	v_sub_u32_e32 v14, 29, v14
	v_and_b32_e32 v15, 7, v15
	v_cmp_eq_u32_e32 vcc, 0, v13
	v_cndmask_b32_e32 v13, v13, v14, vcc
	v_cndmask_b32_e32 v11, v11, v15, vcc
	v_lshlrev_b32_e32 v10, 24, v10
	v_mov_b32_e32 v14, 0x3b800000
	v_lshlrev_b32_e32 v11, 20, v11
	v_and_b32_e32 v10, 0x80000000, v10
	v_lshl_add_u32 v13, v13, 23, v14
	v_or3_b32 v11, v10, v13, v11
.LBB289_182:
	s_or_b64 exec, exec, s[20:21]
	v_cmp_eq_f32_e64 s[18:19], v12, v11
	s_and_b64 vcc, exec, s[4:5]
	s_cbranch_vccz .LBB289_34
.LBB289_183:
                                        ; implicit-def: $sgpr20_sgpr21
	s_cbranch_execz .LBB289_43
; %bb.184:
	s_movk_i32 s20, 0xff
	v_and_b32_sdwa v11, v7, s20 dst_sel:DWORD dst_unused:UNUSED_PAD src0_sel:WORD_1 src1_sel:DWORD
	s_movk_i32 s20, 0x7f
	v_cmp_lt_i16_e32 vcc, s20, v11
	s_mov_b64 s[20:21], 0
	s_and_saveexec_b64 s[22:23], vcc
	s_xor_b64 s[22:23], exec, s[22:23]
	s_cbranch_execnz .LBB289_469
; %bb.185:
	s_or_saveexec_b64 s[22:23], s[22:23]
	v_mov_b32_e32 v10, 0x7f800001
	s_xor_b64 exec, exec, s[22:23]
	s_cbranch_execnz .LBB289_472
.LBB289_186:
	s_or_b64 exec, exec, s[22:23]
	s_and_saveexec_b64 s[22:23], s[20:21]
	s_cbranch_execz .LBB289_188
.LBB289_187:
	v_bfe_u32 v10, v7, 16, 3
	v_ffbh_u32_e32 v12, v10
	v_min_u32_e32 v12, 32, v12
	v_bfe_u32 v11, v7, 19, 4
	v_subrev_u32_e32 v13, 28, v12
	v_lshlrev_b32_sdwa v13, v13, v7 dst_sel:DWORD dst_unused:UNUSED_PAD src0_sel:DWORD src1_sel:WORD_1
	v_sub_u32_e32 v12, 29, v12
	v_cmp_eq_u32_e32 vcc, 0, v11
	v_and_b32_e32 v13, 7, v13
	v_cndmask_b32_e32 v11, v11, v12, vcc
	v_mov_b32_e32 v12, 24
	v_cndmask_b32_e32 v10, v10, v13, vcc
	v_lshlrev_b32_sdwa v12, v12, v7 dst_sel:DWORD dst_unused:UNUSED_PAD src0_sel:DWORD src1_sel:WORD_1
	v_mov_b32_e32 v13, 0x3b800000
	v_lshlrev_b32_e32 v10, 20, v10
	v_and_b32_e32 v12, 0x80000000, v12
	v_lshl_add_u32 v11, v11, 23, v13
	v_or3_b32 v10, v12, v11, v10
.LBB289_188:
	s_or_b64 exec, exec, s[22:23]
	s_movk_i32 s20, 0xff
	v_and_b32_sdwa v11, v5, s20 dst_sel:DWORD dst_unused:UNUSED_PAD src0_sel:WORD_1 src1_sel:DWORD
	s_movk_i32 s20, 0x7f
	v_cmp_lt_i16_e32 vcc, s20, v11
	s_mov_b64 s[20:21], 0
	s_and_saveexec_b64 s[22:23], vcc
	s_xor_b64 s[22:23], exec, s[22:23]
	s_cbranch_execnz .LBB289_473
; %bb.189:
	s_or_saveexec_b64 s[22:23], s[22:23]
	v_mov_b32_e32 v12, 0x7f800001
	s_xor_b64 exec, exec, s[22:23]
	s_cbranch_execnz .LBB289_476
.LBB289_190:
	s_or_b64 exec, exec, s[22:23]
	s_and_saveexec_b64 s[22:23], s[20:21]
	s_cbranch_execz .LBB289_192
.LBB289_191:
	v_bfe_u32 v11, v5, 16, 3
	v_ffbh_u32_e32 v13, v11
	v_min_u32_e32 v13, 32, v13
	v_bfe_u32 v12, v5, 19, 4
	v_subrev_u32_e32 v14, 28, v13
	v_lshlrev_b32_sdwa v14, v14, v5 dst_sel:DWORD dst_unused:UNUSED_PAD src0_sel:DWORD src1_sel:WORD_1
	v_sub_u32_e32 v13, 29, v13
	v_cmp_eq_u32_e32 vcc, 0, v12
	v_and_b32_e32 v14, 7, v14
	v_cndmask_b32_e32 v12, v12, v13, vcc
	v_mov_b32_e32 v13, 24
	v_cndmask_b32_e32 v11, v11, v14, vcc
	v_lshlrev_b32_sdwa v13, v13, v5 dst_sel:DWORD dst_unused:UNUSED_PAD src0_sel:DWORD src1_sel:WORD_1
	v_mov_b32_e32 v14, 0x3b800000
	v_lshlrev_b32_e32 v11, 20, v11
	v_and_b32_e32 v13, 0x80000000, v13
	v_lshl_add_u32 v12, v12, 23, v14
	v_or3_b32 v12, v13, v12, v11
.LBB289_192:
	s_or_b64 exec, exec, s[22:23]
	v_cmp_eq_f32_e64 s[20:21], v10, v12
	s_and_b64 vcc, exec, s[4:5]
	s_cbranch_vccz .LBB289_44
.LBB289_193:
                                        ; implicit-def: $sgpr22_sgpr23
	s_cbranch_execz .LBB289_53
; %bb.194:
	s_movk_i32 s22, 0x7f
	v_cmp_gt_i16_sdwa s[24:25], v7, s22 src0_sel:BYTE_3 src1_sel:DWORD
	s_mov_b64 s[22:23], 0
	s_and_saveexec_b64 s[26:27], s[24:25]
	s_xor_b64 s[24:25], exec, s[26:27]
	s_cbranch_execnz .LBB289_477
; %bb.195:
	s_or_saveexec_b64 s[24:25], s[24:25]
	v_mov_b32_e32 v10, 0x7f800001
	s_xor_b64 exec, exec, s[24:25]
	s_cbranch_execnz .LBB289_480
.LBB289_196:
	s_or_b64 exec, exec, s[24:25]
	s_and_saveexec_b64 s[24:25], s[22:23]
	s_cbranch_execz .LBB289_198
.LBB289_197:
	v_bfe_u32 v10, v7, 24, 3
	v_ffbh_u32_e32 v12, v10
	v_min_u32_e32 v12, 32, v12
	v_subrev_u32_e32 v13, 28, v12
	v_bfe_u32 v11, v7, 27, 4
	v_lshlrev_b32_sdwa v13, v13, v7 dst_sel:DWORD dst_unused:UNUSED_PAD src0_sel:DWORD src1_sel:BYTE_3
	v_sub_u32_e32 v12, 29, v12
	v_and_b32_e32 v13, 7, v13
	v_cmp_eq_u32_e32 vcc, 0, v11
	v_cndmask_b32_e32 v11, v11, v12, vcc
	v_cndmask_b32_e32 v10, v10, v13, vcc
	v_mov_b32_e32 v12, 0x3b800000
	v_lshlrev_b32_e32 v10, 20, v10
	v_and_b32_e32 v7, 0x80000000, v7
	v_lshl_add_u32 v11, v11, 23, v12
	v_or3_b32 v10, v7, v11, v10
.LBB289_198:
	s_or_b64 exec, exec, s[24:25]
	s_movk_i32 s22, 0x7f
	v_cmp_gt_i16_sdwa s[24:25], v5, s22 src0_sel:BYTE_3 src1_sel:DWORD
	s_mov_b64 s[22:23], 0
	s_and_saveexec_b64 s[26:27], s[24:25]
	s_xor_b64 s[24:25], exec, s[26:27]
	s_cbranch_execnz .LBB289_481
; %bb.199:
	s_or_saveexec_b64 s[24:25], s[24:25]
	v_mov_b32_e32 v7, 0x7f800001
	s_xor_b64 exec, exec, s[24:25]
	s_cbranch_execnz .LBB289_484
.LBB289_200:
	s_or_b64 exec, exec, s[24:25]
	s_and_saveexec_b64 s[24:25], s[22:23]
	s_cbranch_execz .LBB289_202
.LBB289_201:
	v_bfe_u32 v7, v5, 24, 3
	v_ffbh_u32_e32 v12, v7
	v_min_u32_e32 v12, 32, v12
	v_subrev_u32_e32 v13, 28, v12
	v_bfe_u32 v11, v5, 27, 4
	v_lshlrev_b32_sdwa v13, v13, v5 dst_sel:DWORD dst_unused:UNUSED_PAD src0_sel:DWORD src1_sel:BYTE_3
	v_sub_u32_e32 v12, 29, v12
	v_and_b32_e32 v13, 7, v13
	v_cmp_eq_u32_e32 vcc, 0, v11
	v_cndmask_b32_e32 v11, v11, v12, vcc
	v_cndmask_b32_e32 v7, v7, v13, vcc
	v_mov_b32_e32 v12, 0x3b800000
	v_lshlrev_b32_e32 v7, 20, v7
	v_and_b32_e32 v5, 0x80000000, v5
	v_lshl_add_u32 v11, v11, 23, v12
	v_or3_b32 v7, v5, v11, v7
.LBB289_202:
	s_or_b64 exec, exec, s[24:25]
	v_cmp_eq_f32_e64 s[22:23], v10, v7
	s_and_b64 vcc, exec, s[4:5]
	s_cbranch_vccz .LBB289_54
.LBB289_203:
                                        ; implicit-def: $sgpr24_sgpr25
	s_cbranch_execz .LBB289_63
; %bb.204:
	s_movk_i32 s24, 0x7f
	v_cmp_gt_i16_sdwa s[26:27], v8, s24 src0_sel:BYTE_0 src1_sel:DWORD
	s_mov_b64 s[24:25], 0
	s_and_saveexec_b64 s[28:29], s[26:27]
	s_xor_b64 s[26:27], exec, s[28:29]
	s_cbranch_execnz .LBB289_485
; %bb.205:
	s_or_saveexec_b64 s[26:27], s[26:27]
	v_mov_b32_e32 v5, 0x7f800001
	s_xor_b64 exec, exec, s[26:27]
	s_cbranch_execnz .LBB289_488
.LBB289_206:
	s_or_b64 exec, exec, s[26:27]
	s_and_saveexec_b64 s[26:27], s[24:25]
	s_cbranch_execz .LBB289_208
.LBB289_207:
	v_and_b32_e32 v5, 7, v8
	v_ffbh_u32_e32 v10, v5
	v_min_u32_e32 v10, 32, v10
	v_subrev_u32_e32 v11, 28, v10
	v_bfe_u32 v7, v8, 3, 4
	v_lshlrev_b32_e32 v11, v11, v8
	v_sub_u32_e32 v10, 29, v10
	v_and_b32_e32 v11, 7, v11
	v_cmp_eq_u32_e32 vcc, 0, v7
	v_cndmask_b32_e32 v7, v7, v10, vcc
	v_cndmask_b32_e32 v5, v5, v11, vcc
	v_lshlrev_b32_e32 v10, 24, v8
	v_mov_b32_e32 v11, 0x3b800000
	v_lshlrev_b32_e32 v5, 20, v5
	v_and_b32_e32 v10, 0x80000000, v10
	v_lshl_add_u32 v7, v7, 23, v11
	v_or3_b32 v5, v10, v7, v5
.LBB289_208:
	s_or_b64 exec, exec, s[26:27]
	s_movk_i32 s24, 0x7f
	v_cmp_gt_i16_sdwa s[26:27], v6, s24 src0_sel:BYTE_0 src1_sel:DWORD
	s_mov_b64 s[24:25], 0
	s_and_saveexec_b64 s[28:29], s[26:27]
	s_xor_b64 s[26:27], exec, s[28:29]
	s_cbranch_execnz .LBB289_489
; %bb.209:
	s_or_saveexec_b64 s[26:27], s[26:27]
	v_mov_b32_e32 v7, 0x7f800001
	s_xor_b64 exec, exec, s[26:27]
	s_cbranch_execnz .LBB289_492
.LBB289_210:
	s_or_b64 exec, exec, s[26:27]
	s_and_saveexec_b64 s[26:27], s[24:25]
	s_cbranch_execz .LBB289_212
.LBB289_211:
	v_and_b32_e32 v7, 7, v6
	v_ffbh_u32_e32 v11, v7
	v_min_u32_e32 v11, 32, v11
	v_subrev_u32_e32 v12, 28, v11
	v_bfe_u32 v10, v6, 3, 4
	v_lshlrev_b32_e32 v12, v12, v6
	v_sub_u32_e32 v11, 29, v11
	v_and_b32_e32 v12, 7, v12
	v_cmp_eq_u32_e32 vcc, 0, v10
	v_cndmask_b32_e32 v10, v10, v11, vcc
	v_cndmask_b32_e32 v7, v7, v12, vcc
	v_lshlrev_b32_e32 v11, 24, v6
	v_mov_b32_e32 v12, 0x3b800000
	v_lshlrev_b32_e32 v7, 20, v7
	v_and_b32_e32 v11, 0x80000000, v11
	v_lshl_add_u32 v10, v10, 23, v12
	v_or3_b32 v7, v11, v10, v7
.LBB289_212:
	s_or_b64 exec, exec, s[26:27]
	v_cmp_eq_f32_e64 s[24:25], v5, v7
	v_lshrrev_b32_e32 v7, 8, v8
	s_and_b64 vcc, exec, s[4:5]
	v_lshrrev_b32_e32 v5, 8, v6
	s_cbranch_vccz .LBB289_64
.LBB289_213:
                                        ; implicit-def: $sgpr26_sgpr27
	s_cbranch_execz .LBB289_73
; %bb.214:
	s_movk_i32 s26, 0x7f
	v_cmp_gt_i16_sdwa s[28:29], v7, s26 src0_sel:BYTE_0 src1_sel:DWORD
	s_mov_b64 s[26:27], 0
	s_and_saveexec_b64 s[30:31], s[28:29]
	s_xor_b64 s[28:29], exec, s[30:31]
	s_cbranch_execnz .LBB289_493
; %bb.215:
	s_or_saveexec_b64 s[28:29], s[28:29]
	v_mov_b32_e32 v10, 0x7f800001
	s_xor_b64 exec, exec, s[28:29]
	s_cbranch_execnz .LBB289_496
.LBB289_216:
	s_or_b64 exec, exec, s[28:29]
	s_and_saveexec_b64 s[28:29], s[26:27]
	s_cbranch_execz .LBB289_218
.LBB289_217:
	v_bfe_u32 v10, v8, 8, 3
	v_ffbh_u32_e32 v12, v10
	v_min_u32_e32 v12, 32, v12
	v_subrev_u32_e32 v13, 28, v12
	v_bfe_u32 v11, v8, 11, 4
	v_lshlrev_b32_e32 v13, v13, v7
	v_sub_u32_e32 v12, 29, v12
	v_and_b32_e32 v13, 7, v13
	v_cmp_eq_u32_e32 vcc, 0, v11
	v_cndmask_b32_e32 v11, v11, v12, vcc
	v_cndmask_b32_e32 v10, v10, v13, vcc
	v_lshlrev_b32_e32 v7, 24, v7
	v_mov_b32_e32 v12, 0x3b800000
	v_lshlrev_b32_e32 v10, 20, v10
	v_and_b32_e32 v7, 0x80000000, v7
	v_lshl_add_u32 v11, v11, 23, v12
	v_or3_b32 v10, v7, v11, v10
.LBB289_218:
	s_or_b64 exec, exec, s[28:29]
	s_movk_i32 s26, 0x7f
	v_cmp_gt_i16_sdwa s[28:29], v5, s26 src0_sel:BYTE_0 src1_sel:DWORD
	s_mov_b64 s[26:27], 0
	s_and_saveexec_b64 s[30:31], s[28:29]
	s_xor_b64 s[28:29], exec, s[30:31]
	s_cbranch_execnz .LBB289_497
; %bb.219:
	s_or_saveexec_b64 s[28:29], s[28:29]
	v_mov_b32_e32 v7, 0x7f800001
	s_xor_b64 exec, exec, s[28:29]
	s_cbranch_execnz .LBB289_500
.LBB289_220:
	s_or_b64 exec, exec, s[28:29]
	s_and_saveexec_b64 s[28:29], s[26:27]
	s_cbranch_execz .LBB289_222
.LBB289_221:
	v_bfe_u32 v7, v6, 8, 3
	v_ffbh_u32_e32 v12, v7
	v_min_u32_e32 v12, 32, v12
	v_subrev_u32_e32 v13, 28, v12
	v_bfe_u32 v11, v6, 11, 4
	v_lshlrev_b32_e32 v13, v13, v5
	v_sub_u32_e32 v12, 29, v12
	v_and_b32_e32 v13, 7, v13
	v_cmp_eq_u32_e32 vcc, 0, v11
	v_cndmask_b32_e32 v11, v11, v12, vcc
	v_cndmask_b32_e32 v7, v7, v13, vcc
	v_lshlrev_b32_e32 v5, 24, v5
	v_mov_b32_e32 v12, 0x3b800000
	v_lshlrev_b32_e32 v7, 20, v7
	v_and_b32_e32 v5, 0x80000000, v5
	v_lshl_add_u32 v11, v11, 23, v12
	v_or3_b32 v7, v5, v11, v7
.LBB289_222:
	s_or_b64 exec, exec, s[28:29]
	v_cmp_eq_f32_e64 s[26:27], v10, v7
	s_and_b64 vcc, exec, s[4:5]
	s_cbranch_vccz .LBB289_74
.LBB289_223:
                                        ; implicit-def: $sgpr28_sgpr29
	s_cbranch_execz .LBB289_83
; %bb.224:
	s_movk_i32 s28, 0xff
	v_and_b32_sdwa v7, v8, s28 dst_sel:DWORD dst_unused:UNUSED_PAD src0_sel:WORD_1 src1_sel:DWORD
	s_movk_i32 s28, 0x7f
	v_cmp_lt_i16_e32 vcc, s28, v7
	s_mov_b64 s[28:29], 0
	s_and_saveexec_b64 s[30:31], vcc
	s_xor_b64 s[30:31], exec, s[30:31]
	s_cbranch_execnz .LBB289_501
; %bb.225:
	s_or_saveexec_b64 s[30:31], s[30:31]
	v_mov_b32_e32 v5, 0x7f800001
	s_xor_b64 exec, exec, s[30:31]
	s_cbranch_execnz .LBB289_504
.LBB289_226:
	s_or_b64 exec, exec, s[30:31]
	s_and_saveexec_b64 s[30:31], s[28:29]
	s_cbranch_execz .LBB289_228
.LBB289_227:
	v_bfe_u32 v5, v8, 16, 3
	v_ffbh_u32_e32 v10, v5
	v_min_u32_e32 v10, 32, v10
	v_bfe_u32 v7, v8, 19, 4
	v_subrev_u32_e32 v11, 28, v10
	v_lshlrev_b32_sdwa v11, v11, v8 dst_sel:DWORD dst_unused:UNUSED_PAD src0_sel:DWORD src1_sel:WORD_1
	v_sub_u32_e32 v10, 29, v10
	v_cmp_eq_u32_e32 vcc, 0, v7
	v_and_b32_e32 v11, 7, v11
	v_cndmask_b32_e32 v7, v7, v10, vcc
	v_mov_b32_e32 v10, 24
	v_cndmask_b32_e32 v5, v5, v11, vcc
	v_lshlrev_b32_sdwa v10, v10, v8 dst_sel:DWORD dst_unused:UNUSED_PAD src0_sel:DWORD src1_sel:WORD_1
	v_mov_b32_e32 v11, 0x3b800000
	v_lshlrev_b32_e32 v5, 20, v5
	v_and_b32_e32 v10, 0x80000000, v10
	v_lshl_add_u32 v7, v7, 23, v11
	v_or3_b32 v5, v10, v7, v5
.LBB289_228:
	s_or_b64 exec, exec, s[30:31]
	s_movk_i32 s28, 0xff
	v_and_b32_sdwa v7, v6, s28 dst_sel:DWORD dst_unused:UNUSED_PAD src0_sel:WORD_1 src1_sel:DWORD
	s_movk_i32 s28, 0x7f
	v_cmp_lt_i16_e32 vcc, s28, v7
	s_mov_b64 s[28:29], 0
	s_and_saveexec_b64 s[30:31], vcc
	s_xor_b64 s[30:31], exec, s[30:31]
	s_cbranch_execnz .LBB289_505
; %bb.229:
	s_or_saveexec_b64 s[30:31], s[30:31]
	v_mov_b32_e32 v10, 0x7f800001
	s_xor_b64 exec, exec, s[30:31]
	s_cbranch_execnz .LBB289_508
.LBB289_230:
	s_or_b64 exec, exec, s[30:31]
	s_and_saveexec_b64 s[30:31], s[28:29]
	s_cbranch_execz .LBB289_232
.LBB289_231:
	v_bfe_u32 v7, v6, 16, 3
	v_ffbh_u32_e32 v11, v7
	v_min_u32_e32 v11, 32, v11
	v_bfe_u32 v10, v6, 19, 4
	v_subrev_u32_e32 v12, 28, v11
	v_lshlrev_b32_sdwa v12, v12, v6 dst_sel:DWORD dst_unused:UNUSED_PAD src0_sel:DWORD src1_sel:WORD_1
	v_sub_u32_e32 v11, 29, v11
	v_cmp_eq_u32_e32 vcc, 0, v10
	v_and_b32_e32 v12, 7, v12
	v_cndmask_b32_e32 v10, v10, v11, vcc
	v_mov_b32_e32 v11, 24
	v_cndmask_b32_e32 v7, v7, v12, vcc
	v_lshlrev_b32_sdwa v11, v11, v6 dst_sel:DWORD dst_unused:UNUSED_PAD src0_sel:DWORD src1_sel:WORD_1
	v_mov_b32_e32 v12, 0x3b800000
	v_lshlrev_b32_e32 v7, 20, v7
	v_and_b32_e32 v11, 0x80000000, v11
	v_lshl_add_u32 v10, v10, 23, v12
	v_or3_b32 v10, v11, v10, v7
.LBB289_232:
	s_or_b64 exec, exec, s[30:31]
	v_cmp_eq_f32_e64 s[28:29], v5, v10
	s_and_b64 vcc, exec, s[4:5]
	s_cbranch_vccz .LBB289_84
.LBB289_233:
                                        ; implicit-def: $sgpr30_sgpr31
	s_cbranch_execz .LBB289_93
; %bb.234:
	s_movk_i32 s30, 0x7f
	v_cmp_gt_i16_sdwa s[34:35], v8, s30 src0_sel:BYTE_3 src1_sel:DWORD
	s_mov_b64 s[30:31], 0
	s_and_saveexec_b64 s[36:37], s[34:35]
	s_xor_b64 s[34:35], exec, s[36:37]
	s_cbranch_execnz .LBB289_509
; %bb.235:
	s_or_saveexec_b64 s[34:35], s[34:35]
	v_mov_b32_e32 v5, 0x7f800001
	s_xor_b64 exec, exec, s[34:35]
	s_cbranch_execnz .LBB289_512
.LBB289_236:
	s_or_b64 exec, exec, s[34:35]
	s_and_saveexec_b64 s[34:35], s[30:31]
	s_cbranch_execz .LBB289_238
.LBB289_237:
	v_bfe_u32 v5, v8, 24, 3
	v_ffbh_u32_e32 v10, v5
	v_min_u32_e32 v10, 32, v10
	v_subrev_u32_e32 v11, 28, v10
	v_bfe_u32 v7, v8, 27, 4
	v_lshlrev_b32_sdwa v11, v11, v8 dst_sel:DWORD dst_unused:UNUSED_PAD src0_sel:DWORD src1_sel:BYTE_3
	v_sub_u32_e32 v10, 29, v10
	v_and_b32_e32 v11, 7, v11
	v_cmp_eq_u32_e32 vcc, 0, v7
	v_cndmask_b32_e32 v7, v7, v10, vcc
	v_cndmask_b32_e32 v5, v5, v11, vcc
	v_mov_b32_e32 v10, 0x3b800000
	v_lshlrev_b32_e32 v5, 20, v5
	v_and_b32_e32 v8, 0x80000000, v8
	v_lshl_add_u32 v7, v7, 23, v10
	v_or3_b32 v5, v8, v7, v5
.LBB289_238:
	s_or_b64 exec, exec, s[34:35]
	s_movk_i32 s30, 0x7f
	v_cmp_gt_i16_sdwa s[34:35], v6, s30 src0_sel:BYTE_3 src1_sel:DWORD
	s_mov_b64 s[30:31], 0
	s_and_saveexec_b64 s[36:37], s[34:35]
	s_xor_b64 s[34:35], exec, s[36:37]
	s_cbranch_execnz .LBB289_513
; %bb.239:
	s_or_saveexec_b64 s[34:35], s[34:35]
	v_mov_b32_e32 v7, 0x7f800001
	s_xor_b64 exec, exec, s[34:35]
	s_cbranch_execnz .LBB289_516
.LBB289_240:
	s_or_b64 exec, exec, s[34:35]
	s_and_saveexec_b64 s[34:35], s[30:31]
	s_cbranch_execz .LBB289_242
.LBB289_241:
	v_bfe_u32 v7, v6, 24, 3
	v_ffbh_u32_e32 v10, v7
	v_min_u32_e32 v10, 32, v10
	v_subrev_u32_e32 v11, 28, v10
	v_bfe_u32 v8, v6, 27, 4
	v_lshlrev_b32_sdwa v11, v11, v6 dst_sel:DWORD dst_unused:UNUSED_PAD src0_sel:DWORD src1_sel:BYTE_3
	v_sub_u32_e32 v10, 29, v10
	v_and_b32_e32 v11, 7, v11
	v_cmp_eq_u32_e32 vcc, 0, v8
	v_cndmask_b32_e32 v8, v8, v10, vcc
	v_cndmask_b32_e32 v7, v7, v11, vcc
	v_mov_b32_e32 v10, 0x3b800000
	v_lshlrev_b32_e32 v7, 20, v7
	v_and_b32_e32 v6, 0x80000000, v6
	v_lshl_add_u32 v8, v8, 23, v10
	v_or3_b32 v7, v6, v8, v7
.LBB289_242:
	s_or_b64 exec, exec, s[34:35]
	v_cmp_eq_f32_e64 s[30:31], v5, v7
	s_and_b64 vcc, exec, s[4:5]
	s_cbranch_vccz .LBB289_94
.LBB289_243:
                                        ; implicit-def: $sgpr34_sgpr35
	s_cbranch_execz .LBB289_103
; %bb.244:
	s_movk_i32 s34, 0x7f
	v_cmp_gt_i16_sdwa s[36:37], v3, s34 src0_sel:BYTE_0 src1_sel:DWORD
	s_mov_b64 s[34:35], 0
	s_and_saveexec_b64 s[38:39], s[36:37]
	s_xor_b64 s[36:37], exec, s[38:39]
	s_cbranch_execnz .LBB289_517
; %bb.245:
	s_or_saveexec_b64 s[36:37], s[36:37]
	v_mov_b32_e32 v5, 0x7f800001
	s_xor_b64 exec, exec, s[36:37]
	s_cbranch_execnz .LBB289_520
.LBB289_246:
	s_or_b64 exec, exec, s[36:37]
	s_and_saveexec_b64 s[36:37], s[34:35]
	s_cbranch_execz .LBB289_248
.LBB289_247:
	v_and_b32_e32 v5, 7, v3
	v_ffbh_u32_e32 v7, v5
	v_min_u32_e32 v7, 32, v7
	v_subrev_u32_e32 v8, 28, v7
	v_bfe_u32 v6, v3, 3, 4
	v_lshlrev_b32_e32 v8, v8, v3
	v_sub_u32_e32 v7, 29, v7
	v_and_b32_e32 v8, 7, v8
	v_cmp_eq_u32_e32 vcc, 0, v6
	v_cndmask_b32_e32 v6, v6, v7, vcc
	v_cndmask_b32_e32 v5, v5, v8, vcc
	v_lshlrev_b32_e32 v7, 24, v3
	v_mov_b32_e32 v8, 0x3b800000
	v_lshlrev_b32_e32 v5, 20, v5
	v_and_b32_e32 v7, 0x80000000, v7
	v_lshl_add_u32 v6, v6, 23, v8
	v_or3_b32 v5, v7, v6, v5
.LBB289_248:
	s_or_b64 exec, exec, s[36:37]
	s_movk_i32 s34, 0x7f
	s_waitcnt vmcnt(0)
	v_cmp_gt_i16_sdwa s[36:37], v1, s34 src0_sel:BYTE_0 src1_sel:DWORD
	s_mov_b64 s[34:35], 0
	s_and_saveexec_b64 s[38:39], s[36:37]
	s_xor_b64 s[36:37], exec, s[38:39]
	s_cbranch_execnz .LBB289_521
; %bb.249:
	s_or_saveexec_b64 s[36:37], s[36:37]
	v_mov_b32_e32 v6, 0x7f800001
	s_xor_b64 exec, exec, s[36:37]
	s_cbranch_execnz .LBB289_524
.LBB289_250:
	s_or_b64 exec, exec, s[36:37]
	s_and_saveexec_b64 s[36:37], s[34:35]
	s_cbranch_execz .LBB289_252
.LBB289_251:
	v_and_b32_e32 v6, 7, v1
	v_ffbh_u32_e32 v8, v6
	v_min_u32_e32 v8, 32, v8
	v_subrev_u32_e32 v10, 28, v8
	v_bfe_u32 v7, v1, 3, 4
	v_lshlrev_b32_e32 v10, v10, v1
	v_sub_u32_e32 v8, 29, v8
	v_and_b32_e32 v10, 7, v10
	v_cmp_eq_u32_e32 vcc, 0, v7
	v_cndmask_b32_e32 v7, v7, v8, vcc
	v_cndmask_b32_e32 v6, v6, v10, vcc
	v_lshlrev_b32_e32 v8, 24, v1
	v_mov_b32_e32 v10, 0x3b800000
	v_lshlrev_b32_e32 v6, 20, v6
	v_and_b32_e32 v8, 0x80000000, v8
	v_lshl_add_u32 v7, v7, 23, v10
	v_or3_b32 v6, v8, v7, v6
.LBB289_252:
	s_or_b64 exec, exec, s[36:37]
	v_cmp_eq_f32_e64 s[34:35], v5, v6
	v_lshrrev_b32_e32 v6, 8, v3
	s_and_b64 vcc, exec, s[4:5]
	v_lshrrev_b32_e32 v5, 8, v1
	s_cbranch_vccz .LBB289_104
.LBB289_253:
                                        ; implicit-def: $sgpr36_sgpr37
	s_cbranch_execz .LBB289_113
; %bb.254:
	s_movk_i32 s36, 0x7f
	v_cmp_gt_i16_sdwa s[38:39], v6, s36 src0_sel:BYTE_0 src1_sel:DWORD
	s_mov_b64 s[36:37], 0
	s_and_saveexec_b64 s[40:41], s[38:39]
	s_xor_b64 s[38:39], exec, s[40:41]
	s_cbranch_execnz .LBB289_525
; %bb.255:
	s_or_saveexec_b64 s[38:39], s[38:39]
	v_mov_b32_e32 v7, 0x7f800001
	s_xor_b64 exec, exec, s[38:39]
	s_cbranch_execnz .LBB289_528
.LBB289_256:
	s_or_b64 exec, exec, s[38:39]
	s_and_saveexec_b64 s[38:39], s[36:37]
	s_cbranch_execz .LBB289_258
.LBB289_257:
	v_bfe_u32 v7, v3, 8, 3
	v_ffbh_u32_e32 v10, v7
	v_min_u32_e32 v10, 32, v10
	v_subrev_u32_e32 v11, 28, v10
	v_bfe_u32 v8, v3, 11, 4
	v_lshlrev_b32_e32 v11, v11, v6
	v_sub_u32_e32 v10, 29, v10
	v_and_b32_e32 v11, 7, v11
	v_cmp_eq_u32_e32 vcc, 0, v8
	v_cndmask_b32_e32 v8, v8, v10, vcc
	v_cndmask_b32_e32 v7, v7, v11, vcc
	v_lshlrev_b32_e32 v6, 24, v6
	v_mov_b32_e32 v10, 0x3b800000
	v_lshlrev_b32_e32 v7, 20, v7
	v_and_b32_e32 v6, 0x80000000, v6
	v_lshl_add_u32 v8, v8, 23, v10
	v_or3_b32 v7, v6, v8, v7
.LBB289_258:
	s_or_b64 exec, exec, s[38:39]
	s_movk_i32 s36, 0x7f
	v_cmp_gt_i16_sdwa s[38:39], v5, s36 src0_sel:BYTE_0 src1_sel:DWORD
	s_mov_b64 s[36:37], 0
	s_and_saveexec_b64 s[40:41], s[38:39]
	s_xor_b64 s[38:39], exec, s[40:41]
	s_cbranch_execnz .LBB289_529
; %bb.259:
	s_or_saveexec_b64 s[38:39], s[38:39]
	v_mov_b32_e32 v6, 0x7f800001
	s_xor_b64 exec, exec, s[38:39]
	s_cbranch_execnz .LBB289_532
.LBB289_260:
	s_or_b64 exec, exec, s[38:39]
	s_and_saveexec_b64 s[38:39], s[36:37]
	s_cbranch_execz .LBB289_262
.LBB289_261:
	v_bfe_u32 v6, v1, 8, 3
	v_ffbh_u32_e32 v10, v6
	v_min_u32_e32 v10, 32, v10
	v_subrev_u32_e32 v11, 28, v10
	v_bfe_u32 v8, v1, 11, 4
	v_lshlrev_b32_e32 v11, v11, v5
	v_sub_u32_e32 v10, 29, v10
	v_and_b32_e32 v11, 7, v11
	v_cmp_eq_u32_e32 vcc, 0, v8
	v_cndmask_b32_e32 v8, v8, v10, vcc
	v_cndmask_b32_e32 v6, v6, v11, vcc
	v_lshlrev_b32_e32 v5, 24, v5
	v_mov_b32_e32 v10, 0x3b800000
	v_lshlrev_b32_e32 v6, 20, v6
	v_and_b32_e32 v5, 0x80000000, v5
	v_lshl_add_u32 v8, v8, 23, v10
	v_or3_b32 v6, v5, v8, v6
.LBB289_262:
	s_or_b64 exec, exec, s[38:39]
	v_cmp_eq_f32_e64 s[36:37], v7, v6
	s_and_b64 vcc, exec, s[4:5]
	s_cbranch_vccz .LBB289_114
.LBB289_263:
                                        ; implicit-def: $sgpr38_sgpr39
	s_cbranch_execz .LBB289_123
; %bb.264:
	s_movk_i32 s38, 0xff
	v_and_b32_sdwa v6, v3, s38 dst_sel:DWORD dst_unused:UNUSED_PAD src0_sel:WORD_1 src1_sel:DWORD
	s_movk_i32 s38, 0x7f
	v_cmp_lt_i16_e32 vcc, s38, v6
	s_mov_b64 s[38:39], 0
	s_and_saveexec_b64 s[40:41], vcc
	s_xor_b64 s[40:41], exec, s[40:41]
	s_cbranch_execnz .LBB289_533
; %bb.265:
	s_or_saveexec_b64 s[40:41], s[40:41]
	v_mov_b32_e32 v5, 0x7f800001
	s_xor_b64 exec, exec, s[40:41]
	s_cbranch_execnz .LBB289_536
.LBB289_266:
	s_or_b64 exec, exec, s[40:41]
	s_and_saveexec_b64 s[40:41], s[38:39]
	s_cbranch_execz .LBB289_268
.LBB289_267:
	v_bfe_u32 v5, v3, 16, 3
	v_ffbh_u32_e32 v7, v5
	v_min_u32_e32 v7, 32, v7
	v_bfe_u32 v6, v3, 19, 4
	v_subrev_u32_e32 v8, 28, v7
	v_lshlrev_b32_sdwa v8, v8, v3 dst_sel:DWORD dst_unused:UNUSED_PAD src0_sel:DWORD src1_sel:WORD_1
	v_sub_u32_e32 v7, 29, v7
	v_cmp_eq_u32_e32 vcc, 0, v6
	v_and_b32_e32 v8, 7, v8
	v_cndmask_b32_e32 v6, v6, v7, vcc
	v_mov_b32_e32 v7, 24
	v_cndmask_b32_e32 v5, v5, v8, vcc
	v_lshlrev_b32_sdwa v7, v7, v3 dst_sel:DWORD dst_unused:UNUSED_PAD src0_sel:DWORD src1_sel:WORD_1
	v_mov_b32_e32 v8, 0x3b800000
	v_lshlrev_b32_e32 v5, 20, v5
	v_and_b32_e32 v7, 0x80000000, v7
	v_lshl_add_u32 v6, v6, 23, v8
	v_or3_b32 v5, v7, v6, v5
.LBB289_268:
	s_or_b64 exec, exec, s[40:41]
	s_movk_i32 s38, 0xff
	v_and_b32_sdwa v6, v1, s38 dst_sel:DWORD dst_unused:UNUSED_PAD src0_sel:WORD_1 src1_sel:DWORD
	s_movk_i32 s38, 0x7f
	v_cmp_lt_i16_e32 vcc, s38, v6
	s_mov_b64 s[38:39], 0
	s_and_saveexec_b64 s[40:41], vcc
	s_xor_b64 s[40:41], exec, s[40:41]
	s_cbranch_execnz .LBB289_537
; %bb.269:
	s_or_saveexec_b64 s[40:41], s[40:41]
	v_mov_b32_e32 v7, 0x7f800001
	s_xor_b64 exec, exec, s[40:41]
	s_cbranch_execnz .LBB289_540
.LBB289_270:
	s_or_b64 exec, exec, s[40:41]
	s_and_saveexec_b64 s[40:41], s[38:39]
	s_cbranch_execz .LBB289_272
.LBB289_271:
	v_bfe_u32 v6, v1, 16, 3
	v_ffbh_u32_e32 v8, v6
	v_min_u32_e32 v8, 32, v8
	v_bfe_u32 v7, v1, 19, 4
	v_subrev_u32_e32 v10, 28, v8
	v_lshlrev_b32_sdwa v10, v10, v1 dst_sel:DWORD dst_unused:UNUSED_PAD src0_sel:DWORD src1_sel:WORD_1
	v_sub_u32_e32 v8, 29, v8
	v_cmp_eq_u32_e32 vcc, 0, v7
	v_and_b32_e32 v10, 7, v10
	v_cndmask_b32_e32 v7, v7, v8, vcc
	v_mov_b32_e32 v8, 24
	v_cndmask_b32_e32 v6, v6, v10, vcc
	v_lshlrev_b32_sdwa v8, v8, v1 dst_sel:DWORD dst_unused:UNUSED_PAD src0_sel:DWORD src1_sel:WORD_1
	v_mov_b32_e32 v10, 0x3b800000
	v_lshlrev_b32_e32 v6, 20, v6
	v_and_b32_e32 v8, 0x80000000, v8
	v_lshl_add_u32 v7, v7, 23, v10
	v_or3_b32 v7, v8, v7, v6
.LBB289_272:
	s_or_b64 exec, exec, s[40:41]
	v_cmp_eq_f32_e64 s[38:39], v5, v7
	s_and_b64 vcc, exec, s[4:5]
	s_cbranch_vccz .LBB289_124
.LBB289_273:
                                        ; implicit-def: $sgpr40_sgpr41
	s_cbranch_execz .LBB289_133
; %bb.274:
	s_movk_i32 s40, 0x7f
	v_cmp_gt_i16_sdwa s[42:43], v3, s40 src0_sel:BYTE_3 src1_sel:DWORD
	s_mov_b64 s[40:41], 0
	s_and_saveexec_b64 s[44:45], s[42:43]
	s_xor_b64 s[42:43], exec, s[44:45]
	s_cbranch_execnz .LBB289_541
; %bb.275:
	s_or_saveexec_b64 s[42:43], s[42:43]
	v_mov_b32_e32 v5, 0x7f800001
	s_xor_b64 exec, exec, s[42:43]
	s_cbranch_execnz .LBB289_544
.LBB289_276:
	s_or_b64 exec, exec, s[42:43]
	s_and_saveexec_b64 s[42:43], s[40:41]
	s_cbranch_execz .LBB289_278
.LBB289_277:
	v_bfe_u32 v5, v3, 24, 3
	v_ffbh_u32_e32 v7, v5
	v_min_u32_e32 v7, 32, v7
	v_subrev_u32_e32 v8, 28, v7
	v_bfe_u32 v6, v3, 27, 4
	v_lshlrev_b32_sdwa v8, v8, v3 dst_sel:DWORD dst_unused:UNUSED_PAD src0_sel:DWORD src1_sel:BYTE_3
	v_sub_u32_e32 v7, 29, v7
	v_and_b32_e32 v8, 7, v8
	v_cmp_eq_u32_e32 vcc, 0, v6
	v_cndmask_b32_e32 v6, v6, v7, vcc
	v_cndmask_b32_e32 v5, v5, v8, vcc
	v_mov_b32_e32 v7, 0x3b800000
	v_lshlrev_b32_e32 v5, 20, v5
	v_and_b32_e32 v3, 0x80000000, v3
	v_lshl_add_u32 v6, v6, 23, v7
	v_or3_b32 v5, v3, v6, v5
.LBB289_278:
	s_or_b64 exec, exec, s[42:43]
	s_movk_i32 s40, 0x7f
	v_cmp_gt_i16_sdwa s[42:43], v1, s40 src0_sel:BYTE_3 src1_sel:DWORD
	s_mov_b64 s[40:41], 0
	s_and_saveexec_b64 s[44:45], s[42:43]
	s_xor_b64 s[42:43], exec, s[44:45]
	s_cbranch_execnz .LBB289_545
; %bb.279:
	s_or_saveexec_b64 s[42:43], s[42:43]
	v_mov_b32_e32 v3, 0x7f800001
	s_xor_b64 exec, exec, s[42:43]
	s_cbranch_execnz .LBB289_548
.LBB289_280:
	s_or_b64 exec, exec, s[42:43]
	s_and_saveexec_b64 s[42:43], s[40:41]
	s_cbranch_execz .LBB289_282
.LBB289_281:
	v_bfe_u32 v3, v1, 24, 3
	v_ffbh_u32_e32 v7, v3
	v_min_u32_e32 v7, 32, v7
	v_subrev_u32_e32 v8, 28, v7
	v_bfe_u32 v6, v1, 27, 4
	v_lshlrev_b32_sdwa v8, v8, v1 dst_sel:DWORD dst_unused:UNUSED_PAD src0_sel:DWORD src1_sel:BYTE_3
	v_sub_u32_e32 v7, 29, v7
	v_and_b32_e32 v8, 7, v8
	v_cmp_eq_u32_e32 vcc, 0, v6
	v_cndmask_b32_e32 v6, v6, v7, vcc
	v_cndmask_b32_e32 v3, v3, v8, vcc
	v_mov_b32_e32 v7, 0x3b800000
	v_lshlrev_b32_e32 v3, 20, v3
	v_and_b32_e32 v1, 0x80000000, v1
	v_lshl_add_u32 v6, v6, 23, v7
	v_or3_b32 v3, v1, v6, v3
.LBB289_282:
	s_or_b64 exec, exec, s[42:43]
	v_cmp_eq_f32_e64 s[40:41], v5, v3
	s_and_b64 vcc, exec, s[4:5]
	s_cbranch_vccz .LBB289_134
.LBB289_283:
                                        ; implicit-def: $sgpr42_sgpr43
	s_cbranch_execz .LBB289_143
; %bb.284:
	s_movk_i32 s42, 0x7f
	v_cmp_gt_i16_sdwa s[44:45], v4, s42 src0_sel:BYTE_0 src1_sel:DWORD
	s_mov_b64 s[42:43], 0
	s_and_saveexec_b64 s[46:47], s[44:45]
	s_xor_b64 s[44:45], exec, s[46:47]
	s_cbranch_execnz .LBB289_549
; %bb.285:
	s_or_saveexec_b64 s[44:45], s[44:45]
	v_mov_b32_e32 v1, 0x7f800001
	s_xor_b64 exec, exec, s[44:45]
	s_cbranch_execnz .LBB289_552
.LBB289_286:
	s_or_b64 exec, exec, s[44:45]
	s_and_saveexec_b64 s[44:45], s[42:43]
	s_cbranch_execz .LBB289_288
.LBB289_287:
	v_and_b32_e32 v1, 7, v4
	v_ffbh_u32_e32 v5, v1
	v_min_u32_e32 v5, 32, v5
	v_subrev_u32_e32 v6, 28, v5
	v_bfe_u32 v3, v4, 3, 4
	v_lshlrev_b32_e32 v6, v6, v4
	v_sub_u32_e32 v5, 29, v5
	v_and_b32_e32 v6, 7, v6
	v_cmp_eq_u32_e32 vcc, 0, v3
	v_cndmask_b32_e32 v3, v3, v5, vcc
	v_cndmask_b32_e32 v1, v1, v6, vcc
	v_lshlrev_b32_e32 v5, 24, v4
	v_mov_b32_e32 v6, 0x3b800000
	v_lshlrev_b32_e32 v1, 20, v1
	v_and_b32_e32 v5, 0x80000000, v5
	v_lshl_add_u32 v3, v3, 23, v6
	v_or3_b32 v1, v5, v3, v1
.LBB289_288:
	s_or_b64 exec, exec, s[44:45]
	s_movk_i32 s42, 0x7f
	v_cmp_gt_i16_sdwa s[44:45], v2, s42 src0_sel:BYTE_0 src1_sel:DWORD
	s_mov_b64 s[42:43], 0
	s_and_saveexec_b64 s[46:47], s[44:45]
	s_xor_b64 s[44:45], exec, s[46:47]
	s_cbranch_execnz .LBB289_553
; %bb.289:
	s_or_saveexec_b64 s[44:45], s[44:45]
	v_mov_b32_e32 v3, 0x7f800001
	s_xor_b64 exec, exec, s[44:45]
	s_cbranch_execnz .LBB289_556
.LBB289_290:
	s_or_b64 exec, exec, s[44:45]
	s_and_saveexec_b64 s[44:45], s[42:43]
	s_cbranch_execz .LBB289_292
.LBB289_291:
	v_and_b32_e32 v3, 7, v2
	v_ffbh_u32_e32 v6, v3
	v_min_u32_e32 v6, 32, v6
	v_subrev_u32_e32 v7, 28, v6
	v_bfe_u32 v5, v2, 3, 4
	v_lshlrev_b32_e32 v7, v7, v2
	v_sub_u32_e32 v6, 29, v6
	v_and_b32_e32 v7, 7, v7
	v_cmp_eq_u32_e32 vcc, 0, v5
	v_cndmask_b32_e32 v5, v5, v6, vcc
	v_cndmask_b32_e32 v3, v3, v7, vcc
	v_lshlrev_b32_e32 v6, 24, v2
	v_mov_b32_e32 v7, 0x3b800000
	v_lshlrev_b32_e32 v3, 20, v3
	v_and_b32_e32 v6, 0x80000000, v6
	v_lshl_add_u32 v5, v5, 23, v7
	v_or3_b32 v3, v6, v5, v3
.LBB289_292:
	s_or_b64 exec, exec, s[44:45]
	v_cmp_eq_f32_e64 s[42:43], v1, v3
	v_lshrrev_b32_e32 v3, 8, v4
	s_and_b64 vcc, exec, s[4:5]
	v_lshrrev_b32_e32 v1, 8, v2
	s_cbranch_vccz .LBB289_144
.LBB289_293:
                                        ; implicit-def: $sgpr44_sgpr45
	s_cbranch_execz .LBB289_153
; %bb.294:
	s_movk_i32 s44, 0x7f
	v_cmp_gt_i16_sdwa s[46:47], v3, s44 src0_sel:BYTE_0 src1_sel:DWORD
	s_mov_b64 s[44:45], 0
	s_and_saveexec_b64 s[48:49], s[46:47]
	s_xor_b64 s[46:47], exec, s[48:49]
	s_cbranch_execnz .LBB289_557
; %bb.295:
	s_or_saveexec_b64 s[46:47], s[46:47]
	v_mov_b32_e32 v5, 0x7f800001
	s_xor_b64 exec, exec, s[46:47]
	s_cbranch_execnz .LBB289_560
.LBB289_296:
	s_or_b64 exec, exec, s[46:47]
	s_and_saveexec_b64 s[46:47], s[44:45]
	s_cbranch_execz .LBB289_298
.LBB289_297:
	v_bfe_u32 v5, v4, 8, 3
	v_ffbh_u32_e32 v7, v5
	v_min_u32_e32 v7, 32, v7
	v_subrev_u32_e32 v8, 28, v7
	v_bfe_u32 v6, v4, 11, 4
	v_lshlrev_b32_e32 v8, v8, v3
	v_sub_u32_e32 v7, 29, v7
	v_and_b32_e32 v8, 7, v8
	v_cmp_eq_u32_e32 vcc, 0, v6
	v_cndmask_b32_e32 v6, v6, v7, vcc
	v_cndmask_b32_e32 v5, v5, v8, vcc
	v_lshlrev_b32_e32 v3, 24, v3
	v_mov_b32_e32 v7, 0x3b800000
	v_lshlrev_b32_e32 v5, 20, v5
	v_and_b32_e32 v3, 0x80000000, v3
	v_lshl_add_u32 v6, v6, 23, v7
	v_or3_b32 v5, v3, v6, v5
.LBB289_298:
	s_or_b64 exec, exec, s[46:47]
	s_movk_i32 s44, 0x7f
	v_cmp_gt_i16_sdwa s[46:47], v1, s44 src0_sel:BYTE_0 src1_sel:DWORD
	s_mov_b64 s[44:45], 0
	s_and_saveexec_b64 s[48:49], s[46:47]
	s_xor_b64 s[46:47], exec, s[48:49]
	s_cbranch_execnz .LBB289_561
; %bb.299:
	s_or_saveexec_b64 s[46:47], s[46:47]
	v_mov_b32_e32 v3, 0x7f800001
	s_xor_b64 exec, exec, s[46:47]
	s_cbranch_execnz .LBB289_564
.LBB289_300:
	s_or_b64 exec, exec, s[46:47]
	s_and_saveexec_b64 s[46:47], s[44:45]
	s_cbranch_execz .LBB289_302
.LBB289_301:
	v_bfe_u32 v3, v2, 8, 3
	v_ffbh_u32_e32 v7, v3
	v_min_u32_e32 v7, 32, v7
	v_subrev_u32_e32 v8, 28, v7
	v_bfe_u32 v6, v2, 11, 4
	v_lshlrev_b32_e32 v8, v8, v1
	v_sub_u32_e32 v7, 29, v7
	v_and_b32_e32 v8, 7, v8
	v_cmp_eq_u32_e32 vcc, 0, v6
	v_cndmask_b32_e32 v6, v6, v7, vcc
	v_cndmask_b32_e32 v3, v3, v8, vcc
	v_lshlrev_b32_e32 v1, 24, v1
	v_mov_b32_e32 v7, 0x3b800000
	v_lshlrev_b32_e32 v3, 20, v3
	v_and_b32_e32 v1, 0x80000000, v1
	v_lshl_add_u32 v6, v6, 23, v7
	v_or3_b32 v3, v1, v6, v3
.LBB289_302:
	s_or_b64 exec, exec, s[46:47]
	v_cmp_eq_f32_e64 s[44:45], v5, v3
	s_and_b64 vcc, exec, s[4:5]
	s_cbranch_vccz .LBB289_154
.LBB289_303:
                                        ; implicit-def: $sgpr46_sgpr47
	s_cbranch_execz .LBB289_163
; %bb.304:
	s_movk_i32 s46, 0xff
	v_and_b32_sdwa v3, v4, s46 dst_sel:DWORD dst_unused:UNUSED_PAD src0_sel:WORD_1 src1_sel:DWORD
	s_movk_i32 s46, 0x7f
	v_cmp_lt_i16_e32 vcc, s46, v3
	s_mov_b64 s[46:47], 0
	s_and_saveexec_b64 s[48:49], vcc
	s_xor_b64 s[48:49], exec, s[48:49]
	s_cbranch_execnz .LBB289_565
; %bb.305:
	s_or_saveexec_b64 s[48:49], s[48:49]
	v_mov_b32_e32 v1, 0x7f800001
	s_xor_b64 exec, exec, s[48:49]
	s_cbranch_execnz .LBB289_568
.LBB289_306:
	s_or_b64 exec, exec, s[48:49]
	s_and_saveexec_b64 s[48:49], s[46:47]
	s_cbranch_execz .LBB289_308
.LBB289_307:
	v_bfe_u32 v1, v4, 16, 3
	v_ffbh_u32_e32 v5, v1
	v_min_u32_e32 v5, 32, v5
	v_bfe_u32 v3, v4, 19, 4
	v_subrev_u32_e32 v6, 28, v5
	v_lshlrev_b32_sdwa v6, v6, v4 dst_sel:DWORD dst_unused:UNUSED_PAD src0_sel:DWORD src1_sel:WORD_1
	v_sub_u32_e32 v5, 29, v5
	v_cmp_eq_u32_e32 vcc, 0, v3
	v_and_b32_e32 v6, 7, v6
	v_cndmask_b32_e32 v3, v3, v5, vcc
	v_mov_b32_e32 v5, 24
	v_cndmask_b32_e32 v1, v1, v6, vcc
	v_lshlrev_b32_sdwa v5, v5, v4 dst_sel:DWORD dst_unused:UNUSED_PAD src0_sel:DWORD src1_sel:WORD_1
	v_mov_b32_e32 v6, 0x3b800000
	v_lshlrev_b32_e32 v1, 20, v1
	v_and_b32_e32 v5, 0x80000000, v5
	v_lshl_add_u32 v3, v3, 23, v6
	v_or3_b32 v1, v5, v3, v1
.LBB289_308:
	s_or_b64 exec, exec, s[48:49]
	s_movk_i32 s46, 0xff
	v_and_b32_sdwa v3, v2, s46 dst_sel:DWORD dst_unused:UNUSED_PAD src0_sel:WORD_1 src1_sel:DWORD
	s_movk_i32 s46, 0x7f
	v_cmp_lt_i16_e32 vcc, s46, v3
	s_mov_b64 s[46:47], 0
	s_and_saveexec_b64 s[48:49], vcc
	s_xor_b64 s[48:49], exec, s[48:49]
	s_cbranch_execnz .LBB289_569
; %bb.309:
	s_or_saveexec_b64 s[48:49], s[48:49]
	v_mov_b32_e32 v5, 0x7f800001
	s_xor_b64 exec, exec, s[48:49]
	s_cbranch_execnz .LBB289_572
.LBB289_310:
	s_or_b64 exec, exec, s[48:49]
	s_and_saveexec_b64 s[48:49], s[46:47]
	s_cbranch_execz .LBB289_312
.LBB289_311:
	v_bfe_u32 v3, v2, 16, 3
	v_ffbh_u32_e32 v6, v3
	v_min_u32_e32 v6, 32, v6
	v_bfe_u32 v5, v2, 19, 4
	v_subrev_u32_e32 v7, 28, v6
	v_lshlrev_b32_sdwa v7, v7, v2 dst_sel:DWORD dst_unused:UNUSED_PAD src0_sel:DWORD src1_sel:WORD_1
	v_sub_u32_e32 v6, 29, v6
	v_cmp_eq_u32_e32 vcc, 0, v5
	v_and_b32_e32 v7, 7, v7
	v_cndmask_b32_e32 v5, v5, v6, vcc
	v_mov_b32_e32 v6, 24
	v_cndmask_b32_e32 v3, v3, v7, vcc
	v_lshlrev_b32_sdwa v6, v6, v2 dst_sel:DWORD dst_unused:UNUSED_PAD src0_sel:DWORD src1_sel:WORD_1
	v_mov_b32_e32 v7, 0x3b800000
	v_lshlrev_b32_e32 v3, 20, v3
	v_and_b32_e32 v6, 0x80000000, v6
	v_lshl_add_u32 v5, v5, 23, v7
	v_or3_b32 v5, v6, v5, v3
.LBB289_312:
	s_or_b64 exec, exec, s[48:49]
	v_cmp_eq_f32_e64 s[46:47], v1, v5
	s_and_b64 vcc, exec, s[4:5]
	s_cbranch_vccz .LBB289_164
.LBB289_313:
                                        ; implicit-def: $sgpr4_sgpr5
	s_cbranch_execz .LBB289_323
; %bb.314:
	s_movk_i32 s4, 0x7f
	v_cmp_gt_i16_sdwa s[48:49], v4, s4 src0_sel:BYTE_3 src1_sel:DWORD
	s_mov_b64 s[4:5], 0
	s_and_saveexec_b64 s[50:51], s[48:49]
	s_xor_b64 s[48:49], exec, s[50:51]
	s_cbranch_execnz .LBB289_573
; %bb.315:
	s_or_saveexec_b64 s[48:49], s[48:49]
	v_mov_b32_e32 v1, 0x7f800001
	s_xor_b64 exec, exec, s[48:49]
	s_cbranch_execnz .LBB289_576
.LBB289_316:
	s_or_b64 exec, exec, s[48:49]
	s_and_saveexec_b64 s[48:49], s[4:5]
	s_cbranch_execz .LBB289_318
.LBB289_317:
	v_bfe_u32 v1, v4, 24, 3
	v_ffbh_u32_e32 v5, v1
	v_min_u32_e32 v5, 32, v5
	v_subrev_u32_e32 v6, 28, v5
	v_bfe_u32 v3, v4, 27, 4
	v_lshlrev_b32_sdwa v6, v6, v4 dst_sel:DWORD dst_unused:UNUSED_PAD src0_sel:DWORD src1_sel:BYTE_3
	v_sub_u32_e32 v5, 29, v5
	v_and_b32_e32 v6, 7, v6
	v_cmp_eq_u32_e32 vcc, 0, v3
	v_cndmask_b32_e32 v3, v3, v5, vcc
	v_cndmask_b32_e32 v1, v1, v6, vcc
	v_mov_b32_e32 v5, 0x3b800000
	v_lshlrev_b32_e32 v1, 20, v1
	v_and_b32_e32 v4, 0x80000000, v4
	v_lshl_add_u32 v3, v3, 23, v5
	v_or3_b32 v1, v4, v3, v1
.LBB289_318:
	s_or_b64 exec, exec, s[48:49]
	s_movk_i32 s4, 0x7f
	v_cmp_gt_i16_sdwa s[48:49], v2, s4 src0_sel:BYTE_3 src1_sel:DWORD
	s_mov_b64 s[4:5], 0
	s_and_saveexec_b64 s[50:51], s[48:49]
	s_xor_b64 s[48:49], exec, s[50:51]
	s_cbranch_execnz .LBB289_577
; %bb.319:
	s_or_saveexec_b64 s[48:49], s[48:49]
	v_mov_b32_e32 v3, 0x7f800001
	s_xor_b64 exec, exec, s[48:49]
	s_cbranch_execnz .LBB289_580
.LBB289_320:
	s_or_b64 exec, exec, s[48:49]
	s_and_saveexec_b64 s[48:49], s[4:5]
	s_cbranch_execz .LBB289_322
.LBB289_321:
	v_bfe_u32 v3, v2, 24, 3
	v_ffbh_u32_e32 v5, v3
	v_min_u32_e32 v5, 32, v5
	v_subrev_u32_e32 v6, 28, v5
	v_bfe_u32 v4, v2, 27, 4
	v_lshlrev_b32_sdwa v6, v6, v2 dst_sel:DWORD dst_unused:UNUSED_PAD src0_sel:DWORD src1_sel:BYTE_3
	v_sub_u32_e32 v5, 29, v5
	v_and_b32_e32 v6, 7, v6
	v_cmp_eq_u32_e32 vcc, 0, v4
	v_cndmask_b32_e32 v4, v4, v5, vcc
	v_cndmask_b32_e32 v3, v3, v6, vcc
	v_mov_b32_e32 v5, 0x3b800000
	v_lshlrev_b32_e32 v3, 20, v3
	v_and_b32_e32 v2, 0x80000000, v2
	v_lshl_add_u32 v4, v4, 23, v5
	v_or3_b32 v3, v2, v4, v3
.LBB289_322:
	s_or_b64 exec, exec, s[48:49]
	v_cmp_eq_f32_e64 s[4:5], v1, v3
.LBB289_323:
	v_cndmask_b32_e64 v1, 0, 1, s[18:19]
	v_lshlrev_b16_e32 v1, 8, v1
	v_cndmask_b32_e64 v2, 0, 1, s[16:17]
	v_or_b32_e32 v1, v2, v1
	v_cndmask_b32_e64 v2, 0, 1, s[22:23]
	v_lshlrev_b16_e32 v2, 8, v2
	v_cndmask_b32_e64 v3, 0, 1, s[20:21]
	v_or_b32_sdwa v2, v3, v2 dst_sel:WORD_1 dst_unused:UNUSED_PAD src0_sel:DWORD src1_sel:DWORD
	v_or_b32_sdwa v1, v1, v2 dst_sel:DWORD dst_unused:UNUSED_PAD src0_sel:WORD_0 src1_sel:DWORD
	v_cndmask_b32_e64 v2, 0, 1, s[26:27]
	v_lshlrev_b16_e32 v2, 8, v2
	v_cndmask_b32_e64 v3, 0, 1, s[24:25]
	v_or_b32_e32 v2, v3, v2
	v_cndmask_b32_e64 v3, 0, 1, s[30:31]
	v_lshlrev_b16_e32 v3, 8, v3
	v_cndmask_b32_e64 v4, 0, 1, s[28:29]
	v_or_b32_sdwa v3, v4, v3 dst_sel:WORD_1 dst_unused:UNUSED_PAD src0_sel:DWORD src1_sel:DWORD
	v_or_b32_sdwa v2, v2, v3 dst_sel:DWORD dst_unused:UNUSED_PAD src0_sel:WORD_0 src1_sel:DWORD
	;; [unrolled: 9-line block ×3, first 2 shown]
	v_cndmask_b32_e64 v4, 0, 1, s[44:45]
	v_lshlrev_b16_e32 v4, 8, v4
	v_cndmask_b32_e64 v5, 0, 1, s[42:43]
	v_or_b32_e32 v4, v5, v4
	v_cndmask_b32_e64 v5, 0, 1, s[4:5]
	v_lshlrev_b16_e32 v5, 8, v5
	v_cndmask_b32_e64 v6, 0, 1, s[46:47]
	s_add_u32 s4, s8, s33
	v_or_b32_sdwa v5, v6, v5 dst_sel:WORD_1 dst_unused:UNUSED_PAD src0_sel:DWORD src1_sel:DWORD
	s_addc_u32 s5, s9, s12
	v_or_b32_sdwa v4, v4, v5 dst_sel:DWORD dst_unused:UNUSED_PAD src0_sel:WORD_0 src1_sel:DWORD
	global_store_dwordx2 v9, v[1:2], s[4:5]
	global_store_dwordx2 v9, v[3:4], s[4:5] offset:2048
	s_branch .LBB289_2
.LBB289_324:
	s_getpc_b64 s[4:5]
	s_add_u32 s4, s4, _ZN2at6native25elementwise_kernel_helperILb0ENS0_13BinaryFunctorIN3c1015Float8_e4m3fnuzES4_bNS0_12_GLOBAL__N_116CompareEqFunctorIS4_EEEENS0_6memory8policies11unroll_baseILi256ESt5arrayIPcLm3EE23TrivialOffsetCalculatorILi2EjESF_ILi1EjENS9_15LoadWithoutCastENS9_16StoreWithoutCastELi16ELi1EEEEEvT0_T1_@rel32@lo+4
	s_addc_u32 s5, s5, _ZN2at6native25elementwise_kernel_helperILb0ENS0_13BinaryFunctorIN3c1015Float8_e4m3fnuzES4_bNS0_12_GLOBAL__N_116CompareEqFunctorIS4_EEEENS0_6memory8policies11unroll_baseILi256ESt5arrayIPcLm3EE23TrivialOffsetCalculatorILi2EjESF_ILi1EjENS9_15LoadWithoutCastENS9_16StoreWithoutCastELi16ELi1EEEEEvT0_T1_@rel32@hi+12
	s_mov_b32 s12, s6
	v_mov_b32_e32 v31, v0
	v_mov_b32_e32 v0, s13
	;; [unrolled: 1-line block ×9, first 2 shown]
	s_swappc_b64 s[30:31], s[4:5]
	s_endpgm
.LBB289_325:
	s_movk_i32 s4, 0x80
	v_cmp_eq_u16_sdwa s[22:23], v7, s4 src0_sel:BYTE_0 src1_sel:DWORD
	s_mov_b64 s[4:5], -1
	s_and_saveexec_b64 s[20:21], s[22:23]
; %bb.326:
	s_xor_b64 s[4:5], exec, -1
; %bb.327:
	s_or_b64 exec, exec, s[20:21]
	s_and_b64 s[4:5], s[4:5], exec
	s_or_saveexec_b64 s[16:17], s[16:17]
	v_mov_b32_e32 v10, 0x7f800001
	s_xor_b64 exec, exec, s[16:17]
	s_cbranch_execz .LBB289_6
.LBB289_328:
	v_mov_b32_e32 v10, 0
	v_cmp_ne_u16_sdwa s[20:21], v7, v10 src0_sel:BYTE_0 src1_sel:DWORD
	s_andn2_b64 s[4:5], s[4:5], exec
	s_and_b64 s[20:21], s[20:21], exec
	s_or_b64 s[4:5], s[4:5], s[20:21]
	s_or_b64 exec, exec, s[16:17]
	s_and_saveexec_b64 s[16:17], s[4:5]
	s_cbranch_execnz .LBB289_7
	s_branch .LBB289_8
.LBB289_329:
	s_movk_i32 s4, 0x80
	v_cmp_eq_u16_sdwa s[22:23], v5, s4 src0_sel:BYTE_0 src1_sel:DWORD
	s_mov_b64 s[4:5], -1
	s_and_saveexec_b64 s[20:21], s[22:23]
; %bb.330:
	s_xor_b64 s[4:5], exec, -1
; %bb.331:
	s_or_b64 exec, exec, s[20:21]
	s_and_b64 s[4:5], s[4:5], exec
	s_or_saveexec_b64 s[16:17], s[16:17]
	v_mov_b32_e32 v11, 0x7f800001
	s_xor_b64 exec, exec, s[16:17]
	s_cbranch_execz .LBB289_10
.LBB289_332:
	v_mov_b32_e32 v11, 0
	v_cmp_ne_u16_sdwa s[20:21], v5, v11 src0_sel:BYTE_0 src1_sel:DWORD
	s_andn2_b64 s[4:5], s[4:5], exec
	s_and_b64 s[20:21], s[20:21], exec
	s_or_b64 s[4:5], s[4:5], s[20:21]
	s_or_b64 exec, exec, s[16:17]
	s_and_saveexec_b64 s[16:17], s[4:5]
	s_cbranch_execnz .LBB289_11
	s_branch .LBB289_12
.LBB289_333:
	s_movk_i32 s18, 0x80
	v_cmp_eq_u16_sdwa s[24:25], v11, s18 src0_sel:BYTE_0 src1_sel:DWORD
	s_mov_b64 s[18:19], -1
	s_and_saveexec_b64 s[22:23], s[24:25]
; %bb.334:
	s_xor_b64 s[18:19], exec, -1
; %bb.335:
	s_or_b64 exec, exec, s[22:23]
	s_and_b64 s[18:19], s[18:19], exec
	s_or_saveexec_b64 s[20:21], s[20:21]
	v_mov_b32_e32 v12, 0x7f800001
	s_xor_b64 exec, exec, s[20:21]
	s_cbranch_execz .LBB289_26
.LBB289_336:
	v_mov_b32_e32 v12, 0
	v_cmp_ne_u16_sdwa s[22:23], v11, v12 src0_sel:BYTE_0 src1_sel:DWORD
	s_andn2_b64 s[18:19], s[18:19], exec
	s_and_b64 s[22:23], s[22:23], exec
	s_or_b64 s[18:19], s[18:19], s[22:23]
	s_or_b64 exec, exec, s[20:21]
	s_and_saveexec_b64 s[20:21], s[18:19]
	s_cbranch_execnz .LBB289_27
	s_branch .LBB289_28
.LBB289_337:
	s_movk_i32 s18, 0x80
	v_cmp_eq_u16_sdwa s[24:25], v10, s18 src0_sel:BYTE_0 src1_sel:DWORD
	s_mov_b64 s[18:19], -1
	s_and_saveexec_b64 s[22:23], s[24:25]
; %bb.338:
	s_xor_b64 s[18:19], exec, -1
; %bb.339:
	s_or_b64 exec, exec, s[22:23]
	s_and_b64 s[18:19], s[18:19], exec
	s_or_saveexec_b64 s[20:21], s[20:21]
	v_mov_b32_e32 v13, 0x7f800001
	s_xor_b64 exec, exec, s[20:21]
	s_cbranch_execz .LBB289_30
.LBB289_340:
	v_mov_b32_e32 v13, 0
	v_cmp_ne_u16_sdwa s[22:23], v10, v13 src0_sel:BYTE_0 src1_sel:DWORD
	s_andn2_b64 s[18:19], s[18:19], exec
	s_and_b64 s[22:23], s[22:23], exec
	s_or_b64 s[18:19], s[18:19], s[22:23]
	s_or_b64 exec, exec, s[20:21]
	s_and_saveexec_b64 s[20:21], s[18:19]
	s_cbranch_execnz .LBB289_31
	s_branch .LBB289_32
.LBB289_341:
	s_movk_i32 s20, 0x80
	v_cmp_eq_u16_e32 vcc, s20, v11
	s_mov_b64 s[20:21], -1
	s_and_saveexec_b64 s[24:25], vcc
; %bb.342:
	s_xor_b64 s[20:21], exec, -1
; %bb.343:
	s_or_b64 exec, exec, s[24:25]
	s_and_b64 s[20:21], s[20:21], exec
                                        ; implicit-def: $vgpr11
	s_or_saveexec_b64 s[22:23], s[22:23]
	v_mov_b32_e32 v10, 0x7f800001
	s_xor_b64 exec, exec, s[22:23]
	s_cbranch_execz .LBB289_36
.LBB289_344:
	v_cmp_ne_u16_e32 vcc, 0, v11
	s_andn2_b64 s[20:21], s[20:21], exec
	s_and_b64 s[24:25], vcc, exec
	v_mov_b32_e32 v10, 0
	s_or_b64 s[20:21], s[20:21], s[24:25]
	s_or_b64 exec, exec, s[22:23]
	s_and_saveexec_b64 s[22:23], s[20:21]
	s_cbranch_execnz .LBB289_37
	s_branch .LBB289_38
.LBB289_345:
	s_movk_i32 s20, 0x80
	v_cmp_eq_u16_e32 vcc, s20, v11
	s_mov_b64 s[20:21], -1
	s_and_saveexec_b64 s[24:25], vcc
; %bb.346:
	s_xor_b64 s[20:21], exec, -1
; %bb.347:
	s_or_b64 exec, exec, s[24:25]
	s_and_b64 s[20:21], s[20:21], exec
                                        ; implicit-def: $vgpr11
	s_or_saveexec_b64 s[22:23], s[22:23]
	v_mov_b32_e32 v12, 0x7f800001
	s_xor_b64 exec, exec, s[22:23]
	s_cbranch_execz .LBB289_40
.LBB289_348:
	v_cmp_ne_u16_e32 vcc, 0, v11
	s_andn2_b64 s[20:21], s[20:21], exec
	s_and_b64 s[24:25], vcc, exec
	v_mov_b32_e32 v12, 0
	s_or_b64 s[20:21], s[20:21], s[24:25]
	s_or_b64 exec, exec, s[22:23]
	s_and_saveexec_b64 s[22:23], s[20:21]
	s_cbranch_execnz .LBB289_41
	s_branch .LBB289_42
.LBB289_349:
	s_movk_i32 s22, 0x80
	v_cmp_eq_u16_sdwa s[28:29], v7, s22 src0_sel:BYTE_3 src1_sel:DWORD
	s_mov_b64 s[22:23], -1
	s_and_saveexec_b64 s[26:27], s[28:29]
; %bb.350:
	s_xor_b64 s[22:23], exec, -1
; %bb.351:
	s_or_b64 exec, exec, s[26:27]
	s_and_b64 s[22:23], s[22:23], exec
	s_or_saveexec_b64 s[24:25], s[24:25]
	v_mov_b32_e32 v10, 0x7f800001
	s_xor_b64 exec, exec, s[24:25]
	s_cbranch_execz .LBB289_46
.LBB289_352:
	v_mov_b32_e32 v10, 0
	v_cmp_ne_u16_sdwa s[26:27], v7, v10 src0_sel:BYTE_3 src1_sel:DWORD
	s_andn2_b64 s[22:23], s[22:23], exec
	s_and_b64 s[26:27], s[26:27], exec
	s_or_b64 s[22:23], s[22:23], s[26:27]
	s_or_b64 exec, exec, s[24:25]
	s_and_saveexec_b64 s[24:25], s[22:23]
	s_cbranch_execnz .LBB289_47
	s_branch .LBB289_48
.LBB289_353:
	s_movk_i32 s22, 0x80
	v_cmp_eq_u16_sdwa s[28:29], v5, s22 src0_sel:BYTE_3 src1_sel:DWORD
	s_mov_b64 s[22:23], -1
	s_and_saveexec_b64 s[26:27], s[28:29]
; %bb.354:
	s_xor_b64 s[22:23], exec, -1
; %bb.355:
	s_or_b64 exec, exec, s[26:27]
	s_and_b64 s[22:23], s[22:23], exec
	s_or_saveexec_b64 s[24:25], s[24:25]
	v_mov_b32_e32 v11, 0x7f800001
	s_xor_b64 exec, exec, s[24:25]
	s_cbranch_execz .LBB289_50
.LBB289_356:
	v_mov_b32_e32 v11, 0
	v_cmp_ne_u16_sdwa s[26:27], v5, v11 src0_sel:BYTE_3 src1_sel:DWORD
	s_andn2_b64 s[22:23], s[22:23], exec
	s_and_b64 s[26:27], s[26:27], exec
	s_or_b64 s[22:23], s[22:23], s[26:27]
	s_or_b64 exec, exec, s[24:25]
	s_and_saveexec_b64 s[24:25], s[22:23]
	s_cbranch_execnz .LBB289_51
	s_branch .LBB289_52
.LBB289_357:
	s_movk_i32 s24, 0x80
	v_cmp_eq_u16_sdwa s[30:31], v8, s24 src0_sel:BYTE_0 src1_sel:DWORD
	s_mov_b64 s[24:25], -1
	s_and_saveexec_b64 s[28:29], s[30:31]
; %bb.358:
	s_xor_b64 s[24:25], exec, -1
; %bb.359:
	s_or_b64 exec, exec, s[28:29]
	s_and_b64 s[24:25], s[24:25], exec
	s_or_saveexec_b64 s[26:27], s[26:27]
	v_mov_b32_e32 v5, 0x7f800001
	s_xor_b64 exec, exec, s[26:27]
	s_cbranch_execz .LBB289_56
.LBB289_360:
	v_mov_b32_e32 v5, 0
	v_cmp_ne_u16_sdwa s[28:29], v8, v5 src0_sel:BYTE_0 src1_sel:DWORD
	s_andn2_b64 s[24:25], s[24:25], exec
	s_and_b64 s[28:29], s[28:29], exec
	s_or_b64 s[24:25], s[24:25], s[28:29]
	s_or_b64 exec, exec, s[26:27]
	s_and_saveexec_b64 s[26:27], s[24:25]
	s_cbranch_execnz .LBB289_57
	s_branch .LBB289_58
.LBB289_361:
	s_movk_i32 s24, 0x80
	v_cmp_eq_u16_sdwa s[30:31], v6, s24 src0_sel:BYTE_0 src1_sel:DWORD
	s_mov_b64 s[24:25], -1
	s_and_saveexec_b64 s[28:29], s[30:31]
; %bb.362:
	s_xor_b64 s[24:25], exec, -1
; %bb.363:
	s_or_b64 exec, exec, s[28:29]
	s_and_b64 s[24:25], s[24:25], exec
	s_or_saveexec_b64 s[26:27], s[26:27]
	v_mov_b32_e32 v7, 0x7f800001
	s_xor_b64 exec, exec, s[26:27]
	s_cbranch_execz .LBB289_60
.LBB289_364:
	v_mov_b32_e32 v7, 0
	v_cmp_ne_u16_sdwa s[28:29], v6, v7 src0_sel:BYTE_0 src1_sel:DWORD
	s_andn2_b64 s[24:25], s[24:25], exec
	s_and_b64 s[28:29], s[28:29], exec
	s_or_b64 s[24:25], s[24:25], s[28:29]
	s_or_b64 exec, exec, s[26:27]
	s_and_saveexec_b64 s[26:27], s[24:25]
	s_cbranch_execnz .LBB289_61
	s_branch .LBB289_62
.LBB289_365:
	s_movk_i32 s26, 0x80
	v_cmp_eq_u16_sdwa s[34:35], v7, s26 src0_sel:BYTE_0 src1_sel:DWORD
	s_mov_b64 s[26:27], -1
	s_and_saveexec_b64 s[30:31], s[34:35]
; %bb.366:
	s_xor_b64 s[26:27], exec, -1
; %bb.367:
	s_or_b64 exec, exec, s[30:31]
	s_and_b64 s[26:27], s[26:27], exec
	s_or_saveexec_b64 s[28:29], s[28:29]
	v_mov_b32_e32 v10, 0x7f800001
	s_xor_b64 exec, exec, s[28:29]
	s_cbranch_execz .LBB289_66
.LBB289_368:
	v_mov_b32_e32 v10, 0
	v_cmp_ne_u16_sdwa s[30:31], v7, v10 src0_sel:BYTE_0 src1_sel:DWORD
	s_andn2_b64 s[26:27], s[26:27], exec
	s_and_b64 s[30:31], s[30:31], exec
	s_or_b64 s[26:27], s[26:27], s[30:31]
	s_or_b64 exec, exec, s[28:29]
	s_and_saveexec_b64 s[28:29], s[26:27]
	s_cbranch_execnz .LBB289_67
	s_branch .LBB289_68
.LBB289_369:
	s_movk_i32 s26, 0x80
	v_cmp_eq_u16_sdwa s[34:35], v5, s26 src0_sel:BYTE_0 src1_sel:DWORD
	s_mov_b64 s[26:27], -1
	s_and_saveexec_b64 s[30:31], s[34:35]
; %bb.370:
	s_xor_b64 s[26:27], exec, -1
; %bb.371:
	s_or_b64 exec, exec, s[30:31]
	s_and_b64 s[26:27], s[26:27], exec
	s_or_saveexec_b64 s[28:29], s[28:29]
	v_mov_b32_e32 v11, 0x7f800001
	s_xor_b64 exec, exec, s[28:29]
	s_cbranch_execz .LBB289_70
.LBB289_372:
	v_mov_b32_e32 v11, 0
	v_cmp_ne_u16_sdwa s[30:31], v5, v11 src0_sel:BYTE_0 src1_sel:DWORD
	s_andn2_b64 s[26:27], s[26:27], exec
	s_and_b64 s[30:31], s[30:31], exec
	s_or_b64 s[26:27], s[26:27], s[30:31]
	s_or_b64 exec, exec, s[28:29]
	s_and_saveexec_b64 s[28:29], s[26:27]
	s_cbranch_execnz .LBB289_71
	s_branch .LBB289_72
.LBB289_373:
	s_movk_i32 s28, 0x80
	v_cmp_eq_u16_e32 vcc, s28, v7
	s_mov_b64 s[28:29], -1
	s_and_saveexec_b64 s[34:35], vcc
; %bb.374:
	s_xor_b64 s[28:29], exec, -1
; %bb.375:
	s_or_b64 exec, exec, s[34:35]
	s_and_b64 s[28:29], s[28:29], exec
                                        ; implicit-def: $vgpr7
	s_or_saveexec_b64 s[30:31], s[30:31]
	v_mov_b32_e32 v5, 0x7f800001
	s_xor_b64 exec, exec, s[30:31]
	s_cbranch_execz .LBB289_76
.LBB289_376:
	v_cmp_ne_u16_e32 vcc, 0, v7
	s_andn2_b64 s[28:29], s[28:29], exec
	s_and_b64 s[34:35], vcc, exec
	v_mov_b32_e32 v5, 0
	s_or_b64 s[28:29], s[28:29], s[34:35]
	s_or_b64 exec, exec, s[30:31]
	s_and_saveexec_b64 s[30:31], s[28:29]
	s_cbranch_execnz .LBB289_77
	s_branch .LBB289_78
.LBB289_377:
	s_movk_i32 s28, 0x80
	v_cmp_eq_u16_e32 vcc, s28, v7
	s_mov_b64 s[28:29], -1
	s_and_saveexec_b64 s[34:35], vcc
; %bb.378:
	s_xor_b64 s[28:29], exec, -1
; %bb.379:
	s_or_b64 exec, exec, s[34:35]
	s_and_b64 s[28:29], s[28:29], exec
                                        ; implicit-def: $vgpr7
	s_or_saveexec_b64 s[30:31], s[30:31]
	v_mov_b32_e32 v10, 0x7f800001
	s_xor_b64 exec, exec, s[30:31]
	s_cbranch_execz .LBB289_80
.LBB289_380:
	v_cmp_ne_u16_e32 vcc, 0, v7
	s_andn2_b64 s[28:29], s[28:29], exec
	s_and_b64 s[34:35], vcc, exec
	v_mov_b32_e32 v10, 0
	s_or_b64 s[28:29], s[28:29], s[34:35]
	s_or_b64 exec, exec, s[30:31]
	s_and_saveexec_b64 s[30:31], s[28:29]
	s_cbranch_execnz .LBB289_81
	s_branch .LBB289_82
.LBB289_381:
	s_movk_i32 s30, 0x80
	v_cmp_eq_u16_sdwa s[38:39], v8, s30 src0_sel:BYTE_3 src1_sel:DWORD
	s_mov_b64 s[30:31], -1
	s_and_saveexec_b64 s[36:37], s[38:39]
; %bb.382:
	s_xor_b64 s[30:31], exec, -1
; %bb.383:
	s_or_b64 exec, exec, s[36:37]
	s_and_b64 s[30:31], s[30:31], exec
	s_or_saveexec_b64 s[34:35], s[34:35]
	v_mov_b32_e32 v5, 0x7f800001
	s_xor_b64 exec, exec, s[34:35]
	s_cbranch_execz .LBB289_86
.LBB289_384:
	v_mov_b32_e32 v5, 0
	v_cmp_ne_u16_sdwa s[36:37], v8, v5 src0_sel:BYTE_3 src1_sel:DWORD
	s_andn2_b64 s[30:31], s[30:31], exec
	s_and_b64 s[36:37], s[36:37], exec
	s_or_b64 s[30:31], s[30:31], s[36:37]
	s_or_b64 exec, exec, s[34:35]
	s_and_saveexec_b64 s[34:35], s[30:31]
	s_cbranch_execnz .LBB289_87
	s_branch .LBB289_88
.LBB289_385:
	s_movk_i32 s30, 0x80
	v_cmp_eq_u16_sdwa s[38:39], v6, s30 src0_sel:BYTE_3 src1_sel:DWORD
	s_mov_b64 s[30:31], -1
	s_and_saveexec_b64 s[36:37], s[38:39]
; %bb.386:
	s_xor_b64 s[30:31], exec, -1
; %bb.387:
	s_or_b64 exec, exec, s[36:37]
	s_and_b64 s[30:31], s[30:31], exec
	s_or_saveexec_b64 s[34:35], s[34:35]
	v_mov_b32_e32 v7, 0x7f800001
	s_xor_b64 exec, exec, s[34:35]
	s_cbranch_execz .LBB289_90
.LBB289_388:
	v_mov_b32_e32 v7, 0
	v_cmp_ne_u16_sdwa s[36:37], v6, v7 src0_sel:BYTE_3 src1_sel:DWORD
	s_andn2_b64 s[30:31], s[30:31], exec
	s_and_b64 s[36:37], s[36:37], exec
	s_or_b64 s[30:31], s[30:31], s[36:37]
	s_or_b64 exec, exec, s[34:35]
	s_and_saveexec_b64 s[34:35], s[30:31]
	s_cbranch_execnz .LBB289_91
	s_branch .LBB289_92
.LBB289_389:
	s_movk_i32 s34, 0x80
	v_cmp_eq_u16_sdwa s[40:41], v3, s34 src0_sel:BYTE_0 src1_sel:DWORD
	s_mov_b64 s[34:35], -1
	s_and_saveexec_b64 s[38:39], s[40:41]
; %bb.390:
	s_xor_b64 s[34:35], exec, -1
; %bb.391:
	s_or_b64 exec, exec, s[38:39]
	s_and_b64 s[34:35], s[34:35], exec
	s_or_saveexec_b64 s[36:37], s[36:37]
	v_mov_b32_e32 v5, 0x7f800001
	s_xor_b64 exec, exec, s[36:37]
	s_cbranch_execz .LBB289_96
.LBB289_392:
	v_mov_b32_e32 v5, 0
	v_cmp_ne_u16_sdwa s[38:39], v3, v5 src0_sel:BYTE_0 src1_sel:DWORD
	s_andn2_b64 s[34:35], s[34:35], exec
	s_and_b64 s[38:39], s[38:39], exec
	s_or_b64 s[34:35], s[34:35], s[38:39]
	s_or_b64 exec, exec, s[36:37]
	s_and_saveexec_b64 s[36:37], s[34:35]
	s_cbranch_execnz .LBB289_97
	s_branch .LBB289_98
.LBB289_393:
	s_movk_i32 s34, 0x80
	v_cmp_eq_u16_sdwa s[40:41], v1, s34 src0_sel:BYTE_0 src1_sel:DWORD
	s_mov_b64 s[34:35], -1
	s_and_saveexec_b64 s[38:39], s[40:41]
; %bb.394:
	s_xor_b64 s[34:35], exec, -1
; %bb.395:
	s_or_b64 exec, exec, s[38:39]
	s_and_b64 s[34:35], s[34:35], exec
	s_or_saveexec_b64 s[36:37], s[36:37]
	v_mov_b32_e32 v6, 0x7f800001
	s_xor_b64 exec, exec, s[36:37]
	s_cbranch_execz .LBB289_100
.LBB289_396:
	v_mov_b32_e32 v6, 0
	v_cmp_ne_u16_sdwa s[38:39], v1, v6 src0_sel:BYTE_0 src1_sel:DWORD
	s_andn2_b64 s[34:35], s[34:35], exec
	s_and_b64 s[38:39], s[38:39], exec
	s_or_b64 s[34:35], s[34:35], s[38:39]
	s_or_b64 exec, exec, s[36:37]
	s_and_saveexec_b64 s[36:37], s[34:35]
	s_cbranch_execnz .LBB289_101
	s_branch .LBB289_102
.LBB289_397:
	s_movk_i32 s36, 0x80
	v_cmp_eq_u16_sdwa s[42:43], v6, s36 src0_sel:BYTE_0 src1_sel:DWORD
	s_mov_b64 s[36:37], -1
	s_and_saveexec_b64 s[40:41], s[42:43]
; %bb.398:
	s_xor_b64 s[36:37], exec, -1
; %bb.399:
	s_or_b64 exec, exec, s[40:41]
	s_and_b64 s[36:37], s[36:37], exec
	s_or_saveexec_b64 s[38:39], s[38:39]
	v_mov_b32_e32 v7, 0x7f800001
	s_xor_b64 exec, exec, s[38:39]
	s_cbranch_execz .LBB289_106
.LBB289_400:
	v_mov_b32_e32 v7, 0
	v_cmp_ne_u16_sdwa s[40:41], v6, v7 src0_sel:BYTE_0 src1_sel:DWORD
	s_andn2_b64 s[36:37], s[36:37], exec
	s_and_b64 s[40:41], s[40:41], exec
	s_or_b64 s[36:37], s[36:37], s[40:41]
	s_or_b64 exec, exec, s[38:39]
	s_and_saveexec_b64 s[38:39], s[36:37]
	s_cbranch_execnz .LBB289_107
	s_branch .LBB289_108
.LBB289_401:
	s_movk_i32 s36, 0x80
	v_cmp_eq_u16_sdwa s[42:43], v5, s36 src0_sel:BYTE_0 src1_sel:DWORD
	s_mov_b64 s[36:37], -1
	s_and_saveexec_b64 s[40:41], s[42:43]
; %bb.402:
	s_xor_b64 s[36:37], exec, -1
; %bb.403:
	s_or_b64 exec, exec, s[40:41]
	s_and_b64 s[36:37], s[36:37], exec
	s_or_saveexec_b64 s[38:39], s[38:39]
	v_mov_b32_e32 v8, 0x7f800001
	s_xor_b64 exec, exec, s[38:39]
	s_cbranch_execz .LBB289_110
.LBB289_404:
	v_mov_b32_e32 v8, 0
	v_cmp_ne_u16_sdwa s[40:41], v5, v8 src0_sel:BYTE_0 src1_sel:DWORD
	s_andn2_b64 s[36:37], s[36:37], exec
	s_and_b64 s[40:41], s[40:41], exec
	s_or_b64 s[36:37], s[36:37], s[40:41]
	s_or_b64 exec, exec, s[38:39]
	s_and_saveexec_b64 s[38:39], s[36:37]
	s_cbranch_execnz .LBB289_111
	s_branch .LBB289_112
.LBB289_405:
	s_movk_i32 s38, 0x80
	v_cmp_eq_u16_e32 vcc, s38, v6
	s_mov_b64 s[38:39], -1
	s_and_saveexec_b64 s[42:43], vcc
; %bb.406:
	s_xor_b64 s[38:39], exec, -1
; %bb.407:
	s_or_b64 exec, exec, s[42:43]
	s_and_b64 s[38:39], s[38:39], exec
                                        ; implicit-def: $vgpr6
	s_or_saveexec_b64 s[40:41], s[40:41]
	v_mov_b32_e32 v5, 0x7f800001
	s_xor_b64 exec, exec, s[40:41]
	s_cbranch_execz .LBB289_116
.LBB289_408:
	v_cmp_ne_u16_e32 vcc, 0, v6
	s_andn2_b64 s[38:39], s[38:39], exec
	s_and_b64 s[42:43], vcc, exec
	v_mov_b32_e32 v5, 0
	s_or_b64 s[38:39], s[38:39], s[42:43]
	s_or_b64 exec, exec, s[40:41]
	s_and_saveexec_b64 s[40:41], s[38:39]
	s_cbranch_execnz .LBB289_117
	s_branch .LBB289_118
.LBB289_409:
	s_movk_i32 s38, 0x80
	v_cmp_eq_u16_e32 vcc, s38, v6
	s_mov_b64 s[38:39], -1
	s_and_saveexec_b64 s[42:43], vcc
; %bb.410:
	s_xor_b64 s[38:39], exec, -1
; %bb.411:
	s_or_b64 exec, exec, s[42:43]
	s_and_b64 s[38:39], s[38:39], exec
                                        ; implicit-def: $vgpr6
	s_or_saveexec_b64 s[40:41], s[40:41]
	v_mov_b32_e32 v7, 0x7f800001
	s_xor_b64 exec, exec, s[40:41]
	s_cbranch_execz .LBB289_120
.LBB289_412:
	v_cmp_ne_u16_e32 vcc, 0, v6
	s_andn2_b64 s[38:39], s[38:39], exec
	s_and_b64 s[42:43], vcc, exec
	v_mov_b32_e32 v7, 0
	s_or_b64 s[38:39], s[38:39], s[42:43]
	s_or_b64 exec, exec, s[40:41]
	s_and_saveexec_b64 s[40:41], s[38:39]
	s_cbranch_execnz .LBB289_121
	s_branch .LBB289_122
.LBB289_413:
	s_movk_i32 s40, 0x80
	v_cmp_eq_u16_sdwa s[46:47], v3, s40 src0_sel:BYTE_3 src1_sel:DWORD
	s_mov_b64 s[40:41], -1
	s_and_saveexec_b64 s[44:45], s[46:47]
; %bb.414:
	s_xor_b64 s[40:41], exec, -1
; %bb.415:
	s_or_b64 exec, exec, s[44:45]
	s_and_b64 s[40:41], s[40:41], exec
	s_or_saveexec_b64 s[42:43], s[42:43]
	v_mov_b32_e32 v5, 0x7f800001
	s_xor_b64 exec, exec, s[42:43]
	s_cbranch_execz .LBB289_126
.LBB289_416:
	v_mov_b32_e32 v5, 0
	v_cmp_ne_u16_sdwa s[44:45], v3, v5 src0_sel:BYTE_3 src1_sel:DWORD
	s_andn2_b64 s[40:41], s[40:41], exec
	s_and_b64 s[44:45], s[44:45], exec
	s_or_b64 s[40:41], s[40:41], s[44:45]
	s_or_b64 exec, exec, s[42:43]
	s_and_saveexec_b64 s[42:43], s[40:41]
	s_cbranch_execnz .LBB289_127
	s_branch .LBB289_128
.LBB289_417:
	s_movk_i32 s40, 0x80
	v_cmp_eq_u16_sdwa s[46:47], v1, s40 src0_sel:BYTE_3 src1_sel:DWORD
	s_mov_b64 s[40:41], -1
	s_and_saveexec_b64 s[44:45], s[46:47]
; %bb.418:
	s_xor_b64 s[40:41], exec, -1
; %bb.419:
	s_or_b64 exec, exec, s[44:45]
	s_and_b64 s[40:41], s[40:41], exec
	s_or_saveexec_b64 s[42:43], s[42:43]
	v_mov_b32_e32 v6, 0x7f800001
	s_xor_b64 exec, exec, s[42:43]
	s_cbranch_execz .LBB289_130
.LBB289_420:
	v_mov_b32_e32 v6, 0
	v_cmp_ne_u16_sdwa s[44:45], v1, v6 src0_sel:BYTE_3 src1_sel:DWORD
	s_andn2_b64 s[40:41], s[40:41], exec
	s_and_b64 s[44:45], s[44:45], exec
	s_or_b64 s[40:41], s[40:41], s[44:45]
	s_or_b64 exec, exec, s[42:43]
	s_and_saveexec_b64 s[42:43], s[40:41]
	s_cbranch_execnz .LBB289_131
	s_branch .LBB289_132
.LBB289_421:
	s_movk_i32 s42, 0x80
	v_cmp_eq_u16_sdwa s[48:49], v4, s42 src0_sel:BYTE_0 src1_sel:DWORD
	s_mov_b64 s[42:43], -1
	s_and_saveexec_b64 s[46:47], s[48:49]
; %bb.422:
	s_xor_b64 s[42:43], exec, -1
; %bb.423:
	s_or_b64 exec, exec, s[46:47]
	s_and_b64 s[42:43], s[42:43], exec
	s_or_saveexec_b64 s[44:45], s[44:45]
	v_mov_b32_e32 v1, 0x7f800001
	s_xor_b64 exec, exec, s[44:45]
	s_cbranch_execz .LBB289_136
.LBB289_424:
	v_mov_b32_e32 v1, 0
	v_cmp_ne_u16_sdwa s[46:47], v4, v1 src0_sel:BYTE_0 src1_sel:DWORD
	s_andn2_b64 s[42:43], s[42:43], exec
	s_and_b64 s[46:47], s[46:47], exec
	s_or_b64 s[42:43], s[42:43], s[46:47]
	s_or_b64 exec, exec, s[44:45]
	s_and_saveexec_b64 s[44:45], s[42:43]
	s_cbranch_execnz .LBB289_137
	s_branch .LBB289_138
.LBB289_425:
	s_movk_i32 s42, 0x80
	v_cmp_eq_u16_sdwa s[48:49], v2, s42 src0_sel:BYTE_0 src1_sel:DWORD
	s_mov_b64 s[42:43], -1
	s_and_saveexec_b64 s[46:47], s[48:49]
; %bb.426:
	s_xor_b64 s[42:43], exec, -1
; %bb.427:
	s_or_b64 exec, exec, s[46:47]
	s_and_b64 s[42:43], s[42:43], exec
	s_or_saveexec_b64 s[44:45], s[44:45]
	v_mov_b32_e32 v3, 0x7f800001
	s_xor_b64 exec, exec, s[44:45]
	s_cbranch_execz .LBB289_140
.LBB289_428:
	v_mov_b32_e32 v3, 0
	v_cmp_ne_u16_sdwa s[46:47], v2, v3 src0_sel:BYTE_0 src1_sel:DWORD
	s_andn2_b64 s[42:43], s[42:43], exec
	s_and_b64 s[46:47], s[46:47], exec
	s_or_b64 s[42:43], s[42:43], s[46:47]
	s_or_b64 exec, exec, s[44:45]
	s_and_saveexec_b64 s[44:45], s[42:43]
	s_cbranch_execnz .LBB289_141
	s_branch .LBB289_142
.LBB289_429:
	s_movk_i32 s44, 0x80
	v_cmp_eq_u16_sdwa s[50:51], v3, s44 src0_sel:BYTE_0 src1_sel:DWORD
	s_mov_b64 s[44:45], -1
	s_and_saveexec_b64 s[48:49], s[50:51]
; %bb.430:
	s_xor_b64 s[44:45], exec, -1
; %bb.431:
	s_or_b64 exec, exec, s[48:49]
	s_and_b64 s[44:45], s[44:45], exec
	s_or_saveexec_b64 s[46:47], s[46:47]
	v_mov_b32_e32 v5, 0x7f800001
	s_xor_b64 exec, exec, s[46:47]
	s_cbranch_execz .LBB289_146
.LBB289_432:
	v_mov_b32_e32 v5, 0
	v_cmp_ne_u16_sdwa s[48:49], v3, v5 src0_sel:BYTE_0 src1_sel:DWORD
	s_andn2_b64 s[44:45], s[44:45], exec
	s_and_b64 s[48:49], s[48:49], exec
	s_or_b64 s[44:45], s[44:45], s[48:49]
	s_or_b64 exec, exec, s[46:47]
	s_and_saveexec_b64 s[46:47], s[44:45]
	s_cbranch_execnz .LBB289_147
	s_branch .LBB289_148
.LBB289_433:
	s_movk_i32 s44, 0x80
	v_cmp_eq_u16_sdwa s[50:51], v1, s44 src0_sel:BYTE_0 src1_sel:DWORD
	s_mov_b64 s[44:45], -1
	s_and_saveexec_b64 s[48:49], s[50:51]
; %bb.434:
	s_xor_b64 s[44:45], exec, -1
; %bb.435:
	s_or_b64 exec, exec, s[48:49]
	s_and_b64 s[44:45], s[44:45], exec
	s_or_saveexec_b64 s[46:47], s[46:47]
	v_mov_b32_e32 v6, 0x7f800001
	s_xor_b64 exec, exec, s[46:47]
	s_cbranch_execz .LBB289_150
.LBB289_436:
	v_mov_b32_e32 v6, 0
	v_cmp_ne_u16_sdwa s[48:49], v1, v6 src0_sel:BYTE_0 src1_sel:DWORD
	s_andn2_b64 s[44:45], s[44:45], exec
	s_and_b64 s[48:49], s[48:49], exec
	s_or_b64 s[44:45], s[44:45], s[48:49]
	s_or_b64 exec, exec, s[46:47]
	s_and_saveexec_b64 s[46:47], s[44:45]
	s_cbranch_execnz .LBB289_151
	s_branch .LBB289_152
.LBB289_437:
	s_movk_i32 s46, 0x80
	v_cmp_eq_u16_e32 vcc, s46, v3
	s_mov_b64 s[46:47], -1
	s_and_saveexec_b64 s[50:51], vcc
; %bb.438:
	s_xor_b64 s[46:47], exec, -1
; %bb.439:
	s_or_b64 exec, exec, s[50:51]
	s_and_b64 s[46:47], s[46:47], exec
                                        ; implicit-def: $vgpr3
	s_or_saveexec_b64 s[48:49], s[48:49]
	v_mov_b32_e32 v1, 0x7f800001
	s_xor_b64 exec, exec, s[48:49]
	s_cbranch_execz .LBB289_156
.LBB289_440:
	v_cmp_ne_u16_e32 vcc, 0, v3
	s_andn2_b64 s[46:47], s[46:47], exec
	s_and_b64 s[50:51], vcc, exec
	v_mov_b32_e32 v1, 0
	s_or_b64 s[46:47], s[46:47], s[50:51]
	s_or_b64 exec, exec, s[48:49]
	s_and_saveexec_b64 s[48:49], s[46:47]
	s_cbranch_execnz .LBB289_157
	s_branch .LBB289_158
.LBB289_441:
	s_movk_i32 s46, 0x80
	v_cmp_eq_u16_e32 vcc, s46, v3
	s_mov_b64 s[46:47], -1
	s_and_saveexec_b64 s[50:51], vcc
; %bb.442:
	s_xor_b64 s[46:47], exec, -1
; %bb.443:
	s_or_b64 exec, exec, s[50:51]
	s_and_b64 s[46:47], s[46:47], exec
                                        ; implicit-def: $vgpr3
	s_or_saveexec_b64 s[48:49], s[48:49]
	v_mov_b32_e32 v5, 0x7f800001
	s_xor_b64 exec, exec, s[48:49]
	s_cbranch_execz .LBB289_160
.LBB289_444:
	v_cmp_ne_u16_e32 vcc, 0, v3
	s_andn2_b64 s[46:47], s[46:47], exec
	s_and_b64 s[50:51], vcc, exec
	v_mov_b32_e32 v5, 0
	s_or_b64 s[46:47], s[46:47], s[50:51]
	s_or_b64 exec, exec, s[48:49]
	s_and_saveexec_b64 s[48:49], s[46:47]
	s_cbranch_execnz .LBB289_161
	s_branch .LBB289_162
.LBB289_445:
	s_movk_i32 s4, 0x80
	v_cmp_eq_u16_sdwa s[52:53], v4, s4 src0_sel:BYTE_3 src1_sel:DWORD
	s_mov_b64 s[4:5], -1
	s_and_saveexec_b64 s[50:51], s[52:53]
; %bb.446:
	s_xor_b64 s[4:5], exec, -1
; %bb.447:
	s_or_b64 exec, exec, s[50:51]
	s_and_b64 s[4:5], s[4:5], exec
	s_or_saveexec_b64 s[48:49], s[48:49]
	v_mov_b32_e32 v1, 0x7f800001
	s_xor_b64 exec, exec, s[48:49]
	s_cbranch_execz .LBB289_166
.LBB289_448:
	v_mov_b32_e32 v1, 0
	v_cmp_ne_u16_sdwa s[50:51], v4, v1 src0_sel:BYTE_3 src1_sel:DWORD
	s_andn2_b64 s[4:5], s[4:5], exec
	s_and_b64 s[50:51], s[50:51], exec
	s_or_b64 s[4:5], s[4:5], s[50:51]
	s_or_b64 exec, exec, s[48:49]
	s_and_saveexec_b64 s[48:49], s[4:5]
	s_cbranch_execnz .LBB289_167
	s_branch .LBB289_168
.LBB289_449:
	s_movk_i32 s4, 0x80
	v_cmp_eq_u16_sdwa s[52:53], v2, s4 src0_sel:BYTE_3 src1_sel:DWORD
	s_mov_b64 s[4:5], -1
	s_and_saveexec_b64 s[50:51], s[52:53]
; %bb.450:
	s_xor_b64 s[4:5], exec, -1
; %bb.451:
	s_or_b64 exec, exec, s[50:51]
	s_and_b64 s[4:5], s[4:5], exec
	s_or_saveexec_b64 s[48:49], s[48:49]
	v_mov_b32_e32 v3, 0x7f800001
	s_xor_b64 exec, exec, s[48:49]
	s_cbranch_execz .LBB289_170
.LBB289_452:
	v_mov_b32_e32 v3, 0
	v_cmp_ne_u16_sdwa s[50:51], v2, v3 src0_sel:BYTE_3 src1_sel:DWORD
	s_andn2_b64 s[4:5], s[4:5], exec
	s_and_b64 s[50:51], s[50:51], exec
	s_or_b64 s[4:5], s[4:5], s[50:51]
	s_or_b64 exec, exec, s[48:49]
	s_and_saveexec_b64 s[48:49], s[4:5]
	s_cbranch_execnz .LBB289_171
	s_branch .LBB289_172
.LBB289_453:
	s_movk_i32 s4, 0x80
	v_cmp_eq_u16_sdwa s[22:23], v7, s4 src0_sel:BYTE_0 src1_sel:DWORD
	s_mov_b64 s[4:5], -1
	s_and_saveexec_b64 s[20:21], s[22:23]
; %bb.454:
	s_xor_b64 s[4:5], exec, -1
; %bb.455:
	s_or_b64 exec, exec, s[20:21]
	s_and_b64 s[4:5], s[4:5], exec
	s_or_saveexec_b64 s[16:17], s[16:17]
	v_mov_b32_e32 v10, 0x7f800001
	s_xor_b64 exec, exec, s[16:17]
	s_cbranch_execz .LBB289_16
.LBB289_456:
	v_mov_b32_e32 v10, 0
	v_cmp_ne_u16_sdwa s[20:21], v7, v10 src0_sel:BYTE_0 src1_sel:DWORD
	s_andn2_b64 s[4:5], s[4:5], exec
	s_and_b64 s[20:21], s[20:21], exec
	s_or_b64 s[4:5], s[4:5], s[20:21]
	s_or_b64 exec, exec, s[16:17]
	s_and_saveexec_b64 s[16:17], s[4:5]
	s_cbranch_execnz .LBB289_17
	s_branch .LBB289_18
.LBB289_457:
	s_movk_i32 s4, 0x80
	v_cmp_eq_u16_sdwa s[22:23], v5, s4 src0_sel:BYTE_0 src1_sel:DWORD
	s_mov_b64 s[4:5], -1
	s_and_saveexec_b64 s[20:21], s[22:23]
; %bb.458:
	s_xor_b64 s[4:5], exec, -1
; %bb.459:
	s_or_b64 exec, exec, s[20:21]
	s_and_b64 s[4:5], s[4:5], exec
	s_or_saveexec_b64 s[16:17], s[16:17]
	v_mov_b32_e32 v11, 0x7f800001
	s_xor_b64 exec, exec, s[16:17]
	s_cbranch_execz .LBB289_20
.LBB289_460:
	v_mov_b32_e32 v11, 0
	v_cmp_ne_u16_sdwa s[20:21], v5, v11 src0_sel:BYTE_0 src1_sel:DWORD
	s_andn2_b64 s[4:5], s[4:5], exec
	s_and_b64 s[20:21], s[20:21], exec
	s_or_b64 s[4:5], s[4:5], s[20:21]
	s_or_b64 exec, exec, s[16:17]
	s_and_saveexec_b64 s[16:17], s[4:5]
	s_cbranch_execnz .LBB289_21
	s_branch .LBB289_22
.LBB289_461:
	s_movk_i32 s18, 0x80
	v_cmp_eq_u16_sdwa s[24:25], v11, s18 src0_sel:BYTE_0 src1_sel:DWORD
	s_mov_b64 s[18:19], -1
	s_and_saveexec_b64 s[22:23], s[24:25]
; %bb.462:
	s_xor_b64 s[18:19], exec, -1
; %bb.463:
	s_or_b64 exec, exec, s[22:23]
	s_and_b64 s[18:19], s[18:19], exec
	s_or_saveexec_b64 s[20:21], s[20:21]
	v_mov_b32_e32 v12, 0x7f800001
	s_xor_b64 exec, exec, s[20:21]
	s_cbranch_execz .LBB289_176
.LBB289_464:
	v_mov_b32_e32 v12, 0
	v_cmp_ne_u16_sdwa s[22:23], v11, v12 src0_sel:BYTE_0 src1_sel:DWORD
	s_andn2_b64 s[18:19], s[18:19], exec
	s_and_b64 s[22:23], s[22:23], exec
	s_or_b64 s[18:19], s[18:19], s[22:23]
	s_or_b64 exec, exec, s[20:21]
	s_and_saveexec_b64 s[20:21], s[18:19]
	s_cbranch_execnz .LBB289_177
	s_branch .LBB289_178
.LBB289_465:
	s_movk_i32 s18, 0x80
	v_cmp_eq_u16_sdwa s[24:25], v10, s18 src0_sel:BYTE_0 src1_sel:DWORD
	s_mov_b64 s[18:19], -1
	s_and_saveexec_b64 s[22:23], s[24:25]
; %bb.466:
	s_xor_b64 s[18:19], exec, -1
; %bb.467:
	s_or_b64 exec, exec, s[22:23]
	s_and_b64 s[18:19], s[18:19], exec
	s_or_saveexec_b64 s[20:21], s[20:21]
	v_mov_b32_e32 v11, 0x7f800001
	s_xor_b64 exec, exec, s[20:21]
	s_cbranch_execz .LBB289_180
.LBB289_468:
	v_mov_b32_e32 v11, 0
	v_cmp_ne_u16_sdwa s[22:23], v10, v11 src0_sel:BYTE_0 src1_sel:DWORD
	s_andn2_b64 s[18:19], s[18:19], exec
	s_and_b64 s[22:23], s[22:23], exec
	s_or_b64 s[18:19], s[18:19], s[22:23]
	s_or_b64 exec, exec, s[20:21]
	s_and_saveexec_b64 s[20:21], s[18:19]
	s_cbranch_execnz .LBB289_181
	s_branch .LBB289_182
.LBB289_469:
	s_movk_i32 s20, 0x80
	v_cmp_eq_u16_e32 vcc, s20, v11
	s_mov_b64 s[20:21], -1
	s_and_saveexec_b64 s[24:25], vcc
; %bb.470:
	s_xor_b64 s[20:21], exec, -1
; %bb.471:
	s_or_b64 exec, exec, s[24:25]
	s_and_b64 s[20:21], s[20:21], exec
                                        ; implicit-def: $vgpr11
	s_or_saveexec_b64 s[22:23], s[22:23]
	v_mov_b32_e32 v10, 0x7f800001
	s_xor_b64 exec, exec, s[22:23]
	s_cbranch_execz .LBB289_186
.LBB289_472:
	v_cmp_ne_u16_e32 vcc, 0, v11
	s_andn2_b64 s[20:21], s[20:21], exec
	s_and_b64 s[24:25], vcc, exec
	v_mov_b32_e32 v10, 0
	s_or_b64 s[20:21], s[20:21], s[24:25]
	s_or_b64 exec, exec, s[22:23]
	s_and_saveexec_b64 s[22:23], s[20:21]
	s_cbranch_execnz .LBB289_187
	s_branch .LBB289_188
.LBB289_473:
	s_movk_i32 s20, 0x80
	v_cmp_eq_u16_e32 vcc, s20, v11
	s_mov_b64 s[20:21], -1
	s_and_saveexec_b64 s[24:25], vcc
; %bb.474:
	s_xor_b64 s[20:21], exec, -1
; %bb.475:
	s_or_b64 exec, exec, s[24:25]
	s_and_b64 s[20:21], s[20:21], exec
                                        ; implicit-def: $vgpr11
	s_or_saveexec_b64 s[22:23], s[22:23]
	v_mov_b32_e32 v12, 0x7f800001
	s_xor_b64 exec, exec, s[22:23]
	s_cbranch_execz .LBB289_190
.LBB289_476:
	v_cmp_ne_u16_e32 vcc, 0, v11
	s_andn2_b64 s[20:21], s[20:21], exec
	s_and_b64 s[24:25], vcc, exec
	v_mov_b32_e32 v12, 0
	s_or_b64 s[20:21], s[20:21], s[24:25]
	s_or_b64 exec, exec, s[22:23]
	s_and_saveexec_b64 s[22:23], s[20:21]
	s_cbranch_execnz .LBB289_191
	s_branch .LBB289_192
.LBB289_477:
	s_movk_i32 s22, 0x80
	v_cmp_eq_u16_sdwa s[28:29], v7, s22 src0_sel:BYTE_3 src1_sel:DWORD
	s_mov_b64 s[22:23], -1
	s_and_saveexec_b64 s[26:27], s[28:29]
; %bb.478:
	s_xor_b64 s[22:23], exec, -1
; %bb.479:
	s_or_b64 exec, exec, s[26:27]
	s_and_b64 s[22:23], s[22:23], exec
	s_or_saveexec_b64 s[24:25], s[24:25]
	v_mov_b32_e32 v10, 0x7f800001
	s_xor_b64 exec, exec, s[24:25]
	s_cbranch_execz .LBB289_196
.LBB289_480:
	v_mov_b32_e32 v10, 0
	v_cmp_ne_u16_sdwa s[26:27], v7, v10 src0_sel:BYTE_3 src1_sel:DWORD
	s_andn2_b64 s[22:23], s[22:23], exec
	s_and_b64 s[26:27], s[26:27], exec
	s_or_b64 s[22:23], s[22:23], s[26:27]
	s_or_b64 exec, exec, s[24:25]
	s_and_saveexec_b64 s[24:25], s[22:23]
	s_cbranch_execnz .LBB289_197
	s_branch .LBB289_198
.LBB289_481:
	s_movk_i32 s22, 0x80
	v_cmp_eq_u16_sdwa s[28:29], v5, s22 src0_sel:BYTE_3 src1_sel:DWORD
	s_mov_b64 s[22:23], -1
	s_and_saveexec_b64 s[26:27], s[28:29]
; %bb.482:
	s_xor_b64 s[22:23], exec, -1
; %bb.483:
	s_or_b64 exec, exec, s[26:27]
	s_and_b64 s[22:23], s[22:23], exec
	s_or_saveexec_b64 s[24:25], s[24:25]
	v_mov_b32_e32 v7, 0x7f800001
	s_xor_b64 exec, exec, s[24:25]
	s_cbranch_execz .LBB289_200
.LBB289_484:
	v_mov_b32_e32 v7, 0
	v_cmp_ne_u16_sdwa s[26:27], v5, v7 src0_sel:BYTE_3 src1_sel:DWORD
	s_andn2_b64 s[22:23], s[22:23], exec
	s_and_b64 s[26:27], s[26:27], exec
	s_or_b64 s[22:23], s[22:23], s[26:27]
	s_or_b64 exec, exec, s[24:25]
	s_and_saveexec_b64 s[24:25], s[22:23]
	s_cbranch_execnz .LBB289_201
	s_branch .LBB289_202
.LBB289_485:
	s_movk_i32 s24, 0x80
	v_cmp_eq_u16_sdwa s[30:31], v8, s24 src0_sel:BYTE_0 src1_sel:DWORD
	s_mov_b64 s[24:25], -1
	s_and_saveexec_b64 s[28:29], s[30:31]
; %bb.486:
	s_xor_b64 s[24:25], exec, -1
; %bb.487:
	s_or_b64 exec, exec, s[28:29]
	s_and_b64 s[24:25], s[24:25], exec
	s_or_saveexec_b64 s[26:27], s[26:27]
	v_mov_b32_e32 v5, 0x7f800001
	s_xor_b64 exec, exec, s[26:27]
	s_cbranch_execz .LBB289_206
.LBB289_488:
	v_mov_b32_e32 v5, 0
	v_cmp_ne_u16_sdwa s[28:29], v8, v5 src0_sel:BYTE_0 src1_sel:DWORD
	s_andn2_b64 s[24:25], s[24:25], exec
	s_and_b64 s[28:29], s[28:29], exec
	s_or_b64 s[24:25], s[24:25], s[28:29]
	s_or_b64 exec, exec, s[26:27]
	s_and_saveexec_b64 s[26:27], s[24:25]
	s_cbranch_execnz .LBB289_207
	s_branch .LBB289_208
.LBB289_489:
	s_movk_i32 s24, 0x80
	v_cmp_eq_u16_sdwa s[30:31], v6, s24 src0_sel:BYTE_0 src1_sel:DWORD
	s_mov_b64 s[24:25], -1
	s_and_saveexec_b64 s[28:29], s[30:31]
; %bb.490:
	s_xor_b64 s[24:25], exec, -1
; %bb.491:
	s_or_b64 exec, exec, s[28:29]
	s_and_b64 s[24:25], s[24:25], exec
	s_or_saveexec_b64 s[26:27], s[26:27]
	v_mov_b32_e32 v7, 0x7f800001
	s_xor_b64 exec, exec, s[26:27]
	s_cbranch_execz .LBB289_210
.LBB289_492:
	v_mov_b32_e32 v7, 0
	v_cmp_ne_u16_sdwa s[28:29], v6, v7 src0_sel:BYTE_0 src1_sel:DWORD
	s_andn2_b64 s[24:25], s[24:25], exec
	s_and_b64 s[28:29], s[28:29], exec
	s_or_b64 s[24:25], s[24:25], s[28:29]
	s_or_b64 exec, exec, s[26:27]
	s_and_saveexec_b64 s[26:27], s[24:25]
	s_cbranch_execnz .LBB289_211
	s_branch .LBB289_212
.LBB289_493:
	s_movk_i32 s26, 0x80
	v_cmp_eq_u16_sdwa s[34:35], v7, s26 src0_sel:BYTE_0 src1_sel:DWORD
	s_mov_b64 s[26:27], -1
	s_and_saveexec_b64 s[30:31], s[34:35]
; %bb.494:
	s_xor_b64 s[26:27], exec, -1
; %bb.495:
	s_or_b64 exec, exec, s[30:31]
	s_and_b64 s[26:27], s[26:27], exec
	s_or_saveexec_b64 s[28:29], s[28:29]
	v_mov_b32_e32 v10, 0x7f800001
	s_xor_b64 exec, exec, s[28:29]
	s_cbranch_execz .LBB289_216
.LBB289_496:
	v_mov_b32_e32 v10, 0
	v_cmp_ne_u16_sdwa s[30:31], v7, v10 src0_sel:BYTE_0 src1_sel:DWORD
	s_andn2_b64 s[26:27], s[26:27], exec
	s_and_b64 s[30:31], s[30:31], exec
	s_or_b64 s[26:27], s[26:27], s[30:31]
	s_or_b64 exec, exec, s[28:29]
	s_and_saveexec_b64 s[28:29], s[26:27]
	s_cbranch_execnz .LBB289_217
	s_branch .LBB289_218
.LBB289_497:
	s_movk_i32 s26, 0x80
	v_cmp_eq_u16_sdwa s[34:35], v5, s26 src0_sel:BYTE_0 src1_sel:DWORD
	s_mov_b64 s[26:27], -1
	s_and_saveexec_b64 s[30:31], s[34:35]
; %bb.498:
	s_xor_b64 s[26:27], exec, -1
; %bb.499:
	s_or_b64 exec, exec, s[30:31]
	s_and_b64 s[26:27], s[26:27], exec
	s_or_saveexec_b64 s[28:29], s[28:29]
	v_mov_b32_e32 v7, 0x7f800001
	s_xor_b64 exec, exec, s[28:29]
	s_cbranch_execz .LBB289_220
.LBB289_500:
	v_mov_b32_e32 v7, 0
	v_cmp_ne_u16_sdwa s[30:31], v5, v7 src0_sel:BYTE_0 src1_sel:DWORD
	s_andn2_b64 s[26:27], s[26:27], exec
	s_and_b64 s[30:31], s[30:31], exec
	s_or_b64 s[26:27], s[26:27], s[30:31]
	s_or_b64 exec, exec, s[28:29]
	s_and_saveexec_b64 s[28:29], s[26:27]
	s_cbranch_execnz .LBB289_221
	s_branch .LBB289_222
.LBB289_501:
	s_movk_i32 s28, 0x80
	v_cmp_eq_u16_e32 vcc, s28, v7
	s_mov_b64 s[28:29], -1
	s_and_saveexec_b64 s[34:35], vcc
; %bb.502:
	s_xor_b64 s[28:29], exec, -1
; %bb.503:
	s_or_b64 exec, exec, s[34:35]
	s_and_b64 s[28:29], s[28:29], exec
                                        ; implicit-def: $vgpr7
	s_or_saveexec_b64 s[30:31], s[30:31]
	v_mov_b32_e32 v5, 0x7f800001
	s_xor_b64 exec, exec, s[30:31]
	s_cbranch_execz .LBB289_226
.LBB289_504:
	v_cmp_ne_u16_e32 vcc, 0, v7
	s_andn2_b64 s[28:29], s[28:29], exec
	s_and_b64 s[34:35], vcc, exec
	v_mov_b32_e32 v5, 0
	s_or_b64 s[28:29], s[28:29], s[34:35]
	s_or_b64 exec, exec, s[30:31]
	s_and_saveexec_b64 s[30:31], s[28:29]
	s_cbranch_execnz .LBB289_227
	s_branch .LBB289_228
.LBB289_505:
	s_movk_i32 s28, 0x80
	v_cmp_eq_u16_e32 vcc, s28, v7
	s_mov_b64 s[28:29], -1
	s_and_saveexec_b64 s[34:35], vcc
; %bb.506:
	s_xor_b64 s[28:29], exec, -1
; %bb.507:
	s_or_b64 exec, exec, s[34:35]
	s_and_b64 s[28:29], s[28:29], exec
                                        ; implicit-def: $vgpr7
	s_or_saveexec_b64 s[30:31], s[30:31]
	v_mov_b32_e32 v10, 0x7f800001
	s_xor_b64 exec, exec, s[30:31]
	s_cbranch_execz .LBB289_230
.LBB289_508:
	v_cmp_ne_u16_e32 vcc, 0, v7
	s_andn2_b64 s[28:29], s[28:29], exec
	s_and_b64 s[34:35], vcc, exec
	v_mov_b32_e32 v10, 0
	s_or_b64 s[28:29], s[28:29], s[34:35]
	s_or_b64 exec, exec, s[30:31]
	s_and_saveexec_b64 s[30:31], s[28:29]
	s_cbranch_execnz .LBB289_231
	s_branch .LBB289_232
.LBB289_509:
	s_movk_i32 s30, 0x80
	v_cmp_eq_u16_sdwa s[38:39], v8, s30 src0_sel:BYTE_3 src1_sel:DWORD
	s_mov_b64 s[30:31], -1
	s_and_saveexec_b64 s[36:37], s[38:39]
; %bb.510:
	s_xor_b64 s[30:31], exec, -1
; %bb.511:
	s_or_b64 exec, exec, s[36:37]
	s_and_b64 s[30:31], s[30:31], exec
	s_or_saveexec_b64 s[34:35], s[34:35]
	v_mov_b32_e32 v5, 0x7f800001
	s_xor_b64 exec, exec, s[34:35]
	s_cbranch_execz .LBB289_236
.LBB289_512:
	v_mov_b32_e32 v5, 0
	v_cmp_ne_u16_sdwa s[36:37], v8, v5 src0_sel:BYTE_3 src1_sel:DWORD
	s_andn2_b64 s[30:31], s[30:31], exec
	s_and_b64 s[36:37], s[36:37], exec
	s_or_b64 s[30:31], s[30:31], s[36:37]
	s_or_b64 exec, exec, s[34:35]
	s_and_saveexec_b64 s[34:35], s[30:31]
	s_cbranch_execnz .LBB289_237
	s_branch .LBB289_238
.LBB289_513:
	s_movk_i32 s30, 0x80
	v_cmp_eq_u16_sdwa s[38:39], v6, s30 src0_sel:BYTE_3 src1_sel:DWORD
	s_mov_b64 s[30:31], -1
	s_and_saveexec_b64 s[36:37], s[38:39]
; %bb.514:
	s_xor_b64 s[30:31], exec, -1
; %bb.515:
	s_or_b64 exec, exec, s[36:37]
	s_and_b64 s[30:31], s[30:31], exec
	s_or_saveexec_b64 s[34:35], s[34:35]
	v_mov_b32_e32 v7, 0x7f800001
	s_xor_b64 exec, exec, s[34:35]
	s_cbranch_execz .LBB289_240
.LBB289_516:
	v_mov_b32_e32 v7, 0
	v_cmp_ne_u16_sdwa s[36:37], v6, v7 src0_sel:BYTE_3 src1_sel:DWORD
	s_andn2_b64 s[30:31], s[30:31], exec
	s_and_b64 s[36:37], s[36:37], exec
	s_or_b64 s[30:31], s[30:31], s[36:37]
	s_or_b64 exec, exec, s[34:35]
	s_and_saveexec_b64 s[34:35], s[30:31]
	s_cbranch_execnz .LBB289_241
	s_branch .LBB289_242
.LBB289_517:
	s_movk_i32 s34, 0x80
	v_cmp_eq_u16_sdwa s[40:41], v3, s34 src0_sel:BYTE_0 src1_sel:DWORD
	s_mov_b64 s[34:35], -1
	s_and_saveexec_b64 s[38:39], s[40:41]
; %bb.518:
	s_xor_b64 s[34:35], exec, -1
; %bb.519:
	s_or_b64 exec, exec, s[38:39]
	s_and_b64 s[34:35], s[34:35], exec
	s_or_saveexec_b64 s[36:37], s[36:37]
	v_mov_b32_e32 v5, 0x7f800001
	s_xor_b64 exec, exec, s[36:37]
	s_cbranch_execz .LBB289_246
.LBB289_520:
	v_mov_b32_e32 v5, 0
	v_cmp_ne_u16_sdwa s[38:39], v3, v5 src0_sel:BYTE_0 src1_sel:DWORD
	s_andn2_b64 s[34:35], s[34:35], exec
	s_and_b64 s[38:39], s[38:39], exec
	s_or_b64 s[34:35], s[34:35], s[38:39]
	s_or_b64 exec, exec, s[36:37]
	s_and_saveexec_b64 s[36:37], s[34:35]
	s_cbranch_execnz .LBB289_247
	s_branch .LBB289_248
.LBB289_521:
	s_movk_i32 s34, 0x80
	v_cmp_eq_u16_sdwa s[40:41], v1, s34 src0_sel:BYTE_0 src1_sel:DWORD
	s_mov_b64 s[34:35], -1
	s_and_saveexec_b64 s[38:39], s[40:41]
; %bb.522:
	s_xor_b64 s[34:35], exec, -1
; %bb.523:
	s_or_b64 exec, exec, s[38:39]
	s_and_b64 s[34:35], s[34:35], exec
	s_or_saveexec_b64 s[36:37], s[36:37]
	v_mov_b32_e32 v6, 0x7f800001
	s_xor_b64 exec, exec, s[36:37]
	s_cbranch_execz .LBB289_250
.LBB289_524:
	v_mov_b32_e32 v6, 0
	v_cmp_ne_u16_sdwa s[38:39], v1, v6 src0_sel:BYTE_0 src1_sel:DWORD
	s_andn2_b64 s[34:35], s[34:35], exec
	s_and_b64 s[38:39], s[38:39], exec
	s_or_b64 s[34:35], s[34:35], s[38:39]
	s_or_b64 exec, exec, s[36:37]
	s_and_saveexec_b64 s[36:37], s[34:35]
	s_cbranch_execnz .LBB289_251
	s_branch .LBB289_252
.LBB289_525:
	s_movk_i32 s36, 0x80
	v_cmp_eq_u16_sdwa s[42:43], v6, s36 src0_sel:BYTE_0 src1_sel:DWORD
	s_mov_b64 s[36:37], -1
	s_and_saveexec_b64 s[40:41], s[42:43]
; %bb.526:
	s_xor_b64 s[36:37], exec, -1
; %bb.527:
	s_or_b64 exec, exec, s[40:41]
	s_and_b64 s[36:37], s[36:37], exec
	s_or_saveexec_b64 s[38:39], s[38:39]
	v_mov_b32_e32 v7, 0x7f800001
	s_xor_b64 exec, exec, s[38:39]
	s_cbranch_execz .LBB289_256
.LBB289_528:
	v_mov_b32_e32 v7, 0
	v_cmp_ne_u16_sdwa s[40:41], v6, v7 src0_sel:BYTE_0 src1_sel:DWORD
	s_andn2_b64 s[36:37], s[36:37], exec
	s_and_b64 s[40:41], s[40:41], exec
	s_or_b64 s[36:37], s[36:37], s[40:41]
	s_or_b64 exec, exec, s[38:39]
	s_and_saveexec_b64 s[38:39], s[36:37]
	s_cbranch_execnz .LBB289_257
	s_branch .LBB289_258
.LBB289_529:
	s_movk_i32 s36, 0x80
	v_cmp_eq_u16_sdwa s[42:43], v5, s36 src0_sel:BYTE_0 src1_sel:DWORD
	s_mov_b64 s[36:37], -1
	s_and_saveexec_b64 s[40:41], s[42:43]
; %bb.530:
	s_xor_b64 s[36:37], exec, -1
; %bb.531:
	s_or_b64 exec, exec, s[40:41]
	s_and_b64 s[36:37], s[36:37], exec
	s_or_saveexec_b64 s[38:39], s[38:39]
	v_mov_b32_e32 v6, 0x7f800001
	s_xor_b64 exec, exec, s[38:39]
	s_cbranch_execz .LBB289_260
.LBB289_532:
	v_mov_b32_e32 v6, 0
	v_cmp_ne_u16_sdwa s[40:41], v5, v6 src0_sel:BYTE_0 src1_sel:DWORD
	s_andn2_b64 s[36:37], s[36:37], exec
	s_and_b64 s[40:41], s[40:41], exec
	s_or_b64 s[36:37], s[36:37], s[40:41]
	s_or_b64 exec, exec, s[38:39]
	s_and_saveexec_b64 s[38:39], s[36:37]
	s_cbranch_execnz .LBB289_261
	s_branch .LBB289_262
.LBB289_533:
	s_movk_i32 s38, 0x80
	v_cmp_eq_u16_e32 vcc, s38, v6
	s_mov_b64 s[38:39], -1
	s_and_saveexec_b64 s[42:43], vcc
; %bb.534:
	s_xor_b64 s[38:39], exec, -1
; %bb.535:
	s_or_b64 exec, exec, s[42:43]
	s_and_b64 s[38:39], s[38:39], exec
                                        ; implicit-def: $vgpr6
	s_or_saveexec_b64 s[40:41], s[40:41]
	v_mov_b32_e32 v5, 0x7f800001
	s_xor_b64 exec, exec, s[40:41]
	s_cbranch_execz .LBB289_266
.LBB289_536:
	v_cmp_ne_u16_e32 vcc, 0, v6
	s_andn2_b64 s[38:39], s[38:39], exec
	s_and_b64 s[42:43], vcc, exec
	v_mov_b32_e32 v5, 0
	s_or_b64 s[38:39], s[38:39], s[42:43]
	s_or_b64 exec, exec, s[40:41]
	s_and_saveexec_b64 s[40:41], s[38:39]
	s_cbranch_execnz .LBB289_267
	s_branch .LBB289_268
.LBB289_537:
	s_movk_i32 s38, 0x80
	v_cmp_eq_u16_e32 vcc, s38, v6
	s_mov_b64 s[38:39], -1
	s_and_saveexec_b64 s[42:43], vcc
; %bb.538:
	s_xor_b64 s[38:39], exec, -1
; %bb.539:
	s_or_b64 exec, exec, s[42:43]
	s_and_b64 s[38:39], s[38:39], exec
                                        ; implicit-def: $vgpr6
	s_or_saveexec_b64 s[40:41], s[40:41]
	v_mov_b32_e32 v7, 0x7f800001
	s_xor_b64 exec, exec, s[40:41]
	s_cbranch_execz .LBB289_270
.LBB289_540:
	v_cmp_ne_u16_e32 vcc, 0, v6
	s_andn2_b64 s[38:39], s[38:39], exec
	s_and_b64 s[42:43], vcc, exec
	v_mov_b32_e32 v7, 0
	s_or_b64 s[38:39], s[38:39], s[42:43]
	s_or_b64 exec, exec, s[40:41]
	s_and_saveexec_b64 s[40:41], s[38:39]
	s_cbranch_execnz .LBB289_271
	s_branch .LBB289_272
.LBB289_541:
	s_movk_i32 s40, 0x80
	v_cmp_eq_u16_sdwa s[46:47], v3, s40 src0_sel:BYTE_3 src1_sel:DWORD
	s_mov_b64 s[40:41], -1
	s_and_saveexec_b64 s[44:45], s[46:47]
; %bb.542:
	s_xor_b64 s[40:41], exec, -1
; %bb.543:
	s_or_b64 exec, exec, s[44:45]
	s_and_b64 s[40:41], s[40:41], exec
	s_or_saveexec_b64 s[42:43], s[42:43]
	v_mov_b32_e32 v5, 0x7f800001
	s_xor_b64 exec, exec, s[42:43]
	s_cbranch_execz .LBB289_276
.LBB289_544:
	v_mov_b32_e32 v5, 0
	v_cmp_ne_u16_sdwa s[44:45], v3, v5 src0_sel:BYTE_3 src1_sel:DWORD
	s_andn2_b64 s[40:41], s[40:41], exec
	s_and_b64 s[44:45], s[44:45], exec
	s_or_b64 s[40:41], s[40:41], s[44:45]
	s_or_b64 exec, exec, s[42:43]
	s_and_saveexec_b64 s[42:43], s[40:41]
	s_cbranch_execnz .LBB289_277
	s_branch .LBB289_278
.LBB289_545:
	s_movk_i32 s40, 0x80
	v_cmp_eq_u16_sdwa s[46:47], v1, s40 src0_sel:BYTE_3 src1_sel:DWORD
	s_mov_b64 s[40:41], -1
	s_and_saveexec_b64 s[44:45], s[46:47]
; %bb.546:
	s_xor_b64 s[40:41], exec, -1
; %bb.547:
	s_or_b64 exec, exec, s[44:45]
	s_and_b64 s[40:41], s[40:41], exec
	s_or_saveexec_b64 s[42:43], s[42:43]
	v_mov_b32_e32 v3, 0x7f800001
	s_xor_b64 exec, exec, s[42:43]
	s_cbranch_execz .LBB289_280
.LBB289_548:
	v_mov_b32_e32 v3, 0
	v_cmp_ne_u16_sdwa s[44:45], v1, v3 src0_sel:BYTE_3 src1_sel:DWORD
	s_andn2_b64 s[40:41], s[40:41], exec
	s_and_b64 s[44:45], s[44:45], exec
	s_or_b64 s[40:41], s[40:41], s[44:45]
	s_or_b64 exec, exec, s[42:43]
	s_and_saveexec_b64 s[42:43], s[40:41]
	s_cbranch_execnz .LBB289_281
	s_branch .LBB289_282
.LBB289_549:
	s_movk_i32 s42, 0x80
	v_cmp_eq_u16_sdwa s[48:49], v4, s42 src0_sel:BYTE_0 src1_sel:DWORD
	s_mov_b64 s[42:43], -1
	s_and_saveexec_b64 s[46:47], s[48:49]
; %bb.550:
	s_xor_b64 s[42:43], exec, -1
; %bb.551:
	s_or_b64 exec, exec, s[46:47]
	s_and_b64 s[42:43], s[42:43], exec
	s_or_saveexec_b64 s[44:45], s[44:45]
	v_mov_b32_e32 v1, 0x7f800001
	s_xor_b64 exec, exec, s[44:45]
	s_cbranch_execz .LBB289_286
.LBB289_552:
	v_mov_b32_e32 v1, 0
	v_cmp_ne_u16_sdwa s[46:47], v4, v1 src0_sel:BYTE_0 src1_sel:DWORD
	s_andn2_b64 s[42:43], s[42:43], exec
	s_and_b64 s[46:47], s[46:47], exec
	s_or_b64 s[42:43], s[42:43], s[46:47]
	s_or_b64 exec, exec, s[44:45]
	s_and_saveexec_b64 s[44:45], s[42:43]
	s_cbranch_execnz .LBB289_287
	s_branch .LBB289_288
.LBB289_553:
	s_movk_i32 s42, 0x80
	v_cmp_eq_u16_sdwa s[48:49], v2, s42 src0_sel:BYTE_0 src1_sel:DWORD
	s_mov_b64 s[42:43], -1
	s_and_saveexec_b64 s[46:47], s[48:49]
; %bb.554:
	s_xor_b64 s[42:43], exec, -1
; %bb.555:
	s_or_b64 exec, exec, s[46:47]
	s_and_b64 s[42:43], s[42:43], exec
	s_or_saveexec_b64 s[44:45], s[44:45]
	v_mov_b32_e32 v3, 0x7f800001
	s_xor_b64 exec, exec, s[44:45]
	s_cbranch_execz .LBB289_290
.LBB289_556:
	v_mov_b32_e32 v3, 0
	v_cmp_ne_u16_sdwa s[46:47], v2, v3 src0_sel:BYTE_0 src1_sel:DWORD
	s_andn2_b64 s[42:43], s[42:43], exec
	s_and_b64 s[46:47], s[46:47], exec
	s_or_b64 s[42:43], s[42:43], s[46:47]
	s_or_b64 exec, exec, s[44:45]
	s_and_saveexec_b64 s[44:45], s[42:43]
	s_cbranch_execnz .LBB289_291
	s_branch .LBB289_292
.LBB289_557:
	s_movk_i32 s44, 0x80
	v_cmp_eq_u16_sdwa s[50:51], v3, s44 src0_sel:BYTE_0 src1_sel:DWORD
	s_mov_b64 s[44:45], -1
	s_and_saveexec_b64 s[48:49], s[50:51]
; %bb.558:
	s_xor_b64 s[44:45], exec, -1
; %bb.559:
	s_or_b64 exec, exec, s[48:49]
	s_and_b64 s[44:45], s[44:45], exec
	s_or_saveexec_b64 s[46:47], s[46:47]
	v_mov_b32_e32 v5, 0x7f800001
	s_xor_b64 exec, exec, s[46:47]
	s_cbranch_execz .LBB289_296
.LBB289_560:
	v_mov_b32_e32 v5, 0
	v_cmp_ne_u16_sdwa s[48:49], v3, v5 src0_sel:BYTE_0 src1_sel:DWORD
	s_andn2_b64 s[44:45], s[44:45], exec
	s_and_b64 s[48:49], s[48:49], exec
	s_or_b64 s[44:45], s[44:45], s[48:49]
	s_or_b64 exec, exec, s[46:47]
	s_and_saveexec_b64 s[46:47], s[44:45]
	s_cbranch_execnz .LBB289_297
	s_branch .LBB289_298
.LBB289_561:
	s_movk_i32 s44, 0x80
	v_cmp_eq_u16_sdwa s[50:51], v1, s44 src0_sel:BYTE_0 src1_sel:DWORD
	s_mov_b64 s[44:45], -1
	s_and_saveexec_b64 s[48:49], s[50:51]
; %bb.562:
	s_xor_b64 s[44:45], exec, -1
; %bb.563:
	s_or_b64 exec, exec, s[48:49]
	s_and_b64 s[44:45], s[44:45], exec
	s_or_saveexec_b64 s[46:47], s[46:47]
	v_mov_b32_e32 v3, 0x7f800001
	s_xor_b64 exec, exec, s[46:47]
	s_cbranch_execz .LBB289_300
.LBB289_564:
	v_mov_b32_e32 v3, 0
	v_cmp_ne_u16_sdwa s[48:49], v1, v3 src0_sel:BYTE_0 src1_sel:DWORD
	s_andn2_b64 s[44:45], s[44:45], exec
	s_and_b64 s[48:49], s[48:49], exec
	s_or_b64 s[44:45], s[44:45], s[48:49]
	s_or_b64 exec, exec, s[46:47]
	s_and_saveexec_b64 s[46:47], s[44:45]
	s_cbranch_execnz .LBB289_301
	s_branch .LBB289_302
.LBB289_565:
	s_movk_i32 s46, 0x80
	v_cmp_eq_u16_e32 vcc, s46, v3
	s_mov_b64 s[46:47], -1
	s_and_saveexec_b64 s[50:51], vcc
; %bb.566:
	s_xor_b64 s[46:47], exec, -1
; %bb.567:
	s_or_b64 exec, exec, s[50:51]
	s_and_b64 s[46:47], s[46:47], exec
                                        ; implicit-def: $vgpr3
	s_or_saveexec_b64 s[48:49], s[48:49]
	v_mov_b32_e32 v1, 0x7f800001
	s_xor_b64 exec, exec, s[48:49]
	s_cbranch_execz .LBB289_306
.LBB289_568:
	v_cmp_ne_u16_e32 vcc, 0, v3
	s_andn2_b64 s[46:47], s[46:47], exec
	s_and_b64 s[50:51], vcc, exec
	v_mov_b32_e32 v1, 0
	s_or_b64 s[46:47], s[46:47], s[50:51]
	s_or_b64 exec, exec, s[48:49]
	s_and_saveexec_b64 s[48:49], s[46:47]
	s_cbranch_execnz .LBB289_307
	s_branch .LBB289_308
.LBB289_569:
	s_movk_i32 s46, 0x80
	v_cmp_eq_u16_e32 vcc, s46, v3
	s_mov_b64 s[46:47], -1
	s_and_saveexec_b64 s[50:51], vcc
; %bb.570:
	s_xor_b64 s[46:47], exec, -1
; %bb.571:
	s_or_b64 exec, exec, s[50:51]
	s_and_b64 s[46:47], s[46:47], exec
                                        ; implicit-def: $vgpr3
	s_or_saveexec_b64 s[48:49], s[48:49]
	v_mov_b32_e32 v5, 0x7f800001
	s_xor_b64 exec, exec, s[48:49]
	s_cbranch_execz .LBB289_310
.LBB289_572:
	v_cmp_ne_u16_e32 vcc, 0, v3
	s_andn2_b64 s[46:47], s[46:47], exec
	s_and_b64 s[50:51], vcc, exec
	v_mov_b32_e32 v5, 0
	s_or_b64 s[46:47], s[46:47], s[50:51]
	s_or_b64 exec, exec, s[48:49]
	s_and_saveexec_b64 s[48:49], s[46:47]
	s_cbranch_execnz .LBB289_311
	s_branch .LBB289_312
.LBB289_573:
	s_movk_i32 s4, 0x80
	v_cmp_eq_u16_sdwa s[52:53], v4, s4 src0_sel:BYTE_3 src1_sel:DWORD
	s_mov_b64 s[4:5], -1
	s_and_saveexec_b64 s[50:51], s[52:53]
; %bb.574:
	s_xor_b64 s[4:5], exec, -1
; %bb.575:
	s_or_b64 exec, exec, s[50:51]
	s_and_b64 s[4:5], s[4:5], exec
	s_or_saveexec_b64 s[48:49], s[48:49]
	v_mov_b32_e32 v1, 0x7f800001
	s_xor_b64 exec, exec, s[48:49]
	s_cbranch_execz .LBB289_316
.LBB289_576:
	v_mov_b32_e32 v1, 0
	v_cmp_ne_u16_sdwa s[50:51], v4, v1 src0_sel:BYTE_3 src1_sel:DWORD
	s_andn2_b64 s[4:5], s[4:5], exec
	s_and_b64 s[50:51], s[50:51], exec
	s_or_b64 s[4:5], s[4:5], s[50:51]
	s_or_b64 exec, exec, s[48:49]
	s_and_saveexec_b64 s[48:49], s[4:5]
	s_cbranch_execnz .LBB289_317
	s_branch .LBB289_318
.LBB289_577:
	s_movk_i32 s4, 0x80
	v_cmp_eq_u16_sdwa s[52:53], v2, s4 src0_sel:BYTE_3 src1_sel:DWORD
	s_mov_b64 s[4:5], -1
	s_and_saveexec_b64 s[50:51], s[52:53]
; %bb.578:
	s_xor_b64 s[4:5], exec, -1
; %bb.579:
	s_or_b64 exec, exec, s[50:51]
	s_and_b64 s[4:5], s[4:5], exec
	s_or_saveexec_b64 s[48:49], s[48:49]
	v_mov_b32_e32 v3, 0x7f800001
	s_xor_b64 exec, exec, s[48:49]
	s_cbranch_execz .LBB289_320
.LBB289_580:
	v_mov_b32_e32 v3, 0
	v_cmp_ne_u16_sdwa s[50:51], v2, v3 src0_sel:BYTE_3 src1_sel:DWORD
	s_andn2_b64 s[4:5], s[4:5], exec
	s_and_b64 s[50:51], s[50:51], exec
	s_or_b64 s[4:5], s[4:5], s[50:51]
	s_or_b64 exec, exec, s[48:49]
	s_and_saveexec_b64 s[48:49], s[4:5]
	s_cbranch_execnz .LBB289_321
	s_branch .LBB289_322
	.section	.rodata,"a",@progbits
	.p2align	6, 0x0
	.amdhsa_kernel _ZN2at6native29vectorized_elementwise_kernelILi8ENS0_13BinaryFunctorIN3c1015Float8_e4m3fnuzES4_bNS0_12_GLOBAL__N_116CompareEqFunctorIS4_EEEESt5arrayIPcLm3EEEEviT0_T1_
		.amdhsa_group_segment_fixed_size 0
		.amdhsa_private_segment_fixed_size 0
		.amdhsa_kernarg_size 32
		.amdhsa_user_sgpr_count 6
		.amdhsa_user_sgpr_private_segment_buffer 1
		.amdhsa_user_sgpr_dispatch_ptr 0
		.amdhsa_user_sgpr_queue_ptr 0
		.amdhsa_user_sgpr_kernarg_segment_ptr 1
		.amdhsa_user_sgpr_dispatch_id 0
		.amdhsa_user_sgpr_flat_scratch_init 0
		.amdhsa_user_sgpr_private_segment_size 0
		.amdhsa_uses_dynamic_stack 0
		.amdhsa_system_sgpr_private_segment_wavefront_offset 0
		.amdhsa_system_sgpr_workgroup_id_x 1
		.amdhsa_system_sgpr_workgroup_id_y 0
		.amdhsa_system_sgpr_workgroup_id_z 0
		.amdhsa_system_sgpr_workgroup_info 0
		.amdhsa_system_vgpr_workitem_id 0
		.amdhsa_next_free_vgpr 55
		.amdhsa_next_free_sgpr 57
		.amdhsa_reserve_vcc 1
		.amdhsa_reserve_flat_scratch 0
		.amdhsa_float_round_mode_32 0
		.amdhsa_float_round_mode_16_64 0
		.amdhsa_float_denorm_mode_32 3
		.amdhsa_float_denorm_mode_16_64 3
		.amdhsa_dx10_clamp 1
		.amdhsa_ieee_mode 1
		.amdhsa_fp16_overflow 0
		.amdhsa_exception_fp_ieee_invalid_op 0
		.amdhsa_exception_fp_denorm_src 0
		.amdhsa_exception_fp_ieee_div_zero 0
		.amdhsa_exception_fp_ieee_overflow 0
		.amdhsa_exception_fp_ieee_underflow 0
		.amdhsa_exception_fp_ieee_inexact 0
		.amdhsa_exception_int_div_zero 0
	.end_amdhsa_kernel
	.section	.text._ZN2at6native29vectorized_elementwise_kernelILi8ENS0_13BinaryFunctorIN3c1015Float8_e4m3fnuzES4_bNS0_12_GLOBAL__N_116CompareEqFunctorIS4_EEEESt5arrayIPcLm3EEEEviT0_T1_,"axG",@progbits,_ZN2at6native29vectorized_elementwise_kernelILi8ENS0_13BinaryFunctorIN3c1015Float8_e4m3fnuzES4_bNS0_12_GLOBAL__N_116CompareEqFunctorIS4_EEEESt5arrayIPcLm3EEEEviT0_T1_,comdat
.Lfunc_end289:
	.size	_ZN2at6native29vectorized_elementwise_kernelILi8ENS0_13BinaryFunctorIN3c1015Float8_e4m3fnuzES4_bNS0_12_GLOBAL__N_116CompareEqFunctorIS4_EEEESt5arrayIPcLm3EEEEviT0_T1_, .Lfunc_end289-_ZN2at6native29vectorized_elementwise_kernelILi8ENS0_13BinaryFunctorIN3c1015Float8_e4m3fnuzES4_bNS0_12_GLOBAL__N_116CompareEqFunctorIS4_EEEESt5arrayIPcLm3EEEEviT0_T1_
                                        ; -- End function
	.set _ZN2at6native29vectorized_elementwise_kernelILi8ENS0_13BinaryFunctorIN3c1015Float8_e4m3fnuzES4_bNS0_12_GLOBAL__N_116CompareEqFunctorIS4_EEEESt5arrayIPcLm3EEEEviT0_T1_.num_vgpr, max(32, .L_ZN2at6native25elementwise_kernel_helperILb0ENS0_13BinaryFunctorIN3c1015Float8_e4m3fnuzES4_bNS0_12_GLOBAL__N_116CompareEqFunctorIS4_EEEENS0_6memory8policies11unroll_baseILi256ESt5arrayIPcLm3EE23TrivialOffsetCalculatorILi2EjESF_ILi1EjENS9_15LoadWithoutCastENS9_16StoreWithoutCastELi16ELi1EEEEEvT0_T1_.num_vgpr)
	.set _ZN2at6native29vectorized_elementwise_kernelILi8ENS0_13BinaryFunctorIN3c1015Float8_e4m3fnuzES4_bNS0_12_GLOBAL__N_116CompareEqFunctorIS4_EEEESt5arrayIPcLm3EEEEviT0_T1_.num_agpr, max(0, .L_ZN2at6native25elementwise_kernel_helperILb0ENS0_13BinaryFunctorIN3c1015Float8_e4m3fnuzES4_bNS0_12_GLOBAL__N_116CompareEqFunctorIS4_EEEENS0_6memory8policies11unroll_baseILi256ESt5arrayIPcLm3EE23TrivialOffsetCalculatorILi2EjESF_ILi1EjENS9_15LoadWithoutCastENS9_16StoreWithoutCastELi16ELi1EEEEEvT0_T1_.num_agpr)
	.set _ZN2at6native29vectorized_elementwise_kernelILi8ENS0_13BinaryFunctorIN3c1015Float8_e4m3fnuzES4_bNS0_12_GLOBAL__N_116CompareEqFunctorIS4_EEEESt5arrayIPcLm3EEEEviT0_T1_.numbered_sgpr, max(54, .L_ZN2at6native25elementwise_kernel_helperILb0ENS0_13BinaryFunctorIN3c1015Float8_e4m3fnuzES4_bNS0_12_GLOBAL__N_116CompareEqFunctorIS4_EEEENS0_6memory8policies11unroll_baseILi256ESt5arrayIPcLm3EE23TrivialOffsetCalculatorILi2EjESF_ILi1EjENS9_15LoadWithoutCastENS9_16StoreWithoutCastELi16ELi1EEEEEvT0_T1_.numbered_sgpr)
	.set _ZN2at6native29vectorized_elementwise_kernelILi8ENS0_13BinaryFunctorIN3c1015Float8_e4m3fnuzES4_bNS0_12_GLOBAL__N_116CompareEqFunctorIS4_EEEESt5arrayIPcLm3EEEEviT0_T1_.num_named_barrier, max(0, .L_ZN2at6native25elementwise_kernel_helperILb0ENS0_13BinaryFunctorIN3c1015Float8_e4m3fnuzES4_bNS0_12_GLOBAL__N_116CompareEqFunctorIS4_EEEENS0_6memory8policies11unroll_baseILi256ESt5arrayIPcLm3EE23TrivialOffsetCalculatorILi2EjESF_ILi1EjENS9_15LoadWithoutCastENS9_16StoreWithoutCastELi16ELi1EEEEEvT0_T1_.num_named_barrier)
	.set _ZN2at6native29vectorized_elementwise_kernelILi8ENS0_13BinaryFunctorIN3c1015Float8_e4m3fnuzES4_bNS0_12_GLOBAL__N_116CompareEqFunctorIS4_EEEESt5arrayIPcLm3EEEEviT0_T1_.private_seg_size, 0+max(.L_ZN2at6native25elementwise_kernel_helperILb0ENS0_13BinaryFunctorIN3c1015Float8_e4m3fnuzES4_bNS0_12_GLOBAL__N_116CompareEqFunctorIS4_EEEENS0_6memory8policies11unroll_baseILi256ESt5arrayIPcLm3EE23TrivialOffsetCalculatorILi2EjESF_ILi1EjENS9_15LoadWithoutCastENS9_16StoreWithoutCastELi16ELi1EEEEEvT0_T1_.private_seg_size)
	.set _ZN2at6native29vectorized_elementwise_kernelILi8ENS0_13BinaryFunctorIN3c1015Float8_e4m3fnuzES4_bNS0_12_GLOBAL__N_116CompareEqFunctorIS4_EEEESt5arrayIPcLm3EEEEviT0_T1_.uses_vcc, or(1, .L_ZN2at6native25elementwise_kernel_helperILb0ENS0_13BinaryFunctorIN3c1015Float8_e4m3fnuzES4_bNS0_12_GLOBAL__N_116CompareEqFunctorIS4_EEEENS0_6memory8policies11unroll_baseILi256ESt5arrayIPcLm3EE23TrivialOffsetCalculatorILi2EjESF_ILi1EjENS9_15LoadWithoutCastENS9_16StoreWithoutCastELi16ELi1EEEEEvT0_T1_.uses_vcc)
	.set _ZN2at6native29vectorized_elementwise_kernelILi8ENS0_13BinaryFunctorIN3c1015Float8_e4m3fnuzES4_bNS0_12_GLOBAL__N_116CompareEqFunctorIS4_EEEESt5arrayIPcLm3EEEEviT0_T1_.uses_flat_scratch, or(0, .L_ZN2at6native25elementwise_kernel_helperILb0ENS0_13BinaryFunctorIN3c1015Float8_e4m3fnuzES4_bNS0_12_GLOBAL__N_116CompareEqFunctorIS4_EEEENS0_6memory8policies11unroll_baseILi256ESt5arrayIPcLm3EE23TrivialOffsetCalculatorILi2EjESF_ILi1EjENS9_15LoadWithoutCastENS9_16StoreWithoutCastELi16ELi1EEEEEvT0_T1_.uses_flat_scratch)
	.set _ZN2at6native29vectorized_elementwise_kernelILi8ENS0_13BinaryFunctorIN3c1015Float8_e4m3fnuzES4_bNS0_12_GLOBAL__N_116CompareEqFunctorIS4_EEEESt5arrayIPcLm3EEEEviT0_T1_.has_dyn_sized_stack, or(0, .L_ZN2at6native25elementwise_kernel_helperILb0ENS0_13BinaryFunctorIN3c1015Float8_e4m3fnuzES4_bNS0_12_GLOBAL__N_116CompareEqFunctorIS4_EEEENS0_6memory8policies11unroll_baseILi256ESt5arrayIPcLm3EE23TrivialOffsetCalculatorILi2EjESF_ILi1EjENS9_15LoadWithoutCastENS9_16StoreWithoutCastELi16ELi1EEEEEvT0_T1_.has_dyn_sized_stack)
	.set _ZN2at6native29vectorized_elementwise_kernelILi8ENS0_13BinaryFunctorIN3c1015Float8_e4m3fnuzES4_bNS0_12_GLOBAL__N_116CompareEqFunctorIS4_EEEESt5arrayIPcLm3EEEEviT0_T1_.has_recursion, or(0, .L_ZN2at6native25elementwise_kernel_helperILb0ENS0_13BinaryFunctorIN3c1015Float8_e4m3fnuzES4_bNS0_12_GLOBAL__N_116CompareEqFunctorIS4_EEEENS0_6memory8policies11unroll_baseILi256ESt5arrayIPcLm3EE23TrivialOffsetCalculatorILi2EjESF_ILi1EjENS9_15LoadWithoutCastENS9_16StoreWithoutCastELi16ELi1EEEEEvT0_T1_.has_recursion)
	.set _ZN2at6native29vectorized_elementwise_kernelILi8ENS0_13BinaryFunctorIN3c1015Float8_e4m3fnuzES4_bNS0_12_GLOBAL__N_116CompareEqFunctorIS4_EEEESt5arrayIPcLm3EEEEviT0_T1_.has_indirect_call, or(0, .L_ZN2at6native25elementwise_kernel_helperILb0ENS0_13BinaryFunctorIN3c1015Float8_e4m3fnuzES4_bNS0_12_GLOBAL__N_116CompareEqFunctorIS4_EEEENS0_6memory8policies11unroll_baseILi256ESt5arrayIPcLm3EE23TrivialOffsetCalculatorILi2EjESF_ILi1EjENS9_15LoadWithoutCastENS9_16StoreWithoutCastELi16ELi1EEEEEvT0_T1_.has_indirect_call)
	.section	.AMDGPU.csdata,"",@progbits
; Kernel info:
; codeLenInByte = 17148
; TotalNumSgprs: 61
; NumVgprs: 55
; ScratchSize: 0
; MemoryBound: 0
; FloatMode: 240
; IeeeMode: 1
; LDSByteSize: 0 bytes/workgroup (compile time only)
; SGPRBlocks: 7
; VGPRBlocks: 13
; NumSGPRsForWavesPerEU: 61
; NumVGPRsForWavesPerEU: 55
; Occupancy: 4
; WaveLimiterHint : 1
; COMPUTE_PGM_RSRC2:SCRATCH_EN: 0
; COMPUTE_PGM_RSRC2:USER_SGPR: 6
; COMPUTE_PGM_RSRC2:TRAP_HANDLER: 0
; COMPUTE_PGM_RSRC2:TGID_X_EN: 1
; COMPUTE_PGM_RSRC2:TGID_Y_EN: 0
; COMPUTE_PGM_RSRC2:TGID_Z_EN: 0
; COMPUTE_PGM_RSRC2:TIDIG_COMP_CNT: 0
	.section	.text._ZN2at6native29vectorized_elementwise_kernelILi4ENS0_13BinaryFunctorIN3c1015Float8_e4m3fnuzES4_bNS0_12_GLOBAL__N_116CompareEqFunctorIS4_EEEESt5arrayIPcLm3EEEEviT0_T1_,"axG",@progbits,_ZN2at6native29vectorized_elementwise_kernelILi4ENS0_13BinaryFunctorIN3c1015Float8_e4m3fnuzES4_bNS0_12_GLOBAL__N_116CompareEqFunctorIS4_EEEESt5arrayIPcLm3EEEEviT0_T1_,comdat
	.globl	_ZN2at6native29vectorized_elementwise_kernelILi4ENS0_13BinaryFunctorIN3c1015Float8_e4m3fnuzES4_bNS0_12_GLOBAL__N_116CompareEqFunctorIS4_EEEESt5arrayIPcLm3EEEEviT0_T1_ ; -- Begin function _ZN2at6native29vectorized_elementwise_kernelILi4ENS0_13BinaryFunctorIN3c1015Float8_e4m3fnuzES4_bNS0_12_GLOBAL__N_116CompareEqFunctorIS4_EEEESt5arrayIPcLm3EEEEviT0_T1_
	.p2align	8
	.type	_ZN2at6native29vectorized_elementwise_kernelILi4ENS0_13BinaryFunctorIN3c1015Float8_e4m3fnuzES4_bNS0_12_GLOBAL__N_116CompareEqFunctorIS4_EEEESt5arrayIPcLm3EEEEviT0_T1_,@function
_ZN2at6native29vectorized_elementwise_kernelILi4ENS0_13BinaryFunctorIN3c1015Float8_e4m3fnuzES4_bNS0_12_GLOBAL__N_116CompareEqFunctorIS4_EEEESt5arrayIPcLm3EEEEviT0_T1_: ; @_ZN2at6native29vectorized_elementwise_kernelILi4ENS0_13BinaryFunctorIN3c1015Float8_e4m3fnuzES4_bNS0_12_GLOBAL__N_116CompareEqFunctorIS4_EEEESt5arrayIPcLm3EEEEviT0_T1_
; %bb.0:
	s_load_dwordx2 s[12:13], s[4:5], 0x0
	s_load_dwordx4 s[8:11], s[4:5], 0x8
	s_load_dwordx2 s[14:15], s[4:5], 0x18
	s_add_u32 s0, s0, s7
	s_addc_u32 s1, s1, 0
	s_lshl_b32 s33, s6, 12
	s_waitcnt lgkmcnt(0)
	s_sub_i32 s7, s12, s33
	s_cmpk_gt_i32 s7, 0xfff
	s_mov_b64 s[4:5], -1
	s_mov_b32 s32, 0
	s_cbranch_scc1 .LBB290_3
; %bb.1:
	s_and_b64 vcc, exec, s[4:5]
	s_cbranch_vccnz .LBB290_324
.LBB290_2:
	s_endpgm
.LBB290_3:
	s_ashr_i32 s12, s33, 31
	s_add_u32 s4, s10, s33
	s_addc_u32 s5, s11, s12
	v_lshlrev_b32_e32 v1, 2, v0
	s_add_u32 s16, s14, s33
	s_addc_u32 s17, s15, s12
	global_load_dword v9, v1, s[4:5]
	global_load_dword v7, v1, s[4:5] offset:1024
	global_load_dword v5, v1, s[4:5] offset:2048
	;; [unrolled: 1-line block ×3, first 2 shown]
	global_load_dword v8, v1, s[16:17]
	global_load_dword v6, v1, s[16:17] offset:1024
	global_load_dword v4, v1, s[16:17] offset:2048
	;; [unrolled: 1-line block ×3, first 2 shown]
	s_cmp_lg_u32 s13, 0
	s_cselect_b64 s[18:19], -1, 0
	s_and_b64 vcc, exec, s[18:19]
	s_cbranch_vccz .LBB290_13
; %bb.4:
	s_movk_i32 s4, 0x7f
	s_waitcnt vmcnt(7)
	v_cmp_gt_i16_sdwa s[16:17], v9, s4 src0_sel:BYTE_0 src1_sel:DWORD
	s_mov_b64 s[4:5], 0
	s_and_saveexec_b64 s[20:21], s[16:17]
	s_xor_b64 s[16:17], exec, s[20:21]
	s_cbranch_execnz .LBB290_325
; %bb.5:
	s_or_saveexec_b64 s[16:17], s[16:17]
	v_mov_b32_e32 v10, 0x7f800001
	s_xor_b64 exec, exec, s[16:17]
	s_cbranch_execnz .LBB290_328
.LBB290_6:
	s_or_b64 exec, exec, s[16:17]
	s_and_saveexec_b64 s[16:17], s[4:5]
	s_cbranch_execz .LBB290_8
.LBB290_7:
	v_and_b32_e32 v10, 7, v9
	v_ffbh_u32_e32 v12, v10
	v_min_u32_e32 v12, 32, v12
	v_subrev_u32_e32 v13, 28, v12
	v_bfe_u32 v11, v9, 3, 4
	v_lshlrev_b32_e32 v13, v13, v9
	v_sub_u32_e32 v12, 29, v12
	v_and_b32_e32 v13, 7, v13
	v_cmp_eq_u32_e32 vcc, 0, v11
	v_cndmask_b32_e32 v11, v11, v12, vcc
	v_cndmask_b32_e32 v10, v10, v13, vcc
	v_lshlrev_b32_e32 v12, 24, v9
	v_mov_b32_e32 v13, 0x3b800000
	v_lshlrev_b32_e32 v10, 20, v10
	v_and_b32_e32 v12, 0x80000000, v12
	v_lshl_add_u32 v11, v11, 23, v13
	v_or3_b32 v10, v12, v11, v10
.LBB290_8:
	s_or_b64 exec, exec, s[16:17]
	s_movk_i32 s4, 0x7f
	s_waitcnt vmcnt(3)
	v_cmp_gt_i16_sdwa s[16:17], v8, s4 src0_sel:BYTE_0 src1_sel:DWORD
	s_mov_b64 s[4:5], 0
	s_and_saveexec_b64 s[20:21], s[16:17]
	s_xor_b64 s[16:17], exec, s[20:21]
	s_cbranch_execnz .LBB290_329
; %bb.9:
	s_or_saveexec_b64 s[16:17], s[16:17]
	v_mov_b32_e32 v11, 0x7f800001
	s_xor_b64 exec, exec, s[16:17]
	s_cbranch_execnz .LBB290_332
.LBB290_10:
	s_or_b64 exec, exec, s[16:17]
	s_and_saveexec_b64 s[16:17], s[4:5]
	s_cbranch_execz .LBB290_12
.LBB290_11:
	v_and_b32_e32 v11, 7, v8
	v_ffbh_u32_e32 v13, v11
	v_min_u32_e32 v13, 32, v13
	v_subrev_u32_e32 v14, 28, v13
	v_bfe_u32 v12, v8, 3, 4
	v_lshlrev_b32_e32 v14, v14, v8
	v_sub_u32_e32 v13, 29, v13
	v_and_b32_e32 v14, 7, v14
	v_cmp_eq_u32_e32 vcc, 0, v12
	v_cndmask_b32_e32 v12, v12, v13, vcc
	v_cndmask_b32_e32 v11, v11, v14, vcc
	v_lshlrev_b32_e32 v13, 24, v8
	v_mov_b32_e32 v14, 0x3b800000
	v_lshlrev_b32_e32 v11, 20, v11
	v_and_b32_e32 v13, 0x80000000, v13
	v_lshl_add_u32 v12, v12, 23, v14
	v_or3_b32 v11, v13, v12, v11
.LBB290_12:
	s_or_b64 exec, exec, s[16:17]
	v_cmp_neq_f32_e64 s[16:17], v10, v11
	s_branch .LBB290_23
.LBB290_13:
                                        ; implicit-def: $sgpr16_sgpr17
	s_cbranch_execz .LBB290_23
; %bb.14:
	s_movk_i32 s4, 0x7f
	s_waitcnt vmcnt(7)
	v_cmp_gt_i16_sdwa s[16:17], v9, s4 src0_sel:BYTE_0 src1_sel:DWORD
	s_mov_b64 s[4:5], 0
	s_and_saveexec_b64 s[20:21], s[16:17]
	s_xor_b64 s[16:17], exec, s[20:21]
	s_cbranch_execnz .LBB290_453
; %bb.15:
	s_or_saveexec_b64 s[16:17], s[16:17]
	v_mov_b32_e32 v10, 0x7f800001
	s_xor_b64 exec, exec, s[16:17]
	s_cbranch_execnz .LBB290_456
.LBB290_16:
	s_or_b64 exec, exec, s[16:17]
	s_and_saveexec_b64 s[16:17], s[4:5]
	s_cbranch_execz .LBB290_18
.LBB290_17:
	v_and_b32_e32 v10, 7, v9
	v_ffbh_u32_e32 v12, v10
	v_min_u32_e32 v12, 32, v12
	v_subrev_u32_e32 v13, 28, v12
	v_bfe_u32 v11, v9, 3, 4
	v_lshlrev_b32_e32 v13, v13, v9
	v_sub_u32_e32 v12, 29, v12
	v_and_b32_e32 v13, 7, v13
	v_cmp_eq_u32_e32 vcc, 0, v11
	v_cndmask_b32_e32 v11, v11, v12, vcc
	v_cndmask_b32_e32 v10, v10, v13, vcc
	v_lshlrev_b32_e32 v12, 24, v9
	v_mov_b32_e32 v13, 0x3b800000
	v_lshlrev_b32_e32 v10, 20, v10
	v_and_b32_e32 v12, 0x80000000, v12
	v_lshl_add_u32 v11, v11, 23, v13
	v_or3_b32 v10, v12, v11, v10
.LBB290_18:
	s_or_b64 exec, exec, s[16:17]
	s_movk_i32 s4, 0x7f
	s_waitcnt vmcnt(3)
	v_cmp_gt_i16_sdwa s[16:17], v8, s4 src0_sel:BYTE_0 src1_sel:DWORD
	s_mov_b64 s[4:5], 0
	s_and_saveexec_b64 s[20:21], s[16:17]
	s_xor_b64 s[16:17], exec, s[20:21]
	s_cbranch_execnz .LBB290_457
; %bb.19:
	s_or_saveexec_b64 s[16:17], s[16:17]
	v_mov_b32_e32 v11, 0x7f800001
	s_xor_b64 exec, exec, s[16:17]
	s_cbranch_execnz .LBB290_460
.LBB290_20:
	s_or_b64 exec, exec, s[16:17]
	s_and_saveexec_b64 s[16:17], s[4:5]
	s_cbranch_execz .LBB290_22
.LBB290_21:
	v_and_b32_e32 v11, 7, v8
	v_ffbh_u32_e32 v13, v11
	v_min_u32_e32 v13, 32, v13
	v_subrev_u32_e32 v14, 28, v13
	v_bfe_u32 v12, v8, 3, 4
	v_lshlrev_b32_e32 v14, v14, v8
	v_sub_u32_e32 v13, 29, v13
	v_and_b32_e32 v14, 7, v14
	v_cmp_eq_u32_e32 vcc, 0, v12
	v_cndmask_b32_e32 v12, v12, v13, vcc
	v_cndmask_b32_e32 v11, v11, v14, vcc
	v_lshlrev_b32_e32 v13, 24, v8
	v_mov_b32_e32 v14, 0x3b800000
	v_lshlrev_b32_e32 v11, 20, v11
	v_and_b32_e32 v13, 0x80000000, v13
	v_lshl_add_u32 v12, v12, 23, v14
	v_or3_b32 v11, v13, v12, v11
.LBB290_22:
	s_or_b64 exec, exec, s[16:17]
	v_cmp_eq_f32_e64 s[16:17], v10, v11
.LBB290_23:
	v_cndmask_b32_e64 v10, 0, 1, s[18:19]
	s_waitcnt vmcnt(7)
	v_lshrrev_b32_e32 v11, 8, v9
	v_cmp_ne_u32_e64 s[4:5], 1, v10
	s_andn2_b64 vcc, exec, s[18:19]
	s_waitcnt vmcnt(3)
	v_lshrrev_b32_e32 v10, 8, v8
	s_cbranch_vccnz .LBB290_173
; %bb.24:
	s_movk_i32 s18, 0x7f
	v_cmp_gt_i16_sdwa s[20:21], v11, s18 src0_sel:BYTE_0 src1_sel:DWORD
	s_mov_b64 s[18:19], 0
	s_and_saveexec_b64 s[22:23], s[20:21]
	s_xor_b64 s[20:21], exec, s[22:23]
	s_cbranch_execnz .LBB290_333
; %bb.25:
	s_or_saveexec_b64 s[20:21], s[20:21]
	v_mov_b32_e32 v12, 0x7f800001
	s_xor_b64 exec, exec, s[20:21]
	s_cbranch_execnz .LBB290_336
.LBB290_26:
	s_or_b64 exec, exec, s[20:21]
	s_and_saveexec_b64 s[20:21], s[18:19]
	s_cbranch_execz .LBB290_28
.LBB290_27:
	v_bfe_u32 v12, v9, 8, 3
	v_ffbh_u32_e32 v14, v12
	v_min_u32_e32 v14, 32, v14
	v_subrev_u32_e32 v15, 28, v14
	v_bfe_u32 v13, v9, 11, 4
	v_lshlrev_b32_e32 v15, v15, v11
	v_sub_u32_e32 v14, 29, v14
	v_and_b32_e32 v15, 7, v15
	v_cmp_eq_u32_e32 vcc, 0, v13
	v_cndmask_b32_e32 v13, v13, v14, vcc
	v_cndmask_b32_e32 v12, v12, v15, vcc
	v_lshlrev_b32_e32 v14, 24, v11
	v_mov_b32_e32 v15, 0x3b800000
	v_lshlrev_b32_e32 v12, 20, v12
	v_and_b32_e32 v14, 0x80000000, v14
	v_lshl_add_u32 v13, v13, 23, v15
	v_or3_b32 v12, v14, v13, v12
.LBB290_28:
	s_or_b64 exec, exec, s[20:21]
	s_movk_i32 s18, 0x7f
	v_cmp_gt_i16_sdwa s[20:21], v10, s18 src0_sel:BYTE_0 src1_sel:DWORD
	s_mov_b64 s[18:19], 0
	s_and_saveexec_b64 s[22:23], s[20:21]
	s_xor_b64 s[20:21], exec, s[22:23]
	s_cbranch_execnz .LBB290_337
; %bb.29:
	s_or_saveexec_b64 s[20:21], s[20:21]
	v_mov_b32_e32 v13, 0x7f800001
	s_xor_b64 exec, exec, s[20:21]
	s_cbranch_execnz .LBB290_340
.LBB290_30:
	s_or_b64 exec, exec, s[20:21]
	s_and_saveexec_b64 s[20:21], s[18:19]
	s_cbranch_execz .LBB290_32
.LBB290_31:
	v_bfe_u32 v13, v8, 8, 3
	v_ffbh_u32_e32 v15, v13
	v_min_u32_e32 v15, 32, v15
	v_subrev_u32_e32 v16, 28, v15
	v_bfe_u32 v14, v8, 11, 4
	v_lshlrev_b32_e32 v16, v16, v10
	v_sub_u32_e32 v15, 29, v15
	v_and_b32_e32 v16, 7, v16
	v_cmp_eq_u32_e32 vcc, 0, v14
	v_cndmask_b32_e32 v14, v14, v15, vcc
	v_cndmask_b32_e32 v13, v13, v16, vcc
	v_lshlrev_b32_e32 v15, 24, v10
	v_mov_b32_e32 v16, 0x3b800000
	v_lshlrev_b32_e32 v13, 20, v13
	v_and_b32_e32 v15, 0x80000000, v15
	v_lshl_add_u32 v14, v14, 23, v16
	v_or3_b32 v13, v15, v14, v13
.LBB290_32:
	s_or_b64 exec, exec, s[20:21]
	v_cmp_neq_f32_e64 s[18:19], v12, v13
.LBB290_33:
	s_and_b64 vcc, exec, s[4:5]
	s_cbranch_vccnz .LBB290_183
.LBB290_34:
	s_movk_i32 s20, 0xff
	v_and_b32_sdwa v11, v9, s20 dst_sel:DWORD dst_unused:UNUSED_PAD src0_sel:WORD_1 src1_sel:DWORD
	s_movk_i32 s20, 0x7f
	v_cmp_lt_i16_e32 vcc, s20, v11
	s_mov_b64 s[20:21], 0
	s_and_saveexec_b64 s[22:23], vcc
	s_xor_b64 s[22:23], exec, s[22:23]
	s_cbranch_execnz .LBB290_341
; %bb.35:
	s_or_saveexec_b64 s[22:23], s[22:23]
	v_mov_b32_e32 v10, 0x7f800001
	s_xor_b64 exec, exec, s[22:23]
	s_cbranch_execnz .LBB290_344
.LBB290_36:
	s_or_b64 exec, exec, s[22:23]
	s_and_saveexec_b64 s[22:23], s[20:21]
	s_cbranch_execz .LBB290_38
.LBB290_37:
	v_bfe_u32 v10, v9, 16, 3
	v_ffbh_u32_e32 v12, v10
	v_min_u32_e32 v12, 32, v12
	v_bfe_u32 v11, v9, 19, 4
	v_subrev_u32_e32 v13, 28, v12
	v_lshlrev_b32_sdwa v13, v13, v9 dst_sel:DWORD dst_unused:UNUSED_PAD src0_sel:DWORD src1_sel:WORD_1
	v_sub_u32_e32 v12, 29, v12
	v_cmp_eq_u32_e32 vcc, 0, v11
	v_and_b32_e32 v13, 7, v13
	v_cndmask_b32_e32 v11, v11, v12, vcc
	v_mov_b32_e32 v12, 24
	v_cndmask_b32_e32 v10, v10, v13, vcc
	v_lshlrev_b32_sdwa v12, v12, v9 dst_sel:DWORD dst_unused:UNUSED_PAD src0_sel:DWORD src1_sel:WORD_1
	v_mov_b32_e32 v13, 0x3b800000
	v_lshlrev_b32_e32 v10, 20, v10
	v_and_b32_e32 v12, 0x80000000, v12
	v_lshl_add_u32 v11, v11, 23, v13
	v_or3_b32 v10, v12, v11, v10
.LBB290_38:
	s_or_b64 exec, exec, s[22:23]
	s_movk_i32 s20, 0xff
	v_and_b32_sdwa v11, v8, s20 dst_sel:DWORD dst_unused:UNUSED_PAD src0_sel:WORD_1 src1_sel:DWORD
	s_movk_i32 s20, 0x7f
	v_cmp_lt_i16_e32 vcc, s20, v11
	s_mov_b64 s[20:21], 0
	s_and_saveexec_b64 s[22:23], vcc
	s_xor_b64 s[22:23], exec, s[22:23]
	s_cbranch_execnz .LBB290_345
; %bb.39:
	s_or_saveexec_b64 s[22:23], s[22:23]
	v_mov_b32_e32 v12, 0x7f800001
	s_xor_b64 exec, exec, s[22:23]
	s_cbranch_execnz .LBB290_348
.LBB290_40:
	s_or_b64 exec, exec, s[22:23]
	s_and_saveexec_b64 s[22:23], s[20:21]
	s_cbranch_execz .LBB290_42
.LBB290_41:
	v_bfe_u32 v11, v8, 16, 3
	v_ffbh_u32_e32 v13, v11
	v_min_u32_e32 v13, 32, v13
	v_bfe_u32 v12, v8, 19, 4
	v_subrev_u32_e32 v14, 28, v13
	v_lshlrev_b32_sdwa v14, v14, v8 dst_sel:DWORD dst_unused:UNUSED_PAD src0_sel:DWORD src1_sel:WORD_1
	v_sub_u32_e32 v13, 29, v13
	v_cmp_eq_u32_e32 vcc, 0, v12
	v_and_b32_e32 v14, 7, v14
	v_cndmask_b32_e32 v12, v12, v13, vcc
	v_mov_b32_e32 v13, 24
	v_cndmask_b32_e32 v11, v11, v14, vcc
	v_lshlrev_b32_sdwa v13, v13, v8 dst_sel:DWORD dst_unused:UNUSED_PAD src0_sel:DWORD src1_sel:WORD_1
	v_mov_b32_e32 v14, 0x3b800000
	v_lshlrev_b32_e32 v11, 20, v11
	v_and_b32_e32 v13, 0x80000000, v13
	v_lshl_add_u32 v12, v12, 23, v14
	v_or3_b32 v12, v13, v12, v11
.LBB290_42:
	s_or_b64 exec, exec, s[22:23]
	v_cmp_neq_f32_e64 s[20:21], v10, v12
.LBB290_43:
	s_and_b64 vcc, exec, s[4:5]
	s_cbranch_vccnz .LBB290_193
.LBB290_44:
	s_movk_i32 s22, 0x7f
	v_cmp_gt_i16_sdwa s[24:25], v9, s22 src0_sel:BYTE_3 src1_sel:DWORD
	s_mov_b64 s[22:23], 0
	s_and_saveexec_b64 s[26:27], s[24:25]
	s_xor_b64 s[24:25], exec, s[26:27]
	s_cbranch_execnz .LBB290_349
; %bb.45:
	s_or_saveexec_b64 s[24:25], s[24:25]
	v_mov_b32_e32 v10, 0x7f800001
	s_xor_b64 exec, exec, s[24:25]
	s_cbranch_execnz .LBB290_352
.LBB290_46:
	s_or_b64 exec, exec, s[24:25]
	s_and_saveexec_b64 s[24:25], s[22:23]
	s_cbranch_execz .LBB290_48
.LBB290_47:
	v_bfe_u32 v10, v9, 24, 3
	v_ffbh_u32_e32 v12, v10
	v_min_u32_e32 v12, 32, v12
	v_subrev_u32_e32 v13, 28, v12
	v_bfe_u32 v11, v9, 27, 4
	v_lshlrev_b32_sdwa v13, v13, v9 dst_sel:DWORD dst_unused:UNUSED_PAD src0_sel:DWORD src1_sel:BYTE_3
	v_sub_u32_e32 v12, 29, v12
	v_and_b32_e32 v13, 7, v13
	v_cmp_eq_u32_e32 vcc, 0, v11
	v_cndmask_b32_e32 v11, v11, v12, vcc
	v_cndmask_b32_e32 v10, v10, v13, vcc
	v_mov_b32_e32 v13, 0x3b800000
	v_lshlrev_b32_e32 v10, 20, v10
	v_and_b32_e32 v12, 0x80000000, v9
	v_lshl_add_u32 v11, v11, 23, v13
	v_or3_b32 v10, v12, v11, v10
.LBB290_48:
	s_or_b64 exec, exec, s[24:25]
	s_movk_i32 s22, 0x7f
	v_cmp_gt_i16_sdwa s[24:25], v8, s22 src0_sel:BYTE_3 src1_sel:DWORD
	s_mov_b64 s[22:23], 0
	s_and_saveexec_b64 s[26:27], s[24:25]
	s_xor_b64 s[24:25], exec, s[26:27]
	s_cbranch_execnz .LBB290_353
; %bb.49:
	s_or_saveexec_b64 s[24:25], s[24:25]
	v_mov_b32_e32 v11, 0x7f800001
	s_xor_b64 exec, exec, s[24:25]
	s_cbranch_execnz .LBB290_356
.LBB290_50:
	s_or_b64 exec, exec, s[24:25]
	s_and_saveexec_b64 s[24:25], s[22:23]
	s_cbranch_execz .LBB290_52
.LBB290_51:
	v_bfe_u32 v11, v8, 24, 3
	v_ffbh_u32_e32 v13, v11
	v_min_u32_e32 v13, 32, v13
	v_subrev_u32_e32 v14, 28, v13
	v_bfe_u32 v12, v8, 27, 4
	v_lshlrev_b32_sdwa v14, v14, v8 dst_sel:DWORD dst_unused:UNUSED_PAD src0_sel:DWORD src1_sel:BYTE_3
	v_sub_u32_e32 v13, 29, v13
	v_and_b32_e32 v14, 7, v14
	v_cmp_eq_u32_e32 vcc, 0, v12
	v_cndmask_b32_e32 v12, v12, v13, vcc
	v_cndmask_b32_e32 v11, v11, v14, vcc
	v_mov_b32_e32 v14, 0x3b800000
	v_lshlrev_b32_e32 v11, 20, v11
	v_and_b32_e32 v13, 0x80000000, v8
	v_lshl_add_u32 v12, v12, 23, v14
	v_or3_b32 v11, v13, v12, v11
.LBB290_52:
	s_or_b64 exec, exec, s[24:25]
	v_cmp_neq_f32_e64 s[22:23], v10, v11
.LBB290_53:
	s_and_b64 vcc, exec, s[4:5]
	s_cbranch_vccnz .LBB290_203
.LBB290_54:
	s_movk_i32 s24, 0x7f
	v_cmp_gt_i16_sdwa s[26:27], v7, s24 src0_sel:BYTE_0 src1_sel:DWORD
	s_mov_b64 s[24:25], 0
	s_and_saveexec_b64 s[28:29], s[26:27]
	s_xor_b64 s[26:27], exec, s[28:29]
	s_cbranch_execnz .LBB290_357
; %bb.55:
	s_or_saveexec_b64 s[26:27], s[26:27]
	v_mov_b32_e32 v8, 0x7f800001
	s_xor_b64 exec, exec, s[26:27]
	s_cbranch_execnz .LBB290_360
.LBB290_56:
	s_or_b64 exec, exec, s[26:27]
	s_and_saveexec_b64 s[26:27], s[24:25]
	s_cbranch_execz .LBB290_58
.LBB290_57:
	v_and_b32_e32 v8, 7, v7
	v_ffbh_u32_e32 v10, v8
	v_min_u32_e32 v10, 32, v10
	v_subrev_u32_e32 v11, 28, v10
	v_bfe_u32 v9, v7, 3, 4
	v_lshlrev_b32_e32 v11, v11, v7
	v_sub_u32_e32 v10, 29, v10
	v_and_b32_e32 v11, 7, v11
	v_cmp_eq_u32_e32 vcc, 0, v9
	v_cndmask_b32_e32 v9, v9, v10, vcc
	v_cndmask_b32_e32 v8, v8, v11, vcc
	v_lshlrev_b32_e32 v10, 24, v7
	v_mov_b32_e32 v11, 0x3b800000
	v_lshlrev_b32_e32 v8, 20, v8
	v_and_b32_e32 v10, 0x80000000, v10
	v_lshl_add_u32 v9, v9, 23, v11
	v_or3_b32 v8, v10, v9, v8
.LBB290_58:
	s_or_b64 exec, exec, s[26:27]
	s_movk_i32 s24, 0x7f
	s_waitcnt vmcnt(2)
	v_cmp_gt_i16_sdwa s[26:27], v6, s24 src0_sel:BYTE_0 src1_sel:DWORD
	s_mov_b64 s[24:25], 0
	s_and_saveexec_b64 s[28:29], s[26:27]
	s_xor_b64 s[26:27], exec, s[28:29]
	s_cbranch_execnz .LBB290_361
; %bb.59:
	s_or_saveexec_b64 s[26:27], s[26:27]
	v_mov_b32_e32 v9, 0x7f800001
	s_xor_b64 exec, exec, s[26:27]
	s_cbranch_execnz .LBB290_364
.LBB290_60:
	s_or_b64 exec, exec, s[26:27]
	s_and_saveexec_b64 s[26:27], s[24:25]
	s_cbranch_execz .LBB290_62
.LBB290_61:
	v_and_b32_e32 v9, 7, v6
	v_ffbh_u32_e32 v11, v9
	v_min_u32_e32 v11, 32, v11
	v_subrev_u32_e32 v12, 28, v11
	v_bfe_u32 v10, v6, 3, 4
	v_lshlrev_b32_e32 v12, v12, v6
	v_sub_u32_e32 v11, 29, v11
	v_and_b32_e32 v12, 7, v12
	v_cmp_eq_u32_e32 vcc, 0, v10
	v_cndmask_b32_e32 v10, v10, v11, vcc
	v_cndmask_b32_e32 v9, v9, v12, vcc
	v_lshlrev_b32_e32 v11, 24, v6
	v_mov_b32_e32 v12, 0x3b800000
	v_lshlrev_b32_e32 v9, 20, v9
	v_and_b32_e32 v11, 0x80000000, v11
	v_lshl_add_u32 v10, v10, 23, v12
	v_or3_b32 v9, v11, v10, v9
.LBB290_62:
	s_or_b64 exec, exec, s[26:27]
	v_cmp_neq_f32_e64 s[24:25], v8, v9
.LBB290_63:
	v_lshrrev_b32_e32 v9, 8, v7
	s_and_b64 vcc, exec, s[4:5]
	s_waitcnt vmcnt(2)
	v_lshrrev_b32_e32 v8, 8, v6
	s_cbranch_vccnz .LBB290_213
.LBB290_64:
	s_movk_i32 s26, 0x7f
	v_cmp_gt_i16_sdwa s[28:29], v9, s26 src0_sel:BYTE_0 src1_sel:DWORD
	s_mov_b64 s[26:27], 0
	s_and_saveexec_b64 s[30:31], s[28:29]
	s_xor_b64 s[28:29], exec, s[30:31]
	s_cbranch_execnz .LBB290_365
; %bb.65:
	s_or_saveexec_b64 s[28:29], s[28:29]
	v_mov_b32_e32 v10, 0x7f800001
	s_xor_b64 exec, exec, s[28:29]
	s_cbranch_execnz .LBB290_368
.LBB290_66:
	s_or_b64 exec, exec, s[28:29]
	s_and_saveexec_b64 s[28:29], s[26:27]
	s_cbranch_execz .LBB290_68
.LBB290_67:
	v_bfe_u32 v10, v7, 8, 3
	v_ffbh_u32_e32 v12, v10
	v_min_u32_e32 v12, 32, v12
	v_subrev_u32_e32 v13, 28, v12
	v_bfe_u32 v11, v7, 11, 4
	v_lshlrev_b32_e32 v13, v13, v9
	v_sub_u32_e32 v12, 29, v12
	v_and_b32_e32 v13, 7, v13
	v_cmp_eq_u32_e32 vcc, 0, v11
	v_cndmask_b32_e32 v11, v11, v12, vcc
	v_cndmask_b32_e32 v10, v10, v13, vcc
	v_lshlrev_b32_e32 v12, 24, v9
	v_mov_b32_e32 v13, 0x3b800000
	v_lshlrev_b32_e32 v10, 20, v10
	v_and_b32_e32 v12, 0x80000000, v12
	v_lshl_add_u32 v11, v11, 23, v13
	v_or3_b32 v10, v12, v11, v10
.LBB290_68:
	s_or_b64 exec, exec, s[28:29]
	s_movk_i32 s26, 0x7f
	v_cmp_gt_i16_sdwa s[28:29], v8, s26 src0_sel:BYTE_0 src1_sel:DWORD
	s_mov_b64 s[26:27], 0
	s_and_saveexec_b64 s[30:31], s[28:29]
	s_xor_b64 s[28:29], exec, s[30:31]
	s_cbranch_execnz .LBB290_369
; %bb.69:
	s_or_saveexec_b64 s[28:29], s[28:29]
	v_mov_b32_e32 v11, 0x7f800001
	s_xor_b64 exec, exec, s[28:29]
	s_cbranch_execnz .LBB290_372
.LBB290_70:
	s_or_b64 exec, exec, s[28:29]
	s_and_saveexec_b64 s[28:29], s[26:27]
	s_cbranch_execz .LBB290_72
.LBB290_71:
	v_bfe_u32 v11, v6, 8, 3
	v_ffbh_u32_e32 v13, v11
	v_min_u32_e32 v13, 32, v13
	v_subrev_u32_e32 v14, 28, v13
	v_bfe_u32 v12, v6, 11, 4
	v_lshlrev_b32_e32 v14, v14, v8
	v_sub_u32_e32 v13, 29, v13
	v_and_b32_e32 v14, 7, v14
	v_cmp_eq_u32_e32 vcc, 0, v12
	v_cndmask_b32_e32 v12, v12, v13, vcc
	v_cndmask_b32_e32 v11, v11, v14, vcc
	v_lshlrev_b32_e32 v13, 24, v8
	v_mov_b32_e32 v14, 0x3b800000
	v_lshlrev_b32_e32 v11, 20, v11
	v_and_b32_e32 v13, 0x80000000, v13
	v_lshl_add_u32 v12, v12, 23, v14
	v_or3_b32 v11, v13, v12, v11
.LBB290_72:
	s_or_b64 exec, exec, s[28:29]
	v_cmp_neq_f32_e64 s[26:27], v10, v11
.LBB290_73:
	s_and_b64 vcc, exec, s[4:5]
	s_cbranch_vccnz .LBB290_223
.LBB290_74:
	s_movk_i32 s28, 0xff
	v_and_b32_sdwa v9, v7, s28 dst_sel:DWORD dst_unused:UNUSED_PAD src0_sel:WORD_1 src1_sel:DWORD
	s_movk_i32 s28, 0x7f
	v_cmp_lt_i16_e32 vcc, s28, v9
	s_mov_b64 s[28:29], 0
	s_and_saveexec_b64 s[30:31], vcc
	s_xor_b64 s[30:31], exec, s[30:31]
	s_cbranch_execnz .LBB290_373
; %bb.75:
	s_or_saveexec_b64 s[30:31], s[30:31]
	v_mov_b32_e32 v8, 0x7f800001
	s_xor_b64 exec, exec, s[30:31]
	s_cbranch_execnz .LBB290_376
.LBB290_76:
	s_or_b64 exec, exec, s[30:31]
	s_and_saveexec_b64 s[30:31], s[28:29]
	s_cbranch_execz .LBB290_78
.LBB290_77:
	v_bfe_u32 v8, v7, 16, 3
	v_ffbh_u32_e32 v10, v8
	v_min_u32_e32 v10, 32, v10
	v_bfe_u32 v9, v7, 19, 4
	v_subrev_u32_e32 v11, 28, v10
	v_lshlrev_b32_sdwa v11, v11, v7 dst_sel:DWORD dst_unused:UNUSED_PAD src0_sel:DWORD src1_sel:WORD_1
	v_sub_u32_e32 v10, 29, v10
	v_cmp_eq_u32_e32 vcc, 0, v9
	v_and_b32_e32 v11, 7, v11
	v_cndmask_b32_e32 v9, v9, v10, vcc
	v_mov_b32_e32 v10, 24
	v_cndmask_b32_e32 v8, v8, v11, vcc
	v_lshlrev_b32_sdwa v10, v10, v7 dst_sel:DWORD dst_unused:UNUSED_PAD src0_sel:DWORD src1_sel:WORD_1
	v_mov_b32_e32 v11, 0x3b800000
	v_lshlrev_b32_e32 v8, 20, v8
	v_and_b32_e32 v10, 0x80000000, v10
	v_lshl_add_u32 v9, v9, 23, v11
	v_or3_b32 v8, v10, v9, v8
.LBB290_78:
	s_or_b64 exec, exec, s[30:31]
	s_movk_i32 s28, 0xff
	v_and_b32_sdwa v9, v6, s28 dst_sel:DWORD dst_unused:UNUSED_PAD src0_sel:WORD_1 src1_sel:DWORD
	s_movk_i32 s28, 0x7f
	v_cmp_lt_i16_e32 vcc, s28, v9
	s_mov_b64 s[28:29], 0
	s_and_saveexec_b64 s[30:31], vcc
	s_xor_b64 s[30:31], exec, s[30:31]
	s_cbranch_execnz .LBB290_377
; %bb.79:
	s_or_saveexec_b64 s[30:31], s[30:31]
	v_mov_b32_e32 v10, 0x7f800001
	s_xor_b64 exec, exec, s[30:31]
	s_cbranch_execnz .LBB290_380
.LBB290_80:
	s_or_b64 exec, exec, s[30:31]
	s_and_saveexec_b64 s[30:31], s[28:29]
	s_cbranch_execz .LBB290_82
.LBB290_81:
	v_bfe_u32 v9, v6, 16, 3
	v_ffbh_u32_e32 v11, v9
	v_min_u32_e32 v11, 32, v11
	v_bfe_u32 v10, v6, 19, 4
	v_subrev_u32_e32 v12, 28, v11
	v_lshlrev_b32_sdwa v12, v12, v6 dst_sel:DWORD dst_unused:UNUSED_PAD src0_sel:DWORD src1_sel:WORD_1
	v_sub_u32_e32 v11, 29, v11
	v_cmp_eq_u32_e32 vcc, 0, v10
	v_and_b32_e32 v12, 7, v12
	v_cndmask_b32_e32 v10, v10, v11, vcc
	v_mov_b32_e32 v11, 24
	v_cndmask_b32_e32 v9, v9, v12, vcc
	v_lshlrev_b32_sdwa v11, v11, v6 dst_sel:DWORD dst_unused:UNUSED_PAD src0_sel:DWORD src1_sel:WORD_1
	v_mov_b32_e32 v12, 0x3b800000
	v_lshlrev_b32_e32 v9, 20, v9
	v_and_b32_e32 v11, 0x80000000, v11
	v_lshl_add_u32 v10, v10, 23, v12
	v_or3_b32 v10, v11, v10, v9
.LBB290_82:
	s_or_b64 exec, exec, s[30:31]
	v_cmp_neq_f32_e64 s[28:29], v8, v10
.LBB290_83:
	s_and_b64 vcc, exec, s[4:5]
	s_cbranch_vccnz .LBB290_233
.LBB290_84:
	s_movk_i32 s30, 0x7f
	v_cmp_gt_i16_sdwa s[34:35], v7, s30 src0_sel:BYTE_3 src1_sel:DWORD
	s_mov_b64 s[30:31], 0
	s_and_saveexec_b64 s[36:37], s[34:35]
	s_xor_b64 s[34:35], exec, s[36:37]
	s_cbranch_execnz .LBB290_381
; %bb.85:
	s_or_saveexec_b64 s[34:35], s[34:35]
	v_mov_b32_e32 v8, 0x7f800001
	s_xor_b64 exec, exec, s[34:35]
	s_cbranch_execnz .LBB290_384
.LBB290_86:
	s_or_b64 exec, exec, s[34:35]
	s_and_saveexec_b64 s[34:35], s[30:31]
	s_cbranch_execz .LBB290_88
.LBB290_87:
	v_bfe_u32 v8, v7, 24, 3
	v_ffbh_u32_e32 v10, v8
	v_min_u32_e32 v10, 32, v10
	v_subrev_u32_e32 v11, 28, v10
	v_bfe_u32 v9, v7, 27, 4
	v_lshlrev_b32_sdwa v11, v11, v7 dst_sel:DWORD dst_unused:UNUSED_PAD src0_sel:DWORD src1_sel:BYTE_3
	v_sub_u32_e32 v10, 29, v10
	v_and_b32_e32 v11, 7, v11
	v_cmp_eq_u32_e32 vcc, 0, v9
	v_cndmask_b32_e32 v9, v9, v10, vcc
	v_cndmask_b32_e32 v8, v8, v11, vcc
	v_mov_b32_e32 v11, 0x3b800000
	v_lshlrev_b32_e32 v8, 20, v8
	v_and_b32_e32 v10, 0x80000000, v7
	v_lshl_add_u32 v9, v9, 23, v11
	v_or3_b32 v8, v10, v9, v8
.LBB290_88:
	s_or_b64 exec, exec, s[34:35]
	s_movk_i32 s30, 0x7f
	v_cmp_gt_i16_sdwa s[34:35], v6, s30 src0_sel:BYTE_3 src1_sel:DWORD
	s_mov_b64 s[30:31], 0
	s_and_saveexec_b64 s[36:37], s[34:35]
	s_xor_b64 s[34:35], exec, s[36:37]
	s_cbranch_execnz .LBB290_385
; %bb.89:
	s_or_saveexec_b64 s[34:35], s[34:35]
	v_mov_b32_e32 v9, 0x7f800001
	s_xor_b64 exec, exec, s[34:35]
	s_cbranch_execnz .LBB290_388
.LBB290_90:
	s_or_b64 exec, exec, s[34:35]
	s_and_saveexec_b64 s[34:35], s[30:31]
	s_cbranch_execz .LBB290_92
.LBB290_91:
	v_bfe_u32 v9, v6, 24, 3
	v_ffbh_u32_e32 v11, v9
	v_min_u32_e32 v11, 32, v11
	v_subrev_u32_e32 v12, 28, v11
	v_bfe_u32 v10, v6, 27, 4
	v_lshlrev_b32_sdwa v12, v12, v6 dst_sel:DWORD dst_unused:UNUSED_PAD src0_sel:DWORD src1_sel:BYTE_3
	v_sub_u32_e32 v11, 29, v11
	v_and_b32_e32 v12, 7, v12
	v_cmp_eq_u32_e32 vcc, 0, v10
	v_cndmask_b32_e32 v10, v10, v11, vcc
	v_cndmask_b32_e32 v9, v9, v12, vcc
	v_mov_b32_e32 v12, 0x3b800000
	v_lshlrev_b32_e32 v9, 20, v9
	v_and_b32_e32 v11, 0x80000000, v6
	v_lshl_add_u32 v10, v10, 23, v12
	v_or3_b32 v9, v11, v10, v9
.LBB290_92:
	s_or_b64 exec, exec, s[34:35]
	v_cmp_neq_f32_e64 s[30:31], v8, v9
.LBB290_93:
	s_and_b64 vcc, exec, s[4:5]
	s_cbranch_vccnz .LBB290_243
.LBB290_94:
	s_movk_i32 s34, 0x7f
	v_cmp_gt_i16_sdwa s[36:37], v5, s34 src0_sel:BYTE_0 src1_sel:DWORD
	s_mov_b64 s[34:35], 0
	s_and_saveexec_b64 s[38:39], s[36:37]
	s_xor_b64 s[36:37], exec, s[38:39]
	s_cbranch_execnz .LBB290_389
; %bb.95:
	s_or_saveexec_b64 s[36:37], s[36:37]
	v_mov_b32_e32 v6, 0x7f800001
	s_xor_b64 exec, exec, s[36:37]
	s_cbranch_execnz .LBB290_392
.LBB290_96:
	s_or_b64 exec, exec, s[36:37]
	s_and_saveexec_b64 s[36:37], s[34:35]
	s_cbranch_execz .LBB290_98
.LBB290_97:
	v_and_b32_e32 v6, 7, v5
	v_ffbh_u32_e32 v8, v6
	v_min_u32_e32 v8, 32, v8
	v_subrev_u32_e32 v9, 28, v8
	v_bfe_u32 v7, v5, 3, 4
	v_lshlrev_b32_e32 v9, v9, v5
	v_sub_u32_e32 v8, 29, v8
	v_and_b32_e32 v9, 7, v9
	v_cmp_eq_u32_e32 vcc, 0, v7
	v_cndmask_b32_e32 v7, v7, v8, vcc
	v_cndmask_b32_e32 v6, v6, v9, vcc
	v_lshlrev_b32_e32 v8, 24, v5
	v_mov_b32_e32 v9, 0x3b800000
	v_lshlrev_b32_e32 v6, 20, v6
	v_and_b32_e32 v8, 0x80000000, v8
	v_lshl_add_u32 v7, v7, 23, v9
	v_or3_b32 v6, v8, v7, v6
.LBB290_98:
	s_or_b64 exec, exec, s[36:37]
	s_movk_i32 s34, 0x7f
	s_waitcnt vmcnt(1)
	v_cmp_gt_i16_sdwa s[36:37], v4, s34 src0_sel:BYTE_0 src1_sel:DWORD
	s_mov_b64 s[34:35], 0
	s_and_saveexec_b64 s[38:39], s[36:37]
	s_xor_b64 s[36:37], exec, s[38:39]
	s_cbranch_execnz .LBB290_393
; %bb.99:
	s_or_saveexec_b64 s[36:37], s[36:37]
	v_mov_b32_e32 v7, 0x7f800001
	s_xor_b64 exec, exec, s[36:37]
	s_cbranch_execnz .LBB290_396
.LBB290_100:
	s_or_b64 exec, exec, s[36:37]
	s_and_saveexec_b64 s[36:37], s[34:35]
	s_cbranch_execz .LBB290_102
.LBB290_101:
	v_and_b32_e32 v7, 7, v4
	v_ffbh_u32_e32 v9, v7
	v_min_u32_e32 v9, 32, v9
	v_subrev_u32_e32 v10, 28, v9
	v_bfe_u32 v8, v4, 3, 4
	v_lshlrev_b32_e32 v10, v10, v4
	v_sub_u32_e32 v9, 29, v9
	v_and_b32_e32 v10, 7, v10
	v_cmp_eq_u32_e32 vcc, 0, v8
	v_cndmask_b32_e32 v8, v8, v9, vcc
	v_cndmask_b32_e32 v7, v7, v10, vcc
	v_lshlrev_b32_e32 v9, 24, v4
	v_mov_b32_e32 v10, 0x3b800000
	v_lshlrev_b32_e32 v7, 20, v7
	v_and_b32_e32 v9, 0x80000000, v9
	v_lshl_add_u32 v8, v8, 23, v10
	v_or3_b32 v7, v9, v8, v7
.LBB290_102:
	s_or_b64 exec, exec, s[36:37]
	v_cmp_neq_f32_e64 s[34:35], v6, v7
.LBB290_103:
	v_lshrrev_b32_e32 v7, 8, v5
	s_and_b64 vcc, exec, s[4:5]
	s_waitcnt vmcnt(1)
	v_lshrrev_b32_e32 v6, 8, v4
	s_cbranch_vccnz .LBB290_253
.LBB290_104:
	s_movk_i32 s36, 0x7f
	v_cmp_gt_i16_sdwa s[38:39], v7, s36 src0_sel:BYTE_0 src1_sel:DWORD
	s_mov_b64 s[36:37], 0
	s_and_saveexec_b64 s[40:41], s[38:39]
	s_xor_b64 s[38:39], exec, s[40:41]
	s_cbranch_execnz .LBB290_397
; %bb.105:
	s_or_saveexec_b64 s[38:39], s[38:39]
	v_mov_b32_e32 v8, 0x7f800001
	s_xor_b64 exec, exec, s[38:39]
	s_cbranch_execnz .LBB290_400
.LBB290_106:
	s_or_b64 exec, exec, s[38:39]
	s_and_saveexec_b64 s[38:39], s[36:37]
	s_cbranch_execz .LBB290_108
.LBB290_107:
	v_bfe_u32 v8, v5, 8, 3
	v_ffbh_u32_e32 v10, v8
	v_min_u32_e32 v10, 32, v10
	v_subrev_u32_e32 v11, 28, v10
	v_bfe_u32 v9, v5, 11, 4
	v_lshlrev_b32_e32 v11, v11, v7
	v_sub_u32_e32 v10, 29, v10
	v_and_b32_e32 v11, 7, v11
	v_cmp_eq_u32_e32 vcc, 0, v9
	v_cndmask_b32_e32 v9, v9, v10, vcc
	v_cndmask_b32_e32 v8, v8, v11, vcc
	v_lshlrev_b32_e32 v10, 24, v7
	v_mov_b32_e32 v11, 0x3b800000
	v_lshlrev_b32_e32 v8, 20, v8
	v_and_b32_e32 v10, 0x80000000, v10
	v_lshl_add_u32 v9, v9, 23, v11
	v_or3_b32 v8, v10, v9, v8
.LBB290_108:
	s_or_b64 exec, exec, s[38:39]
	s_movk_i32 s36, 0x7f
	v_cmp_gt_i16_sdwa s[38:39], v6, s36 src0_sel:BYTE_0 src1_sel:DWORD
	s_mov_b64 s[36:37], 0
	s_and_saveexec_b64 s[40:41], s[38:39]
	s_xor_b64 s[38:39], exec, s[40:41]
	s_cbranch_execnz .LBB290_401
; %bb.109:
	s_or_saveexec_b64 s[38:39], s[38:39]
	v_mov_b32_e32 v9, 0x7f800001
	s_xor_b64 exec, exec, s[38:39]
	s_cbranch_execnz .LBB290_404
.LBB290_110:
	s_or_b64 exec, exec, s[38:39]
	s_and_saveexec_b64 s[38:39], s[36:37]
	s_cbranch_execz .LBB290_112
.LBB290_111:
	v_bfe_u32 v9, v4, 8, 3
	v_ffbh_u32_e32 v11, v9
	v_min_u32_e32 v11, 32, v11
	v_subrev_u32_e32 v12, 28, v11
	v_bfe_u32 v10, v4, 11, 4
	v_lshlrev_b32_e32 v12, v12, v6
	v_sub_u32_e32 v11, 29, v11
	v_and_b32_e32 v12, 7, v12
	v_cmp_eq_u32_e32 vcc, 0, v10
	v_cndmask_b32_e32 v10, v10, v11, vcc
	v_cndmask_b32_e32 v9, v9, v12, vcc
	v_lshlrev_b32_e32 v11, 24, v6
	v_mov_b32_e32 v12, 0x3b800000
	v_lshlrev_b32_e32 v9, 20, v9
	v_and_b32_e32 v11, 0x80000000, v11
	v_lshl_add_u32 v10, v10, 23, v12
	v_or3_b32 v9, v11, v10, v9
.LBB290_112:
	s_or_b64 exec, exec, s[38:39]
	v_cmp_neq_f32_e64 s[36:37], v8, v9
.LBB290_113:
	s_and_b64 vcc, exec, s[4:5]
	s_cbranch_vccnz .LBB290_263
.LBB290_114:
	s_movk_i32 s38, 0xff
	v_and_b32_sdwa v7, v5, s38 dst_sel:DWORD dst_unused:UNUSED_PAD src0_sel:WORD_1 src1_sel:DWORD
	s_movk_i32 s38, 0x7f
	v_cmp_lt_i16_e32 vcc, s38, v7
	s_mov_b64 s[38:39], 0
	s_and_saveexec_b64 s[40:41], vcc
	s_xor_b64 s[40:41], exec, s[40:41]
	s_cbranch_execnz .LBB290_405
; %bb.115:
	s_or_saveexec_b64 s[40:41], s[40:41]
	v_mov_b32_e32 v6, 0x7f800001
	s_xor_b64 exec, exec, s[40:41]
	s_cbranch_execnz .LBB290_408
.LBB290_116:
	s_or_b64 exec, exec, s[40:41]
	s_and_saveexec_b64 s[40:41], s[38:39]
	s_cbranch_execz .LBB290_118
.LBB290_117:
	v_bfe_u32 v6, v5, 16, 3
	v_ffbh_u32_e32 v8, v6
	v_min_u32_e32 v8, 32, v8
	v_bfe_u32 v7, v5, 19, 4
	v_subrev_u32_e32 v9, 28, v8
	v_lshlrev_b32_sdwa v9, v9, v5 dst_sel:DWORD dst_unused:UNUSED_PAD src0_sel:DWORD src1_sel:WORD_1
	v_sub_u32_e32 v8, 29, v8
	v_cmp_eq_u32_e32 vcc, 0, v7
	v_and_b32_e32 v9, 7, v9
	v_cndmask_b32_e32 v7, v7, v8, vcc
	v_mov_b32_e32 v8, 24
	v_cndmask_b32_e32 v6, v6, v9, vcc
	v_lshlrev_b32_sdwa v8, v8, v5 dst_sel:DWORD dst_unused:UNUSED_PAD src0_sel:DWORD src1_sel:WORD_1
	v_mov_b32_e32 v9, 0x3b800000
	v_lshlrev_b32_e32 v6, 20, v6
	v_and_b32_e32 v8, 0x80000000, v8
	v_lshl_add_u32 v7, v7, 23, v9
	v_or3_b32 v6, v8, v7, v6
.LBB290_118:
	s_or_b64 exec, exec, s[40:41]
	s_movk_i32 s38, 0xff
	v_and_b32_sdwa v7, v4, s38 dst_sel:DWORD dst_unused:UNUSED_PAD src0_sel:WORD_1 src1_sel:DWORD
	s_movk_i32 s38, 0x7f
	v_cmp_lt_i16_e32 vcc, s38, v7
	s_mov_b64 s[38:39], 0
	s_and_saveexec_b64 s[40:41], vcc
	s_xor_b64 s[40:41], exec, s[40:41]
	s_cbranch_execnz .LBB290_409
; %bb.119:
	s_or_saveexec_b64 s[40:41], s[40:41]
	v_mov_b32_e32 v8, 0x7f800001
	s_xor_b64 exec, exec, s[40:41]
	s_cbranch_execnz .LBB290_412
.LBB290_120:
	s_or_b64 exec, exec, s[40:41]
	s_and_saveexec_b64 s[40:41], s[38:39]
	s_cbranch_execz .LBB290_122
.LBB290_121:
	v_bfe_u32 v7, v4, 16, 3
	v_ffbh_u32_e32 v9, v7
	v_min_u32_e32 v9, 32, v9
	v_bfe_u32 v8, v4, 19, 4
	v_subrev_u32_e32 v10, 28, v9
	v_lshlrev_b32_sdwa v10, v10, v4 dst_sel:DWORD dst_unused:UNUSED_PAD src0_sel:DWORD src1_sel:WORD_1
	v_sub_u32_e32 v9, 29, v9
	v_cmp_eq_u32_e32 vcc, 0, v8
	v_and_b32_e32 v10, 7, v10
	v_cndmask_b32_e32 v8, v8, v9, vcc
	v_mov_b32_e32 v9, 24
	v_cndmask_b32_e32 v7, v7, v10, vcc
	v_lshlrev_b32_sdwa v9, v9, v4 dst_sel:DWORD dst_unused:UNUSED_PAD src0_sel:DWORD src1_sel:WORD_1
	v_mov_b32_e32 v10, 0x3b800000
	v_lshlrev_b32_e32 v7, 20, v7
	v_and_b32_e32 v9, 0x80000000, v9
	v_lshl_add_u32 v8, v8, 23, v10
	v_or3_b32 v8, v9, v8, v7
.LBB290_122:
	s_or_b64 exec, exec, s[40:41]
	v_cmp_neq_f32_e64 s[38:39], v6, v8
.LBB290_123:
	s_and_b64 vcc, exec, s[4:5]
	s_cbranch_vccnz .LBB290_273
.LBB290_124:
	s_movk_i32 s40, 0x7f
	v_cmp_gt_i16_sdwa s[42:43], v5, s40 src0_sel:BYTE_3 src1_sel:DWORD
	s_mov_b64 s[40:41], 0
	s_and_saveexec_b64 s[44:45], s[42:43]
	s_xor_b64 s[42:43], exec, s[44:45]
	s_cbranch_execnz .LBB290_413
; %bb.125:
	s_or_saveexec_b64 s[42:43], s[42:43]
	v_mov_b32_e32 v6, 0x7f800001
	s_xor_b64 exec, exec, s[42:43]
	s_cbranch_execnz .LBB290_416
.LBB290_126:
	s_or_b64 exec, exec, s[42:43]
	s_and_saveexec_b64 s[42:43], s[40:41]
	s_cbranch_execz .LBB290_128
.LBB290_127:
	v_bfe_u32 v6, v5, 24, 3
	v_ffbh_u32_e32 v8, v6
	v_min_u32_e32 v8, 32, v8
	v_subrev_u32_e32 v9, 28, v8
	v_bfe_u32 v7, v5, 27, 4
	v_lshlrev_b32_sdwa v9, v9, v5 dst_sel:DWORD dst_unused:UNUSED_PAD src0_sel:DWORD src1_sel:BYTE_3
	v_sub_u32_e32 v8, 29, v8
	v_and_b32_e32 v9, 7, v9
	v_cmp_eq_u32_e32 vcc, 0, v7
	v_cndmask_b32_e32 v7, v7, v8, vcc
	v_cndmask_b32_e32 v6, v6, v9, vcc
	v_mov_b32_e32 v9, 0x3b800000
	v_lshlrev_b32_e32 v6, 20, v6
	v_and_b32_e32 v8, 0x80000000, v5
	v_lshl_add_u32 v7, v7, 23, v9
	v_or3_b32 v6, v8, v7, v6
.LBB290_128:
	s_or_b64 exec, exec, s[42:43]
	s_movk_i32 s40, 0x7f
	v_cmp_gt_i16_sdwa s[42:43], v4, s40 src0_sel:BYTE_3 src1_sel:DWORD
	s_mov_b64 s[40:41], 0
	s_and_saveexec_b64 s[44:45], s[42:43]
	s_xor_b64 s[42:43], exec, s[44:45]
	s_cbranch_execnz .LBB290_417
; %bb.129:
	s_or_saveexec_b64 s[42:43], s[42:43]
	v_mov_b32_e32 v7, 0x7f800001
	s_xor_b64 exec, exec, s[42:43]
	s_cbranch_execnz .LBB290_420
.LBB290_130:
	s_or_b64 exec, exec, s[42:43]
	s_and_saveexec_b64 s[42:43], s[40:41]
	s_cbranch_execz .LBB290_132
.LBB290_131:
	v_bfe_u32 v7, v4, 24, 3
	v_ffbh_u32_e32 v9, v7
	v_min_u32_e32 v9, 32, v9
	v_subrev_u32_e32 v10, 28, v9
	v_bfe_u32 v8, v4, 27, 4
	v_lshlrev_b32_sdwa v10, v10, v4 dst_sel:DWORD dst_unused:UNUSED_PAD src0_sel:DWORD src1_sel:BYTE_3
	v_sub_u32_e32 v9, 29, v9
	v_and_b32_e32 v10, 7, v10
	v_cmp_eq_u32_e32 vcc, 0, v8
	v_cndmask_b32_e32 v8, v8, v9, vcc
	v_cndmask_b32_e32 v7, v7, v10, vcc
	v_mov_b32_e32 v10, 0x3b800000
	v_lshlrev_b32_e32 v7, 20, v7
	v_and_b32_e32 v9, 0x80000000, v4
	v_lshl_add_u32 v8, v8, 23, v10
	v_or3_b32 v7, v9, v8, v7
.LBB290_132:
	s_or_b64 exec, exec, s[42:43]
	v_cmp_neq_f32_e64 s[40:41], v6, v7
.LBB290_133:
	s_and_b64 vcc, exec, s[4:5]
	s_cbranch_vccnz .LBB290_283
.LBB290_134:
	s_movk_i32 s42, 0x7f
	v_cmp_gt_i16_sdwa s[44:45], v3, s42 src0_sel:BYTE_0 src1_sel:DWORD
	s_mov_b64 s[42:43], 0
	s_and_saveexec_b64 s[46:47], s[44:45]
	s_xor_b64 s[44:45], exec, s[46:47]
	s_cbranch_execnz .LBB290_421
; %bb.135:
	s_or_saveexec_b64 s[44:45], s[44:45]
	v_mov_b32_e32 v4, 0x7f800001
	s_xor_b64 exec, exec, s[44:45]
	s_cbranch_execnz .LBB290_424
.LBB290_136:
	s_or_b64 exec, exec, s[44:45]
	s_and_saveexec_b64 s[44:45], s[42:43]
	s_cbranch_execz .LBB290_138
.LBB290_137:
	v_and_b32_e32 v4, 7, v3
	v_ffbh_u32_e32 v6, v4
	v_min_u32_e32 v6, 32, v6
	v_subrev_u32_e32 v7, 28, v6
	v_bfe_u32 v5, v3, 3, 4
	v_lshlrev_b32_e32 v7, v7, v3
	v_sub_u32_e32 v6, 29, v6
	v_and_b32_e32 v7, 7, v7
	v_cmp_eq_u32_e32 vcc, 0, v5
	v_cndmask_b32_e32 v5, v5, v6, vcc
	v_cndmask_b32_e32 v4, v4, v7, vcc
	v_lshlrev_b32_e32 v6, 24, v3
	v_mov_b32_e32 v7, 0x3b800000
	v_lshlrev_b32_e32 v4, 20, v4
	v_and_b32_e32 v6, 0x80000000, v6
	v_lshl_add_u32 v5, v5, 23, v7
	v_or3_b32 v4, v6, v5, v4
.LBB290_138:
	s_or_b64 exec, exec, s[44:45]
	s_movk_i32 s42, 0x7f
	s_waitcnt vmcnt(0)
	v_cmp_gt_i16_sdwa s[44:45], v2, s42 src0_sel:BYTE_0 src1_sel:DWORD
	s_mov_b64 s[42:43], 0
	s_and_saveexec_b64 s[46:47], s[44:45]
	s_xor_b64 s[44:45], exec, s[46:47]
	s_cbranch_execnz .LBB290_425
; %bb.139:
	s_or_saveexec_b64 s[44:45], s[44:45]
	v_mov_b32_e32 v5, 0x7f800001
	s_xor_b64 exec, exec, s[44:45]
	s_cbranch_execnz .LBB290_428
.LBB290_140:
	s_or_b64 exec, exec, s[44:45]
	s_and_saveexec_b64 s[44:45], s[42:43]
	s_cbranch_execz .LBB290_142
.LBB290_141:
	v_and_b32_e32 v5, 7, v2
	v_ffbh_u32_e32 v7, v5
	v_min_u32_e32 v7, 32, v7
	v_subrev_u32_e32 v8, 28, v7
	v_bfe_u32 v6, v2, 3, 4
	v_lshlrev_b32_e32 v8, v8, v2
	v_sub_u32_e32 v7, 29, v7
	v_and_b32_e32 v8, 7, v8
	v_cmp_eq_u32_e32 vcc, 0, v6
	v_cndmask_b32_e32 v6, v6, v7, vcc
	v_cndmask_b32_e32 v5, v5, v8, vcc
	v_lshlrev_b32_e32 v7, 24, v2
	v_mov_b32_e32 v8, 0x3b800000
	v_lshlrev_b32_e32 v5, 20, v5
	v_and_b32_e32 v7, 0x80000000, v7
	v_lshl_add_u32 v6, v6, 23, v8
	v_or3_b32 v5, v7, v6, v5
.LBB290_142:
	s_or_b64 exec, exec, s[44:45]
	v_cmp_neq_f32_e64 s[42:43], v4, v5
.LBB290_143:
	v_lshrrev_b32_e32 v5, 8, v3
	s_and_b64 vcc, exec, s[4:5]
	s_waitcnt vmcnt(0)
	v_lshrrev_b32_e32 v4, 8, v2
	s_cbranch_vccnz .LBB290_293
.LBB290_144:
	s_movk_i32 s44, 0x7f
	v_cmp_gt_i16_sdwa s[46:47], v5, s44 src0_sel:BYTE_0 src1_sel:DWORD
	s_mov_b64 s[44:45], 0
	s_and_saveexec_b64 s[48:49], s[46:47]
	s_xor_b64 s[46:47], exec, s[48:49]
	s_cbranch_execnz .LBB290_429
; %bb.145:
	s_or_saveexec_b64 s[46:47], s[46:47]
	v_mov_b32_e32 v6, 0x7f800001
	s_xor_b64 exec, exec, s[46:47]
	s_cbranch_execnz .LBB290_432
.LBB290_146:
	s_or_b64 exec, exec, s[46:47]
	s_and_saveexec_b64 s[46:47], s[44:45]
	s_cbranch_execz .LBB290_148
.LBB290_147:
	v_bfe_u32 v6, v3, 8, 3
	v_ffbh_u32_e32 v8, v6
	v_min_u32_e32 v8, 32, v8
	v_subrev_u32_e32 v9, 28, v8
	v_bfe_u32 v7, v3, 11, 4
	v_lshlrev_b32_e32 v9, v9, v5
	v_sub_u32_e32 v8, 29, v8
	v_and_b32_e32 v9, 7, v9
	v_cmp_eq_u32_e32 vcc, 0, v7
	v_cndmask_b32_e32 v7, v7, v8, vcc
	v_cndmask_b32_e32 v6, v6, v9, vcc
	v_lshlrev_b32_e32 v8, 24, v5
	v_mov_b32_e32 v9, 0x3b800000
	v_lshlrev_b32_e32 v6, 20, v6
	v_and_b32_e32 v8, 0x80000000, v8
	v_lshl_add_u32 v7, v7, 23, v9
	v_or3_b32 v6, v8, v7, v6
.LBB290_148:
	s_or_b64 exec, exec, s[46:47]
	s_movk_i32 s44, 0x7f
	v_cmp_gt_i16_sdwa s[46:47], v4, s44 src0_sel:BYTE_0 src1_sel:DWORD
	s_mov_b64 s[44:45], 0
	s_and_saveexec_b64 s[48:49], s[46:47]
	s_xor_b64 s[46:47], exec, s[48:49]
	s_cbranch_execnz .LBB290_433
; %bb.149:
	s_or_saveexec_b64 s[46:47], s[46:47]
	v_mov_b32_e32 v7, 0x7f800001
	s_xor_b64 exec, exec, s[46:47]
	s_cbranch_execnz .LBB290_436
.LBB290_150:
	s_or_b64 exec, exec, s[46:47]
	s_and_saveexec_b64 s[46:47], s[44:45]
	s_cbranch_execz .LBB290_152
.LBB290_151:
	v_bfe_u32 v7, v2, 8, 3
	v_ffbh_u32_e32 v9, v7
	v_min_u32_e32 v9, 32, v9
	v_subrev_u32_e32 v10, 28, v9
	v_bfe_u32 v8, v2, 11, 4
	v_lshlrev_b32_e32 v10, v10, v4
	v_sub_u32_e32 v9, 29, v9
	v_and_b32_e32 v10, 7, v10
	v_cmp_eq_u32_e32 vcc, 0, v8
	v_cndmask_b32_e32 v8, v8, v9, vcc
	v_cndmask_b32_e32 v7, v7, v10, vcc
	v_lshlrev_b32_e32 v9, 24, v4
	v_mov_b32_e32 v10, 0x3b800000
	v_lshlrev_b32_e32 v7, 20, v7
	v_and_b32_e32 v9, 0x80000000, v9
	v_lshl_add_u32 v8, v8, 23, v10
	v_or3_b32 v7, v9, v8, v7
.LBB290_152:
	s_or_b64 exec, exec, s[46:47]
	v_cmp_neq_f32_e64 s[44:45], v6, v7
.LBB290_153:
	s_and_b64 vcc, exec, s[4:5]
	s_cbranch_vccnz .LBB290_303
.LBB290_154:
	s_movk_i32 s46, 0xff
	v_and_b32_sdwa v5, v3, s46 dst_sel:DWORD dst_unused:UNUSED_PAD src0_sel:WORD_1 src1_sel:DWORD
	s_movk_i32 s46, 0x7f
	v_cmp_lt_i16_e32 vcc, s46, v5
	s_mov_b64 s[46:47], 0
	s_and_saveexec_b64 s[48:49], vcc
	s_xor_b64 s[48:49], exec, s[48:49]
	s_cbranch_execnz .LBB290_437
; %bb.155:
	s_or_saveexec_b64 s[48:49], s[48:49]
	v_mov_b32_e32 v4, 0x7f800001
	s_xor_b64 exec, exec, s[48:49]
	s_cbranch_execnz .LBB290_440
.LBB290_156:
	s_or_b64 exec, exec, s[48:49]
	s_and_saveexec_b64 s[48:49], s[46:47]
	s_cbranch_execz .LBB290_158
.LBB290_157:
	v_bfe_u32 v4, v3, 16, 3
	v_ffbh_u32_e32 v6, v4
	v_min_u32_e32 v6, 32, v6
	v_bfe_u32 v5, v3, 19, 4
	v_subrev_u32_e32 v7, 28, v6
	v_lshlrev_b32_sdwa v7, v7, v3 dst_sel:DWORD dst_unused:UNUSED_PAD src0_sel:DWORD src1_sel:WORD_1
	v_sub_u32_e32 v6, 29, v6
	v_cmp_eq_u32_e32 vcc, 0, v5
	v_and_b32_e32 v7, 7, v7
	v_cndmask_b32_e32 v5, v5, v6, vcc
	v_mov_b32_e32 v6, 24
	v_cndmask_b32_e32 v4, v4, v7, vcc
	v_lshlrev_b32_sdwa v6, v6, v3 dst_sel:DWORD dst_unused:UNUSED_PAD src0_sel:DWORD src1_sel:WORD_1
	v_mov_b32_e32 v7, 0x3b800000
	v_lshlrev_b32_e32 v4, 20, v4
	v_and_b32_e32 v6, 0x80000000, v6
	v_lshl_add_u32 v5, v5, 23, v7
	v_or3_b32 v4, v6, v5, v4
.LBB290_158:
	s_or_b64 exec, exec, s[48:49]
	s_movk_i32 s46, 0xff
	v_and_b32_sdwa v5, v2, s46 dst_sel:DWORD dst_unused:UNUSED_PAD src0_sel:WORD_1 src1_sel:DWORD
	s_movk_i32 s46, 0x7f
	v_cmp_lt_i16_e32 vcc, s46, v5
	s_mov_b64 s[46:47], 0
	s_and_saveexec_b64 s[48:49], vcc
	s_xor_b64 s[48:49], exec, s[48:49]
	s_cbranch_execnz .LBB290_441
; %bb.159:
	s_or_saveexec_b64 s[48:49], s[48:49]
	v_mov_b32_e32 v6, 0x7f800001
	s_xor_b64 exec, exec, s[48:49]
	s_cbranch_execnz .LBB290_444
.LBB290_160:
	s_or_b64 exec, exec, s[48:49]
	s_and_saveexec_b64 s[48:49], s[46:47]
	s_cbranch_execz .LBB290_162
.LBB290_161:
	v_bfe_u32 v5, v2, 16, 3
	v_ffbh_u32_e32 v7, v5
	v_min_u32_e32 v7, 32, v7
	v_bfe_u32 v6, v2, 19, 4
	v_subrev_u32_e32 v8, 28, v7
	v_lshlrev_b32_sdwa v8, v8, v2 dst_sel:DWORD dst_unused:UNUSED_PAD src0_sel:DWORD src1_sel:WORD_1
	v_sub_u32_e32 v7, 29, v7
	v_cmp_eq_u32_e32 vcc, 0, v6
	v_and_b32_e32 v8, 7, v8
	v_cndmask_b32_e32 v6, v6, v7, vcc
	v_mov_b32_e32 v7, 24
	v_cndmask_b32_e32 v5, v5, v8, vcc
	v_lshlrev_b32_sdwa v7, v7, v2 dst_sel:DWORD dst_unused:UNUSED_PAD src0_sel:DWORD src1_sel:WORD_1
	v_mov_b32_e32 v8, 0x3b800000
	v_lshlrev_b32_e32 v5, 20, v5
	v_and_b32_e32 v7, 0x80000000, v7
	v_lshl_add_u32 v6, v6, 23, v8
	v_or3_b32 v6, v7, v6, v5
.LBB290_162:
	s_or_b64 exec, exec, s[48:49]
	v_cmp_neq_f32_e64 s[46:47], v4, v6
.LBB290_163:
	s_and_b64 vcc, exec, s[4:5]
	s_cbranch_vccnz .LBB290_313
.LBB290_164:
	s_movk_i32 s4, 0x7f
	v_cmp_gt_i16_sdwa s[48:49], v3, s4 src0_sel:BYTE_3 src1_sel:DWORD
	s_mov_b64 s[4:5], 0
	s_and_saveexec_b64 s[50:51], s[48:49]
	s_xor_b64 s[48:49], exec, s[50:51]
	s_cbranch_execnz .LBB290_445
; %bb.165:
	s_or_saveexec_b64 s[48:49], s[48:49]
	v_mov_b32_e32 v4, 0x7f800001
	s_xor_b64 exec, exec, s[48:49]
	s_cbranch_execnz .LBB290_448
.LBB290_166:
	s_or_b64 exec, exec, s[48:49]
	s_and_saveexec_b64 s[48:49], s[4:5]
	s_cbranch_execz .LBB290_168
.LBB290_167:
	v_bfe_u32 v4, v3, 24, 3
	v_ffbh_u32_e32 v6, v4
	v_min_u32_e32 v6, 32, v6
	v_subrev_u32_e32 v7, 28, v6
	v_bfe_u32 v5, v3, 27, 4
	v_lshlrev_b32_sdwa v7, v7, v3 dst_sel:DWORD dst_unused:UNUSED_PAD src0_sel:DWORD src1_sel:BYTE_3
	v_sub_u32_e32 v6, 29, v6
	v_and_b32_e32 v7, 7, v7
	v_cmp_eq_u32_e32 vcc, 0, v5
	v_cndmask_b32_e32 v5, v5, v6, vcc
	v_cndmask_b32_e32 v4, v4, v7, vcc
	v_mov_b32_e32 v7, 0x3b800000
	v_lshlrev_b32_e32 v4, 20, v4
	v_and_b32_e32 v6, 0x80000000, v3
	v_lshl_add_u32 v5, v5, 23, v7
	v_or3_b32 v4, v6, v5, v4
.LBB290_168:
	s_or_b64 exec, exec, s[48:49]
	s_movk_i32 s4, 0x7f
	v_cmp_gt_i16_sdwa s[48:49], v2, s4 src0_sel:BYTE_3 src1_sel:DWORD
	s_mov_b64 s[4:5], 0
	s_and_saveexec_b64 s[50:51], s[48:49]
	s_xor_b64 s[48:49], exec, s[50:51]
	s_cbranch_execnz .LBB290_449
; %bb.169:
	s_or_saveexec_b64 s[48:49], s[48:49]
	v_mov_b32_e32 v5, 0x7f800001
	s_xor_b64 exec, exec, s[48:49]
	s_cbranch_execnz .LBB290_452
.LBB290_170:
	s_or_b64 exec, exec, s[48:49]
	s_and_saveexec_b64 s[48:49], s[4:5]
	s_cbranch_execz .LBB290_172
.LBB290_171:
	v_bfe_u32 v5, v2, 24, 3
	v_ffbh_u32_e32 v7, v5
	v_min_u32_e32 v7, 32, v7
	v_subrev_u32_e32 v8, 28, v7
	v_bfe_u32 v6, v2, 27, 4
	v_lshlrev_b32_sdwa v8, v8, v2 dst_sel:DWORD dst_unused:UNUSED_PAD src0_sel:DWORD src1_sel:BYTE_3
	v_sub_u32_e32 v7, 29, v7
	v_and_b32_e32 v8, 7, v8
	v_cmp_eq_u32_e32 vcc, 0, v6
	v_cndmask_b32_e32 v6, v6, v7, vcc
	v_cndmask_b32_e32 v5, v5, v8, vcc
	v_mov_b32_e32 v8, 0x3b800000
	v_lshlrev_b32_e32 v5, 20, v5
	v_and_b32_e32 v7, 0x80000000, v2
	v_lshl_add_u32 v6, v6, 23, v8
	v_or3_b32 v5, v7, v6, v5
.LBB290_172:
	s_or_b64 exec, exec, s[48:49]
	v_cmp_neq_f32_e64 s[4:5], v4, v5
	s_branch .LBB290_323
.LBB290_173:
                                        ; implicit-def: $sgpr18_sgpr19
	s_cbranch_execz .LBB290_33
; %bb.174:
	s_movk_i32 s18, 0x7f
	v_cmp_gt_i16_sdwa s[20:21], v11, s18 src0_sel:BYTE_0 src1_sel:DWORD
	s_mov_b64 s[18:19], 0
	s_and_saveexec_b64 s[22:23], s[20:21]
	s_xor_b64 s[20:21], exec, s[22:23]
	s_cbranch_execnz .LBB290_461
; %bb.175:
	s_or_saveexec_b64 s[20:21], s[20:21]
	v_mov_b32_e32 v12, 0x7f800001
	s_xor_b64 exec, exec, s[20:21]
	s_cbranch_execnz .LBB290_464
.LBB290_176:
	s_or_b64 exec, exec, s[20:21]
	s_and_saveexec_b64 s[20:21], s[18:19]
	s_cbranch_execz .LBB290_178
.LBB290_177:
	v_bfe_u32 v12, v9, 8, 3
	v_ffbh_u32_e32 v14, v12
	v_min_u32_e32 v14, 32, v14
	v_subrev_u32_e32 v15, 28, v14
	v_bfe_u32 v13, v9, 11, 4
	v_lshlrev_b32_e32 v15, v15, v11
	v_sub_u32_e32 v14, 29, v14
	v_and_b32_e32 v15, 7, v15
	v_cmp_eq_u32_e32 vcc, 0, v13
	v_cndmask_b32_e32 v13, v13, v14, vcc
	v_cndmask_b32_e32 v12, v12, v15, vcc
	v_lshlrev_b32_e32 v11, 24, v11
	v_mov_b32_e32 v14, 0x3b800000
	v_lshlrev_b32_e32 v12, 20, v12
	v_and_b32_e32 v11, 0x80000000, v11
	v_lshl_add_u32 v13, v13, 23, v14
	v_or3_b32 v12, v11, v13, v12
.LBB290_178:
	s_or_b64 exec, exec, s[20:21]
	s_movk_i32 s18, 0x7f
	v_cmp_gt_i16_sdwa s[20:21], v10, s18 src0_sel:BYTE_0 src1_sel:DWORD
	s_mov_b64 s[18:19], 0
	s_and_saveexec_b64 s[22:23], s[20:21]
	s_xor_b64 s[20:21], exec, s[22:23]
	s_cbranch_execnz .LBB290_465
; %bb.179:
	s_or_saveexec_b64 s[20:21], s[20:21]
	v_mov_b32_e32 v11, 0x7f800001
	s_xor_b64 exec, exec, s[20:21]
	s_cbranch_execnz .LBB290_468
.LBB290_180:
	s_or_b64 exec, exec, s[20:21]
	s_and_saveexec_b64 s[20:21], s[18:19]
	s_cbranch_execz .LBB290_182
.LBB290_181:
	v_bfe_u32 v11, v8, 8, 3
	v_ffbh_u32_e32 v14, v11
	v_min_u32_e32 v14, 32, v14
	v_subrev_u32_e32 v15, 28, v14
	v_bfe_u32 v13, v8, 11, 4
	v_lshlrev_b32_e32 v15, v15, v10
	v_sub_u32_e32 v14, 29, v14
	v_and_b32_e32 v15, 7, v15
	v_cmp_eq_u32_e32 vcc, 0, v13
	v_cndmask_b32_e32 v13, v13, v14, vcc
	v_cndmask_b32_e32 v11, v11, v15, vcc
	v_lshlrev_b32_e32 v10, 24, v10
	v_mov_b32_e32 v14, 0x3b800000
	v_lshlrev_b32_e32 v11, 20, v11
	v_and_b32_e32 v10, 0x80000000, v10
	v_lshl_add_u32 v13, v13, 23, v14
	v_or3_b32 v11, v10, v13, v11
.LBB290_182:
	s_or_b64 exec, exec, s[20:21]
	v_cmp_eq_f32_e64 s[18:19], v12, v11
	s_and_b64 vcc, exec, s[4:5]
	s_cbranch_vccz .LBB290_34
.LBB290_183:
                                        ; implicit-def: $sgpr20_sgpr21
	s_cbranch_execz .LBB290_43
; %bb.184:
	s_movk_i32 s20, 0xff
	v_and_b32_sdwa v11, v9, s20 dst_sel:DWORD dst_unused:UNUSED_PAD src0_sel:WORD_1 src1_sel:DWORD
	s_movk_i32 s20, 0x7f
	v_cmp_lt_i16_e32 vcc, s20, v11
	s_mov_b64 s[20:21], 0
	s_and_saveexec_b64 s[22:23], vcc
	s_xor_b64 s[22:23], exec, s[22:23]
	s_cbranch_execnz .LBB290_469
; %bb.185:
	s_or_saveexec_b64 s[22:23], s[22:23]
	v_mov_b32_e32 v10, 0x7f800001
	s_xor_b64 exec, exec, s[22:23]
	s_cbranch_execnz .LBB290_472
.LBB290_186:
	s_or_b64 exec, exec, s[22:23]
	s_and_saveexec_b64 s[22:23], s[20:21]
	s_cbranch_execz .LBB290_188
.LBB290_187:
	v_bfe_u32 v10, v9, 16, 3
	v_ffbh_u32_e32 v12, v10
	v_min_u32_e32 v12, 32, v12
	v_bfe_u32 v11, v9, 19, 4
	v_subrev_u32_e32 v13, 28, v12
	v_lshlrev_b32_sdwa v13, v13, v9 dst_sel:DWORD dst_unused:UNUSED_PAD src0_sel:DWORD src1_sel:WORD_1
	v_sub_u32_e32 v12, 29, v12
	v_cmp_eq_u32_e32 vcc, 0, v11
	v_and_b32_e32 v13, 7, v13
	v_cndmask_b32_e32 v11, v11, v12, vcc
	v_mov_b32_e32 v12, 24
	v_cndmask_b32_e32 v10, v10, v13, vcc
	v_lshlrev_b32_sdwa v12, v12, v9 dst_sel:DWORD dst_unused:UNUSED_PAD src0_sel:DWORD src1_sel:WORD_1
	v_mov_b32_e32 v13, 0x3b800000
	v_lshlrev_b32_e32 v10, 20, v10
	v_and_b32_e32 v12, 0x80000000, v12
	v_lshl_add_u32 v11, v11, 23, v13
	v_or3_b32 v10, v12, v11, v10
.LBB290_188:
	s_or_b64 exec, exec, s[22:23]
	s_movk_i32 s20, 0xff
	v_and_b32_sdwa v11, v8, s20 dst_sel:DWORD dst_unused:UNUSED_PAD src0_sel:WORD_1 src1_sel:DWORD
	s_movk_i32 s20, 0x7f
	v_cmp_lt_i16_e32 vcc, s20, v11
	s_mov_b64 s[20:21], 0
	s_and_saveexec_b64 s[22:23], vcc
	s_xor_b64 s[22:23], exec, s[22:23]
	s_cbranch_execnz .LBB290_473
; %bb.189:
	s_or_saveexec_b64 s[22:23], s[22:23]
	v_mov_b32_e32 v12, 0x7f800001
	s_xor_b64 exec, exec, s[22:23]
	s_cbranch_execnz .LBB290_476
.LBB290_190:
	s_or_b64 exec, exec, s[22:23]
	s_and_saveexec_b64 s[22:23], s[20:21]
	s_cbranch_execz .LBB290_192
.LBB290_191:
	v_bfe_u32 v11, v8, 16, 3
	v_ffbh_u32_e32 v13, v11
	v_min_u32_e32 v13, 32, v13
	v_bfe_u32 v12, v8, 19, 4
	v_subrev_u32_e32 v14, 28, v13
	v_lshlrev_b32_sdwa v14, v14, v8 dst_sel:DWORD dst_unused:UNUSED_PAD src0_sel:DWORD src1_sel:WORD_1
	v_sub_u32_e32 v13, 29, v13
	v_cmp_eq_u32_e32 vcc, 0, v12
	v_and_b32_e32 v14, 7, v14
	v_cndmask_b32_e32 v12, v12, v13, vcc
	v_mov_b32_e32 v13, 24
	v_cndmask_b32_e32 v11, v11, v14, vcc
	v_lshlrev_b32_sdwa v13, v13, v8 dst_sel:DWORD dst_unused:UNUSED_PAD src0_sel:DWORD src1_sel:WORD_1
	v_mov_b32_e32 v14, 0x3b800000
	v_lshlrev_b32_e32 v11, 20, v11
	v_and_b32_e32 v13, 0x80000000, v13
	v_lshl_add_u32 v12, v12, 23, v14
	v_or3_b32 v12, v13, v12, v11
.LBB290_192:
	s_or_b64 exec, exec, s[22:23]
	v_cmp_eq_f32_e64 s[20:21], v10, v12
	s_and_b64 vcc, exec, s[4:5]
	s_cbranch_vccz .LBB290_44
.LBB290_193:
                                        ; implicit-def: $sgpr22_sgpr23
	s_cbranch_execz .LBB290_53
; %bb.194:
	s_movk_i32 s22, 0x7f
	v_cmp_gt_i16_sdwa s[24:25], v9, s22 src0_sel:BYTE_3 src1_sel:DWORD
	s_mov_b64 s[22:23], 0
	s_and_saveexec_b64 s[26:27], s[24:25]
	s_xor_b64 s[24:25], exec, s[26:27]
	s_cbranch_execnz .LBB290_477
; %bb.195:
	s_or_saveexec_b64 s[24:25], s[24:25]
	v_mov_b32_e32 v10, 0x7f800001
	s_xor_b64 exec, exec, s[24:25]
	s_cbranch_execnz .LBB290_480
.LBB290_196:
	s_or_b64 exec, exec, s[24:25]
	s_and_saveexec_b64 s[24:25], s[22:23]
	s_cbranch_execz .LBB290_198
.LBB290_197:
	v_bfe_u32 v10, v9, 24, 3
	v_ffbh_u32_e32 v12, v10
	v_min_u32_e32 v12, 32, v12
	v_subrev_u32_e32 v13, 28, v12
	v_bfe_u32 v11, v9, 27, 4
	v_lshlrev_b32_sdwa v13, v13, v9 dst_sel:DWORD dst_unused:UNUSED_PAD src0_sel:DWORD src1_sel:BYTE_3
	v_sub_u32_e32 v12, 29, v12
	v_and_b32_e32 v13, 7, v13
	v_cmp_eq_u32_e32 vcc, 0, v11
	v_cndmask_b32_e32 v11, v11, v12, vcc
	v_cndmask_b32_e32 v10, v10, v13, vcc
	v_mov_b32_e32 v12, 0x3b800000
	v_lshlrev_b32_e32 v10, 20, v10
	v_and_b32_e32 v9, 0x80000000, v9
	v_lshl_add_u32 v11, v11, 23, v12
	v_or3_b32 v10, v9, v11, v10
.LBB290_198:
	s_or_b64 exec, exec, s[24:25]
	s_movk_i32 s22, 0x7f
	v_cmp_gt_i16_sdwa s[24:25], v8, s22 src0_sel:BYTE_3 src1_sel:DWORD
	s_mov_b64 s[22:23], 0
	s_and_saveexec_b64 s[26:27], s[24:25]
	s_xor_b64 s[24:25], exec, s[26:27]
	s_cbranch_execnz .LBB290_481
; %bb.199:
	s_or_saveexec_b64 s[24:25], s[24:25]
	v_mov_b32_e32 v9, 0x7f800001
	s_xor_b64 exec, exec, s[24:25]
	s_cbranch_execnz .LBB290_484
.LBB290_200:
	s_or_b64 exec, exec, s[24:25]
	s_and_saveexec_b64 s[24:25], s[22:23]
	s_cbranch_execz .LBB290_202
.LBB290_201:
	v_bfe_u32 v9, v8, 24, 3
	v_ffbh_u32_e32 v12, v9
	v_min_u32_e32 v12, 32, v12
	v_subrev_u32_e32 v13, 28, v12
	v_bfe_u32 v11, v8, 27, 4
	v_lshlrev_b32_sdwa v13, v13, v8 dst_sel:DWORD dst_unused:UNUSED_PAD src0_sel:DWORD src1_sel:BYTE_3
	v_sub_u32_e32 v12, 29, v12
	v_and_b32_e32 v13, 7, v13
	v_cmp_eq_u32_e32 vcc, 0, v11
	v_cndmask_b32_e32 v11, v11, v12, vcc
	v_cndmask_b32_e32 v9, v9, v13, vcc
	v_mov_b32_e32 v12, 0x3b800000
	v_lshlrev_b32_e32 v9, 20, v9
	v_and_b32_e32 v8, 0x80000000, v8
	v_lshl_add_u32 v11, v11, 23, v12
	v_or3_b32 v9, v8, v11, v9
.LBB290_202:
	s_or_b64 exec, exec, s[24:25]
	v_cmp_eq_f32_e64 s[22:23], v10, v9
	s_and_b64 vcc, exec, s[4:5]
	s_cbranch_vccz .LBB290_54
.LBB290_203:
                                        ; implicit-def: $sgpr24_sgpr25
	s_cbranch_execz .LBB290_63
; %bb.204:
	s_movk_i32 s24, 0x7f
	v_cmp_gt_i16_sdwa s[26:27], v7, s24 src0_sel:BYTE_0 src1_sel:DWORD
	s_mov_b64 s[24:25], 0
	s_and_saveexec_b64 s[28:29], s[26:27]
	s_xor_b64 s[26:27], exec, s[28:29]
	s_cbranch_execnz .LBB290_485
; %bb.205:
	s_or_saveexec_b64 s[26:27], s[26:27]
	v_mov_b32_e32 v8, 0x7f800001
	s_xor_b64 exec, exec, s[26:27]
	s_cbranch_execnz .LBB290_488
.LBB290_206:
	s_or_b64 exec, exec, s[26:27]
	s_and_saveexec_b64 s[26:27], s[24:25]
	s_cbranch_execz .LBB290_208
.LBB290_207:
	v_and_b32_e32 v8, 7, v7
	v_ffbh_u32_e32 v10, v8
	v_min_u32_e32 v10, 32, v10
	v_subrev_u32_e32 v11, 28, v10
	v_bfe_u32 v9, v7, 3, 4
	v_lshlrev_b32_e32 v11, v11, v7
	v_sub_u32_e32 v10, 29, v10
	v_and_b32_e32 v11, 7, v11
	v_cmp_eq_u32_e32 vcc, 0, v9
	v_cndmask_b32_e32 v9, v9, v10, vcc
	v_cndmask_b32_e32 v8, v8, v11, vcc
	v_lshlrev_b32_e32 v10, 24, v7
	v_mov_b32_e32 v11, 0x3b800000
	v_lshlrev_b32_e32 v8, 20, v8
	v_and_b32_e32 v10, 0x80000000, v10
	v_lshl_add_u32 v9, v9, 23, v11
	v_or3_b32 v8, v10, v9, v8
.LBB290_208:
	s_or_b64 exec, exec, s[26:27]
	s_movk_i32 s24, 0x7f
	s_waitcnt vmcnt(2)
	v_cmp_gt_i16_sdwa s[26:27], v6, s24 src0_sel:BYTE_0 src1_sel:DWORD
	s_mov_b64 s[24:25], 0
	s_and_saveexec_b64 s[28:29], s[26:27]
	s_xor_b64 s[26:27], exec, s[28:29]
	s_cbranch_execnz .LBB290_489
; %bb.209:
	s_or_saveexec_b64 s[26:27], s[26:27]
	v_mov_b32_e32 v9, 0x7f800001
	s_xor_b64 exec, exec, s[26:27]
	s_cbranch_execnz .LBB290_492
.LBB290_210:
	s_or_b64 exec, exec, s[26:27]
	s_and_saveexec_b64 s[26:27], s[24:25]
	s_cbranch_execz .LBB290_212
.LBB290_211:
	v_and_b32_e32 v9, 7, v6
	v_ffbh_u32_e32 v11, v9
	v_min_u32_e32 v11, 32, v11
	v_subrev_u32_e32 v12, 28, v11
	v_bfe_u32 v10, v6, 3, 4
	v_lshlrev_b32_e32 v12, v12, v6
	v_sub_u32_e32 v11, 29, v11
	v_and_b32_e32 v12, 7, v12
	v_cmp_eq_u32_e32 vcc, 0, v10
	v_cndmask_b32_e32 v10, v10, v11, vcc
	v_cndmask_b32_e32 v9, v9, v12, vcc
	v_lshlrev_b32_e32 v11, 24, v6
	v_mov_b32_e32 v12, 0x3b800000
	v_lshlrev_b32_e32 v9, 20, v9
	v_and_b32_e32 v11, 0x80000000, v11
	v_lshl_add_u32 v10, v10, 23, v12
	v_or3_b32 v9, v11, v10, v9
.LBB290_212:
	s_or_b64 exec, exec, s[26:27]
	v_cmp_eq_f32_e64 s[24:25], v8, v9
	v_lshrrev_b32_e32 v9, 8, v7
	s_and_b64 vcc, exec, s[4:5]
	v_lshrrev_b32_e32 v8, 8, v6
	s_cbranch_vccz .LBB290_64
.LBB290_213:
                                        ; implicit-def: $sgpr26_sgpr27
	s_cbranch_execz .LBB290_73
; %bb.214:
	s_movk_i32 s26, 0x7f
	v_cmp_gt_i16_sdwa s[28:29], v9, s26 src0_sel:BYTE_0 src1_sel:DWORD
	s_mov_b64 s[26:27], 0
	s_and_saveexec_b64 s[30:31], s[28:29]
	s_xor_b64 s[28:29], exec, s[30:31]
	s_cbranch_execnz .LBB290_493
; %bb.215:
	s_or_saveexec_b64 s[28:29], s[28:29]
	v_mov_b32_e32 v10, 0x7f800001
	s_xor_b64 exec, exec, s[28:29]
	s_cbranch_execnz .LBB290_496
.LBB290_216:
	s_or_b64 exec, exec, s[28:29]
	s_and_saveexec_b64 s[28:29], s[26:27]
	s_cbranch_execz .LBB290_218
.LBB290_217:
	v_bfe_u32 v10, v7, 8, 3
	v_ffbh_u32_e32 v12, v10
	v_min_u32_e32 v12, 32, v12
	v_subrev_u32_e32 v13, 28, v12
	v_bfe_u32 v11, v7, 11, 4
	v_lshlrev_b32_e32 v13, v13, v9
	v_sub_u32_e32 v12, 29, v12
	v_and_b32_e32 v13, 7, v13
	v_cmp_eq_u32_e32 vcc, 0, v11
	v_cndmask_b32_e32 v11, v11, v12, vcc
	v_cndmask_b32_e32 v10, v10, v13, vcc
	v_lshlrev_b32_e32 v9, 24, v9
	v_mov_b32_e32 v12, 0x3b800000
	v_lshlrev_b32_e32 v10, 20, v10
	v_and_b32_e32 v9, 0x80000000, v9
	v_lshl_add_u32 v11, v11, 23, v12
	v_or3_b32 v10, v9, v11, v10
.LBB290_218:
	s_or_b64 exec, exec, s[28:29]
	s_movk_i32 s26, 0x7f
	v_cmp_gt_i16_sdwa s[28:29], v8, s26 src0_sel:BYTE_0 src1_sel:DWORD
	s_mov_b64 s[26:27], 0
	s_and_saveexec_b64 s[30:31], s[28:29]
	s_xor_b64 s[28:29], exec, s[30:31]
	s_cbranch_execnz .LBB290_497
; %bb.219:
	s_or_saveexec_b64 s[28:29], s[28:29]
	v_mov_b32_e32 v9, 0x7f800001
	s_xor_b64 exec, exec, s[28:29]
	s_cbranch_execnz .LBB290_500
.LBB290_220:
	s_or_b64 exec, exec, s[28:29]
	s_and_saveexec_b64 s[28:29], s[26:27]
	s_cbranch_execz .LBB290_222
.LBB290_221:
	v_bfe_u32 v9, v6, 8, 3
	v_ffbh_u32_e32 v12, v9
	v_min_u32_e32 v12, 32, v12
	v_subrev_u32_e32 v13, 28, v12
	v_bfe_u32 v11, v6, 11, 4
	v_lshlrev_b32_e32 v13, v13, v8
	v_sub_u32_e32 v12, 29, v12
	v_and_b32_e32 v13, 7, v13
	v_cmp_eq_u32_e32 vcc, 0, v11
	v_cndmask_b32_e32 v11, v11, v12, vcc
	v_cndmask_b32_e32 v9, v9, v13, vcc
	v_lshlrev_b32_e32 v8, 24, v8
	v_mov_b32_e32 v12, 0x3b800000
	v_lshlrev_b32_e32 v9, 20, v9
	v_and_b32_e32 v8, 0x80000000, v8
	v_lshl_add_u32 v11, v11, 23, v12
	v_or3_b32 v9, v8, v11, v9
.LBB290_222:
	s_or_b64 exec, exec, s[28:29]
	v_cmp_eq_f32_e64 s[26:27], v10, v9
	s_and_b64 vcc, exec, s[4:5]
	s_cbranch_vccz .LBB290_74
.LBB290_223:
                                        ; implicit-def: $sgpr28_sgpr29
	s_cbranch_execz .LBB290_83
; %bb.224:
	s_movk_i32 s28, 0xff
	v_and_b32_sdwa v9, v7, s28 dst_sel:DWORD dst_unused:UNUSED_PAD src0_sel:WORD_1 src1_sel:DWORD
	s_movk_i32 s28, 0x7f
	v_cmp_lt_i16_e32 vcc, s28, v9
	s_mov_b64 s[28:29], 0
	s_and_saveexec_b64 s[30:31], vcc
	s_xor_b64 s[30:31], exec, s[30:31]
	s_cbranch_execnz .LBB290_501
; %bb.225:
	s_or_saveexec_b64 s[30:31], s[30:31]
	v_mov_b32_e32 v8, 0x7f800001
	s_xor_b64 exec, exec, s[30:31]
	s_cbranch_execnz .LBB290_504
.LBB290_226:
	s_or_b64 exec, exec, s[30:31]
	s_and_saveexec_b64 s[30:31], s[28:29]
	s_cbranch_execz .LBB290_228
.LBB290_227:
	v_bfe_u32 v8, v7, 16, 3
	v_ffbh_u32_e32 v10, v8
	v_min_u32_e32 v10, 32, v10
	v_bfe_u32 v9, v7, 19, 4
	v_subrev_u32_e32 v11, 28, v10
	v_lshlrev_b32_sdwa v11, v11, v7 dst_sel:DWORD dst_unused:UNUSED_PAD src0_sel:DWORD src1_sel:WORD_1
	v_sub_u32_e32 v10, 29, v10
	v_cmp_eq_u32_e32 vcc, 0, v9
	v_and_b32_e32 v11, 7, v11
	v_cndmask_b32_e32 v9, v9, v10, vcc
	v_mov_b32_e32 v10, 24
	v_cndmask_b32_e32 v8, v8, v11, vcc
	v_lshlrev_b32_sdwa v10, v10, v7 dst_sel:DWORD dst_unused:UNUSED_PAD src0_sel:DWORD src1_sel:WORD_1
	v_mov_b32_e32 v11, 0x3b800000
	v_lshlrev_b32_e32 v8, 20, v8
	v_and_b32_e32 v10, 0x80000000, v10
	v_lshl_add_u32 v9, v9, 23, v11
	v_or3_b32 v8, v10, v9, v8
.LBB290_228:
	s_or_b64 exec, exec, s[30:31]
	s_movk_i32 s28, 0xff
	v_and_b32_sdwa v9, v6, s28 dst_sel:DWORD dst_unused:UNUSED_PAD src0_sel:WORD_1 src1_sel:DWORD
	s_movk_i32 s28, 0x7f
	v_cmp_lt_i16_e32 vcc, s28, v9
	s_mov_b64 s[28:29], 0
	s_and_saveexec_b64 s[30:31], vcc
	s_xor_b64 s[30:31], exec, s[30:31]
	s_cbranch_execnz .LBB290_505
; %bb.229:
	s_or_saveexec_b64 s[30:31], s[30:31]
	v_mov_b32_e32 v10, 0x7f800001
	s_xor_b64 exec, exec, s[30:31]
	s_cbranch_execnz .LBB290_508
.LBB290_230:
	s_or_b64 exec, exec, s[30:31]
	s_and_saveexec_b64 s[30:31], s[28:29]
	s_cbranch_execz .LBB290_232
.LBB290_231:
	v_bfe_u32 v9, v6, 16, 3
	v_ffbh_u32_e32 v11, v9
	v_min_u32_e32 v11, 32, v11
	v_bfe_u32 v10, v6, 19, 4
	v_subrev_u32_e32 v12, 28, v11
	v_lshlrev_b32_sdwa v12, v12, v6 dst_sel:DWORD dst_unused:UNUSED_PAD src0_sel:DWORD src1_sel:WORD_1
	v_sub_u32_e32 v11, 29, v11
	v_cmp_eq_u32_e32 vcc, 0, v10
	v_and_b32_e32 v12, 7, v12
	v_cndmask_b32_e32 v10, v10, v11, vcc
	v_mov_b32_e32 v11, 24
	v_cndmask_b32_e32 v9, v9, v12, vcc
	v_lshlrev_b32_sdwa v11, v11, v6 dst_sel:DWORD dst_unused:UNUSED_PAD src0_sel:DWORD src1_sel:WORD_1
	v_mov_b32_e32 v12, 0x3b800000
	v_lshlrev_b32_e32 v9, 20, v9
	v_and_b32_e32 v11, 0x80000000, v11
	v_lshl_add_u32 v10, v10, 23, v12
	v_or3_b32 v10, v11, v10, v9
.LBB290_232:
	s_or_b64 exec, exec, s[30:31]
	v_cmp_eq_f32_e64 s[28:29], v8, v10
	s_and_b64 vcc, exec, s[4:5]
	s_cbranch_vccz .LBB290_84
.LBB290_233:
                                        ; implicit-def: $sgpr30_sgpr31
	s_cbranch_execz .LBB290_93
; %bb.234:
	s_movk_i32 s30, 0x7f
	v_cmp_gt_i16_sdwa s[34:35], v7, s30 src0_sel:BYTE_3 src1_sel:DWORD
	s_mov_b64 s[30:31], 0
	s_and_saveexec_b64 s[36:37], s[34:35]
	s_xor_b64 s[34:35], exec, s[36:37]
	s_cbranch_execnz .LBB290_509
; %bb.235:
	s_or_saveexec_b64 s[34:35], s[34:35]
	v_mov_b32_e32 v8, 0x7f800001
	s_xor_b64 exec, exec, s[34:35]
	s_cbranch_execnz .LBB290_512
.LBB290_236:
	s_or_b64 exec, exec, s[34:35]
	s_and_saveexec_b64 s[34:35], s[30:31]
	s_cbranch_execz .LBB290_238
.LBB290_237:
	v_bfe_u32 v8, v7, 24, 3
	v_ffbh_u32_e32 v10, v8
	v_min_u32_e32 v10, 32, v10
	v_subrev_u32_e32 v11, 28, v10
	v_bfe_u32 v9, v7, 27, 4
	v_lshlrev_b32_sdwa v11, v11, v7 dst_sel:DWORD dst_unused:UNUSED_PAD src0_sel:DWORD src1_sel:BYTE_3
	v_sub_u32_e32 v10, 29, v10
	v_and_b32_e32 v11, 7, v11
	v_cmp_eq_u32_e32 vcc, 0, v9
	v_cndmask_b32_e32 v9, v9, v10, vcc
	v_cndmask_b32_e32 v8, v8, v11, vcc
	v_mov_b32_e32 v10, 0x3b800000
	v_lshlrev_b32_e32 v8, 20, v8
	v_and_b32_e32 v7, 0x80000000, v7
	v_lshl_add_u32 v9, v9, 23, v10
	v_or3_b32 v8, v7, v9, v8
.LBB290_238:
	s_or_b64 exec, exec, s[34:35]
	s_movk_i32 s30, 0x7f
	v_cmp_gt_i16_sdwa s[34:35], v6, s30 src0_sel:BYTE_3 src1_sel:DWORD
	s_mov_b64 s[30:31], 0
	s_and_saveexec_b64 s[36:37], s[34:35]
	s_xor_b64 s[34:35], exec, s[36:37]
	s_cbranch_execnz .LBB290_513
; %bb.239:
	s_or_saveexec_b64 s[34:35], s[34:35]
	v_mov_b32_e32 v7, 0x7f800001
	s_xor_b64 exec, exec, s[34:35]
	s_cbranch_execnz .LBB290_516
.LBB290_240:
	s_or_b64 exec, exec, s[34:35]
	s_and_saveexec_b64 s[34:35], s[30:31]
	s_cbranch_execz .LBB290_242
.LBB290_241:
	v_bfe_u32 v7, v6, 24, 3
	v_ffbh_u32_e32 v10, v7
	v_min_u32_e32 v10, 32, v10
	v_subrev_u32_e32 v11, 28, v10
	v_bfe_u32 v9, v6, 27, 4
	v_lshlrev_b32_sdwa v11, v11, v6 dst_sel:DWORD dst_unused:UNUSED_PAD src0_sel:DWORD src1_sel:BYTE_3
	v_sub_u32_e32 v10, 29, v10
	v_and_b32_e32 v11, 7, v11
	v_cmp_eq_u32_e32 vcc, 0, v9
	v_cndmask_b32_e32 v9, v9, v10, vcc
	v_cndmask_b32_e32 v7, v7, v11, vcc
	v_mov_b32_e32 v10, 0x3b800000
	v_lshlrev_b32_e32 v7, 20, v7
	v_and_b32_e32 v6, 0x80000000, v6
	v_lshl_add_u32 v9, v9, 23, v10
	v_or3_b32 v7, v6, v9, v7
.LBB290_242:
	s_or_b64 exec, exec, s[34:35]
	v_cmp_eq_f32_e64 s[30:31], v8, v7
	s_and_b64 vcc, exec, s[4:5]
	s_cbranch_vccz .LBB290_94
.LBB290_243:
                                        ; implicit-def: $sgpr34_sgpr35
	s_cbranch_execz .LBB290_103
; %bb.244:
	s_movk_i32 s34, 0x7f
	v_cmp_gt_i16_sdwa s[36:37], v5, s34 src0_sel:BYTE_0 src1_sel:DWORD
	s_mov_b64 s[34:35], 0
	s_and_saveexec_b64 s[38:39], s[36:37]
	s_xor_b64 s[36:37], exec, s[38:39]
	s_cbranch_execnz .LBB290_517
; %bb.245:
	s_or_saveexec_b64 s[36:37], s[36:37]
	v_mov_b32_e32 v6, 0x7f800001
	s_xor_b64 exec, exec, s[36:37]
	s_cbranch_execnz .LBB290_520
.LBB290_246:
	s_or_b64 exec, exec, s[36:37]
	s_and_saveexec_b64 s[36:37], s[34:35]
	s_cbranch_execz .LBB290_248
.LBB290_247:
	v_and_b32_e32 v6, 7, v5
	v_ffbh_u32_e32 v8, v6
	v_min_u32_e32 v8, 32, v8
	v_subrev_u32_e32 v9, 28, v8
	v_bfe_u32 v7, v5, 3, 4
	v_lshlrev_b32_e32 v9, v9, v5
	v_sub_u32_e32 v8, 29, v8
	v_and_b32_e32 v9, 7, v9
	v_cmp_eq_u32_e32 vcc, 0, v7
	v_cndmask_b32_e32 v7, v7, v8, vcc
	v_cndmask_b32_e32 v6, v6, v9, vcc
	v_lshlrev_b32_e32 v8, 24, v5
	v_mov_b32_e32 v9, 0x3b800000
	v_lshlrev_b32_e32 v6, 20, v6
	v_and_b32_e32 v8, 0x80000000, v8
	v_lshl_add_u32 v7, v7, 23, v9
	v_or3_b32 v6, v8, v7, v6
.LBB290_248:
	s_or_b64 exec, exec, s[36:37]
	s_movk_i32 s34, 0x7f
	s_waitcnt vmcnt(1)
	v_cmp_gt_i16_sdwa s[36:37], v4, s34 src0_sel:BYTE_0 src1_sel:DWORD
	s_mov_b64 s[34:35], 0
	s_and_saveexec_b64 s[38:39], s[36:37]
	s_xor_b64 s[36:37], exec, s[38:39]
	s_cbranch_execnz .LBB290_521
; %bb.249:
	s_or_saveexec_b64 s[36:37], s[36:37]
	v_mov_b32_e32 v7, 0x7f800001
	s_xor_b64 exec, exec, s[36:37]
	s_cbranch_execnz .LBB290_524
.LBB290_250:
	s_or_b64 exec, exec, s[36:37]
	s_and_saveexec_b64 s[36:37], s[34:35]
	s_cbranch_execz .LBB290_252
.LBB290_251:
	v_and_b32_e32 v7, 7, v4
	v_ffbh_u32_e32 v9, v7
	v_min_u32_e32 v9, 32, v9
	v_subrev_u32_e32 v10, 28, v9
	v_bfe_u32 v8, v4, 3, 4
	v_lshlrev_b32_e32 v10, v10, v4
	v_sub_u32_e32 v9, 29, v9
	v_and_b32_e32 v10, 7, v10
	v_cmp_eq_u32_e32 vcc, 0, v8
	v_cndmask_b32_e32 v8, v8, v9, vcc
	v_cndmask_b32_e32 v7, v7, v10, vcc
	v_lshlrev_b32_e32 v9, 24, v4
	v_mov_b32_e32 v10, 0x3b800000
	v_lshlrev_b32_e32 v7, 20, v7
	v_and_b32_e32 v9, 0x80000000, v9
	v_lshl_add_u32 v8, v8, 23, v10
	v_or3_b32 v7, v9, v8, v7
.LBB290_252:
	s_or_b64 exec, exec, s[36:37]
	v_cmp_eq_f32_e64 s[34:35], v6, v7
	v_lshrrev_b32_e32 v7, 8, v5
	s_and_b64 vcc, exec, s[4:5]
	v_lshrrev_b32_e32 v6, 8, v4
	s_cbranch_vccz .LBB290_104
.LBB290_253:
                                        ; implicit-def: $sgpr36_sgpr37
	s_cbranch_execz .LBB290_113
; %bb.254:
	s_movk_i32 s36, 0x7f
	v_cmp_gt_i16_sdwa s[38:39], v7, s36 src0_sel:BYTE_0 src1_sel:DWORD
	s_mov_b64 s[36:37], 0
	s_and_saveexec_b64 s[40:41], s[38:39]
	s_xor_b64 s[38:39], exec, s[40:41]
	s_cbranch_execnz .LBB290_525
; %bb.255:
	s_or_saveexec_b64 s[38:39], s[38:39]
	v_mov_b32_e32 v8, 0x7f800001
	s_xor_b64 exec, exec, s[38:39]
	s_cbranch_execnz .LBB290_528
.LBB290_256:
	s_or_b64 exec, exec, s[38:39]
	s_and_saveexec_b64 s[38:39], s[36:37]
	s_cbranch_execz .LBB290_258
.LBB290_257:
	v_bfe_u32 v8, v5, 8, 3
	v_ffbh_u32_e32 v10, v8
	v_min_u32_e32 v10, 32, v10
	v_subrev_u32_e32 v11, 28, v10
	v_bfe_u32 v9, v5, 11, 4
	v_lshlrev_b32_e32 v11, v11, v7
	v_sub_u32_e32 v10, 29, v10
	v_and_b32_e32 v11, 7, v11
	v_cmp_eq_u32_e32 vcc, 0, v9
	v_cndmask_b32_e32 v9, v9, v10, vcc
	v_cndmask_b32_e32 v8, v8, v11, vcc
	v_lshlrev_b32_e32 v7, 24, v7
	v_mov_b32_e32 v10, 0x3b800000
	v_lshlrev_b32_e32 v8, 20, v8
	v_and_b32_e32 v7, 0x80000000, v7
	v_lshl_add_u32 v9, v9, 23, v10
	v_or3_b32 v8, v7, v9, v8
.LBB290_258:
	s_or_b64 exec, exec, s[38:39]
	s_movk_i32 s36, 0x7f
	v_cmp_gt_i16_sdwa s[38:39], v6, s36 src0_sel:BYTE_0 src1_sel:DWORD
	s_mov_b64 s[36:37], 0
	s_and_saveexec_b64 s[40:41], s[38:39]
	s_xor_b64 s[38:39], exec, s[40:41]
	s_cbranch_execnz .LBB290_529
; %bb.259:
	s_or_saveexec_b64 s[38:39], s[38:39]
	v_mov_b32_e32 v7, 0x7f800001
	s_xor_b64 exec, exec, s[38:39]
	s_cbranch_execnz .LBB290_532
.LBB290_260:
	s_or_b64 exec, exec, s[38:39]
	s_and_saveexec_b64 s[38:39], s[36:37]
	s_cbranch_execz .LBB290_262
.LBB290_261:
	v_bfe_u32 v7, v4, 8, 3
	v_ffbh_u32_e32 v10, v7
	v_min_u32_e32 v10, 32, v10
	v_subrev_u32_e32 v11, 28, v10
	v_bfe_u32 v9, v4, 11, 4
	v_lshlrev_b32_e32 v11, v11, v6
	v_sub_u32_e32 v10, 29, v10
	v_and_b32_e32 v11, 7, v11
	v_cmp_eq_u32_e32 vcc, 0, v9
	v_cndmask_b32_e32 v9, v9, v10, vcc
	v_cndmask_b32_e32 v7, v7, v11, vcc
	v_lshlrev_b32_e32 v6, 24, v6
	v_mov_b32_e32 v10, 0x3b800000
	v_lshlrev_b32_e32 v7, 20, v7
	v_and_b32_e32 v6, 0x80000000, v6
	v_lshl_add_u32 v9, v9, 23, v10
	v_or3_b32 v7, v6, v9, v7
.LBB290_262:
	s_or_b64 exec, exec, s[38:39]
	v_cmp_eq_f32_e64 s[36:37], v8, v7
	s_and_b64 vcc, exec, s[4:5]
	s_cbranch_vccz .LBB290_114
.LBB290_263:
                                        ; implicit-def: $sgpr38_sgpr39
	s_cbranch_execz .LBB290_123
; %bb.264:
	s_movk_i32 s38, 0xff
	v_and_b32_sdwa v7, v5, s38 dst_sel:DWORD dst_unused:UNUSED_PAD src0_sel:WORD_1 src1_sel:DWORD
	s_movk_i32 s38, 0x7f
	v_cmp_lt_i16_e32 vcc, s38, v7
	s_mov_b64 s[38:39], 0
	s_and_saveexec_b64 s[40:41], vcc
	s_xor_b64 s[40:41], exec, s[40:41]
	s_cbranch_execnz .LBB290_533
; %bb.265:
	s_or_saveexec_b64 s[40:41], s[40:41]
	v_mov_b32_e32 v6, 0x7f800001
	s_xor_b64 exec, exec, s[40:41]
	s_cbranch_execnz .LBB290_536
.LBB290_266:
	s_or_b64 exec, exec, s[40:41]
	s_and_saveexec_b64 s[40:41], s[38:39]
	s_cbranch_execz .LBB290_268
.LBB290_267:
	v_bfe_u32 v6, v5, 16, 3
	v_ffbh_u32_e32 v8, v6
	v_min_u32_e32 v8, 32, v8
	v_bfe_u32 v7, v5, 19, 4
	v_subrev_u32_e32 v9, 28, v8
	v_lshlrev_b32_sdwa v9, v9, v5 dst_sel:DWORD dst_unused:UNUSED_PAD src0_sel:DWORD src1_sel:WORD_1
	v_sub_u32_e32 v8, 29, v8
	v_cmp_eq_u32_e32 vcc, 0, v7
	v_and_b32_e32 v9, 7, v9
	v_cndmask_b32_e32 v7, v7, v8, vcc
	v_mov_b32_e32 v8, 24
	v_cndmask_b32_e32 v6, v6, v9, vcc
	v_lshlrev_b32_sdwa v8, v8, v5 dst_sel:DWORD dst_unused:UNUSED_PAD src0_sel:DWORD src1_sel:WORD_1
	v_mov_b32_e32 v9, 0x3b800000
	v_lshlrev_b32_e32 v6, 20, v6
	v_and_b32_e32 v8, 0x80000000, v8
	v_lshl_add_u32 v7, v7, 23, v9
	v_or3_b32 v6, v8, v7, v6
.LBB290_268:
	s_or_b64 exec, exec, s[40:41]
	s_movk_i32 s38, 0xff
	v_and_b32_sdwa v7, v4, s38 dst_sel:DWORD dst_unused:UNUSED_PAD src0_sel:WORD_1 src1_sel:DWORD
	s_movk_i32 s38, 0x7f
	v_cmp_lt_i16_e32 vcc, s38, v7
	s_mov_b64 s[38:39], 0
	s_and_saveexec_b64 s[40:41], vcc
	s_xor_b64 s[40:41], exec, s[40:41]
	s_cbranch_execnz .LBB290_537
; %bb.269:
	s_or_saveexec_b64 s[40:41], s[40:41]
	v_mov_b32_e32 v8, 0x7f800001
	s_xor_b64 exec, exec, s[40:41]
	s_cbranch_execnz .LBB290_540
.LBB290_270:
	s_or_b64 exec, exec, s[40:41]
	s_and_saveexec_b64 s[40:41], s[38:39]
	s_cbranch_execz .LBB290_272
.LBB290_271:
	v_bfe_u32 v7, v4, 16, 3
	v_ffbh_u32_e32 v9, v7
	v_min_u32_e32 v9, 32, v9
	v_bfe_u32 v8, v4, 19, 4
	v_subrev_u32_e32 v10, 28, v9
	v_lshlrev_b32_sdwa v10, v10, v4 dst_sel:DWORD dst_unused:UNUSED_PAD src0_sel:DWORD src1_sel:WORD_1
	v_sub_u32_e32 v9, 29, v9
	v_cmp_eq_u32_e32 vcc, 0, v8
	v_and_b32_e32 v10, 7, v10
	v_cndmask_b32_e32 v8, v8, v9, vcc
	v_mov_b32_e32 v9, 24
	v_cndmask_b32_e32 v7, v7, v10, vcc
	v_lshlrev_b32_sdwa v9, v9, v4 dst_sel:DWORD dst_unused:UNUSED_PAD src0_sel:DWORD src1_sel:WORD_1
	v_mov_b32_e32 v10, 0x3b800000
	v_lshlrev_b32_e32 v7, 20, v7
	v_and_b32_e32 v9, 0x80000000, v9
	v_lshl_add_u32 v8, v8, 23, v10
	v_or3_b32 v8, v9, v8, v7
.LBB290_272:
	s_or_b64 exec, exec, s[40:41]
	v_cmp_eq_f32_e64 s[38:39], v6, v8
	s_and_b64 vcc, exec, s[4:5]
	s_cbranch_vccz .LBB290_124
.LBB290_273:
                                        ; implicit-def: $sgpr40_sgpr41
	s_cbranch_execz .LBB290_133
; %bb.274:
	s_movk_i32 s40, 0x7f
	v_cmp_gt_i16_sdwa s[42:43], v5, s40 src0_sel:BYTE_3 src1_sel:DWORD
	s_mov_b64 s[40:41], 0
	s_and_saveexec_b64 s[44:45], s[42:43]
	s_xor_b64 s[42:43], exec, s[44:45]
	s_cbranch_execnz .LBB290_541
; %bb.275:
	s_or_saveexec_b64 s[42:43], s[42:43]
	v_mov_b32_e32 v6, 0x7f800001
	s_xor_b64 exec, exec, s[42:43]
	s_cbranch_execnz .LBB290_544
.LBB290_276:
	s_or_b64 exec, exec, s[42:43]
	s_and_saveexec_b64 s[42:43], s[40:41]
	s_cbranch_execz .LBB290_278
.LBB290_277:
	v_bfe_u32 v6, v5, 24, 3
	v_ffbh_u32_e32 v8, v6
	v_min_u32_e32 v8, 32, v8
	v_subrev_u32_e32 v9, 28, v8
	v_bfe_u32 v7, v5, 27, 4
	v_lshlrev_b32_sdwa v9, v9, v5 dst_sel:DWORD dst_unused:UNUSED_PAD src0_sel:DWORD src1_sel:BYTE_3
	v_sub_u32_e32 v8, 29, v8
	v_and_b32_e32 v9, 7, v9
	v_cmp_eq_u32_e32 vcc, 0, v7
	v_cndmask_b32_e32 v7, v7, v8, vcc
	v_cndmask_b32_e32 v6, v6, v9, vcc
	v_mov_b32_e32 v8, 0x3b800000
	v_lshlrev_b32_e32 v6, 20, v6
	v_and_b32_e32 v5, 0x80000000, v5
	v_lshl_add_u32 v7, v7, 23, v8
	v_or3_b32 v6, v5, v7, v6
.LBB290_278:
	s_or_b64 exec, exec, s[42:43]
	s_movk_i32 s40, 0x7f
	v_cmp_gt_i16_sdwa s[42:43], v4, s40 src0_sel:BYTE_3 src1_sel:DWORD
	s_mov_b64 s[40:41], 0
	s_and_saveexec_b64 s[44:45], s[42:43]
	s_xor_b64 s[42:43], exec, s[44:45]
	s_cbranch_execnz .LBB290_545
; %bb.279:
	s_or_saveexec_b64 s[42:43], s[42:43]
	v_mov_b32_e32 v5, 0x7f800001
	s_xor_b64 exec, exec, s[42:43]
	s_cbranch_execnz .LBB290_548
.LBB290_280:
	s_or_b64 exec, exec, s[42:43]
	s_and_saveexec_b64 s[42:43], s[40:41]
	s_cbranch_execz .LBB290_282
.LBB290_281:
	v_bfe_u32 v5, v4, 24, 3
	v_ffbh_u32_e32 v8, v5
	v_min_u32_e32 v8, 32, v8
	v_subrev_u32_e32 v9, 28, v8
	v_bfe_u32 v7, v4, 27, 4
	v_lshlrev_b32_sdwa v9, v9, v4 dst_sel:DWORD dst_unused:UNUSED_PAD src0_sel:DWORD src1_sel:BYTE_3
	v_sub_u32_e32 v8, 29, v8
	v_and_b32_e32 v9, 7, v9
	v_cmp_eq_u32_e32 vcc, 0, v7
	v_cndmask_b32_e32 v7, v7, v8, vcc
	v_cndmask_b32_e32 v5, v5, v9, vcc
	v_mov_b32_e32 v8, 0x3b800000
	v_lshlrev_b32_e32 v5, 20, v5
	v_and_b32_e32 v4, 0x80000000, v4
	v_lshl_add_u32 v7, v7, 23, v8
	v_or3_b32 v5, v4, v7, v5
.LBB290_282:
	s_or_b64 exec, exec, s[42:43]
	v_cmp_eq_f32_e64 s[40:41], v6, v5
	s_and_b64 vcc, exec, s[4:5]
	s_cbranch_vccz .LBB290_134
.LBB290_283:
                                        ; implicit-def: $sgpr42_sgpr43
	s_cbranch_execz .LBB290_143
; %bb.284:
	s_movk_i32 s42, 0x7f
	v_cmp_gt_i16_sdwa s[44:45], v3, s42 src0_sel:BYTE_0 src1_sel:DWORD
	s_mov_b64 s[42:43], 0
	s_and_saveexec_b64 s[46:47], s[44:45]
	s_xor_b64 s[44:45], exec, s[46:47]
	s_cbranch_execnz .LBB290_549
; %bb.285:
	s_or_saveexec_b64 s[44:45], s[44:45]
	v_mov_b32_e32 v4, 0x7f800001
	s_xor_b64 exec, exec, s[44:45]
	s_cbranch_execnz .LBB290_552
.LBB290_286:
	s_or_b64 exec, exec, s[44:45]
	s_and_saveexec_b64 s[44:45], s[42:43]
	s_cbranch_execz .LBB290_288
.LBB290_287:
	v_and_b32_e32 v4, 7, v3
	v_ffbh_u32_e32 v6, v4
	v_min_u32_e32 v6, 32, v6
	v_subrev_u32_e32 v7, 28, v6
	v_bfe_u32 v5, v3, 3, 4
	v_lshlrev_b32_e32 v7, v7, v3
	v_sub_u32_e32 v6, 29, v6
	v_and_b32_e32 v7, 7, v7
	v_cmp_eq_u32_e32 vcc, 0, v5
	v_cndmask_b32_e32 v5, v5, v6, vcc
	v_cndmask_b32_e32 v4, v4, v7, vcc
	v_lshlrev_b32_e32 v6, 24, v3
	v_mov_b32_e32 v7, 0x3b800000
	v_lshlrev_b32_e32 v4, 20, v4
	v_and_b32_e32 v6, 0x80000000, v6
	v_lshl_add_u32 v5, v5, 23, v7
	v_or3_b32 v4, v6, v5, v4
.LBB290_288:
	s_or_b64 exec, exec, s[44:45]
	s_movk_i32 s42, 0x7f
	s_waitcnt vmcnt(0)
	v_cmp_gt_i16_sdwa s[44:45], v2, s42 src0_sel:BYTE_0 src1_sel:DWORD
	s_mov_b64 s[42:43], 0
	s_and_saveexec_b64 s[46:47], s[44:45]
	s_xor_b64 s[44:45], exec, s[46:47]
	s_cbranch_execnz .LBB290_553
; %bb.289:
	s_or_saveexec_b64 s[44:45], s[44:45]
	v_mov_b32_e32 v5, 0x7f800001
	s_xor_b64 exec, exec, s[44:45]
	s_cbranch_execnz .LBB290_556
.LBB290_290:
	s_or_b64 exec, exec, s[44:45]
	s_and_saveexec_b64 s[44:45], s[42:43]
	s_cbranch_execz .LBB290_292
.LBB290_291:
	v_and_b32_e32 v5, 7, v2
	v_ffbh_u32_e32 v7, v5
	v_min_u32_e32 v7, 32, v7
	v_subrev_u32_e32 v8, 28, v7
	v_bfe_u32 v6, v2, 3, 4
	v_lshlrev_b32_e32 v8, v8, v2
	v_sub_u32_e32 v7, 29, v7
	v_and_b32_e32 v8, 7, v8
	v_cmp_eq_u32_e32 vcc, 0, v6
	v_cndmask_b32_e32 v6, v6, v7, vcc
	v_cndmask_b32_e32 v5, v5, v8, vcc
	v_lshlrev_b32_e32 v7, 24, v2
	v_mov_b32_e32 v8, 0x3b800000
	v_lshlrev_b32_e32 v5, 20, v5
	v_and_b32_e32 v7, 0x80000000, v7
	v_lshl_add_u32 v6, v6, 23, v8
	v_or3_b32 v5, v7, v6, v5
.LBB290_292:
	s_or_b64 exec, exec, s[44:45]
	v_cmp_eq_f32_e64 s[42:43], v4, v5
	v_lshrrev_b32_e32 v5, 8, v3
	s_and_b64 vcc, exec, s[4:5]
	v_lshrrev_b32_e32 v4, 8, v2
	s_cbranch_vccz .LBB290_144
.LBB290_293:
                                        ; implicit-def: $sgpr44_sgpr45
	s_cbranch_execz .LBB290_153
; %bb.294:
	s_movk_i32 s44, 0x7f
	v_cmp_gt_i16_sdwa s[46:47], v5, s44 src0_sel:BYTE_0 src1_sel:DWORD
	s_mov_b64 s[44:45], 0
	s_and_saveexec_b64 s[48:49], s[46:47]
	s_xor_b64 s[46:47], exec, s[48:49]
	s_cbranch_execnz .LBB290_557
; %bb.295:
	s_or_saveexec_b64 s[46:47], s[46:47]
	v_mov_b32_e32 v6, 0x7f800001
	s_xor_b64 exec, exec, s[46:47]
	s_cbranch_execnz .LBB290_560
.LBB290_296:
	s_or_b64 exec, exec, s[46:47]
	s_and_saveexec_b64 s[46:47], s[44:45]
	s_cbranch_execz .LBB290_298
.LBB290_297:
	v_bfe_u32 v6, v3, 8, 3
	v_ffbh_u32_e32 v8, v6
	v_min_u32_e32 v8, 32, v8
	v_subrev_u32_e32 v9, 28, v8
	v_bfe_u32 v7, v3, 11, 4
	v_lshlrev_b32_e32 v9, v9, v5
	v_sub_u32_e32 v8, 29, v8
	v_and_b32_e32 v9, 7, v9
	v_cmp_eq_u32_e32 vcc, 0, v7
	v_cndmask_b32_e32 v7, v7, v8, vcc
	v_cndmask_b32_e32 v6, v6, v9, vcc
	v_lshlrev_b32_e32 v5, 24, v5
	v_mov_b32_e32 v8, 0x3b800000
	v_lshlrev_b32_e32 v6, 20, v6
	v_and_b32_e32 v5, 0x80000000, v5
	v_lshl_add_u32 v7, v7, 23, v8
	v_or3_b32 v6, v5, v7, v6
.LBB290_298:
	s_or_b64 exec, exec, s[46:47]
	s_movk_i32 s44, 0x7f
	v_cmp_gt_i16_sdwa s[46:47], v4, s44 src0_sel:BYTE_0 src1_sel:DWORD
	s_mov_b64 s[44:45], 0
	s_and_saveexec_b64 s[48:49], s[46:47]
	s_xor_b64 s[46:47], exec, s[48:49]
	s_cbranch_execnz .LBB290_561
; %bb.299:
	s_or_saveexec_b64 s[46:47], s[46:47]
	v_mov_b32_e32 v5, 0x7f800001
	s_xor_b64 exec, exec, s[46:47]
	s_cbranch_execnz .LBB290_564
.LBB290_300:
	s_or_b64 exec, exec, s[46:47]
	s_and_saveexec_b64 s[46:47], s[44:45]
	s_cbranch_execz .LBB290_302
.LBB290_301:
	v_bfe_u32 v5, v2, 8, 3
	v_ffbh_u32_e32 v8, v5
	v_min_u32_e32 v8, 32, v8
	v_subrev_u32_e32 v9, 28, v8
	v_bfe_u32 v7, v2, 11, 4
	v_lshlrev_b32_e32 v9, v9, v4
	v_sub_u32_e32 v8, 29, v8
	v_and_b32_e32 v9, 7, v9
	v_cmp_eq_u32_e32 vcc, 0, v7
	v_cndmask_b32_e32 v7, v7, v8, vcc
	v_cndmask_b32_e32 v5, v5, v9, vcc
	v_lshlrev_b32_e32 v4, 24, v4
	v_mov_b32_e32 v8, 0x3b800000
	v_lshlrev_b32_e32 v5, 20, v5
	v_and_b32_e32 v4, 0x80000000, v4
	v_lshl_add_u32 v7, v7, 23, v8
	v_or3_b32 v5, v4, v7, v5
.LBB290_302:
	s_or_b64 exec, exec, s[46:47]
	v_cmp_eq_f32_e64 s[44:45], v6, v5
	s_and_b64 vcc, exec, s[4:5]
	s_cbranch_vccz .LBB290_154
.LBB290_303:
                                        ; implicit-def: $sgpr46_sgpr47
	s_cbranch_execz .LBB290_163
; %bb.304:
	s_movk_i32 s46, 0xff
	v_and_b32_sdwa v5, v3, s46 dst_sel:DWORD dst_unused:UNUSED_PAD src0_sel:WORD_1 src1_sel:DWORD
	s_movk_i32 s46, 0x7f
	v_cmp_lt_i16_e32 vcc, s46, v5
	s_mov_b64 s[46:47], 0
	s_and_saveexec_b64 s[48:49], vcc
	s_xor_b64 s[48:49], exec, s[48:49]
	s_cbranch_execnz .LBB290_565
; %bb.305:
	s_or_saveexec_b64 s[48:49], s[48:49]
	v_mov_b32_e32 v4, 0x7f800001
	s_xor_b64 exec, exec, s[48:49]
	s_cbranch_execnz .LBB290_568
.LBB290_306:
	s_or_b64 exec, exec, s[48:49]
	s_and_saveexec_b64 s[48:49], s[46:47]
	s_cbranch_execz .LBB290_308
.LBB290_307:
	v_bfe_u32 v4, v3, 16, 3
	v_ffbh_u32_e32 v6, v4
	v_min_u32_e32 v6, 32, v6
	v_bfe_u32 v5, v3, 19, 4
	v_subrev_u32_e32 v7, 28, v6
	v_lshlrev_b32_sdwa v7, v7, v3 dst_sel:DWORD dst_unused:UNUSED_PAD src0_sel:DWORD src1_sel:WORD_1
	v_sub_u32_e32 v6, 29, v6
	v_cmp_eq_u32_e32 vcc, 0, v5
	v_and_b32_e32 v7, 7, v7
	v_cndmask_b32_e32 v5, v5, v6, vcc
	v_mov_b32_e32 v6, 24
	v_cndmask_b32_e32 v4, v4, v7, vcc
	v_lshlrev_b32_sdwa v6, v6, v3 dst_sel:DWORD dst_unused:UNUSED_PAD src0_sel:DWORD src1_sel:WORD_1
	v_mov_b32_e32 v7, 0x3b800000
	v_lshlrev_b32_e32 v4, 20, v4
	v_and_b32_e32 v6, 0x80000000, v6
	v_lshl_add_u32 v5, v5, 23, v7
	v_or3_b32 v4, v6, v5, v4
.LBB290_308:
	s_or_b64 exec, exec, s[48:49]
	s_movk_i32 s46, 0xff
	v_and_b32_sdwa v5, v2, s46 dst_sel:DWORD dst_unused:UNUSED_PAD src0_sel:WORD_1 src1_sel:DWORD
	s_movk_i32 s46, 0x7f
	v_cmp_lt_i16_e32 vcc, s46, v5
	s_mov_b64 s[46:47], 0
	s_and_saveexec_b64 s[48:49], vcc
	s_xor_b64 s[48:49], exec, s[48:49]
	s_cbranch_execnz .LBB290_569
; %bb.309:
	s_or_saveexec_b64 s[48:49], s[48:49]
	v_mov_b32_e32 v6, 0x7f800001
	s_xor_b64 exec, exec, s[48:49]
	s_cbranch_execnz .LBB290_572
.LBB290_310:
	s_or_b64 exec, exec, s[48:49]
	s_and_saveexec_b64 s[48:49], s[46:47]
	s_cbranch_execz .LBB290_312
.LBB290_311:
	v_bfe_u32 v5, v2, 16, 3
	v_ffbh_u32_e32 v7, v5
	v_min_u32_e32 v7, 32, v7
	v_bfe_u32 v6, v2, 19, 4
	v_subrev_u32_e32 v8, 28, v7
	v_lshlrev_b32_sdwa v8, v8, v2 dst_sel:DWORD dst_unused:UNUSED_PAD src0_sel:DWORD src1_sel:WORD_1
	v_sub_u32_e32 v7, 29, v7
	v_cmp_eq_u32_e32 vcc, 0, v6
	v_and_b32_e32 v8, 7, v8
	v_cndmask_b32_e32 v6, v6, v7, vcc
	v_mov_b32_e32 v7, 24
	v_cndmask_b32_e32 v5, v5, v8, vcc
	v_lshlrev_b32_sdwa v7, v7, v2 dst_sel:DWORD dst_unused:UNUSED_PAD src0_sel:DWORD src1_sel:WORD_1
	v_mov_b32_e32 v8, 0x3b800000
	v_lshlrev_b32_e32 v5, 20, v5
	v_and_b32_e32 v7, 0x80000000, v7
	v_lshl_add_u32 v6, v6, 23, v8
	v_or3_b32 v6, v7, v6, v5
.LBB290_312:
	s_or_b64 exec, exec, s[48:49]
	v_cmp_eq_f32_e64 s[46:47], v4, v6
	s_and_b64 vcc, exec, s[4:5]
	s_cbranch_vccz .LBB290_164
.LBB290_313:
                                        ; implicit-def: $sgpr4_sgpr5
	s_cbranch_execz .LBB290_323
; %bb.314:
	s_movk_i32 s4, 0x7f
	v_cmp_gt_i16_sdwa s[48:49], v3, s4 src0_sel:BYTE_3 src1_sel:DWORD
	s_mov_b64 s[4:5], 0
	s_and_saveexec_b64 s[50:51], s[48:49]
	s_xor_b64 s[48:49], exec, s[50:51]
	s_cbranch_execnz .LBB290_573
; %bb.315:
	s_or_saveexec_b64 s[48:49], s[48:49]
	v_mov_b32_e32 v4, 0x7f800001
	s_xor_b64 exec, exec, s[48:49]
	s_cbranch_execnz .LBB290_576
.LBB290_316:
	s_or_b64 exec, exec, s[48:49]
	s_and_saveexec_b64 s[48:49], s[4:5]
	s_cbranch_execz .LBB290_318
.LBB290_317:
	v_bfe_u32 v4, v3, 24, 3
	v_ffbh_u32_e32 v6, v4
	v_min_u32_e32 v6, 32, v6
	v_subrev_u32_e32 v7, 28, v6
	v_bfe_u32 v5, v3, 27, 4
	v_lshlrev_b32_sdwa v7, v7, v3 dst_sel:DWORD dst_unused:UNUSED_PAD src0_sel:DWORD src1_sel:BYTE_3
	v_sub_u32_e32 v6, 29, v6
	v_and_b32_e32 v7, 7, v7
	v_cmp_eq_u32_e32 vcc, 0, v5
	v_cndmask_b32_e32 v5, v5, v6, vcc
	v_cndmask_b32_e32 v4, v4, v7, vcc
	v_mov_b32_e32 v6, 0x3b800000
	v_lshlrev_b32_e32 v4, 20, v4
	v_and_b32_e32 v3, 0x80000000, v3
	v_lshl_add_u32 v5, v5, 23, v6
	v_or3_b32 v4, v3, v5, v4
.LBB290_318:
	s_or_b64 exec, exec, s[48:49]
	s_movk_i32 s4, 0x7f
	v_cmp_gt_i16_sdwa s[48:49], v2, s4 src0_sel:BYTE_3 src1_sel:DWORD
	s_mov_b64 s[4:5], 0
	s_and_saveexec_b64 s[50:51], s[48:49]
	s_xor_b64 s[48:49], exec, s[50:51]
	s_cbranch_execnz .LBB290_577
; %bb.319:
	s_or_saveexec_b64 s[48:49], s[48:49]
	v_mov_b32_e32 v3, 0x7f800001
	s_xor_b64 exec, exec, s[48:49]
	s_cbranch_execnz .LBB290_580
.LBB290_320:
	s_or_b64 exec, exec, s[48:49]
	s_and_saveexec_b64 s[48:49], s[4:5]
	s_cbranch_execz .LBB290_322
.LBB290_321:
	v_bfe_u32 v3, v2, 24, 3
	v_ffbh_u32_e32 v6, v3
	v_min_u32_e32 v6, 32, v6
	v_subrev_u32_e32 v7, 28, v6
	v_bfe_u32 v5, v2, 27, 4
	v_lshlrev_b32_sdwa v7, v7, v2 dst_sel:DWORD dst_unused:UNUSED_PAD src0_sel:DWORD src1_sel:BYTE_3
	v_sub_u32_e32 v6, 29, v6
	v_and_b32_e32 v7, 7, v7
	v_cmp_eq_u32_e32 vcc, 0, v5
	v_cndmask_b32_e32 v5, v5, v6, vcc
	v_cndmask_b32_e32 v3, v3, v7, vcc
	v_mov_b32_e32 v6, 0x3b800000
	v_lshlrev_b32_e32 v3, 20, v3
	v_and_b32_e32 v2, 0x80000000, v2
	v_lshl_add_u32 v5, v5, 23, v6
	v_or3_b32 v3, v2, v5, v3
.LBB290_322:
	s_or_b64 exec, exec, s[48:49]
	v_cmp_eq_f32_e64 s[4:5], v4, v3
.LBB290_323:
	v_cndmask_b32_e64 v2, 0, 1, s[18:19]
	v_lshlrev_b16_e32 v2, 8, v2
	v_cndmask_b32_e64 v3, 0, 1, s[16:17]
	v_or_b32_e32 v2, v3, v2
	v_cndmask_b32_e64 v3, 0, 1, s[22:23]
	v_lshlrev_b16_e32 v3, 8, v3
	v_cndmask_b32_e64 v4, 0, 1, s[20:21]
	v_or_b32_sdwa v3, v4, v3 dst_sel:WORD_1 dst_unused:UNUSED_PAD src0_sel:DWORD src1_sel:DWORD
	v_or_b32_sdwa v2, v2, v3 dst_sel:DWORD dst_unused:UNUSED_PAD src0_sel:WORD_0 src1_sel:DWORD
	v_cndmask_b32_e64 v3, 0, 1, s[26:27]
	v_lshlrev_b16_e32 v3, 8, v3
	v_cndmask_b32_e64 v4, 0, 1, s[24:25]
	v_or_b32_e32 v3, v4, v3
	v_cndmask_b32_e64 v4, 0, 1, s[30:31]
	v_lshlrev_b16_e32 v4, 8, v4
	v_cndmask_b32_e64 v5, 0, 1, s[28:29]
	v_or_b32_sdwa v4, v5, v4 dst_sel:WORD_1 dst_unused:UNUSED_PAD src0_sel:DWORD src1_sel:DWORD
	v_or_b32_sdwa v3, v3, v4 dst_sel:DWORD dst_unused:UNUSED_PAD src0_sel:WORD_0 src1_sel:DWORD
	;; [unrolled: 9-line block ×3, first 2 shown]
	v_cndmask_b32_e64 v5, 0, 1, s[44:45]
	v_lshlrev_b16_e32 v5, 8, v5
	v_cndmask_b32_e64 v6, 0, 1, s[42:43]
	v_or_b32_e32 v5, v6, v5
	v_cndmask_b32_e64 v6, 0, 1, s[4:5]
	v_lshlrev_b16_e32 v6, 8, v6
	v_cndmask_b32_e64 v7, 0, 1, s[46:47]
	s_add_u32 s4, s8, s33
	v_or_b32_sdwa v6, v7, v6 dst_sel:WORD_1 dst_unused:UNUSED_PAD src0_sel:DWORD src1_sel:DWORD
	s_addc_u32 s5, s9, s12
	v_or_b32_sdwa v5, v5, v6 dst_sel:DWORD dst_unused:UNUSED_PAD src0_sel:WORD_0 src1_sel:DWORD
	global_store_dword v1, v2, s[4:5]
	global_store_dword v1, v3, s[4:5] offset:1024
	global_store_dword v1, v4, s[4:5] offset:2048
	;; [unrolled: 1-line block ×3, first 2 shown]
	s_branch .LBB290_2
.LBB290_324:
	s_getpc_b64 s[4:5]
	s_add_u32 s4, s4, _ZN2at6native25elementwise_kernel_helperILb0ENS0_13BinaryFunctorIN3c1015Float8_e4m3fnuzES4_bNS0_12_GLOBAL__N_116CompareEqFunctorIS4_EEEENS0_6memory8policies11unroll_baseILi256ESt5arrayIPcLm3EE23TrivialOffsetCalculatorILi2EjESF_ILi1EjENS9_15LoadWithoutCastENS9_16StoreWithoutCastELi16ELi1EEEEEvT0_T1_@rel32@lo+4
	s_addc_u32 s5, s5, _ZN2at6native25elementwise_kernel_helperILb0ENS0_13BinaryFunctorIN3c1015Float8_e4m3fnuzES4_bNS0_12_GLOBAL__N_116CompareEqFunctorIS4_EEEENS0_6memory8policies11unroll_baseILi256ESt5arrayIPcLm3EE23TrivialOffsetCalculatorILi2EjESF_ILi1EjENS9_15LoadWithoutCastENS9_16StoreWithoutCastELi16ELi1EEEEEvT0_T1_@rel32@hi+12
	s_mov_b32 s12, s6
	v_mov_b32_e32 v31, v0
	v_mov_b32_e32 v0, s13
	;; [unrolled: 1-line block ×9, first 2 shown]
	s_swappc_b64 s[30:31], s[4:5]
	s_endpgm
.LBB290_325:
	s_movk_i32 s4, 0x80
	v_cmp_eq_u16_sdwa s[22:23], v9, s4 src0_sel:BYTE_0 src1_sel:DWORD
	s_mov_b64 s[4:5], -1
	s_and_saveexec_b64 s[20:21], s[22:23]
; %bb.326:
	s_xor_b64 s[4:5], exec, -1
; %bb.327:
	s_or_b64 exec, exec, s[20:21]
	s_and_b64 s[4:5], s[4:5], exec
	s_or_saveexec_b64 s[16:17], s[16:17]
	v_mov_b32_e32 v10, 0x7f800001
	s_xor_b64 exec, exec, s[16:17]
	s_cbranch_execz .LBB290_6
.LBB290_328:
	v_mov_b32_e32 v10, 0
	v_cmp_ne_u16_sdwa s[20:21], v9, v10 src0_sel:BYTE_0 src1_sel:DWORD
	s_andn2_b64 s[4:5], s[4:5], exec
	s_and_b64 s[20:21], s[20:21], exec
	s_or_b64 s[4:5], s[4:5], s[20:21]
	s_or_b64 exec, exec, s[16:17]
	s_and_saveexec_b64 s[16:17], s[4:5]
	s_cbranch_execnz .LBB290_7
	s_branch .LBB290_8
.LBB290_329:
	s_movk_i32 s4, 0x80
	v_cmp_eq_u16_sdwa s[22:23], v8, s4 src0_sel:BYTE_0 src1_sel:DWORD
	s_mov_b64 s[4:5], -1
	s_and_saveexec_b64 s[20:21], s[22:23]
; %bb.330:
	s_xor_b64 s[4:5], exec, -1
; %bb.331:
	s_or_b64 exec, exec, s[20:21]
	s_and_b64 s[4:5], s[4:5], exec
	s_or_saveexec_b64 s[16:17], s[16:17]
	v_mov_b32_e32 v11, 0x7f800001
	s_xor_b64 exec, exec, s[16:17]
	s_cbranch_execz .LBB290_10
.LBB290_332:
	v_mov_b32_e32 v11, 0
	v_cmp_ne_u16_sdwa s[20:21], v8, v11 src0_sel:BYTE_0 src1_sel:DWORD
	s_andn2_b64 s[4:5], s[4:5], exec
	s_and_b64 s[20:21], s[20:21], exec
	s_or_b64 s[4:5], s[4:5], s[20:21]
	s_or_b64 exec, exec, s[16:17]
	s_and_saveexec_b64 s[16:17], s[4:5]
	s_cbranch_execnz .LBB290_11
	s_branch .LBB290_12
.LBB290_333:
	s_movk_i32 s18, 0x80
	v_cmp_eq_u16_sdwa s[24:25], v11, s18 src0_sel:BYTE_0 src1_sel:DWORD
	s_mov_b64 s[18:19], -1
	s_and_saveexec_b64 s[22:23], s[24:25]
; %bb.334:
	s_xor_b64 s[18:19], exec, -1
; %bb.335:
	s_or_b64 exec, exec, s[22:23]
	s_and_b64 s[18:19], s[18:19], exec
	s_or_saveexec_b64 s[20:21], s[20:21]
	v_mov_b32_e32 v12, 0x7f800001
	s_xor_b64 exec, exec, s[20:21]
	s_cbranch_execz .LBB290_26
.LBB290_336:
	v_mov_b32_e32 v12, 0
	v_cmp_ne_u16_sdwa s[22:23], v11, v12 src0_sel:BYTE_0 src1_sel:DWORD
	s_andn2_b64 s[18:19], s[18:19], exec
	s_and_b64 s[22:23], s[22:23], exec
	s_or_b64 s[18:19], s[18:19], s[22:23]
	s_or_b64 exec, exec, s[20:21]
	s_and_saveexec_b64 s[20:21], s[18:19]
	s_cbranch_execnz .LBB290_27
	s_branch .LBB290_28
.LBB290_337:
	s_movk_i32 s18, 0x80
	v_cmp_eq_u16_sdwa s[24:25], v10, s18 src0_sel:BYTE_0 src1_sel:DWORD
	s_mov_b64 s[18:19], -1
	s_and_saveexec_b64 s[22:23], s[24:25]
; %bb.338:
	s_xor_b64 s[18:19], exec, -1
; %bb.339:
	s_or_b64 exec, exec, s[22:23]
	s_and_b64 s[18:19], s[18:19], exec
	s_or_saveexec_b64 s[20:21], s[20:21]
	v_mov_b32_e32 v13, 0x7f800001
	s_xor_b64 exec, exec, s[20:21]
	s_cbranch_execz .LBB290_30
.LBB290_340:
	v_mov_b32_e32 v13, 0
	v_cmp_ne_u16_sdwa s[22:23], v10, v13 src0_sel:BYTE_0 src1_sel:DWORD
	s_andn2_b64 s[18:19], s[18:19], exec
	s_and_b64 s[22:23], s[22:23], exec
	s_or_b64 s[18:19], s[18:19], s[22:23]
	s_or_b64 exec, exec, s[20:21]
	s_and_saveexec_b64 s[20:21], s[18:19]
	s_cbranch_execnz .LBB290_31
	s_branch .LBB290_32
.LBB290_341:
	s_movk_i32 s20, 0x80
	v_cmp_eq_u16_e32 vcc, s20, v11
	s_mov_b64 s[20:21], -1
	s_and_saveexec_b64 s[24:25], vcc
; %bb.342:
	s_xor_b64 s[20:21], exec, -1
; %bb.343:
	s_or_b64 exec, exec, s[24:25]
	s_and_b64 s[20:21], s[20:21], exec
                                        ; implicit-def: $vgpr11
	s_or_saveexec_b64 s[22:23], s[22:23]
	v_mov_b32_e32 v10, 0x7f800001
	s_xor_b64 exec, exec, s[22:23]
	s_cbranch_execz .LBB290_36
.LBB290_344:
	v_cmp_ne_u16_e32 vcc, 0, v11
	s_andn2_b64 s[20:21], s[20:21], exec
	s_and_b64 s[24:25], vcc, exec
	v_mov_b32_e32 v10, 0
	s_or_b64 s[20:21], s[20:21], s[24:25]
	s_or_b64 exec, exec, s[22:23]
	s_and_saveexec_b64 s[22:23], s[20:21]
	s_cbranch_execnz .LBB290_37
	s_branch .LBB290_38
.LBB290_345:
	s_movk_i32 s20, 0x80
	v_cmp_eq_u16_e32 vcc, s20, v11
	s_mov_b64 s[20:21], -1
	s_and_saveexec_b64 s[24:25], vcc
; %bb.346:
	s_xor_b64 s[20:21], exec, -1
; %bb.347:
	s_or_b64 exec, exec, s[24:25]
	s_and_b64 s[20:21], s[20:21], exec
                                        ; implicit-def: $vgpr11
	s_or_saveexec_b64 s[22:23], s[22:23]
	v_mov_b32_e32 v12, 0x7f800001
	s_xor_b64 exec, exec, s[22:23]
	s_cbranch_execz .LBB290_40
.LBB290_348:
	v_cmp_ne_u16_e32 vcc, 0, v11
	s_andn2_b64 s[20:21], s[20:21], exec
	s_and_b64 s[24:25], vcc, exec
	v_mov_b32_e32 v12, 0
	s_or_b64 s[20:21], s[20:21], s[24:25]
	s_or_b64 exec, exec, s[22:23]
	s_and_saveexec_b64 s[22:23], s[20:21]
	s_cbranch_execnz .LBB290_41
	s_branch .LBB290_42
.LBB290_349:
	s_movk_i32 s22, 0x80
	v_cmp_eq_u16_sdwa s[28:29], v9, s22 src0_sel:BYTE_3 src1_sel:DWORD
	s_mov_b64 s[22:23], -1
	s_and_saveexec_b64 s[26:27], s[28:29]
; %bb.350:
	s_xor_b64 s[22:23], exec, -1
; %bb.351:
	s_or_b64 exec, exec, s[26:27]
	s_and_b64 s[22:23], s[22:23], exec
	s_or_saveexec_b64 s[24:25], s[24:25]
	v_mov_b32_e32 v10, 0x7f800001
	s_xor_b64 exec, exec, s[24:25]
	s_cbranch_execz .LBB290_46
.LBB290_352:
	v_mov_b32_e32 v10, 0
	v_cmp_ne_u16_sdwa s[26:27], v9, v10 src0_sel:BYTE_3 src1_sel:DWORD
	s_andn2_b64 s[22:23], s[22:23], exec
	s_and_b64 s[26:27], s[26:27], exec
	s_or_b64 s[22:23], s[22:23], s[26:27]
	s_or_b64 exec, exec, s[24:25]
	s_and_saveexec_b64 s[24:25], s[22:23]
	s_cbranch_execnz .LBB290_47
	s_branch .LBB290_48
.LBB290_353:
	s_movk_i32 s22, 0x80
	v_cmp_eq_u16_sdwa s[28:29], v8, s22 src0_sel:BYTE_3 src1_sel:DWORD
	s_mov_b64 s[22:23], -1
	s_and_saveexec_b64 s[26:27], s[28:29]
; %bb.354:
	s_xor_b64 s[22:23], exec, -1
; %bb.355:
	s_or_b64 exec, exec, s[26:27]
	s_and_b64 s[22:23], s[22:23], exec
	s_or_saveexec_b64 s[24:25], s[24:25]
	v_mov_b32_e32 v11, 0x7f800001
	s_xor_b64 exec, exec, s[24:25]
	s_cbranch_execz .LBB290_50
.LBB290_356:
	v_mov_b32_e32 v11, 0
	v_cmp_ne_u16_sdwa s[26:27], v8, v11 src0_sel:BYTE_3 src1_sel:DWORD
	s_andn2_b64 s[22:23], s[22:23], exec
	s_and_b64 s[26:27], s[26:27], exec
	s_or_b64 s[22:23], s[22:23], s[26:27]
	s_or_b64 exec, exec, s[24:25]
	s_and_saveexec_b64 s[24:25], s[22:23]
	s_cbranch_execnz .LBB290_51
	s_branch .LBB290_52
.LBB290_357:
	s_movk_i32 s24, 0x80
	v_cmp_eq_u16_sdwa s[30:31], v7, s24 src0_sel:BYTE_0 src1_sel:DWORD
	s_mov_b64 s[24:25], -1
	s_and_saveexec_b64 s[28:29], s[30:31]
; %bb.358:
	s_xor_b64 s[24:25], exec, -1
; %bb.359:
	s_or_b64 exec, exec, s[28:29]
	s_and_b64 s[24:25], s[24:25], exec
	s_or_saveexec_b64 s[26:27], s[26:27]
	v_mov_b32_e32 v8, 0x7f800001
	s_xor_b64 exec, exec, s[26:27]
	s_cbranch_execz .LBB290_56
.LBB290_360:
	v_mov_b32_e32 v8, 0
	v_cmp_ne_u16_sdwa s[28:29], v7, v8 src0_sel:BYTE_0 src1_sel:DWORD
	s_andn2_b64 s[24:25], s[24:25], exec
	s_and_b64 s[28:29], s[28:29], exec
	s_or_b64 s[24:25], s[24:25], s[28:29]
	s_or_b64 exec, exec, s[26:27]
	s_and_saveexec_b64 s[26:27], s[24:25]
	s_cbranch_execnz .LBB290_57
	s_branch .LBB290_58
.LBB290_361:
	s_movk_i32 s24, 0x80
	v_cmp_eq_u16_sdwa s[30:31], v6, s24 src0_sel:BYTE_0 src1_sel:DWORD
	s_mov_b64 s[24:25], -1
	s_and_saveexec_b64 s[28:29], s[30:31]
; %bb.362:
	s_xor_b64 s[24:25], exec, -1
; %bb.363:
	s_or_b64 exec, exec, s[28:29]
	s_and_b64 s[24:25], s[24:25], exec
	s_or_saveexec_b64 s[26:27], s[26:27]
	v_mov_b32_e32 v9, 0x7f800001
	s_xor_b64 exec, exec, s[26:27]
	s_cbranch_execz .LBB290_60
.LBB290_364:
	v_mov_b32_e32 v9, 0
	v_cmp_ne_u16_sdwa s[28:29], v6, v9 src0_sel:BYTE_0 src1_sel:DWORD
	s_andn2_b64 s[24:25], s[24:25], exec
	s_and_b64 s[28:29], s[28:29], exec
	s_or_b64 s[24:25], s[24:25], s[28:29]
	s_or_b64 exec, exec, s[26:27]
	s_and_saveexec_b64 s[26:27], s[24:25]
	s_cbranch_execnz .LBB290_61
	s_branch .LBB290_62
.LBB290_365:
	s_movk_i32 s26, 0x80
	v_cmp_eq_u16_sdwa s[34:35], v9, s26 src0_sel:BYTE_0 src1_sel:DWORD
	s_mov_b64 s[26:27], -1
	s_and_saveexec_b64 s[30:31], s[34:35]
; %bb.366:
	s_xor_b64 s[26:27], exec, -1
; %bb.367:
	s_or_b64 exec, exec, s[30:31]
	s_and_b64 s[26:27], s[26:27], exec
	s_or_saveexec_b64 s[28:29], s[28:29]
	v_mov_b32_e32 v10, 0x7f800001
	s_xor_b64 exec, exec, s[28:29]
	s_cbranch_execz .LBB290_66
.LBB290_368:
	v_mov_b32_e32 v10, 0
	v_cmp_ne_u16_sdwa s[30:31], v9, v10 src0_sel:BYTE_0 src1_sel:DWORD
	s_andn2_b64 s[26:27], s[26:27], exec
	s_and_b64 s[30:31], s[30:31], exec
	s_or_b64 s[26:27], s[26:27], s[30:31]
	s_or_b64 exec, exec, s[28:29]
	s_and_saveexec_b64 s[28:29], s[26:27]
	s_cbranch_execnz .LBB290_67
	s_branch .LBB290_68
.LBB290_369:
	s_movk_i32 s26, 0x80
	v_cmp_eq_u16_sdwa s[34:35], v8, s26 src0_sel:BYTE_0 src1_sel:DWORD
	s_mov_b64 s[26:27], -1
	s_and_saveexec_b64 s[30:31], s[34:35]
; %bb.370:
	s_xor_b64 s[26:27], exec, -1
; %bb.371:
	s_or_b64 exec, exec, s[30:31]
	s_and_b64 s[26:27], s[26:27], exec
	s_or_saveexec_b64 s[28:29], s[28:29]
	v_mov_b32_e32 v11, 0x7f800001
	s_xor_b64 exec, exec, s[28:29]
	s_cbranch_execz .LBB290_70
.LBB290_372:
	v_mov_b32_e32 v11, 0
	v_cmp_ne_u16_sdwa s[30:31], v8, v11 src0_sel:BYTE_0 src1_sel:DWORD
	s_andn2_b64 s[26:27], s[26:27], exec
	s_and_b64 s[30:31], s[30:31], exec
	s_or_b64 s[26:27], s[26:27], s[30:31]
	s_or_b64 exec, exec, s[28:29]
	s_and_saveexec_b64 s[28:29], s[26:27]
	s_cbranch_execnz .LBB290_71
	s_branch .LBB290_72
.LBB290_373:
	s_movk_i32 s28, 0x80
	v_cmp_eq_u16_e32 vcc, s28, v9
	s_mov_b64 s[28:29], -1
	s_and_saveexec_b64 s[34:35], vcc
; %bb.374:
	s_xor_b64 s[28:29], exec, -1
; %bb.375:
	s_or_b64 exec, exec, s[34:35]
	s_and_b64 s[28:29], s[28:29], exec
                                        ; implicit-def: $vgpr9
	s_or_saveexec_b64 s[30:31], s[30:31]
	v_mov_b32_e32 v8, 0x7f800001
	s_xor_b64 exec, exec, s[30:31]
	s_cbranch_execz .LBB290_76
.LBB290_376:
	v_cmp_ne_u16_e32 vcc, 0, v9
	s_andn2_b64 s[28:29], s[28:29], exec
	s_and_b64 s[34:35], vcc, exec
	v_mov_b32_e32 v8, 0
	s_or_b64 s[28:29], s[28:29], s[34:35]
	s_or_b64 exec, exec, s[30:31]
	s_and_saveexec_b64 s[30:31], s[28:29]
	s_cbranch_execnz .LBB290_77
	s_branch .LBB290_78
.LBB290_377:
	s_movk_i32 s28, 0x80
	v_cmp_eq_u16_e32 vcc, s28, v9
	s_mov_b64 s[28:29], -1
	s_and_saveexec_b64 s[34:35], vcc
; %bb.378:
	s_xor_b64 s[28:29], exec, -1
; %bb.379:
	s_or_b64 exec, exec, s[34:35]
	s_and_b64 s[28:29], s[28:29], exec
                                        ; implicit-def: $vgpr9
	s_or_saveexec_b64 s[30:31], s[30:31]
	v_mov_b32_e32 v10, 0x7f800001
	s_xor_b64 exec, exec, s[30:31]
	s_cbranch_execz .LBB290_80
.LBB290_380:
	v_cmp_ne_u16_e32 vcc, 0, v9
	s_andn2_b64 s[28:29], s[28:29], exec
	s_and_b64 s[34:35], vcc, exec
	v_mov_b32_e32 v10, 0
	s_or_b64 s[28:29], s[28:29], s[34:35]
	s_or_b64 exec, exec, s[30:31]
	s_and_saveexec_b64 s[30:31], s[28:29]
	s_cbranch_execnz .LBB290_81
	s_branch .LBB290_82
.LBB290_381:
	s_movk_i32 s30, 0x80
	v_cmp_eq_u16_sdwa s[38:39], v7, s30 src0_sel:BYTE_3 src1_sel:DWORD
	s_mov_b64 s[30:31], -1
	s_and_saveexec_b64 s[36:37], s[38:39]
; %bb.382:
	s_xor_b64 s[30:31], exec, -1
; %bb.383:
	s_or_b64 exec, exec, s[36:37]
	s_and_b64 s[30:31], s[30:31], exec
	s_or_saveexec_b64 s[34:35], s[34:35]
	v_mov_b32_e32 v8, 0x7f800001
	s_xor_b64 exec, exec, s[34:35]
	s_cbranch_execz .LBB290_86
.LBB290_384:
	v_mov_b32_e32 v8, 0
	v_cmp_ne_u16_sdwa s[36:37], v7, v8 src0_sel:BYTE_3 src1_sel:DWORD
	s_andn2_b64 s[30:31], s[30:31], exec
	s_and_b64 s[36:37], s[36:37], exec
	s_or_b64 s[30:31], s[30:31], s[36:37]
	s_or_b64 exec, exec, s[34:35]
	s_and_saveexec_b64 s[34:35], s[30:31]
	s_cbranch_execnz .LBB290_87
	s_branch .LBB290_88
.LBB290_385:
	s_movk_i32 s30, 0x80
	v_cmp_eq_u16_sdwa s[38:39], v6, s30 src0_sel:BYTE_3 src1_sel:DWORD
	s_mov_b64 s[30:31], -1
	s_and_saveexec_b64 s[36:37], s[38:39]
; %bb.386:
	s_xor_b64 s[30:31], exec, -1
; %bb.387:
	s_or_b64 exec, exec, s[36:37]
	s_and_b64 s[30:31], s[30:31], exec
	s_or_saveexec_b64 s[34:35], s[34:35]
	v_mov_b32_e32 v9, 0x7f800001
	s_xor_b64 exec, exec, s[34:35]
	s_cbranch_execz .LBB290_90
.LBB290_388:
	v_mov_b32_e32 v9, 0
	v_cmp_ne_u16_sdwa s[36:37], v6, v9 src0_sel:BYTE_3 src1_sel:DWORD
	s_andn2_b64 s[30:31], s[30:31], exec
	s_and_b64 s[36:37], s[36:37], exec
	s_or_b64 s[30:31], s[30:31], s[36:37]
	s_or_b64 exec, exec, s[34:35]
	s_and_saveexec_b64 s[34:35], s[30:31]
	s_cbranch_execnz .LBB290_91
	s_branch .LBB290_92
.LBB290_389:
	s_movk_i32 s34, 0x80
	v_cmp_eq_u16_sdwa s[40:41], v5, s34 src0_sel:BYTE_0 src1_sel:DWORD
	s_mov_b64 s[34:35], -1
	s_and_saveexec_b64 s[38:39], s[40:41]
; %bb.390:
	s_xor_b64 s[34:35], exec, -1
; %bb.391:
	s_or_b64 exec, exec, s[38:39]
	s_and_b64 s[34:35], s[34:35], exec
	s_or_saveexec_b64 s[36:37], s[36:37]
	v_mov_b32_e32 v6, 0x7f800001
	s_xor_b64 exec, exec, s[36:37]
	s_cbranch_execz .LBB290_96
.LBB290_392:
	v_mov_b32_e32 v6, 0
	v_cmp_ne_u16_sdwa s[38:39], v5, v6 src0_sel:BYTE_0 src1_sel:DWORD
	s_andn2_b64 s[34:35], s[34:35], exec
	s_and_b64 s[38:39], s[38:39], exec
	s_or_b64 s[34:35], s[34:35], s[38:39]
	s_or_b64 exec, exec, s[36:37]
	s_and_saveexec_b64 s[36:37], s[34:35]
	s_cbranch_execnz .LBB290_97
	s_branch .LBB290_98
.LBB290_393:
	s_movk_i32 s34, 0x80
	v_cmp_eq_u16_sdwa s[40:41], v4, s34 src0_sel:BYTE_0 src1_sel:DWORD
	s_mov_b64 s[34:35], -1
	s_and_saveexec_b64 s[38:39], s[40:41]
; %bb.394:
	s_xor_b64 s[34:35], exec, -1
; %bb.395:
	s_or_b64 exec, exec, s[38:39]
	s_and_b64 s[34:35], s[34:35], exec
	s_or_saveexec_b64 s[36:37], s[36:37]
	v_mov_b32_e32 v7, 0x7f800001
	s_xor_b64 exec, exec, s[36:37]
	s_cbranch_execz .LBB290_100
.LBB290_396:
	v_mov_b32_e32 v7, 0
	v_cmp_ne_u16_sdwa s[38:39], v4, v7 src0_sel:BYTE_0 src1_sel:DWORD
	s_andn2_b64 s[34:35], s[34:35], exec
	s_and_b64 s[38:39], s[38:39], exec
	s_or_b64 s[34:35], s[34:35], s[38:39]
	s_or_b64 exec, exec, s[36:37]
	s_and_saveexec_b64 s[36:37], s[34:35]
	s_cbranch_execnz .LBB290_101
	s_branch .LBB290_102
.LBB290_397:
	s_movk_i32 s36, 0x80
	v_cmp_eq_u16_sdwa s[42:43], v7, s36 src0_sel:BYTE_0 src1_sel:DWORD
	s_mov_b64 s[36:37], -1
	s_and_saveexec_b64 s[40:41], s[42:43]
; %bb.398:
	s_xor_b64 s[36:37], exec, -1
; %bb.399:
	s_or_b64 exec, exec, s[40:41]
	s_and_b64 s[36:37], s[36:37], exec
	s_or_saveexec_b64 s[38:39], s[38:39]
	v_mov_b32_e32 v8, 0x7f800001
	s_xor_b64 exec, exec, s[38:39]
	s_cbranch_execz .LBB290_106
.LBB290_400:
	v_mov_b32_e32 v8, 0
	v_cmp_ne_u16_sdwa s[40:41], v7, v8 src0_sel:BYTE_0 src1_sel:DWORD
	s_andn2_b64 s[36:37], s[36:37], exec
	s_and_b64 s[40:41], s[40:41], exec
	s_or_b64 s[36:37], s[36:37], s[40:41]
	s_or_b64 exec, exec, s[38:39]
	s_and_saveexec_b64 s[38:39], s[36:37]
	s_cbranch_execnz .LBB290_107
	s_branch .LBB290_108
.LBB290_401:
	s_movk_i32 s36, 0x80
	v_cmp_eq_u16_sdwa s[42:43], v6, s36 src0_sel:BYTE_0 src1_sel:DWORD
	s_mov_b64 s[36:37], -1
	s_and_saveexec_b64 s[40:41], s[42:43]
; %bb.402:
	s_xor_b64 s[36:37], exec, -1
; %bb.403:
	s_or_b64 exec, exec, s[40:41]
	s_and_b64 s[36:37], s[36:37], exec
	s_or_saveexec_b64 s[38:39], s[38:39]
	v_mov_b32_e32 v9, 0x7f800001
	s_xor_b64 exec, exec, s[38:39]
	s_cbranch_execz .LBB290_110
.LBB290_404:
	v_mov_b32_e32 v9, 0
	v_cmp_ne_u16_sdwa s[40:41], v6, v9 src0_sel:BYTE_0 src1_sel:DWORD
	s_andn2_b64 s[36:37], s[36:37], exec
	s_and_b64 s[40:41], s[40:41], exec
	s_or_b64 s[36:37], s[36:37], s[40:41]
	s_or_b64 exec, exec, s[38:39]
	s_and_saveexec_b64 s[38:39], s[36:37]
	s_cbranch_execnz .LBB290_111
	s_branch .LBB290_112
.LBB290_405:
	s_movk_i32 s38, 0x80
	v_cmp_eq_u16_e32 vcc, s38, v7
	s_mov_b64 s[38:39], -1
	s_and_saveexec_b64 s[42:43], vcc
; %bb.406:
	s_xor_b64 s[38:39], exec, -1
; %bb.407:
	s_or_b64 exec, exec, s[42:43]
	s_and_b64 s[38:39], s[38:39], exec
                                        ; implicit-def: $vgpr7
	s_or_saveexec_b64 s[40:41], s[40:41]
	v_mov_b32_e32 v6, 0x7f800001
	s_xor_b64 exec, exec, s[40:41]
	s_cbranch_execz .LBB290_116
.LBB290_408:
	v_cmp_ne_u16_e32 vcc, 0, v7
	s_andn2_b64 s[38:39], s[38:39], exec
	s_and_b64 s[42:43], vcc, exec
	v_mov_b32_e32 v6, 0
	s_or_b64 s[38:39], s[38:39], s[42:43]
	s_or_b64 exec, exec, s[40:41]
	s_and_saveexec_b64 s[40:41], s[38:39]
	s_cbranch_execnz .LBB290_117
	s_branch .LBB290_118
.LBB290_409:
	s_movk_i32 s38, 0x80
	v_cmp_eq_u16_e32 vcc, s38, v7
	s_mov_b64 s[38:39], -1
	s_and_saveexec_b64 s[42:43], vcc
; %bb.410:
	s_xor_b64 s[38:39], exec, -1
; %bb.411:
	s_or_b64 exec, exec, s[42:43]
	s_and_b64 s[38:39], s[38:39], exec
                                        ; implicit-def: $vgpr7
	s_or_saveexec_b64 s[40:41], s[40:41]
	v_mov_b32_e32 v8, 0x7f800001
	s_xor_b64 exec, exec, s[40:41]
	s_cbranch_execz .LBB290_120
.LBB290_412:
	v_cmp_ne_u16_e32 vcc, 0, v7
	s_andn2_b64 s[38:39], s[38:39], exec
	s_and_b64 s[42:43], vcc, exec
	v_mov_b32_e32 v8, 0
	s_or_b64 s[38:39], s[38:39], s[42:43]
	s_or_b64 exec, exec, s[40:41]
	s_and_saveexec_b64 s[40:41], s[38:39]
	s_cbranch_execnz .LBB290_121
	s_branch .LBB290_122
.LBB290_413:
	s_movk_i32 s40, 0x80
	v_cmp_eq_u16_sdwa s[46:47], v5, s40 src0_sel:BYTE_3 src1_sel:DWORD
	s_mov_b64 s[40:41], -1
	s_and_saveexec_b64 s[44:45], s[46:47]
; %bb.414:
	s_xor_b64 s[40:41], exec, -1
; %bb.415:
	s_or_b64 exec, exec, s[44:45]
	s_and_b64 s[40:41], s[40:41], exec
	s_or_saveexec_b64 s[42:43], s[42:43]
	v_mov_b32_e32 v6, 0x7f800001
	s_xor_b64 exec, exec, s[42:43]
	s_cbranch_execz .LBB290_126
.LBB290_416:
	v_mov_b32_e32 v6, 0
	v_cmp_ne_u16_sdwa s[44:45], v5, v6 src0_sel:BYTE_3 src1_sel:DWORD
	s_andn2_b64 s[40:41], s[40:41], exec
	s_and_b64 s[44:45], s[44:45], exec
	s_or_b64 s[40:41], s[40:41], s[44:45]
	s_or_b64 exec, exec, s[42:43]
	s_and_saveexec_b64 s[42:43], s[40:41]
	s_cbranch_execnz .LBB290_127
	s_branch .LBB290_128
.LBB290_417:
	s_movk_i32 s40, 0x80
	v_cmp_eq_u16_sdwa s[46:47], v4, s40 src0_sel:BYTE_3 src1_sel:DWORD
	s_mov_b64 s[40:41], -1
	s_and_saveexec_b64 s[44:45], s[46:47]
; %bb.418:
	s_xor_b64 s[40:41], exec, -1
; %bb.419:
	s_or_b64 exec, exec, s[44:45]
	s_and_b64 s[40:41], s[40:41], exec
	s_or_saveexec_b64 s[42:43], s[42:43]
	v_mov_b32_e32 v7, 0x7f800001
	s_xor_b64 exec, exec, s[42:43]
	s_cbranch_execz .LBB290_130
.LBB290_420:
	v_mov_b32_e32 v7, 0
	v_cmp_ne_u16_sdwa s[44:45], v4, v7 src0_sel:BYTE_3 src1_sel:DWORD
	s_andn2_b64 s[40:41], s[40:41], exec
	s_and_b64 s[44:45], s[44:45], exec
	s_or_b64 s[40:41], s[40:41], s[44:45]
	s_or_b64 exec, exec, s[42:43]
	s_and_saveexec_b64 s[42:43], s[40:41]
	s_cbranch_execnz .LBB290_131
	s_branch .LBB290_132
.LBB290_421:
	s_movk_i32 s42, 0x80
	v_cmp_eq_u16_sdwa s[48:49], v3, s42 src0_sel:BYTE_0 src1_sel:DWORD
	s_mov_b64 s[42:43], -1
	s_and_saveexec_b64 s[46:47], s[48:49]
; %bb.422:
	s_xor_b64 s[42:43], exec, -1
; %bb.423:
	s_or_b64 exec, exec, s[46:47]
	s_and_b64 s[42:43], s[42:43], exec
	s_or_saveexec_b64 s[44:45], s[44:45]
	v_mov_b32_e32 v4, 0x7f800001
	s_xor_b64 exec, exec, s[44:45]
	s_cbranch_execz .LBB290_136
.LBB290_424:
	v_mov_b32_e32 v4, 0
	v_cmp_ne_u16_sdwa s[46:47], v3, v4 src0_sel:BYTE_0 src1_sel:DWORD
	s_andn2_b64 s[42:43], s[42:43], exec
	s_and_b64 s[46:47], s[46:47], exec
	s_or_b64 s[42:43], s[42:43], s[46:47]
	s_or_b64 exec, exec, s[44:45]
	s_and_saveexec_b64 s[44:45], s[42:43]
	s_cbranch_execnz .LBB290_137
	s_branch .LBB290_138
.LBB290_425:
	s_movk_i32 s42, 0x80
	v_cmp_eq_u16_sdwa s[48:49], v2, s42 src0_sel:BYTE_0 src1_sel:DWORD
	s_mov_b64 s[42:43], -1
	s_and_saveexec_b64 s[46:47], s[48:49]
; %bb.426:
	s_xor_b64 s[42:43], exec, -1
; %bb.427:
	s_or_b64 exec, exec, s[46:47]
	s_and_b64 s[42:43], s[42:43], exec
	s_or_saveexec_b64 s[44:45], s[44:45]
	v_mov_b32_e32 v5, 0x7f800001
	s_xor_b64 exec, exec, s[44:45]
	s_cbranch_execz .LBB290_140
.LBB290_428:
	v_mov_b32_e32 v5, 0
	v_cmp_ne_u16_sdwa s[46:47], v2, v5 src0_sel:BYTE_0 src1_sel:DWORD
	s_andn2_b64 s[42:43], s[42:43], exec
	s_and_b64 s[46:47], s[46:47], exec
	s_or_b64 s[42:43], s[42:43], s[46:47]
	s_or_b64 exec, exec, s[44:45]
	s_and_saveexec_b64 s[44:45], s[42:43]
	s_cbranch_execnz .LBB290_141
	s_branch .LBB290_142
.LBB290_429:
	s_movk_i32 s44, 0x80
	v_cmp_eq_u16_sdwa s[50:51], v5, s44 src0_sel:BYTE_0 src1_sel:DWORD
	s_mov_b64 s[44:45], -1
	s_and_saveexec_b64 s[48:49], s[50:51]
; %bb.430:
	s_xor_b64 s[44:45], exec, -1
; %bb.431:
	s_or_b64 exec, exec, s[48:49]
	s_and_b64 s[44:45], s[44:45], exec
	s_or_saveexec_b64 s[46:47], s[46:47]
	v_mov_b32_e32 v6, 0x7f800001
	s_xor_b64 exec, exec, s[46:47]
	s_cbranch_execz .LBB290_146
.LBB290_432:
	v_mov_b32_e32 v6, 0
	v_cmp_ne_u16_sdwa s[48:49], v5, v6 src0_sel:BYTE_0 src1_sel:DWORD
	s_andn2_b64 s[44:45], s[44:45], exec
	s_and_b64 s[48:49], s[48:49], exec
	s_or_b64 s[44:45], s[44:45], s[48:49]
	s_or_b64 exec, exec, s[46:47]
	s_and_saveexec_b64 s[46:47], s[44:45]
	s_cbranch_execnz .LBB290_147
	s_branch .LBB290_148
.LBB290_433:
	s_movk_i32 s44, 0x80
	v_cmp_eq_u16_sdwa s[50:51], v4, s44 src0_sel:BYTE_0 src1_sel:DWORD
	s_mov_b64 s[44:45], -1
	s_and_saveexec_b64 s[48:49], s[50:51]
; %bb.434:
	s_xor_b64 s[44:45], exec, -1
; %bb.435:
	s_or_b64 exec, exec, s[48:49]
	s_and_b64 s[44:45], s[44:45], exec
	s_or_saveexec_b64 s[46:47], s[46:47]
	v_mov_b32_e32 v7, 0x7f800001
	s_xor_b64 exec, exec, s[46:47]
	s_cbranch_execz .LBB290_150
.LBB290_436:
	v_mov_b32_e32 v7, 0
	v_cmp_ne_u16_sdwa s[48:49], v4, v7 src0_sel:BYTE_0 src1_sel:DWORD
	s_andn2_b64 s[44:45], s[44:45], exec
	s_and_b64 s[48:49], s[48:49], exec
	s_or_b64 s[44:45], s[44:45], s[48:49]
	s_or_b64 exec, exec, s[46:47]
	s_and_saveexec_b64 s[46:47], s[44:45]
	s_cbranch_execnz .LBB290_151
	s_branch .LBB290_152
.LBB290_437:
	s_movk_i32 s46, 0x80
	v_cmp_eq_u16_e32 vcc, s46, v5
	s_mov_b64 s[46:47], -1
	s_and_saveexec_b64 s[50:51], vcc
; %bb.438:
	s_xor_b64 s[46:47], exec, -1
; %bb.439:
	s_or_b64 exec, exec, s[50:51]
	s_and_b64 s[46:47], s[46:47], exec
                                        ; implicit-def: $vgpr5
	s_or_saveexec_b64 s[48:49], s[48:49]
	v_mov_b32_e32 v4, 0x7f800001
	s_xor_b64 exec, exec, s[48:49]
	s_cbranch_execz .LBB290_156
.LBB290_440:
	v_cmp_ne_u16_e32 vcc, 0, v5
	s_andn2_b64 s[46:47], s[46:47], exec
	s_and_b64 s[50:51], vcc, exec
	v_mov_b32_e32 v4, 0
	s_or_b64 s[46:47], s[46:47], s[50:51]
	s_or_b64 exec, exec, s[48:49]
	s_and_saveexec_b64 s[48:49], s[46:47]
	s_cbranch_execnz .LBB290_157
	s_branch .LBB290_158
.LBB290_441:
	s_movk_i32 s46, 0x80
	v_cmp_eq_u16_e32 vcc, s46, v5
	s_mov_b64 s[46:47], -1
	s_and_saveexec_b64 s[50:51], vcc
; %bb.442:
	s_xor_b64 s[46:47], exec, -1
; %bb.443:
	s_or_b64 exec, exec, s[50:51]
	s_and_b64 s[46:47], s[46:47], exec
                                        ; implicit-def: $vgpr5
	s_or_saveexec_b64 s[48:49], s[48:49]
	v_mov_b32_e32 v6, 0x7f800001
	s_xor_b64 exec, exec, s[48:49]
	s_cbranch_execz .LBB290_160
.LBB290_444:
	v_cmp_ne_u16_e32 vcc, 0, v5
	s_andn2_b64 s[46:47], s[46:47], exec
	s_and_b64 s[50:51], vcc, exec
	v_mov_b32_e32 v6, 0
	s_or_b64 s[46:47], s[46:47], s[50:51]
	s_or_b64 exec, exec, s[48:49]
	s_and_saveexec_b64 s[48:49], s[46:47]
	s_cbranch_execnz .LBB290_161
	s_branch .LBB290_162
.LBB290_445:
	s_movk_i32 s4, 0x80
	v_cmp_eq_u16_sdwa s[52:53], v3, s4 src0_sel:BYTE_3 src1_sel:DWORD
	s_mov_b64 s[4:5], -1
	s_and_saveexec_b64 s[50:51], s[52:53]
; %bb.446:
	s_xor_b64 s[4:5], exec, -1
; %bb.447:
	s_or_b64 exec, exec, s[50:51]
	s_and_b64 s[4:5], s[4:5], exec
	s_or_saveexec_b64 s[48:49], s[48:49]
	v_mov_b32_e32 v4, 0x7f800001
	s_xor_b64 exec, exec, s[48:49]
	s_cbranch_execz .LBB290_166
.LBB290_448:
	v_mov_b32_e32 v4, 0
	v_cmp_ne_u16_sdwa s[50:51], v3, v4 src0_sel:BYTE_3 src1_sel:DWORD
	s_andn2_b64 s[4:5], s[4:5], exec
	s_and_b64 s[50:51], s[50:51], exec
	s_or_b64 s[4:5], s[4:5], s[50:51]
	s_or_b64 exec, exec, s[48:49]
	s_and_saveexec_b64 s[48:49], s[4:5]
	s_cbranch_execnz .LBB290_167
	s_branch .LBB290_168
.LBB290_449:
	s_movk_i32 s4, 0x80
	v_cmp_eq_u16_sdwa s[52:53], v2, s4 src0_sel:BYTE_3 src1_sel:DWORD
	s_mov_b64 s[4:5], -1
	s_and_saveexec_b64 s[50:51], s[52:53]
; %bb.450:
	s_xor_b64 s[4:5], exec, -1
; %bb.451:
	s_or_b64 exec, exec, s[50:51]
	s_and_b64 s[4:5], s[4:5], exec
	s_or_saveexec_b64 s[48:49], s[48:49]
	v_mov_b32_e32 v5, 0x7f800001
	s_xor_b64 exec, exec, s[48:49]
	s_cbranch_execz .LBB290_170
.LBB290_452:
	v_mov_b32_e32 v5, 0
	v_cmp_ne_u16_sdwa s[50:51], v2, v5 src0_sel:BYTE_3 src1_sel:DWORD
	s_andn2_b64 s[4:5], s[4:5], exec
	s_and_b64 s[50:51], s[50:51], exec
	s_or_b64 s[4:5], s[4:5], s[50:51]
	s_or_b64 exec, exec, s[48:49]
	s_and_saveexec_b64 s[48:49], s[4:5]
	s_cbranch_execnz .LBB290_171
	s_branch .LBB290_172
.LBB290_453:
	s_movk_i32 s4, 0x80
	v_cmp_eq_u16_sdwa s[22:23], v9, s4 src0_sel:BYTE_0 src1_sel:DWORD
	s_mov_b64 s[4:5], -1
	s_and_saveexec_b64 s[20:21], s[22:23]
; %bb.454:
	s_xor_b64 s[4:5], exec, -1
; %bb.455:
	s_or_b64 exec, exec, s[20:21]
	s_and_b64 s[4:5], s[4:5], exec
	s_or_saveexec_b64 s[16:17], s[16:17]
	v_mov_b32_e32 v10, 0x7f800001
	s_xor_b64 exec, exec, s[16:17]
	s_cbranch_execz .LBB290_16
.LBB290_456:
	v_mov_b32_e32 v10, 0
	v_cmp_ne_u16_sdwa s[20:21], v9, v10 src0_sel:BYTE_0 src1_sel:DWORD
	s_andn2_b64 s[4:5], s[4:5], exec
	s_and_b64 s[20:21], s[20:21], exec
	s_or_b64 s[4:5], s[4:5], s[20:21]
	s_or_b64 exec, exec, s[16:17]
	s_and_saveexec_b64 s[16:17], s[4:5]
	s_cbranch_execnz .LBB290_17
	s_branch .LBB290_18
.LBB290_457:
	s_movk_i32 s4, 0x80
	v_cmp_eq_u16_sdwa s[22:23], v8, s4 src0_sel:BYTE_0 src1_sel:DWORD
	s_mov_b64 s[4:5], -1
	s_and_saveexec_b64 s[20:21], s[22:23]
; %bb.458:
	s_xor_b64 s[4:5], exec, -1
; %bb.459:
	s_or_b64 exec, exec, s[20:21]
	s_and_b64 s[4:5], s[4:5], exec
	s_or_saveexec_b64 s[16:17], s[16:17]
	v_mov_b32_e32 v11, 0x7f800001
	s_xor_b64 exec, exec, s[16:17]
	s_cbranch_execz .LBB290_20
.LBB290_460:
	v_mov_b32_e32 v11, 0
	v_cmp_ne_u16_sdwa s[20:21], v8, v11 src0_sel:BYTE_0 src1_sel:DWORD
	s_andn2_b64 s[4:5], s[4:5], exec
	s_and_b64 s[20:21], s[20:21], exec
	s_or_b64 s[4:5], s[4:5], s[20:21]
	s_or_b64 exec, exec, s[16:17]
	s_and_saveexec_b64 s[16:17], s[4:5]
	s_cbranch_execnz .LBB290_21
	s_branch .LBB290_22
.LBB290_461:
	s_movk_i32 s18, 0x80
	v_cmp_eq_u16_sdwa s[24:25], v11, s18 src0_sel:BYTE_0 src1_sel:DWORD
	s_mov_b64 s[18:19], -1
	s_and_saveexec_b64 s[22:23], s[24:25]
; %bb.462:
	s_xor_b64 s[18:19], exec, -1
; %bb.463:
	s_or_b64 exec, exec, s[22:23]
	s_and_b64 s[18:19], s[18:19], exec
	s_or_saveexec_b64 s[20:21], s[20:21]
	v_mov_b32_e32 v12, 0x7f800001
	s_xor_b64 exec, exec, s[20:21]
	s_cbranch_execz .LBB290_176
.LBB290_464:
	v_mov_b32_e32 v12, 0
	v_cmp_ne_u16_sdwa s[22:23], v11, v12 src0_sel:BYTE_0 src1_sel:DWORD
	s_andn2_b64 s[18:19], s[18:19], exec
	s_and_b64 s[22:23], s[22:23], exec
	s_or_b64 s[18:19], s[18:19], s[22:23]
	s_or_b64 exec, exec, s[20:21]
	s_and_saveexec_b64 s[20:21], s[18:19]
	s_cbranch_execnz .LBB290_177
	s_branch .LBB290_178
.LBB290_465:
	s_movk_i32 s18, 0x80
	v_cmp_eq_u16_sdwa s[24:25], v10, s18 src0_sel:BYTE_0 src1_sel:DWORD
	s_mov_b64 s[18:19], -1
	s_and_saveexec_b64 s[22:23], s[24:25]
; %bb.466:
	s_xor_b64 s[18:19], exec, -1
; %bb.467:
	s_or_b64 exec, exec, s[22:23]
	s_and_b64 s[18:19], s[18:19], exec
	s_or_saveexec_b64 s[20:21], s[20:21]
	v_mov_b32_e32 v11, 0x7f800001
	s_xor_b64 exec, exec, s[20:21]
	s_cbranch_execz .LBB290_180
.LBB290_468:
	v_mov_b32_e32 v11, 0
	v_cmp_ne_u16_sdwa s[22:23], v10, v11 src0_sel:BYTE_0 src1_sel:DWORD
	s_andn2_b64 s[18:19], s[18:19], exec
	s_and_b64 s[22:23], s[22:23], exec
	s_or_b64 s[18:19], s[18:19], s[22:23]
	s_or_b64 exec, exec, s[20:21]
	s_and_saveexec_b64 s[20:21], s[18:19]
	s_cbranch_execnz .LBB290_181
	s_branch .LBB290_182
.LBB290_469:
	s_movk_i32 s20, 0x80
	v_cmp_eq_u16_e32 vcc, s20, v11
	s_mov_b64 s[20:21], -1
	s_and_saveexec_b64 s[24:25], vcc
; %bb.470:
	s_xor_b64 s[20:21], exec, -1
; %bb.471:
	s_or_b64 exec, exec, s[24:25]
	s_and_b64 s[20:21], s[20:21], exec
                                        ; implicit-def: $vgpr11
	s_or_saveexec_b64 s[22:23], s[22:23]
	v_mov_b32_e32 v10, 0x7f800001
	s_xor_b64 exec, exec, s[22:23]
	s_cbranch_execz .LBB290_186
.LBB290_472:
	v_cmp_ne_u16_e32 vcc, 0, v11
	s_andn2_b64 s[20:21], s[20:21], exec
	s_and_b64 s[24:25], vcc, exec
	v_mov_b32_e32 v10, 0
	s_or_b64 s[20:21], s[20:21], s[24:25]
	s_or_b64 exec, exec, s[22:23]
	s_and_saveexec_b64 s[22:23], s[20:21]
	s_cbranch_execnz .LBB290_187
	s_branch .LBB290_188
.LBB290_473:
	s_movk_i32 s20, 0x80
	v_cmp_eq_u16_e32 vcc, s20, v11
	s_mov_b64 s[20:21], -1
	s_and_saveexec_b64 s[24:25], vcc
; %bb.474:
	s_xor_b64 s[20:21], exec, -1
; %bb.475:
	s_or_b64 exec, exec, s[24:25]
	s_and_b64 s[20:21], s[20:21], exec
                                        ; implicit-def: $vgpr11
	s_or_saveexec_b64 s[22:23], s[22:23]
	v_mov_b32_e32 v12, 0x7f800001
	s_xor_b64 exec, exec, s[22:23]
	s_cbranch_execz .LBB290_190
.LBB290_476:
	v_cmp_ne_u16_e32 vcc, 0, v11
	s_andn2_b64 s[20:21], s[20:21], exec
	s_and_b64 s[24:25], vcc, exec
	v_mov_b32_e32 v12, 0
	s_or_b64 s[20:21], s[20:21], s[24:25]
	s_or_b64 exec, exec, s[22:23]
	s_and_saveexec_b64 s[22:23], s[20:21]
	s_cbranch_execnz .LBB290_191
	s_branch .LBB290_192
.LBB290_477:
	s_movk_i32 s22, 0x80
	v_cmp_eq_u16_sdwa s[28:29], v9, s22 src0_sel:BYTE_3 src1_sel:DWORD
	s_mov_b64 s[22:23], -1
	s_and_saveexec_b64 s[26:27], s[28:29]
; %bb.478:
	s_xor_b64 s[22:23], exec, -1
; %bb.479:
	s_or_b64 exec, exec, s[26:27]
	s_and_b64 s[22:23], s[22:23], exec
	s_or_saveexec_b64 s[24:25], s[24:25]
	v_mov_b32_e32 v10, 0x7f800001
	s_xor_b64 exec, exec, s[24:25]
	s_cbranch_execz .LBB290_196
.LBB290_480:
	v_mov_b32_e32 v10, 0
	v_cmp_ne_u16_sdwa s[26:27], v9, v10 src0_sel:BYTE_3 src1_sel:DWORD
	s_andn2_b64 s[22:23], s[22:23], exec
	s_and_b64 s[26:27], s[26:27], exec
	s_or_b64 s[22:23], s[22:23], s[26:27]
	s_or_b64 exec, exec, s[24:25]
	s_and_saveexec_b64 s[24:25], s[22:23]
	s_cbranch_execnz .LBB290_197
	s_branch .LBB290_198
.LBB290_481:
	s_movk_i32 s22, 0x80
	v_cmp_eq_u16_sdwa s[28:29], v8, s22 src0_sel:BYTE_3 src1_sel:DWORD
	s_mov_b64 s[22:23], -1
	s_and_saveexec_b64 s[26:27], s[28:29]
; %bb.482:
	s_xor_b64 s[22:23], exec, -1
; %bb.483:
	s_or_b64 exec, exec, s[26:27]
	s_and_b64 s[22:23], s[22:23], exec
	s_or_saveexec_b64 s[24:25], s[24:25]
	v_mov_b32_e32 v9, 0x7f800001
	s_xor_b64 exec, exec, s[24:25]
	s_cbranch_execz .LBB290_200
.LBB290_484:
	v_mov_b32_e32 v9, 0
	v_cmp_ne_u16_sdwa s[26:27], v8, v9 src0_sel:BYTE_3 src1_sel:DWORD
	s_andn2_b64 s[22:23], s[22:23], exec
	s_and_b64 s[26:27], s[26:27], exec
	s_or_b64 s[22:23], s[22:23], s[26:27]
	s_or_b64 exec, exec, s[24:25]
	s_and_saveexec_b64 s[24:25], s[22:23]
	s_cbranch_execnz .LBB290_201
	s_branch .LBB290_202
.LBB290_485:
	s_movk_i32 s24, 0x80
	v_cmp_eq_u16_sdwa s[30:31], v7, s24 src0_sel:BYTE_0 src1_sel:DWORD
	s_mov_b64 s[24:25], -1
	s_and_saveexec_b64 s[28:29], s[30:31]
; %bb.486:
	s_xor_b64 s[24:25], exec, -1
; %bb.487:
	s_or_b64 exec, exec, s[28:29]
	s_and_b64 s[24:25], s[24:25], exec
	s_or_saveexec_b64 s[26:27], s[26:27]
	v_mov_b32_e32 v8, 0x7f800001
	s_xor_b64 exec, exec, s[26:27]
	s_cbranch_execz .LBB290_206
.LBB290_488:
	v_mov_b32_e32 v8, 0
	v_cmp_ne_u16_sdwa s[28:29], v7, v8 src0_sel:BYTE_0 src1_sel:DWORD
	s_andn2_b64 s[24:25], s[24:25], exec
	s_and_b64 s[28:29], s[28:29], exec
	s_or_b64 s[24:25], s[24:25], s[28:29]
	s_or_b64 exec, exec, s[26:27]
	s_and_saveexec_b64 s[26:27], s[24:25]
	s_cbranch_execnz .LBB290_207
	s_branch .LBB290_208
.LBB290_489:
	s_movk_i32 s24, 0x80
	v_cmp_eq_u16_sdwa s[30:31], v6, s24 src0_sel:BYTE_0 src1_sel:DWORD
	s_mov_b64 s[24:25], -1
	s_and_saveexec_b64 s[28:29], s[30:31]
; %bb.490:
	s_xor_b64 s[24:25], exec, -1
; %bb.491:
	s_or_b64 exec, exec, s[28:29]
	s_and_b64 s[24:25], s[24:25], exec
	s_or_saveexec_b64 s[26:27], s[26:27]
	v_mov_b32_e32 v9, 0x7f800001
	s_xor_b64 exec, exec, s[26:27]
	s_cbranch_execz .LBB290_210
.LBB290_492:
	v_mov_b32_e32 v9, 0
	v_cmp_ne_u16_sdwa s[28:29], v6, v9 src0_sel:BYTE_0 src1_sel:DWORD
	s_andn2_b64 s[24:25], s[24:25], exec
	s_and_b64 s[28:29], s[28:29], exec
	s_or_b64 s[24:25], s[24:25], s[28:29]
	s_or_b64 exec, exec, s[26:27]
	s_and_saveexec_b64 s[26:27], s[24:25]
	s_cbranch_execnz .LBB290_211
	s_branch .LBB290_212
.LBB290_493:
	s_movk_i32 s26, 0x80
	v_cmp_eq_u16_sdwa s[34:35], v9, s26 src0_sel:BYTE_0 src1_sel:DWORD
	s_mov_b64 s[26:27], -1
	s_and_saveexec_b64 s[30:31], s[34:35]
; %bb.494:
	s_xor_b64 s[26:27], exec, -1
; %bb.495:
	s_or_b64 exec, exec, s[30:31]
	s_and_b64 s[26:27], s[26:27], exec
	s_or_saveexec_b64 s[28:29], s[28:29]
	v_mov_b32_e32 v10, 0x7f800001
	s_xor_b64 exec, exec, s[28:29]
	s_cbranch_execz .LBB290_216
.LBB290_496:
	v_mov_b32_e32 v10, 0
	v_cmp_ne_u16_sdwa s[30:31], v9, v10 src0_sel:BYTE_0 src1_sel:DWORD
	s_andn2_b64 s[26:27], s[26:27], exec
	s_and_b64 s[30:31], s[30:31], exec
	s_or_b64 s[26:27], s[26:27], s[30:31]
	s_or_b64 exec, exec, s[28:29]
	s_and_saveexec_b64 s[28:29], s[26:27]
	s_cbranch_execnz .LBB290_217
	s_branch .LBB290_218
.LBB290_497:
	s_movk_i32 s26, 0x80
	v_cmp_eq_u16_sdwa s[34:35], v8, s26 src0_sel:BYTE_0 src1_sel:DWORD
	s_mov_b64 s[26:27], -1
	s_and_saveexec_b64 s[30:31], s[34:35]
; %bb.498:
	s_xor_b64 s[26:27], exec, -1
; %bb.499:
	s_or_b64 exec, exec, s[30:31]
	s_and_b64 s[26:27], s[26:27], exec
	s_or_saveexec_b64 s[28:29], s[28:29]
	v_mov_b32_e32 v9, 0x7f800001
	s_xor_b64 exec, exec, s[28:29]
	s_cbranch_execz .LBB290_220
.LBB290_500:
	v_mov_b32_e32 v9, 0
	v_cmp_ne_u16_sdwa s[30:31], v8, v9 src0_sel:BYTE_0 src1_sel:DWORD
	s_andn2_b64 s[26:27], s[26:27], exec
	s_and_b64 s[30:31], s[30:31], exec
	s_or_b64 s[26:27], s[26:27], s[30:31]
	s_or_b64 exec, exec, s[28:29]
	s_and_saveexec_b64 s[28:29], s[26:27]
	s_cbranch_execnz .LBB290_221
	s_branch .LBB290_222
.LBB290_501:
	s_movk_i32 s28, 0x80
	v_cmp_eq_u16_e32 vcc, s28, v9
	s_mov_b64 s[28:29], -1
	s_and_saveexec_b64 s[34:35], vcc
; %bb.502:
	s_xor_b64 s[28:29], exec, -1
; %bb.503:
	s_or_b64 exec, exec, s[34:35]
	s_and_b64 s[28:29], s[28:29], exec
                                        ; implicit-def: $vgpr9
	s_or_saveexec_b64 s[30:31], s[30:31]
	v_mov_b32_e32 v8, 0x7f800001
	s_xor_b64 exec, exec, s[30:31]
	s_cbranch_execz .LBB290_226
.LBB290_504:
	v_cmp_ne_u16_e32 vcc, 0, v9
	s_andn2_b64 s[28:29], s[28:29], exec
	s_and_b64 s[34:35], vcc, exec
	v_mov_b32_e32 v8, 0
	s_or_b64 s[28:29], s[28:29], s[34:35]
	s_or_b64 exec, exec, s[30:31]
	s_and_saveexec_b64 s[30:31], s[28:29]
	s_cbranch_execnz .LBB290_227
	s_branch .LBB290_228
.LBB290_505:
	s_movk_i32 s28, 0x80
	v_cmp_eq_u16_e32 vcc, s28, v9
	s_mov_b64 s[28:29], -1
	s_and_saveexec_b64 s[34:35], vcc
; %bb.506:
	s_xor_b64 s[28:29], exec, -1
; %bb.507:
	s_or_b64 exec, exec, s[34:35]
	s_and_b64 s[28:29], s[28:29], exec
                                        ; implicit-def: $vgpr9
	s_or_saveexec_b64 s[30:31], s[30:31]
	v_mov_b32_e32 v10, 0x7f800001
	s_xor_b64 exec, exec, s[30:31]
	s_cbranch_execz .LBB290_230
.LBB290_508:
	v_cmp_ne_u16_e32 vcc, 0, v9
	s_andn2_b64 s[28:29], s[28:29], exec
	s_and_b64 s[34:35], vcc, exec
	v_mov_b32_e32 v10, 0
	s_or_b64 s[28:29], s[28:29], s[34:35]
	s_or_b64 exec, exec, s[30:31]
	s_and_saveexec_b64 s[30:31], s[28:29]
	s_cbranch_execnz .LBB290_231
	s_branch .LBB290_232
.LBB290_509:
	s_movk_i32 s30, 0x80
	v_cmp_eq_u16_sdwa s[38:39], v7, s30 src0_sel:BYTE_3 src1_sel:DWORD
	s_mov_b64 s[30:31], -1
	s_and_saveexec_b64 s[36:37], s[38:39]
; %bb.510:
	s_xor_b64 s[30:31], exec, -1
; %bb.511:
	s_or_b64 exec, exec, s[36:37]
	s_and_b64 s[30:31], s[30:31], exec
	s_or_saveexec_b64 s[34:35], s[34:35]
	v_mov_b32_e32 v8, 0x7f800001
	s_xor_b64 exec, exec, s[34:35]
	s_cbranch_execz .LBB290_236
.LBB290_512:
	v_mov_b32_e32 v8, 0
	v_cmp_ne_u16_sdwa s[36:37], v7, v8 src0_sel:BYTE_3 src1_sel:DWORD
	s_andn2_b64 s[30:31], s[30:31], exec
	s_and_b64 s[36:37], s[36:37], exec
	s_or_b64 s[30:31], s[30:31], s[36:37]
	s_or_b64 exec, exec, s[34:35]
	s_and_saveexec_b64 s[34:35], s[30:31]
	s_cbranch_execnz .LBB290_237
	s_branch .LBB290_238
.LBB290_513:
	s_movk_i32 s30, 0x80
	v_cmp_eq_u16_sdwa s[38:39], v6, s30 src0_sel:BYTE_3 src1_sel:DWORD
	s_mov_b64 s[30:31], -1
	s_and_saveexec_b64 s[36:37], s[38:39]
; %bb.514:
	s_xor_b64 s[30:31], exec, -1
; %bb.515:
	s_or_b64 exec, exec, s[36:37]
	s_and_b64 s[30:31], s[30:31], exec
	s_or_saveexec_b64 s[34:35], s[34:35]
	v_mov_b32_e32 v7, 0x7f800001
	s_xor_b64 exec, exec, s[34:35]
	s_cbranch_execz .LBB290_240
.LBB290_516:
	v_mov_b32_e32 v7, 0
	v_cmp_ne_u16_sdwa s[36:37], v6, v7 src0_sel:BYTE_3 src1_sel:DWORD
	s_andn2_b64 s[30:31], s[30:31], exec
	s_and_b64 s[36:37], s[36:37], exec
	s_or_b64 s[30:31], s[30:31], s[36:37]
	s_or_b64 exec, exec, s[34:35]
	s_and_saveexec_b64 s[34:35], s[30:31]
	s_cbranch_execnz .LBB290_241
	s_branch .LBB290_242
.LBB290_517:
	s_movk_i32 s34, 0x80
	v_cmp_eq_u16_sdwa s[40:41], v5, s34 src0_sel:BYTE_0 src1_sel:DWORD
	s_mov_b64 s[34:35], -1
	s_and_saveexec_b64 s[38:39], s[40:41]
; %bb.518:
	s_xor_b64 s[34:35], exec, -1
; %bb.519:
	s_or_b64 exec, exec, s[38:39]
	s_and_b64 s[34:35], s[34:35], exec
	s_or_saveexec_b64 s[36:37], s[36:37]
	v_mov_b32_e32 v6, 0x7f800001
	s_xor_b64 exec, exec, s[36:37]
	s_cbranch_execz .LBB290_246
.LBB290_520:
	v_mov_b32_e32 v6, 0
	v_cmp_ne_u16_sdwa s[38:39], v5, v6 src0_sel:BYTE_0 src1_sel:DWORD
	s_andn2_b64 s[34:35], s[34:35], exec
	s_and_b64 s[38:39], s[38:39], exec
	s_or_b64 s[34:35], s[34:35], s[38:39]
	s_or_b64 exec, exec, s[36:37]
	s_and_saveexec_b64 s[36:37], s[34:35]
	s_cbranch_execnz .LBB290_247
	s_branch .LBB290_248
.LBB290_521:
	s_movk_i32 s34, 0x80
	v_cmp_eq_u16_sdwa s[40:41], v4, s34 src0_sel:BYTE_0 src1_sel:DWORD
	s_mov_b64 s[34:35], -1
	s_and_saveexec_b64 s[38:39], s[40:41]
; %bb.522:
	s_xor_b64 s[34:35], exec, -1
; %bb.523:
	s_or_b64 exec, exec, s[38:39]
	s_and_b64 s[34:35], s[34:35], exec
	s_or_saveexec_b64 s[36:37], s[36:37]
	v_mov_b32_e32 v7, 0x7f800001
	s_xor_b64 exec, exec, s[36:37]
	s_cbranch_execz .LBB290_250
.LBB290_524:
	v_mov_b32_e32 v7, 0
	v_cmp_ne_u16_sdwa s[38:39], v4, v7 src0_sel:BYTE_0 src1_sel:DWORD
	s_andn2_b64 s[34:35], s[34:35], exec
	s_and_b64 s[38:39], s[38:39], exec
	s_or_b64 s[34:35], s[34:35], s[38:39]
	s_or_b64 exec, exec, s[36:37]
	s_and_saveexec_b64 s[36:37], s[34:35]
	s_cbranch_execnz .LBB290_251
	s_branch .LBB290_252
.LBB290_525:
	s_movk_i32 s36, 0x80
	v_cmp_eq_u16_sdwa s[42:43], v7, s36 src0_sel:BYTE_0 src1_sel:DWORD
	s_mov_b64 s[36:37], -1
	s_and_saveexec_b64 s[40:41], s[42:43]
; %bb.526:
	s_xor_b64 s[36:37], exec, -1
; %bb.527:
	s_or_b64 exec, exec, s[40:41]
	s_and_b64 s[36:37], s[36:37], exec
	s_or_saveexec_b64 s[38:39], s[38:39]
	v_mov_b32_e32 v8, 0x7f800001
	s_xor_b64 exec, exec, s[38:39]
	s_cbranch_execz .LBB290_256
.LBB290_528:
	v_mov_b32_e32 v8, 0
	v_cmp_ne_u16_sdwa s[40:41], v7, v8 src0_sel:BYTE_0 src1_sel:DWORD
	s_andn2_b64 s[36:37], s[36:37], exec
	s_and_b64 s[40:41], s[40:41], exec
	s_or_b64 s[36:37], s[36:37], s[40:41]
	s_or_b64 exec, exec, s[38:39]
	s_and_saveexec_b64 s[38:39], s[36:37]
	s_cbranch_execnz .LBB290_257
	s_branch .LBB290_258
.LBB290_529:
	s_movk_i32 s36, 0x80
	v_cmp_eq_u16_sdwa s[42:43], v6, s36 src0_sel:BYTE_0 src1_sel:DWORD
	s_mov_b64 s[36:37], -1
	s_and_saveexec_b64 s[40:41], s[42:43]
; %bb.530:
	s_xor_b64 s[36:37], exec, -1
; %bb.531:
	s_or_b64 exec, exec, s[40:41]
	s_and_b64 s[36:37], s[36:37], exec
	s_or_saveexec_b64 s[38:39], s[38:39]
	v_mov_b32_e32 v7, 0x7f800001
	s_xor_b64 exec, exec, s[38:39]
	s_cbranch_execz .LBB290_260
.LBB290_532:
	v_mov_b32_e32 v7, 0
	v_cmp_ne_u16_sdwa s[40:41], v6, v7 src0_sel:BYTE_0 src1_sel:DWORD
	s_andn2_b64 s[36:37], s[36:37], exec
	s_and_b64 s[40:41], s[40:41], exec
	s_or_b64 s[36:37], s[36:37], s[40:41]
	s_or_b64 exec, exec, s[38:39]
	s_and_saveexec_b64 s[38:39], s[36:37]
	s_cbranch_execnz .LBB290_261
	s_branch .LBB290_262
.LBB290_533:
	s_movk_i32 s38, 0x80
	v_cmp_eq_u16_e32 vcc, s38, v7
	s_mov_b64 s[38:39], -1
	s_and_saveexec_b64 s[42:43], vcc
; %bb.534:
	s_xor_b64 s[38:39], exec, -1
; %bb.535:
	s_or_b64 exec, exec, s[42:43]
	s_and_b64 s[38:39], s[38:39], exec
                                        ; implicit-def: $vgpr7
	s_or_saveexec_b64 s[40:41], s[40:41]
	v_mov_b32_e32 v6, 0x7f800001
	s_xor_b64 exec, exec, s[40:41]
	s_cbranch_execz .LBB290_266
.LBB290_536:
	v_cmp_ne_u16_e32 vcc, 0, v7
	s_andn2_b64 s[38:39], s[38:39], exec
	s_and_b64 s[42:43], vcc, exec
	v_mov_b32_e32 v6, 0
	s_or_b64 s[38:39], s[38:39], s[42:43]
	s_or_b64 exec, exec, s[40:41]
	s_and_saveexec_b64 s[40:41], s[38:39]
	s_cbranch_execnz .LBB290_267
	s_branch .LBB290_268
.LBB290_537:
	s_movk_i32 s38, 0x80
	v_cmp_eq_u16_e32 vcc, s38, v7
	s_mov_b64 s[38:39], -1
	s_and_saveexec_b64 s[42:43], vcc
; %bb.538:
	s_xor_b64 s[38:39], exec, -1
; %bb.539:
	s_or_b64 exec, exec, s[42:43]
	s_and_b64 s[38:39], s[38:39], exec
                                        ; implicit-def: $vgpr7
	s_or_saveexec_b64 s[40:41], s[40:41]
	v_mov_b32_e32 v8, 0x7f800001
	s_xor_b64 exec, exec, s[40:41]
	s_cbranch_execz .LBB290_270
.LBB290_540:
	v_cmp_ne_u16_e32 vcc, 0, v7
	s_andn2_b64 s[38:39], s[38:39], exec
	s_and_b64 s[42:43], vcc, exec
	v_mov_b32_e32 v8, 0
	s_or_b64 s[38:39], s[38:39], s[42:43]
	s_or_b64 exec, exec, s[40:41]
	s_and_saveexec_b64 s[40:41], s[38:39]
	s_cbranch_execnz .LBB290_271
	s_branch .LBB290_272
.LBB290_541:
	s_movk_i32 s40, 0x80
	v_cmp_eq_u16_sdwa s[46:47], v5, s40 src0_sel:BYTE_3 src1_sel:DWORD
	s_mov_b64 s[40:41], -1
	s_and_saveexec_b64 s[44:45], s[46:47]
; %bb.542:
	s_xor_b64 s[40:41], exec, -1
; %bb.543:
	s_or_b64 exec, exec, s[44:45]
	s_and_b64 s[40:41], s[40:41], exec
	s_or_saveexec_b64 s[42:43], s[42:43]
	v_mov_b32_e32 v6, 0x7f800001
	s_xor_b64 exec, exec, s[42:43]
	s_cbranch_execz .LBB290_276
.LBB290_544:
	v_mov_b32_e32 v6, 0
	v_cmp_ne_u16_sdwa s[44:45], v5, v6 src0_sel:BYTE_3 src1_sel:DWORD
	s_andn2_b64 s[40:41], s[40:41], exec
	s_and_b64 s[44:45], s[44:45], exec
	s_or_b64 s[40:41], s[40:41], s[44:45]
	s_or_b64 exec, exec, s[42:43]
	s_and_saveexec_b64 s[42:43], s[40:41]
	s_cbranch_execnz .LBB290_277
	s_branch .LBB290_278
.LBB290_545:
	s_movk_i32 s40, 0x80
	v_cmp_eq_u16_sdwa s[46:47], v4, s40 src0_sel:BYTE_3 src1_sel:DWORD
	s_mov_b64 s[40:41], -1
	s_and_saveexec_b64 s[44:45], s[46:47]
; %bb.546:
	s_xor_b64 s[40:41], exec, -1
; %bb.547:
	s_or_b64 exec, exec, s[44:45]
	s_and_b64 s[40:41], s[40:41], exec
	s_or_saveexec_b64 s[42:43], s[42:43]
	v_mov_b32_e32 v5, 0x7f800001
	s_xor_b64 exec, exec, s[42:43]
	s_cbranch_execz .LBB290_280
.LBB290_548:
	v_mov_b32_e32 v5, 0
	v_cmp_ne_u16_sdwa s[44:45], v4, v5 src0_sel:BYTE_3 src1_sel:DWORD
	s_andn2_b64 s[40:41], s[40:41], exec
	s_and_b64 s[44:45], s[44:45], exec
	s_or_b64 s[40:41], s[40:41], s[44:45]
	s_or_b64 exec, exec, s[42:43]
	s_and_saveexec_b64 s[42:43], s[40:41]
	s_cbranch_execnz .LBB290_281
	s_branch .LBB290_282
.LBB290_549:
	s_movk_i32 s42, 0x80
	v_cmp_eq_u16_sdwa s[48:49], v3, s42 src0_sel:BYTE_0 src1_sel:DWORD
	s_mov_b64 s[42:43], -1
	s_and_saveexec_b64 s[46:47], s[48:49]
; %bb.550:
	s_xor_b64 s[42:43], exec, -1
; %bb.551:
	s_or_b64 exec, exec, s[46:47]
	s_and_b64 s[42:43], s[42:43], exec
	s_or_saveexec_b64 s[44:45], s[44:45]
	v_mov_b32_e32 v4, 0x7f800001
	s_xor_b64 exec, exec, s[44:45]
	s_cbranch_execz .LBB290_286
.LBB290_552:
	v_mov_b32_e32 v4, 0
	v_cmp_ne_u16_sdwa s[46:47], v3, v4 src0_sel:BYTE_0 src1_sel:DWORD
	s_andn2_b64 s[42:43], s[42:43], exec
	s_and_b64 s[46:47], s[46:47], exec
	s_or_b64 s[42:43], s[42:43], s[46:47]
	s_or_b64 exec, exec, s[44:45]
	s_and_saveexec_b64 s[44:45], s[42:43]
	s_cbranch_execnz .LBB290_287
	s_branch .LBB290_288
.LBB290_553:
	s_movk_i32 s42, 0x80
	v_cmp_eq_u16_sdwa s[48:49], v2, s42 src0_sel:BYTE_0 src1_sel:DWORD
	s_mov_b64 s[42:43], -1
	s_and_saveexec_b64 s[46:47], s[48:49]
; %bb.554:
	s_xor_b64 s[42:43], exec, -1
; %bb.555:
	s_or_b64 exec, exec, s[46:47]
	s_and_b64 s[42:43], s[42:43], exec
	s_or_saveexec_b64 s[44:45], s[44:45]
	v_mov_b32_e32 v5, 0x7f800001
	s_xor_b64 exec, exec, s[44:45]
	s_cbranch_execz .LBB290_290
.LBB290_556:
	v_mov_b32_e32 v5, 0
	v_cmp_ne_u16_sdwa s[46:47], v2, v5 src0_sel:BYTE_0 src1_sel:DWORD
	s_andn2_b64 s[42:43], s[42:43], exec
	s_and_b64 s[46:47], s[46:47], exec
	s_or_b64 s[42:43], s[42:43], s[46:47]
	s_or_b64 exec, exec, s[44:45]
	s_and_saveexec_b64 s[44:45], s[42:43]
	s_cbranch_execnz .LBB290_291
	s_branch .LBB290_292
.LBB290_557:
	s_movk_i32 s44, 0x80
	v_cmp_eq_u16_sdwa s[50:51], v5, s44 src0_sel:BYTE_0 src1_sel:DWORD
	s_mov_b64 s[44:45], -1
	s_and_saveexec_b64 s[48:49], s[50:51]
; %bb.558:
	s_xor_b64 s[44:45], exec, -1
; %bb.559:
	s_or_b64 exec, exec, s[48:49]
	s_and_b64 s[44:45], s[44:45], exec
	s_or_saveexec_b64 s[46:47], s[46:47]
	v_mov_b32_e32 v6, 0x7f800001
	s_xor_b64 exec, exec, s[46:47]
	s_cbranch_execz .LBB290_296
.LBB290_560:
	v_mov_b32_e32 v6, 0
	v_cmp_ne_u16_sdwa s[48:49], v5, v6 src0_sel:BYTE_0 src1_sel:DWORD
	s_andn2_b64 s[44:45], s[44:45], exec
	s_and_b64 s[48:49], s[48:49], exec
	s_or_b64 s[44:45], s[44:45], s[48:49]
	s_or_b64 exec, exec, s[46:47]
	s_and_saveexec_b64 s[46:47], s[44:45]
	s_cbranch_execnz .LBB290_297
	s_branch .LBB290_298
.LBB290_561:
	s_movk_i32 s44, 0x80
	v_cmp_eq_u16_sdwa s[50:51], v4, s44 src0_sel:BYTE_0 src1_sel:DWORD
	s_mov_b64 s[44:45], -1
	s_and_saveexec_b64 s[48:49], s[50:51]
; %bb.562:
	s_xor_b64 s[44:45], exec, -1
; %bb.563:
	s_or_b64 exec, exec, s[48:49]
	s_and_b64 s[44:45], s[44:45], exec
	s_or_saveexec_b64 s[46:47], s[46:47]
	v_mov_b32_e32 v5, 0x7f800001
	s_xor_b64 exec, exec, s[46:47]
	s_cbranch_execz .LBB290_300
.LBB290_564:
	v_mov_b32_e32 v5, 0
	v_cmp_ne_u16_sdwa s[48:49], v4, v5 src0_sel:BYTE_0 src1_sel:DWORD
	s_andn2_b64 s[44:45], s[44:45], exec
	s_and_b64 s[48:49], s[48:49], exec
	s_or_b64 s[44:45], s[44:45], s[48:49]
	s_or_b64 exec, exec, s[46:47]
	s_and_saveexec_b64 s[46:47], s[44:45]
	s_cbranch_execnz .LBB290_301
	s_branch .LBB290_302
.LBB290_565:
	s_movk_i32 s46, 0x80
	v_cmp_eq_u16_e32 vcc, s46, v5
	s_mov_b64 s[46:47], -1
	s_and_saveexec_b64 s[50:51], vcc
; %bb.566:
	s_xor_b64 s[46:47], exec, -1
; %bb.567:
	s_or_b64 exec, exec, s[50:51]
	s_and_b64 s[46:47], s[46:47], exec
                                        ; implicit-def: $vgpr5
	s_or_saveexec_b64 s[48:49], s[48:49]
	v_mov_b32_e32 v4, 0x7f800001
	s_xor_b64 exec, exec, s[48:49]
	s_cbranch_execz .LBB290_306
.LBB290_568:
	v_cmp_ne_u16_e32 vcc, 0, v5
	s_andn2_b64 s[46:47], s[46:47], exec
	s_and_b64 s[50:51], vcc, exec
	v_mov_b32_e32 v4, 0
	s_or_b64 s[46:47], s[46:47], s[50:51]
	s_or_b64 exec, exec, s[48:49]
	s_and_saveexec_b64 s[48:49], s[46:47]
	s_cbranch_execnz .LBB290_307
	s_branch .LBB290_308
.LBB290_569:
	s_movk_i32 s46, 0x80
	v_cmp_eq_u16_e32 vcc, s46, v5
	s_mov_b64 s[46:47], -1
	s_and_saveexec_b64 s[50:51], vcc
; %bb.570:
	s_xor_b64 s[46:47], exec, -1
; %bb.571:
	s_or_b64 exec, exec, s[50:51]
	s_and_b64 s[46:47], s[46:47], exec
                                        ; implicit-def: $vgpr5
	s_or_saveexec_b64 s[48:49], s[48:49]
	v_mov_b32_e32 v6, 0x7f800001
	s_xor_b64 exec, exec, s[48:49]
	s_cbranch_execz .LBB290_310
.LBB290_572:
	v_cmp_ne_u16_e32 vcc, 0, v5
	s_andn2_b64 s[46:47], s[46:47], exec
	s_and_b64 s[50:51], vcc, exec
	v_mov_b32_e32 v6, 0
	s_or_b64 s[46:47], s[46:47], s[50:51]
	s_or_b64 exec, exec, s[48:49]
	s_and_saveexec_b64 s[48:49], s[46:47]
	s_cbranch_execnz .LBB290_311
	s_branch .LBB290_312
.LBB290_573:
	s_movk_i32 s4, 0x80
	v_cmp_eq_u16_sdwa s[52:53], v3, s4 src0_sel:BYTE_3 src1_sel:DWORD
	s_mov_b64 s[4:5], -1
	s_and_saveexec_b64 s[50:51], s[52:53]
; %bb.574:
	s_xor_b64 s[4:5], exec, -1
; %bb.575:
	s_or_b64 exec, exec, s[50:51]
	s_and_b64 s[4:5], s[4:5], exec
	s_or_saveexec_b64 s[48:49], s[48:49]
	v_mov_b32_e32 v4, 0x7f800001
	s_xor_b64 exec, exec, s[48:49]
	s_cbranch_execz .LBB290_316
.LBB290_576:
	v_mov_b32_e32 v4, 0
	v_cmp_ne_u16_sdwa s[50:51], v3, v4 src0_sel:BYTE_3 src1_sel:DWORD
	s_andn2_b64 s[4:5], s[4:5], exec
	s_and_b64 s[50:51], s[50:51], exec
	s_or_b64 s[4:5], s[4:5], s[50:51]
	s_or_b64 exec, exec, s[48:49]
	s_and_saveexec_b64 s[48:49], s[4:5]
	s_cbranch_execnz .LBB290_317
	s_branch .LBB290_318
.LBB290_577:
	s_movk_i32 s4, 0x80
	v_cmp_eq_u16_sdwa s[52:53], v2, s4 src0_sel:BYTE_3 src1_sel:DWORD
	s_mov_b64 s[4:5], -1
	s_and_saveexec_b64 s[50:51], s[52:53]
; %bb.578:
	s_xor_b64 s[4:5], exec, -1
; %bb.579:
	s_or_b64 exec, exec, s[50:51]
	s_and_b64 s[4:5], s[4:5], exec
	s_or_saveexec_b64 s[48:49], s[48:49]
	v_mov_b32_e32 v3, 0x7f800001
	s_xor_b64 exec, exec, s[48:49]
	s_cbranch_execz .LBB290_320
.LBB290_580:
	v_mov_b32_e32 v3, 0
	v_cmp_ne_u16_sdwa s[50:51], v2, v3 src0_sel:BYTE_3 src1_sel:DWORD
	s_andn2_b64 s[4:5], s[4:5], exec
	s_and_b64 s[50:51], s[50:51], exec
	s_or_b64 s[4:5], s[4:5], s[50:51]
	s_or_b64 exec, exec, s[48:49]
	s_and_saveexec_b64 s[48:49], s[4:5]
	s_cbranch_execnz .LBB290_321
	s_branch .LBB290_322
	.section	.rodata,"a",@progbits
	.p2align	6, 0x0
	.amdhsa_kernel _ZN2at6native29vectorized_elementwise_kernelILi4ENS0_13BinaryFunctorIN3c1015Float8_e4m3fnuzES4_bNS0_12_GLOBAL__N_116CompareEqFunctorIS4_EEEESt5arrayIPcLm3EEEEviT0_T1_
		.amdhsa_group_segment_fixed_size 0
		.amdhsa_private_segment_fixed_size 0
		.amdhsa_kernarg_size 32
		.amdhsa_user_sgpr_count 6
		.amdhsa_user_sgpr_private_segment_buffer 1
		.amdhsa_user_sgpr_dispatch_ptr 0
		.amdhsa_user_sgpr_queue_ptr 0
		.amdhsa_user_sgpr_kernarg_segment_ptr 1
		.amdhsa_user_sgpr_dispatch_id 0
		.amdhsa_user_sgpr_flat_scratch_init 0
		.amdhsa_user_sgpr_private_segment_size 0
		.amdhsa_uses_dynamic_stack 0
		.amdhsa_system_sgpr_private_segment_wavefront_offset 0
		.amdhsa_system_sgpr_workgroup_id_x 1
		.amdhsa_system_sgpr_workgroup_id_y 0
		.amdhsa_system_sgpr_workgroup_id_z 0
		.amdhsa_system_sgpr_workgroup_info 0
		.amdhsa_system_vgpr_workitem_id 0
		.amdhsa_next_free_vgpr 55
		.amdhsa_next_free_sgpr 57
		.amdhsa_reserve_vcc 1
		.amdhsa_reserve_flat_scratch 0
		.amdhsa_float_round_mode_32 0
		.amdhsa_float_round_mode_16_64 0
		.amdhsa_float_denorm_mode_32 3
		.amdhsa_float_denorm_mode_16_64 3
		.amdhsa_dx10_clamp 1
		.amdhsa_ieee_mode 1
		.amdhsa_fp16_overflow 0
		.amdhsa_exception_fp_ieee_invalid_op 0
		.amdhsa_exception_fp_denorm_src 0
		.amdhsa_exception_fp_ieee_div_zero 0
		.amdhsa_exception_fp_ieee_overflow 0
		.amdhsa_exception_fp_ieee_underflow 0
		.amdhsa_exception_fp_ieee_inexact 0
		.amdhsa_exception_int_div_zero 0
	.end_amdhsa_kernel
	.section	.text._ZN2at6native29vectorized_elementwise_kernelILi4ENS0_13BinaryFunctorIN3c1015Float8_e4m3fnuzES4_bNS0_12_GLOBAL__N_116CompareEqFunctorIS4_EEEESt5arrayIPcLm3EEEEviT0_T1_,"axG",@progbits,_ZN2at6native29vectorized_elementwise_kernelILi4ENS0_13BinaryFunctorIN3c1015Float8_e4m3fnuzES4_bNS0_12_GLOBAL__N_116CompareEqFunctorIS4_EEEESt5arrayIPcLm3EEEEviT0_T1_,comdat
.Lfunc_end290:
	.size	_ZN2at6native29vectorized_elementwise_kernelILi4ENS0_13BinaryFunctorIN3c1015Float8_e4m3fnuzES4_bNS0_12_GLOBAL__N_116CompareEqFunctorIS4_EEEESt5arrayIPcLm3EEEEviT0_T1_, .Lfunc_end290-_ZN2at6native29vectorized_elementwise_kernelILi4ENS0_13BinaryFunctorIN3c1015Float8_e4m3fnuzES4_bNS0_12_GLOBAL__N_116CompareEqFunctorIS4_EEEESt5arrayIPcLm3EEEEviT0_T1_
                                        ; -- End function
	.set _ZN2at6native29vectorized_elementwise_kernelILi4ENS0_13BinaryFunctorIN3c1015Float8_e4m3fnuzES4_bNS0_12_GLOBAL__N_116CompareEqFunctorIS4_EEEESt5arrayIPcLm3EEEEviT0_T1_.num_vgpr, max(32, .L_ZN2at6native25elementwise_kernel_helperILb0ENS0_13BinaryFunctorIN3c1015Float8_e4m3fnuzES4_bNS0_12_GLOBAL__N_116CompareEqFunctorIS4_EEEENS0_6memory8policies11unroll_baseILi256ESt5arrayIPcLm3EE23TrivialOffsetCalculatorILi2EjESF_ILi1EjENS9_15LoadWithoutCastENS9_16StoreWithoutCastELi16ELi1EEEEEvT0_T1_.num_vgpr)
	.set _ZN2at6native29vectorized_elementwise_kernelILi4ENS0_13BinaryFunctorIN3c1015Float8_e4m3fnuzES4_bNS0_12_GLOBAL__N_116CompareEqFunctorIS4_EEEESt5arrayIPcLm3EEEEviT0_T1_.num_agpr, max(0, .L_ZN2at6native25elementwise_kernel_helperILb0ENS0_13BinaryFunctorIN3c1015Float8_e4m3fnuzES4_bNS0_12_GLOBAL__N_116CompareEqFunctorIS4_EEEENS0_6memory8policies11unroll_baseILi256ESt5arrayIPcLm3EE23TrivialOffsetCalculatorILi2EjESF_ILi1EjENS9_15LoadWithoutCastENS9_16StoreWithoutCastELi16ELi1EEEEEvT0_T1_.num_agpr)
	.set _ZN2at6native29vectorized_elementwise_kernelILi4ENS0_13BinaryFunctorIN3c1015Float8_e4m3fnuzES4_bNS0_12_GLOBAL__N_116CompareEqFunctorIS4_EEEESt5arrayIPcLm3EEEEviT0_T1_.numbered_sgpr, max(54, .L_ZN2at6native25elementwise_kernel_helperILb0ENS0_13BinaryFunctorIN3c1015Float8_e4m3fnuzES4_bNS0_12_GLOBAL__N_116CompareEqFunctorIS4_EEEENS0_6memory8policies11unroll_baseILi256ESt5arrayIPcLm3EE23TrivialOffsetCalculatorILi2EjESF_ILi1EjENS9_15LoadWithoutCastENS9_16StoreWithoutCastELi16ELi1EEEEEvT0_T1_.numbered_sgpr)
	.set _ZN2at6native29vectorized_elementwise_kernelILi4ENS0_13BinaryFunctorIN3c1015Float8_e4m3fnuzES4_bNS0_12_GLOBAL__N_116CompareEqFunctorIS4_EEEESt5arrayIPcLm3EEEEviT0_T1_.num_named_barrier, max(0, .L_ZN2at6native25elementwise_kernel_helperILb0ENS0_13BinaryFunctorIN3c1015Float8_e4m3fnuzES4_bNS0_12_GLOBAL__N_116CompareEqFunctorIS4_EEEENS0_6memory8policies11unroll_baseILi256ESt5arrayIPcLm3EE23TrivialOffsetCalculatorILi2EjESF_ILi1EjENS9_15LoadWithoutCastENS9_16StoreWithoutCastELi16ELi1EEEEEvT0_T1_.num_named_barrier)
	.set _ZN2at6native29vectorized_elementwise_kernelILi4ENS0_13BinaryFunctorIN3c1015Float8_e4m3fnuzES4_bNS0_12_GLOBAL__N_116CompareEqFunctorIS4_EEEESt5arrayIPcLm3EEEEviT0_T1_.private_seg_size, 0+max(.L_ZN2at6native25elementwise_kernel_helperILb0ENS0_13BinaryFunctorIN3c1015Float8_e4m3fnuzES4_bNS0_12_GLOBAL__N_116CompareEqFunctorIS4_EEEENS0_6memory8policies11unroll_baseILi256ESt5arrayIPcLm3EE23TrivialOffsetCalculatorILi2EjESF_ILi1EjENS9_15LoadWithoutCastENS9_16StoreWithoutCastELi16ELi1EEEEEvT0_T1_.private_seg_size)
	.set _ZN2at6native29vectorized_elementwise_kernelILi4ENS0_13BinaryFunctorIN3c1015Float8_e4m3fnuzES4_bNS0_12_GLOBAL__N_116CompareEqFunctorIS4_EEEESt5arrayIPcLm3EEEEviT0_T1_.uses_vcc, or(1, .L_ZN2at6native25elementwise_kernel_helperILb0ENS0_13BinaryFunctorIN3c1015Float8_e4m3fnuzES4_bNS0_12_GLOBAL__N_116CompareEqFunctorIS4_EEEENS0_6memory8policies11unroll_baseILi256ESt5arrayIPcLm3EE23TrivialOffsetCalculatorILi2EjESF_ILi1EjENS9_15LoadWithoutCastENS9_16StoreWithoutCastELi16ELi1EEEEEvT0_T1_.uses_vcc)
	.set _ZN2at6native29vectorized_elementwise_kernelILi4ENS0_13BinaryFunctorIN3c1015Float8_e4m3fnuzES4_bNS0_12_GLOBAL__N_116CompareEqFunctorIS4_EEEESt5arrayIPcLm3EEEEviT0_T1_.uses_flat_scratch, or(0, .L_ZN2at6native25elementwise_kernel_helperILb0ENS0_13BinaryFunctorIN3c1015Float8_e4m3fnuzES4_bNS0_12_GLOBAL__N_116CompareEqFunctorIS4_EEEENS0_6memory8policies11unroll_baseILi256ESt5arrayIPcLm3EE23TrivialOffsetCalculatorILi2EjESF_ILi1EjENS9_15LoadWithoutCastENS9_16StoreWithoutCastELi16ELi1EEEEEvT0_T1_.uses_flat_scratch)
	.set _ZN2at6native29vectorized_elementwise_kernelILi4ENS0_13BinaryFunctorIN3c1015Float8_e4m3fnuzES4_bNS0_12_GLOBAL__N_116CompareEqFunctorIS4_EEEESt5arrayIPcLm3EEEEviT0_T1_.has_dyn_sized_stack, or(0, .L_ZN2at6native25elementwise_kernel_helperILb0ENS0_13BinaryFunctorIN3c1015Float8_e4m3fnuzES4_bNS0_12_GLOBAL__N_116CompareEqFunctorIS4_EEEENS0_6memory8policies11unroll_baseILi256ESt5arrayIPcLm3EE23TrivialOffsetCalculatorILi2EjESF_ILi1EjENS9_15LoadWithoutCastENS9_16StoreWithoutCastELi16ELi1EEEEEvT0_T1_.has_dyn_sized_stack)
	.set _ZN2at6native29vectorized_elementwise_kernelILi4ENS0_13BinaryFunctorIN3c1015Float8_e4m3fnuzES4_bNS0_12_GLOBAL__N_116CompareEqFunctorIS4_EEEESt5arrayIPcLm3EEEEviT0_T1_.has_recursion, or(0, .L_ZN2at6native25elementwise_kernel_helperILb0ENS0_13BinaryFunctorIN3c1015Float8_e4m3fnuzES4_bNS0_12_GLOBAL__N_116CompareEqFunctorIS4_EEEENS0_6memory8policies11unroll_baseILi256ESt5arrayIPcLm3EE23TrivialOffsetCalculatorILi2EjESF_ILi1EjENS9_15LoadWithoutCastENS9_16StoreWithoutCastELi16ELi1EEEEEvT0_T1_.has_recursion)
	.set _ZN2at6native29vectorized_elementwise_kernelILi4ENS0_13BinaryFunctorIN3c1015Float8_e4m3fnuzES4_bNS0_12_GLOBAL__N_116CompareEqFunctorIS4_EEEESt5arrayIPcLm3EEEEviT0_T1_.has_indirect_call, or(0, .L_ZN2at6native25elementwise_kernel_helperILb0ENS0_13BinaryFunctorIN3c1015Float8_e4m3fnuzES4_bNS0_12_GLOBAL__N_116CompareEqFunctorIS4_EEEENS0_6memory8policies11unroll_baseILi256ESt5arrayIPcLm3EE23TrivialOffsetCalculatorILi2EjESF_ILi1EjENS9_15LoadWithoutCastENS9_16StoreWithoutCastELi16ELi1EEEEEvT0_T1_.has_indirect_call)
	.section	.AMDGPU.csdata,"",@progbits
; Kernel info:
; codeLenInByte = 17220
; TotalNumSgprs: 61
; NumVgprs: 55
; ScratchSize: 0
; MemoryBound: 0
; FloatMode: 240
; IeeeMode: 1
; LDSByteSize: 0 bytes/workgroup (compile time only)
; SGPRBlocks: 7
; VGPRBlocks: 13
; NumSGPRsForWavesPerEU: 61
; NumVGPRsForWavesPerEU: 55
; Occupancy: 4
; WaveLimiterHint : 1
; COMPUTE_PGM_RSRC2:SCRATCH_EN: 0
; COMPUTE_PGM_RSRC2:USER_SGPR: 6
; COMPUTE_PGM_RSRC2:TRAP_HANDLER: 0
; COMPUTE_PGM_RSRC2:TGID_X_EN: 1
; COMPUTE_PGM_RSRC2:TGID_Y_EN: 0
; COMPUTE_PGM_RSRC2:TGID_Z_EN: 0
; COMPUTE_PGM_RSRC2:TIDIG_COMP_CNT: 0
	.section	.text._ZN2at6native29vectorized_elementwise_kernelILi2ENS0_13BinaryFunctorIN3c1015Float8_e4m3fnuzES4_bNS0_12_GLOBAL__N_116CompareEqFunctorIS4_EEEESt5arrayIPcLm3EEEEviT0_T1_,"axG",@progbits,_ZN2at6native29vectorized_elementwise_kernelILi2ENS0_13BinaryFunctorIN3c1015Float8_e4m3fnuzES4_bNS0_12_GLOBAL__N_116CompareEqFunctorIS4_EEEESt5arrayIPcLm3EEEEviT0_T1_,comdat
	.globl	_ZN2at6native29vectorized_elementwise_kernelILi2ENS0_13BinaryFunctorIN3c1015Float8_e4m3fnuzES4_bNS0_12_GLOBAL__N_116CompareEqFunctorIS4_EEEESt5arrayIPcLm3EEEEviT0_T1_ ; -- Begin function _ZN2at6native29vectorized_elementwise_kernelILi2ENS0_13BinaryFunctorIN3c1015Float8_e4m3fnuzES4_bNS0_12_GLOBAL__N_116CompareEqFunctorIS4_EEEESt5arrayIPcLm3EEEEviT0_T1_
	.p2align	8
	.type	_ZN2at6native29vectorized_elementwise_kernelILi2ENS0_13BinaryFunctorIN3c1015Float8_e4m3fnuzES4_bNS0_12_GLOBAL__N_116CompareEqFunctorIS4_EEEESt5arrayIPcLm3EEEEviT0_T1_,@function
_ZN2at6native29vectorized_elementwise_kernelILi2ENS0_13BinaryFunctorIN3c1015Float8_e4m3fnuzES4_bNS0_12_GLOBAL__N_116CompareEqFunctorIS4_EEEESt5arrayIPcLm3EEEEviT0_T1_: ; @_ZN2at6native29vectorized_elementwise_kernelILi2ENS0_13BinaryFunctorIN3c1015Float8_e4m3fnuzES4_bNS0_12_GLOBAL__N_116CompareEqFunctorIS4_EEEESt5arrayIPcLm3EEEEviT0_T1_
; %bb.0:
	s_load_dwordx2 s[12:13], s[4:5], 0x0
	s_load_dwordx4 s[8:11], s[4:5], 0x8
	s_load_dwordx2 s[14:15], s[4:5], 0x18
	s_add_u32 s0, s0, s7
	s_addc_u32 s1, s1, 0
	s_lshl_b32 s33, s6, 12
	s_waitcnt lgkmcnt(0)
	s_sub_i32 s7, s12, s33
	s_cmpk_gt_i32 s7, 0xfff
	s_mov_b64 s[4:5], -1
	s_mov_b32 s32, 0
	s_cbranch_scc1 .LBB291_3
; %bb.1:
	s_and_b64 vcc, exec, s[4:5]
	s_cbranch_vccnz .LBB291_324
.LBB291_2:
	s_endpgm
.LBB291_3:
	s_ashr_i32 s12, s33, 31
	s_add_u32 s4, s10, s33
	s_addc_u32 s5, s11, s12
	v_lshlrev_b32_e32 v1, 1, v0
	global_load_ushort v17, v1, s[4:5]
	global_load_ushort v15, v1, s[4:5] offset:512
	global_load_ushort v13, v1, s[4:5] offset:1024
	;; [unrolled: 1-line block ×7, first 2 shown]
	s_add_u32 s4, s14, s33
	s_addc_u32 s5, s15, s12
	global_load_ushort v16, v1, s[4:5]
	global_load_ushort v14, v1, s[4:5] offset:512
	global_load_ushort v12, v1, s[4:5] offset:1024
	global_load_ushort v10, v1, s[4:5] offset:1536
	global_load_ushort v8, v1, s[4:5] offset:2048
	global_load_ushort v6, v1, s[4:5] offset:2560
	global_load_ushort v4, v1, s[4:5] offset:3072
	global_load_ushort v2, v1, s[4:5] offset:3584
	s_cmp_lg_u32 s13, 0
	s_cselect_b64 s[18:19], -1, 0
	s_and_b64 vcc, exec, s[18:19]
	s_cbranch_vccz .LBB291_13
; %bb.4:
	s_movk_i32 s4, 0x7f
	s_waitcnt vmcnt(15)
	v_cmp_gt_i16_sdwa s[16:17], v17, s4 src0_sel:BYTE_0 src1_sel:DWORD
	s_mov_b64 s[4:5], 0
	s_and_saveexec_b64 s[20:21], s[16:17]
	s_xor_b64 s[16:17], exec, s[20:21]
	s_cbranch_execnz .LBB291_325
; %bb.5:
	s_or_saveexec_b64 s[16:17], s[16:17]
	v_mov_b32_e32 v18, 0x7f800001
	s_xor_b64 exec, exec, s[16:17]
	s_cbranch_execnz .LBB291_328
.LBB291_6:
	s_or_b64 exec, exec, s[16:17]
	s_and_saveexec_b64 s[16:17], s[4:5]
	s_cbranch_execz .LBB291_8
.LBB291_7:
	s_mov_b32 s4, 0xffff
	v_and_b32_sdwa v18, s4, v17 dst_sel:DWORD dst_unused:UNUSED_PAD src0_sel:DWORD src1_sel:BYTE_0
	v_and_b32_e32 v19, 7, v18
	v_ffbh_u32_e32 v21, v19
	v_min_u32_e32 v21, 32, v21
	v_subrev_u32_e32 v22, 28, v21
	v_bfe_u32 v20, v18, 3, 4
	v_lshlrev_b32_e32 v18, v22, v18
	v_sub_u32_e32 v21, 29, v21
	v_and_b32_e32 v18, 7, v18
	v_cmp_eq_u32_e32 vcc, 0, v20
	v_cndmask_b32_e32 v20, v20, v21, vcc
	v_cndmask_b32_e32 v18, v19, v18, vcc
	v_lshlrev_b32_e32 v19, 24, v17
	v_mov_b32_e32 v21, 0x3b800000
	v_lshlrev_b32_e32 v18, 20, v18
	v_and_b32_e32 v19, 0x80000000, v19
	v_lshl_add_u32 v20, v20, 23, v21
	v_or3_b32 v18, v19, v20, v18
.LBB291_8:
	s_or_b64 exec, exec, s[16:17]
	s_movk_i32 s4, 0x7f
	s_waitcnt vmcnt(7)
	v_cmp_gt_i16_sdwa s[16:17], v16, s4 src0_sel:BYTE_0 src1_sel:DWORD
	s_mov_b64 s[4:5], 0
	s_and_saveexec_b64 s[20:21], s[16:17]
	s_xor_b64 s[16:17], exec, s[20:21]
	s_cbranch_execnz .LBB291_329
; %bb.9:
	s_or_saveexec_b64 s[16:17], s[16:17]
	v_mov_b32_e32 v19, 0x7f800001
	s_xor_b64 exec, exec, s[16:17]
	s_cbranch_execnz .LBB291_332
.LBB291_10:
	s_or_b64 exec, exec, s[16:17]
	s_and_saveexec_b64 s[16:17], s[4:5]
	s_cbranch_execz .LBB291_12
.LBB291_11:
	s_mov_b32 s4, 0xffff
	v_and_b32_sdwa v19, s4, v16 dst_sel:DWORD dst_unused:UNUSED_PAD src0_sel:DWORD src1_sel:BYTE_0
	v_and_b32_e32 v20, 7, v19
	v_ffbh_u32_e32 v22, v20
	v_min_u32_e32 v22, 32, v22
	v_subrev_u32_e32 v23, 28, v22
	v_bfe_u32 v21, v19, 3, 4
	v_lshlrev_b32_e32 v19, v23, v19
	v_sub_u32_e32 v22, 29, v22
	v_and_b32_e32 v19, 7, v19
	v_cmp_eq_u32_e32 vcc, 0, v21
	v_cndmask_b32_e32 v21, v21, v22, vcc
	v_cndmask_b32_e32 v19, v20, v19, vcc
	v_lshlrev_b32_e32 v20, 24, v16
	v_mov_b32_e32 v22, 0x3b800000
	v_lshlrev_b32_e32 v19, 20, v19
	v_and_b32_e32 v20, 0x80000000, v20
	v_lshl_add_u32 v21, v21, 23, v22
	v_or3_b32 v19, v20, v21, v19
.LBB291_12:
	s_or_b64 exec, exec, s[16:17]
	v_cmp_neq_f32_e64 s[16:17], v18, v19
	s_branch .LBB291_23
.LBB291_13:
                                        ; implicit-def: $sgpr16_sgpr17
	s_cbranch_execz .LBB291_23
; %bb.14:
	s_movk_i32 s4, 0x7f
	s_waitcnt vmcnt(15)
	v_cmp_gt_i16_sdwa s[16:17], v17, s4 src0_sel:BYTE_0 src1_sel:DWORD
	s_mov_b64 s[4:5], 0
	s_and_saveexec_b64 s[20:21], s[16:17]
	s_xor_b64 s[16:17], exec, s[20:21]
	s_cbranch_execnz .LBB291_453
; %bb.15:
	s_or_saveexec_b64 s[16:17], s[16:17]
	v_mov_b32_e32 v18, 0x7f800001
	s_xor_b64 exec, exec, s[16:17]
	s_cbranch_execnz .LBB291_456
.LBB291_16:
	s_or_b64 exec, exec, s[16:17]
	s_and_saveexec_b64 s[16:17], s[4:5]
	s_cbranch_execz .LBB291_18
.LBB291_17:
	s_mov_b32 s4, 0xffff
	v_and_b32_sdwa v18, s4, v17 dst_sel:DWORD dst_unused:UNUSED_PAD src0_sel:DWORD src1_sel:BYTE_0
	v_and_b32_e32 v19, 7, v18
	v_ffbh_u32_e32 v21, v19
	v_min_u32_e32 v21, 32, v21
	v_subrev_u32_e32 v22, 28, v21
	v_bfe_u32 v20, v18, 3, 4
	v_lshlrev_b32_e32 v18, v22, v18
	v_sub_u32_e32 v21, 29, v21
	v_and_b32_e32 v18, 7, v18
	v_cmp_eq_u32_e32 vcc, 0, v20
	v_cndmask_b32_e32 v20, v20, v21, vcc
	v_cndmask_b32_e32 v18, v19, v18, vcc
	v_lshlrev_b32_e32 v19, 24, v17
	v_mov_b32_e32 v21, 0x3b800000
	v_lshlrev_b32_e32 v18, 20, v18
	v_and_b32_e32 v19, 0x80000000, v19
	v_lshl_add_u32 v20, v20, 23, v21
	v_or3_b32 v18, v19, v20, v18
.LBB291_18:
	s_or_b64 exec, exec, s[16:17]
	s_movk_i32 s4, 0x7f
	s_waitcnt vmcnt(7)
	v_cmp_gt_i16_sdwa s[16:17], v16, s4 src0_sel:BYTE_0 src1_sel:DWORD
	s_mov_b64 s[4:5], 0
	s_and_saveexec_b64 s[20:21], s[16:17]
	s_xor_b64 s[16:17], exec, s[20:21]
	s_cbranch_execnz .LBB291_457
; %bb.19:
	s_or_saveexec_b64 s[16:17], s[16:17]
	v_mov_b32_e32 v19, 0x7f800001
	s_xor_b64 exec, exec, s[16:17]
	s_cbranch_execnz .LBB291_460
.LBB291_20:
	s_or_b64 exec, exec, s[16:17]
	s_and_saveexec_b64 s[16:17], s[4:5]
	s_cbranch_execz .LBB291_22
.LBB291_21:
	s_mov_b32 s4, 0xffff
	v_and_b32_sdwa v19, s4, v16 dst_sel:DWORD dst_unused:UNUSED_PAD src0_sel:DWORD src1_sel:BYTE_0
	v_and_b32_e32 v20, 7, v19
	v_ffbh_u32_e32 v22, v20
	v_min_u32_e32 v22, 32, v22
	v_subrev_u32_e32 v23, 28, v22
	v_bfe_u32 v21, v19, 3, 4
	v_lshlrev_b32_e32 v19, v23, v19
	v_sub_u32_e32 v22, 29, v22
	v_and_b32_e32 v19, 7, v19
	v_cmp_eq_u32_e32 vcc, 0, v21
	v_cndmask_b32_e32 v21, v21, v22, vcc
	v_cndmask_b32_e32 v19, v20, v19, vcc
	v_lshlrev_b32_e32 v20, 24, v16
	v_mov_b32_e32 v22, 0x3b800000
	v_lshlrev_b32_e32 v19, 20, v19
	v_and_b32_e32 v20, 0x80000000, v20
	v_lshl_add_u32 v21, v21, 23, v22
	v_or3_b32 v19, v20, v21, v19
.LBB291_22:
	s_or_b64 exec, exec, s[16:17]
	v_cmp_eq_f32_e64 s[16:17], v18, v19
.LBB291_23:
	v_cndmask_b32_e64 v18, 0, 1, s[18:19]
	s_waitcnt vmcnt(15)
	v_lshrrev_b16_e32 v19, 8, v17
	v_cmp_ne_u32_e64 s[4:5], 1, v18
	s_andn2_b64 vcc, exec, s[18:19]
	s_waitcnt vmcnt(7)
	v_lshrrev_b16_e32 v18, 8, v16
	s_cbranch_vccnz .LBB291_173
; %bb.24:
	s_movk_i32 s18, 0x7f
	v_cmp_lt_i16_e32 vcc, s18, v19
	s_mov_b64 s[18:19], 0
	s_and_saveexec_b64 s[20:21], vcc
	s_xor_b64 s[20:21], exec, s[20:21]
	s_cbranch_execnz .LBB291_333
; %bb.25:
	s_or_saveexec_b64 s[20:21], s[20:21]
	v_mov_b32_e32 v20, 0x7f800001
	s_xor_b64 exec, exec, s[20:21]
	s_cbranch_execnz .LBB291_336
.LBB291_26:
	s_or_b64 exec, exec, s[20:21]
	s_and_saveexec_b64 s[20:21], s[18:19]
	s_cbranch_execz .LBB291_28
.LBB291_27:
	v_and_b32_e32 v20, 7, v19
	v_ffbh_u32_e32 v22, v20
	v_min_u32_e32 v22, 32, v22
	v_subrev_u32_e32 v23, 28, v22
	v_bfe_u32 v21, v19, 3, 4
	v_lshlrev_b32_e32 v23, v23, v19
	v_sub_u32_e32 v22, 29, v22
	v_and_b32_e32 v23, 7, v23
	v_cmp_eq_u32_e32 vcc, 0, v21
	v_cndmask_b32_e32 v21, v21, v22, vcc
	v_cndmask_b32_e32 v20, v20, v23, vcc
	v_lshlrev_b32_e32 v22, 16, v17
	v_mov_b32_e32 v23, 0x3b800000
	v_lshlrev_b32_e32 v20, 20, v20
	v_and_b32_e32 v22, 0x80000000, v22
	v_lshl_add_u32 v21, v21, 23, v23
	v_or3_b32 v20, v22, v21, v20
.LBB291_28:
	s_or_b64 exec, exec, s[20:21]
	s_movk_i32 s18, 0x7f
	v_cmp_gt_i16_sdwa s[20:21], v16, s18 src0_sel:BYTE_1 src1_sel:DWORD
	s_mov_b64 s[18:19], 0
	s_and_saveexec_b64 s[22:23], s[20:21]
	s_xor_b64 s[20:21], exec, s[22:23]
	s_cbranch_execnz .LBB291_337
; %bb.29:
	s_or_saveexec_b64 s[20:21], s[20:21]
	v_mov_b32_e32 v21, 0x7f800001
	s_xor_b64 exec, exec, s[20:21]
	s_cbranch_execnz .LBB291_340
.LBB291_30:
	s_or_b64 exec, exec, s[20:21]
	s_and_saveexec_b64 s[20:21], s[18:19]
	s_cbranch_execz .LBB291_32
.LBB291_31:
	v_and_b32_e32 v21, 7, v18
	v_ffbh_u32_e32 v23, v21
	v_min_u32_e32 v23, 32, v23
	v_subrev_u32_e32 v24, 28, v23
	v_bfe_u32 v22, v18, 3, 4
	v_lshlrev_b32_e32 v24, v24, v18
	v_sub_u32_e32 v23, 29, v23
	v_and_b32_e32 v24, 7, v24
	v_cmp_eq_u32_e32 vcc, 0, v22
	v_cndmask_b32_e32 v22, v22, v23, vcc
	v_cndmask_b32_e32 v21, v21, v24, vcc
	v_lshlrev_b32_e32 v23, 16, v16
	v_mov_b32_e32 v24, 0x3b800000
	v_lshlrev_b32_e32 v21, 20, v21
	v_and_b32_e32 v23, 0x80000000, v23
	v_lshl_add_u32 v22, v22, 23, v24
	v_or3_b32 v21, v23, v22, v21
.LBB291_32:
	s_or_b64 exec, exec, s[20:21]
	v_cmp_neq_f32_e64 s[18:19], v20, v21
.LBB291_33:
	s_and_b64 vcc, exec, s[4:5]
	s_cbranch_vccnz .LBB291_183
.LBB291_34:
	s_movk_i32 s20, 0x7f
	v_cmp_gt_i16_sdwa s[22:23], v15, s20 src0_sel:BYTE_0 src1_sel:DWORD
	s_mov_b64 s[20:21], 0
	s_and_saveexec_b64 s[24:25], s[22:23]
	s_xor_b64 s[22:23], exec, s[24:25]
	s_cbranch_execnz .LBB291_341
; %bb.35:
	s_or_saveexec_b64 s[22:23], s[22:23]
	v_mov_b32_e32 v16, 0x7f800001
	s_xor_b64 exec, exec, s[22:23]
	s_cbranch_execnz .LBB291_344
.LBB291_36:
	s_or_b64 exec, exec, s[22:23]
	s_and_saveexec_b64 s[22:23], s[20:21]
	s_cbranch_execz .LBB291_38
.LBB291_37:
	s_mov_b32 s20, 0xffff
	v_and_b32_sdwa v16, s20, v15 dst_sel:DWORD dst_unused:UNUSED_PAD src0_sel:DWORD src1_sel:BYTE_0
	v_and_b32_e32 v17, 7, v16
	v_ffbh_u32_e32 v19, v17
	v_min_u32_e32 v19, 32, v19
	v_subrev_u32_e32 v20, 28, v19
	v_bfe_u32 v18, v16, 3, 4
	v_lshlrev_b32_e32 v16, v20, v16
	v_sub_u32_e32 v19, 29, v19
	v_and_b32_e32 v16, 7, v16
	v_cmp_eq_u32_e32 vcc, 0, v18
	v_cndmask_b32_e32 v18, v18, v19, vcc
	v_cndmask_b32_e32 v16, v17, v16, vcc
	v_lshlrev_b32_e32 v17, 24, v15
	v_mov_b32_e32 v19, 0x3b800000
	v_lshlrev_b32_e32 v16, 20, v16
	v_and_b32_e32 v17, 0x80000000, v17
	v_lshl_add_u32 v18, v18, 23, v19
	v_or3_b32 v16, v17, v18, v16
.LBB291_38:
	s_or_b64 exec, exec, s[22:23]
	s_movk_i32 s20, 0x7f
	s_waitcnt vmcnt(6)
	v_cmp_gt_i16_sdwa s[22:23], v14, s20 src0_sel:BYTE_0 src1_sel:DWORD
	s_mov_b64 s[20:21], 0
	s_and_saveexec_b64 s[24:25], s[22:23]
	s_xor_b64 s[22:23], exec, s[24:25]
	s_cbranch_execnz .LBB291_345
; %bb.39:
	s_or_saveexec_b64 s[22:23], s[22:23]
	v_mov_b32_e32 v17, 0x7f800001
	s_xor_b64 exec, exec, s[22:23]
	s_cbranch_execnz .LBB291_348
.LBB291_40:
	s_or_b64 exec, exec, s[22:23]
	s_and_saveexec_b64 s[22:23], s[20:21]
	s_cbranch_execz .LBB291_42
.LBB291_41:
	s_mov_b32 s20, 0xffff
	v_and_b32_sdwa v17, s20, v14 dst_sel:DWORD dst_unused:UNUSED_PAD src0_sel:DWORD src1_sel:BYTE_0
	v_and_b32_e32 v18, 7, v17
	v_ffbh_u32_e32 v20, v18
	v_min_u32_e32 v20, 32, v20
	v_subrev_u32_e32 v21, 28, v20
	v_bfe_u32 v19, v17, 3, 4
	v_lshlrev_b32_e32 v17, v21, v17
	v_sub_u32_e32 v20, 29, v20
	v_and_b32_e32 v17, 7, v17
	v_cmp_eq_u32_e32 vcc, 0, v19
	v_cndmask_b32_e32 v19, v19, v20, vcc
	v_cndmask_b32_e32 v17, v18, v17, vcc
	v_lshlrev_b32_e32 v18, 24, v14
	v_mov_b32_e32 v20, 0x3b800000
	v_lshlrev_b32_e32 v17, 20, v17
	v_and_b32_e32 v18, 0x80000000, v18
	v_lshl_add_u32 v19, v19, 23, v20
	v_or3_b32 v17, v18, v19, v17
.LBB291_42:
	s_or_b64 exec, exec, s[22:23]
	v_cmp_neq_f32_e64 s[20:21], v16, v17
.LBB291_43:
	v_lshrrev_b16_e32 v17, 8, v15
	s_and_b64 vcc, exec, s[4:5]
	s_waitcnt vmcnt(6)
	v_lshrrev_b16_e32 v16, 8, v14
	s_cbranch_vccnz .LBB291_193
.LBB291_44:
	s_movk_i32 s22, 0x7f
	v_cmp_lt_i16_e32 vcc, s22, v17
	s_mov_b64 s[22:23], 0
	s_and_saveexec_b64 s[24:25], vcc
	s_xor_b64 s[24:25], exec, s[24:25]
	s_cbranch_execnz .LBB291_349
; %bb.45:
	s_or_saveexec_b64 s[24:25], s[24:25]
	v_mov_b32_e32 v18, 0x7f800001
	s_xor_b64 exec, exec, s[24:25]
	s_cbranch_execnz .LBB291_352
.LBB291_46:
	s_or_b64 exec, exec, s[24:25]
	s_and_saveexec_b64 s[24:25], s[22:23]
	s_cbranch_execz .LBB291_48
.LBB291_47:
	v_and_b32_e32 v18, 7, v17
	v_ffbh_u32_e32 v20, v18
	v_min_u32_e32 v20, 32, v20
	v_subrev_u32_e32 v21, 28, v20
	v_bfe_u32 v19, v17, 3, 4
	v_lshlrev_b32_e32 v21, v21, v17
	v_sub_u32_e32 v20, 29, v20
	v_and_b32_e32 v21, 7, v21
	v_cmp_eq_u32_e32 vcc, 0, v19
	v_cndmask_b32_e32 v19, v19, v20, vcc
	v_cndmask_b32_e32 v18, v18, v21, vcc
	v_lshlrev_b32_e32 v20, 16, v15
	v_mov_b32_e32 v21, 0x3b800000
	v_lshlrev_b32_e32 v18, 20, v18
	v_and_b32_e32 v20, 0x80000000, v20
	v_lshl_add_u32 v19, v19, 23, v21
	v_or3_b32 v18, v20, v19, v18
.LBB291_48:
	s_or_b64 exec, exec, s[24:25]
	s_movk_i32 s22, 0x7f
	v_cmp_gt_i16_sdwa s[24:25], v14, s22 src0_sel:BYTE_1 src1_sel:DWORD
	s_mov_b64 s[22:23], 0
	s_and_saveexec_b64 s[26:27], s[24:25]
	s_xor_b64 s[24:25], exec, s[26:27]
	s_cbranch_execnz .LBB291_353
; %bb.49:
	s_or_saveexec_b64 s[24:25], s[24:25]
	v_mov_b32_e32 v19, 0x7f800001
	s_xor_b64 exec, exec, s[24:25]
	s_cbranch_execnz .LBB291_356
.LBB291_50:
	s_or_b64 exec, exec, s[24:25]
	s_and_saveexec_b64 s[24:25], s[22:23]
	s_cbranch_execz .LBB291_52
.LBB291_51:
	v_and_b32_e32 v19, 7, v16
	v_ffbh_u32_e32 v21, v19
	v_min_u32_e32 v21, 32, v21
	v_subrev_u32_e32 v22, 28, v21
	v_bfe_u32 v20, v16, 3, 4
	v_lshlrev_b32_e32 v22, v22, v16
	v_sub_u32_e32 v21, 29, v21
	v_and_b32_e32 v22, 7, v22
	v_cmp_eq_u32_e32 vcc, 0, v20
	v_cndmask_b32_e32 v20, v20, v21, vcc
	v_cndmask_b32_e32 v19, v19, v22, vcc
	v_lshlrev_b32_e32 v21, 16, v14
	v_mov_b32_e32 v22, 0x3b800000
	v_lshlrev_b32_e32 v19, 20, v19
	v_and_b32_e32 v21, 0x80000000, v21
	v_lshl_add_u32 v20, v20, 23, v22
	v_or3_b32 v19, v21, v20, v19
.LBB291_52:
	s_or_b64 exec, exec, s[24:25]
	v_cmp_neq_f32_e64 s[22:23], v18, v19
.LBB291_53:
	s_and_b64 vcc, exec, s[4:5]
	s_cbranch_vccnz .LBB291_203
.LBB291_54:
	s_movk_i32 s24, 0x7f
	v_cmp_gt_i16_sdwa s[26:27], v13, s24 src0_sel:BYTE_0 src1_sel:DWORD
	s_mov_b64 s[24:25], 0
	s_and_saveexec_b64 s[28:29], s[26:27]
	s_xor_b64 s[26:27], exec, s[28:29]
	s_cbranch_execnz .LBB291_357
; %bb.55:
	s_or_saveexec_b64 s[26:27], s[26:27]
	v_mov_b32_e32 v14, 0x7f800001
	s_xor_b64 exec, exec, s[26:27]
	s_cbranch_execnz .LBB291_360
.LBB291_56:
	s_or_b64 exec, exec, s[26:27]
	s_and_saveexec_b64 s[26:27], s[24:25]
	s_cbranch_execz .LBB291_58
.LBB291_57:
	s_mov_b32 s24, 0xffff
	v_and_b32_sdwa v14, s24, v13 dst_sel:DWORD dst_unused:UNUSED_PAD src0_sel:DWORD src1_sel:BYTE_0
	v_and_b32_e32 v15, 7, v14
	v_ffbh_u32_e32 v17, v15
	v_min_u32_e32 v17, 32, v17
	v_subrev_u32_e32 v18, 28, v17
	v_bfe_u32 v16, v14, 3, 4
	v_lshlrev_b32_e32 v14, v18, v14
	v_sub_u32_e32 v17, 29, v17
	v_and_b32_e32 v14, 7, v14
	v_cmp_eq_u32_e32 vcc, 0, v16
	v_cndmask_b32_e32 v16, v16, v17, vcc
	v_cndmask_b32_e32 v14, v15, v14, vcc
	v_lshlrev_b32_e32 v15, 24, v13
	v_mov_b32_e32 v17, 0x3b800000
	v_lshlrev_b32_e32 v14, 20, v14
	v_and_b32_e32 v15, 0x80000000, v15
	v_lshl_add_u32 v16, v16, 23, v17
	v_or3_b32 v14, v15, v16, v14
.LBB291_58:
	s_or_b64 exec, exec, s[26:27]
	s_movk_i32 s24, 0x7f
	s_waitcnt vmcnt(5)
	v_cmp_gt_i16_sdwa s[26:27], v12, s24 src0_sel:BYTE_0 src1_sel:DWORD
	s_mov_b64 s[24:25], 0
	s_and_saveexec_b64 s[28:29], s[26:27]
	s_xor_b64 s[26:27], exec, s[28:29]
	s_cbranch_execnz .LBB291_361
; %bb.59:
	s_or_saveexec_b64 s[26:27], s[26:27]
	v_mov_b32_e32 v15, 0x7f800001
	s_xor_b64 exec, exec, s[26:27]
	s_cbranch_execnz .LBB291_364
.LBB291_60:
	s_or_b64 exec, exec, s[26:27]
	s_and_saveexec_b64 s[26:27], s[24:25]
	s_cbranch_execz .LBB291_62
.LBB291_61:
	s_mov_b32 s24, 0xffff
	v_and_b32_sdwa v15, s24, v12 dst_sel:DWORD dst_unused:UNUSED_PAD src0_sel:DWORD src1_sel:BYTE_0
	v_and_b32_e32 v16, 7, v15
	v_ffbh_u32_e32 v18, v16
	v_min_u32_e32 v18, 32, v18
	v_subrev_u32_e32 v19, 28, v18
	v_bfe_u32 v17, v15, 3, 4
	v_lshlrev_b32_e32 v15, v19, v15
	v_sub_u32_e32 v18, 29, v18
	v_and_b32_e32 v15, 7, v15
	v_cmp_eq_u32_e32 vcc, 0, v17
	v_cndmask_b32_e32 v17, v17, v18, vcc
	v_cndmask_b32_e32 v15, v16, v15, vcc
	v_lshlrev_b32_e32 v16, 24, v12
	v_mov_b32_e32 v18, 0x3b800000
	v_lshlrev_b32_e32 v15, 20, v15
	v_and_b32_e32 v16, 0x80000000, v16
	v_lshl_add_u32 v17, v17, 23, v18
	v_or3_b32 v15, v16, v17, v15
.LBB291_62:
	s_or_b64 exec, exec, s[26:27]
	v_cmp_neq_f32_e64 s[24:25], v14, v15
.LBB291_63:
	v_lshrrev_b16_e32 v15, 8, v13
	s_and_b64 vcc, exec, s[4:5]
	s_waitcnt vmcnt(5)
	v_lshrrev_b16_e32 v14, 8, v12
	s_cbranch_vccnz .LBB291_213
.LBB291_64:
	s_movk_i32 s26, 0x7f
	v_cmp_lt_i16_e32 vcc, s26, v15
	s_mov_b64 s[26:27], 0
	s_and_saveexec_b64 s[28:29], vcc
	s_xor_b64 s[28:29], exec, s[28:29]
	s_cbranch_execnz .LBB291_365
; %bb.65:
	s_or_saveexec_b64 s[28:29], s[28:29]
	v_mov_b32_e32 v16, 0x7f800001
	s_xor_b64 exec, exec, s[28:29]
	s_cbranch_execnz .LBB291_368
.LBB291_66:
	s_or_b64 exec, exec, s[28:29]
	s_and_saveexec_b64 s[28:29], s[26:27]
	s_cbranch_execz .LBB291_68
.LBB291_67:
	v_and_b32_e32 v16, 7, v15
	v_ffbh_u32_e32 v18, v16
	v_min_u32_e32 v18, 32, v18
	v_subrev_u32_e32 v19, 28, v18
	v_bfe_u32 v17, v15, 3, 4
	v_lshlrev_b32_e32 v19, v19, v15
	v_sub_u32_e32 v18, 29, v18
	v_and_b32_e32 v19, 7, v19
	v_cmp_eq_u32_e32 vcc, 0, v17
	v_cndmask_b32_e32 v17, v17, v18, vcc
	v_cndmask_b32_e32 v16, v16, v19, vcc
	v_lshlrev_b32_e32 v18, 16, v13
	v_mov_b32_e32 v19, 0x3b800000
	v_lshlrev_b32_e32 v16, 20, v16
	v_and_b32_e32 v18, 0x80000000, v18
	v_lshl_add_u32 v17, v17, 23, v19
	v_or3_b32 v16, v18, v17, v16
.LBB291_68:
	s_or_b64 exec, exec, s[28:29]
	s_movk_i32 s26, 0x7f
	v_cmp_gt_i16_sdwa s[28:29], v12, s26 src0_sel:BYTE_1 src1_sel:DWORD
	s_mov_b64 s[26:27], 0
	s_and_saveexec_b64 s[30:31], s[28:29]
	s_xor_b64 s[28:29], exec, s[30:31]
	s_cbranch_execnz .LBB291_369
; %bb.69:
	s_or_saveexec_b64 s[28:29], s[28:29]
	v_mov_b32_e32 v17, 0x7f800001
	s_xor_b64 exec, exec, s[28:29]
	s_cbranch_execnz .LBB291_372
.LBB291_70:
	s_or_b64 exec, exec, s[28:29]
	s_and_saveexec_b64 s[28:29], s[26:27]
	s_cbranch_execz .LBB291_72
.LBB291_71:
	v_and_b32_e32 v17, 7, v14
	v_ffbh_u32_e32 v19, v17
	v_min_u32_e32 v19, 32, v19
	v_subrev_u32_e32 v20, 28, v19
	v_bfe_u32 v18, v14, 3, 4
	v_lshlrev_b32_e32 v20, v20, v14
	v_sub_u32_e32 v19, 29, v19
	v_and_b32_e32 v20, 7, v20
	v_cmp_eq_u32_e32 vcc, 0, v18
	v_cndmask_b32_e32 v18, v18, v19, vcc
	v_cndmask_b32_e32 v17, v17, v20, vcc
	v_lshlrev_b32_e32 v19, 16, v12
	v_mov_b32_e32 v20, 0x3b800000
	v_lshlrev_b32_e32 v17, 20, v17
	v_and_b32_e32 v19, 0x80000000, v19
	v_lshl_add_u32 v18, v18, 23, v20
	v_or3_b32 v17, v19, v18, v17
.LBB291_72:
	s_or_b64 exec, exec, s[28:29]
	v_cmp_neq_f32_e64 s[26:27], v16, v17
.LBB291_73:
	s_and_b64 vcc, exec, s[4:5]
	s_cbranch_vccnz .LBB291_223
.LBB291_74:
	s_movk_i32 s28, 0x7f
	v_cmp_gt_i16_sdwa s[30:31], v11, s28 src0_sel:BYTE_0 src1_sel:DWORD
	s_mov_b64 s[28:29], 0
	s_and_saveexec_b64 s[34:35], s[30:31]
	s_xor_b64 s[30:31], exec, s[34:35]
	s_cbranch_execnz .LBB291_373
; %bb.75:
	s_or_saveexec_b64 s[30:31], s[30:31]
	v_mov_b32_e32 v12, 0x7f800001
	s_xor_b64 exec, exec, s[30:31]
	s_cbranch_execnz .LBB291_376
.LBB291_76:
	s_or_b64 exec, exec, s[30:31]
	s_and_saveexec_b64 s[30:31], s[28:29]
	s_cbranch_execz .LBB291_78
.LBB291_77:
	s_mov_b32 s28, 0xffff
	v_and_b32_sdwa v12, s28, v11 dst_sel:DWORD dst_unused:UNUSED_PAD src0_sel:DWORD src1_sel:BYTE_0
	v_and_b32_e32 v13, 7, v12
	v_ffbh_u32_e32 v15, v13
	v_min_u32_e32 v15, 32, v15
	v_subrev_u32_e32 v16, 28, v15
	v_bfe_u32 v14, v12, 3, 4
	v_lshlrev_b32_e32 v12, v16, v12
	v_sub_u32_e32 v15, 29, v15
	v_and_b32_e32 v12, 7, v12
	v_cmp_eq_u32_e32 vcc, 0, v14
	v_cndmask_b32_e32 v14, v14, v15, vcc
	v_cndmask_b32_e32 v12, v13, v12, vcc
	v_lshlrev_b32_e32 v13, 24, v11
	v_mov_b32_e32 v15, 0x3b800000
	v_lshlrev_b32_e32 v12, 20, v12
	v_and_b32_e32 v13, 0x80000000, v13
	v_lshl_add_u32 v14, v14, 23, v15
	v_or3_b32 v12, v13, v14, v12
.LBB291_78:
	s_or_b64 exec, exec, s[30:31]
	s_movk_i32 s28, 0x7f
	s_waitcnt vmcnt(4)
	v_cmp_gt_i16_sdwa s[30:31], v10, s28 src0_sel:BYTE_0 src1_sel:DWORD
	s_mov_b64 s[28:29], 0
	s_and_saveexec_b64 s[34:35], s[30:31]
	s_xor_b64 s[30:31], exec, s[34:35]
	s_cbranch_execnz .LBB291_377
; %bb.79:
	s_or_saveexec_b64 s[30:31], s[30:31]
	v_mov_b32_e32 v13, 0x7f800001
	s_xor_b64 exec, exec, s[30:31]
	s_cbranch_execnz .LBB291_380
.LBB291_80:
	s_or_b64 exec, exec, s[30:31]
	s_and_saveexec_b64 s[30:31], s[28:29]
	s_cbranch_execz .LBB291_82
.LBB291_81:
	s_mov_b32 s28, 0xffff
	v_and_b32_sdwa v13, s28, v10 dst_sel:DWORD dst_unused:UNUSED_PAD src0_sel:DWORD src1_sel:BYTE_0
	v_and_b32_e32 v14, 7, v13
	v_ffbh_u32_e32 v16, v14
	v_min_u32_e32 v16, 32, v16
	v_subrev_u32_e32 v17, 28, v16
	v_bfe_u32 v15, v13, 3, 4
	v_lshlrev_b32_e32 v13, v17, v13
	v_sub_u32_e32 v16, 29, v16
	v_and_b32_e32 v13, 7, v13
	v_cmp_eq_u32_e32 vcc, 0, v15
	v_cndmask_b32_e32 v15, v15, v16, vcc
	v_cndmask_b32_e32 v13, v14, v13, vcc
	v_lshlrev_b32_e32 v14, 24, v10
	v_mov_b32_e32 v16, 0x3b800000
	v_lshlrev_b32_e32 v13, 20, v13
	v_and_b32_e32 v14, 0x80000000, v14
	v_lshl_add_u32 v15, v15, 23, v16
	v_or3_b32 v13, v14, v15, v13
.LBB291_82:
	s_or_b64 exec, exec, s[30:31]
	v_cmp_neq_f32_e64 s[28:29], v12, v13
.LBB291_83:
	v_lshrrev_b16_e32 v13, 8, v11
	s_and_b64 vcc, exec, s[4:5]
	s_waitcnt vmcnt(4)
	v_lshrrev_b16_e32 v12, 8, v10
	s_cbranch_vccnz .LBB291_233
.LBB291_84:
	s_movk_i32 s30, 0x7f
	v_cmp_lt_i16_e32 vcc, s30, v13
	s_mov_b64 s[30:31], 0
	s_and_saveexec_b64 s[34:35], vcc
	s_xor_b64 s[34:35], exec, s[34:35]
	s_cbranch_execnz .LBB291_381
; %bb.85:
	s_or_saveexec_b64 s[34:35], s[34:35]
	v_mov_b32_e32 v14, 0x7f800001
	s_xor_b64 exec, exec, s[34:35]
	s_cbranch_execnz .LBB291_384
.LBB291_86:
	s_or_b64 exec, exec, s[34:35]
	s_and_saveexec_b64 s[34:35], s[30:31]
	s_cbranch_execz .LBB291_88
.LBB291_87:
	v_and_b32_e32 v14, 7, v13
	v_ffbh_u32_e32 v16, v14
	v_min_u32_e32 v16, 32, v16
	v_subrev_u32_e32 v17, 28, v16
	v_bfe_u32 v15, v13, 3, 4
	v_lshlrev_b32_e32 v17, v17, v13
	v_sub_u32_e32 v16, 29, v16
	v_and_b32_e32 v17, 7, v17
	v_cmp_eq_u32_e32 vcc, 0, v15
	v_cndmask_b32_e32 v15, v15, v16, vcc
	v_cndmask_b32_e32 v14, v14, v17, vcc
	v_lshlrev_b32_e32 v16, 16, v11
	v_mov_b32_e32 v17, 0x3b800000
	v_lshlrev_b32_e32 v14, 20, v14
	v_and_b32_e32 v16, 0x80000000, v16
	v_lshl_add_u32 v15, v15, 23, v17
	v_or3_b32 v14, v16, v15, v14
.LBB291_88:
	s_or_b64 exec, exec, s[34:35]
	s_movk_i32 s30, 0x7f
	v_cmp_gt_i16_sdwa s[34:35], v10, s30 src0_sel:BYTE_1 src1_sel:DWORD
	s_mov_b64 s[30:31], 0
	s_and_saveexec_b64 s[36:37], s[34:35]
	s_xor_b64 s[34:35], exec, s[36:37]
	s_cbranch_execnz .LBB291_385
; %bb.89:
	s_or_saveexec_b64 s[34:35], s[34:35]
	v_mov_b32_e32 v15, 0x7f800001
	s_xor_b64 exec, exec, s[34:35]
	s_cbranch_execnz .LBB291_388
.LBB291_90:
	s_or_b64 exec, exec, s[34:35]
	s_and_saveexec_b64 s[34:35], s[30:31]
	s_cbranch_execz .LBB291_92
.LBB291_91:
	v_and_b32_e32 v15, 7, v12
	v_ffbh_u32_e32 v17, v15
	v_min_u32_e32 v17, 32, v17
	v_subrev_u32_e32 v18, 28, v17
	v_bfe_u32 v16, v12, 3, 4
	v_lshlrev_b32_e32 v18, v18, v12
	v_sub_u32_e32 v17, 29, v17
	v_and_b32_e32 v18, 7, v18
	v_cmp_eq_u32_e32 vcc, 0, v16
	v_cndmask_b32_e32 v16, v16, v17, vcc
	v_cndmask_b32_e32 v15, v15, v18, vcc
	v_lshlrev_b32_e32 v17, 16, v10
	v_mov_b32_e32 v18, 0x3b800000
	v_lshlrev_b32_e32 v15, 20, v15
	v_and_b32_e32 v17, 0x80000000, v17
	v_lshl_add_u32 v16, v16, 23, v18
	v_or3_b32 v15, v17, v16, v15
.LBB291_92:
	s_or_b64 exec, exec, s[34:35]
	v_cmp_neq_f32_e64 s[30:31], v14, v15
.LBB291_93:
	s_and_b64 vcc, exec, s[4:5]
	s_cbranch_vccnz .LBB291_243
.LBB291_94:
	s_movk_i32 s34, 0x7f
	v_cmp_gt_i16_sdwa s[36:37], v9, s34 src0_sel:BYTE_0 src1_sel:DWORD
	s_mov_b64 s[34:35], 0
	s_and_saveexec_b64 s[38:39], s[36:37]
	s_xor_b64 s[36:37], exec, s[38:39]
	s_cbranch_execnz .LBB291_389
; %bb.95:
	s_or_saveexec_b64 s[36:37], s[36:37]
	v_mov_b32_e32 v10, 0x7f800001
	s_xor_b64 exec, exec, s[36:37]
	s_cbranch_execnz .LBB291_392
.LBB291_96:
	s_or_b64 exec, exec, s[36:37]
	s_and_saveexec_b64 s[36:37], s[34:35]
	s_cbranch_execz .LBB291_98
.LBB291_97:
	s_mov_b32 s34, 0xffff
	v_and_b32_sdwa v10, s34, v9 dst_sel:DWORD dst_unused:UNUSED_PAD src0_sel:DWORD src1_sel:BYTE_0
	v_and_b32_e32 v11, 7, v10
	v_ffbh_u32_e32 v13, v11
	v_min_u32_e32 v13, 32, v13
	v_subrev_u32_e32 v14, 28, v13
	v_bfe_u32 v12, v10, 3, 4
	v_lshlrev_b32_e32 v10, v14, v10
	v_sub_u32_e32 v13, 29, v13
	v_and_b32_e32 v10, 7, v10
	v_cmp_eq_u32_e32 vcc, 0, v12
	v_cndmask_b32_e32 v12, v12, v13, vcc
	v_cndmask_b32_e32 v10, v11, v10, vcc
	v_lshlrev_b32_e32 v11, 24, v9
	v_mov_b32_e32 v13, 0x3b800000
	v_lshlrev_b32_e32 v10, 20, v10
	v_and_b32_e32 v11, 0x80000000, v11
	v_lshl_add_u32 v12, v12, 23, v13
	v_or3_b32 v10, v11, v12, v10
.LBB291_98:
	s_or_b64 exec, exec, s[36:37]
	s_movk_i32 s34, 0x7f
	s_waitcnt vmcnt(3)
	v_cmp_gt_i16_sdwa s[36:37], v8, s34 src0_sel:BYTE_0 src1_sel:DWORD
	s_mov_b64 s[34:35], 0
	s_and_saveexec_b64 s[38:39], s[36:37]
	s_xor_b64 s[36:37], exec, s[38:39]
	s_cbranch_execnz .LBB291_393
; %bb.99:
	s_or_saveexec_b64 s[36:37], s[36:37]
	v_mov_b32_e32 v11, 0x7f800001
	s_xor_b64 exec, exec, s[36:37]
	s_cbranch_execnz .LBB291_396
.LBB291_100:
	s_or_b64 exec, exec, s[36:37]
	s_and_saveexec_b64 s[36:37], s[34:35]
	s_cbranch_execz .LBB291_102
.LBB291_101:
	s_mov_b32 s34, 0xffff
	v_and_b32_sdwa v11, s34, v8 dst_sel:DWORD dst_unused:UNUSED_PAD src0_sel:DWORD src1_sel:BYTE_0
	v_and_b32_e32 v12, 7, v11
	v_ffbh_u32_e32 v14, v12
	v_min_u32_e32 v14, 32, v14
	v_subrev_u32_e32 v15, 28, v14
	v_bfe_u32 v13, v11, 3, 4
	v_lshlrev_b32_e32 v11, v15, v11
	v_sub_u32_e32 v14, 29, v14
	v_and_b32_e32 v11, 7, v11
	v_cmp_eq_u32_e32 vcc, 0, v13
	v_cndmask_b32_e32 v13, v13, v14, vcc
	v_cndmask_b32_e32 v11, v12, v11, vcc
	v_lshlrev_b32_e32 v12, 24, v8
	v_mov_b32_e32 v14, 0x3b800000
	v_lshlrev_b32_e32 v11, 20, v11
	v_and_b32_e32 v12, 0x80000000, v12
	v_lshl_add_u32 v13, v13, 23, v14
	v_or3_b32 v11, v12, v13, v11
.LBB291_102:
	s_or_b64 exec, exec, s[36:37]
	v_cmp_neq_f32_e64 s[34:35], v10, v11
.LBB291_103:
	v_lshrrev_b16_e32 v11, 8, v9
	s_and_b64 vcc, exec, s[4:5]
	s_waitcnt vmcnt(3)
	v_lshrrev_b16_e32 v10, 8, v8
	s_cbranch_vccnz .LBB291_253
.LBB291_104:
	s_movk_i32 s36, 0x7f
	v_cmp_lt_i16_e32 vcc, s36, v11
	s_mov_b64 s[36:37], 0
	s_and_saveexec_b64 s[38:39], vcc
	s_xor_b64 s[38:39], exec, s[38:39]
	s_cbranch_execnz .LBB291_397
; %bb.105:
	s_or_saveexec_b64 s[38:39], s[38:39]
	v_mov_b32_e32 v12, 0x7f800001
	s_xor_b64 exec, exec, s[38:39]
	s_cbranch_execnz .LBB291_400
.LBB291_106:
	s_or_b64 exec, exec, s[38:39]
	s_and_saveexec_b64 s[38:39], s[36:37]
	s_cbranch_execz .LBB291_108
.LBB291_107:
	v_and_b32_e32 v12, 7, v11
	v_ffbh_u32_e32 v14, v12
	v_min_u32_e32 v14, 32, v14
	v_subrev_u32_e32 v15, 28, v14
	v_bfe_u32 v13, v11, 3, 4
	v_lshlrev_b32_e32 v15, v15, v11
	v_sub_u32_e32 v14, 29, v14
	v_and_b32_e32 v15, 7, v15
	v_cmp_eq_u32_e32 vcc, 0, v13
	v_cndmask_b32_e32 v13, v13, v14, vcc
	v_cndmask_b32_e32 v12, v12, v15, vcc
	v_lshlrev_b32_e32 v14, 16, v9
	v_mov_b32_e32 v15, 0x3b800000
	v_lshlrev_b32_e32 v12, 20, v12
	v_and_b32_e32 v14, 0x80000000, v14
	v_lshl_add_u32 v13, v13, 23, v15
	v_or3_b32 v12, v14, v13, v12
.LBB291_108:
	s_or_b64 exec, exec, s[38:39]
	s_movk_i32 s36, 0x7f
	v_cmp_gt_i16_sdwa s[38:39], v8, s36 src0_sel:BYTE_1 src1_sel:DWORD
	s_mov_b64 s[36:37], 0
	s_and_saveexec_b64 s[40:41], s[38:39]
	s_xor_b64 s[38:39], exec, s[40:41]
	s_cbranch_execnz .LBB291_401
; %bb.109:
	s_or_saveexec_b64 s[38:39], s[38:39]
	v_mov_b32_e32 v13, 0x7f800001
	s_xor_b64 exec, exec, s[38:39]
	s_cbranch_execnz .LBB291_404
.LBB291_110:
	s_or_b64 exec, exec, s[38:39]
	s_and_saveexec_b64 s[38:39], s[36:37]
	s_cbranch_execz .LBB291_112
.LBB291_111:
	v_and_b32_e32 v13, 7, v10
	v_ffbh_u32_e32 v15, v13
	v_min_u32_e32 v15, 32, v15
	v_subrev_u32_e32 v16, 28, v15
	v_bfe_u32 v14, v10, 3, 4
	v_lshlrev_b32_e32 v16, v16, v10
	v_sub_u32_e32 v15, 29, v15
	v_and_b32_e32 v16, 7, v16
	v_cmp_eq_u32_e32 vcc, 0, v14
	v_cndmask_b32_e32 v14, v14, v15, vcc
	v_cndmask_b32_e32 v13, v13, v16, vcc
	v_lshlrev_b32_e32 v15, 16, v8
	v_mov_b32_e32 v16, 0x3b800000
	v_lshlrev_b32_e32 v13, 20, v13
	v_and_b32_e32 v15, 0x80000000, v15
	v_lshl_add_u32 v14, v14, 23, v16
	v_or3_b32 v13, v15, v14, v13
.LBB291_112:
	s_or_b64 exec, exec, s[38:39]
	v_cmp_neq_f32_e64 s[36:37], v12, v13
.LBB291_113:
	s_and_b64 vcc, exec, s[4:5]
	s_cbranch_vccnz .LBB291_263
.LBB291_114:
	s_movk_i32 s38, 0x7f
	v_cmp_gt_i16_sdwa s[40:41], v7, s38 src0_sel:BYTE_0 src1_sel:DWORD
	s_mov_b64 s[38:39], 0
	s_and_saveexec_b64 s[42:43], s[40:41]
	s_xor_b64 s[40:41], exec, s[42:43]
	s_cbranch_execnz .LBB291_405
; %bb.115:
	s_or_saveexec_b64 s[40:41], s[40:41]
	v_mov_b32_e32 v8, 0x7f800001
	s_xor_b64 exec, exec, s[40:41]
	s_cbranch_execnz .LBB291_408
.LBB291_116:
	s_or_b64 exec, exec, s[40:41]
	s_and_saveexec_b64 s[40:41], s[38:39]
	s_cbranch_execz .LBB291_118
.LBB291_117:
	s_mov_b32 s38, 0xffff
	v_and_b32_sdwa v8, s38, v7 dst_sel:DWORD dst_unused:UNUSED_PAD src0_sel:DWORD src1_sel:BYTE_0
	v_and_b32_e32 v9, 7, v8
	v_ffbh_u32_e32 v11, v9
	v_min_u32_e32 v11, 32, v11
	v_subrev_u32_e32 v12, 28, v11
	v_bfe_u32 v10, v8, 3, 4
	v_lshlrev_b32_e32 v8, v12, v8
	v_sub_u32_e32 v11, 29, v11
	v_and_b32_e32 v8, 7, v8
	v_cmp_eq_u32_e32 vcc, 0, v10
	v_cndmask_b32_e32 v10, v10, v11, vcc
	v_cndmask_b32_e32 v8, v9, v8, vcc
	v_lshlrev_b32_e32 v9, 24, v7
	v_mov_b32_e32 v11, 0x3b800000
	v_lshlrev_b32_e32 v8, 20, v8
	v_and_b32_e32 v9, 0x80000000, v9
	v_lshl_add_u32 v10, v10, 23, v11
	v_or3_b32 v8, v9, v10, v8
.LBB291_118:
	s_or_b64 exec, exec, s[40:41]
	s_movk_i32 s38, 0x7f
	s_waitcnt vmcnt(2)
	v_cmp_gt_i16_sdwa s[40:41], v6, s38 src0_sel:BYTE_0 src1_sel:DWORD
	s_mov_b64 s[38:39], 0
	s_and_saveexec_b64 s[42:43], s[40:41]
	s_xor_b64 s[40:41], exec, s[42:43]
	s_cbranch_execnz .LBB291_409
; %bb.119:
	s_or_saveexec_b64 s[40:41], s[40:41]
	v_mov_b32_e32 v9, 0x7f800001
	s_xor_b64 exec, exec, s[40:41]
	s_cbranch_execnz .LBB291_412
.LBB291_120:
	s_or_b64 exec, exec, s[40:41]
	s_and_saveexec_b64 s[40:41], s[38:39]
	s_cbranch_execz .LBB291_122
.LBB291_121:
	s_mov_b32 s38, 0xffff
	v_and_b32_sdwa v9, s38, v6 dst_sel:DWORD dst_unused:UNUSED_PAD src0_sel:DWORD src1_sel:BYTE_0
	v_and_b32_e32 v10, 7, v9
	v_ffbh_u32_e32 v12, v10
	v_min_u32_e32 v12, 32, v12
	v_subrev_u32_e32 v13, 28, v12
	v_bfe_u32 v11, v9, 3, 4
	v_lshlrev_b32_e32 v9, v13, v9
	v_sub_u32_e32 v12, 29, v12
	v_and_b32_e32 v9, 7, v9
	v_cmp_eq_u32_e32 vcc, 0, v11
	v_cndmask_b32_e32 v11, v11, v12, vcc
	v_cndmask_b32_e32 v9, v10, v9, vcc
	v_lshlrev_b32_e32 v10, 24, v6
	v_mov_b32_e32 v12, 0x3b800000
	v_lshlrev_b32_e32 v9, 20, v9
	v_and_b32_e32 v10, 0x80000000, v10
	v_lshl_add_u32 v11, v11, 23, v12
	v_or3_b32 v9, v10, v11, v9
.LBB291_122:
	s_or_b64 exec, exec, s[40:41]
	v_cmp_neq_f32_e64 s[38:39], v8, v9
.LBB291_123:
	v_lshrrev_b16_e32 v9, 8, v7
	s_and_b64 vcc, exec, s[4:5]
	s_waitcnt vmcnt(2)
	v_lshrrev_b16_e32 v8, 8, v6
	s_cbranch_vccnz .LBB291_273
.LBB291_124:
	s_movk_i32 s40, 0x7f
	v_cmp_lt_i16_e32 vcc, s40, v9
	s_mov_b64 s[40:41], 0
	s_and_saveexec_b64 s[42:43], vcc
	s_xor_b64 s[42:43], exec, s[42:43]
	s_cbranch_execnz .LBB291_413
; %bb.125:
	s_or_saveexec_b64 s[42:43], s[42:43]
	v_mov_b32_e32 v10, 0x7f800001
	s_xor_b64 exec, exec, s[42:43]
	s_cbranch_execnz .LBB291_416
.LBB291_126:
	s_or_b64 exec, exec, s[42:43]
	s_and_saveexec_b64 s[42:43], s[40:41]
	s_cbranch_execz .LBB291_128
.LBB291_127:
	v_and_b32_e32 v10, 7, v9
	v_ffbh_u32_e32 v12, v10
	v_min_u32_e32 v12, 32, v12
	v_subrev_u32_e32 v13, 28, v12
	v_bfe_u32 v11, v9, 3, 4
	v_lshlrev_b32_e32 v13, v13, v9
	v_sub_u32_e32 v12, 29, v12
	v_and_b32_e32 v13, 7, v13
	v_cmp_eq_u32_e32 vcc, 0, v11
	v_cndmask_b32_e32 v11, v11, v12, vcc
	v_cndmask_b32_e32 v10, v10, v13, vcc
	v_lshlrev_b32_e32 v12, 16, v7
	v_mov_b32_e32 v13, 0x3b800000
	v_lshlrev_b32_e32 v10, 20, v10
	v_and_b32_e32 v12, 0x80000000, v12
	v_lshl_add_u32 v11, v11, 23, v13
	v_or3_b32 v10, v12, v11, v10
.LBB291_128:
	s_or_b64 exec, exec, s[42:43]
	s_movk_i32 s40, 0x7f
	v_cmp_gt_i16_sdwa s[42:43], v6, s40 src0_sel:BYTE_1 src1_sel:DWORD
	s_mov_b64 s[40:41], 0
	s_and_saveexec_b64 s[44:45], s[42:43]
	s_xor_b64 s[42:43], exec, s[44:45]
	s_cbranch_execnz .LBB291_417
; %bb.129:
	s_or_saveexec_b64 s[42:43], s[42:43]
	v_mov_b32_e32 v11, 0x7f800001
	s_xor_b64 exec, exec, s[42:43]
	s_cbranch_execnz .LBB291_420
.LBB291_130:
	s_or_b64 exec, exec, s[42:43]
	s_and_saveexec_b64 s[42:43], s[40:41]
	s_cbranch_execz .LBB291_132
.LBB291_131:
	v_and_b32_e32 v11, 7, v8
	v_ffbh_u32_e32 v13, v11
	v_min_u32_e32 v13, 32, v13
	v_subrev_u32_e32 v14, 28, v13
	v_bfe_u32 v12, v8, 3, 4
	v_lshlrev_b32_e32 v14, v14, v8
	v_sub_u32_e32 v13, 29, v13
	v_and_b32_e32 v14, 7, v14
	v_cmp_eq_u32_e32 vcc, 0, v12
	v_cndmask_b32_e32 v12, v12, v13, vcc
	v_cndmask_b32_e32 v11, v11, v14, vcc
	v_lshlrev_b32_e32 v13, 16, v6
	v_mov_b32_e32 v14, 0x3b800000
	v_lshlrev_b32_e32 v11, 20, v11
	v_and_b32_e32 v13, 0x80000000, v13
	v_lshl_add_u32 v12, v12, 23, v14
	v_or3_b32 v11, v13, v12, v11
.LBB291_132:
	s_or_b64 exec, exec, s[42:43]
	v_cmp_neq_f32_e64 s[40:41], v10, v11
.LBB291_133:
	s_and_b64 vcc, exec, s[4:5]
	s_cbranch_vccnz .LBB291_283
.LBB291_134:
	s_movk_i32 s42, 0x7f
	v_cmp_gt_i16_sdwa s[44:45], v5, s42 src0_sel:BYTE_0 src1_sel:DWORD
	s_mov_b64 s[42:43], 0
	s_and_saveexec_b64 s[46:47], s[44:45]
	s_xor_b64 s[44:45], exec, s[46:47]
	s_cbranch_execnz .LBB291_421
; %bb.135:
	s_or_saveexec_b64 s[44:45], s[44:45]
	v_mov_b32_e32 v6, 0x7f800001
	s_xor_b64 exec, exec, s[44:45]
	s_cbranch_execnz .LBB291_424
.LBB291_136:
	s_or_b64 exec, exec, s[44:45]
	s_and_saveexec_b64 s[44:45], s[42:43]
	s_cbranch_execz .LBB291_138
.LBB291_137:
	s_mov_b32 s42, 0xffff
	v_and_b32_sdwa v6, s42, v5 dst_sel:DWORD dst_unused:UNUSED_PAD src0_sel:DWORD src1_sel:BYTE_0
	v_and_b32_e32 v7, 7, v6
	v_ffbh_u32_e32 v9, v7
	v_min_u32_e32 v9, 32, v9
	v_subrev_u32_e32 v10, 28, v9
	v_bfe_u32 v8, v6, 3, 4
	v_lshlrev_b32_e32 v6, v10, v6
	v_sub_u32_e32 v9, 29, v9
	v_and_b32_e32 v6, 7, v6
	v_cmp_eq_u32_e32 vcc, 0, v8
	v_cndmask_b32_e32 v8, v8, v9, vcc
	v_cndmask_b32_e32 v6, v7, v6, vcc
	v_lshlrev_b32_e32 v7, 24, v5
	v_mov_b32_e32 v9, 0x3b800000
	v_lshlrev_b32_e32 v6, 20, v6
	v_and_b32_e32 v7, 0x80000000, v7
	v_lshl_add_u32 v8, v8, 23, v9
	v_or3_b32 v6, v7, v8, v6
.LBB291_138:
	s_or_b64 exec, exec, s[44:45]
	s_movk_i32 s42, 0x7f
	s_waitcnt vmcnt(1)
	v_cmp_gt_i16_sdwa s[44:45], v4, s42 src0_sel:BYTE_0 src1_sel:DWORD
	s_mov_b64 s[42:43], 0
	s_and_saveexec_b64 s[46:47], s[44:45]
	s_xor_b64 s[44:45], exec, s[46:47]
	s_cbranch_execnz .LBB291_425
; %bb.139:
	s_or_saveexec_b64 s[44:45], s[44:45]
	v_mov_b32_e32 v7, 0x7f800001
	s_xor_b64 exec, exec, s[44:45]
	s_cbranch_execnz .LBB291_428
.LBB291_140:
	s_or_b64 exec, exec, s[44:45]
	s_and_saveexec_b64 s[44:45], s[42:43]
	s_cbranch_execz .LBB291_142
.LBB291_141:
	s_mov_b32 s42, 0xffff
	v_and_b32_sdwa v7, s42, v4 dst_sel:DWORD dst_unused:UNUSED_PAD src0_sel:DWORD src1_sel:BYTE_0
	v_and_b32_e32 v8, 7, v7
	v_ffbh_u32_e32 v10, v8
	v_min_u32_e32 v10, 32, v10
	v_subrev_u32_e32 v11, 28, v10
	v_bfe_u32 v9, v7, 3, 4
	v_lshlrev_b32_e32 v7, v11, v7
	v_sub_u32_e32 v10, 29, v10
	v_and_b32_e32 v7, 7, v7
	v_cmp_eq_u32_e32 vcc, 0, v9
	v_cndmask_b32_e32 v9, v9, v10, vcc
	v_cndmask_b32_e32 v7, v8, v7, vcc
	v_lshlrev_b32_e32 v8, 24, v4
	v_mov_b32_e32 v10, 0x3b800000
	v_lshlrev_b32_e32 v7, 20, v7
	v_and_b32_e32 v8, 0x80000000, v8
	v_lshl_add_u32 v9, v9, 23, v10
	v_or3_b32 v7, v8, v9, v7
.LBB291_142:
	s_or_b64 exec, exec, s[44:45]
	v_cmp_neq_f32_e64 s[42:43], v6, v7
.LBB291_143:
	v_lshrrev_b16_e32 v7, 8, v5
	s_and_b64 vcc, exec, s[4:5]
	s_waitcnt vmcnt(1)
	v_lshrrev_b16_e32 v6, 8, v4
	s_cbranch_vccnz .LBB291_293
.LBB291_144:
	s_movk_i32 s44, 0x7f
	v_cmp_lt_i16_e32 vcc, s44, v7
	s_mov_b64 s[44:45], 0
	s_and_saveexec_b64 s[46:47], vcc
	s_xor_b64 s[46:47], exec, s[46:47]
	s_cbranch_execnz .LBB291_429
; %bb.145:
	s_or_saveexec_b64 s[46:47], s[46:47]
	v_mov_b32_e32 v8, 0x7f800001
	s_xor_b64 exec, exec, s[46:47]
	s_cbranch_execnz .LBB291_432
.LBB291_146:
	s_or_b64 exec, exec, s[46:47]
	s_and_saveexec_b64 s[46:47], s[44:45]
	s_cbranch_execz .LBB291_148
.LBB291_147:
	v_and_b32_e32 v8, 7, v7
	v_ffbh_u32_e32 v10, v8
	v_min_u32_e32 v10, 32, v10
	v_subrev_u32_e32 v11, 28, v10
	v_bfe_u32 v9, v7, 3, 4
	v_lshlrev_b32_e32 v11, v11, v7
	v_sub_u32_e32 v10, 29, v10
	v_and_b32_e32 v11, 7, v11
	v_cmp_eq_u32_e32 vcc, 0, v9
	v_cndmask_b32_e32 v9, v9, v10, vcc
	v_cndmask_b32_e32 v8, v8, v11, vcc
	v_lshlrev_b32_e32 v10, 16, v5
	v_mov_b32_e32 v11, 0x3b800000
	v_lshlrev_b32_e32 v8, 20, v8
	v_and_b32_e32 v10, 0x80000000, v10
	v_lshl_add_u32 v9, v9, 23, v11
	v_or3_b32 v8, v10, v9, v8
.LBB291_148:
	s_or_b64 exec, exec, s[46:47]
	s_movk_i32 s44, 0x7f
	v_cmp_gt_i16_sdwa s[46:47], v4, s44 src0_sel:BYTE_1 src1_sel:DWORD
	s_mov_b64 s[44:45], 0
	s_and_saveexec_b64 s[48:49], s[46:47]
	s_xor_b64 s[46:47], exec, s[48:49]
	s_cbranch_execnz .LBB291_433
; %bb.149:
	s_or_saveexec_b64 s[46:47], s[46:47]
	v_mov_b32_e32 v9, 0x7f800001
	s_xor_b64 exec, exec, s[46:47]
	s_cbranch_execnz .LBB291_436
.LBB291_150:
	s_or_b64 exec, exec, s[46:47]
	s_and_saveexec_b64 s[46:47], s[44:45]
	s_cbranch_execz .LBB291_152
.LBB291_151:
	v_and_b32_e32 v9, 7, v6
	v_ffbh_u32_e32 v11, v9
	v_min_u32_e32 v11, 32, v11
	v_subrev_u32_e32 v12, 28, v11
	v_bfe_u32 v10, v6, 3, 4
	v_lshlrev_b32_e32 v12, v12, v6
	v_sub_u32_e32 v11, 29, v11
	v_and_b32_e32 v12, 7, v12
	v_cmp_eq_u32_e32 vcc, 0, v10
	v_cndmask_b32_e32 v10, v10, v11, vcc
	v_cndmask_b32_e32 v9, v9, v12, vcc
	v_lshlrev_b32_e32 v11, 16, v4
	v_mov_b32_e32 v12, 0x3b800000
	v_lshlrev_b32_e32 v9, 20, v9
	v_and_b32_e32 v11, 0x80000000, v11
	v_lshl_add_u32 v10, v10, 23, v12
	v_or3_b32 v9, v11, v10, v9
.LBB291_152:
	s_or_b64 exec, exec, s[46:47]
	v_cmp_neq_f32_e64 s[44:45], v8, v9
.LBB291_153:
	s_and_b64 vcc, exec, s[4:5]
	s_cbranch_vccnz .LBB291_303
.LBB291_154:
	s_movk_i32 s46, 0x7f
	v_cmp_gt_i16_sdwa s[48:49], v3, s46 src0_sel:BYTE_0 src1_sel:DWORD
	s_mov_b64 s[46:47], 0
	s_and_saveexec_b64 s[50:51], s[48:49]
	s_xor_b64 s[48:49], exec, s[50:51]
	s_cbranch_execnz .LBB291_437
; %bb.155:
	s_or_saveexec_b64 s[48:49], s[48:49]
	v_mov_b32_e32 v4, 0x7f800001
	s_xor_b64 exec, exec, s[48:49]
	s_cbranch_execnz .LBB291_440
.LBB291_156:
	s_or_b64 exec, exec, s[48:49]
	s_and_saveexec_b64 s[48:49], s[46:47]
	s_cbranch_execz .LBB291_158
.LBB291_157:
	s_mov_b32 s46, 0xffff
	v_and_b32_sdwa v4, s46, v3 dst_sel:DWORD dst_unused:UNUSED_PAD src0_sel:DWORD src1_sel:BYTE_0
	v_and_b32_e32 v5, 7, v4
	v_ffbh_u32_e32 v7, v5
	v_min_u32_e32 v7, 32, v7
	v_subrev_u32_e32 v8, 28, v7
	v_bfe_u32 v6, v4, 3, 4
	v_lshlrev_b32_e32 v4, v8, v4
	v_sub_u32_e32 v7, 29, v7
	v_and_b32_e32 v4, 7, v4
	v_cmp_eq_u32_e32 vcc, 0, v6
	v_cndmask_b32_e32 v6, v6, v7, vcc
	v_cndmask_b32_e32 v4, v5, v4, vcc
	v_lshlrev_b32_e32 v5, 24, v3
	v_mov_b32_e32 v7, 0x3b800000
	v_lshlrev_b32_e32 v4, 20, v4
	v_and_b32_e32 v5, 0x80000000, v5
	v_lshl_add_u32 v6, v6, 23, v7
	v_or3_b32 v4, v5, v6, v4
.LBB291_158:
	s_or_b64 exec, exec, s[48:49]
	s_movk_i32 s46, 0x7f
	s_waitcnt vmcnt(0)
	v_cmp_gt_i16_sdwa s[48:49], v2, s46 src0_sel:BYTE_0 src1_sel:DWORD
	s_mov_b64 s[46:47], 0
	s_and_saveexec_b64 s[50:51], s[48:49]
	s_xor_b64 s[48:49], exec, s[50:51]
	s_cbranch_execnz .LBB291_441
; %bb.159:
	s_or_saveexec_b64 s[48:49], s[48:49]
	v_mov_b32_e32 v5, 0x7f800001
	s_xor_b64 exec, exec, s[48:49]
	s_cbranch_execnz .LBB291_444
.LBB291_160:
	s_or_b64 exec, exec, s[48:49]
	s_and_saveexec_b64 s[48:49], s[46:47]
	s_cbranch_execz .LBB291_162
.LBB291_161:
	s_mov_b32 s46, 0xffff
	v_and_b32_sdwa v5, s46, v2 dst_sel:DWORD dst_unused:UNUSED_PAD src0_sel:DWORD src1_sel:BYTE_0
	v_and_b32_e32 v6, 7, v5
	v_ffbh_u32_e32 v8, v6
	v_min_u32_e32 v8, 32, v8
	v_subrev_u32_e32 v9, 28, v8
	v_bfe_u32 v7, v5, 3, 4
	v_lshlrev_b32_e32 v5, v9, v5
	v_sub_u32_e32 v8, 29, v8
	v_and_b32_e32 v5, 7, v5
	v_cmp_eq_u32_e32 vcc, 0, v7
	v_cndmask_b32_e32 v7, v7, v8, vcc
	v_cndmask_b32_e32 v5, v6, v5, vcc
	v_lshlrev_b32_e32 v6, 24, v2
	v_mov_b32_e32 v8, 0x3b800000
	v_lshlrev_b32_e32 v5, 20, v5
	v_and_b32_e32 v6, 0x80000000, v6
	v_lshl_add_u32 v7, v7, 23, v8
	v_or3_b32 v5, v6, v7, v5
.LBB291_162:
	s_or_b64 exec, exec, s[48:49]
	v_cmp_neq_f32_e64 s[46:47], v4, v5
.LBB291_163:
	v_lshrrev_b16_e32 v5, 8, v3
	s_and_b64 vcc, exec, s[4:5]
	s_waitcnt vmcnt(0)
	v_lshrrev_b16_e32 v4, 8, v2
	s_cbranch_vccnz .LBB291_313
.LBB291_164:
	s_movk_i32 s4, 0x7f
	v_cmp_lt_i16_e32 vcc, s4, v5
	s_mov_b64 s[4:5], 0
	s_and_saveexec_b64 s[48:49], vcc
	s_xor_b64 s[48:49], exec, s[48:49]
	s_cbranch_execnz .LBB291_445
; %bb.165:
	s_or_saveexec_b64 s[48:49], s[48:49]
	v_mov_b32_e32 v6, 0x7f800001
	s_xor_b64 exec, exec, s[48:49]
	s_cbranch_execnz .LBB291_448
.LBB291_166:
	s_or_b64 exec, exec, s[48:49]
	s_and_saveexec_b64 s[48:49], s[4:5]
	s_cbranch_execz .LBB291_168
.LBB291_167:
	v_and_b32_e32 v6, 7, v5
	v_ffbh_u32_e32 v8, v6
	v_min_u32_e32 v8, 32, v8
	v_subrev_u32_e32 v9, 28, v8
	v_bfe_u32 v7, v5, 3, 4
	v_lshlrev_b32_e32 v9, v9, v5
	v_sub_u32_e32 v8, 29, v8
	v_and_b32_e32 v9, 7, v9
	v_cmp_eq_u32_e32 vcc, 0, v7
	v_cndmask_b32_e32 v7, v7, v8, vcc
	v_cndmask_b32_e32 v6, v6, v9, vcc
	v_lshlrev_b32_e32 v8, 16, v3
	v_mov_b32_e32 v9, 0x3b800000
	v_lshlrev_b32_e32 v6, 20, v6
	v_and_b32_e32 v8, 0x80000000, v8
	v_lshl_add_u32 v7, v7, 23, v9
	v_or3_b32 v6, v8, v7, v6
.LBB291_168:
	s_or_b64 exec, exec, s[48:49]
	s_movk_i32 s4, 0x7f
	v_cmp_gt_i16_sdwa s[48:49], v2, s4 src0_sel:BYTE_1 src1_sel:DWORD
	s_mov_b64 s[4:5], 0
	s_and_saveexec_b64 s[50:51], s[48:49]
	s_xor_b64 s[48:49], exec, s[50:51]
	s_cbranch_execnz .LBB291_449
; %bb.169:
	s_or_saveexec_b64 s[48:49], s[48:49]
	v_mov_b32_e32 v7, 0x7f800001
	s_xor_b64 exec, exec, s[48:49]
	s_cbranch_execnz .LBB291_452
.LBB291_170:
	s_or_b64 exec, exec, s[48:49]
	s_and_saveexec_b64 s[48:49], s[4:5]
	s_cbranch_execz .LBB291_172
.LBB291_171:
	v_and_b32_e32 v7, 7, v4
	v_ffbh_u32_e32 v9, v7
	v_min_u32_e32 v9, 32, v9
	v_subrev_u32_e32 v10, 28, v9
	v_bfe_u32 v8, v4, 3, 4
	v_lshlrev_b32_e32 v10, v10, v4
	v_sub_u32_e32 v9, 29, v9
	v_and_b32_e32 v10, 7, v10
	v_cmp_eq_u32_e32 vcc, 0, v8
	v_cndmask_b32_e32 v8, v8, v9, vcc
	v_cndmask_b32_e32 v7, v7, v10, vcc
	v_lshlrev_b32_e32 v9, 16, v2
	v_mov_b32_e32 v10, 0x3b800000
	v_lshlrev_b32_e32 v7, 20, v7
	v_and_b32_e32 v9, 0x80000000, v9
	v_lshl_add_u32 v8, v8, 23, v10
	v_or3_b32 v7, v9, v8, v7
.LBB291_172:
	s_or_b64 exec, exec, s[48:49]
	v_cmp_neq_f32_e64 s[4:5], v6, v7
	s_branch .LBB291_323
.LBB291_173:
                                        ; implicit-def: $sgpr18_sgpr19
	s_cbranch_execz .LBB291_33
; %bb.174:
	s_movk_i32 s18, 0x7f
	v_cmp_gt_i16_sdwa s[20:21], v17, s18 src0_sel:BYTE_1 src1_sel:DWORD
	s_mov_b64 s[18:19], 0
	s_and_saveexec_b64 s[22:23], s[20:21]
	s_xor_b64 s[20:21], exec, s[22:23]
	s_cbranch_execnz .LBB291_461
; %bb.175:
	s_or_saveexec_b64 s[20:21], s[20:21]
	v_mov_b32_e32 v20, 0x7f800001
	s_xor_b64 exec, exec, s[20:21]
	s_cbranch_execnz .LBB291_464
.LBB291_176:
	s_or_b64 exec, exec, s[20:21]
	s_and_saveexec_b64 s[20:21], s[18:19]
	s_cbranch_execz .LBB291_178
.LBB291_177:
	v_and_b32_e32 v20, 7, v19
	v_ffbh_u32_e32 v22, v20
	v_min_u32_e32 v22, 32, v22
	v_subrev_u32_e32 v23, 28, v22
	v_bfe_u32 v21, v19, 3, 4
	v_lshlrev_b32_e32 v19, v23, v19
	v_sub_u32_e32 v22, 29, v22
	v_and_b32_e32 v19, 7, v19
	v_cmp_eq_u32_e32 vcc, 0, v21
	v_cndmask_b32_e32 v21, v21, v22, vcc
	v_cndmask_b32_e32 v19, v20, v19, vcc
	v_lshlrev_b32_e32 v17, 16, v17
	v_mov_b32_e32 v20, 0x3b800000
	v_lshlrev_b32_e32 v19, 20, v19
	v_and_b32_e32 v17, 0x80000000, v17
	v_lshl_add_u32 v20, v21, 23, v20
	v_or3_b32 v20, v17, v20, v19
.LBB291_178:
	s_or_b64 exec, exec, s[20:21]
	s_movk_i32 s18, 0x7f
	v_cmp_gt_i16_sdwa s[20:21], v16, s18 src0_sel:BYTE_1 src1_sel:DWORD
	s_mov_b64 s[18:19], 0
	s_and_saveexec_b64 s[22:23], s[20:21]
	s_xor_b64 s[20:21], exec, s[22:23]
	s_cbranch_execnz .LBB291_465
; %bb.179:
	s_or_saveexec_b64 s[20:21], s[20:21]
	v_mov_b32_e32 v17, 0x7f800001
	s_xor_b64 exec, exec, s[20:21]
	s_cbranch_execnz .LBB291_468
.LBB291_180:
	s_or_b64 exec, exec, s[20:21]
	s_and_saveexec_b64 s[20:21], s[18:19]
	s_cbranch_execz .LBB291_182
.LBB291_181:
	v_and_b32_e32 v17, 7, v18
	v_ffbh_u32_e32 v21, v17
	v_min_u32_e32 v21, 32, v21
	v_subrev_u32_e32 v22, 28, v21
	v_bfe_u32 v19, v18, 3, 4
	v_lshlrev_b32_e32 v18, v22, v18
	v_sub_u32_e32 v21, 29, v21
	v_and_b32_e32 v18, 7, v18
	v_cmp_eq_u32_e32 vcc, 0, v19
	v_cndmask_b32_e32 v19, v19, v21, vcc
	v_cndmask_b32_e32 v17, v17, v18, vcc
	v_lshlrev_b32_e32 v16, 16, v16
	v_mov_b32_e32 v18, 0x3b800000
	v_lshlrev_b32_e32 v17, 20, v17
	v_and_b32_e32 v16, 0x80000000, v16
	v_lshl_add_u32 v18, v19, 23, v18
	v_or3_b32 v17, v16, v18, v17
.LBB291_182:
	s_or_b64 exec, exec, s[20:21]
	v_cmp_eq_f32_e64 s[18:19], v20, v17
	s_and_b64 vcc, exec, s[4:5]
	s_cbranch_vccz .LBB291_34
.LBB291_183:
                                        ; implicit-def: $sgpr20_sgpr21
	s_cbranch_execz .LBB291_43
; %bb.184:
	s_movk_i32 s20, 0x7f
	v_cmp_gt_i16_sdwa s[22:23], v15, s20 src0_sel:BYTE_0 src1_sel:DWORD
	s_mov_b64 s[20:21], 0
	s_and_saveexec_b64 s[24:25], s[22:23]
	s_xor_b64 s[22:23], exec, s[24:25]
	s_cbranch_execnz .LBB291_469
; %bb.185:
	s_or_saveexec_b64 s[22:23], s[22:23]
	v_mov_b32_e32 v16, 0x7f800001
	s_xor_b64 exec, exec, s[22:23]
	s_cbranch_execnz .LBB291_472
.LBB291_186:
	s_or_b64 exec, exec, s[22:23]
	s_and_saveexec_b64 s[22:23], s[20:21]
	s_cbranch_execz .LBB291_188
.LBB291_187:
	s_mov_b32 s20, 0xffff
	v_and_b32_sdwa v16, s20, v15 dst_sel:DWORD dst_unused:UNUSED_PAD src0_sel:DWORD src1_sel:BYTE_0
	v_and_b32_e32 v17, 7, v16
	v_ffbh_u32_e32 v19, v17
	v_min_u32_e32 v19, 32, v19
	v_subrev_u32_e32 v20, 28, v19
	v_bfe_u32 v18, v16, 3, 4
	v_lshlrev_b32_e32 v16, v20, v16
	v_sub_u32_e32 v19, 29, v19
	v_and_b32_e32 v16, 7, v16
	v_cmp_eq_u32_e32 vcc, 0, v18
	v_cndmask_b32_e32 v18, v18, v19, vcc
	v_cndmask_b32_e32 v16, v17, v16, vcc
	v_lshlrev_b32_e32 v17, 24, v15
	v_mov_b32_e32 v19, 0x3b800000
	v_lshlrev_b32_e32 v16, 20, v16
	v_and_b32_e32 v17, 0x80000000, v17
	v_lshl_add_u32 v18, v18, 23, v19
	v_or3_b32 v16, v17, v18, v16
.LBB291_188:
	s_or_b64 exec, exec, s[22:23]
	s_movk_i32 s20, 0x7f
	s_waitcnt vmcnt(6)
	v_cmp_gt_i16_sdwa s[22:23], v14, s20 src0_sel:BYTE_0 src1_sel:DWORD
	s_mov_b64 s[20:21], 0
	s_and_saveexec_b64 s[24:25], s[22:23]
	s_xor_b64 s[22:23], exec, s[24:25]
	s_cbranch_execnz .LBB291_473
; %bb.189:
	s_or_saveexec_b64 s[22:23], s[22:23]
	v_mov_b32_e32 v17, 0x7f800001
	s_xor_b64 exec, exec, s[22:23]
	s_cbranch_execnz .LBB291_476
.LBB291_190:
	s_or_b64 exec, exec, s[22:23]
	s_and_saveexec_b64 s[22:23], s[20:21]
	s_cbranch_execz .LBB291_192
.LBB291_191:
	s_mov_b32 s20, 0xffff
	v_and_b32_sdwa v17, s20, v14 dst_sel:DWORD dst_unused:UNUSED_PAD src0_sel:DWORD src1_sel:BYTE_0
	v_and_b32_e32 v18, 7, v17
	v_ffbh_u32_e32 v20, v18
	v_min_u32_e32 v20, 32, v20
	v_subrev_u32_e32 v21, 28, v20
	v_bfe_u32 v19, v17, 3, 4
	v_lshlrev_b32_e32 v17, v21, v17
	v_sub_u32_e32 v20, 29, v20
	v_and_b32_e32 v17, 7, v17
	v_cmp_eq_u32_e32 vcc, 0, v19
	v_cndmask_b32_e32 v19, v19, v20, vcc
	v_cndmask_b32_e32 v17, v18, v17, vcc
	v_lshlrev_b32_e32 v18, 24, v14
	v_mov_b32_e32 v20, 0x3b800000
	v_lshlrev_b32_e32 v17, 20, v17
	v_and_b32_e32 v18, 0x80000000, v18
	v_lshl_add_u32 v19, v19, 23, v20
	v_or3_b32 v17, v18, v19, v17
.LBB291_192:
	s_or_b64 exec, exec, s[22:23]
	v_cmp_eq_f32_e64 s[20:21], v16, v17
	v_lshrrev_b16_e32 v17, 8, v15
	s_and_b64 vcc, exec, s[4:5]
	v_lshrrev_b16_e32 v16, 8, v14
	s_cbranch_vccz .LBB291_44
.LBB291_193:
                                        ; implicit-def: $sgpr22_sgpr23
	s_cbranch_execz .LBB291_53
; %bb.194:
	s_movk_i32 s22, 0x7f
	v_cmp_gt_i16_sdwa s[24:25], v15, s22 src0_sel:BYTE_1 src1_sel:DWORD
	s_mov_b64 s[22:23], 0
	s_and_saveexec_b64 s[26:27], s[24:25]
	s_xor_b64 s[24:25], exec, s[26:27]
	s_cbranch_execnz .LBB291_477
; %bb.195:
	s_or_saveexec_b64 s[24:25], s[24:25]
	v_mov_b32_e32 v18, 0x7f800001
	s_xor_b64 exec, exec, s[24:25]
	s_cbranch_execnz .LBB291_480
.LBB291_196:
	s_or_b64 exec, exec, s[24:25]
	s_and_saveexec_b64 s[24:25], s[22:23]
	s_cbranch_execz .LBB291_198
.LBB291_197:
	v_and_b32_e32 v18, 7, v17
	v_ffbh_u32_e32 v20, v18
	v_min_u32_e32 v20, 32, v20
	v_subrev_u32_e32 v21, 28, v20
	v_bfe_u32 v19, v17, 3, 4
	v_lshlrev_b32_e32 v17, v21, v17
	v_sub_u32_e32 v20, 29, v20
	v_and_b32_e32 v17, 7, v17
	v_cmp_eq_u32_e32 vcc, 0, v19
	v_cndmask_b32_e32 v19, v19, v20, vcc
	v_cndmask_b32_e32 v17, v18, v17, vcc
	v_lshlrev_b32_e32 v15, 16, v15
	v_mov_b32_e32 v18, 0x3b800000
	v_lshlrev_b32_e32 v17, 20, v17
	v_and_b32_e32 v15, 0x80000000, v15
	v_lshl_add_u32 v18, v19, 23, v18
	v_or3_b32 v18, v15, v18, v17
.LBB291_198:
	s_or_b64 exec, exec, s[24:25]
	s_movk_i32 s22, 0x7f
	v_cmp_gt_i16_sdwa s[24:25], v14, s22 src0_sel:BYTE_1 src1_sel:DWORD
	s_mov_b64 s[22:23], 0
	s_and_saveexec_b64 s[26:27], s[24:25]
	s_xor_b64 s[24:25], exec, s[26:27]
	s_cbranch_execnz .LBB291_481
; %bb.199:
	s_or_saveexec_b64 s[24:25], s[24:25]
	v_mov_b32_e32 v15, 0x7f800001
	s_xor_b64 exec, exec, s[24:25]
	s_cbranch_execnz .LBB291_484
.LBB291_200:
	s_or_b64 exec, exec, s[24:25]
	s_and_saveexec_b64 s[24:25], s[22:23]
	s_cbranch_execz .LBB291_202
.LBB291_201:
	v_and_b32_e32 v15, 7, v16
	v_ffbh_u32_e32 v19, v15
	v_min_u32_e32 v19, 32, v19
	v_subrev_u32_e32 v20, 28, v19
	v_bfe_u32 v17, v16, 3, 4
	v_lshlrev_b32_e32 v16, v20, v16
	v_sub_u32_e32 v19, 29, v19
	v_and_b32_e32 v16, 7, v16
	v_cmp_eq_u32_e32 vcc, 0, v17
	v_cndmask_b32_e32 v17, v17, v19, vcc
	v_cndmask_b32_e32 v15, v15, v16, vcc
	v_lshlrev_b32_e32 v14, 16, v14
	v_mov_b32_e32 v16, 0x3b800000
	v_lshlrev_b32_e32 v15, 20, v15
	v_and_b32_e32 v14, 0x80000000, v14
	v_lshl_add_u32 v16, v17, 23, v16
	v_or3_b32 v15, v14, v16, v15
.LBB291_202:
	s_or_b64 exec, exec, s[24:25]
	v_cmp_eq_f32_e64 s[22:23], v18, v15
	s_and_b64 vcc, exec, s[4:5]
	s_cbranch_vccz .LBB291_54
.LBB291_203:
                                        ; implicit-def: $sgpr24_sgpr25
	s_cbranch_execz .LBB291_63
; %bb.204:
	s_movk_i32 s24, 0x7f
	v_cmp_gt_i16_sdwa s[26:27], v13, s24 src0_sel:BYTE_0 src1_sel:DWORD
	s_mov_b64 s[24:25], 0
	s_and_saveexec_b64 s[28:29], s[26:27]
	s_xor_b64 s[26:27], exec, s[28:29]
	s_cbranch_execnz .LBB291_485
; %bb.205:
	s_or_saveexec_b64 s[26:27], s[26:27]
	v_mov_b32_e32 v14, 0x7f800001
	s_xor_b64 exec, exec, s[26:27]
	s_cbranch_execnz .LBB291_488
.LBB291_206:
	s_or_b64 exec, exec, s[26:27]
	s_and_saveexec_b64 s[26:27], s[24:25]
	s_cbranch_execz .LBB291_208
.LBB291_207:
	s_mov_b32 s24, 0xffff
	v_and_b32_sdwa v14, s24, v13 dst_sel:DWORD dst_unused:UNUSED_PAD src0_sel:DWORD src1_sel:BYTE_0
	v_and_b32_e32 v15, 7, v14
	v_ffbh_u32_e32 v17, v15
	v_min_u32_e32 v17, 32, v17
	v_subrev_u32_e32 v18, 28, v17
	v_bfe_u32 v16, v14, 3, 4
	v_lshlrev_b32_e32 v14, v18, v14
	v_sub_u32_e32 v17, 29, v17
	v_and_b32_e32 v14, 7, v14
	v_cmp_eq_u32_e32 vcc, 0, v16
	v_cndmask_b32_e32 v16, v16, v17, vcc
	v_cndmask_b32_e32 v14, v15, v14, vcc
	v_lshlrev_b32_e32 v15, 24, v13
	v_mov_b32_e32 v17, 0x3b800000
	v_lshlrev_b32_e32 v14, 20, v14
	v_and_b32_e32 v15, 0x80000000, v15
	v_lshl_add_u32 v16, v16, 23, v17
	v_or3_b32 v14, v15, v16, v14
.LBB291_208:
	s_or_b64 exec, exec, s[26:27]
	s_movk_i32 s24, 0x7f
	s_waitcnt vmcnt(5)
	v_cmp_gt_i16_sdwa s[26:27], v12, s24 src0_sel:BYTE_0 src1_sel:DWORD
	s_mov_b64 s[24:25], 0
	s_and_saveexec_b64 s[28:29], s[26:27]
	s_xor_b64 s[26:27], exec, s[28:29]
	s_cbranch_execnz .LBB291_489
; %bb.209:
	s_or_saveexec_b64 s[26:27], s[26:27]
	v_mov_b32_e32 v15, 0x7f800001
	s_xor_b64 exec, exec, s[26:27]
	s_cbranch_execnz .LBB291_492
.LBB291_210:
	s_or_b64 exec, exec, s[26:27]
	s_and_saveexec_b64 s[26:27], s[24:25]
	s_cbranch_execz .LBB291_212
.LBB291_211:
	s_mov_b32 s24, 0xffff
	v_and_b32_sdwa v15, s24, v12 dst_sel:DWORD dst_unused:UNUSED_PAD src0_sel:DWORD src1_sel:BYTE_0
	v_and_b32_e32 v16, 7, v15
	v_ffbh_u32_e32 v18, v16
	v_min_u32_e32 v18, 32, v18
	v_subrev_u32_e32 v19, 28, v18
	v_bfe_u32 v17, v15, 3, 4
	v_lshlrev_b32_e32 v15, v19, v15
	v_sub_u32_e32 v18, 29, v18
	v_and_b32_e32 v15, 7, v15
	v_cmp_eq_u32_e32 vcc, 0, v17
	v_cndmask_b32_e32 v17, v17, v18, vcc
	v_cndmask_b32_e32 v15, v16, v15, vcc
	v_lshlrev_b32_e32 v16, 24, v12
	v_mov_b32_e32 v18, 0x3b800000
	v_lshlrev_b32_e32 v15, 20, v15
	v_and_b32_e32 v16, 0x80000000, v16
	v_lshl_add_u32 v17, v17, 23, v18
	v_or3_b32 v15, v16, v17, v15
.LBB291_212:
	s_or_b64 exec, exec, s[26:27]
	v_cmp_eq_f32_e64 s[24:25], v14, v15
	v_lshrrev_b16_e32 v15, 8, v13
	s_and_b64 vcc, exec, s[4:5]
	v_lshrrev_b16_e32 v14, 8, v12
	s_cbranch_vccz .LBB291_64
.LBB291_213:
                                        ; implicit-def: $sgpr26_sgpr27
	s_cbranch_execz .LBB291_73
; %bb.214:
	s_movk_i32 s26, 0x7f
	v_cmp_gt_i16_sdwa s[28:29], v13, s26 src0_sel:BYTE_1 src1_sel:DWORD
	s_mov_b64 s[26:27], 0
	s_and_saveexec_b64 s[30:31], s[28:29]
	s_xor_b64 s[28:29], exec, s[30:31]
	s_cbranch_execnz .LBB291_493
; %bb.215:
	s_or_saveexec_b64 s[28:29], s[28:29]
	v_mov_b32_e32 v16, 0x7f800001
	s_xor_b64 exec, exec, s[28:29]
	s_cbranch_execnz .LBB291_496
.LBB291_216:
	s_or_b64 exec, exec, s[28:29]
	s_and_saveexec_b64 s[28:29], s[26:27]
	s_cbranch_execz .LBB291_218
.LBB291_217:
	v_and_b32_e32 v16, 7, v15
	v_ffbh_u32_e32 v18, v16
	v_min_u32_e32 v18, 32, v18
	v_subrev_u32_e32 v19, 28, v18
	v_bfe_u32 v17, v15, 3, 4
	v_lshlrev_b32_e32 v15, v19, v15
	v_sub_u32_e32 v18, 29, v18
	v_and_b32_e32 v15, 7, v15
	v_cmp_eq_u32_e32 vcc, 0, v17
	v_cndmask_b32_e32 v17, v17, v18, vcc
	v_cndmask_b32_e32 v15, v16, v15, vcc
	v_lshlrev_b32_e32 v13, 16, v13
	v_mov_b32_e32 v16, 0x3b800000
	v_lshlrev_b32_e32 v15, 20, v15
	v_and_b32_e32 v13, 0x80000000, v13
	v_lshl_add_u32 v16, v17, 23, v16
	v_or3_b32 v16, v13, v16, v15
.LBB291_218:
	s_or_b64 exec, exec, s[28:29]
	s_movk_i32 s26, 0x7f
	v_cmp_gt_i16_sdwa s[28:29], v12, s26 src0_sel:BYTE_1 src1_sel:DWORD
	s_mov_b64 s[26:27], 0
	s_and_saveexec_b64 s[30:31], s[28:29]
	s_xor_b64 s[28:29], exec, s[30:31]
	s_cbranch_execnz .LBB291_497
; %bb.219:
	s_or_saveexec_b64 s[28:29], s[28:29]
	v_mov_b32_e32 v13, 0x7f800001
	s_xor_b64 exec, exec, s[28:29]
	s_cbranch_execnz .LBB291_500
.LBB291_220:
	s_or_b64 exec, exec, s[28:29]
	s_and_saveexec_b64 s[28:29], s[26:27]
	s_cbranch_execz .LBB291_222
.LBB291_221:
	v_and_b32_e32 v13, 7, v14
	v_ffbh_u32_e32 v17, v13
	v_min_u32_e32 v17, 32, v17
	v_subrev_u32_e32 v18, 28, v17
	v_bfe_u32 v15, v14, 3, 4
	v_lshlrev_b32_e32 v14, v18, v14
	v_sub_u32_e32 v17, 29, v17
	v_and_b32_e32 v14, 7, v14
	v_cmp_eq_u32_e32 vcc, 0, v15
	v_cndmask_b32_e32 v15, v15, v17, vcc
	v_cndmask_b32_e32 v13, v13, v14, vcc
	v_lshlrev_b32_e32 v12, 16, v12
	v_mov_b32_e32 v14, 0x3b800000
	v_lshlrev_b32_e32 v13, 20, v13
	v_and_b32_e32 v12, 0x80000000, v12
	v_lshl_add_u32 v14, v15, 23, v14
	v_or3_b32 v13, v12, v14, v13
.LBB291_222:
	s_or_b64 exec, exec, s[28:29]
	v_cmp_eq_f32_e64 s[26:27], v16, v13
	s_and_b64 vcc, exec, s[4:5]
	s_cbranch_vccz .LBB291_74
.LBB291_223:
                                        ; implicit-def: $sgpr28_sgpr29
	s_cbranch_execz .LBB291_83
; %bb.224:
	s_movk_i32 s28, 0x7f
	v_cmp_gt_i16_sdwa s[30:31], v11, s28 src0_sel:BYTE_0 src1_sel:DWORD
	s_mov_b64 s[28:29], 0
	s_and_saveexec_b64 s[34:35], s[30:31]
	s_xor_b64 s[30:31], exec, s[34:35]
	s_cbranch_execnz .LBB291_501
; %bb.225:
	s_or_saveexec_b64 s[30:31], s[30:31]
	v_mov_b32_e32 v12, 0x7f800001
	s_xor_b64 exec, exec, s[30:31]
	s_cbranch_execnz .LBB291_504
.LBB291_226:
	s_or_b64 exec, exec, s[30:31]
	s_and_saveexec_b64 s[30:31], s[28:29]
	s_cbranch_execz .LBB291_228
.LBB291_227:
	s_mov_b32 s28, 0xffff
	v_and_b32_sdwa v12, s28, v11 dst_sel:DWORD dst_unused:UNUSED_PAD src0_sel:DWORD src1_sel:BYTE_0
	v_and_b32_e32 v13, 7, v12
	v_ffbh_u32_e32 v15, v13
	v_min_u32_e32 v15, 32, v15
	v_subrev_u32_e32 v16, 28, v15
	v_bfe_u32 v14, v12, 3, 4
	v_lshlrev_b32_e32 v12, v16, v12
	v_sub_u32_e32 v15, 29, v15
	v_and_b32_e32 v12, 7, v12
	v_cmp_eq_u32_e32 vcc, 0, v14
	v_cndmask_b32_e32 v14, v14, v15, vcc
	v_cndmask_b32_e32 v12, v13, v12, vcc
	v_lshlrev_b32_e32 v13, 24, v11
	v_mov_b32_e32 v15, 0x3b800000
	v_lshlrev_b32_e32 v12, 20, v12
	v_and_b32_e32 v13, 0x80000000, v13
	v_lshl_add_u32 v14, v14, 23, v15
	v_or3_b32 v12, v13, v14, v12
.LBB291_228:
	s_or_b64 exec, exec, s[30:31]
	s_movk_i32 s28, 0x7f
	s_waitcnt vmcnt(4)
	v_cmp_gt_i16_sdwa s[30:31], v10, s28 src0_sel:BYTE_0 src1_sel:DWORD
	s_mov_b64 s[28:29], 0
	s_and_saveexec_b64 s[34:35], s[30:31]
	s_xor_b64 s[30:31], exec, s[34:35]
	s_cbranch_execnz .LBB291_505
; %bb.229:
	s_or_saveexec_b64 s[30:31], s[30:31]
	v_mov_b32_e32 v13, 0x7f800001
	s_xor_b64 exec, exec, s[30:31]
	s_cbranch_execnz .LBB291_508
.LBB291_230:
	s_or_b64 exec, exec, s[30:31]
	s_and_saveexec_b64 s[30:31], s[28:29]
	s_cbranch_execz .LBB291_232
.LBB291_231:
	s_mov_b32 s28, 0xffff
	v_and_b32_sdwa v13, s28, v10 dst_sel:DWORD dst_unused:UNUSED_PAD src0_sel:DWORD src1_sel:BYTE_0
	v_and_b32_e32 v14, 7, v13
	v_ffbh_u32_e32 v16, v14
	v_min_u32_e32 v16, 32, v16
	v_subrev_u32_e32 v17, 28, v16
	v_bfe_u32 v15, v13, 3, 4
	v_lshlrev_b32_e32 v13, v17, v13
	v_sub_u32_e32 v16, 29, v16
	v_and_b32_e32 v13, 7, v13
	v_cmp_eq_u32_e32 vcc, 0, v15
	v_cndmask_b32_e32 v15, v15, v16, vcc
	v_cndmask_b32_e32 v13, v14, v13, vcc
	v_lshlrev_b32_e32 v14, 24, v10
	v_mov_b32_e32 v16, 0x3b800000
	v_lshlrev_b32_e32 v13, 20, v13
	v_and_b32_e32 v14, 0x80000000, v14
	v_lshl_add_u32 v15, v15, 23, v16
	v_or3_b32 v13, v14, v15, v13
.LBB291_232:
	s_or_b64 exec, exec, s[30:31]
	v_cmp_eq_f32_e64 s[28:29], v12, v13
	v_lshrrev_b16_e32 v13, 8, v11
	s_and_b64 vcc, exec, s[4:5]
	v_lshrrev_b16_e32 v12, 8, v10
	s_cbranch_vccz .LBB291_84
.LBB291_233:
                                        ; implicit-def: $sgpr30_sgpr31
	s_cbranch_execz .LBB291_93
; %bb.234:
	s_movk_i32 s30, 0x7f
	v_cmp_gt_i16_sdwa s[34:35], v11, s30 src0_sel:BYTE_1 src1_sel:DWORD
	s_mov_b64 s[30:31], 0
	s_and_saveexec_b64 s[36:37], s[34:35]
	s_xor_b64 s[34:35], exec, s[36:37]
	s_cbranch_execnz .LBB291_509
; %bb.235:
	s_or_saveexec_b64 s[34:35], s[34:35]
	v_mov_b32_e32 v14, 0x7f800001
	s_xor_b64 exec, exec, s[34:35]
	s_cbranch_execnz .LBB291_512
.LBB291_236:
	s_or_b64 exec, exec, s[34:35]
	s_and_saveexec_b64 s[34:35], s[30:31]
	s_cbranch_execz .LBB291_238
.LBB291_237:
	v_and_b32_e32 v14, 7, v13
	v_ffbh_u32_e32 v16, v14
	v_min_u32_e32 v16, 32, v16
	v_subrev_u32_e32 v17, 28, v16
	v_bfe_u32 v15, v13, 3, 4
	v_lshlrev_b32_e32 v13, v17, v13
	v_sub_u32_e32 v16, 29, v16
	v_and_b32_e32 v13, 7, v13
	v_cmp_eq_u32_e32 vcc, 0, v15
	v_cndmask_b32_e32 v15, v15, v16, vcc
	v_cndmask_b32_e32 v13, v14, v13, vcc
	v_lshlrev_b32_e32 v11, 16, v11
	v_mov_b32_e32 v14, 0x3b800000
	v_lshlrev_b32_e32 v13, 20, v13
	v_and_b32_e32 v11, 0x80000000, v11
	v_lshl_add_u32 v14, v15, 23, v14
	v_or3_b32 v14, v11, v14, v13
.LBB291_238:
	s_or_b64 exec, exec, s[34:35]
	s_movk_i32 s30, 0x7f
	v_cmp_gt_i16_sdwa s[34:35], v10, s30 src0_sel:BYTE_1 src1_sel:DWORD
	s_mov_b64 s[30:31], 0
	s_and_saveexec_b64 s[36:37], s[34:35]
	s_xor_b64 s[34:35], exec, s[36:37]
	s_cbranch_execnz .LBB291_513
; %bb.239:
	s_or_saveexec_b64 s[34:35], s[34:35]
	v_mov_b32_e32 v11, 0x7f800001
	s_xor_b64 exec, exec, s[34:35]
	s_cbranch_execnz .LBB291_516
.LBB291_240:
	s_or_b64 exec, exec, s[34:35]
	s_and_saveexec_b64 s[34:35], s[30:31]
	s_cbranch_execz .LBB291_242
.LBB291_241:
	v_and_b32_e32 v11, 7, v12
	v_ffbh_u32_e32 v15, v11
	v_min_u32_e32 v15, 32, v15
	v_subrev_u32_e32 v16, 28, v15
	v_bfe_u32 v13, v12, 3, 4
	v_lshlrev_b32_e32 v12, v16, v12
	v_sub_u32_e32 v15, 29, v15
	v_and_b32_e32 v12, 7, v12
	v_cmp_eq_u32_e32 vcc, 0, v13
	v_cndmask_b32_e32 v13, v13, v15, vcc
	v_cndmask_b32_e32 v11, v11, v12, vcc
	v_lshlrev_b32_e32 v10, 16, v10
	v_mov_b32_e32 v12, 0x3b800000
	v_lshlrev_b32_e32 v11, 20, v11
	v_and_b32_e32 v10, 0x80000000, v10
	v_lshl_add_u32 v12, v13, 23, v12
	v_or3_b32 v11, v10, v12, v11
.LBB291_242:
	s_or_b64 exec, exec, s[34:35]
	v_cmp_eq_f32_e64 s[30:31], v14, v11
	s_and_b64 vcc, exec, s[4:5]
	s_cbranch_vccz .LBB291_94
.LBB291_243:
                                        ; implicit-def: $sgpr34_sgpr35
	s_cbranch_execz .LBB291_103
; %bb.244:
	s_movk_i32 s34, 0x7f
	v_cmp_gt_i16_sdwa s[36:37], v9, s34 src0_sel:BYTE_0 src1_sel:DWORD
	s_mov_b64 s[34:35], 0
	s_and_saveexec_b64 s[38:39], s[36:37]
	s_xor_b64 s[36:37], exec, s[38:39]
	s_cbranch_execnz .LBB291_517
; %bb.245:
	s_or_saveexec_b64 s[36:37], s[36:37]
	v_mov_b32_e32 v10, 0x7f800001
	s_xor_b64 exec, exec, s[36:37]
	s_cbranch_execnz .LBB291_520
.LBB291_246:
	s_or_b64 exec, exec, s[36:37]
	s_and_saveexec_b64 s[36:37], s[34:35]
	s_cbranch_execz .LBB291_248
.LBB291_247:
	s_mov_b32 s34, 0xffff
	v_and_b32_sdwa v10, s34, v9 dst_sel:DWORD dst_unused:UNUSED_PAD src0_sel:DWORD src1_sel:BYTE_0
	v_and_b32_e32 v11, 7, v10
	v_ffbh_u32_e32 v13, v11
	v_min_u32_e32 v13, 32, v13
	v_subrev_u32_e32 v14, 28, v13
	v_bfe_u32 v12, v10, 3, 4
	v_lshlrev_b32_e32 v10, v14, v10
	v_sub_u32_e32 v13, 29, v13
	v_and_b32_e32 v10, 7, v10
	v_cmp_eq_u32_e32 vcc, 0, v12
	v_cndmask_b32_e32 v12, v12, v13, vcc
	v_cndmask_b32_e32 v10, v11, v10, vcc
	v_lshlrev_b32_e32 v11, 24, v9
	v_mov_b32_e32 v13, 0x3b800000
	v_lshlrev_b32_e32 v10, 20, v10
	v_and_b32_e32 v11, 0x80000000, v11
	v_lshl_add_u32 v12, v12, 23, v13
	v_or3_b32 v10, v11, v12, v10
.LBB291_248:
	s_or_b64 exec, exec, s[36:37]
	s_movk_i32 s34, 0x7f
	s_waitcnt vmcnt(3)
	v_cmp_gt_i16_sdwa s[36:37], v8, s34 src0_sel:BYTE_0 src1_sel:DWORD
	s_mov_b64 s[34:35], 0
	s_and_saveexec_b64 s[38:39], s[36:37]
	s_xor_b64 s[36:37], exec, s[38:39]
	s_cbranch_execnz .LBB291_521
; %bb.249:
	s_or_saveexec_b64 s[36:37], s[36:37]
	v_mov_b32_e32 v11, 0x7f800001
	s_xor_b64 exec, exec, s[36:37]
	s_cbranch_execnz .LBB291_524
.LBB291_250:
	s_or_b64 exec, exec, s[36:37]
	s_and_saveexec_b64 s[36:37], s[34:35]
	s_cbranch_execz .LBB291_252
.LBB291_251:
	s_mov_b32 s34, 0xffff
	v_and_b32_sdwa v11, s34, v8 dst_sel:DWORD dst_unused:UNUSED_PAD src0_sel:DWORD src1_sel:BYTE_0
	v_and_b32_e32 v12, 7, v11
	v_ffbh_u32_e32 v14, v12
	v_min_u32_e32 v14, 32, v14
	v_subrev_u32_e32 v15, 28, v14
	v_bfe_u32 v13, v11, 3, 4
	v_lshlrev_b32_e32 v11, v15, v11
	v_sub_u32_e32 v14, 29, v14
	v_and_b32_e32 v11, 7, v11
	v_cmp_eq_u32_e32 vcc, 0, v13
	v_cndmask_b32_e32 v13, v13, v14, vcc
	v_cndmask_b32_e32 v11, v12, v11, vcc
	v_lshlrev_b32_e32 v12, 24, v8
	v_mov_b32_e32 v14, 0x3b800000
	v_lshlrev_b32_e32 v11, 20, v11
	v_and_b32_e32 v12, 0x80000000, v12
	v_lshl_add_u32 v13, v13, 23, v14
	v_or3_b32 v11, v12, v13, v11
.LBB291_252:
	s_or_b64 exec, exec, s[36:37]
	v_cmp_eq_f32_e64 s[34:35], v10, v11
	v_lshrrev_b16_e32 v11, 8, v9
	s_and_b64 vcc, exec, s[4:5]
	v_lshrrev_b16_e32 v10, 8, v8
	s_cbranch_vccz .LBB291_104
.LBB291_253:
                                        ; implicit-def: $sgpr36_sgpr37
	s_cbranch_execz .LBB291_113
; %bb.254:
	s_movk_i32 s36, 0x7f
	v_cmp_gt_i16_sdwa s[38:39], v9, s36 src0_sel:BYTE_1 src1_sel:DWORD
	s_mov_b64 s[36:37], 0
	s_and_saveexec_b64 s[40:41], s[38:39]
	s_xor_b64 s[38:39], exec, s[40:41]
	s_cbranch_execnz .LBB291_525
; %bb.255:
	s_or_saveexec_b64 s[38:39], s[38:39]
	v_mov_b32_e32 v12, 0x7f800001
	s_xor_b64 exec, exec, s[38:39]
	s_cbranch_execnz .LBB291_528
.LBB291_256:
	s_or_b64 exec, exec, s[38:39]
	s_and_saveexec_b64 s[38:39], s[36:37]
	s_cbranch_execz .LBB291_258
.LBB291_257:
	v_and_b32_e32 v12, 7, v11
	v_ffbh_u32_e32 v14, v12
	v_min_u32_e32 v14, 32, v14
	v_subrev_u32_e32 v15, 28, v14
	v_bfe_u32 v13, v11, 3, 4
	v_lshlrev_b32_e32 v11, v15, v11
	v_sub_u32_e32 v14, 29, v14
	v_and_b32_e32 v11, 7, v11
	v_cmp_eq_u32_e32 vcc, 0, v13
	v_cndmask_b32_e32 v13, v13, v14, vcc
	v_cndmask_b32_e32 v11, v12, v11, vcc
	v_lshlrev_b32_e32 v9, 16, v9
	v_mov_b32_e32 v12, 0x3b800000
	v_lshlrev_b32_e32 v11, 20, v11
	v_and_b32_e32 v9, 0x80000000, v9
	v_lshl_add_u32 v12, v13, 23, v12
	v_or3_b32 v12, v9, v12, v11
.LBB291_258:
	s_or_b64 exec, exec, s[38:39]
	s_movk_i32 s36, 0x7f
	v_cmp_gt_i16_sdwa s[38:39], v8, s36 src0_sel:BYTE_1 src1_sel:DWORD
	s_mov_b64 s[36:37], 0
	s_and_saveexec_b64 s[40:41], s[38:39]
	s_xor_b64 s[38:39], exec, s[40:41]
	s_cbranch_execnz .LBB291_529
; %bb.259:
	s_or_saveexec_b64 s[38:39], s[38:39]
	v_mov_b32_e32 v9, 0x7f800001
	s_xor_b64 exec, exec, s[38:39]
	s_cbranch_execnz .LBB291_532
.LBB291_260:
	s_or_b64 exec, exec, s[38:39]
	s_and_saveexec_b64 s[38:39], s[36:37]
	s_cbranch_execz .LBB291_262
.LBB291_261:
	v_and_b32_e32 v9, 7, v10
	v_ffbh_u32_e32 v13, v9
	v_min_u32_e32 v13, 32, v13
	v_subrev_u32_e32 v14, 28, v13
	v_bfe_u32 v11, v10, 3, 4
	v_lshlrev_b32_e32 v10, v14, v10
	v_sub_u32_e32 v13, 29, v13
	v_and_b32_e32 v10, 7, v10
	v_cmp_eq_u32_e32 vcc, 0, v11
	v_cndmask_b32_e32 v11, v11, v13, vcc
	v_cndmask_b32_e32 v9, v9, v10, vcc
	v_lshlrev_b32_e32 v8, 16, v8
	v_mov_b32_e32 v10, 0x3b800000
	v_lshlrev_b32_e32 v9, 20, v9
	v_and_b32_e32 v8, 0x80000000, v8
	v_lshl_add_u32 v10, v11, 23, v10
	v_or3_b32 v9, v8, v10, v9
.LBB291_262:
	s_or_b64 exec, exec, s[38:39]
	v_cmp_eq_f32_e64 s[36:37], v12, v9
	s_and_b64 vcc, exec, s[4:5]
	s_cbranch_vccz .LBB291_114
.LBB291_263:
                                        ; implicit-def: $sgpr38_sgpr39
	s_cbranch_execz .LBB291_123
; %bb.264:
	s_movk_i32 s38, 0x7f
	v_cmp_gt_i16_sdwa s[40:41], v7, s38 src0_sel:BYTE_0 src1_sel:DWORD
	s_mov_b64 s[38:39], 0
	s_and_saveexec_b64 s[42:43], s[40:41]
	s_xor_b64 s[40:41], exec, s[42:43]
	s_cbranch_execnz .LBB291_533
; %bb.265:
	s_or_saveexec_b64 s[40:41], s[40:41]
	v_mov_b32_e32 v8, 0x7f800001
	s_xor_b64 exec, exec, s[40:41]
	s_cbranch_execnz .LBB291_536
.LBB291_266:
	s_or_b64 exec, exec, s[40:41]
	s_and_saveexec_b64 s[40:41], s[38:39]
	s_cbranch_execz .LBB291_268
.LBB291_267:
	s_mov_b32 s38, 0xffff
	v_and_b32_sdwa v8, s38, v7 dst_sel:DWORD dst_unused:UNUSED_PAD src0_sel:DWORD src1_sel:BYTE_0
	v_and_b32_e32 v9, 7, v8
	v_ffbh_u32_e32 v11, v9
	v_min_u32_e32 v11, 32, v11
	v_subrev_u32_e32 v12, 28, v11
	v_bfe_u32 v10, v8, 3, 4
	v_lshlrev_b32_e32 v8, v12, v8
	v_sub_u32_e32 v11, 29, v11
	v_and_b32_e32 v8, 7, v8
	v_cmp_eq_u32_e32 vcc, 0, v10
	v_cndmask_b32_e32 v10, v10, v11, vcc
	v_cndmask_b32_e32 v8, v9, v8, vcc
	v_lshlrev_b32_e32 v9, 24, v7
	v_mov_b32_e32 v11, 0x3b800000
	v_lshlrev_b32_e32 v8, 20, v8
	v_and_b32_e32 v9, 0x80000000, v9
	v_lshl_add_u32 v10, v10, 23, v11
	v_or3_b32 v8, v9, v10, v8
.LBB291_268:
	s_or_b64 exec, exec, s[40:41]
	s_movk_i32 s38, 0x7f
	s_waitcnt vmcnt(2)
	v_cmp_gt_i16_sdwa s[40:41], v6, s38 src0_sel:BYTE_0 src1_sel:DWORD
	s_mov_b64 s[38:39], 0
	s_and_saveexec_b64 s[42:43], s[40:41]
	s_xor_b64 s[40:41], exec, s[42:43]
	s_cbranch_execnz .LBB291_537
; %bb.269:
	s_or_saveexec_b64 s[40:41], s[40:41]
	v_mov_b32_e32 v9, 0x7f800001
	s_xor_b64 exec, exec, s[40:41]
	s_cbranch_execnz .LBB291_540
.LBB291_270:
	s_or_b64 exec, exec, s[40:41]
	s_and_saveexec_b64 s[40:41], s[38:39]
	s_cbranch_execz .LBB291_272
.LBB291_271:
	s_mov_b32 s38, 0xffff
	v_and_b32_sdwa v9, s38, v6 dst_sel:DWORD dst_unused:UNUSED_PAD src0_sel:DWORD src1_sel:BYTE_0
	v_and_b32_e32 v10, 7, v9
	v_ffbh_u32_e32 v12, v10
	v_min_u32_e32 v12, 32, v12
	v_subrev_u32_e32 v13, 28, v12
	v_bfe_u32 v11, v9, 3, 4
	v_lshlrev_b32_e32 v9, v13, v9
	v_sub_u32_e32 v12, 29, v12
	v_and_b32_e32 v9, 7, v9
	v_cmp_eq_u32_e32 vcc, 0, v11
	v_cndmask_b32_e32 v11, v11, v12, vcc
	v_cndmask_b32_e32 v9, v10, v9, vcc
	v_lshlrev_b32_e32 v10, 24, v6
	v_mov_b32_e32 v12, 0x3b800000
	v_lshlrev_b32_e32 v9, 20, v9
	v_and_b32_e32 v10, 0x80000000, v10
	v_lshl_add_u32 v11, v11, 23, v12
	v_or3_b32 v9, v10, v11, v9
.LBB291_272:
	s_or_b64 exec, exec, s[40:41]
	v_cmp_eq_f32_e64 s[38:39], v8, v9
	v_lshrrev_b16_e32 v9, 8, v7
	s_and_b64 vcc, exec, s[4:5]
	v_lshrrev_b16_e32 v8, 8, v6
	s_cbranch_vccz .LBB291_124
.LBB291_273:
                                        ; implicit-def: $sgpr40_sgpr41
	s_cbranch_execz .LBB291_133
; %bb.274:
	s_movk_i32 s40, 0x7f
	v_cmp_gt_i16_sdwa s[42:43], v7, s40 src0_sel:BYTE_1 src1_sel:DWORD
	s_mov_b64 s[40:41], 0
	s_and_saveexec_b64 s[44:45], s[42:43]
	s_xor_b64 s[42:43], exec, s[44:45]
	s_cbranch_execnz .LBB291_541
; %bb.275:
	s_or_saveexec_b64 s[42:43], s[42:43]
	v_mov_b32_e32 v10, 0x7f800001
	s_xor_b64 exec, exec, s[42:43]
	s_cbranch_execnz .LBB291_544
.LBB291_276:
	s_or_b64 exec, exec, s[42:43]
	s_and_saveexec_b64 s[42:43], s[40:41]
	s_cbranch_execz .LBB291_278
.LBB291_277:
	v_and_b32_e32 v10, 7, v9
	v_ffbh_u32_e32 v12, v10
	v_min_u32_e32 v12, 32, v12
	v_subrev_u32_e32 v13, 28, v12
	v_bfe_u32 v11, v9, 3, 4
	v_lshlrev_b32_e32 v9, v13, v9
	v_sub_u32_e32 v12, 29, v12
	v_and_b32_e32 v9, 7, v9
	v_cmp_eq_u32_e32 vcc, 0, v11
	v_cndmask_b32_e32 v11, v11, v12, vcc
	v_cndmask_b32_e32 v9, v10, v9, vcc
	v_lshlrev_b32_e32 v7, 16, v7
	v_mov_b32_e32 v10, 0x3b800000
	v_lshlrev_b32_e32 v9, 20, v9
	v_and_b32_e32 v7, 0x80000000, v7
	v_lshl_add_u32 v10, v11, 23, v10
	v_or3_b32 v10, v7, v10, v9
.LBB291_278:
	s_or_b64 exec, exec, s[42:43]
	s_movk_i32 s40, 0x7f
	v_cmp_gt_i16_sdwa s[42:43], v6, s40 src0_sel:BYTE_1 src1_sel:DWORD
	s_mov_b64 s[40:41], 0
	s_and_saveexec_b64 s[44:45], s[42:43]
	s_xor_b64 s[42:43], exec, s[44:45]
	s_cbranch_execnz .LBB291_545
; %bb.279:
	s_or_saveexec_b64 s[42:43], s[42:43]
	v_mov_b32_e32 v7, 0x7f800001
	s_xor_b64 exec, exec, s[42:43]
	s_cbranch_execnz .LBB291_548
.LBB291_280:
	s_or_b64 exec, exec, s[42:43]
	s_and_saveexec_b64 s[42:43], s[40:41]
	s_cbranch_execz .LBB291_282
.LBB291_281:
	v_and_b32_e32 v7, 7, v8
	v_ffbh_u32_e32 v11, v7
	v_min_u32_e32 v11, 32, v11
	v_subrev_u32_e32 v12, 28, v11
	v_bfe_u32 v9, v8, 3, 4
	v_lshlrev_b32_e32 v8, v12, v8
	v_sub_u32_e32 v11, 29, v11
	v_and_b32_e32 v8, 7, v8
	v_cmp_eq_u32_e32 vcc, 0, v9
	v_cndmask_b32_e32 v9, v9, v11, vcc
	v_cndmask_b32_e32 v7, v7, v8, vcc
	v_lshlrev_b32_e32 v6, 16, v6
	v_mov_b32_e32 v8, 0x3b800000
	v_lshlrev_b32_e32 v7, 20, v7
	v_and_b32_e32 v6, 0x80000000, v6
	v_lshl_add_u32 v8, v9, 23, v8
	v_or3_b32 v7, v6, v8, v7
.LBB291_282:
	s_or_b64 exec, exec, s[42:43]
	v_cmp_eq_f32_e64 s[40:41], v10, v7
	s_and_b64 vcc, exec, s[4:5]
	s_cbranch_vccz .LBB291_134
.LBB291_283:
                                        ; implicit-def: $sgpr42_sgpr43
	s_cbranch_execz .LBB291_143
; %bb.284:
	s_movk_i32 s42, 0x7f
	v_cmp_gt_i16_sdwa s[44:45], v5, s42 src0_sel:BYTE_0 src1_sel:DWORD
	s_mov_b64 s[42:43], 0
	s_and_saveexec_b64 s[46:47], s[44:45]
	s_xor_b64 s[44:45], exec, s[46:47]
	s_cbranch_execnz .LBB291_549
; %bb.285:
	s_or_saveexec_b64 s[44:45], s[44:45]
	v_mov_b32_e32 v6, 0x7f800001
	s_xor_b64 exec, exec, s[44:45]
	s_cbranch_execnz .LBB291_552
.LBB291_286:
	s_or_b64 exec, exec, s[44:45]
	s_and_saveexec_b64 s[44:45], s[42:43]
	s_cbranch_execz .LBB291_288
.LBB291_287:
	s_mov_b32 s42, 0xffff
	v_and_b32_sdwa v6, s42, v5 dst_sel:DWORD dst_unused:UNUSED_PAD src0_sel:DWORD src1_sel:BYTE_0
	v_and_b32_e32 v7, 7, v6
	v_ffbh_u32_e32 v9, v7
	v_min_u32_e32 v9, 32, v9
	v_subrev_u32_e32 v10, 28, v9
	v_bfe_u32 v8, v6, 3, 4
	v_lshlrev_b32_e32 v6, v10, v6
	v_sub_u32_e32 v9, 29, v9
	v_and_b32_e32 v6, 7, v6
	v_cmp_eq_u32_e32 vcc, 0, v8
	v_cndmask_b32_e32 v8, v8, v9, vcc
	v_cndmask_b32_e32 v6, v7, v6, vcc
	v_lshlrev_b32_e32 v7, 24, v5
	v_mov_b32_e32 v9, 0x3b800000
	v_lshlrev_b32_e32 v6, 20, v6
	v_and_b32_e32 v7, 0x80000000, v7
	v_lshl_add_u32 v8, v8, 23, v9
	v_or3_b32 v6, v7, v8, v6
.LBB291_288:
	s_or_b64 exec, exec, s[44:45]
	s_movk_i32 s42, 0x7f
	s_waitcnt vmcnt(1)
	v_cmp_gt_i16_sdwa s[44:45], v4, s42 src0_sel:BYTE_0 src1_sel:DWORD
	s_mov_b64 s[42:43], 0
	s_and_saveexec_b64 s[46:47], s[44:45]
	s_xor_b64 s[44:45], exec, s[46:47]
	s_cbranch_execnz .LBB291_553
; %bb.289:
	s_or_saveexec_b64 s[44:45], s[44:45]
	v_mov_b32_e32 v7, 0x7f800001
	s_xor_b64 exec, exec, s[44:45]
	s_cbranch_execnz .LBB291_556
.LBB291_290:
	s_or_b64 exec, exec, s[44:45]
	s_and_saveexec_b64 s[44:45], s[42:43]
	s_cbranch_execz .LBB291_292
.LBB291_291:
	s_mov_b32 s42, 0xffff
	v_and_b32_sdwa v7, s42, v4 dst_sel:DWORD dst_unused:UNUSED_PAD src0_sel:DWORD src1_sel:BYTE_0
	v_and_b32_e32 v8, 7, v7
	v_ffbh_u32_e32 v10, v8
	v_min_u32_e32 v10, 32, v10
	v_subrev_u32_e32 v11, 28, v10
	v_bfe_u32 v9, v7, 3, 4
	v_lshlrev_b32_e32 v7, v11, v7
	v_sub_u32_e32 v10, 29, v10
	v_and_b32_e32 v7, 7, v7
	v_cmp_eq_u32_e32 vcc, 0, v9
	v_cndmask_b32_e32 v9, v9, v10, vcc
	v_cndmask_b32_e32 v7, v8, v7, vcc
	v_lshlrev_b32_e32 v8, 24, v4
	v_mov_b32_e32 v10, 0x3b800000
	v_lshlrev_b32_e32 v7, 20, v7
	v_and_b32_e32 v8, 0x80000000, v8
	v_lshl_add_u32 v9, v9, 23, v10
	v_or3_b32 v7, v8, v9, v7
.LBB291_292:
	s_or_b64 exec, exec, s[44:45]
	v_cmp_eq_f32_e64 s[42:43], v6, v7
	v_lshrrev_b16_e32 v7, 8, v5
	s_and_b64 vcc, exec, s[4:5]
	v_lshrrev_b16_e32 v6, 8, v4
	s_cbranch_vccz .LBB291_144
.LBB291_293:
                                        ; implicit-def: $sgpr44_sgpr45
	s_cbranch_execz .LBB291_153
; %bb.294:
	s_movk_i32 s44, 0x7f
	v_cmp_gt_i16_sdwa s[46:47], v5, s44 src0_sel:BYTE_1 src1_sel:DWORD
	s_mov_b64 s[44:45], 0
	s_and_saveexec_b64 s[48:49], s[46:47]
	s_xor_b64 s[46:47], exec, s[48:49]
	s_cbranch_execnz .LBB291_557
; %bb.295:
	s_or_saveexec_b64 s[46:47], s[46:47]
	v_mov_b32_e32 v8, 0x7f800001
	s_xor_b64 exec, exec, s[46:47]
	s_cbranch_execnz .LBB291_560
.LBB291_296:
	s_or_b64 exec, exec, s[46:47]
	s_and_saveexec_b64 s[46:47], s[44:45]
	s_cbranch_execz .LBB291_298
.LBB291_297:
	v_and_b32_e32 v8, 7, v7
	v_ffbh_u32_e32 v10, v8
	v_min_u32_e32 v10, 32, v10
	v_subrev_u32_e32 v11, 28, v10
	v_bfe_u32 v9, v7, 3, 4
	v_lshlrev_b32_e32 v7, v11, v7
	v_sub_u32_e32 v10, 29, v10
	v_and_b32_e32 v7, 7, v7
	v_cmp_eq_u32_e32 vcc, 0, v9
	v_cndmask_b32_e32 v9, v9, v10, vcc
	v_cndmask_b32_e32 v7, v8, v7, vcc
	v_lshlrev_b32_e32 v5, 16, v5
	v_mov_b32_e32 v8, 0x3b800000
	v_lshlrev_b32_e32 v7, 20, v7
	v_and_b32_e32 v5, 0x80000000, v5
	v_lshl_add_u32 v8, v9, 23, v8
	v_or3_b32 v8, v5, v8, v7
.LBB291_298:
	s_or_b64 exec, exec, s[46:47]
	s_movk_i32 s44, 0x7f
	v_cmp_gt_i16_sdwa s[46:47], v4, s44 src0_sel:BYTE_1 src1_sel:DWORD
	s_mov_b64 s[44:45], 0
	s_and_saveexec_b64 s[48:49], s[46:47]
	s_xor_b64 s[46:47], exec, s[48:49]
	s_cbranch_execnz .LBB291_561
; %bb.299:
	s_or_saveexec_b64 s[46:47], s[46:47]
	v_mov_b32_e32 v5, 0x7f800001
	s_xor_b64 exec, exec, s[46:47]
	s_cbranch_execnz .LBB291_564
.LBB291_300:
	s_or_b64 exec, exec, s[46:47]
	s_and_saveexec_b64 s[46:47], s[44:45]
	s_cbranch_execz .LBB291_302
.LBB291_301:
	v_and_b32_e32 v5, 7, v6
	v_ffbh_u32_e32 v9, v5
	v_min_u32_e32 v9, 32, v9
	v_subrev_u32_e32 v10, 28, v9
	v_bfe_u32 v7, v6, 3, 4
	v_lshlrev_b32_e32 v6, v10, v6
	v_sub_u32_e32 v9, 29, v9
	v_and_b32_e32 v6, 7, v6
	v_cmp_eq_u32_e32 vcc, 0, v7
	v_cndmask_b32_e32 v7, v7, v9, vcc
	v_cndmask_b32_e32 v5, v5, v6, vcc
	v_lshlrev_b32_e32 v4, 16, v4
	v_mov_b32_e32 v6, 0x3b800000
	v_lshlrev_b32_e32 v5, 20, v5
	v_and_b32_e32 v4, 0x80000000, v4
	v_lshl_add_u32 v6, v7, 23, v6
	v_or3_b32 v5, v4, v6, v5
.LBB291_302:
	s_or_b64 exec, exec, s[46:47]
	v_cmp_eq_f32_e64 s[44:45], v8, v5
	s_and_b64 vcc, exec, s[4:5]
	s_cbranch_vccz .LBB291_154
.LBB291_303:
                                        ; implicit-def: $sgpr46_sgpr47
	s_cbranch_execz .LBB291_163
; %bb.304:
	s_movk_i32 s46, 0x7f
	v_cmp_gt_i16_sdwa s[48:49], v3, s46 src0_sel:BYTE_0 src1_sel:DWORD
	s_mov_b64 s[46:47], 0
	s_and_saveexec_b64 s[50:51], s[48:49]
	s_xor_b64 s[48:49], exec, s[50:51]
	s_cbranch_execnz .LBB291_565
; %bb.305:
	s_or_saveexec_b64 s[48:49], s[48:49]
	v_mov_b32_e32 v4, 0x7f800001
	s_xor_b64 exec, exec, s[48:49]
	s_cbranch_execnz .LBB291_568
.LBB291_306:
	s_or_b64 exec, exec, s[48:49]
	s_and_saveexec_b64 s[48:49], s[46:47]
	s_cbranch_execz .LBB291_308
.LBB291_307:
	s_mov_b32 s46, 0xffff
	v_and_b32_sdwa v4, s46, v3 dst_sel:DWORD dst_unused:UNUSED_PAD src0_sel:DWORD src1_sel:BYTE_0
	v_and_b32_e32 v5, 7, v4
	v_ffbh_u32_e32 v7, v5
	v_min_u32_e32 v7, 32, v7
	v_subrev_u32_e32 v8, 28, v7
	v_bfe_u32 v6, v4, 3, 4
	v_lshlrev_b32_e32 v4, v8, v4
	v_sub_u32_e32 v7, 29, v7
	v_and_b32_e32 v4, 7, v4
	v_cmp_eq_u32_e32 vcc, 0, v6
	v_cndmask_b32_e32 v6, v6, v7, vcc
	v_cndmask_b32_e32 v4, v5, v4, vcc
	v_lshlrev_b32_e32 v5, 24, v3
	v_mov_b32_e32 v7, 0x3b800000
	v_lshlrev_b32_e32 v4, 20, v4
	v_and_b32_e32 v5, 0x80000000, v5
	v_lshl_add_u32 v6, v6, 23, v7
	v_or3_b32 v4, v5, v6, v4
.LBB291_308:
	s_or_b64 exec, exec, s[48:49]
	s_movk_i32 s46, 0x7f
	s_waitcnt vmcnt(0)
	v_cmp_gt_i16_sdwa s[48:49], v2, s46 src0_sel:BYTE_0 src1_sel:DWORD
	s_mov_b64 s[46:47], 0
	s_and_saveexec_b64 s[50:51], s[48:49]
	s_xor_b64 s[48:49], exec, s[50:51]
	s_cbranch_execnz .LBB291_569
; %bb.309:
	s_or_saveexec_b64 s[48:49], s[48:49]
	v_mov_b32_e32 v5, 0x7f800001
	s_xor_b64 exec, exec, s[48:49]
	s_cbranch_execnz .LBB291_572
.LBB291_310:
	s_or_b64 exec, exec, s[48:49]
	s_and_saveexec_b64 s[48:49], s[46:47]
	s_cbranch_execz .LBB291_312
.LBB291_311:
	s_mov_b32 s46, 0xffff
	v_and_b32_sdwa v5, s46, v2 dst_sel:DWORD dst_unused:UNUSED_PAD src0_sel:DWORD src1_sel:BYTE_0
	v_and_b32_e32 v6, 7, v5
	v_ffbh_u32_e32 v8, v6
	v_min_u32_e32 v8, 32, v8
	v_subrev_u32_e32 v9, 28, v8
	v_bfe_u32 v7, v5, 3, 4
	v_lshlrev_b32_e32 v5, v9, v5
	v_sub_u32_e32 v8, 29, v8
	v_and_b32_e32 v5, 7, v5
	v_cmp_eq_u32_e32 vcc, 0, v7
	v_cndmask_b32_e32 v7, v7, v8, vcc
	v_cndmask_b32_e32 v5, v6, v5, vcc
	v_lshlrev_b32_e32 v6, 24, v2
	v_mov_b32_e32 v8, 0x3b800000
	v_lshlrev_b32_e32 v5, 20, v5
	v_and_b32_e32 v6, 0x80000000, v6
	v_lshl_add_u32 v7, v7, 23, v8
	v_or3_b32 v5, v6, v7, v5
.LBB291_312:
	s_or_b64 exec, exec, s[48:49]
	v_cmp_eq_f32_e64 s[46:47], v4, v5
	v_lshrrev_b16_e32 v5, 8, v3
	s_and_b64 vcc, exec, s[4:5]
	v_lshrrev_b16_e32 v4, 8, v2
	s_cbranch_vccz .LBB291_164
.LBB291_313:
                                        ; implicit-def: $sgpr4_sgpr5
	s_cbranch_execz .LBB291_323
; %bb.314:
	s_movk_i32 s4, 0x7f
	v_cmp_gt_i16_sdwa s[48:49], v3, s4 src0_sel:BYTE_1 src1_sel:DWORD
	s_mov_b64 s[4:5], 0
	s_and_saveexec_b64 s[50:51], s[48:49]
	s_xor_b64 s[48:49], exec, s[50:51]
	s_cbranch_execnz .LBB291_573
; %bb.315:
	s_or_saveexec_b64 s[48:49], s[48:49]
	v_mov_b32_e32 v6, 0x7f800001
	s_xor_b64 exec, exec, s[48:49]
	s_cbranch_execnz .LBB291_576
.LBB291_316:
	s_or_b64 exec, exec, s[48:49]
	s_and_saveexec_b64 s[48:49], s[4:5]
	s_cbranch_execz .LBB291_318
.LBB291_317:
	v_and_b32_e32 v6, 7, v5
	v_ffbh_u32_e32 v8, v6
	v_min_u32_e32 v8, 32, v8
	v_subrev_u32_e32 v9, 28, v8
	v_bfe_u32 v7, v5, 3, 4
	v_lshlrev_b32_e32 v5, v9, v5
	v_sub_u32_e32 v8, 29, v8
	v_and_b32_e32 v5, 7, v5
	v_cmp_eq_u32_e32 vcc, 0, v7
	v_cndmask_b32_e32 v7, v7, v8, vcc
	v_cndmask_b32_e32 v5, v6, v5, vcc
	v_lshlrev_b32_e32 v3, 16, v3
	v_mov_b32_e32 v6, 0x3b800000
	v_lshlrev_b32_e32 v5, 20, v5
	v_and_b32_e32 v3, 0x80000000, v3
	v_lshl_add_u32 v6, v7, 23, v6
	v_or3_b32 v6, v3, v6, v5
.LBB291_318:
	s_or_b64 exec, exec, s[48:49]
	s_movk_i32 s4, 0x7f
	v_cmp_gt_i16_sdwa s[48:49], v2, s4 src0_sel:BYTE_1 src1_sel:DWORD
	s_mov_b64 s[4:5], 0
	s_and_saveexec_b64 s[50:51], s[48:49]
	s_xor_b64 s[48:49], exec, s[50:51]
	s_cbranch_execnz .LBB291_577
; %bb.319:
	s_or_saveexec_b64 s[48:49], s[48:49]
	v_mov_b32_e32 v3, 0x7f800001
	s_xor_b64 exec, exec, s[48:49]
	s_cbranch_execnz .LBB291_580
.LBB291_320:
	s_or_b64 exec, exec, s[48:49]
	s_and_saveexec_b64 s[48:49], s[4:5]
	s_cbranch_execz .LBB291_322
.LBB291_321:
	v_and_b32_e32 v3, 7, v4
	v_ffbh_u32_e32 v7, v3
	v_min_u32_e32 v7, 32, v7
	v_subrev_u32_e32 v8, 28, v7
	v_bfe_u32 v5, v4, 3, 4
	v_lshlrev_b32_e32 v4, v8, v4
	v_sub_u32_e32 v7, 29, v7
	v_and_b32_e32 v4, 7, v4
	v_cmp_eq_u32_e32 vcc, 0, v5
	v_cndmask_b32_e32 v5, v5, v7, vcc
	v_cndmask_b32_e32 v3, v3, v4, vcc
	v_lshlrev_b32_e32 v2, 16, v2
	v_mov_b32_e32 v4, 0x3b800000
	v_lshlrev_b32_e32 v3, 20, v3
	v_and_b32_e32 v2, 0x80000000, v2
	v_lshl_add_u32 v4, v5, 23, v4
	v_or3_b32 v3, v2, v4, v3
.LBB291_322:
	s_or_b64 exec, exec, s[48:49]
	v_cmp_eq_f32_e64 s[4:5], v6, v3
.LBB291_323:
	v_cndmask_b32_e64 v2, 0, 1, s[22:23]
	v_lshlrev_b16_e32 v2, 8, v2
	v_cndmask_b32_e64 v3, 0, 1, s[20:21]
	v_or_b32_e32 v2, v3, v2
	v_cndmask_b32_e64 v3, 0, 1, s[18:19]
	v_lshlrev_b16_e32 v3, 8, v3
	v_cndmask_b32_e64 v4, 0, 1, s[16:17]
	v_or_b32_e32 v3, v4, v3
	;; [unrolled: 4-line block ×7, first 2 shown]
	v_cndmask_b32_e64 v9, 0, 1, s[44:45]
	s_add_u32 s4, s8, s33
	v_lshlrev_b16_e32 v9, 8, v9
	v_cndmask_b32_e64 v10, 0, 1, s[42:43]
	s_addc_u32 s5, s9, s12
	v_or_b32_e32 v9, v10, v9
	global_store_short v1, v3, s[4:5]
	global_store_short v1, v2, s[4:5] offset:512
	global_store_short v1, v5, s[4:5] offset:1024
	;; [unrolled: 1-line block ×7, first 2 shown]
	s_branch .LBB291_2
.LBB291_324:
	s_getpc_b64 s[4:5]
	s_add_u32 s4, s4, _ZN2at6native25elementwise_kernel_helperILb0ENS0_13BinaryFunctorIN3c1015Float8_e4m3fnuzES4_bNS0_12_GLOBAL__N_116CompareEqFunctorIS4_EEEENS0_6memory8policies11unroll_baseILi256ESt5arrayIPcLm3EE23TrivialOffsetCalculatorILi2EjESF_ILi1EjENS9_15LoadWithoutCastENS9_16StoreWithoutCastELi16ELi1EEEEEvT0_T1_@rel32@lo+4
	s_addc_u32 s5, s5, _ZN2at6native25elementwise_kernel_helperILb0ENS0_13BinaryFunctorIN3c1015Float8_e4m3fnuzES4_bNS0_12_GLOBAL__N_116CompareEqFunctorIS4_EEEENS0_6memory8policies11unroll_baseILi256ESt5arrayIPcLm3EE23TrivialOffsetCalculatorILi2EjESF_ILi1EjENS9_15LoadWithoutCastENS9_16StoreWithoutCastELi16ELi1EEEEEvT0_T1_@rel32@hi+12
	s_mov_b32 s12, s6
	v_mov_b32_e32 v31, v0
	v_mov_b32_e32 v0, s13
	v_mov_b32_e32 v1, s8
	v_mov_b32_e32 v2, s9
	v_mov_b32_e32 v3, s10
	v_mov_b32_e32 v4, s11
	v_mov_b32_e32 v5, s14
	v_mov_b32_e32 v6, s15
	v_mov_b32_e32 v7, s7
	s_swappc_b64 s[30:31], s[4:5]
	s_endpgm
.LBB291_325:
	s_movk_i32 s4, 0x80
	v_cmp_eq_u16_sdwa s[22:23], v17, s4 src0_sel:BYTE_0 src1_sel:DWORD
	s_mov_b64 s[4:5], -1
	s_and_saveexec_b64 s[20:21], s[22:23]
; %bb.326:
	s_xor_b64 s[4:5], exec, -1
; %bb.327:
	s_or_b64 exec, exec, s[20:21]
	s_and_b64 s[4:5], s[4:5], exec
	s_or_saveexec_b64 s[16:17], s[16:17]
	v_mov_b32_e32 v18, 0x7f800001
	s_xor_b64 exec, exec, s[16:17]
	s_cbranch_execz .LBB291_6
.LBB291_328:
	v_mov_b32_e32 v18, 0
	v_cmp_ne_u16_sdwa s[20:21], v17, v18 src0_sel:BYTE_0 src1_sel:DWORD
	s_andn2_b64 s[4:5], s[4:5], exec
	s_and_b64 s[20:21], s[20:21], exec
	s_or_b64 s[4:5], s[4:5], s[20:21]
	s_or_b64 exec, exec, s[16:17]
	s_and_saveexec_b64 s[16:17], s[4:5]
	s_cbranch_execnz .LBB291_7
	s_branch .LBB291_8
.LBB291_329:
	s_movk_i32 s4, 0x80
	v_cmp_eq_u16_sdwa s[22:23], v16, s4 src0_sel:BYTE_0 src1_sel:DWORD
	s_mov_b64 s[4:5], -1
	s_and_saveexec_b64 s[20:21], s[22:23]
; %bb.330:
	s_xor_b64 s[4:5], exec, -1
; %bb.331:
	s_or_b64 exec, exec, s[20:21]
	s_and_b64 s[4:5], s[4:5], exec
	s_or_saveexec_b64 s[16:17], s[16:17]
	v_mov_b32_e32 v19, 0x7f800001
	s_xor_b64 exec, exec, s[16:17]
	s_cbranch_execz .LBB291_10
.LBB291_332:
	v_mov_b32_e32 v19, 0
	v_cmp_ne_u16_sdwa s[20:21], v16, v19 src0_sel:BYTE_0 src1_sel:DWORD
	s_andn2_b64 s[4:5], s[4:5], exec
	s_and_b64 s[20:21], s[20:21], exec
	s_or_b64 s[4:5], s[4:5], s[20:21]
	s_or_b64 exec, exec, s[16:17]
	s_and_saveexec_b64 s[16:17], s[4:5]
	s_cbranch_execnz .LBB291_11
	s_branch .LBB291_12
.LBB291_333:
	s_movk_i32 s18, 0x80
	v_cmp_eq_u16_e32 vcc, s18, v19
	s_mov_b64 s[18:19], -1
	s_and_saveexec_b64 s[22:23], vcc
; %bb.334:
	s_xor_b64 s[18:19], exec, -1
; %bb.335:
	s_or_b64 exec, exec, s[22:23]
	s_and_b64 s[18:19], s[18:19], exec
	s_or_saveexec_b64 s[20:21], s[20:21]
	v_mov_b32_e32 v20, 0x7f800001
	s_xor_b64 exec, exec, s[20:21]
	s_cbranch_execz .LBB291_26
.LBB291_336:
	v_cmp_ne_u16_e32 vcc, 0, v19
	s_andn2_b64 s[18:19], s[18:19], exec
	s_and_b64 s[22:23], vcc, exec
	v_mov_b32_e32 v20, 0
	s_or_b64 s[18:19], s[18:19], s[22:23]
	s_or_b64 exec, exec, s[20:21]
	s_and_saveexec_b64 s[20:21], s[18:19]
	s_cbranch_execnz .LBB291_27
	s_branch .LBB291_28
.LBB291_337:
	s_movk_i32 s18, 0x80
	v_cmp_eq_u16_sdwa s[24:25], v16, s18 src0_sel:BYTE_1 src1_sel:DWORD
	s_mov_b64 s[18:19], -1
	s_and_saveexec_b64 s[22:23], s[24:25]
; %bb.338:
	s_xor_b64 s[18:19], exec, -1
; %bb.339:
	s_or_b64 exec, exec, s[22:23]
	s_and_b64 s[18:19], s[18:19], exec
	s_or_saveexec_b64 s[20:21], s[20:21]
	v_mov_b32_e32 v21, 0x7f800001
	s_xor_b64 exec, exec, s[20:21]
	s_cbranch_execz .LBB291_30
.LBB291_340:
	v_mov_b32_e32 v21, 0
	v_cmp_ne_u16_sdwa s[22:23], v16, v21 src0_sel:BYTE_1 src1_sel:DWORD
	s_andn2_b64 s[18:19], s[18:19], exec
	s_and_b64 s[22:23], s[22:23], exec
	s_or_b64 s[18:19], s[18:19], s[22:23]
	s_or_b64 exec, exec, s[20:21]
	s_and_saveexec_b64 s[20:21], s[18:19]
	s_cbranch_execnz .LBB291_31
	s_branch .LBB291_32
.LBB291_341:
	s_movk_i32 s20, 0x80
	v_cmp_eq_u16_sdwa s[26:27], v15, s20 src0_sel:BYTE_0 src1_sel:DWORD
	s_mov_b64 s[20:21], -1
	s_and_saveexec_b64 s[24:25], s[26:27]
; %bb.342:
	s_xor_b64 s[20:21], exec, -1
; %bb.343:
	s_or_b64 exec, exec, s[24:25]
	s_and_b64 s[20:21], s[20:21], exec
	s_or_saveexec_b64 s[22:23], s[22:23]
	v_mov_b32_e32 v16, 0x7f800001
	s_xor_b64 exec, exec, s[22:23]
	s_cbranch_execz .LBB291_36
.LBB291_344:
	v_mov_b32_e32 v16, 0
	v_cmp_ne_u16_sdwa s[24:25], v15, v16 src0_sel:BYTE_0 src1_sel:DWORD
	s_andn2_b64 s[20:21], s[20:21], exec
	s_and_b64 s[24:25], s[24:25], exec
	s_or_b64 s[20:21], s[20:21], s[24:25]
	s_or_b64 exec, exec, s[22:23]
	s_and_saveexec_b64 s[22:23], s[20:21]
	s_cbranch_execnz .LBB291_37
	s_branch .LBB291_38
.LBB291_345:
	s_movk_i32 s20, 0x80
	v_cmp_eq_u16_sdwa s[26:27], v14, s20 src0_sel:BYTE_0 src1_sel:DWORD
	s_mov_b64 s[20:21], -1
	s_and_saveexec_b64 s[24:25], s[26:27]
; %bb.346:
	s_xor_b64 s[20:21], exec, -1
; %bb.347:
	s_or_b64 exec, exec, s[24:25]
	s_and_b64 s[20:21], s[20:21], exec
	s_or_saveexec_b64 s[22:23], s[22:23]
	v_mov_b32_e32 v17, 0x7f800001
	s_xor_b64 exec, exec, s[22:23]
	s_cbranch_execz .LBB291_40
.LBB291_348:
	v_mov_b32_e32 v17, 0
	v_cmp_ne_u16_sdwa s[24:25], v14, v17 src0_sel:BYTE_0 src1_sel:DWORD
	s_andn2_b64 s[20:21], s[20:21], exec
	s_and_b64 s[24:25], s[24:25], exec
	s_or_b64 s[20:21], s[20:21], s[24:25]
	s_or_b64 exec, exec, s[22:23]
	s_and_saveexec_b64 s[22:23], s[20:21]
	s_cbranch_execnz .LBB291_41
	s_branch .LBB291_42
.LBB291_349:
	s_movk_i32 s22, 0x80
	v_cmp_eq_u16_e32 vcc, s22, v17
	s_mov_b64 s[22:23], -1
	s_and_saveexec_b64 s[26:27], vcc
; %bb.350:
	s_xor_b64 s[22:23], exec, -1
; %bb.351:
	s_or_b64 exec, exec, s[26:27]
	s_and_b64 s[22:23], s[22:23], exec
	s_or_saveexec_b64 s[24:25], s[24:25]
	v_mov_b32_e32 v18, 0x7f800001
	s_xor_b64 exec, exec, s[24:25]
	s_cbranch_execz .LBB291_46
.LBB291_352:
	v_cmp_ne_u16_e32 vcc, 0, v17
	s_andn2_b64 s[22:23], s[22:23], exec
	s_and_b64 s[26:27], vcc, exec
	v_mov_b32_e32 v18, 0
	s_or_b64 s[22:23], s[22:23], s[26:27]
	s_or_b64 exec, exec, s[24:25]
	s_and_saveexec_b64 s[24:25], s[22:23]
	s_cbranch_execnz .LBB291_47
	s_branch .LBB291_48
.LBB291_353:
	s_movk_i32 s22, 0x80
	v_cmp_eq_u16_sdwa s[28:29], v14, s22 src0_sel:BYTE_1 src1_sel:DWORD
	s_mov_b64 s[22:23], -1
	s_and_saveexec_b64 s[26:27], s[28:29]
; %bb.354:
	s_xor_b64 s[22:23], exec, -1
; %bb.355:
	s_or_b64 exec, exec, s[26:27]
	s_and_b64 s[22:23], s[22:23], exec
	s_or_saveexec_b64 s[24:25], s[24:25]
	v_mov_b32_e32 v19, 0x7f800001
	s_xor_b64 exec, exec, s[24:25]
	s_cbranch_execz .LBB291_50
.LBB291_356:
	v_mov_b32_e32 v19, 0
	v_cmp_ne_u16_sdwa s[26:27], v14, v19 src0_sel:BYTE_1 src1_sel:DWORD
	s_andn2_b64 s[22:23], s[22:23], exec
	s_and_b64 s[26:27], s[26:27], exec
	s_or_b64 s[22:23], s[22:23], s[26:27]
	s_or_b64 exec, exec, s[24:25]
	s_and_saveexec_b64 s[24:25], s[22:23]
	s_cbranch_execnz .LBB291_51
	s_branch .LBB291_52
.LBB291_357:
	s_movk_i32 s24, 0x80
	v_cmp_eq_u16_sdwa s[30:31], v13, s24 src0_sel:BYTE_0 src1_sel:DWORD
	s_mov_b64 s[24:25], -1
	s_and_saveexec_b64 s[28:29], s[30:31]
; %bb.358:
	s_xor_b64 s[24:25], exec, -1
; %bb.359:
	s_or_b64 exec, exec, s[28:29]
	s_and_b64 s[24:25], s[24:25], exec
	s_or_saveexec_b64 s[26:27], s[26:27]
	v_mov_b32_e32 v14, 0x7f800001
	s_xor_b64 exec, exec, s[26:27]
	s_cbranch_execz .LBB291_56
.LBB291_360:
	v_mov_b32_e32 v14, 0
	v_cmp_ne_u16_sdwa s[28:29], v13, v14 src0_sel:BYTE_0 src1_sel:DWORD
	s_andn2_b64 s[24:25], s[24:25], exec
	s_and_b64 s[28:29], s[28:29], exec
	s_or_b64 s[24:25], s[24:25], s[28:29]
	s_or_b64 exec, exec, s[26:27]
	s_and_saveexec_b64 s[26:27], s[24:25]
	s_cbranch_execnz .LBB291_57
	s_branch .LBB291_58
.LBB291_361:
	s_movk_i32 s24, 0x80
	v_cmp_eq_u16_sdwa s[30:31], v12, s24 src0_sel:BYTE_0 src1_sel:DWORD
	s_mov_b64 s[24:25], -1
	s_and_saveexec_b64 s[28:29], s[30:31]
; %bb.362:
	s_xor_b64 s[24:25], exec, -1
; %bb.363:
	s_or_b64 exec, exec, s[28:29]
	s_and_b64 s[24:25], s[24:25], exec
	s_or_saveexec_b64 s[26:27], s[26:27]
	v_mov_b32_e32 v15, 0x7f800001
	s_xor_b64 exec, exec, s[26:27]
	s_cbranch_execz .LBB291_60
.LBB291_364:
	v_mov_b32_e32 v15, 0
	v_cmp_ne_u16_sdwa s[28:29], v12, v15 src0_sel:BYTE_0 src1_sel:DWORD
	s_andn2_b64 s[24:25], s[24:25], exec
	s_and_b64 s[28:29], s[28:29], exec
	s_or_b64 s[24:25], s[24:25], s[28:29]
	s_or_b64 exec, exec, s[26:27]
	s_and_saveexec_b64 s[26:27], s[24:25]
	s_cbranch_execnz .LBB291_61
	s_branch .LBB291_62
.LBB291_365:
	s_movk_i32 s26, 0x80
	v_cmp_eq_u16_e32 vcc, s26, v15
	s_mov_b64 s[26:27], -1
	s_and_saveexec_b64 s[30:31], vcc
; %bb.366:
	s_xor_b64 s[26:27], exec, -1
; %bb.367:
	s_or_b64 exec, exec, s[30:31]
	s_and_b64 s[26:27], s[26:27], exec
	s_or_saveexec_b64 s[28:29], s[28:29]
	v_mov_b32_e32 v16, 0x7f800001
	s_xor_b64 exec, exec, s[28:29]
	s_cbranch_execz .LBB291_66
.LBB291_368:
	v_cmp_ne_u16_e32 vcc, 0, v15
	s_andn2_b64 s[26:27], s[26:27], exec
	s_and_b64 s[30:31], vcc, exec
	v_mov_b32_e32 v16, 0
	s_or_b64 s[26:27], s[26:27], s[30:31]
	s_or_b64 exec, exec, s[28:29]
	s_and_saveexec_b64 s[28:29], s[26:27]
	s_cbranch_execnz .LBB291_67
	s_branch .LBB291_68
.LBB291_369:
	s_movk_i32 s26, 0x80
	v_cmp_eq_u16_sdwa s[34:35], v12, s26 src0_sel:BYTE_1 src1_sel:DWORD
	s_mov_b64 s[26:27], -1
	s_and_saveexec_b64 s[30:31], s[34:35]
; %bb.370:
	s_xor_b64 s[26:27], exec, -1
; %bb.371:
	s_or_b64 exec, exec, s[30:31]
	s_and_b64 s[26:27], s[26:27], exec
	s_or_saveexec_b64 s[28:29], s[28:29]
	v_mov_b32_e32 v17, 0x7f800001
	s_xor_b64 exec, exec, s[28:29]
	s_cbranch_execz .LBB291_70
.LBB291_372:
	v_mov_b32_e32 v17, 0
	v_cmp_ne_u16_sdwa s[30:31], v12, v17 src0_sel:BYTE_1 src1_sel:DWORD
	s_andn2_b64 s[26:27], s[26:27], exec
	s_and_b64 s[30:31], s[30:31], exec
	s_or_b64 s[26:27], s[26:27], s[30:31]
	s_or_b64 exec, exec, s[28:29]
	s_and_saveexec_b64 s[28:29], s[26:27]
	s_cbranch_execnz .LBB291_71
	s_branch .LBB291_72
.LBB291_373:
	s_movk_i32 s28, 0x80
	v_cmp_eq_u16_sdwa s[36:37], v11, s28 src0_sel:BYTE_0 src1_sel:DWORD
	s_mov_b64 s[28:29], -1
	s_and_saveexec_b64 s[34:35], s[36:37]
; %bb.374:
	s_xor_b64 s[28:29], exec, -1
; %bb.375:
	s_or_b64 exec, exec, s[34:35]
	s_and_b64 s[28:29], s[28:29], exec
	s_or_saveexec_b64 s[30:31], s[30:31]
	v_mov_b32_e32 v12, 0x7f800001
	s_xor_b64 exec, exec, s[30:31]
	s_cbranch_execz .LBB291_76
.LBB291_376:
	v_mov_b32_e32 v12, 0
	v_cmp_ne_u16_sdwa s[34:35], v11, v12 src0_sel:BYTE_0 src1_sel:DWORD
	s_andn2_b64 s[28:29], s[28:29], exec
	s_and_b64 s[34:35], s[34:35], exec
	s_or_b64 s[28:29], s[28:29], s[34:35]
	s_or_b64 exec, exec, s[30:31]
	s_and_saveexec_b64 s[30:31], s[28:29]
	s_cbranch_execnz .LBB291_77
	s_branch .LBB291_78
.LBB291_377:
	s_movk_i32 s28, 0x80
	v_cmp_eq_u16_sdwa s[36:37], v10, s28 src0_sel:BYTE_0 src1_sel:DWORD
	s_mov_b64 s[28:29], -1
	s_and_saveexec_b64 s[34:35], s[36:37]
; %bb.378:
	s_xor_b64 s[28:29], exec, -1
; %bb.379:
	s_or_b64 exec, exec, s[34:35]
	s_and_b64 s[28:29], s[28:29], exec
	s_or_saveexec_b64 s[30:31], s[30:31]
	v_mov_b32_e32 v13, 0x7f800001
	s_xor_b64 exec, exec, s[30:31]
	s_cbranch_execz .LBB291_80
.LBB291_380:
	v_mov_b32_e32 v13, 0
	v_cmp_ne_u16_sdwa s[34:35], v10, v13 src0_sel:BYTE_0 src1_sel:DWORD
	s_andn2_b64 s[28:29], s[28:29], exec
	s_and_b64 s[34:35], s[34:35], exec
	s_or_b64 s[28:29], s[28:29], s[34:35]
	s_or_b64 exec, exec, s[30:31]
	s_and_saveexec_b64 s[30:31], s[28:29]
	s_cbranch_execnz .LBB291_81
	s_branch .LBB291_82
.LBB291_381:
	s_movk_i32 s30, 0x80
	v_cmp_eq_u16_e32 vcc, s30, v13
	s_mov_b64 s[30:31], -1
	s_and_saveexec_b64 s[36:37], vcc
; %bb.382:
	s_xor_b64 s[30:31], exec, -1
; %bb.383:
	s_or_b64 exec, exec, s[36:37]
	s_and_b64 s[30:31], s[30:31], exec
	s_or_saveexec_b64 s[34:35], s[34:35]
	v_mov_b32_e32 v14, 0x7f800001
	s_xor_b64 exec, exec, s[34:35]
	s_cbranch_execz .LBB291_86
.LBB291_384:
	v_cmp_ne_u16_e32 vcc, 0, v13
	s_andn2_b64 s[30:31], s[30:31], exec
	s_and_b64 s[36:37], vcc, exec
	v_mov_b32_e32 v14, 0
	s_or_b64 s[30:31], s[30:31], s[36:37]
	s_or_b64 exec, exec, s[34:35]
	s_and_saveexec_b64 s[34:35], s[30:31]
	s_cbranch_execnz .LBB291_87
	s_branch .LBB291_88
.LBB291_385:
	s_movk_i32 s30, 0x80
	v_cmp_eq_u16_sdwa s[38:39], v10, s30 src0_sel:BYTE_1 src1_sel:DWORD
	s_mov_b64 s[30:31], -1
	s_and_saveexec_b64 s[36:37], s[38:39]
; %bb.386:
	s_xor_b64 s[30:31], exec, -1
; %bb.387:
	s_or_b64 exec, exec, s[36:37]
	s_and_b64 s[30:31], s[30:31], exec
	s_or_saveexec_b64 s[34:35], s[34:35]
	v_mov_b32_e32 v15, 0x7f800001
	s_xor_b64 exec, exec, s[34:35]
	s_cbranch_execz .LBB291_90
.LBB291_388:
	v_mov_b32_e32 v15, 0
	v_cmp_ne_u16_sdwa s[36:37], v10, v15 src0_sel:BYTE_1 src1_sel:DWORD
	s_andn2_b64 s[30:31], s[30:31], exec
	s_and_b64 s[36:37], s[36:37], exec
	s_or_b64 s[30:31], s[30:31], s[36:37]
	s_or_b64 exec, exec, s[34:35]
	s_and_saveexec_b64 s[34:35], s[30:31]
	s_cbranch_execnz .LBB291_91
	s_branch .LBB291_92
.LBB291_389:
	s_movk_i32 s34, 0x80
	v_cmp_eq_u16_sdwa s[40:41], v9, s34 src0_sel:BYTE_0 src1_sel:DWORD
	s_mov_b64 s[34:35], -1
	s_and_saveexec_b64 s[38:39], s[40:41]
; %bb.390:
	s_xor_b64 s[34:35], exec, -1
; %bb.391:
	s_or_b64 exec, exec, s[38:39]
	s_and_b64 s[34:35], s[34:35], exec
	s_or_saveexec_b64 s[36:37], s[36:37]
	v_mov_b32_e32 v10, 0x7f800001
	s_xor_b64 exec, exec, s[36:37]
	s_cbranch_execz .LBB291_96
.LBB291_392:
	v_mov_b32_e32 v10, 0
	v_cmp_ne_u16_sdwa s[38:39], v9, v10 src0_sel:BYTE_0 src1_sel:DWORD
	s_andn2_b64 s[34:35], s[34:35], exec
	s_and_b64 s[38:39], s[38:39], exec
	s_or_b64 s[34:35], s[34:35], s[38:39]
	s_or_b64 exec, exec, s[36:37]
	s_and_saveexec_b64 s[36:37], s[34:35]
	s_cbranch_execnz .LBB291_97
	s_branch .LBB291_98
.LBB291_393:
	s_movk_i32 s34, 0x80
	v_cmp_eq_u16_sdwa s[40:41], v8, s34 src0_sel:BYTE_0 src1_sel:DWORD
	s_mov_b64 s[34:35], -1
	s_and_saveexec_b64 s[38:39], s[40:41]
; %bb.394:
	s_xor_b64 s[34:35], exec, -1
; %bb.395:
	s_or_b64 exec, exec, s[38:39]
	s_and_b64 s[34:35], s[34:35], exec
	s_or_saveexec_b64 s[36:37], s[36:37]
	v_mov_b32_e32 v11, 0x7f800001
	s_xor_b64 exec, exec, s[36:37]
	s_cbranch_execz .LBB291_100
.LBB291_396:
	v_mov_b32_e32 v11, 0
	v_cmp_ne_u16_sdwa s[38:39], v8, v11 src0_sel:BYTE_0 src1_sel:DWORD
	s_andn2_b64 s[34:35], s[34:35], exec
	s_and_b64 s[38:39], s[38:39], exec
	s_or_b64 s[34:35], s[34:35], s[38:39]
	s_or_b64 exec, exec, s[36:37]
	s_and_saveexec_b64 s[36:37], s[34:35]
	s_cbranch_execnz .LBB291_101
	s_branch .LBB291_102
.LBB291_397:
	s_movk_i32 s36, 0x80
	v_cmp_eq_u16_e32 vcc, s36, v11
	s_mov_b64 s[36:37], -1
	s_and_saveexec_b64 s[40:41], vcc
; %bb.398:
	s_xor_b64 s[36:37], exec, -1
; %bb.399:
	s_or_b64 exec, exec, s[40:41]
	s_and_b64 s[36:37], s[36:37], exec
	s_or_saveexec_b64 s[38:39], s[38:39]
	v_mov_b32_e32 v12, 0x7f800001
	s_xor_b64 exec, exec, s[38:39]
	s_cbranch_execz .LBB291_106
.LBB291_400:
	v_cmp_ne_u16_e32 vcc, 0, v11
	s_andn2_b64 s[36:37], s[36:37], exec
	s_and_b64 s[40:41], vcc, exec
	v_mov_b32_e32 v12, 0
	s_or_b64 s[36:37], s[36:37], s[40:41]
	s_or_b64 exec, exec, s[38:39]
	s_and_saveexec_b64 s[38:39], s[36:37]
	s_cbranch_execnz .LBB291_107
	s_branch .LBB291_108
.LBB291_401:
	s_movk_i32 s36, 0x80
	v_cmp_eq_u16_sdwa s[42:43], v8, s36 src0_sel:BYTE_1 src1_sel:DWORD
	s_mov_b64 s[36:37], -1
	s_and_saveexec_b64 s[40:41], s[42:43]
; %bb.402:
	s_xor_b64 s[36:37], exec, -1
; %bb.403:
	s_or_b64 exec, exec, s[40:41]
	s_and_b64 s[36:37], s[36:37], exec
	s_or_saveexec_b64 s[38:39], s[38:39]
	v_mov_b32_e32 v13, 0x7f800001
	s_xor_b64 exec, exec, s[38:39]
	s_cbranch_execz .LBB291_110
.LBB291_404:
	v_mov_b32_e32 v13, 0
	v_cmp_ne_u16_sdwa s[40:41], v8, v13 src0_sel:BYTE_1 src1_sel:DWORD
	s_andn2_b64 s[36:37], s[36:37], exec
	s_and_b64 s[40:41], s[40:41], exec
	s_or_b64 s[36:37], s[36:37], s[40:41]
	s_or_b64 exec, exec, s[38:39]
	s_and_saveexec_b64 s[38:39], s[36:37]
	s_cbranch_execnz .LBB291_111
	s_branch .LBB291_112
.LBB291_405:
	s_movk_i32 s38, 0x80
	v_cmp_eq_u16_sdwa s[44:45], v7, s38 src0_sel:BYTE_0 src1_sel:DWORD
	s_mov_b64 s[38:39], -1
	s_and_saveexec_b64 s[42:43], s[44:45]
; %bb.406:
	s_xor_b64 s[38:39], exec, -1
; %bb.407:
	s_or_b64 exec, exec, s[42:43]
	s_and_b64 s[38:39], s[38:39], exec
	s_or_saveexec_b64 s[40:41], s[40:41]
	v_mov_b32_e32 v8, 0x7f800001
	s_xor_b64 exec, exec, s[40:41]
	s_cbranch_execz .LBB291_116
.LBB291_408:
	v_mov_b32_e32 v8, 0
	v_cmp_ne_u16_sdwa s[42:43], v7, v8 src0_sel:BYTE_0 src1_sel:DWORD
	s_andn2_b64 s[38:39], s[38:39], exec
	s_and_b64 s[42:43], s[42:43], exec
	s_or_b64 s[38:39], s[38:39], s[42:43]
	s_or_b64 exec, exec, s[40:41]
	s_and_saveexec_b64 s[40:41], s[38:39]
	s_cbranch_execnz .LBB291_117
	s_branch .LBB291_118
.LBB291_409:
	s_movk_i32 s38, 0x80
	v_cmp_eq_u16_sdwa s[44:45], v6, s38 src0_sel:BYTE_0 src1_sel:DWORD
	s_mov_b64 s[38:39], -1
	s_and_saveexec_b64 s[42:43], s[44:45]
; %bb.410:
	s_xor_b64 s[38:39], exec, -1
; %bb.411:
	s_or_b64 exec, exec, s[42:43]
	s_and_b64 s[38:39], s[38:39], exec
	s_or_saveexec_b64 s[40:41], s[40:41]
	v_mov_b32_e32 v9, 0x7f800001
	s_xor_b64 exec, exec, s[40:41]
	s_cbranch_execz .LBB291_120
.LBB291_412:
	v_mov_b32_e32 v9, 0
	v_cmp_ne_u16_sdwa s[42:43], v6, v9 src0_sel:BYTE_0 src1_sel:DWORD
	s_andn2_b64 s[38:39], s[38:39], exec
	s_and_b64 s[42:43], s[42:43], exec
	s_or_b64 s[38:39], s[38:39], s[42:43]
	s_or_b64 exec, exec, s[40:41]
	s_and_saveexec_b64 s[40:41], s[38:39]
	s_cbranch_execnz .LBB291_121
	s_branch .LBB291_122
.LBB291_413:
	s_movk_i32 s40, 0x80
	v_cmp_eq_u16_e32 vcc, s40, v9
	s_mov_b64 s[40:41], -1
	s_and_saveexec_b64 s[44:45], vcc
; %bb.414:
	s_xor_b64 s[40:41], exec, -1
; %bb.415:
	s_or_b64 exec, exec, s[44:45]
	s_and_b64 s[40:41], s[40:41], exec
	s_or_saveexec_b64 s[42:43], s[42:43]
	v_mov_b32_e32 v10, 0x7f800001
	s_xor_b64 exec, exec, s[42:43]
	s_cbranch_execz .LBB291_126
.LBB291_416:
	v_cmp_ne_u16_e32 vcc, 0, v9
	s_andn2_b64 s[40:41], s[40:41], exec
	s_and_b64 s[44:45], vcc, exec
	v_mov_b32_e32 v10, 0
	s_or_b64 s[40:41], s[40:41], s[44:45]
	s_or_b64 exec, exec, s[42:43]
	s_and_saveexec_b64 s[42:43], s[40:41]
	s_cbranch_execnz .LBB291_127
	s_branch .LBB291_128
.LBB291_417:
	s_movk_i32 s40, 0x80
	v_cmp_eq_u16_sdwa s[46:47], v6, s40 src0_sel:BYTE_1 src1_sel:DWORD
	s_mov_b64 s[40:41], -1
	s_and_saveexec_b64 s[44:45], s[46:47]
; %bb.418:
	s_xor_b64 s[40:41], exec, -1
; %bb.419:
	s_or_b64 exec, exec, s[44:45]
	s_and_b64 s[40:41], s[40:41], exec
	s_or_saveexec_b64 s[42:43], s[42:43]
	v_mov_b32_e32 v11, 0x7f800001
	s_xor_b64 exec, exec, s[42:43]
	s_cbranch_execz .LBB291_130
.LBB291_420:
	v_mov_b32_e32 v11, 0
	v_cmp_ne_u16_sdwa s[44:45], v6, v11 src0_sel:BYTE_1 src1_sel:DWORD
	s_andn2_b64 s[40:41], s[40:41], exec
	s_and_b64 s[44:45], s[44:45], exec
	s_or_b64 s[40:41], s[40:41], s[44:45]
	s_or_b64 exec, exec, s[42:43]
	s_and_saveexec_b64 s[42:43], s[40:41]
	s_cbranch_execnz .LBB291_131
	s_branch .LBB291_132
.LBB291_421:
	s_movk_i32 s42, 0x80
	v_cmp_eq_u16_sdwa s[48:49], v5, s42 src0_sel:BYTE_0 src1_sel:DWORD
	s_mov_b64 s[42:43], -1
	s_and_saveexec_b64 s[46:47], s[48:49]
; %bb.422:
	s_xor_b64 s[42:43], exec, -1
; %bb.423:
	s_or_b64 exec, exec, s[46:47]
	s_and_b64 s[42:43], s[42:43], exec
	s_or_saveexec_b64 s[44:45], s[44:45]
	v_mov_b32_e32 v6, 0x7f800001
	s_xor_b64 exec, exec, s[44:45]
	s_cbranch_execz .LBB291_136
.LBB291_424:
	v_mov_b32_e32 v6, 0
	v_cmp_ne_u16_sdwa s[46:47], v5, v6 src0_sel:BYTE_0 src1_sel:DWORD
	s_andn2_b64 s[42:43], s[42:43], exec
	s_and_b64 s[46:47], s[46:47], exec
	s_or_b64 s[42:43], s[42:43], s[46:47]
	s_or_b64 exec, exec, s[44:45]
	s_and_saveexec_b64 s[44:45], s[42:43]
	s_cbranch_execnz .LBB291_137
	s_branch .LBB291_138
.LBB291_425:
	s_movk_i32 s42, 0x80
	v_cmp_eq_u16_sdwa s[48:49], v4, s42 src0_sel:BYTE_0 src1_sel:DWORD
	s_mov_b64 s[42:43], -1
	s_and_saveexec_b64 s[46:47], s[48:49]
; %bb.426:
	s_xor_b64 s[42:43], exec, -1
; %bb.427:
	s_or_b64 exec, exec, s[46:47]
	s_and_b64 s[42:43], s[42:43], exec
	s_or_saveexec_b64 s[44:45], s[44:45]
	v_mov_b32_e32 v7, 0x7f800001
	s_xor_b64 exec, exec, s[44:45]
	s_cbranch_execz .LBB291_140
.LBB291_428:
	v_mov_b32_e32 v7, 0
	v_cmp_ne_u16_sdwa s[46:47], v4, v7 src0_sel:BYTE_0 src1_sel:DWORD
	s_andn2_b64 s[42:43], s[42:43], exec
	s_and_b64 s[46:47], s[46:47], exec
	s_or_b64 s[42:43], s[42:43], s[46:47]
	s_or_b64 exec, exec, s[44:45]
	s_and_saveexec_b64 s[44:45], s[42:43]
	s_cbranch_execnz .LBB291_141
	s_branch .LBB291_142
.LBB291_429:
	s_movk_i32 s44, 0x80
	v_cmp_eq_u16_e32 vcc, s44, v7
	s_mov_b64 s[44:45], -1
	s_and_saveexec_b64 s[48:49], vcc
; %bb.430:
	s_xor_b64 s[44:45], exec, -1
; %bb.431:
	s_or_b64 exec, exec, s[48:49]
	s_and_b64 s[44:45], s[44:45], exec
	s_or_saveexec_b64 s[46:47], s[46:47]
	v_mov_b32_e32 v8, 0x7f800001
	s_xor_b64 exec, exec, s[46:47]
	s_cbranch_execz .LBB291_146
.LBB291_432:
	v_cmp_ne_u16_e32 vcc, 0, v7
	s_andn2_b64 s[44:45], s[44:45], exec
	s_and_b64 s[48:49], vcc, exec
	v_mov_b32_e32 v8, 0
	s_or_b64 s[44:45], s[44:45], s[48:49]
	s_or_b64 exec, exec, s[46:47]
	s_and_saveexec_b64 s[46:47], s[44:45]
	s_cbranch_execnz .LBB291_147
	s_branch .LBB291_148
.LBB291_433:
	s_movk_i32 s44, 0x80
	v_cmp_eq_u16_sdwa s[50:51], v4, s44 src0_sel:BYTE_1 src1_sel:DWORD
	s_mov_b64 s[44:45], -1
	s_and_saveexec_b64 s[48:49], s[50:51]
; %bb.434:
	s_xor_b64 s[44:45], exec, -1
; %bb.435:
	s_or_b64 exec, exec, s[48:49]
	s_and_b64 s[44:45], s[44:45], exec
	s_or_saveexec_b64 s[46:47], s[46:47]
	v_mov_b32_e32 v9, 0x7f800001
	s_xor_b64 exec, exec, s[46:47]
	s_cbranch_execz .LBB291_150
.LBB291_436:
	v_mov_b32_e32 v9, 0
	v_cmp_ne_u16_sdwa s[48:49], v4, v9 src0_sel:BYTE_1 src1_sel:DWORD
	s_andn2_b64 s[44:45], s[44:45], exec
	s_and_b64 s[48:49], s[48:49], exec
	s_or_b64 s[44:45], s[44:45], s[48:49]
	s_or_b64 exec, exec, s[46:47]
	s_and_saveexec_b64 s[46:47], s[44:45]
	s_cbranch_execnz .LBB291_151
	s_branch .LBB291_152
.LBB291_437:
	s_movk_i32 s46, 0x80
	v_cmp_eq_u16_sdwa s[52:53], v3, s46 src0_sel:BYTE_0 src1_sel:DWORD
	s_mov_b64 s[46:47], -1
	s_and_saveexec_b64 s[50:51], s[52:53]
; %bb.438:
	s_xor_b64 s[46:47], exec, -1
; %bb.439:
	s_or_b64 exec, exec, s[50:51]
	s_and_b64 s[46:47], s[46:47], exec
	s_or_saveexec_b64 s[48:49], s[48:49]
	v_mov_b32_e32 v4, 0x7f800001
	s_xor_b64 exec, exec, s[48:49]
	s_cbranch_execz .LBB291_156
.LBB291_440:
	v_mov_b32_e32 v4, 0
	v_cmp_ne_u16_sdwa s[50:51], v3, v4 src0_sel:BYTE_0 src1_sel:DWORD
	s_andn2_b64 s[46:47], s[46:47], exec
	s_and_b64 s[50:51], s[50:51], exec
	s_or_b64 s[46:47], s[46:47], s[50:51]
	s_or_b64 exec, exec, s[48:49]
	s_and_saveexec_b64 s[48:49], s[46:47]
	s_cbranch_execnz .LBB291_157
	s_branch .LBB291_158
.LBB291_441:
	s_movk_i32 s46, 0x80
	v_cmp_eq_u16_sdwa s[52:53], v2, s46 src0_sel:BYTE_0 src1_sel:DWORD
	s_mov_b64 s[46:47], -1
	s_and_saveexec_b64 s[50:51], s[52:53]
; %bb.442:
	s_xor_b64 s[46:47], exec, -1
; %bb.443:
	s_or_b64 exec, exec, s[50:51]
	s_and_b64 s[46:47], s[46:47], exec
	s_or_saveexec_b64 s[48:49], s[48:49]
	v_mov_b32_e32 v5, 0x7f800001
	s_xor_b64 exec, exec, s[48:49]
	s_cbranch_execz .LBB291_160
.LBB291_444:
	v_mov_b32_e32 v5, 0
	v_cmp_ne_u16_sdwa s[50:51], v2, v5 src0_sel:BYTE_0 src1_sel:DWORD
	s_andn2_b64 s[46:47], s[46:47], exec
	s_and_b64 s[50:51], s[50:51], exec
	s_or_b64 s[46:47], s[46:47], s[50:51]
	s_or_b64 exec, exec, s[48:49]
	s_and_saveexec_b64 s[48:49], s[46:47]
	s_cbranch_execnz .LBB291_161
	s_branch .LBB291_162
.LBB291_445:
	s_movk_i32 s4, 0x80
	v_cmp_eq_u16_e32 vcc, s4, v5
	s_mov_b64 s[4:5], -1
	s_and_saveexec_b64 s[50:51], vcc
; %bb.446:
	s_xor_b64 s[4:5], exec, -1
; %bb.447:
	s_or_b64 exec, exec, s[50:51]
	s_and_b64 s[4:5], s[4:5], exec
	s_or_saveexec_b64 s[48:49], s[48:49]
	v_mov_b32_e32 v6, 0x7f800001
	s_xor_b64 exec, exec, s[48:49]
	s_cbranch_execz .LBB291_166
.LBB291_448:
	v_cmp_ne_u16_e32 vcc, 0, v5
	s_andn2_b64 s[4:5], s[4:5], exec
	s_and_b64 s[50:51], vcc, exec
	v_mov_b32_e32 v6, 0
	s_or_b64 s[4:5], s[4:5], s[50:51]
	s_or_b64 exec, exec, s[48:49]
	s_and_saveexec_b64 s[48:49], s[4:5]
	s_cbranch_execnz .LBB291_167
	s_branch .LBB291_168
.LBB291_449:
	s_movk_i32 s4, 0x80
	v_cmp_eq_u16_sdwa s[52:53], v2, s4 src0_sel:BYTE_1 src1_sel:DWORD
	s_mov_b64 s[4:5], -1
	s_and_saveexec_b64 s[50:51], s[52:53]
; %bb.450:
	s_xor_b64 s[4:5], exec, -1
; %bb.451:
	s_or_b64 exec, exec, s[50:51]
	s_and_b64 s[4:5], s[4:5], exec
	s_or_saveexec_b64 s[48:49], s[48:49]
	v_mov_b32_e32 v7, 0x7f800001
	s_xor_b64 exec, exec, s[48:49]
	s_cbranch_execz .LBB291_170
.LBB291_452:
	v_mov_b32_e32 v7, 0
	v_cmp_ne_u16_sdwa s[50:51], v2, v7 src0_sel:BYTE_1 src1_sel:DWORD
	s_andn2_b64 s[4:5], s[4:5], exec
	s_and_b64 s[50:51], s[50:51], exec
	s_or_b64 s[4:5], s[4:5], s[50:51]
	s_or_b64 exec, exec, s[48:49]
	s_and_saveexec_b64 s[48:49], s[4:5]
	s_cbranch_execnz .LBB291_171
	s_branch .LBB291_172
.LBB291_453:
	s_movk_i32 s4, 0x80
	v_cmp_eq_u16_sdwa s[22:23], v17, s4 src0_sel:BYTE_0 src1_sel:DWORD
	s_mov_b64 s[4:5], -1
	s_and_saveexec_b64 s[20:21], s[22:23]
; %bb.454:
	s_xor_b64 s[4:5], exec, -1
; %bb.455:
	s_or_b64 exec, exec, s[20:21]
	s_and_b64 s[4:5], s[4:5], exec
	s_or_saveexec_b64 s[16:17], s[16:17]
	v_mov_b32_e32 v18, 0x7f800001
	s_xor_b64 exec, exec, s[16:17]
	s_cbranch_execz .LBB291_16
.LBB291_456:
	v_mov_b32_e32 v18, 0
	v_cmp_ne_u16_sdwa s[20:21], v17, v18 src0_sel:BYTE_0 src1_sel:DWORD
	s_andn2_b64 s[4:5], s[4:5], exec
	s_and_b64 s[20:21], s[20:21], exec
	s_or_b64 s[4:5], s[4:5], s[20:21]
	s_or_b64 exec, exec, s[16:17]
	s_and_saveexec_b64 s[16:17], s[4:5]
	s_cbranch_execnz .LBB291_17
	s_branch .LBB291_18
.LBB291_457:
	s_movk_i32 s4, 0x80
	v_cmp_eq_u16_sdwa s[22:23], v16, s4 src0_sel:BYTE_0 src1_sel:DWORD
	s_mov_b64 s[4:5], -1
	s_and_saveexec_b64 s[20:21], s[22:23]
; %bb.458:
	s_xor_b64 s[4:5], exec, -1
; %bb.459:
	s_or_b64 exec, exec, s[20:21]
	s_and_b64 s[4:5], s[4:5], exec
	s_or_saveexec_b64 s[16:17], s[16:17]
	v_mov_b32_e32 v19, 0x7f800001
	s_xor_b64 exec, exec, s[16:17]
	s_cbranch_execz .LBB291_20
.LBB291_460:
	v_mov_b32_e32 v19, 0
	v_cmp_ne_u16_sdwa s[20:21], v16, v19 src0_sel:BYTE_0 src1_sel:DWORD
	s_andn2_b64 s[4:5], s[4:5], exec
	s_and_b64 s[20:21], s[20:21], exec
	s_or_b64 s[4:5], s[4:5], s[20:21]
	s_or_b64 exec, exec, s[16:17]
	s_and_saveexec_b64 s[16:17], s[4:5]
	s_cbranch_execnz .LBB291_21
	s_branch .LBB291_22
.LBB291_461:
	s_movk_i32 s18, 0x80
	v_cmp_eq_u16_sdwa s[24:25], v17, s18 src0_sel:BYTE_1 src1_sel:DWORD
	s_mov_b64 s[18:19], -1
	s_and_saveexec_b64 s[22:23], s[24:25]
; %bb.462:
	s_xor_b64 s[18:19], exec, -1
; %bb.463:
	s_or_b64 exec, exec, s[22:23]
	s_and_b64 s[18:19], s[18:19], exec
	s_or_saveexec_b64 s[20:21], s[20:21]
	v_mov_b32_e32 v20, 0x7f800001
	s_xor_b64 exec, exec, s[20:21]
	s_cbranch_execz .LBB291_176
.LBB291_464:
	v_mov_b32_e32 v20, 0
	v_cmp_ne_u16_sdwa s[22:23], v17, v20 src0_sel:BYTE_1 src1_sel:DWORD
	s_andn2_b64 s[18:19], s[18:19], exec
	s_and_b64 s[22:23], s[22:23], exec
	s_or_b64 s[18:19], s[18:19], s[22:23]
	s_or_b64 exec, exec, s[20:21]
	s_and_saveexec_b64 s[20:21], s[18:19]
	s_cbranch_execnz .LBB291_177
	s_branch .LBB291_178
.LBB291_465:
	s_movk_i32 s18, 0x80
	v_cmp_eq_u16_sdwa s[24:25], v16, s18 src0_sel:BYTE_1 src1_sel:DWORD
	s_mov_b64 s[18:19], -1
	s_and_saveexec_b64 s[22:23], s[24:25]
; %bb.466:
	s_xor_b64 s[18:19], exec, -1
; %bb.467:
	s_or_b64 exec, exec, s[22:23]
	s_and_b64 s[18:19], s[18:19], exec
	s_or_saveexec_b64 s[20:21], s[20:21]
	v_mov_b32_e32 v17, 0x7f800001
	s_xor_b64 exec, exec, s[20:21]
	s_cbranch_execz .LBB291_180
.LBB291_468:
	v_mov_b32_e32 v17, 0
	v_cmp_ne_u16_sdwa s[22:23], v16, v17 src0_sel:BYTE_1 src1_sel:DWORD
	s_andn2_b64 s[18:19], s[18:19], exec
	s_and_b64 s[22:23], s[22:23], exec
	s_or_b64 s[18:19], s[18:19], s[22:23]
	s_or_b64 exec, exec, s[20:21]
	s_and_saveexec_b64 s[20:21], s[18:19]
	s_cbranch_execnz .LBB291_181
	s_branch .LBB291_182
.LBB291_469:
	s_movk_i32 s20, 0x80
	v_cmp_eq_u16_sdwa s[26:27], v15, s20 src0_sel:BYTE_0 src1_sel:DWORD
	s_mov_b64 s[20:21], -1
	s_and_saveexec_b64 s[24:25], s[26:27]
; %bb.470:
	s_xor_b64 s[20:21], exec, -1
; %bb.471:
	s_or_b64 exec, exec, s[24:25]
	s_and_b64 s[20:21], s[20:21], exec
	s_or_saveexec_b64 s[22:23], s[22:23]
	v_mov_b32_e32 v16, 0x7f800001
	s_xor_b64 exec, exec, s[22:23]
	s_cbranch_execz .LBB291_186
.LBB291_472:
	v_mov_b32_e32 v16, 0
	v_cmp_ne_u16_sdwa s[24:25], v15, v16 src0_sel:BYTE_0 src1_sel:DWORD
	s_andn2_b64 s[20:21], s[20:21], exec
	s_and_b64 s[24:25], s[24:25], exec
	s_or_b64 s[20:21], s[20:21], s[24:25]
	s_or_b64 exec, exec, s[22:23]
	s_and_saveexec_b64 s[22:23], s[20:21]
	s_cbranch_execnz .LBB291_187
	s_branch .LBB291_188
.LBB291_473:
	s_movk_i32 s20, 0x80
	v_cmp_eq_u16_sdwa s[26:27], v14, s20 src0_sel:BYTE_0 src1_sel:DWORD
	s_mov_b64 s[20:21], -1
	s_and_saveexec_b64 s[24:25], s[26:27]
; %bb.474:
	s_xor_b64 s[20:21], exec, -1
; %bb.475:
	s_or_b64 exec, exec, s[24:25]
	s_and_b64 s[20:21], s[20:21], exec
	s_or_saveexec_b64 s[22:23], s[22:23]
	v_mov_b32_e32 v17, 0x7f800001
	s_xor_b64 exec, exec, s[22:23]
	s_cbranch_execz .LBB291_190
.LBB291_476:
	v_mov_b32_e32 v17, 0
	v_cmp_ne_u16_sdwa s[24:25], v14, v17 src0_sel:BYTE_0 src1_sel:DWORD
	s_andn2_b64 s[20:21], s[20:21], exec
	s_and_b64 s[24:25], s[24:25], exec
	s_or_b64 s[20:21], s[20:21], s[24:25]
	s_or_b64 exec, exec, s[22:23]
	s_and_saveexec_b64 s[22:23], s[20:21]
	s_cbranch_execnz .LBB291_191
	s_branch .LBB291_192
.LBB291_477:
	s_movk_i32 s22, 0x80
	v_cmp_eq_u16_sdwa s[28:29], v15, s22 src0_sel:BYTE_1 src1_sel:DWORD
	s_mov_b64 s[22:23], -1
	s_and_saveexec_b64 s[26:27], s[28:29]
; %bb.478:
	s_xor_b64 s[22:23], exec, -1
; %bb.479:
	s_or_b64 exec, exec, s[26:27]
	s_and_b64 s[22:23], s[22:23], exec
	s_or_saveexec_b64 s[24:25], s[24:25]
	v_mov_b32_e32 v18, 0x7f800001
	s_xor_b64 exec, exec, s[24:25]
	s_cbranch_execz .LBB291_196
.LBB291_480:
	v_mov_b32_e32 v18, 0
	v_cmp_ne_u16_sdwa s[26:27], v15, v18 src0_sel:BYTE_1 src1_sel:DWORD
	s_andn2_b64 s[22:23], s[22:23], exec
	s_and_b64 s[26:27], s[26:27], exec
	s_or_b64 s[22:23], s[22:23], s[26:27]
	s_or_b64 exec, exec, s[24:25]
	s_and_saveexec_b64 s[24:25], s[22:23]
	s_cbranch_execnz .LBB291_197
	s_branch .LBB291_198
.LBB291_481:
	s_movk_i32 s22, 0x80
	v_cmp_eq_u16_sdwa s[28:29], v14, s22 src0_sel:BYTE_1 src1_sel:DWORD
	s_mov_b64 s[22:23], -1
	s_and_saveexec_b64 s[26:27], s[28:29]
; %bb.482:
	s_xor_b64 s[22:23], exec, -1
; %bb.483:
	s_or_b64 exec, exec, s[26:27]
	s_and_b64 s[22:23], s[22:23], exec
	s_or_saveexec_b64 s[24:25], s[24:25]
	v_mov_b32_e32 v15, 0x7f800001
	s_xor_b64 exec, exec, s[24:25]
	s_cbranch_execz .LBB291_200
.LBB291_484:
	v_mov_b32_e32 v15, 0
	v_cmp_ne_u16_sdwa s[26:27], v14, v15 src0_sel:BYTE_1 src1_sel:DWORD
	s_andn2_b64 s[22:23], s[22:23], exec
	s_and_b64 s[26:27], s[26:27], exec
	s_or_b64 s[22:23], s[22:23], s[26:27]
	s_or_b64 exec, exec, s[24:25]
	s_and_saveexec_b64 s[24:25], s[22:23]
	s_cbranch_execnz .LBB291_201
	s_branch .LBB291_202
.LBB291_485:
	s_movk_i32 s24, 0x80
	v_cmp_eq_u16_sdwa s[30:31], v13, s24 src0_sel:BYTE_0 src1_sel:DWORD
	s_mov_b64 s[24:25], -1
	s_and_saveexec_b64 s[28:29], s[30:31]
; %bb.486:
	s_xor_b64 s[24:25], exec, -1
; %bb.487:
	s_or_b64 exec, exec, s[28:29]
	s_and_b64 s[24:25], s[24:25], exec
	s_or_saveexec_b64 s[26:27], s[26:27]
	v_mov_b32_e32 v14, 0x7f800001
	s_xor_b64 exec, exec, s[26:27]
	s_cbranch_execz .LBB291_206
.LBB291_488:
	v_mov_b32_e32 v14, 0
	v_cmp_ne_u16_sdwa s[28:29], v13, v14 src0_sel:BYTE_0 src1_sel:DWORD
	s_andn2_b64 s[24:25], s[24:25], exec
	s_and_b64 s[28:29], s[28:29], exec
	s_or_b64 s[24:25], s[24:25], s[28:29]
	s_or_b64 exec, exec, s[26:27]
	s_and_saveexec_b64 s[26:27], s[24:25]
	s_cbranch_execnz .LBB291_207
	s_branch .LBB291_208
.LBB291_489:
	s_movk_i32 s24, 0x80
	v_cmp_eq_u16_sdwa s[30:31], v12, s24 src0_sel:BYTE_0 src1_sel:DWORD
	s_mov_b64 s[24:25], -1
	s_and_saveexec_b64 s[28:29], s[30:31]
; %bb.490:
	s_xor_b64 s[24:25], exec, -1
; %bb.491:
	s_or_b64 exec, exec, s[28:29]
	s_and_b64 s[24:25], s[24:25], exec
	s_or_saveexec_b64 s[26:27], s[26:27]
	v_mov_b32_e32 v15, 0x7f800001
	s_xor_b64 exec, exec, s[26:27]
	s_cbranch_execz .LBB291_210
.LBB291_492:
	v_mov_b32_e32 v15, 0
	v_cmp_ne_u16_sdwa s[28:29], v12, v15 src0_sel:BYTE_0 src1_sel:DWORD
	s_andn2_b64 s[24:25], s[24:25], exec
	s_and_b64 s[28:29], s[28:29], exec
	s_or_b64 s[24:25], s[24:25], s[28:29]
	s_or_b64 exec, exec, s[26:27]
	s_and_saveexec_b64 s[26:27], s[24:25]
	s_cbranch_execnz .LBB291_211
	s_branch .LBB291_212
.LBB291_493:
	s_movk_i32 s26, 0x80
	v_cmp_eq_u16_sdwa s[34:35], v13, s26 src0_sel:BYTE_1 src1_sel:DWORD
	s_mov_b64 s[26:27], -1
	s_and_saveexec_b64 s[30:31], s[34:35]
; %bb.494:
	s_xor_b64 s[26:27], exec, -1
; %bb.495:
	s_or_b64 exec, exec, s[30:31]
	s_and_b64 s[26:27], s[26:27], exec
	s_or_saveexec_b64 s[28:29], s[28:29]
	v_mov_b32_e32 v16, 0x7f800001
	s_xor_b64 exec, exec, s[28:29]
	s_cbranch_execz .LBB291_216
.LBB291_496:
	v_mov_b32_e32 v16, 0
	v_cmp_ne_u16_sdwa s[30:31], v13, v16 src0_sel:BYTE_1 src1_sel:DWORD
	s_andn2_b64 s[26:27], s[26:27], exec
	s_and_b64 s[30:31], s[30:31], exec
	s_or_b64 s[26:27], s[26:27], s[30:31]
	s_or_b64 exec, exec, s[28:29]
	s_and_saveexec_b64 s[28:29], s[26:27]
	s_cbranch_execnz .LBB291_217
	s_branch .LBB291_218
.LBB291_497:
	s_movk_i32 s26, 0x80
	v_cmp_eq_u16_sdwa s[34:35], v12, s26 src0_sel:BYTE_1 src1_sel:DWORD
	s_mov_b64 s[26:27], -1
	s_and_saveexec_b64 s[30:31], s[34:35]
; %bb.498:
	s_xor_b64 s[26:27], exec, -1
; %bb.499:
	s_or_b64 exec, exec, s[30:31]
	s_and_b64 s[26:27], s[26:27], exec
	s_or_saveexec_b64 s[28:29], s[28:29]
	v_mov_b32_e32 v13, 0x7f800001
	s_xor_b64 exec, exec, s[28:29]
	s_cbranch_execz .LBB291_220
.LBB291_500:
	v_mov_b32_e32 v13, 0
	v_cmp_ne_u16_sdwa s[30:31], v12, v13 src0_sel:BYTE_1 src1_sel:DWORD
	s_andn2_b64 s[26:27], s[26:27], exec
	s_and_b64 s[30:31], s[30:31], exec
	s_or_b64 s[26:27], s[26:27], s[30:31]
	s_or_b64 exec, exec, s[28:29]
	s_and_saveexec_b64 s[28:29], s[26:27]
	s_cbranch_execnz .LBB291_221
	s_branch .LBB291_222
.LBB291_501:
	s_movk_i32 s28, 0x80
	v_cmp_eq_u16_sdwa s[36:37], v11, s28 src0_sel:BYTE_0 src1_sel:DWORD
	s_mov_b64 s[28:29], -1
	s_and_saveexec_b64 s[34:35], s[36:37]
; %bb.502:
	s_xor_b64 s[28:29], exec, -1
; %bb.503:
	s_or_b64 exec, exec, s[34:35]
	s_and_b64 s[28:29], s[28:29], exec
	s_or_saveexec_b64 s[30:31], s[30:31]
	v_mov_b32_e32 v12, 0x7f800001
	s_xor_b64 exec, exec, s[30:31]
	s_cbranch_execz .LBB291_226
.LBB291_504:
	v_mov_b32_e32 v12, 0
	v_cmp_ne_u16_sdwa s[34:35], v11, v12 src0_sel:BYTE_0 src1_sel:DWORD
	s_andn2_b64 s[28:29], s[28:29], exec
	s_and_b64 s[34:35], s[34:35], exec
	s_or_b64 s[28:29], s[28:29], s[34:35]
	s_or_b64 exec, exec, s[30:31]
	s_and_saveexec_b64 s[30:31], s[28:29]
	s_cbranch_execnz .LBB291_227
	s_branch .LBB291_228
.LBB291_505:
	s_movk_i32 s28, 0x80
	v_cmp_eq_u16_sdwa s[36:37], v10, s28 src0_sel:BYTE_0 src1_sel:DWORD
	s_mov_b64 s[28:29], -1
	s_and_saveexec_b64 s[34:35], s[36:37]
; %bb.506:
	s_xor_b64 s[28:29], exec, -1
; %bb.507:
	s_or_b64 exec, exec, s[34:35]
	s_and_b64 s[28:29], s[28:29], exec
	s_or_saveexec_b64 s[30:31], s[30:31]
	v_mov_b32_e32 v13, 0x7f800001
	s_xor_b64 exec, exec, s[30:31]
	s_cbranch_execz .LBB291_230
.LBB291_508:
	v_mov_b32_e32 v13, 0
	v_cmp_ne_u16_sdwa s[34:35], v10, v13 src0_sel:BYTE_0 src1_sel:DWORD
	s_andn2_b64 s[28:29], s[28:29], exec
	s_and_b64 s[34:35], s[34:35], exec
	s_or_b64 s[28:29], s[28:29], s[34:35]
	s_or_b64 exec, exec, s[30:31]
	s_and_saveexec_b64 s[30:31], s[28:29]
	s_cbranch_execnz .LBB291_231
	s_branch .LBB291_232
.LBB291_509:
	s_movk_i32 s30, 0x80
	v_cmp_eq_u16_sdwa s[38:39], v11, s30 src0_sel:BYTE_1 src1_sel:DWORD
	s_mov_b64 s[30:31], -1
	s_and_saveexec_b64 s[36:37], s[38:39]
; %bb.510:
	s_xor_b64 s[30:31], exec, -1
; %bb.511:
	s_or_b64 exec, exec, s[36:37]
	s_and_b64 s[30:31], s[30:31], exec
	s_or_saveexec_b64 s[34:35], s[34:35]
	v_mov_b32_e32 v14, 0x7f800001
	s_xor_b64 exec, exec, s[34:35]
	s_cbranch_execz .LBB291_236
.LBB291_512:
	v_mov_b32_e32 v14, 0
	v_cmp_ne_u16_sdwa s[36:37], v11, v14 src0_sel:BYTE_1 src1_sel:DWORD
	s_andn2_b64 s[30:31], s[30:31], exec
	s_and_b64 s[36:37], s[36:37], exec
	s_or_b64 s[30:31], s[30:31], s[36:37]
	s_or_b64 exec, exec, s[34:35]
	s_and_saveexec_b64 s[34:35], s[30:31]
	s_cbranch_execnz .LBB291_237
	s_branch .LBB291_238
.LBB291_513:
	s_movk_i32 s30, 0x80
	v_cmp_eq_u16_sdwa s[38:39], v10, s30 src0_sel:BYTE_1 src1_sel:DWORD
	s_mov_b64 s[30:31], -1
	s_and_saveexec_b64 s[36:37], s[38:39]
; %bb.514:
	s_xor_b64 s[30:31], exec, -1
; %bb.515:
	s_or_b64 exec, exec, s[36:37]
	s_and_b64 s[30:31], s[30:31], exec
	s_or_saveexec_b64 s[34:35], s[34:35]
	v_mov_b32_e32 v11, 0x7f800001
	s_xor_b64 exec, exec, s[34:35]
	s_cbranch_execz .LBB291_240
.LBB291_516:
	v_mov_b32_e32 v11, 0
	v_cmp_ne_u16_sdwa s[36:37], v10, v11 src0_sel:BYTE_1 src1_sel:DWORD
	s_andn2_b64 s[30:31], s[30:31], exec
	s_and_b64 s[36:37], s[36:37], exec
	s_or_b64 s[30:31], s[30:31], s[36:37]
	s_or_b64 exec, exec, s[34:35]
	s_and_saveexec_b64 s[34:35], s[30:31]
	s_cbranch_execnz .LBB291_241
	s_branch .LBB291_242
.LBB291_517:
	s_movk_i32 s34, 0x80
	v_cmp_eq_u16_sdwa s[40:41], v9, s34 src0_sel:BYTE_0 src1_sel:DWORD
	s_mov_b64 s[34:35], -1
	s_and_saveexec_b64 s[38:39], s[40:41]
; %bb.518:
	s_xor_b64 s[34:35], exec, -1
; %bb.519:
	s_or_b64 exec, exec, s[38:39]
	s_and_b64 s[34:35], s[34:35], exec
	s_or_saveexec_b64 s[36:37], s[36:37]
	v_mov_b32_e32 v10, 0x7f800001
	s_xor_b64 exec, exec, s[36:37]
	s_cbranch_execz .LBB291_246
.LBB291_520:
	v_mov_b32_e32 v10, 0
	v_cmp_ne_u16_sdwa s[38:39], v9, v10 src0_sel:BYTE_0 src1_sel:DWORD
	s_andn2_b64 s[34:35], s[34:35], exec
	s_and_b64 s[38:39], s[38:39], exec
	s_or_b64 s[34:35], s[34:35], s[38:39]
	s_or_b64 exec, exec, s[36:37]
	s_and_saveexec_b64 s[36:37], s[34:35]
	s_cbranch_execnz .LBB291_247
	s_branch .LBB291_248
.LBB291_521:
	s_movk_i32 s34, 0x80
	v_cmp_eq_u16_sdwa s[40:41], v8, s34 src0_sel:BYTE_0 src1_sel:DWORD
	s_mov_b64 s[34:35], -1
	s_and_saveexec_b64 s[38:39], s[40:41]
; %bb.522:
	s_xor_b64 s[34:35], exec, -1
; %bb.523:
	s_or_b64 exec, exec, s[38:39]
	s_and_b64 s[34:35], s[34:35], exec
	s_or_saveexec_b64 s[36:37], s[36:37]
	v_mov_b32_e32 v11, 0x7f800001
	s_xor_b64 exec, exec, s[36:37]
	s_cbranch_execz .LBB291_250
.LBB291_524:
	v_mov_b32_e32 v11, 0
	v_cmp_ne_u16_sdwa s[38:39], v8, v11 src0_sel:BYTE_0 src1_sel:DWORD
	s_andn2_b64 s[34:35], s[34:35], exec
	s_and_b64 s[38:39], s[38:39], exec
	s_or_b64 s[34:35], s[34:35], s[38:39]
	s_or_b64 exec, exec, s[36:37]
	s_and_saveexec_b64 s[36:37], s[34:35]
	s_cbranch_execnz .LBB291_251
	s_branch .LBB291_252
.LBB291_525:
	s_movk_i32 s36, 0x80
	v_cmp_eq_u16_sdwa s[42:43], v9, s36 src0_sel:BYTE_1 src1_sel:DWORD
	s_mov_b64 s[36:37], -1
	s_and_saveexec_b64 s[40:41], s[42:43]
; %bb.526:
	s_xor_b64 s[36:37], exec, -1
; %bb.527:
	s_or_b64 exec, exec, s[40:41]
	s_and_b64 s[36:37], s[36:37], exec
	s_or_saveexec_b64 s[38:39], s[38:39]
	v_mov_b32_e32 v12, 0x7f800001
	s_xor_b64 exec, exec, s[38:39]
	s_cbranch_execz .LBB291_256
.LBB291_528:
	v_mov_b32_e32 v12, 0
	v_cmp_ne_u16_sdwa s[40:41], v9, v12 src0_sel:BYTE_1 src1_sel:DWORD
	s_andn2_b64 s[36:37], s[36:37], exec
	s_and_b64 s[40:41], s[40:41], exec
	s_or_b64 s[36:37], s[36:37], s[40:41]
	s_or_b64 exec, exec, s[38:39]
	s_and_saveexec_b64 s[38:39], s[36:37]
	s_cbranch_execnz .LBB291_257
	s_branch .LBB291_258
.LBB291_529:
	s_movk_i32 s36, 0x80
	v_cmp_eq_u16_sdwa s[42:43], v8, s36 src0_sel:BYTE_1 src1_sel:DWORD
	s_mov_b64 s[36:37], -1
	s_and_saveexec_b64 s[40:41], s[42:43]
; %bb.530:
	s_xor_b64 s[36:37], exec, -1
; %bb.531:
	s_or_b64 exec, exec, s[40:41]
	s_and_b64 s[36:37], s[36:37], exec
	s_or_saveexec_b64 s[38:39], s[38:39]
	v_mov_b32_e32 v9, 0x7f800001
	s_xor_b64 exec, exec, s[38:39]
	s_cbranch_execz .LBB291_260
.LBB291_532:
	v_mov_b32_e32 v9, 0
	v_cmp_ne_u16_sdwa s[40:41], v8, v9 src0_sel:BYTE_1 src1_sel:DWORD
	s_andn2_b64 s[36:37], s[36:37], exec
	s_and_b64 s[40:41], s[40:41], exec
	s_or_b64 s[36:37], s[36:37], s[40:41]
	s_or_b64 exec, exec, s[38:39]
	s_and_saveexec_b64 s[38:39], s[36:37]
	s_cbranch_execnz .LBB291_261
	s_branch .LBB291_262
.LBB291_533:
	s_movk_i32 s38, 0x80
	v_cmp_eq_u16_sdwa s[44:45], v7, s38 src0_sel:BYTE_0 src1_sel:DWORD
	s_mov_b64 s[38:39], -1
	s_and_saveexec_b64 s[42:43], s[44:45]
; %bb.534:
	s_xor_b64 s[38:39], exec, -1
; %bb.535:
	s_or_b64 exec, exec, s[42:43]
	s_and_b64 s[38:39], s[38:39], exec
	s_or_saveexec_b64 s[40:41], s[40:41]
	v_mov_b32_e32 v8, 0x7f800001
	s_xor_b64 exec, exec, s[40:41]
	s_cbranch_execz .LBB291_266
.LBB291_536:
	v_mov_b32_e32 v8, 0
	v_cmp_ne_u16_sdwa s[42:43], v7, v8 src0_sel:BYTE_0 src1_sel:DWORD
	s_andn2_b64 s[38:39], s[38:39], exec
	s_and_b64 s[42:43], s[42:43], exec
	s_or_b64 s[38:39], s[38:39], s[42:43]
	s_or_b64 exec, exec, s[40:41]
	s_and_saveexec_b64 s[40:41], s[38:39]
	s_cbranch_execnz .LBB291_267
	s_branch .LBB291_268
.LBB291_537:
	s_movk_i32 s38, 0x80
	v_cmp_eq_u16_sdwa s[44:45], v6, s38 src0_sel:BYTE_0 src1_sel:DWORD
	s_mov_b64 s[38:39], -1
	s_and_saveexec_b64 s[42:43], s[44:45]
; %bb.538:
	s_xor_b64 s[38:39], exec, -1
; %bb.539:
	s_or_b64 exec, exec, s[42:43]
	s_and_b64 s[38:39], s[38:39], exec
	s_or_saveexec_b64 s[40:41], s[40:41]
	v_mov_b32_e32 v9, 0x7f800001
	s_xor_b64 exec, exec, s[40:41]
	s_cbranch_execz .LBB291_270
.LBB291_540:
	v_mov_b32_e32 v9, 0
	v_cmp_ne_u16_sdwa s[42:43], v6, v9 src0_sel:BYTE_0 src1_sel:DWORD
	s_andn2_b64 s[38:39], s[38:39], exec
	s_and_b64 s[42:43], s[42:43], exec
	s_or_b64 s[38:39], s[38:39], s[42:43]
	s_or_b64 exec, exec, s[40:41]
	s_and_saveexec_b64 s[40:41], s[38:39]
	s_cbranch_execnz .LBB291_271
	s_branch .LBB291_272
.LBB291_541:
	s_movk_i32 s40, 0x80
	v_cmp_eq_u16_sdwa s[46:47], v7, s40 src0_sel:BYTE_1 src1_sel:DWORD
	s_mov_b64 s[40:41], -1
	s_and_saveexec_b64 s[44:45], s[46:47]
; %bb.542:
	s_xor_b64 s[40:41], exec, -1
; %bb.543:
	s_or_b64 exec, exec, s[44:45]
	s_and_b64 s[40:41], s[40:41], exec
	s_or_saveexec_b64 s[42:43], s[42:43]
	v_mov_b32_e32 v10, 0x7f800001
	s_xor_b64 exec, exec, s[42:43]
	s_cbranch_execz .LBB291_276
.LBB291_544:
	v_mov_b32_e32 v10, 0
	v_cmp_ne_u16_sdwa s[44:45], v7, v10 src0_sel:BYTE_1 src1_sel:DWORD
	s_andn2_b64 s[40:41], s[40:41], exec
	s_and_b64 s[44:45], s[44:45], exec
	s_or_b64 s[40:41], s[40:41], s[44:45]
	s_or_b64 exec, exec, s[42:43]
	s_and_saveexec_b64 s[42:43], s[40:41]
	s_cbranch_execnz .LBB291_277
	s_branch .LBB291_278
.LBB291_545:
	s_movk_i32 s40, 0x80
	v_cmp_eq_u16_sdwa s[46:47], v6, s40 src0_sel:BYTE_1 src1_sel:DWORD
	s_mov_b64 s[40:41], -1
	s_and_saveexec_b64 s[44:45], s[46:47]
; %bb.546:
	s_xor_b64 s[40:41], exec, -1
; %bb.547:
	s_or_b64 exec, exec, s[44:45]
	s_and_b64 s[40:41], s[40:41], exec
	s_or_saveexec_b64 s[42:43], s[42:43]
	v_mov_b32_e32 v7, 0x7f800001
	s_xor_b64 exec, exec, s[42:43]
	s_cbranch_execz .LBB291_280
.LBB291_548:
	v_mov_b32_e32 v7, 0
	v_cmp_ne_u16_sdwa s[44:45], v6, v7 src0_sel:BYTE_1 src1_sel:DWORD
	s_andn2_b64 s[40:41], s[40:41], exec
	s_and_b64 s[44:45], s[44:45], exec
	s_or_b64 s[40:41], s[40:41], s[44:45]
	s_or_b64 exec, exec, s[42:43]
	s_and_saveexec_b64 s[42:43], s[40:41]
	s_cbranch_execnz .LBB291_281
	s_branch .LBB291_282
.LBB291_549:
	s_movk_i32 s42, 0x80
	v_cmp_eq_u16_sdwa s[48:49], v5, s42 src0_sel:BYTE_0 src1_sel:DWORD
	s_mov_b64 s[42:43], -1
	s_and_saveexec_b64 s[46:47], s[48:49]
; %bb.550:
	s_xor_b64 s[42:43], exec, -1
; %bb.551:
	s_or_b64 exec, exec, s[46:47]
	s_and_b64 s[42:43], s[42:43], exec
	s_or_saveexec_b64 s[44:45], s[44:45]
	v_mov_b32_e32 v6, 0x7f800001
	s_xor_b64 exec, exec, s[44:45]
	s_cbranch_execz .LBB291_286
.LBB291_552:
	v_mov_b32_e32 v6, 0
	v_cmp_ne_u16_sdwa s[46:47], v5, v6 src0_sel:BYTE_0 src1_sel:DWORD
	s_andn2_b64 s[42:43], s[42:43], exec
	s_and_b64 s[46:47], s[46:47], exec
	s_or_b64 s[42:43], s[42:43], s[46:47]
	s_or_b64 exec, exec, s[44:45]
	s_and_saveexec_b64 s[44:45], s[42:43]
	s_cbranch_execnz .LBB291_287
	s_branch .LBB291_288
.LBB291_553:
	s_movk_i32 s42, 0x80
	v_cmp_eq_u16_sdwa s[48:49], v4, s42 src0_sel:BYTE_0 src1_sel:DWORD
	s_mov_b64 s[42:43], -1
	s_and_saveexec_b64 s[46:47], s[48:49]
; %bb.554:
	s_xor_b64 s[42:43], exec, -1
; %bb.555:
	s_or_b64 exec, exec, s[46:47]
	s_and_b64 s[42:43], s[42:43], exec
	s_or_saveexec_b64 s[44:45], s[44:45]
	v_mov_b32_e32 v7, 0x7f800001
	s_xor_b64 exec, exec, s[44:45]
	s_cbranch_execz .LBB291_290
.LBB291_556:
	v_mov_b32_e32 v7, 0
	v_cmp_ne_u16_sdwa s[46:47], v4, v7 src0_sel:BYTE_0 src1_sel:DWORD
	s_andn2_b64 s[42:43], s[42:43], exec
	s_and_b64 s[46:47], s[46:47], exec
	s_or_b64 s[42:43], s[42:43], s[46:47]
	s_or_b64 exec, exec, s[44:45]
	s_and_saveexec_b64 s[44:45], s[42:43]
	s_cbranch_execnz .LBB291_291
	s_branch .LBB291_292
.LBB291_557:
	s_movk_i32 s44, 0x80
	v_cmp_eq_u16_sdwa s[50:51], v5, s44 src0_sel:BYTE_1 src1_sel:DWORD
	s_mov_b64 s[44:45], -1
	s_and_saveexec_b64 s[48:49], s[50:51]
; %bb.558:
	s_xor_b64 s[44:45], exec, -1
; %bb.559:
	s_or_b64 exec, exec, s[48:49]
	s_and_b64 s[44:45], s[44:45], exec
	s_or_saveexec_b64 s[46:47], s[46:47]
	v_mov_b32_e32 v8, 0x7f800001
	s_xor_b64 exec, exec, s[46:47]
	s_cbranch_execz .LBB291_296
.LBB291_560:
	v_mov_b32_e32 v8, 0
	v_cmp_ne_u16_sdwa s[48:49], v5, v8 src0_sel:BYTE_1 src1_sel:DWORD
	s_andn2_b64 s[44:45], s[44:45], exec
	s_and_b64 s[48:49], s[48:49], exec
	s_or_b64 s[44:45], s[44:45], s[48:49]
	s_or_b64 exec, exec, s[46:47]
	s_and_saveexec_b64 s[46:47], s[44:45]
	s_cbranch_execnz .LBB291_297
	s_branch .LBB291_298
.LBB291_561:
	s_movk_i32 s44, 0x80
	v_cmp_eq_u16_sdwa s[50:51], v4, s44 src0_sel:BYTE_1 src1_sel:DWORD
	s_mov_b64 s[44:45], -1
	s_and_saveexec_b64 s[48:49], s[50:51]
; %bb.562:
	s_xor_b64 s[44:45], exec, -1
; %bb.563:
	s_or_b64 exec, exec, s[48:49]
	s_and_b64 s[44:45], s[44:45], exec
	s_or_saveexec_b64 s[46:47], s[46:47]
	v_mov_b32_e32 v5, 0x7f800001
	s_xor_b64 exec, exec, s[46:47]
	s_cbranch_execz .LBB291_300
.LBB291_564:
	v_mov_b32_e32 v5, 0
	v_cmp_ne_u16_sdwa s[48:49], v4, v5 src0_sel:BYTE_1 src1_sel:DWORD
	s_andn2_b64 s[44:45], s[44:45], exec
	s_and_b64 s[48:49], s[48:49], exec
	s_or_b64 s[44:45], s[44:45], s[48:49]
	s_or_b64 exec, exec, s[46:47]
	s_and_saveexec_b64 s[46:47], s[44:45]
	s_cbranch_execnz .LBB291_301
	s_branch .LBB291_302
.LBB291_565:
	s_movk_i32 s46, 0x80
	v_cmp_eq_u16_sdwa s[52:53], v3, s46 src0_sel:BYTE_0 src1_sel:DWORD
	s_mov_b64 s[46:47], -1
	s_and_saveexec_b64 s[50:51], s[52:53]
; %bb.566:
	s_xor_b64 s[46:47], exec, -1
; %bb.567:
	s_or_b64 exec, exec, s[50:51]
	s_and_b64 s[46:47], s[46:47], exec
	s_or_saveexec_b64 s[48:49], s[48:49]
	v_mov_b32_e32 v4, 0x7f800001
	s_xor_b64 exec, exec, s[48:49]
	s_cbranch_execz .LBB291_306
.LBB291_568:
	v_mov_b32_e32 v4, 0
	v_cmp_ne_u16_sdwa s[50:51], v3, v4 src0_sel:BYTE_0 src1_sel:DWORD
	s_andn2_b64 s[46:47], s[46:47], exec
	s_and_b64 s[50:51], s[50:51], exec
	s_or_b64 s[46:47], s[46:47], s[50:51]
	s_or_b64 exec, exec, s[48:49]
	s_and_saveexec_b64 s[48:49], s[46:47]
	s_cbranch_execnz .LBB291_307
	s_branch .LBB291_308
.LBB291_569:
	s_movk_i32 s46, 0x80
	v_cmp_eq_u16_sdwa s[52:53], v2, s46 src0_sel:BYTE_0 src1_sel:DWORD
	s_mov_b64 s[46:47], -1
	s_and_saveexec_b64 s[50:51], s[52:53]
; %bb.570:
	s_xor_b64 s[46:47], exec, -1
; %bb.571:
	s_or_b64 exec, exec, s[50:51]
	s_and_b64 s[46:47], s[46:47], exec
	s_or_saveexec_b64 s[48:49], s[48:49]
	v_mov_b32_e32 v5, 0x7f800001
	s_xor_b64 exec, exec, s[48:49]
	s_cbranch_execz .LBB291_310
.LBB291_572:
	v_mov_b32_e32 v5, 0
	v_cmp_ne_u16_sdwa s[50:51], v2, v5 src0_sel:BYTE_0 src1_sel:DWORD
	s_andn2_b64 s[46:47], s[46:47], exec
	s_and_b64 s[50:51], s[50:51], exec
	s_or_b64 s[46:47], s[46:47], s[50:51]
	s_or_b64 exec, exec, s[48:49]
	s_and_saveexec_b64 s[48:49], s[46:47]
	s_cbranch_execnz .LBB291_311
	s_branch .LBB291_312
.LBB291_573:
	s_movk_i32 s4, 0x80
	v_cmp_eq_u16_sdwa s[52:53], v3, s4 src0_sel:BYTE_1 src1_sel:DWORD
	s_mov_b64 s[4:5], -1
	s_and_saveexec_b64 s[50:51], s[52:53]
; %bb.574:
	s_xor_b64 s[4:5], exec, -1
; %bb.575:
	s_or_b64 exec, exec, s[50:51]
	s_and_b64 s[4:5], s[4:5], exec
	s_or_saveexec_b64 s[48:49], s[48:49]
	v_mov_b32_e32 v6, 0x7f800001
	s_xor_b64 exec, exec, s[48:49]
	s_cbranch_execz .LBB291_316
.LBB291_576:
	v_mov_b32_e32 v6, 0
	v_cmp_ne_u16_sdwa s[50:51], v3, v6 src0_sel:BYTE_1 src1_sel:DWORD
	s_andn2_b64 s[4:5], s[4:5], exec
	s_and_b64 s[50:51], s[50:51], exec
	s_or_b64 s[4:5], s[4:5], s[50:51]
	s_or_b64 exec, exec, s[48:49]
	s_and_saveexec_b64 s[48:49], s[4:5]
	s_cbranch_execnz .LBB291_317
	s_branch .LBB291_318
.LBB291_577:
	s_movk_i32 s4, 0x80
	v_cmp_eq_u16_sdwa s[52:53], v2, s4 src0_sel:BYTE_1 src1_sel:DWORD
	s_mov_b64 s[4:5], -1
	s_and_saveexec_b64 s[50:51], s[52:53]
; %bb.578:
	s_xor_b64 s[4:5], exec, -1
; %bb.579:
	s_or_b64 exec, exec, s[50:51]
	s_and_b64 s[4:5], s[4:5], exec
	s_or_saveexec_b64 s[48:49], s[48:49]
	v_mov_b32_e32 v3, 0x7f800001
	s_xor_b64 exec, exec, s[48:49]
	s_cbranch_execz .LBB291_320
.LBB291_580:
	v_mov_b32_e32 v3, 0
	v_cmp_ne_u16_sdwa s[50:51], v2, v3 src0_sel:BYTE_1 src1_sel:DWORD
	s_andn2_b64 s[4:5], s[4:5], exec
	s_and_b64 s[50:51], s[50:51], exec
	s_or_b64 s[4:5], s[4:5], s[50:51]
	s_or_b64 exec, exec, s[48:49]
	s_and_saveexec_b64 s[48:49], s[4:5]
	s_cbranch_execnz .LBB291_321
	s_branch .LBB291_322
	.section	.rodata,"a",@progbits
	.p2align	6, 0x0
	.amdhsa_kernel _ZN2at6native29vectorized_elementwise_kernelILi2ENS0_13BinaryFunctorIN3c1015Float8_e4m3fnuzES4_bNS0_12_GLOBAL__N_116CompareEqFunctorIS4_EEEESt5arrayIPcLm3EEEEviT0_T1_
		.amdhsa_group_segment_fixed_size 0
		.amdhsa_private_segment_fixed_size 0
		.amdhsa_kernarg_size 32
		.amdhsa_user_sgpr_count 6
		.amdhsa_user_sgpr_private_segment_buffer 1
		.amdhsa_user_sgpr_dispatch_ptr 0
		.amdhsa_user_sgpr_queue_ptr 0
		.amdhsa_user_sgpr_kernarg_segment_ptr 1
		.amdhsa_user_sgpr_dispatch_id 0
		.amdhsa_user_sgpr_flat_scratch_init 0
		.amdhsa_user_sgpr_private_segment_size 0
		.amdhsa_uses_dynamic_stack 0
		.amdhsa_system_sgpr_private_segment_wavefront_offset 0
		.amdhsa_system_sgpr_workgroup_id_x 1
		.amdhsa_system_sgpr_workgroup_id_y 0
		.amdhsa_system_sgpr_workgroup_id_z 0
		.amdhsa_system_sgpr_workgroup_info 0
		.amdhsa_system_vgpr_workitem_id 0
		.amdhsa_next_free_vgpr 55
		.amdhsa_next_free_sgpr 57
		.amdhsa_reserve_vcc 1
		.amdhsa_reserve_flat_scratch 0
		.amdhsa_float_round_mode_32 0
		.amdhsa_float_round_mode_16_64 0
		.amdhsa_float_denorm_mode_32 3
		.amdhsa_float_denorm_mode_16_64 3
		.amdhsa_dx10_clamp 1
		.amdhsa_ieee_mode 1
		.amdhsa_fp16_overflow 0
		.amdhsa_exception_fp_ieee_invalid_op 0
		.amdhsa_exception_fp_denorm_src 0
		.amdhsa_exception_fp_ieee_div_zero 0
		.amdhsa_exception_fp_ieee_overflow 0
		.amdhsa_exception_fp_ieee_underflow 0
		.amdhsa_exception_fp_ieee_inexact 0
		.amdhsa_exception_int_div_zero 0
	.end_amdhsa_kernel
	.section	.text._ZN2at6native29vectorized_elementwise_kernelILi2ENS0_13BinaryFunctorIN3c1015Float8_e4m3fnuzES4_bNS0_12_GLOBAL__N_116CompareEqFunctorIS4_EEEESt5arrayIPcLm3EEEEviT0_T1_,"axG",@progbits,_ZN2at6native29vectorized_elementwise_kernelILi2ENS0_13BinaryFunctorIN3c1015Float8_e4m3fnuzES4_bNS0_12_GLOBAL__N_116CompareEqFunctorIS4_EEEESt5arrayIPcLm3EEEEviT0_T1_,comdat
.Lfunc_end291:
	.size	_ZN2at6native29vectorized_elementwise_kernelILi2ENS0_13BinaryFunctorIN3c1015Float8_e4m3fnuzES4_bNS0_12_GLOBAL__N_116CompareEqFunctorIS4_EEEESt5arrayIPcLm3EEEEviT0_T1_, .Lfunc_end291-_ZN2at6native29vectorized_elementwise_kernelILi2ENS0_13BinaryFunctorIN3c1015Float8_e4m3fnuzES4_bNS0_12_GLOBAL__N_116CompareEqFunctorIS4_EEEESt5arrayIPcLm3EEEEviT0_T1_
                                        ; -- End function
	.set _ZN2at6native29vectorized_elementwise_kernelILi2ENS0_13BinaryFunctorIN3c1015Float8_e4m3fnuzES4_bNS0_12_GLOBAL__N_116CompareEqFunctorIS4_EEEESt5arrayIPcLm3EEEEviT0_T1_.num_vgpr, max(32, .L_ZN2at6native25elementwise_kernel_helperILb0ENS0_13BinaryFunctorIN3c1015Float8_e4m3fnuzES4_bNS0_12_GLOBAL__N_116CompareEqFunctorIS4_EEEENS0_6memory8policies11unroll_baseILi256ESt5arrayIPcLm3EE23TrivialOffsetCalculatorILi2EjESF_ILi1EjENS9_15LoadWithoutCastENS9_16StoreWithoutCastELi16ELi1EEEEEvT0_T1_.num_vgpr)
	.set _ZN2at6native29vectorized_elementwise_kernelILi2ENS0_13BinaryFunctorIN3c1015Float8_e4m3fnuzES4_bNS0_12_GLOBAL__N_116CompareEqFunctorIS4_EEEESt5arrayIPcLm3EEEEviT0_T1_.num_agpr, max(0, .L_ZN2at6native25elementwise_kernel_helperILb0ENS0_13BinaryFunctorIN3c1015Float8_e4m3fnuzES4_bNS0_12_GLOBAL__N_116CompareEqFunctorIS4_EEEENS0_6memory8policies11unroll_baseILi256ESt5arrayIPcLm3EE23TrivialOffsetCalculatorILi2EjESF_ILi1EjENS9_15LoadWithoutCastENS9_16StoreWithoutCastELi16ELi1EEEEEvT0_T1_.num_agpr)
	.set _ZN2at6native29vectorized_elementwise_kernelILi2ENS0_13BinaryFunctorIN3c1015Float8_e4m3fnuzES4_bNS0_12_GLOBAL__N_116CompareEqFunctorIS4_EEEESt5arrayIPcLm3EEEEviT0_T1_.numbered_sgpr, max(54, .L_ZN2at6native25elementwise_kernel_helperILb0ENS0_13BinaryFunctorIN3c1015Float8_e4m3fnuzES4_bNS0_12_GLOBAL__N_116CompareEqFunctorIS4_EEEENS0_6memory8policies11unroll_baseILi256ESt5arrayIPcLm3EE23TrivialOffsetCalculatorILi2EjESF_ILi1EjENS9_15LoadWithoutCastENS9_16StoreWithoutCastELi16ELi1EEEEEvT0_T1_.numbered_sgpr)
	.set _ZN2at6native29vectorized_elementwise_kernelILi2ENS0_13BinaryFunctorIN3c1015Float8_e4m3fnuzES4_bNS0_12_GLOBAL__N_116CompareEqFunctorIS4_EEEESt5arrayIPcLm3EEEEviT0_T1_.num_named_barrier, max(0, .L_ZN2at6native25elementwise_kernel_helperILb0ENS0_13BinaryFunctorIN3c1015Float8_e4m3fnuzES4_bNS0_12_GLOBAL__N_116CompareEqFunctorIS4_EEEENS0_6memory8policies11unroll_baseILi256ESt5arrayIPcLm3EE23TrivialOffsetCalculatorILi2EjESF_ILi1EjENS9_15LoadWithoutCastENS9_16StoreWithoutCastELi16ELi1EEEEEvT0_T1_.num_named_barrier)
	.set _ZN2at6native29vectorized_elementwise_kernelILi2ENS0_13BinaryFunctorIN3c1015Float8_e4m3fnuzES4_bNS0_12_GLOBAL__N_116CompareEqFunctorIS4_EEEESt5arrayIPcLm3EEEEviT0_T1_.private_seg_size, 0+max(.L_ZN2at6native25elementwise_kernel_helperILb0ENS0_13BinaryFunctorIN3c1015Float8_e4m3fnuzES4_bNS0_12_GLOBAL__N_116CompareEqFunctorIS4_EEEENS0_6memory8policies11unroll_baseILi256ESt5arrayIPcLm3EE23TrivialOffsetCalculatorILi2EjESF_ILi1EjENS9_15LoadWithoutCastENS9_16StoreWithoutCastELi16ELi1EEEEEvT0_T1_.private_seg_size)
	.set _ZN2at6native29vectorized_elementwise_kernelILi2ENS0_13BinaryFunctorIN3c1015Float8_e4m3fnuzES4_bNS0_12_GLOBAL__N_116CompareEqFunctorIS4_EEEESt5arrayIPcLm3EEEEviT0_T1_.uses_vcc, or(1, .L_ZN2at6native25elementwise_kernel_helperILb0ENS0_13BinaryFunctorIN3c1015Float8_e4m3fnuzES4_bNS0_12_GLOBAL__N_116CompareEqFunctorIS4_EEEENS0_6memory8policies11unroll_baseILi256ESt5arrayIPcLm3EE23TrivialOffsetCalculatorILi2EjESF_ILi1EjENS9_15LoadWithoutCastENS9_16StoreWithoutCastELi16ELi1EEEEEvT0_T1_.uses_vcc)
	.set _ZN2at6native29vectorized_elementwise_kernelILi2ENS0_13BinaryFunctorIN3c1015Float8_e4m3fnuzES4_bNS0_12_GLOBAL__N_116CompareEqFunctorIS4_EEEESt5arrayIPcLm3EEEEviT0_T1_.uses_flat_scratch, or(0, .L_ZN2at6native25elementwise_kernel_helperILb0ENS0_13BinaryFunctorIN3c1015Float8_e4m3fnuzES4_bNS0_12_GLOBAL__N_116CompareEqFunctorIS4_EEEENS0_6memory8policies11unroll_baseILi256ESt5arrayIPcLm3EE23TrivialOffsetCalculatorILi2EjESF_ILi1EjENS9_15LoadWithoutCastENS9_16StoreWithoutCastELi16ELi1EEEEEvT0_T1_.uses_flat_scratch)
	.set _ZN2at6native29vectorized_elementwise_kernelILi2ENS0_13BinaryFunctorIN3c1015Float8_e4m3fnuzES4_bNS0_12_GLOBAL__N_116CompareEqFunctorIS4_EEEESt5arrayIPcLm3EEEEviT0_T1_.has_dyn_sized_stack, or(0, .L_ZN2at6native25elementwise_kernel_helperILb0ENS0_13BinaryFunctorIN3c1015Float8_e4m3fnuzES4_bNS0_12_GLOBAL__N_116CompareEqFunctorIS4_EEEENS0_6memory8policies11unroll_baseILi256ESt5arrayIPcLm3EE23TrivialOffsetCalculatorILi2EjESF_ILi1EjENS9_15LoadWithoutCastENS9_16StoreWithoutCastELi16ELi1EEEEEvT0_T1_.has_dyn_sized_stack)
	.set _ZN2at6native29vectorized_elementwise_kernelILi2ENS0_13BinaryFunctorIN3c1015Float8_e4m3fnuzES4_bNS0_12_GLOBAL__N_116CompareEqFunctorIS4_EEEESt5arrayIPcLm3EEEEviT0_T1_.has_recursion, or(0, .L_ZN2at6native25elementwise_kernel_helperILb0ENS0_13BinaryFunctorIN3c1015Float8_e4m3fnuzES4_bNS0_12_GLOBAL__N_116CompareEqFunctorIS4_EEEENS0_6memory8policies11unroll_baseILi256ESt5arrayIPcLm3EE23TrivialOffsetCalculatorILi2EjESF_ILi1EjENS9_15LoadWithoutCastENS9_16StoreWithoutCastELi16ELi1EEEEEvT0_T1_.has_recursion)
	.set _ZN2at6native29vectorized_elementwise_kernelILi2ENS0_13BinaryFunctorIN3c1015Float8_e4m3fnuzES4_bNS0_12_GLOBAL__N_116CompareEqFunctorIS4_EEEESt5arrayIPcLm3EEEEviT0_T1_.has_indirect_call, or(0, .L_ZN2at6native25elementwise_kernel_helperILb0ENS0_13BinaryFunctorIN3c1015Float8_e4m3fnuzES4_bNS0_12_GLOBAL__N_116CompareEqFunctorIS4_EEEENS0_6memory8policies11unroll_baseILi256ESt5arrayIPcLm3EE23TrivialOffsetCalculatorILi2EjESF_ILi1EjENS9_15LoadWithoutCastENS9_16StoreWithoutCastELi16ELi1EEEEEvT0_T1_.has_indirect_call)
	.section	.AMDGPU.csdata,"",@progbits
; Kernel info:
; codeLenInByte = 17412
; TotalNumSgprs: 61
; NumVgprs: 55
; ScratchSize: 0
; MemoryBound: 0
; FloatMode: 240
; IeeeMode: 1
; LDSByteSize: 0 bytes/workgroup (compile time only)
; SGPRBlocks: 7
; VGPRBlocks: 13
; NumSGPRsForWavesPerEU: 61
; NumVGPRsForWavesPerEU: 55
; Occupancy: 4
; WaveLimiterHint : 1
; COMPUTE_PGM_RSRC2:SCRATCH_EN: 0
; COMPUTE_PGM_RSRC2:USER_SGPR: 6
; COMPUTE_PGM_RSRC2:TRAP_HANDLER: 0
; COMPUTE_PGM_RSRC2:TGID_X_EN: 1
; COMPUTE_PGM_RSRC2:TGID_Y_EN: 0
; COMPUTE_PGM_RSRC2:TGID_Z_EN: 0
; COMPUTE_PGM_RSRC2:TIDIG_COMP_CNT: 0
	.section	.text._ZN2at6native27unrolled_elementwise_kernelINS0_13BinaryFunctorIN3c1015Float8_e4m3fnuzES4_bNS0_12_GLOBAL__N_116CompareEqFunctorIS4_EEEESt5arrayIPcLm3EELi4E23TrivialOffsetCalculatorILi2EjESC_ILi1EjENS0_6memory15LoadWithoutCastENSF_16StoreWithoutCastEEEviT_T0_T2_T3_T4_T5_,"axG",@progbits,_ZN2at6native27unrolled_elementwise_kernelINS0_13BinaryFunctorIN3c1015Float8_e4m3fnuzES4_bNS0_12_GLOBAL__N_116CompareEqFunctorIS4_EEEESt5arrayIPcLm3EELi4E23TrivialOffsetCalculatorILi2EjESC_ILi1EjENS0_6memory15LoadWithoutCastENSF_16StoreWithoutCastEEEviT_T0_T2_T3_T4_T5_,comdat
	.globl	_ZN2at6native27unrolled_elementwise_kernelINS0_13BinaryFunctorIN3c1015Float8_e4m3fnuzES4_bNS0_12_GLOBAL__N_116CompareEqFunctorIS4_EEEESt5arrayIPcLm3EELi4E23TrivialOffsetCalculatorILi2EjESC_ILi1EjENS0_6memory15LoadWithoutCastENSF_16StoreWithoutCastEEEviT_T0_T2_T3_T4_T5_ ; -- Begin function _ZN2at6native27unrolled_elementwise_kernelINS0_13BinaryFunctorIN3c1015Float8_e4m3fnuzES4_bNS0_12_GLOBAL__N_116CompareEqFunctorIS4_EEEESt5arrayIPcLm3EELi4E23TrivialOffsetCalculatorILi2EjESC_ILi1EjENS0_6memory15LoadWithoutCastENSF_16StoreWithoutCastEEEviT_T0_T2_T3_T4_T5_
	.p2align	8
	.type	_ZN2at6native27unrolled_elementwise_kernelINS0_13BinaryFunctorIN3c1015Float8_e4m3fnuzES4_bNS0_12_GLOBAL__N_116CompareEqFunctorIS4_EEEESt5arrayIPcLm3EELi4E23TrivialOffsetCalculatorILi2EjESC_ILi1EjENS0_6memory15LoadWithoutCastENSF_16StoreWithoutCastEEEviT_T0_T2_T3_T4_T5_,@function
_ZN2at6native27unrolled_elementwise_kernelINS0_13BinaryFunctorIN3c1015Float8_e4m3fnuzES4_bNS0_12_GLOBAL__N_116CompareEqFunctorIS4_EEEESt5arrayIPcLm3EELi4E23TrivialOffsetCalculatorILi2EjESC_ILi1EjENS0_6memory15LoadWithoutCastENSF_16StoreWithoutCastEEEviT_T0_T2_T3_T4_T5_: ; @_ZN2at6native27unrolled_elementwise_kernelINS0_13BinaryFunctorIN3c1015Float8_e4m3fnuzES4_bNS0_12_GLOBAL__N_116CompareEqFunctorIS4_EEEESt5arrayIPcLm3EELi4E23TrivialOffsetCalculatorILi2EjESC_ILi1EjENS0_6memory15LoadWithoutCastENSF_16StoreWithoutCastEEEviT_T0_T2_T3_T4_T5_
; %bb.0:
	s_load_dwordx2 s[2:3], s[4:5], 0x0
	s_load_dwordx4 s[8:11], s[4:5], 0x8
	s_load_dwordx2 s[12:13], s[4:5], 0x18
	s_lshl_b32 s18, s6, 10
	v_mov_b32_e32 v4, 0
	s_waitcnt lgkmcnt(0)
	s_sub_i32 s19, s2, s18
	v_cmp_gt_i32_e64 s[0:1], s19, v0
	v_or_b32_e32 v1, s18, v0
	v_mov_b32_e32 v3, 0
	v_mov_b32_e32 v2, 0
	;; [unrolled: 1-line block ×8, first 2 shown]
	s_and_saveexec_b64 s[4:5], s[0:1]
	s_cbranch_execz .LBB292_8
; %bb.1:
	global_load_ubyte v10, v1, s[10:11]
	global_load_ubyte v6, v1, s[12:13]
	v_or_b32_e32 v11, 0x100, v0
	v_cmp_gt_u32_e32 vcc, s19, v11
	v_mov_b32_e32 v8, 0
	v_mov_b32_e32 v9, 0
	;; [unrolled: 1-line block ×6, first 2 shown]
	s_and_saveexec_b64 s[6:7], vcc
	s_cbranch_execz .LBB292_7
; %bb.2:
	v_add_u32_e32 v2, s18, v11
	global_load_ubyte v9, v2, s[10:11]
	global_load_ubyte v8, v2, s[12:13]
	v_or_b32_e32 v11, 0x200, v0
	v_cmp_gt_u32_e32 vcc, s19, v11
	v_mov_b32_e32 v5, 0
	v_mov_b32_e32 v7, 0
	;; [unrolled: 1-line block ×4, first 2 shown]
	s_and_saveexec_b64 s[14:15], vcc
	s_cbranch_execz .LBB292_6
; %bb.3:
	v_add_u32_e32 v2, s18, v11
	global_load_ubyte v7, v2, s[10:11]
	global_load_ubyte v5, v2, s[12:13]
	v_or_b32_e32 v11, 0x300, v0
	v_cmp_gt_u32_e32 vcc, s19, v11
	v_mov_b32_e32 v2, 0
	v_mov_b32_e32 v3, 0
	s_and_saveexec_b64 s[16:17], vcc
	s_cbranch_execz .LBB292_5
; %bb.4:
	v_add_u32_e32 v11, s18, v11
	global_load_ubyte v3, v11, s[10:11]
	global_load_ubyte v2, v11, s[12:13]
.LBB292_5:
	s_or_b64 exec, exec, s[16:17]
.LBB292_6:
	s_or_b64 exec, exec, s[14:15]
.LBB292_7:
	s_or_b64 exec, exec, s[6:7]
.LBB292_8:
	s_or_b64 exec, exec, s[4:5]
	s_cmp_lg_u32 s3, 0
	s_cselect_b64 s[2:3], -1, 0
	s_and_saveexec_b64 s[4:5], s[0:1]
	s_cbranch_execz .LBB292_30
; %bb.9:
	s_and_b64 vcc, exec, s[2:3]
	s_cbranch_vccz .LBB292_19
; %bb.10:
	s_movk_i32 s6, 0x7f
	s_waitcnt vmcnt(1)
	v_cmp_gt_i16_sdwa s[10:11], v10, s6 src0_sel:BYTE_0 src1_sel:DWORD
	s_mov_b64 s[6:7], 0
	s_and_saveexec_b64 s[12:13], s[10:11]
	s_xor_b64 s[10:11], exec, s[12:13]
	s_cbranch_execnz .LBB292_105
; %bb.11:
	s_or_saveexec_b64 s[10:11], s[10:11]
	v_mov_b32_e32 v4, 0x7f800001
	s_xor_b64 exec, exec, s[10:11]
	s_cbranch_execnz .LBB292_108
.LBB292_12:
	s_or_b64 exec, exec, s[10:11]
	s_and_saveexec_b64 s[10:11], s[6:7]
	s_cbranch_execz .LBB292_14
.LBB292_13:
	v_and_b32_e32 v11, 7, v10
	v_ffbh_u32_e32 v12, v11
	v_min_u32_e32 v12, 32, v12
	v_lshrrev_b16_e32 v4, 3, v10
	v_subrev_u32_e32 v13, 28, v12
	v_and_b32_e32 v4, 15, v4
	v_lshlrev_b32_e32 v13, v13, v10
	v_sub_u32_e32 v12, 29, v12
	v_and_b32_e32 v13, 7, v13
	v_cmp_eq_u32_e32 vcc, 0, v4
	v_cndmask_b32_e32 v4, v4, v12, vcc
	v_cndmask_b32_e32 v11, v11, v13, vcc
	v_lshlrev_b32_e32 v12, 24, v10
	v_mov_b32_e32 v13, 0x3b800000
	v_lshlrev_b32_e32 v11, 20, v11
	v_and_b32_e32 v12, 0x80000000, v12
	v_lshl_add_u32 v4, v4, 23, v13
	v_or3_b32 v4, v12, v4, v11
.LBB292_14:
	s_or_b64 exec, exec, s[10:11]
	s_movk_i32 s6, 0x7f
	s_waitcnt vmcnt(0)
	v_cmp_gt_i16_sdwa s[10:11], v6, s6 src0_sel:BYTE_0 src1_sel:DWORD
	s_mov_b64 s[6:7], 0
	s_and_saveexec_b64 s[12:13], s[10:11]
	s_xor_b64 s[10:11], exec, s[12:13]
	s_cbranch_execnz .LBB292_109
; %bb.15:
	s_or_saveexec_b64 s[10:11], s[10:11]
	v_mov_b32_e32 v11, 0x7f800001
	s_xor_b64 exec, exec, s[10:11]
	s_cbranch_execnz .LBB292_112
.LBB292_16:
	s_or_b64 exec, exec, s[10:11]
	s_and_saveexec_b64 s[10:11], s[6:7]
	s_cbranch_execz .LBB292_18
.LBB292_17:
	v_and_b32_e32 v12, 7, v6
	v_ffbh_u32_e32 v13, v12
	v_min_u32_e32 v13, 32, v13
	v_lshrrev_b16_e32 v11, 3, v6
	v_subrev_u32_e32 v14, 28, v13
	v_and_b32_e32 v11, 15, v11
	v_lshlrev_b32_e32 v14, v14, v6
	v_sub_u32_e32 v13, 29, v13
	v_and_b32_e32 v14, 7, v14
	v_cmp_eq_u32_e32 vcc, 0, v11
	v_cndmask_b32_e32 v11, v11, v13, vcc
	v_cndmask_b32_e32 v12, v12, v14, vcc
	v_lshlrev_b32_e32 v13, 24, v6
	v_mov_b32_e32 v14, 0x3b800000
	v_lshlrev_b32_e32 v12, 20, v12
	v_and_b32_e32 v13, 0x80000000, v13
	v_lshl_add_u32 v11, v11, 23, v14
	v_or3_b32 v11, v13, v11, v12
.LBB292_18:
	s_or_b64 exec, exec, s[10:11]
	v_cmp_neq_f32_e64 s[6:7], v4, v11
	s_branch .LBB292_29
.LBB292_19:
                                        ; implicit-def: $sgpr6_sgpr7
	s_cbranch_execz .LBB292_29
; %bb.20:
	s_movk_i32 s6, 0x7f
	s_waitcnt vmcnt(1)
	v_cmp_gt_i16_sdwa s[10:11], v10, s6 src0_sel:BYTE_0 src1_sel:DWORD
	s_mov_b64 s[6:7], 0
	s_and_saveexec_b64 s[12:13], s[10:11]
	s_xor_b64 s[10:11], exec, s[12:13]
	s_cbranch_execnz .LBB292_137
; %bb.21:
	s_or_saveexec_b64 s[10:11], s[10:11]
	v_mov_b32_e32 v4, 0x7f800001
	s_xor_b64 exec, exec, s[10:11]
	s_cbranch_execnz .LBB292_140
.LBB292_22:
	s_or_b64 exec, exec, s[10:11]
	s_and_saveexec_b64 s[10:11], s[6:7]
	s_cbranch_execz .LBB292_24
.LBB292_23:
	v_and_b32_e32 v11, 7, v10
	v_ffbh_u32_e32 v12, v11
	v_min_u32_e32 v12, 32, v12
	v_lshrrev_b16_e32 v4, 3, v10
	v_subrev_u32_e32 v13, 28, v12
	v_and_b32_e32 v4, 15, v4
	v_lshlrev_b32_e32 v13, v13, v10
	v_sub_u32_e32 v12, 29, v12
	v_and_b32_e32 v13, 7, v13
	v_cmp_eq_u32_e32 vcc, 0, v4
	v_cndmask_b32_e32 v4, v4, v12, vcc
	v_cndmask_b32_e32 v11, v11, v13, vcc
	v_lshlrev_b32_e32 v10, 24, v10
	v_mov_b32_e32 v12, 0x3b800000
	v_lshlrev_b32_e32 v11, 20, v11
	v_and_b32_e32 v10, 0x80000000, v10
	v_lshl_add_u32 v4, v4, 23, v12
	v_or3_b32 v4, v10, v4, v11
.LBB292_24:
	s_or_b64 exec, exec, s[10:11]
	s_movk_i32 s6, 0x7f
	s_waitcnt vmcnt(0)
	v_cmp_gt_i16_sdwa s[10:11], v6, s6 src0_sel:BYTE_0 src1_sel:DWORD
	s_mov_b64 s[6:7], 0
	s_and_saveexec_b64 s[12:13], s[10:11]
	s_xor_b64 s[10:11], exec, s[12:13]
	s_cbranch_execnz .LBB292_141
; %bb.25:
	s_or_saveexec_b64 s[10:11], s[10:11]
	v_mov_b32_e32 v10, 0x7f800001
	s_xor_b64 exec, exec, s[10:11]
	s_cbranch_execnz .LBB292_144
.LBB292_26:
	s_or_b64 exec, exec, s[10:11]
	s_and_saveexec_b64 s[10:11], s[6:7]
	s_cbranch_execz .LBB292_28
.LBB292_27:
	v_and_b32_e32 v11, 7, v6
	v_ffbh_u32_e32 v12, v11
	v_min_u32_e32 v12, 32, v12
	v_lshrrev_b16_e32 v10, 3, v6
	v_subrev_u32_e32 v13, 28, v12
	v_and_b32_e32 v10, 15, v10
	v_lshlrev_b32_e32 v13, v13, v6
	v_sub_u32_e32 v12, 29, v12
	v_and_b32_e32 v13, 7, v13
	v_cmp_eq_u32_e32 vcc, 0, v10
	v_cndmask_b32_e32 v10, v10, v12, vcc
	v_cndmask_b32_e32 v11, v11, v13, vcc
	v_lshlrev_b32_e32 v6, 24, v6
	v_mov_b32_e32 v12, 0x3b800000
	v_lshlrev_b32_e32 v11, 20, v11
	v_and_b32_e32 v6, 0x80000000, v6
	v_lshl_add_u32 v10, v10, 23, v12
	v_or3_b32 v10, v6, v10, v11
.LBB292_28:
	s_or_b64 exec, exec, s[10:11]
	v_cmp_eq_f32_e64 s[6:7], v4, v10
.LBB292_29:
	v_cndmask_b32_e64 v4, 0, 1, s[6:7]
.LBB292_30:
	s_or_b64 exec, exec, s[4:5]
	s_waitcnt vmcnt(0)
	v_or_b32_e32 v6, 0x100, v0
	v_cndmask_b32_e64 v10, 0, 1, s[2:3]
	v_cmp_gt_i32_e32 vcc, s19, v6
	v_cmp_ne_u32_e64 s[2:3], 1, v10
	s_and_saveexec_b64 s[4:5], vcc
	s_cbranch_execz .LBB292_52
; %bb.31:
	s_and_b64 vcc, exec, s[2:3]
	s_cbranch_vccnz .LBB292_41
; %bb.32:
	s_movk_i32 s6, 0x7f
	v_cmp_gt_i16_sdwa s[10:11], v9, s6 src0_sel:BYTE_0 src1_sel:DWORD
	s_mov_b64 s[6:7], 0
	s_and_saveexec_b64 s[12:13], s[10:11]
	s_xor_b64 s[10:11], exec, s[12:13]
	s_cbranch_execnz .LBB292_113
; %bb.33:
	s_or_saveexec_b64 s[10:11], s[10:11]
	v_mov_b32_e32 v10, 0x7f800001
	s_xor_b64 exec, exec, s[10:11]
	s_cbranch_execnz .LBB292_116
.LBB292_34:
	s_or_b64 exec, exec, s[10:11]
	s_and_saveexec_b64 s[10:11], s[6:7]
	s_cbranch_execz .LBB292_36
.LBB292_35:
	v_and_b32_e32 v11, 7, v9
	v_ffbh_u32_e32 v12, v11
	v_min_u32_e32 v12, 32, v12
	v_lshrrev_b16_e32 v10, 3, v9
	v_subrev_u32_e32 v13, 28, v12
	v_and_b32_e32 v10, 15, v10
	v_lshlrev_b32_e32 v13, v13, v9
	v_sub_u32_e32 v12, 29, v12
	v_and_b32_e32 v13, 7, v13
	v_cmp_eq_u32_e32 vcc, 0, v10
	v_cndmask_b32_e32 v10, v10, v12, vcc
	v_cndmask_b32_e32 v11, v11, v13, vcc
	v_lshlrev_b32_e32 v12, 24, v9
	v_mov_b32_e32 v13, 0x3b800000
	v_lshlrev_b32_e32 v11, 20, v11
	v_and_b32_e32 v12, 0x80000000, v12
	v_lshl_add_u32 v10, v10, 23, v13
	v_or3_b32 v10, v12, v10, v11
.LBB292_36:
	s_or_b64 exec, exec, s[10:11]
	s_movk_i32 s6, 0x7f
	v_cmp_gt_i16_sdwa s[10:11], v8, s6 src0_sel:BYTE_0 src1_sel:DWORD
	s_mov_b64 s[6:7], 0
	s_and_saveexec_b64 s[12:13], s[10:11]
	s_xor_b64 s[10:11], exec, s[12:13]
	s_cbranch_execnz .LBB292_117
; %bb.37:
	s_or_saveexec_b64 s[10:11], s[10:11]
	v_mov_b32_e32 v11, 0x7f800001
	s_xor_b64 exec, exec, s[10:11]
	s_cbranch_execnz .LBB292_120
.LBB292_38:
	s_or_b64 exec, exec, s[10:11]
	s_and_saveexec_b64 s[10:11], s[6:7]
	s_cbranch_execz .LBB292_40
.LBB292_39:
	v_and_b32_e32 v12, 7, v8
	v_ffbh_u32_e32 v13, v12
	v_min_u32_e32 v13, 32, v13
	v_lshrrev_b16_e32 v11, 3, v8
	v_subrev_u32_e32 v14, 28, v13
	v_and_b32_e32 v11, 15, v11
	v_lshlrev_b32_e32 v14, v14, v8
	v_sub_u32_e32 v13, 29, v13
	v_and_b32_e32 v14, 7, v14
	v_cmp_eq_u32_e32 vcc, 0, v11
	v_cndmask_b32_e32 v11, v11, v13, vcc
	v_cndmask_b32_e32 v12, v12, v14, vcc
	v_lshlrev_b32_e32 v13, 24, v8
	v_mov_b32_e32 v14, 0x3b800000
	v_lshlrev_b32_e32 v12, 20, v12
	v_and_b32_e32 v13, 0x80000000, v13
	v_lshl_add_u32 v11, v11, 23, v14
	v_or3_b32 v11, v13, v11, v12
.LBB292_40:
	s_or_b64 exec, exec, s[10:11]
	v_cmp_neq_f32_e64 s[6:7], v10, v11
	s_branch .LBB292_51
.LBB292_41:
                                        ; implicit-def: $sgpr6_sgpr7
	s_cbranch_execz .LBB292_51
; %bb.42:
	s_movk_i32 s6, 0x7f
	v_cmp_gt_i16_sdwa s[10:11], v9, s6 src0_sel:BYTE_0 src1_sel:DWORD
	s_mov_b64 s[6:7], 0
	s_and_saveexec_b64 s[12:13], s[10:11]
	s_xor_b64 s[10:11], exec, s[12:13]
	s_cbranch_execnz .LBB292_145
; %bb.43:
	s_or_saveexec_b64 s[10:11], s[10:11]
	v_mov_b32_e32 v10, 0x7f800001
	s_xor_b64 exec, exec, s[10:11]
	s_cbranch_execnz .LBB292_148
.LBB292_44:
	s_or_b64 exec, exec, s[10:11]
	s_and_saveexec_b64 s[10:11], s[6:7]
	s_cbranch_execz .LBB292_46
.LBB292_45:
	v_and_b32_e32 v11, 7, v9
	v_ffbh_u32_e32 v12, v11
	v_min_u32_e32 v12, 32, v12
	v_lshrrev_b16_e32 v10, 3, v9
	v_subrev_u32_e32 v13, 28, v12
	v_and_b32_e32 v10, 15, v10
	v_lshlrev_b32_e32 v13, v13, v9
	v_sub_u32_e32 v12, 29, v12
	v_and_b32_e32 v13, 7, v13
	v_cmp_eq_u32_e32 vcc, 0, v10
	v_cndmask_b32_e32 v10, v10, v12, vcc
	v_cndmask_b32_e32 v11, v11, v13, vcc
	v_lshlrev_b32_e32 v9, 24, v9
	v_mov_b32_e32 v12, 0x3b800000
	v_lshlrev_b32_e32 v11, 20, v11
	v_and_b32_e32 v9, 0x80000000, v9
	v_lshl_add_u32 v10, v10, 23, v12
	v_or3_b32 v10, v9, v10, v11
.LBB292_46:
	s_or_b64 exec, exec, s[10:11]
	s_movk_i32 s6, 0x7f
	v_cmp_gt_i16_sdwa s[10:11], v8, s6 src0_sel:BYTE_0 src1_sel:DWORD
	s_mov_b64 s[6:7], 0
	s_and_saveexec_b64 s[12:13], s[10:11]
	s_xor_b64 s[10:11], exec, s[12:13]
	s_cbranch_execnz .LBB292_149
; %bb.47:
	s_or_saveexec_b64 s[10:11], s[10:11]
	v_mov_b32_e32 v9, 0x7f800001
	s_xor_b64 exec, exec, s[10:11]
	s_cbranch_execnz .LBB292_152
.LBB292_48:
	s_or_b64 exec, exec, s[10:11]
	s_and_saveexec_b64 s[10:11], s[6:7]
	s_cbranch_execz .LBB292_50
.LBB292_49:
	v_and_b32_e32 v11, 7, v8
	v_ffbh_u32_e32 v12, v11
	v_min_u32_e32 v12, 32, v12
	v_lshrrev_b16_e32 v9, 3, v8
	v_subrev_u32_e32 v13, 28, v12
	v_and_b32_e32 v9, 15, v9
	v_lshlrev_b32_e32 v13, v13, v8
	v_sub_u32_e32 v12, 29, v12
	v_and_b32_e32 v13, 7, v13
	v_cmp_eq_u32_e32 vcc, 0, v9
	v_cndmask_b32_e32 v9, v9, v12, vcc
	v_cndmask_b32_e32 v11, v11, v13, vcc
	v_lshlrev_b32_e32 v8, 24, v8
	v_mov_b32_e32 v12, 0x3b800000
	v_lshlrev_b32_e32 v11, 20, v11
	v_and_b32_e32 v8, 0x80000000, v8
	v_lshl_add_u32 v9, v9, 23, v12
	v_or3_b32 v9, v8, v9, v11
.LBB292_50:
	s_or_b64 exec, exec, s[10:11]
	v_cmp_eq_f32_e64 s[6:7], v10, v9
.LBB292_51:
	v_cndmask_b32_e64 v8, 0, 1, s[6:7]
	v_lshlrev_b16_e32 v8, 8, v8
	v_or_b32_e32 v4, v4, v8
	v_and_b32_e32 v4, 0xffff, v4
.LBB292_52:
	s_or_b64 exec, exec, s[4:5]
	v_or_b32_e32 v8, 0x200, v0
	v_cmp_gt_i32_e32 vcc, s19, v8
	s_and_saveexec_b64 s[4:5], vcc
	s_cbranch_execz .LBB292_74
; %bb.53:
	s_and_b64 vcc, exec, s[2:3]
	s_cbranch_vccnz .LBB292_63
; %bb.54:
	s_movk_i32 s6, 0x7f
	v_cmp_gt_i16_sdwa s[10:11], v7, s6 src0_sel:BYTE_0 src1_sel:DWORD
	s_mov_b64 s[6:7], 0
	s_and_saveexec_b64 s[12:13], s[10:11]
	s_xor_b64 s[10:11], exec, s[12:13]
	s_cbranch_execnz .LBB292_121
; %bb.55:
	s_or_saveexec_b64 s[10:11], s[10:11]
	v_mov_b32_e32 v8, 0x7f800001
	s_xor_b64 exec, exec, s[10:11]
	s_cbranch_execnz .LBB292_124
.LBB292_56:
	s_or_b64 exec, exec, s[10:11]
	s_and_saveexec_b64 s[10:11], s[6:7]
	s_cbranch_execz .LBB292_58
.LBB292_57:
	v_and_b32_e32 v9, 7, v7
	v_ffbh_u32_e32 v10, v9
	v_min_u32_e32 v10, 32, v10
	v_lshrrev_b16_e32 v8, 3, v7
	v_subrev_u32_e32 v11, 28, v10
	v_and_b32_e32 v8, 15, v8
	v_lshlrev_b32_e32 v11, v11, v7
	v_sub_u32_e32 v10, 29, v10
	v_and_b32_e32 v11, 7, v11
	v_cmp_eq_u32_e32 vcc, 0, v8
	v_cndmask_b32_e32 v8, v8, v10, vcc
	v_cndmask_b32_e32 v9, v9, v11, vcc
	v_lshlrev_b32_e32 v10, 24, v7
	v_mov_b32_e32 v11, 0x3b800000
	v_lshlrev_b32_e32 v9, 20, v9
	v_and_b32_e32 v10, 0x80000000, v10
	v_lshl_add_u32 v8, v8, 23, v11
	v_or3_b32 v8, v10, v8, v9
.LBB292_58:
	s_or_b64 exec, exec, s[10:11]
	s_movk_i32 s6, 0x7f
	v_cmp_gt_i16_sdwa s[10:11], v5, s6 src0_sel:BYTE_0 src1_sel:DWORD
	s_mov_b64 s[6:7], 0
	s_and_saveexec_b64 s[12:13], s[10:11]
	s_xor_b64 s[10:11], exec, s[12:13]
	s_cbranch_execnz .LBB292_125
; %bb.59:
	s_or_saveexec_b64 s[10:11], s[10:11]
	v_mov_b32_e32 v9, 0x7f800001
	s_xor_b64 exec, exec, s[10:11]
	s_cbranch_execnz .LBB292_128
.LBB292_60:
	s_or_b64 exec, exec, s[10:11]
	s_and_saveexec_b64 s[10:11], s[6:7]
	s_cbranch_execz .LBB292_62
.LBB292_61:
	v_and_b32_e32 v10, 7, v5
	v_ffbh_u32_e32 v11, v10
	v_min_u32_e32 v11, 32, v11
	v_lshrrev_b16_e32 v9, 3, v5
	v_subrev_u32_e32 v12, 28, v11
	v_and_b32_e32 v9, 15, v9
	v_lshlrev_b32_e32 v12, v12, v5
	v_sub_u32_e32 v11, 29, v11
	v_and_b32_e32 v12, 7, v12
	v_cmp_eq_u32_e32 vcc, 0, v9
	v_cndmask_b32_e32 v9, v9, v11, vcc
	v_cndmask_b32_e32 v10, v10, v12, vcc
	v_lshlrev_b32_e32 v11, 24, v5
	v_mov_b32_e32 v12, 0x3b800000
	v_lshlrev_b32_e32 v10, 20, v10
	v_and_b32_e32 v11, 0x80000000, v11
	v_lshl_add_u32 v9, v9, 23, v12
	v_or3_b32 v9, v11, v9, v10
.LBB292_62:
	s_or_b64 exec, exec, s[10:11]
	v_cmp_neq_f32_e64 s[6:7], v8, v9
	s_branch .LBB292_73
.LBB292_63:
                                        ; implicit-def: $sgpr6_sgpr7
	s_cbranch_execz .LBB292_73
; %bb.64:
	s_movk_i32 s6, 0x7f
	v_cmp_gt_i16_sdwa s[10:11], v7, s6 src0_sel:BYTE_0 src1_sel:DWORD
	s_mov_b64 s[6:7], 0
	s_and_saveexec_b64 s[12:13], s[10:11]
	s_xor_b64 s[10:11], exec, s[12:13]
	s_cbranch_execnz .LBB292_153
; %bb.65:
	s_or_saveexec_b64 s[10:11], s[10:11]
	v_mov_b32_e32 v8, 0x7f800001
	s_xor_b64 exec, exec, s[10:11]
	s_cbranch_execnz .LBB292_156
.LBB292_66:
	s_or_b64 exec, exec, s[10:11]
	s_and_saveexec_b64 s[10:11], s[6:7]
	s_cbranch_execz .LBB292_68
.LBB292_67:
	v_and_b32_e32 v9, 7, v7
	v_ffbh_u32_e32 v10, v9
	v_min_u32_e32 v10, 32, v10
	v_lshrrev_b16_e32 v8, 3, v7
	v_subrev_u32_e32 v11, 28, v10
	v_and_b32_e32 v8, 15, v8
	v_lshlrev_b32_e32 v11, v11, v7
	v_sub_u32_e32 v10, 29, v10
	v_and_b32_e32 v11, 7, v11
	v_cmp_eq_u32_e32 vcc, 0, v8
	v_cndmask_b32_e32 v8, v8, v10, vcc
	v_cndmask_b32_e32 v9, v9, v11, vcc
	v_lshlrev_b32_e32 v7, 24, v7
	v_mov_b32_e32 v10, 0x3b800000
	v_lshlrev_b32_e32 v9, 20, v9
	v_and_b32_e32 v7, 0x80000000, v7
	v_lshl_add_u32 v8, v8, 23, v10
	v_or3_b32 v8, v7, v8, v9
.LBB292_68:
	s_or_b64 exec, exec, s[10:11]
	s_movk_i32 s6, 0x7f
	v_cmp_gt_i16_sdwa s[10:11], v5, s6 src0_sel:BYTE_0 src1_sel:DWORD
	s_mov_b64 s[6:7], 0
	s_and_saveexec_b64 s[12:13], s[10:11]
	s_xor_b64 s[10:11], exec, s[12:13]
	s_cbranch_execnz .LBB292_157
; %bb.69:
	s_or_saveexec_b64 s[10:11], s[10:11]
	v_mov_b32_e32 v7, 0x7f800001
	s_xor_b64 exec, exec, s[10:11]
	s_cbranch_execnz .LBB292_160
.LBB292_70:
	s_or_b64 exec, exec, s[10:11]
	s_and_saveexec_b64 s[10:11], s[6:7]
	s_cbranch_execz .LBB292_72
.LBB292_71:
	v_and_b32_e32 v9, 7, v5
	v_ffbh_u32_e32 v10, v9
	v_min_u32_e32 v10, 32, v10
	v_lshrrev_b16_e32 v7, 3, v5
	v_subrev_u32_e32 v11, 28, v10
	v_and_b32_e32 v7, 15, v7
	v_lshlrev_b32_e32 v11, v11, v5
	v_sub_u32_e32 v10, 29, v10
	v_and_b32_e32 v11, 7, v11
	v_cmp_eq_u32_e32 vcc, 0, v7
	v_cndmask_b32_e32 v7, v7, v10, vcc
	v_cndmask_b32_e32 v9, v9, v11, vcc
	v_lshlrev_b32_e32 v5, 24, v5
	v_mov_b32_e32 v10, 0x3b800000
	v_lshlrev_b32_e32 v9, 20, v9
	v_and_b32_e32 v5, 0x80000000, v5
	v_lshl_add_u32 v7, v7, 23, v10
	v_or3_b32 v7, v5, v7, v9
.LBB292_72:
	s_or_b64 exec, exec, s[10:11]
	v_cmp_eq_f32_e64 s[6:7], v8, v7
.LBB292_73:
	v_cndmask_b32_e64 v5, 0, 1, s[6:7]
	v_lshl_or_b32 v4, v5, 16, v4
.LBB292_74:
	s_or_b64 exec, exec, s[4:5]
	v_or_b32_e32 v5, 0x300, v0
	v_cmp_gt_i32_e32 vcc, s19, v5
	s_and_saveexec_b64 s[4:5], vcc
	s_cbranch_execz .LBB292_96
; %bb.75:
	s_and_b64 vcc, exec, s[2:3]
	s_cbranch_vccnz .LBB292_85
; %bb.76:
	s_movk_i32 s2, 0x7f
	v_cmp_gt_i16_sdwa s[6:7], v3, s2 src0_sel:BYTE_0 src1_sel:DWORD
	s_mov_b64 s[2:3], 0
	s_and_saveexec_b64 s[10:11], s[6:7]
	s_xor_b64 s[6:7], exec, s[10:11]
	s_cbranch_execnz .LBB292_129
; %bb.77:
	s_or_saveexec_b64 s[6:7], s[6:7]
	v_mov_b32_e32 v5, 0x7f800001
	s_xor_b64 exec, exec, s[6:7]
	s_cbranch_execnz .LBB292_132
.LBB292_78:
	s_or_b64 exec, exec, s[6:7]
	s_and_saveexec_b64 s[6:7], s[2:3]
	s_cbranch_execz .LBB292_80
.LBB292_79:
	v_and_b32_e32 v7, 7, v3
	v_ffbh_u32_e32 v8, v7
	v_min_u32_e32 v8, 32, v8
	v_lshrrev_b16_e32 v5, 3, v3
	v_subrev_u32_e32 v9, 28, v8
	v_and_b32_e32 v5, 15, v5
	v_lshlrev_b32_e32 v9, v9, v3
	v_sub_u32_e32 v8, 29, v8
	v_and_b32_e32 v9, 7, v9
	v_cmp_eq_u32_e32 vcc, 0, v5
	v_cndmask_b32_e32 v5, v5, v8, vcc
	v_cndmask_b32_e32 v7, v7, v9, vcc
	v_lshlrev_b32_e32 v8, 24, v3
	v_mov_b32_e32 v9, 0x3b800000
	v_lshlrev_b32_e32 v7, 20, v7
	v_and_b32_e32 v8, 0x80000000, v8
	v_lshl_add_u32 v5, v5, 23, v9
	v_or3_b32 v5, v8, v5, v7
.LBB292_80:
	s_or_b64 exec, exec, s[6:7]
	s_movk_i32 s2, 0x7f
	v_cmp_gt_i16_sdwa s[6:7], v2, s2 src0_sel:BYTE_0 src1_sel:DWORD
	s_mov_b64 s[2:3], 0
	s_and_saveexec_b64 s[10:11], s[6:7]
	s_xor_b64 s[6:7], exec, s[10:11]
	s_cbranch_execnz .LBB292_133
; %bb.81:
	s_or_saveexec_b64 s[6:7], s[6:7]
	v_mov_b32_e32 v7, 0x7f800001
	s_xor_b64 exec, exec, s[6:7]
	s_cbranch_execnz .LBB292_136
.LBB292_82:
	s_or_b64 exec, exec, s[6:7]
	s_and_saveexec_b64 s[6:7], s[2:3]
	s_cbranch_execz .LBB292_84
.LBB292_83:
	v_and_b32_e32 v8, 7, v2
	v_ffbh_u32_e32 v9, v8
	v_min_u32_e32 v9, 32, v9
	v_lshrrev_b16_e32 v7, 3, v2
	v_subrev_u32_e32 v10, 28, v9
	v_and_b32_e32 v7, 15, v7
	v_lshlrev_b32_e32 v10, v10, v2
	v_sub_u32_e32 v9, 29, v9
	v_and_b32_e32 v10, 7, v10
	v_cmp_eq_u32_e32 vcc, 0, v7
	v_cndmask_b32_e32 v7, v7, v9, vcc
	v_cndmask_b32_e32 v8, v8, v10, vcc
	v_lshlrev_b32_e32 v9, 24, v2
	v_mov_b32_e32 v10, 0x3b800000
	v_lshlrev_b32_e32 v8, 20, v8
	v_and_b32_e32 v9, 0x80000000, v9
	v_lshl_add_u32 v7, v7, 23, v10
	v_or3_b32 v7, v9, v7, v8
.LBB292_84:
	s_or_b64 exec, exec, s[6:7]
	v_cmp_neq_f32_e64 s[2:3], v5, v7
	s_branch .LBB292_95
.LBB292_85:
                                        ; implicit-def: $sgpr2_sgpr3
	s_cbranch_execz .LBB292_95
; %bb.86:
	s_movk_i32 s2, 0x7f
	v_cmp_gt_i16_sdwa s[6:7], v3, s2 src0_sel:BYTE_0 src1_sel:DWORD
	s_mov_b64 s[2:3], 0
	s_and_saveexec_b64 s[10:11], s[6:7]
	s_xor_b64 s[6:7], exec, s[10:11]
	s_cbranch_execnz .LBB292_161
; %bb.87:
	s_or_saveexec_b64 s[6:7], s[6:7]
	v_mov_b32_e32 v5, 0x7f800001
	s_xor_b64 exec, exec, s[6:7]
	s_cbranch_execnz .LBB292_164
.LBB292_88:
	s_or_b64 exec, exec, s[6:7]
	s_and_saveexec_b64 s[6:7], s[2:3]
	s_cbranch_execz .LBB292_90
.LBB292_89:
	v_and_b32_e32 v7, 7, v3
	v_ffbh_u32_e32 v8, v7
	v_min_u32_e32 v8, 32, v8
	v_lshrrev_b16_e32 v5, 3, v3
	v_subrev_u32_e32 v9, 28, v8
	v_and_b32_e32 v5, 15, v5
	v_lshlrev_b32_e32 v9, v9, v3
	v_sub_u32_e32 v8, 29, v8
	v_and_b32_e32 v9, 7, v9
	v_cmp_eq_u32_e32 vcc, 0, v5
	v_cndmask_b32_e32 v5, v5, v8, vcc
	v_cndmask_b32_e32 v7, v7, v9, vcc
	v_lshlrev_b32_e32 v3, 24, v3
	v_mov_b32_e32 v8, 0x3b800000
	v_lshlrev_b32_e32 v7, 20, v7
	v_and_b32_e32 v3, 0x80000000, v3
	v_lshl_add_u32 v5, v5, 23, v8
	v_or3_b32 v5, v3, v5, v7
.LBB292_90:
	s_or_b64 exec, exec, s[6:7]
	s_movk_i32 s2, 0x7f
	v_cmp_gt_i16_sdwa s[6:7], v2, s2 src0_sel:BYTE_0 src1_sel:DWORD
	s_mov_b64 s[2:3], 0
	s_and_saveexec_b64 s[10:11], s[6:7]
	s_xor_b64 s[6:7], exec, s[10:11]
	s_cbranch_execnz .LBB292_165
; %bb.91:
	s_or_saveexec_b64 s[6:7], s[6:7]
	v_mov_b32_e32 v3, 0x7f800001
	s_xor_b64 exec, exec, s[6:7]
	s_cbranch_execnz .LBB292_168
.LBB292_92:
	s_or_b64 exec, exec, s[6:7]
	s_and_saveexec_b64 s[6:7], s[2:3]
	s_cbranch_execz .LBB292_94
.LBB292_93:
	v_and_b32_e32 v7, 7, v2
	v_ffbh_u32_e32 v8, v7
	v_min_u32_e32 v8, 32, v8
	v_lshrrev_b16_e32 v3, 3, v2
	v_subrev_u32_e32 v9, 28, v8
	v_and_b32_e32 v3, 15, v3
	v_lshlrev_b32_e32 v9, v9, v2
	v_sub_u32_e32 v8, 29, v8
	v_and_b32_e32 v9, 7, v9
	v_cmp_eq_u32_e32 vcc, 0, v3
	v_cndmask_b32_e32 v3, v3, v8, vcc
	v_cndmask_b32_e32 v7, v7, v9, vcc
	v_lshlrev_b32_e32 v2, 24, v2
	v_mov_b32_e32 v8, 0x3b800000
	v_lshlrev_b32_e32 v7, 20, v7
	v_and_b32_e32 v2, 0x80000000, v2
	v_lshl_add_u32 v3, v3, 23, v8
	v_or3_b32 v3, v2, v3, v7
.LBB292_94:
	s_or_b64 exec, exec, s[6:7]
	v_cmp_eq_f32_e64 s[2:3], v5, v3
.LBB292_95:
	v_cndmask_b32_e64 v2, 0, 1, s[2:3]
	v_lshlrev_b16_e32 v2, 8, v2
	v_or_b32_sdwa v2, v4, v2 dst_sel:WORD_1 dst_unused:UNUSED_PAD src0_sel:WORD_1 src1_sel:DWORD
	s_mov_b32 s2, 0xffff
	v_and_or_b32 v4, v4, s2, v2
.LBB292_96:
	s_or_b64 exec, exec, s[4:5]
	s_and_saveexec_b64 s[2:3], s[0:1]
	s_xor_b64 s[0:1], exec, s[2:3]
	s_cbranch_execz .LBB292_98
; %bb.97:
	v_mov_b32_e32 v0, v6
	global_store_byte v1, v4, s[8:9]
.LBB292_98:
	s_or_b64 exec, exec, s[0:1]
	v_cmp_gt_i32_e32 vcc, s19, v0
	s_and_saveexec_b64 s[0:1], vcc
	s_cbranch_execnz .LBB292_102
; %bb.99:
	s_or_b64 exec, exec, s[0:1]
	v_cmp_gt_i32_e32 vcc, s19, v0
	s_and_saveexec_b64 s[0:1], vcc
	s_cbranch_execnz .LBB292_103
.LBB292_100:
	s_or_b64 exec, exec, s[0:1]
	v_cmp_gt_i32_e32 vcc, s19, v0
	s_and_saveexec_b64 s[0:1], vcc
	s_cbranch_execnz .LBB292_104
.LBB292_101:
	s_endpgm
.LBB292_102:
	v_add_u32_e32 v1, 0x100, v0
	v_add_u32_e32 v0, s18, v0
	v_lshrrev_b32_e32 v2, 8, v4
	global_store_byte v0, v2, s[8:9]
	v_mov_b32_e32 v0, v1
	s_or_b64 exec, exec, s[0:1]
	v_cmp_gt_i32_e32 vcc, s19, v0
	s_and_saveexec_b64 s[0:1], vcc
	s_cbranch_execz .LBB292_100
.LBB292_103:
	v_add_u32_e32 v1, 0x100, v0
	v_add_u32_e32 v0, s18, v0
	global_store_byte_d16_hi v0, v4, s[8:9]
	v_mov_b32_e32 v0, v1
	s_or_b64 exec, exec, s[0:1]
	v_cmp_gt_i32_e32 vcc, s19, v0
	s_and_saveexec_b64 s[0:1], vcc
	s_cbranch_execz .LBB292_101
.LBB292_104:
	v_add_u32_e32 v0, s18, v0
	v_lshrrev_b32_e32 v1, 24, v4
	global_store_byte v0, v1, s[8:9]
	s_endpgm
.LBB292_105:
	s_movk_i32 s6, 0x80
	v_cmp_eq_u16_sdwa s[14:15], v10, s6 src0_sel:BYTE_0 src1_sel:DWORD
	s_mov_b64 s[6:7], -1
	s_and_saveexec_b64 s[12:13], s[14:15]
; %bb.106:
	s_xor_b64 s[6:7], exec, -1
; %bb.107:
	s_or_b64 exec, exec, s[12:13]
	s_and_b64 s[6:7], s[6:7], exec
	s_or_saveexec_b64 s[10:11], s[10:11]
	v_mov_b32_e32 v4, 0x7f800001
	s_xor_b64 exec, exec, s[10:11]
	s_cbranch_execz .LBB292_12
.LBB292_108:
	v_mov_b32_e32 v4, 0
	v_cmp_ne_u16_sdwa s[12:13], v10, v4 src0_sel:BYTE_0 src1_sel:DWORD
	s_andn2_b64 s[6:7], s[6:7], exec
	s_and_b64 s[12:13], s[12:13], exec
	s_or_b64 s[6:7], s[6:7], s[12:13]
	s_or_b64 exec, exec, s[10:11]
	s_and_saveexec_b64 s[10:11], s[6:7]
	s_cbranch_execnz .LBB292_13
	s_branch .LBB292_14
.LBB292_109:
	s_movk_i32 s6, 0x80
	v_cmp_eq_u16_sdwa s[14:15], v6, s6 src0_sel:BYTE_0 src1_sel:DWORD
	s_mov_b64 s[6:7], -1
	s_and_saveexec_b64 s[12:13], s[14:15]
; %bb.110:
	s_xor_b64 s[6:7], exec, -1
; %bb.111:
	s_or_b64 exec, exec, s[12:13]
	s_and_b64 s[6:7], s[6:7], exec
	s_or_saveexec_b64 s[10:11], s[10:11]
	v_mov_b32_e32 v11, 0x7f800001
	s_xor_b64 exec, exec, s[10:11]
	s_cbranch_execz .LBB292_16
.LBB292_112:
	v_mov_b32_e32 v11, 0
	v_cmp_ne_u16_sdwa s[12:13], v6, v11 src0_sel:BYTE_0 src1_sel:DWORD
	s_andn2_b64 s[6:7], s[6:7], exec
	s_and_b64 s[12:13], s[12:13], exec
	s_or_b64 s[6:7], s[6:7], s[12:13]
	s_or_b64 exec, exec, s[10:11]
	s_and_saveexec_b64 s[10:11], s[6:7]
	s_cbranch_execnz .LBB292_17
	s_branch .LBB292_18
.LBB292_113:
	s_movk_i32 s6, 0x80
	v_cmp_eq_u16_sdwa s[14:15], v9, s6 src0_sel:BYTE_0 src1_sel:DWORD
	s_mov_b64 s[6:7], -1
	s_and_saveexec_b64 s[12:13], s[14:15]
; %bb.114:
	s_xor_b64 s[6:7], exec, -1
; %bb.115:
	s_or_b64 exec, exec, s[12:13]
	s_and_b64 s[6:7], s[6:7], exec
	s_or_saveexec_b64 s[10:11], s[10:11]
	v_mov_b32_e32 v10, 0x7f800001
	s_xor_b64 exec, exec, s[10:11]
	s_cbranch_execz .LBB292_34
.LBB292_116:
	v_mov_b32_e32 v10, 0
	v_cmp_ne_u16_sdwa s[12:13], v9, v10 src0_sel:BYTE_0 src1_sel:DWORD
	s_andn2_b64 s[6:7], s[6:7], exec
	s_and_b64 s[12:13], s[12:13], exec
	s_or_b64 s[6:7], s[6:7], s[12:13]
	s_or_b64 exec, exec, s[10:11]
	s_and_saveexec_b64 s[10:11], s[6:7]
	s_cbranch_execnz .LBB292_35
	s_branch .LBB292_36
.LBB292_117:
	s_movk_i32 s6, 0x80
	v_cmp_eq_u16_sdwa s[14:15], v8, s6 src0_sel:BYTE_0 src1_sel:DWORD
	s_mov_b64 s[6:7], -1
	s_and_saveexec_b64 s[12:13], s[14:15]
; %bb.118:
	s_xor_b64 s[6:7], exec, -1
; %bb.119:
	s_or_b64 exec, exec, s[12:13]
	s_and_b64 s[6:7], s[6:7], exec
	s_or_saveexec_b64 s[10:11], s[10:11]
	v_mov_b32_e32 v11, 0x7f800001
	s_xor_b64 exec, exec, s[10:11]
	s_cbranch_execz .LBB292_38
.LBB292_120:
	v_mov_b32_e32 v11, 0
	v_cmp_ne_u16_sdwa s[12:13], v8, v11 src0_sel:BYTE_0 src1_sel:DWORD
	s_andn2_b64 s[6:7], s[6:7], exec
	s_and_b64 s[12:13], s[12:13], exec
	s_or_b64 s[6:7], s[6:7], s[12:13]
	s_or_b64 exec, exec, s[10:11]
	s_and_saveexec_b64 s[10:11], s[6:7]
	s_cbranch_execnz .LBB292_39
	s_branch .LBB292_40
.LBB292_121:
	s_movk_i32 s6, 0x80
	v_cmp_eq_u16_sdwa s[14:15], v7, s6 src0_sel:BYTE_0 src1_sel:DWORD
	s_mov_b64 s[6:7], -1
	s_and_saveexec_b64 s[12:13], s[14:15]
; %bb.122:
	s_xor_b64 s[6:7], exec, -1
; %bb.123:
	s_or_b64 exec, exec, s[12:13]
	s_and_b64 s[6:7], s[6:7], exec
	s_or_saveexec_b64 s[10:11], s[10:11]
	v_mov_b32_e32 v8, 0x7f800001
	s_xor_b64 exec, exec, s[10:11]
	s_cbranch_execz .LBB292_56
.LBB292_124:
	v_mov_b32_e32 v8, 0
	v_cmp_ne_u16_sdwa s[12:13], v7, v8 src0_sel:BYTE_0 src1_sel:DWORD
	s_andn2_b64 s[6:7], s[6:7], exec
	s_and_b64 s[12:13], s[12:13], exec
	s_or_b64 s[6:7], s[6:7], s[12:13]
	s_or_b64 exec, exec, s[10:11]
	s_and_saveexec_b64 s[10:11], s[6:7]
	s_cbranch_execnz .LBB292_57
	s_branch .LBB292_58
.LBB292_125:
	s_movk_i32 s6, 0x80
	v_cmp_eq_u16_sdwa s[14:15], v5, s6 src0_sel:BYTE_0 src1_sel:DWORD
	s_mov_b64 s[6:7], -1
	s_and_saveexec_b64 s[12:13], s[14:15]
; %bb.126:
	s_xor_b64 s[6:7], exec, -1
; %bb.127:
	s_or_b64 exec, exec, s[12:13]
	s_and_b64 s[6:7], s[6:7], exec
	s_or_saveexec_b64 s[10:11], s[10:11]
	v_mov_b32_e32 v9, 0x7f800001
	s_xor_b64 exec, exec, s[10:11]
	s_cbranch_execz .LBB292_60
.LBB292_128:
	v_mov_b32_e32 v9, 0
	v_cmp_ne_u16_sdwa s[12:13], v5, v9 src0_sel:BYTE_0 src1_sel:DWORD
	s_andn2_b64 s[6:7], s[6:7], exec
	s_and_b64 s[12:13], s[12:13], exec
	s_or_b64 s[6:7], s[6:7], s[12:13]
	s_or_b64 exec, exec, s[10:11]
	s_and_saveexec_b64 s[10:11], s[6:7]
	s_cbranch_execnz .LBB292_61
	s_branch .LBB292_62
.LBB292_129:
	s_movk_i32 s2, 0x80
	v_cmp_eq_u16_sdwa s[12:13], v3, s2 src0_sel:BYTE_0 src1_sel:DWORD
	s_mov_b64 s[2:3], -1
	s_and_saveexec_b64 s[10:11], s[12:13]
; %bb.130:
	s_xor_b64 s[2:3], exec, -1
; %bb.131:
	s_or_b64 exec, exec, s[10:11]
	s_and_b64 s[2:3], s[2:3], exec
	s_or_saveexec_b64 s[6:7], s[6:7]
	v_mov_b32_e32 v5, 0x7f800001
	s_xor_b64 exec, exec, s[6:7]
	s_cbranch_execz .LBB292_78
.LBB292_132:
	v_mov_b32_e32 v5, 0
	v_cmp_ne_u16_sdwa s[10:11], v3, v5 src0_sel:BYTE_0 src1_sel:DWORD
	s_andn2_b64 s[2:3], s[2:3], exec
	s_and_b64 s[10:11], s[10:11], exec
	s_or_b64 s[2:3], s[2:3], s[10:11]
	s_or_b64 exec, exec, s[6:7]
	s_and_saveexec_b64 s[6:7], s[2:3]
	s_cbranch_execnz .LBB292_79
	s_branch .LBB292_80
.LBB292_133:
	s_movk_i32 s2, 0x80
	v_cmp_eq_u16_sdwa s[12:13], v2, s2 src0_sel:BYTE_0 src1_sel:DWORD
	s_mov_b64 s[2:3], -1
	s_and_saveexec_b64 s[10:11], s[12:13]
; %bb.134:
	s_xor_b64 s[2:3], exec, -1
; %bb.135:
	s_or_b64 exec, exec, s[10:11]
	s_and_b64 s[2:3], s[2:3], exec
	s_or_saveexec_b64 s[6:7], s[6:7]
	v_mov_b32_e32 v7, 0x7f800001
	s_xor_b64 exec, exec, s[6:7]
	s_cbranch_execz .LBB292_82
.LBB292_136:
	v_mov_b32_e32 v7, 0
	v_cmp_ne_u16_sdwa s[10:11], v2, v7 src0_sel:BYTE_0 src1_sel:DWORD
	s_andn2_b64 s[2:3], s[2:3], exec
	s_and_b64 s[10:11], s[10:11], exec
	s_or_b64 s[2:3], s[2:3], s[10:11]
	s_or_b64 exec, exec, s[6:7]
	s_and_saveexec_b64 s[6:7], s[2:3]
	s_cbranch_execnz .LBB292_83
	s_branch .LBB292_84
.LBB292_137:
	s_movk_i32 s6, 0x80
	v_cmp_eq_u16_sdwa s[14:15], v10, s6 src0_sel:BYTE_0 src1_sel:DWORD
	s_mov_b64 s[6:7], -1
	s_and_saveexec_b64 s[12:13], s[14:15]
; %bb.138:
	s_xor_b64 s[6:7], exec, -1
; %bb.139:
	s_or_b64 exec, exec, s[12:13]
	s_and_b64 s[6:7], s[6:7], exec
	s_or_saveexec_b64 s[10:11], s[10:11]
	v_mov_b32_e32 v4, 0x7f800001
	s_xor_b64 exec, exec, s[10:11]
	s_cbranch_execz .LBB292_22
.LBB292_140:
	v_mov_b32_e32 v4, 0
	v_cmp_ne_u16_sdwa s[12:13], v10, v4 src0_sel:BYTE_0 src1_sel:DWORD
	s_andn2_b64 s[6:7], s[6:7], exec
	s_and_b64 s[12:13], s[12:13], exec
	s_or_b64 s[6:7], s[6:7], s[12:13]
	s_or_b64 exec, exec, s[10:11]
	s_and_saveexec_b64 s[10:11], s[6:7]
	s_cbranch_execnz .LBB292_23
	s_branch .LBB292_24
.LBB292_141:
	s_movk_i32 s6, 0x80
	v_cmp_eq_u16_sdwa s[14:15], v6, s6 src0_sel:BYTE_0 src1_sel:DWORD
	s_mov_b64 s[6:7], -1
	s_and_saveexec_b64 s[12:13], s[14:15]
; %bb.142:
	s_xor_b64 s[6:7], exec, -1
; %bb.143:
	s_or_b64 exec, exec, s[12:13]
	s_and_b64 s[6:7], s[6:7], exec
	s_or_saveexec_b64 s[10:11], s[10:11]
	v_mov_b32_e32 v10, 0x7f800001
	s_xor_b64 exec, exec, s[10:11]
	s_cbranch_execz .LBB292_26
.LBB292_144:
	v_mov_b32_e32 v10, 0
	v_cmp_ne_u16_sdwa s[12:13], v6, v10 src0_sel:BYTE_0 src1_sel:DWORD
	s_andn2_b64 s[6:7], s[6:7], exec
	s_and_b64 s[12:13], s[12:13], exec
	s_or_b64 s[6:7], s[6:7], s[12:13]
	s_or_b64 exec, exec, s[10:11]
	s_and_saveexec_b64 s[10:11], s[6:7]
	s_cbranch_execnz .LBB292_27
	s_branch .LBB292_28
.LBB292_145:
	s_movk_i32 s6, 0x80
	v_cmp_eq_u16_sdwa s[14:15], v9, s6 src0_sel:BYTE_0 src1_sel:DWORD
	s_mov_b64 s[6:7], -1
	s_and_saveexec_b64 s[12:13], s[14:15]
; %bb.146:
	s_xor_b64 s[6:7], exec, -1
; %bb.147:
	s_or_b64 exec, exec, s[12:13]
	s_and_b64 s[6:7], s[6:7], exec
	s_or_saveexec_b64 s[10:11], s[10:11]
	v_mov_b32_e32 v10, 0x7f800001
	s_xor_b64 exec, exec, s[10:11]
	s_cbranch_execz .LBB292_44
.LBB292_148:
	v_mov_b32_e32 v10, 0
	v_cmp_ne_u16_sdwa s[12:13], v9, v10 src0_sel:BYTE_0 src1_sel:DWORD
	s_andn2_b64 s[6:7], s[6:7], exec
	s_and_b64 s[12:13], s[12:13], exec
	s_or_b64 s[6:7], s[6:7], s[12:13]
	s_or_b64 exec, exec, s[10:11]
	s_and_saveexec_b64 s[10:11], s[6:7]
	s_cbranch_execnz .LBB292_45
	s_branch .LBB292_46
.LBB292_149:
	s_movk_i32 s6, 0x80
	v_cmp_eq_u16_sdwa s[14:15], v8, s6 src0_sel:BYTE_0 src1_sel:DWORD
	s_mov_b64 s[6:7], -1
	s_and_saveexec_b64 s[12:13], s[14:15]
; %bb.150:
	s_xor_b64 s[6:7], exec, -1
; %bb.151:
	s_or_b64 exec, exec, s[12:13]
	s_and_b64 s[6:7], s[6:7], exec
	s_or_saveexec_b64 s[10:11], s[10:11]
	v_mov_b32_e32 v9, 0x7f800001
	s_xor_b64 exec, exec, s[10:11]
	s_cbranch_execz .LBB292_48
.LBB292_152:
	v_mov_b32_e32 v9, 0
	v_cmp_ne_u16_sdwa s[12:13], v8, v9 src0_sel:BYTE_0 src1_sel:DWORD
	s_andn2_b64 s[6:7], s[6:7], exec
	s_and_b64 s[12:13], s[12:13], exec
	s_or_b64 s[6:7], s[6:7], s[12:13]
	s_or_b64 exec, exec, s[10:11]
	s_and_saveexec_b64 s[10:11], s[6:7]
	s_cbranch_execnz .LBB292_49
	s_branch .LBB292_50
.LBB292_153:
	s_movk_i32 s6, 0x80
	v_cmp_eq_u16_sdwa s[14:15], v7, s6 src0_sel:BYTE_0 src1_sel:DWORD
	s_mov_b64 s[6:7], -1
	s_and_saveexec_b64 s[12:13], s[14:15]
; %bb.154:
	s_xor_b64 s[6:7], exec, -1
; %bb.155:
	s_or_b64 exec, exec, s[12:13]
	s_and_b64 s[6:7], s[6:7], exec
	s_or_saveexec_b64 s[10:11], s[10:11]
	v_mov_b32_e32 v8, 0x7f800001
	s_xor_b64 exec, exec, s[10:11]
	s_cbranch_execz .LBB292_66
.LBB292_156:
	v_mov_b32_e32 v8, 0
	v_cmp_ne_u16_sdwa s[12:13], v7, v8 src0_sel:BYTE_0 src1_sel:DWORD
	s_andn2_b64 s[6:7], s[6:7], exec
	s_and_b64 s[12:13], s[12:13], exec
	s_or_b64 s[6:7], s[6:7], s[12:13]
	s_or_b64 exec, exec, s[10:11]
	s_and_saveexec_b64 s[10:11], s[6:7]
	s_cbranch_execnz .LBB292_67
	s_branch .LBB292_68
.LBB292_157:
	s_movk_i32 s6, 0x80
	v_cmp_eq_u16_sdwa s[14:15], v5, s6 src0_sel:BYTE_0 src1_sel:DWORD
	s_mov_b64 s[6:7], -1
	s_and_saveexec_b64 s[12:13], s[14:15]
; %bb.158:
	s_xor_b64 s[6:7], exec, -1
; %bb.159:
	s_or_b64 exec, exec, s[12:13]
	s_and_b64 s[6:7], s[6:7], exec
	s_or_saveexec_b64 s[10:11], s[10:11]
	v_mov_b32_e32 v7, 0x7f800001
	s_xor_b64 exec, exec, s[10:11]
	s_cbranch_execz .LBB292_70
.LBB292_160:
	v_mov_b32_e32 v7, 0
	v_cmp_ne_u16_sdwa s[12:13], v5, v7 src0_sel:BYTE_0 src1_sel:DWORD
	s_andn2_b64 s[6:7], s[6:7], exec
	s_and_b64 s[12:13], s[12:13], exec
	s_or_b64 s[6:7], s[6:7], s[12:13]
	s_or_b64 exec, exec, s[10:11]
	s_and_saveexec_b64 s[10:11], s[6:7]
	s_cbranch_execnz .LBB292_71
	s_branch .LBB292_72
.LBB292_161:
	s_movk_i32 s2, 0x80
	v_cmp_eq_u16_sdwa s[12:13], v3, s2 src0_sel:BYTE_0 src1_sel:DWORD
	s_mov_b64 s[2:3], -1
	s_and_saveexec_b64 s[10:11], s[12:13]
; %bb.162:
	s_xor_b64 s[2:3], exec, -1
; %bb.163:
	s_or_b64 exec, exec, s[10:11]
	s_and_b64 s[2:3], s[2:3], exec
	s_or_saveexec_b64 s[6:7], s[6:7]
	v_mov_b32_e32 v5, 0x7f800001
	s_xor_b64 exec, exec, s[6:7]
	s_cbranch_execz .LBB292_88
.LBB292_164:
	v_mov_b32_e32 v5, 0
	v_cmp_ne_u16_sdwa s[10:11], v3, v5 src0_sel:BYTE_0 src1_sel:DWORD
	s_andn2_b64 s[2:3], s[2:3], exec
	s_and_b64 s[10:11], s[10:11], exec
	s_or_b64 s[2:3], s[2:3], s[10:11]
	s_or_b64 exec, exec, s[6:7]
	s_and_saveexec_b64 s[6:7], s[2:3]
	s_cbranch_execnz .LBB292_89
	s_branch .LBB292_90
.LBB292_165:
	s_movk_i32 s2, 0x80
	v_cmp_eq_u16_sdwa s[12:13], v2, s2 src0_sel:BYTE_0 src1_sel:DWORD
	s_mov_b64 s[2:3], -1
	s_and_saveexec_b64 s[10:11], s[12:13]
; %bb.166:
	s_xor_b64 s[2:3], exec, -1
; %bb.167:
	s_or_b64 exec, exec, s[10:11]
	s_and_b64 s[2:3], s[2:3], exec
	s_or_saveexec_b64 s[6:7], s[6:7]
	v_mov_b32_e32 v3, 0x7f800001
	s_xor_b64 exec, exec, s[6:7]
	s_cbranch_execz .LBB292_92
.LBB292_168:
	v_mov_b32_e32 v3, 0
	v_cmp_ne_u16_sdwa s[10:11], v2, v3 src0_sel:BYTE_0 src1_sel:DWORD
	s_andn2_b64 s[2:3], s[2:3], exec
	s_and_b64 s[10:11], s[10:11], exec
	s_or_b64 s[2:3], s[2:3], s[10:11]
	s_or_b64 exec, exec, s[6:7]
	s_and_saveexec_b64 s[6:7], s[2:3]
	s_cbranch_execnz .LBB292_93
	s_branch .LBB292_94
	.section	.rodata,"a",@progbits
	.p2align	6, 0x0
	.amdhsa_kernel _ZN2at6native27unrolled_elementwise_kernelINS0_13BinaryFunctorIN3c1015Float8_e4m3fnuzES4_bNS0_12_GLOBAL__N_116CompareEqFunctorIS4_EEEESt5arrayIPcLm3EELi4E23TrivialOffsetCalculatorILi2EjESC_ILi1EjENS0_6memory15LoadWithoutCastENSF_16StoreWithoutCastEEEviT_T0_T2_T3_T4_T5_
		.amdhsa_group_segment_fixed_size 0
		.amdhsa_private_segment_fixed_size 0
		.amdhsa_kernarg_size 36
		.amdhsa_user_sgpr_count 6
		.amdhsa_user_sgpr_private_segment_buffer 1
		.amdhsa_user_sgpr_dispatch_ptr 0
		.amdhsa_user_sgpr_queue_ptr 0
		.amdhsa_user_sgpr_kernarg_segment_ptr 1
		.amdhsa_user_sgpr_dispatch_id 0
		.amdhsa_user_sgpr_flat_scratch_init 0
		.amdhsa_user_sgpr_private_segment_size 0
		.amdhsa_uses_dynamic_stack 0
		.amdhsa_system_sgpr_private_segment_wavefront_offset 0
		.amdhsa_system_sgpr_workgroup_id_x 1
		.amdhsa_system_sgpr_workgroup_id_y 0
		.amdhsa_system_sgpr_workgroup_id_z 0
		.amdhsa_system_sgpr_workgroup_info 0
		.amdhsa_system_vgpr_workitem_id 0
		.amdhsa_next_free_vgpr 15
		.amdhsa_next_free_sgpr 20
		.amdhsa_reserve_vcc 1
		.amdhsa_reserve_flat_scratch 0
		.amdhsa_float_round_mode_32 0
		.amdhsa_float_round_mode_16_64 0
		.amdhsa_float_denorm_mode_32 3
		.amdhsa_float_denorm_mode_16_64 3
		.amdhsa_dx10_clamp 1
		.amdhsa_ieee_mode 1
		.amdhsa_fp16_overflow 0
		.amdhsa_exception_fp_ieee_invalid_op 0
		.amdhsa_exception_fp_denorm_src 0
		.amdhsa_exception_fp_ieee_div_zero 0
		.amdhsa_exception_fp_ieee_overflow 0
		.amdhsa_exception_fp_ieee_underflow 0
		.amdhsa_exception_fp_ieee_inexact 0
		.amdhsa_exception_int_div_zero 0
	.end_amdhsa_kernel
	.section	.text._ZN2at6native27unrolled_elementwise_kernelINS0_13BinaryFunctorIN3c1015Float8_e4m3fnuzES4_bNS0_12_GLOBAL__N_116CompareEqFunctorIS4_EEEESt5arrayIPcLm3EELi4E23TrivialOffsetCalculatorILi2EjESC_ILi1EjENS0_6memory15LoadWithoutCastENSF_16StoreWithoutCastEEEviT_T0_T2_T3_T4_T5_,"axG",@progbits,_ZN2at6native27unrolled_elementwise_kernelINS0_13BinaryFunctorIN3c1015Float8_e4m3fnuzES4_bNS0_12_GLOBAL__N_116CompareEqFunctorIS4_EEEESt5arrayIPcLm3EELi4E23TrivialOffsetCalculatorILi2EjESC_ILi1EjENS0_6memory15LoadWithoutCastENSF_16StoreWithoutCastEEEviT_T0_T2_T3_T4_T5_,comdat
.Lfunc_end292:
	.size	_ZN2at6native27unrolled_elementwise_kernelINS0_13BinaryFunctorIN3c1015Float8_e4m3fnuzES4_bNS0_12_GLOBAL__N_116CompareEqFunctorIS4_EEEESt5arrayIPcLm3EELi4E23TrivialOffsetCalculatorILi2EjESC_ILi1EjENS0_6memory15LoadWithoutCastENSF_16StoreWithoutCastEEEviT_T0_T2_T3_T4_T5_, .Lfunc_end292-_ZN2at6native27unrolled_elementwise_kernelINS0_13BinaryFunctorIN3c1015Float8_e4m3fnuzES4_bNS0_12_GLOBAL__N_116CompareEqFunctorIS4_EEEESt5arrayIPcLm3EELi4E23TrivialOffsetCalculatorILi2EjESC_ILi1EjENS0_6memory15LoadWithoutCastENSF_16StoreWithoutCastEEEviT_T0_T2_T3_T4_T5_
                                        ; -- End function
	.set _ZN2at6native27unrolled_elementwise_kernelINS0_13BinaryFunctorIN3c1015Float8_e4m3fnuzES4_bNS0_12_GLOBAL__N_116CompareEqFunctorIS4_EEEESt5arrayIPcLm3EELi4E23TrivialOffsetCalculatorILi2EjESC_ILi1EjENS0_6memory15LoadWithoutCastENSF_16StoreWithoutCastEEEviT_T0_T2_T3_T4_T5_.num_vgpr, 15
	.set _ZN2at6native27unrolled_elementwise_kernelINS0_13BinaryFunctorIN3c1015Float8_e4m3fnuzES4_bNS0_12_GLOBAL__N_116CompareEqFunctorIS4_EEEESt5arrayIPcLm3EELi4E23TrivialOffsetCalculatorILi2EjESC_ILi1EjENS0_6memory15LoadWithoutCastENSF_16StoreWithoutCastEEEviT_T0_T2_T3_T4_T5_.num_agpr, 0
	.set _ZN2at6native27unrolled_elementwise_kernelINS0_13BinaryFunctorIN3c1015Float8_e4m3fnuzES4_bNS0_12_GLOBAL__N_116CompareEqFunctorIS4_EEEESt5arrayIPcLm3EELi4E23TrivialOffsetCalculatorILi2EjESC_ILi1EjENS0_6memory15LoadWithoutCastENSF_16StoreWithoutCastEEEviT_T0_T2_T3_T4_T5_.numbered_sgpr, 20
	.set _ZN2at6native27unrolled_elementwise_kernelINS0_13BinaryFunctorIN3c1015Float8_e4m3fnuzES4_bNS0_12_GLOBAL__N_116CompareEqFunctorIS4_EEEESt5arrayIPcLm3EELi4E23TrivialOffsetCalculatorILi2EjESC_ILi1EjENS0_6memory15LoadWithoutCastENSF_16StoreWithoutCastEEEviT_T0_T2_T3_T4_T5_.num_named_barrier, 0
	.set _ZN2at6native27unrolled_elementwise_kernelINS0_13BinaryFunctorIN3c1015Float8_e4m3fnuzES4_bNS0_12_GLOBAL__N_116CompareEqFunctorIS4_EEEESt5arrayIPcLm3EELi4E23TrivialOffsetCalculatorILi2EjESC_ILi1EjENS0_6memory15LoadWithoutCastENSF_16StoreWithoutCastEEEviT_T0_T2_T3_T4_T5_.private_seg_size, 0
	.set _ZN2at6native27unrolled_elementwise_kernelINS0_13BinaryFunctorIN3c1015Float8_e4m3fnuzES4_bNS0_12_GLOBAL__N_116CompareEqFunctorIS4_EEEESt5arrayIPcLm3EELi4E23TrivialOffsetCalculatorILi2EjESC_ILi1EjENS0_6memory15LoadWithoutCastENSF_16StoreWithoutCastEEEviT_T0_T2_T3_T4_T5_.uses_vcc, 1
	.set _ZN2at6native27unrolled_elementwise_kernelINS0_13BinaryFunctorIN3c1015Float8_e4m3fnuzES4_bNS0_12_GLOBAL__N_116CompareEqFunctorIS4_EEEESt5arrayIPcLm3EELi4E23TrivialOffsetCalculatorILi2EjESC_ILi1EjENS0_6memory15LoadWithoutCastENSF_16StoreWithoutCastEEEviT_T0_T2_T3_T4_T5_.uses_flat_scratch, 0
	.set _ZN2at6native27unrolled_elementwise_kernelINS0_13BinaryFunctorIN3c1015Float8_e4m3fnuzES4_bNS0_12_GLOBAL__N_116CompareEqFunctorIS4_EEEESt5arrayIPcLm3EELi4E23TrivialOffsetCalculatorILi2EjESC_ILi1EjENS0_6memory15LoadWithoutCastENSF_16StoreWithoutCastEEEviT_T0_T2_T3_T4_T5_.has_dyn_sized_stack, 0
	.set _ZN2at6native27unrolled_elementwise_kernelINS0_13BinaryFunctorIN3c1015Float8_e4m3fnuzES4_bNS0_12_GLOBAL__N_116CompareEqFunctorIS4_EEEESt5arrayIPcLm3EELi4E23TrivialOffsetCalculatorILi2EjESC_ILi1EjENS0_6memory15LoadWithoutCastENSF_16StoreWithoutCastEEEviT_T0_T2_T3_T4_T5_.has_recursion, 0
	.set _ZN2at6native27unrolled_elementwise_kernelINS0_13BinaryFunctorIN3c1015Float8_e4m3fnuzES4_bNS0_12_GLOBAL__N_116CompareEqFunctorIS4_EEEESt5arrayIPcLm3EELi4E23TrivialOffsetCalculatorILi2EjESC_ILi1EjENS0_6memory15LoadWithoutCastENSF_16StoreWithoutCastEEEviT_T0_T2_T3_T4_T5_.has_indirect_call, 0
	.section	.AMDGPU.csdata,"",@progbits
; Kernel info:
; codeLenInByte = 4716
; TotalNumSgprs: 24
; NumVgprs: 15
; ScratchSize: 0
; MemoryBound: 0
; FloatMode: 240
; IeeeMode: 1
; LDSByteSize: 0 bytes/workgroup (compile time only)
; SGPRBlocks: 2
; VGPRBlocks: 3
; NumSGPRsForWavesPerEU: 24
; NumVGPRsForWavesPerEU: 15
; Occupancy: 10
; WaveLimiterHint : 0
; COMPUTE_PGM_RSRC2:SCRATCH_EN: 0
; COMPUTE_PGM_RSRC2:USER_SGPR: 6
; COMPUTE_PGM_RSRC2:TRAP_HANDLER: 0
; COMPUTE_PGM_RSRC2:TGID_X_EN: 1
; COMPUTE_PGM_RSRC2:TGID_Y_EN: 0
; COMPUTE_PGM_RSRC2:TGID_Z_EN: 0
; COMPUTE_PGM_RSRC2:TIDIG_COMP_CNT: 0
	.section	.text._ZN2at6native32elementwise_kernel_manual_unrollILi128ELi8EZNS0_22gpu_kernel_impl_nocastINS0_13BinaryFunctorIN3c1015Float8_e4m3fnuzES5_bNS0_12_GLOBAL__N_116CompareEqFunctorIS5_EEEEEEvRNS_18TensorIteratorBaseERKT_EUlibE_EEviT1_,"axG",@progbits,_ZN2at6native32elementwise_kernel_manual_unrollILi128ELi8EZNS0_22gpu_kernel_impl_nocastINS0_13BinaryFunctorIN3c1015Float8_e4m3fnuzES5_bNS0_12_GLOBAL__N_116CompareEqFunctorIS5_EEEEEEvRNS_18TensorIteratorBaseERKT_EUlibE_EEviT1_,comdat
	.globl	_ZN2at6native32elementwise_kernel_manual_unrollILi128ELi8EZNS0_22gpu_kernel_impl_nocastINS0_13BinaryFunctorIN3c1015Float8_e4m3fnuzES5_bNS0_12_GLOBAL__N_116CompareEqFunctorIS5_EEEEEEvRNS_18TensorIteratorBaseERKT_EUlibE_EEviT1_ ; -- Begin function _ZN2at6native32elementwise_kernel_manual_unrollILi128ELi8EZNS0_22gpu_kernel_impl_nocastINS0_13BinaryFunctorIN3c1015Float8_e4m3fnuzES5_bNS0_12_GLOBAL__N_116CompareEqFunctorIS5_EEEEEEvRNS_18TensorIteratorBaseERKT_EUlibE_EEviT1_
	.p2align	8
	.type	_ZN2at6native32elementwise_kernel_manual_unrollILi128ELi8EZNS0_22gpu_kernel_impl_nocastINS0_13BinaryFunctorIN3c1015Float8_e4m3fnuzES5_bNS0_12_GLOBAL__N_116CompareEqFunctorIS5_EEEEEEvRNS_18TensorIteratorBaseERKT_EUlibE_EEviT1_,@function
_ZN2at6native32elementwise_kernel_manual_unrollILi128ELi8EZNS0_22gpu_kernel_impl_nocastINS0_13BinaryFunctorIN3c1015Float8_e4m3fnuzES5_bNS0_12_GLOBAL__N_116CompareEqFunctorIS5_EEEEEEvRNS_18TensorIteratorBaseERKT_EUlibE_EEviT1_: ; @_ZN2at6native32elementwise_kernel_manual_unrollILi128ELi8EZNS0_22gpu_kernel_impl_nocastINS0_13BinaryFunctorIN3c1015Float8_e4m3fnuzES5_bNS0_12_GLOBAL__N_116CompareEqFunctorIS5_EEEEEEvRNS_18TensorIteratorBaseERKT_EUlibE_EEviT1_
; %bb.0:
	s_load_dword s42, s[4:5], 0x0
	s_load_dword s33, s[4:5], 0x8
	s_add_u32 s12, s4, 8
	s_addc_u32 s13, s5, 0
	v_lshl_or_b32 v7, s6, 10, v0
	v_or_b32_e32 v41, 0x380, v7
	s_waitcnt lgkmcnt(0)
	s_add_i32 s40, s33, -1
	s_cmp_gt_u32 s40, 1
	v_cmp_le_i32_e32 vcc, s42, v41
	s_cselect_b64 s[14:15], -1, 0
	s_and_saveexec_b64 s[0:1], vcc
	s_xor_b64 s[16:17], exec, s[0:1]
	s_cbranch_execz .LBB293_378
; %bb.1:
	s_load_dwordx4 s[8:11], s[12:13], 0x4
	s_load_dwordx2 s[24:25], s[12:13], 0x14
	s_load_dwordx4 s[4:7], s[12:13], 0xc4
	s_load_dwordx2 s[22:23], s[12:13], 0xd4
	s_load_dword s18, s[12:13], 0x1a0
	s_cmp_lg_u32 s33, 0
	s_load_dwordx2 s[20:21], s[12:13], 0x198
	s_load_dwordx4 s[0:3], s[12:13], 0x188
	s_cselect_b64 s[28:29], -1, 0
	s_min_u32 s41, s40, 15
	s_cmp_gt_u32 s33, 1
	s_cselect_b64 s[26:27], -1, 0
	s_waitcnt lgkmcnt(0)
	s_cmp_lg_u32 s18, 0
	s_cselect_b64 s[18:19], -1, 0
	v_cmp_gt_i32_e32 vcc, s42, v7
	s_and_saveexec_b64 s[30:31], vcc
	s_cbranch_execnz .LBB293_9
; %bb.2:
	s_or_b64 exec, exec, s[30:31]
	v_cmp_gt_i32_e32 vcc, s42, v7
	s_and_saveexec_b64 s[30:31], vcc
	s_cbranch_execnz .LBB293_41
.LBB293_3:
	s_or_b64 exec, exec, s[30:31]
	v_cmp_gt_i32_e32 vcc, s42, v7
	s_and_saveexec_b64 s[30:31], vcc
	s_cbranch_execnz .LBB293_89
.LBB293_4:
	s_or_b64 exec, exec, s[30:31]
	v_cmp_gt_i32_e32 vcc, s42, v7
	s_and_saveexec_b64 s[30:31], vcc
	s_cbranch_execnz .LBB293_137
.LBB293_5:
	s_or_b64 exec, exec, s[30:31]
	v_cmp_gt_i32_e32 vcc, s42, v7
	s_and_saveexec_b64 s[30:31], vcc
	s_cbranch_execnz .LBB293_185
.LBB293_6:
	s_or_b64 exec, exec, s[30:31]
	v_cmp_gt_i32_e32 vcc, s42, v7
	s_and_saveexec_b64 s[30:31], vcc
	s_cbranch_execnz .LBB293_233
.LBB293_7:
	s_or_b64 exec, exec, s[30:31]
	v_cmp_gt_i32_e32 vcc, s42, v7
	s_and_saveexec_b64 s[30:31], vcc
	s_cbranch_execnz .LBB293_281
.LBB293_8:
	s_or_b64 exec, exec, s[30:31]
	v_cmp_gt_i32_e32 vcc, s42, v7
	s_and_saveexec_b64 s[30:31], vcc
	s_cbranch_execnz .LBB293_329
	s_branch .LBB293_377
.LBB293_9:
	s_andn2_b64 vcc, exec, s[14:15]
	s_cbranch_vccnz .LBB293_15
; %bb.10:
	s_andn2_b64 vcc, exec, s[28:29]
	s_cbranch_vccnz .LBB293_16
; %bb.11:
	s_add_i32 s34, s41, 1
	s_and_b32 s36, s34, 30
	s_add_u32 s34, s12, 0xffffffe8
	s_addc_u32 s35, s13, -1
	v_mov_b32_e32 v2, 0
	v_mov_b32_e32 v4, 0
	;; [unrolled: 1-line block ×4, first 2 shown]
.LBB293_12:                             ; =>This Inner Loop Header: Depth=1
	s_load_dwordx4 s[44:47], s[34:35], 0x1c
	s_load_dwordx2 s[38:39], s[34:35], 0x2c
	s_load_dwordx2 s[52:53], s[34:35], 0xec
	s_load_dwordx4 s[48:51], s[34:35], 0xdc
	s_add_u32 s34, s34, 24
	s_waitcnt lgkmcnt(0)
	v_mul_hi_u32 v3, s45, v1
	s_addc_u32 s35, s35, 0
	s_add_i32 s36, s36, -2
	s_cmp_lg_u32 s36, 0
	v_add_u32_e32 v3, v1, v3
	v_lshrrev_b32_e32 v3, s46, v3
	v_mul_lo_u32 v5, v3, s44
	v_mul_hi_u32 v6, s38, v3
	v_sub_u32_e32 v5, v1, v5
	v_add_u32_e32 v1, v3, v6
	v_lshrrev_b32_e32 v1, s39, v1
	v_mul_lo_u32 v9, v1, s47
	v_mul_lo_u32 v6, v5, s48
	v_mul_lo_u32 v8, v5, s49
	v_mul_lo_u32 v5, v5, s50
	v_sub_u32_e32 v3, v3, v9
	v_mul_lo_u32 v9, v3, s51
	v_mul_lo_u32 v10, v3, s52
	;; [unrolled: 1-line block ×3, first 2 shown]
	v_add3_u32 v0, v6, v0, v9
	v_add3_u32 v4, v8, v4, v10
	;; [unrolled: 1-line block ×3, first 2 shown]
	s_cbranch_scc1 .LBB293_12
; %bb.13:
	s_bitcmp1_b32 s41, 0
	s_cselect_b64 s[36:37], -1, 0
	s_and_b64 vcc, exec, s[36:37]
	s_cbranch_vccnz .LBB293_17
; %bb.14:
	s_load_dwordx2 s[36:37], s[34:35], 0x1c
	s_load_dword s43, s[34:35], 0x24
	s_load_dwordx2 s[38:39], s[34:35], 0xdc
	s_waitcnt lgkmcnt(0)
	v_mul_hi_u32 v3, s37, v1
	v_add_u32_e32 v3, v1, v3
	v_lshrrev_b32_e32 v3, s43, v3
	v_mul_lo_u32 v3, v3, s36
	s_load_dword s36, s[34:35], 0xe4
	v_sub_u32_e32 v3, v1, v3
	v_mad_u64_u32 v[0:1], s[34:35], v3, s38, v[0:1]
	v_mad_u64_u32 v[4:5], s[34:35], v3, s39, v[4:5]
	s_waitcnt lgkmcnt(0)
	v_mad_u64_u32 v[2:3], s[34:35], v3, s36, v[2:3]
	s_cbranch_execz .LBB293_18
	s_branch .LBB293_20
.LBB293_15:
                                        ; implicit-def: $vgpr0
                                        ; implicit-def: $vgpr4
                                        ; implicit-def: $vgpr2
	s_branch .LBB293_18
.LBB293_16:
	v_mov_b32_e32 v0, 0
	v_mov_b32_e32 v4, 0
	;; [unrolled: 1-line block ×3, first 2 shown]
.LBB293_17:
	s_cbranch_execnz .LBB293_20
.LBB293_18:
	v_mul_hi_u32 v0, s9, v7
	s_andn2_b64 vcc, exec, s[26:27]
	v_add_u32_e32 v0, v7, v0
	v_lshrrev_b32_e32 v1, s10, v0
	v_mul_lo_u32 v0, v1, s8
	v_sub_u32_e32 v2, v7, v0
	v_mul_lo_u32 v0, v2, s4
	v_mul_lo_u32 v4, v2, s5
	;; [unrolled: 1-line block ×3, first 2 shown]
	s_cbranch_vccnz .LBB293_20
; %bb.19:
	v_mul_hi_u32 v3, s24, v1
	v_add_u32_e32 v3, v1, v3
	v_lshrrev_b32_e32 v3, s25, v3
	v_mul_lo_u32 v3, v3, s11
	v_sub_u32_e32 v3, v1, v3
	v_mad_u64_u32 v[0:1], s[34:35], v3, s7, v[0:1]
	v_mad_u64_u32 v[4:5], s[34:35], v3, s22, v[4:5]
	;; [unrolled: 1-line block ×3, first 2 shown]
.LBB293_20:
	global_load_ubyte v3, v4, s[2:3]
	global_load_ubyte v1, v2, s[20:21]
	s_and_b64 vcc, exec, s[18:19]
	s_cbranch_vccz .LBB293_30
; %bb.21:
	s_movk_i32 s34, 0x7f
	s_waitcnt vmcnt(1)
	v_cmp_gt_i16_sdwa s[36:37], v3, s34 src0_sel:BYTE_0 src1_sel:DWORD
	s_mov_b64 s[34:35], 0
	s_and_saveexec_b64 s[38:39], s[36:37]
	s_xor_b64 s[36:37], exec, s[38:39]
	s_cbranch_execnz .LBB293_48
; %bb.22:
	s_or_saveexec_b64 s[36:37], s[36:37]
	v_mov_b32_e32 v2, 0x7f800001
	s_xor_b64 exec, exec, s[36:37]
	s_cbranch_execnz .LBB293_51
.LBB293_23:
	s_or_b64 exec, exec, s[36:37]
	s_and_saveexec_b64 s[36:37], s[34:35]
	s_cbranch_execz .LBB293_25
.LBB293_24:
	v_and_b32_e32 v5, 7, v3
	v_ffbh_u32_e32 v6, v5
	v_min_u32_e32 v6, 32, v6
	v_lshrrev_b16_e32 v4, 3, v3
	v_subrev_u32_e32 v8, 28, v6
	v_and_b32_e32 v4, 15, v4
	v_lshlrev_b32_e32 v8, v8, v3
	v_sub_u32_e32 v6, 29, v6
	v_and_b32_e32 v8, 7, v8
	v_cmp_eq_u32_e32 vcc, 0, v4
	v_lshlrev_b32_e32 v2, 24, v3
	v_cndmask_b32_e32 v4, v4, v6, vcc
	v_cndmask_b32_e32 v5, v5, v8, vcc
	v_mov_b32_e32 v6, 0x3b800000
	v_lshlrev_b32_e32 v5, 20, v5
	v_and_b32_e32 v2, 0x80000000, v2
	v_lshl_add_u32 v4, v4, 23, v6
	v_or3_b32 v2, v2, v4, v5
.LBB293_25:
	s_or_b64 exec, exec, s[36:37]
	s_movk_i32 s34, 0x7f
	s_waitcnt vmcnt(0)
	v_cmp_gt_i16_sdwa s[36:37], v1, s34 src0_sel:BYTE_0 src1_sel:DWORD
	s_mov_b64 s[34:35], 0
	s_and_saveexec_b64 s[38:39], s[36:37]
	s_xor_b64 s[36:37], exec, s[38:39]
	s_cbranch_execnz .LBB293_52
; %bb.26:
	s_or_saveexec_b64 s[36:37], s[36:37]
	v_mov_b32_e32 v4, 0x7f800001
	s_xor_b64 exec, exec, s[36:37]
	s_cbranch_execnz .LBB293_55
.LBB293_27:
	s_or_b64 exec, exec, s[36:37]
	s_and_saveexec_b64 s[36:37], s[34:35]
	s_cbranch_execz .LBB293_29
.LBB293_28:
	v_and_b32_e32 v6, 7, v1
	v_ffbh_u32_e32 v8, v6
	v_min_u32_e32 v8, 32, v8
	v_lshrrev_b16_e32 v5, 3, v1
	v_subrev_u32_e32 v9, 28, v8
	v_and_b32_e32 v5, 15, v5
	v_lshlrev_b32_e32 v9, v9, v1
	v_sub_u32_e32 v8, 29, v8
	v_and_b32_e32 v9, 7, v9
	v_cmp_eq_u32_e32 vcc, 0, v5
	v_lshlrev_b32_e32 v4, 24, v1
	v_cndmask_b32_e32 v5, v5, v8, vcc
	v_cndmask_b32_e32 v6, v6, v9, vcc
	v_mov_b32_e32 v8, 0x3b800000
	v_lshlrev_b32_e32 v6, 20, v6
	v_and_b32_e32 v4, 0x80000000, v4
	v_lshl_add_u32 v5, v5, 23, v8
	v_or3_b32 v4, v4, v5, v6
.LBB293_29:
	s_or_b64 exec, exec, s[36:37]
	v_cmp_neq_f32_e64 s[34:35], v2, v4
	s_branch .LBB293_40
.LBB293_30:
                                        ; implicit-def: $sgpr34_sgpr35
	s_cbranch_execz .LBB293_40
; %bb.31:
	s_movk_i32 s34, 0x7f
	s_waitcnt vmcnt(1)
	v_cmp_gt_i16_sdwa s[36:37], v3, s34 src0_sel:BYTE_0 src1_sel:DWORD
	s_mov_b64 s[34:35], 0
	s_and_saveexec_b64 s[38:39], s[36:37]
	s_xor_b64 s[36:37], exec, s[38:39]
	s_cbranch_execnz .LBB293_56
; %bb.32:
	s_or_saveexec_b64 s[36:37], s[36:37]
	v_mov_b32_e32 v2, 0x7f800001
	s_xor_b64 exec, exec, s[36:37]
	s_cbranch_execnz .LBB293_59
.LBB293_33:
	s_or_b64 exec, exec, s[36:37]
	s_and_saveexec_b64 s[36:37], s[34:35]
	s_cbranch_execz .LBB293_35
.LBB293_34:
	v_and_b32_e32 v5, 7, v3
	v_ffbh_u32_e32 v6, v5
	v_min_u32_e32 v6, 32, v6
	v_lshrrev_b16_e32 v4, 3, v3
	v_subrev_u32_e32 v8, 28, v6
	v_lshlrev_b32_e32 v2, 24, v3
	v_and_b32_e32 v4, 15, v4
	v_lshlrev_b32_e32 v3, v8, v3
	v_sub_u32_e32 v6, 29, v6
	v_and_b32_e32 v3, 7, v3
	v_cmp_eq_u32_e32 vcc, 0, v4
	v_cndmask_b32_e32 v4, v4, v6, vcc
	v_cndmask_b32_e32 v3, v5, v3, vcc
	v_mov_b32_e32 v5, 0x3b800000
	v_lshlrev_b32_e32 v3, 20, v3
	v_and_b32_e32 v2, 0x80000000, v2
	v_lshl_add_u32 v4, v4, 23, v5
	v_or3_b32 v2, v2, v4, v3
.LBB293_35:
	s_or_b64 exec, exec, s[36:37]
	s_movk_i32 s34, 0x7f
	s_waitcnt vmcnt(0)
	v_cmp_gt_i16_sdwa s[36:37], v1, s34 src0_sel:BYTE_0 src1_sel:DWORD
	s_mov_b64 s[34:35], 0
	s_and_saveexec_b64 s[38:39], s[36:37]
	s_xor_b64 s[36:37], exec, s[38:39]
	s_cbranch_execnz .LBB293_60
; %bb.36:
	s_or_saveexec_b64 s[36:37], s[36:37]
	v_mov_b32_e32 v3, 0x7f800001
	s_xor_b64 exec, exec, s[36:37]
	s_cbranch_execnz .LBB293_63
.LBB293_37:
	s_or_b64 exec, exec, s[36:37]
	s_and_saveexec_b64 s[36:37], s[34:35]
	s_cbranch_execz .LBB293_39
.LBB293_38:
	v_and_b32_e32 v5, 7, v1
	v_ffbh_u32_e32 v6, v5
	v_min_u32_e32 v6, 32, v6
	v_lshrrev_b16_e32 v4, 3, v1
	v_subrev_u32_e32 v8, 28, v6
	v_lshlrev_b32_e32 v3, 24, v1
	v_and_b32_e32 v4, 15, v4
	v_lshlrev_b32_e32 v1, v8, v1
	v_sub_u32_e32 v6, 29, v6
	v_and_b32_e32 v1, 7, v1
	v_cmp_eq_u32_e32 vcc, 0, v4
	v_cndmask_b32_e32 v4, v4, v6, vcc
	v_cndmask_b32_e32 v1, v5, v1, vcc
	v_mov_b32_e32 v5, 0x3b800000
	v_lshlrev_b32_e32 v1, 20, v1
	v_and_b32_e32 v3, 0x80000000, v3
	v_lshl_add_u32 v4, v4, 23, v5
	v_or3_b32 v3, v3, v4, v1
.LBB293_39:
	s_or_b64 exec, exec, s[36:37]
	v_cmp_eq_f32_e64 s[34:35], v2, v3
.LBB293_40:
	s_waitcnt vmcnt(0)
	v_cndmask_b32_e64 v1, 0, 1, s[34:35]
	v_add_u32_e32 v7, 0x80, v7
	global_store_byte v0, v1, s[0:1]
	s_or_b64 exec, exec, s[30:31]
	v_cmp_gt_i32_e32 vcc, s42, v7
	s_and_saveexec_b64 s[30:31], vcc
	s_cbranch_execz .LBB293_3
.LBB293_41:
	s_andn2_b64 vcc, exec, s[14:15]
	s_cbranch_vccnz .LBB293_47
; %bb.42:
	s_andn2_b64 vcc, exec, s[28:29]
	s_cbranch_vccnz .LBB293_64
; %bb.43:
	s_add_i32 s34, s41, 1
	s_and_b32 s36, s34, 30
	s_add_u32 s34, s12, 0xffffffe8
	s_addc_u32 s35, s13, -1
	v_mov_b32_e32 v2, 0
	v_mov_b32_e32 v4, 0
	;; [unrolled: 1-line block ×4, first 2 shown]
.LBB293_44:                             ; =>This Inner Loop Header: Depth=1
	s_load_dwordx4 s[44:47], s[34:35], 0x1c
	s_load_dwordx2 s[38:39], s[34:35], 0x2c
	s_load_dwordx2 s[52:53], s[34:35], 0xec
	s_load_dwordx4 s[48:51], s[34:35], 0xdc
	s_add_u32 s34, s34, 24
	s_waitcnt lgkmcnt(0)
	v_mul_hi_u32 v3, s45, v1
	s_addc_u32 s35, s35, 0
	s_add_i32 s36, s36, -2
	s_cmp_eq_u32 s36, 0
	v_add_u32_e32 v3, v1, v3
	v_lshrrev_b32_e32 v3, s46, v3
	v_mul_lo_u32 v5, v3, s44
	v_mul_hi_u32 v6, s38, v3
	v_sub_u32_e32 v5, v1, v5
	v_add_u32_e32 v1, v3, v6
	v_lshrrev_b32_e32 v1, s39, v1
	v_mul_lo_u32 v9, v1, s47
	v_mul_lo_u32 v6, v5, s48
	;; [unrolled: 1-line block ×4, first 2 shown]
	v_sub_u32_e32 v3, v3, v9
	v_mul_lo_u32 v9, v3, s51
	v_mul_lo_u32 v10, v3, s52
	;; [unrolled: 1-line block ×3, first 2 shown]
	v_add3_u32 v0, v6, v0, v9
	v_add3_u32 v4, v8, v4, v10
	;; [unrolled: 1-line block ×3, first 2 shown]
	s_cbranch_scc0 .LBB293_44
; %bb.45:
	s_bitcmp1_b32 s41, 0
	s_cselect_b64 s[36:37], -1, 0
	s_and_b64 vcc, exec, s[36:37]
	s_cbranch_vccnz .LBB293_65
; %bb.46:
	s_load_dwordx2 s[36:37], s[34:35], 0x1c
	s_load_dword s43, s[34:35], 0x24
	s_load_dwordx2 s[38:39], s[34:35], 0xdc
	s_waitcnt lgkmcnt(0)
	v_mul_hi_u32 v3, s37, v1
	v_add_u32_e32 v3, v1, v3
	v_lshrrev_b32_e32 v3, s43, v3
	v_mul_lo_u32 v3, v3, s36
	s_load_dword s36, s[34:35], 0xe4
	v_sub_u32_e32 v3, v1, v3
	v_mad_u64_u32 v[0:1], s[34:35], v3, s38, v[0:1]
	v_mad_u64_u32 v[4:5], s[34:35], v3, s39, v[4:5]
	s_waitcnt lgkmcnt(0)
	v_mad_u64_u32 v[2:3], s[34:35], v3, s36, v[2:3]
	s_branch .LBB293_65
.LBB293_47:
                                        ; implicit-def: $vgpr0
                                        ; implicit-def: $vgpr4
                                        ; implicit-def: $vgpr2
	s_branch .LBB293_66
.LBB293_48:
	s_movk_i32 s34, 0x80
	v_cmp_eq_u16_sdwa s[44:45], v3, s34 src0_sel:BYTE_0 src1_sel:DWORD
	s_mov_b64 s[34:35], -1
	s_and_saveexec_b64 s[38:39], s[44:45]
; %bb.49:
	s_xor_b64 s[34:35], exec, -1
; %bb.50:
	s_or_b64 exec, exec, s[38:39]
	s_and_b64 s[34:35], s[34:35], exec
	s_or_saveexec_b64 s[36:37], s[36:37]
	v_mov_b32_e32 v2, 0x7f800001
	s_xor_b64 exec, exec, s[36:37]
	s_cbranch_execz .LBB293_23
.LBB293_51:
	v_mov_b32_e32 v2, 0
	v_cmp_ne_u16_sdwa s[38:39], v3, v2 src0_sel:BYTE_0 src1_sel:DWORD
	s_andn2_b64 s[34:35], s[34:35], exec
	s_and_b64 s[38:39], s[38:39], exec
	s_or_b64 s[34:35], s[34:35], s[38:39]
	s_or_b64 exec, exec, s[36:37]
	s_and_saveexec_b64 s[36:37], s[34:35]
	s_cbranch_execnz .LBB293_24
	s_branch .LBB293_25
.LBB293_52:
	s_movk_i32 s34, 0x80
	v_cmp_eq_u16_sdwa s[44:45], v1, s34 src0_sel:BYTE_0 src1_sel:DWORD
	s_mov_b64 s[34:35], -1
	s_and_saveexec_b64 s[38:39], s[44:45]
; %bb.53:
	s_xor_b64 s[34:35], exec, -1
; %bb.54:
	s_or_b64 exec, exec, s[38:39]
	s_and_b64 s[34:35], s[34:35], exec
	s_or_saveexec_b64 s[36:37], s[36:37]
	v_mov_b32_e32 v4, 0x7f800001
	s_xor_b64 exec, exec, s[36:37]
	s_cbranch_execz .LBB293_27
.LBB293_55:
	v_mov_b32_e32 v4, 0
	v_cmp_ne_u16_sdwa s[38:39], v1, v4 src0_sel:BYTE_0 src1_sel:DWORD
	s_andn2_b64 s[34:35], s[34:35], exec
	s_and_b64 s[38:39], s[38:39], exec
	s_or_b64 s[34:35], s[34:35], s[38:39]
	s_or_b64 exec, exec, s[36:37]
	s_and_saveexec_b64 s[36:37], s[34:35]
	s_cbranch_execnz .LBB293_28
	s_branch .LBB293_29
.LBB293_56:
	s_movk_i32 s34, 0x80
	v_cmp_eq_u16_sdwa s[44:45], v3, s34 src0_sel:BYTE_0 src1_sel:DWORD
	s_mov_b64 s[34:35], -1
	s_and_saveexec_b64 s[38:39], s[44:45]
; %bb.57:
	s_xor_b64 s[34:35], exec, -1
; %bb.58:
	s_or_b64 exec, exec, s[38:39]
	s_and_b64 s[34:35], s[34:35], exec
	s_or_saveexec_b64 s[36:37], s[36:37]
	v_mov_b32_e32 v2, 0x7f800001
	s_xor_b64 exec, exec, s[36:37]
	s_cbranch_execz .LBB293_33
.LBB293_59:
	v_mov_b32_e32 v2, 0
	v_cmp_ne_u16_sdwa s[38:39], v3, v2 src0_sel:BYTE_0 src1_sel:DWORD
	s_andn2_b64 s[34:35], s[34:35], exec
	s_and_b64 s[38:39], s[38:39], exec
	s_or_b64 s[34:35], s[34:35], s[38:39]
	s_or_b64 exec, exec, s[36:37]
	s_and_saveexec_b64 s[36:37], s[34:35]
	s_cbranch_execnz .LBB293_34
	s_branch .LBB293_35
.LBB293_60:
	s_movk_i32 s34, 0x80
	v_cmp_eq_u16_sdwa s[44:45], v1, s34 src0_sel:BYTE_0 src1_sel:DWORD
	s_mov_b64 s[34:35], -1
	s_and_saveexec_b64 s[38:39], s[44:45]
; %bb.61:
	s_xor_b64 s[34:35], exec, -1
; %bb.62:
	s_or_b64 exec, exec, s[38:39]
	s_and_b64 s[34:35], s[34:35], exec
	s_or_saveexec_b64 s[36:37], s[36:37]
	v_mov_b32_e32 v3, 0x7f800001
	s_xor_b64 exec, exec, s[36:37]
	s_cbranch_execz .LBB293_37
.LBB293_63:
	v_mov_b32_e32 v3, 0
	v_cmp_ne_u16_sdwa s[38:39], v1, v3 src0_sel:BYTE_0 src1_sel:DWORD
	s_andn2_b64 s[34:35], s[34:35], exec
	s_and_b64 s[38:39], s[38:39], exec
	s_or_b64 s[34:35], s[34:35], s[38:39]
	s_or_b64 exec, exec, s[36:37]
	s_and_saveexec_b64 s[36:37], s[34:35]
	s_cbranch_execnz .LBB293_38
	s_branch .LBB293_39
.LBB293_64:
	v_mov_b32_e32 v0, 0
	v_mov_b32_e32 v4, 0
	;; [unrolled: 1-line block ×3, first 2 shown]
.LBB293_65:
	s_cbranch_execnz .LBB293_68
.LBB293_66:
	v_mul_hi_u32 v0, s9, v7
	s_andn2_b64 vcc, exec, s[26:27]
	v_add_u32_e32 v0, v7, v0
	v_lshrrev_b32_e32 v1, s10, v0
	v_mul_lo_u32 v0, v1, s8
	v_sub_u32_e32 v2, v7, v0
	v_mul_lo_u32 v0, v2, s4
	v_mul_lo_u32 v4, v2, s5
	;; [unrolled: 1-line block ×3, first 2 shown]
	s_cbranch_vccnz .LBB293_68
; %bb.67:
	v_mul_hi_u32 v3, s24, v1
	v_add_u32_e32 v3, v1, v3
	v_lshrrev_b32_e32 v3, s25, v3
	v_mul_lo_u32 v3, v3, s11
	v_sub_u32_e32 v3, v1, v3
	v_mad_u64_u32 v[0:1], s[34:35], v3, s7, v[0:1]
	v_mad_u64_u32 v[4:5], s[34:35], v3, s22, v[4:5]
	;; [unrolled: 1-line block ×3, first 2 shown]
.LBB293_68:
	global_load_ubyte v3, v4, s[2:3]
	global_load_ubyte v1, v2, s[20:21]
	s_andn2_b64 vcc, exec, s[18:19]
	s_cbranch_vccnz .LBB293_78
; %bb.69:
	s_movk_i32 s34, 0x7f
	s_waitcnt vmcnt(1)
	v_cmp_gt_i16_sdwa s[36:37], v3, s34 src0_sel:BYTE_0 src1_sel:DWORD
	s_mov_b64 s[34:35], 0
	s_and_saveexec_b64 s[38:39], s[36:37]
	s_xor_b64 s[36:37], exec, s[38:39]
	s_cbranch_execnz .LBB293_96
; %bb.70:
	s_or_saveexec_b64 s[36:37], s[36:37]
	v_mov_b32_e32 v2, 0x7f800001
	s_xor_b64 exec, exec, s[36:37]
	s_cbranch_execnz .LBB293_99
.LBB293_71:
	s_or_b64 exec, exec, s[36:37]
	s_and_saveexec_b64 s[36:37], s[34:35]
	s_cbranch_execz .LBB293_73
.LBB293_72:
	v_and_b32_e32 v5, 7, v3
	v_ffbh_u32_e32 v6, v5
	v_min_u32_e32 v6, 32, v6
	v_lshrrev_b16_e32 v4, 3, v3
	v_subrev_u32_e32 v8, 28, v6
	v_and_b32_e32 v4, 15, v4
	v_lshlrev_b32_e32 v8, v8, v3
	v_sub_u32_e32 v6, 29, v6
	v_and_b32_e32 v8, 7, v8
	v_cmp_eq_u32_e32 vcc, 0, v4
	v_lshlrev_b32_e32 v2, 24, v3
	v_cndmask_b32_e32 v4, v4, v6, vcc
	v_cndmask_b32_e32 v5, v5, v8, vcc
	v_mov_b32_e32 v6, 0x3b800000
	v_lshlrev_b32_e32 v5, 20, v5
	v_and_b32_e32 v2, 0x80000000, v2
	v_lshl_add_u32 v4, v4, 23, v6
	v_or3_b32 v2, v2, v4, v5
.LBB293_73:
	s_or_b64 exec, exec, s[36:37]
	s_movk_i32 s34, 0x7f
	s_waitcnt vmcnt(0)
	v_cmp_gt_i16_sdwa s[36:37], v1, s34 src0_sel:BYTE_0 src1_sel:DWORD
	s_mov_b64 s[34:35], 0
	s_and_saveexec_b64 s[38:39], s[36:37]
	s_xor_b64 s[36:37], exec, s[38:39]
	s_cbranch_execnz .LBB293_100
; %bb.74:
	s_or_saveexec_b64 s[36:37], s[36:37]
	v_mov_b32_e32 v4, 0x7f800001
	s_xor_b64 exec, exec, s[36:37]
	s_cbranch_execnz .LBB293_103
.LBB293_75:
	s_or_b64 exec, exec, s[36:37]
	s_and_saveexec_b64 s[36:37], s[34:35]
	s_cbranch_execz .LBB293_77
.LBB293_76:
	v_and_b32_e32 v6, 7, v1
	v_ffbh_u32_e32 v8, v6
	v_min_u32_e32 v8, 32, v8
	v_lshrrev_b16_e32 v5, 3, v1
	v_subrev_u32_e32 v9, 28, v8
	v_and_b32_e32 v5, 15, v5
	v_lshlrev_b32_e32 v9, v9, v1
	v_sub_u32_e32 v8, 29, v8
	v_and_b32_e32 v9, 7, v9
	v_cmp_eq_u32_e32 vcc, 0, v5
	v_lshlrev_b32_e32 v4, 24, v1
	v_cndmask_b32_e32 v5, v5, v8, vcc
	v_cndmask_b32_e32 v6, v6, v9, vcc
	v_mov_b32_e32 v8, 0x3b800000
	v_lshlrev_b32_e32 v6, 20, v6
	v_and_b32_e32 v4, 0x80000000, v4
	v_lshl_add_u32 v5, v5, 23, v8
	v_or3_b32 v4, v4, v5, v6
.LBB293_77:
	s_or_b64 exec, exec, s[36:37]
	v_cmp_neq_f32_e64 s[34:35], v2, v4
	s_branch .LBB293_88
.LBB293_78:
                                        ; implicit-def: $sgpr34_sgpr35
	s_cbranch_execz .LBB293_88
; %bb.79:
	s_movk_i32 s34, 0x7f
	s_waitcnt vmcnt(1)
	v_cmp_gt_i16_sdwa s[36:37], v3, s34 src0_sel:BYTE_0 src1_sel:DWORD
	s_mov_b64 s[34:35], 0
	s_and_saveexec_b64 s[38:39], s[36:37]
	s_xor_b64 s[36:37], exec, s[38:39]
	s_cbranch_execnz .LBB293_104
; %bb.80:
	s_or_saveexec_b64 s[36:37], s[36:37]
	v_mov_b32_e32 v2, 0x7f800001
	s_xor_b64 exec, exec, s[36:37]
	s_cbranch_execnz .LBB293_107
.LBB293_81:
	s_or_b64 exec, exec, s[36:37]
	s_and_saveexec_b64 s[36:37], s[34:35]
	s_cbranch_execz .LBB293_83
.LBB293_82:
	v_and_b32_e32 v5, 7, v3
	v_ffbh_u32_e32 v6, v5
	v_min_u32_e32 v6, 32, v6
	v_lshrrev_b16_e32 v4, 3, v3
	v_subrev_u32_e32 v8, 28, v6
	v_lshlrev_b32_e32 v2, 24, v3
	v_and_b32_e32 v4, 15, v4
	v_lshlrev_b32_e32 v3, v8, v3
	v_sub_u32_e32 v6, 29, v6
	v_and_b32_e32 v3, 7, v3
	v_cmp_eq_u32_e32 vcc, 0, v4
	v_cndmask_b32_e32 v4, v4, v6, vcc
	v_cndmask_b32_e32 v3, v5, v3, vcc
	v_mov_b32_e32 v5, 0x3b800000
	v_lshlrev_b32_e32 v3, 20, v3
	v_and_b32_e32 v2, 0x80000000, v2
	v_lshl_add_u32 v4, v4, 23, v5
	v_or3_b32 v2, v2, v4, v3
.LBB293_83:
	s_or_b64 exec, exec, s[36:37]
	s_movk_i32 s34, 0x7f
	s_waitcnt vmcnt(0)
	v_cmp_gt_i16_sdwa s[36:37], v1, s34 src0_sel:BYTE_0 src1_sel:DWORD
	s_mov_b64 s[34:35], 0
	s_and_saveexec_b64 s[38:39], s[36:37]
	s_xor_b64 s[36:37], exec, s[38:39]
	s_cbranch_execnz .LBB293_108
; %bb.84:
	s_or_saveexec_b64 s[36:37], s[36:37]
	v_mov_b32_e32 v3, 0x7f800001
	s_xor_b64 exec, exec, s[36:37]
	s_cbranch_execnz .LBB293_111
.LBB293_85:
	s_or_b64 exec, exec, s[36:37]
	s_and_saveexec_b64 s[36:37], s[34:35]
	s_cbranch_execz .LBB293_87
.LBB293_86:
	v_and_b32_e32 v5, 7, v1
	v_ffbh_u32_e32 v6, v5
	v_min_u32_e32 v6, 32, v6
	v_lshrrev_b16_e32 v4, 3, v1
	v_subrev_u32_e32 v8, 28, v6
	v_lshlrev_b32_e32 v3, 24, v1
	v_and_b32_e32 v4, 15, v4
	v_lshlrev_b32_e32 v1, v8, v1
	v_sub_u32_e32 v6, 29, v6
	v_and_b32_e32 v1, 7, v1
	v_cmp_eq_u32_e32 vcc, 0, v4
	v_cndmask_b32_e32 v4, v4, v6, vcc
	v_cndmask_b32_e32 v1, v5, v1, vcc
	v_mov_b32_e32 v5, 0x3b800000
	v_lshlrev_b32_e32 v1, 20, v1
	v_and_b32_e32 v3, 0x80000000, v3
	v_lshl_add_u32 v4, v4, 23, v5
	v_or3_b32 v3, v3, v4, v1
.LBB293_87:
	s_or_b64 exec, exec, s[36:37]
	v_cmp_eq_f32_e64 s[34:35], v2, v3
.LBB293_88:
	s_waitcnt vmcnt(0)
	v_cndmask_b32_e64 v1, 0, 1, s[34:35]
	v_add_u32_e32 v7, 0x80, v7
	global_store_byte v0, v1, s[0:1]
	s_or_b64 exec, exec, s[30:31]
	v_cmp_gt_i32_e32 vcc, s42, v7
	s_and_saveexec_b64 s[30:31], vcc
	s_cbranch_execz .LBB293_4
.LBB293_89:
	s_andn2_b64 vcc, exec, s[14:15]
	s_cbranch_vccnz .LBB293_95
; %bb.90:
	s_andn2_b64 vcc, exec, s[28:29]
	s_cbranch_vccnz .LBB293_112
; %bb.91:
	s_add_i32 s34, s41, 1
	s_and_b32 s36, s34, 30
	s_add_u32 s34, s12, 0xffffffe8
	s_addc_u32 s35, s13, -1
	v_mov_b32_e32 v2, 0
	v_mov_b32_e32 v4, 0
	;; [unrolled: 1-line block ×4, first 2 shown]
.LBB293_92:                             ; =>This Inner Loop Header: Depth=1
	s_load_dwordx4 s[44:47], s[34:35], 0x1c
	s_load_dwordx2 s[38:39], s[34:35], 0x2c
	s_load_dwordx2 s[52:53], s[34:35], 0xec
	s_load_dwordx4 s[48:51], s[34:35], 0xdc
	s_add_u32 s34, s34, 24
	s_waitcnt lgkmcnt(0)
	v_mul_hi_u32 v3, s45, v1
	s_addc_u32 s35, s35, 0
	s_add_i32 s36, s36, -2
	s_cmp_eq_u32 s36, 0
	v_add_u32_e32 v3, v1, v3
	v_lshrrev_b32_e32 v3, s46, v3
	v_mul_lo_u32 v5, v3, s44
	v_mul_hi_u32 v6, s38, v3
	v_sub_u32_e32 v5, v1, v5
	v_add_u32_e32 v1, v3, v6
	v_lshrrev_b32_e32 v1, s39, v1
	v_mul_lo_u32 v9, v1, s47
	v_mul_lo_u32 v6, v5, s48
	;; [unrolled: 1-line block ×4, first 2 shown]
	v_sub_u32_e32 v3, v3, v9
	v_mul_lo_u32 v9, v3, s51
	v_mul_lo_u32 v10, v3, s52
	;; [unrolled: 1-line block ×3, first 2 shown]
	v_add3_u32 v0, v6, v0, v9
	v_add3_u32 v4, v8, v4, v10
	;; [unrolled: 1-line block ×3, first 2 shown]
	s_cbranch_scc0 .LBB293_92
; %bb.93:
	s_bitcmp1_b32 s41, 0
	s_cselect_b64 s[36:37], -1, 0
	s_and_b64 vcc, exec, s[36:37]
	s_cbranch_vccnz .LBB293_113
; %bb.94:
	s_load_dwordx2 s[36:37], s[34:35], 0x1c
	s_load_dword s43, s[34:35], 0x24
	s_load_dwordx2 s[38:39], s[34:35], 0xdc
	s_waitcnt lgkmcnt(0)
	v_mul_hi_u32 v3, s37, v1
	v_add_u32_e32 v3, v1, v3
	v_lshrrev_b32_e32 v3, s43, v3
	v_mul_lo_u32 v3, v3, s36
	s_load_dword s36, s[34:35], 0xe4
	v_sub_u32_e32 v3, v1, v3
	v_mad_u64_u32 v[0:1], s[34:35], v3, s38, v[0:1]
	v_mad_u64_u32 v[4:5], s[34:35], v3, s39, v[4:5]
	s_waitcnt lgkmcnt(0)
	v_mad_u64_u32 v[2:3], s[34:35], v3, s36, v[2:3]
	s_branch .LBB293_113
.LBB293_95:
                                        ; implicit-def: $vgpr0
                                        ; implicit-def: $vgpr4
                                        ; implicit-def: $vgpr2
	s_branch .LBB293_114
.LBB293_96:
	s_movk_i32 s34, 0x80
	v_cmp_eq_u16_sdwa s[44:45], v3, s34 src0_sel:BYTE_0 src1_sel:DWORD
	s_mov_b64 s[34:35], -1
	s_and_saveexec_b64 s[38:39], s[44:45]
; %bb.97:
	s_xor_b64 s[34:35], exec, -1
; %bb.98:
	s_or_b64 exec, exec, s[38:39]
	s_and_b64 s[34:35], s[34:35], exec
	s_or_saveexec_b64 s[36:37], s[36:37]
	v_mov_b32_e32 v2, 0x7f800001
	s_xor_b64 exec, exec, s[36:37]
	s_cbranch_execz .LBB293_71
.LBB293_99:
	v_mov_b32_e32 v2, 0
	v_cmp_ne_u16_sdwa s[38:39], v3, v2 src0_sel:BYTE_0 src1_sel:DWORD
	s_andn2_b64 s[34:35], s[34:35], exec
	s_and_b64 s[38:39], s[38:39], exec
	s_or_b64 s[34:35], s[34:35], s[38:39]
	s_or_b64 exec, exec, s[36:37]
	s_and_saveexec_b64 s[36:37], s[34:35]
	s_cbranch_execnz .LBB293_72
	s_branch .LBB293_73
.LBB293_100:
	s_movk_i32 s34, 0x80
	v_cmp_eq_u16_sdwa s[44:45], v1, s34 src0_sel:BYTE_0 src1_sel:DWORD
	s_mov_b64 s[34:35], -1
	s_and_saveexec_b64 s[38:39], s[44:45]
; %bb.101:
	s_xor_b64 s[34:35], exec, -1
; %bb.102:
	s_or_b64 exec, exec, s[38:39]
	s_and_b64 s[34:35], s[34:35], exec
	s_or_saveexec_b64 s[36:37], s[36:37]
	v_mov_b32_e32 v4, 0x7f800001
	s_xor_b64 exec, exec, s[36:37]
	s_cbranch_execz .LBB293_75
.LBB293_103:
	v_mov_b32_e32 v4, 0
	v_cmp_ne_u16_sdwa s[38:39], v1, v4 src0_sel:BYTE_0 src1_sel:DWORD
	s_andn2_b64 s[34:35], s[34:35], exec
	s_and_b64 s[38:39], s[38:39], exec
	s_or_b64 s[34:35], s[34:35], s[38:39]
	s_or_b64 exec, exec, s[36:37]
	s_and_saveexec_b64 s[36:37], s[34:35]
	s_cbranch_execnz .LBB293_76
	s_branch .LBB293_77
.LBB293_104:
	s_movk_i32 s34, 0x80
	v_cmp_eq_u16_sdwa s[44:45], v3, s34 src0_sel:BYTE_0 src1_sel:DWORD
	s_mov_b64 s[34:35], -1
	s_and_saveexec_b64 s[38:39], s[44:45]
; %bb.105:
	s_xor_b64 s[34:35], exec, -1
; %bb.106:
	s_or_b64 exec, exec, s[38:39]
	s_and_b64 s[34:35], s[34:35], exec
	s_or_saveexec_b64 s[36:37], s[36:37]
	v_mov_b32_e32 v2, 0x7f800001
	s_xor_b64 exec, exec, s[36:37]
	s_cbranch_execz .LBB293_81
.LBB293_107:
	v_mov_b32_e32 v2, 0
	v_cmp_ne_u16_sdwa s[38:39], v3, v2 src0_sel:BYTE_0 src1_sel:DWORD
	s_andn2_b64 s[34:35], s[34:35], exec
	s_and_b64 s[38:39], s[38:39], exec
	s_or_b64 s[34:35], s[34:35], s[38:39]
	s_or_b64 exec, exec, s[36:37]
	s_and_saveexec_b64 s[36:37], s[34:35]
	s_cbranch_execnz .LBB293_82
	s_branch .LBB293_83
.LBB293_108:
	s_movk_i32 s34, 0x80
	v_cmp_eq_u16_sdwa s[44:45], v1, s34 src0_sel:BYTE_0 src1_sel:DWORD
	s_mov_b64 s[34:35], -1
	s_and_saveexec_b64 s[38:39], s[44:45]
; %bb.109:
	s_xor_b64 s[34:35], exec, -1
; %bb.110:
	s_or_b64 exec, exec, s[38:39]
	s_and_b64 s[34:35], s[34:35], exec
	s_or_saveexec_b64 s[36:37], s[36:37]
	v_mov_b32_e32 v3, 0x7f800001
	s_xor_b64 exec, exec, s[36:37]
	s_cbranch_execz .LBB293_85
.LBB293_111:
	v_mov_b32_e32 v3, 0
	v_cmp_ne_u16_sdwa s[38:39], v1, v3 src0_sel:BYTE_0 src1_sel:DWORD
	s_andn2_b64 s[34:35], s[34:35], exec
	s_and_b64 s[38:39], s[38:39], exec
	s_or_b64 s[34:35], s[34:35], s[38:39]
	s_or_b64 exec, exec, s[36:37]
	s_and_saveexec_b64 s[36:37], s[34:35]
	s_cbranch_execnz .LBB293_86
	s_branch .LBB293_87
.LBB293_112:
	v_mov_b32_e32 v0, 0
	v_mov_b32_e32 v4, 0
	v_mov_b32_e32 v2, 0
.LBB293_113:
	s_cbranch_execnz .LBB293_116
.LBB293_114:
	v_mul_hi_u32 v0, s9, v7
	s_andn2_b64 vcc, exec, s[26:27]
	v_add_u32_e32 v0, v7, v0
	v_lshrrev_b32_e32 v1, s10, v0
	v_mul_lo_u32 v0, v1, s8
	v_sub_u32_e32 v2, v7, v0
	v_mul_lo_u32 v0, v2, s4
	v_mul_lo_u32 v4, v2, s5
	v_mul_lo_u32 v2, v2, s6
	s_cbranch_vccnz .LBB293_116
; %bb.115:
	v_mul_hi_u32 v3, s24, v1
	v_add_u32_e32 v3, v1, v3
	v_lshrrev_b32_e32 v3, s25, v3
	v_mul_lo_u32 v3, v3, s11
	v_sub_u32_e32 v3, v1, v3
	v_mad_u64_u32 v[0:1], s[34:35], v3, s7, v[0:1]
	v_mad_u64_u32 v[4:5], s[34:35], v3, s22, v[4:5]
	;; [unrolled: 1-line block ×3, first 2 shown]
.LBB293_116:
	global_load_ubyte v3, v4, s[2:3]
	global_load_ubyte v1, v2, s[20:21]
	s_andn2_b64 vcc, exec, s[18:19]
	s_cbranch_vccnz .LBB293_126
; %bb.117:
	s_movk_i32 s34, 0x7f
	s_waitcnt vmcnt(1)
	v_cmp_gt_i16_sdwa s[36:37], v3, s34 src0_sel:BYTE_0 src1_sel:DWORD
	s_mov_b64 s[34:35], 0
	s_and_saveexec_b64 s[38:39], s[36:37]
	s_xor_b64 s[36:37], exec, s[38:39]
	s_cbranch_execnz .LBB293_144
; %bb.118:
	s_or_saveexec_b64 s[36:37], s[36:37]
	v_mov_b32_e32 v2, 0x7f800001
	s_xor_b64 exec, exec, s[36:37]
	s_cbranch_execnz .LBB293_147
.LBB293_119:
	s_or_b64 exec, exec, s[36:37]
	s_and_saveexec_b64 s[36:37], s[34:35]
	s_cbranch_execz .LBB293_121
.LBB293_120:
	v_and_b32_e32 v5, 7, v3
	v_ffbh_u32_e32 v6, v5
	v_min_u32_e32 v6, 32, v6
	v_lshrrev_b16_e32 v4, 3, v3
	v_subrev_u32_e32 v8, 28, v6
	v_and_b32_e32 v4, 15, v4
	v_lshlrev_b32_e32 v8, v8, v3
	v_sub_u32_e32 v6, 29, v6
	v_and_b32_e32 v8, 7, v8
	v_cmp_eq_u32_e32 vcc, 0, v4
	v_lshlrev_b32_e32 v2, 24, v3
	v_cndmask_b32_e32 v4, v4, v6, vcc
	v_cndmask_b32_e32 v5, v5, v8, vcc
	v_mov_b32_e32 v6, 0x3b800000
	v_lshlrev_b32_e32 v5, 20, v5
	v_and_b32_e32 v2, 0x80000000, v2
	v_lshl_add_u32 v4, v4, 23, v6
	v_or3_b32 v2, v2, v4, v5
.LBB293_121:
	s_or_b64 exec, exec, s[36:37]
	s_movk_i32 s34, 0x7f
	s_waitcnt vmcnt(0)
	v_cmp_gt_i16_sdwa s[36:37], v1, s34 src0_sel:BYTE_0 src1_sel:DWORD
	s_mov_b64 s[34:35], 0
	s_and_saveexec_b64 s[38:39], s[36:37]
	s_xor_b64 s[36:37], exec, s[38:39]
	s_cbranch_execnz .LBB293_148
; %bb.122:
	s_or_saveexec_b64 s[36:37], s[36:37]
	v_mov_b32_e32 v4, 0x7f800001
	s_xor_b64 exec, exec, s[36:37]
	s_cbranch_execnz .LBB293_151
.LBB293_123:
	s_or_b64 exec, exec, s[36:37]
	s_and_saveexec_b64 s[36:37], s[34:35]
	s_cbranch_execz .LBB293_125
.LBB293_124:
	v_and_b32_e32 v6, 7, v1
	v_ffbh_u32_e32 v8, v6
	v_min_u32_e32 v8, 32, v8
	v_lshrrev_b16_e32 v5, 3, v1
	v_subrev_u32_e32 v9, 28, v8
	v_and_b32_e32 v5, 15, v5
	v_lshlrev_b32_e32 v9, v9, v1
	v_sub_u32_e32 v8, 29, v8
	v_and_b32_e32 v9, 7, v9
	v_cmp_eq_u32_e32 vcc, 0, v5
	v_lshlrev_b32_e32 v4, 24, v1
	v_cndmask_b32_e32 v5, v5, v8, vcc
	v_cndmask_b32_e32 v6, v6, v9, vcc
	v_mov_b32_e32 v8, 0x3b800000
	v_lshlrev_b32_e32 v6, 20, v6
	v_and_b32_e32 v4, 0x80000000, v4
	v_lshl_add_u32 v5, v5, 23, v8
	v_or3_b32 v4, v4, v5, v6
.LBB293_125:
	s_or_b64 exec, exec, s[36:37]
	v_cmp_neq_f32_e64 s[34:35], v2, v4
	s_branch .LBB293_136
.LBB293_126:
                                        ; implicit-def: $sgpr34_sgpr35
	s_cbranch_execz .LBB293_136
; %bb.127:
	s_movk_i32 s34, 0x7f
	s_waitcnt vmcnt(1)
	v_cmp_gt_i16_sdwa s[36:37], v3, s34 src0_sel:BYTE_0 src1_sel:DWORD
	s_mov_b64 s[34:35], 0
	s_and_saveexec_b64 s[38:39], s[36:37]
	s_xor_b64 s[36:37], exec, s[38:39]
	s_cbranch_execnz .LBB293_152
; %bb.128:
	s_or_saveexec_b64 s[36:37], s[36:37]
	v_mov_b32_e32 v2, 0x7f800001
	s_xor_b64 exec, exec, s[36:37]
	s_cbranch_execnz .LBB293_155
.LBB293_129:
	s_or_b64 exec, exec, s[36:37]
	s_and_saveexec_b64 s[36:37], s[34:35]
	s_cbranch_execz .LBB293_131
.LBB293_130:
	v_and_b32_e32 v5, 7, v3
	v_ffbh_u32_e32 v6, v5
	v_min_u32_e32 v6, 32, v6
	v_lshrrev_b16_e32 v4, 3, v3
	v_subrev_u32_e32 v8, 28, v6
	v_lshlrev_b32_e32 v2, 24, v3
	v_and_b32_e32 v4, 15, v4
	v_lshlrev_b32_e32 v3, v8, v3
	v_sub_u32_e32 v6, 29, v6
	v_and_b32_e32 v3, 7, v3
	v_cmp_eq_u32_e32 vcc, 0, v4
	v_cndmask_b32_e32 v4, v4, v6, vcc
	v_cndmask_b32_e32 v3, v5, v3, vcc
	v_mov_b32_e32 v5, 0x3b800000
	v_lshlrev_b32_e32 v3, 20, v3
	v_and_b32_e32 v2, 0x80000000, v2
	v_lshl_add_u32 v4, v4, 23, v5
	v_or3_b32 v2, v2, v4, v3
.LBB293_131:
	s_or_b64 exec, exec, s[36:37]
	s_movk_i32 s34, 0x7f
	s_waitcnt vmcnt(0)
	v_cmp_gt_i16_sdwa s[36:37], v1, s34 src0_sel:BYTE_0 src1_sel:DWORD
	s_mov_b64 s[34:35], 0
	s_and_saveexec_b64 s[38:39], s[36:37]
	s_xor_b64 s[36:37], exec, s[38:39]
	s_cbranch_execnz .LBB293_156
; %bb.132:
	s_or_saveexec_b64 s[36:37], s[36:37]
	v_mov_b32_e32 v3, 0x7f800001
	s_xor_b64 exec, exec, s[36:37]
	s_cbranch_execnz .LBB293_159
.LBB293_133:
	s_or_b64 exec, exec, s[36:37]
	s_and_saveexec_b64 s[36:37], s[34:35]
	s_cbranch_execz .LBB293_135
.LBB293_134:
	v_and_b32_e32 v5, 7, v1
	v_ffbh_u32_e32 v6, v5
	v_min_u32_e32 v6, 32, v6
	v_lshrrev_b16_e32 v4, 3, v1
	v_subrev_u32_e32 v8, 28, v6
	v_lshlrev_b32_e32 v3, 24, v1
	v_and_b32_e32 v4, 15, v4
	v_lshlrev_b32_e32 v1, v8, v1
	v_sub_u32_e32 v6, 29, v6
	v_and_b32_e32 v1, 7, v1
	v_cmp_eq_u32_e32 vcc, 0, v4
	v_cndmask_b32_e32 v4, v4, v6, vcc
	v_cndmask_b32_e32 v1, v5, v1, vcc
	v_mov_b32_e32 v5, 0x3b800000
	v_lshlrev_b32_e32 v1, 20, v1
	v_and_b32_e32 v3, 0x80000000, v3
	v_lshl_add_u32 v4, v4, 23, v5
	v_or3_b32 v3, v3, v4, v1
.LBB293_135:
	s_or_b64 exec, exec, s[36:37]
	v_cmp_eq_f32_e64 s[34:35], v2, v3
.LBB293_136:
	s_waitcnt vmcnt(0)
	v_cndmask_b32_e64 v1, 0, 1, s[34:35]
	v_add_u32_e32 v7, 0x80, v7
	global_store_byte v0, v1, s[0:1]
	s_or_b64 exec, exec, s[30:31]
	v_cmp_gt_i32_e32 vcc, s42, v7
	s_and_saveexec_b64 s[30:31], vcc
	s_cbranch_execz .LBB293_5
.LBB293_137:
	s_andn2_b64 vcc, exec, s[14:15]
	s_cbranch_vccnz .LBB293_143
; %bb.138:
	s_andn2_b64 vcc, exec, s[28:29]
	s_cbranch_vccnz .LBB293_160
; %bb.139:
	s_add_i32 s34, s41, 1
	s_and_b32 s36, s34, 30
	s_add_u32 s34, s12, 0xffffffe8
	s_addc_u32 s35, s13, -1
	v_mov_b32_e32 v2, 0
	v_mov_b32_e32 v4, 0
	;; [unrolled: 1-line block ×4, first 2 shown]
.LBB293_140:                            ; =>This Inner Loop Header: Depth=1
	s_load_dwordx4 s[44:47], s[34:35], 0x1c
	s_load_dwordx2 s[38:39], s[34:35], 0x2c
	s_load_dwordx2 s[52:53], s[34:35], 0xec
	s_load_dwordx4 s[48:51], s[34:35], 0xdc
	s_add_u32 s34, s34, 24
	s_waitcnt lgkmcnt(0)
	v_mul_hi_u32 v3, s45, v1
	s_addc_u32 s35, s35, 0
	s_add_i32 s36, s36, -2
	s_cmp_eq_u32 s36, 0
	v_add_u32_e32 v3, v1, v3
	v_lshrrev_b32_e32 v3, s46, v3
	v_mul_lo_u32 v5, v3, s44
	v_mul_hi_u32 v6, s38, v3
	v_sub_u32_e32 v5, v1, v5
	v_add_u32_e32 v1, v3, v6
	v_lshrrev_b32_e32 v1, s39, v1
	v_mul_lo_u32 v9, v1, s47
	v_mul_lo_u32 v6, v5, s48
	;; [unrolled: 1-line block ×4, first 2 shown]
	v_sub_u32_e32 v3, v3, v9
	v_mul_lo_u32 v9, v3, s51
	v_mul_lo_u32 v10, v3, s52
	;; [unrolled: 1-line block ×3, first 2 shown]
	v_add3_u32 v0, v6, v0, v9
	v_add3_u32 v4, v8, v4, v10
	;; [unrolled: 1-line block ×3, first 2 shown]
	s_cbranch_scc0 .LBB293_140
; %bb.141:
	s_bitcmp1_b32 s41, 0
	s_cselect_b64 s[36:37], -1, 0
	s_and_b64 vcc, exec, s[36:37]
	s_cbranch_vccnz .LBB293_161
; %bb.142:
	s_load_dwordx2 s[36:37], s[34:35], 0x1c
	s_load_dword s43, s[34:35], 0x24
	s_load_dwordx2 s[38:39], s[34:35], 0xdc
	s_waitcnt lgkmcnt(0)
	v_mul_hi_u32 v3, s37, v1
	v_add_u32_e32 v3, v1, v3
	v_lshrrev_b32_e32 v3, s43, v3
	v_mul_lo_u32 v3, v3, s36
	s_load_dword s36, s[34:35], 0xe4
	v_sub_u32_e32 v3, v1, v3
	v_mad_u64_u32 v[0:1], s[34:35], v3, s38, v[0:1]
	v_mad_u64_u32 v[4:5], s[34:35], v3, s39, v[4:5]
	s_waitcnt lgkmcnt(0)
	v_mad_u64_u32 v[2:3], s[34:35], v3, s36, v[2:3]
	s_branch .LBB293_161
.LBB293_143:
                                        ; implicit-def: $vgpr0
                                        ; implicit-def: $vgpr4
                                        ; implicit-def: $vgpr2
	s_branch .LBB293_162
.LBB293_144:
	s_movk_i32 s34, 0x80
	v_cmp_eq_u16_sdwa s[44:45], v3, s34 src0_sel:BYTE_0 src1_sel:DWORD
	s_mov_b64 s[34:35], -1
	s_and_saveexec_b64 s[38:39], s[44:45]
; %bb.145:
	s_xor_b64 s[34:35], exec, -1
; %bb.146:
	s_or_b64 exec, exec, s[38:39]
	s_and_b64 s[34:35], s[34:35], exec
	s_or_saveexec_b64 s[36:37], s[36:37]
	v_mov_b32_e32 v2, 0x7f800001
	s_xor_b64 exec, exec, s[36:37]
	s_cbranch_execz .LBB293_119
.LBB293_147:
	v_mov_b32_e32 v2, 0
	v_cmp_ne_u16_sdwa s[38:39], v3, v2 src0_sel:BYTE_0 src1_sel:DWORD
	s_andn2_b64 s[34:35], s[34:35], exec
	s_and_b64 s[38:39], s[38:39], exec
	s_or_b64 s[34:35], s[34:35], s[38:39]
	s_or_b64 exec, exec, s[36:37]
	s_and_saveexec_b64 s[36:37], s[34:35]
	s_cbranch_execnz .LBB293_120
	s_branch .LBB293_121
.LBB293_148:
	s_movk_i32 s34, 0x80
	v_cmp_eq_u16_sdwa s[44:45], v1, s34 src0_sel:BYTE_0 src1_sel:DWORD
	s_mov_b64 s[34:35], -1
	s_and_saveexec_b64 s[38:39], s[44:45]
; %bb.149:
	s_xor_b64 s[34:35], exec, -1
; %bb.150:
	s_or_b64 exec, exec, s[38:39]
	s_and_b64 s[34:35], s[34:35], exec
	s_or_saveexec_b64 s[36:37], s[36:37]
	v_mov_b32_e32 v4, 0x7f800001
	s_xor_b64 exec, exec, s[36:37]
	s_cbranch_execz .LBB293_123
.LBB293_151:
	v_mov_b32_e32 v4, 0
	v_cmp_ne_u16_sdwa s[38:39], v1, v4 src0_sel:BYTE_0 src1_sel:DWORD
	s_andn2_b64 s[34:35], s[34:35], exec
	s_and_b64 s[38:39], s[38:39], exec
	s_or_b64 s[34:35], s[34:35], s[38:39]
	s_or_b64 exec, exec, s[36:37]
	s_and_saveexec_b64 s[36:37], s[34:35]
	s_cbranch_execnz .LBB293_124
	s_branch .LBB293_125
.LBB293_152:
	s_movk_i32 s34, 0x80
	v_cmp_eq_u16_sdwa s[44:45], v3, s34 src0_sel:BYTE_0 src1_sel:DWORD
	s_mov_b64 s[34:35], -1
	s_and_saveexec_b64 s[38:39], s[44:45]
; %bb.153:
	s_xor_b64 s[34:35], exec, -1
; %bb.154:
	s_or_b64 exec, exec, s[38:39]
	s_and_b64 s[34:35], s[34:35], exec
	s_or_saveexec_b64 s[36:37], s[36:37]
	v_mov_b32_e32 v2, 0x7f800001
	s_xor_b64 exec, exec, s[36:37]
	s_cbranch_execz .LBB293_129
.LBB293_155:
	v_mov_b32_e32 v2, 0
	v_cmp_ne_u16_sdwa s[38:39], v3, v2 src0_sel:BYTE_0 src1_sel:DWORD
	s_andn2_b64 s[34:35], s[34:35], exec
	s_and_b64 s[38:39], s[38:39], exec
	s_or_b64 s[34:35], s[34:35], s[38:39]
	s_or_b64 exec, exec, s[36:37]
	s_and_saveexec_b64 s[36:37], s[34:35]
	s_cbranch_execnz .LBB293_130
	s_branch .LBB293_131
.LBB293_156:
	s_movk_i32 s34, 0x80
	v_cmp_eq_u16_sdwa s[44:45], v1, s34 src0_sel:BYTE_0 src1_sel:DWORD
	s_mov_b64 s[34:35], -1
	s_and_saveexec_b64 s[38:39], s[44:45]
; %bb.157:
	s_xor_b64 s[34:35], exec, -1
; %bb.158:
	s_or_b64 exec, exec, s[38:39]
	s_and_b64 s[34:35], s[34:35], exec
	s_or_saveexec_b64 s[36:37], s[36:37]
	v_mov_b32_e32 v3, 0x7f800001
	s_xor_b64 exec, exec, s[36:37]
	s_cbranch_execz .LBB293_133
.LBB293_159:
	v_mov_b32_e32 v3, 0
	v_cmp_ne_u16_sdwa s[38:39], v1, v3 src0_sel:BYTE_0 src1_sel:DWORD
	s_andn2_b64 s[34:35], s[34:35], exec
	s_and_b64 s[38:39], s[38:39], exec
	s_or_b64 s[34:35], s[34:35], s[38:39]
	s_or_b64 exec, exec, s[36:37]
	s_and_saveexec_b64 s[36:37], s[34:35]
	s_cbranch_execnz .LBB293_134
	s_branch .LBB293_135
.LBB293_160:
	v_mov_b32_e32 v0, 0
	v_mov_b32_e32 v4, 0
	;; [unrolled: 1-line block ×3, first 2 shown]
.LBB293_161:
	s_cbranch_execnz .LBB293_164
.LBB293_162:
	v_mul_hi_u32 v0, s9, v7
	s_andn2_b64 vcc, exec, s[26:27]
	v_add_u32_e32 v0, v7, v0
	v_lshrrev_b32_e32 v1, s10, v0
	v_mul_lo_u32 v0, v1, s8
	v_sub_u32_e32 v2, v7, v0
	v_mul_lo_u32 v0, v2, s4
	v_mul_lo_u32 v4, v2, s5
	;; [unrolled: 1-line block ×3, first 2 shown]
	s_cbranch_vccnz .LBB293_164
; %bb.163:
	v_mul_hi_u32 v3, s24, v1
	v_add_u32_e32 v3, v1, v3
	v_lshrrev_b32_e32 v3, s25, v3
	v_mul_lo_u32 v3, v3, s11
	v_sub_u32_e32 v3, v1, v3
	v_mad_u64_u32 v[0:1], s[34:35], v3, s7, v[0:1]
	v_mad_u64_u32 v[4:5], s[34:35], v3, s22, v[4:5]
	;; [unrolled: 1-line block ×3, first 2 shown]
.LBB293_164:
	global_load_ubyte v3, v4, s[2:3]
	global_load_ubyte v1, v2, s[20:21]
	s_andn2_b64 vcc, exec, s[18:19]
	s_cbranch_vccnz .LBB293_174
; %bb.165:
	s_movk_i32 s34, 0x7f
	s_waitcnt vmcnt(1)
	v_cmp_gt_i16_sdwa s[36:37], v3, s34 src0_sel:BYTE_0 src1_sel:DWORD
	s_mov_b64 s[34:35], 0
	s_and_saveexec_b64 s[38:39], s[36:37]
	s_xor_b64 s[36:37], exec, s[38:39]
	s_cbranch_execnz .LBB293_192
; %bb.166:
	s_or_saveexec_b64 s[36:37], s[36:37]
	v_mov_b32_e32 v2, 0x7f800001
	s_xor_b64 exec, exec, s[36:37]
	s_cbranch_execnz .LBB293_195
.LBB293_167:
	s_or_b64 exec, exec, s[36:37]
	s_and_saveexec_b64 s[36:37], s[34:35]
	s_cbranch_execz .LBB293_169
.LBB293_168:
	v_and_b32_e32 v5, 7, v3
	v_ffbh_u32_e32 v6, v5
	v_min_u32_e32 v6, 32, v6
	v_lshrrev_b16_e32 v4, 3, v3
	v_subrev_u32_e32 v8, 28, v6
	v_and_b32_e32 v4, 15, v4
	v_lshlrev_b32_e32 v8, v8, v3
	v_sub_u32_e32 v6, 29, v6
	v_and_b32_e32 v8, 7, v8
	v_cmp_eq_u32_e32 vcc, 0, v4
	v_lshlrev_b32_e32 v2, 24, v3
	v_cndmask_b32_e32 v4, v4, v6, vcc
	v_cndmask_b32_e32 v5, v5, v8, vcc
	v_mov_b32_e32 v6, 0x3b800000
	v_lshlrev_b32_e32 v5, 20, v5
	v_and_b32_e32 v2, 0x80000000, v2
	v_lshl_add_u32 v4, v4, 23, v6
	v_or3_b32 v2, v2, v4, v5
.LBB293_169:
	s_or_b64 exec, exec, s[36:37]
	s_movk_i32 s34, 0x7f
	s_waitcnt vmcnt(0)
	v_cmp_gt_i16_sdwa s[36:37], v1, s34 src0_sel:BYTE_0 src1_sel:DWORD
	s_mov_b64 s[34:35], 0
	s_and_saveexec_b64 s[38:39], s[36:37]
	s_xor_b64 s[36:37], exec, s[38:39]
	s_cbranch_execnz .LBB293_196
; %bb.170:
	s_or_saveexec_b64 s[36:37], s[36:37]
	v_mov_b32_e32 v4, 0x7f800001
	s_xor_b64 exec, exec, s[36:37]
	s_cbranch_execnz .LBB293_199
.LBB293_171:
	s_or_b64 exec, exec, s[36:37]
	s_and_saveexec_b64 s[36:37], s[34:35]
	s_cbranch_execz .LBB293_173
.LBB293_172:
	v_and_b32_e32 v6, 7, v1
	v_ffbh_u32_e32 v8, v6
	v_min_u32_e32 v8, 32, v8
	v_lshrrev_b16_e32 v5, 3, v1
	v_subrev_u32_e32 v9, 28, v8
	v_and_b32_e32 v5, 15, v5
	v_lshlrev_b32_e32 v9, v9, v1
	v_sub_u32_e32 v8, 29, v8
	v_and_b32_e32 v9, 7, v9
	v_cmp_eq_u32_e32 vcc, 0, v5
	v_lshlrev_b32_e32 v4, 24, v1
	v_cndmask_b32_e32 v5, v5, v8, vcc
	v_cndmask_b32_e32 v6, v6, v9, vcc
	v_mov_b32_e32 v8, 0x3b800000
	v_lshlrev_b32_e32 v6, 20, v6
	v_and_b32_e32 v4, 0x80000000, v4
	v_lshl_add_u32 v5, v5, 23, v8
	v_or3_b32 v4, v4, v5, v6
.LBB293_173:
	s_or_b64 exec, exec, s[36:37]
	v_cmp_neq_f32_e64 s[34:35], v2, v4
	s_branch .LBB293_184
.LBB293_174:
                                        ; implicit-def: $sgpr34_sgpr35
	s_cbranch_execz .LBB293_184
; %bb.175:
	s_movk_i32 s34, 0x7f
	s_waitcnt vmcnt(1)
	v_cmp_gt_i16_sdwa s[36:37], v3, s34 src0_sel:BYTE_0 src1_sel:DWORD
	s_mov_b64 s[34:35], 0
	s_and_saveexec_b64 s[38:39], s[36:37]
	s_xor_b64 s[36:37], exec, s[38:39]
	s_cbranch_execnz .LBB293_200
; %bb.176:
	s_or_saveexec_b64 s[36:37], s[36:37]
	v_mov_b32_e32 v2, 0x7f800001
	s_xor_b64 exec, exec, s[36:37]
	s_cbranch_execnz .LBB293_203
.LBB293_177:
	s_or_b64 exec, exec, s[36:37]
	s_and_saveexec_b64 s[36:37], s[34:35]
	s_cbranch_execz .LBB293_179
.LBB293_178:
	v_and_b32_e32 v5, 7, v3
	v_ffbh_u32_e32 v6, v5
	v_min_u32_e32 v6, 32, v6
	v_lshrrev_b16_e32 v4, 3, v3
	v_subrev_u32_e32 v8, 28, v6
	v_lshlrev_b32_e32 v2, 24, v3
	v_and_b32_e32 v4, 15, v4
	v_lshlrev_b32_e32 v3, v8, v3
	v_sub_u32_e32 v6, 29, v6
	v_and_b32_e32 v3, 7, v3
	v_cmp_eq_u32_e32 vcc, 0, v4
	v_cndmask_b32_e32 v4, v4, v6, vcc
	v_cndmask_b32_e32 v3, v5, v3, vcc
	v_mov_b32_e32 v5, 0x3b800000
	v_lshlrev_b32_e32 v3, 20, v3
	v_and_b32_e32 v2, 0x80000000, v2
	v_lshl_add_u32 v4, v4, 23, v5
	v_or3_b32 v2, v2, v4, v3
.LBB293_179:
	s_or_b64 exec, exec, s[36:37]
	s_movk_i32 s34, 0x7f
	s_waitcnt vmcnt(0)
	v_cmp_gt_i16_sdwa s[36:37], v1, s34 src0_sel:BYTE_0 src1_sel:DWORD
	s_mov_b64 s[34:35], 0
	s_and_saveexec_b64 s[38:39], s[36:37]
	s_xor_b64 s[36:37], exec, s[38:39]
	s_cbranch_execnz .LBB293_204
; %bb.180:
	s_or_saveexec_b64 s[36:37], s[36:37]
	v_mov_b32_e32 v3, 0x7f800001
	s_xor_b64 exec, exec, s[36:37]
	s_cbranch_execnz .LBB293_207
.LBB293_181:
	s_or_b64 exec, exec, s[36:37]
	s_and_saveexec_b64 s[36:37], s[34:35]
	s_cbranch_execz .LBB293_183
.LBB293_182:
	v_and_b32_e32 v5, 7, v1
	v_ffbh_u32_e32 v6, v5
	v_min_u32_e32 v6, 32, v6
	v_lshrrev_b16_e32 v4, 3, v1
	v_subrev_u32_e32 v8, 28, v6
	v_lshlrev_b32_e32 v3, 24, v1
	v_and_b32_e32 v4, 15, v4
	v_lshlrev_b32_e32 v1, v8, v1
	v_sub_u32_e32 v6, 29, v6
	v_and_b32_e32 v1, 7, v1
	v_cmp_eq_u32_e32 vcc, 0, v4
	v_cndmask_b32_e32 v4, v4, v6, vcc
	v_cndmask_b32_e32 v1, v5, v1, vcc
	v_mov_b32_e32 v5, 0x3b800000
	v_lshlrev_b32_e32 v1, 20, v1
	v_and_b32_e32 v3, 0x80000000, v3
	v_lshl_add_u32 v4, v4, 23, v5
	v_or3_b32 v3, v3, v4, v1
.LBB293_183:
	s_or_b64 exec, exec, s[36:37]
	v_cmp_eq_f32_e64 s[34:35], v2, v3
.LBB293_184:
	s_waitcnt vmcnt(0)
	v_cndmask_b32_e64 v1, 0, 1, s[34:35]
	v_add_u32_e32 v7, 0x80, v7
	global_store_byte v0, v1, s[0:1]
	s_or_b64 exec, exec, s[30:31]
	v_cmp_gt_i32_e32 vcc, s42, v7
	s_and_saveexec_b64 s[30:31], vcc
	s_cbranch_execz .LBB293_6
.LBB293_185:
	s_andn2_b64 vcc, exec, s[14:15]
	s_cbranch_vccnz .LBB293_191
; %bb.186:
	s_andn2_b64 vcc, exec, s[28:29]
	s_cbranch_vccnz .LBB293_208
; %bb.187:
	s_add_i32 s34, s41, 1
	s_and_b32 s36, s34, 30
	s_add_u32 s34, s12, 0xffffffe8
	s_addc_u32 s35, s13, -1
	v_mov_b32_e32 v2, 0
	v_mov_b32_e32 v4, 0
	;; [unrolled: 1-line block ×4, first 2 shown]
.LBB293_188:                            ; =>This Inner Loop Header: Depth=1
	s_load_dwordx4 s[44:47], s[34:35], 0x1c
	s_load_dwordx2 s[38:39], s[34:35], 0x2c
	s_load_dwordx2 s[52:53], s[34:35], 0xec
	s_load_dwordx4 s[48:51], s[34:35], 0xdc
	s_add_u32 s34, s34, 24
	s_waitcnt lgkmcnt(0)
	v_mul_hi_u32 v3, s45, v1
	s_addc_u32 s35, s35, 0
	s_add_i32 s36, s36, -2
	s_cmp_eq_u32 s36, 0
	v_add_u32_e32 v3, v1, v3
	v_lshrrev_b32_e32 v3, s46, v3
	v_mul_lo_u32 v5, v3, s44
	v_mul_hi_u32 v6, s38, v3
	v_sub_u32_e32 v5, v1, v5
	v_add_u32_e32 v1, v3, v6
	v_lshrrev_b32_e32 v1, s39, v1
	v_mul_lo_u32 v9, v1, s47
	v_mul_lo_u32 v6, v5, s48
	v_mul_lo_u32 v8, v5, s49
	v_mul_lo_u32 v5, v5, s50
	v_sub_u32_e32 v3, v3, v9
	v_mul_lo_u32 v9, v3, s51
	v_mul_lo_u32 v10, v3, s52
	;; [unrolled: 1-line block ×3, first 2 shown]
	v_add3_u32 v0, v6, v0, v9
	v_add3_u32 v4, v8, v4, v10
	;; [unrolled: 1-line block ×3, first 2 shown]
	s_cbranch_scc0 .LBB293_188
; %bb.189:
	s_bitcmp1_b32 s41, 0
	s_cselect_b64 s[36:37], -1, 0
	s_and_b64 vcc, exec, s[36:37]
	s_cbranch_vccnz .LBB293_209
; %bb.190:
	s_load_dwordx2 s[36:37], s[34:35], 0x1c
	s_load_dword s43, s[34:35], 0x24
	s_load_dwordx2 s[38:39], s[34:35], 0xdc
	s_waitcnt lgkmcnt(0)
	v_mul_hi_u32 v3, s37, v1
	v_add_u32_e32 v3, v1, v3
	v_lshrrev_b32_e32 v3, s43, v3
	v_mul_lo_u32 v3, v3, s36
	s_load_dword s36, s[34:35], 0xe4
	v_sub_u32_e32 v3, v1, v3
	v_mad_u64_u32 v[0:1], s[34:35], v3, s38, v[0:1]
	v_mad_u64_u32 v[4:5], s[34:35], v3, s39, v[4:5]
	s_waitcnt lgkmcnt(0)
	v_mad_u64_u32 v[2:3], s[34:35], v3, s36, v[2:3]
	s_branch .LBB293_209
.LBB293_191:
                                        ; implicit-def: $vgpr0
                                        ; implicit-def: $vgpr4
                                        ; implicit-def: $vgpr2
	s_branch .LBB293_210
.LBB293_192:
	s_movk_i32 s34, 0x80
	v_cmp_eq_u16_sdwa s[44:45], v3, s34 src0_sel:BYTE_0 src1_sel:DWORD
	s_mov_b64 s[34:35], -1
	s_and_saveexec_b64 s[38:39], s[44:45]
; %bb.193:
	s_xor_b64 s[34:35], exec, -1
; %bb.194:
	s_or_b64 exec, exec, s[38:39]
	s_and_b64 s[34:35], s[34:35], exec
	s_or_saveexec_b64 s[36:37], s[36:37]
	v_mov_b32_e32 v2, 0x7f800001
	s_xor_b64 exec, exec, s[36:37]
	s_cbranch_execz .LBB293_167
.LBB293_195:
	v_mov_b32_e32 v2, 0
	v_cmp_ne_u16_sdwa s[38:39], v3, v2 src0_sel:BYTE_0 src1_sel:DWORD
	s_andn2_b64 s[34:35], s[34:35], exec
	s_and_b64 s[38:39], s[38:39], exec
	s_or_b64 s[34:35], s[34:35], s[38:39]
	s_or_b64 exec, exec, s[36:37]
	s_and_saveexec_b64 s[36:37], s[34:35]
	s_cbranch_execnz .LBB293_168
	s_branch .LBB293_169
.LBB293_196:
	s_movk_i32 s34, 0x80
	v_cmp_eq_u16_sdwa s[44:45], v1, s34 src0_sel:BYTE_0 src1_sel:DWORD
	s_mov_b64 s[34:35], -1
	s_and_saveexec_b64 s[38:39], s[44:45]
; %bb.197:
	s_xor_b64 s[34:35], exec, -1
; %bb.198:
	s_or_b64 exec, exec, s[38:39]
	s_and_b64 s[34:35], s[34:35], exec
	s_or_saveexec_b64 s[36:37], s[36:37]
	v_mov_b32_e32 v4, 0x7f800001
	s_xor_b64 exec, exec, s[36:37]
	s_cbranch_execz .LBB293_171
.LBB293_199:
	v_mov_b32_e32 v4, 0
	v_cmp_ne_u16_sdwa s[38:39], v1, v4 src0_sel:BYTE_0 src1_sel:DWORD
	s_andn2_b64 s[34:35], s[34:35], exec
	s_and_b64 s[38:39], s[38:39], exec
	s_or_b64 s[34:35], s[34:35], s[38:39]
	s_or_b64 exec, exec, s[36:37]
	s_and_saveexec_b64 s[36:37], s[34:35]
	s_cbranch_execnz .LBB293_172
	s_branch .LBB293_173
.LBB293_200:
	s_movk_i32 s34, 0x80
	v_cmp_eq_u16_sdwa s[44:45], v3, s34 src0_sel:BYTE_0 src1_sel:DWORD
	s_mov_b64 s[34:35], -1
	s_and_saveexec_b64 s[38:39], s[44:45]
; %bb.201:
	s_xor_b64 s[34:35], exec, -1
; %bb.202:
	s_or_b64 exec, exec, s[38:39]
	s_and_b64 s[34:35], s[34:35], exec
	s_or_saveexec_b64 s[36:37], s[36:37]
	v_mov_b32_e32 v2, 0x7f800001
	s_xor_b64 exec, exec, s[36:37]
	s_cbranch_execz .LBB293_177
.LBB293_203:
	v_mov_b32_e32 v2, 0
	v_cmp_ne_u16_sdwa s[38:39], v3, v2 src0_sel:BYTE_0 src1_sel:DWORD
	s_andn2_b64 s[34:35], s[34:35], exec
	s_and_b64 s[38:39], s[38:39], exec
	s_or_b64 s[34:35], s[34:35], s[38:39]
	s_or_b64 exec, exec, s[36:37]
	s_and_saveexec_b64 s[36:37], s[34:35]
	s_cbranch_execnz .LBB293_178
	s_branch .LBB293_179
.LBB293_204:
	s_movk_i32 s34, 0x80
	v_cmp_eq_u16_sdwa s[44:45], v1, s34 src0_sel:BYTE_0 src1_sel:DWORD
	s_mov_b64 s[34:35], -1
	s_and_saveexec_b64 s[38:39], s[44:45]
; %bb.205:
	s_xor_b64 s[34:35], exec, -1
; %bb.206:
	s_or_b64 exec, exec, s[38:39]
	s_and_b64 s[34:35], s[34:35], exec
	s_or_saveexec_b64 s[36:37], s[36:37]
	v_mov_b32_e32 v3, 0x7f800001
	s_xor_b64 exec, exec, s[36:37]
	s_cbranch_execz .LBB293_181
.LBB293_207:
	v_mov_b32_e32 v3, 0
	v_cmp_ne_u16_sdwa s[38:39], v1, v3 src0_sel:BYTE_0 src1_sel:DWORD
	s_andn2_b64 s[34:35], s[34:35], exec
	s_and_b64 s[38:39], s[38:39], exec
	s_or_b64 s[34:35], s[34:35], s[38:39]
	s_or_b64 exec, exec, s[36:37]
	s_and_saveexec_b64 s[36:37], s[34:35]
	s_cbranch_execnz .LBB293_182
	s_branch .LBB293_183
.LBB293_208:
	v_mov_b32_e32 v0, 0
	v_mov_b32_e32 v4, 0
	;; [unrolled: 1-line block ×3, first 2 shown]
.LBB293_209:
	s_cbranch_execnz .LBB293_212
.LBB293_210:
	v_mul_hi_u32 v0, s9, v7
	s_andn2_b64 vcc, exec, s[26:27]
	v_add_u32_e32 v0, v7, v0
	v_lshrrev_b32_e32 v1, s10, v0
	v_mul_lo_u32 v0, v1, s8
	v_sub_u32_e32 v2, v7, v0
	v_mul_lo_u32 v0, v2, s4
	v_mul_lo_u32 v4, v2, s5
	;; [unrolled: 1-line block ×3, first 2 shown]
	s_cbranch_vccnz .LBB293_212
; %bb.211:
	v_mul_hi_u32 v3, s24, v1
	v_add_u32_e32 v3, v1, v3
	v_lshrrev_b32_e32 v3, s25, v3
	v_mul_lo_u32 v3, v3, s11
	v_sub_u32_e32 v3, v1, v3
	v_mad_u64_u32 v[0:1], s[34:35], v3, s7, v[0:1]
	v_mad_u64_u32 v[4:5], s[34:35], v3, s22, v[4:5]
	;; [unrolled: 1-line block ×3, first 2 shown]
.LBB293_212:
	global_load_ubyte v3, v4, s[2:3]
	global_load_ubyte v1, v2, s[20:21]
	s_andn2_b64 vcc, exec, s[18:19]
	s_cbranch_vccnz .LBB293_222
; %bb.213:
	s_movk_i32 s34, 0x7f
	s_waitcnt vmcnt(1)
	v_cmp_gt_i16_sdwa s[36:37], v3, s34 src0_sel:BYTE_0 src1_sel:DWORD
	s_mov_b64 s[34:35], 0
	s_and_saveexec_b64 s[38:39], s[36:37]
	s_xor_b64 s[36:37], exec, s[38:39]
	s_cbranch_execnz .LBB293_240
; %bb.214:
	s_or_saveexec_b64 s[36:37], s[36:37]
	v_mov_b32_e32 v2, 0x7f800001
	s_xor_b64 exec, exec, s[36:37]
	s_cbranch_execnz .LBB293_243
.LBB293_215:
	s_or_b64 exec, exec, s[36:37]
	s_and_saveexec_b64 s[36:37], s[34:35]
	s_cbranch_execz .LBB293_217
.LBB293_216:
	v_and_b32_e32 v5, 7, v3
	v_ffbh_u32_e32 v6, v5
	v_min_u32_e32 v6, 32, v6
	v_lshrrev_b16_e32 v4, 3, v3
	v_subrev_u32_e32 v8, 28, v6
	v_and_b32_e32 v4, 15, v4
	v_lshlrev_b32_e32 v8, v8, v3
	v_sub_u32_e32 v6, 29, v6
	v_and_b32_e32 v8, 7, v8
	v_cmp_eq_u32_e32 vcc, 0, v4
	v_lshlrev_b32_e32 v2, 24, v3
	v_cndmask_b32_e32 v4, v4, v6, vcc
	v_cndmask_b32_e32 v5, v5, v8, vcc
	v_mov_b32_e32 v6, 0x3b800000
	v_lshlrev_b32_e32 v5, 20, v5
	v_and_b32_e32 v2, 0x80000000, v2
	v_lshl_add_u32 v4, v4, 23, v6
	v_or3_b32 v2, v2, v4, v5
.LBB293_217:
	s_or_b64 exec, exec, s[36:37]
	s_movk_i32 s34, 0x7f
	s_waitcnt vmcnt(0)
	v_cmp_gt_i16_sdwa s[36:37], v1, s34 src0_sel:BYTE_0 src1_sel:DWORD
	s_mov_b64 s[34:35], 0
	s_and_saveexec_b64 s[38:39], s[36:37]
	s_xor_b64 s[36:37], exec, s[38:39]
	s_cbranch_execnz .LBB293_244
; %bb.218:
	s_or_saveexec_b64 s[36:37], s[36:37]
	v_mov_b32_e32 v4, 0x7f800001
	s_xor_b64 exec, exec, s[36:37]
	s_cbranch_execnz .LBB293_247
.LBB293_219:
	s_or_b64 exec, exec, s[36:37]
	s_and_saveexec_b64 s[36:37], s[34:35]
	s_cbranch_execz .LBB293_221
.LBB293_220:
	v_and_b32_e32 v6, 7, v1
	v_ffbh_u32_e32 v8, v6
	v_min_u32_e32 v8, 32, v8
	v_lshrrev_b16_e32 v5, 3, v1
	v_subrev_u32_e32 v9, 28, v8
	v_and_b32_e32 v5, 15, v5
	v_lshlrev_b32_e32 v9, v9, v1
	v_sub_u32_e32 v8, 29, v8
	v_and_b32_e32 v9, 7, v9
	v_cmp_eq_u32_e32 vcc, 0, v5
	v_lshlrev_b32_e32 v4, 24, v1
	v_cndmask_b32_e32 v5, v5, v8, vcc
	v_cndmask_b32_e32 v6, v6, v9, vcc
	v_mov_b32_e32 v8, 0x3b800000
	v_lshlrev_b32_e32 v6, 20, v6
	v_and_b32_e32 v4, 0x80000000, v4
	v_lshl_add_u32 v5, v5, 23, v8
	v_or3_b32 v4, v4, v5, v6
.LBB293_221:
	s_or_b64 exec, exec, s[36:37]
	v_cmp_neq_f32_e64 s[34:35], v2, v4
	s_branch .LBB293_232
.LBB293_222:
                                        ; implicit-def: $sgpr34_sgpr35
	s_cbranch_execz .LBB293_232
; %bb.223:
	s_movk_i32 s34, 0x7f
	s_waitcnt vmcnt(1)
	v_cmp_gt_i16_sdwa s[36:37], v3, s34 src0_sel:BYTE_0 src1_sel:DWORD
	s_mov_b64 s[34:35], 0
	s_and_saveexec_b64 s[38:39], s[36:37]
	s_xor_b64 s[36:37], exec, s[38:39]
	s_cbranch_execnz .LBB293_248
; %bb.224:
	s_or_saveexec_b64 s[36:37], s[36:37]
	v_mov_b32_e32 v2, 0x7f800001
	s_xor_b64 exec, exec, s[36:37]
	s_cbranch_execnz .LBB293_251
.LBB293_225:
	s_or_b64 exec, exec, s[36:37]
	s_and_saveexec_b64 s[36:37], s[34:35]
	s_cbranch_execz .LBB293_227
.LBB293_226:
	v_and_b32_e32 v5, 7, v3
	v_ffbh_u32_e32 v6, v5
	v_min_u32_e32 v6, 32, v6
	v_lshrrev_b16_e32 v4, 3, v3
	v_subrev_u32_e32 v8, 28, v6
	v_lshlrev_b32_e32 v2, 24, v3
	v_and_b32_e32 v4, 15, v4
	v_lshlrev_b32_e32 v3, v8, v3
	v_sub_u32_e32 v6, 29, v6
	v_and_b32_e32 v3, 7, v3
	v_cmp_eq_u32_e32 vcc, 0, v4
	v_cndmask_b32_e32 v4, v4, v6, vcc
	v_cndmask_b32_e32 v3, v5, v3, vcc
	v_mov_b32_e32 v5, 0x3b800000
	v_lshlrev_b32_e32 v3, 20, v3
	v_and_b32_e32 v2, 0x80000000, v2
	v_lshl_add_u32 v4, v4, 23, v5
	v_or3_b32 v2, v2, v4, v3
.LBB293_227:
	s_or_b64 exec, exec, s[36:37]
	s_movk_i32 s34, 0x7f
	s_waitcnt vmcnt(0)
	v_cmp_gt_i16_sdwa s[36:37], v1, s34 src0_sel:BYTE_0 src1_sel:DWORD
	s_mov_b64 s[34:35], 0
	s_and_saveexec_b64 s[38:39], s[36:37]
	s_xor_b64 s[36:37], exec, s[38:39]
	s_cbranch_execnz .LBB293_252
; %bb.228:
	s_or_saveexec_b64 s[36:37], s[36:37]
	v_mov_b32_e32 v3, 0x7f800001
	s_xor_b64 exec, exec, s[36:37]
	s_cbranch_execnz .LBB293_255
.LBB293_229:
	s_or_b64 exec, exec, s[36:37]
	s_and_saveexec_b64 s[36:37], s[34:35]
	s_cbranch_execz .LBB293_231
.LBB293_230:
	v_and_b32_e32 v5, 7, v1
	v_ffbh_u32_e32 v6, v5
	v_min_u32_e32 v6, 32, v6
	v_lshrrev_b16_e32 v4, 3, v1
	v_subrev_u32_e32 v8, 28, v6
	v_lshlrev_b32_e32 v3, 24, v1
	v_and_b32_e32 v4, 15, v4
	v_lshlrev_b32_e32 v1, v8, v1
	v_sub_u32_e32 v6, 29, v6
	v_and_b32_e32 v1, 7, v1
	v_cmp_eq_u32_e32 vcc, 0, v4
	v_cndmask_b32_e32 v4, v4, v6, vcc
	v_cndmask_b32_e32 v1, v5, v1, vcc
	v_mov_b32_e32 v5, 0x3b800000
	v_lshlrev_b32_e32 v1, 20, v1
	v_and_b32_e32 v3, 0x80000000, v3
	v_lshl_add_u32 v4, v4, 23, v5
	v_or3_b32 v3, v3, v4, v1
.LBB293_231:
	s_or_b64 exec, exec, s[36:37]
	v_cmp_eq_f32_e64 s[34:35], v2, v3
.LBB293_232:
	s_waitcnt vmcnt(0)
	v_cndmask_b32_e64 v1, 0, 1, s[34:35]
	v_add_u32_e32 v7, 0x80, v7
	global_store_byte v0, v1, s[0:1]
	s_or_b64 exec, exec, s[30:31]
	v_cmp_gt_i32_e32 vcc, s42, v7
	s_and_saveexec_b64 s[30:31], vcc
	s_cbranch_execz .LBB293_7
.LBB293_233:
	s_andn2_b64 vcc, exec, s[14:15]
	s_cbranch_vccnz .LBB293_239
; %bb.234:
	s_andn2_b64 vcc, exec, s[28:29]
	s_cbranch_vccnz .LBB293_256
; %bb.235:
	s_add_i32 s34, s41, 1
	s_and_b32 s36, s34, 30
	s_add_u32 s34, s12, 0xffffffe8
	s_addc_u32 s35, s13, -1
	v_mov_b32_e32 v2, 0
	v_mov_b32_e32 v4, 0
	;; [unrolled: 1-line block ×4, first 2 shown]
.LBB293_236:                            ; =>This Inner Loop Header: Depth=1
	s_load_dwordx4 s[44:47], s[34:35], 0x1c
	s_load_dwordx2 s[38:39], s[34:35], 0x2c
	s_load_dwordx2 s[52:53], s[34:35], 0xec
	s_load_dwordx4 s[48:51], s[34:35], 0xdc
	s_add_u32 s34, s34, 24
	s_waitcnt lgkmcnt(0)
	v_mul_hi_u32 v3, s45, v1
	s_addc_u32 s35, s35, 0
	s_add_i32 s36, s36, -2
	s_cmp_eq_u32 s36, 0
	v_add_u32_e32 v3, v1, v3
	v_lshrrev_b32_e32 v3, s46, v3
	v_mul_lo_u32 v5, v3, s44
	v_mul_hi_u32 v6, s38, v3
	v_sub_u32_e32 v5, v1, v5
	v_add_u32_e32 v1, v3, v6
	v_lshrrev_b32_e32 v1, s39, v1
	v_mul_lo_u32 v9, v1, s47
	v_mul_lo_u32 v6, v5, s48
	;; [unrolled: 1-line block ×4, first 2 shown]
	v_sub_u32_e32 v3, v3, v9
	v_mul_lo_u32 v9, v3, s51
	v_mul_lo_u32 v10, v3, s52
	;; [unrolled: 1-line block ×3, first 2 shown]
	v_add3_u32 v0, v6, v0, v9
	v_add3_u32 v4, v8, v4, v10
	;; [unrolled: 1-line block ×3, first 2 shown]
	s_cbranch_scc0 .LBB293_236
; %bb.237:
	s_bitcmp1_b32 s41, 0
	s_cselect_b64 s[36:37], -1, 0
	s_and_b64 vcc, exec, s[36:37]
	s_cbranch_vccnz .LBB293_257
; %bb.238:
	s_load_dwordx2 s[36:37], s[34:35], 0x1c
	s_load_dword s43, s[34:35], 0x24
	s_load_dwordx2 s[38:39], s[34:35], 0xdc
	s_waitcnt lgkmcnt(0)
	v_mul_hi_u32 v3, s37, v1
	v_add_u32_e32 v3, v1, v3
	v_lshrrev_b32_e32 v3, s43, v3
	v_mul_lo_u32 v3, v3, s36
	s_load_dword s36, s[34:35], 0xe4
	v_sub_u32_e32 v3, v1, v3
	v_mad_u64_u32 v[0:1], s[34:35], v3, s38, v[0:1]
	v_mad_u64_u32 v[4:5], s[34:35], v3, s39, v[4:5]
	s_waitcnt lgkmcnt(0)
	v_mad_u64_u32 v[2:3], s[34:35], v3, s36, v[2:3]
	s_branch .LBB293_257
.LBB293_239:
                                        ; implicit-def: $vgpr0
                                        ; implicit-def: $vgpr4
                                        ; implicit-def: $vgpr2
	s_branch .LBB293_258
.LBB293_240:
	s_movk_i32 s34, 0x80
	v_cmp_eq_u16_sdwa s[44:45], v3, s34 src0_sel:BYTE_0 src1_sel:DWORD
	s_mov_b64 s[34:35], -1
	s_and_saveexec_b64 s[38:39], s[44:45]
; %bb.241:
	s_xor_b64 s[34:35], exec, -1
; %bb.242:
	s_or_b64 exec, exec, s[38:39]
	s_and_b64 s[34:35], s[34:35], exec
	s_or_saveexec_b64 s[36:37], s[36:37]
	v_mov_b32_e32 v2, 0x7f800001
	s_xor_b64 exec, exec, s[36:37]
	s_cbranch_execz .LBB293_215
.LBB293_243:
	v_mov_b32_e32 v2, 0
	v_cmp_ne_u16_sdwa s[38:39], v3, v2 src0_sel:BYTE_0 src1_sel:DWORD
	s_andn2_b64 s[34:35], s[34:35], exec
	s_and_b64 s[38:39], s[38:39], exec
	s_or_b64 s[34:35], s[34:35], s[38:39]
	s_or_b64 exec, exec, s[36:37]
	s_and_saveexec_b64 s[36:37], s[34:35]
	s_cbranch_execnz .LBB293_216
	s_branch .LBB293_217
.LBB293_244:
	s_movk_i32 s34, 0x80
	v_cmp_eq_u16_sdwa s[44:45], v1, s34 src0_sel:BYTE_0 src1_sel:DWORD
	s_mov_b64 s[34:35], -1
	s_and_saveexec_b64 s[38:39], s[44:45]
; %bb.245:
	s_xor_b64 s[34:35], exec, -1
; %bb.246:
	s_or_b64 exec, exec, s[38:39]
	s_and_b64 s[34:35], s[34:35], exec
	s_or_saveexec_b64 s[36:37], s[36:37]
	v_mov_b32_e32 v4, 0x7f800001
	s_xor_b64 exec, exec, s[36:37]
	s_cbranch_execz .LBB293_219
.LBB293_247:
	v_mov_b32_e32 v4, 0
	v_cmp_ne_u16_sdwa s[38:39], v1, v4 src0_sel:BYTE_0 src1_sel:DWORD
	s_andn2_b64 s[34:35], s[34:35], exec
	s_and_b64 s[38:39], s[38:39], exec
	s_or_b64 s[34:35], s[34:35], s[38:39]
	s_or_b64 exec, exec, s[36:37]
	s_and_saveexec_b64 s[36:37], s[34:35]
	s_cbranch_execnz .LBB293_220
	s_branch .LBB293_221
.LBB293_248:
	s_movk_i32 s34, 0x80
	v_cmp_eq_u16_sdwa s[44:45], v3, s34 src0_sel:BYTE_0 src1_sel:DWORD
	s_mov_b64 s[34:35], -1
	s_and_saveexec_b64 s[38:39], s[44:45]
; %bb.249:
	s_xor_b64 s[34:35], exec, -1
; %bb.250:
	s_or_b64 exec, exec, s[38:39]
	s_and_b64 s[34:35], s[34:35], exec
	s_or_saveexec_b64 s[36:37], s[36:37]
	v_mov_b32_e32 v2, 0x7f800001
	s_xor_b64 exec, exec, s[36:37]
	s_cbranch_execz .LBB293_225
.LBB293_251:
	v_mov_b32_e32 v2, 0
	v_cmp_ne_u16_sdwa s[38:39], v3, v2 src0_sel:BYTE_0 src1_sel:DWORD
	s_andn2_b64 s[34:35], s[34:35], exec
	s_and_b64 s[38:39], s[38:39], exec
	s_or_b64 s[34:35], s[34:35], s[38:39]
	s_or_b64 exec, exec, s[36:37]
	s_and_saveexec_b64 s[36:37], s[34:35]
	s_cbranch_execnz .LBB293_226
	s_branch .LBB293_227
.LBB293_252:
	s_movk_i32 s34, 0x80
	v_cmp_eq_u16_sdwa s[44:45], v1, s34 src0_sel:BYTE_0 src1_sel:DWORD
	s_mov_b64 s[34:35], -1
	s_and_saveexec_b64 s[38:39], s[44:45]
; %bb.253:
	s_xor_b64 s[34:35], exec, -1
; %bb.254:
	s_or_b64 exec, exec, s[38:39]
	s_and_b64 s[34:35], s[34:35], exec
	s_or_saveexec_b64 s[36:37], s[36:37]
	v_mov_b32_e32 v3, 0x7f800001
	s_xor_b64 exec, exec, s[36:37]
	s_cbranch_execz .LBB293_229
.LBB293_255:
	v_mov_b32_e32 v3, 0
	v_cmp_ne_u16_sdwa s[38:39], v1, v3 src0_sel:BYTE_0 src1_sel:DWORD
	s_andn2_b64 s[34:35], s[34:35], exec
	s_and_b64 s[38:39], s[38:39], exec
	s_or_b64 s[34:35], s[34:35], s[38:39]
	s_or_b64 exec, exec, s[36:37]
	s_and_saveexec_b64 s[36:37], s[34:35]
	s_cbranch_execnz .LBB293_230
	s_branch .LBB293_231
.LBB293_256:
	v_mov_b32_e32 v0, 0
	v_mov_b32_e32 v4, 0
	;; [unrolled: 1-line block ×3, first 2 shown]
.LBB293_257:
	s_cbranch_execnz .LBB293_260
.LBB293_258:
	v_mul_hi_u32 v0, s9, v7
	s_andn2_b64 vcc, exec, s[26:27]
	v_add_u32_e32 v0, v7, v0
	v_lshrrev_b32_e32 v1, s10, v0
	v_mul_lo_u32 v0, v1, s8
	v_sub_u32_e32 v2, v7, v0
	v_mul_lo_u32 v0, v2, s4
	v_mul_lo_u32 v4, v2, s5
	;; [unrolled: 1-line block ×3, first 2 shown]
	s_cbranch_vccnz .LBB293_260
; %bb.259:
	v_mul_hi_u32 v3, s24, v1
	v_add_u32_e32 v3, v1, v3
	v_lshrrev_b32_e32 v3, s25, v3
	v_mul_lo_u32 v3, v3, s11
	v_sub_u32_e32 v3, v1, v3
	v_mad_u64_u32 v[0:1], s[34:35], v3, s7, v[0:1]
	v_mad_u64_u32 v[4:5], s[34:35], v3, s22, v[4:5]
	;; [unrolled: 1-line block ×3, first 2 shown]
.LBB293_260:
	global_load_ubyte v3, v4, s[2:3]
	global_load_ubyte v1, v2, s[20:21]
	s_andn2_b64 vcc, exec, s[18:19]
	s_cbranch_vccnz .LBB293_270
; %bb.261:
	s_movk_i32 s34, 0x7f
	s_waitcnt vmcnt(1)
	v_cmp_gt_i16_sdwa s[36:37], v3, s34 src0_sel:BYTE_0 src1_sel:DWORD
	s_mov_b64 s[34:35], 0
	s_and_saveexec_b64 s[38:39], s[36:37]
	s_xor_b64 s[36:37], exec, s[38:39]
	s_cbranch_execnz .LBB293_288
; %bb.262:
	s_or_saveexec_b64 s[36:37], s[36:37]
	v_mov_b32_e32 v2, 0x7f800001
	s_xor_b64 exec, exec, s[36:37]
	s_cbranch_execnz .LBB293_291
.LBB293_263:
	s_or_b64 exec, exec, s[36:37]
	s_and_saveexec_b64 s[36:37], s[34:35]
	s_cbranch_execz .LBB293_265
.LBB293_264:
	v_and_b32_e32 v5, 7, v3
	v_ffbh_u32_e32 v6, v5
	v_min_u32_e32 v6, 32, v6
	v_lshrrev_b16_e32 v4, 3, v3
	v_subrev_u32_e32 v8, 28, v6
	v_and_b32_e32 v4, 15, v4
	v_lshlrev_b32_e32 v8, v8, v3
	v_sub_u32_e32 v6, 29, v6
	v_and_b32_e32 v8, 7, v8
	v_cmp_eq_u32_e32 vcc, 0, v4
	v_lshlrev_b32_e32 v2, 24, v3
	v_cndmask_b32_e32 v4, v4, v6, vcc
	v_cndmask_b32_e32 v5, v5, v8, vcc
	v_mov_b32_e32 v6, 0x3b800000
	v_lshlrev_b32_e32 v5, 20, v5
	v_and_b32_e32 v2, 0x80000000, v2
	v_lshl_add_u32 v4, v4, 23, v6
	v_or3_b32 v2, v2, v4, v5
.LBB293_265:
	s_or_b64 exec, exec, s[36:37]
	s_movk_i32 s34, 0x7f
	s_waitcnt vmcnt(0)
	v_cmp_gt_i16_sdwa s[36:37], v1, s34 src0_sel:BYTE_0 src1_sel:DWORD
	s_mov_b64 s[34:35], 0
	s_and_saveexec_b64 s[38:39], s[36:37]
	s_xor_b64 s[36:37], exec, s[38:39]
	s_cbranch_execnz .LBB293_292
; %bb.266:
	s_or_saveexec_b64 s[36:37], s[36:37]
	v_mov_b32_e32 v4, 0x7f800001
	s_xor_b64 exec, exec, s[36:37]
	s_cbranch_execnz .LBB293_295
.LBB293_267:
	s_or_b64 exec, exec, s[36:37]
	s_and_saveexec_b64 s[36:37], s[34:35]
	s_cbranch_execz .LBB293_269
.LBB293_268:
	v_and_b32_e32 v6, 7, v1
	v_ffbh_u32_e32 v8, v6
	v_min_u32_e32 v8, 32, v8
	v_lshrrev_b16_e32 v5, 3, v1
	v_subrev_u32_e32 v9, 28, v8
	v_and_b32_e32 v5, 15, v5
	v_lshlrev_b32_e32 v9, v9, v1
	v_sub_u32_e32 v8, 29, v8
	v_and_b32_e32 v9, 7, v9
	v_cmp_eq_u32_e32 vcc, 0, v5
	v_lshlrev_b32_e32 v4, 24, v1
	v_cndmask_b32_e32 v5, v5, v8, vcc
	v_cndmask_b32_e32 v6, v6, v9, vcc
	v_mov_b32_e32 v8, 0x3b800000
	v_lshlrev_b32_e32 v6, 20, v6
	v_and_b32_e32 v4, 0x80000000, v4
	v_lshl_add_u32 v5, v5, 23, v8
	v_or3_b32 v4, v4, v5, v6
.LBB293_269:
	s_or_b64 exec, exec, s[36:37]
	v_cmp_neq_f32_e64 s[34:35], v2, v4
	s_branch .LBB293_280
.LBB293_270:
                                        ; implicit-def: $sgpr34_sgpr35
	s_cbranch_execz .LBB293_280
; %bb.271:
	s_movk_i32 s34, 0x7f
	s_waitcnt vmcnt(1)
	v_cmp_gt_i16_sdwa s[36:37], v3, s34 src0_sel:BYTE_0 src1_sel:DWORD
	s_mov_b64 s[34:35], 0
	s_and_saveexec_b64 s[38:39], s[36:37]
	s_xor_b64 s[36:37], exec, s[38:39]
	s_cbranch_execnz .LBB293_296
; %bb.272:
	s_or_saveexec_b64 s[36:37], s[36:37]
	v_mov_b32_e32 v2, 0x7f800001
	s_xor_b64 exec, exec, s[36:37]
	s_cbranch_execnz .LBB293_299
.LBB293_273:
	s_or_b64 exec, exec, s[36:37]
	s_and_saveexec_b64 s[36:37], s[34:35]
	s_cbranch_execz .LBB293_275
.LBB293_274:
	v_and_b32_e32 v5, 7, v3
	v_ffbh_u32_e32 v6, v5
	v_min_u32_e32 v6, 32, v6
	v_lshrrev_b16_e32 v4, 3, v3
	v_subrev_u32_e32 v8, 28, v6
	v_lshlrev_b32_e32 v2, 24, v3
	v_and_b32_e32 v4, 15, v4
	v_lshlrev_b32_e32 v3, v8, v3
	v_sub_u32_e32 v6, 29, v6
	v_and_b32_e32 v3, 7, v3
	v_cmp_eq_u32_e32 vcc, 0, v4
	v_cndmask_b32_e32 v4, v4, v6, vcc
	v_cndmask_b32_e32 v3, v5, v3, vcc
	v_mov_b32_e32 v5, 0x3b800000
	v_lshlrev_b32_e32 v3, 20, v3
	v_and_b32_e32 v2, 0x80000000, v2
	v_lshl_add_u32 v4, v4, 23, v5
	v_or3_b32 v2, v2, v4, v3
.LBB293_275:
	s_or_b64 exec, exec, s[36:37]
	s_movk_i32 s34, 0x7f
	s_waitcnt vmcnt(0)
	v_cmp_gt_i16_sdwa s[36:37], v1, s34 src0_sel:BYTE_0 src1_sel:DWORD
	s_mov_b64 s[34:35], 0
	s_and_saveexec_b64 s[38:39], s[36:37]
	s_xor_b64 s[36:37], exec, s[38:39]
	s_cbranch_execnz .LBB293_300
; %bb.276:
	s_or_saveexec_b64 s[36:37], s[36:37]
	v_mov_b32_e32 v3, 0x7f800001
	s_xor_b64 exec, exec, s[36:37]
	s_cbranch_execnz .LBB293_303
.LBB293_277:
	s_or_b64 exec, exec, s[36:37]
	s_and_saveexec_b64 s[36:37], s[34:35]
	s_cbranch_execz .LBB293_279
.LBB293_278:
	v_and_b32_e32 v5, 7, v1
	v_ffbh_u32_e32 v6, v5
	v_min_u32_e32 v6, 32, v6
	v_lshrrev_b16_e32 v4, 3, v1
	v_subrev_u32_e32 v8, 28, v6
	v_lshlrev_b32_e32 v3, 24, v1
	v_and_b32_e32 v4, 15, v4
	v_lshlrev_b32_e32 v1, v8, v1
	v_sub_u32_e32 v6, 29, v6
	v_and_b32_e32 v1, 7, v1
	v_cmp_eq_u32_e32 vcc, 0, v4
	v_cndmask_b32_e32 v4, v4, v6, vcc
	v_cndmask_b32_e32 v1, v5, v1, vcc
	v_mov_b32_e32 v5, 0x3b800000
	v_lshlrev_b32_e32 v1, 20, v1
	v_and_b32_e32 v3, 0x80000000, v3
	v_lshl_add_u32 v4, v4, 23, v5
	v_or3_b32 v3, v3, v4, v1
.LBB293_279:
	s_or_b64 exec, exec, s[36:37]
	v_cmp_eq_f32_e64 s[34:35], v2, v3
.LBB293_280:
	s_waitcnt vmcnt(0)
	v_cndmask_b32_e64 v1, 0, 1, s[34:35]
	v_add_u32_e32 v7, 0x80, v7
	global_store_byte v0, v1, s[0:1]
	s_or_b64 exec, exec, s[30:31]
	v_cmp_gt_i32_e32 vcc, s42, v7
	s_and_saveexec_b64 s[30:31], vcc
	s_cbranch_execz .LBB293_8
.LBB293_281:
	s_andn2_b64 vcc, exec, s[14:15]
	s_cbranch_vccnz .LBB293_287
; %bb.282:
	s_andn2_b64 vcc, exec, s[28:29]
	s_cbranch_vccnz .LBB293_304
; %bb.283:
	s_add_i32 s34, s41, 1
	s_and_b32 s36, s34, 30
	s_add_u32 s34, s12, 0xffffffe8
	s_addc_u32 s35, s13, -1
	v_mov_b32_e32 v2, 0
	v_mov_b32_e32 v4, 0
	;; [unrolled: 1-line block ×4, first 2 shown]
.LBB293_284:                            ; =>This Inner Loop Header: Depth=1
	s_load_dwordx4 s[44:47], s[34:35], 0x1c
	s_load_dwordx2 s[38:39], s[34:35], 0x2c
	s_load_dwordx2 s[52:53], s[34:35], 0xec
	s_load_dwordx4 s[48:51], s[34:35], 0xdc
	s_add_u32 s34, s34, 24
	s_waitcnt lgkmcnt(0)
	v_mul_hi_u32 v3, s45, v1
	s_addc_u32 s35, s35, 0
	s_add_i32 s36, s36, -2
	s_cmp_eq_u32 s36, 0
	v_add_u32_e32 v3, v1, v3
	v_lshrrev_b32_e32 v3, s46, v3
	v_mul_lo_u32 v5, v3, s44
	v_mul_hi_u32 v6, s38, v3
	v_sub_u32_e32 v5, v1, v5
	v_add_u32_e32 v1, v3, v6
	v_lshrrev_b32_e32 v1, s39, v1
	v_mul_lo_u32 v9, v1, s47
	v_mul_lo_u32 v6, v5, s48
	;; [unrolled: 1-line block ×4, first 2 shown]
	v_sub_u32_e32 v3, v3, v9
	v_mul_lo_u32 v9, v3, s51
	v_mul_lo_u32 v10, v3, s52
	;; [unrolled: 1-line block ×3, first 2 shown]
	v_add3_u32 v0, v6, v0, v9
	v_add3_u32 v4, v8, v4, v10
	;; [unrolled: 1-line block ×3, first 2 shown]
	s_cbranch_scc0 .LBB293_284
; %bb.285:
	s_bitcmp1_b32 s41, 0
	s_cselect_b64 s[36:37], -1, 0
	s_and_b64 vcc, exec, s[36:37]
	s_cbranch_vccnz .LBB293_305
; %bb.286:
	s_load_dwordx2 s[36:37], s[34:35], 0x1c
	s_load_dword s43, s[34:35], 0x24
	s_load_dwordx2 s[38:39], s[34:35], 0xdc
	s_waitcnt lgkmcnt(0)
	v_mul_hi_u32 v3, s37, v1
	v_add_u32_e32 v3, v1, v3
	v_lshrrev_b32_e32 v3, s43, v3
	v_mul_lo_u32 v3, v3, s36
	s_load_dword s36, s[34:35], 0xe4
	v_sub_u32_e32 v3, v1, v3
	v_mad_u64_u32 v[0:1], s[34:35], v3, s38, v[0:1]
	v_mad_u64_u32 v[4:5], s[34:35], v3, s39, v[4:5]
	s_waitcnt lgkmcnt(0)
	v_mad_u64_u32 v[2:3], s[34:35], v3, s36, v[2:3]
	s_branch .LBB293_305
.LBB293_287:
                                        ; implicit-def: $vgpr0
                                        ; implicit-def: $vgpr4
                                        ; implicit-def: $vgpr2
	s_branch .LBB293_306
.LBB293_288:
	s_movk_i32 s34, 0x80
	v_cmp_eq_u16_sdwa s[44:45], v3, s34 src0_sel:BYTE_0 src1_sel:DWORD
	s_mov_b64 s[34:35], -1
	s_and_saveexec_b64 s[38:39], s[44:45]
; %bb.289:
	s_xor_b64 s[34:35], exec, -1
; %bb.290:
	s_or_b64 exec, exec, s[38:39]
	s_and_b64 s[34:35], s[34:35], exec
	s_or_saveexec_b64 s[36:37], s[36:37]
	v_mov_b32_e32 v2, 0x7f800001
	s_xor_b64 exec, exec, s[36:37]
	s_cbranch_execz .LBB293_263
.LBB293_291:
	v_mov_b32_e32 v2, 0
	v_cmp_ne_u16_sdwa s[38:39], v3, v2 src0_sel:BYTE_0 src1_sel:DWORD
	s_andn2_b64 s[34:35], s[34:35], exec
	s_and_b64 s[38:39], s[38:39], exec
	s_or_b64 s[34:35], s[34:35], s[38:39]
	s_or_b64 exec, exec, s[36:37]
	s_and_saveexec_b64 s[36:37], s[34:35]
	s_cbranch_execnz .LBB293_264
	s_branch .LBB293_265
.LBB293_292:
	s_movk_i32 s34, 0x80
	v_cmp_eq_u16_sdwa s[44:45], v1, s34 src0_sel:BYTE_0 src1_sel:DWORD
	s_mov_b64 s[34:35], -1
	s_and_saveexec_b64 s[38:39], s[44:45]
; %bb.293:
	s_xor_b64 s[34:35], exec, -1
; %bb.294:
	s_or_b64 exec, exec, s[38:39]
	s_and_b64 s[34:35], s[34:35], exec
	s_or_saveexec_b64 s[36:37], s[36:37]
	v_mov_b32_e32 v4, 0x7f800001
	s_xor_b64 exec, exec, s[36:37]
	s_cbranch_execz .LBB293_267
.LBB293_295:
	v_mov_b32_e32 v4, 0
	v_cmp_ne_u16_sdwa s[38:39], v1, v4 src0_sel:BYTE_0 src1_sel:DWORD
	s_andn2_b64 s[34:35], s[34:35], exec
	s_and_b64 s[38:39], s[38:39], exec
	s_or_b64 s[34:35], s[34:35], s[38:39]
	s_or_b64 exec, exec, s[36:37]
	s_and_saveexec_b64 s[36:37], s[34:35]
	s_cbranch_execnz .LBB293_268
	s_branch .LBB293_269
.LBB293_296:
	s_movk_i32 s34, 0x80
	v_cmp_eq_u16_sdwa s[44:45], v3, s34 src0_sel:BYTE_0 src1_sel:DWORD
	s_mov_b64 s[34:35], -1
	s_and_saveexec_b64 s[38:39], s[44:45]
; %bb.297:
	s_xor_b64 s[34:35], exec, -1
; %bb.298:
	s_or_b64 exec, exec, s[38:39]
	s_and_b64 s[34:35], s[34:35], exec
	s_or_saveexec_b64 s[36:37], s[36:37]
	v_mov_b32_e32 v2, 0x7f800001
	s_xor_b64 exec, exec, s[36:37]
	s_cbranch_execz .LBB293_273
.LBB293_299:
	v_mov_b32_e32 v2, 0
	v_cmp_ne_u16_sdwa s[38:39], v3, v2 src0_sel:BYTE_0 src1_sel:DWORD
	s_andn2_b64 s[34:35], s[34:35], exec
	s_and_b64 s[38:39], s[38:39], exec
	s_or_b64 s[34:35], s[34:35], s[38:39]
	s_or_b64 exec, exec, s[36:37]
	s_and_saveexec_b64 s[36:37], s[34:35]
	s_cbranch_execnz .LBB293_274
	s_branch .LBB293_275
.LBB293_300:
	s_movk_i32 s34, 0x80
	v_cmp_eq_u16_sdwa s[44:45], v1, s34 src0_sel:BYTE_0 src1_sel:DWORD
	s_mov_b64 s[34:35], -1
	s_and_saveexec_b64 s[38:39], s[44:45]
; %bb.301:
	s_xor_b64 s[34:35], exec, -1
; %bb.302:
	s_or_b64 exec, exec, s[38:39]
	s_and_b64 s[34:35], s[34:35], exec
	s_or_saveexec_b64 s[36:37], s[36:37]
	v_mov_b32_e32 v3, 0x7f800001
	s_xor_b64 exec, exec, s[36:37]
	s_cbranch_execz .LBB293_277
.LBB293_303:
	v_mov_b32_e32 v3, 0
	v_cmp_ne_u16_sdwa s[38:39], v1, v3 src0_sel:BYTE_0 src1_sel:DWORD
	s_andn2_b64 s[34:35], s[34:35], exec
	s_and_b64 s[38:39], s[38:39], exec
	s_or_b64 s[34:35], s[34:35], s[38:39]
	s_or_b64 exec, exec, s[36:37]
	s_and_saveexec_b64 s[36:37], s[34:35]
	s_cbranch_execnz .LBB293_278
	s_branch .LBB293_279
.LBB293_304:
	v_mov_b32_e32 v0, 0
	v_mov_b32_e32 v4, 0
	;; [unrolled: 1-line block ×3, first 2 shown]
.LBB293_305:
	s_cbranch_execnz .LBB293_308
.LBB293_306:
	v_mul_hi_u32 v0, s9, v7
	s_andn2_b64 vcc, exec, s[26:27]
	v_add_u32_e32 v0, v7, v0
	v_lshrrev_b32_e32 v1, s10, v0
	v_mul_lo_u32 v0, v1, s8
	v_sub_u32_e32 v2, v7, v0
	v_mul_lo_u32 v0, v2, s4
	v_mul_lo_u32 v4, v2, s5
	;; [unrolled: 1-line block ×3, first 2 shown]
	s_cbranch_vccnz .LBB293_308
; %bb.307:
	v_mul_hi_u32 v3, s24, v1
	v_add_u32_e32 v3, v1, v3
	v_lshrrev_b32_e32 v3, s25, v3
	v_mul_lo_u32 v3, v3, s11
	v_sub_u32_e32 v3, v1, v3
	v_mad_u64_u32 v[0:1], s[34:35], v3, s7, v[0:1]
	v_mad_u64_u32 v[4:5], s[34:35], v3, s22, v[4:5]
	;; [unrolled: 1-line block ×3, first 2 shown]
.LBB293_308:
	global_load_ubyte v3, v4, s[2:3]
	global_load_ubyte v1, v2, s[20:21]
	s_andn2_b64 vcc, exec, s[18:19]
	s_cbranch_vccnz .LBB293_318
; %bb.309:
	s_movk_i32 s34, 0x7f
	s_waitcnt vmcnt(1)
	v_cmp_gt_i16_sdwa s[36:37], v3, s34 src0_sel:BYTE_0 src1_sel:DWORD
	s_mov_b64 s[34:35], 0
	s_and_saveexec_b64 s[38:39], s[36:37]
	s_xor_b64 s[36:37], exec, s[38:39]
	s_cbranch_execnz .LBB293_336
; %bb.310:
	s_or_saveexec_b64 s[36:37], s[36:37]
	v_mov_b32_e32 v2, 0x7f800001
	s_xor_b64 exec, exec, s[36:37]
	s_cbranch_execnz .LBB293_339
.LBB293_311:
	s_or_b64 exec, exec, s[36:37]
	s_and_saveexec_b64 s[36:37], s[34:35]
	s_cbranch_execz .LBB293_313
.LBB293_312:
	v_and_b32_e32 v5, 7, v3
	v_ffbh_u32_e32 v6, v5
	v_min_u32_e32 v6, 32, v6
	v_lshrrev_b16_e32 v4, 3, v3
	v_subrev_u32_e32 v8, 28, v6
	v_and_b32_e32 v4, 15, v4
	v_lshlrev_b32_e32 v8, v8, v3
	v_sub_u32_e32 v6, 29, v6
	v_and_b32_e32 v8, 7, v8
	v_cmp_eq_u32_e32 vcc, 0, v4
	v_lshlrev_b32_e32 v2, 24, v3
	v_cndmask_b32_e32 v4, v4, v6, vcc
	v_cndmask_b32_e32 v5, v5, v8, vcc
	v_mov_b32_e32 v6, 0x3b800000
	v_lshlrev_b32_e32 v5, 20, v5
	v_and_b32_e32 v2, 0x80000000, v2
	v_lshl_add_u32 v4, v4, 23, v6
	v_or3_b32 v2, v2, v4, v5
.LBB293_313:
	s_or_b64 exec, exec, s[36:37]
	s_movk_i32 s34, 0x7f
	s_waitcnt vmcnt(0)
	v_cmp_gt_i16_sdwa s[36:37], v1, s34 src0_sel:BYTE_0 src1_sel:DWORD
	s_mov_b64 s[34:35], 0
	s_and_saveexec_b64 s[38:39], s[36:37]
	s_xor_b64 s[36:37], exec, s[38:39]
	s_cbranch_execnz .LBB293_340
; %bb.314:
	s_or_saveexec_b64 s[36:37], s[36:37]
	v_mov_b32_e32 v4, 0x7f800001
	s_xor_b64 exec, exec, s[36:37]
	s_cbranch_execnz .LBB293_343
.LBB293_315:
	s_or_b64 exec, exec, s[36:37]
	s_and_saveexec_b64 s[36:37], s[34:35]
	s_cbranch_execz .LBB293_317
.LBB293_316:
	v_and_b32_e32 v6, 7, v1
	v_ffbh_u32_e32 v8, v6
	v_min_u32_e32 v8, 32, v8
	v_lshrrev_b16_e32 v5, 3, v1
	v_subrev_u32_e32 v9, 28, v8
	v_and_b32_e32 v5, 15, v5
	v_lshlrev_b32_e32 v9, v9, v1
	v_sub_u32_e32 v8, 29, v8
	v_and_b32_e32 v9, 7, v9
	v_cmp_eq_u32_e32 vcc, 0, v5
	v_lshlrev_b32_e32 v4, 24, v1
	v_cndmask_b32_e32 v5, v5, v8, vcc
	v_cndmask_b32_e32 v6, v6, v9, vcc
	v_mov_b32_e32 v8, 0x3b800000
	v_lshlrev_b32_e32 v6, 20, v6
	v_and_b32_e32 v4, 0x80000000, v4
	v_lshl_add_u32 v5, v5, 23, v8
	v_or3_b32 v4, v4, v5, v6
.LBB293_317:
	s_or_b64 exec, exec, s[36:37]
	v_cmp_neq_f32_e64 s[34:35], v2, v4
	s_branch .LBB293_328
.LBB293_318:
                                        ; implicit-def: $sgpr34_sgpr35
	s_cbranch_execz .LBB293_328
; %bb.319:
	s_movk_i32 s34, 0x7f
	s_waitcnt vmcnt(1)
	v_cmp_gt_i16_sdwa s[36:37], v3, s34 src0_sel:BYTE_0 src1_sel:DWORD
	s_mov_b64 s[34:35], 0
	s_and_saveexec_b64 s[38:39], s[36:37]
	s_xor_b64 s[36:37], exec, s[38:39]
	s_cbranch_execnz .LBB293_344
; %bb.320:
	s_or_saveexec_b64 s[36:37], s[36:37]
	v_mov_b32_e32 v2, 0x7f800001
	s_xor_b64 exec, exec, s[36:37]
	s_cbranch_execnz .LBB293_347
.LBB293_321:
	s_or_b64 exec, exec, s[36:37]
	s_and_saveexec_b64 s[36:37], s[34:35]
	s_cbranch_execz .LBB293_323
.LBB293_322:
	v_and_b32_e32 v5, 7, v3
	v_ffbh_u32_e32 v6, v5
	v_min_u32_e32 v6, 32, v6
	v_lshrrev_b16_e32 v4, 3, v3
	v_subrev_u32_e32 v8, 28, v6
	v_lshlrev_b32_e32 v2, 24, v3
	v_and_b32_e32 v4, 15, v4
	v_lshlrev_b32_e32 v3, v8, v3
	v_sub_u32_e32 v6, 29, v6
	v_and_b32_e32 v3, 7, v3
	v_cmp_eq_u32_e32 vcc, 0, v4
	v_cndmask_b32_e32 v4, v4, v6, vcc
	v_cndmask_b32_e32 v3, v5, v3, vcc
	v_mov_b32_e32 v5, 0x3b800000
	v_lshlrev_b32_e32 v3, 20, v3
	v_and_b32_e32 v2, 0x80000000, v2
	v_lshl_add_u32 v4, v4, 23, v5
	v_or3_b32 v2, v2, v4, v3
.LBB293_323:
	s_or_b64 exec, exec, s[36:37]
	s_movk_i32 s34, 0x7f
	s_waitcnt vmcnt(0)
	v_cmp_gt_i16_sdwa s[36:37], v1, s34 src0_sel:BYTE_0 src1_sel:DWORD
	s_mov_b64 s[34:35], 0
	s_and_saveexec_b64 s[38:39], s[36:37]
	s_xor_b64 s[36:37], exec, s[38:39]
	s_cbranch_execnz .LBB293_348
; %bb.324:
	s_or_saveexec_b64 s[36:37], s[36:37]
	v_mov_b32_e32 v3, 0x7f800001
	s_xor_b64 exec, exec, s[36:37]
	s_cbranch_execnz .LBB293_351
.LBB293_325:
	s_or_b64 exec, exec, s[36:37]
	s_and_saveexec_b64 s[36:37], s[34:35]
	s_cbranch_execz .LBB293_327
.LBB293_326:
	v_and_b32_e32 v5, 7, v1
	v_ffbh_u32_e32 v6, v5
	v_min_u32_e32 v6, 32, v6
	v_lshrrev_b16_e32 v4, 3, v1
	v_subrev_u32_e32 v8, 28, v6
	v_lshlrev_b32_e32 v3, 24, v1
	v_and_b32_e32 v4, 15, v4
	v_lshlrev_b32_e32 v1, v8, v1
	v_sub_u32_e32 v6, 29, v6
	v_and_b32_e32 v1, 7, v1
	v_cmp_eq_u32_e32 vcc, 0, v4
	v_cndmask_b32_e32 v4, v4, v6, vcc
	v_cndmask_b32_e32 v1, v5, v1, vcc
	v_mov_b32_e32 v5, 0x3b800000
	v_lshlrev_b32_e32 v1, 20, v1
	v_and_b32_e32 v3, 0x80000000, v3
	v_lshl_add_u32 v4, v4, 23, v5
	v_or3_b32 v3, v3, v4, v1
.LBB293_327:
	s_or_b64 exec, exec, s[36:37]
	v_cmp_eq_f32_e64 s[34:35], v2, v3
.LBB293_328:
	s_waitcnt vmcnt(0)
	v_cndmask_b32_e64 v1, 0, 1, s[34:35]
	v_add_u32_e32 v7, 0x80, v7
	global_store_byte v0, v1, s[0:1]
	s_or_b64 exec, exec, s[30:31]
	v_cmp_gt_i32_e32 vcc, s42, v7
	s_and_saveexec_b64 s[30:31], vcc
	s_cbranch_execz .LBB293_377
.LBB293_329:
	s_andn2_b64 vcc, exec, s[14:15]
	s_cbranch_vccnz .LBB293_335
; %bb.330:
	s_andn2_b64 vcc, exec, s[28:29]
	s_cbranch_vccnz .LBB293_352
; %bb.331:
	s_add_i32 s28, s41, 1
	s_and_b32 s34, s28, 30
	s_add_u32 s28, s12, 0xffffffe8
	s_addc_u32 s29, s13, -1
	v_mov_b32_e32 v2, 0
	v_mov_b32_e32 v4, 0
	;; [unrolled: 1-line block ×4, first 2 shown]
.LBB293_332:                            ; =>This Inner Loop Header: Depth=1
	s_load_dwordx4 s[36:39], s[28:29], 0x1c
	s_load_dwordx2 s[42:43], s[28:29], 0x2c
	s_load_dwordx2 s[48:49], s[28:29], 0xec
	s_load_dwordx4 s[44:47], s[28:29], 0xdc
	s_add_u32 s28, s28, 24
	s_waitcnt lgkmcnt(0)
	v_mul_hi_u32 v3, s37, v1
	s_addc_u32 s29, s29, 0
	s_add_i32 s34, s34, -2
	s_cmp_eq_u32 s34, 0
	v_add_u32_e32 v3, v1, v3
	v_lshrrev_b32_e32 v3, s38, v3
	v_mul_lo_u32 v5, v3, s36
	v_mul_hi_u32 v6, s42, v3
	v_sub_u32_e32 v5, v1, v5
	v_add_u32_e32 v1, v3, v6
	v_lshrrev_b32_e32 v1, s43, v1
	v_mul_lo_u32 v9, v1, s39
	v_mul_lo_u32 v6, v5, s44
	;; [unrolled: 1-line block ×4, first 2 shown]
	v_sub_u32_e32 v3, v3, v9
	v_mul_lo_u32 v9, v3, s47
	v_mul_lo_u32 v10, v3, s48
	;; [unrolled: 1-line block ×3, first 2 shown]
	v_add3_u32 v0, v6, v0, v9
	v_add3_u32 v4, v8, v4, v10
	;; [unrolled: 1-line block ×3, first 2 shown]
	s_cbranch_scc0 .LBB293_332
; %bb.333:
	s_bitcmp1_b32 s41, 0
	s_cselect_b64 s[34:35], -1, 0
	s_and_b64 vcc, exec, s[34:35]
	s_cbranch_vccnz .LBB293_353
; %bb.334:
	s_load_dwordx2 s[34:35], s[28:29], 0x1c
	s_load_dword s38, s[28:29], 0x24
	s_load_dwordx2 s[36:37], s[28:29], 0xdc
	s_waitcnt lgkmcnt(0)
	v_mul_hi_u32 v3, s35, v1
	v_add_u32_e32 v3, v1, v3
	v_lshrrev_b32_e32 v3, s38, v3
	v_mul_lo_u32 v3, v3, s34
	s_load_dword s34, s[28:29], 0xe4
	v_sub_u32_e32 v3, v1, v3
	v_mad_u64_u32 v[0:1], s[28:29], v3, s36, v[0:1]
	v_mad_u64_u32 v[4:5], s[28:29], v3, s37, v[4:5]
	s_waitcnt lgkmcnt(0)
	v_mad_u64_u32 v[2:3], s[28:29], v3, s34, v[2:3]
	s_branch .LBB293_353
.LBB293_335:
                                        ; implicit-def: $vgpr0
                                        ; implicit-def: $vgpr4
                                        ; implicit-def: $vgpr2
	s_branch .LBB293_354
.LBB293_336:
	s_movk_i32 s34, 0x80
	v_cmp_eq_u16_sdwa s[44:45], v3, s34 src0_sel:BYTE_0 src1_sel:DWORD
	s_mov_b64 s[34:35], -1
	s_and_saveexec_b64 s[38:39], s[44:45]
; %bb.337:
	s_xor_b64 s[34:35], exec, -1
; %bb.338:
	s_or_b64 exec, exec, s[38:39]
	s_and_b64 s[34:35], s[34:35], exec
	s_or_saveexec_b64 s[36:37], s[36:37]
	v_mov_b32_e32 v2, 0x7f800001
	s_xor_b64 exec, exec, s[36:37]
	s_cbranch_execz .LBB293_311
.LBB293_339:
	v_mov_b32_e32 v2, 0
	v_cmp_ne_u16_sdwa s[38:39], v3, v2 src0_sel:BYTE_0 src1_sel:DWORD
	s_andn2_b64 s[34:35], s[34:35], exec
	s_and_b64 s[38:39], s[38:39], exec
	s_or_b64 s[34:35], s[34:35], s[38:39]
	s_or_b64 exec, exec, s[36:37]
	s_and_saveexec_b64 s[36:37], s[34:35]
	s_cbranch_execnz .LBB293_312
	s_branch .LBB293_313
.LBB293_340:
	s_movk_i32 s34, 0x80
	v_cmp_eq_u16_sdwa s[44:45], v1, s34 src0_sel:BYTE_0 src1_sel:DWORD
	s_mov_b64 s[34:35], -1
	s_and_saveexec_b64 s[38:39], s[44:45]
; %bb.341:
	s_xor_b64 s[34:35], exec, -1
; %bb.342:
	s_or_b64 exec, exec, s[38:39]
	s_and_b64 s[34:35], s[34:35], exec
	s_or_saveexec_b64 s[36:37], s[36:37]
	v_mov_b32_e32 v4, 0x7f800001
	s_xor_b64 exec, exec, s[36:37]
	s_cbranch_execz .LBB293_315
.LBB293_343:
	v_mov_b32_e32 v4, 0
	v_cmp_ne_u16_sdwa s[38:39], v1, v4 src0_sel:BYTE_0 src1_sel:DWORD
	s_andn2_b64 s[34:35], s[34:35], exec
	s_and_b64 s[38:39], s[38:39], exec
	s_or_b64 s[34:35], s[34:35], s[38:39]
	s_or_b64 exec, exec, s[36:37]
	s_and_saveexec_b64 s[36:37], s[34:35]
	s_cbranch_execnz .LBB293_316
	s_branch .LBB293_317
.LBB293_344:
	s_movk_i32 s34, 0x80
	v_cmp_eq_u16_sdwa s[44:45], v3, s34 src0_sel:BYTE_0 src1_sel:DWORD
	s_mov_b64 s[34:35], -1
	s_and_saveexec_b64 s[38:39], s[44:45]
; %bb.345:
	s_xor_b64 s[34:35], exec, -1
; %bb.346:
	s_or_b64 exec, exec, s[38:39]
	s_and_b64 s[34:35], s[34:35], exec
	s_or_saveexec_b64 s[36:37], s[36:37]
	v_mov_b32_e32 v2, 0x7f800001
	s_xor_b64 exec, exec, s[36:37]
	s_cbranch_execz .LBB293_321
.LBB293_347:
	v_mov_b32_e32 v2, 0
	v_cmp_ne_u16_sdwa s[38:39], v3, v2 src0_sel:BYTE_0 src1_sel:DWORD
	s_andn2_b64 s[34:35], s[34:35], exec
	s_and_b64 s[38:39], s[38:39], exec
	s_or_b64 s[34:35], s[34:35], s[38:39]
	s_or_b64 exec, exec, s[36:37]
	s_and_saveexec_b64 s[36:37], s[34:35]
	s_cbranch_execnz .LBB293_322
	s_branch .LBB293_323
.LBB293_348:
	s_movk_i32 s34, 0x80
	v_cmp_eq_u16_sdwa s[44:45], v1, s34 src0_sel:BYTE_0 src1_sel:DWORD
	s_mov_b64 s[34:35], -1
	s_and_saveexec_b64 s[38:39], s[44:45]
; %bb.349:
	s_xor_b64 s[34:35], exec, -1
; %bb.350:
	s_or_b64 exec, exec, s[38:39]
	s_and_b64 s[34:35], s[34:35], exec
	s_or_saveexec_b64 s[36:37], s[36:37]
	v_mov_b32_e32 v3, 0x7f800001
	s_xor_b64 exec, exec, s[36:37]
	s_cbranch_execz .LBB293_325
.LBB293_351:
	v_mov_b32_e32 v3, 0
	v_cmp_ne_u16_sdwa s[38:39], v1, v3 src0_sel:BYTE_0 src1_sel:DWORD
	s_andn2_b64 s[34:35], s[34:35], exec
	s_and_b64 s[38:39], s[38:39], exec
	s_or_b64 s[34:35], s[34:35], s[38:39]
	s_or_b64 exec, exec, s[36:37]
	s_and_saveexec_b64 s[36:37], s[34:35]
	s_cbranch_execnz .LBB293_326
	s_branch .LBB293_327
.LBB293_352:
	v_mov_b32_e32 v0, 0
	v_mov_b32_e32 v4, 0
	;; [unrolled: 1-line block ×3, first 2 shown]
.LBB293_353:
	s_cbranch_execnz .LBB293_356
.LBB293_354:
	v_mul_hi_u32 v0, s9, v7
	s_andn2_b64 vcc, exec, s[26:27]
	v_add_u32_e32 v0, v7, v0
	v_lshrrev_b32_e32 v1, s10, v0
	v_mul_lo_u32 v0, v1, s8
	v_sub_u32_e32 v2, v7, v0
	v_mul_lo_u32 v0, v2, s4
	v_mul_lo_u32 v4, v2, s5
	;; [unrolled: 1-line block ×3, first 2 shown]
	s_cbranch_vccnz .LBB293_356
; %bb.355:
	v_mul_hi_u32 v3, s24, v1
	v_add_u32_e32 v3, v1, v3
	v_lshrrev_b32_e32 v3, s25, v3
	v_mul_lo_u32 v3, v3, s11
	v_sub_u32_e32 v3, v1, v3
	v_mad_u64_u32 v[0:1], s[4:5], v3, s7, v[0:1]
	v_mad_u64_u32 v[4:5], s[4:5], v3, s22, v[4:5]
	v_mad_u64_u32 v[2:3], s[4:5], v3, s23, v[2:3]
.LBB293_356:
	global_load_ubyte v3, v4, s[2:3]
	global_load_ubyte v1, v2, s[20:21]
	s_andn2_b64 vcc, exec, s[18:19]
	s_cbranch_vccnz .LBB293_366
; %bb.357:
	s_movk_i32 s2, 0x7f
	s_waitcnt vmcnt(1)
	v_cmp_gt_i16_sdwa s[4:5], v3, s2 src0_sel:BYTE_0 src1_sel:DWORD
	s_mov_b64 s[2:3], 0
	s_and_saveexec_b64 s[6:7], s[4:5]
	s_xor_b64 s[4:5], exec, s[6:7]
	s_cbranch_execnz .LBB293_757
; %bb.358:
	s_or_saveexec_b64 s[4:5], s[4:5]
	v_mov_b32_e32 v2, 0x7f800001
	s_xor_b64 exec, exec, s[4:5]
	s_cbranch_execnz .LBB293_760
.LBB293_359:
	s_or_b64 exec, exec, s[4:5]
	s_and_saveexec_b64 s[4:5], s[2:3]
	s_cbranch_execz .LBB293_361
.LBB293_360:
	v_and_b32_e32 v5, 7, v3
	v_ffbh_u32_e32 v6, v5
	v_min_u32_e32 v6, 32, v6
	v_lshrrev_b16_e32 v4, 3, v3
	v_subrev_u32_e32 v7, 28, v6
	v_and_b32_e32 v4, 15, v4
	v_lshlrev_b32_e32 v7, v7, v3
	v_sub_u32_e32 v6, 29, v6
	v_and_b32_e32 v7, 7, v7
	v_cmp_eq_u32_e32 vcc, 0, v4
	v_lshlrev_b32_e32 v2, 24, v3
	v_cndmask_b32_e32 v4, v4, v6, vcc
	v_cndmask_b32_e32 v5, v5, v7, vcc
	v_mov_b32_e32 v6, 0x3b800000
	v_lshlrev_b32_e32 v5, 20, v5
	v_and_b32_e32 v2, 0x80000000, v2
	v_lshl_add_u32 v4, v4, 23, v6
	v_or3_b32 v2, v2, v4, v5
.LBB293_361:
	s_or_b64 exec, exec, s[4:5]
	s_movk_i32 s2, 0x7f
	s_waitcnt vmcnt(0)
	v_cmp_gt_i16_sdwa s[4:5], v1, s2 src0_sel:BYTE_0 src1_sel:DWORD
	s_mov_b64 s[2:3], 0
	s_and_saveexec_b64 s[6:7], s[4:5]
	s_xor_b64 s[4:5], exec, s[6:7]
	s_cbranch_execnz .LBB293_761
; %bb.362:
	s_or_saveexec_b64 s[4:5], s[4:5]
	v_mov_b32_e32 v4, 0x7f800001
	s_xor_b64 exec, exec, s[4:5]
	s_cbranch_execnz .LBB293_764
.LBB293_363:
	s_or_b64 exec, exec, s[4:5]
	s_and_saveexec_b64 s[4:5], s[2:3]
	s_cbranch_execz .LBB293_365
.LBB293_364:
	v_and_b32_e32 v6, 7, v1
	v_ffbh_u32_e32 v7, v6
	v_min_u32_e32 v7, 32, v7
	v_lshrrev_b16_e32 v5, 3, v1
	v_subrev_u32_e32 v8, 28, v7
	v_and_b32_e32 v5, 15, v5
	v_lshlrev_b32_e32 v8, v8, v1
	v_sub_u32_e32 v7, 29, v7
	v_and_b32_e32 v8, 7, v8
	v_cmp_eq_u32_e32 vcc, 0, v5
	v_lshlrev_b32_e32 v4, 24, v1
	v_cndmask_b32_e32 v5, v5, v7, vcc
	v_cndmask_b32_e32 v6, v6, v8, vcc
	v_mov_b32_e32 v7, 0x3b800000
	v_lshlrev_b32_e32 v6, 20, v6
	v_and_b32_e32 v4, 0x80000000, v4
	v_lshl_add_u32 v5, v5, 23, v7
	v_or3_b32 v4, v4, v5, v6
.LBB293_365:
	s_or_b64 exec, exec, s[4:5]
	v_cmp_neq_f32_e64 s[2:3], v2, v4
	s_branch .LBB293_376
.LBB293_366:
                                        ; implicit-def: $sgpr2_sgpr3
	s_cbranch_execz .LBB293_376
; %bb.367:
	s_movk_i32 s2, 0x7f
	s_waitcnt vmcnt(1)
	v_cmp_gt_i16_sdwa s[4:5], v3, s2 src0_sel:BYTE_0 src1_sel:DWORD
	s_mov_b64 s[2:3], 0
	s_and_saveexec_b64 s[6:7], s[4:5]
	s_xor_b64 s[4:5], exec, s[6:7]
	s_cbranch_execnz .LBB293_765
; %bb.368:
	s_or_saveexec_b64 s[4:5], s[4:5]
	v_mov_b32_e32 v2, 0x7f800001
	s_xor_b64 exec, exec, s[4:5]
	s_cbranch_execnz .LBB293_768
.LBB293_369:
	s_or_b64 exec, exec, s[4:5]
	s_and_saveexec_b64 s[4:5], s[2:3]
	s_cbranch_execz .LBB293_371
.LBB293_370:
	v_and_b32_e32 v5, 7, v3
	v_ffbh_u32_e32 v6, v5
	v_min_u32_e32 v6, 32, v6
	v_lshrrev_b16_e32 v4, 3, v3
	v_subrev_u32_e32 v7, 28, v6
	v_lshlrev_b32_e32 v2, 24, v3
	v_and_b32_e32 v4, 15, v4
	v_lshlrev_b32_e32 v3, v7, v3
	v_sub_u32_e32 v6, 29, v6
	v_and_b32_e32 v3, 7, v3
	v_cmp_eq_u32_e32 vcc, 0, v4
	v_cndmask_b32_e32 v4, v4, v6, vcc
	v_cndmask_b32_e32 v3, v5, v3, vcc
	v_mov_b32_e32 v5, 0x3b800000
	v_lshlrev_b32_e32 v3, 20, v3
	v_and_b32_e32 v2, 0x80000000, v2
	v_lshl_add_u32 v4, v4, 23, v5
	v_or3_b32 v2, v2, v4, v3
.LBB293_371:
	s_or_b64 exec, exec, s[4:5]
	s_movk_i32 s2, 0x7f
	s_waitcnt vmcnt(0)
	v_cmp_gt_i16_sdwa s[4:5], v1, s2 src0_sel:BYTE_0 src1_sel:DWORD
	s_mov_b64 s[2:3], 0
	s_and_saveexec_b64 s[6:7], s[4:5]
	s_xor_b64 s[4:5], exec, s[6:7]
	s_cbranch_execnz .LBB293_769
; %bb.372:
	s_or_saveexec_b64 s[4:5], s[4:5]
	v_mov_b32_e32 v3, 0x7f800001
	s_xor_b64 exec, exec, s[4:5]
	s_cbranch_execnz .LBB293_772
.LBB293_373:
	s_or_b64 exec, exec, s[4:5]
	s_and_saveexec_b64 s[4:5], s[2:3]
	s_cbranch_execz .LBB293_375
.LBB293_374:
	v_and_b32_e32 v5, 7, v1
	v_ffbh_u32_e32 v6, v5
	v_min_u32_e32 v6, 32, v6
	v_lshrrev_b16_e32 v4, 3, v1
	v_subrev_u32_e32 v7, 28, v6
	v_lshlrev_b32_e32 v3, 24, v1
	v_and_b32_e32 v4, 15, v4
	v_lshlrev_b32_e32 v1, v7, v1
	v_sub_u32_e32 v6, 29, v6
	v_and_b32_e32 v1, 7, v1
	v_cmp_eq_u32_e32 vcc, 0, v4
	v_cndmask_b32_e32 v4, v4, v6, vcc
	v_cndmask_b32_e32 v1, v5, v1, vcc
	v_mov_b32_e32 v5, 0x3b800000
	v_lshlrev_b32_e32 v1, 20, v1
	v_and_b32_e32 v3, 0x80000000, v3
	v_lshl_add_u32 v4, v4, 23, v5
	v_or3_b32 v3, v3, v4, v1
.LBB293_375:
	s_or_b64 exec, exec, s[4:5]
	v_cmp_eq_f32_e64 s[2:3], v2, v3
.LBB293_376:
	s_waitcnt vmcnt(0)
	v_cndmask_b32_e64 v1, 0, 1, s[2:3]
	global_store_byte v0, v1, s[0:1]
.LBB293_377:
	s_or_b64 exec, exec, s[30:31]
                                        ; implicit-def: $vgpr41
                                        ; implicit-def: $vgpr7
.LBB293_378:
	s_andn2_saveexec_b64 s[0:1], s[16:17]
	s_cbranch_execz .LBB293_385
; %bb.379:
	v_cndmask_b32_e64 v0, 0, 1, s[14:15]
	v_cmp_ne_u32_e64 s[0:1], 1, v0
	s_andn2_b64 vcc, exec, s[14:15]
	s_cbranch_vccnz .LBB293_386
; %bb.380:
	s_cmp_lg_u32 s33, 0
	s_cbranch_scc0 .LBB293_387
; %bb.381:
	s_min_u32 s4, s40, 15
	s_add_i32 s2, s4, 1
	s_and_b32 s5, s2, 30
	s_add_u32 s2, s12, 0xffffffe8
	s_addc_u32 s3, s13, -1
	v_mov_b32_e32 v37, 0
	v_mov_b32_e32 v39, 0
	;; [unrolled: 1-line block ×4, first 2 shown]
.LBB293_382:                            ; =>This Inner Loop Header: Depth=1
	s_load_dwordx4 s[8:11], s[2:3], 0x1c
	s_load_dwordx2 s[6:7], s[2:3], 0x2c
	s_load_dwordx2 s[14:15], s[2:3], 0xec
	s_load_dwordx4 s[16:19], s[2:3], 0xdc
	s_add_u32 s2, s2, 24
	s_waitcnt lgkmcnt(0)
	v_mul_hi_u32 v2, s9, v1
	s_addc_u32 s3, s3, 0
	s_add_i32 s5, s5, -2
	s_cmp_lg_u32 s5, 0
	v_add_u32_e32 v2, v1, v2
	v_lshrrev_b32_e32 v2, s10, v2
	v_mul_lo_u32 v3, v2, s8
	v_mul_hi_u32 v4, s6, v2
	v_sub_u32_e32 v3, v1, v3
	v_add_u32_e32 v1, v2, v4
	v_lshrrev_b32_e32 v1, s7, v1
	v_mul_lo_u32 v6, v1, s11
	v_mul_lo_u32 v4, v3, s16
	;; [unrolled: 1-line block ×4, first 2 shown]
	v_sub_u32_e32 v2, v2, v6
	v_mul_lo_u32 v6, v2, s19
	v_mul_lo_u32 v8, v2, s14
	;; [unrolled: 1-line block ×3, first 2 shown]
	v_add3_u32 v0, v4, v0, v6
	v_add3_u32 v39, v5, v39, v8
	v_add3_u32 v37, v3, v37, v2
	s_cbranch_scc1 .LBB293_382
; %bb.383:
	s_bitcmp1_b32 s4, 0
	s_cselect_b64 s[4:5], -1, 0
	s_and_b64 vcc, exec, s[4:5]
	s_cbranch_vccnz .LBB293_388
; %bb.384:
	s_load_dwordx2 s[4:5], s[2:3], 0x1c
	s_load_dword s8, s[2:3], 0x24
	s_load_dwordx2 s[6:7], s[2:3], 0xdc
	s_waitcnt lgkmcnt(0)
	v_mul_hi_u32 v2, s5, v1
	v_add_u32_e32 v2, v1, v2
	v_lshrrev_b32_e32 v2, s8, v2
	v_mul_lo_u32 v2, v2, s4
	s_load_dword s4, s[2:3], 0xe4
	v_sub_u32_e32 v2, v1, v2
	v_mad_u64_u32 v[0:1], s[2:3], v2, s6, v[0:1]
	v_mad_u64_u32 v[39:40], s[2:3], v2, s7, v[39:40]
	s_waitcnt lgkmcnt(0)
	v_mad_u64_u32 v[37:38], s[2:3], v2, s4, v[37:38]
	s_cbranch_execz .LBB293_389
	s_branch .LBB293_391
.LBB293_385:
	s_endpgm
.LBB293_386:
                                        ; implicit-def: $vgpr0
                                        ; implicit-def: $vgpr39
                                        ; implicit-def: $vgpr37
	s_branch .LBB293_389
.LBB293_387:
	v_mov_b32_e32 v0, 0
	v_mov_b32_e32 v39, 0
	;; [unrolled: 1-line block ×3, first 2 shown]
.LBB293_388:
	s_cbranch_execnz .LBB293_391
.LBB293_389:
	s_load_dwordx4 s[4:7], s[12:13], 0x4
	s_load_dwordx4 s[8:11], s[12:13], 0xc4
	s_cmp_lt_u32 s33, 2
	s_waitcnt lgkmcnt(0)
	v_mul_hi_u32 v0, s5, v7
	v_add_u32_e32 v0, v7, v0
	v_lshrrev_b32_e32 v1, s6, v0
	v_mul_lo_u32 v0, v1, s4
	v_sub_u32_e32 v2, v7, v0
	v_mul_lo_u32 v0, v2, s8
	v_mul_lo_u32 v39, v2, s9
	;; [unrolled: 1-line block ×3, first 2 shown]
	s_cbranch_scc1 .LBB293_391
; %bb.390:
	s_load_dwordx4 s[4:7], s[12:13], 0x10
	s_load_dwordx4 s[8:11], s[12:13], 0xd0
	s_waitcnt lgkmcnt(0)
	v_mul_hi_u32 v2, s5, v1
	v_add_u32_e32 v2, v1, v2
	v_lshrrev_b32_e32 v2, s6, v2
	v_mul_lo_u32 v2, v2, s4
	v_sub_u32_e32 v2, v1, v2
	v_mad_u64_u32 v[0:1], s[2:3], v2, s8, v[0:1]
	v_mad_u64_u32 v[39:40], s[2:3], v2, s9, v[39:40]
	;; [unrolled: 1-line block ×3, first 2 shown]
.LBB293_391:
	s_and_b64 vcc, exec, s[0:1]
	v_add_u32_e32 v3, 0x80, v7
	s_cbranch_vccnz .LBB293_397
; %bb.392:
	s_cmp_lg_u32 s33, 0
	s_cbranch_scc0 .LBB293_398
; %bb.393:
	s_min_u32 s4, s40, 15
	s_add_i32 s2, s4, 1
	s_and_b32 s5, s2, 30
	s_add_u32 s2, s12, 0xffffffe8
	s_addc_u32 s3, s13, -1
	v_mov_b32_e32 v33, 0
	v_mov_b32_e32 v35, 0
	;; [unrolled: 1-line block ×4, first 2 shown]
.LBB293_394:                            ; =>This Inner Loop Header: Depth=1
	s_load_dwordx4 s[8:11], s[2:3], 0x1c
	s_load_dwordx2 s[6:7], s[2:3], 0x2c
	s_load_dwordx2 s[14:15], s[2:3], 0xec
	s_load_dwordx4 s[16:19], s[2:3], 0xdc
	s_add_u32 s2, s2, 24
	s_waitcnt lgkmcnt(0)
	v_mul_hi_u32 v4, s9, v2
	s_addc_u32 s3, s3, 0
	s_add_i32 s5, s5, -2
	s_cmp_lg_u32 s5, 0
	v_add_u32_e32 v4, v2, v4
	v_lshrrev_b32_e32 v4, s10, v4
	v_mul_lo_u32 v5, v4, s8
	v_mul_hi_u32 v6, s6, v4
	v_sub_u32_e32 v5, v2, v5
	v_add_u32_e32 v2, v4, v6
	v_lshrrev_b32_e32 v2, s7, v2
	v_mul_lo_u32 v9, v2, s11
	v_mul_lo_u32 v6, v5, s16
	;; [unrolled: 1-line block ×4, first 2 shown]
	v_sub_u32_e32 v4, v4, v9
	v_mul_lo_u32 v9, v4, s19
	v_mul_lo_u32 v10, v4, s14
	v_mul_lo_u32 v4, v4, s15
	v_add3_u32 v1, v6, v1, v9
	v_add3_u32 v35, v8, v35, v10
	;; [unrolled: 1-line block ×3, first 2 shown]
	s_cbranch_scc1 .LBB293_394
; %bb.395:
	s_bitcmp1_b32 s4, 0
	s_cselect_b64 s[4:5], -1, 0
	s_and_b64 vcc, exec, s[4:5]
	s_cbranch_vccnz .LBB293_399
; %bb.396:
	s_load_dwordx2 s[4:5], s[2:3], 0x1c
	s_load_dword s8, s[2:3], 0x24
	s_load_dwordx2 s[6:7], s[2:3], 0xdc
	s_waitcnt lgkmcnt(0)
	v_mul_hi_u32 v4, s5, v2
	v_add_u32_e32 v4, v2, v4
	v_lshrrev_b32_e32 v4, s8, v4
	v_mul_lo_u32 v4, v4, s4
	s_load_dword s4, s[2:3], 0xe4
	v_sub_u32_e32 v4, v2, v4
	v_mad_u64_u32 v[1:2], s[2:3], v4, s6, v[1:2]
	v_mad_u64_u32 v[35:36], s[2:3], v4, s7, v[35:36]
	s_waitcnt lgkmcnt(0)
	v_mad_u64_u32 v[33:34], s[2:3], v4, s4, v[33:34]
	s_cbranch_execz .LBB293_400
	s_branch .LBB293_402
.LBB293_397:
                                        ; implicit-def: $vgpr1
                                        ; implicit-def: $vgpr35
                                        ; implicit-def: $vgpr33
	s_branch .LBB293_400
.LBB293_398:
	v_mov_b32_e32 v1, 0
	v_mov_b32_e32 v35, 0
	v_mov_b32_e32 v33, 0
.LBB293_399:
	s_cbranch_execnz .LBB293_402
.LBB293_400:
	s_load_dwordx4 s[4:7], s[12:13], 0x4
	s_load_dwordx4 s[8:11], s[12:13], 0xc4
	s_cmp_lt_u32 s33, 2
	s_waitcnt lgkmcnt(0)
	v_mul_hi_u32 v1, s5, v3
	v_add_u32_e32 v1, v3, v1
	v_lshrrev_b32_e32 v2, s6, v1
	v_mul_lo_u32 v1, v2, s4
	v_sub_u32_e32 v3, v3, v1
	v_mul_lo_u32 v1, v3, s8
	v_mul_lo_u32 v35, v3, s9
	;; [unrolled: 1-line block ×3, first 2 shown]
	s_cbranch_scc1 .LBB293_402
; %bb.401:
	s_load_dwordx4 s[4:7], s[12:13], 0x10
	s_load_dwordx4 s[8:11], s[12:13], 0xd0
	s_waitcnt lgkmcnt(0)
	v_mul_hi_u32 v3, s5, v2
	v_add_u32_e32 v3, v2, v3
	v_lshrrev_b32_e32 v3, s6, v3
	v_mul_lo_u32 v3, v3, s4
	v_sub_u32_e32 v3, v2, v3
	v_mad_u64_u32 v[1:2], s[2:3], v3, s8, v[1:2]
	v_mad_u64_u32 v[35:36], s[2:3], v3, s9, v[35:36]
	;; [unrolled: 1-line block ×3, first 2 shown]
.LBB293_402:
	s_and_b64 vcc, exec, s[0:1]
	v_add_u32_e32 v4, 0x100, v7
	s_cbranch_vccnz .LBB293_408
; %bb.403:
	s_cmp_lg_u32 s33, 0
	s_cbranch_scc0 .LBB293_409
; %bb.404:
	s_min_u32 s4, s40, 15
	s_add_i32 s2, s4, 1
	s_and_b32 s5, s2, 30
	s_add_u32 s2, s12, 0xffffffe8
	s_addc_u32 s3, s13, -1
	v_mov_b32_e32 v29, 0
	v_mov_b32_e32 v31, 0
	;; [unrolled: 1-line block ×4, first 2 shown]
.LBB293_405:                            ; =>This Inner Loop Header: Depth=1
	s_load_dwordx4 s[8:11], s[2:3], 0x1c
	s_load_dwordx2 s[6:7], s[2:3], 0x2c
	s_load_dwordx2 s[14:15], s[2:3], 0xec
	s_load_dwordx4 s[16:19], s[2:3], 0xdc
	s_add_u32 s2, s2, 24
	s_waitcnt lgkmcnt(0)
	v_mul_hi_u32 v5, s9, v3
	s_addc_u32 s3, s3, 0
	s_add_i32 s5, s5, -2
	s_cmp_lg_u32 s5, 0
	v_add_u32_e32 v5, v3, v5
	v_lshrrev_b32_e32 v5, s10, v5
	v_mul_lo_u32 v6, v5, s8
	v_mul_hi_u32 v8, s6, v5
	v_sub_u32_e32 v6, v3, v6
	v_add_u32_e32 v3, v5, v8
	v_lshrrev_b32_e32 v3, s7, v3
	v_mul_lo_u32 v10, v3, s11
	v_mul_lo_u32 v8, v6, s16
	v_mul_lo_u32 v9, v6, s17
	v_mul_lo_u32 v6, v6, s18
	v_sub_u32_e32 v5, v5, v10
	v_mul_lo_u32 v10, v5, s19
	v_mul_lo_u32 v11, v5, s14
	;; [unrolled: 1-line block ×3, first 2 shown]
	v_add3_u32 v2, v8, v2, v10
	v_add3_u32 v31, v9, v31, v11
	;; [unrolled: 1-line block ×3, first 2 shown]
	s_cbranch_scc1 .LBB293_405
; %bb.406:
	s_bitcmp1_b32 s4, 0
	s_cselect_b64 s[4:5], -1, 0
	s_and_b64 vcc, exec, s[4:5]
	s_cbranch_vccnz .LBB293_410
; %bb.407:
	s_load_dwordx2 s[4:5], s[2:3], 0x1c
	s_load_dword s8, s[2:3], 0x24
	s_load_dwordx2 s[6:7], s[2:3], 0xdc
	s_waitcnt lgkmcnt(0)
	v_mul_hi_u32 v5, s5, v3
	v_add_u32_e32 v5, v3, v5
	v_lshrrev_b32_e32 v5, s8, v5
	v_mul_lo_u32 v5, v5, s4
	s_load_dword s4, s[2:3], 0xe4
	v_sub_u32_e32 v5, v3, v5
	v_mad_u64_u32 v[2:3], s[2:3], v5, s6, v[2:3]
	v_mad_u64_u32 v[31:32], s[2:3], v5, s7, v[31:32]
	s_waitcnt lgkmcnt(0)
	v_mad_u64_u32 v[29:30], s[2:3], v5, s4, v[29:30]
	s_cbranch_execz .LBB293_411
	s_branch .LBB293_413
.LBB293_408:
                                        ; implicit-def: $vgpr2
                                        ; implicit-def: $vgpr31
                                        ; implicit-def: $vgpr29
	s_branch .LBB293_411
.LBB293_409:
	v_mov_b32_e32 v2, 0
	v_mov_b32_e32 v31, 0
	;; [unrolled: 1-line block ×3, first 2 shown]
.LBB293_410:
	s_cbranch_execnz .LBB293_413
.LBB293_411:
	s_load_dwordx4 s[4:7], s[12:13], 0x4
	s_load_dwordx4 s[8:11], s[12:13], 0xc4
	s_cmp_lt_u32 s33, 2
	s_waitcnt lgkmcnt(0)
	v_mul_hi_u32 v2, s5, v4
	v_add_u32_e32 v2, v4, v2
	v_lshrrev_b32_e32 v3, s6, v2
	v_mul_lo_u32 v2, v3, s4
	v_sub_u32_e32 v4, v4, v2
	v_mul_lo_u32 v2, v4, s8
	v_mul_lo_u32 v31, v4, s9
	v_mul_lo_u32 v29, v4, s10
	s_cbranch_scc1 .LBB293_413
; %bb.412:
	s_load_dwordx4 s[4:7], s[12:13], 0x10
	s_load_dwordx4 s[8:11], s[12:13], 0xd0
	s_waitcnt lgkmcnt(0)
	v_mul_hi_u32 v4, s5, v3
	v_add_u32_e32 v4, v3, v4
	v_lshrrev_b32_e32 v4, s6, v4
	v_mul_lo_u32 v4, v4, s4
	v_sub_u32_e32 v4, v3, v4
	v_mad_u64_u32 v[2:3], s[2:3], v4, s8, v[2:3]
	v_mad_u64_u32 v[31:32], s[2:3], v4, s9, v[31:32]
	;; [unrolled: 1-line block ×3, first 2 shown]
.LBB293_413:
	s_and_b64 vcc, exec, s[0:1]
	v_add_u32_e32 v5, 0x180, v7
	s_cbranch_vccnz .LBB293_419
; %bb.414:
	s_cmp_lg_u32 s33, 0
	s_cbranch_scc0 .LBB293_420
; %bb.415:
	s_min_u32 s4, s40, 15
	s_add_i32 s2, s4, 1
	s_and_b32 s5, s2, 30
	s_add_u32 s2, s12, 0xffffffe8
	s_addc_u32 s3, s13, -1
	v_mov_b32_e32 v25, 0
	v_mov_b32_e32 v27, 0
	;; [unrolled: 1-line block ×4, first 2 shown]
.LBB293_416:                            ; =>This Inner Loop Header: Depth=1
	s_load_dwordx4 s[8:11], s[2:3], 0x1c
	s_load_dwordx2 s[6:7], s[2:3], 0x2c
	s_load_dwordx2 s[14:15], s[2:3], 0xec
	s_load_dwordx4 s[16:19], s[2:3], 0xdc
	s_add_u32 s2, s2, 24
	s_waitcnt lgkmcnt(0)
	v_mul_hi_u32 v6, s9, v4
	s_addc_u32 s3, s3, 0
	s_add_i32 s5, s5, -2
	s_cmp_lg_u32 s5, 0
	v_add_u32_e32 v6, v4, v6
	v_lshrrev_b32_e32 v6, s10, v6
	v_mul_lo_u32 v8, v6, s8
	v_mul_hi_u32 v9, s6, v6
	v_sub_u32_e32 v8, v4, v8
	v_add_u32_e32 v4, v6, v9
	v_lshrrev_b32_e32 v4, s7, v4
	v_mul_lo_u32 v11, v4, s11
	v_mul_lo_u32 v9, v8, s16
	;; [unrolled: 1-line block ×4, first 2 shown]
	v_sub_u32_e32 v6, v6, v11
	v_mul_lo_u32 v11, v6, s19
	v_mul_lo_u32 v12, v6, s14
	;; [unrolled: 1-line block ×3, first 2 shown]
	v_add3_u32 v3, v9, v3, v11
	v_add3_u32 v27, v10, v27, v12
	;; [unrolled: 1-line block ×3, first 2 shown]
	s_cbranch_scc1 .LBB293_416
; %bb.417:
	s_bitcmp1_b32 s4, 0
	s_cselect_b64 s[4:5], -1, 0
	s_and_b64 vcc, exec, s[4:5]
	s_cbranch_vccnz .LBB293_421
; %bb.418:
	s_load_dwordx2 s[4:5], s[2:3], 0x1c
	s_load_dword s8, s[2:3], 0x24
	s_load_dwordx2 s[6:7], s[2:3], 0xdc
	s_waitcnt lgkmcnt(0)
	v_mul_hi_u32 v6, s5, v4
	v_add_u32_e32 v6, v4, v6
	v_lshrrev_b32_e32 v6, s8, v6
	v_mul_lo_u32 v6, v6, s4
	s_load_dword s4, s[2:3], 0xe4
	v_sub_u32_e32 v6, v4, v6
	v_mad_u64_u32 v[3:4], s[2:3], v6, s6, v[3:4]
	v_mad_u64_u32 v[27:28], s[2:3], v6, s7, v[27:28]
	s_waitcnt lgkmcnt(0)
	v_mad_u64_u32 v[25:26], s[2:3], v6, s4, v[25:26]
	s_cbranch_execz .LBB293_422
	s_branch .LBB293_424
.LBB293_419:
                                        ; implicit-def: $vgpr3
                                        ; implicit-def: $vgpr27
                                        ; implicit-def: $vgpr25
	s_branch .LBB293_422
.LBB293_420:
	v_mov_b32_e32 v3, 0
	v_mov_b32_e32 v27, 0
	;; [unrolled: 1-line block ×3, first 2 shown]
.LBB293_421:
	s_cbranch_execnz .LBB293_424
.LBB293_422:
	s_load_dwordx4 s[4:7], s[12:13], 0x4
	s_load_dwordx4 s[8:11], s[12:13], 0xc4
	s_cmp_lt_u32 s33, 2
	s_waitcnt lgkmcnt(0)
	v_mul_hi_u32 v3, s5, v5
	v_add_u32_e32 v3, v5, v3
	v_lshrrev_b32_e32 v4, s6, v3
	v_mul_lo_u32 v3, v4, s4
	v_sub_u32_e32 v5, v5, v3
	v_mul_lo_u32 v3, v5, s8
	v_mul_lo_u32 v27, v5, s9
	v_mul_lo_u32 v25, v5, s10
	s_cbranch_scc1 .LBB293_424
; %bb.423:
	s_load_dwordx4 s[4:7], s[12:13], 0x10
	s_load_dwordx4 s[8:11], s[12:13], 0xd0
	s_waitcnt lgkmcnt(0)
	v_mul_hi_u32 v5, s5, v4
	v_add_u32_e32 v5, v4, v5
	v_lshrrev_b32_e32 v5, s6, v5
	v_mul_lo_u32 v5, v5, s4
	v_sub_u32_e32 v5, v4, v5
	v_mad_u64_u32 v[3:4], s[2:3], v5, s8, v[3:4]
	v_mad_u64_u32 v[27:28], s[2:3], v5, s9, v[27:28]
	;; [unrolled: 1-line block ×3, first 2 shown]
.LBB293_424:
	s_and_b64 vcc, exec, s[0:1]
	v_add_u32_e32 v6, 0x200, v7
	s_cbranch_vccnz .LBB293_430
; %bb.425:
	s_cmp_lg_u32 s33, 0
	s_cbranch_scc0 .LBB293_431
; %bb.426:
	s_min_u32 s4, s40, 15
	s_add_i32 s2, s4, 1
	s_and_b32 s5, s2, 30
	s_add_u32 s2, s12, 0xffffffe8
	s_addc_u32 s3, s13, -1
	v_mov_b32_e32 v21, 0
	v_mov_b32_e32 v23, 0
	;; [unrolled: 1-line block ×4, first 2 shown]
.LBB293_427:                            ; =>This Inner Loop Header: Depth=1
	s_load_dwordx4 s[8:11], s[2:3], 0x1c
	s_load_dwordx2 s[6:7], s[2:3], 0x2c
	s_load_dwordx2 s[14:15], s[2:3], 0xec
	s_load_dwordx4 s[16:19], s[2:3], 0xdc
	s_add_u32 s2, s2, 24
	s_waitcnt lgkmcnt(0)
	v_mul_hi_u32 v8, s9, v5
	s_addc_u32 s3, s3, 0
	s_add_i32 s5, s5, -2
	s_cmp_lg_u32 s5, 0
	v_add_u32_e32 v8, v5, v8
	v_lshrrev_b32_e32 v8, s10, v8
	v_mul_lo_u32 v9, v8, s8
	v_mul_hi_u32 v10, s6, v8
	v_sub_u32_e32 v9, v5, v9
	v_add_u32_e32 v5, v8, v10
	v_lshrrev_b32_e32 v5, s7, v5
	v_mul_lo_u32 v12, v5, s11
	v_mul_lo_u32 v10, v9, s16
	;; [unrolled: 1-line block ×4, first 2 shown]
	v_sub_u32_e32 v8, v8, v12
	v_mul_lo_u32 v12, v8, s19
	v_mul_lo_u32 v13, v8, s14
	;; [unrolled: 1-line block ×3, first 2 shown]
	v_add3_u32 v4, v10, v4, v12
	v_add3_u32 v23, v11, v23, v13
	;; [unrolled: 1-line block ×3, first 2 shown]
	s_cbranch_scc1 .LBB293_427
; %bb.428:
	s_bitcmp1_b32 s4, 0
	s_cselect_b64 s[4:5], -1, 0
	s_and_b64 vcc, exec, s[4:5]
	s_cbranch_vccnz .LBB293_432
; %bb.429:
	s_load_dwordx2 s[4:5], s[2:3], 0x1c
	s_load_dword s8, s[2:3], 0x24
	s_load_dwordx2 s[6:7], s[2:3], 0xdc
	s_waitcnt lgkmcnt(0)
	v_mul_hi_u32 v8, s5, v5
	v_add_u32_e32 v8, v5, v8
	v_lshrrev_b32_e32 v8, s8, v8
	v_mul_lo_u32 v8, v8, s4
	s_load_dword s4, s[2:3], 0xe4
	v_sub_u32_e32 v8, v5, v8
	v_mad_u64_u32 v[4:5], s[2:3], v8, s6, v[4:5]
	v_mad_u64_u32 v[23:24], s[2:3], v8, s7, v[23:24]
	s_waitcnt lgkmcnt(0)
	v_mad_u64_u32 v[21:22], s[2:3], v8, s4, v[21:22]
	s_cbranch_execz .LBB293_433
	s_branch .LBB293_435
.LBB293_430:
                                        ; implicit-def: $vgpr4
                                        ; implicit-def: $vgpr23
                                        ; implicit-def: $vgpr21
	s_branch .LBB293_433
.LBB293_431:
	v_mov_b32_e32 v4, 0
	v_mov_b32_e32 v23, 0
	;; [unrolled: 1-line block ×3, first 2 shown]
.LBB293_432:
	s_cbranch_execnz .LBB293_435
.LBB293_433:
	s_load_dwordx4 s[4:7], s[12:13], 0x4
	s_load_dwordx4 s[8:11], s[12:13], 0xc4
	s_cmp_lt_u32 s33, 2
	s_waitcnt lgkmcnt(0)
	v_mul_hi_u32 v4, s5, v6
	v_add_u32_e32 v4, v6, v4
	v_lshrrev_b32_e32 v5, s6, v4
	v_mul_lo_u32 v4, v5, s4
	v_sub_u32_e32 v6, v6, v4
	v_mul_lo_u32 v4, v6, s8
	v_mul_lo_u32 v23, v6, s9
	v_mul_lo_u32 v21, v6, s10
	s_cbranch_scc1 .LBB293_435
; %bb.434:
	s_load_dwordx4 s[4:7], s[12:13], 0x10
	s_load_dwordx4 s[8:11], s[12:13], 0xd0
	s_waitcnt lgkmcnt(0)
	v_mul_hi_u32 v6, s5, v5
	v_add_u32_e32 v6, v5, v6
	v_lshrrev_b32_e32 v6, s6, v6
	v_mul_lo_u32 v6, v6, s4
	v_sub_u32_e32 v6, v5, v6
	v_mad_u64_u32 v[4:5], s[2:3], v6, s8, v[4:5]
	v_mad_u64_u32 v[23:24], s[2:3], v6, s9, v[23:24]
	;; [unrolled: 1-line block ×3, first 2 shown]
.LBB293_435:
	s_and_b64 vcc, exec, s[0:1]
	v_add_u32_e32 v8, 0x280, v7
	s_cbranch_vccnz .LBB293_441
; %bb.436:
	s_cmp_lg_u32 s33, 0
	s_cbranch_scc0 .LBB293_442
; %bb.437:
	s_min_u32 s4, s40, 15
	s_add_i32 s2, s4, 1
	s_and_b32 s5, s2, 30
	s_add_u32 s2, s12, 0xffffffe8
	s_addc_u32 s3, s13, -1
	v_mov_b32_e32 v17, 0
	v_mov_b32_e32 v19, 0
	;; [unrolled: 1-line block ×4, first 2 shown]
.LBB293_438:                            ; =>This Inner Loop Header: Depth=1
	s_load_dwordx4 s[8:11], s[2:3], 0x1c
	s_load_dwordx2 s[6:7], s[2:3], 0x2c
	s_load_dwordx2 s[14:15], s[2:3], 0xec
	s_load_dwordx4 s[16:19], s[2:3], 0xdc
	s_add_u32 s2, s2, 24
	s_waitcnt lgkmcnt(0)
	v_mul_hi_u32 v9, s9, v6
	s_addc_u32 s3, s3, 0
	s_add_i32 s5, s5, -2
	s_cmp_lg_u32 s5, 0
	v_add_u32_e32 v9, v6, v9
	v_lshrrev_b32_e32 v9, s10, v9
	v_mul_lo_u32 v10, v9, s8
	v_mul_hi_u32 v11, s6, v9
	v_sub_u32_e32 v10, v6, v10
	v_add_u32_e32 v6, v9, v11
	v_lshrrev_b32_e32 v6, s7, v6
	v_mul_lo_u32 v13, v6, s11
	v_mul_lo_u32 v11, v10, s16
	;; [unrolled: 1-line block ×4, first 2 shown]
	v_sub_u32_e32 v9, v9, v13
	v_mul_lo_u32 v13, v9, s19
	v_mul_lo_u32 v14, v9, s14
	;; [unrolled: 1-line block ×3, first 2 shown]
	v_add3_u32 v5, v11, v5, v13
	v_add3_u32 v19, v12, v19, v14
	;; [unrolled: 1-line block ×3, first 2 shown]
	s_cbranch_scc1 .LBB293_438
; %bb.439:
	s_bitcmp1_b32 s4, 0
	s_cselect_b64 s[4:5], -1, 0
	s_and_b64 vcc, exec, s[4:5]
	s_cbranch_vccnz .LBB293_443
; %bb.440:
	s_load_dwordx2 s[4:5], s[2:3], 0x1c
	s_load_dword s8, s[2:3], 0x24
	s_load_dwordx2 s[6:7], s[2:3], 0xdc
	s_waitcnt lgkmcnt(0)
	v_mul_hi_u32 v9, s5, v6
	v_add_u32_e32 v9, v6, v9
	v_lshrrev_b32_e32 v9, s8, v9
	v_mul_lo_u32 v9, v9, s4
	s_load_dword s4, s[2:3], 0xe4
	v_sub_u32_e32 v9, v6, v9
	v_mad_u64_u32 v[5:6], s[2:3], v9, s6, v[5:6]
	v_mad_u64_u32 v[19:20], s[2:3], v9, s7, v[19:20]
	s_waitcnt lgkmcnt(0)
	v_mad_u64_u32 v[17:18], s[2:3], v9, s4, v[17:18]
	s_cbranch_execz .LBB293_444
	s_branch .LBB293_446
.LBB293_441:
                                        ; implicit-def: $vgpr5
                                        ; implicit-def: $vgpr19
                                        ; implicit-def: $vgpr17
	s_branch .LBB293_444
.LBB293_442:
	v_mov_b32_e32 v5, 0
	v_mov_b32_e32 v19, 0
	;; [unrolled: 1-line block ×3, first 2 shown]
.LBB293_443:
	s_cbranch_execnz .LBB293_446
.LBB293_444:
	s_load_dwordx4 s[4:7], s[12:13], 0x4
	s_load_dwordx4 s[8:11], s[12:13], 0xc4
	s_cmp_lt_u32 s33, 2
	s_waitcnt lgkmcnt(0)
	v_mul_hi_u32 v5, s5, v8
	v_add_u32_e32 v5, v8, v5
	v_lshrrev_b32_e32 v6, s6, v5
	v_mul_lo_u32 v5, v6, s4
	v_sub_u32_e32 v8, v8, v5
	v_mul_lo_u32 v5, v8, s8
	v_mul_lo_u32 v19, v8, s9
	;; [unrolled: 1-line block ×3, first 2 shown]
	s_cbranch_scc1 .LBB293_446
; %bb.445:
	s_load_dwordx4 s[4:7], s[12:13], 0x10
	s_load_dwordx4 s[8:11], s[12:13], 0xd0
	s_waitcnt lgkmcnt(0)
	v_mul_hi_u32 v8, s5, v6
	v_add_u32_e32 v8, v6, v8
	v_lshrrev_b32_e32 v8, s6, v8
	v_mul_lo_u32 v8, v8, s4
	v_sub_u32_e32 v8, v6, v8
	v_mad_u64_u32 v[5:6], s[2:3], v8, s8, v[5:6]
	v_mad_u64_u32 v[19:20], s[2:3], v8, s9, v[19:20]
	v_mad_u64_u32 v[17:18], s[2:3], v8, s10, v[17:18]
.LBB293_446:
	s_and_b64 vcc, exec, s[0:1]
	v_add_u32_e32 v8, 0x300, v7
	s_cbranch_vccnz .LBB293_452
; %bb.447:
	s_cmp_lg_u32 s33, 0
	s_cbranch_scc0 .LBB293_453
; %bb.448:
	s_min_u32 s4, s40, 15
	s_add_i32 s2, s4, 1
	s_and_b32 s5, s2, 30
	s_add_u32 s2, s12, 0xffffffe8
	s_addc_u32 s3, s13, -1
	v_mov_b32_e32 v13, 0
	v_mov_b32_e32 v15, 0
	;; [unrolled: 1-line block ×4, first 2 shown]
.LBB293_449:                            ; =>This Inner Loop Header: Depth=1
	s_load_dwordx4 s[8:11], s[2:3], 0x1c
	s_load_dwordx2 s[6:7], s[2:3], 0x2c
	s_load_dwordx2 s[14:15], s[2:3], 0xec
	s_load_dwordx4 s[16:19], s[2:3], 0xdc
	s_add_u32 s2, s2, 24
	s_waitcnt lgkmcnt(0)
	v_mul_hi_u32 v9, s9, v7
	s_addc_u32 s3, s3, 0
	s_add_i32 s5, s5, -2
	s_cmp_lg_u32 s5, 0
	v_add_u32_e32 v9, v7, v9
	v_lshrrev_b32_e32 v9, s10, v9
	v_mul_lo_u32 v10, v9, s8
	v_mul_hi_u32 v11, s6, v9
	v_sub_u32_e32 v10, v7, v10
	v_add_u32_e32 v7, v9, v11
	v_lshrrev_b32_e32 v7, s7, v7
	v_mul_lo_u32 v14, v7, s11
	v_mul_lo_u32 v11, v10, s16
	;; [unrolled: 1-line block ×4, first 2 shown]
	v_sub_u32_e32 v9, v9, v14
	v_mul_lo_u32 v14, v9, s19
	v_mul_lo_u32 v16, v9, s14
	;; [unrolled: 1-line block ×3, first 2 shown]
	v_add3_u32 v6, v11, v6, v14
	v_add3_u32 v15, v12, v15, v16
	;; [unrolled: 1-line block ×3, first 2 shown]
	s_cbranch_scc1 .LBB293_449
; %bb.450:
	s_bitcmp1_b32 s4, 0
	s_cselect_b64 s[4:5], -1, 0
	s_and_b64 vcc, exec, s[4:5]
	s_cbranch_vccnz .LBB293_454
; %bb.451:
	s_load_dwordx2 s[4:5], s[2:3], 0x1c
	s_load_dword s8, s[2:3], 0x24
	s_load_dwordx2 s[6:7], s[2:3], 0xdc
	s_waitcnt lgkmcnt(0)
	v_mul_hi_u32 v9, s5, v7
	v_add_u32_e32 v9, v7, v9
	v_lshrrev_b32_e32 v9, s8, v9
	v_mul_lo_u32 v9, v9, s4
	s_load_dword s4, s[2:3], 0xe4
	v_sub_u32_e32 v9, v7, v9
	v_mad_u64_u32 v[6:7], s[2:3], v9, s6, v[6:7]
	v_mad_u64_u32 v[15:16], s[2:3], v9, s7, v[15:16]
	s_waitcnt lgkmcnt(0)
	v_mad_u64_u32 v[13:14], s[2:3], v9, s4, v[13:14]
	s_cbranch_execz .LBB293_455
	s_branch .LBB293_457
.LBB293_452:
                                        ; implicit-def: $vgpr6
                                        ; implicit-def: $vgpr15
                                        ; implicit-def: $vgpr13
	s_branch .LBB293_455
.LBB293_453:
	v_mov_b32_e32 v6, 0
	v_mov_b32_e32 v15, 0
	;; [unrolled: 1-line block ×3, first 2 shown]
.LBB293_454:
	s_cbranch_execnz .LBB293_457
.LBB293_455:
	s_load_dwordx4 s[4:7], s[12:13], 0x4
	s_load_dwordx4 s[8:11], s[12:13], 0xc4
	s_cmp_lt_u32 s33, 2
	s_waitcnt lgkmcnt(0)
	v_mul_hi_u32 v6, s5, v8
	v_add_u32_e32 v6, v8, v6
	v_lshrrev_b32_e32 v7, s6, v6
	v_mul_lo_u32 v6, v7, s4
	v_sub_u32_e32 v8, v8, v6
	v_mul_lo_u32 v6, v8, s8
	v_mul_lo_u32 v15, v8, s9
	;; [unrolled: 1-line block ×3, first 2 shown]
	s_cbranch_scc1 .LBB293_457
; %bb.456:
	s_load_dwordx4 s[4:7], s[12:13], 0x10
	s_load_dwordx4 s[8:11], s[12:13], 0xd0
	s_waitcnt lgkmcnt(0)
	v_mul_hi_u32 v8, s5, v7
	v_add_u32_e32 v8, v7, v8
	v_lshrrev_b32_e32 v8, s6, v8
	v_mul_lo_u32 v8, v8, s4
	v_sub_u32_e32 v8, v7, v8
	v_mad_u64_u32 v[6:7], s[2:3], v8, s8, v[6:7]
	v_mad_u64_u32 v[15:16], s[2:3], v8, s9, v[15:16]
	;; [unrolled: 1-line block ×3, first 2 shown]
.LBB293_457:
	s_and_b64 vcc, exec, s[0:1]
	s_cbranch_vccnz .LBB293_463
; %bb.458:
	s_cmp_lg_u32 s33, 0
	s_cbranch_scc0 .LBB293_464
; %bb.459:
	s_min_u32 s2, s40, 15
	s_add_i32 s0, s2, 1
	s_and_b32 s3, s0, 30
	s_add_u32 s0, s12, 0xffffffe8
	s_addc_u32 s1, s13, -1
	v_mov_b32_e32 v11, 0
	v_mov_b32_e32 v9, 0
	;; [unrolled: 1-line block ×4, first 2 shown]
.LBB293_460:                            ; =>This Inner Loop Header: Depth=1
	s_load_dwordx4 s[4:7], s[0:1], 0x1c
	s_load_dwordx2 s[14:15], s[0:1], 0x2c
	s_load_dwordx2 s[16:17], s[0:1], 0xec
	s_load_dwordx4 s[8:11], s[0:1], 0xdc
	s_add_u32 s0, s0, 24
	s_waitcnt lgkmcnt(0)
	v_mul_hi_u32 v10, s5, v8
	s_addc_u32 s1, s1, 0
	s_add_i32 s3, s3, -2
	s_cmp_lg_u32 s3, 0
	v_add_u32_e32 v10, v8, v10
	v_lshrrev_b32_e32 v10, s6, v10
	v_mul_lo_u32 v12, v10, s4
	v_mul_hi_u32 v14, s14, v10
	v_sub_u32_e32 v12, v8, v12
	v_add_u32_e32 v8, v10, v14
	v_lshrrev_b32_e32 v8, s15, v8
	v_mul_lo_u32 v18, v8, s7
	v_mul_lo_u32 v14, v12, s8
	;; [unrolled: 1-line block ×4, first 2 shown]
	v_sub_u32_e32 v10, v10, v18
	v_mul_lo_u32 v18, v10, s11
	v_mul_lo_u32 v20, v10, s16
	;; [unrolled: 1-line block ×3, first 2 shown]
	v_add3_u32 v7, v14, v7, v18
	v_add3_u32 v9, v16, v9, v20
	;; [unrolled: 1-line block ×3, first 2 shown]
	s_cbranch_scc1 .LBB293_460
; %bb.461:
	s_bitcmp1_b32 s2, 0
	s_cselect_b64 s[2:3], -1, 0
	s_and_b64 vcc, exec, s[2:3]
	s_cbranch_vccnz .LBB293_465
; %bb.462:
	s_load_dwordx2 s[2:3], s[0:1], 0x1c
	s_load_dword s6, s[0:1], 0x24
	s_load_dwordx2 s[4:5], s[0:1], 0xdc
	s_waitcnt lgkmcnt(0)
	v_mul_hi_u32 v10, s3, v8
	v_add_u32_e32 v10, v8, v10
	v_lshrrev_b32_e32 v10, s6, v10
	v_mul_lo_u32 v10, v10, s2
	s_load_dword s2, s[0:1], 0xe4
	v_sub_u32_e32 v12, v8, v10
	v_mad_u64_u32 v[7:8], s[0:1], v12, s4, v[7:8]
	v_mad_u64_u32 v[9:10], s[0:1], v12, s5, v[9:10]
	s_waitcnt lgkmcnt(0)
	v_mad_u64_u32 v[11:12], s[0:1], v12, s2, v[11:12]
	s_cbranch_execz .LBB293_466
	s_branch .LBB293_468
.LBB293_463:
                                        ; implicit-def: $vgpr7
                                        ; implicit-def: $vgpr9
                                        ; implicit-def: $vgpr11
	s_branch .LBB293_466
.LBB293_464:
	v_mov_b32_e32 v7, 0
	v_mov_b32_e32 v9, 0
	;; [unrolled: 1-line block ×3, first 2 shown]
.LBB293_465:
	s_cbranch_execnz .LBB293_468
.LBB293_466:
	s_load_dwordx4 s[0:3], s[12:13], 0x4
	s_load_dwordx4 s[4:7], s[12:13], 0xc4
	s_cmp_lt_u32 s33, 2
	s_waitcnt lgkmcnt(0)
	v_mul_hi_u32 v7, s1, v41
	v_add_u32_e32 v7, v41, v7
	v_lshrrev_b32_e32 v8, s2, v7
	v_mul_lo_u32 v7, v8, s0
	v_sub_u32_e32 v10, v41, v7
	v_mul_lo_u32 v7, v10, s4
	v_mul_lo_u32 v9, v10, s5
	v_mul_lo_u32 v11, v10, s6
	s_cbranch_scc1 .LBB293_468
; %bb.467:
	s_load_dwordx4 s[0:3], s[12:13], 0x10
	s_load_dwordx4 s[4:7], s[12:13], 0xd0
	s_waitcnt lgkmcnt(0)
	v_mul_hi_u32 v10, s1, v8
	v_add_u32_e32 v10, v8, v10
	v_lshrrev_b32_e32 v10, s2, v10
	v_mul_lo_u32 v10, v10, s0
	v_sub_u32_e32 v12, v8, v10
	v_mad_u64_u32 v[7:8], s[0:1], v12, s4, v[7:8]
	v_mad_u64_u32 v[9:10], s[0:1], v12, s5, v[9:10]
	;; [unrolled: 1-line block ×3, first 2 shown]
.LBB293_468:
	s_load_dwordx4 s[0:3], s[12:13], 0x188
	s_load_dwordx2 s[6:7], s[12:13], 0x198
	s_load_dword s4, s[12:13], 0x1a0
	s_waitcnt lgkmcnt(0)
	global_load_ubyte v10, v39, s[2:3]
	global_load_ubyte v8, v37, s[6:7]
	s_cmp_lg_u32 s4, 0
	s_cselect_b64 s[8:9], -1, 0
	s_and_b64 vcc, exec, s[8:9]
	s_cbranch_vccz .LBB293_548
; %bb.469:
	s_movk_i32 s4, 0x7f
	s_waitcnt vmcnt(1)
	v_cmp_gt_i16_sdwa s[10:11], v10, s4 src0_sel:BYTE_0 src1_sel:DWORD
	s_mov_b64 s[4:5], 0
	s_and_saveexec_b64 s[12:13], s[10:11]
	s_xor_b64 s[10:11], exec, s[12:13]
	s_cbranch_execnz .LBB293_629
; %bb.470:
	s_or_saveexec_b64 s[10:11], s[10:11]
	v_mov_b32_e32 v12, 0x7f800001
	s_xor_b64 exec, exec, s[10:11]
	s_cbranch_execnz .LBB293_632
.LBB293_471:
	s_or_b64 exec, exec, s[10:11]
	s_and_saveexec_b64 s[10:11], s[4:5]
	s_cbranch_execz .LBB293_473
.LBB293_472:
	v_and_b32_e32 v16, 7, v10
	v_ffbh_u32_e32 v18, v16
	v_min_u32_e32 v18, 32, v18
	v_lshrrev_b16_e32 v14, 3, v10
	v_subrev_u32_e32 v20, 28, v18
	v_and_b32_e32 v14, 15, v14
	v_lshlrev_b32_e32 v20, v20, v10
	v_sub_u32_e32 v18, 29, v18
	v_and_b32_e32 v20, 7, v20
	v_cmp_eq_u32_e32 vcc, 0, v14
	v_lshlrev_b32_e32 v12, 24, v10
	v_cndmask_b32_e32 v14, v14, v18, vcc
	v_cndmask_b32_e32 v16, v16, v20, vcc
	v_mov_b32_e32 v18, 0x3b800000
	v_lshlrev_b32_e32 v16, 20, v16
	v_and_b32_e32 v12, 0x80000000, v12
	v_lshl_add_u32 v14, v14, 23, v18
	v_or3_b32 v12, v12, v14, v16
.LBB293_473:
	s_or_b64 exec, exec, s[10:11]
	s_movk_i32 s4, 0x7f
	s_waitcnt vmcnt(0)
	v_cmp_gt_i16_sdwa s[10:11], v8, s4 src0_sel:BYTE_0 src1_sel:DWORD
	s_mov_b64 s[4:5], 0
	s_and_saveexec_b64 s[12:13], s[10:11]
	s_xor_b64 s[10:11], exec, s[12:13]
	s_cbranch_execnz .LBB293_633
; %bb.474:
	s_or_saveexec_b64 s[10:11], s[10:11]
	v_mov_b32_e32 v14, 0x7f800001
	s_xor_b64 exec, exec, s[10:11]
	s_cbranch_execnz .LBB293_636
.LBB293_475:
	s_or_b64 exec, exec, s[10:11]
	s_and_saveexec_b64 s[10:11], s[4:5]
	s_cbranch_execz .LBB293_477
.LBB293_476:
	v_and_b32_e32 v18, 7, v8
	v_ffbh_u32_e32 v20, v18
	v_min_u32_e32 v20, 32, v20
	v_lshrrev_b16_e32 v16, 3, v8
	v_subrev_u32_e32 v22, 28, v20
	v_and_b32_e32 v16, 15, v16
	v_lshlrev_b32_e32 v22, v22, v8
	v_sub_u32_e32 v20, 29, v20
	v_and_b32_e32 v22, 7, v22
	v_cmp_eq_u32_e32 vcc, 0, v16
	v_lshlrev_b32_e32 v14, 24, v8
	v_cndmask_b32_e32 v16, v16, v20, vcc
	v_cndmask_b32_e32 v18, v18, v22, vcc
	v_mov_b32_e32 v20, 0x3b800000
	v_lshlrev_b32_e32 v18, 20, v18
	v_and_b32_e32 v14, 0x80000000, v14
	v_lshl_add_u32 v16, v16, 23, v20
	v_or3_b32 v14, v14, v16, v18
.LBB293_477:
	s_or_b64 exec, exec, s[10:11]
	v_cmp_neq_f32_e64 s[4:5], v12, v14
.LBB293_478:
	global_load_ubyte v10, v35, s[2:3]
	global_load_ubyte v8, v33, s[6:7]
	s_and_b64 vcc, exec, s[8:9]
	s_cbranch_vccz .LBB293_558
.LBB293_479:
	s_movk_i32 s10, 0x7f
	s_waitcnt vmcnt(1)
	v_cmp_gt_i16_sdwa s[12:13], v10, s10 src0_sel:BYTE_0 src1_sel:DWORD
	s_mov_b64 s[10:11], 0
	s_and_saveexec_b64 s[14:15], s[12:13]
	s_xor_b64 s[12:13], exec, s[14:15]
	s_cbranch_execnz .LBB293_637
; %bb.480:
	s_or_saveexec_b64 s[12:13], s[12:13]
	v_mov_b32_e32 v12, 0x7f800001
	s_xor_b64 exec, exec, s[12:13]
	s_cbranch_execnz .LBB293_640
.LBB293_481:
	s_or_b64 exec, exec, s[12:13]
	s_and_saveexec_b64 s[12:13], s[10:11]
	s_cbranch_execz .LBB293_483
.LBB293_482:
	v_and_b32_e32 v16, 7, v10
	v_ffbh_u32_e32 v18, v16
	v_min_u32_e32 v18, 32, v18
	v_lshrrev_b16_e32 v14, 3, v10
	v_subrev_u32_e32 v20, 28, v18
	v_and_b32_e32 v14, 15, v14
	v_lshlrev_b32_e32 v20, v20, v10
	v_sub_u32_e32 v18, 29, v18
	v_and_b32_e32 v20, 7, v20
	v_cmp_eq_u32_e32 vcc, 0, v14
	v_lshlrev_b32_e32 v12, 24, v10
	v_cndmask_b32_e32 v14, v14, v18, vcc
	v_cndmask_b32_e32 v16, v16, v20, vcc
	v_mov_b32_e32 v18, 0x3b800000
	v_lshlrev_b32_e32 v16, 20, v16
	v_and_b32_e32 v12, 0x80000000, v12
	v_lshl_add_u32 v14, v14, 23, v18
	v_or3_b32 v12, v12, v14, v16
.LBB293_483:
	s_or_b64 exec, exec, s[12:13]
	s_movk_i32 s10, 0x7f
	s_waitcnt vmcnt(0)
	v_cmp_gt_i16_sdwa s[12:13], v8, s10 src0_sel:BYTE_0 src1_sel:DWORD
	s_mov_b64 s[10:11], 0
	s_and_saveexec_b64 s[14:15], s[12:13]
	s_xor_b64 s[12:13], exec, s[14:15]
	s_cbranch_execnz .LBB293_641
; %bb.484:
	s_or_saveexec_b64 s[12:13], s[12:13]
	v_mov_b32_e32 v14, 0x7f800001
	s_xor_b64 exec, exec, s[12:13]
	s_cbranch_execnz .LBB293_644
.LBB293_485:
	s_or_b64 exec, exec, s[12:13]
	s_and_saveexec_b64 s[12:13], s[10:11]
	s_cbranch_execz .LBB293_487
.LBB293_486:
	v_and_b32_e32 v18, 7, v8
	v_ffbh_u32_e32 v20, v18
	v_min_u32_e32 v20, 32, v20
	v_lshrrev_b16_e32 v16, 3, v8
	v_subrev_u32_e32 v22, 28, v20
	v_and_b32_e32 v16, 15, v16
	v_lshlrev_b32_e32 v22, v22, v8
	v_sub_u32_e32 v20, 29, v20
	v_and_b32_e32 v22, 7, v22
	v_cmp_eq_u32_e32 vcc, 0, v16
	v_lshlrev_b32_e32 v14, 24, v8
	v_cndmask_b32_e32 v16, v16, v20, vcc
	v_cndmask_b32_e32 v18, v18, v22, vcc
	v_mov_b32_e32 v20, 0x3b800000
	v_lshlrev_b32_e32 v18, 20, v18
	v_and_b32_e32 v14, 0x80000000, v14
	v_lshl_add_u32 v16, v16, 23, v20
	v_or3_b32 v14, v14, v16, v18
.LBB293_487:
	s_or_b64 exec, exec, s[12:13]
	v_cmp_neq_f32_e64 s[10:11], v12, v14
.LBB293_488:
	global_load_ubyte v10, v31, s[2:3]
	global_load_ubyte v8, v29, s[6:7]
	s_and_b64 vcc, exec, s[8:9]
	s_cbranch_vccz .LBB293_568
.LBB293_489:
	s_movk_i32 s12, 0x7f
	s_waitcnt vmcnt(1)
	v_cmp_gt_i16_sdwa s[14:15], v10, s12 src0_sel:BYTE_0 src1_sel:DWORD
	s_mov_b64 s[12:13], 0
	s_and_saveexec_b64 s[16:17], s[14:15]
	s_xor_b64 s[14:15], exec, s[16:17]
	s_cbranch_execnz .LBB293_645
; %bb.490:
	s_or_saveexec_b64 s[14:15], s[14:15]
	v_mov_b32_e32 v12, 0x7f800001
	s_xor_b64 exec, exec, s[14:15]
	s_cbranch_execnz .LBB293_648
.LBB293_491:
	s_or_b64 exec, exec, s[14:15]
	s_and_saveexec_b64 s[14:15], s[12:13]
	s_cbranch_execz .LBB293_493
.LBB293_492:
	v_and_b32_e32 v16, 7, v10
	v_ffbh_u32_e32 v18, v16
	v_min_u32_e32 v18, 32, v18
	v_lshrrev_b16_e32 v14, 3, v10
	v_subrev_u32_e32 v20, 28, v18
	v_and_b32_e32 v14, 15, v14
	v_lshlrev_b32_e32 v20, v20, v10
	v_sub_u32_e32 v18, 29, v18
	v_and_b32_e32 v20, 7, v20
	v_cmp_eq_u32_e32 vcc, 0, v14
	v_lshlrev_b32_e32 v12, 24, v10
	v_cndmask_b32_e32 v14, v14, v18, vcc
	v_cndmask_b32_e32 v16, v16, v20, vcc
	v_mov_b32_e32 v18, 0x3b800000
	v_lshlrev_b32_e32 v16, 20, v16
	v_and_b32_e32 v12, 0x80000000, v12
	v_lshl_add_u32 v14, v14, 23, v18
	v_or3_b32 v12, v12, v14, v16
.LBB293_493:
	s_or_b64 exec, exec, s[14:15]
	s_movk_i32 s12, 0x7f
	s_waitcnt vmcnt(0)
	v_cmp_gt_i16_sdwa s[14:15], v8, s12 src0_sel:BYTE_0 src1_sel:DWORD
	s_mov_b64 s[12:13], 0
	s_and_saveexec_b64 s[16:17], s[14:15]
	s_xor_b64 s[14:15], exec, s[16:17]
	s_cbranch_execnz .LBB293_649
; %bb.494:
	s_or_saveexec_b64 s[14:15], s[14:15]
	v_mov_b32_e32 v14, 0x7f800001
	s_xor_b64 exec, exec, s[14:15]
	s_cbranch_execnz .LBB293_652
.LBB293_495:
	s_or_b64 exec, exec, s[14:15]
	s_and_saveexec_b64 s[14:15], s[12:13]
	s_cbranch_execz .LBB293_497
.LBB293_496:
	v_and_b32_e32 v18, 7, v8
	v_ffbh_u32_e32 v20, v18
	v_min_u32_e32 v20, 32, v20
	v_lshrrev_b16_e32 v16, 3, v8
	v_subrev_u32_e32 v22, 28, v20
	v_and_b32_e32 v16, 15, v16
	v_lshlrev_b32_e32 v22, v22, v8
	v_sub_u32_e32 v20, 29, v20
	v_and_b32_e32 v22, 7, v22
	v_cmp_eq_u32_e32 vcc, 0, v16
	v_lshlrev_b32_e32 v14, 24, v8
	v_cndmask_b32_e32 v16, v16, v20, vcc
	v_cndmask_b32_e32 v18, v18, v22, vcc
	v_mov_b32_e32 v20, 0x3b800000
	v_lshlrev_b32_e32 v18, 20, v18
	v_and_b32_e32 v14, 0x80000000, v14
	v_lshl_add_u32 v16, v16, 23, v20
	v_or3_b32 v14, v14, v16, v18
.LBB293_497:
	s_or_b64 exec, exec, s[14:15]
	v_cmp_neq_f32_e64 s[12:13], v12, v14
.LBB293_498:
	global_load_ubyte v10, v27, s[2:3]
	global_load_ubyte v8, v25, s[6:7]
	s_and_b64 vcc, exec, s[8:9]
	s_cbranch_vccz .LBB293_578
.LBB293_499:
	s_movk_i32 s14, 0x7f
	s_waitcnt vmcnt(1)
	v_cmp_gt_i16_sdwa s[16:17], v10, s14 src0_sel:BYTE_0 src1_sel:DWORD
	s_mov_b64 s[14:15], 0
	s_and_saveexec_b64 s[18:19], s[16:17]
	s_xor_b64 s[16:17], exec, s[18:19]
	s_cbranch_execnz .LBB293_653
; %bb.500:
	s_or_saveexec_b64 s[16:17], s[16:17]
	v_mov_b32_e32 v12, 0x7f800001
	s_xor_b64 exec, exec, s[16:17]
	s_cbranch_execnz .LBB293_656
.LBB293_501:
	s_or_b64 exec, exec, s[16:17]
	s_and_saveexec_b64 s[16:17], s[14:15]
	s_cbranch_execz .LBB293_503
.LBB293_502:
	v_and_b32_e32 v16, 7, v10
	v_ffbh_u32_e32 v18, v16
	v_min_u32_e32 v18, 32, v18
	v_lshrrev_b16_e32 v14, 3, v10
	v_subrev_u32_e32 v20, 28, v18
	v_and_b32_e32 v14, 15, v14
	v_lshlrev_b32_e32 v20, v20, v10
	v_sub_u32_e32 v18, 29, v18
	v_and_b32_e32 v20, 7, v20
	v_cmp_eq_u32_e32 vcc, 0, v14
	v_lshlrev_b32_e32 v12, 24, v10
	v_cndmask_b32_e32 v14, v14, v18, vcc
	v_cndmask_b32_e32 v16, v16, v20, vcc
	v_mov_b32_e32 v18, 0x3b800000
	v_lshlrev_b32_e32 v16, 20, v16
	v_and_b32_e32 v12, 0x80000000, v12
	v_lshl_add_u32 v14, v14, 23, v18
	v_or3_b32 v12, v12, v14, v16
.LBB293_503:
	s_or_b64 exec, exec, s[16:17]
	s_movk_i32 s14, 0x7f
	s_waitcnt vmcnt(0)
	v_cmp_gt_i16_sdwa s[16:17], v8, s14 src0_sel:BYTE_0 src1_sel:DWORD
	s_mov_b64 s[14:15], 0
	s_and_saveexec_b64 s[18:19], s[16:17]
	s_xor_b64 s[16:17], exec, s[18:19]
	s_cbranch_execnz .LBB293_657
; %bb.504:
	s_or_saveexec_b64 s[16:17], s[16:17]
	v_mov_b32_e32 v14, 0x7f800001
	s_xor_b64 exec, exec, s[16:17]
	s_cbranch_execnz .LBB293_660
.LBB293_505:
	s_or_b64 exec, exec, s[16:17]
	s_and_saveexec_b64 s[16:17], s[14:15]
	s_cbranch_execz .LBB293_507
.LBB293_506:
	v_and_b32_e32 v18, 7, v8
	v_ffbh_u32_e32 v20, v18
	v_min_u32_e32 v20, 32, v20
	v_lshrrev_b16_e32 v16, 3, v8
	v_subrev_u32_e32 v22, 28, v20
	v_and_b32_e32 v16, 15, v16
	v_lshlrev_b32_e32 v22, v22, v8
	v_sub_u32_e32 v20, 29, v20
	v_and_b32_e32 v22, 7, v22
	v_cmp_eq_u32_e32 vcc, 0, v16
	v_lshlrev_b32_e32 v14, 24, v8
	v_cndmask_b32_e32 v16, v16, v20, vcc
	v_cndmask_b32_e32 v18, v18, v22, vcc
	v_mov_b32_e32 v20, 0x3b800000
	v_lshlrev_b32_e32 v18, 20, v18
	v_and_b32_e32 v14, 0x80000000, v14
	v_lshl_add_u32 v16, v16, 23, v20
	v_or3_b32 v14, v14, v16, v18
.LBB293_507:
	s_or_b64 exec, exec, s[16:17]
	v_cmp_neq_f32_e64 s[14:15], v12, v14
.LBB293_508:
	global_load_ubyte v10, v23, s[2:3]
	global_load_ubyte v8, v21, s[6:7]
	s_and_b64 vcc, exec, s[8:9]
	s_cbranch_vccz .LBB293_588
.LBB293_509:
	s_movk_i32 s16, 0x7f
	s_waitcnt vmcnt(1)
	v_cmp_gt_i16_sdwa s[18:19], v10, s16 src0_sel:BYTE_0 src1_sel:DWORD
	s_mov_b64 s[16:17], 0
	s_and_saveexec_b64 s[20:21], s[18:19]
	s_xor_b64 s[18:19], exec, s[20:21]
	s_cbranch_execnz .LBB293_661
; %bb.510:
	s_or_saveexec_b64 s[18:19], s[18:19]
	v_mov_b32_e32 v12, 0x7f800001
	s_xor_b64 exec, exec, s[18:19]
	s_cbranch_execnz .LBB293_664
.LBB293_511:
	s_or_b64 exec, exec, s[18:19]
	s_and_saveexec_b64 s[18:19], s[16:17]
	s_cbranch_execz .LBB293_513
.LBB293_512:
	v_and_b32_e32 v16, 7, v10
	v_ffbh_u32_e32 v18, v16
	v_min_u32_e32 v18, 32, v18
	v_lshrrev_b16_e32 v14, 3, v10
	v_subrev_u32_e32 v20, 28, v18
	v_and_b32_e32 v14, 15, v14
	v_lshlrev_b32_e32 v20, v20, v10
	v_sub_u32_e32 v18, 29, v18
	v_and_b32_e32 v20, 7, v20
	v_cmp_eq_u32_e32 vcc, 0, v14
	v_lshlrev_b32_e32 v12, 24, v10
	v_cndmask_b32_e32 v14, v14, v18, vcc
	v_cndmask_b32_e32 v16, v16, v20, vcc
	v_mov_b32_e32 v18, 0x3b800000
	v_lshlrev_b32_e32 v16, 20, v16
	v_and_b32_e32 v12, 0x80000000, v12
	v_lshl_add_u32 v14, v14, 23, v18
	v_or3_b32 v12, v12, v14, v16
.LBB293_513:
	s_or_b64 exec, exec, s[18:19]
	s_movk_i32 s16, 0x7f
	s_waitcnt vmcnt(0)
	v_cmp_gt_i16_sdwa s[18:19], v8, s16 src0_sel:BYTE_0 src1_sel:DWORD
	s_mov_b64 s[16:17], 0
	s_and_saveexec_b64 s[20:21], s[18:19]
	s_xor_b64 s[18:19], exec, s[20:21]
	s_cbranch_execnz .LBB293_665
; %bb.514:
	s_or_saveexec_b64 s[18:19], s[18:19]
	v_mov_b32_e32 v14, 0x7f800001
	s_xor_b64 exec, exec, s[18:19]
	s_cbranch_execnz .LBB293_668
.LBB293_515:
	s_or_b64 exec, exec, s[18:19]
	s_and_saveexec_b64 s[18:19], s[16:17]
	s_cbranch_execz .LBB293_517
.LBB293_516:
	v_and_b32_e32 v18, 7, v8
	v_ffbh_u32_e32 v20, v18
	v_min_u32_e32 v20, 32, v20
	v_lshrrev_b16_e32 v16, 3, v8
	v_subrev_u32_e32 v21, 28, v20
	v_and_b32_e32 v16, 15, v16
	v_lshlrev_b32_e32 v21, v21, v8
	v_sub_u32_e32 v20, 29, v20
	v_and_b32_e32 v21, 7, v21
	v_cmp_eq_u32_e32 vcc, 0, v16
	v_lshlrev_b32_e32 v14, 24, v8
	v_cndmask_b32_e32 v16, v16, v20, vcc
	v_cndmask_b32_e32 v18, v18, v21, vcc
	v_mov_b32_e32 v20, 0x3b800000
	v_lshlrev_b32_e32 v18, 20, v18
	v_and_b32_e32 v14, 0x80000000, v14
	v_lshl_add_u32 v16, v16, 23, v20
	v_or3_b32 v14, v14, v16, v18
.LBB293_517:
	s_or_b64 exec, exec, s[18:19]
	v_cmp_neq_f32_e64 s[16:17], v12, v14
.LBB293_518:
	global_load_ubyte v10, v19, s[2:3]
	global_load_ubyte v8, v17, s[6:7]
	s_and_b64 vcc, exec, s[8:9]
	s_cbranch_vccz .LBB293_598
.LBB293_519:
	s_movk_i32 s18, 0x7f
	s_waitcnt vmcnt(1)
	v_cmp_gt_i16_sdwa s[20:21], v10, s18 src0_sel:BYTE_0 src1_sel:DWORD
	s_mov_b64 s[18:19], 0
	s_and_saveexec_b64 s[22:23], s[20:21]
	s_xor_b64 s[20:21], exec, s[22:23]
	s_cbranch_execnz .LBB293_669
; %bb.520:
	s_or_saveexec_b64 s[20:21], s[20:21]
	v_mov_b32_e32 v12, 0x7f800001
	s_xor_b64 exec, exec, s[20:21]
	s_cbranch_execnz .LBB293_672
.LBB293_521:
	s_or_b64 exec, exec, s[20:21]
	s_and_saveexec_b64 s[20:21], s[18:19]
	s_cbranch_execz .LBB293_523
.LBB293_522:
	v_and_b32_e32 v16, 7, v10
	v_ffbh_u32_e32 v17, v16
	v_min_u32_e32 v17, 32, v17
	v_lshrrev_b16_e32 v14, 3, v10
	v_subrev_u32_e32 v18, 28, v17
	v_and_b32_e32 v14, 15, v14
	v_lshlrev_b32_e32 v18, v18, v10
	v_sub_u32_e32 v17, 29, v17
	v_and_b32_e32 v18, 7, v18
	v_cmp_eq_u32_e32 vcc, 0, v14
	v_lshlrev_b32_e32 v12, 24, v10
	v_cndmask_b32_e32 v14, v14, v17, vcc
	v_cndmask_b32_e32 v16, v16, v18, vcc
	v_mov_b32_e32 v17, 0x3b800000
	v_lshlrev_b32_e32 v16, 20, v16
	v_and_b32_e32 v12, 0x80000000, v12
	v_lshl_add_u32 v14, v14, 23, v17
	v_or3_b32 v12, v12, v14, v16
.LBB293_523:
	s_or_b64 exec, exec, s[20:21]
	s_movk_i32 s18, 0x7f
	s_waitcnt vmcnt(0)
	v_cmp_gt_i16_sdwa s[20:21], v8, s18 src0_sel:BYTE_0 src1_sel:DWORD
	s_mov_b64 s[18:19], 0
	s_and_saveexec_b64 s[22:23], s[20:21]
	s_xor_b64 s[20:21], exec, s[22:23]
	s_cbranch_execnz .LBB293_673
; %bb.524:
	s_or_saveexec_b64 s[20:21], s[20:21]
	v_mov_b32_e32 v14, 0x7f800001
	s_xor_b64 exec, exec, s[20:21]
	s_cbranch_execnz .LBB293_676
.LBB293_525:
	s_or_b64 exec, exec, s[20:21]
	s_and_saveexec_b64 s[20:21], s[18:19]
	s_cbranch_execz .LBB293_527
.LBB293_526:
	v_and_b32_e32 v17, 7, v8
	v_ffbh_u32_e32 v18, v17
	v_min_u32_e32 v18, 32, v18
	v_lshrrev_b16_e32 v16, 3, v8
	v_subrev_u32_e32 v19, 28, v18
	v_and_b32_e32 v16, 15, v16
	v_lshlrev_b32_e32 v19, v19, v8
	v_sub_u32_e32 v18, 29, v18
	v_and_b32_e32 v19, 7, v19
	v_cmp_eq_u32_e32 vcc, 0, v16
	v_lshlrev_b32_e32 v14, 24, v8
	v_cndmask_b32_e32 v16, v16, v18, vcc
	v_cndmask_b32_e32 v17, v17, v19, vcc
	v_mov_b32_e32 v18, 0x3b800000
	v_lshlrev_b32_e32 v17, 20, v17
	v_and_b32_e32 v14, 0x80000000, v14
	v_lshl_add_u32 v16, v16, 23, v18
	v_or3_b32 v14, v14, v16, v17
.LBB293_527:
	s_or_b64 exec, exec, s[20:21]
	v_cmp_neq_f32_e64 s[18:19], v12, v14
.LBB293_528:
	global_load_ubyte v10, v15, s[2:3]
	global_load_ubyte v8, v13, s[6:7]
	s_and_b64 vcc, exec, s[8:9]
	s_cbranch_vccz .LBB293_608
.LBB293_529:
	s_movk_i32 s20, 0x7f
	s_waitcnt vmcnt(1)
	v_cmp_gt_i16_sdwa s[22:23], v10, s20 src0_sel:BYTE_0 src1_sel:DWORD
	s_mov_b64 s[20:21], 0
	s_and_saveexec_b64 s[24:25], s[22:23]
	s_xor_b64 s[22:23], exec, s[24:25]
	s_cbranch_execnz .LBB293_677
; %bb.530:
	s_or_saveexec_b64 s[22:23], s[22:23]
	v_mov_b32_e32 v12, 0x7f800001
	s_xor_b64 exec, exec, s[22:23]
	s_cbranch_execnz .LBB293_680
.LBB293_531:
	s_or_b64 exec, exec, s[22:23]
	s_and_saveexec_b64 s[22:23], s[20:21]
	s_cbranch_execz .LBB293_533
.LBB293_532:
	v_and_b32_e32 v14, 7, v10
	v_ffbh_u32_e32 v15, v14
	v_min_u32_e32 v15, 32, v15
	v_lshrrev_b16_e32 v13, 3, v10
	v_subrev_u32_e32 v16, 28, v15
	v_and_b32_e32 v13, 15, v13
	v_lshlrev_b32_e32 v16, v16, v10
	v_sub_u32_e32 v15, 29, v15
	v_and_b32_e32 v16, 7, v16
	v_cmp_eq_u32_e32 vcc, 0, v13
	v_lshlrev_b32_e32 v12, 24, v10
	v_cndmask_b32_e32 v13, v13, v15, vcc
	v_cndmask_b32_e32 v14, v14, v16, vcc
	v_mov_b32_e32 v15, 0x3b800000
	v_lshlrev_b32_e32 v14, 20, v14
	v_and_b32_e32 v12, 0x80000000, v12
	v_lshl_add_u32 v13, v13, 23, v15
	v_or3_b32 v12, v12, v13, v14
.LBB293_533:
	s_or_b64 exec, exec, s[22:23]
	s_movk_i32 s20, 0x7f
	s_waitcnt vmcnt(0)
	v_cmp_gt_i16_sdwa s[22:23], v8, s20 src0_sel:BYTE_0 src1_sel:DWORD
	s_mov_b64 s[20:21], 0
	s_and_saveexec_b64 s[24:25], s[22:23]
	s_xor_b64 s[22:23], exec, s[24:25]
	s_cbranch_execnz .LBB293_681
; %bb.534:
	s_or_saveexec_b64 s[22:23], s[22:23]
	v_mov_b32_e32 v13, 0x7f800001
	s_xor_b64 exec, exec, s[22:23]
	s_cbranch_execnz .LBB293_684
.LBB293_535:
	s_or_b64 exec, exec, s[22:23]
	s_and_saveexec_b64 s[22:23], s[20:21]
	s_cbranch_execz .LBB293_537
.LBB293_536:
	v_and_b32_e32 v15, 7, v8
	v_ffbh_u32_e32 v16, v15
	v_min_u32_e32 v16, 32, v16
	v_lshrrev_b16_e32 v14, 3, v8
	v_subrev_u32_e32 v17, 28, v16
	v_and_b32_e32 v14, 15, v14
	v_lshlrev_b32_e32 v17, v17, v8
	v_sub_u32_e32 v16, 29, v16
	v_and_b32_e32 v17, 7, v17
	v_cmp_eq_u32_e32 vcc, 0, v14
	v_lshlrev_b32_e32 v13, 24, v8
	v_cndmask_b32_e32 v14, v14, v16, vcc
	v_cndmask_b32_e32 v15, v15, v17, vcc
	v_mov_b32_e32 v16, 0x3b800000
	v_lshlrev_b32_e32 v15, 20, v15
	v_and_b32_e32 v13, 0x80000000, v13
	v_lshl_add_u32 v14, v14, 23, v16
	v_or3_b32 v13, v13, v14, v15
.LBB293_537:
	s_or_b64 exec, exec, s[22:23]
	v_cmp_neq_f32_e64 s[20:21], v12, v13
.LBB293_538:
	global_load_ubyte v10, v9, s[2:3]
	global_load_ubyte v8, v11, s[6:7]
	s_and_b64 vcc, exec, s[8:9]
	s_cbranch_vccz .LBB293_618
.LBB293_539:
	s_movk_i32 s2, 0x7f
	s_waitcnt vmcnt(1)
	v_cmp_gt_i16_sdwa s[6:7], v10, s2 src0_sel:BYTE_0 src1_sel:DWORD
	s_mov_b64 s[2:3], 0
	s_and_saveexec_b64 s[8:9], s[6:7]
	s_xor_b64 s[6:7], exec, s[8:9]
	s_cbranch_execnz .LBB293_685
; %bb.540:
	s_or_saveexec_b64 s[6:7], s[6:7]
	v_mov_b32_e32 v9, 0x7f800001
	s_xor_b64 exec, exec, s[6:7]
	s_cbranch_execnz .LBB293_688
.LBB293_541:
	s_or_b64 exec, exec, s[6:7]
	s_and_saveexec_b64 s[6:7], s[2:3]
	s_cbranch_execz .LBB293_543
.LBB293_542:
	v_and_b32_e32 v12, 7, v10
	v_ffbh_u32_e32 v13, v12
	v_min_u32_e32 v13, 32, v13
	v_lshrrev_b16_e32 v11, 3, v10
	v_subrev_u32_e32 v14, 28, v13
	v_and_b32_e32 v11, 15, v11
	v_lshlrev_b32_e32 v14, v14, v10
	v_sub_u32_e32 v13, 29, v13
	v_and_b32_e32 v14, 7, v14
	v_cmp_eq_u32_e32 vcc, 0, v11
	v_lshlrev_b32_e32 v9, 24, v10
	v_cndmask_b32_e32 v11, v11, v13, vcc
	v_cndmask_b32_e32 v12, v12, v14, vcc
	v_mov_b32_e32 v13, 0x3b800000
	v_lshlrev_b32_e32 v12, 20, v12
	v_and_b32_e32 v9, 0x80000000, v9
	v_lshl_add_u32 v11, v11, 23, v13
	v_or3_b32 v9, v9, v11, v12
.LBB293_543:
	s_or_b64 exec, exec, s[6:7]
	s_movk_i32 s2, 0x7f
	s_waitcnt vmcnt(0)
	v_cmp_gt_i16_sdwa s[6:7], v8, s2 src0_sel:BYTE_0 src1_sel:DWORD
	s_mov_b64 s[2:3], 0
	s_and_saveexec_b64 s[8:9], s[6:7]
	s_xor_b64 s[6:7], exec, s[8:9]
	s_cbranch_execnz .LBB293_689
; %bb.544:
	s_or_saveexec_b64 s[6:7], s[6:7]
	v_mov_b32_e32 v11, 0x7f800001
	s_xor_b64 exec, exec, s[6:7]
	s_cbranch_execnz .LBB293_692
.LBB293_545:
	s_or_b64 exec, exec, s[6:7]
	s_and_saveexec_b64 s[6:7], s[2:3]
	s_cbranch_execz .LBB293_547
.LBB293_546:
	v_and_b32_e32 v13, 7, v8
	v_ffbh_u32_e32 v14, v13
	v_min_u32_e32 v14, 32, v14
	v_lshrrev_b16_e32 v12, 3, v8
	v_subrev_u32_e32 v15, 28, v14
	v_and_b32_e32 v12, 15, v12
	v_lshlrev_b32_e32 v15, v15, v8
	v_sub_u32_e32 v14, 29, v14
	v_and_b32_e32 v15, 7, v15
	v_cmp_eq_u32_e32 vcc, 0, v12
	v_lshlrev_b32_e32 v11, 24, v8
	v_cndmask_b32_e32 v12, v12, v14, vcc
	v_cndmask_b32_e32 v13, v13, v15, vcc
	v_mov_b32_e32 v14, 0x3b800000
	v_lshlrev_b32_e32 v13, 20, v13
	v_and_b32_e32 v11, 0x80000000, v11
	v_lshl_add_u32 v12, v12, 23, v14
	v_or3_b32 v11, v11, v12, v13
.LBB293_547:
	s_or_b64 exec, exec, s[6:7]
	v_cmp_neq_f32_e64 s[2:3], v9, v11
	s_branch .LBB293_628
.LBB293_548:
                                        ; implicit-def: $sgpr4_sgpr5
	s_cbranch_execz .LBB293_478
; %bb.549:
	s_movk_i32 s4, 0x7f
	s_waitcnt vmcnt(1)
	v_cmp_gt_i16_sdwa s[10:11], v10, s4 src0_sel:BYTE_0 src1_sel:DWORD
	s_mov_b64 s[4:5], 0
	s_and_saveexec_b64 s[12:13], s[10:11]
	s_xor_b64 s[10:11], exec, s[12:13]
	s_cbranch_execnz .LBB293_693
; %bb.550:
	s_or_saveexec_b64 s[10:11], s[10:11]
	v_mov_b32_e32 v12, 0x7f800001
	s_xor_b64 exec, exec, s[10:11]
	s_cbranch_execnz .LBB293_696
.LBB293_551:
	s_or_b64 exec, exec, s[10:11]
	s_and_saveexec_b64 s[10:11], s[4:5]
	s_cbranch_execz .LBB293_553
.LBB293_552:
	v_and_b32_e32 v16, 7, v10
	v_ffbh_u32_e32 v18, v16
	v_min_u32_e32 v18, 32, v18
	v_lshrrev_b16_e32 v14, 3, v10
	v_subrev_u32_e32 v20, 28, v18
	v_lshlrev_b32_e32 v12, 24, v10
	v_and_b32_e32 v14, 15, v14
	v_lshlrev_b32_e32 v10, v20, v10
	v_sub_u32_e32 v18, 29, v18
	v_and_b32_e32 v10, 7, v10
	v_cmp_eq_u32_e32 vcc, 0, v14
	v_cndmask_b32_e32 v14, v14, v18, vcc
	v_cndmask_b32_e32 v10, v16, v10, vcc
	v_mov_b32_e32 v16, 0x3b800000
	v_lshlrev_b32_e32 v10, 20, v10
	v_and_b32_e32 v12, 0x80000000, v12
	v_lshl_add_u32 v14, v14, 23, v16
	v_or3_b32 v12, v12, v14, v10
.LBB293_553:
	s_or_b64 exec, exec, s[10:11]
	s_movk_i32 s4, 0x7f
	s_waitcnt vmcnt(0)
	v_cmp_gt_i16_sdwa s[10:11], v8, s4 src0_sel:BYTE_0 src1_sel:DWORD
	s_mov_b64 s[4:5], 0
	s_and_saveexec_b64 s[12:13], s[10:11]
	s_xor_b64 s[10:11], exec, s[12:13]
	s_cbranch_execnz .LBB293_697
; %bb.554:
	s_or_saveexec_b64 s[10:11], s[10:11]
	v_mov_b32_e32 v10, 0x7f800001
	s_xor_b64 exec, exec, s[10:11]
	s_cbranch_execnz .LBB293_700
.LBB293_555:
	s_or_b64 exec, exec, s[10:11]
	s_and_saveexec_b64 s[10:11], s[4:5]
	s_cbranch_execz .LBB293_557
.LBB293_556:
	v_and_b32_e32 v16, 7, v8
	v_ffbh_u32_e32 v18, v16
	v_min_u32_e32 v18, 32, v18
	v_lshrrev_b16_e32 v14, 3, v8
	v_subrev_u32_e32 v20, 28, v18
	v_lshlrev_b32_e32 v10, 24, v8
	v_and_b32_e32 v14, 15, v14
	v_lshlrev_b32_e32 v8, v20, v8
	v_sub_u32_e32 v18, 29, v18
	v_and_b32_e32 v8, 7, v8
	v_cmp_eq_u32_e32 vcc, 0, v14
	v_cndmask_b32_e32 v14, v14, v18, vcc
	v_cndmask_b32_e32 v8, v16, v8, vcc
	v_mov_b32_e32 v16, 0x3b800000
	v_lshlrev_b32_e32 v8, 20, v8
	v_and_b32_e32 v10, 0x80000000, v10
	v_lshl_add_u32 v14, v14, 23, v16
	v_or3_b32 v10, v10, v14, v8
.LBB293_557:
	s_or_b64 exec, exec, s[10:11]
	v_cmp_eq_f32_e64 s[4:5], v12, v10
	global_load_ubyte v10, v35, s[2:3]
	global_load_ubyte v8, v33, s[6:7]
	s_and_b64 vcc, exec, s[8:9]
	s_cbranch_vccnz .LBB293_479
.LBB293_558:
                                        ; implicit-def: $sgpr10_sgpr11
	s_cbranch_execz .LBB293_488
; %bb.559:
	s_movk_i32 s10, 0x7f
	s_waitcnt vmcnt(1)
	v_cmp_gt_i16_sdwa s[12:13], v10, s10 src0_sel:BYTE_0 src1_sel:DWORD
	s_mov_b64 s[10:11], 0
	s_and_saveexec_b64 s[14:15], s[12:13]
	s_xor_b64 s[12:13], exec, s[14:15]
	s_cbranch_execnz .LBB293_701
; %bb.560:
	s_or_saveexec_b64 s[12:13], s[12:13]
	v_mov_b32_e32 v12, 0x7f800001
	s_xor_b64 exec, exec, s[12:13]
	s_cbranch_execnz .LBB293_704
.LBB293_561:
	s_or_b64 exec, exec, s[12:13]
	s_and_saveexec_b64 s[12:13], s[10:11]
	s_cbranch_execz .LBB293_563
.LBB293_562:
	v_and_b32_e32 v16, 7, v10
	v_ffbh_u32_e32 v18, v16
	v_min_u32_e32 v18, 32, v18
	v_lshrrev_b16_e32 v14, 3, v10
	v_subrev_u32_e32 v20, 28, v18
	v_lshlrev_b32_e32 v12, 24, v10
	v_and_b32_e32 v14, 15, v14
	v_lshlrev_b32_e32 v10, v20, v10
	v_sub_u32_e32 v18, 29, v18
	v_and_b32_e32 v10, 7, v10
	v_cmp_eq_u32_e32 vcc, 0, v14
	v_cndmask_b32_e32 v14, v14, v18, vcc
	v_cndmask_b32_e32 v10, v16, v10, vcc
	v_mov_b32_e32 v16, 0x3b800000
	v_lshlrev_b32_e32 v10, 20, v10
	v_and_b32_e32 v12, 0x80000000, v12
	v_lshl_add_u32 v14, v14, 23, v16
	v_or3_b32 v12, v12, v14, v10
.LBB293_563:
	s_or_b64 exec, exec, s[12:13]
	s_movk_i32 s10, 0x7f
	s_waitcnt vmcnt(0)
	v_cmp_gt_i16_sdwa s[12:13], v8, s10 src0_sel:BYTE_0 src1_sel:DWORD
	s_mov_b64 s[10:11], 0
	s_and_saveexec_b64 s[14:15], s[12:13]
	s_xor_b64 s[12:13], exec, s[14:15]
	s_cbranch_execnz .LBB293_705
; %bb.564:
	s_or_saveexec_b64 s[12:13], s[12:13]
	v_mov_b32_e32 v10, 0x7f800001
	s_xor_b64 exec, exec, s[12:13]
	s_cbranch_execnz .LBB293_708
.LBB293_565:
	s_or_b64 exec, exec, s[12:13]
	s_and_saveexec_b64 s[12:13], s[10:11]
	s_cbranch_execz .LBB293_567
.LBB293_566:
	v_and_b32_e32 v16, 7, v8
	v_ffbh_u32_e32 v18, v16
	v_min_u32_e32 v18, 32, v18
	v_lshrrev_b16_e32 v14, 3, v8
	v_subrev_u32_e32 v20, 28, v18
	v_lshlrev_b32_e32 v10, 24, v8
	v_and_b32_e32 v14, 15, v14
	v_lshlrev_b32_e32 v8, v20, v8
	v_sub_u32_e32 v18, 29, v18
	v_and_b32_e32 v8, 7, v8
	v_cmp_eq_u32_e32 vcc, 0, v14
	v_cndmask_b32_e32 v14, v14, v18, vcc
	v_cndmask_b32_e32 v8, v16, v8, vcc
	v_mov_b32_e32 v16, 0x3b800000
	v_lshlrev_b32_e32 v8, 20, v8
	v_and_b32_e32 v10, 0x80000000, v10
	v_lshl_add_u32 v14, v14, 23, v16
	v_or3_b32 v10, v10, v14, v8
.LBB293_567:
	s_or_b64 exec, exec, s[12:13]
	v_cmp_eq_f32_e64 s[10:11], v12, v10
	global_load_ubyte v10, v31, s[2:3]
	global_load_ubyte v8, v29, s[6:7]
	s_and_b64 vcc, exec, s[8:9]
	s_cbranch_vccnz .LBB293_489
.LBB293_568:
                                        ; implicit-def: $sgpr12_sgpr13
	s_cbranch_execz .LBB293_498
; %bb.569:
	s_movk_i32 s12, 0x7f
	s_waitcnt vmcnt(1)
	v_cmp_gt_i16_sdwa s[14:15], v10, s12 src0_sel:BYTE_0 src1_sel:DWORD
	s_mov_b64 s[12:13], 0
	s_and_saveexec_b64 s[16:17], s[14:15]
	s_xor_b64 s[14:15], exec, s[16:17]
	s_cbranch_execnz .LBB293_709
; %bb.570:
	s_or_saveexec_b64 s[14:15], s[14:15]
	v_mov_b32_e32 v12, 0x7f800001
	s_xor_b64 exec, exec, s[14:15]
	s_cbranch_execnz .LBB293_712
.LBB293_571:
	s_or_b64 exec, exec, s[14:15]
	s_and_saveexec_b64 s[14:15], s[12:13]
	s_cbranch_execz .LBB293_573
.LBB293_572:
	v_and_b32_e32 v16, 7, v10
	v_ffbh_u32_e32 v18, v16
	v_min_u32_e32 v18, 32, v18
	v_lshrrev_b16_e32 v14, 3, v10
	v_subrev_u32_e32 v20, 28, v18
	v_lshlrev_b32_e32 v12, 24, v10
	v_and_b32_e32 v14, 15, v14
	v_lshlrev_b32_e32 v10, v20, v10
	v_sub_u32_e32 v18, 29, v18
	v_and_b32_e32 v10, 7, v10
	v_cmp_eq_u32_e32 vcc, 0, v14
	v_cndmask_b32_e32 v14, v14, v18, vcc
	v_cndmask_b32_e32 v10, v16, v10, vcc
	v_mov_b32_e32 v16, 0x3b800000
	v_lshlrev_b32_e32 v10, 20, v10
	v_and_b32_e32 v12, 0x80000000, v12
	v_lshl_add_u32 v14, v14, 23, v16
	v_or3_b32 v12, v12, v14, v10
.LBB293_573:
	s_or_b64 exec, exec, s[14:15]
	s_movk_i32 s12, 0x7f
	s_waitcnt vmcnt(0)
	v_cmp_gt_i16_sdwa s[14:15], v8, s12 src0_sel:BYTE_0 src1_sel:DWORD
	s_mov_b64 s[12:13], 0
	s_and_saveexec_b64 s[16:17], s[14:15]
	s_xor_b64 s[14:15], exec, s[16:17]
	s_cbranch_execnz .LBB293_713
; %bb.574:
	s_or_saveexec_b64 s[14:15], s[14:15]
	v_mov_b32_e32 v10, 0x7f800001
	s_xor_b64 exec, exec, s[14:15]
	s_cbranch_execnz .LBB293_716
.LBB293_575:
	s_or_b64 exec, exec, s[14:15]
	s_and_saveexec_b64 s[14:15], s[12:13]
	s_cbranch_execz .LBB293_577
.LBB293_576:
	v_and_b32_e32 v16, 7, v8
	v_ffbh_u32_e32 v18, v16
	v_min_u32_e32 v18, 32, v18
	v_lshrrev_b16_e32 v14, 3, v8
	v_subrev_u32_e32 v20, 28, v18
	v_lshlrev_b32_e32 v10, 24, v8
	v_and_b32_e32 v14, 15, v14
	v_lshlrev_b32_e32 v8, v20, v8
	v_sub_u32_e32 v18, 29, v18
	v_and_b32_e32 v8, 7, v8
	v_cmp_eq_u32_e32 vcc, 0, v14
	v_cndmask_b32_e32 v14, v14, v18, vcc
	v_cndmask_b32_e32 v8, v16, v8, vcc
	v_mov_b32_e32 v16, 0x3b800000
	v_lshlrev_b32_e32 v8, 20, v8
	v_and_b32_e32 v10, 0x80000000, v10
	v_lshl_add_u32 v14, v14, 23, v16
	v_or3_b32 v10, v10, v14, v8
.LBB293_577:
	s_or_b64 exec, exec, s[14:15]
	v_cmp_eq_f32_e64 s[12:13], v12, v10
	global_load_ubyte v10, v27, s[2:3]
	global_load_ubyte v8, v25, s[6:7]
	s_and_b64 vcc, exec, s[8:9]
	s_cbranch_vccnz .LBB293_499
.LBB293_578:
                                        ; implicit-def: $sgpr14_sgpr15
	s_cbranch_execz .LBB293_508
; %bb.579:
	s_movk_i32 s14, 0x7f
	s_waitcnt vmcnt(1)
	v_cmp_gt_i16_sdwa s[16:17], v10, s14 src0_sel:BYTE_0 src1_sel:DWORD
	s_mov_b64 s[14:15], 0
	s_and_saveexec_b64 s[18:19], s[16:17]
	s_xor_b64 s[16:17], exec, s[18:19]
	s_cbranch_execnz .LBB293_717
; %bb.580:
	s_or_saveexec_b64 s[16:17], s[16:17]
	v_mov_b32_e32 v12, 0x7f800001
	s_xor_b64 exec, exec, s[16:17]
	s_cbranch_execnz .LBB293_720
.LBB293_581:
	s_or_b64 exec, exec, s[16:17]
	s_and_saveexec_b64 s[16:17], s[14:15]
	s_cbranch_execz .LBB293_583
.LBB293_582:
	v_and_b32_e32 v16, 7, v10
	v_ffbh_u32_e32 v18, v16
	v_min_u32_e32 v18, 32, v18
	v_lshrrev_b16_e32 v14, 3, v10
	v_subrev_u32_e32 v20, 28, v18
	v_lshlrev_b32_e32 v12, 24, v10
	v_and_b32_e32 v14, 15, v14
	v_lshlrev_b32_e32 v10, v20, v10
	v_sub_u32_e32 v18, 29, v18
	v_and_b32_e32 v10, 7, v10
	v_cmp_eq_u32_e32 vcc, 0, v14
	v_cndmask_b32_e32 v14, v14, v18, vcc
	v_cndmask_b32_e32 v10, v16, v10, vcc
	v_mov_b32_e32 v16, 0x3b800000
	v_lshlrev_b32_e32 v10, 20, v10
	v_and_b32_e32 v12, 0x80000000, v12
	v_lshl_add_u32 v14, v14, 23, v16
	v_or3_b32 v12, v12, v14, v10
.LBB293_583:
	s_or_b64 exec, exec, s[16:17]
	s_movk_i32 s14, 0x7f
	s_waitcnt vmcnt(0)
	v_cmp_gt_i16_sdwa s[16:17], v8, s14 src0_sel:BYTE_0 src1_sel:DWORD
	s_mov_b64 s[14:15], 0
	s_and_saveexec_b64 s[18:19], s[16:17]
	s_xor_b64 s[16:17], exec, s[18:19]
	s_cbranch_execnz .LBB293_721
; %bb.584:
	s_or_saveexec_b64 s[16:17], s[16:17]
	v_mov_b32_e32 v10, 0x7f800001
	s_xor_b64 exec, exec, s[16:17]
	s_cbranch_execnz .LBB293_724
.LBB293_585:
	s_or_b64 exec, exec, s[16:17]
	s_and_saveexec_b64 s[16:17], s[14:15]
	s_cbranch_execz .LBB293_587
.LBB293_586:
	v_and_b32_e32 v16, 7, v8
	v_ffbh_u32_e32 v18, v16
	v_min_u32_e32 v18, 32, v18
	v_lshrrev_b16_e32 v14, 3, v8
	v_subrev_u32_e32 v20, 28, v18
	v_lshlrev_b32_e32 v10, 24, v8
	v_and_b32_e32 v14, 15, v14
	v_lshlrev_b32_e32 v8, v20, v8
	v_sub_u32_e32 v18, 29, v18
	v_and_b32_e32 v8, 7, v8
	v_cmp_eq_u32_e32 vcc, 0, v14
	v_cndmask_b32_e32 v14, v14, v18, vcc
	v_cndmask_b32_e32 v8, v16, v8, vcc
	v_mov_b32_e32 v16, 0x3b800000
	v_lshlrev_b32_e32 v8, 20, v8
	v_and_b32_e32 v10, 0x80000000, v10
	v_lshl_add_u32 v14, v14, 23, v16
	v_or3_b32 v10, v10, v14, v8
.LBB293_587:
	s_or_b64 exec, exec, s[16:17]
	v_cmp_eq_f32_e64 s[14:15], v12, v10
	global_load_ubyte v10, v23, s[2:3]
	global_load_ubyte v8, v21, s[6:7]
	s_and_b64 vcc, exec, s[8:9]
	s_cbranch_vccnz .LBB293_509
.LBB293_588:
                                        ; implicit-def: $sgpr16_sgpr17
	s_cbranch_execz .LBB293_518
; %bb.589:
	s_movk_i32 s16, 0x7f
	s_waitcnt vmcnt(1)
	v_cmp_gt_i16_sdwa s[18:19], v10, s16 src0_sel:BYTE_0 src1_sel:DWORD
	s_mov_b64 s[16:17], 0
	s_and_saveexec_b64 s[20:21], s[18:19]
	s_xor_b64 s[18:19], exec, s[20:21]
	s_cbranch_execnz .LBB293_725
; %bb.590:
	s_or_saveexec_b64 s[18:19], s[18:19]
	v_mov_b32_e32 v12, 0x7f800001
	s_xor_b64 exec, exec, s[18:19]
	s_cbranch_execnz .LBB293_728
.LBB293_591:
	s_or_b64 exec, exec, s[18:19]
	s_and_saveexec_b64 s[18:19], s[16:17]
	s_cbranch_execz .LBB293_593
.LBB293_592:
	v_and_b32_e32 v16, 7, v10
	v_ffbh_u32_e32 v18, v16
	v_min_u32_e32 v18, 32, v18
	v_lshrrev_b16_e32 v14, 3, v10
	v_subrev_u32_e32 v20, 28, v18
	v_lshlrev_b32_e32 v12, 24, v10
	v_and_b32_e32 v14, 15, v14
	v_lshlrev_b32_e32 v10, v20, v10
	v_sub_u32_e32 v18, 29, v18
	v_and_b32_e32 v10, 7, v10
	v_cmp_eq_u32_e32 vcc, 0, v14
	v_cndmask_b32_e32 v14, v14, v18, vcc
	v_cndmask_b32_e32 v10, v16, v10, vcc
	v_mov_b32_e32 v16, 0x3b800000
	v_lshlrev_b32_e32 v10, 20, v10
	v_and_b32_e32 v12, 0x80000000, v12
	v_lshl_add_u32 v14, v14, 23, v16
	v_or3_b32 v12, v12, v14, v10
.LBB293_593:
	s_or_b64 exec, exec, s[18:19]
	s_movk_i32 s16, 0x7f
	s_waitcnt vmcnt(0)
	v_cmp_gt_i16_sdwa s[18:19], v8, s16 src0_sel:BYTE_0 src1_sel:DWORD
	s_mov_b64 s[16:17], 0
	s_and_saveexec_b64 s[20:21], s[18:19]
	s_xor_b64 s[18:19], exec, s[20:21]
	s_cbranch_execnz .LBB293_729
; %bb.594:
	s_or_saveexec_b64 s[18:19], s[18:19]
	v_mov_b32_e32 v10, 0x7f800001
	s_xor_b64 exec, exec, s[18:19]
	s_cbranch_execnz .LBB293_732
.LBB293_595:
	s_or_b64 exec, exec, s[18:19]
	s_and_saveexec_b64 s[18:19], s[16:17]
	s_cbranch_execz .LBB293_597
.LBB293_596:
	v_and_b32_e32 v16, 7, v8
	v_ffbh_u32_e32 v18, v16
	v_min_u32_e32 v18, 32, v18
	v_lshrrev_b16_e32 v14, 3, v8
	v_subrev_u32_e32 v20, 28, v18
	v_lshlrev_b32_e32 v10, 24, v8
	v_and_b32_e32 v14, 15, v14
	v_lshlrev_b32_e32 v8, v20, v8
	v_sub_u32_e32 v18, 29, v18
	v_and_b32_e32 v8, 7, v8
	v_cmp_eq_u32_e32 vcc, 0, v14
	v_cndmask_b32_e32 v14, v14, v18, vcc
	v_cndmask_b32_e32 v8, v16, v8, vcc
	v_mov_b32_e32 v16, 0x3b800000
	v_lshlrev_b32_e32 v8, 20, v8
	v_and_b32_e32 v10, 0x80000000, v10
	v_lshl_add_u32 v14, v14, 23, v16
	v_or3_b32 v10, v10, v14, v8
.LBB293_597:
	s_or_b64 exec, exec, s[18:19]
	v_cmp_eq_f32_e64 s[16:17], v12, v10
	global_load_ubyte v10, v19, s[2:3]
	global_load_ubyte v8, v17, s[6:7]
	s_and_b64 vcc, exec, s[8:9]
	s_cbranch_vccnz .LBB293_519
.LBB293_598:
                                        ; implicit-def: $sgpr18_sgpr19
	s_cbranch_execz .LBB293_528
; %bb.599:
	s_movk_i32 s18, 0x7f
	s_waitcnt vmcnt(1)
	v_cmp_gt_i16_sdwa s[20:21], v10, s18 src0_sel:BYTE_0 src1_sel:DWORD
	s_mov_b64 s[18:19], 0
	s_and_saveexec_b64 s[22:23], s[20:21]
	s_xor_b64 s[20:21], exec, s[22:23]
	s_cbranch_execnz .LBB293_733
; %bb.600:
	s_or_saveexec_b64 s[20:21], s[20:21]
	v_mov_b32_e32 v12, 0x7f800001
	s_xor_b64 exec, exec, s[20:21]
	s_cbranch_execnz .LBB293_736
.LBB293_601:
	s_or_b64 exec, exec, s[20:21]
	s_and_saveexec_b64 s[20:21], s[18:19]
	s_cbranch_execz .LBB293_603
.LBB293_602:
	v_and_b32_e32 v16, 7, v10
	v_ffbh_u32_e32 v17, v16
	v_min_u32_e32 v17, 32, v17
	v_lshrrev_b16_e32 v14, 3, v10
	v_subrev_u32_e32 v18, 28, v17
	v_lshlrev_b32_e32 v12, 24, v10
	v_and_b32_e32 v14, 15, v14
	v_lshlrev_b32_e32 v10, v18, v10
	v_sub_u32_e32 v17, 29, v17
	v_and_b32_e32 v10, 7, v10
	v_cmp_eq_u32_e32 vcc, 0, v14
	v_cndmask_b32_e32 v14, v14, v17, vcc
	v_cndmask_b32_e32 v10, v16, v10, vcc
	v_mov_b32_e32 v16, 0x3b800000
	v_lshlrev_b32_e32 v10, 20, v10
	v_and_b32_e32 v12, 0x80000000, v12
	v_lshl_add_u32 v14, v14, 23, v16
	v_or3_b32 v12, v12, v14, v10
.LBB293_603:
	s_or_b64 exec, exec, s[20:21]
	s_movk_i32 s18, 0x7f
	s_waitcnt vmcnt(0)
	v_cmp_gt_i16_sdwa s[20:21], v8, s18 src0_sel:BYTE_0 src1_sel:DWORD
	s_mov_b64 s[18:19], 0
	s_and_saveexec_b64 s[22:23], s[20:21]
	s_xor_b64 s[20:21], exec, s[22:23]
	s_cbranch_execnz .LBB293_737
; %bb.604:
	s_or_saveexec_b64 s[20:21], s[20:21]
	v_mov_b32_e32 v10, 0x7f800001
	s_xor_b64 exec, exec, s[20:21]
	s_cbranch_execnz .LBB293_740
.LBB293_605:
	s_or_b64 exec, exec, s[20:21]
	s_and_saveexec_b64 s[20:21], s[18:19]
	s_cbranch_execz .LBB293_607
.LBB293_606:
	v_and_b32_e32 v16, 7, v8
	v_ffbh_u32_e32 v17, v16
	v_min_u32_e32 v17, 32, v17
	v_lshrrev_b16_e32 v14, 3, v8
	v_subrev_u32_e32 v18, 28, v17
	v_lshlrev_b32_e32 v10, 24, v8
	v_and_b32_e32 v14, 15, v14
	v_lshlrev_b32_e32 v8, v18, v8
	v_sub_u32_e32 v17, 29, v17
	v_and_b32_e32 v8, 7, v8
	v_cmp_eq_u32_e32 vcc, 0, v14
	v_cndmask_b32_e32 v14, v14, v17, vcc
	v_cndmask_b32_e32 v8, v16, v8, vcc
	v_mov_b32_e32 v16, 0x3b800000
	v_lshlrev_b32_e32 v8, 20, v8
	v_and_b32_e32 v10, 0x80000000, v10
	v_lshl_add_u32 v14, v14, 23, v16
	v_or3_b32 v10, v10, v14, v8
.LBB293_607:
	s_or_b64 exec, exec, s[20:21]
	v_cmp_eq_f32_e64 s[18:19], v12, v10
	global_load_ubyte v10, v15, s[2:3]
	global_load_ubyte v8, v13, s[6:7]
	s_and_b64 vcc, exec, s[8:9]
	s_cbranch_vccnz .LBB293_529
.LBB293_608:
                                        ; implicit-def: $sgpr20_sgpr21
	s_cbranch_execz .LBB293_538
; %bb.609:
	s_movk_i32 s20, 0x7f
	s_waitcnt vmcnt(1)
	v_cmp_gt_i16_sdwa s[22:23], v10, s20 src0_sel:BYTE_0 src1_sel:DWORD
	s_mov_b64 s[20:21], 0
	s_and_saveexec_b64 s[24:25], s[22:23]
	s_xor_b64 s[22:23], exec, s[24:25]
	s_cbranch_execnz .LBB293_741
; %bb.610:
	s_or_saveexec_b64 s[22:23], s[22:23]
	v_mov_b32_e32 v12, 0x7f800001
	s_xor_b64 exec, exec, s[22:23]
	s_cbranch_execnz .LBB293_744
.LBB293_611:
	s_or_b64 exec, exec, s[22:23]
	s_and_saveexec_b64 s[22:23], s[20:21]
	s_cbranch_execz .LBB293_613
.LBB293_612:
	v_and_b32_e32 v14, 7, v10
	v_ffbh_u32_e32 v15, v14
	v_min_u32_e32 v15, 32, v15
	v_lshrrev_b16_e32 v13, 3, v10
	v_subrev_u32_e32 v16, 28, v15
	v_lshlrev_b32_e32 v12, 24, v10
	v_and_b32_e32 v13, 15, v13
	v_lshlrev_b32_e32 v10, v16, v10
	v_sub_u32_e32 v15, 29, v15
	v_and_b32_e32 v10, 7, v10
	v_cmp_eq_u32_e32 vcc, 0, v13
	v_cndmask_b32_e32 v13, v13, v15, vcc
	v_cndmask_b32_e32 v10, v14, v10, vcc
	v_mov_b32_e32 v14, 0x3b800000
	v_lshlrev_b32_e32 v10, 20, v10
	v_and_b32_e32 v12, 0x80000000, v12
	v_lshl_add_u32 v13, v13, 23, v14
	v_or3_b32 v12, v12, v13, v10
.LBB293_613:
	s_or_b64 exec, exec, s[22:23]
	s_movk_i32 s20, 0x7f
	s_waitcnt vmcnt(0)
	v_cmp_gt_i16_sdwa s[22:23], v8, s20 src0_sel:BYTE_0 src1_sel:DWORD
	s_mov_b64 s[20:21], 0
	s_and_saveexec_b64 s[24:25], s[22:23]
	s_xor_b64 s[22:23], exec, s[24:25]
	s_cbranch_execnz .LBB293_745
; %bb.614:
	s_or_saveexec_b64 s[22:23], s[22:23]
	v_mov_b32_e32 v10, 0x7f800001
	s_xor_b64 exec, exec, s[22:23]
	s_cbranch_execnz .LBB293_748
.LBB293_615:
	s_or_b64 exec, exec, s[22:23]
	s_and_saveexec_b64 s[22:23], s[20:21]
	s_cbranch_execz .LBB293_617
.LBB293_616:
	v_and_b32_e32 v14, 7, v8
	v_ffbh_u32_e32 v15, v14
	v_min_u32_e32 v15, 32, v15
	v_lshrrev_b16_e32 v13, 3, v8
	v_subrev_u32_e32 v16, 28, v15
	v_lshlrev_b32_e32 v10, 24, v8
	v_and_b32_e32 v13, 15, v13
	v_lshlrev_b32_e32 v8, v16, v8
	v_sub_u32_e32 v15, 29, v15
	v_and_b32_e32 v8, 7, v8
	v_cmp_eq_u32_e32 vcc, 0, v13
	v_cndmask_b32_e32 v13, v13, v15, vcc
	v_cndmask_b32_e32 v8, v14, v8, vcc
	v_mov_b32_e32 v14, 0x3b800000
	v_lshlrev_b32_e32 v8, 20, v8
	v_and_b32_e32 v10, 0x80000000, v10
	v_lshl_add_u32 v13, v13, 23, v14
	v_or3_b32 v10, v10, v13, v8
.LBB293_617:
	s_or_b64 exec, exec, s[22:23]
	v_cmp_eq_f32_e64 s[20:21], v12, v10
	global_load_ubyte v10, v9, s[2:3]
	global_load_ubyte v8, v11, s[6:7]
	s_and_b64 vcc, exec, s[8:9]
	s_cbranch_vccnz .LBB293_539
.LBB293_618:
                                        ; implicit-def: $sgpr2_sgpr3
	s_cbranch_execz .LBB293_628
; %bb.619:
	s_movk_i32 s2, 0x7f
	s_waitcnt vmcnt(1)
	v_cmp_gt_i16_sdwa s[6:7], v10, s2 src0_sel:BYTE_0 src1_sel:DWORD
	s_mov_b64 s[2:3], 0
	s_and_saveexec_b64 s[8:9], s[6:7]
	s_xor_b64 s[6:7], exec, s[8:9]
	s_cbranch_execnz .LBB293_749
; %bb.620:
	s_or_saveexec_b64 s[6:7], s[6:7]
	v_mov_b32_e32 v9, 0x7f800001
	s_xor_b64 exec, exec, s[6:7]
	s_cbranch_execnz .LBB293_752
.LBB293_621:
	s_or_b64 exec, exec, s[6:7]
	s_and_saveexec_b64 s[6:7], s[2:3]
	s_cbranch_execz .LBB293_623
.LBB293_622:
	v_and_b32_e32 v12, 7, v10
	v_ffbh_u32_e32 v13, v12
	v_min_u32_e32 v13, 32, v13
	v_lshrrev_b16_e32 v11, 3, v10
	v_subrev_u32_e32 v14, 28, v13
	v_lshlrev_b32_e32 v9, 24, v10
	v_and_b32_e32 v11, 15, v11
	v_lshlrev_b32_e32 v10, v14, v10
	v_sub_u32_e32 v13, 29, v13
	v_and_b32_e32 v10, 7, v10
	v_cmp_eq_u32_e32 vcc, 0, v11
	v_cndmask_b32_e32 v11, v11, v13, vcc
	v_cndmask_b32_e32 v10, v12, v10, vcc
	v_mov_b32_e32 v12, 0x3b800000
	v_lshlrev_b32_e32 v10, 20, v10
	v_and_b32_e32 v9, 0x80000000, v9
	v_lshl_add_u32 v11, v11, 23, v12
	v_or3_b32 v9, v9, v11, v10
.LBB293_623:
	s_or_b64 exec, exec, s[6:7]
	s_movk_i32 s2, 0x7f
	s_waitcnt vmcnt(0)
	v_cmp_gt_i16_sdwa s[6:7], v8, s2 src0_sel:BYTE_0 src1_sel:DWORD
	s_mov_b64 s[2:3], 0
	s_and_saveexec_b64 s[8:9], s[6:7]
	s_xor_b64 s[6:7], exec, s[8:9]
	s_cbranch_execnz .LBB293_753
; %bb.624:
	s_or_saveexec_b64 s[6:7], s[6:7]
	v_mov_b32_e32 v10, 0x7f800001
	s_xor_b64 exec, exec, s[6:7]
	s_cbranch_execnz .LBB293_756
.LBB293_625:
	s_or_b64 exec, exec, s[6:7]
	s_and_saveexec_b64 s[6:7], s[2:3]
	s_cbranch_execz .LBB293_627
.LBB293_626:
	v_and_b32_e32 v12, 7, v8
	v_ffbh_u32_e32 v13, v12
	v_min_u32_e32 v13, 32, v13
	v_lshrrev_b16_e32 v11, 3, v8
	v_subrev_u32_e32 v14, 28, v13
	v_lshlrev_b32_e32 v10, 24, v8
	v_and_b32_e32 v11, 15, v11
	v_lshlrev_b32_e32 v8, v14, v8
	v_sub_u32_e32 v13, 29, v13
	v_and_b32_e32 v8, 7, v8
	v_cmp_eq_u32_e32 vcc, 0, v11
	v_cndmask_b32_e32 v11, v11, v13, vcc
	v_cndmask_b32_e32 v8, v12, v8, vcc
	v_mov_b32_e32 v12, 0x3b800000
	v_lshlrev_b32_e32 v8, 20, v8
	v_and_b32_e32 v10, 0x80000000, v10
	v_lshl_add_u32 v11, v11, 23, v12
	v_or3_b32 v10, v10, v11, v8
.LBB293_627:
	s_or_b64 exec, exec, s[6:7]
	v_cmp_eq_f32_e64 s[2:3], v9, v10
.LBB293_628:
	v_cndmask_b32_e64 v14, 0, 1, s[4:5]
	s_waitcnt vmcnt(0)
	v_cndmask_b32_e64 v8, 0, 1, s[20:21]
	v_cndmask_b32_e64 v9, 0, 1, s[18:19]
	;; [unrolled: 1-line block ×7, first 2 shown]
	global_store_byte v0, v14, s[0:1]
	global_store_byte v1, v13, s[0:1]
	;; [unrolled: 1-line block ×8, first 2 shown]
	s_endpgm
.LBB293_629:
	s_movk_i32 s4, 0x80
	v_cmp_eq_u16_sdwa s[14:15], v10, s4 src0_sel:BYTE_0 src1_sel:DWORD
	s_mov_b64 s[4:5], -1
	s_and_saveexec_b64 s[12:13], s[14:15]
; %bb.630:
	s_xor_b64 s[4:5], exec, -1
; %bb.631:
	s_or_b64 exec, exec, s[12:13]
	s_and_b64 s[4:5], s[4:5], exec
	s_or_saveexec_b64 s[10:11], s[10:11]
	v_mov_b32_e32 v12, 0x7f800001
	s_xor_b64 exec, exec, s[10:11]
	s_cbranch_execz .LBB293_471
.LBB293_632:
	v_mov_b32_e32 v12, 0
	v_cmp_ne_u16_sdwa s[12:13], v10, v12 src0_sel:BYTE_0 src1_sel:DWORD
	s_andn2_b64 s[4:5], s[4:5], exec
	s_and_b64 s[12:13], s[12:13], exec
	s_or_b64 s[4:5], s[4:5], s[12:13]
	s_or_b64 exec, exec, s[10:11]
	s_and_saveexec_b64 s[10:11], s[4:5]
	s_cbranch_execnz .LBB293_472
	s_branch .LBB293_473
.LBB293_633:
	s_movk_i32 s4, 0x80
	v_cmp_eq_u16_sdwa s[14:15], v8, s4 src0_sel:BYTE_0 src1_sel:DWORD
	s_mov_b64 s[4:5], -1
	s_and_saveexec_b64 s[12:13], s[14:15]
; %bb.634:
	s_xor_b64 s[4:5], exec, -1
; %bb.635:
	s_or_b64 exec, exec, s[12:13]
	s_and_b64 s[4:5], s[4:5], exec
	s_or_saveexec_b64 s[10:11], s[10:11]
	v_mov_b32_e32 v14, 0x7f800001
	s_xor_b64 exec, exec, s[10:11]
	s_cbranch_execz .LBB293_475
.LBB293_636:
	v_mov_b32_e32 v14, 0
	v_cmp_ne_u16_sdwa s[12:13], v8, v14 src0_sel:BYTE_0 src1_sel:DWORD
	s_andn2_b64 s[4:5], s[4:5], exec
	s_and_b64 s[12:13], s[12:13], exec
	s_or_b64 s[4:5], s[4:5], s[12:13]
	s_or_b64 exec, exec, s[10:11]
	s_and_saveexec_b64 s[10:11], s[4:5]
	s_cbranch_execnz .LBB293_476
	s_branch .LBB293_477
.LBB293_637:
	s_movk_i32 s10, 0x80
	v_cmp_eq_u16_sdwa s[16:17], v10, s10 src0_sel:BYTE_0 src1_sel:DWORD
	s_mov_b64 s[10:11], -1
	s_and_saveexec_b64 s[14:15], s[16:17]
; %bb.638:
	s_xor_b64 s[10:11], exec, -1
; %bb.639:
	s_or_b64 exec, exec, s[14:15]
	s_and_b64 s[10:11], s[10:11], exec
	s_or_saveexec_b64 s[12:13], s[12:13]
	v_mov_b32_e32 v12, 0x7f800001
	s_xor_b64 exec, exec, s[12:13]
	s_cbranch_execz .LBB293_481
.LBB293_640:
	v_mov_b32_e32 v12, 0
	v_cmp_ne_u16_sdwa s[14:15], v10, v12 src0_sel:BYTE_0 src1_sel:DWORD
	s_andn2_b64 s[10:11], s[10:11], exec
	s_and_b64 s[14:15], s[14:15], exec
	s_or_b64 s[10:11], s[10:11], s[14:15]
	s_or_b64 exec, exec, s[12:13]
	s_and_saveexec_b64 s[12:13], s[10:11]
	s_cbranch_execnz .LBB293_482
	s_branch .LBB293_483
.LBB293_641:
	s_movk_i32 s10, 0x80
	v_cmp_eq_u16_sdwa s[16:17], v8, s10 src0_sel:BYTE_0 src1_sel:DWORD
	s_mov_b64 s[10:11], -1
	s_and_saveexec_b64 s[14:15], s[16:17]
; %bb.642:
	s_xor_b64 s[10:11], exec, -1
; %bb.643:
	s_or_b64 exec, exec, s[14:15]
	s_and_b64 s[10:11], s[10:11], exec
	s_or_saveexec_b64 s[12:13], s[12:13]
	v_mov_b32_e32 v14, 0x7f800001
	s_xor_b64 exec, exec, s[12:13]
	s_cbranch_execz .LBB293_485
.LBB293_644:
	v_mov_b32_e32 v14, 0
	v_cmp_ne_u16_sdwa s[14:15], v8, v14 src0_sel:BYTE_0 src1_sel:DWORD
	s_andn2_b64 s[10:11], s[10:11], exec
	s_and_b64 s[14:15], s[14:15], exec
	s_or_b64 s[10:11], s[10:11], s[14:15]
	s_or_b64 exec, exec, s[12:13]
	s_and_saveexec_b64 s[12:13], s[10:11]
	s_cbranch_execnz .LBB293_486
	s_branch .LBB293_487
.LBB293_645:
	s_movk_i32 s12, 0x80
	v_cmp_eq_u16_sdwa s[18:19], v10, s12 src0_sel:BYTE_0 src1_sel:DWORD
	s_mov_b64 s[12:13], -1
	s_and_saveexec_b64 s[16:17], s[18:19]
; %bb.646:
	s_xor_b64 s[12:13], exec, -1
; %bb.647:
	s_or_b64 exec, exec, s[16:17]
	s_and_b64 s[12:13], s[12:13], exec
	s_or_saveexec_b64 s[14:15], s[14:15]
	v_mov_b32_e32 v12, 0x7f800001
	s_xor_b64 exec, exec, s[14:15]
	s_cbranch_execz .LBB293_491
.LBB293_648:
	v_mov_b32_e32 v12, 0
	v_cmp_ne_u16_sdwa s[16:17], v10, v12 src0_sel:BYTE_0 src1_sel:DWORD
	s_andn2_b64 s[12:13], s[12:13], exec
	s_and_b64 s[16:17], s[16:17], exec
	s_or_b64 s[12:13], s[12:13], s[16:17]
	s_or_b64 exec, exec, s[14:15]
	s_and_saveexec_b64 s[14:15], s[12:13]
	s_cbranch_execnz .LBB293_492
	s_branch .LBB293_493
.LBB293_649:
	s_movk_i32 s12, 0x80
	v_cmp_eq_u16_sdwa s[18:19], v8, s12 src0_sel:BYTE_0 src1_sel:DWORD
	s_mov_b64 s[12:13], -1
	s_and_saveexec_b64 s[16:17], s[18:19]
; %bb.650:
	s_xor_b64 s[12:13], exec, -1
; %bb.651:
	s_or_b64 exec, exec, s[16:17]
	s_and_b64 s[12:13], s[12:13], exec
	s_or_saveexec_b64 s[14:15], s[14:15]
	v_mov_b32_e32 v14, 0x7f800001
	s_xor_b64 exec, exec, s[14:15]
	s_cbranch_execz .LBB293_495
.LBB293_652:
	v_mov_b32_e32 v14, 0
	v_cmp_ne_u16_sdwa s[16:17], v8, v14 src0_sel:BYTE_0 src1_sel:DWORD
	s_andn2_b64 s[12:13], s[12:13], exec
	s_and_b64 s[16:17], s[16:17], exec
	s_or_b64 s[12:13], s[12:13], s[16:17]
	s_or_b64 exec, exec, s[14:15]
	s_and_saveexec_b64 s[14:15], s[12:13]
	s_cbranch_execnz .LBB293_496
	s_branch .LBB293_497
.LBB293_653:
	s_movk_i32 s14, 0x80
	v_cmp_eq_u16_sdwa s[20:21], v10, s14 src0_sel:BYTE_0 src1_sel:DWORD
	s_mov_b64 s[14:15], -1
	s_and_saveexec_b64 s[18:19], s[20:21]
; %bb.654:
	s_xor_b64 s[14:15], exec, -1
; %bb.655:
	s_or_b64 exec, exec, s[18:19]
	s_and_b64 s[14:15], s[14:15], exec
	s_or_saveexec_b64 s[16:17], s[16:17]
	v_mov_b32_e32 v12, 0x7f800001
	s_xor_b64 exec, exec, s[16:17]
	s_cbranch_execz .LBB293_501
.LBB293_656:
	v_mov_b32_e32 v12, 0
	v_cmp_ne_u16_sdwa s[18:19], v10, v12 src0_sel:BYTE_0 src1_sel:DWORD
	s_andn2_b64 s[14:15], s[14:15], exec
	s_and_b64 s[18:19], s[18:19], exec
	s_or_b64 s[14:15], s[14:15], s[18:19]
	s_or_b64 exec, exec, s[16:17]
	s_and_saveexec_b64 s[16:17], s[14:15]
	s_cbranch_execnz .LBB293_502
	s_branch .LBB293_503
.LBB293_657:
	s_movk_i32 s14, 0x80
	v_cmp_eq_u16_sdwa s[20:21], v8, s14 src0_sel:BYTE_0 src1_sel:DWORD
	s_mov_b64 s[14:15], -1
	s_and_saveexec_b64 s[18:19], s[20:21]
; %bb.658:
	s_xor_b64 s[14:15], exec, -1
; %bb.659:
	s_or_b64 exec, exec, s[18:19]
	s_and_b64 s[14:15], s[14:15], exec
	s_or_saveexec_b64 s[16:17], s[16:17]
	v_mov_b32_e32 v14, 0x7f800001
	s_xor_b64 exec, exec, s[16:17]
	s_cbranch_execz .LBB293_505
.LBB293_660:
	v_mov_b32_e32 v14, 0
	v_cmp_ne_u16_sdwa s[18:19], v8, v14 src0_sel:BYTE_0 src1_sel:DWORD
	s_andn2_b64 s[14:15], s[14:15], exec
	s_and_b64 s[18:19], s[18:19], exec
	s_or_b64 s[14:15], s[14:15], s[18:19]
	s_or_b64 exec, exec, s[16:17]
	s_and_saveexec_b64 s[16:17], s[14:15]
	s_cbranch_execnz .LBB293_506
	s_branch .LBB293_507
.LBB293_661:
	s_movk_i32 s16, 0x80
	v_cmp_eq_u16_sdwa s[22:23], v10, s16 src0_sel:BYTE_0 src1_sel:DWORD
	s_mov_b64 s[16:17], -1
	s_and_saveexec_b64 s[20:21], s[22:23]
; %bb.662:
	s_xor_b64 s[16:17], exec, -1
; %bb.663:
	s_or_b64 exec, exec, s[20:21]
	s_and_b64 s[16:17], s[16:17], exec
	s_or_saveexec_b64 s[18:19], s[18:19]
	v_mov_b32_e32 v12, 0x7f800001
	s_xor_b64 exec, exec, s[18:19]
	s_cbranch_execz .LBB293_511
.LBB293_664:
	v_mov_b32_e32 v12, 0
	v_cmp_ne_u16_sdwa s[20:21], v10, v12 src0_sel:BYTE_0 src1_sel:DWORD
	s_andn2_b64 s[16:17], s[16:17], exec
	s_and_b64 s[20:21], s[20:21], exec
	s_or_b64 s[16:17], s[16:17], s[20:21]
	s_or_b64 exec, exec, s[18:19]
	s_and_saveexec_b64 s[18:19], s[16:17]
	s_cbranch_execnz .LBB293_512
	s_branch .LBB293_513
.LBB293_665:
	s_movk_i32 s16, 0x80
	v_cmp_eq_u16_sdwa s[22:23], v8, s16 src0_sel:BYTE_0 src1_sel:DWORD
	s_mov_b64 s[16:17], -1
	s_and_saveexec_b64 s[20:21], s[22:23]
; %bb.666:
	s_xor_b64 s[16:17], exec, -1
; %bb.667:
	s_or_b64 exec, exec, s[20:21]
	s_and_b64 s[16:17], s[16:17], exec
	s_or_saveexec_b64 s[18:19], s[18:19]
	v_mov_b32_e32 v14, 0x7f800001
	s_xor_b64 exec, exec, s[18:19]
	s_cbranch_execz .LBB293_515
.LBB293_668:
	v_mov_b32_e32 v14, 0
	v_cmp_ne_u16_sdwa s[20:21], v8, v14 src0_sel:BYTE_0 src1_sel:DWORD
	s_andn2_b64 s[16:17], s[16:17], exec
	s_and_b64 s[20:21], s[20:21], exec
	s_or_b64 s[16:17], s[16:17], s[20:21]
	s_or_b64 exec, exec, s[18:19]
	s_and_saveexec_b64 s[18:19], s[16:17]
	s_cbranch_execnz .LBB293_516
	s_branch .LBB293_517
.LBB293_669:
	s_movk_i32 s18, 0x80
	v_cmp_eq_u16_sdwa s[24:25], v10, s18 src0_sel:BYTE_0 src1_sel:DWORD
	s_mov_b64 s[18:19], -1
	s_and_saveexec_b64 s[22:23], s[24:25]
; %bb.670:
	s_xor_b64 s[18:19], exec, -1
; %bb.671:
	s_or_b64 exec, exec, s[22:23]
	s_and_b64 s[18:19], s[18:19], exec
	s_or_saveexec_b64 s[20:21], s[20:21]
	v_mov_b32_e32 v12, 0x7f800001
	s_xor_b64 exec, exec, s[20:21]
	s_cbranch_execz .LBB293_521
.LBB293_672:
	v_mov_b32_e32 v12, 0
	v_cmp_ne_u16_sdwa s[22:23], v10, v12 src0_sel:BYTE_0 src1_sel:DWORD
	s_andn2_b64 s[18:19], s[18:19], exec
	s_and_b64 s[22:23], s[22:23], exec
	s_or_b64 s[18:19], s[18:19], s[22:23]
	s_or_b64 exec, exec, s[20:21]
	s_and_saveexec_b64 s[20:21], s[18:19]
	s_cbranch_execnz .LBB293_522
	s_branch .LBB293_523
.LBB293_673:
	s_movk_i32 s18, 0x80
	v_cmp_eq_u16_sdwa s[24:25], v8, s18 src0_sel:BYTE_0 src1_sel:DWORD
	s_mov_b64 s[18:19], -1
	s_and_saveexec_b64 s[22:23], s[24:25]
; %bb.674:
	s_xor_b64 s[18:19], exec, -1
; %bb.675:
	s_or_b64 exec, exec, s[22:23]
	s_and_b64 s[18:19], s[18:19], exec
	s_or_saveexec_b64 s[20:21], s[20:21]
	v_mov_b32_e32 v14, 0x7f800001
	s_xor_b64 exec, exec, s[20:21]
	s_cbranch_execz .LBB293_525
.LBB293_676:
	v_mov_b32_e32 v14, 0
	v_cmp_ne_u16_sdwa s[22:23], v8, v14 src0_sel:BYTE_0 src1_sel:DWORD
	s_andn2_b64 s[18:19], s[18:19], exec
	s_and_b64 s[22:23], s[22:23], exec
	s_or_b64 s[18:19], s[18:19], s[22:23]
	s_or_b64 exec, exec, s[20:21]
	s_and_saveexec_b64 s[20:21], s[18:19]
	s_cbranch_execnz .LBB293_526
	s_branch .LBB293_527
.LBB293_677:
	s_movk_i32 s20, 0x80
	v_cmp_eq_u16_sdwa s[26:27], v10, s20 src0_sel:BYTE_0 src1_sel:DWORD
	s_mov_b64 s[20:21], -1
	s_and_saveexec_b64 s[24:25], s[26:27]
; %bb.678:
	s_xor_b64 s[20:21], exec, -1
; %bb.679:
	s_or_b64 exec, exec, s[24:25]
	s_and_b64 s[20:21], s[20:21], exec
	s_or_saveexec_b64 s[22:23], s[22:23]
	v_mov_b32_e32 v12, 0x7f800001
	s_xor_b64 exec, exec, s[22:23]
	s_cbranch_execz .LBB293_531
.LBB293_680:
	v_mov_b32_e32 v12, 0
	v_cmp_ne_u16_sdwa s[24:25], v10, v12 src0_sel:BYTE_0 src1_sel:DWORD
	s_andn2_b64 s[20:21], s[20:21], exec
	s_and_b64 s[24:25], s[24:25], exec
	s_or_b64 s[20:21], s[20:21], s[24:25]
	s_or_b64 exec, exec, s[22:23]
	s_and_saveexec_b64 s[22:23], s[20:21]
	s_cbranch_execnz .LBB293_532
	s_branch .LBB293_533
.LBB293_681:
	s_movk_i32 s20, 0x80
	v_cmp_eq_u16_sdwa s[26:27], v8, s20 src0_sel:BYTE_0 src1_sel:DWORD
	s_mov_b64 s[20:21], -1
	s_and_saveexec_b64 s[24:25], s[26:27]
; %bb.682:
	s_xor_b64 s[20:21], exec, -1
; %bb.683:
	s_or_b64 exec, exec, s[24:25]
	s_and_b64 s[20:21], s[20:21], exec
	s_or_saveexec_b64 s[22:23], s[22:23]
	v_mov_b32_e32 v13, 0x7f800001
	s_xor_b64 exec, exec, s[22:23]
	s_cbranch_execz .LBB293_535
.LBB293_684:
	v_mov_b32_e32 v13, 0
	v_cmp_ne_u16_sdwa s[24:25], v8, v13 src0_sel:BYTE_0 src1_sel:DWORD
	s_andn2_b64 s[20:21], s[20:21], exec
	s_and_b64 s[24:25], s[24:25], exec
	s_or_b64 s[20:21], s[20:21], s[24:25]
	s_or_b64 exec, exec, s[22:23]
	s_and_saveexec_b64 s[22:23], s[20:21]
	s_cbranch_execnz .LBB293_536
	s_branch .LBB293_537
.LBB293_685:
	s_movk_i32 s2, 0x80
	v_cmp_eq_u16_sdwa s[22:23], v10, s2 src0_sel:BYTE_0 src1_sel:DWORD
	s_mov_b64 s[2:3], -1
	s_and_saveexec_b64 s[8:9], s[22:23]
; %bb.686:
	s_xor_b64 s[2:3], exec, -1
; %bb.687:
	s_or_b64 exec, exec, s[8:9]
	s_and_b64 s[2:3], s[2:3], exec
	s_or_saveexec_b64 s[6:7], s[6:7]
	v_mov_b32_e32 v9, 0x7f800001
	s_xor_b64 exec, exec, s[6:7]
	s_cbranch_execz .LBB293_541
.LBB293_688:
	v_mov_b32_e32 v9, 0
	v_cmp_ne_u16_sdwa s[8:9], v10, v9 src0_sel:BYTE_0 src1_sel:DWORD
	s_andn2_b64 s[2:3], s[2:3], exec
	s_and_b64 s[8:9], s[8:9], exec
	s_or_b64 s[2:3], s[2:3], s[8:9]
	s_or_b64 exec, exec, s[6:7]
	s_and_saveexec_b64 s[6:7], s[2:3]
	s_cbranch_execnz .LBB293_542
	s_branch .LBB293_543
.LBB293_689:
	s_movk_i32 s2, 0x80
	v_cmp_eq_u16_sdwa s[22:23], v8, s2 src0_sel:BYTE_0 src1_sel:DWORD
	s_mov_b64 s[2:3], -1
	s_and_saveexec_b64 s[8:9], s[22:23]
; %bb.690:
	s_xor_b64 s[2:3], exec, -1
; %bb.691:
	s_or_b64 exec, exec, s[8:9]
	s_and_b64 s[2:3], s[2:3], exec
	s_or_saveexec_b64 s[6:7], s[6:7]
	v_mov_b32_e32 v11, 0x7f800001
	s_xor_b64 exec, exec, s[6:7]
	s_cbranch_execz .LBB293_545
.LBB293_692:
	v_mov_b32_e32 v11, 0
	v_cmp_ne_u16_sdwa s[8:9], v8, v11 src0_sel:BYTE_0 src1_sel:DWORD
	s_andn2_b64 s[2:3], s[2:3], exec
	s_and_b64 s[8:9], s[8:9], exec
	s_or_b64 s[2:3], s[2:3], s[8:9]
	s_or_b64 exec, exec, s[6:7]
	s_and_saveexec_b64 s[6:7], s[2:3]
	s_cbranch_execnz .LBB293_546
	s_branch .LBB293_547
.LBB293_693:
	s_movk_i32 s4, 0x80
	v_cmp_eq_u16_sdwa s[14:15], v10, s4 src0_sel:BYTE_0 src1_sel:DWORD
	s_mov_b64 s[4:5], -1
	s_and_saveexec_b64 s[12:13], s[14:15]
; %bb.694:
	s_xor_b64 s[4:5], exec, -1
; %bb.695:
	s_or_b64 exec, exec, s[12:13]
	s_and_b64 s[4:5], s[4:5], exec
	s_or_saveexec_b64 s[10:11], s[10:11]
	v_mov_b32_e32 v12, 0x7f800001
	s_xor_b64 exec, exec, s[10:11]
	s_cbranch_execz .LBB293_551
.LBB293_696:
	v_mov_b32_e32 v12, 0
	v_cmp_ne_u16_sdwa s[12:13], v10, v12 src0_sel:BYTE_0 src1_sel:DWORD
	s_andn2_b64 s[4:5], s[4:5], exec
	s_and_b64 s[12:13], s[12:13], exec
	s_or_b64 s[4:5], s[4:5], s[12:13]
	s_or_b64 exec, exec, s[10:11]
	s_and_saveexec_b64 s[10:11], s[4:5]
	s_cbranch_execnz .LBB293_552
	s_branch .LBB293_553
.LBB293_697:
	s_movk_i32 s4, 0x80
	v_cmp_eq_u16_sdwa s[14:15], v8, s4 src0_sel:BYTE_0 src1_sel:DWORD
	s_mov_b64 s[4:5], -1
	s_and_saveexec_b64 s[12:13], s[14:15]
; %bb.698:
	s_xor_b64 s[4:5], exec, -1
; %bb.699:
	s_or_b64 exec, exec, s[12:13]
	s_and_b64 s[4:5], s[4:5], exec
	s_or_saveexec_b64 s[10:11], s[10:11]
	v_mov_b32_e32 v10, 0x7f800001
	s_xor_b64 exec, exec, s[10:11]
	s_cbranch_execz .LBB293_555
.LBB293_700:
	v_mov_b32_e32 v10, 0
	v_cmp_ne_u16_sdwa s[12:13], v8, v10 src0_sel:BYTE_0 src1_sel:DWORD
	s_andn2_b64 s[4:5], s[4:5], exec
	s_and_b64 s[12:13], s[12:13], exec
	s_or_b64 s[4:5], s[4:5], s[12:13]
	s_or_b64 exec, exec, s[10:11]
	s_and_saveexec_b64 s[10:11], s[4:5]
	s_cbranch_execnz .LBB293_556
	s_branch .LBB293_557
.LBB293_701:
	s_movk_i32 s10, 0x80
	v_cmp_eq_u16_sdwa s[16:17], v10, s10 src0_sel:BYTE_0 src1_sel:DWORD
	s_mov_b64 s[10:11], -1
	s_and_saveexec_b64 s[14:15], s[16:17]
; %bb.702:
	s_xor_b64 s[10:11], exec, -1
; %bb.703:
	s_or_b64 exec, exec, s[14:15]
	s_and_b64 s[10:11], s[10:11], exec
	s_or_saveexec_b64 s[12:13], s[12:13]
	v_mov_b32_e32 v12, 0x7f800001
	s_xor_b64 exec, exec, s[12:13]
	s_cbranch_execz .LBB293_561
.LBB293_704:
	v_mov_b32_e32 v12, 0
	v_cmp_ne_u16_sdwa s[14:15], v10, v12 src0_sel:BYTE_0 src1_sel:DWORD
	s_andn2_b64 s[10:11], s[10:11], exec
	s_and_b64 s[14:15], s[14:15], exec
	s_or_b64 s[10:11], s[10:11], s[14:15]
	s_or_b64 exec, exec, s[12:13]
	s_and_saveexec_b64 s[12:13], s[10:11]
	s_cbranch_execnz .LBB293_562
	s_branch .LBB293_563
.LBB293_705:
	s_movk_i32 s10, 0x80
	v_cmp_eq_u16_sdwa s[16:17], v8, s10 src0_sel:BYTE_0 src1_sel:DWORD
	s_mov_b64 s[10:11], -1
	s_and_saveexec_b64 s[14:15], s[16:17]
; %bb.706:
	s_xor_b64 s[10:11], exec, -1
; %bb.707:
	s_or_b64 exec, exec, s[14:15]
	s_and_b64 s[10:11], s[10:11], exec
	s_or_saveexec_b64 s[12:13], s[12:13]
	v_mov_b32_e32 v10, 0x7f800001
	s_xor_b64 exec, exec, s[12:13]
	s_cbranch_execz .LBB293_565
.LBB293_708:
	v_mov_b32_e32 v10, 0
	v_cmp_ne_u16_sdwa s[14:15], v8, v10 src0_sel:BYTE_0 src1_sel:DWORD
	s_andn2_b64 s[10:11], s[10:11], exec
	s_and_b64 s[14:15], s[14:15], exec
	s_or_b64 s[10:11], s[10:11], s[14:15]
	s_or_b64 exec, exec, s[12:13]
	s_and_saveexec_b64 s[12:13], s[10:11]
	s_cbranch_execnz .LBB293_566
	s_branch .LBB293_567
.LBB293_709:
	s_movk_i32 s12, 0x80
	v_cmp_eq_u16_sdwa s[18:19], v10, s12 src0_sel:BYTE_0 src1_sel:DWORD
	s_mov_b64 s[12:13], -1
	s_and_saveexec_b64 s[16:17], s[18:19]
; %bb.710:
	s_xor_b64 s[12:13], exec, -1
; %bb.711:
	s_or_b64 exec, exec, s[16:17]
	s_and_b64 s[12:13], s[12:13], exec
	s_or_saveexec_b64 s[14:15], s[14:15]
	v_mov_b32_e32 v12, 0x7f800001
	s_xor_b64 exec, exec, s[14:15]
	s_cbranch_execz .LBB293_571
.LBB293_712:
	v_mov_b32_e32 v12, 0
	v_cmp_ne_u16_sdwa s[16:17], v10, v12 src0_sel:BYTE_0 src1_sel:DWORD
	s_andn2_b64 s[12:13], s[12:13], exec
	s_and_b64 s[16:17], s[16:17], exec
	s_or_b64 s[12:13], s[12:13], s[16:17]
	s_or_b64 exec, exec, s[14:15]
	s_and_saveexec_b64 s[14:15], s[12:13]
	s_cbranch_execnz .LBB293_572
	s_branch .LBB293_573
.LBB293_713:
	s_movk_i32 s12, 0x80
	v_cmp_eq_u16_sdwa s[18:19], v8, s12 src0_sel:BYTE_0 src1_sel:DWORD
	s_mov_b64 s[12:13], -1
	s_and_saveexec_b64 s[16:17], s[18:19]
; %bb.714:
	s_xor_b64 s[12:13], exec, -1
; %bb.715:
	s_or_b64 exec, exec, s[16:17]
	s_and_b64 s[12:13], s[12:13], exec
	s_or_saveexec_b64 s[14:15], s[14:15]
	v_mov_b32_e32 v10, 0x7f800001
	s_xor_b64 exec, exec, s[14:15]
	s_cbranch_execz .LBB293_575
.LBB293_716:
	v_mov_b32_e32 v10, 0
	v_cmp_ne_u16_sdwa s[16:17], v8, v10 src0_sel:BYTE_0 src1_sel:DWORD
	s_andn2_b64 s[12:13], s[12:13], exec
	s_and_b64 s[16:17], s[16:17], exec
	s_or_b64 s[12:13], s[12:13], s[16:17]
	s_or_b64 exec, exec, s[14:15]
	s_and_saveexec_b64 s[14:15], s[12:13]
	s_cbranch_execnz .LBB293_576
	s_branch .LBB293_577
.LBB293_717:
	s_movk_i32 s14, 0x80
	v_cmp_eq_u16_sdwa s[20:21], v10, s14 src0_sel:BYTE_0 src1_sel:DWORD
	s_mov_b64 s[14:15], -1
	s_and_saveexec_b64 s[18:19], s[20:21]
; %bb.718:
	s_xor_b64 s[14:15], exec, -1
; %bb.719:
	s_or_b64 exec, exec, s[18:19]
	s_and_b64 s[14:15], s[14:15], exec
	s_or_saveexec_b64 s[16:17], s[16:17]
	v_mov_b32_e32 v12, 0x7f800001
	s_xor_b64 exec, exec, s[16:17]
	s_cbranch_execz .LBB293_581
.LBB293_720:
	v_mov_b32_e32 v12, 0
	v_cmp_ne_u16_sdwa s[18:19], v10, v12 src0_sel:BYTE_0 src1_sel:DWORD
	s_andn2_b64 s[14:15], s[14:15], exec
	s_and_b64 s[18:19], s[18:19], exec
	s_or_b64 s[14:15], s[14:15], s[18:19]
	s_or_b64 exec, exec, s[16:17]
	s_and_saveexec_b64 s[16:17], s[14:15]
	s_cbranch_execnz .LBB293_582
	s_branch .LBB293_583
.LBB293_721:
	s_movk_i32 s14, 0x80
	v_cmp_eq_u16_sdwa s[20:21], v8, s14 src0_sel:BYTE_0 src1_sel:DWORD
	s_mov_b64 s[14:15], -1
	s_and_saveexec_b64 s[18:19], s[20:21]
; %bb.722:
	s_xor_b64 s[14:15], exec, -1
; %bb.723:
	s_or_b64 exec, exec, s[18:19]
	s_and_b64 s[14:15], s[14:15], exec
	s_or_saveexec_b64 s[16:17], s[16:17]
	v_mov_b32_e32 v10, 0x7f800001
	s_xor_b64 exec, exec, s[16:17]
	s_cbranch_execz .LBB293_585
.LBB293_724:
	v_mov_b32_e32 v10, 0
	v_cmp_ne_u16_sdwa s[18:19], v8, v10 src0_sel:BYTE_0 src1_sel:DWORD
	s_andn2_b64 s[14:15], s[14:15], exec
	s_and_b64 s[18:19], s[18:19], exec
	s_or_b64 s[14:15], s[14:15], s[18:19]
	s_or_b64 exec, exec, s[16:17]
	s_and_saveexec_b64 s[16:17], s[14:15]
	s_cbranch_execnz .LBB293_586
	s_branch .LBB293_587
.LBB293_725:
	s_movk_i32 s16, 0x80
	v_cmp_eq_u16_sdwa s[22:23], v10, s16 src0_sel:BYTE_0 src1_sel:DWORD
	s_mov_b64 s[16:17], -1
	s_and_saveexec_b64 s[20:21], s[22:23]
; %bb.726:
	s_xor_b64 s[16:17], exec, -1
; %bb.727:
	s_or_b64 exec, exec, s[20:21]
	s_and_b64 s[16:17], s[16:17], exec
	s_or_saveexec_b64 s[18:19], s[18:19]
	v_mov_b32_e32 v12, 0x7f800001
	s_xor_b64 exec, exec, s[18:19]
	s_cbranch_execz .LBB293_591
.LBB293_728:
	v_mov_b32_e32 v12, 0
	v_cmp_ne_u16_sdwa s[20:21], v10, v12 src0_sel:BYTE_0 src1_sel:DWORD
	s_andn2_b64 s[16:17], s[16:17], exec
	s_and_b64 s[20:21], s[20:21], exec
	s_or_b64 s[16:17], s[16:17], s[20:21]
	s_or_b64 exec, exec, s[18:19]
	s_and_saveexec_b64 s[18:19], s[16:17]
	s_cbranch_execnz .LBB293_592
	s_branch .LBB293_593
.LBB293_729:
	s_movk_i32 s16, 0x80
	v_cmp_eq_u16_sdwa s[22:23], v8, s16 src0_sel:BYTE_0 src1_sel:DWORD
	s_mov_b64 s[16:17], -1
	s_and_saveexec_b64 s[20:21], s[22:23]
; %bb.730:
	s_xor_b64 s[16:17], exec, -1
; %bb.731:
	s_or_b64 exec, exec, s[20:21]
	s_and_b64 s[16:17], s[16:17], exec
	s_or_saveexec_b64 s[18:19], s[18:19]
	v_mov_b32_e32 v10, 0x7f800001
	s_xor_b64 exec, exec, s[18:19]
	s_cbranch_execz .LBB293_595
.LBB293_732:
	v_mov_b32_e32 v10, 0
	v_cmp_ne_u16_sdwa s[20:21], v8, v10 src0_sel:BYTE_0 src1_sel:DWORD
	s_andn2_b64 s[16:17], s[16:17], exec
	s_and_b64 s[20:21], s[20:21], exec
	s_or_b64 s[16:17], s[16:17], s[20:21]
	s_or_b64 exec, exec, s[18:19]
	s_and_saveexec_b64 s[18:19], s[16:17]
	s_cbranch_execnz .LBB293_596
	s_branch .LBB293_597
.LBB293_733:
	s_movk_i32 s18, 0x80
	v_cmp_eq_u16_sdwa s[24:25], v10, s18 src0_sel:BYTE_0 src1_sel:DWORD
	s_mov_b64 s[18:19], -1
	s_and_saveexec_b64 s[22:23], s[24:25]
; %bb.734:
	s_xor_b64 s[18:19], exec, -1
; %bb.735:
	s_or_b64 exec, exec, s[22:23]
	s_and_b64 s[18:19], s[18:19], exec
	s_or_saveexec_b64 s[20:21], s[20:21]
	v_mov_b32_e32 v12, 0x7f800001
	s_xor_b64 exec, exec, s[20:21]
	s_cbranch_execz .LBB293_601
.LBB293_736:
	v_mov_b32_e32 v12, 0
	v_cmp_ne_u16_sdwa s[22:23], v10, v12 src0_sel:BYTE_0 src1_sel:DWORD
	s_andn2_b64 s[18:19], s[18:19], exec
	s_and_b64 s[22:23], s[22:23], exec
	s_or_b64 s[18:19], s[18:19], s[22:23]
	s_or_b64 exec, exec, s[20:21]
	s_and_saveexec_b64 s[20:21], s[18:19]
	s_cbranch_execnz .LBB293_602
	s_branch .LBB293_603
.LBB293_737:
	s_movk_i32 s18, 0x80
	v_cmp_eq_u16_sdwa s[24:25], v8, s18 src0_sel:BYTE_0 src1_sel:DWORD
	s_mov_b64 s[18:19], -1
	s_and_saveexec_b64 s[22:23], s[24:25]
; %bb.738:
	s_xor_b64 s[18:19], exec, -1
; %bb.739:
	s_or_b64 exec, exec, s[22:23]
	s_and_b64 s[18:19], s[18:19], exec
	s_or_saveexec_b64 s[20:21], s[20:21]
	v_mov_b32_e32 v10, 0x7f800001
	s_xor_b64 exec, exec, s[20:21]
	s_cbranch_execz .LBB293_605
.LBB293_740:
	v_mov_b32_e32 v10, 0
	v_cmp_ne_u16_sdwa s[22:23], v8, v10 src0_sel:BYTE_0 src1_sel:DWORD
	s_andn2_b64 s[18:19], s[18:19], exec
	s_and_b64 s[22:23], s[22:23], exec
	s_or_b64 s[18:19], s[18:19], s[22:23]
	s_or_b64 exec, exec, s[20:21]
	s_and_saveexec_b64 s[20:21], s[18:19]
	s_cbranch_execnz .LBB293_606
	s_branch .LBB293_607
.LBB293_741:
	s_movk_i32 s20, 0x80
	v_cmp_eq_u16_sdwa s[26:27], v10, s20 src0_sel:BYTE_0 src1_sel:DWORD
	s_mov_b64 s[20:21], -1
	s_and_saveexec_b64 s[24:25], s[26:27]
; %bb.742:
	s_xor_b64 s[20:21], exec, -1
; %bb.743:
	s_or_b64 exec, exec, s[24:25]
	s_and_b64 s[20:21], s[20:21], exec
	s_or_saveexec_b64 s[22:23], s[22:23]
	v_mov_b32_e32 v12, 0x7f800001
	s_xor_b64 exec, exec, s[22:23]
	s_cbranch_execz .LBB293_611
.LBB293_744:
	v_mov_b32_e32 v12, 0
	v_cmp_ne_u16_sdwa s[24:25], v10, v12 src0_sel:BYTE_0 src1_sel:DWORD
	s_andn2_b64 s[20:21], s[20:21], exec
	s_and_b64 s[24:25], s[24:25], exec
	s_or_b64 s[20:21], s[20:21], s[24:25]
	s_or_b64 exec, exec, s[22:23]
	s_and_saveexec_b64 s[22:23], s[20:21]
	s_cbranch_execnz .LBB293_612
	s_branch .LBB293_613
.LBB293_745:
	s_movk_i32 s20, 0x80
	v_cmp_eq_u16_sdwa s[26:27], v8, s20 src0_sel:BYTE_0 src1_sel:DWORD
	s_mov_b64 s[20:21], -1
	s_and_saveexec_b64 s[24:25], s[26:27]
; %bb.746:
	s_xor_b64 s[20:21], exec, -1
; %bb.747:
	s_or_b64 exec, exec, s[24:25]
	s_and_b64 s[20:21], s[20:21], exec
	s_or_saveexec_b64 s[22:23], s[22:23]
	v_mov_b32_e32 v10, 0x7f800001
	s_xor_b64 exec, exec, s[22:23]
	s_cbranch_execz .LBB293_615
.LBB293_748:
	v_mov_b32_e32 v10, 0
	v_cmp_ne_u16_sdwa s[24:25], v8, v10 src0_sel:BYTE_0 src1_sel:DWORD
	s_andn2_b64 s[20:21], s[20:21], exec
	s_and_b64 s[24:25], s[24:25], exec
	s_or_b64 s[20:21], s[20:21], s[24:25]
	s_or_b64 exec, exec, s[22:23]
	s_and_saveexec_b64 s[22:23], s[20:21]
	s_cbranch_execnz .LBB293_616
	s_branch .LBB293_617
.LBB293_749:
	s_movk_i32 s2, 0x80
	v_cmp_eq_u16_sdwa s[22:23], v10, s2 src0_sel:BYTE_0 src1_sel:DWORD
	s_mov_b64 s[2:3], -1
	s_and_saveexec_b64 s[8:9], s[22:23]
; %bb.750:
	s_xor_b64 s[2:3], exec, -1
; %bb.751:
	s_or_b64 exec, exec, s[8:9]
	s_and_b64 s[2:3], s[2:3], exec
	s_or_saveexec_b64 s[6:7], s[6:7]
	v_mov_b32_e32 v9, 0x7f800001
	s_xor_b64 exec, exec, s[6:7]
	s_cbranch_execz .LBB293_621
.LBB293_752:
	v_mov_b32_e32 v9, 0
	v_cmp_ne_u16_sdwa s[8:9], v10, v9 src0_sel:BYTE_0 src1_sel:DWORD
	s_andn2_b64 s[2:3], s[2:3], exec
	s_and_b64 s[8:9], s[8:9], exec
	s_or_b64 s[2:3], s[2:3], s[8:9]
	s_or_b64 exec, exec, s[6:7]
	s_and_saveexec_b64 s[6:7], s[2:3]
	s_cbranch_execnz .LBB293_622
	s_branch .LBB293_623
.LBB293_753:
	s_movk_i32 s2, 0x80
	v_cmp_eq_u16_sdwa s[22:23], v8, s2 src0_sel:BYTE_0 src1_sel:DWORD
	s_mov_b64 s[2:3], -1
	s_and_saveexec_b64 s[8:9], s[22:23]
; %bb.754:
	s_xor_b64 s[2:3], exec, -1
; %bb.755:
	s_or_b64 exec, exec, s[8:9]
	s_and_b64 s[2:3], s[2:3], exec
	s_or_saveexec_b64 s[6:7], s[6:7]
	v_mov_b32_e32 v10, 0x7f800001
	s_xor_b64 exec, exec, s[6:7]
	s_cbranch_execz .LBB293_625
.LBB293_756:
	v_mov_b32_e32 v10, 0
	v_cmp_ne_u16_sdwa s[8:9], v8, v10 src0_sel:BYTE_0 src1_sel:DWORD
	s_andn2_b64 s[2:3], s[2:3], exec
	s_and_b64 s[8:9], s[8:9], exec
	s_or_b64 s[2:3], s[2:3], s[8:9]
	s_or_b64 exec, exec, s[6:7]
	s_and_saveexec_b64 s[6:7], s[2:3]
	s_cbranch_execnz .LBB293_626
	s_branch .LBB293_627
.LBB293_757:
	s_movk_i32 s2, 0x80
	v_cmp_eq_u16_sdwa s[8:9], v3, s2 src0_sel:BYTE_0 src1_sel:DWORD
	s_mov_b64 s[2:3], -1
	s_and_saveexec_b64 s[6:7], s[8:9]
; %bb.758:
	s_xor_b64 s[2:3], exec, -1
; %bb.759:
	s_or_b64 exec, exec, s[6:7]
	s_and_b64 s[2:3], s[2:3], exec
	s_or_saveexec_b64 s[4:5], s[4:5]
	v_mov_b32_e32 v2, 0x7f800001
	s_xor_b64 exec, exec, s[4:5]
	s_cbranch_execz .LBB293_359
.LBB293_760:
	v_mov_b32_e32 v2, 0
	v_cmp_ne_u16_sdwa s[6:7], v3, v2 src0_sel:BYTE_0 src1_sel:DWORD
	s_andn2_b64 s[2:3], s[2:3], exec
	s_and_b64 s[6:7], s[6:7], exec
	s_or_b64 s[2:3], s[2:3], s[6:7]
	s_or_b64 exec, exec, s[4:5]
	s_and_saveexec_b64 s[4:5], s[2:3]
	s_cbranch_execnz .LBB293_360
	s_branch .LBB293_361
.LBB293_761:
	s_movk_i32 s2, 0x80
	v_cmp_eq_u16_sdwa s[8:9], v1, s2 src0_sel:BYTE_0 src1_sel:DWORD
	s_mov_b64 s[2:3], -1
	s_and_saveexec_b64 s[6:7], s[8:9]
; %bb.762:
	s_xor_b64 s[2:3], exec, -1
; %bb.763:
	s_or_b64 exec, exec, s[6:7]
	s_and_b64 s[2:3], s[2:3], exec
	s_or_saveexec_b64 s[4:5], s[4:5]
	v_mov_b32_e32 v4, 0x7f800001
	s_xor_b64 exec, exec, s[4:5]
	s_cbranch_execz .LBB293_363
.LBB293_764:
	v_mov_b32_e32 v4, 0
	v_cmp_ne_u16_sdwa s[6:7], v1, v4 src0_sel:BYTE_0 src1_sel:DWORD
	s_andn2_b64 s[2:3], s[2:3], exec
	s_and_b64 s[6:7], s[6:7], exec
	s_or_b64 s[2:3], s[2:3], s[6:7]
	s_or_b64 exec, exec, s[4:5]
	s_and_saveexec_b64 s[4:5], s[2:3]
	s_cbranch_execnz .LBB293_364
	s_branch .LBB293_365
.LBB293_765:
	s_movk_i32 s2, 0x80
	v_cmp_eq_u16_sdwa s[8:9], v3, s2 src0_sel:BYTE_0 src1_sel:DWORD
	s_mov_b64 s[2:3], -1
	s_and_saveexec_b64 s[6:7], s[8:9]
; %bb.766:
	s_xor_b64 s[2:3], exec, -1
; %bb.767:
	s_or_b64 exec, exec, s[6:7]
	s_and_b64 s[2:3], s[2:3], exec
	s_or_saveexec_b64 s[4:5], s[4:5]
	v_mov_b32_e32 v2, 0x7f800001
	s_xor_b64 exec, exec, s[4:5]
	s_cbranch_execz .LBB293_369
.LBB293_768:
	v_mov_b32_e32 v2, 0
	v_cmp_ne_u16_sdwa s[6:7], v3, v2 src0_sel:BYTE_0 src1_sel:DWORD
	s_andn2_b64 s[2:3], s[2:3], exec
	s_and_b64 s[6:7], s[6:7], exec
	s_or_b64 s[2:3], s[2:3], s[6:7]
	s_or_b64 exec, exec, s[4:5]
	s_and_saveexec_b64 s[4:5], s[2:3]
	s_cbranch_execnz .LBB293_370
	s_branch .LBB293_371
.LBB293_769:
	s_movk_i32 s2, 0x80
	v_cmp_eq_u16_sdwa s[8:9], v1, s2 src0_sel:BYTE_0 src1_sel:DWORD
	s_mov_b64 s[2:3], -1
	s_and_saveexec_b64 s[6:7], s[8:9]
; %bb.770:
	s_xor_b64 s[2:3], exec, -1
; %bb.771:
	s_or_b64 exec, exec, s[6:7]
	s_and_b64 s[2:3], s[2:3], exec
	s_or_saveexec_b64 s[4:5], s[4:5]
	v_mov_b32_e32 v3, 0x7f800001
	s_xor_b64 exec, exec, s[4:5]
	s_cbranch_execz .LBB293_373
.LBB293_772:
	v_mov_b32_e32 v3, 0
	v_cmp_ne_u16_sdwa s[6:7], v1, v3 src0_sel:BYTE_0 src1_sel:DWORD
	s_andn2_b64 s[2:3], s[2:3], exec
	s_and_b64 s[6:7], s[6:7], exec
	s_or_b64 s[2:3], s[2:3], s[6:7]
	s_or_b64 exec, exec, s[4:5]
	s_and_saveexec_b64 s[4:5], s[2:3]
	s_cbranch_execnz .LBB293_374
	s_branch .LBB293_375
	.section	.rodata,"a",@progbits
	.p2align	6, 0x0
	.amdhsa_kernel _ZN2at6native32elementwise_kernel_manual_unrollILi128ELi8EZNS0_22gpu_kernel_impl_nocastINS0_13BinaryFunctorIN3c1015Float8_e4m3fnuzES5_bNS0_12_GLOBAL__N_116CompareEqFunctorIS5_EEEEEEvRNS_18TensorIteratorBaseERKT_EUlibE_EEviT1_
		.amdhsa_group_segment_fixed_size 0
		.amdhsa_private_segment_fixed_size 0
		.amdhsa_kernarg_size 432
		.amdhsa_user_sgpr_count 6
		.amdhsa_user_sgpr_private_segment_buffer 1
		.amdhsa_user_sgpr_dispatch_ptr 0
		.amdhsa_user_sgpr_queue_ptr 0
		.amdhsa_user_sgpr_kernarg_segment_ptr 1
		.amdhsa_user_sgpr_dispatch_id 0
		.amdhsa_user_sgpr_flat_scratch_init 0
		.amdhsa_user_sgpr_private_segment_size 0
		.amdhsa_uses_dynamic_stack 0
		.amdhsa_system_sgpr_private_segment_wavefront_offset 0
		.amdhsa_system_sgpr_workgroup_id_x 1
		.amdhsa_system_sgpr_workgroup_id_y 0
		.amdhsa_system_sgpr_workgroup_id_z 0
		.amdhsa_system_sgpr_workgroup_info 0
		.amdhsa_system_vgpr_workitem_id 0
		.amdhsa_next_free_vgpr 42
		.amdhsa_next_free_sgpr 54
		.amdhsa_reserve_vcc 1
		.amdhsa_reserve_flat_scratch 0
		.amdhsa_float_round_mode_32 0
		.amdhsa_float_round_mode_16_64 0
		.amdhsa_float_denorm_mode_32 3
		.amdhsa_float_denorm_mode_16_64 3
		.amdhsa_dx10_clamp 1
		.amdhsa_ieee_mode 1
		.amdhsa_fp16_overflow 0
		.amdhsa_exception_fp_ieee_invalid_op 0
		.amdhsa_exception_fp_denorm_src 0
		.amdhsa_exception_fp_ieee_div_zero 0
		.amdhsa_exception_fp_ieee_overflow 0
		.amdhsa_exception_fp_ieee_underflow 0
		.amdhsa_exception_fp_ieee_inexact 0
		.amdhsa_exception_int_div_zero 0
	.end_amdhsa_kernel
	.section	.text._ZN2at6native32elementwise_kernel_manual_unrollILi128ELi8EZNS0_22gpu_kernel_impl_nocastINS0_13BinaryFunctorIN3c1015Float8_e4m3fnuzES5_bNS0_12_GLOBAL__N_116CompareEqFunctorIS5_EEEEEEvRNS_18TensorIteratorBaseERKT_EUlibE_EEviT1_,"axG",@progbits,_ZN2at6native32elementwise_kernel_manual_unrollILi128ELi8EZNS0_22gpu_kernel_impl_nocastINS0_13BinaryFunctorIN3c1015Float8_e4m3fnuzES5_bNS0_12_GLOBAL__N_116CompareEqFunctorIS5_EEEEEEvRNS_18TensorIteratorBaseERKT_EUlibE_EEviT1_,comdat
.Lfunc_end293:
	.size	_ZN2at6native32elementwise_kernel_manual_unrollILi128ELi8EZNS0_22gpu_kernel_impl_nocastINS0_13BinaryFunctorIN3c1015Float8_e4m3fnuzES5_bNS0_12_GLOBAL__N_116CompareEqFunctorIS5_EEEEEEvRNS_18TensorIteratorBaseERKT_EUlibE_EEviT1_, .Lfunc_end293-_ZN2at6native32elementwise_kernel_manual_unrollILi128ELi8EZNS0_22gpu_kernel_impl_nocastINS0_13BinaryFunctorIN3c1015Float8_e4m3fnuzES5_bNS0_12_GLOBAL__N_116CompareEqFunctorIS5_EEEEEEvRNS_18TensorIteratorBaseERKT_EUlibE_EEviT1_
                                        ; -- End function
	.set _ZN2at6native32elementwise_kernel_manual_unrollILi128ELi8EZNS0_22gpu_kernel_impl_nocastINS0_13BinaryFunctorIN3c1015Float8_e4m3fnuzES5_bNS0_12_GLOBAL__N_116CompareEqFunctorIS5_EEEEEEvRNS_18TensorIteratorBaseERKT_EUlibE_EEviT1_.num_vgpr, 42
	.set _ZN2at6native32elementwise_kernel_manual_unrollILi128ELi8EZNS0_22gpu_kernel_impl_nocastINS0_13BinaryFunctorIN3c1015Float8_e4m3fnuzES5_bNS0_12_GLOBAL__N_116CompareEqFunctorIS5_EEEEEEvRNS_18TensorIteratorBaseERKT_EUlibE_EEviT1_.num_agpr, 0
	.set _ZN2at6native32elementwise_kernel_manual_unrollILi128ELi8EZNS0_22gpu_kernel_impl_nocastINS0_13BinaryFunctorIN3c1015Float8_e4m3fnuzES5_bNS0_12_GLOBAL__N_116CompareEqFunctorIS5_EEEEEEvRNS_18TensorIteratorBaseERKT_EUlibE_EEviT1_.numbered_sgpr, 54
	.set _ZN2at6native32elementwise_kernel_manual_unrollILi128ELi8EZNS0_22gpu_kernel_impl_nocastINS0_13BinaryFunctorIN3c1015Float8_e4m3fnuzES5_bNS0_12_GLOBAL__N_116CompareEqFunctorIS5_EEEEEEvRNS_18TensorIteratorBaseERKT_EUlibE_EEviT1_.num_named_barrier, 0
	.set _ZN2at6native32elementwise_kernel_manual_unrollILi128ELi8EZNS0_22gpu_kernel_impl_nocastINS0_13BinaryFunctorIN3c1015Float8_e4m3fnuzES5_bNS0_12_GLOBAL__N_116CompareEqFunctorIS5_EEEEEEvRNS_18TensorIteratorBaseERKT_EUlibE_EEviT1_.private_seg_size, 0
	.set _ZN2at6native32elementwise_kernel_manual_unrollILi128ELi8EZNS0_22gpu_kernel_impl_nocastINS0_13BinaryFunctorIN3c1015Float8_e4m3fnuzES5_bNS0_12_GLOBAL__N_116CompareEqFunctorIS5_EEEEEEvRNS_18TensorIteratorBaseERKT_EUlibE_EEviT1_.uses_vcc, 1
	.set _ZN2at6native32elementwise_kernel_manual_unrollILi128ELi8EZNS0_22gpu_kernel_impl_nocastINS0_13BinaryFunctorIN3c1015Float8_e4m3fnuzES5_bNS0_12_GLOBAL__N_116CompareEqFunctorIS5_EEEEEEvRNS_18TensorIteratorBaseERKT_EUlibE_EEviT1_.uses_flat_scratch, 0
	.set _ZN2at6native32elementwise_kernel_manual_unrollILi128ELi8EZNS0_22gpu_kernel_impl_nocastINS0_13BinaryFunctorIN3c1015Float8_e4m3fnuzES5_bNS0_12_GLOBAL__N_116CompareEqFunctorIS5_EEEEEEvRNS_18TensorIteratorBaseERKT_EUlibE_EEviT1_.has_dyn_sized_stack, 0
	.set _ZN2at6native32elementwise_kernel_manual_unrollILi128ELi8EZNS0_22gpu_kernel_impl_nocastINS0_13BinaryFunctorIN3c1015Float8_e4m3fnuzES5_bNS0_12_GLOBAL__N_116CompareEqFunctorIS5_EEEEEEvRNS_18TensorIteratorBaseERKT_EUlibE_EEviT1_.has_recursion, 0
	.set _ZN2at6native32elementwise_kernel_manual_unrollILi128ELi8EZNS0_22gpu_kernel_impl_nocastINS0_13BinaryFunctorIN3c1015Float8_e4m3fnuzES5_bNS0_12_GLOBAL__N_116CompareEqFunctorIS5_EEEEEEvRNS_18TensorIteratorBaseERKT_EUlibE_EEviT1_.has_indirect_call, 0
	.section	.AMDGPU.csdata,"",@progbits
; Kernel info:
; codeLenInByte = 25716
; TotalNumSgprs: 58
; NumVgprs: 42
; ScratchSize: 0
; MemoryBound: 0
; FloatMode: 240
; IeeeMode: 1
; LDSByteSize: 0 bytes/workgroup (compile time only)
; SGPRBlocks: 7
; VGPRBlocks: 10
; NumSGPRsForWavesPerEU: 58
; NumVGPRsForWavesPerEU: 42
; Occupancy: 5
; WaveLimiterHint : 1
; COMPUTE_PGM_RSRC2:SCRATCH_EN: 0
; COMPUTE_PGM_RSRC2:USER_SGPR: 6
; COMPUTE_PGM_RSRC2:TRAP_HANDLER: 0
; COMPUTE_PGM_RSRC2:TGID_X_EN: 1
; COMPUTE_PGM_RSRC2:TGID_Y_EN: 0
; COMPUTE_PGM_RSRC2:TGID_Z_EN: 0
; COMPUTE_PGM_RSRC2:TIDIG_COMP_CNT: 0
	.text
	.p2align	2                               ; -- Begin function _ZN2at6native6invokeINS0_13BinaryFunctorIN3c1015Float8_e4m3fnuzES4_bNS0_12_GLOBAL__N_116CompareEqFunctorIS4_EEEEi15function_traitsIS8_EEENT1_11result_typeERKT_PrKPcPKT0_PKNS3_10ScalarTypeEi
	.type	_ZN2at6native6invokeINS0_13BinaryFunctorIN3c1015Float8_e4m3fnuzES4_bNS0_12_GLOBAL__N_116CompareEqFunctorIS4_EEEEi15function_traitsIS8_EEENT1_11result_typeERKT_PrKPcPKT0_PKNS3_10ScalarTypeEi,@function
_ZN2at6native6invokeINS0_13BinaryFunctorIN3c1015Float8_e4m3fnuzES4_bNS0_12_GLOBAL__N_116CompareEqFunctorIS4_EEEEi15function_traitsIS8_EEENT1_11result_typeERKT_PrKPcPKT0_PKNS3_10ScalarTypeEi: ; @_ZN2at6native6invokeINS0_13BinaryFunctorIN3c1015Float8_e4m3fnuzES4_bNS0_12_GLOBAL__N_116CompareEqFunctorIS4_EEEEi15function_traitsIS8_EEENT1_11result_typeERKT_PrKPcPKT0_PKNS3_10ScalarTypeEi
; %bb.0:
	s_waitcnt vmcnt(0) expcnt(0) lgkmcnt(0)
	flat_load_dword v10, v[3:4]
	flat_load_ubyte v11, v[5:6]
	flat_load_dwordx2 v[8:9], v[1:2]
	s_mov_b64 s[10:11], 0
	s_mov_b64 s[6:7], 0
	s_waitcnt vmcnt(0) lgkmcnt(0)
	v_mul_lo_u32 v10, v10, v7
	v_cmp_lt_i16_e32 vcc, 10, v11
	v_ashrrev_i32_e32 v12, 31, v10
	v_add_co_u32_e64 v8, s[4:5], v8, v10
	v_addc_co_u32_e64 v9, s[4:5], v9, v12, s[4:5]
                                        ; implicit-def: $vgpr10
	s_and_saveexec_b64 s[4:5], vcc
	s_xor_b64 s[4:5], exec, s[4:5]
	s_cbranch_execz .LBB294_13
; %bb.1:
	v_cmp_lt_i16_e32 vcc, 25, v11
	s_mov_b64 s[8:9], 0
                                        ; implicit-def: $vgpr10
	s_and_saveexec_b64 s[12:13], vcc
	s_xor_b64 s[12:13], exec, s[12:13]
	s_cbranch_execnz .LBB294_268
; %bb.2:
	s_andn2_saveexec_b64 s[12:13], s[12:13]
	s_cbranch_execnz .LBB294_325
.LBB294_3:
	s_or_b64 exec, exec, s[12:13]
	s_mov_b64 s[12:13], 0
	s_and_saveexec_b64 s[14:15], s[10:11]
	s_cbranch_execnz .LBB294_372
.LBB294_4:
	s_or_b64 exec, exec, s[14:15]
	s_and_saveexec_b64 s[10:11], s[6:7]
	s_xor_b64 s[6:7], exec, s[10:11]
	s_cbranch_execz .LBB294_12
.LBB294_5:
	flat_load_ubyte v8, v[8:9]
	s_mov_b32 s10, 0x43800000
	s_waitcnt vmcnt(0) lgkmcnt(0)
	v_mov_b32_e32 v10, 0x80
	v_cmp_ne_u16_e32 vcc, 0, v8
	v_cndmask_b32_e64 v9, 0, 1.0, vcc
	v_cmp_gt_u32_e32 vcc, s10, v9
	s_and_saveexec_b64 s[10:11], vcc
	s_cbranch_execz .LBB294_11
; %bb.6:
	s_mov_b32 s14, 0x3bffffff
	v_cmp_lt_u32_e32 vcc, s14, v9
	s_mov_b64 s[14:15], 0
                                        ; implicit-def: $vgpr8
	s_and_saveexec_b64 s[16:17], vcc
	s_xor_b64 s[16:17], exec, s[16:17]
	s_cbranch_execnz .LBB294_496
; %bb.7:
	s_andn2_saveexec_b64 s[16:17], s[16:17]
	s_cbranch_execnz .LBB294_497
.LBB294_8:
	s_or_b64 exec, exec, s[16:17]
	v_mov_b32_e32 v10, 0
	s_and_saveexec_b64 s[16:17], s[14:15]
.LBB294_9:
	v_mov_b32_e32 v10, v8
.LBB294_10:
	s_or_b64 exec, exec, s[16:17]
.LBB294_11:
	s_or_b64 exec, exec, s[10:11]
	s_or_b64 s[8:9], s[8:9], exec
.LBB294_12:
	s_or_b64 exec, exec, s[6:7]
	s_and_b64 s[6:7], s[12:13], exec
	s_and_b64 s[10:11], s[8:9], exec
                                        ; implicit-def: $vgpr11
                                        ; implicit-def: $vgpr8_vgpr9
.LBB294_13:
	s_andn2_saveexec_b64 s[4:5], s[4:5]
	s_cbranch_execz .LBB294_121
; %bb.14:
	v_cmp_lt_i16_e32 vcc, 4, v11
                                        ; implicit-def: $vgpr10
	s_and_saveexec_b64 s[8:9], vcc
	s_xor_b64 s[8:9], exec, s[8:9]
	s_cbranch_execz .LBB294_72
; %bb.15:
	v_cmp_lt_i16_e32 vcc, 7, v11
                                        ; implicit-def: $vgpr10
	s_and_saveexec_b64 s[12:13], vcc
	s_xor_b64 s[12:13], exec, s[12:13]
	;; [unrolled: 6-line block ×4, first 2 shown]
	s_cbranch_execz .LBB294_25
; %bb.18:
	flat_load_dwordx2 v[8:9], v[8:9]
	s_mov_b32 s18, 0x43800000
	s_waitcnt vmcnt(0) lgkmcnt(0)
	v_mov_b32_e32 v10, 0x80
	v_cvt_f32_f64_e32 v8, v[8:9]
	v_and_b32_e32 v9, 0x7fffffff, v8
	v_cmp_gt_u32_e32 vcc, s18, v9
	s_and_saveexec_b64 s[18:19], vcc
	s_cbranch_execz .LBB294_24
; %bb.19:
	s_mov_b32 s20, 0x3bffffff
	v_cmp_lt_u32_e32 vcc, s20, v9
	s_mov_b64 s[20:21], 0
                                        ; implicit-def: $vgpr9
	s_and_saveexec_b64 s[22:23], vcc
	s_xor_b64 s[22:23], exec, s[22:23]
	s_cbranch_execnz .LBB294_524
; %bb.20:
	s_andn2_saveexec_b64 s[22:23], s[22:23]
	s_cbranch_execnz .LBB294_525
.LBB294_21:
	s_or_b64 exec, exec, s[22:23]
	v_mov_b32_e32 v10, 0
	s_and_saveexec_b64 s[22:23], s[20:21]
.LBB294_22:
	v_lshrrev_b32_e32 v8, 24, v8
	s_movk_i32 s20, 0x80
	v_and_or_b32 v10, v8, s20, v9
.LBB294_23:
	s_or_b64 exec, exec, s[22:23]
.LBB294_24:
	s_or_b64 exec, exec, s[18:19]
                                        ; implicit-def: $vgpr8_vgpr9
.LBB294_25:
	s_andn2_saveexec_b64 s[16:17], s[16:17]
	s_cbranch_execz .LBB294_33
; %bb.26:
	flat_load_dword v8, v[8:9]
	s_mov_b32 s18, 0x43800000
	s_waitcnt vmcnt(0) lgkmcnt(0)
	v_mov_b32_e32 v10, 0x80
	v_and_b32_e32 v9, 0x7fffffff, v8
	v_cmp_gt_u32_e32 vcc, s18, v9
	s_and_saveexec_b64 s[18:19], vcc
	s_cbranch_execz .LBB294_32
; %bb.27:
	s_mov_b32 s20, 0x3bffffff
	v_cmp_lt_u32_e32 vcc, s20, v9
	s_mov_b64 s[20:21], 0
                                        ; implicit-def: $vgpr9
	s_and_saveexec_b64 s[22:23], vcc
	s_xor_b64 s[22:23], exec, s[22:23]
	s_cbranch_execnz .LBB294_526
; %bb.28:
	s_andn2_saveexec_b64 s[22:23], s[22:23]
	s_cbranch_execnz .LBB294_527
.LBB294_29:
	s_or_b64 exec, exec, s[22:23]
	v_mov_b32_e32 v10, 0
	s_and_saveexec_b64 s[22:23], s[20:21]
.LBB294_30:
	v_lshrrev_b32_e32 v8, 24, v8
	s_movk_i32 s20, 0x80
	v_and_or_b32 v10, v8, s20, v9
.LBB294_31:
	s_or_b64 exec, exec, s[22:23]
.LBB294_32:
	s_or_b64 exec, exec, s[18:19]
.LBB294_33:
	s_or_b64 exec, exec, s[16:17]
                                        ; implicit-def: $vgpr8_vgpr9
.LBB294_34:
	s_andn2_saveexec_b64 s[14:15], s[14:15]
	s_cbranch_execz .LBB294_42
; %bb.35:
	flat_load_dword v8, v[8:9]
	s_mov_b32 s16, 0x43800000
	s_waitcnt vmcnt(0) lgkmcnt(0)
	v_mov_b32_e32 v10, 0x80
	v_cvt_f32_f16_e32 v8, v8
	v_and_b32_e32 v9, 0x7fffffff, v8
	v_cmp_gt_u32_e32 vcc, s16, v9
	s_and_saveexec_b64 s[16:17], vcc
	s_cbranch_execz .LBB294_41
; %bb.36:
	s_mov_b32 s18, 0x3bffffff
	v_cmp_lt_u32_e32 vcc, s18, v9
	s_mov_b64 s[18:19], 0
                                        ; implicit-def: $vgpr9
	s_and_saveexec_b64 s[20:21], vcc
	s_xor_b64 s[20:21], exec, s[20:21]
	s_cbranch_execnz .LBB294_498
; %bb.37:
	s_andn2_saveexec_b64 s[20:21], s[20:21]
	s_cbranch_execnz .LBB294_499
.LBB294_38:
	s_or_b64 exec, exec, s[20:21]
	v_mov_b32_e32 v10, 0
	s_and_saveexec_b64 s[20:21], s[18:19]
.LBB294_39:
	v_lshrrev_b32_e32 v8, 24, v8
	s_movk_i32 s18, 0x80
	v_and_or_b32 v10, v8, s18, v9
.LBB294_40:
	s_or_b64 exec, exec, s[20:21]
.LBB294_41:
	s_or_b64 exec, exec, s[16:17]
.LBB294_42:
	s_or_b64 exec, exec, s[14:15]
                                        ; implicit-def: $vgpr11
                                        ; implicit-def: $vgpr8_vgpr9
.LBB294_43:
	s_andn2_saveexec_b64 s[12:13], s[12:13]
	s_cbranch_execz .LBB294_71
; %bb.44:
	v_cmp_lt_i16_e32 vcc, 5, v11
                                        ; implicit-def: $vgpr10
	s_and_saveexec_b64 s[14:15], vcc
	s_xor_b64 s[14:15], exec, s[14:15]
	s_cbranch_execz .LBB294_62
; %bb.45:
	v_cmp_lt_i16_e32 vcc, 6, v11
                                        ; implicit-def: $vgpr10
	s_and_saveexec_b64 s[16:17], vcc
	s_xor_b64 s[16:17], exec, s[16:17]
	s_cbranch_execz .LBB294_53
; %bb.46:
	flat_load_dwordx2 v[8:9], v[8:9]
	s_mov_b32 s18, 0x43800000
	s_waitcnt vmcnt(0) lgkmcnt(0)
	v_mov_b32_e32 v10, 0x80
	v_cvt_f32_f64_e32 v8, v[8:9]
	v_and_b32_e32 v9, 0x7fffffff, v8
	v_cmp_gt_u32_e32 vcc, s18, v9
	s_and_saveexec_b64 s[18:19], vcc
	s_cbranch_execz .LBB294_52
; %bb.47:
	s_mov_b32 s20, 0x3bffffff
	v_cmp_lt_u32_e32 vcc, s20, v9
	s_mov_b64 s[20:21], 0
                                        ; implicit-def: $vgpr9
	s_and_saveexec_b64 s[22:23], vcc
	s_xor_b64 s[22:23], exec, s[22:23]
	s_cbranch_execnz .LBB294_528
; %bb.48:
	s_andn2_saveexec_b64 s[22:23], s[22:23]
	s_cbranch_execnz .LBB294_529
.LBB294_49:
	s_or_b64 exec, exec, s[22:23]
	v_mov_b32_e32 v10, 0
	s_and_saveexec_b64 s[22:23], s[20:21]
.LBB294_50:
	v_lshrrev_b32_e32 v8, 24, v8
	s_movk_i32 s20, 0x80
	v_and_or_b32 v10, v8, s20, v9
.LBB294_51:
	s_or_b64 exec, exec, s[22:23]
.LBB294_52:
	s_or_b64 exec, exec, s[18:19]
                                        ; implicit-def: $vgpr8_vgpr9
.LBB294_53:
	s_andn2_saveexec_b64 s[16:17], s[16:17]
	s_cbranch_execz .LBB294_61
; %bb.54:
	flat_load_dword v8, v[8:9]
	s_mov_b32 s18, 0x43800000
	s_waitcnt vmcnt(0) lgkmcnt(0)
	v_mov_b32_e32 v10, 0x80
	v_and_b32_e32 v9, 0x7fffffff, v8
	v_cmp_gt_u32_e32 vcc, s18, v9
	s_and_saveexec_b64 s[18:19], vcc
	s_cbranch_execz .LBB294_60
; %bb.55:
	s_mov_b32 s20, 0x3bffffff
	v_cmp_lt_u32_e32 vcc, s20, v9
	s_mov_b64 s[20:21], 0
                                        ; implicit-def: $vgpr9
	s_and_saveexec_b64 s[22:23], vcc
	s_xor_b64 s[22:23], exec, s[22:23]
	s_cbranch_execnz .LBB294_530
; %bb.56:
	s_andn2_saveexec_b64 s[22:23], s[22:23]
	s_cbranch_execnz .LBB294_531
.LBB294_57:
	s_or_b64 exec, exec, s[22:23]
	v_mov_b32_e32 v10, 0
	s_and_saveexec_b64 s[22:23], s[20:21]
.LBB294_58:
	v_lshrrev_b32_e32 v8, 24, v8
	s_movk_i32 s20, 0x80
	v_and_or_b32 v10, v8, s20, v9
.LBB294_59:
	s_or_b64 exec, exec, s[22:23]
.LBB294_60:
	s_or_b64 exec, exec, s[18:19]
.LBB294_61:
	s_or_b64 exec, exec, s[16:17]
                                        ; implicit-def: $vgpr8_vgpr9
.LBB294_62:
	s_andn2_saveexec_b64 s[14:15], s[14:15]
	s_cbranch_execz .LBB294_70
; %bb.63:
	flat_load_ushort v8, v[8:9]
	s_mov_b32 s16, 0x43800000
	s_waitcnt vmcnt(0) lgkmcnt(0)
	v_mov_b32_e32 v10, 0x80
	v_cvt_f32_f16_e32 v8, v8
	v_and_b32_e32 v9, 0x7fffffff, v8
	v_cmp_gt_u32_e32 vcc, s16, v9
	s_and_saveexec_b64 s[16:17], vcc
	s_cbranch_execz .LBB294_69
; %bb.64:
	s_mov_b32 s18, 0x3bffffff
	v_cmp_lt_u32_e32 vcc, s18, v9
	s_mov_b64 s[18:19], 0
                                        ; implicit-def: $vgpr9
	s_and_saveexec_b64 s[20:21], vcc
	s_xor_b64 s[20:21], exec, s[20:21]
	s_cbranch_execnz .LBB294_500
; %bb.65:
	s_andn2_saveexec_b64 s[20:21], s[20:21]
	s_cbranch_execnz .LBB294_501
.LBB294_66:
	s_or_b64 exec, exec, s[20:21]
	v_mov_b32_e32 v10, 0
	s_and_saveexec_b64 s[20:21], s[18:19]
.LBB294_67:
	v_lshrrev_b32_e32 v8, 24, v8
	s_movk_i32 s18, 0x80
	v_and_or_b32 v10, v8, s18, v9
.LBB294_68:
	s_or_b64 exec, exec, s[20:21]
.LBB294_69:
	s_or_b64 exec, exec, s[16:17]
.LBB294_70:
	s_or_b64 exec, exec, s[14:15]
.LBB294_71:
	s_or_b64 exec, exec, s[12:13]
                                        ; implicit-def: $vgpr11
                                        ; implicit-def: $vgpr8_vgpr9
.LBB294_72:
	s_andn2_saveexec_b64 s[8:9], s[8:9]
	s_cbranch_execz .LBB294_120
; %bb.73:
	v_cmp_lt_i16_e32 vcc, 1, v11
                                        ; implicit-def: $vgpr10
	s_and_saveexec_b64 s[12:13], vcc
	s_xor_b64 s[12:13], exec, s[12:13]
	s_cbranch_execz .LBB294_101
; %bb.74:
	v_cmp_lt_i16_e32 vcc, 2, v11
                                        ; implicit-def: $vgpr10
	s_and_saveexec_b64 s[14:15], vcc
	s_xor_b64 s[14:15], exec, s[14:15]
	;; [unrolled: 6-line block ×3, first 2 shown]
	s_cbranch_execz .LBB294_83
; %bb.76:
	flat_load_dwordx2 v[8:9], v[8:9]
	s_mov_b32 s18, 0x43800000
	s_waitcnt vmcnt(0) lgkmcnt(0)
	v_xor_b32_e32 v11, v8, v9
	v_ffbh_i32_e32 v10, v9
	v_ashrrev_i32_e32 v11, 31, v11
	v_add_u32_e32 v10, -1, v10
	v_add_u32_e32 v11, 32, v11
	v_min_u32_e32 v10, v10, v11
	v_lshlrev_b64 v[8:9], v10, v[8:9]
	v_min_u32_e32 v8, 1, v8
	v_or_b32_e32 v8, v9, v8
	v_cvt_f32_i32_e32 v8, v8
	v_sub_u32_e32 v9, 32, v10
	v_mov_b32_e32 v10, 0x80
	v_ldexp_f32 v8, v8, v9
	v_and_b32_e32 v9, 0x7fffffff, v8
	v_cmp_gt_u32_e32 vcc, s18, v9
	s_and_saveexec_b64 s[18:19], vcc
	s_cbranch_execz .LBB294_82
; %bb.77:
	s_mov_b32 s20, 0x3bffffff
	v_cmp_lt_u32_e32 vcc, s20, v9
	s_mov_b64 s[20:21], 0
                                        ; implicit-def: $vgpr9
	s_and_saveexec_b64 s[22:23], vcc
	s_xor_b64 s[22:23], exec, s[22:23]
	s_cbranch_execnz .LBB294_532
; %bb.78:
	s_andn2_saveexec_b64 s[22:23], s[22:23]
	s_cbranch_execnz .LBB294_533
.LBB294_79:
	s_or_b64 exec, exec, s[22:23]
	v_mov_b32_e32 v10, 0
	s_and_saveexec_b64 s[22:23], s[20:21]
.LBB294_80:
	v_lshrrev_b32_e32 v8, 24, v8
	s_movk_i32 s20, 0x80
	v_and_or_b32 v10, v8, s20, v9
.LBB294_81:
	s_or_b64 exec, exec, s[22:23]
.LBB294_82:
	s_or_b64 exec, exec, s[18:19]
                                        ; implicit-def: $vgpr8_vgpr9
.LBB294_83:
	s_andn2_saveexec_b64 s[16:17], s[16:17]
	s_cbranch_execz .LBB294_91
; %bb.84:
	flat_load_dword v8, v[8:9]
	s_mov_b32 s18, 0x43800000
	s_waitcnt vmcnt(0) lgkmcnt(0)
	v_mov_b32_e32 v10, 0x80
	v_cvt_f32_i32_e32 v8, v8
	v_and_b32_e32 v9, 0x7fffffff, v8
	v_cmp_gt_u32_e32 vcc, s18, v9
	s_and_saveexec_b64 s[18:19], vcc
	s_cbranch_execz .LBB294_90
; %bb.85:
	s_mov_b32 s20, 0x3bffffff
	v_cmp_lt_u32_e32 vcc, s20, v9
	s_mov_b64 s[20:21], 0
                                        ; implicit-def: $vgpr9
	s_and_saveexec_b64 s[22:23], vcc
	s_xor_b64 s[22:23], exec, s[22:23]
	s_cbranch_execnz .LBB294_534
; %bb.86:
	s_andn2_saveexec_b64 s[22:23], s[22:23]
	s_cbranch_execnz .LBB294_535
.LBB294_87:
	s_or_b64 exec, exec, s[22:23]
	v_mov_b32_e32 v10, 0
	s_and_saveexec_b64 s[22:23], s[20:21]
.LBB294_88:
	v_lshrrev_b32_e32 v8, 24, v8
	s_movk_i32 s20, 0x80
	v_and_or_b32 v10, v8, s20, v9
.LBB294_89:
	s_or_b64 exec, exec, s[22:23]
.LBB294_90:
	s_or_b64 exec, exec, s[18:19]
.LBB294_91:
	s_or_b64 exec, exec, s[16:17]
                                        ; implicit-def: $vgpr8_vgpr9
.LBB294_92:
	s_andn2_saveexec_b64 s[14:15], s[14:15]
	s_cbranch_execz .LBB294_100
; %bb.93:
	flat_load_sshort v8, v[8:9]
	s_mov_b32 s16, 0x43800000
	s_waitcnt vmcnt(0) lgkmcnt(0)
	v_mov_b32_e32 v10, 0x80
	v_cvt_f32_i32_e32 v8, v8
	v_and_b32_e32 v9, 0x7fffffff, v8
	v_cmp_gt_u32_e32 vcc, s16, v9
	s_and_saveexec_b64 s[16:17], vcc
	s_cbranch_execz .LBB294_99
; %bb.94:
	s_mov_b32 s18, 0x3bffffff
	v_cmp_lt_u32_e32 vcc, s18, v9
	s_mov_b64 s[18:19], 0
                                        ; implicit-def: $vgpr9
	s_and_saveexec_b64 s[20:21], vcc
	s_xor_b64 s[20:21], exec, s[20:21]
	s_cbranch_execnz .LBB294_502
; %bb.95:
	s_andn2_saveexec_b64 s[20:21], s[20:21]
	s_cbranch_execnz .LBB294_503
.LBB294_96:
	s_or_b64 exec, exec, s[20:21]
	v_mov_b32_e32 v10, 0
	s_and_saveexec_b64 s[20:21], s[18:19]
.LBB294_97:
	v_lshrrev_b32_e32 v8, 24, v8
	s_movk_i32 s18, 0x80
	v_and_or_b32 v10, v8, s18, v9
.LBB294_98:
	s_or_b64 exec, exec, s[20:21]
.LBB294_99:
	s_or_b64 exec, exec, s[16:17]
.LBB294_100:
	s_or_b64 exec, exec, s[14:15]
                                        ; implicit-def: $vgpr11
                                        ; implicit-def: $vgpr8_vgpr9
.LBB294_101:
	s_andn2_saveexec_b64 s[12:13], s[12:13]
	s_cbranch_execz .LBB294_119
; %bb.102:
	v_cmp_lt_i16_e32 vcc, 0, v11
                                        ; implicit-def: $vgpr10
	s_and_saveexec_b64 s[14:15], vcc
	s_xor_b64 s[14:15], exec, s[14:15]
	s_cbranch_execz .LBB294_110
; %bb.103:
	flat_load_sbyte v8, v[8:9]
	s_mov_b32 s16, 0x43800000
	s_waitcnt vmcnt(0) lgkmcnt(0)
	v_mov_b32_e32 v10, 0x80
	v_cvt_f32_i32_e32 v8, v8
	v_and_b32_e32 v9, 0x7fffffff, v8
	v_cmp_gt_u32_e32 vcc, s16, v9
	s_and_saveexec_b64 s[16:17], vcc
	s_cbranch_execz .LBB294_109
; %bb.104:
	s_mov_b32 s18, 0x3bffffff
	v_cmp_lt_u32_e32 vcc, s18, v9
	s_mov_b64 s[18:19], 0
                                        ; implicit-def: $vgpr9
	s_and_saveexec_b64 s[20:21], vcc
	s_xor_b64 s[20:21], exec, s[20:21]
	s_cbranch_execnz .LBB294_504
; %bb.105:
	s_andn2_saveexec_b64 s[20:21], s[20:21]
	s_cbranch_execnz .LBB294_505
.LBB294_106:
	s_or_b64 exec, exec, s[20:21]
	v_mov_b32_e32 v10, 0
	s_and_saveexec_b64 s[20:21], s[18:19]
.LBB294_107:
	v_lshrrev_b32_e32 v8, 24, v8
	s_movk_i32 s18, 0x80
	v_and_or_b32 v10, v8, s18, v9
.LBB294_108:
	s_or_b64 exec, exec, s[20:21]
.LBB294_109:
	s_or_b64 exec, exec, s[16:17]
                                        ; implicit-def: $vgpr8_vgpr9
.LBB294_110:
	s_andn2_saveexec_b64 s[14:15], s[14:15]
	s_cbranch_execz .LBB294_118
; %bb.111:
	flat_load_ubyte v8, v[8:9]
	s_mov_b32 s16, 0x43800000
	s_waitcnt vmcnt(0) lgkmcnt(0)
	v_mov_b32_e32 v10, 0x80
	v_cvt_f32_ubyte0_e32 v9, v8
	v_cmp_gt_u32_e32 vcc, s16, v9
	s_and_saveexec_b64 s[16:17], vcc
	s_cbranch_execz .LBB294_117
; %bb.112:
	s_mov_b32 s18, 0x3bffffff
	v_cmp_lt_u32_e32 vcc, s18, v9
	s_mov_b64 s[18:19], 0
                                        ; implicit-def: $vgpr8
	s_and_saveexec_b64 s[20:21], vcc
	s_xor_b64 s[20:21], exec, s[20:21]
	s_cbranch_execnz .LBB294_506
; %bb.113:
	s_andn2_saveexec_b64 s[20:21], s[20:21]
	s_cbranch_execnz .LBB294_507
.LBB294_114:
	s_or_b64 exec, exec, s[20:21]
	v_mov_b32_e32 v10, 0
	s_and_saveexec_b64 s[20:21], s[18:19]
.LBB294_115:
	v_mov_b32_e32 v10, v8
.LBB294_116:
	s_or_b64 exec, exec, s[20:21]
.LBB294_117:
	s_or_b64 exec, exec, s[16:17]
.LBB294_118:
	s_or_b64 exec, exec, s[14:15]
.LBB294_119:
	s_or_b64 exec, exec, s[12:13]
.LBB294_120:
	s_or_b64 exec, exec, s[8:9]
	s_or_b64 s[10:11], s[10:11], exec
.LBB294_121:
	s_or_b64 exec, exec, s[4:5]
	s_mov_b64 s[14:15], 0
	s_mov_b64 s[12:13], 0
	s_mov_b64 s[4:5], 0
                                        ; implicit-def: $vgpr11
                                        ; implicit-def: $vgpr8_vgpr9
                                        ; implicit-def: $vgpr12
	s_and_saveexec_b64 s[8:9], s[10:11]
	s_cbranch_execnz .LBB294_127
; %bb.122:
	s_or_b64 exec, exec, s[8:9]
	s_and_saveexec_b64 s[8:9], s[6:7]
	s_cbranch_execnz .LBB294_133
.LBB294_123:
	s_or_b64 exec, exec, s[8:9]
	s_and_saveexec_b64 s[6:7], s[14:15]
	s_xor_b64 s[6:7], exec, s[6:7]
	s_cbranch_execnz .LBB294_134
.LBB294_124:
	s_or_b64 exec, exec, s[6:7]
	s_and_saveexec_b64 s[6:7], s[12:13]
	s_cbranch_execnz .LBB294_141
.LBB294_125:
	s_or_b64 exec, exec, s[6:7]
                                        ; implicit-def: $sgpr8_sgpr9
	s_and_saveexec_b64 s[6:7], s[4:5]
	s_cbranch_execnz .LBB294_248
.LBB294_126:
	s_or_b64 exec, exec, s[6:7]
	v_cndmask_b32_e64 v0, 0, 1, s[8:9]
	s_waitcnt vmcnt(0) lgkmcnt(0)
	s_setpc_b64 s[30:31]
.LBB294_127:
	flat_load_dword v12, v[3:4] offset:4
	flat_load_ubyte v11, v[5:6] offset:1
	flat_load_dwordx2 v[8:9], v[1:2] offset:8
	s_mov_b64 s[12:13], -1
	s_mov_b64 s[10:11], 0
	s_mov_b64 s[16:17], s[6:7]
	s_waitcnt vmcnt(0) lgkmcnt(0)
	v_mul_lo_u32 v1, v12, v7
	v_cmp_lt_i16_e32 vcc, 10, v11
                                        ; implicit-def: $vgpr12
	v_ashrrev_i32_e32 v2, 31, v1
	v_add_co_u32_e64 v8, s[4:5], v8, v1
	v_addc_co_u32_e64 v9, s[4:5], v9, v2, s[4:5]
	s_and_saveexec_b64 s[4:5], vcc
	s_cbranch_execz .LBB294_132
; %bb.128:
	v_cmp_lt_i16_e32 vcc, 25, v11
	s_mov_b64 s[12:13], 0
                                        ; implicit-def: $vgpr12
	s_and_saveexec_b64 s[16:17], vcc
	s_xor_b64 s[16:17], exec, s[16:17]
	s_cbranch_execnz .LBB294_373
; %bb.129:
	s_andn2_saveexec_b64 s[16:17], s[16:17]
	s_cbranch_execnz .LBB294_430
.LBB294_130:
	s_or_b64 exec, exec, s[16:17]
	s_mov_b64 s[16:17], s[6:7]
	s_and_saveexec_b64 s[18:19], s[14:15]
	s_cbranch_execnz .LBB294_477
.LBB294_131:
	s_or_b64 exec, exec, s[18:19]
	s_andn2_b64 s[18:19], s[6:7], exec
	s_and_b64 s[16:17], s[16:17], exec
	s_and_b64 s[14:15], s[12:13], exec
	s_xor_b64 s[12:13], exec, -1
	s_and_b64 s[10:11], s[10:11], exec
	s_or_b64 s[16:17], s[18:19], s[16:17]
.LBB294_132:
	s_or_b64 exec, exec, s[4:5]
	s_and_b64 s[4:5], s[14:15], exec
	s_and_b64 s[14:15], s[10:11], exec
	s_andn2_b64 s[6:7], s[6:7], exec
	s_and_b64 s[10:11], s[16:17], exec
	s_and_b64 s[12:13], s[12:13], exec
	s_or_b64 s[6:7], s[6:7], s[10:11]
	s_or_b64 exec, exec, s[8:9]
	s_and_saveexec_b64 s[8:9], s[6:7]
	s_cbranch_execz .LBB294_123
.LBB294_133:
	; divergent unreachable
	s_or_b64 exec, exec, s[8:9]
	s_and_saveexec_b64 s[6:7], s[14:15]
	s_xor_b64 s[6:7], exec, s[6:7]
	s_cbranch_execz .LBB294_124
.LBB294_134:
	flat_load_ubyte v1, v[8:9]
	s_mov_b32 s8, 0x43800000
	s_waitcnt vmcnt(0) lgkmcnt(0)
	v_mov_b32_e32 v12, 0x80
	v_cmp_ne_u16_e32 vcc, 0, v1
	v_cndmask_b32_e64 v2, 0, 1.0, vcc
	v_cmp_gt_u32_e32 vcc, s8, v2
	s_and_saveexec_b64 s[8:9], vcc
	s_cbranch_execz .LBB294_140
; %bb.135:
	s_mov_b32 s10, 0x3bffffff
	v_cmp_lt_u32_e32 vcc, s10, v2
	s_mov_b64 s[10:11], 0
                                        ; implicit-def: $vgpr1
	s_and_saveexec_b64 s[14:15], vcc
	s_xor_b64 s[14:15], exec, s[14:15]
	s_cbranch_execnz .LBB294_478
; %bb.136:
	s_andn2_saveexec_b64 s[14:15], s[14:15]
	s_cbranch_execnz .LBB294_479
.LBB294_137:
	s_or_b64 exec, exec, s[14:15]
	v_mov_b32_e32 v12, 0
	s_and_saveexec_b64 s[14:15], s[10:11]
.LBB294_138:
	v_mov_b32_e32 v12, v1
.LBB294_139:
	s_or_b64 exec, exec, s[14:15]
.LBB294_140:
	s_or_b64 exec, exec, s[8:9]
	s_or_b64 s[4:5], s[4:5], exec
	s_or_b64 exec, exec, s[6:7]
	s_and_saveexec_b64 s[6:7], s[12:13]
	s_cbranch_execz .LBB294_125
.LBB294_141:
	v_cmp_lt_i16_e32 vcc, 4, v11
                                        ; implicit-def: $vgpr12
	s_and_saveexec_b64 s[8:9], vcc
	s_xor_b64 s[8:9], exec, s[8:9]
	s_cbranch_execz .LBB294_199
; %bb.142:
	v_cmp_lt_i16_e32 vcc, 7, v11
                                        ; implicit-def: $vgpr12
	s_and_saveexec_b64 s[10:11], vcc
	s_xor_b64 s[10:11], exec, s[10:11]
	s_cbranch_execz .LBB294_170
; %bb.143:
	;; [unrolled: 6-line block ×4, first 2 shown]
	flat_load_dwordx2 v[1:2], v[8:9]
	s_mov_b32 s16, 0x43800000
	s_waitcnt vmcnt(0) lgkmcnt(0)
	v_mov_b32_e32 v12, 0x80
	v_cvt_f32_f64_e32 v1, v[1:2]
	v_and_b32_e32 v2, 0x7fffffff, v1
	v_cmp_gt_u32_e32 vcc, s16, v2
	s_and_saveexec_b64 s[16:17], vcc
	s_cbranch_execz .LBB294_151
; %bb.146:
	s_mov_b32 s18, 0x3bffffff
	v_cmp_lt_u32_e32 vcc, s18, v2
	s_mov_b64 s[18:19], 0
                                        ; implicit-def: $vgpr2
	s_and_saveexec_b64 s[20:21], vcc
	s_xor_b64 s[20:21], exec, s[20:21]
	s_cbranch_execnz .LBB294_536
; %bb.147:
	s_andn2_saveexec_b64 s[20:21], s[20:21]
	s_cbranch_execnz .LBB294_537
.LBB294_148:
	s_or_b64 exec, exec, s[20:21]
	v_mov_b32_e32 v12, 0
	s_and_saveexec_b64 s[20:21], s[18:19]
.LBB294_149:
	v_lshrrev_b32_e32 v1, 24, v1
	s_movk_i32 s18, 0x80
	v_and_or_b32 v12, v1, s18, v2
.LBB294_150:
	s_or_b64 exec, exec, s[20:21]
.LBB294_151:
	s_or_b64 exec, exec, s[16:17]
                                        ; implicit-def: $vgpr8_vgpr9
.LBB294_152:
	s_andn2_saveexec_b64 s[14:15], s[14:15]
	s_cbranch_execz .LBB294_160
; %bb.153:
	flat_load_dword v1, v[8:9]
	s_mov_b32 s16, 0x43800000
	s_waitcnt vmcnt(0) lgkmcnt(0)
	v_mov_b32_e32 v12, 0x80
	v_and_b32_e32 v2, 0x7fffffff, v1
	v_cmp_gt_u32_e32 vcc, s16, v2
	s_and_saveexec_b64 s[16:17], vcc
	s_cbranch_execz .LBB294_159
; %bb.154:
	s_mov_b32 s18, 0x3bffffff
	v_cmp_lt_u32_e32 vcc, s18, v2
	s_mov_b64 s[18:19], 0
                                        ; implicit-def: $vgpr2
	s_and_saveexec_b64 s[20:21], vcc
	s_xor_b64 s[20:21], exec, s[20:21]
	s_cbranch_execnz .LBB294_538
; %bb.155:
	s_andn2_saveexec_b64 s[20:21], s[20:21]
	s_cbranch_execnz .LBB294_539
.LBB294_156:
	s_or_b64 exec, exec, s[20:21]
	v_mov_b32_e32 v12, 0
	s_and_saveexec_b64 s[20:21], s[18:19]
.LBB294_157:
	v_lshrrev_b32_e32 v1, 24, v1
	s_movk_i32 s18, 0x80
	v_and_or_b32 v12, v1, s18, v2
.LBB294_158:
	s_or_b64 exec, exec, s[20:21]
.LBB294_159:
	s_or_b64 exec, exec, s[16:17]
.LBB294_160:
	s_or_b64 exec, exec, s[14:15]
                                        ; implicit-def: $vgpr8_vgpr9
.LBB294_161:
	s_andn2_saveexec_b64 s[12:13], s[12:13]
	s_cbranch_execz .LBB294_169
; %bb.162:
	flat_load_dword v1, v[8:9]
	s_mov_b32 s14, 0x43800000
	s_waitcnt vmcnt(0) lgkmcnt(0)
	v_mov_b32_e32 v12, 0x80
	v_cvt_f32_f16_e32 v1, v1
	v_and_b32_e32 v2, 0x7fffffff, v1
	v_cmp_gt_u32_e32 vcc, s14, v2
	s_and_saveexec_b64 s[14:15], vcc
	s_cbranch_execz .LBB294_168
; %bb.163:
	s_mov_b32 s16, 0x3bffffff
	v_cmp_lt_u32_e32 vcc, s16, v2
	s_mov_b64 s[16:17], 0
                                        ; implicit-def: $vgpr2
	s_and_saveexec_b64 s[18:19], vcc
	s_xor_b64 s[18:19], exec, s[18:19]
	s_cbranch_execnz .LBB294_508
; %bb.164:
	s_andn2_saveexec_b64 s[18:19], s[18:19]
	s_cbranch_execnz .LBB294_509
.LBB294_165:
	s_or_b64 exec, exec, s[18:19]
	v_mov_b32_e32 v12, 0
	s_and_saveexec_b64 s[18:19], s[16:17]
.LBB294_166:
	v_lshrrev_b32_e32 v1, 24, v1
	s_movk_i32 s16, 0x80
	v_and_or_b32 v12, v1, s16, v2
.LBB294_167:
	s_or_b64 exec, exec, s[18:19]
.LBB294_168:
	s_or_b64 exec, exec, s[14:15]
.LBB294_169:
	s_or_b64 exec, exec, s[12:13]
                                        ; implicit-def: $vgpr8_vgpr9
.LBB294_170:
	s_andn2_saveexec_b64 s[10:11], s[10:11]
	s_cbranch_execz .LBB294_198
; %bb.171:
	v_cmp_lt_i16_e32 vcc, 5, v11
                                        ; implicit-def: $vgpr12
	s_and_saveexec_b64 s[12:13], vcc
	s_xor_b64 s[12:13], exec, s[12:13]
	s_cbranch_execz .LBB294_189
; %bb.172:
	v_cmp_lt_i16_e32 vcc, 6, v11
                                        ; implicit-def: $vgpr12
	s_and_saveexec_b64 s[14:15], vcc
	s_xor_b64 s[14:15], exec, s[14:15]
	s_cbranch_execz .LBB294_180
; %bb.173:
	flat_load_dwordx2 v[1:2], v[8:9]
	s_mov_b32 s16, 0x43800000
	s_waitcnt vmcnt(0) lgkmcnt(0)
	v_mov_b32_e32 v12, 0x80
	v_cvt_f32_f64_e32 v1, v[1:2]
	v_and_b32_e32 v2, 0x7fffffff, v1
	v_cmp_gt_u32_e32 vcc, s16, v2
	s_and_saveexec_b64 s[16:17], vcc
	s_cbranch_execz .LBB294_179
; %bb.174:
	s_mov_b32 s18, 0x3bffffff
	v_cmp_lt_u32_e32 vcc, s18, v2
	s_mov_b64 s[18:19], 0
                                        ; implicit-def: $vgpr2
	s_and_saveexec_b64 s[20:21], vcc
	s_xor_b64 s[20:21], exec, s[20:21]
	s_cbranch_execnz .LBB294_540
; %bb.175:
	s_andn2_saveexec_b64 s[20:21], s[20:21]
	s_cbranch_execnz .LBB294_541
.LBB294_176:
	s_or_b64 exec, exec, s[20:21]
	v_mov_b32_e32 v12, 0
	s_and_saveexec_b64 s[20:21], s[18:19]
.LBB294_177:
	v_lshrrev_b32_e32 v1, 24, v1
	s_movk_i32 s18, 0x80
	v_and_or_b32 v12, v1, s18, v2
.LBB294_178:
	s_or_b64 exec, exec, s[20:21]
.LBB294_179:
	s_or_b64 exec, exec, s[16:17]
                                        ; implicit-def: $vgpr8_vgpr9
.LBB294_180:
	s_andn2_saveexec_b64 s[14:15], s[14:15]
	s_cbranch_execz .LBB294_188
; %bb.181:
	flat_load_dword v1, v[8:9]
	s_mov_b32 s16, 0x43800000
	s_waitcnt vmcnt(0) lgkmcnt(0)
	v_mov_b32_e32 v12, 0x80
	v_and_b32_e32 v2, 0x7fffffff, v1
	v_cmp_gt_u32_e32 vcc, s16, v2
	s_and_saveexec_b64 s[16:17], vcc
	s_cbranch_execz .LBB294_187
; %bb.182:
	s_mov_b32 s18, 0x3bffffff
	v_cmp_lt_u32_e32 vcc, s18, v2
	s_mov_b64 s[18:19], 0
                                        ; implicit-def: $vgpr2
	s_and_saveexec_b64 s[20:21], vcc
	s_xor_b64 s[20:21], exec, s[20:21]
	s_cbranch_execnz .LBB294_542
; %bb.183:
	s_andn2_saveexec_b64 s[20:21], s[20:21]
	s_cbranch_execnz .LBB294_543
.LBB294_184:
	s_or_b64 exec, exec, s[20:21]
	v_mov_b32_e32 v12, 0
	s_and_saveexec_b64 s[20:21], s[18:19]
.LBB294_185:
	v_lshrrev_b32_e32 v1, 24, v1
	s_movk_i32 s18, 0x80
	v_and_or_b32 v12, v1, s18, v2
.LBB294_186:
	s_or_b64 exec, exec, s[20:21]
.LBB294_187:
	s_or_b64 exec, exec, s[16:17]
.LBB294_188:
	s_or_b64 exec, exec, s[14:15]
                                        ; implicit-def: $vgpr8_vgpr9
.LBB294_189:
	s_andn2_saveexec_b64 s[12:13], s[12:13]
	s_cbranch_execz .LBB294_197
; %bb.190:
	flat_load_ushort v1, v[8:9]
	s_mov_b32 s14, 0x43800000
	s_waitcnt vmcnt(0) lgkmcnt(0)
	v_mov_b32_e32 v12, 0x80
	v_cvt_f32_f16_e32 v1, v1
	v_and_b32_e32 v2, 0x7fffffff, v1
	v_cmp_gt_u32_e32 vcc, s14, v2
	s_and_saveexec_b64 s[14:15], vcc
	s_cbranch_execz .LBB294_196
; %bb.191:
	s_mov_b32 s16, 0x3bffffff
	v_cmp_lt_u32_e32 vcc, s16, v2
	s_mov_b64 s[16:17], 0
                                        ; implicit-def: $vgpr2
	s_and_saveexec_b64 s[18:19], vcc
	s_xor_b64 s[18:19], exec, s[18:19]
	s_cbranch_execnz .LBB294_510
; %bb.192:
	s_andn2_saveexec_b64 s[18:19], s[18:19]
	s_cbranch_execnz .LBB294_511
.LBB294_193:
	s_or_b64 exec, exec, s[18:19]
	v_mov_b32_e32 v12, 0
	s_and_saveexec_b64 s[18:19], s[16:17]
.LBB294_194:
	v_lshrrev_b32_e32 v1, 24, v1
	s_movk_i32 s16, 0x80
	v_and_or_b32 v12, v1, s16, v2
.LBB294_195:
	s_or_b64 exec, exec, s[18:19]
.LBB294_196:
	s_or_b64 exec, exec, s[14:15]
.LBB294_197:
	s_or_b64 exec, exec, s[12:13]
.LBB294_198:
	s_or_b64 exec, exec, s[10:11]
                                        ; implicit-def: $vgpr8_vgpr9
.LBB294_199:
	s_andn2_saveexec_b64 s[8:9], s[8:9]
	s_cbranch_execz .LBB294_247
; %bb.200:
	v_cmp_lt_i16_e32 vcc, 1, v11
                                        ; implicit-def: $vgpr12
	s_and_saveexec_b64 s[10:11], vcc
	s_xor_b64 s[10:11], exec, s[10:11]
	s_cbranch_execz .LBB294_228
; %bb.201:
	v_cmp_lt_i16_e32 vcc, 2, v11
                                        ; implicit-def: $vgpr12
	s_and_saveexec_b64 s[12:13], vcc
	s_xor_b64 s[12:13], exec, s[12:13]
	;; [unrolled: 6-line block ×3, first 2 shown]
	s_cbranch_execz .LBB294_210
; %bb.203:
	flat_load_dwordx2 v[1:2], v[8:9]
	s_mov_b32 s16, 0x43800000
	s_waitcnt vmcnt(0) lgkmcnt(0)
	v_mov_b32_e32 v12, 0x80
	v_xor_b32_e32 v4, v1, v2
	v_ffbh_i32_e32 v3, v2
	v_ashrrev_i32_e32 v4, 31, v4
	v_add_u32_e32 v3, -1, v3
	v_add_u32_e32 v4, 32, v4
	v_min_u32_e32 v3, v3, v4
	v_lshlrev_b64 v[1:2], v3, v[1:2]
	v_min_u32_e32 v1, 1, v1
	v_or_b32_e32 v1, v2, v1
	v_cvt_f32_i32_e32 v1, v1
	v_sub_u32_e32 v2, 32, v3
	v_ldexp_f32 v1, v1, v2
	v_and_b32_e32 v2, 0x7fffffff, v1
	v_cmp_gt_u32_e32 vcc, s16, v2
	s_and_saveexec_b64 s[16:17], vcc
	s_cbranch_execz .LBB294_209
; %bb.204:
	s_mov_b32 s18, 0x3bffffff
	v_cmp_lt_u32_e32 vcc, s18, v2
	s_mov_b64 s[18:19], 0
                                        ; implicit-def: $vgpr2
	s_and_saveexec_b64 s[20:21], vcc
	s_xor_b64 s[20:21], exec, s[20:21]
	s_cbranch_execnz .LBB294_544
; %bb.205:
	s_andn2_saveexec_b64 s[20:21], s[20:21]
	s_cbranch_execnz .LBB294_545
.LBB294_206:
	s_or_b64 exec, exec, s[20:21]
	v_mov_b32_e32 v12, 0
	s_and_saveexec_b64 s[20:21], s[18:19]
.LBB294_207:
	v_lshrrev_b32_e32 v1, 24, v1
	s_movk_i32 s18, 0x80
	v_and_or_b32 v12, v1, s18, v2
.LBB294_208:
	s_or_b64 exec, exec, s[20:21]
.LBB294_209:
	s_or_b64 exec, exec, s[16:17]
                                        ; implicit-def: $vgpr8_vgpr9
.LBB294_210:
	s_andn2_saveexec_b64 s[14:15], s[14:15]
	s_cbranch_execz .LBB294_218
; %bb.211:
	flat_load_dword v1, v[8:9]
	s_mov_b32 s16, 0x43800000
	s_waitcnt vmcnt(0) lgkmcnt(0)
	v_mov_b32_e32 v12, 0x80
	v_cvt_f32_i32_e32 v1, v1
	v_and_b32_e32 v2, 0x7fffffff, v1
	v_cmp_gt_u32_e32 vcc, s16, v2
	s_and_saveexec_b64 s[16:17], vcc
	s_cbranch_execz .LBB294_217
; %bb.212:
	s_mov_b32 s18, 0x3bffffff
	v_cmp_lt_u32_e32 vcc, s18, v2
	s_mov_b64 s[18:19], 0
                                        ; implicit-def: $vgpr2
	s_and_saveexec_b64 s[20:21], vcc
	s_xor_b64 s[20:21], exec, s[20:21]
	s_cbranch_execnz .LBB294_546
; %bb.213:
	s_andn2_saveexec_b64 s[20:21], s[20:21]
	s_cbranch_execnz .LBB294_547
.LBB294_214:
	s_or_b64 exec, exec, s[20:21]
	v_mov_b32_e32 v12, 0
	s_and_saveexec_b64 s[20:21], s[18:19]
.LBB294_215:
	v_lshrrev_b32_e32 v1, 24, v1
	s_movk_i32 s18, 0x80
	v_and_or_b32 v12, v1, s18, v2
.LBB294_216:
	s_or_b64 exec, exec, s[20:21]
.LBB294_217:
	s_or_b64 exec, exec, s[16:17]
.LBB294_218:
	s_or_b64 exec, exec, s[14:15]
                                        ; implicit-def: $vgpr8_vgpr9
.LBB294_219:
	s_andn2_saveexec_b64 s[12:13], s[12:13]
	s_cbranch_execz .LBB294_227
; %bb.220:
	flat_load_sshort v1, v[8:9]
	s_mov_b32 s14, 0x43800000
	s_waitcnt vmcnt(0) lgkmcnt(0)
	v_mov_b32_e32 v12, 0x80
	v_cvt_f32_i32_e32 v1, v1
	v_and_b32_e32 v2, 0x7fffffff, v1
	v_cmp_gt_u32_e32 vcc, s14, v2
	s_and_saveexec_b64 s[14:15], vcc
	s_cbranch_execz .LBB294_226
; %bb.221:
	s_mov_b32 s16, 0x3bffffff
	v_cmp_lt_u32_e32 vcc, s16, v2
	s_mov_b64 s[16:17], 0
                                        ; implicit-def: $vgpr2
	s_and_saveexec_b64 s[18:19], vcc
	s_xor_b64 s[18:19], exec, s[18:19]
	s_cbranch_execnz .LBB294_512
; %bb.222:
	s_andn2_saveexec_b64 s[18:19], s[18:19]
	s_cbranch_execnz .LBB294_513
.LBB294_223:
	s_or_b64 exec, exec, s[18:19]
	v_mov_b32_e32 v12, 0
	s_and_saveexec_b64 s[18:19], s[16:17]
.LBB294_224:
	v_lshrrev_b32_e32 v1, 24, v1
	s_movk_i32 s16, 0x80
	v_and_or_b32 v12, v1, s16, v2
.LBB294_225:
	s_or_b64 exec, exec, s[18:19]
.LBB294_226:
	s_or_b64 exec, exec, s[14:15]
.LBB294_227:
	s_or_b64 exec, exec, s[12:13]
                                        ; implicit-def: $vgpr8_vgpr9
.LBB294_228:
	s_andn2_saveexec_b64 s[10:11], s[10:11]
	s_cbranch_execz .LBB294_246
; %bb.229:
	v_cmp_lt_i16_e32 vcc, 0, v11
                                        ; implicit-def: $vgpr12
	s_and_saveexec_b64 s[12:13], vcc
	s_xor_b64 s[12:13], exec, s[12:13]
	s_cbranch_execz .LBB294_237
; %bb.230:
	flat_load_sbyte v1, v[8:9]
	s_mov_b32 s14, 0x43800000
	s_waitcnt vmcnt(0) lgkmcnt(0)
	v_mov_b32_e32 v12, 0x80
	v_cvt_f32_i32_e32 v1, v1
	v_and_b32_e32 v2, 0x7fffffff, v1
	v_cmp_gt_u32_e32 vcc, s14, v2
	s_and_saveexec_b64 s[14:15], vcc
	s_cbranch_execz .LBB294_236
; %bb.231:
	s_mov_b32 s16, 0x3bffffff
	v_cmp_lt_u32_e32 vcc, s16, v2
	s_mov_b64 s[16:17], 0
                                        ; implicit-def: $vgpr2
	s_and_saveexec_b64 s[18:19], vcc
	s_xor_b64 s[18:19], exec, s[18:19]
	s_cbranch_execnz .LBB294_514
; %bb.232:
	s_andn2_saveexec_b64 s[18:19], s[18:19]
	s_cbranch_execnz .LBB294_515
.LBB294_233:
	s_or_b64 exec, exec, s[18:19]
	v_mov_b32_e32 v12, 0
	s_and_saveexec_b64 s[18:19], s[16:17]
.LBB294_234:
	v_lshrrev_b32_e32 v1, 24, v1
	s_movk_i32 s16, 0x80
	v_and_or_b32 v12, v1, s16, v2
.LBB294_235:
	s_or_b64 exec, exec, s[18:19]
.LBB294_236:
	s_or_b64 exec, exec, s[14:15]
                                        ; implicit-def: $vgpr8_vgpr9
.LBB294_237:
	s_andn2_saveexec_b64 s[12:13], s[12:13]
	s_cbranch_execz .LBB294_245
; %bb.238:
	flat_load_ubyte v1, v[8:9]
	s_mov_b32 s14, 0x43800000
	s_waitcnt vmcnt(0) lgkmcnt(0)
	v_mov_b32_e32 v12, 0x80
	v_cvt_f32_ubyte0_e32 v2, v1
	v_cmp_gt_u32_e32 vcc, s14, v2
	s_and_saveexec_b64 s[14:15], vcc
	s_cbranch_execz .LBB294_244
; %bb.239:
	s_mov_b32 s16, 0x3bffffff
	v_cmp_lt_u32_e32 vcc, s16, v2
	s_mov_b64 s[16:17], 0
                                        ; implicit-def: $vgpr1
	s_and_saveexec_b64 s[18:19], vcc
	s_xor_b64 s[18:19], exec, s[18:19]
	s_cbranch_execnz .LBB294_516
; %bb.240:
	s_andn2_saveexec_b64 s[18:19], s[18:19]
	s_cbranch_execnz .LBB294_517
.LBB294_241:
	s_or_b64 exec, exec, s[18:19]
	v_mov_b32_e32 v12, 0
	s_and_saveexec_b64 s[18:19], s[16:17]
.LBB294_242:
	v_mov_b32_e32 v12, v1
.LBB294_243:
	s_or_b64 exec, exec, s[18:19]
.LBB294_244:
	s_or_b64 exec, exec, s[14:15]
.LBB294_245:
	s_or_b64 exec, exec, s[12:13]
.LBB294_246:
	s_or_b64 exec, exec, s[10:11]
.LBB294_247:
	s_or_b64 exec, exec, s[8:9]
	s_or_b64 s[4:5], s[4:5], exec
	s_or_b64 exec, exec, s[6:7]
                                        ; implicit-def: $sgpr8_sgpr9
	s_and_saveexec_b64 s[6:7], s[4:5]
	s_cbranch_execz .LBB294_126
.LBB294_248:
	v_cmp_ne_u32_e32 vcc, 0, v0
                                        ; implicit-def: $sgpr8_sgpr9
	s_and_saveexec_b64 s[4:5], vcc
	s_xor_b64 s[4:5], exec, s[4:5]
	s_cbranch_execz .LBB294_258
; %bb.249:
	s_movk_i32 s8, 0x7f
	s_waitcnt vmcnt(0) lgkmcnt(0)
	v_cmp_gt_i16_sdwa s[10:11], v10, s8 src0_sel:BYTE_0 src1_sel:DWORD
	s_mov_b64 s[8:9], 0
	s_and_saveexec_b64 s[12:13], s[10:11]
	s_xor_b64 s[10:11], exec, s[12:13]
	s_cbranch_execnz .LBB294_480
; %bb.250:
	s_or_saveexec_b64 s[10:11], s[10:11]
	v_mov_b32_e32 v0, 0x7f800001
	s_xor_b64 exec, exec, s[10:11]
	s_cbranch_execnz .LBB294_483
.LBB294_251:
	s_or_b64 exec, exec, s[10:11]
	s_and_saveexec_b64 s[10:11], s[8:9]
	s_cbranch_execz .LBB294_253
.LBB294_252:
	v_and_b32_e32 v1, 7, v10
	v_ffbh_u32_e32 v2, v1
	v_min_u32_e32 v2, 32, v2
	v_lshrrev_b16_e32 v0, 3, v10
	v_subrev_u32_e32 v3, 28, v2
	v_and_b32_e32 v0, 15, v0
	v_lshlrev_b32_e32 v3, v3, v10
	v_sub_u32_e32 v2, 29, v2
	v_and_b32_e32 v3, 7, v3
	v_cmp_eq_u32_e32 vcc, 0, v0
	v_cndmask_b32_e32 v0, v0, v2, vcc
	v_cndmask_b32_e32 v1, v1, v3, vcc
	v_lshlrev_b32_e32 v2, 24, v10
	v_mov_b32_e32 v3, 0x3b800000
	v_lshlrev_b32_e32 v1, 20, v1
	v_and_b32_e32 v2, 0x80000000, v2
	v_lshl_add_u32 v0, v0, 23, v3
	v_or3_b32 v0, v2, v0, v1
.LBB294_253:
	s_or_b64 exec, exec, s[10:11]
	s_movk_i32 s8, 0x7f
	v_cmp_gt_i16_sdwa s[10:11], v12, s8 src0_sel:BYTE_0 src1_sel:DWORD
	s_mov_b64 s[8:9], 0
	s_and_saveexec_b64 s[12:13], s[10:11]
	s_xor_b64 s[10:11], exec, s[12:13]
	s_cbranch_execnz .LBB294_484
; %bb.254:
	s_or_saveexec_b64 s[10:11], s[10:11]
	v_mov_b32_e32 v1, 0x7f800001
	s_xor_b64 exec, exec, s[10:11]
	s_cbranch_execnz .LBB294_487
.LBB294_255:
	s_or_b64 exec, exec, s[10:11]
	s_and_saveexec_b64 s[10:11], s[8:9]
	s_cbranch_execz .LBB294_257
.LBB294_256:
	v_and_b32_e32 v2, 7, v12
	v_ffbh_u32_e32 v3, v2
	v_min_u32_e32 v3, 32, v3
	v_lshrrev_b16_e32 v1, 3, v12
	v_subrev_u32_e32 v4, 28, v3
	v_and_b32_e32 v1, 15, v1
	v_lshlrev_b32_e32 v4, v4, v12
	v_sub_u32_e32 v3, 29, v3
	v_and_b32_e32 v4, 7, v4
	v_cmp_eq_u32_e32 vcc, 0, v1
	v_cndmask_b32_e32 v1, v1, v3, vcc
	v_cndmask_b32_e32 v2, v2, v4, vcc
	v_lshlrev_b32_e32 v3, 24, v12
	v_mov_b32_e32 v4, 0x3b800000
	v_lshlrev_b32_e32 v2, 20, v2
	v_and_b32_e32 v3, 0x80000000, v3
	v_lshl_add_u32 v1, v1, 23, v4
	v_or3_b32 v1, v3, v1, v2
.LBB294_257:
	s_or_b64 exec, exec, s[10:11]
	v_cmp_neq_f32_e64 s[8:9], v0, v1
                                        ; implicit-def: $vgpr12
                                        ; implicit-def: $vgpr10
.LBB294_258:
	s_andn2_saveexec_b64 s[4:5], s[4:5]
	s_cbranch_execz .LBB294_126
; %bb.259:
	s_movk_i32 s4, 0x7f
	s_waitcnt vmcnt(0) lgkmcnt(0)
	v_cmp_gt_i16_sdwa s[10:11], v10, s4 src0_sel:BYTE_0 src1_sel:DWORD
	s_mov_b64 s[4:5], 0
	s_and_saveexec_b64 s[12:13], s[10:11]
	s_xor_b64 s[10:11], exec, s[12:13]
	s_cbranch_execnz .LBB294_488
; %bb.260:
	s_or_saveexec_b64 s[10:11], s[10:11]
	v_mov_b32_e32 v0, 0x7f800001
	s_xor_b64 exec, exec, s[10:11]
	s_cbranch_execnz .LBB294_491
.LBB294_261:
	s_or_b64 exec, exec, s[10:11]
	s_and_saveexec_b64 s[10:11], s[4:5]
	s_cbranch_execz .LBB294_263
.LBB294_262:
	v_and_b32_e32 v1, 7, v10
	v_ffbh_u32_e32 v2, v1
	v_min_u32_e32 v2, 32, v2
	v_lshrrev_b16_e32 v0, 3, v10
	v_subrev_u32_e32 v3, 28, v2
	v_and_b32_e32 v0, 15, v0
	v_lshlrev_b32_e32 v3, v3, v10
	v_sub_u32_e32 v2, 29, v2
	v_and_b32_e32 v3, 7, v3
	v_cmp_eq_u32_e32 vcc, 0, v0
	v_cndmask_b32_e32 v0, v0, v2, vcc
	v_cndmask_b32_e32 v1, v1, v3, vcc
	v_lshlrev_b32_e32 v2, 24, v10
	v_mov_b32_e32 v3, 0x3b800000
	v_lshlrev_b32_e32 v1, 20, v1
	v_and_b32_e32 v2, 0x80000000, v2
	v_lshl_add_u32 v0, v0, 23, v3
	v_or3_b32 v0, v2, v0, v1
.LBB294_263:
	s_or_b64 exec, exec, s[10:11]
	s_movk_i32 s4, 0x7f
	v_cmp_gt_i16_sdwa s[10:11], v12, s4 src0_sel:BYTE_0 src1_sel:DWORD
	s_mov_b64 s[4:5], 0
	s_and_saveexec_b64 s[12:13], s[10:11]
	s_xor_b64 s[10:11], exec, s[12:13]
	s_cbranch_execnz .LBB294_492
; %bb.264:
	s_or_saveexec_b64 s[10:11], s[10:11]
	v_mov_b32_e32 v1, 0x7f800001
	s_xor_b64 exec, exec, s[10:11]
	s_cbranch_execnz .LBB294_495
.LBB294_265:
	s_or_b64 exec, exec, s[10:11]
	s_and_saveexec_b64 s[10:11], s[4:5]
	s_cbranch_execz .LBB294_267
.LBB294_266:
	v_and_b32_e32 v2, 7, v12
	v_ffbh_u32_e32 v3, v2
	v_min_u32_e32 v3, 32, v3
	v_lshrrev_b16_e32 v1, 3, v12
	v_subrev_u32_e32 v4, 28, v3
	v_and_b32_e32 v1, 15, v1
	v_lshlrev_b32_e32 v4, v4, v12
	v_sub_u32_e32 v3, 29, v3
	v_and_b32_e32 v4, 7, v4
	v_cmp_eq_u32_e32 vcc, 0, v1
	v_cndmask_b32_e32 v1, v1, v3, vcc
	v_cndmask_b32_e32 v2, v2, v4, vcc
	v_lshlrev_b32_e32 v3, 24, v12
	v_mov_b32_e32 v4, 0x3b800000
	v_lshlrev_b32_e32 v2, 20, v2
	v_and_b32_e32 v3, 0x80000000, v3
	v_lshl_add_u32 v1, v1, 23, v4
	v_or3_b32 v1, v3, v1, v2
.LBB294_267:
	s_or_b64 exec, exec, s[10:11]
	v_cmp_eq_f32_e32 vcc, v0, v1
	s_andn2_b64 s[4:5], s[8:9], exec
	s_and_b64 s[8:9], vcc, exec
	s_or_b64 s[8:9], s[4:5], s[8:9]
	s_or_b64 exec, exec, s[6:7]
	v_cndmask_b32_e64 v0, 0, 1, s[8:9]
	s_setpc_b64 s[30:31]
.LBB294_268:
	v_cmp_lt_i16_e32 vcc, 28, v11
	s_mov_b64 s[14:15], 0
                                        ; implicit-def: $vgpr10
	s_and_saveexec_b64 s[8:9], vcc
	s_xor_b64 s[8:9], exec, s[8:9]
	s_cbranch_execz .LBB294_302
; %bb.269:
	v_cmp_lt_i16_e32 vcc, 43, v11
	s_mov_b64 s[16:17], 0
	s_mov_b64 s[18:19], 0
                                        ; implicit-def: $vgpr10
	s_and_saveexec_b64 s[10:11], vcc
	s_xor_b64 s[10:11], exec, s[10:11]
	s_cbranch_execz .LBB294_291
; %bb.270:
	v_cmp_lt_i16_e32 vcc, 45, v11
                                        ; implicit-def: $vgpr10
	s_and_saveexec_b64 s[18:19], vcc
	s_xor_b64 s[18:19], exec, s[18:19]
	s_cbranch_execz .LBB294_280
; %bb.271:
	v_cmp_eq_u16_e32 vcc, 46, v11
	s_mov_b64 s[20:21], -1
                                        ; implicit-def: $vgpr10
	s_and_saveexec_b64 s[14:15], vcc
	s_cbranch_execz .LBB294_279
; %bb.272:
	flat_load_dword v10, v[8:9]
	s_mov_b32 s16, 0x43800000
	s_waitcnt vmcnt(0) lgkmcnt(0)
	v_lshlrev_b32_e32 v11, 16, v10
	v_and_b32_e32 v12, 0x7fffffff, v11
	v_cmp_gt_u32_e32 vcc, s16, v12
	v_mov_b32_e32 v10, 0x80
	s_and_saveexec_b64 s[16:17], vcc
	s_cbranch_execz .LBB294_278
; %bb.273:
	s_mov_b32 s20, 0x3bffffff
	v_cmp_lt_u32_e32 vcc, s20, v12
	s_mov_b64 s[20:21], 0
                                        ; implicit-def: $vgpr12
	s_and_saveexec_b64 s[22:23], vcc
	s_xor_b64 s[22:23], exec, s[22:23]
	s_cbranch_execnz .LBB294_566
; %bb.274:
	s_andn2_saveexec_b64 s[22:23], s[22:23]
	s_cbranch_execnz .LBB294_567
.LBB294_275:
	s_or_b64 exec, exec, s[22:23]
	v_mov_b32_e32 v10, 0
	s_and_saveexec_b64 s[22:23], s[20:21]
.LBB294_276:
	v_lshrrev_b32_e32 v10, 24, v11
	s_movk_i32 s20, 0x80
	v_and_or_b32 v10, v10, s20, v12
.LBB294_277:
	s_or_b64 exec, exec, s[22:23]
.LBB294_278:
	s_or_b64 exec, exec, s[16:17]
	s_mov_b64 s[16:17], exec
	s_xor_b64 s[20:21], exec, -1
.LBB294_279:
	s_or_b64 exec, exec, s[14:15]
	s_and_b64 s[16:17], s[16:17], exec
	s_and_b64 s[14:15], s[20:21], exec
                                        ; implicit-def: $vgpr11
.LBB294_280:
	s_andn2_saveexec_b64 s[18:19], s[18:19]
	s_cbranch_execz .LBB294_290
; %bb.281:
	v_cmp_eq_u16_e32 vcc, 44, v11
	s_mov_b64 s[22:23], -1
	s_mov_b64 s[24:25], s[16:17]
                                        ; implicit-def: $vgpr10
	s_and_saveexec_b64 s[20:21], vcc
	s_cbranch_execz .LBB294_289
; %bb.282:
	flat_load_ubyte v10, v[8:9]
	s_movk_i32 s22, 0xff
	v_mov_b32_e32 v11, 0x7f800001
	v_mov_b32_e32 v12, 0x400000
	s_mov_b32 s23, 0x43800000
	s_waitcnt vmcnt(0) lgkmcnt(0)
	v_lshlrev_b32_e32 v13, 23, v10
	v_cmp_ne_u32_e32 vcc, s22, v10
	v_cndmask_b32_e32 v11, v11, v13, vcc
	v_cmp_ne_u32_e32 vcc, 0, v10
	v_cndmask_b32_e32 v12, v12, v11, vcc
	v_cmp_gt_u32_e32 vcc, s23, v12
	v_mov_b32_e32 v10, 0x80
	s_and_saveexec_b64 s[22:23], vcc
	s_cbranch_execz .LBB294_288
; %bb.283:
	s_mov_b32 s24, 0x3bffffff
	v_cmp_lt_u32_e32 vcc, s24, v12
	s_mov_b64 s[24:25], 0
                                        ; implicit-def: $vgpr11
	s_and_saveexec_b64 s[26:27], vcc
	s_xor_b64 s[26:27], exec, s[26:27]
	s_cbranch_execnz .LBB294_568
; %bb.284:
	s_andn2_saveexec_b64 s[26:27], s[26:27]
	s_cbranch_execnz .LBB294_569
.LBB294_285:
	s_or_b64 exec, exec, s[26:27]
	v_mov_b32_e32 v10, 0
	s_and_saveexec_b64 s[26:27], s[24:25]
.LBB294_286:
	v_mov_b32_e32 v10, v11
.LBB294_287:
	s_or_b64 exec, exec, s[26:27]
.LBB294_288:
	s_or_b64 exec, exec, s[22:23]
	s_or_b64 s[24:25], s[16:17], exec
	s_xor_b64 s[22:23], exec, -1
.LBB294_289:
	s_or_b64 exec, exec, s[20:21]
	s_andn2_b64 s[16:17], s[16:17], exec
	s_and_b64 s[20:21], s[24:25], exec
	s_or_b64 s[16:17], s[16:17], s[20:21]
	s_andn2_b64 s[14:15], s[14:15], exec
	s_and_b64 s[20:21], s[22:23], exec
	s_or_b64 s[14:15], s[14:15], s[20:21]
.LBB294_290:
	s_or_b64 exec, exec, s[18:19]
	s_and_b64 s[18:19], s[16:17], exec
	s_and_b64 s[16:17], s[14:15], exec
                                        ; implicit-def: $vgpr11
.LBB294_291:
	s_andn2_saveexec_b64 s[10:11], s[10:11]
	s_cbranch_execz .LBB294_301
; %bb.292:
	v_cmp_eq_u16_e32 vcc, 29, v11
	s_mov_b64 s[20:21], -1
	s_mov_b64 s[22:23], s[18:19]
                                        ; implicit-def: $vgpr10
	s_and_saveexec_b64 s[14:15], vcc
	s_cbranch_execz .LBB294_300
; %bb.293:
	flat_load_dwordx2 v[10:11], v[8:9]
	s_mov_b32 s20, 0x43800000
	s_waitcnt vmcnt(0) lgkmcnt(0)
	v_ffbh_u32_e32 v12, v11
	v_min_u32_e32 v12, 32, v12
	v_lshlrev_b64 v[10:11], v12, v[10:11]
	v_min_u32_e32 v10, 1, v10
	v_or_b32_e32 v10, v11, v10
	v_cvt_f32_u32_e32 v10, v10
	v_sub_u32_e32 v11, 32, v12
	v_ldexp_f32 v12, v10, v11
	v_cmp_gt_u32_e32 vcc, s20, v12
	v_mov_b32_e32 v10, 0x80
	s_and_saveexec_b64 s[20:21], vcc
	s_cbranch_execz .LBB294_299
; %bb.294:
	s_mov_b32 s22, 0x3bffffff
	v_cmp_lt_u32_e32 vcc, s22, v12
	s_mov_b64 s[22:23], 0
                                        ; implicit-def: $vgpr11
	s_and_saveexec_b64 s[24:25], vcc
	s_xor_b64 s[24:25], exec, s[24:25]
	s_cbranch_execnz .LBB294_548
; %bb.295:
	s_andn2_saveexec_b64 s[24:25], s[24:25]
	s_cbranch_execnz .LBB294_549
.LBB294_296:
	s_or_b64 exec, exec, s[24:25]
	v_mov_b32_e32 v10, 0
	s_and_saveexec_b64 s[24:25], s[22:23]
.LBB294_297:
	v_mov_b32_e32 v10, v11
.LBB294_298:
	s_or_b64 exec, exec, s[24:25]
.LBB294_299:
	s_or_b64 exec, exec, s[20:21]
	s_or_b64 s[22:23], s[18:19], exec
	s_xor_b64 s[20:21], exec, -1
.LBB294_300:
	s_or_b64 exec, exec, s[14:15]
	s_andn2_b64 s[14:15], s[18:19], exec
	s_and_b64 s[18:19], s[22:23], exec
	s_or_b64 s[18:19], s[14:15], s[18:19]
	s_andn2_b64 s[14:15], s[16:17], exec
	s_and_b64 s[16:17], s[20:21], exec
	s_or_b64 s[16:17], s[14:15], s[16:17]
.LBB294_301:
	s_or_b64 exec, exec, s[10:11]
	s_and_b64 s[14:15], s[18:19], exec
	s_and_b64 s[10:11], s[16:17], exec
                                        ; implicit-def: $vgpr11
.LBB294_302:
	s_andn2_saveexec_b64 s[8:9], s[8:9]
	s_cbranch_execz .LBB294_324
; %bb.303:
	v_cmp_lt_i16_e32 vcc, 26, v11
                                        ; implicit-def: $vgpr10
	s_and_saveexec_b64 s[16:17], vcc
	s_xor_b64 s[16:17], exec, s[16:17]
	s_cbranch_execz .LBB294_321
; %bb.304:
	v_cmp_lt_i16_e32 vcc, 27, v11
                                        ; implicit-def: $vgpr10
	s_and_saveexec_b64 s[18:19], vcc
	s_xor_b64 s[18:19], exec, s[18:19]
	s_cbranch_execz .LBB294_312
; %bb.305:
	flat_load_dword v10, v[8:9]
	s_mov_b32 s20, 0x43800000
	s_waitcnt vmcnt(0) lgkmcnt(0)
	v_cvt_f32_u32_e32 v12, v10
	v_mov_b32_e32 v10, 0x80
	v_cmp_gt_u32_e32 vcc, s20, v12
	s_and_saveexec_b64 s[20:21], vcc
	s_cbranch_execz .LBB294_311
; %bb.306:
	s_mov_b32 s22, 0x3bffffff
	v_cmp_lt_u32_e32 vcc, s22, v12
	s_mov_b64 s[22:23], 0
                                        ; implicit-def: $vgpr11
	s_and_saveexec_b64 s[24:25], vcc
	s_xor_b64 s[24:25], exec, s[24:25]
	s_cbranch_execnz .LBB294_550
; %bb.307:
	s_andn2_saveexec_b64 s[24:25], s[24:25]
	s_cbranch_execnz .LBB294_551
.LBB294_308:
	s_or_b64 exec, exec, s[24:25]
	v_mov_b32_e32 v10, 0
	s_and_saveexec_b64 s[24:25], s[22:23]
.LBB294_309:
	v_mov_b32_e32 v10, v11
.LBB294_310:
	s_or_b64 exec, exec, s[24:25]
.LBB294_311:
	s_or_b64 exec, exec, s[20:21]
.LBB294_312:
	s_andn2_saveexec_b64 s[18:19], s[18:19]
	s_cbranch_execz .LBB294_320
; %bb.313:
	flat_load_ushort v10, v[8:9]
	s_mov_b32 s20, 0x43800000
	s_waitcnt vmcnt(0) lgkmcnt(0)
	v_cvt_f32_u32_e32 v12, v10
	v_mov_b32_e32 v10, 0x80
	v_cmp_gt_u32_e32 vcc, s20, v12
	s_and_saveexec_b64 s[20:21], vcc
	s_cbranch_execz .LBB294_319
; %bb.314:
	s_mov_b32 s22, 0x3bffffff
	v_cmp_lt_u32_e32 vcc, s22, v12
	s_mov_b64 s[22:23], 0
                                        ; implicit-def: $vgpr11
	s_and_saveexec_b64 s[24:25], vcc
	s_xor_b64 s[24:25], exec, s[24:25]
	s_cbranch_execnz .LBB294_552
; %bb.315:
	s_andn2_saveexec_b64 s[24:25], s[24:25]
	s_cbranch_execnz .LBB294_553
.LBB294_316:
	s_or_b64 exec, exec, s[24:25]
	v_mov_b32_e32 v10, 0
	s_and_saveexec_b64 s[24:25], s[22:23]
.LBB294_317:
	v_mov_b32_e32 v10, v11
.LBB294_318:
	s_or_b64 exec, exec, s[24:25]
.LBB294_319:
	s_or_b64 exec, exec, s[20:21]
.LBB294_320:
	s_or_b64 exec, exec, s[18:19]
.LBB294_321:
	s_andn2_saveexec_b64 s[16:17], s[16:17]
	s_cbranch_execz .LBB294_323
; %bb.322:
	flat_load_ubyte v10, v[8:9]
.LBB294_323:
	s_or_b64 exec, exec, s[16:17]
	s_or_b64 s[14:15], s[14:15], exec
.LBB294_324:
	s_or_b64 exec, exec, s[8:9]
	s_and_b64 s[8:9], s[14:15], exec
	s_and_b64 s[10:11], s[10:11], exec
                                        ; implicit-def: $vgpr11
	s_andn2_saveexec_b64 s[12:13], s[12:13]
	s_cbranch_execz .LBB294_3
.LBB294_325:
	v_cmp_lt_i16_e32 vcc, 22, v11
	s_mov_b64 s[14:15], s[8:9]
                                        ; implicit-def: $vgpr10
	s_and_saveexec_b64 s[6:7], vcc
	s_xor_b64 s[6:7], exec, s[6:7]
	s_cbranch_execz .LBB294_357
; %bb.326:
	v_cmp_lt_i16_e32 vcc, 23, v11
                                        ; implicit-def: $vgpr10
	s_and_saveexec_b64 s[14:15], vcc
	s_xor_b64 s[14:15], exec, s[14:15]
	s_cbranch_execz .LBB294_348
; %bb.327:
	v_cmp_lt_i16_e32 vcc, 24, v11
                                        ; implicit-def: $vgpr10
	s_and_saveexec_b64 s[16:17], vcc
	s_xor_b64 s[16:17], exec, s[16:17]
	s_cbranch_execz .LBB294_339
; %bb.328:
	s_waitcnt vmcnt(0) lgkmcnt(0)
	flat_load_ubyte v10, v[8:9]
	s_movk_i32 s18, 0x7f
	s_waitcnt vmcnt(0) lgkmcnt(0)
	v_cmp_lt_i16_e32 vcc, s18, v10
	s_mov_b64 s[18:19], 0
	s_and_saveexec_b64 s[20:21], vcc
	s_xor_b64 s[20:21], exec, s[20:21]
	s_cbranch_execnz .LBB294_518
; %bb.329:
	s_or_saveexec_b64 s[20:21], s[20:21]
	v_mov_b32_e32 v11, 0x7f800001
	s_xor_b64 exec, exec, s[20:21]
	s_cbranch_execnz .LBB294_521
.LBB294_330:
	s_or_b64 exec, exec, s[20:21]
	s_and_saveexec_b64 s[20:21], s[18:19]
	s_cbranch_execz .LBB294_332
.LBB294_331:
	v_lshlrev_b32_e32 v11, 24, v10
	v_and_b32_e32 v10, 0xffff, v10
	v_and_b32_e32 v12, 3, v10
	v_ffbh_u32_e32 v14, v12
	v_min_u32_e32 v14, 32, v14
	v_subrev_u32_e32 v15, 29, v14
	v_bfe_u32 v13, v10, 2, 5
	v_lshlrev_b32_e32 v10, v15, v10
	v_sub_u32_e32 v14, 30, v14
	v_and_b32_e32 v10, 3, v10
	v_cmp_eq_u32_e32 vcc, 0, v13
	v_cndmask_b32_e32 v13, v13, v14, vcc
	v_cndmask_b32_e32 v10, v12, v10, vcc
	v_mov_b32_e32 v12, 0x37800000
	v_lshlrev_b32_e32 v10, 21, v10
	v_and_b32_e32 v11, 0x80000000, v11
	v_lshl_add_u32 v12, v13, 23, v12
	v_or3_b32 v11, v11, v12, v10
.LBB294_332:
	s_or_b64 exec, exec, s[20:21]
	v_and_b32_e32 v12, 0x7fffffff, v11
	s_mov_b32 s18, 0x43800000
	v_cmp_gt_u32_e32 vcc, s18, v12
	v_mov_b32_e32 v10, 0x80
	s_and_saveexec_b64 s[18:19], vcc
	s_cbranch_execz .LBB294_338
; %bb.333:
	s_mov_b32 s20, 0x3bffffff
	v_cmp_lt_u32_e32 vcc, s20, v12
	s_mov_b64 s[20:21], 0
                                        ; implicit-def: $vgpr12
	s_and_saveexec_b64 s[22:23], vcc
	s_xor_b64 s[22:23], exec, s[22:23]
	s_cbranch_execnz .LBB294_554
; %bb.334:
	s_andn2_saveexec_b64 s[22:23], s[22:23]
	s_cbranch_execnz .LBB294_555
.LBB294_335:
	s_or_b64 exec, exec, s[22:23]
	v_mov_b32_e32 v10, 0
	s_and_saveexec_b64 s[22:23], s[20:21]
.LBB294_336:
	v_lshrrev_b32_e32 v10, 24, v11
	s_movk_i32 s20, 0x80
	v_and_or_b32 v10, v10, s20, v12
.LBB294_337:
	s_or_b64 exec, exec, s[22:23]
.LBB294_338:
	s_or_b64 exec, exec, s[18:19]
.LBB294_339:
	s_andn2_saveexec_b64 s[16:17], s[16:17]
	s_cbranch_execz .LBB294_347
; %bb.340:
	s_waitcnt vmcnt(0) lgkmcnt(0)
	flat_load_ubyte v10, v[8:9]
	s_mov_b32 s18, 0x7f800000
	s_brev_b32 s19, 1
	s_mov_b32 s20, 0x43800000
	s_waitcnt vmcnt(0) lgkmcnt(0)
	v_lshlrev_b32_e32 v10, 24, v10
	v_and_b32_e32 v11, 0x7f000000, v10
	v_ffbh_u32_e32 v12, v11
	v_min_u32_e32 v12, 32, v12
	v_sub_u32_e64 v12, v12, 4 clamp
	v_lshlrev_b32_e32 v14, v12, v11
	v_lshlrev_b32_e32 v12, 23, v12
	v_lshrrev_b32_e32 v14, 4, v14
	v_add_u32_e32 v13, 0x1000000, v11
	v_sub_u32_e32 v12, v14, v12
	v_ashrrev_i32_e32 v13, 8, v13
	v_add_u32_e32 v12, 0x3c000000, v12
	v_and_or_b32 v12, v13, s18, v12
	v_cmp_ne_u32_e32 vcc, 0, v11
	v_cndmask_b32_e32 v13, 0, v12, vcc
	v_and_or_b32 v11, v10, s19, v13
	v_and_b32_e32 v12, 0x7fffffff, v11
	v_cmp_gt_u32_e32 vcc, s20, v12
	v_mov_b32_e32 v10, 0x80
	s_and_saveexec_b64 s[18:19], vcc
	s_cbranch_execz .LBB294_346
; %bb.341:
	s_mov_b32 s20, 0x3bffffff
	v_cmp_lt_u32_e32 vcc, s20, v12
	s_mov_b64 s[20:21], 0
                                        ; implicit-def: $vgpr12
	s_and_saveexec_b64 s[22:23], vcc
	s_xor_b64 s[22:23], exec, s[22:23]
	s_cbranch_execnz .LBB294_556
; %bb.342:
	s_andn2_saveexec_b64 s[22:23], s[22:23]
	s_cbranch_execnz .LBB294_557
.LBB294_343:
	s_or_b64 exec, exec, s[22:23]
	v_mov_b32_e32 v10, 0
	s_and_saveexec_b64 s[22:23], s[20:21]
.LBB294_344:
	v_lshrrev_b32_e32 v10, 24, v11
	s_movk_i32 s20, 0x80
	v_and_or_b32 v10, v10, s20, v12
.LBB294_345:
	s_or_b64 exec, exec, s[22:23]
.LBB294_346:
	s_or_b64 exec, exec, s[18:19]
.LBB294_347:
	s_or_b64 exec, exec, s[16:17]
.LBB294_348:
	s_andn2_saveexec_b64 s[14:15], s[14:15]
	s_cbranch_execz .LBB294_356
; %bb.349:
	s_waitcnt vmcnt(0) lgkmcnt(0)
	flat_load_ubyte v10, v[8:9]
	s_movk_i32 s16, 0x7f00
	s_brev_b32 s17, 16
	s_brev_b32 s18, 1
	s_mov_b32 s19, 0x43800000
	s_waitcnt vmcnt(0) lgkmcnt(0)
	v_lshlrev_b16_e32 v11, 8, v10
	v_lshlrev_b32_e32 v10, 25, v10
	v_lshrrev_b32_e32 v12, 4, v10
	v_and_or_b32 v13, v11, s16, 0.5
	v_or_b32_e32 v12, 0x70000000, v12
	v_add_f32_e32 v13, -0.5, v13
	v_mul_f32_e32 v12, 0x7800000, v12
	v_cmp_gt_u32_e32 vcc, s17, v10
	v_bfe_i32 v11, v11, 0, 16
	v_cndmask_b32_e32 v13, v12, v13, vcc
	v_and_or_b32 v11, v11, s18, v13
	v_and_b32_e32 v12, 0x7fffffff, v11
	v_cmp_gt_u32_e32 vcc, s19, v12
	v_mov_b32_e32 v10, 0x80
	s_and_saveexec_b64 s[16:17], vcc
	s_cbranch_execz .LBB294_355
; %bb.350:
	s_mov_b32 s18, 0x3bffffff
	v_cmp_lt_u32_e32 vcc, s18, v12
	s_mov_b64 s[18:19], 0
                                        ; implicit-def: $vgpr12
	s_and_saveexec_b64 s[20:21], vcc
	s_xor_b64 s[20:21], exec, s[20:21]
	s_cbranch_execnz .LBB294_522
; %bb.351:
	s_andn2_saveexec_b64 s[20:21], s[20:21]
	s_cbranch_execnz .LBB294_523
.LBB294_352:
	s_or_b64 exec, exec, s[20:21]
	v_mov_b32_e32 v10, 0
	s_and_saveexec_b64 s[20:21], s[18:19]
.LBB294_353:
	v_lshrrev_b32_e32 v10, 24, v11
	s_movk_i32 s18, 0x80
	v_and_or_b32 v10, v10, s18, v12
.LBB294_354:
	s_or_b64 exec, exec, s[20:21]
.LBB294_355:
	s_or_b64 exec, exec, s[16:17]
.LBB294_356:
	s_or_b64 exec, exec, s[14:15]
	s_or_b64 s[14:15], s[8:9], exec
                                        ; implicit-def: $vgpr11
.LBB294_357:
	s_or_saveexec_b64 s[6:7], s[6:7]
	s_mov_b64 s[16:17], 0
	s_mov_b64 s[18:19], s[10:11]
	s_xor_b64 exec, exec, s[6:7]
	s_cbranch_execz .LBB294_371
; %bb.358:
	v_cmp_lt_i16_e32 vcc, 14, v11
	s_mov_b64 s[18:19], s[10:11]
	s_mov_b64 s[20:21], s[14:15]
                                        ; implicit-def: $vgpr10
	s_and_saveexec_b64 s[16:17], vcc
	s_xor_b64 s[16:17], exec, s[16:17]
	s_cbranch_execz .LBB294_368
; %bb.359:
	v_cmp_eq_u16_e32 vcc, 15, v11
	s_mov_b64 s[22:23], -1
	s_mov_b64 s[20:21], s[14:15]
                                        ; implicit-def: $vgpr10
	s_and_saveexec_b64 s[18:19], vcc
	s_cbranch_execz .LBB294_367
; %bb.360:
	flat_load_ushort v11, v[8:9]
	s_mov_b32 s20, 0x43800000
	s_waitcnt vmcnt(0) lgkmcnt(0)
	v_mov_b32_e32 v10, 0x80
	v_lshlrev_b32_e32 v13, 16, v11
	v_and_b32_e32 v12, 0x7fffffff, v13
	v_cmp_gt_u32_e32 vcc, s20, v12
	s_and_saveexec_b64 s[20:21], vcc
	s_cbranch_execz .LBB294_366
; %bb.361:
	s_mov_b32 s22, 0x3bffffff
	v_cmp_lt_u32_e32 vcc, s22, v12
	s_mov_b64 s[22:23], 0
                                        ; implicit-def: $vgpr12
	s_and_saveexec_b64 s[24:25], vcc
	s_xor_b64 s[24:25], exec, s[24:25]
	s_cbranch_execnz .LBB294_558
; %bb.362:
	s_andn2_saveexec_b64 s[24:25], s[24:25]
	s_cbranch_execnz .LBB294_559
.LBB294_363:
	s_or_b64 exec, exec, s[24:25]
	v_mov_b32_e32 v10, 0
	s_and_saveexec_b64 s[24:25], s[22:23]
.LBB294_364:
	v_lshrrev_b32_e32 v10, 8, v11
	s_movk_i32 s22, 0x80
	v_and_or_b32 v10, v10, s22, v12
.LBB294_365:
	s_or_b64 exec, exec, s[24:25]
.LBB294_366:
	s_or_b64 exec, exec, s[20:21]
	s_or_b64 s[20:21], s[14:15], exec
	s_xor_b64 s[22:23], exec, -1
.LBB294_367:
	s_or_b64 exec, exec, s[18:19]
	s_andn2_b64 s[18:19], s[14:15], exec
	s_and_b64 s[20:21], s[20:21], exec
	s_or_b64 s[20:21], s[18:19], s[20:21]
	s_andn2_b64 s[18:19], s[10:11], exec
	s_and_b64 s[22:23], s[22:23], exec
	s_or_b64 s[18:19], s[18:19], s[22:23]
                                        ; implicit-def: $vgpr11
.LBB294_368:
	s_or_saveexec_b64 s[16:17], s[16:17]
	s_mov_b64 s[22:23], 0
	s_xor_b64 exec, exec, s[16:17]
; %bb.369:
	v_cmp_ne_u16_e32 vcc, 11, v11
	s_andn2_b64 s[18:19], s[18:19], exec
	s_and_b64 s[24:25], vcc, exec
	s_mov_b64 s[22:23], exec
	s_or_b64 s[18:19], s[18:19], s[24:25]
; %bb.370:
	s_or_b64 exec, exec, s[16:17]
	s_andn2_b64 s[14:15], s[14:15], exec
	s_and_b64 s[16:17], s[20:21], exec
	s_andn2_b64 s[20:21], s[10:11], exec
	s_and_b64 s[18:19], s[18:19], exec
	s_or_b64 s[14:15], s[14:15], s[16:17]
	s_and_b64 s[16:17], s[22:23], exec
	s_or_b64 s[18:19], s[20:21], s[18:19]
.LBB294_371:
	s_or_b64 exec, exec, s[6:7]
	s_andn2_b64 s[6:7], s[8:9], exec
	s_and_b64 s[8:9], s[14:15], exec
	s_andn2_b64 s[10:11], s[10:11], exec
	s_and_b64 s[14:15], s[18:19], exec
	s_or_b64 s[8:9], s[6:7], s[8:9]
	s_and_b64 s[6:7], s[16:17], exec
	s_or_b64 s[10:11], s[10:11], s[14:15]
	s_or_b64 exec, exec, s[12:13]
	s_mov_b64 s[12:13], 0
	s_and_saveexec_b64 s[14:15], s[10:11]
	s_cbranch_execz .LBB294_4
.LBB294_372:
	s_mov_b64 s[12:13], exec
	s_trap 2
	s_andn2_b64 s[6:7], s[6:7], exec
	s_or_b64 exec, exec, s[14:15]
	s_and_saveexec_b64 s[10:11], s[6:7]
	s_xor_b64 s[6:7], exec, s[10:11]
	s_cbranch_execnz .LBB294_5
	s_branch .LBB294_12
.LBB294_373:
	v_cmp_lt_i16_e32 vcc, 28, v11
	s_mov_b64 s[18:19], 0
                                        ; implicit-def: $vgpr12
	s_and_saveexec_b64 s[12:13], vcc
	s_xor_b64 s[12:13], exec, s[12:13]
	s_cbranch_execz .LBB294_407
; %bb.374:
	v_cmp_lt_i16_e32 vcc, 43, v11
	s_mov_b64 s[20:21], 0
	s_mov_b64 s[22:23], 0
                                        ; implicit-def: $vgpr12
	s_and_saveexec_b64 s[14:15], vcc
	s_xor_b64 s[14:15], exec, s[14:15]
	s_cbranch_execz .LBB294_396
; %bb.375:
	v_cmp_lt_i16_e32 vcc, 45, v11
                                        ; implicit-def: $vgpr12
	s_and_saveexec_b64 s[22:23], vcc
	s_xor_b64 s[22:23], exec, s[22:23]
	s_cbranch_execz .LBB294_385
; %bb.376:
	v_cmp_eq_u16_e32 vcc, 46, v11
	s_mov_b64 s[24:25], -1
                                        ; implicit-def: $vgpr12
	s_and_saveexec_b64 s[18:19], vcc
	s_cbranch_execz .LBB294_384
; %bb.377:
	flat_load_dword v1, v[8:9]
	s_mov_b32 s20, 0x43800000
	v_mov_b32_e32 v12, 0x80
	s_waitcnt vmcnt(0) lgkmcnt(0)
	v_lshlrev_b32_e32 v1, 16, v1
	v_and_b32_e32 v2, 0x7fffffff, v1
	v_cmp_gt_u32_e32 vcc, s20, v2
	s_and_saveexec_b64 s[20:21], vcc
	s_cbranch_execz .LBB294_383
; %bb.378:
	s_mov_b32 s24, 0x3bffffff
	v_cmp_lt_u32_e32 vcc, s24, v2
	s_mov_b64 s[24:25], 0
                                        ; implicit-def: $vgpr2
	s_and_saveexec_b64 s[26:27], vcc
	s_xor_b64 s[26:27], exec, s[26:27]
	s_cbranch_execnz .LBB294_582
; %bb.379:
	s_andn2_saveexec_b64 s[26:27], s[26:27]
	s_cbranch_execnz .LBB294_583
.LBB294_380:
	s_or_b64 exec, exec, s[26:27]
	v_mov_b32_e32 v12, 0
	s_and_saveexec_b64 s[26:27], s[24:25]
.LBB294_381:
	v_lshrrev_b32_e32 v1, 24, v1
	s_movk_i32 s24, 0x80
	v_and_or_b32 v12, v1, s24, v2
.LBB294_382:
	s_or_b64 exec, exec, s[26:27]
.LBB294_383:
	s_or_b64 exec, exec, s[20:21]
	s_mov_b64 s[20:21], exec
	s_xor_b64 s[24:25], exec, -1
.LBB294_384:
	s_or_b64 exec, exec, s[18:19]
	s_and_b64 s[20:21], s[20:21], exec
	s_and_b64 s[18:19], s[24:25], exec
.LBB294_385:
	s_andn2_saveexec_b64 s[22:23], s[22:23]
	s_cbranch_execz .LBB294_395
; %bb.386:
	v_cmp_eq_u16_e32 vcc, 44, v11
	s_mov_b64 s[26:27], -1
	s_mov_b64 s[28:29], s[20:21]
                                        ; implicit-def: $vgpr12
	s_and_saveexec_b64 s[24:25], vcc
	s_cbranch_execz .LBB294_394
; %bb.387:
	flat_load_ubyte v1, v[8:9]
	s_movk_i32 s26, 0xff
	v_mov_b32_e32 v2, 0x7f800001
	v_mov_b32_e32 v3, 0x400000
	s_mov_b32 s27, 0x43800000
	v_mov_b32_e32 v12, 0x80
	s_waitcnt vmcnt(0) lgkmcnt(0)
	v_lshlrev_b32_e32 v4, 23, v1
	v_cmp_ne_u32_e32 vcc, s26, v1
	v_cndmask_b32_e32 v2, v2, v4, vcc
	v_cmp_ne_u32_e32 vcc, 0, v1
	v_cndmask_b32_e32 v2, v3, v2, vcc
	v_cmp_gt_u32_e32 vcc, s27, v2
	s_and_saveexec_b64 s[26:27], vcc
	s_cbranch_execz .LBB294_393
; %bb.388:
	s_mov_b32 s28, 0x3bffffff
	v_cmp_lt_u32_e32 vcc, s28, v2
	s_mov_b64 s[28:29], 0
                                        ; implicit-def: $vgpr1
	s_and_saveexec_b64 s[40:41], vcc
	s_xor_b64 s[40:41], exec, s[40:41]
	s_cbranch_execnz .LBB294_584
; %bb.389:
	s_andn2_saveexec_b64 s[40:41], s[40:41]
	s_cbranch_execnz .LBB294_585
.LBB294_390:
	s_or_b64 exec, exec, s[40:41]
	v_mov_b32_e32 v12, 0
	s_and_saveexec_b64 s[40:41], s[28:29]
.LBB294_391:
	v_mov_b32_e32 v12, v1
.LBB294_392:
	s_or_b64 exec, exec, s[40:41]
.LBB294_393:
	s_or_b64 exec, exec, s[26:27]
	s_or_b64 s[28:29], s[20:21], exec
	s_xor_b64 s[26:27], exec, -1
.LBB294_394:
	s_or_b64 exec, exec, s[24:25]
	s_andn2_b64 s[20:21], s[20:21], exec
	s_and_b64 s[24:25], s[28:29], exec
	s_or_b64 s[20:21], s[20:21], s[24:25]
	s_andn2_b64 s[18:19], s[18:19], exec
	s_and_b64 s[24:25], s[26:27], exec
	s_or_b64 s[18:19], s[18:19], s[24:25]
.LBB294_395:
	s_or_b64 exec, exec, s[22:23]
	s_and_b64 s[22:23], s[20:21], exec
	s_and_b64 s[20:21], s[18:19], exec
.LBB294_396:
	s_andn2_saveexec_b64 s[14:15], s[14:15]
	s_cbranch_execz .LBB294_406
; %bb.397:
	v_cmp_eq_u16_e32 vcc, 29, v11
	s_mov_b64 s[24:25], -1
	s_mov_b64 s[26:27], s[22:23]
                                        ; implicit-def: $vgpr12
	s_and_saveexec_b64 s[18:19], vcc
	s_cbranch_execz .LBB294_405
; %bb.398:
	flat_load_dwordx2 v[1:2], v[8:9]
	s_mov_b32 s24, 0x43800000
	v_mov_b32_e32 v12, 0x80
	s_waitcnt vmcnt(0) lgkmcnt(0)
	v_ffbh_u32_e32 v3, v2
	v_min_u32_e32 v3, 32, v3
	v_lshlrev_b64 v[1:2], v3, v[1:2]
	v_min_u32_e32 v1, 1, v1
	v_or_b32_e32 v1, v2, v1
	v_cvt_f32_u32_e32 v1, v1
	v_sub_u32_e32 v2, 32, v3
	v_ldexp_f32 v2, v1, v2
	v_cmp_gt_u32_e32 vcc, s24, v2
	s_and_saveexec_b64 s[24:25], vcc
	s_cbranch_execz .LBB294_404
; %bb.399:
	s_mov_b32 s26, 0x3bffffff
	v_cmp_lt_u32_e32 vcc, s26, v2
	s_mov_b64 s[26:27], 0
                                        ; implicit-def: $vgpr1
	s_and_saveexec_b64 s[28:29], vcc
	s_xor_b64 s[28:29], exec, s[28:29]
	s_cbranch_execnz .LBB294_570
; %bb.400:
	s_andn2_saveexec_b64 s[28:29], s[28:29]
	s_cbranch_execnz .LBB294_571
.LBB294_401:
	s_or_b64 exec, exec, s[28:29]
	v_mov_b32_e32 v12, 0
	s_and_saveexec_b64 s[28:29], s[26:27]
.LBB294_402:
	v_mov_b32_e32 v12, v1
.LBB294_403:
	s_or_b64 exec, exec, s[28:29]
.LBB294_404:
	s_or_b64 exec, exec, s[24:25]
	s_or_b64 s[26:27], s[22:23], exec
	s_xor_b64 s[24:25], exec, -1
.LBB294_405:
	s_or_b64 exec, exec, s[18:19]
	s_andn2_b64 s[18:19], s[22:23], exec
	s_and_b64 s[22:23], s[26:27], exec
	s_or_b64 s[22:23], s[18:19], s[22:23]
	s_andn2_b64 s[18:19], s[20:21], exec
	s_and_b64 s[20:21], s[24:25], exec
	s_or_b64 s[20:21], s[18:19], s[20:21]
.LBB294_406:
	s_or_b64 exec, exec, s[14:15]
	s_and_b64 s[18:19], s[22:23], exec
	s_and_b64 s[14:15], s[20:21], exec
.LBB294_407:
	s_andn2_saveexec_b64 s[12:13], s[12:13]
	s_cbranch_execz .LBB294_429
; %bb.408:
	v_cmp_lt_i16_e32 vcc, 26, v11
                                        ; implicit-def: $vgpr12
	s_and_saveexec_b64 s[20:21], vcc
	s_xor_b64 s[20:21], exec, s[20:21]
	s_cbranch_execz .LBB294_426
; %bb.409:
	v_cmp_lt_i16_e32 vcc, 27, v11
                                        ; implicit-def: $vgpr12
	s_and_saveexec_b64 s[22:23], vcc
	s_xor_b64 s[22:23], exec, s[22:23]
	s_cbranch_execz .LBB294_417
; %bb.410:
	flat_load_dword v1, v[8:9]
	s_mov_b32 s24, 0x43800000
	v_mov_b32_e32 v12, 0x80
	s_waitcnt vmcnt(0) lgkmcnt(0)
	v_cvt_f32_u32_e32 v2, v1
	v_cmp_gt_u32_e32 vcc, s24, v2
	s_and_saveexec_b64 s[24:25], vcc
	s_cbranch_execz .LBB294_416
; %bb.411:
	s_mov_b32 s26, 0x3bffffff
	v_cmp_lt_u32_e32 vcc, s26, v2
	s_mov_b64 s[26:27], 0
                                        ; implicit-def: $vgpr1
	s_and_saveexec_b64 s[28:29], vcc
	s_xor_b64 s[28:29], exec, s[28:29]
	s_cbranch_execnz .LBB294_572
; %bb.412:
	s_andn2_saveexec_b64 s[28:29], s[28:29]
	s_cbranch_execnz .LBB294_573
.LBB294_413:
	s_or_b64 exec, exec, s[28:29]
	v_mov_b32_e32 v12, 0
	s_and_saveexec_b64 s[28:29], s[26:27]
.LBB294_414:
	v_mov_b32_e32 v12, v1
.LBB294_415:
	s_or_b64 exec, exec, s[28:29]
.LBB294_416:
	s_or_b64 exec, exec, s[24:25]
.LBB294_417:
	s_andn2_saveexec_b64 s[22:23], s[22:23]
	s_cbranch_execz .LBB294_425
; %bb.418:
	flat_load_ushort v1, v[8:9]
	s_mov_b32 s24, 0x43800000
	v_mov_b32_e32 v12, 0x80
	s_waitcnt vmcnt(0) lgkmcnt(0)
	v_cvt_f32_u32_e32 v2, v1
	v_cmp_gt_u32_e32 vcc, s24, v2
	s_and_saveexec_b64 s[24:25], vcc
	s_cbranch_execz .LBB294_424
; %bb.419:
	s_mov_b32 s26, 0x3bffffff
	v_cmp_lt_u32_e32 vcc, s26, v2
	s_mov_b64 s[26:27], 0
                                        ; implicit-def: $vgpr1
	s_and_saveexec_b64 s[28:29], vcc
	s_xor_b64 s[28:29], exec, s[28:29]
	s_cbranch_execnz .LBB294_574
; %bb.420:
	s_andn2_saveexec_b64 s[28:29], s[28:29]
	s_cbranch_execnz .LBB294_575
.LBB294_421:
	s_or_b64 exec, exec, s[28:29]
	v_mov_b32_e32 v12, 0
	s_and_saveexec_b64 s[28:29], s[26:27]
.LBB294_422:
	v_mov_b32_e32 v12, v1
.LBB294_423:
	s_or_b64 exec, exec, s[28:29]
.LBB294_424:
	s_or_b64 exec, exec, s[24:25]
.LBB294_425:
	s_or_b64 exec, exec, s[22:23]
.LBB294_426:
	s_andn2_saveexec_b64 s[20:21], s[20:21]
	s_cbranch_execz .LBB294_428
; %bb.427:
	flat_load_ubyte v12, v[8:9]
.LBB294_428:
	s_or_b64 exec, exec, s[20:21]
	s_or_b64 s[18:19], s[18:19], exec
.LBB294_429:
	s_or_b64 exec, exec, s[12:13]
	s_and_b64 s[12:13], s[18:19], exec
	s_and_b64 s[14:15], s[14:15], exec
	s_andn2_saveexec_b64 s[16:17], s[16:17]
	s_cbranch_execz .LBB294_130
.LBB294_430:
	v_cmp_lt_i16_e32 vcc, 22, v11
	s_mov_b64 s[18:19], s[12:13]
                                        ; implicit-def: $vgpr12
	s_and_saveexec_b64 s[10:11], vcc
	s_xor_b64 s[10:11], exec, s[10:11]
	s_cbranch_execz .LBB294_462
; %bb.431:
	v_cmp_lt_i16_e32 vcc, 23, v11
                                        ; implicit-def: $vgpr12
	s_and_saveexec_b64 s[18:19], vcc
	s_xor_b64 s[18:19], exec, s[18:19]
	s_cbranch_execz .LBB294_453
; %bb.432:
	v_cmp_lt_i16_e32 vcc, 24, v11
                                        ; implicit-def: $vgpr12
	s_and_saveexec_b64 s[20:21], vcc
	s_xor_b64 s[20:21], exec, s[20:21]
	s_cbranch_execz .LBB294_444
; %bb.433:
	flat_load_ubyte v2, v[8:9]
	s_movk_i32 s22, 0x7f
	s_waitcnt vmcnt(0) lgkmcnt(0)
	v_cmp_lt_i16_e32 vcc, s22, v2
	s_mov_b64 s[22:23], 0
	s_and_saveexec_b64 s[24:25], vcc
	s_xor_b64 s[24:25], exec, s[24:25]
	s_cbranch_execnz .LBB294_560
; %bb.434:
	s_or_saveexec_b64 s[24:25], s[24:25]
	v_mov_b32_e32 v1, 0x7f800001
	s_xor_b64 exec, exec, s[24:25]
	s_cbranch_execnz .LBB294_563
.LBB294_435:
	s_or_b64 exec, exec, s[24:25]
	s_and_saveexec_b64 s[24:25], s[22:23]
	s_cbranch_execz .LBB294_437
.LBB294_436:
	v_lshlrev_b32_e32 v1, 24, v2
	v_and_b32_e32 v2, 0xffff, v2
	v_and_b32_e32 v3, 3, v2
	v_ffbh_u32_e32 v5, v3
	v_min_u32_e32 v5, 32, v5
	v_subrev_u32_e32 v6, 29, v5
	v_bfe_u32 v4, v2, 2, 5
	v_lshlrev_b32_e32 v2, v6, v2
	v_sub_u32_e32 v5, 30, v5
	v_and_b32_e32 v2, 3, v2
	v_cmp_eq_u32_e32 vcc, 0, v4
	v_cndmask_b32_e32 v4, v4, v5, vcc
	v_cndmask_b32_e32 v2, v3, v2, vcc
	v_mov_b32_e32 v3, 0x37800000
	v_lshlrev_b32_e32 v2, 21, v2
	v_and_b32_e32 v1, 0x80000000, v1
	v_lshl_add_u32 v3, v4, 23, v3
	v_or3_b32 v1, v1, v3, v2
.LBB294_437:
	s_or_b64 exec, exec, s[24:25]
	v_and_b32_e32 v2, 0x7fffffff, v1
	s_mov_b32 s22, 0x43800000
	v_cmp_gt_u32_e32 vcc, s22, v2
	v_mov_b32_e32 v12, 0x80
	s_and_saveexec_b64 s[22:23], vcc
	s_cbranch_execz .LBB294_443
; %bb.438:
	s_mov_b32 s24, 0x3bffffff
	v_cmp_lt_u32_e32 vcc, s24, v2
	s_mov_b64 s[24:25], 0
                                        ; implicit-def: $vgpr2
	s_and_saveexec_b64 s[26:27], vcc
	s_xor_b64 s[26:27], exec, s[26:27]
	s_cbranch_execnz .LBB294_576
; %bb.439:
	s_andn2_saveexec_b64 s[26:27], s[26:27]
	s_cbranch_execnz .LBB294_577
.LBB294_440:
	s_or_b64 exec, exec, s[26:27]
	v_mov_b32_e32 v12, 0
	s_and_saveexec_b64 s[26:27], s[24:25]
.LBB294_441:
	v_lshrrev_b32_e32 v1, 24, v1
	s_movk_i32 s24, 0x80
	v_and_or_b32 v12, v1, s24, v2
.LBB294_442:
	s_or_b64 exec, exec, s[26:27]
.LBB294_443:
	s_or_b64 exec, exec, s[22:23]
.LBB294_444:
	s_andn2_saveexec_b64 s[20:21], s[20:21]
	s_cbranch_execz .LBB294_452
; %bb.445:
	flat_load_ubyte v1, v[8:9]
	s_mov_b32 s22, 0x7f800000
	s_brev_b32 s23, 1
	s_mov_b32 s24, 0x43800000
	s_waitcnt vmcnt(0) lgkmcnt(0)
	v_mov_b32_e32 v12, 0x80
	v_lshlrev_b32_e32 v1, 24, v1
	v_and_b32_e32 v2, 0x7f000000, v1
	v_ffbh_u32_e32 v3, v2
	v_min_u32_e32 v3, 32, v3
	v_sub_u32_e64 v3, v3, 4 clamp
	v_lshlrev_b32_e32 v5, v3, v2
	v_lshlrev_b32_e32 v3, 23, v3
	v_lshrrev_b32_e32 v5, 4, v5
	v_add_u32_e32 v4, 0x1000000, v2
	v_sub_u32_e32 v3, v5, v3
	v_ashrrev_i32_e32 v4, 8, v4
	v_add_u32_e32 v3, 0x3c000000, v3
	v_and_or_b32 v3, v4, s22, v3
	v_cmp_ne_u32_e32 vcc, 0, v2
	v_cndmask_b32_e32 v3, 0, v3, vcc
	v_and_or_b32 v1, v1, s23, v3
	v_and_b32_e32 v2, 0x7fffffff, v1
	v_cmp_gt_u32_e32 vcc, s24, v2
	s_and_saveexec_b64 s[22:23], vcc
	s_cbranch_execz .LBB294_451
; %bb.446:
	s_mov_b32 s24, 0x3bffffff
	v_cmp_lt_u32_e32 vcc, s24, v2
	s_mov_b64 s[24:25], 0
                                        ; implicit-def: $vgpr2
	s_and_saveexec_b64 s[26:27], vcc
	s_xor_b64 s[26:27], exec, s[26:27]
	s_cbranch_execnz .LBB294_578
; %bb.447:
	s_andn2_saveexec_b64 s[26:27], s[26:27]
	s_cbranch_execnz .LBB294_579
.LBB294_448:
	s_or_b64 exec, exec, s[26:27]
	v_mov_b32_e32 v12, 0
	s_and_saveexec_b64 s[26:27], s[24:25]
.LBB294_449:
	v_lshrrev_b32_e32 v1, 24, v1
	s_movk_i32 s24, 0x80
	v_and_or_b32 v12, v1, s24, v2
.LBB294_450:
	s_or_b64 exec, exec, s[26:27]
.LBB294_451:
	s_or_b64 exec, exec, s[22:23]
.LBB294_452:
	s_or_b64 exec, exec, s[20:21]
.LBB294_453:
	s_andn2_saveexec_b64 s[18:19], s[18:19]
	s_cbranch_execz .LBB294_461
; %bb.454:
	flat_load_ubyte v1, v[8:9]
	s_movk_i32 s20, 0x7f00
	s_brev_b32 s21, 16
	s_brev_b32 s22, 1
	s_mov_b32 s23, 0x43800000
	s_waitcnt vmcnt(0) lgkmcnt(0)
	v_mov_b32_e32 v12, 0x80
	v_lshlrev_b16_e32 v2, 8, v1
	v_lshlrev_b32_e32 v1, 25, v1
	v_lshrrev_b32_e32 v3, 4, v1
	v_and_or_b32 v4, v2, s20, 0.5
	v_or_b32_e32 v3, 0x70000000, v3
	v_add_f32_e32 v4, -0.5, v4
	v_mul_f32_e32 v3, 0x7800000, v3
	v_cmp_gt_u32_e32 vcc, s21, v1
	v_bfe_i32 v2, v2, 0, 16
	v_cndmask_b32_e32 v3, v3, v4, vcc
	v_and_or_b32 v1, v2, s22, v3
	v_and_b32_e32 v2, 0x7fffffff, v1
	v_cmp_gt_u32_e32 vcc, s23, v2
	s_and_saveexec_b64 s[20:21], vcc
	s_cbranch_execz .LBB294_460
; %bb.455:
	s_mov_b32 s22, 0x3bffffff
	v_cmp_lt_u32_e32 vcc, s22, v2
	s_mov_b64 s[22:23], 0
                                        ; implicit-def: $vgpr2
	s_and_saveexec_b64 s[24:25], vcc
	s_xor_b64 s[24:25], exec, s[24:25]
	s_cbranch_execnz .LBB294_564
; %bb.456:
	s_andn2_saveexec_b64 s[24:25], s[24:25]
	s_cbranch_execnz .LBB294_565
.LBB294_457:
	s_or_b64 exec, exec, s[24:25]
	v_mov_b32_e32 v12, 0
	s_and_saveexec_b64 s[24:25], s[22:23]
.LBB294_458:
	v_lshrrev_b32_e32 v1, 24, v1
	s_movk_i32 s22, 0x80
	v_and_or_b32 v12, v1, s22, v2
.LBB294_459:
	s_or_b64 exec, exec, s[24:25]
.LBB294_460:
	s_or_b64 exec, exec, s[20:21]
.LBB294_461:
	s_or_b64 exec, exec, s[18:19]
	s_or_b64 s[18:19], s[12:13], exec
.LBB294_462:
	s_or_saveexec_b64 s[10:11], s[10:11]
	s_mov_b64 s[20:21], 0
	s_mov_b64 s[22:23], s[14:15]
	s_xor_b64 exec, exec, s[10:11]
	s_cbranch_execz .LBB294_476
; %bb.463:
	v_cmp_lt_i16_e32 vcc, 14, v11
	s_mov_b64 s[22:23], s[14:15]
	s_mov_b64 s[24:25], s[18:19]
                                        ; implicit-def: $vgpr12
	s_and_saveexec_b64 s[20:21], vcc
	s_xor_b64 s[20:21], exec, s[20:21]
	s_cbranch_execz .LBB294_473
; %bb.464:
	v_cmp_eq_u16_e32 vcc, 15, v11
	s_mov_b64 s[26:27], -1
	s_mov_b64 s[24:25], s[18:19]
                                        ; implicit-def: $vgpr12
	s_and_saveexec_b64 s[22:23], vcc
	s_cbranch_execz .LBB294_472
; %bb.465:
	flat_load_ushort v1, v[8:9]
	s_mov_b32 s24, 0x43800000
	s_waitcnt vmcnt(0) lgkmcnt(0)
	v_mov_b32_e32 v12, 0x80
	v_lshlrev_b32_e32 v3, 16, v1
	v_and_b32_e32 v2, 0x7fffffff, v3
	v_cmp_gt_u32_e32 vcc, s24, v2
	s_and_saveexec_b64 s[24:25], vcc
	s_cbranch_execz .LBB294_471
; %bb.466:
	s_mov_b32 s26, 0x3bffffff
	v_cmp_lt_u32_e32 vcc, s26, v2
	s_mov_b64 s[26:27], 0
                                        ; implicit-def: $vgpr2
	s_and_saveexec_b64 s[28:29], vcc
	s_xor_b64 s[28:29], exec, s[28:29]
	s_cbranch_execnz .LBB294_580
; %bb.467:
	s_andn2_saveexec_b64 s[28:29], s[28:29]
	s_cbranch_execnz .LBB294_581
.LBB294_468:
	s_or_b64 exec, exec, s[28:29]
	v_mov_b32_e32 v12, 0
	s_and_saveexec_b64 s[28:29], s[26:27]
.LBB294_469:
	v_lshrrev_b32_e32 v1, 8, v1
	s_movk_i32 s26, 0x80
	v_and_or_b32 v12, v1, s26, v2
.LBB294_470:
	s_or_b64 exec, exec, s[28:29]
.LBB294_471:
	s_or_b64 exec, exec, s[24:25]
	s_or_b64 s[24:25], s[18:19], exec
	s_xor_b64 s[26:27], exec, -1
.LBB294_472:
	s_or_b64 exec, exec, s[22:23]
	s_andn2_b64 s[22:23], s[18:19], exec
	s_and_b64 s[24:25], s[24:25], exec
	s_or_b64 s[24:25], s[22:23], s[24:25]
	s_andn2_b64 s[22:23], s[14:15], exec
	s_and_b64 s[26:27], s[26:27], exec
	s_or_b64 s[22:23], s[22:23], s[26:27]
.LBB294_473:
	s_or_saveexec_b64 s[20:21], s[20:21]
	s_mov_b64 s[26:27], 0
	s_xor_b64 exec, exec, s[20:21]
; %bb.474:
	v_cmp_ne_u16_e32 vcc, 11, v11
	s_andn2_b64 s[22:23], s[22:23], exec
	s_and_b64 s[28:29], vcc, exec
	s_mov_b64 s[26:27], exec
	s_or_b64 s[22:23], s[22:23], s[28:29]
; %bb.475:
	s_or_b64 exec, exec, s[20:21]
	s_andn2_b64 s[18:19], s[18:19], exec
	s_and_b64 s[20:21], s[24:25], exec
	s_andn2_b64 s[24:25], s[14:15], exec
	s_and_b64 s[22:23], s[22:23], exec
	s_or_b64 s[18:19], s[18:19], s[20:21]
	s_and_b64 s[20:21], s[26:27], exec
	s_or_b64 s[22:23], s[24:25], s[22:23]
.LBB294_476:
	s_or_b64 exec, exec, s[10:11]
	s_andn2_b64 s[10:11], s[12:13], exec
	s_and_b64 s[12:13], s[18:19], exec
	s_andn2_b64 s[14:15], s[14:15], exec
	s_and_b64 s[18:19], s[22:23], exec
	s_or_b64 s[12:13], s[10:11], s[12:13]
	s_and_b64 s[10:11], s[20:21], exec
	s_or_b64 s[14:15], s[14:15], s[18:19]
	s_or_b64 exec, exec, s[16:17]
	s_mov_b64 s[16:17], s[6:7]
	s_and_saveexec_b64 s[18:19], s[14:15]
	s_cbranch_execz .LBB294_131
.LBB294_477:
	s_andn2_b64 s[10:11], s[10:11], exec
	s_or_b64 s[16:17], s[6:7], exec
	s_trap 2
	s_branch .LBB294_131
.LBB294_478:
	v_bfe_u32 v1, v2, 20, 1
	s_mov_b32 s16, 0x487ffff
	v_add3_u32 v1, v2, v1, s16
	s_mov_b64 s[10:11], exec
	v_lshrrev_b32_e32 v1, 20, v1
                                        ; implicit-def: $vgpr2
	s_andn2_saveexec_b64 s[14:15], s[14:15]
	s_cbranch_execz .LBB294_137
.LBB294_479:
	v_add_f32_e32 v1, 0x46000000, v2
	v_and_b32_e32 v1, 0xff, v1
	v_cmp_ne_u32_e32 vcc, 0, v1
	s_andn2_b64 s[10:11], s[10:11], exec
	s_and_b64 s[16:17], vcc, exec
	s_or_b64 s[10:11], s[10:11], s[16:17]
	s_or_b64 exec, exec, s[14:15]
	v_mov_b32_e32 v12, 0
	s_and_saveexec_b64 s[14:15], s[10:11]
	s_cbranch_execnz .LBB294_138
	s_branch .LBB294_139
.LBB294_480:
	s_movk_i32 s8, 0x80
	v_cmp_eq_u16_sdwa s[14:15], v10, s8 src0_sel:BYTE_0 src1_sel:DWORD
	s_mov_b64 s[8:9], -1
	s_and_saveexec_b64 s[12:13], s[14:15]
; %bb.481:
	s_xor_b64 s[8:9], exec, -1
; %bb.482:
	s_or_b64 exec, exec, s[12:13]
	s_and_b64 s[8:9], s[8:9], exec
	s_or_saveexec_b64 s[10:11], s[10:11]
	v_mov_b32_e32 v0, 0x7f800001
	s_xor_b64 exec, exec, s[10:11]
	s_cbranch_execz .LBB294_251
.LBB294_483:
	v_mov_b32_e32 v0, 0
	v_cmp_ne_u16_sdwa s[12:13], v10, v0 src0_sel:BYTE_0 src1_sel:DWORD
	s_andn2_b64 s[8:9], s[8:9], exec
	s_and_b64 s[12:13], s[12:13], exec
	s_or_b64 s[8:9], s[8:9], s[12:13]
	s_or_b64 exec, exec, s[10:11]
	s_and_saveexec_b64 s[10:11], s[8:9]
	s_cbranch_execnz .LBB294_252
	s_branch .LBB294_253
.LBB294_484:
	s_movk_i32 s8, 0x80
	v_cmp_eq_u16_sdwa s[14:15], v12, s8 src0_sel:BYTE_0 src1_sel:DWORD
	s_mov_b64 s[8:9], -1
	s_and_saveexec_b64 s[12:13], s[14:15]
; %bb.485:
	s_xor_b64 s[8:9], exec, -1
; %bb.486:
	s_or_b64 exec, exec, s[12:13]
	s_and_b64 s[8:9], s[8:9], exec
	s_or_saveexec_b64 s[10:11], s[10:11]
	v_mov_b32_e32 v1, 0x7f800001
	s_xor_b64 exec, exec, s[10:11]
	s_cbranch_execz .LBB294_255
.LBB294_487:
	v_mov_b32_e32 v1, 0
	v_cmp_ne_u16_sdwa s[12:13], v12, v1 src0_sel:BYTE_0 src1_sel:DWORD
	s_andn2_b64 s[8:9], s[8:9], exec
	s_and_b64 s[12:13], s[12:13], exec
	s_or_b64 s[8:9], s[8:9], s[12:13]
	s_or_b64 exec, exec, s[10:11]
	s_and_saveexec_b64 s[10:11], s[8:9]
	s_cbranch_execnz .LBB294_256
	s_branch .LBB294_257
.LBB294_488:
	s_movk_i32 s4, 0x80
	v_cmp_eq_u16_sdwa s[14:15], v10, s4 src0_sel:BYTE_0 src1_sel:DWORD
	s_mov_b64 s[4:5], -1
	s_and_saveexec_b64 s[12:13], s[14:15]
; %bb.489:
	s_xor_b64 s[4:5], exec, -1
; %bb.490:
	s_or_b64 exec, exec, s[12:13]
	s_and_b64 s[4:5], s[4:5], exec
	s_or_saveexec_b64 s[10:11], s[10:11]
	v_mov_b32_e32 v0, 0x7f800001
	s_xor_b64 exec, exec, s[10:11]
	s_cbranch_execz .LBB294_261
.LBB294_491:
	v_mov_b32_e32 v0, 0
	v_cmp_ne_u16_sdwa s[12:13], v10, v0 src0_sel:BYTE_0 src1_sel:DWORD
	s_andn2_b64 s[4:5], s[4:5], exec
	s_and_b64 s[12:13], s[12:13], exec
	s_or_b64 s[4:5], s[4:5], s[12:13]
	s_or_b64 exec, exec, s[10:11]
	s_and_saveexec_b64 s[10:11], s[4:5]
	s_cbranch_execnz .LBB294_262
	s_branch .LBB294_263
.LBB294_492:
	s_movk_i32 s4, 0x80
	v_cmp_eq_u16_sdwa s[14:15], v12, s4 src0_sel:BYTE_0 src1_sel:DWORD
	s_mov_b64 s[4:5], -1
	s_and_saveexec_b64 s[12:13], s[14:15]
; %bb.493:
	s_xor_b64 s[4:5], exec, -1
; %bb.494:
	s_or_b64 exec, exec, s[12:13]
	s_and_b64 s[4:5], s[4:5], exec
	s_or_saveexec_b64 s[10:11], s[10:11]
	v_mov_b32_e32 v1, 0x7f800001
	s_xor_b64 exec, exec, s[10:11]
	s_cbranch_execz .LBB294_265
.LBB294_495:
	v_mov_b32_e32 v1, 0
	v_cmp_ne_u16_sdwa s[12:13], v12, v1 src0_sel:BYTE_0 src1_sel:DWORD
	s_andn2_b64 s[4:5], s[4:5], exec
	s_and_b64 s[12:13], s[12:13], exec
	s_or_b64 s[4:5], s[4:5], s[12:13]
	s_or_b64 exec, exec, s[10:11]
	s_and_saveexec_b64 s[10:11], s[4:5]
	s_cbranch_execnz .LBB294_266
	s_branch .LBB294_267
.LBB294_496:
	v_bfe_u32 v8, v9, 20, 1
	s_mov_b32 s18, 0x487ffff
	v_add3_u32 v8, v9, v8, s18
	s_mov_b64 s[14:15], exec
	v_lshrrev_b32_e32 v8, 20, v8
                                        ; implicit-def: $vgpr9
	s_andn2_saveexec_b64 s[16:17], s[16:17]
	s_cbranch_execz .LBB294_8
.LBB294_497:
	v_add_f32_e32 v8, 0x46000000, v9
	v_and_b32_e32 v8, 0xff, v8
	v_cmp_ne_u32_e32 vcc, 0, v8
	s_andn2_b64 s[14:15], s[14:15], exec
	s_and_b64 s[18:19], vcc, exec
	s_or_b64 s[14:15], s[14:15], s[18:19]
	s_or_b64 exec, exec, s[16:17]
	v_mov_b32_e32 v10, 0
	s_and_saveexec_b64 s[16:17], s[14:15]
	s_cbranch_execnz .LBB294_9
	s_branch .LBB294_10
.LBB294_498:
	v_bfe_u32 v9, v8, 20, 1
	s_mov_b32 s22, 0x487ffff
	v_add3_u32 v9, v8, v9, s22
	s_mov_b64 s[18:19], exec
	v_lshrrev_b32_e32 v9, 20, v9
	s_andn2_saveexec_b64 s[20:21], s[20:21]
	s_cbranch_execz .LBB294_38
.LBB294_499:
	s_mov_b32 s22, 0x46000000
	v_add_f32_e64 v9, |v8|, s22
	v_and_b32_e32 v9, 0xff, v9
	v_cmp_ne_u32_e32 vcc, 0, v9
	s_andn2_b64 s[18:19], s[18:19], exec
	s_and_b64 s[22:23], vcc, exec
	s_or_b64 s[18:19], s[18:19], s[22:23]
	s_or_b64 exec, exec, s[20:21]
	v_mov_b32_e32 v10, 0
	s_and_saveexec_b64 s[20:21], s[18:19]
	s_cbranch_execnz .LBB294_39
	s_branch .LBB294_40
.LBB294_500:
	v_bfe_u32 v9, v8, 20, 1
	s_mov_b32 s22, 0x487ffff
	v_add3_u32 v9, v8, v9, s22
	s_mov_b64 s[18:19], exec
	v_lshrrev_b32_e32 v9, 20, v9
	s_andn2_saveexec_b64 s[20:21], s[20:21]
	s_cbranch_execz .LBB294_66
.LBB294_501:
	s_mov_b32 s22, 0x46000000
	v_add_f32_e64 v9, |v8|, s22
	v_and_b32_e32 v9, 0xff, v9
	v_cmp_ne_u32_e32 vcc, 0, v9
	s_andn2_b64 s[18:19], s[18:19], exec
	s_and_b64 s[22:23], vcc, exec
	s_or_b64 s[18:19], s[18:19], s[22:23]
	s_or_b64 exec, exec, s[20:21]
	v_mov_b32_e32 v10, 0
	s_and_saveexec_b64 s[20:21], s[18:19]
	s_cbranch_execnz .LBB294_67
	s_branch .LBB294_68
.LBB294_502:
	v_bfe_u32 v9, v8, 20, 1
	s_mov_b32 s22, 0x487ffff
	v_add3_u32 v9, v8, v9, s22
	s_mov_b64 s[18:19], exec
	v_lshrrev_b32_e32 v9, 20, v9
	s_andn2_saveexec_b64 s[20:21], s[20:21]
	s_cbranch_execz .LBB294_96
.LBB294_503:
	s_mov_b32 s22, 0x46000000
	v_add_f32_e64 v9, |v8|, s22
	v_and_b32_e32 v9, 0xff, v9
	v_cmp_ne_u32_e32 vcc, 0, v9
	s_andn2_b64 s[18:19], s[18:19], exec
	s_and_b64 s[22:23], vcc, exec
	s_or_b64 s[18:19], s[18:19], s[22:23]
	s_or_b64 exec, exec, s[20:21]
	v_mov_b32_e32 v10, 0
	s_and_saveexec_b64 s[20:21], s[18:19]
	s_cbranch_execnz .LBB294_97
	s_branch .LBB294_98
.LBB294_504:
	v_bfe_u32 v9, v8, 20, 1
	s_mov_b32 s22, 0x487ffff
	v_add3_u32 v9, v8, v9, s22
	s_mov_b64 s[18:19], exec
	v_lshrrev_b32_e32 v9, 20, v9
	s_andn2_saveexec_b64 s[20:21], s[20:21]
	s_cbranch_execz .LBB294_106
.LBB294_505:
	s_mov_b32 s22, 0x46000000
	v_add_f32_e64 v9, |v8|, s22
	v_and_b32_e32 v9, 0xff, v9
	v_cmp_ne_u32_e32 vcc, 0, v9
	s_andn2_b64 s[18:19], s[18:19], exec
	s_and_b64 s[22:23], vcc, exec
	s_or_b64 s[18:19], s[18:19], s[22:23]
	s_or_b64 exec, exec, s[20:21]
	v_mov_b32_e32 v10, 0
	s_and_saveexec_b64 s[20:21], s[18:19]
	s_cbranch_execnz .LBB294_107
	s_branch .LBB294_108
.LBB294_506:
	v_bfe_u32 v8, v9, 20, 1
	s_mov_b32 s22, 0x487ffff
	v_add3_u32 v8, v9, v8, s22
	s_mov_b64 s[18:19], exec
	v_lshrrev_b32_e32 v8, 20, v8
                                        ; implicit-def: $vgpr9
	s_andn2_saveexec_b64 s[20:21], s[20:21]
	s_cbranch_execz .LBB294_114
.LBB294_507:
	v_add_f32_e32 v8, 0x46000000, v9
	v_and_b32_e32 v8, 0xff, v8
	v_cmp_ne_u32_e32 vcc, 0, v8
	s_andn2_b64 s[18:19], s[18:19], exec
	s_and_b64 s[22:23], vcc, exec
	s_or_b64 s[18:19], s[18:19], s[22:23]
	s_or_b64 exec, exec, s[20:21]
	v_mov_b32_e32 v10, 0
	s_and_saveexec_b64 s[20:21], s[18:19]
	s_cbranch_execnz .LBB294_115
	s_branch .LBB294_116
.LBB294_508:
	v_bfe_u32 v2, v1, 20, 1
	s_mov_b32 s20, 0x487ffff
	v_add3_u32 v2, v1, v2, s20
	s_mov_b64 s[16:17], exec
	v_lshrrev_b32_e32 v2, 20, v2
	s_andn2_saveexec_b64 s[18:19], s[18:19]
	s_cbranch_execz .LBB294_165
.LBB294_509:
	s_mov_b32 s20, 0x46000000
	v_add_f32_e64 v2, |v1|, s20
	v_and_b32_e32 v2, 0xff, v2
	v_cmp_ne_u32_e32 vcc, 0, v2
	s_andn2_b64 s[16:17], s[16:17], exec
	s_and_b64 s[20:21], vcc, exec
	s_or_b64 s[16:17], s[16:17], s[20:21]
	s_or_b64 exec, exec, s[18:19]
	v_mov_b32_e32 v12, 0
	s_and_saveexec_b64 s[18:19], s[16:17]
	s_cbranch_execnz .LBB294_166
	s_branch .LBB294_167
.LBB294_510:
	v_bfe_u32 v2, v1, 20, 1
	s_mov_b32 s20, 0x487ffff
	v_add3_u32 v2, v1, v2, s20
	s_mov_b64 s[16:17], exec
	v_lshrrev_b32_e32 v2, 20, v2
	s_andn2_saveexec_b64 s[18:19], s[18:19]
	s_cbranch_execz .LBB294_193
.LBB294_511:
	s_mov_b32 s20, 0x46000000
	v_add_f32_e64 v2, |v1|, s20
	v_and_b32_e32 v2, 0xff, v2
	v_cmp_ne_u32_e32 vcc, 0, v2
	s_andn2_b64 s[16:17], s[16:17], exec
	s_and_b64 s[20:21], vcc, exec
	s_or_b64 s[16:17], s[16:17], s[20:21]
	s_or_b64 exec, exec, s[18:19]
	v_mov_b32_e32 v12, 0
	s_and_saveexec_b64 s[18:19], s[16:17]
	s_cbranch_execnz .LBB294_194
	s_branch .LBB294_195
.LBB294_512:
	v_bfe_u32 v2, v1, 20, 1
	s_mov_b32 s20, 0x487ffff
	v_add3_u32 v2, v1, v2, s20
	s_mov_b64 s[16:17], exec
	v_lshrrev_b32_e32 v2, 20, v2
	s_andn2_saveexec_b64 s[18:19], s[18:19]
	s_cbranch_execz .LBB294_223
.LBB294_513:
	s_mov_b32 s20, 0x46000000
	v_add_f32_e64 v2, |v1|, s20
	v_and_b32_e32 v2, 0xff, v2
	v_cmp_ne_u32_e32 vcc, 0, v2
	s_andn2_b64 s[16:17], s[16:17], exec
	s_and_b64 s[20:21], vcc, exec
	s_or_b64 s[16:17], s[16:17], s[20:21]
	s_or_b64 exec, exec, s[18:19]
	v_mov_b32_e32 v12, 0
	s_and_saveexec_b64 s[18:19], s[16:17]
	s_cbranch_execnz .LBB294_224
	s_branch .LBB294_225
.LBB294_514:
	v_bfe_u32 v2, v1, 20, 1
	s_mov_b32 s20, 0x487ffff
	v_add3_u32 v2, v1, v2, s20
	s_mov_b64 s[16:17], exec
	v_lshrrev_b32_e32 v2, 20, v2
	s_andn2_saveexec_b64 s[18:19], s[18:19]
	s_cbranch_execz .LBB294_233
.LBB294_515:
	s_mov_b32 s20, 0x46000000
	v_add_f32_e64 v2, |v1|, s20
	v_and_b32_e32 v2, 0xff, v2
	v_cmp_ne_u32_e32 vcc, 0, v2
	s_andn2_b64 s[16:17], s[16:17], exec
	s_and_b64 s[20:21], vcc, exec
	s_or_b64 s[16:17], s[16:17], s[20:21]
	s_or_b64 exec, exec, s[18:19]
	v_mov_b32_e32 v12, 0
	s_and_saveexec_b64 s[18:19], s[16:17]
	s_cbranch_execnz .LBB294_234
	s_branch .LBB294_235
.LBB294_516:
	v_bfe_u32 v1, v2, 20, 1
	s_mov_b32 s20, 0x487ffff
	v_add3_u32 v1, v2, v1, s20
	s_mov_b64 s[16:17], exec
	v_lshrrev_b32_e32 v1, 20, v1
                                        ; implicit-def: $vgpr2
	s_andn2_saveexec_b64 s[18:19], s[18:19]
	s_cbranch_execz .LBB294_241
.LBB294_517:
	v_add_f32_e32 v1, 0x46000000, v2
	v_and_b32_e32 v1, 0xff, v1
	v_cmp_ne_u32_e32 vcc, 0, v1
	s_andn2_b64 s[16:17], s[16:17], exec
	s_and_b64 s[20:21], vcc, exec
	s_or_b64 s[16:17], s[16:17], s[20:21]
	s_or_b64 exec, exec, s[18:19]
	v_mov_b32_e32 v12, 0
	s_and_saveexec_b64 s[18:19], s[16:17]
	s_cbranch_execnz .LBB294_242
	s_branch .LBB294_243
.LBB294_518:
	s_movk_i32 s18, 0x80
	v_cmp_eq_u16_e32 vcc, s18, v10
	s_mov_b64 s[18:19], -1
	s_and_saveexec_b64 s[22:23], vcc
; %bb.519:
	s_xor_b64 s[18:19], exec, -1
; %bb.520:
	s_or_b64 exec, exec, s[22:23]
	s_and_b64 s[18:19], s[18:19], exec
	s_or_saveexec_b64 s[20:21], s[20:21]
	v_mov_b32_e32 v11, 0x7f800001
	s_xor_b64 exec, exec, s[20:21]
	s_cbranch_execz .LBB294_330
.LBB294_521:
	v_cmp_ne_u16_e32 vcc, 0, v10
	s_andn2_b64 s[18:19], s[18:19], exec
	s_and_b64 s[22:23], vcc, exec
	v_mov_b32_e32 v11, 0
	s_or_b64 s[18:19], s[18:19], s[22:23]
	s_or_b64 exec, exec, s[20:21]
	s_and_saveexec_b64 s[20:21], s[18:19]
	s_cbranch_execnz .LBB294_331
	s_branch .LBB294_332
.LBB294_522:
	v_bfe_u32 v10, v13, 20, 1
	s_mov_b32 s22, 0x487ffff
	v_add3_u32 v10, v11, v10, s22
	s_mov_b64 s[18:19], exec
	v_lshrrev_b32_e32 v12, 20, v10
	s_andn2_saveexec_b64 s[20:21], s[20:21]
	s_cbranch_execz .LBB294_352
.LBB294_523:
	s_mov_b32 s22, 0x46000000
	v_add_f32_e64 v10, |v11|, s22
	v_and_b32_e32 v12, 0xff, v10
	v_cmp_ne_u32_e32 vcc, 0, v12
	s_andn2_b64 s[18:19], s[18:19], exec
	s_and_b64 s[22:23], vcc, exec
	s_or_b64 s[18:19], s[18:19], s[22:23]
	s_or_b64 exec, exec, s[20:21]
	v_mov_b32_e32 v10, 0
	s_and_saveexec_b64 s[20:21], s[18:19]
	s_cbranch_execnz .LBB294_353
	s_branch .LBB294_354
.LBB294_524:
	v_bfe_u32 v9, v8, 20, 1
	s_mov_b32 s24, 0x487ffff
	v_add3_u32 v9, v8, v9, s24
	s_mov_b64 s[20:21], exec
	v_lshrrev_b32_e32 v9, 20, v9
	s_andn2_saveexec_b64 s[22:23], s[22:23]
	s_cbranch_execz .LBB294_21
.LBB294_525:
	s_mov_b32 s24, 0x46000000
	v_add_f32_e64 v9, |v8|, s24
	v_and_b32_e32 v9, 0xff, v9
	v_cmp_ne_u32_e32 vcc, 0, v9
	s_andn2_b64 s[20:21], s[20:21], exec
	s_and_b64 s[24:25], vcc, exec
	s_or_b64 s[20:21], s[20:21], s[24:25]
	s_or_b64 exec, exec, s[22:23]
	v_mov_b32_e32 v10, 0
	s_and_saveexec_b64 s[22:23], s[20:21]
	s_cbranch_execnz .LBB294_22
	s_branch .LBB294_23
.LBB294_526:
	v_bfe_u32 v9, v8, 20, 1
	s_mov_b32 s24, 0x487ffff
	v_add3_u32 v9, v8, v9, s24
	s_mov_b64 s[20:21], exec
	v_lshrrev_b32_e32 v9, 20, v9
	s_andn2_saveexec_b64 s[22:23], s[22:23]
	s_cbranch_execz .LBB294_29
.LBB294_527:
	s_mov_b32 s24, 0x46000000
	v_add_f32_e64 v9, |v8|, s24
	v_and_b32_e32 v9, 0xff, v9
	v_cmp_ne_u32_e32 vcc, 0, v9
	s_andn2_b64 s[20:21], s[20:21], exec
	s_and_b64 s[24:25], vcc, exec
	s_or_b64 s[20:21], s[20:21], s[24:25]
	s_or_b64 exec, exec, s[22:23]
	v_mov_b32_e32 v10, 0
	s_and_saveexec_b64 s[22:23], s[20:21]
	s_cbranch_execnz .LBB294_30
	s_branch .LBB294_31
.LBB294_528:
	v_bfe_u32 v9, v8, 20, 1
	s_mov_b32 s24, 0x487ffff
	v_add3_u32 v9, v8, v9, s24
	s_mov_b64 s[20:21], exec
	v_lshrrev_b32_e32 v9, 20, v9
	s_andn2_saveexec_b64 s[22:23], s[22:23]
	s_cbranch_execz .LBB294_49
.LBB294_529:
	s_mov_b32 s24, 0x46000000
	v_add_f32_e64 v9, |v8|, s24
	v_and_b32_e32 v9, 0xff, v9
	v_cmp_ne_u32_e32 vcc, 0, v9
	s_andn2_b64 s[20:21], s[20:21], exec
	s_and_b64 s[24:25], vcc, exec
	s_or_b64 s[20:21], s[20:21], s[24:25]
	s_or_b64 exec, exec, s[22:23]
	v_mov_b32_e32 v10, 0
	s_and_saveexec_b64 s[22:23], s[20:21]
	s_cbranch_execnz .LBB294_50
	s_branch .LBB294_51
.LBB294_530:
	v_bfe_u32 v9, v8, 20, 1
	s_mov_b32 s24, 0x487ffff
	v_add3_u32 v9, v8, v9, s24
	s_mov_b64 s[20:21], exec
	v_lshrrev_b32_e32 v9, 20, v9
	s_andn2_saveexec_b64 s[22:23], s[22:23]
	s_cbranch_execz .LBB294_57
.LBB294_531:
	s_mov_b32 s24, 0x46000000
	v_add_f32_e64 v9, |v8|, s24
	v_and_b32_e32 v9, 0xff, v9
	v_cmp_ne_u32_e32 vcc, 0, v9
	s_andn2_b64 s[20:21], s[20:21], exec
	s_and_b64 s[24:25], vcc, exec
	s_or_b64 s[20:21], s[20:21], s[24:25]
	s_or_b64 exec, exec, s[22:23]
	v_mov_b32_e32 v10, 0
	s_and_saveexec_b64 s[22:23], s[20:21]
	s_cbranch_execnz .LBB294_58
	s_branch .LBB294_59
.LBB294_532:
	v_bfe_u32 v9, v8, 20, 1
	s_mov_b32 s24, 0x487ffff
	v_add3_u32 v9, v8, v9, s24
	s_mov_b64 s[20:21], exec
	v_lshrrev_b32_e32 v9, 20, v9
	s_andn2_saveexec_b64 s[22:23], s[22:23]
	s_cbranch_execz .LBB294_79
.LBB294_533:
	s_mov_b32 s24, 0x46000000
	v_add_f32_e64 v9, |v8|, s24
	v_and_b32_e32 v9, 0xff, v9
	v_cmp_ne_u32_e32 vcc, 0, v9
	s_andn2_b64 s[20:21], s[20:21], exec
	s_and_b64 s[24:25], vcc, exec
	s_or_b64 s[20:21], s[20:21], s[24:25]
	s_or_b64 exec, exec, s[22:23]
	v_mov_b32_e32 v10, 0
	s_and_saveexec_b64 s[22:23], s[20:21]
	s_cbranch_execnz .LBB294_80
	s_branch .LBB294_81
.LBB294_534:
	v_bfe_u32 v9, v8, 20, 1
	s_mov_b32 s24, 0x487ffff
	v_add3_u32 v9, v8, v9, s24
	s_mov_b64 s[20:21], exec
	v_lshrrev_b32_e32 v9, 20, v9
	s_andn2_saveexec_b64 s[22:23], s[22:23]
	s_cbranch_execz .LBB294_87
.LBB294_535:
	s_mov_b32 s24, 0x46000000
	v_add_f32_e64 v9, |v8|, s24
	v_and_b32_e32 v9, 0xff, v9
	v_cmp_ne_u32_e32 vcc, 0, v9
	s_andn2_b64 s[20:21], s[20:21], exec
	s_and_b64 s[24:25], vcc, exec
	s_or_b64 s[20:21], s[20:21], s[24:25]
	s_or_b64 exec, exec, s[22:23]
	v_mov_b32_e32 v10, 0
	s_and_saveexec_b64 s[22:23], s[20:21]
	s_cbranch_execnz .LBB294_88
	s_branch .LBB294_89
.LBB294_536:
	v_bfe_u32 v2, v1, 20, 1
	s_mov_b32 s22, 0x487ffff
	v_add3_u32 v2, v1, v2, s22
	s_mov_b64 s[18:19], exec
	v_lshrrev_b32_e32 v2, 20, v2
	s_andn2_saveexec_b64 s[20:21], s[20:21]
	s_cbranch_execz .LBB294_148
.LBB294_537:
	s_mov_b32 s22, 0x46000000
	v_add_f32_e64 v2, |v1|, s22
	v_and_b32_e32 v2, 0xff, v2
	v_cmp_ne_u32_e32 vcc, 0, v2
	s_andn2_b64 s[18:19], s[18:19], exec
	s_and_b64 s[22:23], vcc, exec
	s_or_b64 s[18:19], s[18:19], s[22:23]
	s_or_b64 exec, exec, s[20:21]
	v_mov_b32_e32 v12, 0
	s_and_saveexec_b64 s[20:21], s[18:19]
	s_cbranch_execnz .LBB294_149
	s_branch .LBB294_150
.LBB294_538:
	v_bfe_u32 v2, v1, 20, 1
	s_mov_b32 s22, 0x487ffff
	v_add3_u32 v2, v1, v2, s22
	s_mov_b64 s[18:19], exec
	v_lshrrev_b32_e32 v2, 20, v2
	s_andn2_saveexec_b64 s[20:21], s[20:21]
	s_cbranch_execz .LBB294_156
.LBB294_539:
	s_mov_b32 s22, 0x46000000
	v_add_f32_e64 v2, |v1|, s22
	v_and_b32_e32 v2, 0xff, v2
	v_cmp_ne_u32_e32 vcc, 0, v2
	s_andn2_b64 s[18:19], s[18:19], exec
	s_and_b64 s[22:23], vcc, exec
	s_or_b64 s[18:19], s[18:19], s[22:23]
	s_or_b64 exec, exec, s[20:21]
	v_mov_b32_e32 v12, 0
	s_and_saveexec_b64 s[20:21], s[18:19]
	s_cbranch_execnz .LBB294_157
	s_branch .LBB294_158
.LBB294_540:
	v_bfe_u32 v2, v1, 20, 1
	s_mov_b32 s22, 0x487ffff
	v_add3_u32 v2, v1, v2, s22
	s_mov_b64 s[18:19], exec
	v_lshrrev_b32_e32 v2, 20, v2
	s_andn2_saveexec_b64 s[20:21], s[20:21]
	s_cbranch_execz .LBB294_176
.LBB294_541:
	s_mov_b32 s22, 0x46000000
	v_add_f32_e64 v2, |v1|, s22
	v_and_b32_e32 v2, 0xff, v2
	v_cmp_ne_u32_e32 vcc, 0, v2
	s_andn2_b64 s[18:19], s[18:19], exec
	s_and_b64 s[22:23], vcc, exec
	s_or_b64 s[18:19], s[18:19], s[22:23]
	s_or_b64 exec, exec, s[20:21]
	v_mov_b32_e32 v12, 0
	s_and_saveexec_b64 s[20:21], s[18:19]
	s_cbranch_execnz .LBB294_177
	s_branch .LBB294_178
.LBB294_542:
	v_bfe_u32 v2, v1, 20, 1
	s_mov_b32 s22, 0x487ffff
	v_add3_u32 v2, v1, v2, s22
	s_mov_b64 s[18:19], exec
	v_lshrrev_b32_e32 v2, 20, v2
	s_andn2_saveexec_b64 s[20:21], s[20:21]
	s_cbranch_execz .LBB294_184
.LBB294_543:
	s_mov_b32 s22, 0x46000000
	v_add_f32_e64 v2, |v1|, s22
	v_and_b32_e32 v2, 0xff, v2
	v_cmp_ne_u32_e32 vcc, 0, v2
	s_andn2_b64 s[18:19], s[18:19], exec
	s_and_b64 s[22:23], vcc, exec
	s_or_b64 s[18:19], s[18:19], s[22:23]
	s_or_b64 exec, exec, s[20:21]
	v_mov_b32_e32 v12, 0
	s_and_saveexec_b64 s[20:21], s[18:19]
	s_cbranch_execnz .LBB294_185
	s_branch .LBB294_186
.LBB294_544:
	v_bfe_u32 v2, v1, 20, 1
	s_mov_b32 s22, 0x487ffff
	v_add3_u32 v2, v1, v2, s22
	s_mov_b64 s[18:19], exec
	v_lshrrev_b32_e32 v2, 20, v2
	s_andn2_saveexec_b64 s[20:21], s[20:21]
	s_cbranch_execz .LBB294_206
.LBB294_545:
	s_mov_b32 s22, 0x46000000
	v_add_f32_e64 v2, |v1|, s22
	v_and_b32_e32 v2, 0xff, v2
	v_cmp_ne_u32_e32 vcc, 0, v2
	s_andn2_b64 s[18:19], s[18:19], exec
	s_and_b64 s[22:23], vcc, exec
	s_or_b64 s[18:19], s[18:19], s[22:23]
	s_or_b64 exec, exec, s[20:21]
	v_mov_b32_e32 v12, 0
	s_and_saveexec_b64 s[20:21], s[18:19]
	s_cbranch_execnz .LBB294_207
	s_branch .LBB294_208
.LBB294_546:
	v_bfe_u32 v2, v1, 20, 1
	s_mov_b32 s22, 0x487ffff
	v_add3_u32 v2, v1, v2, s22
	s_mov_b64 s[18:19], exec
	v_lshrrev_b32_e32 v2, 20, v2
	s_andn2_saveexec_b64 s[20:21], s[20:21]
	s_cbranch_execz .LBB294_214
.LBB294_547:
	s_mov_b32 s22, 0x46000000
	v_add_f32_e64 v2, |v1|, s22
	v_and_b32_e32 v2, 0xff, v2
	v_cmp_ne_u32_e32 vcc, 0, v2
	s_andn2_b64 s[18:19], s[18:19], exec
	s_and_b64 s[22:23], vcc, exec
	s_or_b64 s[18:19], s[18:19], s[22:23]
	s_or_b64 exec, exec, s[20:21]
	v_mov_b32_e32 v12, 0
	s_and_saveexec_b64 s[20:21], s[18:19]
	s_cbranch_execnz .LBB294_215
	s_branch .LBB294_216
.LBB294_548:
	v_bfe_u32 v10, v12, 20, 1
	s_mov_b32 s26, 0x487ffff
	v_add3_u32 v10, v12, v10, s26
	s_mov_b64 s[22:23], exec
	v_lshrrev_b32_e32 v11, 20, v10
                                        ; implicit-def: $vgpr12
	s_andn2_saveexec_b64 s[24:25], s[24:25]
	s_cbranch_execz .LBB294_296
.LBB294_549:
	v_add_f32_e32 v10, 0x46000000, v12
	v_and_b32_e32 v11, 0xff, v10
	v_cmp_ne_u32_e32 vcc, 0, v11
	s_andn2_b64 s[22:23], s[22:23], exec
	s_and_b64 s[26:27], vcc, exec
	s_or_b64 s[22:23], s[22:23], s[26:27]
	s_or_b64 exec, exec, s[24:25]
	v_mov_b32_e32 v10, 0
	s_and_saveexec_b64 s[24:25], s[22:23]
	s_cbranch_execnz .LBB294_297
	s_branch .LBB294_298
.LBB294_550:
	v_bfe_u32 v10, v12, 20, 1
	s_mov_b32 s26, 0x487ffff
	v_add3_u32 v10, v12, v10, s26
	s_mov_b64 s[22:23], exec
	v_lshrrev_b32_e32 v11, 20, v10
                                        ; implicit-def: $vgpr12
	s_andn2_saveexec_b64 s[24:25], s[24:25]
	s_cbranch_execz .LBB294_308
.LBB294_551:
	v_add_f32_e32 v10, 0x46000000, v12
	v_and_b32_e32 v11, 0xff, v10
	v_cmp_ne_u32_e32 vcc, 0, v11
	s_andn2_b64 s[22:23], s[22:23], exec
	s_and_b64 s[26:27], vcc, exec
	s_or_b64 s[22:23], s[22:23], s[26:27]
	s_or_b64 exec, exec, s[24:25]
	v_mov_b32_e32 v10, 0
	s_and_saveexec_b64 s[24:25], s[22:23]
	s_cbranch_execnz .LBB294_309
	s_branch .LBB294_310
.LBB294_552:
	v_bfe_u32 v10, v12, 20, 1
	s_mov_b32 s26, 0x487ffff
	v_add3_u32 v10, v12, v10, s26
	s_mov_b64 s[22:23], exec
	v_lshrrev_b32_e32 v11, 20, v10
                                        ; implicit-def: $vgpr12
	s_andn2_saveexec_b64 s[24:25], s[24:25]
	s_cbranch_execz .LBB294_316
.LBB294_553:
	v_add_f32_e32 v10, 0x46000000, v12
	v_and_b32_e32 v11, 0xff, v10
	v_cmp_ne_u32_e32 vcc, 0, v11
	s_andn2_b64 s[22:23], s[22:23], exec
	s_and_b64 s[26:27], vcc, exec
	s_or_b64 s[22:23], s[22:23], s[26:27]
	s_or_b64 exec, exec, s[24:25]
	v_mov_b32_e32 v10, 0
	s_and_saveexec_b64 s[24:25], s[22:23]
	s_cbranch_execnz .LBB294_317
	s_branch .LBB294_318
.LBB294_554:
	v_bfe_u32 v10, v11, 20, 1
	s_mov_b32 s24, 0x487ffff
	v_add3_u32 v10, v11, v10, s24
	s_mov_b64 s[20:21], exec
	v_lshrrev_b32_e32 v12, 20, v10
	s_andn2_saveexec_b64 s[22:23], s[22:23]
	s_cbranch_execz .LBB294_335
.LBB294_555:
	s_mov_b32 s24, 0x46000000
	v_add_f32_e64 v10, |v11|, s24
	v_and_b32_e32 v12, 0xff, v10
	v_cmp_ne_u32_e32 vcc, 0, v12
	s_andn2_b64 s[20:21], s[20:21], exec
	s_and_b64 s[24:25], vcc, exec
	s_or_b64 s[20:21], s[20:21], s[24:25]
	s_or_b64 exec, exec, s[22:23]
	v_mov_b32_e32 v10, 0
	s_and_saveexec_b64 s[22:23], s[20:21]
	s_cbranch_execnz .LBB294_336
	s_branch .LBB294_337
.LBB294_556:
	v_bfe_u32 v10, v13, 20, 1
	s_mov_b32 s24, 0x487ffff
	v_add3_u32 v10, v11, v10, s24
	s_mov_b64 s[20:21], exec
	v_lshrrev_b32_e32 v12, 20, v10
	s_andn2_saveexec_b64 s[22:23], s[22:23]
	s_cbranch_execz .LBB294_343
.LBB294_557:
	s_mov_b32 s24, 0x46000000
	v_add_f32_e64 v10, |v11|, s24
	v_and_b32_e32 v12, 0xff, v10
	v_cmp_ne_u32_e32 vcc, 0, v12
	s_andn2_b64 s[20:21], s[20:21], exec
	s_and_b64 s[24:25], vcc, exec
	s_or_b64 s[20:21], s[20:21], s[24:25]
	s_or_b64 exec, exec, s[22:23]
	v_mov_b32_e32 v10, 0
	s_and_saveexec_b64 s[22:23], s[20:21]
	s_cbranch_execnz .LBB294_344
	s_branch .LBB294_345
.LBB294_558:
	v_bfe_u32 v10, v11, 4, 1
	s_mov_b32 s26, 0x487ffff
	v_add3_u32 v10, v13, v10, s26
	s_mov_b64 s[22:23], exec
	v_lshrrev_b32_e32 v12, 20, v10
                                        ; implicit-def: $vgpr13
	s_andn2_saveexec_b64 s[24:25], s[24:25]
	s_cbranch_execz .LBB294_363
.LBB294_559:
	s_mov_b32 s26, 0x46000000
	v_add_f32_e64 v10, |v13|, s26
	v_and_b32_e32 v12, 0xff, v10
	v_cmp_ne_u32_e32 vcc, 0, v12
	s_andn2_b64 s[22:23], s[22:23], exec
	s_and_b64 s[26:27], vcc, exec
	s_or_b64 s[22:23], s[22:23], s[26:27]
	s_or_b64 exec, exec, s[24:25]
	v_mov_b32_e32 v10, 0
	s_and_saveexec_b64 s[24:25], s[22:23]
	s_cbranch_execnz .LBB294_364
	s_branch .LBB294_365
.LBB294_560:
	s_movk_i32 s22, 0x80
	v_cmp_eq_u16_e32 vcc, s22, v2
	s_mov_b64 s[22:23], -1
	s_and_saveexec_b64 s[26:27], vcc
; %bb.561:
	s_xor_b64 s[22:23], exec, -1
; %bb.562:
	s_or_b64 exec, exec, s[26:27]
	s_and_b64 s[22:23], s[22:23], exec
	s_or_saveexec_b64 s[24:25], s[24:25]
	v_mov_b32_e32 v1, 0x7f800001
	s_xor_b64 exec, exec, s[24:25]
	s_cbranch_execz .LBB294_435
.LBB294_563:
	v_cmp_ne_u16_e32 vcc, 0, v2
	s_andn2_b64 s[22:23], s[22:23], exec
	s_and_b64 s[26:27], vcc, exec
	v_mov_b32_e32 v1, 0
	s_or_b64 s[22:23], s[22:23], s[26:27]
	s_or_b64 exec, exec, s[24:25]
	s_and_saveexec_b64 s[24:25], s[22:23]
	s_cbranch_execnz .LBB294_436
	s_branch .LBB294_437
.LBB294_564:
	v_bfe_u32 v2, v3, 20, 1
	s_mov_b32 s26, 0x487ffff
	v_add3_u32 v2, v1, v2, s26
	s_mov_b64 s[22:23], exec
	v_lshrrev_b32_e32 v2, 20, v2
	s_andn2_saveexec_b64 s[24:25], s[24:25]
	s_cbranch_execz .LBB294_457
.LBB294_565:
	s_mov_b32 s26, 0x46000000
	v_add_f32_e64 v2, |v1|, s26
	v_and_b32_e32 v2, 0xff, v2
	v_cmp_ne_u32_e32 vcc, 0, v2
	s_andn2_b64 s[22:23], s[22:23], exec
	s_and_b64 s[26:27], vcc, exec
	s_or_b64 s[22:23], s[22:23], s[26:27]
	s_or_b64 exec, exec, s[24:25]
	v_mov_b32_e32 v12, 0
	s_and_saveexec_b64 s[24:25], s[22:23]
	s_cbranch_execnz .LBB294_458
	s_branch .LBB294_459
.LBB294_566:
	v_bfe_u32 v10, v11, 20, 1
	s_mov_b32 s24, 0x487ffff
	v_add3_u32 v10, v11, v10, s24
	s_mov_b64 s[20:21], exec
	v_lshrrev_b32_e32 v12, 20, v10
	s_andn2_saveexec_b64 s[22:23], s[22:23]
	s_cbranch_execz .LBB294_275
.LBB294_567:
	s_mov_b32 s24, 0x46000000
	v_add_f32_e64 v10, |v11|, s24
	v_and_b32_e32 v12, 0xff, v10
	v_cmp_ne_u32_e32 vcc, 0, v12
	s_andn2_b64 s[20:21], s[20:21], exec
	s_and_b64 s[24:25], vcc, exec
	s_or_b64 s[20:21], s[20:21], s[24:25]
	s_or_b64 exec, exec, s[22:23]
	v_mov_b32_e32 v10, 0
	s_and_saveexec_b64 s[22:23], s[20:21]
	s_cbranch_execnz .LBB294_276
	s_branch .LBB294_277
.LBB294_568:
	v_bfe_u32 v10, v12, 20, 1
	s_mov_b32 s28, 0x487ffff
	v_add3_u32 v10, v12, v10, s28
	s_mov_b64 s[24:25], exec
	v_lshrrev_b32_e32 v11, 20, v10
                                        ; implicit-def: $vgpr12
	s_andn2_saveexec_b64 s[26:27], s[26:27]
	s_cbranch_execz .LBB294_285
.LBB294_569:
	v_add_f32_e32 v10, 0x46000000, v12
	v_and_b32_e32 v11, 0xff, v10
	v_cmp_ne_u32_e32 vcc, 0, v11
	s_andn2_b64 s[24:25], s[24:25], exec
	s_and_b64 s[28:29], vcc, exec
	s_or_b64 s[24:25], s[24:25], s[28:29]
	s_or_b64 exec, exec, s[26:27]
	v_mov_b32_e32 v10, 0
	s_and_saveexec_b64 s[26:27], s[24:25]
	s_cbranch_execnz .LBB294_286
	s_branch .LBB294_287
.LBB294_570:
	v_bfe_u32 v1, v2, 20, 1
	s_mov_b32 s40, 0x487ffff
	v_add3_u32 v1, v2, v1, s40
	s_mov_b64 s[26:27], exec
	v_lshrrev_b32_e32 v1, 20, v1
                                        ; implicit-def: $vgpr2
	s_andn2_saveexec_b64 s[28:29], s[28:29]
	s_cbranch_execz .LBB294_401
.LBB294_571:
	v_add_f32_e32 v1, 0x46000000, v2
	v_and_b32_e32 v1, 0xff, v1
	v_cmp_ne_u32_e32 vcc, 0, v1
	s_andn2_b64 s[26:27], s[26:27], exec
	s_and_b64 s[40:41], vcc, exec
	s_or_b64 s[26:27], s[26:27], s[40:41]
	s_or_b64 exec, exec, s[28:29]
	v_mov_b32_e32 v12, 0
	s_and_saveexec_b64 s[28:29], s[26:27]
	s_cbranch_execnz .LBB294_402
	s_branch .LBB294_403
.LBB294_572:
	v_bfe_u32 v1, v2, 20, 1
	s_mov_b32 s40, 0x487ffff
	v_add3_u32 v1, v2, v1, s40
	s_mov_b64 s[26:27], exec
	v_lshrrev_b32_e32 v1, 20, v1
                                        ; implicit-def: $vgpr2
	s_andn2_saveexec_b64 s[28:29], s[28:29]
	s_cbranch_execz .LBB294_413
.LBB294_573:
	v_add_f32_e32 v1, 0x46000000, v2
	v_and_b32_e32 v1, 0xff, v1
	v_cmp_ne_u32_e32 vcc, 0, v1
	s_andn2_b64 s[26:27], s[26:27], exec
	s_and_b64 s[40:41], vcc, exec
	s_or_b64 s[26:27], s[26:27], s[40:41]
	s_or_b64 exec, exec, s[28:29]
	v_mov_b32_e32 v12, 0
	s_and_saveexec_b64 s[28:29], s[26:27]
	s_cbranch_execnz .LBB294_414
	s_branch .LBB294_415
.LBB294_574:
	v_bfe_u32 v1, v2, 20, 1
	s_mov_b32 s40, 0x487ffff
	v_add3_u32 v1, v2, v1, s40
	s_mov_b64 s[26:27], exec
	v_lshrrev_b32_e32 v1, 20, v1
                                        ; implicit-def: $vgpr2
	s_andn2_saveexec_b64 s[28:29], s[28:29]
	s_cbranch_execz .LBB294_421
.LBB294_575:
	v_add_f32_e32 v1, 0x46000000, v2
	v_and_b32_e32 v1, 0xff, v1
	v_cmp_ne_u32_e32 vcc, 0, v1
	s_andn2_b64 s[26:27], s[26:27], exec
	s_and_b64 s[40:41], vcc, exec
	s_or_b64 s[26:27], s[26:27], s[40:41]
	s_or_b64 exec, exec, s[28:29]
	v_mov_b32_e32 v12, 0
	s_and_saveexec_b64 s[28:29], s[26:27]
	s_cbranch_execnz .LBB294_422
	s_branch .LBB294_423
.LBB294_576:
	v_bfe_u32 v2, v1, 20, 1
	s_mov_b32 s28, 0x487ffff
	v_add3_u32 v2, v1, v2, s28
	s_mov_b64 s[24:25], exec
	v_lshrrev_b32_e32 v2, 20, v2
	s_andn2_saveexec_b64 s[26:27], s[26:27]
	s_cbranch_execz .LBB294_440
.LBB294_577:
	s_mov_b32 s28, 0x46000000
	v_add_f32_e64 v2, |v1|, s28
	v_and_b32_e32 v2, 0xff, v2
	v_cmp_ne_u32_e32 vcc, 0, v2
	s_andn2_b64 s[24:25], s[24:25], exec
	s_and_b64 s[28:29], vcc, exec
	s_or_b64 s[24:25], s[24:25], s[28:29]
	s_or_b64 exec, exec, s[26:27]
	v_mov_b32_e32 v12, 0
	s_and_saveexec_b64 s[26:27], s[24:25]
	s_cbranch_execnz .LBB294_441
	s_branch .LBB294_442
.LBB294_578:
	v_bfe_u32 v2, v3, 20, 1
	s_mov_b32 s28, 0x487ffff
	v_add3_u32 v2, v1, v2, s28
	s_mov_b64 s[24:25], exec
	v_lshrrev_b32_e32 v2, 20, v2
	s_andn2_saveexec_b64 s[26:27], s[26:27]
	s_cbranch_execz .LBB294_448
.LBB294_579:
	s_mov_b32 s28, 0x46000000
	v_add_f32_e64 v2, |v1|, s28
	v_and_b32_e32 v2, 0xff, v2
	v_cmp_ne_u32_e32 vcc, 0, v2
	s_andn2_b64 s[24:25], s[24:25], exec
	s_and_b64 s[28:29], vcc, exec
	s_or_b64 s[24:25], s[24:25], s[28:29]
	s_or_b64 exec, exec, s[26:27]
	v_mov_b32_e32 v12, 0
	s_and_saveexec_b64 s[26:27], s[24:25]
	s_cbranch_execnz .LBB294_449
	s_branch .LBB294_450
.LBB294_580:
	v_bfe_u32 v2, v1, 4, 1
	s_mov_b32 s40, 0x487ffff
	v_add3_u32 v2, v3, v2, s40
	s_mov_b64 s[26:27], exec
	v_lshrrev_b32_e32 v2, 20, v2
                                        ; implicit-def: $vgpr3
	s_andn2_saveexec_b64 s[28:29], s[28:29]
	s_cbranch_execz .LBB294_468
.LBB294_581:
	s_mov_b32 s40, 0x46000000
	v_add_f32_e64 v2, |v3|, s40
	v_and_b32_e32 v2, 0xff, v2
	v_cmp_ne_u32_e32 vcc, 0, v2
	s_andn2_b64 s[26:27], s[26:27], exec
	s_and_b64 s[40:41], vcc, exec
	s_or_b64 s[26:27], s[26:27], s[40:41]
	s_or_b64 exec, exec, s[28:29]
	v_mov_b32_e32 v12, 0
	s_and_saveexec_b64 s[28:29], s[26:27]
	s_cbranch_execnz .LBB294_469
	s_branch .LBB294_470
.LBB294_582:
	v_bfe_u32 v2, v1, 20, 1
	s_mov_b32 s28, 0x487ffff
	v_add3_u32 v2, v1, v2, s28
	s_mov_b64 s[24:25], exec
	v_lshrrev_b32_e32 v2, 20, v2
	s_andn2_saveexec_b64 s[26:27], s[26:27]
	s_cbranch_execz .LBB294_380
.LBB294_583:
	s_mov_b32 s28, 0x46000000
	v_add_f32_e64 v2, |v1|, s28
	v_and_b32_e32 v2, 0xff, v2
	v_cmp_ne_u32_e32 vcc, 0, v2
	s_andn2_b64 s[24:25], s[24:25], exec
	s_and_b64 s[28:29], vcc, exec
	s_or_b64 s[24:25], s[24:25], s[28:29]
	s_or_b64 exec, exec, s[26:27]
	v_mov_b32_e32 v12, 0
	s_and_saveexec_b64 s[26:27], s[24:25]
	s_cbranch_execnz .LBB294_381
	s_branch .LBB294_382
.LBB294_584:
	v_bfe_u32 v1, v2, 20, 1
	s_mov_b32 s42, 0x487ffff
	v_add3_u32 v1, v2, v1, s42
	s_mov_b64 s[28:29], exec
	v_lshrrev_b32_e32 v1, 20, v1
                                        ; implicit-def: $vgpr2
	s_andn2_saveexec_b64 s[40:41], s[40:41]
	s_cbranch_execz .LBB294_390
.LBB294_585:
	v_add_f32_e32 v1, 0x46000000, v2
	v_and_b32_e32 v1, 0xff, v1
	v_cmp_ne_u32_e32 vcc, 0, v1
	s_andn2_b64 s[28:29], s[28:29], exec
	s_and_b64 s[42:43], vcc, exec
	s_or_b64 s[28:29], s[28:29], s[42:43]
	s_or_b64 exec, exec, s[40:41]
	v_mov_b32_e32 v12, 0
	s_and_saveexec_b64 s[40:41], s[28:29]
	s_cbranch_execnz .LBB294_391
	s_branch .LBB294_392
.Lfunc_end294:
	.size	_ZN2at6native6invokeINS0_13BinaryFunctorIN3c1015Float8_e4m3fnuzES4_bNS0_12_GLOBAL__N_116CompareEqFunctorIS4_EEEEi15function_traitsIS8_EEENT1_11result_typeERKT_PrKPcPKT0_PKNS3_10ScalarTypeEi, .Lfunc_end294-_ZN2at6native6invokeINS0_13BinaryFunctorIN3c1015Float8_e4m3fnuzES4_bNS0_12_GLOBAL__N_116CompareEqFunctorIS4_EEEEi15function_traitsIS8_EEENT1_11result_typeERKT_PrKPcPKT0_PKNS3_10ScalarTypeEi
                                        ; -- End function
	.set .L_ZN2at6native6invokeINS0_13BinaryFunctorIN3c1015Float8_e4m3fnuzES4_bNS0_12_GLOBAL__N_116CompareEqFunctorIS4_EEEEi15function_traitsIS8_EEENT1_11result_typeERKT_PrKPcPKT0_PKNS3_10ScalarTypeEi.num_vgpr, 16
	.set .L_ZN2at6native6invokeINS0_13BinaryFunctorIN3c1015Float8_e4m3fnuzES4_bNS0_12_GLOBAL__N_116CompareEqFunctorIS4_EEEEi15function_traitsIS8_EEENT1_11result_typeERKT_PrKPcPKT0_PKNS3_10ScalarTypeEi.num_agpr, 0
	.set .L_ZN2at6native6invokeINS0_13BinaryFunctorIN3c1015Float8_e4m3fnuzES4_bNS0_12_GLOBAL__N_116CompareEqFunctorIS4_EEEEi15function_traitsIS8_EEENT1_11result_typeERKT_PrKPcPKT0_PKNS3_10ScalarTypeEi.numbered_sgpr, 44
	.set .L_ZN2at6native6invokeINS0_13BinaryFunctorIN3c1015Float8_e4m3fnuzES4_bNS0_12_GLOBAL__N_116CompareEqFunctorIS4_EEEEi15function_traitsIS8_EEENT1_11result_typeERKT_PrKPcPKT0_PKNS3_10ScalarTypeEi.num_named_barrier, 0
	.set .L_ZN2at6native6invokeINS0_13BinaryFunctorIN3c1015Float8_e4m3fnuzES4_bNS0_12_GLOBAL__N_116CompareEqFunctorIS4_EEEEi15function_traitsIS8_EEENT1_11result_typeERKT_PrKPcPKT0_PKNS3_10ScalarTypeEi.private_seg_size, 0
	.set .L_ZN2at6native6invokeINS0_13BinaryFunctorIN3c1015Float8_e4m3fnuzES4_bNS0_12_GLOBAL__N_116CompareEqFunctorIS4_EEEEi15function_traitsIS8_EEENT1_11result_typeERKT_PrKPcPKT0_PKNS3_10ScalarTypeEi.uses_vcc, 1
	.set .L_ZN2at6native6invokeINS0_13BinaryFunctorIN3c1015Float8_e4m3fnuzES4_bNS0_12_GLOBAL__N_116CompareEqFunctorIS4_EEEEi15function_traitsIS8_EEENT1_11result_typeERKT_PrKPcPKT0_PKNS3_10ScalarTypeEi.uses_flat_scratch, 0
	.set .L_ZN2at6native6invokeINS0_13BinaryFunctorIN3c1015Float8_e4m3fnuzES4_bNS0_12_GLOBAL__N_116CompareEqFunctorIS4_EEEEi15function_traitsIS8_EEENT1_11result_typeERKT_PrKPcPKT0_PKNS3_10ScalarTypeEi.has_dyn_sized_stack, 0
	.set .L_ZN2at6native6invokeINS0_13BinaryFunctorIN3c1015Float8_e4m3fnuzES4_bNS0_12_GLOBAL__N_116CompareEqFunctorIS4_EEEEi15function_traitsIS8_EEENT1_11result_typeERKT_PrKPcPKT0_PKNS3_10ScalarTypeEi.has_recursion, 0
	.set .L_ZN2at6native6invokeINS0_13BinaryFunctorIN3c1015Float8_e4m3fnuzES4_bNS0_12_GLOBAL__N_116CompareEqFunctorIS4_EEEEi15function_traitsIS8_EEENT1_11result_typeERKT_PrKPcPKT0_PKNS3_10ScalarTypeEi.has_indirect_call, 0
	.section	.AMDGPU.csdata,"",@progbits
; Function info:
; codeLenInByte = 13576
; TotalNumSgprs: 48
; NumVgprs: 16
; ScratchSize: 0
; MemoryBound: 0
	.section	.text._ZN2at6native32elementwise_kernel_manual_unrollILi128ELi4EZNS0_15gpu_kernel_implINS0_13BinaryFunctorIN3c1015Float8_e4m3fnuzES5_bNS0_12_GLOBAL__N_116CompareEqFunctorIS5_EEEEEEvRNS_18TensorIteratorBaseERKT_EUlibE_EEviT1_,"axG",@progbits,_ZN2at6native32elementwise_kernel_manual_unrollILi128ELi4EZNS0_15gpu_kernel_implINS0_13BinaryFunctorIN3c1015Float8_e4m3fnuzES5_bNS0_12_GLOBAL__N_116CompareEqFunctorIS5_EEEEEEvRNS_18TensorIteratorBaseERKT_EUlibE_EEviT1_,comdat
	.globl	_ZN2at6native32elementwise_kernel_manual_unrollILi128ELi4EZNS0_15gpu_kernel_implINS0_13BinaryFunctorIN3c1015Float8_e4m3fnuzES5_bNS0_12_GLOBAL__N_116CompareEqFunctorIS5_EEEEEEvRNS_18TensorIteratorBaseERKT_EUlibE_EEviT1_ ; -- Begin function _ZN2at6native32elementwise_kernel_manual_unrollILi128ELi4EZNS0_15gpu_kernel_implINS0_13BinaryFunctorIN3c1015Float8_e4m3fnuzES5_bNS0_12_GLOBAL__N_116CompareEqFunctorIS5_EEEEEEvRNS_18TensorIteratorBaseERKT_EUlibE_EEviT1_
	.p2align	8
	.type	_ZN2at6native32elementwise_kernel_manual_unrollILi128ELi4EZNS0_15gpu_kernel_implINS0_13BinaryFunctorIN3c1015Float8_e4m3fnuzES5_bNS0_12_GLOBAL__N_116CompareEqFunctorIS5_EEEEEEvRNS_18TensorIteratorBaseERKT_EUlibE_EEviT1_,@function
_ZN2at6native32elementwise_kernel_manual_unrollILi128ELi4EZNS0_15gpu_kernel_implINS0_13BinaryFunctorIN3c1015Float8_e4m3fnuzES5_bNS0_12_GLOBAL__N_116CompareEqFunctorIS5_EEEEEEvRNS_18TensorIteratorBaseERKT_EUlibE_EEviT1_: ; @_ZN2at6native32elementwise_kernel_manual_unrollILi128ELi4EZNS0_15gpu_kernel_implINS0_13BinaryFunctorIN3c1015Float8_e4m3fnuzES5_bNS0_12_GLOBAL__N_116CompareEqFunctorIS5_EEEEEEvRNS_18TensorIteratorBaseERKT_EUlibE_EEviT1_
; %bb.0:
	s_add_u32 flat_scratch_lo, s6, s9
	s_load_dwordx8 s[12:19], s[4:5], 0x8
	s_load_dword s33, s[4:5], 0x0
	s_load_dwordx4 s[20:23], s[4:5], 0x28
	s_addc_u32 flat_scratch_hi, s7, 0
	s_add_u32 s0, s0, s9
	s_addc_u32 s1, s1, 0
	s_waitcnt lgkmcnt(0)
	v_mov_b32_e32 v1, s15
	buffer_store_dword v1, off, s[0:3], 0 offset:12
	v_mov_b32_e32 v1, s14
	buffer_store_dword v1, off, s[0:3], 0 offset:8
	;; [unrolled: 2-line block ×3, first 2 shown]
	v_mov_b32_e32 v1, s12
	buffer_store_dword v1, off, s[0:3], 0
	v_mov_b32_e32 v1, s19
	buffer_store_dword v1, off, s[0:3], 0 offset:28
	v_mov_b32_e32 v1, s18
	buffer_store_dword v1, off, s[0:3], 0 offset:24
	;; [unrolled: 2-line block ×5, first 2 shown]
	v_mov_b32_e32 v1, s22
	v_lshl_or_b32 v7, s8, 9, v0
	buffer_store_dword v1, off, s[0:3], 0 offset:40
	v_mov_b32_e32 v1, s21
	v_or_b32_e32 v0, 0x180, v7
	buffer_store_dword v1, off, s[0:3], 0 offset:36
	v_mov_b32_e32 v1, s20
	v_cmp_le_i32_e32 vcc, s33, v0
	s_mov_b64 s[38:39], 0
	s_mov_b64 s[34:35], 0
	s_movk_i32 s32, 0x1000
	buffer_store_dword v1, off, s[0:3], 0 offset:32
	s_and_saveexec_b64 s[4:5], vcc
	s_xor_b64 s[36:37], exec, s[4:5]
	s_cbranch_execz .LBB295_394
; %bb.1:
	buffer_load_dword v18, off, s[0:3], 0
	buffer_load_dword v19, off, s[0:3], 0 offset:4
	buffer_load_dword v20, off, s[0:3], 0 offset:24
	;; [unrolled: 1-line block ×3, first 2 shown]
	buffer_load_ubyte v17, off, s[0:3], 0 offset:40
	s_mov_b64 s[4:5], src_private_base
	s_add_u32 s56, 0, 8
	s_addc_u32 s57, s5, 0
	s_add_u32 s58, 0, 28
	s_addc_u32 s59, s5, 0
	;; [unrolled: 2-line block ×3, first 2 shown]
	v_cmp_gt_i32_e32 vcc, s33, v7
	s_mov_b64 s[4:5], -1
	s_mov_b64 s[48:49], 0
	s_and_saveexec_b64 s[44:45], vcc
	s_cbranch_execz .LBB295_87
; %bb.2:
	s_getpc_b64 s[4:5]
	s_add_u32 s4, s4, _ZN2at6native6invokeINS0_13BinaryFunctorIN3c1015Float8_e4m3fnuzES4_bNS0_12_GLOBAL__N_116CompareEqFunctorIS4_EEEEi15function_traitsIS8_EEENT1_11result_typeERKT_PrKPcPKT0_PKNS3_10ScalarTypeEi@rel32@lo+4
	s_addc_u32 s5, s5, _ZN2at6native6invokeINS0_13BinaryFunctorIN3c1015Float8_e4m3fnuzES4_bNS0_12_GLOBAL__N_116CompareEqFunctorIS4_EEEEi15function_traitsIS8_EEENT1_11result_typeERKT_PrKPcPKT0_PKNS3_10ScalarTypeEi@rel32@hi+12
	s_waitcnt vmcnt(1)
	v_mov_b32_e32 v0, v16
	v_mov_b32_e32 v1, s56
	;; [unrolled: 1-line block ×7, first 2 shown]
	s_swappc_b64 s[30:31], s[4:5]
	v_and_b32_e32 v0, 1, v0
	v_cmp_eq_u32_e32 vcc, 1, v0
	v_mul_lo_u32 v0, v20, v7
	v_mov_b32_e32 v2, 10
	v_cmp_gt_i16_sdwa s[8:9], v17, v2 src0_sel:BYTE_0 src1_sel:DWORD
	s_mov_b64 s[6:7], 0
	v_ashrrev_i32_e32 v1, 31, v0
	v_add_co_u32_e64 v0, s[4:5], v18, v0
	v_addc_co_u32_e64 v1, s[4:5], v19, v1, s[4:5]
	s_mov_b64 s[4:5], 0
	s_and_saveexec_b64 s[10:11], s[8:9]
	s_xor_b64 s[8:9], exec, s[10:11]
	s_cbranch_execz .LBB295_1892
; %bb.3:
	v_mov_b32_e32 v2, 25
	v_cmp_gt_i16_sdwa s[4:5], v17, v2 src0_sel:BYTE_0 src1_sel:DWORD
	s_mov_b64 s[10:11], 0
	s_and_saveexec_b64 s[12:13], s[4:5]
	s_xor_b64 s[12:13], exec, s[12:13]
	s_cbranch_execz .LBB295_39
; %bb.4:
	v_mov_b32_e32 v2, 28
	v_cmp_gt_i16_sdwa s[4:5], v17, v2 src0_sel:BYTE_0 src1_sel:DWORD
	;; [unrolled: 7-line block ×4, first 2 shown]
	s_mov_b64 s[16:17], 0
	s_mov_b64 s[18:19], 0
	s_and_saveexec_b64 s[6:7], s[4:5]
	s_xor_b64 s[4:5], exec, s[6:7]
	s_cbranch_execz .LBB295_10
; %bb.7:
	v_mov_b32_e32 v2, 46
	v_cmp_eq_u16_sdwa s[20:21], v17, v2 src0_sel:BYTE_0 src1_sel:DWORD
	s_mov_b64 s[6:7], 0
	s_mov_b64 s[18:19], -1
	s_and_saveexec_b64 s[16:17], s[20:21]
	s_cbranch_execz .LBB295_9
; %bb.8:
	v_cndmask_b32_e64 v2, 0, 1.0, vcc
	v_bfe_u32 v3, v2, 16, 1
	s_movk_i32 s18, 0x7fff
	v_add3_u32 v2, v2, v3, s18
	v_lshrrev_b32_e32 v2, 16, v2
	s_mov_b64 s[6:7], exec
	flat_store_dword v[0:1], v2
	s_xor_b64 s[18:19], exec, -1
.LBB295_9:
	s_or_b64 exec, exec, s[16:17]
	s_and_b64 s[18:19], s[18:19], exec
	s_and_b64 s[16:17], s[6:7], exec
                                        ; implicit-def: $vgpr0_vgpr1
.LBB295_10:
	s_andn2_saveexec_b64 s[20:21], s[4:5]
	s_cbranch_execz .LBB295_16
; %bb.11:
	v_mov_b32_e32 v2, 44
	v_cmp_eq_u16_sdwa s[24:25], v17, v2 src0_sel:BYTE_0 src1_sel:DWORD
	s_mov_b64 s[6:7], -1
	s_mov_b64 s[4:5], s[16:17]
	s_and_saveexec_b64 s[22:23], s[24:25]
	s_cbranch_execz .LBB295_15
; %bb.12:
	v_cndmask_b32_e64 v3, 0, 1.0, vcc
	v_lshrrev_b32_e32 v2, 23, v3
	s_movk_i32 s4, 0xff
	v_cmp_ne_u32_e64 s[4:5], s4, v2
	v_mov_b32_e32 v4, 0xff
	s_and_saveexec_b64 s[24:25], s[4:5]
; %bb.13:
	s_mov_b32 s6, 0x3fffff
	v_and_b32_e32 v4, 0x400000, v3
	v_and_or_b32 v3, v3, s6, v2
	v_cmp_ne_u32_e64 s[4:5], 0, v4
	v_cmp_ne_u32_e64 s[6:7], 0, v3
	s_and_b64 s[4:5], s[4:5], s[6:7]
	v_cndmask_b32_e64 v3, 0, 1, s[4:5]
	v_add_u32_e32 v4, v2, v3
; %bb.14:
	s_or_b64 exec, exec, s[24:25]
	s_xor_b64 s[6:7], exec, -1
	s_or_b64 s[4:5], s[16:17], exec
	flat_store_byte v[0:1], v4
.LBB295_15:
	s_or_b64 exec, exec, s[22:23]
	s_andn2_b64 s[18:19], s[18:19], exec
	s_and_b64 s[6:7], s[6:7], exec
	s_or_b64 s[18:19], s[18:19], s[6:7]
	s_andn2_b64 s[6:7], s[16:17], exec
	s_and_b64 s[4:5], s[4:5], exec
	s_or_b64 s[16:17], s[6:7], s[4:5]
.LBB295_16:
	s_or_b64 exec, exec, s[20:21]
	s_and_b64 s[6:7], s[18:19], exec
	s_and_b64 s[4:5], s[16:17], exec
                                        ; implicit-def: $vgpr0_vgpr1
.LBB295_17:
	s_andn2_saveexec_b64 s[14:15], s[14:15]
	s_cbranch_execz .LBB295_21
; %bb.18:
	v_mov_b32_e32 v2, 29
	v_cmp_eq_u16_sdwa s[22:23], v17, v2 src0_sel:BYTE_0 src1_sel:DWORD
	s_mov_b64 s[18:19], -1
	s_mov_b64 s[16:17], s[4:5]
	s_and_saveexec_b64 s[20:21], s[22:23]
	s_cbranch_execz .LBB295_20
; %bb.19:
	s_mov_b32 s16, 0
	v_cndmask_b32_e64 v2, 0, 1, vcc
	v_mov_b32_e32 v3, s16
	flat_store_dwordx2 v[0:1], v[2:3]
	s_xor_b64 s[18:19], exec, -1
	s_or_b64 s[16:17], s[4:5], exec
.LBB295_20:
	s_or_b64 exec, exec, s[20:21]
	s_andn2_b64 s[6:7], s[6:7], exec
	s_and_b64 s[18:19], s[18:19], exec
	s_andn2_b64 s[4:5], s[4:5], exec
	s_and_b64 s[16:17], s[16:17], exec
	s_or_b64 s[6:7], s[6:7], s[18:19]
	s_or_b64 s[4:5], s[4:5], s[16:17]
.LBB295_21:
	s_or_b64 exec, exec, s[14:15]
	s_and_b64 s[14:15], s[6:7], exec
	s_and_b64 s[6:7], s[4:5], exec
                                        ; implicit-def: $vgpr0_vgpr1
.LBB295_22:
	s_andn2_saveexec_b64 s[10:11], s[10:11]
	s_cbranch_execz .LBB295_38
; %bb.23:
	v_mov_b32_e32 v2, 26
	v_cmp_gt_i16_sdwa s[4:5], v17, v2 src0_sel:BYTE_0 src1_sel:DWORD
	s_and_saveexec_b64 s[16:17], s[4:5]
	s_xor_b64 s[4:5], exec, s[16:17]
	s_cbranch_execz .LBB295_29
; %bb.24:
	v_mov_b32_e32 v2, 27
	v_cmp_gt_i16_sdwa s[16:17], v17, v2 src0_sel:BYTE_0 src1_sel:DWORD
	s_and_saveexec_b64 s[18:19], s[16:17]
	s_xor_b64 s[16:17], exec, s[18:19]
	s_cbranch_execz .LBB295_26
; %bb.25:
	v_cndmask_b32_e64 v2, 0, 1, vcc
	flat_store_dword v[0:1], v2
                                        ; implicit-def: $vgpr0_vgpr1
.LBB295_26:
	s_andn2_saveexec_b64 s[16:17], s[16:17]
	s_cbranch_execz .LBB295_28
; %bb.27:
	v_cndmask_b32_e64 v2, 0, 1, vcc
	flat_store_short v[0:1], v2
.LBB295_28:
	s_or_b64 exec, exec, s[16:17]
                                        ; implicit-def: $vgpr0_vgpr1
.LBB295_29:
	s_andn2_saveexec_b64 s[16:17], s[4:5]
	s_cbranch_execz .LBB295_37
; %bb.30:
	v_cndmask_b32_e64 v3, 0, 1.0, vcc
	s_mov_b32 s4, 0x43800000
	v_cmp_gt_u32_e64 s[4:5], s4, v3
	v_mov_b32_e32 v4, 0x80
	s_and_saveexec_b64 s[18:19], s[4:5]
	s_cbranch_execz .LBB295_36
; %bb.31:
	s_mov_b32 s4, 0x3bffffff
	v_cmp_lt_u32_e64 s[4:5], s4, v3
	s_mov_b64 s[20:21], 0
                                        ; implicit-def: $vgpr2
	s_and_saveexec_b64 s[22:23], s[4:5]
	s_xor_b64 s[4:5], exec, s[22:23]
	s_cbranch_execz .LBB295_2309
; %bb.32:
	v_bfe_u32 v2, v3, 20, 1
	s_mov_b32 s22, 0x487ffff
	v_add3_u32 v2, v3, v2, s22
	s_mov_b64 s[20:21], exec
	v_lshrrev_b32_e32 v2, 20, v2
                                        ; implicit-def: $vgpr3
	s_andn2_saveexec_b64 s[22:23], s[4:5]
	s_cbranch_execnz .LBB295_2310
.LBB295_33:
	s_or_b64 exec, exec, s[22:23]
	v_mov_b32_e32 v4, 0
	s_and_saveexec_b64 s[4:5], s[20:21]
.LBB295_34:
	v_mov_b32_e32 v4, v2
.LBB295_35:
	s_or_b64 exec, exec, s[4:5]
.LBB295_36:
	s_or_b64 exec, exec, s[18:19]
	flat_store_byte v[0:1], v4
.LBB295_37:
	s_or_b64 exec, exec, s[16:17]
	s_or_b64 s[6:7], s[6:7], exec
.LBB295_38:
	s_or_b64 exec, exec, s[10:11]
	s_and_b64 s[10:11], s[14:15], exec
	s_and_b64 s[6:7], s[6:7], exec
                                        ; implicit-def: $vgpr0_vgpr1
.LBB295_39:
	s_andn2_saveexec_b64 s[12:13], s[12:13]
	s_cbranch_execz .LBB295_83
; %bb.40:
	v_mov_b32_e32 v2, 22
	v_cmp_gt_i16_sdwa s[14:15], v17, v2 src0_sel:BYTE_0 src1_sel:DWORD
	s_mov_b64 s[4:5], s[6:7]
	s_and_saveexec_b64 s[16:17], s[14:15]
	s_xor_b64 s[14:15], exec, s[16:17]
	s_cbranch_execz .LBB295_72
; %bb.41:
	v_mov_b32_e32 v2, 23
	v_cmp_gt_i16_sdwa s[4:5], v17, v2 src0_sel:BYTE_0 src1_sel:DWORD
	s_and_saveexec_b64 s[16:17], s[4:5]
	s_xor_b64 s[16:17], exec, s[16:17]
	s_cbranch_execz .LBB295_61
; %bb.42:
	v_mov_b32_e32 v2, 24
	v_cmp_gt_i16_sdwa s[4:5], v17, v2 src0_sel:BYTE_0 src1_sel:DWORD
	s_and_saveexec_b64 s[18:19], s[4:5]
	s_xor_b64 s[18:19], exec, s[18:19]
	s_cbranch_execz .LBB295_50
; %bb.43:
	v_cndmask_b32_e64 v3, 0, 1.0, vcc
	s_mov_b32 s4, 0x47800000
	v_cmp_gt_u32_e64 s[4:5], s4, v3
	v_mov_b32_e32 v4, 0x80
	s_and_saveexec_b64 s[20:21], s[4:5]
	s_cbranch_execz .LBB295_49
; %bb.44:
	s_mov_b32 s4, 0x37ffffff
	v_cmp_lt_u32_e64 s[4:5], s4, v3
	s_mov_b64 s[22:23], 0
                                        ; implicit-def: $vgpr2
	s_and_saveexec_b64 s[24:25], s[4:5]
	s_xor_b64 s[4:5], exec, s[24:25]
	s_cbranch_execz .LBB295_2402
; %bb.45:
	v_bfe_u32 v2, v3, 21, 1
	s_mov_b32 s24, 0x88fffff
	v_add3_u32 v2, v3, v2, s24
	s_mov_b64 s[22:23], exec
	v_lshrrev_b32_e32 v2, 21, v2
                                        ; implicit-def: $vgpr3
	s_andn2_saveexec_b64 s[24:25], s[4:5]
	s_cbranch_execnz .LBB295_2403
.LBB295_46:
	s_or_b64 exec, exec, s[24:25]
	v_mov_b32_e32 v4, 0
	s_and_saveexec_b64 s[4:5], s[22:23]
.LBB295_47:
	v_mov_b32_e32 v4, v2
.LBB295_48:
	s_or_b64 exec, exec, s[4:5]
.LBB295_49:
	s_or_b64 exec, exec, s[20:21]
	flat_store_byte v[0:1], v4
                                        ; implicit-def: $vgpr0_vgpr1
.LBB295_50:
	s_andn2_saveexec_b64 s[18:19], s[18:19]
	s_cbranch_execz .LBB295_60
; %bb.51:
	v_cndmask_b32_e64 v2, 0, 1.0, vcc
	s_mov_b32 s4, 0x43f00000
	v_cmp_gt_u32_e64 s[4:5], s4, v2
                                        ; implicit-def: $vgpr3
	s_and_saveexec_b64 s[20:21], s[4:5]
	s_xor_b64 s[20:21], exec, s[20:21]
	s_cbranch_execz .LBB295_57
; %bb.52:
	s_mov_b32 s4, 0x3c7fffff
	v_cmp_lt_u32_e64 s[4:5], s4, v2
                                        ; implicit-def: $vgpr3
	s_and_saveexec_b64 s[22:23], s[4:5]
	s_xor_b64 s[22:23], exec, s[22:23]
; %bb.53:
	v_bfe_u32 v3, v2, 20, 1
	s_mov_b32 s4, 0x407ffff
	v_add3_u32 v2, v2, v3, s4
	v_lshrrev_b32_e32 v3, 20, v2
	v_and_b32_e32 v2, 0xff00000, v2
	s_mov_b32 s4, 0x7f00000
	v_mov_b32_e32 v4, 0x7e
	v_cmp_ne_u32_e64 s[4:5], s4, v2
	v_cndmask_b32_e64 v3, v4, v3, s[4:5]
                                        ; implicit-def: $vgpr2
; %bb.54:
	s_andn2_saveexec_b64 s[4:5], s[22:23]
; %bb.55:
	v_add_f32_e32 v3, 0x46800000, v2
; %bb.56:
	s_or_b64 exec, exec, s[4:5]
                                        ; implicit-def: $vgpr2
.LBB295_57:
	s_andn2_saveexec_b64 s[20:21], s[20:21]
; %bb.58:
	s_mov_b32 s4, 0x7f800000
	v_mov_b32_e32 v3, 0x7e
	v_mov_b32_e32 v4, 0x7f
	v_cmp_lt_u32_e64 s[4:5], s4, v2
	v_cndmask_b32_e64 v3, v3, v4, s[4:5]
; %bb.59:
	s_or_b64 exec, exec, s[20:21]
	flat_store_byte v[0:1], v3
.LBB295_60:
	s_or_b64 exec, exec, s[18:19]
                                        ; implicit-def: $vgpr0_vgpr1
.LBB295_61:
	s_andn2_saveexec_b64 s[16:17], s[16:17]
	s_cbranch_execz .LBB295_71
; %bb.62:
	v_cndmask_b32_e64 v2, 0, 1.0, vcc
	s_mov_b32 s4, 0x47800000
	v_cmp_gt_u32_e64 s[4:5], s4, v2
                                        ; implicit-def: $vgpr3
	s_and_saveexec_b64 s[18:19], s[4:5]
	s_xor_b64 s[18:19], exec, s[18:19]
	s_cbranch_execz .LBB295_68
; %bb.63:
	s_mov_b32 s4, 0x387fffff
	v_cmp_lt_u32_e64 s[4:5], s4, v2
                                        ; implicit-def: $vgpr3
	s_and_saveexec_b64 s[20:21], s[4:5]
	s_xor_b64 s[4:5], exec, s[20:21]
; %bb.64:
	v_bfe_u32 v3, v2, 21, 1
	s_mov_b32 s20, 0x80fffff
	v_add3_u32 v2, v2, v3, s20
	v_lshrrev_b32_e32 v3, 21, v2
                                        ; implicit-def: $vgpr2
; %bb.65:
	s_andn2_saveexec_b64 s[4:5], s[4:5]
; %bb.66:
	v_add_f32_e32 v3, 0x43000000, v2
; %bb.67:
	s_or_b64 exec, exec, s[4:5]
                                        ; implicit-def: $vgpr2
.LBB295_68:
	s_andn2_saveexec_b64 s[18:19], s[18:19]
; %bb.69:
	s_mov_b32 s4, 0x7f800000
	v_mov_b32_e32 v3, 0x7c
	v_mov_b32_e32 v4, 0x7f
	v_cmp_lt_u32_e64 s[4:5], s4, v2
	v_cndmask_b32_e64 v3, v3, v4, s[4:5]
; %bb.70:
	s_or_b64 exec, exec, s[18:19]
	flat_store_byte v[0:1], v3
.LBB295_71:
	s_or_b64 exec, exec, s[16:17]
	s_or_b64 s[4:5], s[6:7], exec
                                        ; implicit-def: $vgpr0_vgpr1
.LBB295_72:
	s_or_saveexec_b64 s[14:15], s[14:15]
	s_mov_b64 s[18:19], s[10:11]
	s_xor_b64 exec, exec, s[14:15]
	s_cbranch_execz .LBB295_82
; %bb.73:
	v_mov_b32_e32 v2, 14
	v_cmp_gt_i16_sdwa s[20:21], v17, v2 src0_sel:BYTE_0 src1_sel:DWORD
	s_mov_b64 s[16:17], s[4:5]
	s_mov_b64 s[18:19], s[10:11]
	s_and_saveexec_b64 s[22:23], s[20:21]
	s_xor_b64 s[20:21], exec, s[22:23]
	s_cbranch_execz .LBB295_77
; %bb.74:
	v_mov_b32_e32 v2, 15
	v_cmp_eq_u16_sdwa s[24:25], v17, v2 src0_sel:BYTE_0 src1_sel:DWORD
	s_mov_b64 s[18:19], -1
	s_mov_b64 s[16:17], s[4:5]
	s_and_saveexec_b64 s[22:23], s[24:25]
	s_cbranch_execz .LBB295_76
; %bb.75:
	v_cndmask_b32_e64 v2, 0, 1.0, vcc
	v_bfe_u32 v3, v2, 16, 1
	s_movk_i32 s16, 0x7fff
	v_add3_u32 v2, v2, v3, s16
	flat_store_short_d16_hi v[0:1], v2
	s_xor_b64 s[18:19], exec, -1
	s_or_b64 s[16:17], s[4:5], exec
.LBB295_76:
	s_or_b64 exec, exec, s[22:23]
	s_andn2_b64 s[22:23], s[10:11], exec
	s_and_b64 s[18:19], s[18:19], exec
	s_or_b64 s[18:19], s[22:23], s[18:19]
	s_andn2_b64 s[22:23], s[4:5], exec
	s_and_b64 s[16:17], s[16:17], exec
	s_or_b64 s[16:17], s[22:23], s[16:17]
                                        ; implicit-def: $vgpr0_vgpr1
.LBB295_77:
	s_andn2_saveexec_b64 s[20:21], s[20:21]
	s_cbranch_execz .LBB295_81
; %bb.78:
	v_mov_b32_e32 v2, 11
	v_cmp_eq_u16_sdwa s[28:29], v17, v2 src0_sel:BYTE_0 src1_sel:DWORD
	s_mov_b64 s[24:25], -1
	s_mov_b64 s[22:23], s[16:17]
	s_and_saveexec_b64 s[26:27], s[28:29]
	s_cbranch_execz .LBB295_80
; %bb.79:
	v_cndmask_b32_e64 v2, 0, 1, vcc
	flat_store_byte v[0:1], v2
	s_xor_b64 s[24:25], exec, -1
	s_or_b64 s[22:23], s[16:17], exec
.LBB295_80:
	s_or_b64 exec, exec, s[26:27]
	s_andn2_b64 s[18:19], s[18:19], exec
	s_and_b64 s[24:25], s[24:25], exec
	s_andn2_b64 s[16:17], s[16:17], exec
	s_and_b64 s[22:23], s[22:23], exec
	s_or_b64 s[18:19], s[18:19], s[24:25]
	s_or_b64 s[16:17], s[16:17], s[22:23]
.LBB295_81:
	s_or_b64 exec, exec, s[20:21]
	s_andn2_b64 s[20:21], s[10:11], exec
	s_and_b64 s[18:19], s[18:19], exec
	s_andn2_b64 s[4:5], s[4:5], exec
	s_and_b64 s[16:17], s[16:17], exec
	s_or_b64 s[18:19], s[20:21], s[18:19]
	s_or_b64 s[4:5], s[4:5], s[16:17]
.LBB295_82:
	s_or_b64 exec, exec, s[14:15]
	s_andn2_b64 s[10:11], s[10:11], exec
	s_and_b64 s[14:15], s[18:19], exec
	s_andn2_b64 s[6:7], s[6:7], exec
	s_and_b64 s[4:5], s[4:5], exec
	s_or_b64 s[10:11], s[10:11], s[14:15]
	s_or_b64 s[6:7], s[6:7], s[4:5]
.LBB295_83:
	s_or_b64 exec, exec, s[12:13]
	s_and_b64 s[4:5], s[10:11], exec
	s_and_b64 s[6:7], s[6:7], exec
                                        ; implicit-def: $vgpr0_vgpr1
	s_andn2_saveexec_b64 s[8:9], s[8:9]
	s_cbranch_execnz .LBB295_1893
.LBB295_84:
	s_or_b64 exec, exec, s[8:9]
	s_mov_b64 s[8:9], 0
	s_and_saveexec_b64 s[10:11], s[6:7]
.LBB295_85:
	s_mov_b64 s[8:9], exec
	v_add_u32_e32 v7, 0x80, v7
.LBB295_86:
	s_or_b64 exec, exec, s[10:11]
	s_and_b64 s[34:35], s[4:5], exec
	s_orn2_b64 s[4:5], s[8:9], exec
.LBB295_87:
	s_or_b64 exec, exec, s[44:45]
	s_mov_b64 s[8:9], 0
                                        ; implicit-def: $sgpr6_sgpr7
                                        ; implicit-def: $vgpr2
                                        ; implicit-def: $vgpr0_vgpr1
	s_and_saveexec_b64 s[44:45], s[4:5]
	s_cbranch_execz .LBB295_349
; %bb.88:
	v_cmp_gt_i32_e32 vcc, s33, v7
	s_mov_b64 s[10:11], -1
	s_mov_b64 s[46:47], s[34:35]
	s_and_saveexec_b64 s[48:49], vcc
	s_cbranch_execz .LBB295_174
; %bb.89:
	s_getpc_b64 s[4:5]
	s_add_u32 s4, s4, _ZN2at6native6invokeINS0_13BinaryFunctorIN3c1015Float8_e4m3fnuzES4_bNS0_12_GLOBAL__N_116CompareEqFunctorIS4_EEEEi15function_traitsIS8_EEENT1_11result_typeERKT_PrKPcPKT0_PKNS3_10ScalarTypeEi@rel32@lo+4
	s_addc_u32 s5, s5, _ZN2at6native6invokeINS0_13BinaryFunctorIN3c1015Float8_e4m3fnuzES4_bNS0_12_GLOBAL__N_116CompareEqFunctorIS4_EEEEi15function_traitsIS8_EEENT1_11result_typeERKT_PrKPcPKT0_PKNS3_10ScalarTypeEi@rel32@hi+12
	s_waitcnt vmcnt(0)
	v_mov_b32_e32 v0, v16
	v_mov_b32_e32 v1, s56
	;; [unrolled: 1-line block ×7, first 2 shown]
	s_swappc_b64 s[30:31], s[4:5]
	v_and_b32_e32 v0, 1, v0
	v_cmp_eq_u32_e32 vcc, 1, v0
	v_mul_lo_u32 v0, v20, v7
	v_mov_b32_e32 v2, 10
	v_cmp_gt_i16_sdwa s[8:9], v17, v2 src0_sel:BYTE_0 src1_sel:DWORD
	s_mov_b64 s[6:7], 0
	v_ashrrev_i32_e32 v1, 31, v0
	v_add_co_u32_e64 v0, s[4:5], v18, v0
	v_addc_co_u32_e64 v1, s[4:5], v19, v1, s[4:5]
	s_mov_b64 s[4:5], s[34:35]
	s_and_saveexec_b64 s[10:11], s[8:9]
	s_xor_b64 s[8:9], exec, s[10:11]
	s_cbranch_execz .LBB295_1985
; %bb.90:
	v_mov_b32_e32 v2, 25
	v_cmp_gt_i16_sdwa s[4:5], v17, v2 src0_sel:BYTE_0 src1_sel:DWORD
	s_mov_b64 s[10:11], s[34:35]
	s_and_saveexec_b64 s[12:13], s[4:5]
	s_xor_b64 s[12:13], exec, s[12:13]
	s_cbranch_execz .LBB295_126
; %bb.91:
	v_mov_b32_e32 v2, 28
	v_cmp_gt_i16_sdwa s[4:5], v17, v2 src0_sel:BYTE_0 src1_sel:DWORD
	;; [unrolled: 7-line block ×3, first 2 shown]
	s_mov_b64 s[4:5], 0
	s_mov_b64 s[6:7], s[34:35]
	s_and_saveexec_b64 s[16:17], s[14:15]
	s_xor_b64 s[14:15], exec, s[16:17]
	s_cbranch_execz .LBB295_104
; %bb.93:
	v_mov_b32_e32 v2, 45
	v_cmp_gt_i16_sdwa s[4:5], v17, v2 src0_sel:BYTE_0 src1_sel:DWORD
	s_mov_b64 s[16:17], 0
	s_mov_b64 s[18:19], s[34:35]
	s_and_saveexec_b64 s[6:7], s[4:5]
	s_xor_b64 s[4:5], exec, s[6:7]
	s_cbranch_execz .LBB295_97
; %bb.94:
	v_mov_b32_e32 v2, 46
	v_cmp_eq_u16_sdwa s[20:21], v17, v2 src0_sel:BYTE_0 src1_sel:DWORD
	s_mov_b64 s[6:7], 0
	s_mov_b64 s[18:19], -1
	s_and_saveexec_b64 s[16:17], s[20:21]
	s_cbranch_execz .LBB295_96
; %bb.95:
	v_cndmask_b32_e64 v2, 0, 1.0, vcc
	v_bfe_u32 v3, v2, 16, 1
	s_movk_i32 s18, 0x7fff
	v_add3_u32 v2, v2, v3, s18
	v_lshrrev_b32_e32 v2, 16, v2
	s_mov_b64 s[6:7], exec
	flat_store_dword v[0:1], v2
	s_xor_b64 s[18:19], exec, -1
.LBB295_96:
	s_or_b64 exec, exec, s[16:17]
	s_andn2_b64 s[16:17], s[34:35], exec
	s_and_b64 s[18:19], s[18:19], exec
	s_or_b64 s[18:19], s[16:17], s[18:19]
	s_and_b64 s[16:17], s[6:7], exec
                                        ; implicit-def: $vgpr0_vgpr1
.LBB295_97:
	s_andn2_saveexec_b64 s[20:21], s[4:5]
	s_cbranch_execz .LBB295_103
; %bb.98:
	v_mov_b32_e32 v2, 44
	v_cmp_eq_u16_sdwa s[24:25], v17, v2 src0_sel:BYTE_0 src1_sel:DWORD
	s_mov_b64 s[6:7], -1
	s_mov_b64 s[4:5], s[16:17]
	s_and_saveexec_b64 s[22:23], s[24:25]
	s_cbranch_execz .LBB295_102
; %bb.99:
	v_cndmask_b32_e64 v3, 0, 1.0, vcc
	v_lshrrev_b32_e32 v2, 23, v3
	s_movk_i32 s4, 0xff
	v_cmp_ne_u32_e64 s[4:5], s4, v2
	v_mov_b32_e32 v4, 0xff
	s_and_saveexec_b64 s[24:25], s[4:5]
; %bb.100:
	s_mov_b32 s6, 0x3fffff
	v_and_b32_e32 v4, 0x400000, v3
	v_and_or_b32 v3, v3, s6, v2
	v_cmp_ne_u32_e64 s[4:5], 0, v4
	v_cmp_ne_u32_e64 s[6:7], 0, v3
	s_and_b64 s[4:5], s[4:5], s[6:7]
	v_cndmask_b32_e64 v3, 0, 1, s[4:5]
	v_add_u32_e32 v4, v2, v3
; %bb.101:
	s_or_b64 exec, exec, s[24:25]
	s_xor_b64 s[6:7], exec, -1
	s_or_b64 s[4:5], s[16:17], exec
	flat_store_byte v[0:1], v4
.LBB295_102:
	s_or_b64 exec, exec, s[22:23]
	s_andn2_b64 s[18:19], s[18:19], exec
	s_and_b64 s[6:7], s[6:7], exec
	s_or_b64 s[18:19], s[18:19], s[6:7]
	s_andn2_b64 s[6:7], s[16:17], exec
	s_and_b64 s[4:5], s[4:5], exec
	s_or_b64 s[16:17], s[6:7], s[4:5]
.LBB295_103:
	s_or_b64 exec, exec, s[20:21]
	s_andn2_b64 s[4:5], s[34:35], exec
	s_and_b64 s[6:7], s[18:19], exec
	s_or_b64 s[6:7], s[4:5], s[6:7]
	s_and_b64 s[4:5], s[16:17], exec
                                        ; implicit-def: $vgpr0_vgpr1
.LBB295_104:
	s_andn2_saveexec_b64 s[14:15], s[14:15]
	s_cbranch_execz .LBB295_108
; %bb.105:
	v_mov_b32_e32 v2, 29
	v_cmp_eq_u16_sdwa s[22:23], v17, v2 src0_sel:BYTE_0 src1_sel:DWORD
	s_mov_b64 s[18:19], -1
	s_mov_b64 s[16:17], s[4:5]
	s_and_saveexec_b64 s[20:21], s[22:23]
	s_cbranch_execz .LBB295_107
; %bb.106:
	s_mov_b32 s16, 0
	v_cndmask_b32_e64 v2, 0, 1, vcc
	v_mov_b32_e32 v3, s16
	flat_store_dwordx2 v[0:1], v[2:3]
	s_xor_b64 s[18:19], exec, -1
	s_or_b64 s[16:17], s[4:5], exec
.LBB295_107:
	s_or_b64 exec, exec, s[20:21]
	s_andn2_b64 s[6:7], s[6:7], exec
	s_and_b64 s[18:19], s[18:19], exec
	s_andn2_b64 s[4:5], s[4:5], exec
	s_and_b64 s[16:17], s[16:17], exec
	s_or_b64 s[6:7], s[6:7], s[18:19]
	s_or_b64 s[4:5], s[4:5], s[16:17]
.LBB295_108:
	s_or_b64 exec, exec, s[14:15]
	s_andn2_b64 s[14:15], s[34:35], exec
	s_and_b64 s[6:7], s[6:7], exec
	s_or_b64 s[14:15], s[14:15], s[6:7]
	s_and_b64 s[6:7], s[4:5], exec
                                        ; implicit-def: $vgpr0_vgpr1
.LBB295_109:
	s_andn2_saveexec_b64 s[10:11], s[10:11]
	s_cbranch_execz .LBB295_125
; %bb.110:
	v_mov_b32_e32 v2, 26
	v_cmp_gt_i16_sdwa s[4:5], v17, v2 src0_sel:BYTE_0 src1_sel:DWORD
	s_and_saveexec_b64 s[16:17], s[4:5]
	s_xor_b64 s[4:5], exec, s[16:17]
	s_cbranch_execz .LBB295_116
; %bb.111:
	v_mov_b32_e32 v2, 27
	v_cmp_gt_i16_sdwa s[16:17], v17, v2 src0_sel:BYTE_0 src1_sel:DWORD
	s_and_saveexec_b64 s[18:19], s[16:17]
	s_xor_b64 s[16:17], exec, s[18:19]
	s_cbranch_execz .LBB295_113
; %bb.112:
	v_cndmask_b32_e64 v2, 0, 1, vcc
	flat_store_dword v[0:1], v2
                                        ; implicit-def: $vgpr0_vgpr1
.LBB295_113:
	s_andn2_saveexec_b64 s[16:17], s[16:17]
	s_cbranch_execz .LBB295_115
; %bb.114:
	v_cndmask_b32_e64 v2, 0, 1, vcc
	flat_store_short v[0:1], v2
.LBB295_115:
	s_or_b64 exec, exec, s[16:17]
                                        ; implicit-def: $vgpr0_vgpr1
.LBB295_116:
	s_andn2_saveexec_b64 s[16:17], s[4:5]
	s_cbranch_execz .LBB295_124
; %bb.117:
	v_cndmask_b32_e64 v3, 0, 1.0, vcc
	s_mov_b32 s4, 0x43800000
	v_cmp_gt_u32_e64 s[4:5], s4, v3
	v_mov_b32_e32 v4, 0x80
	s_and_saveexec_b64 s[18:19], s[4:5]
	s_cbranch_execz .LBB295_123
; %bb.118:
	s_mov_b32 s4, 0x3bffffff
	v_cmp_lt_u32_e64 s[4:5], s4, v3
	s_mov_b64 s[20:21], 0
                                        ; implicit-def: $vgpr2
	s_and_saveexec_b64 s[22:23], s[4:5]
	s_xor_b64 s[4:5], exec, s[22:23]
	s_cbranch_execz .LBB295_2404
; %bb.119:
	v_bfe_u32 v2, v3, 20, 1
	s_mov_b32 s22, 0x487ffff
	v_add3_u32 v2, v3, v2, s22
	s_mov_b64 s[20:21], exec
	v_lshrrev_b32_e32 v2, 20, v2
                                        ; implicit-def: $vgpr3
	s_andn2_saveexec_b64 s[22:23], s[4:5]
	s_cbranch_execnz .LBB295_2405
.LBB295_120:
	s_or_b64 exec, exec, s[22:23]
	v_mov_b32_e32 v4, 0
	s_and_saveexec_b64 s[4:5], s[20:21]
.LBB295_121:
	v_mov_b32_e32 v4, v2
.LBB295_122:
	s_or_b64 exec, exec, s[4:5]
.LBB295_123:
	s_or_b64 exec, exec, s[18:19]
	flat_store_byte v[0:1], v4
.LBB295_124:
	s_or_b64 exec, exec, s[16:17]
	s_or_b64 s[6:7], s[6:7], exec
.LBB295_125:
	s_or_b64 exec, exec, s[10:11]
	s_andn2_b64 s[4:5], s[34:35], exec
	s_and_b64 s[10:11], s[14:15], exec
	s_or_b64 s[10:11], s[4:5], s[10:11]
	s_and_b64 s[6:7], s[6:7], exec
                                        ; implicit-def: $vgpr0_vgpr1
.LBB295_126:
	s_andn2_saveexec_b64 s[12:13], s[12:13]
	s_cbranch_execz .LBB295_170
; %bb.127:
	v_mov_b32_e32 v2, 22
	v_cmp_gt_i16_sdwa s[14:15], v17, v2 src0_sel:BYTE_0 src1_sel:DWORD
	s_mov_b64 s[4:5], s[6:7]
	s_and_saveexec_b64 s[16:17], s[14:15]
	s_xor_b64 s[14:15], exec, s[16:17]
	s_cbranch_execz .LBB295_159
; %bb.128:
	v_mov_b32_e32 v2, 23
	v_cmp_gt_i16_sdwa s[4:5], v17, v2 src0_sel:BYTE_0 src1_sel:DWORD
	s_and_saveexec_b64 s[16:17], s[4:5]
	s_xor_b64 s[16:17], exec, s[16:17]
	s_cbranch_execz .LBB295_148
; %bb.129:
	v_mov_b32_e32 v2, 24
	v_cmp_gt_i16_sdwa s[4:5], v17, v2 src0_sel:BYTE_0 src1_sel:DWORD
	s_and_saveexec_b64 s[18:19], s[4:5]
	s_xor_b64 s[18:19], exec, s[18:19]
	s_cbranch_execz .LBB295_137
; %bb.130:
	v_cndmask_b32_e64 v3, 0, 1.0, vcc
	s_mov_b32 s4, 0x47800000
	v_cmp_gt_u32_e64 s[4:5], s4, v3
	v_mov_b32_e32 v4, 0x80
	s_and_saveexec_b64 s[20:21], s[4:5]
	s_cbranch_execz .LBB295_136
; %bb.131:
	s_mov_b32 s4, 0x37ffffff
	v_cmp_lt_u32_e64 s[4:5], s4, v3
	s_mov_b64 s[22:23], 0
                                        ; implicit-def: $vgpr2
	s_and_saveexec_b64 s[24:25], s[4:5]
	s_xor_b64 s[4:5], exec, s[24:25]
	s_cbranch_execz .LBB295_2501
; %bb.132:
	v_bfe_u32 v2, v3, 21, 1
	s_mov_b32 s24, 0x88fffff
	v_add3_u32 v2, v3, v2, s24
	s_mov_b64 s[22:23], exec
	v_lshrrev_b32_e32 v2, 21, v2
                                        ; implicit-def: $vgpr3
	s_andn2_saveexec_b64 s[24:25], s[4:5]
	s_cbranch_execnz .LBB295_2502
.LBB295_133:
	s_or_b64 exec, exec, s[24:25]
	v_mov_b32_e32 v4, 0
	s_and_saveexec_b64 s[4:5], s[22:23]
.LBB295_134:
	v_mov_b32_e32 v4, v2
.LBB295_135:
	s_or_b64 exec, exec, s[4:5]
.LBB295_136:
	s_or_b64 exec, exec, s[20:21]
	flat_store_byte v[0:1], v4
                                        ; implicit-def: $vgpr0_vgpr1
.LBB295_137:
	s_andn2_saveexec_b64 s[18:19], s[18:19]
	s_cbranch_execz .LBB295_147
; %bb.138:
	v_cndmask_b32_e64 v2, 0, 1.0, vcc
	s_mov_b32 s4, 0x43f00000
	v_cmp_gt_u32_e64 s[4:5], s4, v2
                                        ; implicit-def: $vgpr3
	s_and_saveexec_b64 s[20:21], s[4:5]
	s_xor_b64 s[20:21], exec, s[20:21]
	s_cbranch_execz .LBB295_144
; %bb.139:
	s_mov_b32 s4, 0x3c7fffff
	v_cmp_lt_u32_e64 s[4:5], s4, v2
                                        ; implicit-def: $vgpr3
	s_and_saveexec_b64 s[22:23], s[4:5]
	s_xor_b64 s[22:23], exec, s[22:23]
; %bb.140:
	v_bfe_u32 v3, v2, 20, 1
	s_mov_b32 s4, 0x407ffff
	v_add3_u32 v2, v2, v3, s4
	v_lshrrev_b32_e32 v3, 20, v2
	v_and_b32_e32 v2, 0xff00000, v2
	s_mov_b32 s4, 0x7f00000
	v_mov_b32_e32 v4, 0x7e
	v_cmp_ne_u32_e64 s[4:5], s4, v2
	v_cndmask_b32_e64 v3, v4, v3, s[4:5]
                                        ; implicit-def: $vgpr2
; %bb.141:
	s_andn2_saveexec_b64 s[4:5], s[22:23]
; %bb.142:
	v_add_f32_e32 v3, 0x46800000, v2
; %bb.143:
	s_or_b64 exec, exec, s[4:5]
                                        ; implicit-def: $vgpr2
.LBB295_144:
	s_andn2_saveexec_b64 s[20:21], s[20:21]
; %bb.145:
	s_mov_b32 s4, 0x7f800000
	v_mov_b32_e32 v3, 0x7e
	v_mov_b32_e32 v4, 0x7f
	v_cmp_lt_u32_e64 s[4:5], s4, v2
	v_cndmask_b32_e64 v3, v3, v4, s[4:5]
; %bb.146:
	s_or_b64 exec, exec, s[20:21]
	flat_store_byte v[0:1], v3
.LBB295_147:
	s_or_b64 exec, exec, s[18:19]
                                        ; implicit-def: $vgpr0_vgpr1
.LBB295_148:
	s_andn2_saveexec_b64 s[16:17], s[16:17]
	s_cbranch_execz .LBB295_158
; %bb.149:
	v_cndmask_b32_e64 v2, 0, 1.0, vcc
	s_mov_b32 s4, 0x47800000
	v_cmp_gt_u32_e64 s[4:5], s4, v2
                                        ; implicit-def: $vgpr3
	s_and_saveexec_b64 s[18:19], s[4:5]
	s_xor_b64 s[18:19], exec, s[18:19]
	s_cbranch_execz .LBB295_155
; %bb.150:
	s_mov_b32 s4, 0x387fffff
	v_cmp_lt_u32_e64 s[4:5], s4, v2
                                        ; implicit-def: $vgpr3
	s_and_saveexec_b64 s[20:21], s[4:5]
	s_xor_b64 s[4:5], exec, s[20:21]
; %bb.151:
	v_bfe_u32 v3, v2, 21, 1
	s_mov_b32 s20, 0x80fffff
	v_add3_u32 v2, v2, v3, s20
	v_lshrrev_b32_e32 v3, 21, v2
                                        ; implicit-def: $vgpr2
; %bb.152:
	s_andn2_saveexec_b64 s[4:5], s[4:5]
; %bb.153:
	v_add_f32_e32 v3, 0x43000000, v2
; %bb.154:
	s_or_b64 exec, exec, s[4:5]
                                        ; implicit-def: $vgpr2
.LBB295_155:
	s_andn2_saveexec_b64 s[18:19], s[18:19]
; %bb.156:
	s_mov_b32 s4, 0x7f800000
	v_mov_b32_e32 v3, 0x7c
	v_mov_b32_e32 v4, 0x7f
	v_cmp_lt_u32_e64 s[4:5], s4, v2
	v_cndmask_b32_e64 v3, v3, v4, s[4:5]
; %bb.157:
	s_or_b64 exec, exec, s[18:19]
	flat_store_byte v[0:1], v3
.LBB295_158:
	s_or_b64 exec, exec, s[16:17]
	s_or_b64 s[4:5], s[6:7], exec
                                        ; implicit-def: $vgpr0_vgpr1
.LBB295_159:
	s_or_saveexec_b64 s[14:15], s[14:15]
	s_mov_b64 s[18:19], s[10:11]
	s_xor_b64 exec, exec, s[14:15]
	s_cbranch_execz .LBB295_169
; %bb.160:
	v_mov_b32_e32 v2, 14
	v_cmp_gt_i16_sdwa s[20:21], v17, v2 src0_sel:BYTE_0 src1_sel:DWORD
	s_mov_b64 s[16:17], s[4:5]
	s_mov_b64 s[18:19], s[10:11]
	s_and_saveexec_b64 s[22:23], s[20:21]
	s_xor_b64 s[20:21], exec, s[22:23]
	s_cbranch_execz .LBB295_164
; %bb.161:
	v_mov_b32_e32 v2, 15
	v_cmp_eq_u16_sdwa s[24:25], v17, v2 src0_sel:BYTE_0 src1_sel:DWORD
	s_mov_b64 s[18:19], -1
	s_mov_b64 s[16:17], s[4:5]
	s_and_saveexec_b64 s[22:23], s[24:25]
	s_cbranch_execz .LBB295_163
; %bb.162:
	v_cndmask_b32_e64 v2, 0, 1.0, vcc
	v_bfe_u32 v3, v2, 16, 1
	s_movk_i32 s16, 0x7fff
	v_add3_u32 v2, v2, v3, s16
	flat_store_short_d16_hi v[0:1], v2
	s_xor_b64 s[18:19], exec, -1
	s_or_b64 s[16:17], s[4:5], exec
.LBB295_163:
	s_or_b64 exec, exec, s[22:23]
	s_andn2_b64 s[22:23], s[10:11], exec
	s_and_b64 s[18:19], s[18:19], exec
	s_or_b64 s[18:19], s[22:23], s[18:19]
	s_andn2_b64 s[22:23], s[4:5], exec
	s_and_b64 s[16:17], s[16:17], exec
	s_or_b64 s[16:17], s[22:23], s[16:17]
                                        ; implicit-def: $vgpr0_vgpr1
.LBB295_164:
	s_andn2_saveexec_b64 s[20:21], s[20:21]
	s_cbranch_execz .LBB295_168
; %bb.165:
	v_mov_b32_e32 v2, 11
	v_cmp_eq_u16_sdwa s[28:29], v17, v2 src0_sel:BYTE_0 src1_sel:DWORD
	s_mov_b64 s[24:25], -1
	s_mov_b64 s[22:23], s[16:17]
	s_and_saveexec_b64 s[26:27], s[28:29]
	s_cbranch_execz .LBB295_167
; %bb.166:
	v_cndmask_b32_e64 v2, 0, 1, vcc
	flat_store_byte v[0:1], v2
	s_xor_b64 s[24:25], exec, -1
	s_or_b64 s[22:23], s[16:17], exec
.LBB295_167:
	s_or_b64 exec, exec, s[26:27]
	s_andn2_b64 s[18:19], s[18:19], exec
	s_and_b64 s[24:25], s[24:25], exec
	s_andn2_b64 s[16:17], s[16:17], exec
	s_and_b64 s[22:23], s[22:23], exec
	s_or_b64 s[18:19], s[18:19], s[24:25]
	s_or_b64 s[16:17], s[16:17], s[22:23]
.LBB295_168:
	s_or_b64 exec, exec, s[20:21]
	s_andn2_b64 s[20:21], s[10:11], exec
	s_and_b64 s[18:19], s[18:19], exec
	s_andn2_b64 s[4:5], s[4:5], exec
	s_and_b64 s[16:17], s[16:17], exec
	s_or_b64 s[18:19], s[20:21], s[18:19]
	s_or_b64 s[4:5], s[4:5], s[16:17]
.LBB295_169:
	s_or_b64 exec, exec, s[14:15]
	s_andn2_b64 s[10:11], s[10:11], exec
	s_and_b64 s[14:15], s[18:19], exec
	s_andn2_b64 s[6:7], s[6:7], exec
	s_and_b64 s[4:5], s[4:5], exec
	s_or_b64 s[10:11], s[10:11], s[14:15]
	s_or_b64 s[6:7], s[6:7], s[4:5]
.LBB295_170:
	s_or_b64 exec, exec, s[12:13]
	s_andn2_b64 s[4:5], s[34:35], exec
	s_and_b64 s[10:11], s[10:11], exec
	s_or_b64 s[4:5], s[4:5], s[10:11]
	s_and_b64 s[6:7], s[6:7], exec
                                        ; implicit-def: $vgpr0_vgpr1
	s_andn2_saveexec_b64 s[8:9], s[8:9]
	s_cbranch_execnz .LBB295_1986
.LBB295_171:
	s_or_b64 exec, exec, s[8:9]
	s_mov_b64 s[8:9], 0
	s_and_saveexec_b64 s[10:11], s[6:7]
.LBB295_172:
	s_mov_b64 s[8:9], exec
	v_add_u32_e32 v7, 0x80, v7
.LBB295_173:
	s_or_b64 exec, exec, s[10:11]
	s_andn2_b64 s[6:7], s[34:35], exec
	s_and_b64 s[4:5], s[4:5], exec
	s_or_b64 s[46:47], s[6:7], s[4:5]
	s_orn2_b64 s[10:11], s[8:9], exec
.LBB295_174:
	s_or_b64 exec, exec, s[48:49]
	s_mov_b64 s[4:5], 0
	s_mov_b64 s[8:9], 0
                                        ; implicit-def: $sgpr6_sgpr7
                                        ; implicit-def: $vgpr2
                                        ; implicit-def: $vgpr0_vgpr1
	s_and_saveexec_b64 s[48:49], s[10:11]
	s_cbranch_execz .LBB295_346
; %bb.175:
	v_cmp_gt_i32_e32 vcc, s33, v7
	s_mov_b64 s[8:9], -1
	s_mov_b64 s[52:53], s[46:47]
	s_and_saveexec_b64 s[50:51], vcc
	s_cbranch_execz .LBB295_261
; %bb.176:
	s_getpc_b64 s[4:5]
	s_add_u32 s4, s4, _ZN2at6native6invokeINS0_13BinaryFunctorIN3c1015Float8_e4m3fnuzES4_bNS0_12_GLOBAL__N_116CompareEqFunctorIS4_EEEEi15function_traitsIS8_EEENT1_11result_typeERKT_PrKPcPKT0_PKNS3_10ScalarTypeEi@rel32@lo+4
	s_addc_u32 s5, s5, _ZN2at6native6invokeINS0_13BinaryFunctorIN3c1015Float8_e4m3fnuzES4_bNS0_12_GLOBAL__N_116CompareEqFunctorIS4_EEEEi15function_traitsIS8_EEENT1_11result_typeERKT_PrKPcPKT0_PKNS3_10ScalarTypeEi@rel32@hi+12
	s_waitcnt vmcnt(0)
	v_mov_b32_e32 v0, v16
	v_mov_b32_e32 v1, s56
	;; [unrolled: 1-line block ×7, first 2 shown]
	s_swappc_b64 s[30:31], s[4:5]
	v_and_b32_e32 v0, 1, v0
	v_cmp_eq_u32_e32 vcc, 1, v0
	v_mul_lo_u32 v0, v20, v7
	v_mov_b32_e32 v2, 10
	v_cmp_gt_i16_sdwa s[8:9], v17, v2 src0_sel:BYTE_0 src1_sel:DWORD
	s_mov_b64 s[6:7], 0
	v_ashrrev_i32_e32 v1, 31, v0
	v_add_co_u32_e64 v0, s[4:5], v18, v0
	v_addc_co_u32_e64 v1, s[4:5], v19, v1, s[4:5]
	s_mov_b64 s[4:5], s[46:47]
	s_and_saveexec_b64 s[10:11], s[8:9]
	s_xor_b64 s[8:9], exec, s[10:11]
	s_cbranch_execz .LBB295_2078
; %bb.177:
	v_mov_b32_e32 v2, 25
	v_cmp_gt_i16_sdwa s[4:5], v17, v2 src0_sel:BYTE_0 src1_sel:DWORD
	s_mov_b64 s[10:11], s[46:47]
	s_and_saveexec_b64 s[12:13], s[4:5]
	s_xor_b64 s[12:13], exec, s[12:13]
	s_cbranch_execz .LBB295_213
; %bb.178:
	v_mov_b32_e32 v2, 28
	v_cmp_gt_i16_sdwa s[4:5], v17, v2 src0_sel:BYTE_0 src1_sel:DWORD
	;; [unrolled: 7-line block ×3, first 2 shown]
	s_mov_b64 s[4:5], 0
	s_mov_b64 s[6:7], s[46:47]
	s_and_saveexec_b64 s[16:17], s[14:15]
	s_xor_b64 s[14:15], exec, s[16:17]
	s_cbranch_execz .LBB295_191
; %bb.180:
	v_mov_b32_e32 v2, 45
	v_cmp_gt_i16_sdwa s[4:5], v17, v2 src0_sel:BYTE_0 src1_sel:DWORD
	s_mov_b64 s[16:17], 0
	s_mov_b64 s[18:19], s[46:47]
	s_and_saveexec_b64 s[6:7], s[4:5]
	s_xor_b64 s[4:5], exec, s[6:7]
	s_cbranch_execz .LBB295_184
; %bb.181:
	v_mov_b32_e32 v2, 46
	v_cmp_eq_u16_sdwa s[20:21], v17, v2 src0_sel:BYTE_0 src1_sel:DWORD
	s_mov_b64 s[6:7], 0
	s_mov_b64 s[18:19], -1
	s_and_saveexec_b64 s[16:17], s[20:21]
	s_cbranch_execz .LBB295_183
; %bb.182:
	v_cndmask_b32_e64 v2, 0, 1.0, vcc
	v_bfe_u32 v3, v2, 16, 1
	s_movk_i32 s18, 0x7fff
	v_add3_u32 v2, v2, v3, s18
	v_lshrrev_b32_e32 v2, 16, v2
	s_mov_b64 s[6:7], exec
	flat_store_dword v[0:1], v2
	s_xor_b64 s[18:19], exec, -1
.LBB295_183:
	s_or_b64 exec, exec, s[16:17]
	s_andn2_b64 s[16:17], s[46:47], exec
	s_and_b64 s[18:19], s[18:19], exec
	s_or_b64 s[18:19], s[16:17], s[18:19]
	s_and_b64 s[16:17], s[6:7], exec
                                        ; implicit-def: $vgpr0_vgpr1
.LBB295_184:
	s_andn2_saveexec_b64 s[20:21], s[4:5]
	s_cbranch_execz .LBB295_190
; %bb.185:
	v_mov_b32_e32 v2, 44
	v_cmp_eq_u16_sdwa s[24:25], v17, v2 src0_sel:BYTE_0 src1_sel:DWORD
	s_mov_b64 s[6:7], -1
	s_mov_b64 s[4:5], s[16:17]
	s_and_saveexec_b64 s[22:23], s[24:25]
	s_cbranch_execz .LBB295_189
; %bb.186:
	v_cndmask_b32_e64 v3, 0, 1.0, vcc
	v_lshrrev_b32_e32 v2, 23, v3
	s_movk_i32 s4, 0xff
	v_cmp_ne_u32_e64 s[4:5], s4, v2
	v_mov_b32_e32 v4, 0xff
	s_and_saveexec_b64 s[24:25], s[4:5]
; %bb.187:
	s_mov_b32 s6, 0x3fffff
	v_and_b32_e32 v4, 0x400000, v3
	v_and_or_b32 v3, v3, s6, v2
	v_cmp_ne_u32_e64 s[4:5], 0, v4
	v_cmp_ne_u32_e64 s[6:7], 0, v3
	s_and_b64 s[4:5], s[4:5], s[6:7]
	v_cndmask_b32_e64 v3, 0, 1, s[4:5]
	v_add_u32_e32 v4, v2, v3
; %bb.188:
	s_or_b64 exec, exec, s[24:25]
	s_xor_b64 s[6:7], exec, -1
	s_or_b64 s[4:5], s[16:17], exec
	flat_store_byte v[0:1], v4
.LBB295_189:
	s_or_b64 exec, exec, s[22:23]
	s_andn2_b64 s[18:19], s[18:19], exec
	s_and_b64 s[6:7], s[6:7], exec
	s_or_b64 s[18:19], s[18:19], s[6:7]
	s_andn2_b64 s[6:7], s[16:17], exec
	s_and_b64 s[4:5], s[4:5], exec
	s_or_b64 s[16:17], s[6:7], s[4:5]
.LBB295_190:
	s_or_b64 exec, exec, s[20:21]
	s_andn2_b64 s[4:5], s[46:47], exec
	s_and_b64 s[6:7], s[18:19], exec
	s_or_b64 s[6:7], s[4:5], s[6:7]
	s_and_b64 s[4:5], s[16:17], exec
                                        ; implicit-def: $vgpr0_vgpr1
.LBB295_191:
	s_andn2_saveexec_b64 s[14:15], s[14:15]
	s_cbranch_execz .LBB295_195
; %bb.192:
	v_mov_b32_e32 v2, 29
	v_cmp_eq_u16_sdwa s[22:23], v17, v2 src0_sel:BYTE_0 src1_sel:DWORD
	s_mov_b64 s[18:19], -1
	s_mov_b64 s[16:17], s[4:5]
	s_and_saveexec_b64 s[20:21], s[22:23]
	s_cbranch_execz .LBB295_194
; %bb.193:
	s_mov_b32 s16, 0
	v_cndmask_b32_e64 v2, 0, 1, vcc
	v_mov_b32_e32 v3, s16
	flat_store_dwordx2 v[0:1], v[2:3]
	s_xor_b64 s[18:19], exec, -1
	s_or_b64 s[16:17], s[4:5], exec
.LBB295_194:
	s_or_b64 exec, exec, s[20:21]
	s_andn2_b64 s[6:7], s[6:7], exec
	s_and_b64 s[18:19], s[18:19], exec
	s_andn2_b64 s[4:5], s[4:5], exec
	s_and_b64 s[16:17], s[16:17], exec
	s_or_b64 s[6:7], s[6:7], s[18:19]
	s_or_b64 s[4:5], s[4:5], s[16:17]
.LBB295_195:
	s_or_b64 exec, exec, s[14:15]
	s_andn2_b64 s[14:15], s[46:47], exec
	s_and_b64 s[6:7], s[6:7], exec
	s_or_b64 s[14:15], s[14:15], s[6:7]
	s_and_b64 s[6:7], s[4:5], exec
                                        ; implicit-def: $vgpr0_vgpr1
.LBB295_196:
	s_andn2_saveexec_b64 s[10:11], s[10:11]
	s_cbranch_execz .LBB295_212
; %bb.197:
	v_mov_b32_e32 v2, 26
	v_cmp_gt_i16_sdwa s[4:5], v17, v2 src0_sel:BYTE_0 src1_sel:DWORD
	s_and_saveexec_b64 s[16:17], s[4:5]
	s_xor_b64 s[4:5], exec, s[16:17]
	s_cbranch_execz .LBB295_203
; %bb.198:
	v_mov_b32_e32 v2, 27
	v_cmp_gt_i16_sdwa s[16:17], v17, v2 src0_sel:BYTE_0 src1_sel:DWORD
	s_and_saveexec_b64 s[18:19], s[16:17]
	s_xor_b64 s[16:17], exec, s[18:19]
	s_cbranch_execz .LBB295_200
; %bb.199:
	v_cndmask_b32_e64 v2, 0, 1, vcc
	flat_store_dword v[0:1], v2
                                        ; implicit-def: $vgpr0_vgpr1
.LBB295_200:
	s_andn2_saveexec_b64 s[16:17], s[16:17]
	s_cbranch_execz .LBB295_202
; %bb.201:
	v_cndmask_b32_e64 v2, 0, 1, vcc
	flat_store_short v[0:1], v2
.LBB295_202:
	s_or_b64 exec, exec, s[16:17]
                                        ; implicit-def: $vgpr0_vgpr1
.LBB295_203:
	s_andn2_saveexec_b64 s[16:17], s[4:5]
	s_cbranch_execz .LBB295_211
; %bb.204:
	v_cndmask_b32_e64 v3, 0, 1.0, vcc
	s_mov_b32 s4, 0x43800000
	v_cmp_gt_u32_e64 s[4:5], s4, v3
	v_mov_b32_e32 v4, 0x80
	s_and_saveexec_b64 s[18:19], s[4:5]
	s_cbranch_execz .LBB295_210
; %bb.205:
	s_mov_b32 s4, 0x3bffffff
	v_cmp_lt_u32_e64 s[4:5], s4, v3
	s_mov_b64 s[20:21], 0
                                        ; implicit-def: $vgpr2
	s_and_saveexec_b64 s[22:23], s[4:5]
	s_xor_b64 s[4:5], exec, s[22:23]
	s_cbranch_execz .LBB295_2503
; %bb.206:
	v_bfe_u32 v2, v3, 20, 1
	s_mov_b32 s22, 0x487ffff
	v_add3_u32 v2, v3, v2, s22
	s_mov_b64 s[20:21], exec
	v_lshrrev_b32_e32 v2, 20, v2
                                        ; implicit-def: $vgpr3
	s_andn2_saveexec_b64 s[22:23], s[4:5]
	s_cbranch_execnz .LBB295_2504
.LBB295_207:
	s_or_b64 exec, exec, s[22:23]
	v_mov_b32_e32 v4, 0
	s_and_saveexec_b64 s[4:5], s[20:21]
.LBB295_208:
	v_mov_b32_e32 v4, v2
.LBB295_209:
	s_or_b64 exec, exec, s[4:5]
.LBB295_210:
	s_or_b64 exec, exec, s[18:19]
	flat_store_byte v[0:1], v4
.LBB295_211:
	s_or_b64 exec, exec, s[16:17]
	s_or_b64 s[6:7], s[6:7], exec
.LBB295_212:
	s_or_b64 exec, exec, s[10:11]
	s_andn2_b64 s[4:5], s[46:47], exec
	s_and_b64 s[10:11], s[14:15], exec
	s_or_b64 s[10:11], s[4:5], s[10:11]
	s_and_b64 s[6:7], s[6:7], exec
                                        ; implicit-def: $vgpr0_vgpr1
.LBB295_213:
	s_andn2_saveexec_b64 s[12:13], s[12:13]
	s_cbranch_execz .LBB295_257
; %bb.214:
	v_mov_b32_e32 v2, 22
	v_cmp_gt_i16_sdwa s[14:15], v17, v2 src0_sel:BYTE_0 src1_sel:DWORD
	s_mov_b64 s[4:5], s[6:7]
	s_and_saveexec_b64 s[16:17], s[14:15]
	s_xor_b64 s[14:15], exec, s[16:17]
	s_cbranch_execz .LBB295_246
; %bb.215:
	v_mov_b32_e32 v2, 23
	v_cmp_gt_i16_sdwa s[4:5], v17, v2 src0_sel:BYTE_0 src1_sel:DWORD
	s_and_saveexec_b64 s[16:17], s[4:5]
	s_xor_b64 s[16:17], exec, s[16:17]
	s_cbranch_execz .LBB295_235
; %bb.216:
	v_mov_b32_e32 v2, 24
	v_cmp_gt_i16_sdwa s[4:5], v17, v2 src0_sel:BYTE_0 src1_sel:DWORD
	s_and_saveexec_b64 s[18:19], s[4:5]
	s_xor_b64 s[18:19], exec, s[18:19]
	s_cbranch_execz .LBB295_224
; %bb.217:
	v_cndmask_b32_e64 v3, 0, 1.0, vcc
	s_mov_b32 s4, 0x47800000
	v_cmp_gt_u32_e64 s[4:5], s4, v3
	v_mov_b32_e32 v4, 0x80
	s_and_saveexec_b64 s[20:21], s[4:5]
	s_cbranch_execz .LBB295_223
; %bb.218:
	s_mov_b32 s4, 0x37ffffff
	v_cmp_lt_u32_e64 s[4:5], s4, v3
	s_mov_b64 s[22:23], 0
                                        ; implicit-def: $vgpr2
	s_and_saveexec_b64 s[24:25], s[4:5]
	s_xor_b64 s[4:5], exec, s[24:25]
	s_cbranch_execz .LBB295_2592
; %bb.219:
	v_bfe_u32 v2, v3, 21, 1
	s_mov_b32 s24, 0x88fffff
	v_add3_u32 v2, v3, v2, s24
	s_mov_b64 s[22:23], exec
	v_lshrrev_b32_e32 v2, 21, v2
                                        ; implicit-def: $vgpr3
	s_andn2_saveexec_b64 s[24:25], s[4:5]
	s_cbranch_execnz .LBB295_2593
.LBB295_220:
	s_or_b64 exec, exec, s[24:25]
	v_mov_b32_e32 v4, 0
	s_and_saveexec_b64 s[4:5], s[22:23]
.LBB295_221:
	v_mov_b32_e32 v4, v2
.LBB295_222:
	s_or_b64 exec, exec, s[4:5]
.LBB295_223:
	s_or_b64 exec, exec, s[20:21]
	flat_store_byte v[0:1], v4
                                        ; implicit-def: $vgpr0_vgpr1
.LBB295_224:
	s_andn2_saveexec_b64 s[18:19], s[18:19]
	s_cbranch_execz .LBB295_234
; %bb.225:
	v_cndmask_b32_e64 v2, 0, 1.0, vcc
	s_mov_b32 s4, 0x43f00000
	v_cmp_gt_u32_e64 s[4:5], s4, v2
                                        ; implicit-def: $vgpr3
	s_and_saveexec_b64 s[20:21], s[4:5]
	s_xor_b64 s[20:21], exec, s[20:21]
	s_cbranch_execz .LBB295_231
; %bb.226:
	s_mov_b32 s4, 0x3c7fffff
	v_cmp_lt_u32_e64 s[4:5], s4, v2
                                        ; implicit-def: $vgpr3
	s_and_saveexec_b64 s[22:23], s[4:5]
	s_xor_b64 s[22:23], exec, s[22:23]
; %bb.227:
	v_bfe_u32 v3, v2, 20, 1
	s_mov_b32 s4, 0x407ffff
	v_add3_u32 v2, v2, v3, s4
	v_lshrrev_b32_e32 v3, 20, v2
	v_and_b32_e32 v2, 0xff00000, v2
	s_mov_b32 s4, 0x7f00000
	v_mov_b32_e32 v4, 0x7e
	v_cmp_ne_u32_e64 s[4:5], s4, v2
	v_cndmask_b32_e64 v3, v4, v3, s[4:5]
                                        ; implicit-def: $vgpr2
; %bb.228:
	s_andn2_saveexec_b64 s[4:5], s[22:23]
; %bb.229:
	v_add_f32_e32 v3, 0x46800000, v2
; %bb.230:
	s_or_b64 exec, exec, s[4:5]
                                        ; implicit-def: $vgpr2
.LBB295_231:
	s_andn2_saveexec_b64 s[20:21], s[20:21]
; %bb.232:
	s_mov_b32 s4, 0x7f800000
	v_mov_b32_e32 v3, 0x7e
	v_mov_b32_e32 v4, 0x7f
	v_cmp_lt_u32_e64 s[4:5], s4, v2
	v_cndmask_b32_e64 v3, v3, v4, s[4:5]
; %bb.233:
	s_or_b64 exec, exec, s[20:21]
	flat_store_byte v[0:1], v3
.LBB295_234:
	s_or_b64 exec, exec, s[18:19]
                                        ; implicit-def: $vgpr0_vgpr1
.LBB295_235:
	s_andn2_saveexec_b64 s[16:17], s[16:17]
	s_cbranch_execz .LBB295_245
; %bb.236:
	v_cndmask_b32_e64 v2, 0, 1.0, vcc
	s_mov_b32 s4, 0x47800000
	v_cmp_gt_u32_e64 s[4:5], s4, v2
                                        ; implicit-def: $vgpr3
	s_and_saveexec_b64 s[18:19], s[4:5]
	s_xor_b64 s[18:19], exec, s[18:19]
	s_cbranch_execz .LBB295_242
; %bb.237:
	s_mov_b32 s4, 0x387fffff
	v_cmp_lt_u32_e64 s[4:5], s4, v2
                                        ; implicit-def: $vgpr3
	s_and_saveexec_b64 s[20:21], s[4:5]
	s_xor_b64 s[4:5], exec, s[20:21]
; %bb.238:
	v_bfe_u32 v3, v2, 21, 1
	s_mov_b32 s20, 0x80fffff
	v_add3_u32 v2, v2, v3, s20
	v_lshrrev_b32_e32 v3, 21, v2
                                        ; implicit-def: $vgpr2
; %bb.239:
	s_andn2_saveexec_b64 s[4:5], s[4:5]
; %bb.240:
	v_add_f32_e32 v3, 0x43000000, v2
; %bb.241:
	s_or_b64 exec, exec, s[4:5]
                                        ; implicit-def: $vgpr2
.LBB295_242:
	s_andn2_saveexec_b64 s[18:19], s[18:19]
; %bb.243:
	s_mov_b32 s4, 0x7f800000
	v_mov_b32_e32 v3, 0x7c
	v_mov_b32_e32 v4, 0x7f
	v_cmp_lt_u32_e64 s[4:5], s4, v2
	v_cndmask_b32_e64 v3, v3, v4, s[4:5]
; %bb.244:
	s_or_b64 exec, exec, s[18:19]
	flat_store_byte v[0:1], v3
.LBB295_245:
	s_or_b64 exec, exec, s[16:17]
	s_or_b64 s[4:5], s[6:7], exec
                                        ; implicit-def: $vgpr0_vgpr1
.LBB295_246:
	s_or_saveexec_b64 s[14:15], s[14:15]
	s_mov_b64 s[18:19], s[10:11]
	s_xor_b64 exec, exec, s[14:15]
	s_cbranch_execz .LBB295_256
; %bb.247:
	v_mov_b32_e32 v2, 14
	v_cmp_gt_i16_sdwa s[20:21], v17, v2 src0_sel:BYTE_0 src1_sel:DWORD
	s_mov_b64 s[16:17], s[4:5]
	s_mov_b64 s[18:19], s[10:11]
	s_and_saveexec_b64 s[22:23], s[20:21]
	s_xor_b64 s[20:21], exec, s[22:23]
	s_cbranch_execz .LBB295_251
; %bb.248:
	v_mov_b32_e32 v2, 15
	v_cmp_eq_u16_sdwa s[24:25], v17, v2 src0_sel:BYTE_0 src1_sel:DWORD
	s_mov_b64 s[18:19], -1
	s_mov_b64 s[16:17], s[4:5]
	s_and_saveexec_b64 s[22:23], s[24:25]
	s_cbranch_execz .LBB295_250
; %bb.249:
	v_cndmask_b32_e64 v2, 0, 1.0, vcc
	v_bfe_u32 v3, v2, 16, 1
	s_movk_i32 s16, 0x7fff
	v_add3_u32 v2, v2, v3, s16
	flat_store_short_d16_hi v[0:1], v2
	s_xor_b64 s[18:19], exec, -1
	s_or_b64 s[16:17], s[4:5], exec
.LBB295_250:
	s_or_b64 exec, exec, s[22:23]
	s_andn2_b64 s[22:23], s[10:11], exec
	s_and_b64 s[18:19], s[18:19], exec
	s_or_b64 s[18:19], s[22:23], s[18:19]
	s_andn2_b64 s[22:23], s[4:5], exec
	s_and_b64 s[16:17], s[16:17], exec
	s_or_b64 s[16:17], s[22:23], s[16:17]
                                        ; implicit-def: $vgpr0_vgpr1
.LBB295_251:
	s_andn2_saveexec_b64 s[20:21], s[20:21]
	s_cbranch_execz .LBB295_255
; %bb.252:
	v_mov_b32_e32 v2, 11
	v_cmp_eq_u16_sdwa s[28:29], v17, v2 src0_sel:BYTE_0 src1_sel:DWORD
	s_mov_b64 s[24:25], -1
	s_mov_b64 s[22:23], s[16:17]
	s_and_saveexec_b64 s[26:27], s[28:29]
	s_cbranch_execz .LBB295_254
; %bb.253:
	v_cndmask_b32_e64 v2, 0, 1, vcc
	flat_store_byte v[0:1], v2
	s_xor_b64 s[24:25], exec, -1
	s_or_b64 s[22:23], s[16:17], exec
.LBB295_254:
	s_or_b64 exec, exec, s[26:27]
	s_andn2_b64 s[18:19], s[18:19], exec
	s_and_b64 s[24:25], s[24:25], exec
	s_andn2_b64 s[16:17], s[16:17], exec
	s_and_b64 s[22:23], s[22:23], exec
	s_or_b64 s[18:19], s[18:19], s[24:25]
	s_or_b64 s[16:17], s[16:17], s[22:23]
.LBB295_255:
	s_or_b64 exec, exec, s[20:21]
	s_andn2_b64 s[20:21], s[10:11], exec
	s_and_b64 s[18:19], s[18:19], exec
	s_andn2_b64 s[4:5], s[4:5], exec
	s_and_b64 s[16:17], s[16:17], exec
	s_or_b64 s[18:19], s[20:21], s[18:19]
	s_or_b64 s[4:5], s[4:5], s[16:17]
.LBB295_256:
	s_or_b64 exec, exec, s[14:15]
	s_andn2_b64 s[10:11], s[10:11], exec
	s_and_b64 s[14:15], s[18:19], exec
	s_andn2_b64 s[6:7], s[6:7], exec
	s_and_b64 s[4:5], s[4:5], exec
	s_or_b64 s[10:11], s[10:11], s[14:15]
	s_or_b64 s[6:7], s[6:7], s[4:5]
.LBB295_257:
	s_or_b64 exec, exec, s[12:13]
	s_andn2_b64 s[4:5], s[46:47], exec
	s_and_b64 s[10:11], s[10:11], exec
	s_or_b64 s[4:5], s[4:5], s[10:11]
	s_and_b64 s[6:7], s[6:7], exec
                                        ; implicit-def: $vgpr0_vgpr1
	s_andn2_saveexec_b64 s[8:9], s[8:9]
	s_cbranch_execnz .LBB295_2079
.LBB295_258:
	s_or_b64 exec, exec, s[8:9]
	s_mov_b64 s[8:9], 0
	s_and_saveexec_b64 s[10:11], s[6:7]
.LBB295_259:
	s_mov_b64 s[8:9], exec
	v_add_u32_e32 v7, 0x80, v7
.LBB295_260:
	s_or_b64 exec, exec, s[10:11]
	s_andn2_b64 s[6:7], s[46:47], exec
	s_and_b64 s[4:5], s[4:5], exec
	s_or_b64 s[52:53], s[6:7], s[4:5]
	s_orn2_b64 s[8:9], s[8:9], exec
.LBB295_261:
	s_or_b64 exec, exec, s[50:51]
	s_mov_b64 s[4:5], 0
	s_mov_b64 s[10:11], 0
                                        ; implicit-def: $sgpr6_sgpr7
                                        ; implicit-def: $vgpr2
                                        ; implicit-def: $vgpr0_vgpr1
	s_and_saveexec_b64 s[50:51], s[8:9]
	s_cbranch_execz .LBB295_345
; %bb.262:
	v_cmp_gt_i32_e32 vcc, s33, v7
	s_mov_b64 s[8:9], s[52:53]
                                        ; implicit-def: $sgpr6_sgpr7
                                        ; implicit-def: $vgpr2
                                        ; implicit-def: $vgpr0_vgpr1
	s_and_saveexec_b64 s[54:55], vcc
	s_cbranch_execz .LBB295_344
; %bb.263:
	s_getpc_b64 s[4:5]
	s_add_u32 s4, s4, _ZN2at6native6invokeINS0_13BinaryFunctorIN3c1015Float8_e4m3fnuzES4_bNS0_12_GLOBAL__N_116CompareEqFunctorIS4_EEEEi15function_traitsIS8_EEENT1_11result_typeERKT_PrKPcPKT0_PKNS3_10ScalarTypeEi@rel32@lo+4
	s_addc_u32 s5, s5, _ZN2at6native6invokeINS0_13BinaryFunctorIN3c1015Float8_e4m3fnuzES4_bNS0_12_GLOBAL__N_116CompareEqFunctorIS4_EEEEi15function_traitsIS8_EEENT1_11result_typeERKT_PrKPcPKT0_PKNS3_10ScalarTypeEi@rel32@hi+12
	s_waitcnt vmcnt(0)
	v_mov_b32_e32 v0, v16
	v_mov_b32_e32 v1, s56
	;; [unrolled: 1-line block ×7, first 2 shown]
	s_swappc_b64 s[30:31], s[4:5]
	v_and_b32_e32 v0, 1, v0
	v_cmp_eq_u32_e64 s[6:7], 1, v0
	v_mul_lo_u32 v0, v20, v7
	v_and_b32_e32 v2, 0xff, v17
	s_mov_b64 s[12:13], 0
	s_mov_b64 s[10:11], -1
	v_ashrrev_i32_e32 v1, 31, v0
	v_add_co_u32_e32 v0, vcc, v18, v0
	v_addc_co_u32_e32 v1, vcc, v19, v1, vcc
	v_cmp_lt_i16_e32 vcc, 10, v2
	s_mov_b64 s[14:15], s[52:53]
	s_and_saveexec_b64 s[8:9], vcc
	s_cbranch_execz .LBB295_343
; %bb.264:
	v_cmp_lt_i16_e32 vcc, 25, v2
	s_mov_b64 s[4:5], s[52:53]
	s_and_saveexec_b64 s[10:11], vcc
	s_xor_b64 s[10:11], exec, s[10:11]
	s_cbranch_execz .LBB295_300
; %bb.265:
	v_cmp_lt_i16_e32 vcc, 28, v2
	s_mov_b64 s[4:5], s[52:53]
	s_and_saveexec_b64 s[12:13], vcc
	s_xor_b64 s[12:13], exec, s[12:13]
	;; [unrolled: 6-line block ×4, first 2 shown]
	s_cbranch_execz .LBB295_271
; %bb.268:
	v_cmp_eq_u16_e32 vcc, 46, v2
	s_mov_b64 s[18:19], -1
	s_and_saveexec_b64 s[16:17], vcc
	s_cbranch_execz .LBB295_270
; %bb.269:
	v_cndmask_b32_e64 v3, 0, 1.0, s[6:7]
	v_bfe_u32 v4, v3, 16, 1
	s_movk_i32 s18, 0x7fff
	v_add3_u32 v3, v3, v4, s18
	v_lshrrev_b32_e32 v3, 16, v3
	flat_store_dword v[0:1], v3
	s_xor_b64 s[18:19], exec, -1
.LBB295_270:
	s_or_b64 exec, exec, s[16:17]
	s_andn2_b64 s[16:17], s[52:53], exec
	s_and_b64 s[18:19], s[18:19], exec
	s_or_b64 s[16:17], s[16:17], s[18:19]
.LBB295_271:
	s_andn2_saveexec_b64 s[18:19], s[4:5]
	s_cbranch_execz .LBB295_277
; %bb.272:
	v_cmp_eq_u16_e32 vcc, 44, v2
	s_mov_b64 s[4:5], -1
	s_and_saveexec_b64 s[20:21], vcc
	s_cbranch_execz .LBB295_276
; %bb.273:
	v_cndmask_b32_e64 v4, 0, 1.0, s[6:7]
	v_lshrrev_b32_e32 v3, 23, v4
	s_movk_i32 s4, 0xff
	v_cmp_ne_u32_e32 vcc, s4, v3
	v_mov_b32_e32 v5, 0xff
	s_and_saveexec_b64 s[22:23], vcc
; %bb.274:
	s_mov_b32 s4, 0x3fffff
	v_and_b32_e32 v5, 0x400000, v4
	v_and_or_b32 v4, v4, s4, v3
	v_cmp_ne_u32_e32 vcc, 0, v5
	v_cmp_ne_u32_e64 s[4:5], 0, v4
	s_and_b64 s[4:5], vcc, s[4:5]
	v_cndmask_b32_e64 v4, 0, 1, s[4:5]
	v_add_u32_e32 v5, v3, v4
; %bb.275:
	s_or_b64 exec, exec, s[22:23]
	s_xor_b64 s[4:5], exec, -1
	flat_store_byte v[0:1], v5
.LBB295_276:
	s_or_b64 exec, exec, s[20:21]
	s_andn2_b64 s[16:17], s[16:17], exec
	s_and_b64 s[4:5], s[4:5], exec
	s_or_b64 s[16:17], s[16:17], s[4:5]
.LBB295_277:
	s_or_b64 exec, exec, s[18:19]
	s_andn2_b64 s[4:5], s[52:53], exec
	s_and_b64 s[16:17], s[16:17], exec
	s_or_b64 s[4:5], s[4:5], s[16:17]
.LBB295_278:
	s_andn2_saveexec_b64 s[14:15], s[14:15]
	s_cbranch_execz .LBB295_282
; %bb.279:
	v_cmp_eq_u16_e32 vcc, 29, v2
	s_mov_b64 s[18:19], -1
	s_and_saveexec_b64 s[16:17], vcc
	s_cbranch_execz .LBB295_281
; %bb.280:
	s_mov_b32 s18, 0
	v_cndmask_b32_e64 v3, 0, 1, s[6:7]
	v_mov_b32_e32 v4, s18
	flat_store_dwordx2 v[0:1], v[3:4]
	s_xor_b64 s[18:19], exec, -1
.LBB295_281:
	s_or_b64 exec, exec, s[16:17]
	s_andn2_b64 s[4:5], s[4:5], exec
	s_and_b64 s[16:17], s[18:19], exec
	s_or_b64 s[4:5], s[4:5], s[16:17]
.LBB295_282:
	s_or_b64 exec, exec, s[14:15]
	s_andn2_b64 s[14:15], s[52:53], exec
	s_and_b64 s[4:5], s[4:5], exec
	s_or_b64 s[4:5], s[14:15], s[4:5]
.LBB295_283:
	s_andn2_saveexec_b64 s[12:13], s[12:13]
	s_cbranch_execz .LBB295_299
; %bb.284:
	v_cmp_lt_i16_e32 vcc, 26, v2
	s_and_saveexec_b64 s[14:15], vcc
	s_xor_b64 s[14:15], exec, s[14:15]
	s_cbranch_execz .LBB295_290
; %bb.285:
	v_cmp_lt_i16_e32 vcc, 27, v2
	v_cndmask_b32_e64 v3, 0, 1, s[6:7]
	s_and_saveexec_b64 s[16:17], vcc
	s_xor_b64 s[16:17], exec, s[16:17]
	s_cbranch_execz .LBB295_287
; %bb.286:
	flat_store_dword v[0:1], v3
                                        ; implicit-def: $vgpr3
.LBB295_287:
	s_andn2_saveexec_b64 s[16:17], s[16:17]
	s_cbranch_execz .LBB295_289
; %bb.288:
	flat_store_short v[0:1], v3
.LBB295_289:
	s_or_b64 exec, exec, s[16:17]
.LBB295_290:
	s_andn2_saveexec_b64 s[14:15], s[14:15]
	s_cbranch_execz .LBB295_298
; %bb.291:
	v_cndmask_b32_e64 v4, 0, 1.0, s[6:7]
	s_mov_b32 s16, 0x43800000
	v_cmp_gt_u32_e32 vcc, s16, v4
	v_mov_b32_e32 v5, 0x80
	s_and_saveexec_b64 s[16:17], vcc
	s_cbranch_execz .LBB295_297
; %bb.292:
	s_mov_b32 s18, 0x3bffffff
	v_cmp_lt_u32_e32 vcc, s18, v4
	s_mov_b64 s[18:19], 0
                                        ; implicit-def: $vgpr3
	s_and_saveexec_b64 s[20:21], vcc
	s_xor_b64 s[20:21], exec, s[20:21]
	s_cbranch_execz .LBB295_2594
; %bb.293:
	v_bfe_u32 v3, v4, 20, 1
	s_mov_b32 s22, 0x487ffff
	v_add3_u32 v3, v4, v3, s22
	s_mov_b64 s[18:19], exec
	v_lshrrev_b32_e32 v3, 20, v3
                                        ; implicit-def: $vgpr4
	s_andn2_saveexec_b64 s[20:21], s[20:21]
	s_cbranch_execnz .LBB295_2595
.LBB295_294:
	s_or_b64 exec, exec, s[20:21]
	v_mov_b32_e32 v5, 0
	s_and_saveexec_b64 s[20:21], s[18:19]
.LBB295_295:
	v_mov_b32_e32 v5, v3
.LBB295_296:
	s_or_b64 exec, exec, s[20:21]
.LBB295_297:
	s_or_b64 exec, exec, s[16:17]
	flat_store_byte v[0:1], v5
.LBB295_298:
	s_or_b64 exec, exec, s[14:15]
.LBB295_299:
	s_or_b64 exec, exec, s[12:13]
	s_andn2_b64 s[12:13], s[52:53], exec
	s_and_b64 s[4:5], s[4:5], exec
	s_or_b64 s[4:5], s[12:13], s[4:5]
.LBB295_300:
	s_or_saveexec_b64 s[10:11], s[10:11]
	s_mov_b64 s[12:13], 0
	s_xor_b64 exec, exec, s[10:11]
	s_cbranch_execz .LBB295_342
; %bb.301:
	v_cmp_lt_i16_e32 vcc, 22, v2
	s_and_saveexec_b64 s[12:13], vcc
	s_xor_b64 s[12:13], exec, s[12:13]
	s_cbranch_execz .LBB295_333
; %bb.302:
	v_cmp_lt_i16_e32 vcc, 23, v2
	s_and_saveexec_b64 s[14:15], vcc
	s_xor_b64 s[14:15], exec, s[14:15]
	;; [unrolled: 5-line block ×3, first 2 shown]
	s_cbranch_execz .LBB295_311
; %bb.304:
	v_cndmask_b32_e64 v4, 0, 1.0, s[6:7]
	s_mov_b32 s18, 0x47800000
	v_cmp_gt_u32_e32 vcc, s18, v4
	v_mov_b32_e32 v5, 0x80
	s_and_saveexec_b64 s[18:19], vcc
	s_cbranch_execz .LBB295_310
; %bb.305:
	s_mov_b32 s20, 0x37ffffff
	v_cmp_lt_u32_e32 vcc, s20, v4
	s_mov_b64 s[20:21], 0
                                        ; implicit-def: $vgpr3
	s_and_saveexec_b64 s[22:23], vcc
	s_xor_b64 s[22:23], exec, s[22:23]
	s_cbranch_execz .LBB295_2681
; %bb.306:
	v_bfe_u32 v3, v4, 21, 1
	s_mov_b32 s24, 0x88fffff
	v_add3_u32 v3, v4, v3, s24
	s_mov_b64 s[20:21], exec
	v_lshrrev_b32_e32 v3, 21, v3
                                        ; implicit-def: $vgpr4
	s_andn2_saveexec_b64 s[22:23], s[22:23]
	s_cbranch_execnz .LBB295_2682
.LBB295_307:
	s_or_b64 exec, exec, s[22:23]
	v_mov_b32_e32 v5, 0
	s_and_saveexec_b64 s[22:23], s[20:21]
.LBB295_308:
	v_mov_b32_e32 v5, v3
.LBB295_309:
	s_or_b64 exec, exec, s[22:23]
.LBB295_310:
	s_or_b64 exec, exec, s[18:19]
	flat_store_byte v[0:1], v5
.LBB295_311:
	s_andn2_saveexec_b64 s[16:17], s[16:17]
	s_cbranch_execz .LBB295_321
; %bb.312:
	v_cndmask_b32_e64 v3, 0, 1.0, s[6:7]
	s_mov_b32 s18, 0x43f00000
	v_cmp_gt_u32_e32 vcc, s18, v3
                                        ; implicit-def: $vgpr4
	s_and_saveexec_b64 s[18:19], vcc
	s_xor_b64 s[18:19], exec, s[18:19]
	s_cbranch_execz .LBB295_318
; %bb.313:
	s_mov_b32 s20, 0x3c7fffff
	v_cmp_lt_u32_e32 vcc, s20, v3
                                        ; implicit-def: $vgpr4
	s_and_saveexec_b64 s[20:21], vcc
	s_xor_b64 s[20:21], exec, s[20:21]
; %bb.314:
	v_bfe_u32 v4, v3, 20, 1
	s_mov_b32 s22, 0x407ffff
	v_add3_u32 v3, v3, v4, s22
	v_lshrrev_b32_e32 v4, 20, v3
	v_and_b32_e32 v3, 0xff00000, v3
	s_mov_b32 s22, 0x7f00000
	v_mov_b32_e32 v5, 0x7e
	v_cmp_ne_u32_e32 vcc, s22, v3
	v_cndmask_b32_e32 v4, v5, v4, vcc
                                        ; implicit-def: $vgpr3
; %bb.315:
	s_andn2_saveexec_b64 s[20:21], s[20:21]
; %bb.316:
	v_add_f32_e32 v4, 0x46800000, v3
; %bb.317:
	s_or_b64 exec, exec, s[20:21]
                                        ; implicit-def: $vgpr3
.LBB295_318:
	s_andn2_saveexec_b64 s[18:19], s[18:19]
; %bb.319:
	s_mov_b32 s20, 0x7f800000
	v_mov_b32_e32 v4, 0x7e
	v_mov_b32_e32 v5, 0x7f
	v_cmp_lt_u32_e32 vcc, s20, v3
	v_cndmask_b32_e32 v4, v4, v5, vcc
; %bb.320:
	s_or_b64 exec, exec, s[18:19]
	flat_store_byte v[0:1], v4
.LBB295_321:
	s_or_b64 exec, exec, s[16:17]
.LBB295_322:
	s_andn2_saveexec_b64 s[14:15], s[14:15]
	s_cbranch_execz .LBB295_332
; %bb.323:
	v_cndmask_b32_e64 v3, 0, 1.0, s[6:7]
	s_mov_b32 s16, 0x47800000
	v_cmp_gt_u32_e32 vcc, s16, v3
                                        ; implicit-def: $vgpr4
	s_and_saveexec_b64 s[16:17], vcc
	s_xor_b64 s[16:17], exec, s[16:17]
	s_cbranch_execz .LBB295_329
; %bb.324:
	s_mov_b32 s18, 0x387fffff
	v_cmp_lt_u32_e32 vcc, s18, v3
                                        ; implicit-def: $vgpr4
	s_and_saveexec_b64 s[18:19], vcc
	s_xor_b64 s[18:19], exec, s[18:19]
; %bb.325:
	v_bfe_u32 v4, v3, 21, 1
	s_mov_b32 s20, 0x80fffff
	v_add3_u32 v3, v3, v4, s20
	v_lshrrev_b32_e32 v4, 21, v3
                                        ; implicit-def: $vgpr3
; %bb.326:
	s_andn2_saveexec_b64 s[18:19], s[18:19]
; %bb.327:
	v_add_f32_e32 v4, 0x43000000, v3
; %bb.328:
	s_or_b64 exec, exec, s[18:19]
                                        ; implicit-def: $vgpr3
.LBB295_329:
	s_andn2_saveexec_b64 s[16:17], s[16:17]
; %bb.330:
	s_mov_b32 s18, 0x7f800000
	v_mov_b32_e32 v4, 0x7c
	v_mov_b32_e32 v5, 0x7f
	v_cmp_lt_u32_e32 vcc, s18, v3
	v_cndmask_b32_e32 v4, v4, v5, vcc
; %bb.331:
	s_or_b64 exec, exec, s[16:17]
	flat_store_byte v[0:1], v4
.LBB295_332:
	s_or_b64 exec, exec, s[14:15]
.LBB295_333:
	s_or_saveexec_b64 s[12:13], s[12:13]
	s_mov_b64 s[16:17], 0
	s_mov_b64 s[14:15], s[4:5]
	s_xor_b64 exec, exec, s[12:13]
	s_cbranch_execz .LBB295_341
; %bb.334:
	v_cmp_lt_i16_e32 vcc, 14, v2
	s_mov_b64 s[14:15], s[4:5]
	s_and_saveexec_b64 s[16:17], vcc
	s_xor_b64 s[16:17], exec, s[16:17]
	s_cbranch_execz .LBB295_338
; %bb.335:
	v_cmp_eq_u16_e32 vcc, 15, v2
	s_mov_b64 s[18:19], -1
	s_and_saveexec_b64 s[14:15], vcc
	s_cbranch_execz .LBB295_337
; %bb.336:
	v_cndmask_b32_e64 v3, 0, 1.0, s[6:7]
	v_bfe_u32 v4, v3, 16, 1
	s_movk_i32 s18, 0x7fff
	v_add3_u32 v3, v3, v4, s18
	flat_store_short_d16_hi v[0:1], v3
	s_xor_b64 s[18:19], exec, -1
.LBB295_337:
	s_or_b64 exec, exec, s[14:15]
	s_andn2_b64 s[14:15], s[4:5], exec
	s_and_b64 s[18:19], s[18:19], exec
	s_or_b64 s[14:15], s[14:15], s[18:19]
.LBB295_338:
	s_or_saveexec_b64 s[16:17], s[16:17]
	s_mov_b64 s[18:19], 0
	s_xor_b64 exec, exec, s[16:17]
; %bb.339:
	v_cmp_ne_u16_e32 vcc, 11, v2
	s_andn2_b64 s[14:15], s[14:15], exec
	s_and_b64 s[20:21], vcc, exec
	s_mov_b64 s[18:19], exec
	s_or_b64 s[14:15], s[14:15], s[20:21]
; %bb.340:
	s_or_b64 exec, exec, s[16:17]
	s_and_b64 s[16:17], s[18:19], exec
	s_andn2_b64 s[18:19], s[4:5], exec
	s_and_b64 s[14:15], s[14:15], exec
	s_or_b64 s[14:15], s[18:19], s[14:15]
.LBB295_341:
	s_or_b64 exec, exec, s[12:13]
	s_andn2_b64 s[4:5], s[4:5], exec
	s_and_b64 s[14:15], s[14:15], exec
	s_and_b64 s[12:13], s[16:17], exec
	s_or_b64 s[4:5], s[4:5], s[14:15]
.LBB295_342:
	s_or_b64 exec, exec, s[10:11]
	s_andn2_b64 s[14:15], s[52:53], exec
	s_and_b64 s[4:5], s[4:5], exec
	s_xor_b64 s[10:11], exec, -1
	s_and_b64 s[12:13], s[12:13], exec
	s_or_b64 s[14:15], s[14:15], s[4:5]
.LBB295_343:
	s_or_b64 exec, exec, s[8:9]
	s_and_b64 s[4:5], s[12:13], exec
	s_andn2_b64 s[8:9], s[52:53], exec
	s_and_b64 s[12:13], s[14:15], exec
	s_and_b64 s[10:11], s[10:11], exec
	s_or_b64 s[8:9], s[8:9], s[12:13]
.LBB295_344:
	s_or_b64 exec, exec, s[54:55]
	s_andn2_b64 s[12:13], s[52:53], exec
	s_and_b64 s[8:9], s[8:9], exec
	s_and_b64 s[10:11], s[10:11], exec
	;; [unrolled: 1-line block ×3, first 2 shown]
	s_or_b64 s[52:53], s[12:13], s[8:9]
.LBB295_345:
	s_or_b64 exec, exec, s[50:51]
	s_and_b64 s[8:9], s[10:11], exec
	s_andn2_b64 s[10:11], s[46:47], exec
	s_and_b64 s[12:13], s[52:53], exec
	s_and_b64 s[4:5], s[4:5], exec
	s_or_b64 s[46:47], s[10:11], s[12:13]
.LBB295_346:
	s_or_b64 exec, exec, s[48:49]
	s_and_b64 s[48:49], s[4:5], exec
	s_andn2_b64 s[4:5], s[34:35], exec
	s_and_b64 s[10:11], s[46:47], exec
	s_and_b64 s[8:9], s[8:9], exec
	s_or_b64 s[34:35], s[4:5], s[10:11]
	s_or_b64 exec, exec, s[44:45]
	s_mov_b64 s[4:5], 0
	s_and_saveexec_b64 s[10:11], s[34:35]
	s_cbranch_execz .LBB295_350
.LBB295_347:
	s_mov_b64 s[4:5], exec
	s_andn2_b64 s[48:49], s[48:49], exec
	s_trap 2
	s_or_b64 exec, exec, s[10:11]
	s_and_saveexec_b64 s[10:11], s[48:49]
	s_xor_b64 s[10:11], exec, s[10:11]
	s_cbranch_execnz .LBB295_351
.LBB295_348:
	s_or_b64 exec, exec, s[10:11]
	s_and_saveexec_b64 s[10:11], s[8:9]
	s_xor_b64 s[8:9], exec, s[10:11]
	s_cbranch_execnz .LBB295_352
	s_branch .LBB295_393
.LBB295_349:
	s_or_b64 exec, exec, s[44:45]
	s_mov_b64 s[4:5], 0
	s_and_saveexec_b64 s[10:11], s[34:35]
	s_cbranch_execnz .LBB295_347
.LBB295_350:
	s_or_b64 exec, exec, s[10:11]
	s_and_saveexec_b64 s[10:11], s[48:49]
	s_xor_b64 s[10:11], exec, s[10:11]
	s_cbranch_execz .LBB295_348
.LBB295_351:
	v_cndmask_b32_e64 v3, 0, 1, s[6:7]
	flat_store_byte v[0:1], v3
	s_or_b64 exec, exec, s[10:11]
	s_and_saveexec_b64 s[10:11], s[8:9]
	s_xor_b64 s[8:9], exec, s[10:11]
	s_cbranch_execz .LBB295_393
.LBB295_352:
	v_cmp_lt_i16_e32 vcc, 4, v2
	s_and_saveexec_b64 s[10:11], vcc
	s_xor_b64 s[10:11], exec, s[10:11]
	s_cbranch_execz .LBB295_374
; %bb.353:
	v_cmp_lt_i16_e32 vcc, 7, v2
	s_and_saveexec_b64 s[12:13], vcc
	s_xor_b64 s[12:13], exec, s[12:13]
	s_cbranch_execz .LBB295_363
; %bb.354:
	;; [unrolled: 5-line block ×4, first 2 shown]
	v_cndmask_b32_e64 v3, 0, 1, s[6:7]
	v_cvt_f64_u32_e32 v[3:4], v3
	v_mov_b32_e32 v5, 0
	v_mov_b32_e32 v6, v5
	flat_store_dwordx4 v[0:1], v[3:6]
.LBB295_357:
	s_andn2_saveexec_b64 s[16:17], s[16:17]
	s_cbranch_execz .LBB295_359
; %bb.358:
	v_cndmask_b32_e64 v3, 0, 1.0, s[6:7]
	v_mov_b32_e32 v4, 0
	flat_store_dwordx2 v[0:1], v[3:4]
.LBB295_359:
	s_or_b64 exec, exec, s[16:17]
.LBB295_360:
	s_andn2_saveexec_b64 s[14:15], s[14:15]
	s_cbranch_execz .LBB295_362
; %bb.361:
	v_cndmask_b32_e64 v3, 0, 1.0, s[6:7]
	v_cvt_f16_f32_e32 v3, v3
	flat_store_dword v[0:1], v3
.LBB295_362:
	s_or_b64 exec, exec, s[14:15]
.LBB295_363:
	s_andn2_saveexec_b64 s[12:13], s[12:13]
	s_cbranch_execz .LBB295_373
; %bb.364:
	v_cmp_lt_i16_e32 vcc, 5, v2
	s_and_saveexec_b64 s[14:15], vcc
	s_xor_b64 s[14:15], exec, s[14:15]
	s_cbranch_execz .LBB295_370
; %bb.365:
	v_cmp_lt_i16_e32 vcc, 6, v2
	s_and_saveexec_b64 s[16:17], vcc
	s_xor_b64 s[16:17], exec, s[16:17]
	s_cbranch_execz .LBB295_367
; %bb.366:
	v_cndmask_b32_e64 v3, 0, 1, s[6:7]
	v_cvt_f64_u32_e32 v[3:4], v3
	flat_store_dwordx2 v[0:1], v[3:4]
.LBB295_367:
	s_andn2_saveexec_b64 s[16:17], s[16:17]
	s_cbranch_execz .LBB295_369
; %bb.368:
	v_cndmask_b32_e64 v3, 0, 1.0, s[6:7]
	flat_store_dword v[0:1], v3
.LBB295_369:
	s_or_b64 exec, exec, s[16:17]
.LBB295_370:
	s_andn2_saveexec_b64 s[14:15], s[14:15]
	s_cbranch_execz .LBB295_372
; %bb.371:
	v_cndmask_b32_e64 v3, 0, 1.0, s[6:7]
	v_cvt_f16_f32_e32 v3, v3
	flat_store_short v[0:1], v3
.LBB295_372:
	s_or_b64 exec, exec, s[14:15]
.LBB295_373:
	s_or_b64 exec, exec, s[12:13]
.LBB295_374:
	s_andn2_saveexec_b64 s[10:11], s[10:11]
	s_cbranch_execz .LBB295_392
; %bb.375:
	v_cmp_lt_i16_e32 vcc, 1, v2
	s_and_saveexec_b64 s[12:13], vcc
	s_xor_b64 s[12:13], exec, s[12:13]
	s_cbranch_execz .LBB295_385
; %bb.376:
	v_cmp_lt_i16_e32 vcc, 2, v2
	s_and_saveexec_b64 s[14:15], vcc
	s_xor_b64 s[14:15], exec, s[14:15]
	;; [unrolled: 5-line block ×3, first 2 shown]
	s_cbranch_execz .LBB295_379
; %bb.378:
	s_mov_b32 s18, 0
	v_cndmask_b32_e64 v3, 0, 1, s[6:7]
	v_mov_b32_e32 v4, s18
	flat_store_dwordx2 v[0:1], v[3:4]
                                        ; implicit-def: $vgpr0_vgpr1
.LBB295_379:
	s_andn2_saveexec_b64 s[16:17], s[16:17]
	s_cbranch_execz .LBB295_381
; %bb.380:
	v_cndmask_b32_e64 v3, 0, 1, s[6:7]
	flat_store_dword v[0:1], v3
.LBB295_381:
	s_or_b64 exec, exec, s[16:17]
                                        ; implicit-def: $vgpr0_vgpr1
.LBB295_382:
	s_andn2_saveexec_b64 s[14:15], s[14:15]
	s_cbranch_execz .LBB295_384
; %bb.383:
	v_cndmask_b32_e64 v3, 0, 1, s[6:7]
	flat_store_short v[0:1], v3
.LBB295_384:
	s_or_b64 exec, exec, s[14:15]
                                        ; implicit-def: $vgpr0_vgpr1
.LBB295_385:
	s_andn2_saveexec_b64 s[12:13], s[12:13]
	s_cbranch_execz .LBB295_391
; %bb.386:
	v_cmp_lt_i16_e32 vcc, 0, v2
	v_cndmask_b32_e64 v2, 0, 1, s[6:7]
	s_and_saveexec_b64 s[6:7], vcc
	s_xor_b64 s[6:7], exec, s[6:7]
	s_cbranch_execz .LBB295_388
; %bb.387:
	flat_store_byte v[0:1], v2
                                        ; implicit-def: $vgpr0_vgpr1
                                        ; implicit-def: $vgpr2
.LBB295_388:
	s_andn2_saveexec_b64 s[6:7], s[6:7]
	s_cbranch_execz .LBB295_390
; %bb.389:
	flat_store_byte v[0:1], v2
.LBB295_390:
	s_or_b64 exec, exec, s[6:7]
.LBB295_391:
	s_or_b64 exec, exec, s[12:13]
.LBB295_392:
	s_or_b64 exec, exec, s[10:11]
.LBB295_393:
	s_or_b64 exec, exec, s[8:9]
	s_and_b64 s[34:35], s[4:5], exec
                                        ; implicit-def: $vgpr7
.LBB295_394:
	s_or_saveexec_b64 s[36:37], s[36:37]
	s_mov_b64 s[4:5], 0
                                        ; implicit-def: $sgpr40_sgpr41
                                        ; implicit-def: $vgpr0_vgpr1
                                        ; implicit-def: $vgpr18
	s_xor_b64 exec, exec, s[36:37]
	s_cbranch_execz .LBB295_1850
; %bb.395:
	buffer_load_dword v16, off, s[0:3], 0 offset:36
	s_mov_b64 s[4:5], src_private_base
	s_mov_b32 s33, 8
	s_mov_b32 s39, 28
	;; [unrolled: 1-line block ×3, first 2 shown]
	s_getpc_b64 s[6:7]
	s_add_u32 s6, s6, _ZN2at6native6invokeINS0_13BinaryFunctorIN3c1015Float8_e4m3fnuzES4_bNS0_12_GLOBAL__N_116CompareEqFunctorIS4_EEEEi15function_traitsIS8_EEENT1_11result_typeERKT_PrKPcPKT0_PKNS3_10ScalarTypeEi@rel32@lo+4
	s_addc_u32 s7, s7, _ZN2at6native6invokeINS0_13BinaryFunctorIN3c1015Float8_e4m3fnuzES4_bNS0_12_GLOBAL__N_116CompareEqFunctorIS4_EEEEi15function_traitsIS8_EEENT1_11result_typeERKT_PrKPcPKT0_PKNS3_10ScalarTypeEi@rel32@hi+12
	v_mov_b32_e32 v1, s33
	v_mov_b32_e32 v2, s5
	;; [unrolled: 1-line block ×6, first 2 shown]
	s_waitcnt vmcnt(0)
	v_mov_b32_e32 v0, v16
	s_swappc_b64 s[30:31], s[6:7]
	v_and_b32_e32 v0, 1, v0
	v_cmp_eq_u32_e32 vcc, 1, v0
	v_mov_b32_e32 v0, s39
	buffer_load_dword v12, v0, s[0:3], 0 offen
	v_mov_b32_e32 v0, s38
	buffer_load_ubyte v6, v0, s[0:3], 0 offen
	v_mov_b32_e32 v0, s33
	buffer_load_dword v10, v0, s[0:3], 0 offen
	buffer_load_dword v11, v0, s[0:3], 0 offen offset:4
                                        ; kill: killed $vgpr0
	buffer_load_dword v2, off, s[0:3], 0
	buffer_load_dword v3, off, s[0:3], 0 offset:4
	buffer_load_dword v4, off, s[0:3], 0 offset:24
	v_add_u32_e32 v15, 0x80, v7
	s_mov_b64 s[12:13], 0
	s_mov_b64 s[8:9], s[34:35]
                                        ; implicit-def: $vgpr17
	s_waitcnt vmcnt(6)
	v_mul_lo_u32 v13, v12, v15
	s_waitcnt vmcnt(5)
	v_cmp_lt_i16_e64 s[4:5], 10, v6
	v_ashrrev_i32_e32 v1, 31, v13
	s_waitcnt vmcnt(4)
	v_add_co_u32_e64 v0, s[6:7], v10, v13
	s_waitcnt vmcnt(3)
	v_addc_co_u32_e64 v1, s[6:7], v11, v1, s[6:7]
	s_and_saveexec_b64 s[6:7], s[4:5]
	s_xor_b64 s[6:7], exec, s[6:7]
	s_cbranch_execz .LBB295_464
; %bb.396:
	v_cmp_lt_i16_e64 s[4:5], 25, v6
	s_mov_b64 s[8:9], 0
	s_mov_b64 s[10:11], 0
                                        ; implicit-def: $vgpr17
	s_and_saveexec_b64 s[14:15], s[4:5]
	s_xor_b64 s[14:15], exec, s[14:15]
	s_cbranch_execz .LBB295_1934
; %bb.397:
	v_cmp_lt_i16_e64 s[4:5], 28, v6
	s_mov_b64 s[16:17], 0
                                        ; implicit-def: $vgpr17
	s_and_saveexec_b64 s[10:11], s[4:5]
	s_xor_b64 s[10:11], exec, s[10:11]
	s_cbranch_execz .LBB295_431
; %bb.398:
	v_cmp_lt_i16_e64 s[4:5], 43, v6
	s_mov_b64 s[18:19], 0
	s_mov_b64 s[20:21], 0
                                        ; implicit-def: $vgpr17
	s_and_saveexec_b64 s[12:13], s[4:5]
	s_xor_b64 s[12:13], exec, s[12:13]
	s_cbranch_execz .LBB295_420
; %bb.399:
	v_cmp_lt_i16_e64 s[4:5], 45, v6
                                        ; implicit-def: $vgpr17
	s_and_saveexec_b64 s[20:21], s[4:5]
	s_xor_b64 s[20:21], exec, s[20:21]
	s_cbranch_execz .LBB295_409
; %bb.400:
	v_cmp_eq_u16_e64 s[4:5], 46, v6
	s_mov_b64 s[22:23], -1
                                        ; implicit-def: $vgpr17
	s_and_saveexec_b64 s[16:17], s[4:5]
	s_cbranch_execz .LBB295_408
; %bb.401:
	flat_load_dword v5, v[0:1]
	s_mov_b32 s4, 0x43800000
	v_mov_b32_e32 v17, 0x80
	s_waitcnt vmcnt(0) lgkmcnt(0)
	v_lshlrev_b32_e32 v5, 16, v5
	v_and_b32_e32 v8, 0x7fffffff, v5
	v_cmp_gt_u32_e64 s[4:5], s4, v8
	s_and_saveexec_b64 s[18:19], s[4:5]
	s_cbranch_execz .LBB295_407
; %bb.402:
	s_mov_b32 s4, 0x3bffffff
	v_cmp_lt_u32_e64 s[4:5], s4, v8
	s_mov_b64 s[22:23], 0
                                        ; implicit-def: $vgpr8
	s_and_saveexec_b64 s[24:25], s[4:5]
	s_xor_b64 s[4:5], exec, s[24:25]
	s_cbranch_execz .LBB295_2406
; %bb.403:
	v_bfe_u32 v8, v5, 20, 1
	s_mov_b32 s24, 0x487ffff
	v_add3_u32 v8, v5, v8, s24
	s_mov_b64 s[22:23], exec
	v_lshrrev_b32_e32 v8, 20, v8
	s_andn2_saveexec_b64 s[24:25], s[4:5]
	s_cbranch_execnz .LBB295_2407
.LBB295_404:
	s_or_b64 exec, exec, s[24:25]
	v_mov_b32_e32 v17, 0
	s_and_saveexec_b64 s[4:5], s[22:23]
.LBB295_405:
	v_lshrrev_b32_e32 v5, 24, v5
	s_movk_i32 s22, 0x80
	v_and_or_b32 v17, v5, s22, v8
.LBB295_406:
	s_or_b64 exec, exec, s[4:5]
.LBB295_407:
	s_or_b64 exec, exec, s[18:19]
	s_mov_b64 s[18:19], exec
	s_xor_b64 s[22:23], exec, -1
.LBB295_408:
	s_or_b64 exec, exec, s[16:17]
	s_and_b64 s[18:19], s[18:19], exec
	s_and_b64 s[16:17], s[22:23], exec
.LBB295_409:
	s_andn2_saveexec_b64 s[20:21], s[20:21]
	s_cbranch_execz .LBB295_419
; %bb.410:
	v_cmp_eq_u16_e64 s[4:5], 44, v6
	s_mov_b64 s[24:25], -1
	s_mov_b64 s[26:27], s[18:19]
                                        ; implicit-def: $vgpr17
	s_and_saveexec_b64 s[22:23], s[4:5]
	s_cbranch_execz .LBB295_418
; %bb.411:
	flat_load_ubyte v5, v[0:1]
	s_movk_i32 s4, 0xff
	v_mov_b32_e32 v8, 0x7f800001
	v_mov_b32_e32 v9, 0x400000
	s_mov_b32 s24, 0x43800000
	v_mov_b32_e32 v17, 0x80
	s_waitcnt vmcnt(0) lgkmcnt(0)
	v_lshlrev_b32_e32 v14, 23, v5
	v_cmp_ne_u32_e64 s[4:5], s4, v5
	v_cndmask_b32_e64 v8, v8, v14, s[4:5]
	v_cmp_ne_u32_e64 s[4:5], 0, v5
	v_cndmask_b32_e64 v8, v9, v8, s[4:5]
	v_cmp_gt_u32_e64 s[4:5], s24, v8
	s_and_saveexec_b64 s[24:25], s[4:5]
	s_cbranch_execz .LBB295_417
; %bb.412:
	s_mov_b32 s4, 0x3bffffff
	v_cmp_lt_u32_e64 s[4:5], s4, v8
	s_mov_b64 s[26:27], 0
                                        ; implicit-def: $vgpr5
	s_and_saveexec_b64 s[28:29], s[4:5]
	s_xor_b64 s[4:5], exec, s[28:29]
	s_cbranch_execz .LBB295_2408
; %bb.413:
	v_bfe_u32 v5, v8, 20, 1
	s_mov_b32 s28, 0x487ffff
	v_add3_u32 v5, v8, v5, s28
	s_mov_b64 s[26:27], exec
	v_lshrrev_b32_e32 v5, 20, v5
                                        ; implicit-def: $vgpr8
	s_andn2_saveexec_b64 s[28:29], s[4:5]
	s_cbranch_execnz .LBB295_2409
.LBB295_414:
	s_or_b64 exec, exec, s[28:29]
	v_mov_b32_e32 v17, 0
	s_and_saveexec_b64 s[4:5], s[26:27]
.LBB295_415:
	v_mov_b32_e32 v17, v5
.LBB295_416:
	s_or_b64 exec, exec, s[4:5]
.LBB295_417:
	s_or_b64 exec, exec, s[24:25]
	s_or_b64 s[26:27], s[18:19], exec
	s_xor_b64 s[24:25], exec, -1
.LBB295_418:
	s_or_b64 exec, exec, s[22:23]
	s_andn2_b64 s[4:5], s[18:19], exec
	s_and_b64 s[18:19], s[26:27], exec
	s_or_b64 s[18:19], s[4:5], s[18:19]
	s_andn2_b64 s[4:5], s[16:17], exec
	s_and_b64 s[16:17], s[24:25], exec
	s_or_b64 s[16:17], s[4:5], s[16:17]
.LBB295_419:
	s_or_b64 exec, exec, s[20:21]
	s_and_b64 s[20:21], s[18:19], exec
	s_and_b64 s[18:19], s[16:17], exec
.LBB295_420:
	s_andn2_saveexec_b64 s[12:13], s[12:13]
	s_cbranch_execz .LBB295_430
; %bb.421:
	v_cmp_eq_u16_e64 s[4:5], 29, v6
	s_mov_b64 s[22:23], -1
	s_mov_b64 s[24:25], s[20:21]
                                        ; implicit-def: $vgpr17
	s_and_saveexec_b64 s[16:17], s[4:5]
	s_cbranch_execz .LBB295_429
; %bb.422:
	flat_load_dwordx2 v[8:9], v[0:1]
	s_mov_b32 s4, 0x43800000
	v_mov_b32_e32 v17, 0x80
	s_waitcnt vmcnt(0) lgkmcnt(0)
	v_ffbh_u32_e32 v5, v9
	v_min_u32_e32 v5, 32, v5
	v_lshlrev_b64 v[8:9], v5, v[8:9]
	v_sub_u32_e32 v5, 32, v5
	v_min_u32_e32 v8, 1, v8
	v_or_b32_e32 v8, v9, v8
	v_cvt_f32_u32_e32 v8, v8
	v_ldexp_f32 v8, v8, v5
	v_cmp_gt_u32_e64 s[4:5], s4, v8
	s_and_saveexec_b64 s[22:23], s[4:5]
	s_cbranch_execz .LBB295_428
; %bb.423:
	s_mov_b32 s4, 0x3bffffff
	v_cmp_lt_u32_e64 s[4:5], s4, v8
	s_mov_b64 s[24:25], 0
                                        ; implicit-def: $vgpr5
	s_and_saveexec_b64 s[26:27], s[4:5]
	s_xor_b64 s[4:5], exec, s[26:27]
	s_cbranch_execz .LBB295_2311
; %bb.424:
	v_bfe_u32 v5, v8, 20, 1
	s_mov_b32 s26, 0x487ffff
	v_add3_u32 v5, v8, v5, s26
	s_mov_b64 s[24:25], exec
	v_lshrrev_b32_e32 v5, 20, v5
                                        ; implicit-def: $vgpr8
	s_andn2_saveexec_b64 s[26:27], s[4:5]
	s_cbranch_execnz .LBB295_2312
.LBB295_425:
	s_or_b64 exec, exec, s[26:27]
	v_mov_b32_e32 v17, 0
	s_and_saveexec_b64 s[4:5], s[24:25]
.LBB295_426:
	v_mov_b32_e32 v17, v5
.LBB295_427:
	s_or_b64 exec, exec, s[4:5]
.LBB295_428:
	s_or_b64 exec, exec, s[22:23]
	s_or_b64 s[24:25], s[20:21], exec
	s_xor_b64 s[22:23], exec, -1
.LBB295_429:
	s_or_b64 exec, exec, s[16:17]
	s_andn2_b64 s[4:5], s[20:21], exec
	s_and_b64 s[16:17], s[24:25], exec
	s_or_b64 s[20:21], s[4:5], s[16:17]
	s_andn2_b64 s[4:5], s[18:19], exec
	s_and_b64 s[16:17], s[22:23], exec
	s_or_b64 s[18:19], s[4:5], s[16:17]
.LBB295_430:
	s_or_b64 exec, exec, s[12:13]
	s_and_b64 s[16:17], s[20:21], exec
	s_and_b64 s[12:13], s[18:19], exec
.LBB295_431:
	s_andn2_saveexec_b64 s[10:11], s[10:11]
	s_cbranch_execz .LBB295_453
; %bb.432:
	v_cmp_lt_i16_e64 s[4:5], 26, v6
                                        ; implicit-def: $vgpr17
	s_and_saveexec_b64 s[18:19], s[4:5]
	s_xor_b64 s[18:19], exec, s[18:19]
	s_cbranch_execz .LBB295_450
; %bb.433:
	v_cmp_lt_i16_e64 s[4:5], 27, v6
                                        ; implicit-def: $vgpr17
	s_and_saveexec_b64 s[20:21], s[4:5]
	s_xor_b64 s[20:21], exec, s[20:21]
	s_cbranch_execz .LBB295_441
; %bb.434:
	flat_load_dword v5, v[0:1]
	s_mov_b32 s4, 0x43800000
	v_mov_b32_e32 v17, 0x80
	s_waitcnt vmcnt(0) lgkmcnt(0)
	v_cvt_f32_u32_e32 v8, v5
	v_cmp_gt_u32_e64 s[4:5], s4, v8
	s_and_saveexec_b64 s[22:23], s[4:5]
	s_cbranch_execz .LBB295_440
; %bb.435:
	s_mov_b32 s4, 0x3bffffff
	v_cmp_lt_u32_e64 s[4:5], s4, v8
	s_mov_b64 s[24:25], 0
                                        ; implicit-def: $vgpr5
	s_and_saveexec_b64 s[26:27], s[4:5]
	s_xor_b64 s[4:5], exec, s[26:27]
	s_cbranch_execz .LBB295_2313
; %bb.436:
	v_bfe_u32 v5, v8, 20, 1
	s_mov_b32 s26, 0x487ffff
	v_add3_u32 v5, v8, v5, s26
	s_mov_b64 s[24:25], exec
	v_lshrrev_b32_e32 v5, 20, v5
                                        ; implicit-def: $vgpr8
	s_andn2_saveexec_b64 s[26:27], s[4:5]
	s_cbranch_execnz .LBB295_2314
.LBB295_437:
	s_or_b64 exec, exec, s[26:27]
	v_mov_b32_e32 v17, 0
	s_and_saveexec_b64 s[4:5], s[24:25]
.LBB295_438:
	v_mov_b32_e32 v17, v5
.LBB295_439:
	s_or_b64 exec, exec, s[4:5]
.LBB295_440:
	s_or_b64 exec, exec, s[22:23]
.LBB295_441:
	s_andn2_saveexec_b64 s[20:21], s[20:21]
	s_cbranch_execz .LBB295_449
; %bb.442:
	flat_load_ushort v5, v[0:1]
	s_mov_b32 s4, 0x43800000
	v_mov_b32_e32 v17, 0x80
	s_waitcnt vmcnt(0) lgkmcnt(0)
	v_cvt_f32_u32_e32 v8, v5
	v_cmp_gt_u32_e64 s[4:5], s4, v8
	s_and_saveexec_b64 s[22:23], s[4:5]
	s_cbranch_execz .LBB295_448
; %bb.443:
	s_mov_b32 s4, 0x3bffffff
	v_cmp_lt_u32_e64 s[4:5], s4, v8
	s_mov_b64 s[24:25], 0
                                        ; implicit-def: $vgpr5
	s_and_saveexec_b64 s[26:27], s[4:5]
	s_xor_b64 s[4:5], exec, s[26:27]
	s_cbranch_execz .LBB295_2315
; %bb.444:
	v_bfe_u32 v5, v8, 20, 1
	s_mov_b32 s26, 0x487ffff
	v_add3_u32 v5, v8, v5, s26
	s_mov_b64 s[24:25], exec
	v_lshrrev_b32_e32 v5, 20, v5
                                        ; implicit-def: $vgpr8
	s_andn2_saveexec_b64 s[26:27], s[4:5]
	s_cbranch_execnz .LBB295_2316
.LBB295_445:
	s_or_b64 exec, exec, s[26:27]
	v_mov_b32_e32 v17, 0
	s_and_saveexec_b64 s[4:5], s[24:25]
.LBB295_446:
	v_mov_b32_e32 v17, v5
.LBB295_447:
	s_or_b64 exec, exec, s[4:5]
.LBB295_448:
	s_or_b64 exec, exec, s[22:23]
.LBB295_449:
	s_or_b64 exec, exec, s[20:21]
.LBB295_450:
	s_andn2_saveexec_b64 s[4:5], s[18:19]
	s_cbranch_execz .LBB295_452
; %bb.451:
	flat_load_ubyte v17, v[0:1]
.LBB295_452:
	s_or_b64 exec, exec, s[4:5]
	s_or_b64 s[16:17], s[16:17], exec
.LBB295_453:
	s_or_b64 exec, exec, s[10:11]
	s_and_b64 s[10:11], s[16:17], exec
	s_and_b64 s[12:13], s[12:13], exec
	s_andn2_saveexec_b64 s[14:15], s[14:15]
	s_cbranch_execnz .LBB295_1935
.LBB295_454:
	s_or_b64 exec, exec, s[14:15]
	s_mov_b64 s[14:15], s[34:35]
	s_and_saveexec_b64 s[4:5], s[12:13]
	s_cbranch_execnz .LBB295_1984
.LBB295_455:
	s_or_b64 exec, exec, s[4:5]
	s_and_saveexec_b64 s[4:5], s[8:9]
	s_xor_b64 s[8:9], exec, s[4:5]
	s_cbranch_execz .LBB295_463
.LBB295_456:
	flat_load_ubyte v0, v[0:1]
	s_mov_b32 s12, 0x43800000
	s_waitcnt vmcnt(0) lgkmcnt(0)
	v_mov_b32_e32 v17, 0x80
	v_cmp_ne_u16_e64 s[4:5], 0, v0
	v_cndmask_b32_e64 v1, 0, 1.0, s[4:5]
	v_cmp_gt_u32_e64 s[4:5], s12, v1
	s_and_saveexec_b64 s[12:13], s[4:5]
	s_cbranch_execz .LBB295_462
; %bb.457:
	s_mov_b32 s4, 0x3bffffff
	v_cmp_lt_u32_e64 s[4:5], s4, v1
	s_mov_b64 s[16:17], 0
                                        ; implicit-def: $vgpr0
	s_and_saveexec_b64 s[18:19], s[4:5]
	s_xor_b64 s[4:5], exec, s[18:19]
	s_cbranch_execz .LBB295_2120
; %bb.458:
	v_bfe_u32 v0, v1, 20, 1
	s_mov_b32 s18, 0x487ffff
	v_add3_u32 v0, v1, v0, s18
	s_mov_b64 s[16:17], exec
	v_lshrrev_b32_e32 v0, 20, v0
                                        ; implicit-def: $vgpr1
	s_andn2_saveexec_b64 s[18:19], s[4:5]
	s_cbranch_execnz .LBB295_2121
.LBB295_459:
	s_or_b64 exec, exec, s[18:19]
	v_mov_b32_e32 v17, 0
	s_and_saveexec_b64 s[4:5], s[16:17]
.LBB295_460:
	v_mov_b32_e32 v17, v0
.LBB295_461:
	s_or_b64 exec, exec, s[4:5]
.LBB295_462:
	s_or_b64 exec, exec, s[12:13]
	s_or_b64 s[10:11], s[10:11], exec
.LBB295_463:
	s_or_b64 exec, exec, s[8:9]
	s_andn2_b64 s[4:5], s[34:35], exec
	s_and_b64 s[8:9], s[14:15], exec
	s_or_b64 s[8:9], s[4:5], s[8:9]
	s_and_b64 s[12:13], s[10:11], exec
                                        ; implicit-def: $vgpr0_vgpr1
.LBB295_464:
	s_andn2_saveexec_b64 s[6:7], s[6:7]
	s_cbranch_execz .LBB295_572
; %bb.465:
	v_cmp_lt_i16_e64 s[4:5], 4, v6
                                        ; implicit-def: $vgpr17
	s_and_saveexec_b64 s[10:11], s[4:5]
	s_xor_b64 s[10:11], exec, s[10:11]
	s_cbranch_execz .LBB295_523
; %bb.466:
	v_cmp_lt_i16_e64 s[4:5], 7, v6
                                        ; implicit-def: $vgpr17
	s_and_saveexec_b64 s[14:15], s[4:5]
	s_xor_b64 s[14:15], exec, s[14:15]
	;; [unrolled: 6-line block ×4, first 2 shown]
	s_cbranch_execz .LBB295_476
; %bb.469:
	flat_load_dwordx2 v[0:1], v[0:1]
	s_mov_b32 s4, 0x43800000
	s_waitcnt vmcnt(0) lgkmcnt(0)
	v_mov_b32_e32 v17, 0x80
	v_cvt_f32_f64_e32 v0, v[0:1]
	v_and_b32_e32 v1, 0x7fffffff, v0
	v_cmp_gt_u32_e64 s[4:5], s4, v1
	s_and_saveexec_b64 s[20:21], s[4:5]
	s_cbranch_execz .LBB295_475
; %bb.470:
	s_mov_b32 s4, 0x3bffffff
	v_cmp_lt_u32_e64 s[4:5], s4, v1
	s_mov_b64 s[22:23], 0
                                        ; implicit-def: $vgpr1
	s_and_saveexec_b64 s[24:25], s[4:5]
	s_xor_b64 s[4:5], exec, s[24:25]
	s_cbranch_execz .LBB295_2317
; %bb.471:
	v_bfe_u32 v1, v0, 20, 1
	s_mov_b32 s24, 0x487ffff
	v_add3_u32 v1, v0, v1, s24
	s_mov_b64 s[22:23], exec
	v_lshrrev_b32_e32 v1, 20, v1
	s_andn2_saveexec_b64 s[24:25], s[4:5]
	s_cbranch_execnz .LBB295_2318
.LBB295_472:
	s_or_b64 exec, exec, s[24:25]
	v_mov_b32_e32 v17, 0
	s_and_saveexec_b64 s[4:5], s[22:23]
.LBB295_473:
	v_lshrrev_b32_e32 v0, 24, v0
	s_movk_i32 s22, 0x80
	v_and_or_b32 v17, v0, s22, v1
.LBB295_474:
	s_or_b64 exec, exec, s[4:5]
.LBB295_475:
	s_or_b64 exec, exec, s[20:21]
                                        ; implicit-def: $vgpr0_vgpr1
.LBB295_476:
	s_andn2_saveexec_b64 s[18:19], s[18:19]
	s_cbranch_execz .LBB295_484
; %bb.477:
	flat_load_dword v0, v[0:1]
	s_mov_b32 s4, 0x43800000
	s_waitcnt vmcnt(0) lgkmcnt(0)
	v_mov_b32_e32 v17, 0x80
	v_and_b32_e32 v1, 0x7fffffff, v0
	v_cmp_gt_u32_e64 s[4:5], s4, v1
	s_and_saveexec_b64 s[20:21], s[4:5]
	s_cbranch_execz .LBB295_483
; %bb.478:
	s_mov_b32 s4, 0x3bffffff
	v_cmp_lt_u32_e64 s[4:5], s4, v1
	s_mov_b64 s[22:23], 0
                                        ; implicit-def: $vgpr1
	s_and_saveexec_b64 s[24:25], s[4:5]
	s_xor_b64 s[4:5], exec, s[24:25]
	s_cbranch_execz .LBB295_2319
; %bb.479:
	v_bfe_u32 v1, v0, 20, 1
	s_mov_b32 s24, 0x487ffff
	v_add3_u32 v1, v0, v1, s24
	s_mov_b64 s[22:23], exec
	v_lshrrev_b32_e32 v1, 20, v1
	s_andn2_saveexec_b64 s[24:25], s[4:5]
	s_cbranch_execnz .LBB295_2320
.LBB295_480:
	s_or_b64 exec, exec, s[24:25]
	v_mov_b32_e32 v17, 0
	s_and_saveexec_b64 s[4:5], s[22:23]
.LBB295_481:
	v_lshrrev_b32_e32 v0, 24, v0
	s_movk_i32 s22, 0x80
	v_and_or_b32 v17, v0, s22, v1
.LBB295_482:
	s_or_b64 exec, exec, s[4:5]
.LBB295_483:
	s_or_b64 exec, exec, s[20:21]
.LBB295_484:
	s_or_b64 exec, exec, s[18:19]
                                        ; implicit-def: $vgpr0_vgpr1
.LBB295_485:
	s_andn2_saveexec_b64 s[16:17], s[16:17]
	s_cbranch_execz .LBB295_493
; %bb.486:
	flat_load_dword v0, v[0:1]
	s_mov_b32 s4, 0x43800000
	s_waitcnt vmcnt(0) lgkmcnt(0)
	v_mov_b32_e32 v17, 0x80
	v_cvt_f32_f16_e32 v0, v0
	v_and_b32_e32 v1, 0x7fffffff, v0
	v_cmp_gt_u32_e64 s[4:5], s4, v1
	s_and_saveexec_b64 s[18:19], s[4:5]
	s_cbranch_execz .LBB295_492
; %bb.487:
	s_mov_b32 s4, 0x3bffffff
	v_cmp_lt_u32_e64 s[4:5], s4, v1
	s_mov_b64 s[20:21], 0
                                        ; implicit-def: $vgpr1
	s_and_saveexec_b64 s[22:23], s[4:5]
	s_xor_b64 s[4:5], exec, s[22:23]
	s_cbranch_execz .LBB295_2234
; %bb.488:
	v_bfe_u32 v1, v0, 20, 1
	s_mov_b32 s22, 0x487ffff
	v_add3_u32 v1, v0, v1, s22
	s_mov_b64 s[20:21], exec
	v_lshrrev_b32_e32 v1, 20, v1
	s_andn2_saveexec_b64 s[22:23], s[4:5]
	s_cbranch_execnz .LBB295_2235
.LBB295_489:
	s_or_b64 exec, exec, s[22:23]
	v_mov_b32_e32 v17, 0
	s_and_saveexec_b64 s[4:5], s[20:21]
.LBB295_490:
	v_lshrrev_b32_e32 v0, 24, v0
	s_movk_i32 s20, 0x80
	v_and_or_b32 v17, v0, s20, v1
.LBB295_491:
	s_or_b64 exec, exec, s[4:5]
.LBB295_492:
	s_or_b64 exec, exec, s[18:19]
.LBB295_493:
	s_or_b64 exec, exec, s[16:17]
                                        ; implicit-def: $vgpr0_vgpr1
.LBB295_494:
	s_andn2_saveexec_b64 s[14:15], s[14:15]
	s_cbranch_execz .LBB295_522
; %bb.495:
	v_cmp_lt_i16_e64 s[4:5], 5, v6
                                        ; implicit-def: $vgpr17
	s_and_saveexec_b64 s[16:17], s[4:5]
	s_xor_b64 s[16:17], exec, s[16:17]
	s_cbranch_execz .LBB295_513
; %bb.496:
	v_cmp_lt_i16_e64 s[4:5], 6, v6
                                        ; implicit-def: $vgpr17
	s_and_saveexec_b64 s[18:19], s[4:5]
	s_xor_b64 s[18:19], exec, s[18:19]
	s_cbranch_execz .LBB295_504
; %bb.497:
	flat_load_dwordx2 v[0:1], v[0:1]
	s_mov_b32 s4, 0x43800000
	s_waitcnt vmcnt(0) lgkmcnt(0)
	v_mov_b32_e32 v17, 0x80
	v_cvt_f32_f64_e32 v0, v[0:1]
	v_and_b32_e32 v1, 0x7fffffff, v0
	v_cmp_gt_u32_e64 s[4:5], s4, v1
	s_and_saveexec_b64 s[20:21], s[4:5]
	s_cbranch_execz .LBB295_503
; %bb.498:
	s_mov_b32 s4, 0x3bffffff
	v_cmp_lt_u32_e64 s[4:5], s4, v1
	s_mov_b64 s[22:23], 0
                                        ; implicit-def: $vgpr1
	s_and_saveexec_b64 s[24:25], s[4:5]
	s_xor_b64 s[4:5], exec, s[24:25]
	s_cbranch_execz .LBB295_2321
; %bb.499:
	v_bfe_u32 v1, v0, 20, 1
	s_mov_b32 s24, 0x487ffff
	v_add3_u32 v1, v0, v1, s24
	s_mov_b64 s[22:23], exec
	v_lshrrev_b32_e32 v1, 20, v1
	s_andn2_saveexec_b64 s[24:25], s[4:5]
	s_cbranch_execnz .LBB295_2322
.LBB295_500:
	s_or_b64 exec, exec, s[24:25]
	v_mov_b32_e32 v17, 0
	s_and_saveexec_b64 s[4:5], s[22:23]
.LBB295_501:
	v_lshrrev_b32_e32 v0, 24, v0
	s_movk_i32 s22, 0x80
	v_and_or_b32 v17, v0, s22, v1
.LBB295_502:
	s_or_b64 exec, exec, s[4:5]
.LBB295_503:
	s_or_b64 exec, exec, s[20:21]
                                        ; implicit-def: $vgpr0_vgpr1
.LBB295_504:
	s_andn2_saveexec_b64 s[18:19], s[18:19]
	s_cbranch_execz .LBB295_512
; %bb.505:
	flat_load_dword v0, v[0:1]
	s_mov_b32 s4, 0x43800000
	s_waitcnt vmcnt(0) lgkmcnt(0)
	v_mov_b32_e32 v17, 0x80
	v_and_b32_e32 v1, 0x7fffffff, v0
	v_cmp_gt_u32_e64 s[4:5], s4, v1
	s_and_saveexec_b64 s[20:21], s[4:5]
	s_cbranch_execz .LBB295_511
; %bb.506:
	s_mov_b32 s4, 0x3bffffff
	v_cmp_lt_u32_e64 s[4:5], s4, v1
	s_mov_b64 s[22:23], 0
                                        ; implicit-def: $vgpr1
	s_and_saveexec_b64 s[24:25], s[4:5]
	s_xor_b64 s[4:5], exec, s[24:25]
	s_cbranch_execz .LBB295_2323
; %bb.507:
	v_bfe_u32 v1, v0, 20, 1
	s_mov_b32 s24, 0x487ffff
	v_add3_u32 v1, v0, v1, s24
	s_mov_b64 s[22:23], exec
	v_lshrrev_b32_e32 v1, 20, v1
	s_andn2_saveexec_b64 s[24:25], s[4:5]
	s_cbranch_execnz .LBB295_2324
.LBB295_508:
	s_or_b64 exec, exec, s[24:25]
	v_mov_b32_e32 v17, 0
	s_and_saveexec_b64 s[4:5], s[22:23]
.LBB295_509:
	v_lshrrev_b32_e32 v0, 24, v0
	s_movk_i32 s22, 0x80
	v_and_or_b32 v17, v0, s22, v1
.LBB295_510:
	s_or_b64 exec, exec, s[4:5]
.LBB295_511:
	s_or_b64 exec, exec, s[20:21]
.LBB295_512:
	s_or_b64 exec, exec, s[18:19]
                                        ; implicit-def: $vgpr0_vgpr1
.LBB295_513:
	s_andn2_saveexec_b64 s[16:17], s[16:17]
	s_cbranch_execz .LBB295_521
; %bb.514:
	flat_load_ushort v0, v[0:1]
	s_mov_b32 s4, 0x43800000
	s_waitcnt vmcnt(0) lgkmcnt(0)
	v_mov_b32_e32 v17, 0x80
	v_cvt_f32_f16_e32 v0, v0
	v_and_b32_e32 v1, 0x7fffffff, v0
	v_cmp_gt_u32_e64 s[4:5], s4, v1
	s_and_saveexec_b64 s[18:19], s[4:5]
	s_cbranch_execz .LBB295_520
; %bb.515:
	s_mov_b32 s4, 0x3bffffff
	v_cmp_lt_u32_e64 s[4:5], s4, v1
	s_mov_b64 s[20:21], 0
                                        ; implicit-def: $vgpr1
	s_and_saveexec_b64 s[22:23], s[4:5]
	s_xor_b64 s[4:5], exec, s[22:23]
	s_cbranch_execz .LBB295_2236
; %bb.516:
	v_bfe_u32 v1, v0, 20, 1
	s_mov_b32 s22, 0x487ffff
	v_add3_u32 v1, v0, v1, s22
	s_mov_b64 s[20:21], exec
	v_lshrrev_b32_e32 v1, 20, v1
	s_andn2_saveexec_b64 s[22:23], s[4:5]
	s_cbranch_execnz .LBB295_2237
.LBB295_517:
	s_or_b64 exec, exec, s[22:23]
	v_mov_b32_e32 v17, 0
	s_and_saveexec_b64 s[4:5], s[20:21]
.LBB295_518:
	v_lshrrev_b32_e32 v0, 24, v0
	s_movk_i32 s20, 0x80
	v_and_or_b32 v17, v0, s20, v1
.LBB295_519:
	s_or_b64 exec, exec, s[4:5]
.LBB295_520:
	s_or_b64 exec, exec, s[18:19]
.LBB295_521:
	s_or_b64 exec, exec, s[16:17]
.LBB295_522:
	s_or_b64 exec, exec, s[14:15]
                                        ; implicit-def: $vgpr0_vgpr1
.LBB295_523:
	s_andn2_saveexec_b64 s[10:11], s[10:11]
	s_cbranch_execz .LBB295_571
; %bb.524:
	v_cmp_lt_i16_e64 s[4:5], 1, v6
                                        ; implicit-def: $vgpr17
	s_and_saveexec_b64 s[14:15], s[4:5]
	s_xor_b64 s[14:15], exec, s[14:15]
	s_cbranch_execz .LBB295_552
; %bb.525:
	v_cmp_lt_i16_e64 s[4:5], 2, v6
                                        ; implicit-def: $vgpr17
	s_and_saveexec_b64 s[16:17], s[4:5]
	s_xor_b64 s[16:17], exec, s[16:17]
	;; [unrolled: 6-line block ×3, first 2 shown]
	s_cbranch_execz .LBB295_534
; %bb.527:
	flat_load_dwordx2 v[0:1], v[0:1]
	s_mov_b32 s4, 0x43800000
	s_waitcnt vmcnt(0) lgkmcnt(0)
	v_mov_b32_e32 v17, 0x80
	v_xor_b32_e32 v8, v0, v1
	v_ffbh_i32_e32 v5, v1
	v_ashrrev_i32_e32 v8, 31, v8
	v_add_u32_e32 v5, -1, v5
	v_add_u32_e32 v8, 32, v8
	v_min_u32_e32 v5, v5, v8
	v_lshlrev_b64 v[0:1], v5, v[0:1]
	v_min_u32_e32 v0, 1, v0
	v_or_b32_e32 v0, v1, v0
	v_cvt_f32_i32_e32 v0, v0
	v_sub_u32_e32 v1, 32, v5
	v_ldexp_f32 v0, v0, v1
	v_and_b32_e32 v1, 0x7fffffff, v0
	v_cmp_gt_u32_e64 s[4:5], s4, v1
	s_and_saveexec_b64 s[20:21], s[4:5]
	s_cbranch_execz .LBB295_533
; %bb.528:
	s_mov_b32 s4, 0x3bffffff
	v_cmp_lt_u32_e64 s[4:5], s4, v1
	s_mov_b64 s[22:23], 0
                                        ; implicit-def: $vgpr1
	s_and_saveexec_b64 s[24:25], s[4:5]
	s_xor_b64 s[4:5], exec, s[24:25]
	s_cbranch_execz .LBB295_2325
; %bb.529:
	v_bfe_u32 v1, v0, 20, 1
	s_mov_b32 s24, 0x487ffff
	v_add3_u32 v1, v0, v1, s24
	s_mov_b64 s[22:23], exec
	v_lshrrev_b32_e32 v1, 20, v1
	s_andn2_saveexec_b64 s[24:25], s[4:5]
	s_cbranch_execnz .LBB295_2326
.LBB295_530:
	s_or_b64 exec, exec, s[24:25]
	v_mov_b32_e32 v17, 0
	s_and_saveexec_b64 s[4:5], s[22:23]
.LBB295_531:
	v_lshrrev_b32_e32 v0, 24, v0
	s_movk_i32 s22, 0x80
	v_and_or_b32 v17, v0, s22, v1
.LBB295_532:
	s_or_b64 exec, exec, s[4:5]
.LBB295_533:
	s_or_b64 exec, exec, s[20:21]
                                        ; implicit-def: $vgpr0_vgpr1
.LBB295_534:
	s_andn2_saveexec_b64 s[18:19], s[18:19]
	s_cbranch_execz .LBB295_542
; %bb.535:
	flat_load_dword v0, v[0:1]
	s_mov_b32 s4, 0x43800000
	s_waitcnt vmcnt(0) lgkmcnt(0)
	v_mov_b32_e32 v17, 0x80
	v_cvt_f32_i32_e32 v0, v0
	v_and_b32_e32 v1, 0x7fffffff, v0
	v_cmp_gt_u32_e64 s[4:5], s4, v1
	s_and_saveexec_b64 s[20:21], s[4:5]
	s_cbranch_execz .LBB295_541
; %bb.536:
	s_mov_b32 s4, 0x3bffffff
	v_cmp_lt_u32_e64 s[4:5], s4, v1
	s_mov_b64 s[22:23], 0
                                        ; implicit-def: $vgpr1
	s_and_saveexec_b64 s[24:25], s[4:5]
	s_xor_b64 s[4:5], exec, s[24:25]
	s_cbranch_execz .LBB295_2327
; %bb.537:
	v_bfe_u32 v1, v0, 20, 1
	s_mov_b32 s24, 0x487ffff
	v_add3_u32 v1, v0, v1, s24
	s_mov_b64 s[22:23], exec
	v_lshrrev_b32_e32 v1, 20, v1
	s_andn2_saveexec_b64 s[24:25], s[4:5]
	s_cbranch_execnz .LBB295_2328
.LBB295_538:
	s_or_b64 exec, exec, s[24:25]
	v_mov_b32_e32 v17, 0
	s_and_saveexec_b64 s[4:5], s[22:23]
.LBB295_539:
	v_lshrrev_b32_e32 v0, 24, v0
	s_movk_i32 s22, 0x80
	v_and_or_b32 v17, v0, s22, v1
.LBB295_540:
	s_or_b64 exec, exec, s[4:5]
.LBB295_541:
	s_or_b64 exec, exec, s[20:21]
.LBB295_542:
	s_or_b64 exec, exec, s[18:19]
                                        ; implicit-def: $vgpr0_vgpr1
.LBB295_543:
	s_andn2_saveexec_b64 s[16:17], s[16:17]
	s_cbranch_execz .LBB295_551
; %bb.544:
	flat_load_sshort v0, v[0:1]
	s_mov_b32 s4, 0x43800000
	s_waitcnt vmcnt(0) lgkmcnt(0)
	v_mov_b32_e32 v17, 0x80
	v_cvt_f32_i32_e32 v0, v0
	v_and_b32_e32 v1, 0x7fffffff, v0
	v_cmp_gt_u32_e64 s[4:5], s4, v1
	s_and_saveexec_b64 s[18:19], s[4:5]
	s_cbranch_execz .LBB295_550
; %bb.545:
	s_mov_b32 s4, 0x3bffffff
	v_cmp_lt_u32_e64 s[4:5], s4, v1
	s_mov_b64 s[20:21], 0
                                        ; implicit-def: $vgpr1
	s_and_saveexec_b64 s[22:23], s[4:5]
	s_xor_b64 s[4:5], exec, s[22:23]
	s_cbranch_execz .LBB295_2238
; %bb.546:
	v_bfe_u32 v1, v0, 20, 1
	s_mov_b32 s22, 0x487ffff
	v_add3_u32 v1, v0, v1, s22
	s_mov_b64 s[20:21], exec
	v_lshrrev_b32_e32 v1, 20, v1
	s_andn2_saveexec_b64 s[22:23], s[4:5]
	s_cbranch_execnz .LBB295_2239
.LBB295_547:
	s_or_b64 exec, exec, s[22:23]
	v_mov_b32_e32 v17, 0
	s_and_saveexec_b64 s[4:5], s[20:21]
.LBB295_548:
	v_lshrrev_b32_e32 v0, 24, v0
	s_movk_i32 s20, 0x80
	v_and_or_b32 v17, v0, s20, v1
.LBB295_549:
	s_or_b64 exec, exec, s[4:5]
.LBB295_550:
	s_or_b64 exec, exec, s[18:19]
.LBB295_551:
	s_or_b64 exec, exec, s[16:17]
                                        ; implicit-def: $vgpr0_vgpr1
.LBB295_552:
	s_andn2_saveexec_b64 s[14:15], s[14:15]
	s_cbranch_execz .LBB295_570
; %bb.553:
	v_cmp_lt_i16_e64 s[4:5], 0, v6
                                        ; implicit-def: $vgpr17
	s_and_saveexec_b64 s[16:17], s[4:5]
	s_xor_b64 s[16:17], exec, s[16:17]
	s_cbranch_execz .LBB295_561
; %bb.554:
	flat_load_sbyte v0, v[0:1]
	s_mov_b32 s4, 0x43800000
	s_waitcnt vmcnt(0) lgkmcnt(0)
	v_mov_b32_e32 v17, 0x80
	v_cvt_f32_i32_e32 v0, v0
	v_and_b32_e32 v1, 0x7fffffff, v0
	v_cmp_gt_u32_e64 s[4:5], s4, v1
	s_and_saveexec_b64 s[18:19], s[4:5]
	s_cbranch_execz .LBB295_560
; %bb.555:
	s_mov_b32 s4, 0x3bffffff
	v_cmp_lt_u32_e64 s[4:5], s4, v1
	s_mov_b64 s[20:21], 0
                                        ; implicit-def: $vgpr1
	s_and_saveexec_b64 s[22:23], s[4:5]
	s_xor_b64 s[4:5], exec, s[22:23]
	s_cbranch_execz .LBB295_2240
; %bb.556:
	v_bfe_u32 v1, v0, 20, 1
	s_mov_b32 s22, 0x487ffff
	v_add3_u32 v1, v0, v1, s22
	s_mov_b64 s[20:21], exec
	v_lshrrev_b32_e32 v1, 20, v1
	s_andn2_saveexec_b64 s[22:23], s[4:5]
	s_cbranch_execnz .LBB295_2241
.LBB295_557:
	s_or_b64 exec, exec, s[22:23]
	v_mov_b32_e32 v17, 0
	s_and_saveexec_b64 s[4:5], s[20:21]
.LBB295_558:
	v_lshrrev_b32_e32 v0, 24, v0
	s_movk_i32 s20, 0x80
	v_and_or_b32 v17, v0, s20, v1
.LBB295_559:
	s_or_b64 exec, exec, s[4:5]
.LBB295_560:
	s_or_b64 exec, exec, s[18:19]
                                        ; implicit-def: $vgpr0_vgpr1
.LBB295_561:
	s_andn2_saveexec_b64 s[16:17], s[16:17]
	s_cbranch_execz .LBB295_569
; %bb.562:
	flat_load_ubyte v0, v[0:1]
	s_mov_b32 s4, 0x43800000
	s_waitcnt vmcnt(0) lgkmcnt(0)
	v_mov_b32_e32 v17, 0x80
	v_cvt_f32_ubyte0_e32 v1, v0
	v_cmp_gt_u32_e64 s[4:5], s4, v1
	s_and_saveexec_b64 s[18:19], s[4:5]
	s_cbranch_execz .LBB295_568
; %bb.563:
	s_mov_b32 s4, 0x3bffffff
	v_cmp_lt_u32_e64 s[4:5], s4, v1
	s_mov_b64 s[20:21], 0
                                        ; implicit-def: $vgpr0
	s_and_saveexec_b64 s[22:23], s[4:5]
	s_xor_b64 s[4:5], exec, s[22:23]
	s_cbranch_execz .LBB295_2242
; %bb.564:
	v_bfe_u32 v0, v1, 20, 1
	s_mov_b32 s22, 0x487ffff
	v_add3_u32 v0, v1, v0, s22
	s_mov_b64 s[20:21], exec
	v_lshrrev_b32_e32 v0, 20, v0
                                        ; implicit-def: $vgpr1
	s_andn2_saveexec_b64 s[22:23], s[4:5]
	s_cbranch_execnz .LBB295_2243
.LBB295_565:
	s_or_b64 exec, exec, s[22:23]
	v_mov_b32_e32 v17, 0
	s_and_saveexec_b64 s[4:5], s[20:21]
.LBB295_566:
	v_mov_b32_e32 v17, v0
.LBB295_567:
	s_or_b64 exec, exec, s[4:5]
.LBB295_568:
	s_or_b64 exec, exec, s[18:19]
.LBB295_569:
	s_or_b64 exec, exec, s[16:17]
.LBB295_570:
	s_or_b64 exec, exec, s[14:15]
.LBB295_571:
	s_or_b64 exec, exec, s[10:11]
	s_or_b64 s[12:13], s[12:13], exec
.LBB295_572:
	s_or_b64 exec, exec, s[6:7]
	s_mov_b64 s[6:7], 0
	s_mov_b64 s[14:15], 0
                                        ; implicit-def: $sgpr40_sgpr41
                                        ; implicit-def: $vgpr0_vgpr1
                                        ; implicit-def: $vgpr18
	s_and_saveexec_b64 s[10:11], s[12:13]
	s_cbranch_execz .LBB295_1847
; %bb.573:
	buffer_load_dword v14, off, s[0:3], 0 offset:32
	buffer_load_ubyte v5, off, s[0:3], 0 offset:42
	buffer_load_dword v8, off, s[0:3], 0 offset:16
	buffer_load_dword v9, off, s[0:3], 0 offset:20
	s_mov_b64 s[16:17], 0
	s_mov_b64 s[12:13], s[8:9]
                                        ; implicit-def: $vgpr19
	s_waitcnt vmcnt(0)
	v_mul_lo_u32 v15, v14, v15
	v_cmp_lt_i16_e64 s[4:5], 10, v5
	v_ashrrev_i32_e32 v1, 31, v15
	v_add_co_u32_e64 v0, s[6:7], v8, v15
	v_addc_co_u32_e64 v1, s[6:7], v9, v1, s[6:7]
	s_and_saveexec_b64 s[6:7], s[4:5]
	s_xor_b64 s[6:7], exec, s[6:7]
	s_cbranch_execz .LBB295_642
; %bb.574:
	v_cmp_lt_i16_e64 s[4:5], 25, v5
	s_mov_b64 s[12:13], 0
                                        ; implicit-def: $vgpr19
	s_and_saveexec_b64 s[18:19], s[4:5]
	s_xor_b64 s[18:19], exec, s[18:19]
	s_cbranch_execz .LBB295_2027
; %bb.575:
	v_cmp_lt_i16_e64 s[4:5], 28, v5
	s_mov_b64 s[20:21], 0
                                        ; implicit-def: $vgpr19
	s_and_saveexec_b64 s[14:15], s[4:5]
	s_xor_b64 s[14:15], exec, s[14:15]
	s_cbranch_execz .LBB295_609
; %bb.576:
	v_cmp_lt_i16_e64 s[4:5], 43, v5
	s_mov_b64 s[22:23], 0
	s_mov_b64 s[24:25], 0
                                        ; implicit-def: $vgpr19
	s_and_saveexec_b64 s[16:17], s[4:5]
	s_xor_b64 s[16:17], exec, s[16:17]
	s_cbranch_execz .LBB295_598
; %bb.577:
	v_cmp_lt_i16_e64 s[4:5], 45, v5
                                        ; implicit-def: $vgpr19
	s_and_saveexec_b64 s[24:25], s[4:5]
	s_xor_b64 s[24:25], exec, s[24:25]
	s_cbranch_execz .LBB295_587
; %bb.578:
	v_cmp_eq_u16_e64 s[4:5], 46, v5
	s_mov_b64 s[26:27], -1
                                        ; implicit-def: $vgpr19
	s_and_saveexec_b64 s[20:21], s[4:5]
	s_cbranch_execz .LBB295_586
; %bb.579:
	flat_load_dword v18, v[0:1]
	s_mov_b32 s4, 0x43800000
	v_mov_b32_e32 v19, 0x80
	s_waitcnt vmcnt(0) lgkmcnt(0)
	v_lshlrev_b32_e32 v18, 16, v18
	v_and_b32_e32 v20, 0x7fffffff, v18
	v_cmp_gt_u32_e64 s[4:5], s4, v20
	s_and_saveexec_b64 s[22:23], s[4:5]
	s_cbranch_execz .LBB295_585
; %bb.580:
	s_mov_b32 s4, 0x3bffffff
	v_cmp_lt_u32_e64 s[4:5], s4, v20
	s_mov_b64 s[26:27], 0
                                        ; implicit-def: $vgpr20
	s_and_saveexec_b64 s[28:29], s[4:5]
	s_xor_b64 s[4:5], exec, s[28:29]
	s_cbranch_execz .LBB295_2505
; %bb.581:
	v_bfe_u32 v19, v18, 20, 1
	s_mov_b32 s28, 0x487ffff
	v_add3_u32 v19, v18, v19, s28
	s_mov_b64 s[26:27], exec
	v_lshrrev_b32_e32 v20, 20, v19
	s_andn2_saveexec_b64 s[28:29], s[4:5]
	s_cbranch_execnz .LBB295_2506
.LBB295_582:
	s_or_b64 exec, exec, s[28:29]
	v_mov_b32_e32 v19, 0
	s_and_saveexec_b64 s[4:5], s[26:27]
.LBB295_583:
	v_lshrrev_b32_e32 v18, 24, v18
	s_movk_i32 s26, 0x80
	v_and_or_b32 v19, v18, s26, v20
.LBB295_584:
	s_or_b64 exec, exec, s[4:5]
.LBB295_585:
	s_or_b64 exec, exec, s[22:23]
	s_mov_b64 s[22:23], exec
	s_xor_b64 s[26:27], exec, -1
.LBB295_586:
	s_or_b64 exec, exec, s[20:21]
	s_and_b64 s[22:23], s[22:23], exec
	s_and_b64 s[20:21], s[26:27], exec
.LBB295_587:
	s_andn2_saveexec_b64 s[24:25], s[24:25]
	s_cbranch_execz .LBB295_597
; %bb.588:
	v_cmp_eq_u16_e64 s[4:5], 44, v5
	s_mov_b64 s[28:29], -1
	s_mov_b64 s[30:31], s[22:23]
                                        ; implicit-def: $vgpr19
	s_and_saveexec_b64 s[26:27], s[4:5]
	s_cbranch_execz .LBB295_596
; %bb.589:
	flat_load_ubyte v18, v[0:1]
	s_movk_i32 s4, 0xff
	v_mov_b32_e32 v19, 0x7f800001
	v_mov_b32_e32 v20, 0x400000
	s_mov_b32 s28, 0x43800000
	s_waitcnt vmcnt(0) lgkmcnt(0)
	v_lshlrev_b32_e32 v21, 23, v18
	v_cmp_ne_u32_e64 s[4:5], s4, v18
	v_cndmask_b32_e64 v19, v19, v21, s[4:5]
	v_cmp_ne_u32_e64 s[4:5], 0, v18
	v_cndmask_b32_e64 v20, v20, v19, s[4:5]
	v_cmp_gt_u32_e64 s[4:5], s28, v20
	v_mov_b32_e32 v19, 0x80
	s_and_saveexec_b64 s[28:29], s[4:5]
	s_cbranch_execz .LBB295_595
; %bb.590:
	s_mov_b32 s4, 0x3bffffff
	v_cmp_lt_u32_e64 s[4:5], s4, v20
	s_mov_b64 s[30:31], 0
                                        ; implicit-def: $vgpr18
	s_and_saveexec_b64 s[38:39], s[4:5]
	s_xor_b64 s[4:5], exec, s[38:39]
	s_cbranch_execz .LBB295_2507
; %bb.591:
	v_bfe_u32 v18, v20, 20, 1
	s_mov_b32 s33, 0x487ffff
	v_add3_u32 v18, v20, v18, s33
	s_mov_b64 s[30:31], exec
	v_lshrrev_b32_e32 v18, 20, v18
                                        ; implicit-def: $vgpr20
	s_andn2_saveexec_b64 s[38:39], s[4:5]
	s_cbranch_execnz .LBB295_2508
.LBB295_592:
	s_or_b64 exec, exec, s[38:39]
	v_mov_b32_e32 v19, 0
	s_and_saveexec_b64 s[4:5], s[30:31]
.LBB295_593:
	v_mov_b32_e32 v19, v18
.LBB295_594:
	s_or_b64 exec, exec, s[4:5]
.LBB295_595:
	s_or_b64 exec, exec, s[28:29]
	s_or_b64 s[30:31], s[22:23], exec
	s_xor_b64 s[28:29], exec, -1
.LBB295_596:
	s_or_b64 exec, exec, s[26:27]
	s_andn2_b64 s[4:5], s[22:23], exec
	s_and_b64 s[22:23], s[30:31], exec
	s_or_b64 s[22:23], s[4:5], s[22:23]
	s_andn2_b64 s[4:5], s[20:21], exec
	s_and_b64 s[20:21], s[28:29], exec
	s_or_b64 s[20:21], s[4:5], s[20:21]
.LBB295_597:
	s_or_b64 exec, exec, s[24:25]
	s_and_b64 s[24:25], s[22:23], exec
	s_and_b64 s[22:23], s[20:21], exec
.LBB295_598:
	s_andn2_saveexec_b64 s[16:17], s[16:17]
	s_cbranch_execz .LBB295_608
; %bb.599:
	v_cmp_eq_u16_e64 s[4:5], 29, v5
	s_mov_b64 s[26:27], -1
	s_mov_b64 s[28:29], s[24:25]
                                        ; implicit-def: $vgpr19
	s_and_saveexec_b64 s[20:21], s[4:5]
	s_cbranch_execz .LBB295_607
; %bb.600:
	flat_load_dwordx2 v[18:19], v[0:1]
	s_mov_b32 s4, 0x43800000
	s_waitcnt vmcnt(0) lgkmcnt(0)
	v_ffbh_u32_e32 v20, v19
	v_min_u32_e32 v20, 32, v20
	v_lshlrev_b64 v[18:19], v20, v[18:19]
	v_min_u32_e32 v18, 1, v18
	v_or_b32_e32 v18, v19, v18
	v_cvt_f32_u32_e32 v18, v18
	v_sub_u32_e32 v19, 32, v20
	v_ldexp_f32 v20, v18, v19
	v_cmp_gt_u32_e64 s[4:5], s4, v20
	v_mov_b32_e32 v19, 0x80
	s_and_saveexec_b64 s[26:27], s[4:5]
	s_cbranch_execz .LBB295_606
; %bb.601:
	s_mov_b32 s4, 0x3bffffff
	v_cmp_lt_u32_e64 s[4:5], s4, v20
	s_mov_b64 s[28:29], 0
                                        ; implicit-def: $vgpr18
	s_and_saveexec_b64 s[30:31], s[4:5]
	s_xor_b64 s[4:5], exec, s[30:31]
	s_cbranch_execz .LBB295_2410
; %bb.602:
	v_bfe_u32 v18, v20, 20, 1
	s_mov_b32 s30, 0x487ffff
	v_add3_u32 v18, v20, v18, s30
	s_mov_b64 s[28:29], exec
	v_lshrrev_b32_e32 v18, 20, v18
                                        ; implicit-def: $vgpr20
	s_andn2_saveexec_b64 s[30:31], s[4:5]
	s_cbranch_execnz .LBB295_2411
.LBB295_603:
	s_or_b64 exec, exec, s[30:31]
	v_mov_b32_e32 v19, 0
	s_and_saveexec_b64 s[4:5], s[28:29]
.LBB295_604:
	v_mov_b32_e32 v19, v18
.LBB295_605:
	s_or_b64 exec, exec, s[4:5]
.LBB295_606:
	s_or_b64 exec, exec, s[26:27]
	s_or_b64 s[28:29], s[24:25], exec
	s_xor_b64 s[26:27], exec, -1
.LBB295_607:
	s_or_b64 exec, exec, s[20:21]
	s_andn2_b64 s[4:5], s[24:25], exec
	s_and_b64 s[20:21], s[28:29], exec
	s_or_b64 s[24:25], s[4:5], s[20:21]
	s_andn2_b64 s[4:5], s[22:23], exec
	s_and_b64 s[20:21], s[26:27], exec
	s_or_b64 s[22:23], s[4:5], s[20:21]
.LBB295_608:
	s_or_b64 exec, exec, s[16:17]
	s_and_b64 s[20:21], s[24:25], exec
	s_and_b64 s[16:17], s[22:23], exec
.LBB295_609:
	s_andn2_saveexec_b64 s[14:15], s[14:15]
	s_cbranch_execz .LBB295_631
; %bb.610:
	v_cmp_lt_i16_e64 s[4:5], 26, v5
                                        ; implicit-def: $vgpr19
	s_and_saveexec_b64 s[22:23], s[4:5]
	s_xor_b64 s[22:23], exec, s[22:23]
	s_cbranch_execz .LBB295_628
; %bb.611:
	v_cmp_lt_i16_e64 s[4:5], 27, v5
                                        ; implicit-def: $vgpr19
	s_and_saveexec_b64 s[24:25], s[4:5]
	s_xor_b64 s[24:25], exec, s[24:25]
	s_cbranch_execz .LBB295_619
; %bb.612:
	flat_load_dword v18, v[0:1]
	s_mov_b32 s4, 0x43800000
	v_mov_b32_e32 v19, 0x80
	s_waitcnt vmcnt(0) lgkmcnt(0)
	v_cvt_f32_u32_e32 v20, v18
	v_cmp_gt_u32_e64 s[4:5], s4, v20
	s_and_saveexec_b64 s[26:27], s[4:5]
	s_cbranch_execz .LBB295_618
; %bb.613:
	s_mov_b32 s4, 0x3bffffff
	v_cmp_lt_u32_e64 s[4:5], s4, v20
	s_mov_b64 s[28:29], 0
                                        ; implicit-def: $vgpr18
	s_and_saveexec_b64 s[30:31], s[4:5]
	s_xor_b64 s[4:5], exec, s[30:31]
	s_cbranch_execz .LBB295_2412
; %bb.614:
	v_bfe_u32 v18, v20, 20, 1
	s_mov_b32 s30, 0x487ffff
	v_add3_u32 v18, v20, v18, s30
	s_mov_b64 s[28:29], exec
	v_lshrrev_b32_e32 v18, 20, v18
                                        ; implicit-def: $vgpr20
	s_andn2_saveexec_b64 s[30:31], s[4:5]
	s_cbranch_execnz .LBB295_2413
.LBB295_615:
	s_or_b64 exec, exec, s[30:31]
	v_mov_b32_e32 v19, 0
	s_and_saveexec_b64 s[4:5], s[28:29]
.LBB295_616:
	v_mov_b32_e32 v19, v18
.LBB295_617:
	s_or_b64 exec, exec, s[4:5]
.LBB295_618:
	s_or_b64 exec, exec, s[26:27]
.LBB295_619:
	s_andn2_saveexec_b64 s[24:25], s[24:25]
	s_cbranch_execz .LBB295_627
; %bb.620:
	flat_load_ushort v18, v[0:1]
	s_mov_b32 s4, 0x43800000
	v_mov_b32_e32 v19, 0x80
	s_waitcnt vmcnt(0) lgkmcnt(0)
	v_cvt_f32_u32_e32 v20, v18
	v_cmp_gt_u32_e64 s[4:5], s4, v20
	s_and_saveexec_b64 s[26:27], s[4:5]
	s_cbranch_execz .LBB295_626
; %bb.621:
	s_mov_b32 s4, 0x3bffffff
	v_cmp_lt_u32_e64 s[4:5], s4, v20
	s_mov_b64 s[28:29], 0
                                        ; implicit-def: $vgpr18
	s_and_saveexec_b64 s[30:31], s[4:5]
	s_xor_b64 s[4:5], exec, s[30:31]
	s_cbranch_execz .LBB295_2414
; %bb.622:
	v_bfe_u32 v18, v20, 20, 1
	s_mov_b32 s30, 0x487ffff
	v_add3_u32 v18, v20, v18, s30
	s_mov_b64 s[28:29], exec
	v_lshrrev_b32_e32 v18, 20, v18
                                        ; implicit-def: $vgpr20
	s_andn2_saveexec_b64 s[30:31], s[4:5]
	s_cbranch_execnz .LBB295_2415
.LBB295_623:
	s_or_b64 exec, exec, s[30:31]
	v_mov_b32_e32 v19, 0
	s_and_saveexec_b64 s[4:5], s[28:29]
.LBB295_624:
	v_mov_b32_e32 v19, v18
.LBB295_625:
	s_or_b64 exec, exec, s[4:5]
.LBB295_626:
	s_or_b64 exec, exec, s[26:27]
.LBB295_627:
	s_or_b64 exec, exec, s[24:25]
.LBB295_628:
	s_andn2_saveexec_b64 s[4:5], s[22:23]
	s_cbranch_execz .LBB295_630
; %bb.629:
	flat_load_ubyte v19, v[0:1]
.LBB295_630:
	s_or_b64 exec, exec, s[4:5]
	s_or_b64 s[20:21], s[20:21], exec
.LBB295_631:
	s_or_b64 exec, exec, s[14:15]
	s_and_b64 s[14:15], s[20:21], exec
	s_and_b64 s[16:17], s[16:17], exec
	s_andn2_saveexec_b64 s[18:19], s[18:19]
	s_cbranch_execnz .LBB295_2028
.LBB295_632:
	s_or_b64 exec, exec, s[18:19]
	s_mov_b64 s[18:19], s[8:9]
	s_and_saveexec_b64 s[4:5], s[16:17]
	s_cbranch_execnz .LBB295_2077
.LBB295_633:
	s_or_b64 exec, exec, s[4:5]
	s_and_saveexec_b64 s[4:5], s[12:13]
	s_xor_b64 s[12:13], exec, s[4:5]
	s_cbranch_execz .LBB295_641
.LBB295_634:
	flat_load_ubyte v0, v[0:1]
	s_mov_b32 s16, 0x43800000
	s_waitcnt vmcnt(0) lgkmcnt(0)
	v_mov_b32_e32 v19, 0x80
	v_cmp_ne_u16_e64 s[4:5], 0, v0
	v_cndmask_b32_e64 v1, 0, 1.0, s[4:5]
	v_cmp_gt_u32_e64 s[4:5], s16, v1
	s_and_saveexec_b64 s[16:17], s[4:5]
	s_cbranch_execz .LBB295_640
; %bb.635:
	s_mov_b32 s4, 0x3bffffff
	v_cmp_lt_u32_e64 s[4:5], s4, v1
	s_mov_b64 s[20:21], 0
                                        ; implicit-def: $vgpr0
	s_and_saveexec_b64 s[22:23], s[4:5]
	s_xor_b64 s[4:5], exec, s[22:23]
	s_cbranch_execz .LBB295_2181
; %bb.636:
	v_bfe_u32 v0, v1, 20, 1
	s_mov_b32 s22, 0x487ffff
	v_add3_u32 v0, v1, v0, s22
	s_mov_b64 s[20:21], exec
	v_lshrrev_b32_e32 v0, 20, v0
                                        ; implicit-def: $vgpr1
	s_andn2_saveexec_b64 s[22:23], s[4:5]
	s_cbranch_execnz .LBB295_2182
.LBB295_637:
	s_or_b64 exec, exec, s[22:23]
	v_mov_b32_e32 v19, 0
	s_and_saveexec_b64 s[4:5], s[20:21]
.LBB295_638:
	v_mov_b32_e32 v19, v0
.LBB295_639:
	s_or_b64 exec, exec, s[4:5]
.LBB295_640:
	s_or_b64 exec, exec, s[16:17]
	s_or_b64 s[14:15], s[14:15], exec
.LBB295_641:
	s_or_b64 exec, exec, s[12:13]
	s_andn2_b64 s[4:5], s[8:9], exec
	s_and_b64 s[12:13], s[18:19], exec
	s_or_b64 s[12:13], s[4:5], s[12:13]
	s_and_b64 s[16:17], s[14:15], exec
                                        ; implicit-def: $vgpr0_vgpr1
.LBB295_642:
	s_andn2_saveexec_b64 s[6:7], s[6:7]
	s_cbranch_execz .LBB295_750
; %bb.643:
	v_cmp_lt_i16_e64 s[4:5], 4, v5
                                        ; implicit-def: $vgpr19
	s_and_saveexec_b64 s[14:15], s[4:5]
	s_xor_b64 s[14:15], exec, s[14:15]
	s_cbranch_execz .LBB295_701
; %bb.644:
	v_cmp_lt_i16_e64 s[4:5], 7, v5
                                        ; implicit-def: $vgpr19
	s_and_saveexec_b64 s[18:19], s[4:5]
	s_xor_b64 s[18:19], exec, s[18:19]
	;; [unrolled: 6-line block ×4, first 2 shown]
	s_cbranch_execz .LBB295_654
; %bb.647:
	flat_load_dwordx2 v[0:1], v[0:1]
	s_mov_b32 s4, 0x43800000
	s_waitcnt vmcnt(0) lgkmcnt(0)
	v_mov_b32_e32 v19, 0x80
	v_cvt_f32_f64_e32 v0, v[0:1]
	v_and_b32_e32 v1, 0x7fffffff, v0
	v_cmp_gt_u32_e64 s[4:5], s4, v1
	s_and_saveexec_b64 s[24:25], s[4:5]
	s_cbranch_execz .LBB295_653
; %bb.648:
	s_mov_b32 s4, 0x3bffffff
	v_cmp_lt_u32_e64 s[4:5], s4, v1
	s_mov_b64 s[26:27], 0
                                        ; implicit-def: $vgpr1
	s_and_saveexec_b64 s[28:29], s[4:5]
	s_xor_b64 s[4:5], exec, s[28:29]
	s_cbranch_execz .LBB295_2416
; %bb.649:
	v_bfe_u32 v1, v0, 20, 1
	s_mov_b32 s28, 0x487ffff
	v_add3_u32 v1, v0, v1, s28
	s_mov_b64 s[26:27], exec
	v_lshrrev_b32_e32 v1, 20, v1
	s_andn2_saveexec_b64 s[28:29], s[4:5]
	s_cbranch_execnz .LBB295_2417
.LBB295_650:
	s_or_b64 exec, exec, s[28:29]
	v_mov_b32_e32 v19, 0
	s_and_saveexec_b64 s[4:5], s[26:27]
.LBB295_651:
	v_lshrrev_b32_e32 v0, 24, v0
	s_movk_i32 s26, 0x80
	v_and_or_b32 v19, v0, s26, v1
.LBB295_652:
	s_or_b64 exec, exec, s[4:5]
.LBB295_653:
	s_or_b64 exec, exec, s[24:25]
                                        ; implicit-def: $vgpr0_vgpr1
.LBB295_654:
	s_andn2_saveexec_b64 s[22:23], s[22:23]
	s_cbranch_execz .LBB295_662
; %bb.655:
	flat_load_dword v0, v[0:1]
	s_mov_b32 s4, 0x43800000
	s_waitcnt vmcnt(0) lgkmcnt(0)
	v_mov_b32_e32 v19, 0x80
	v_and_b32_e32 v1, 0x7fffffff, v0
	v_cmp_gt_u32_e64 s[4:5], s4, v1
	s_and_saveexec_b64 s[24:25], s[4:5]
	s_cbranch_execz .LBB295_661
; %bb.656:
	s_mov_b32 s4, 0x3bffffff
	v_cmp_lt_u32_e64 s[4:5], s4, v1
	s_mov_b64 s[26:27], 0
                                        ; implicit-def: $vgpr1
	s_and_saveexec_b64 s[28:29], s[4:5]
	s_xor_b64 s[4:5], exec, s[28:29]
	s_cbranch_execz .LBB295_2418
; %bb.657:
	v_bfe_u32 v1, v0, 20, 1
	s_mov_b32 s28, 0x487ffff
	v_add3_u32 v1, v0, v1, s28
	s_mov_b64 s[26:27], exec
	v_lshrrev_b32_e32 v1, 20, v1
	s_andn2_saveexec_b64 s[28:29], s[4:5]
	s_cbranch_execnz .LBB295_2419
.LBB295_658:
	s_or_b64 exec, exec, s[28:29]
	v_mov_b32_e32 v19, 0
	s_and_saveexec_b64 s[4:5], s[26:27]
.LBB295_659:
	v_lshrrev_b32_e32 v0, 24, v0
	s_movk_i32 s26, 0x80
	v_and_or_b32 v19, v0, s26, v1
.LBB295_660:
	s_or_b64 exec, exec, s[4:5]
.LBB295_661:
	s_or_b64 exec, exec, s[24:25]
.LBB295_662:
	s_or_b64 exec, exec, s[22:23]
                                        ; implicit-def: $vgpr0_vgpr1
.LBB295_663:
	s_andn2_saveexec_b64 s[20:21], s[20:21]
	s_cbranch_execz .LBB295_671
; %bb.664:
	flat_load_dword v0, v[0:1]
	s_mov_b32 s4, 0x43800000
	s_waitcnt vmcnt(0) lgkmcnt(0)
	v_mov_b32_e32 v19, 0x80
	v_cvt_f32_f16_e32 v0, v0
	v_and_b32_e32 v1, 0x7fffffff, v0
	v_cmp_gt_u32_e64 s[4:5], s4, v1
	s_and_saveexec_b64 s[22:23], s[4:5]
	s_cbranch_execz .LBB295_670
; %bb.665:
	s_mov_b32 s4, 0x3bffffff
	v_cmp_lt_u32_e64 s[4:5], s4, v1
	s_mov_b64 s[24:25], 0
                                        ; implicit-def: $vgpr1
	s_and_saveexec_b64 s[26:27], s[4:5]
	s_xor_b64 s[4:5], exec, s[26:27]
	s_cbranch_execz .LBB295_2329
; %bb.666:
	v_bfe_u32 v1, v0, 20, 1
	s_mov_b32 s26, 0x487ffff
	v_add3_u32 v1, v0, v1, s26
	s_mov_b64 s[24:25], exec
	v_lshrrev_b32_e32 v1, 20, v1
	s_andn2_saveexec_b64 s[26:27], s[4:5]
	s_cbranch_execnz .LBB295_2330
.LBB295_667:
	s_or_b64 exec, exec, s[26:27]
	v_mov_b32_e32 v19, 0
	s_and_saveexec_b64 s[4:5], s[24:25]
.LBB295_668:
	v_lshrrev_b32_e32 v0, 24, v0
	s_movk_i32 s24, 0x80
	v_and_or_b32 v19, v0, s24, v1
.LBB295_669:
	s_or_b64 exec, exec, s[4:5]
.LBB295_670:
	s_or_b64 exec, exec, s[22:23]
.LBB295_671:
	s_or_b64 exec, exec, s[20:21]
                                        ; implicit-def: $vgpr0_vgpr1
.LBB295_672:
	s_andn2_saveexec_b64 s[18:19], s[18:19]
	s_cbranch_execz .LBB295_700
; %bb.673:
	v_cmp_lt_i16_e64 s[4:5], 5, v5
                                        ; implicit-def: $vgpr19
	s_and_saveexec_b64 s[20:21], s[4:5]
	s_xor_b64 s[20:21], exec, s[20:21]
	s_cbranch_execz .LBB295_691
; %bb.674:
	v_cmp_lt_i16_e64 s[4:5], 6, v5
                                        ; implicit-def: $vgpr19
	s_and_saveexec_b64 s[22:23], s[4:5]
	s_xor_b64 s[22:23], exec, s[22:23]
	s_cbranch_execz .LBB295_682
; %bb.675:
	flat_load_dwordx2 v[0:1], v[0:1]
	s_mov_b32 s4, 0x43800000
	s_waitcnt vmcnt(0) lgkmcnt(0)
	v_mov_b32_e32 v19, 0x80
	v_cvt_f32_f64_e32 v0, v[0:1]
	v_and_b32_e32 v1, 0x7fffffff, v0
	v_cmp_gt_u32_e64 s[4:5], s4, v1
	s_and_saveexec_b64 s[24:25], s[4:5]
	s_cbranch_execz .LBB295_681
; %bb.676:
	s_mov_b32 s4, 0x3bffffff
	v_cmp_lt_u32_e64 s[4:5], s4, v1
	s_mov_b64 s[26:27], 0
                                        ; implicit-def: $vgpr1
	s_and_saveexec_b64 s[28:29], s[4:5]
	s_xor_b64 s[4:5], exec, s[28:29]
	s_cbranch_execz .LBB295_2420
; %bb.677:
	v_bfe_u32 v1, v0, 20, 1
	s_mov_b32 s28, 0x487ffff
	v_add3_u32 v1, v0, v1, s28
	s_mov_b64 s[26:27], exec
	v_lshrrev_b32_e32 v1, 20, v1
	s_andn2_saveexec_b64 s[28:29], s[4:5]
	s_cbranch_execnz .LBB295_2421
.LBB295_678:
	s_or_b64 exec, exec, s[28:29]
	v_mov_b32_e32 v19, 0
	s_and_saveexec_b64 s[4:5], s[26:27]
.LBB295_679:
	v_lshrrev_b32_e32 v0, 24, v0
	s_movk_i32 s26, 0x80
	v_and_or_b32 v19, v0, s26, v1
.LBB295_680:
	s_or_b64 exec, exec, s[4:5]
.LBB295_681:
	s_or_b64 exec, exec, s[24:25]
                                        ; implicit-def: $vgpr0_vgpr1
.LBB295_682:
	s_andn2_saveexec_b64 s[22:23], s[22:23]
	s_cbranch_execz .LBB295_690
; %bb.683:
	flat_load_dword v0, v[0:1]
	s_mov_b32 s4, 0x43800000
	s_waitcnt vmcnt(0) lgkmcnt(0)
	v_mov_b32_e32 v19, 0x80
	v_and_b32_e32 v1, 0x7fffffff, v0
	v_cmp_gt_u32_e64 s[4:5], s4, v1
	s_and_saveexec_b64 s[24:25], s[4:5]
	s_cbranch_execz .LBB295_689
; %bb.684:
	s_mov_b32 s4, 0x3bffffff
	v_cmp_lt_u32_e64 s[4:5], s4, v1
	s_mov_b64 s[26:27], 0
                                        ; implicit-def: $vgpr1
	s_and_saveexec_b64 s[28:29], s[4:5]
	s_xor_b64 s[4:5], exec, s[28:29]
	s_cbranch_execz .LBB295_2422
; %bb.685:
	v_bfe_u32 v1, v0, 20, 1
	s_mov_b32 s28, 0x487ffff
	v_add3_u32 v1, v0, v1, s28
	s_mov_b64 s[26:27], exec
	v_lshrrev_b32_e32 v1, 20, v1
	s_andn2_saveexec_b64 s[28:29], s[4:5]
	s_cbranch_execnz .LBB295_2423
.LBB295_686:
	s_or_b64 exec, exec, s[28:29]
	v_mov_b32_e32 v19, 0
	s_and_saveexec_b64 s[4:5], s[26:27]
.LBB295_687:
	v_lshrrev_b32_e32 v0, 24, v0
	s_movk_i32 s26, 0x80
	v_and_or_b32 v19, v0, s26, v1
.LBB295_688:
	s_or_b64 exec, exec, s[4:5]
.LBB295_689:
	s_or_b64 exec, exec, s[24:25]
.LBB295_690:
	s_or_b64 exec, exec, s[22:23]
                                        ; implicit-def: $vgpr0_vgpr1
.LBB295_691:
	s_andn2_saveexec_b64 s[20:21], s[20:21]
	s_cbranch_execz .LBB295_699
; %bb.692:
	flat_load_ushort v0, v[0:1]
	s_mov_b32 s4, 0x43800000
	s_waitcnt vmcnt(0) lgkmcnt(0)
	v_mov_b32_e32 v19, 0x80
	v_cvt_f32_f16_e32 v0, v0
	v_and_b32_e32 v1, 0x7fffffff, v0
	v_cmp_gt_u32_e64 s[4:5], s4, v1
	s_and_saveexec_b64 s[22:23], s[4:5]
	s_cbranch_execz .LBB295_698
; %bb.693:
	s_mov_b32 s4, 0x3bffffff
	v_cmp_lt_u32_e64 s[4:5], s4, v1
	s_mov_b64 s[24:25], 0
                                        ; implicit-def: $vgpr1
	s_and_saveexec_b64 s[26:27], s[4:5]
	s_xor_b64 s[4:5], exec, s[26:27]
	s_cbranch_execz .LBB295_2331
; %bb.694:
	v_bfe_u32 v1, v0, 20, 1
	s_mov_b32 s26, 0x487ffff
	v_add3_u32 v1, v0, v1, s26
	s_mov_b64 s[24:25], exec
	v_lshrrev_b32_e32 v1, 20, v1
	s_andn2_saveexec_b64 s[26:27], s[4:5]
	s_cbranch_execnz .LBB295_2332
.LBB295_695:
	s_or_b64 exec, exec, s[26:27]
	v_mov_b32_e32 v19, 0
	s_and_saveexec_b64 s[4:5], s[24:25]
.LBB295_696:
	v_lshrrev_b32_e32 v0, 24, v0
	s_movk_i32 s24, 0x80
	v_and_or_b32 v19, v0, s24, v1
.LBB295_697:
	s_or_b64 exec, exec, s[4:5]
.LBB295_698:
	s_or_b64 exec, exec, s[22:23]
.LBB295_699:
	s_or_b64 exec, exec, s[20:21]
.LBB295_700:
	s_or_b64 exec, exec, s[18:19]
                                        ; implicit-def: $vgpr0_vgpr1
.LBB295_701:
	s_andn2_saveexec_b64 s[14:15], s[14:15]
	s_cbranch_execz .LBB295_749
; %bb.702:
	v_cmp_lt_i16_e64 s[4:5], 1, v5
                                        ; implicit-def: $vgpr19
	s_and_saveexec_b64 s[18:19], s[4:5]
	s_xor_b64 s[18:19], exec, s[18:19]
	s_cbranch_execz .LBB295_730
; %bb.703:
	v_cmp_lt_i16_e64 s[4:5], 2, v5
                                        ; implicit-def: $vgpr19
	s_and_saveexec_b64 s[20:21], s[4:5]
	s_xor_b64 s[20:21], exec, s[20:21]
	s_cbranch_execz .LBB295_721
; %bb.704:
	v_cmp_lt_i16_e64 s[4:5], 3, v5
                                        ; implicit-def: $vgpr19
	s_and_saveexec_b64 s[22:23], s[4:5]
	s_xor_b64 s[22:23], exec, s[22:23]
	s_cbranch_execz .LBB295_712
; %bb.705:
	flat_load_dwordx2 v[0:1], v[0:1]
	s_mov_b32 s4, 0x43800000
	s_waitcnt vmcnt(0) lgkmcnt(0)
	v_xor_b32_e32 v19, v0, v1
	v_ffbh_i32_e32 v18, v1
	v_ashrrev_i32_e32 v19, 31, v19
	v_add_u32_e32 v18, -1, v18
	v_add_u32_e32 v19, 32, v19
	v_min_u32_e32 v18, v18, v19
	v_lshlrev_b64 v[0:1], v18, v[0:1]
	v_mov_b32_e32 v19, 0x80
	v_min_u32_e32 v0, 1, v0
	v_or_b32_e32 v0, v1, v0
	v_cvt_f32_i32_e32 v0, v0
	v_sub_u32_e32 v1, 32, v18
	v_ldexp_f32 v0, v0, v1
	v_and_b32_e32 v1, 0x7fffffff, v0
	v_cmp_gt_u32_e64 s[4:5], s4, v1
	s_and_saveexec_b64 s[24:25], s[4:5]
	s_cbranch_execz .LBB295_711
; %bb.706:
	s_mov_b32 s4, 0x3bffffff
	v_cmp_lt_u32_e64 s[4:5], s4, v1
	s_mov_b64 s[26:27], 0
                                        ; implicit-def: $vgpr1
	s_and_saveexec_b64 s[28:29], s[4:5]
	s_xor_b64 s[4:5], exec, s[28:29]
	s_cbranch_execz .LBB295_2424
; %bb.707:
	v_bfe_u32 v1, v0, 20, 1
	s_mov_b32 s28, 0x487ffff
	v_add3_u32 v1, v0, v1, s28
	s_mov_b64 s[26:27], exec
	v_lshrrev_b32_e32 v1, 20, v1
	s_andn2_saveexec_b64 s[28:29], s[4:5]
	s_cbranch_execnz .LBB295_2425
.LBB295_708:
	s_or_b64 exec, exec, s[28:29]
	v_mov_b32_e32 v19, 0
	s_and_saveexec_b64 s[4:5], s[26:27]
.LBB295_709:
	v_lshrrev_b32_e32 v0, 24, v0
	s_movk_i32 s26, 0x80
	v_and_or_b32 v19, v0, s26, v1
.LBB295_710:
	s_or_b64 exec, exec, s[4:5]
.LBB295_711:
	s_or_b64 exec, exec, s[24:25]
                                        ; implicit-def: $vgpr0_vgpr1
.LBB295_712:
	s_andn2_saveexec_b64 s[22:23], s[22:23]
	s_cbranch_execz .LBB295_720
; %bb.713:
	flat_load_dword v0, v[0:1]
	s_mov_b32 s4, 0x43800000
	s_waitcnt vmcnt(0) lgkmcnt(0)
	v_mov_b32_e32 v19, 0x80
	v_cvt_f32_i32_e32 v0, v0
	v_and_b32_e32 v1, 0x7fffffff, v0
	v_cmp_gt_u32_e64 s[4:5], s4, v1
	s_and_saveexec_b64 s[24:25], s[4:5]
	s_cbranch_execz .LBB295_719
; %bb.714:
	s_mov_b32 s4, 0x3bffffff
	v_cmp_lt_u32_e64 s[4:5], s4, v1
	s_mov_b64 s[26:27], 0
                                        ; implicit-def: $vgpr1
	s_and_saveexec_b64 s[28:29], s[4:5]
	s_xor_b64 s[4:5], exec, s[28:29]
	s_cbranch_execz .LBB295_2426
; %bb.715:
	v_bfe_u32 v1, v0, 20, 1
	s_mov_b32 s28, 0x487ffff
	v_add3_u32 v1, v0, v1, s28
	s_mov_b64 s[26:27], exec
	v_lshrrev_b32_e32 v1, 20, v1
	s_andn2_saveexec_b64 s[28:29], s[4:5]
	s_cbranch_execnz .LBB295_2427
.LBB295_716:
	s_or_b64 exec, exec, s[28:29]
	v_mov_b32_e32 v19, 0
	s_and_saveexec_b64 s[4:5], s[26:27]
.LBB295_717:
	v_lshrrev_b32_e32 v0, 24, v0
	s_movk_i32 s26, 0x80
	v_and_or_b32 v19, v0, s26, v1
.LBB295_718:
	s_or_b64 exec, exec, s[4:5]
.LBB295_719:
	s_or_b64 exec, exec, s[24:25]
.LBB295_720:
	s_or_b64 exec, exec, s[22:23]
                                        ; implicit-def: $vgpr0_vgpr1
.LBB295_721:
	s_andn2_saveexec_b64 s[20:21], s[20:21]
	s_cbranch_execz .LBB295_729
; %bb.722:
	flat_load_sshort v0, v[0:1]
	s_mov_b32 s4, 0x43800000
	s_waitcnt vmcnt(0) lgkmcnt(0)
	v_mov_b32_e32 v19, 0x80
	v_cvt_f32_i32_e32 v0, v0
	v_and_b32_e32 v1, 0x7fffffff, v0
	v_cmp_gt_u32_e64 s[4:5], s4, v1
	s_and_saveexec_b64 s[22:23], s[4:5]
	s_cbranch_execz .LBB295_728
; %bb.723:
	s_mov_b32 s4, 0x3bffffff
	v_cmp_lt_u32_e64 s[4:5], s4, v1
	s_mov_b64 s[24:25], 0
                                        ; implicit-def: $vgpr1
	s_and_saveexec_b64 s[26:27], s[4:5]
	s_xor_b64 s[4:5], exec, s[26:27]
	s_cbranch_execz .LBB295_2333
; %bb.724:
	v_bfe_u32 v1, v0, 20, 1
	s_mov_b32 s26, 0x487ffff
	v_add3_u32 v1, v0, v1, s26
	s_mov_b64 s[24:25], exec
	v_lshrrev_b32_e32 v1, 20, v1
	s_andn2_saveexec_b64 s[26:27], s[4:5]
	s_cbranch_execnz .LBB295_2334
.LBB295_725:
	s_or_b64 exec, exec, s[26:27]
	v_mov_b32_e32 v19, 0
	s_and_saveexec_b64 s[4:5], s[24:25]
.LBB295_726:
	v_lshrrev_b32_e32 v0, 24, v0
	s_movk_i32 s24, 0x80
	v_and_or_b32 v19, v0, s24, v1
.LBB295_727:
	s_or_b64 exec, exec, s[4:5]
.LBB295_728:
	s_or_b64 exec, exec, s[22:23]
.LBB295_729:
	s_or_b64 exec, exec, s[20:21]
                                        ; implicit-def: $vgpr0_vgpr1
.LBB295_730:
	s_andn2_saveexec_b64 s[18:19], s[18:19]
	s_cbranch_execz .LBB295_748
; %bb.731:
	v_cmp_lt_i16_e64 s[4:5], 0, v5
                                        ; implicit-def: $vgpr19
	s_and_saveexec_b64 s[20:21], s[4:5]
	s_xor_b64 s[20:21], exec, s[20:21]
	s_cbranch_execz .LBB295_739
; %bb.732:
	flat_load_sbyte v0, v[0:1]
	s_mov_b32 s4, 0x43800000
	s_waitcnt vmcnt(0) lgkmcnt(0)
	v_mov_b32_e32 v19, 0x80
	v_cvt_f32_i32_e32 v0, v0
	v_and_b32_e32 v1, 0x7fffffff, v0
	v_cmp_gt_u32_e64 s[4:5], s4, v1
	s_and_saveexec_b64 s[22:23], s[4:5]
	s_cbranch_execz .LBB295_738
; %bb.733:
	s_mov_b32 s4, 0x3bffffff
	v_cmp_lt_u32_e64 s[4:5], s4, v1
	s_mov_b64 s[24:25], 0
                                        ; implicit-def: $vgpr1
	s_and_saveexec_b64 s[26:27], s[4:5]
	s_xor_b64 s[4:5], exec, s[26:27]
	s_cbranch_execz .LBB295_2335
; %bb.734:
	v_bfe_u32 v1, v0, 20, 1
	s_mov_b32 s26, 0x487ffff
	v_add3_u32 v1, v0, v1, s26
	s_mov_b64 s[24:25], exec
	v_lshrrev_b32_e32 v1, 20, v1
	s_andn2_saveexec_b64 s[26:27], s[4:5]
	s_cbranch_execnz .LBB295_2336
.LBB295_735:
	s_or_b64 exec, exec, s[26:27]
	v_mov_b32_e32 v19, 0
	s_and_saveexec_b64 s[4:5], s[24:25]
.LBB295_736:
	v_lshrrev_b32_e32 v0, 24, v0
	s_movk_i32 s24, 0x80
	v_and_or_b32 v19, v0, s24, v1
.LBB295_737:
	s_or_b64 exec, exec, s[4:5]
.LBB295_738:
	s_or_b64 exec, exec, s[22:23]
                                        ; implicit-def: $vgpr0_vgpr1
.LBB295_739:
	s_andn2_saveexec_b64 s[20:21], s[20:21]
	s_cbranch_execz .LBB295_747
; %bb.740:
	flat_load_ubyte v0, v[0:1]
	s_mov_b32 s4, 0x43800000
	s_waitcnt vmcnt(0) lgkmcnt(0)
	v_mov_b32_e32 v19, 0x80
	v_cvt_f32_ubyte0_e32 v1, v0
	v_cmp_gt_u32_e64 s[4:5], s4, v1
	s_and_saveexec_b64 s[22:23], s[4:5]
	s_cbranch_execz .LBB295_746
; %bb.741:
	s_mov_b32 s4, 0x3bffffff
	v_cmp_lt_u32_e64 s[4:5], s4, v1
	s_mov_b64 s[24:25], 0
                                        ; implicit-def: $vgpr0
	s_and_saveexec_b64 s[26:27], s[4:5]
	s_xor_b64 s[4:5], exec, s[26:27]
	s_cbranch_execz .LBB295_2337
; %bb.742:
	v_bfe_u32 v0, v1, 20, 1
	s_mov_b32 s26, 0x487ffff
	v_add3_u32 v0, v1, v0, s26
	s_mov_b64 s[24:25], exec
	v_lshrrev_b32_e32 v0, 20, v0
                                        ; implicit-def: $vgpr1
	s_andn2_saveexec_b64 s[26:27], s[4:5]
	s_cbranch_execnz .LBB295_2338
.LBB295_743:
	s_or_b64 exec, exec, s[26:27]
	v_mov_b32_e32 v19, 0
	s_and_saveexec_b64 s[4:5], s[24:25]
.LBB295_744:
	v_mov_b32_e32 v19, v0
.LBB295_745:
	s_or_b64 exec, exec, s[4:5]
.LBB295_746:
	s_or_b64 exec, exec, s[22:23]
.LBB295_747:
	s_or_b64 exec, exec, s[20:21]
.LBB295_748:
	s_or_b64 exec, exec, s[18:19]
.LBB295_749:
	s_or_b64 exec, exec, s[14:15]
	s_or_b64 s[16:17], s[16:17], exec
.LBB295_750:
	s_or_b64 exec, exec, s[6:7]
	s_mov_b64 s[4:5], 0
	s_mov_b64 s[18:19], 0
                                        ; implicit-def: $sgpr40_sgpr41
                                        ; implicit-def: $vgpr0_vgpr1
                                        ; implicit-def: $vgpr18
	s_and_saveexec_b64 s[14:15], s[16:17]
	s_cbranch_execz .LBB295_1846
; %bb.751:
	v_cmp_ne_u32_e64 s[4:5], 0, v16
                                        ; implicit-def: $sgpr18_sgpr19
	s_and_saveexec_b64 s[6:7], s[4:5]
	s_xor_b64 s[16:17], exec, s[6:7]
	s_cbranch_execz .LBB295_765
; %bb.752:
	s_movk_i32 s6, 0x7f
	s_waitcnt lgkmcnt(0)
	v_cmp_gt_i16_sdwa s[18:19], v17, s6 src0_sel:BYTE_0 src1_sel:DWORD
	s_mov_b64 s[6:7], 0
	s_and_saveexec_b64 s[20:21], s[18:19]
	s_xor_b64 s[18:19], exec, s[20:21]
	s_cbranch_execz .LBB295_2122
; %bb.753:
	s_movk_i32 s6, 0x80
	v_cmp_eq_u16_sdwa s[22:23], v17, s6 src0_sel:BYTE_0 src1_sel:DWORD
	s_mov_b64 s[6:7], -1
	s_and_saveexec_b64 s[20:21], s[22:23]
; %bb.754:
	s_xor_b64 s[6:7], exec, -1
; %bb.755:
	s_or_b64 exec, exec, s[20:21]
	s_and_b64 s[6:7], s[6:7], exec
	s_or_saveexec_b64 s[18:19], s[18:19]
	v_mov_b32_e32 v0, 0x7f800001
	s_xor_b64 exec, exec, s[18:19]
	s_cbranch_execnz .LBB295_2123
.LBB295_756:
	s_or_b64 exec, exec, s[18:19]
	s_and_saveexec_b64 s[18:19], s[6:7]
	s_cbranch_execz .LBB295_758
.LBB295_757:
	v_and_b32_e32 v1, 7, v17
	v_ffbh_u32_e32 v16, v1
	v_min_u32_e32 v16, 32, v16
	v_lshrrev_b16_e32 v0, 3, v17
	v_subrev_u32_e32 v18, 28, v16
	v_and_b32_e32 v0, 15, v0
	v_lshlrev_b32_e32 v18, v18, v17
	v_sub_u32_e32 v16, 29, v16
	v_and_b32_e32 v18, 7, v18
	v_cmp_eq_u32_e64 s[6:7], 0, v0
	v_cndmask_b32_e64 v0, v0, v16, s[6:7]
	v_cndmask_b32_e64 v1, v1, v18, s[6:7]
	v_lshlrev_b32_e32 v16, 24, v17
	v_mov_b32_e32 v17, 0x3b800000
	v_lshlrev_b32_e32 v1, 20, v1
	v_and_b32_e32 v16, 0x80000000, v16
	v_lshl_add_u32 v0, v0, 23, v17
	v_or3_b32 v0, v16, v0, v1
.LBB295_758:
	s_or_b64 exec, exec, s[18:19]
	s_movk_i32 s6, 0x7f
	s_waitcnt vmcnt(0)
	v_cmp_gt_i16_sdwa s[18:19], v19, s6 src0_sel:BYTE_0 src1_sel:DWORD
	s_mov_b64 s[6:7], 0
	s_and_saveexec_b64 s[20:21], s[18:19]
	s_xor_b64 s[18:19], exec, s[20:21]
	s_cbranch_execz .LBB295_2124
; %bb.759:
	s_movk_i32 s6, 0x80
	v_cmp_eq_u16_sdwa s[22:23], v19, s6 src0_sel:BYTE_0 src1_sel:DWORD
	s_mov_b64 s[6:7], -1
	s_and_saveexec_b64 s[20:21], s[22:23]
; %bb.760:
	s_xor_b64 s[6:7], exec, -1
; %bb.761:
	s_or_b64 exec, exec, s[20:21]
	s_and_b64 s[6:7], s[6:7], exec
	s_or_saveexec_b64 s[18:19], s[18:19]
	v_mov_b32_e32 v1, 0x7f800001
	s_xor_b64 exec, exec, s[18:19]
	s_cbranch_execnz .LBB295_2125
.LBB295_762:
	s_or_b64 exec, exec, s[18:19]
	s_and_saveexec_b64 s[18:19], s[6:7]
	s_cbranch_execz .LBB295_764
.LBB295_763:
	v_and_b32_e32 v16, 7, v19
	v_ffbh_u32_e32 v17, v16
	v_min_u32_e32 v17, 32, v17
	v_lshrrev_b16_e32 v1, 3, v19
	v_subrev_u32_e32 v18, 28, v17
	v_and_b32_e32 v1, 15, v1
	v_lshlrev_b32_e32 v18, v18, v19
	v_sub_u32_e32 v17, 29, v17
	v_and_b32_e32 v18, 7, v18
	v_cmp_eq_u32_e64 s[6:7], 0, v1
	v_cndmask_b32_e64 v1, v1, v17, s[6:7]
	v_cndmask_b32_e64 v16, v16, v18, s[6:7]
	v_lshlrev_b32_e32 v17, 24, v19
	v_mov_b32_e32 v18, 0x3b800000
	v_lshlrev_b32_e32 v16, 20, v16
	v_and_b32_e32 v17, 0x80000000, v17
	v_lshl_add_u32 v1, v1, 23, v18
	v_or3_b32 v1, v17, v1, v16
.LBB295_764:
	s_or_b64 exec, exec, s[18:19]
	v_cmp_neq_f32_e64 s[18:19], v0, v1
                                        ; implicit-def: $vgpr19
                                        ; implicit-def: $vgpr17
.LBB295_765:
	s_andn2_saveexec_b64 s[16:17], s[16:17]
	s_cbranch_execz .LBB295_779
; %bb.766:
	s_movk_i32 s6, 0x7f
	s_waitcnt lgkmcnt(0)
	v_cmp_gt_i16_sdwa s[20:21], v17, s6 src0_sel:BYTE_0 src1_sel:DWORD
	s_mov_b64 s[6:7], 0
	s_and_saveexec_b64 s[22:23], s[20:21]
	s_xor_b64 s[20:21], exec, s[22:23]
	s_cbranch_execz .LBB295_2126
; %bb.767:
	s_movk_i32 s6, 0x80
	v_cmp_eq_u16_sdwa s[24:25], v17, s6 src0_sel:BYTE_0 src1_sel:DWORD
	s_mov_b64 s[6:7], -1
	s_and_saveexec_b64 s[22:23], s[24:25]
; %bb.768:
	s_xor_b64 s[6:7], exec, -1
; %bb.769:
	s_or_b64 exec, exec, s[22:23]
	s_and_b64 s[6:7], s[6:7], exec
	s_or_saveexec_b64 s[20:21], s[20:21]
	v_mov_b32_e32 v0, 0x7f800001
	s_xor_b64 exec, exec, s[20:21]
	s_cbranch_execnz .LBB295_2127
.LBB295_770:
	s_or_b64 exec, exec, s[20:21]
	s_and_saveexec_b64 s[20:21], s[6:7]
	s_cbranch_execz .LBB295_772
.LBB295_771:
	v_and_b32_e32 v1, 7, v17
	v_ffbh_u32_e32 v16, v1
	v_min_u32_e32 v16, 32, v16
	v_lshrrev_b16_e32 v0, 3, v17
	v_subrev_u32_e32 v18, 28, v16
	v_and_b32_e32 v0, 15, v0
	v_lshlrev_b32_e32 v18, v18, v17
	v_sub_u32_e32 v16, 29, v16
	v_and_b32_e32 v18, 7, v18
	v_cmp_eq_u32_e64 s[6:7], 0, v0
	v_cndmask_b32_e64 v0, v0, v16, s[6:7]
	v_cndmask_b32_e64 v1, v1, v18, s[6:7]
	v_lshlrev_b32_e32 v16, 24, v17
	v_mov_b32_e32 v17, 0x3b800000
	v_lshlrev_b32_e32 v1, 20, v1
	v_and_b32_e32 v16, 0x80000000, v16
	v_lshl_add_u32 v0, v0, 23, v17
	v_or3_b32 v0, v16, v0, v1
.LBB295_772:
	s_or_b64 exec, exec, s[20:21]
	s_movk_i32 s6, 0x7f
	s_waitcnt vmcnt(0)
	v_cmp_gt_i16_sdwa s[20:21], v19, s6 src0_sel:BYTE_0 src1_sel:DWORD
	s_mov_b64 s[6:7], 0
	s_and_saveexec_b64 s[22:23], s[20:21]
	s_xor_b64 s[20:21], exec, s[22:23]
	s_cbranch_execz .LBB295_2128
; %bb.773:
	s_movk_i32 s6, 0x80
	v_cmp_eq_u16_sdwa s[24:25], v19, s6 src0_sel:BYTE_0 src1_sel:DWORD
	s_mov_b64 s[6:7], -1
	s_and_saveexec_b64 s[22:23], s[24:25]
; %bb.774:
	s_xor_b64 s[6:7], exec, -1
; %bb.775:
	s_or_b64 exec, exec, s[22:23]
	s_and_b64 s[6:7], s[6:7], exec
	s_or_saveexec_b64 s[20:21], s[20:21]
	v_mov_b32_e32 v1, 0x7f800001
	s_xor_b64 exec, exec, s[20:21]
	s_cbranch_execnz .LBB295_2129
.LBB295_776:
	s_or_b64 exec, exec, s[20:21]
	s_and_saveexec_b64 s[20:21], s[6:7]
	s_cbranch_execz .LBB295_778
.LBB295_777:
	v_and_b32_e32 v16, 7, v19
	v_ffbh_u32_e32 v17, v16
	v_min_u32_e32 v17, 32, v17
	v_lshrrev_b16_e32 v1, 3, v19
	v_subrev_u32_e32 v18, 28, v17
	v_and_b32_e32 v1, 15, v1
	v_lshlrev_b32_e32 v18, v18, v19
	v_sub_u32_e32 v17, 29, v17
	v_and_b32_e32 v18, 7, v18
	v_cmp_eq_u32_e64 s[6:7], 0, v1
	v_cndmask_b32_e64 v1, v1, v17, s[6:7]
	v_cndmask_b32_e64 v16, v16, v18, s[6:7]
	v_lshlrev_b32_e32 v17, 24, v19
	v_mov_b32_e32 v18, 0x3b800000
	v_lshlrev_b32_e32 v16, 20, v16
	v_and_b32_e32 v17, 0x80000000, v17
	v_lshl_add_u32 v1, v1, 23, v18
	v_or3_b32 v1, v17, v1, v16
.LBB295_778:
	s_or_b64 exec, exec, s[20:21]
	v_cmp_eq_f32_e64 s[6:7], v0, v1
	s_andn2_b64 s[18:19], s[18:19], exec
	s_and_b64 s[6:7], s[6:7], exec
	s_or_b64 s[18:19], s[18:19], s[6:7]
.LBB295_779:
	s_or_b64 exec, exec, s[16:17]
	v_lshlrev_b32_e32 v16, 7, v12
	s_waitcnt lgkmcnt(0)
	v_add_u32_e32 v17, v13, v16
	v_ashrrev_i32_e32 v1, 31, v17
	v_add_co_u32_e64 v0, s[6:7], v10, v17
	v_addc_co_u32_e64 v1, s[6:7], v11, v1, s[6:7]
	v_cmp_lt_i16_e64 s[6:7], 10, v6
	s_mov_b64 s[22:23], 0
	s_mov_b64 s[16:17], s[12:13]
                                        ; implicit-def: $vgpr19
	s_and_saveexec_b64 s[20:21], s[6:7]
	s_xor_b64 s[20:21], exec, s[20:21]
	s_cbranch_execz .LBB295_848
; %bb.780:
	v_cmp_lt_i16_e64 s[6:7], 25, v6
	s_mov_b64 s[16:17], 0
	s_mov_b64 s[24:25], 0
                                        ; implicit-def: $vgpr19
	s_and_saveexec_b64 s[26:27], s[6:7]
	s_xor_b64 s[26:27], exec, s[26:27]
	s_cbranch_execz .LBB295_2130
; %bb.781:
	v_cmp_lt_i16_e64 s[6:7], 28, v6
	s_mov_b64 s[28:29], 0
                                        ; implicit-def: $vgpr19
	s_and_saveexec_b64 s[22:23], s[6:7]
	s_xor_b64 s[22:23], exec, s[22:23]
	s_cbranch_execz .LBB295_815
; %bb.782:
	v_cmp_lt_i16_e64 s[6:7], 43, v6
	s_mov_b64 s[30:31], 0
	s_mov_b64 s[38:39], 0
                                        ; implicit-def: $vgpr19
	s_and_saveexec_b64 s[24:25], s[6:7]
	s_xor_b64 s[24:25], exec, s[24:25]
	s_cbranch_execz .LBB295_804
; %bb.783:
	v_cmp_lt_i16_e64 s[6:7], 45, v6
                                        ; implicit-def: $vgpr19
	s_and_saveexec_b64 s[38:39], s[6:7]
	s_xor_b64 s[38:39], exec, s[38:39]
	s_cbranch_execz .LBB295_793
; %bb.784:
	v_cmp_eq_u16_e64 s[6:7], 46, v6
	s_mov_b64 s[40:41], -1
                                        ; implicit-def: $vgpr19
	s_and_saveexec_b64 s[28:29], s[6:7]
	s_cbranch_execz .LBB295_792
; %bb.785:
	flat_load_dword v12, v[0:1]
	s_mov_b32 s6, 0x43800000
	s_waitcnt vmcnt(0)
	v_mov_b32_e32 v19, 0x80
	s_waitcnt lgkmcnt(0)
	v_lshlrev_b32_e32 v12, 16, v12
	v_and_b32_e32 v13, 0x7fffffff, v12
	v_cmp_gt_u32_e64 s[6:7], s6, v13
	s_and_saveexec_b64 s[30:31], s[6:7]
	s_cbranch_execz .LBB295_791
; %bb.786:
	s_mov_b32 s6, 0x3bffffff
	v_cmp_lt_u32_e64 s[6:7], s6, v13
	s_mov_b64 s[40:41], 0
                                        ; implicit-def: $vgpr13
	s_and_saveexec_b64 s[42:43], s[6:7]
	s_xor_b64 s[6:7], exec, s[42:43]
	s_cbranch_execz .LBB295_2596
; %bb.787:
	v_bfe_u32 v13, v12, 20, 1
	s_mov_b32 s33, 0x487ffff
	v_add3_u32 v13, v12, v13, s33
	s_mov_b64 s[40:41], exec
	v_lshrrev_b32_e32 v13, 20, v13
	s_andn2_saveexec_b64 s[42:43], s[6:7]
	s_cbranch_execnz .LBB295_2597
.LBB295_788:
	s_or_b64 exec, exec, s[42:43]
	v_mov_b32_e32 v19, 0
	s_and_saveexec_b64 s[6:7], s[40:41]
.LBB295_789:
	v_lshrrev_b32_e32 v12, 24, v12
	s_movk_i32 s33, 0x80
	v_and_or_b32 v19, v12, s33, v13
.LBB295_790:
	s_or_b64 exec, exec, s[6:7]
.LBB295_791:
	s_or_b64 exec, exec, s[30:31]
	s_mov_b64 s[30:31], exec
	s_xor_b64 s[40:41], exec, -1
.LBB295_792:
	s_or_b64 exec, exec, s[28:29]
	s_and_b64 s[30:31], s[30:31], exec
	s_and_b64 s[28:29], s[40:41], exec
.LBB295_793:
	s_andn2_saveexec_b64 s[38:39], s[38:39]
	s_cbranch_execz .LBB295_803
; %bb.794:
	v_cmp_eq_u16_e64 s[6:7], 44, v6
	s_mov_b64 s[42:43], -1
	s_mov_b64 s[44:45], s[30:31]
                                        ; implicit-def: $vgpr19
	s_and_saveexec_b64 s[40:41], s[6:7]
	s_cbranch_execz .LBB295_802
; %bb.795:
	flat_load_ubyte v12, v[0:1]
	s_movk_i32 s6, 0xff
	v_mov_b32_e32 v13, 0x7f800001
	v_mov_b32_e32 v18, 0x400000
	s_mov_b32 s33, 0x43800000
	s_waitcnt vmcnt(0) lgkmcnt(0)
	v_lshlrev_b32_e32 v19, 23, v12
	v_cmp_ne_u32_e64 s[6:7], s6, v12
	v_cndmask_b32_e64 v13, v13, v19, s[6:7]
	v_cmp_ne_u32_e64 s[6:7], 0, v12
	v_cndmask_b32_e64 v13, v18, v13, s[6:7]
	v_cmp_gt_u32_e64 s[6:7], s33, v13
	v_mov_b32_e32 v19, 0x80
	s_and_saveexec_b64 s[42:43], s[6:7]
	s_cbranch_execz .LBB295_801
; %bb.796:
	s_mov_b32 s6, 0x3bffffff
	v_cmp_lt_u32_e64 s[6:7], s6, v13
	s_mov_b64 s[44:45], 0
                                        ; implicit-def: $vgpr12
	s_and_saveexec_b64 s[46:47], s[6:7]
	s_xor_b64 s[6:7], exec, s[46:47]
	s_cbranch_execz .LBB295_2598
; %bb.797:
	v_bfe_u32 v12, v13, 20, 1
	s_mov_b32 s33, 0x487ffff
	v_add3_u32 v12, v13, v12, s33
	s_mov_b64 s[44:45], exec
	v_lshrrev_b32_e32 v12, 20, v12
                                        ; implicit-def: $vgpr13
	s_andn2_saveexec_b64 s[46:47], s[6:7]
	s_cbranch_execnz .LBB295_2599
.LBB295_798:
	s_or_b64 exec, exec, s[46:47]
	v_mov_b32_e32 v19, 0
	s_and_saveexec_b64 s[6:7], s[44:45]
.LBB295_799:
	v_mov_b32_e32 v19, v12
.LBB295_800:
	s_or_b64 exec, exec, s[6:7]
.LBB295_801:
	s_or_b64 exec, exec, s[42:43]
	s_or_b64 s[44:45], s[30:31], exec
	s_xor_b64 s[42:43], exec, -1
.LBB295_802:
	s_or_b64 exec, exec, s[40:41]
	s_andn2_b64 s[6:7], s[30:31], exec
	s_and_b64 s[30:31], s[44:45], exec
	s_or_b64 s[30:31], s[6:7], s[30:31]
	s_andn2_b64 s[6:7], s[28:29], exec
	s_and_b64 s[28:29], s[42:43], exec
	s_or_b64 s[28:29], s[6:7], s[28:29]
.LBB295_803:
	s_or_b64 exec, exec, s[38:39]
	s_and_b64 s[38:39], s[30:31], exec
	s_and_b64 s[30:31], s[28:29], exec
.LBB295_804:
	s_andn2_saveexec_b64 s[24:25], s[24:25]
	s_cbranch_execz .LBB295_814
; %bb.805:
	v_cmp_eq_u16_e64 s[6:7], 29, v6
	s_mov_b64 s[40:41], -1
	s_mov_b64 s[42:43], s[38:39]
                                        ; implicit-def: $vgpr19
	s_and_saveexec_b64 s[28:29], s[6:7]
	s_cbranch_execz .LBB295_813
; %bb.806:
	flat_load_dwordx2 v[12:13], v[0:1]
	s_mov_b32 s6, 0x43800000
	s_waitcnt vmcnt(0)
	v_mov_b32_e32 v19, 0x80
	s_waitcnt lgkmcnt(0)
	v_ffbh_u32_e32 v18, v13
	v_min_u32_e32 v18, 32, v18
	v_lshlrev_b64 v[12:13], v18, v[12:13]
	v_min_u32_e32 v12, 1, v12
	v_or_b32_e32 v12, v13, v12
	v_cvt_f32_u32_e32 v12, v12
	v_sub_u32_e32 v13, 32, v18
	v_ldexp_f32 v13, v12, v13
	v_cmp_gt_u32_e64 s[6:7], s6, v13
	s_and_saveexec_b64 s[40:41], s[6:7]
	s_cbranch_execz .LBB295_812
; %bb.807:
	s_mov_b32 s6, 0x3bffffff
	v_cmp_lt_u32_e64 s[6:7], s6, v13
	s_mov_b64 s[42:43], 0
                                        ; implicit-def: $vgpr12
	s_and_saveexec_b64 s[44:45], s[6:7]
	s_xor_b64 s[6:7], exec, s[44:45]
	s_cbranch_execz .LBB295_2509
; %bb.808:
	v_bfe_u32 v12, v13, 20, 1
	s_mov_b32 s33, 0x487ffff
	v_add3_u32 v12, v13, v12, s33
	s_mov_b64 s[42:43], exec
	v_lshrrev_b32_e32 v12, 20, v12
                                        ; implicit-def: $vgpr13
	s_andn2_saveexec_b64 s[44:45], s[6:7]
	s_cbranch_execnz .LBB295_2510
.LBB295_809:
	s_or_b64 exec, exec, s[44:45]
	v_mov_b32_e32 v19, 0
	s_and_saveexec_b64 s[6:7], s[42:43]
.LBB295_810:
	v_mov_b32_e32 v19, v12
.LBB295_811:
	s_or_b64 exec, exec, s[6:7]
.LBB295_812:
	s_or_b64 exec, exec, s[40:41]
	s_or_b64 s[42:43], s[38:39], exec
	s_xor_b64 s[40:41], exec, -1
.LBB295_813:
	s_or_b64 exec, exec, s[28:29]
	s_andn2_b64 s[6:7], s[38:39], exec
	s_and_b64 s[28:29], s[42:43], exec
	s_or_b64 s[38:39], s[6:7], s[28:29]
	s_andn2_b64 s[6:7], s[30:31], exec
	s_and_b64 s[28:29], s[40:41], exec
	s_or_b64 s[30:31], s[6:7], s[28:29]
.LBB295_814:
	s_or_b64 exec, exec, s[24:25]
	s_and_b64 s[28:29], s[38:39], exec
	s_and_b64 s[24:25], s[30:31], exec
.LBB295_815:
	s_andn2_saveexec_b64 s[22:23], s[22:23]
	s_cbranch_execz .LBB295_837
; %bb.816:
	v_cmp_lt_i16_e64 s[6:7], 26, v6
                                        ; implicit-def: $vgpr19
	s_and_saveexec_b64 s[30:31], s[6:7]
	s_xor_b64 s[30:31], exec, s[30:31]
	s_cbranch_execz .LBB295_834
; %bb.817:
	v_cmp_lt_i16_e64 s[6:7], 27, v6
                                        ; implicit-def: $vgpr19
	s_and_saveexec_b64 s[38:39], s[6:7]
	s_xor_b64 s[38:39], exec, s[38:39]
	s_cbranch_execz .LBB295_825
; %bb.818:
	flat_load_dword v12, v[0:1]
	s_mov_b32 s6, 0x43800000
	s_waitcnt vmcnt(0)
	v_mov_b32_e32 v19, 0x80
	s_waitcnt lgkmcnt(0)
	v_cvt_f32_u32_e32 v13, v12
	v_cmp_gt_u32_e64 s[6:7], s6, v13
	s_and_saveexec_b64 s[40:41], s[6:7]
	s_cbranch_execz .LBB295_824
; %bb.819:
	s_mov_b32 s6, 0x3bffffff
	v_cmp_lt_u32_e64 s[6:7], s6, v13
	s_mov_b64 s[42:43], 0
                                        ; implicit-def: $vgpr12
	s_and_saveexec_b64 s[44:45], s[6:7]
	s_xor_b64 s[6:7], exec, s[44:45]
	s_cbranch_execz .LBB295_2511
; %bb.820:
	v_bfe_u32 v12, v13, 20, 1
	s_mov_b32 s33, 0x487ffff
	v_add3_u32 v12, v13, v12, s33
	s_mov_b64 s[42:43], exec
	v_lshrrev_b32_e32 v12, 20, v12
                                        ; implicit-def: $vgpr13
	s_andn2_saveexec_b64 s[44:45], s[6:7]
	s_cbranch_execnz .LBB295_2512
.LBB295_821:
	s_or_b64 exec, exec, s[44:45]
	v_mov_b32_e32 v19, 0
	s_and_saveexec_b64 s[6:7], s[42:43]
.LBB295_822:
	v_mov_b32_e32 v19, v12
.LBB295_823:
	s_or_b64 exec, exec, s[6:7]
.LBB295_824:
	s_or_b64 exec, exec, s[40:41]
.LBB295_825:
	s_andn2_saveexec_b64 s[38:39], s[38:39]
	s_cbranch_execz .LBB295_833
; %bb.826:
	flat_load_ushort v12, v[0:1]
	s_mov_b32 s6, 0x43800000
	s_waitcnt vmcnt(0)
	v_mov_b32_e32 v19, 0x80
	s_waitcnt lgkmcnt(0)
	v_cvt_f32_u32_e32 v13, v12
	v_cmp_gt_u32_e64 s[6:7], s6, v13
	s_and_saveexec_b64 s[40:41], s[6:7]
	s_cbranch_execz .LBB295_832
; %bb.827:
	s_mov_b32 s6, 0x3bffffff
	v_cmp_lt_u32_e64 s[6:7], s6, v13
	s_mov_b64 s[42:43], 0
                                        ; implicit-def: $vgpr12
	s_and_saveexec_b64 s[44:45], s[6:7]
	s_xor_b64 s[6:7], exec, s[44:45]
	s_cbranch_execz .LBB295_2513
; %bb.828:
	v_bfe_u32 v12, v13, 20, 1
	s_mov_b32 s33, 0x487ffff
	v_add3_u32 v12, v13, v12, s33
	s_mov_b64 s[42:43], exec
	v_lshrrev_b32_e32 v12, 20, v12
                                        ; implicit-def: $vgpr13
	s_andn2_saveexec_b64 s[44:45], s[6:7]
	s_cbranch_execnz .LBB295_2514
.LBB295_829:
	s_or_b64 exec, exec, s[44:45]
	v_mov_b32_e32 v19, 0
	s_and_saveexec_b64 s[6:7], s[42:43]
.LBB295_830:
	v_mov_b32_e32 v19, v12
.LBB295_831:
	s_or_b64 exec, exec, s[6:7]
.LBB295_832:
	s_or_b64 exec, exec, s[40:41]
.LBB295_833:
	s_or_b64 exec, exec, s[38:39]
.LBB295_834:
	s_andn2_saveexec_b64 s[6:7], s[30:31]
	s_cbranch_execz .LBB295_836
; %bb.835:
	s_waitcnt vmcnt(0)
	flat_load_ubyte v19, v[0:1]
.LBB295_836:
	s_or_b64 exec, exec, s[6:7]
	s_or_b64 s[28:29], s[28:29], exec
.LBB295_837:
	s_or_b64 exec, exec, s[22:23]
	s_and_b64 s[22:23], s[28:29], exec
	s_and_b64 s[24:25], s[24:25], exec
	s_andn2_saveexec_b64 s[26:27], s[26:27]
	s_cbranch_execnz .LBB295_2131
.LBB295_838:
	s_or_b64 exec, exec, s[26:27]
	s_mov_b64 s[26:27], s[12:13]
	s_and_saveexec_b64 s[6:7], s[24:25]
	s_cbranch_execnz .LBB295_2180
.LBB295_839:
	s_or_b64 exec, exec, s[6:7]
	s_and_saveexec_b64 s[6:7], s[16:17]
	s_xor_b64 s[16:17], exec, s[6:7]
	s_cbranch_execz .LBB295_847
.LBB295_840:
	flat_load_ubyte v0, v[0:1]
	s_mov_b32 s24, 0x43800000
	s_waitcnt vmcnt(0) lgkmcnt(0)
	v_mov_b32_e32 v19, 0x80
	v_cmp_ne_u16_e64 s[6:7], 0, v0
	v_cndmask_b32_e64 v1, 0, 1.0, s[6:7]
	v_cmp_gt_u32_e64 s[6:7], s24, v1
	s_and_saveexec_b64 s[24:25], s[6:7]
	s_cbranch_execz .LBB295_846
; %bb.841:
	s_mov_b32 s6, 0x3bffffff
	v_cmp_lt_u32_e64 s[6:7], s6, v1
	s_mov_b64 s[28:29], 0
                                        ; implicit-def: $vgpr0
	s_and_saveexec_b64 s[30:31], s[6:7]
	s_xor_b64 s[6:7], exec, s[30:31]
	s_cbranch_execz .LBB295_2244
; %bb.842:
	v_bfe_u32 v0, v1, 20, 1
	s_mov_b32 s30, 0x487ffff
	v_add3_u32 v0, v1, v0, s30
	s_mov_b64 s[28:29], exec
	v_lshrrev_b32_e32 v0, 20, v0
                                        ; implicit-def: $vgpr1
	s_andn2_saveexec_b64 s[30:31], s[6:7]
	s_cbranch_execnz .LBB295_2245
.LBB295_843:
	s_or_b64 exec, exec, s[30:31]
	v_mov_b32_e32 v19, 0
	s_and_saveexec_b64 s[6:7], s[28:29]
.LBB295_844:
	v_mov_b32_e32 v19, v0
.LBB295_845:
	s_or_b64 exec, exec, s[6:7]
.LBB295_846:
	s_or_b64 exec, exec, s[24:25]
	s_or_b64 s[22:23], s[22:23], exec
.LBB295_847:
	s_or_b64 exec, exec, s[16:17]
	s_andn2_b64 s[6:7], s[12:13], exec
	s_and_b64 s[16:17], s[26:27], exec
	s_or_b64 s[16:17], s[6:7], s[16:17]
	s_and_b64 s[22:23], s[22:23], exec
                                        ; implicit-def: $vgpr0_vgpr1
.LBB295_848:
	s_andn2_saveexec_b64 s[20:21], s[20:21]
	s_cbranch_execz .LBB295_956
; %bb.849:
	v_cmp_lt_i16_e64 s[6:7], 4, v6
                                        ; implicit-def: $vgpr19
	s_and_saveexec_b64 s[24:25], s[6:7]
	s_xor_b64 s[24:25], exec, s[24:25]
	s_cbranch_execz .LBB295_907
; %bb.850:
	v_cmp_lt_i16_e64 s[6:7], 7, v6
                                        ; implicit-def: $vgpr19
	s_and_saveexec_b64 s[26:27], s[6:7]
	s_xor_b64 s[26:27], exec, s[26:27]
	;; [unrolled: 6-line block ×4, first 2 shown]
	s_cbranch_execz .LBB295_860
; %bb.853:
	flat_load_dwordx2 v[0:1], v[0:1]
	s_mov_b32 s6, 0x43800000
	s_waitcnt vmcnt(0) lgkmcnt(0)
	v_mov_b32_e32 v19, 0x80
	v_cvt_f32_f64_e32 v0, v[0:1]
	v_and_b32_e32 v1, 0x7fffffff, v0
	v_cmp_gt_u32_e64 s[6:7], s6, v1
	s_and_saveexec_b64 s[38:39], s[6:7]
	s_cbranch_execz .LBB295_859
; %bb.854:
	s_mov_b32 s6, 0x3bffffff
	v_cmp_lt_u32_e64 s[6:7], s6, v1
	s_mov_b64 s[40:41], 0
                                        ; implicit-def: $vgpr1
	s_and_saveexec_b64 s[42:43], s[6:7]
	s_xor_b64 s[6:7], exec, s[42:43]
	s_cbranch_execz .LBB295_2515
; %bb.855:
	v_bfe_u32 v1, v0, 20, 1
	s_mov_b32 s33, 0x487ffff
	v_add3_u32 v1, v0, v1, s33
	s_mov_b64 s[40:41], exec
	v_lshrrev_b32_e32 v1, 20, v1
	s_andn2_saveexec_b64 s[42:43], s[6:7]
	s_cbranch_execnz .LBB295_2516
.LBB295_856:
	s_or_b64 exec, exec, s[42:43]
	v_mov_b32_e32 v19, 0
	s_and_saveexec_b64 s[6:7], s[40:41]
.LBB295_857:
	v_lshrrev_b32_e32 v0, 24, v0
	s_movk_i32 s33, 0x80
	v_and_or_b32 v19, v0, s33, v1
.LBB295_858:
	s_or_b64 exec, exec, s[6:7]
.LBB295_859:
	s_or_b64 exec, exec, s[38:39]
                                        ; implicit-def: $vgpr0_vgpr1
.LBB295_860:
	s_andn2_saveexec_b64 s[30:31], s[30:31]
	s_cbranch_execz .LBB295_868
; %bb.861:
	flat_load_dword v0, v[0:1]
	s_mov_b32 s6, 0x43800000
	s_waitcnt vmcnt(0) lgkmcnt(0)
	v_mov_b32_e32 v19, 0x80
	v_and_b32_e32 v1, 0x7fffffff, v0
	v_cmp_gt_u32_e64 s[6:7], s6, v1
	s_and_saveexec_b64 s[38:39], s[6:7]
	s_cbranch_execz .LBB295_867
; %bb.862:
	s_mov_b32 s6, 0x3bffffff
	v_cmp_lt_u32_e64 s[6:7], s6, v1
	s_mov_b64 s[40:41], 0
                                        ; implicit-def: $vgpr1
	s_and_saveexec_b64 s[42:43], s[6:7]
	s_xor_b64 s[6:7], exec, s[42:43]
	s_cbranch_execz .LBB295_2517
; %bb.863:
	v_bfe_u32 v1, v0, 20, 1
	s_mov_b32 s33, 0x487ffff
	v_add3_u32 v1, v0, v1, s33
	s_mov_b64 s[40:41], exec
	v_lshrrev_b32_e32 v1, 20, v1
	s_andn2_saveexec_b64 s[42:43], s[6:7]
	s_cbranch_execnz .LBB295_2518
.LBB295_864:
	s_or_b64 exec, exec, s[42:43]
	v_mov_b32_e32 v19, 0
	s_and_saveexec_b64 s[6:7], s[40:41]
.LBB295_865:
	v_lshrrev_b32_e32 v0, 24, v0
	s_movk_i32 s33, 0x80
	v_and_or_b32 v19, v0, s33, v1
.LBB295_866:
	s_or_b64 exec, exec, s[6:7]
.LBB295_867:
	s_or_b64 exec, exec, s[38:39]
.LBB295_868:
	s_or_b64 exec, exec, s[30:31]
                                        ; implicit-def: $vgpr0_vgpr1
.LBB295_869:
	s_andn2_saveexec_b64 s[28:29], s[28:29]
	s_cbranch_execz .LBB295_877
; %bb.870:
	flat_load_dword v0, v[0:1]
	s_mov_b32 s6, 0x43800000
	s_waitcnt vmcnt(0) lgkmcnt(0)
	v_mov_b32_e32 v19, 0x80
	v_cvt_f32_f16_e32 v0, v0
	v_and_b32_e32 v1, 0x7fffffff, v0
	v_cmp_gt_u32_e64 s[6:7], s6, v1
	s_and_saveexec_b64 s[30:31], s[6:7]
	s_cbranch_execz .LBB295_876
; %bb.871:
	s_mov_b32 s6, 0x3bffffff
	v_cmp_lt_u32_e64 s[6:7], s6, v1
	s_mov_b64 s[38:39], 0
                                        ; implicit-def: $vgpr1
	s_and_saveexec_b64 s[40:41], s[6:7]
	s_xor_b64 s[6:7], exec, s[40:41]
	s_cbranch_execz .LBB295_2428
; %bb.872:
	v_bfe_u32 v1, v0, 20, 1
	s_mov_b32 s33, 0x487ffff
	v_add3_u32 v1, v0, v1, s33
	s_mov_b64 s[38:39], exec
	v_lshrrev_b32_e32 v1, 20, v1
	s_andn2_saveexec_b64 s[40:41], s[6:7]
	s_cbranch_execnz .LBB295_2429
.LBB295_873:
	s_or_b64 exec, exec, s[40:41]
	v_mov_b32_e32 v19, 0
	s_and_saveexec_b64 s[6:7], s[38:39]
.LBB295_874:
	v_lshrrev_b32_e32 v0, 24, v0
	s_movk_i32 s33, 0x80
	v_and_or_b32 v19, v0, s33, v1
.LBB295_875:
	s_or_b64 exec, exec, s[6:7]
.LBB295_876:
	s_or_b64 exec, exec, s[30:31]
.LBB295_877:
	s_or_b64 exec, exec, s[28:29]
                                        ; implicit-def: $vgpr0_vgpr1
.LBB295_878:
	s_andn2_saveexec_b64 s[26:27], s[26:27]
	s_cbranch_execz .LBB295_906
; %bb.879:
	v_cmp_lt_i16_e64 s[6:7], 5, v6
                                        ; implicit-def: $vgpr19
	s_and_saveexec_b64 s[28:29], s[6:7]
	s_xor_b64 s[28:29], exec, s[28:29]
	s_cbranch_execz .LBB295_897
; %bb.880:
	v_cmp_lt_i16_e64 s[6:7], 6, v6
                                        ; implicit-def: $vgpr19
	s_and_saveexec_b64 s[30:31], s[6:7]
	s_xor_b64 s[30:31], exec, s[30:31]
	s_cbranch_execz .LBB295_888
; %bb.881:
	flat_load_dwordx2 v[0:1], v[0:1]
	s_mov_b32 s6, 0x43800000
	s_waitcnt vmcnt(0) lgkmcnt(0)
	v_mov_b32_e32 v19, 0x80
	v_cvt_f32_f64_e32 v0, v[0:1]
	v_and_b32_e32 v1, 0x7fffffff, v0
	v_cmp_gt_u32_e64 s[6:7], s6, v1
	s_and_saveexec_b64 s[38:39], s[6:7]
	s_cbranch_execz .LBB295_887
; %bb.882:
	s_mov_b32 s6, 0x3bffffff
	v_cmp_lt_u32_e64 s[6:7], s6, v1
	s_mov_b64 s[40:41], 0
                                        ; implicit-def: $vgpr1
	s_and_saveexec_b64 s[42:43], s[6:7]
	s_xor_b64 s[6:7], exec, s[42:43]
	s_cbranch_execz .LBB295_2519
; %bb.883:
	v_bfe_u32 v1, v0, 20, 1
	s_mov_b32 s33, 0x487ffff
	v_add3_u32 v1, v0, v1, s33
	s_mov_b64 s[40:41], exec
	v_lshrrev_b32_e32 v1, 20, v1
	s_andn2_saveexec_b64 s[42:43], s[6:7]
	s_cbranch_execnz .LBB295_2520
.LBB295_884:
	s_or_b64 exec, exec, s[42:43]
	v_mov_b32_e32 v19, 0
	s_and_saveexec_b64 s[6:7], s[40:41]
.LBB295_885:
	v_lshrrev_b32_e32 v0, 24, v0
	s_movk_i32 s33, 0x80
	v_and_or_b32 v19, v0, s33, v1
.LBB295_886:
	s_or_b64 exec, exec, s[6:7]
.LBB295_887:
	s_or_b64 exec, exec, s[38:39]
                                        ; implicit-def: $vgpr0_vgpr1
.LBB295_888:
	s_andn2_saveexec_b64 s[30:31], s[30:31]
	s_cbranch_execz .LBB295_896
; %bb.889:
	flat_load_dword v0, v[0:1]
	s_mov_b32 s6, 0x43800000
	s_waitcnt vmcnt(0) lgkmcnt(0)
	v_mov_b32_e32 v19, 0x80
	v_and_b32_e32 v1, 0x7fffffff, v0
	v_cmp_gt_u32_e64 s[6:7], s6, v1
	s_and_saveexec_b64 s[38:39], s[6:7]
	s_cbranch_execz .LBB295_895
; %bb.890:
	s_mov_b32 s6, 0x3bffffff
	v_cmp_lt_u32_e64 s[6:7], s6, v1
	s_mov_b64 s[40:41], 0
                                        ; implicit-def: $vgpr1
	s_and_saveexec_b64 s[42:43], s[6:7]
	s_xor_b64 s[6:7], exec, s[42:43]
	s_cbranch_execz .LBB295_2521
; %bb.891:
	v_bfe_u32 v1, v0, 20, 1
	s_mov_b32 s33, 0x487ffff
	v_add3_u32 v1, v0, v1, s33
	s_mov_b64 s[40:41], exec
	v_lshrrev_b32_e32 v1, 20, v1
	s_andn2_saveexec_b64 s[42:43], s[6:7]
	s_cbranch_execnz .LBB295_2522
.LBB295_892:
	s_or_b64 exec, exec, s[42:43]
	v_mov_b32_e32 v19, 0
	s_and_saveexec_b64 s[6:7], s[40:41]
.LBB295_893:
	v_lshrrev_b32_e32 v0, 24, v0
	s_movk_i32 s33, 0x80
	v_and_or_b32 v19, v0, s33, v1
.LBB295_894:
	s_or_b64 exec, exec, s[6:7]
.LBB295_895:
	s_or_b64 exec, exec, s[38:39]
.LBB295_896:
	s_or_b64 exec, exec, s[30:31]
                                        ; implicit-def: $vgpr0_vgpr1
.LBB295_897:
	s_andn2_saveexec_b64 s[28:29], s[28:29]
	s_cbranch_execz .LBB295_905
; %bb.898:
	flat_load_ushort v0, v[0:1]
	s_mov_b32 s6, 0x43800000
	s_waitcnt vmcnt(0) lgkmcnt(0)
	v_mov_b32_e32 v19, 0x80
	v_cvt_f32_f16_e32 v0, v0
	v_and_b32_e32 v1, 0x7fffffff, v0
	v_cmp_gt_u32_e64 s[6:7], s6, v1
	s_and_saveexec_b64 s[30:31], s[6:7]
	s_cbranch_execz .LBB295_904
; %bb.899:
	s_mov_b32 s6, 0x3bffffff
	v_cmp_lt_u32_e64 s[6:7], s6, v1
	s_mov_b64 s[38:39], 0
                                        ; implicit-def: $vgpr1
	s_and_saveexec_b64 s[40:41], s[6:7]
	s_xor_b64 s[6:7], exec, s[40:41]
	s_cbranch_execz .LBB295_2430
; %bb.900:
	v_bfe_u32 v1, v0, 20, 1
	s_mov_b32 s33, 0x487ffff
	v_add3_u32 v1, v0, v1, s33
	s_mov_b64 s[38:39], exec
	v_lshrrev_b32_e32 v1, 20, v1
	s_andn2_saveexec_b64 s[40:41], s[6:7]
	s_cbranch_execnz .LBB295_2431
.LBB295_901:
	s_or_b64 exec, exec, s[40:41]
	v_mov_b32_e32 v19, 0
	s_and_saveexec_b64 s[6:7], s[38:39]
.LBB295_902:
	v_lshrrev_b32_e32 v0, 24, v0
	s_movk_i32 s33, 0x80
	v_and_or_b32 v19, v0, s33, v1
.LBB295_903:
	s_or_b64 exec, exec, s[6:7]
.LBB295_904:
	s_or_b64 exec, exec, s[30:31]
.LBB295_905:
	s_or_b64 exec, exec, s[28:29]
.LBB295_906:
	s_or_b64 exec, exec, s[26:27]
                                        ; implicit-def: $vgpr0_vgpr1
.LBB295_907:
	s_andn2_saveexec_b64 s[24:25], s[24:25]
	s_cbranch_execz .LBB295_955
; %bb.908:
	v_cmp_lt_i16_e64 s[6:7], 1, v6
                                        ; implicit-def: $vgpr19
	s_and_saveexec_b64 s[26:27], s[6:7]
	s_xor_b64 s[26:27], exec, s[26:27]
	s_cbranch_execz .LBB295_936
; %bb.909:
	v_cmp_lt_i16_e64 s[6:7], 2, v6
                                        ; implicit-def: $vgpr19
	s_and_saveexec_b64 s[28:29], s[6:7]
	s_xor_b64 s[28:29], exec, s[28:29]
	;; [unrolled: 6-line block ×3, first 2 shown]
	s_cbranch_execz .LBB295_918
; %bb.911:
	flat_load_dwordx2 v[0:1], v[0:1]
	s_mov_b32 s6, 0x43800000
	s_waitcnt vmcnt(0) lgkmcnt(0)
	v_mov_b32_e32 v19, 0x80
	v_xor_b32_e32 v13, v0, v1
	v_ffbh_i32_e32 v12, v1
	v_ashrrev_i32_e32 v13, 31, v13
	v_add_u32_e32 v12, -1, v12
	v_add_u32_e32 v13, 32, v13
	v_min_u32_e32 v12, v12, v13
	v_lshlrev_b64 v[0:1], v12, v[0:1]
	v_min_u32_e32 v0, 1, v0
	v_or_b32_e32 v0, v1, v0
	v_cvt_f32_i32_e32 v0, v0
	v_sub_u32_e32 v1, 32, v12
	v_ldexp_f32 v0, v0, v1
	v_and_b32_e32 v1, 0x7fffffff, v0
	v_cmp_gt_u32_e64 s[6:7], s6, v1
	s_and_saveexec_b64 s[38:39], s[6:7]
	s_cbranch_execz .LBB295_917
; %bb.912:
	s_mov_b32 s6, 0x3bffffff
	v_cmp_lt_u32_e64 s[6:7], s6, v1
	s_mov_b64 s[40:41], 0
                                        ; implicit-def: $vgpr1
	s_and_saveexec_b64 s[42:43], s[6:7]
	s_xor_b64 s[6:7], exec, s[42:43]
	s_cbranch_execz .LBB295_2523
; %bb.913:
	v_bfe_u32 v1, v0, 20, 1
	s_mov_b32 s33, 0x487ffff
	v_add3_u32 v1, v0, v1, s33
	s_mov_b64 s[40:41], exec
	v_lshrrev_b32_e32 v1, 20, v1
	s_andn2_saveexec_b64 s[42:43], s[6:7]
	s_cbranch_execnz .LBB295_2524
.LBB295_914:
	s_or_b64 exec, exec, s[42:43]
	v_mov_b32_e32 v19, 0
	s_and_saveexec_b64 s[6:7], s[40:41]
.LBB295_915:
	v_lshrrev_b32_e32 v0, 24, v0
	s_movk_i32 s33, 0x80
	v_and_or_b32 v19, v0, s33, v1
.LBB295_916:
	s_or_b64 exec, exec, s[6:7]
.LBB295_917:
	s_or_b64 exec, exec, s[38:39]
                                        ; implicit-def: $vgpr0_vgpr1
.LBB295_918:
	s_andn2_saveexec_b64 s[30:31], s[30:31]
	s_cbranch_execz .LBB295_926
; %bb.919:
	flat_load_dword v0, v[0:1]
	s_mov_b32 s6, 0x43800000
	s_waitcnt vmcnt(0) lgkmcnt(0)
	v_mov_b32_e32 v19, 0x80
	v_cvt_f32_i32_e32 v0, v0
	v_and_b32_e32 v1, 0x7fffffff, v0
	v_cmp_gt_u32_e64 s[6:7], s6, v1
	s_and_saveexec_b64 s[38:39], s[6:7]
	s_cbranch_execz .LBB295_925
; %bb.920:
	s_mov_b32 s6, 0x3bffffff
	v_cmp_lt_u32_e64 s[6:7], s6, v1
	s_mov_b64 s[40:41], 0
                                        ; implicit-def: $vgpr1
	s_and_saveexec_b64 s[42:43], s[6:7]
	s_xor_b64 s[6:7], exec, s[42:43]
	s_cbranch_execz .LBB295_2525
; %bb.921:
	v_bfe_u32 v1, v0, 20, 1
	s_mov_b32 s33, 0x487ffff
	v_add3_u32 v1, v0, v1, s33
	s_mov_b64 s[40:41], exec
	v_lshrrev_b32_e32 v1, 20, v1
	s_andn2_saveexec_b64 s[42:43], s[6:7]
	s_cbranch_execnz .LBB295_2526
.LBB295_922:
	s_or_b64 exec, exec, s[42:43]
	v_mov_b32_e32 v19, 0
	s_and_saveexec_b64 s[6:7], s[40:41]
.LBB295_923:
	v_lshrrev_b32_e32 v0, 24, v0
	s_movk_i32 s33, 0x80
	v_and_or_b32 v19, v0, s33, v1
.LBB295_924:
	s_or_b64 exec, exec, s[6:7]
.LBB295_925:
	s_or_b64 exec, exec, s[38:39]
.LBB295_926:
	s_or_b64 exec, exec, s[30:31]
                                        ; implicit-def: $vgpr0_vgpr1
.LBB295_927:
	s_andn2_saveexec_b64 s[28:29], s[28:29]
	s_cbranch_execz .LBB295_935
; %bb.928:
	flat_load_sshort v0, v[0:1]
	s_mov_b32 s6, 0x43800000
	s_waitcnt vmcnt(0) lgkmcnt(0)
	v_mov_b32_e32 v19, 0x80
	v_cvt_f32_i32_e32 v0, v0
	v_and_b32_e32 v1, 0x7fffffff, v0
	v_cmp_gt_u32_e64 s[6:7], s6, v1
	s_and_saveexec_b64 s[30:31], s[6:7]
	s_cbranch_execz .LBB295_934
; %bb.929:
	s_mov_b32 s6, 0x3bffffff
	v_cmp_lt_u32_e64 s[6:7], s6, v1
	s_mov_b64 s[38:39], 0
                                        ; implicit-def: $vgpr1
	s_and_saveexec_b64 s[40:41], s[6:7]
	s_xor_b64 s[6:7], exec, s[40:41]
	s_cbranch_execz .LBB295_2432
; %bb.930:
	v_bfe_u32 v1, v0, 20, 1
	s_mov_b32 s33, 0x487ffff
	v_add3_u32 v1, v0, v1, s33
	s_mov_b64 s[38:39], exec
	v_lshrrev_b32_e32 v1, 20, v1
	s_andn2_saveexec_b64 s[40:41], s[6:7]
	s_cbranch_execnz .LBB295_2433
.LBB295_931:
	s_or_b64 exec, exec, s[40:41]
	v_mov_b32_e32 v19, 0
	s_and_saveexec_b64 s[6:7], s[38:39]
.LBB295_932:
	v_lshrrev_b32_e32 v0, 24, v0
	s_movk_i32 s33, 0x80
	v_and_or_b32 v19, v0, s33, v1
.LBB295_933:
	s_or_b64 exec, exec, s[6:7]
.LBB295_934:
	s_or_b64 exec, exec, s[30:31]
.LBB295_935:
	s_or_b64 exec, exec, s[28:29]
                                        ; implicit-def: $vgpr0_vgpr1
.LBB295_936:
	s_andn2_saveexec_b64 s[26:27], s[26:27]
	s_cbranch_execz .LBB295_954
; %bb.937:
	v_cmp_lt_i16_e64 s[6:7], 0, v6
                                        ; implicit-def: $vgpr19
	s_and_saveexec_b64 s[28:29], s[6:7]
	s_xor_b64 s[28:29], exec, s[28:29]
	s_cbranch_execz .LBB295_945
; %bb.938:
	flat_load_sbyte v0, v[0:1]
	s_mov_b32 s6, 0x43800000
	s_waitcnt vmcnt(0) lgkmcnt(0)
	v_mov_b32_e32 v19, 0x80
	v_cvt_f32_i32_e32 v0, v0
	v_and_b32_e32 v1, 0x7fffffff, v0
	v_cmp_gt_u32_e64 s[6:7], s6, v1
	s_and_saveexec_b64 s[30:31], s[6:7]
	s_cbranch_execz .LBB295_944
; %bb.939:
	s_mov_b32 s6, 0x3bffffff
	v_cmp_lt_u32_e64 s[6:7], s6, v1
	s_mov_b64 s[38:39], 0
                                        ; implicit-def: $vgpr1
	s_and_saveexec_b64 s[40:41], s[6:7]
	s_xor_b64 s[6:7], exec, s[40:41]
	s_cbranch_execz .LBB295_2434
; %bb.940:
	v_bfe_u32 v1, v0, 20, 1
	s_mov_b32 s33, 0x487ffff
	v_add3_u32 v1, v0, v1, s33
	s_mov_b64 s[38:39], exec
	v_lshrrev_b32_e32 v1, 20, v1
	s_andn2_saveexec_b64 s[40:41], s[6:7]
	s_cbranch_execnz .LBB295_2435
.LBB295_941:
	s_or_b64 exec, exec, s[40:41]
	v_mov_b32_e32 v19, 0
	s_and_saveexec_b64 s[6:7], s[38:39]
.LBB295_942:
	v_lshrrev_b32_e32 v0, 24, v0
	s_movk_i32 s33, 0x80
	v_and_or_b32 v19, v0, s33, v1
.LBB295_943:
	s_or_b64 exec, exec, s[6:7]
.LBB295_944:
	s_or_b64 exec, exec, s[30:31]
                                        ; implicit-def: $vgpr0_vgpr1
.LBB295_945:
	s_andn2_saveexec_b64 s[28:29], s[28:29]
	s_cbranch_execz .LBB295_953
; %bb.946:
	flat_load_ubyte v0, v[0:1]
	s_mov_b32 s6, 0x43800000
	s_waitcnt vmcnt(0) lgkmcnt(0)
	v_mov_b32_e32 v19, 0x80
	v_cvt_f32_ubyte0_e32 v1, v0
	v_cmp_gt_u32_e64 s[6:7], s6, v1
	s_and_saveexec_b64 s[30:31], s[6:7]
	s_cbranch_execz .LBB295_952
; %bb.947:
	s_mov_b32 s6, 0x3bffffff
	v_cmp_lt_u32_e64 s[6:7], s6, v1
	s_mov_b64 s[38:39], 0
                                        ; implicit-def: $vgpr0
	s_and_saveexec_b64 s[40:41], s[6:7]
	s_xor_b64 s[6:7], exec, s[40:41]
	s_cbranch_execz .LBB295_2436
; %bb.948:
	v_bfe_u32 v0, v1, 20, 1
	s_mov_b32 s33, 0x487ffff
	v_add3_u32 v0, v1, v0, s33
	s_mov_b64 s[38:39], exec
	v_lshrrev_b32_e32 v0, 20, v0
                                        ; implicit-def: $vgpr1
	s_andn2_saveexec_b64 s[40:41], s[6:7]
	s_cbranch_execnz .LBB295_2437
.LBB295_949:
	s_or_b64 exec, exec, s[40:41]
	v_mov_b32_e32 v19, 0
	s_and_saveexec_b64 s[6:7], s[38:39]
.LBB295_950:
	v_mov_b32_e32 v19, v0
.LBB295_951:
	s_or_b64 exec, exec, s[6:7]
.LBB295_952:
	s_or_b64 exec, exec, s[30:31]
.LBB295_953:
	s_or_b64 exec, exec, s[28:29]
.LBB295_954:
	s_or_b64 exec, exec, s[26:27]
.LBB295_955:
	s_or_b64 exec, exec, s[24:25]
	s_or_b64 s[22:23], s[22:23], exec
.LBB295_956:
	s_or_b64 exec, exec, s[20:21]
	s_mov_b64 s[6:7], 0
	s_mov_b64 s[24:25], 0
                                        ; implicit-def: $sgpr40_sgpr41
                                        ; implicit-def: $vgpr0_vgpr1
                                        ; implicit-def: $vgpr18
	s_and_saveexec_b64 s[20:21], s[22:23]
	s_cbranch_execz .LBB295_1845
; %bb.957:
	v_lshlrev_b32_e32 v12, 7, v14
	v_add_u32_e32 v13, v15, v12
	v_ashrrev_i32_e32 v1, 31, v13
	v_add_co_u32_e64 v0, s[6:7], v8, v13
	v_addc_co_u32_e64 v1, s[6:7], v9, v1, s[6:7]
	v_cmp_lt_i16_e64 s[6:7], 10, v5
	s_mov_b64 s[26:27], 0
	s_mov_b64 s[22:23], s[16:17]
                                        ; implicit-def: $vgpr14
	s_and_saveexec_b64 s[24:25], s[6:7]
	s_xor_b64 s[24:25], exec, s[24:25]
	s_cbranch_execz .LBB295_1026
; %bb.958:
	v_cmp_lt_i16_e64 s[6:7], 25, v5
	s_mov_b64 s[22:23], 0
	s_mov_b64 s[28:29], 0
                                        ; implicit-def: $vgpr14
	s_and_saveexec_b64 s[30:31], s[6:7]
	s_xor_b64 s[30:31], exec, s[30:31]
	s_cbranch_execz .LBB295_2183
; %bb.959:
	v_cmp_lt_i16_e64 s[6:7], 28, v5
	s_mov_b64 s[38:39], 0
                                        ; implicit-def: $vgpr14
	s_and_saveexec_b64 s[26:27], s[6:7]
	s_xor_b64 s[26:27], exec, s[26:27]
	s_cbranch_execz .LBB295_993
; %bb.960:
	v_cmp_lt_i16_e64 s[6:7], 43, v5
	s_mov_b64 s[40:41], 0
	s_mov_b64 s[42:43], 0
                                        ; implicit-def: $vgpr14
	s_and_saveexec_b64 s[28:29], s[6:7]
	s_xor_b64 s[28:29], exec, s[28:29]
	s_cbranch_execz .LBB295_982
; %bb.961:
	v_cmp_lt_i16_e64 s[6:7], 45, v5
                                        ; implicit-def: $vgpr14
	s_and_saveexec_b64 s[42:43], s[6:7]
	s_xor_b64 s[42:43], exec, s[42:43]
	s_cbranch_execz .LBB295_971
; %bb.962:
	v_cmp_eq_u16_e64 s[6:7], 46, v5
	s_mov_b64 s[44:45], -1
                                        ; implicit-def: $vgpr14
	s_and_saveexec_b64 s[38:39], s[6:7]
	s_cbranch_execz .LBB295_970
; %bb.963:
	flat_load_dword v14, v[0:1]
	s_mov_b32 s6, 0x43800000
	s_waitcnt vmcnt(0) lgkmcnt(0)
	v_lshlrev_b32_e32 v15, 16, v14
	v_and_b32_e32 v18, 0x7fffffff, v15
	v_cmp_gt_u32_e64 s[6:7], s6, v18
	v_mov_b32_e32 v14, 0x80
	s_and_saveexec_b64 s[40:41], s[6:7]
	s_cbranch_execz .LBB295_969
; %bb.964:
	s_mov_b32 s6, 0x3bffffff
	v_cmp_lt_u32_e64 s[6:7], s6, v18
	s_mov_b64 s[44:45], 0
                                        ; implicit-def: $vgpr18
	s_and_saveexec_b64 s[46:47], s[6:7]
	s_xor_b64 s[6:7], exec, s[46:47]
	s_cbranch_execz .LBB295_2683
; %bb.965:
	v_bfe_u32 v14, v15, 20, 1
	s_mov_b32 s33, 0x487ffff
	v_add3_u32 v14, v15, v14, s33
	s_mov_b64 s[44:45], exec
	v_lshrrev_b32_e32 v18, 20, v14
	s_andn2_saveexec_b64 s[46:47], s[6:7]
	s_cbranch_execnz .LBB295_2684
.LBB295_966:
	s_or_b64 exec, exec, s[46:47]
	v_mov_b32_e32 v14, 0
	s_and_saveexec_b64 s[6:7], s[44:45]
.LBB295_967:
	v_lshrrev_b32_e32 v14, 24, v15
	s_movk_i32 s33, 0x80
	v_and_or_b32 v14, v14, s33, v18
.LBB295_968:
	s_or_b64 exec, exec, s[6:7]
.LBB295_969:
	s_or_b64 exec, exec, s[40:41]
	s_mov_b64 s[40:41], exec
	s_xor_b64 s[44:45], exec, -1
.LBB295_970:
	s_or_b64 exec, exec, s[38:39]
	s_and_b64 s[40:41], s[40:41], exec
	s_and_b64 s[38:39], s[44:45], exec
.LBB295_971:
	s_andn2_saveexec_b64 s[42:43], s[42:43]
	s_cbranch_execz .LBB295_981
; %bb.972:
	v_cmp_eq_u16_e64 s[6:7], 44, v5
	s_mov_b64 s[46:47], -1
	s_mov_b64 s[48:49], s[40:41]
                                        ; implicit-def: $vgpr14
	s_and_saveexec_b64 s[44:45], s[6:7]
	s_cbranch_execz .LBB295_980
; %bb.973:
	flat_load_ubyte v14, v[0:1]
	s_movk_i32 s6, 0xff
	v_mov_b32_e32 v15, 0x7f800001
	v_mov_b32_e32 v18, 0x400000
	s_mov_b32 s33, 0x43800000
	s_waitcnt vmcnt(0) lgkmcnt(0)
	v_lshlrev_b32_e32 v20, 23, v14
	v_cmp_ne_u32_e64 s[6:7], s6, v14
	v_cndmask_b32_e64 v15, v15, v20, s[6:7]
	v_cmp_ne_u32_e64 s[6:7], 0, v14
	v_cndmask_b32_e64 v18, v18, v15, s[6:7]
	v_cmp_gt_u32_e64 s[6:7], s33, v18
	v_mov_b32_e32 v14, 0x80
	s_and_saveexec_b64 s[46:47], s[6:7]
	s_cbranch_execz .LBB295_979
; %bb.974:
	s_mov_b32 s6, 0x3bffffff
	v_cmp_lt_u32_e64 s[6:7], s6, v18
	s_mov_b64 s[48:49], 0
                                        ; implicit-def: $vgpr15
	s_and_saveexec_b64 s[50:51], s[6:7]
	s_xor_b64 s[6:7], exec, s[50:51]
	s_cbranch_execz .LBB295_2685
; %bb.975:
	v_bfe_u32 v14, v18, 20, 1
	s_mov_b32 s33, 0x487ffff
	v_add3_u32 v14, v18, v14, s33
	s_mov_b64 s[48:49], exec
	v_lshrrev_b32_e32 v15, 20, v14
                                        ; implicit-def: $vgpr18
	s_andn2_saveexec_b64 s[50:51], s[6:7]
	s_cbranch_execnz .LBB295_2686
.LBB295_976:
	s_or_b64 exec, exec, s[50:51]
	v_mov_b32_e32 v14, 0
	s_and_saveexec_b64 s[6:7], s[48:49]
.LBB295_977:
	v_mov_b32_e32 v14, v15
.LBB295_978:
	s_or_b64 exec, exec, s[6:7]
.LBB295_979:
	s_or_b64 exec, exec, s[46:47]
	s_or_b64 s[48:49], s[40:41], exec
	s_xor_b64 s[46:47], exec, -1
.LBB295_980:
	s_or_b64 exec, exec, s[44:45]
	s_andn2_b64 s[6:7], s[40:41], exec
	s_and_b64 s[40:41], s[48:49], exec
	s_or_b64 s[40:41], s[6:7], s[40:41]
	s_andn2_b64 s[6:7], s[38:39], exec
	s_and_b64 s[38:39], s[46:47], exec
	s_or_b64 s[38:39], s[6:7], s[38:39]
.LBB295_981:
	s_or_b64 exec, exec, s[42:43]
	s_and_b64 s[42:43], s[40:41], exec
	s_and_b64 s[40:41], s[38:39], exec
.LBB295_982:
	s_andn2_saveexec_b64 s[28:29], s[28:29]
	s_cbranch_execz .LBB295_992
; %bb.983:
	v_cmp_eq_u16_e64 s[6:7], 29, v5
	s_mov_b64 s[44:45], -1
	s_mov_b64 s[46:47], s[42:43]
                                        ; implicit-def: $vgpr14
	s_and_saveexec_b64 s[38:39], s[6:7]
	s_cbranch_execz .LBB295_991
; %bb.984:
	flat_load_dwordx2 v[14:15], v[0:1]
	s_mov_b32 s6, 0x43800000
	s_waitcnt vmcnt(0) lgkmcnt(0)
	v_ffbh_u32_e32 v18, v15
	v_min_u32_e32 v18, 32, v18
	v_lshlrev_b64 v[14:15], v18, v[14:15]
	v_min_u32_e32 v14, 1, v14
	v_or_b32_e32 v14, v15, v14
	v_cvt_f32_u32_e32 v14, v14
	v_sub_u32_e32 v15, 32, v18
	v_ldexp_f32 v18, v14, v15
	v_cmp_gt_u32_e64 s[6:7], s6, v18
	v_mov_b32_e32 v14, 0x80
	s_and_saveexec_b64 s[44:45], s[6:7]
	s_cbranch_execz .LBB295_990
; %bb.985:
	s_mov_b32 s6, 0x3bffffff
	v_cmp_lt_u32_e64 s[6:7], s6, v18
	s_mov_b64 s[46:47], 0
                                        ; implicit-def: $vgpr15
	s_and_saveexec_b64 s[48:49], s[6:7]
	s_xor_b64 s[6:7], exec, s[48:49]
	s_cbranch_execz .LBB295_2600
; %bb.986:
	v_bfe_u32 v14, v18, 20, 1
	s_mov_b32 s33, 0x487ffff
	v_add3_u32 v14, v18, v14, s33
	s_mov_b64 s[46:47], exec
	v_lshrrev_b32_e32 v15, 20, v14
                                        ; implicit-def: $vgpr18
	s_andn2_saveexec_b64 s[48:49], s[6:7]
	s_cbranch_execnz .LBB295_2601
.LBB295_987:
	s_or_b64 exec, exec, s[48:49]
	v_mov_b32_e32 v14, 0
	s_and_saveexec_b64 s[6:7], s[46:47]
.LBB295_988:
	v_mov_b32_e32 v14, v15
.LBB295_989:
	s_or_b64 exec, exec, s[6:7]
.LBB295_990:
	s_or_b64 exec, exec, s[44:45]
	s_or_b64 s[46:47], s[42:43], exec
	s_xor_b64 s[44:45], exec, -1
.LBB295_991:
	s_or_b64 exec, exec, s[38:39]
	s_andn2_b64 s[6:7], s[42:43], exec
	s_and_b64 s[38:39], s[46:47], exec
	s_or_b64 s[42:43], s[6:7], s[38:39]
	s_andn2_b64 s[6:7], s[40:41], exec
	s_and_b64 s[38:39], s[44:45], exec
	s_or_b64 s[40:41], s[6:7], s[38:39]
.LBB295_992:
	s_or_b64 exec, exec, s[28:29]
	s_and_b64 s[38:39], s[42:43], exec
	s_and_b64 s[28:29], s[40:41], exec
.LBB295_993:
	s_andn2_saveexec_b64 s[26:27], s[26:27]
	s_cbranch_execz .LBB295_1015
; %bb.994:
	v_cmp_lt_i16_e64 s[6:7], 26, v5
                                        ; implicit-def: $vgpr14
	s_and_saveexec_b64 s[40:41], s[6:7]
	s_xor_b64 s[40:41], exec, s[40:41]
	s_cbranch_execz .LBB295_1012
; %bb.995:
	v_cmp_lt_i16_e64 s[6:7], 27, v5
                                        ; implicit-def: $vgpr14
	s_and_saveexec_b64 s[42:43], s[6:7]
	s_xor_b64 s[42:43], exec, s[42:43]
	s_cbranch_execz .LBB295_1003
; %bb.996:
	flat_load_dword v14, v[0:1]
	s_mov_b32 s6, 0x43800000
	s_waitcnt vmcnt(0) lgkmcnt(0)
	v_cvt_f32_u32_e32 v18, v14
	v_mov_b32_e32 v14, 0x80
	v_cmp_gt_u32_e64 s[6:7], s6, v18
	s_and_saveexec_b64 s[44:45], s[6:7]
	s_cbranch_execz .LBB295_1002
; %bb.997:
	s_mov_b32 s6, 0x3bffffff
	v_cmp_lt_u32_e64 s[6:7], s6, v18
	s_mov_b64 s[46:47], 0
                                        ; implicit-def: $vgpr15
	s_and_saveexec_b64 s[48:49], s[6:7]
	s_xor_b64 s[6:7], exec, s[48:49]
	s_cbranch_execz .LBB295_2602
; %bb.998:
	v_bfe_u32 v14, v18, 20, 1
	s_mov_b32 s33, 0x487ffff
	v_add3_u32 v14, v18, v14, s33
	s_mov_b64 s[46:47], exec
	v_lshrrev_b32_e32 v15, 20, v14
                                        ; implicit-def: $vgpr18
	s_andn2_saveexec_b64 s[48:49], s[6:7]
	s_cbranch_execnz .LBB295_2603
.LBB295_999:
	s_or_b64 exec, exec, s[48:49]
	v_mov_b32_e32 v14, 0
	s_and_saveexec_b64 s[6:7], s[46:47]
.LBB295_1000:
	v_mov_b32_e32 v14, v15
.LBB295_1001:
	s_or_b64 exec, exec, s[6:7]
.LBB295_1002:
	s_or_b64 exec, exec, s[44:45]
.LBB295_1003:
	s_andn2_saveexec_b64 s[42:43], s[42:43]
	s_cbranch_execz .LBB295_1011
; %bb.1004:
	flat_load_ushort v14, v[0:1]
	s_mov_b32 s6, 0x43800000
	s_waitcnt vmcnt(0) lgkmcnt(0)
	v_cvt_f32_u32_e32 v18, v14
	v_mov_b32_e32 v14, 0x80
	v_cmp_gt_u32_e64 s[6:7], s6, v18
	s_and_saveexec_b64 s[44:45], s[6:7]
	s_cbranch_execz .LBB295_1010
; %bb.1005:
	s_mov_b32 s6, 0x3bffffff
	v_cmp_lt_u32_e64 s[6:7], s6, v18
	s_mov_b64 s[46:47], 0
                                        ; implicit-def: $vgpr15
	s_and_saveexec_b64 s[48:49], s[6:7]
	s_xor_b64 s[6:7], exec, s[48:49]
	s_cbranch_execz .LBB295_2604
; %bb.1006:
	v_bfe_u32 v14, v18, 20, 1
	s_mov_b32 s33, 0x487ffff
	v_add3_u32 v14, v18, v14, s33
	s_mov_b64 s[46:47], exec
	v_lshrrev_b32_e32 v15, 20, v14
                                        ; implicit-def: $vgpr18
	s_andn2_saveexec_b64 s[48:49], s[6:7]
	s_cbranch_execnz .LBB295_2605
.LBB295_1007:
	s_or_b64 exec, exec, s[48:49]
	v_mov_b32_e32 v14, 0
	s_and_saveexec_b64 s[6:7], s[46:47]
.LBB295_1008:
	v_mov_b32_e32 v14, v15
.LBB295_1009:
	s_or_b64 exec, exec, s[6:7]
.LBB295_1010:
	s_or_b64 exec, exec, s[44:45]
.LBB295_1011:
	s_or_b64 exec, exec, s[42:43]
.LBB295_1012:
	s_andn2_saveexec_b64 s[6:7], s[40:41]
	s_cbranch_execz .LBB295_1014
; %bb.1013:
	flat_load_ubyte v14, v[0:1]
.LBB295_1014:
	s_or_b64 exec, exec, s[6:7]
	s_or_b64 s[38:39], s[38:39], exec
.LBB295_1015:
	s_or_b64 exec, exec, s[26:27]
	s_and_b64 s[26:27], s[38:39], exec
	s_and_b64 s[28:29], s[28:29], exec
	s_andn2_saveexec_b64 s[30:31], s[30:31]
	s_cbranch_execnz .LBB295_2184
.LBB295_1016:
	s_or_b64 exec, exec, s[30:31]
	s_mov_b64 s[30:31], s[16:17]
	s_and_saveexec_b64 s[6:7], s[28:29]
	s_cbranch_execnz .LBB295_2233
.LBB295_1017:
	s_or_b64 exec, exec, s[6:7]
	s_and_saveexec_b64 s[6:7], s[22:23]
	s_xor_b64 s[22:23], exec, s[6:7]
	s_cbranch_execz .LBB295_1025
.LBB295_1018:
	flat_load_ubyte v0, v[0:1]
	s_mov_b32 s28, 0x43800000
	s_waitcnt vmcnt(0) lgkmcnt(0)
	v_mov_b32_e32 v14, 0x80
	v_cmp_ne_u16_e64 s[6:7], 0, v0
	v_cndmask_b32_e64 v1, 0, 1.0, s[6:7]
	v_cmp_gt_u32_e64 s[6:7], s28, v1
	s_and_saveexec_b64 s[28:29], s[6:7]
	s_cbranch_execz .LBB295_1024
; %bb.1019:
	s_mov_b32 s6, 0x3bffffff
	v_cmp_lt_u32_e64 s[6:7], s6, v1
	s_mov_b64 s[38:39], 0
                                        ; implicit-def: $vgpr0
	s_and_saveexec_b64 s[40:41], s[6:7]
	s_xor_b64 s[6:7], exec, s[40:41]
	s_cbranch_execz .LBB295_2339
; %bb.1020:
	v_bfe_u32 v0, v1, 20, 1
	s_mov_b32 s33, 0x487ffff
	v_add3_u32 v0, v1, v0, s33
	s_mov_b64 s[38:39], exec
	v_lshrrev_b32_e32 v0, 20, v0
                                        ; implicit-def: $vgpr1
	s_andn2_saveexec_b64 s[40:41], s[6:7]
	s_cbranch_execnz .LBB295_2340
.LBB295_1021:
	s_or_b64 exec, exec, s[40:41]
	v_mov_b32_e32 v14, 0
	s_and_saveexec_b64 s[6:7], s[38:39]
.LBB295_1022:
	v_mov_b32_e32 v14, v0
.LBB295_1023:
	s_or_b64 exec, exec, s[6:7]
.LBB295_1024:
	s_or_b64 exec, exec, s[28:29]
	s_or_b64 s[26:27], s[26:27], exec
.LBB295_1025:
	s_or_b64 exec, exec, s[22:23]
	s_andn2_b64 s[6:7], s[16:17], exec
	s_and_b64 s[22:23], s[30:31], exec
	s_or_b64 s[22:23], s[6:7], s[22:23]
	s_and_b64 s[26:27], s[26:27], exec
                                        ; implicit-def: $vgpr0_vgpr1
.LBB295_1026:
	s_andn2_saveexec_b64 s[24:25], s[24:25]
	s_cbranch_execz .LBB295_1134
; %bb.1027:
	v_cmp_lt_i16_e64 s[6:7], 4, v5
                                        ; implicit-def: $vgpr14
	s_and_saveexec_b64 s[28:29], s[6:7]
	s_xor_b64 s[28:29], exec, s[28:29]
	s_cbranch_execz .LBB295_1085
; %bb.1028:
	v_cmp_lt_i16_e64 s[6:7], 7, v5
                                        ; implicit-def: $vgpr14
	s_and_saveexec_b64 s[30:31], s[6:7]
	s_xor_b64 s[30:31], exec, s[30:31]
	;; [unrolled: 6-line block ×4, first 2 shown]
	s_cbranch_execz .LBB295_1038
; %bb.1031:
	flat_load_dwordx2 v[0:1], v[0:1]
	s_mov_b32 s6, 0x43800000
	s_waitcnt vmcnt(0) lgkmcnt(0)
	v_mov_b32_e32 v14, 0x80
	v_cvt_f32_f64_e32 v0, v[0:1]
	v_and_b32_e32 v1, 0x7fffffff, v0
	v_cmp_gt_u32_e64 s[6:7], s6, v1
	s_and_saveexec_b64 s[42:43], s[6:7]
	s_cbranch_execz .LBB295_1037
; %bb.1032:
	s_mov_b32 s6, 0x3bffffff
	v_cmp_lt_u32_e64 s[6:7], s6, v1
	s_mov_b64 s[44:45], 0
                                        ; implicit-def: $vgpr1
	s_and_saveexec_b64 s[46:47], s[6:7]
	s_xor_b64 s[6:7], exec, s[46:47]
	s_cbranch_execz .LBB295_2606
; %bb.1033:
	v_bfe_u32 v1, v0, 20, 1
	s_mov_b32 s33, 0x487ffff
	v_add3_u32 v1, v0, v1, s33
	s_mov_b64 s[44:45], exec
	v_lshrrev_b32_e32 v1, 20, v1
	s_andn2_saveexec_b64 s[46:47], s[6:7]
	s_cbranch_execnz .LBB295_2607
.LBB295_1034:
	s_or_b64 exec, exec, s[46:47]
	v_mov_b32_e32 v14, 0
	s_and_saveexec_b64 s[6:7], s[44:45]
.LBB295_1035:
	v_lshrrev_b32_e32 v0, 24, v0
	s_movk_i32 s33, 0x80
	v_and_or_b32 v14, v0, s33, v1
.LBB295_1036:
	s_or_b64 exec, exec, s[6:7]
.LBB295_1037:
	s_or_b64 exec, exec, s[42:43]
                                        ; implicit-def: $vgpr0_vgpr1
.LBB295_1038:
	s_andn2_saveexec_b64 s[40:41], s[40:41]
	s_cbranch_execz .LBB295_1046
; %bb.1039:
	flat_load_dword v0, v[0:1]
	s_mov_b32 s6, 0x43800000
	s_waitcnt vmcnt(0) lgkmcnt(0)
	v_mov_b32_e32 v14, 0x80
	v_and_b32_e32 v1, 0x7fffffff, v0
	v_cmp_gt_u32_e64 s[6:7], s6, v1
	s_and_saveexec_b64 s[42:43], s[6:7]
	s_cbranch_execz .LBB295_1045
; %bb.1040:
	s_mov_b32 s6, 0x3bffffff
	v_cmp_lt_u32_e64 s[6:7], s6, v1
	s_mov_b64 s[44:45], 0
                                        ; implicit-def: $vgpr1
	s_and_saveexec_b64 s[46:47], s[6:7]
	s_xor_b64 s[6:7], exec, s[46:47]
	s_cbranch_execz .LBB295_2608
; %bb.1041:
	v_bfe_u32 v1, v0, 20, 1
	s_mov_b32 s33, 0x487ffff
	v_add3_u32 v1, v0, v1, s33
	s_mov_b64 s[44:45], exec
	v_lshrrev_b32_e32 v1, 20, v1
	s_andn2_saveexec_b64 s[46:47], s[6:7]
	s_cbranch_execnz .LBB295_2609
.LBB295_1042:
	s_or_b64 exec, exec, s[46:47]
	v_mov_b32_e32 v14, 0
	s_and_saveexec_b64 s[6:7], s[44:45]
.LBB295_1043:
	v_lshrrev_b32_e32 v0, 24, v0
	s_movk_i32 s33, 0x80
	v_and_or_b32 v14, v0, s33, v1
.LBB295_1044:
	s_or_b64 exec, exec, s[6:7]
.LBB295_1045:
	s_or_b64 exec, exec, s[42:43]
.LBB295_1046:
	s_or_b64 exec, exec, s[40:41]
                                        ; implicit-def: $vgpr0_vgpr1
.LBB295_1047:
	s_andn2_saveexec_b64 s[38:39], s[38:39]
	s_cbranch_execz .LBB295_1055
; %bb.1048:
	flat_load_dword v0, v[0:1]
	s_mov_b32 s6, 0x43800000
	s_waitcnt vmcnt(0) lgkmcnt(0)
	v_mov_b32_e32 v14, 0x80
	v_cvt_f32_f16_e32 v0, v0
	v_and_b32_e32 v1, 0x7fffffff, v0
	v_cmp_gt_u32_e64 s[6:7], s6, v1
	s_and_saveexec_b64 s[40:41], s[6:7]
	s_cbranch_execz .LBB295_1054
; %bb.1049:
	s_mov_b32 s6, 0x3bffffff
	v_cmp_lt_u32_e64 s[6:7], s6, v1
	s_mov_b64 s[42:43], 0
                                        ; implicit-def: $vgpr1
	s_and_saveexec_b64 s[44:45], s[6:7]
	s_xor_b64 s[6:7], exec, s[44:45]
	s_cbranch_execz .LBB295_2527
; %bb.1050:
	v_bfe_u32 v1, v0, 20, 1
	s_mov_b32 s33, 0x487ffff
	v_add3_u32 v1, v0, v1, s33
	s_mov_b64 s[42:43], exec
	v_lshrrev_b32_e32 v1, 20, v1
	s_andn2_saveexec_b64 s[44:45], s[6:7]
	s_cbranch_execnz .LBB295_2528
.LBB295_1051:
	s_or_b64 exec, exec, s[44:45]
	v_mov_b32_e32 v14, 0
	s_and_saveexec_b64 s[6:7], s[42:43]
.LBB295_1052:
	v_lshrrev_b32_e32 v0, 24, v0
	s_movk_i32 s33, 0x80
	v_and_or_b32 v14, v0, s33, v1
.LBB295_1053:
	s_or_b64 exec, exec, s[6:7]
.LBB295_1054:
	s_or_b64 exec, exec, s[40:41]
.LBB295_1055:
	s_or_b64 exec, exec, s[38:39]
                                        ; implicit-def: $vgpr0_vgpr1
.LBB295_1056:
	s_andn2_saveexec_b64 s[30:31], s[30:31]
	s_cbranch_execz .LBB295_1084
; %bb.1057:
	v_cmp_lt_i16_e64 s[6:7], 5, v5
                                        ; implicit-def: $vgpr14
	s_and_saveexec_b64 s[38:39], s[6:7]
	s_xor_b64 s[38:39], exec, s[38:39]
	s_cbranch_execz .LBB295_1075
; %bb.1058:
	v_cmp_lt_i16_e64 s[6:7], 6, v5
                                        ; implicit-def: $vgpr14
	s_and_saveexec_b64 s[40:41], s[6:7]
	s_xor_b64 s[40:41], exec, s[40:41]
	s_cbranch_execz .LBB295_1066
; %bb.1059:
	flat_load_dwordx2 v[0:1], v[0:1]
	s_mov_b32 s6, 0x43800000
	s_waitcnt vmcnt(0) lgkmcnt(0)
	v_mov_b32_e32 v14, 0x80
	v_cvt_f32_f64_e32 v0, v[0:1]
	v_and_b32_e32 v1, 0x7fffffff, v0
	v_cmp_gt_u32_e64 s[6:7], s6, v1
	s_and_saveexec_b64 s[42:43], s[6:7]
	s_cbranch_execz .LBB295_1065
; %bb.1060:
	s_mov_b32 s6, 0x3bffffff
	v_cmp_lt_u32_e64 s[6:7], s6, v1
	s_mov_b64 s[44:45], 0
                                        ; implicit-def: $vgpr1
	s_and_saveexec_b64 s[46:47], s[6:7]
	s_xor_b64 s[6:7], exec, s[46:47]
	s_cbranch_execz .LBB295_2610
; %bb.1061:
	v_bfe_u32 v1, v0, 20, 1
	s_mov_b32 s33, 0x487ffff
	v_add3_u32 v1, v0, v1, s33
	s_mov_b64 s[44:45], exec
	v_lshrrev_b32_e32 v1, 20, v1
	s_andn2_saveexec_b64 s[46:47], s[6:7]
	s_cbranch_execnz .LBB295_2611
.LBB295_1062:
	s_or_b64 exec, exec, s[46:47]
	v_mov_b32_e32 v14, 0
	s_and_saveexec_b64 s[6:7], s[44:45]
.LBB295_1063:
	v_lshrrev_b32_e32 v0, 24, v0
	s_movk_i32 s33, 0x80
	v_and_or_b32 v14, v0, s33, v1
.LBB295_1064:
	s_or_b64 exec, exec, s[6:7]
.LBB295_1065:
	s_or_b64 exec, exec, s[42:43]
                                        ; implicit-def: $vgpr0_vgpr1
.LBB295_1066:
	s_andn2_saveexec_b64 s[40:41], s[40:41]
	s_cbranch_execz .LBB295_1074
; %bb.1067:
	flat_load_dword v0, v[0:1]
	s_mov_b32 s6, 0x43800000
	s_waitcnt vmcnt(0) lgkmcnt(0)
	v_mov_b32_e32 v14, 0x80
	v_and_b32_e32 v1, 0x7fffffff, v0
	v_cmp_gt_u32_e64 s[6:7], s6, v1
	s_and_saveexec_b64 s[42:43], s[6:7]
	s_cbranch_execz .LBB295_1073
; %bb.1068:
	s_mov_b32 s6, 0x3bffffff
	v_cmp_lt_u32_e64 s[6:7], s6, v1
	s_mov_b64 s[44:45], 0
                                        ; implicit-def: $vgpr1
	s_and_saveexec_b64 s[46:47], s[6:7]
	s_xor_b64 s[6:7], exec, s[46:47]
	s_cbranch_execz .LBB295_2612
; %bb.1069:
	v_bfe_u32 v1, v0, 20, 1
	s_mov_b32 s33, 0x487ffff
	v_add3_u32 v1, v0, v1, s33
	s_mov_b64 s[44:45], exec
	v_lshrrev_b32_e32 v1, 20, v1
	s_andn2_saveexec_b64 s[46:47], s[6:7]
	s_cbranch_execnz .LBB295_2613
.LBB295_1070:
	s_or_b64 exec, exec, s[46:47]
	v_mov_b32_e32 v14, 0
	s_and_saveexec_b64 s[6:7], s[44:45]
.LBB295_1071:
	v_lshrrev_b32_e32 v0, 24, v0
	s_movk_i32 s33, 0x80
	v_and_or_b32 v14, v0, s33, v1
.LBB295_1072:
	s_or_b64 exec, exec, s[6:7]
.LBB295_1073:
	s_or_b64 exec, exec, s[42:43]
.LBB295_1074:
	s_or_b64 exec, exec, s[40:41]
                                        ; implicit-def: $vgpr0_vgpr1
.LBB295_1075:
	s_andn2_saveexec_b64 s[38:39], s[38:39]
	s_cbranch_execz .LBB295_1083
; %bb.1076:
	flat_load_ushort v0, v[0:1]
	s_mov_b32 s6, 0x43800000
	s_waitcnt vmcnt(0) lgkmcnt(0)
	v_mov_b32_e32 v14, 0x80
	v_cvt_f32_f16_e32 v0, v0
	v_and_b32_e32 v1, 0x7fffffff, v0
	v_cmp_gt_u32_e64 s[6:7], s6, v1
	s_and_saveexec_b64 s[40:41], s[6:7]
	s_cbranch_execz .LBB295_1082
; %bb.1077:
	s_mov_b32 s6, 0x3bffffff
	v_cmp_lt_u32_e64 s[6:7], s6, v1
	s_mov_b64 s[42:43], 0
                                        ; implicit-def: $vgpr1
	s_and_saveexec_b64 s[44:45], s[6:7]
	s_xor_b64 s[6:7], exec, s[44:45]
	s_cbranch_execz .LBB295_2529
; %bb.1078:
	v_bfe_u32 v1, v0, 20, 1
	s_mov_b32 s33, 0x487ffff
	v_add3_u32 v1, v0, v1, s33
	s_mov_b64 s[42:43], exec
	v_lshrrev_b32_e32 v1, 20, v1
	s_andn2_saveexec_b64 s[44:45], s[6:7]
	s_cbranch_execnz .LBB295_2530
.LBB295_1079:
	s_or_b64 exec, exec, s[44:45]
	v_mov_b32_e32 v14, 0
	s_and_saveexec_b64 s[6:7], s[42:43]
.LBB295_1080:
	v_lshrrev_b32_e32 v0, 24, v0
	s_movk_i32 s33, 0x80
	v_and_or_b32 v14, v0, s33, v1
.LBB295_1081:
	s_or_b64 exec, exec, s[6:7]
.LBB295_1082:
	s_or_b64 exec, exec, s[40:41]
.LBB295_1083:
	s_or_b64 exec, exec, s[38:39]
.LBB295_1084:
	s_or_b64 exec, exec, s[30:31]
                                        ; implicit-def: $vgpr0_vgpr1
.LBB295_1085:
	s_andn2_saveexec_b64 s[28:29], s[28:29]
	s_cbranch_execz .LBB295_1133
; %bb.1086:
	v_cmp_lt_i16_e64 s[6:7], 1, v5
                                        ; implicit-def: $vgpr14
	s_and_saveexec_b64 s[30:31], s[6:7]
	s_xor_b64 s[30:31], exec, s[30:31]
	s_cbranch_execz .LBB295_1114
; %bb.1087:
	v_cmp_lt_i16_e64 s[6:7], 2, v5
                                        ; implicit-def: $vgpr14
	s_and_saveexec_b64 s[38:39], s[6:7]
	s_xor_b64 s[38:39], exec, s[38:39]
	;; [unrolled: 6-line block ×3, first 2 shown]
	s_cbranch_execz .LBB295_1096
; %bb.1089:
	flat_load_dwordx2 v[0:1], v[0:1]
	s_mov_b32 s6, 0x43800000
	s_waitcnt vmcnt(0) lgkmcnt(0)
	v_xor_b32_e32 v15, v0, v1
	v_ffbh_i32_e32 v14, v1
	v_ashrrev_i32_e32 v15, 31, v15
	v_add_u32_e32 v14, -1, v14
	v_add_u32_e32 v15, 32, v15
	v_min_u32_e32 v14, v14, v15
	v_lshlrev_b64 v[0:1], v14, v[0:1]
	v_min_u32_e32 v0, 1, v0
	v_or_b32_e32 v0, v1, v0
	v_cvt_f32_i32_e32 v0, v0
	v_sub_u32_e32 v1, 32, v14
	v_mov_b32_e32 v14, 0x80
	v_ldexp_f32 v0, v0, v1
	v_and_b32_e32 v1, 0x7fffffff, v0
	v_cmp_gt_u32_e64 s[6:7], s6, v1
	s_and_saveexec_b64 s[42:43], s[6:7]
	s_cbranch_execz .LBB295_1095
; %bb.1090:
	s_mov_b32 s6, 0x3bffffff
	v_cmp_lt_u32_e64 s[6:7], s6, v1
	s_mov_b64 s[44:45], 0
                                        ; implicit-def: $vgpr1
	s_and_saveexec_b64 s[46:47], s[6:7]
	s_xor_b64 s[6:7], exec, s[46:47]
	s_cbranch_execz .LBB295_2614
; %bb.1091:
	v_bfe_u32 v1, v0, 20, 1
	s_mov_b32 s33, 0x487ffff
	v_add3_u32 v1, v0, v1, s33
	s_mov_b64 s[44:45], exec
	v_lshrrev_b32_e32 v1, 20, v1
	s_andn2_saveexec_b64 s[46:47], s[6:7]
	s_cbranch_execnz .LBB295_2615
.LBB295_1092:
	s_or_b64 exec, exec, s[46:47]
	v_mov_b32_e32 v14, 0
	s_and_saveexec_b64 s[6:7], s[44:45]
.LBB295_1093:
	v_lshrrev_b32_e32 v0, 24, v0
	s_movk_i32 s33, 0x80
	v_and_or_b32 v14, v0, s33, v1
.LBB295_1094:
	s_or_b64 exec, exec, s[6:7]
.LBB295_1095:
	s_or_b64 exec, exec, s[42:43]
                                        ; implicit-def: $vgpr0_vgpr1
.LBB295_1096:
	s_andn2_saveexec_b64 s[40:41], s[40:41]
	s_cbranch_execz .LBB295_1104
; %bb.1097:
	flat_load_dword v0, v[0:1]
	s_mov_b32 s6, 0x43800000
	s_waitcnt vmcnt(0) lgkmcnt(0)
	v_mov_b32_e32 v14, 0x80
	v_cvt_f32_i32_e32 v0, v0
	v_and_b32_e32 v1, 0x7fffffff, v0
	v_cmp_gt_u32_e64 s[6:7], s6, v1
	s_and_saveexec_b64 s[42:43], s[6:7]
	s_cbranch_execz .LBB295_1103
; %bb.1098:
	s_mov_b32 s6, 0x3bffffff
	v_cmp_lt_u32_e64 s[6:7], s6, v1
	s_mov_b64 s[44:45], 0
                                        ; implicit-def: $vgpr1
	s_and_saveexec_b64 s[46:47], s[6:7]
	s_xor_b64 s[6:7], exec, s[46:47]
	s_cbranch_execz .LBB295_2616
; %bb.1099:
	v_bfe_u32 v1, v0, 20, 1
	s_mov_b32 s33, 0x487ffff
	v_add3_u32 v1, v0, v1, s33
	s_mov_b64 s[44:45], exec
	v_lshrrev_b32_e32 v1, 20, v1
	s_andn2_saveexec_b64 s[46:47], s[6:7]
	s_cbranch_execnz .LBB295_2617
.LBB295_1100:
	s_or_b64 exec, exec, s[46:47]
	v_mov_b32_e32 v14, 0
	s_and_saveexec_b64 s[6:7], s[44:45]
.LBB295_1101:
	v_lshrrev_b32_e32 v0, 24, v0
	s_movk_i32 s33, 0x80
	v_and_or_b32 v14, v0, s33, v1
.LBB295_1102:
	s_or_b64 exec, exec, s[6:7]
.LBB295_1103:
	s_or_b64 exec, exec, s[42:43]
.LBB295_1104:
	s_or_b64 exec, exec, s[40:41]
                                        ; implicit-def: $vgpr0_vgpr1
.LBB295_1105:
	s_andn2_saveexec_b64 s[38:39], s[38:39]
	s_cbranch_execz .LBB295_1113
; %bb.1106:
	flat_load_sshort v0, v[0:1]
	s_mov_b32 s6, 0x43800000
	s_waitcnt vmcnt(0) lgkmcnt(0)
	v_mov_b32_e32 v14, 0x80
	v_cvt_f32_i32_e32 v0, v0
	v_and_b32_e32 v1, 0x7fffffff, v0
	v_cmp_gt_u32_e64 s[6:7], s6, v1
	s_and_saveexec_b64 s[40:41], s[6:7]
	s_cbranch_execz .LBB295_1112
; %bb.1107:
	s_mov_b32 s6, 0x3bffffff
	v_cmp_lt_u32_e64 s[6:7], s6, v1
	s_mov_b64 s[42:43], 0
                                        ; implicit-def: $vgpr1
	s_and_saveexec_b64 s[44:45], s[6:7]
	s_xor_b64 s[6:7], exec, s[44:45]
	s_cbranch_execz .LBB295_2531
; %bb.1108:
	v_bfe_u32 v1, v0, 20, 1
	s_mov_b32 s33, 0x487ffff
	v_add3_u32 v1, v0, v1, s33
	s_mov_b64 s[42:43], exec
	v_lshrrev_b32_e32 v1, 20, v1
	s_andn2_saveexec_b64 s[44:45], s[6:7]
	s_cbranch_execnz .LBB295_2532
.LBB295_1109:
	s_or_b64 exec, exec, s[44:45]
	v_mov_b32_e32 v14, 0
	s_and_saveexec_b64 s[6:7], s[42:43]
.LBB295_1110:
	v_lshrrev_b32_e32 v0, 24, v0
	s_movk_i32 s33, 0x80
	v_and_or_b32 v14, v0, s33, v1
.LBB295_1111:
	s_or_b64 exec, exec, s[6:7]
.LBB295_1112:
	s_or_b64 exec, exec, s[40:41]
.LBB295_1113:
	s_or_b64 exec, exec, s[38:39]
                                        ; implicit-def: $vgpr0_vgpr1
.LBB295_1114:
	s_andn2_saveexec_b64 s[30:31], s[30:31]
	s_cbranch_execz .LBB295_1132
; %bb.1115:
	v_cmp_lt_i16_e64 s[6:7], 0, v5
                                        ; implicit-def: $vgpr14
	s_and_saveexec_b64 s[38:39], s[6:7]
	s_xor_b64 s[38:39], exec, s[38:39]
	s_cbranch_execz .LBB295_1123
; %bb.1116:
	flat_load_sbyte v0, v[0:1]
	s_mov_b32 s6, 0x43800000
	s_waitcnt vmcnt(0) lgkmcnt(0)
	v_mov_b32_e32 v14, 0x80
	v_cvt_f32_i32_e32 v0, v0
	v_and_b32_e32 v1, 0x7fffffff, v0
	v_cmp_gt_u32_e64 s[6:7], s6, v1
	s_and_saveexec_b64 s[40:41], s[6:7]
	s_cbranch_execz .LBB295_1122
; %bb.1117:
	s_mov_b32 s6, 0x3bffffff
	v_cmp_lt_u32_e64 s[6:7], s6, v1
	s_mov_b64 s[42:43], 0
                                        ; implicit-def: $vgpr1
	s_and_saveexec_b64 s[44:45], s[6:7]
	s_xor_b64 s[6:7], exec, s[44:45]
	s_cbranch_execz .LBB295_2533
; %bb.1118:
	v_bfe_u32 v1, v0, 20, 1
	s_mov_b32 s33, 0x487ffff
	v_add3_u32 v1, v0, v1, s33
	s_mov_b64 s[42:43], exec
	v_lshrrev_b32_e32 v1, 20, v1
	s_andn2_saveexec_b64 s[44:45], s[6:7]
	s_cbranch_execnz .LBB295_2534
.LBB295_1119:
	s_or_b64 exec, exec, s[44:45]
	v_mov_b32_e32 v14, 0
	s_and_saveexec_b64 s[6:7], s[42:43]
.LBB295_1120:
	v_lshrrev_b32_e32 v0, 24, v0
	s_movk_i32 s33, 0x80
	v_and_or_b32 v14, v0, s33, v1
.LBB295_1121:
	s_or_b64 exec, exec, s[6:7]
.LBB295_1122:
	s_or_b64 exec, exec, s[40:41]
                                        ; implicit-def: $vgpr0_vgpr1
.LBB295_1123:
	s_andn2_saveexec_b64 s[38:39], s[38:39]
	s_cbranch_execz .LBB295_1131
; %bb.1124:
	flat_load_ubyte v0, v[0:1]
	s_mov_b32 s6, 0x43800000
	s_waitcnt vmcnt(0) lgkmcnt(0)
	v_mov_b32_e32 v14, 0x80
	v_cvt_f32_ubyte0_e32 v1, v0
	v_cmp_gt_u32_e64 s[6:7], s6, v1
	s_and_saveexec_b64 s[40:41], s[6:7]
	s_cbranch_execz .LBB295_1130
; %bb.1125:
	s_mov_b32 s6, 0x3bffffff
	v_cmp_lt_u32_e64 s[6:7], s6, v1
	s_mov_b64 s[42:43], 0
                                        ; implicit-def: $vgpr0
	s_and_saveexec_b64 s[44:45], s[6:7]
	s_xor_b64 s[6:7], exec, s[44:45]
	s_cbranch_execz .LBB295_2535
; %bb.1126:
	v_bfe_u32 v0, v1, 20, 1
	s_mov_b32 s33, 0x487ffff
	v_add3_u32 v0, v1, v0, s33
	s_mov_b64 s[42:43], exec
	v_lshrrev_b32_e32 v0, 20, v0
                                        ; implicit-def: $vgpr1
	s_andn2_saveexec_b64 s[44:45], s[6:7]
	s_cbranch_execnz .LBB295_2536
.LBB295_1127:
	s_or_b64 exec, exec, s[44:45]
	v_mov_b32_e32 v14, 0
	s_and_saveexec_b64 s[6:7], s[42:43]
.LBB295_1128:
	v_mov_b32_e32 v14, v0
.LBB295_1129:
	s_or_b64 exec, exec, s[6:7]
.LBB295_1130:
	s_or_b64 exec, exec, s[40:41]
.LBB295_1131:
	s_or_b64 exec, exec, s[38:39]
.LBB295_1132:
	s_or_b64 exec, exec, s[30:31]
.LBB295_1133:
	s_or_b64 exec, exec, s[28:29]
	s_or_b64 s[26:27], s[26:27], exec
.LBB295_1134:
	s_or_b64 exec, exec, s[24:25]
	s_mov_b64 s[6:7], 0
	s_mov_b64 s[30:31], 0
                                        ; implicit-def: $sgpr40_sgpr41
                                        ; implicit-def: $vgpr0_vgpr1
                                        ; implicit-def: $vgpr18
	s_and_saveexec_b64 s[24:25], s[26:27]
	s_cbranch_execz .LBB295_1844
; %bb.1135:
                                        ; implicit-def: $sgpr26_sgpr27
	s_and_saveexec_b64 s[6:7], s[4:5]
	s_xor_b64 s[28:29], exec, s[6:7]
	s_cbranch_execz .LBB295_1149
; %bb.1136:
	s_movk_i32 s6, 0x7f
	s_waitcnt vmcnt(0) lgkmcnt(0)
	v_cmp_gt_i16_sdwa s[26:27], v19, s6 src0_sel:BYTE_0 src1_sel:DWORD
	s_mov_b64 s[6:7], 0
	s_and_saveexec_b64 s[30:31], s[26:27]
	s_xor_b64 s[26:27], exec, s[30:31]
	s_cbranch_execz .LBB295_2246
; %bb.1137:
	s_movk_i32 s6, 0x80
	v_cmp_eq_u16_sdwa s[38:39], v19, s6 src0_sel:BYTE_0 src1_sel:DWORD
	s_mov_b64 s[6:7], -1
	s_and_saveexec_b64 s[30:31], s[38:39]
; %bb.1138:
	s_xor_b64 s[6:7], exec, -1
; %bb.1139:
	s_or_b64 exec, exec, s[30:31]
	s_and_b64 s[6:7], s[6:7], exec
	s_or_saveexec_b64 s[26:27], s[26:27]
	v_mov_b32_e32 v0, 0x7f800001
	s_xor_b64 exec, exec, s[26:27]
	s_cbranch_execnz .LBB295_2247
.LBB295_1140:
	s_or_b64 exec, exec, s[26:27]
	s_and_saveexec_b64 s[26:27], s[6:7]
	s_cbranch_execz .LBB295_1142
.LBB295_1141:
	v_and_b32_e32 v1, 7, v19
	v_ffbh_u32_e32 v15, v1
	v_min_u32_e32 v15, 32, v15
	v_lshrrev_b16_e32 v0, 3, v19
	v_subrev_u32_e32 v18, 28, v15
	v_and_b32_e32 v0, 15, v0
	v_lshlrev_b32_e32 v18, v18, v19
	v_sub_u32_e32 v15, 29, v15
	v_and_b32_e32 v18, 7, v18
	v_cmp_eq_u32_e64 s[6:7], 0, v0
	v_cndmask_b32_e64 v0, v0, v15, s[6:7]
	v_cndmask_b32_e64 v1, v1, v18, s[6:7]
	v_lshlrev_b32_e32 v15, 24, v19
	v_mov_b32_e32 v18, 0x3b800000
	v_lshlrev_b32_e32 v1, 20, v1
	v_and_b32_e32 v15, 0x80000000, v15
	v_lshl_add_u32 v0, v0, 23, v18
	v_or3_b32 v0, v15, v0, v1
.LBB295_1142:
	s_or_b64 exec, exec, s[26:27]
	s_movk_i32 s6, 0x7f
	v_cmp_gt_i16_sdwa s[26:27], v14, s6 src0_sel:BYTE_0 src1_sel:DWORD
	s_mov_b64 s[6:7], 0
	s_and_saveexec_b64 s[30:31], s[26:27]
	s_xor_b64 s[26:27], exec, s[30:31]
	s_cbranch_execz .LBB295_2248
; %bb.1143:
	s_movk_i32 s6, 0x80
	v_cmp_eq_u16_sdwa s[38:39], v14, s6 src0_sel:BYTE_0 src1_sel:DWORD
	s_mov_b64 s[6:7], -1
	s_and_saveexec_b64 s[30:31], s[38:39]
; %bb.1144:
	s_xor_b64 s[6:7], exec, -1
; %bb.1145:
	s_or_b64 exec, exec, s[30:31]
	s_and_b64 s[6:7], s[6:7], exec
	s_or_saveexec_b64 s[26:27], s[26:27]
	v_mov_b32_e32 v1, 0x7f800001
	s_xor_b64 exec, exec, s[26:27]
	s_cbranch_execnz .LBB295_2249
.LBB295_1146:
	s_or_b64 exec, exec, s[26:27]
	s_and_saveexec_b64 s[26:27], s[6:7]
	s_cbranch_execz .LBB295_1148
.LBB295_1147:
	v_and_b32_e32 v15, 7, v14
	v_ffbh_u32_e32 v18, v15
	v_min_u32_e32 v18, 32, v18
	v_lshrrev_b16_e32 v1, 3, v14
	v_subrev_u32_e32 v19, 28, v18
	v_and_b32_e32 v1, 15, v1
	v_lshlrev_b32_e32 v19, v19, v14
	v_sub_u32_e32 v18, 29, v18
	v_and_b32_e32 v19, 7, v19
	v_cmp_eq_u32_e64 s[6:7], 0, v1
	v_cndmask_b32_e64 v1, v1, v18, s[6:7]
	v_cndmask_b32_e64 v15, v15, v19, s[6:7]
	v_lshlrev_b32_e32 v14, 24, v14
	v_mov_b32_e32 v18, 0x3b800000
	v_lshlrev_b32_e32 v15, 20, v15
	v_and_b32_e32 v14, 0x80000000, v14
	v_lshl_add_u32 v1, v1, 23, v18
	v_or3_b32 v1, v14, v1, v15
.LBB295_1148:
	s_or_b64 exec, exec, s[26:27]
	v_cmp_neq_f32_e64 s[26:27], v0, v1
                                        ; implicit-def: $vgpr14
                                        ; implicit-def: $vgpr19
.LBB295_1149:
	s_andn2_saveexec_b64 s[28:29], s[28:29]
	s_cbranch_execz .LBB295_1163
; %bb.1150:
	s_movk_i32 s6, 0x7f
	s_waitcnt vmcnt(0) lgkmcnt(0)
	v_cmp_gt_i16_sdwa s[30:31], v19, s6 src0_sel:BYTE_0 src1_sel:DWORD
	s_mov_b64 s[6:7], 0
	s_and_saveexec_b64 s[38:39], s[30:31]
	s_xor_b64 s[30:31], exec, s[38:39]
	s_cbranch_execz .LBB295_2250
; %bb.1151:
	s_movk_i32 s6, 0x80
	v_cmp_eq_u16_sdwa s[40:41], v19, s6 src0_sel:BYTE_0 src1_sel:DWORD
	s_mov_b64 s[6:7], -1
	s_and_saveexec_b64 s[38:39], s[40:41]
; %bb.1152:
	s_xor_b64 s[6:7], exec, -1
; %bb.1153:
	s_or_b64 exec, exec, s[38:39]
	s_and_b64 s[6:7], s[6:7], exec
	s_or_saveexec_b64 s[30:31], s[30:31]
	v_mov_b32_e32 v0, 0x7f800001
	s_xor_b64 exec, exec, s[30:31]
	s_cbranch_execnz .LBB295_2251
.LBB295_1154:
	s_or_b64 exec, exec, s[30:31]
	s_and_saveexec_b64 s[30:31], s[6:7]
	s_cbranch_execz .LBB295_1156
.LBB295_1155:
	v_and_b32_e32 v1, 7, v19
	v_ffbh_u32_e32 v15, v1
	v_min_u32_e32 v15, 32, v15
	v_lshrrev_b16_e32 v0, 3, v19
	v_subrev_u32_e32 v18, 28, v15
	v_and_b32_e32 v0, 15, v0
	v_lshlrev_b32_e32 v18, v18, v19
	v_sub_u32_e32 v15, 29, v15
	v_and_b32_e32 v18, 7, v18
	v_cmp_eq_u32_e64 s[6:7], 0, v0
	v_cndmask_b32_e64 v0, v0, v15, s[6:7]
	v_cndmask_b32_e64 v1, v1, v18, s[6:7]
	v_lshlrev_b32_e32 v15, 24, v19
	v_mov_b32_e32 v18, 0x3b800000
	v_lshlrev_b32_e32 v1, 20, v1
	v_and_b32_e32 v15, 0x80000000, v15
	v_lshl_add_u32 v0, v0, 23, v18
	v_or3_b32 v0, v15, v0, v1
.LBB295_1156:
	s_or_b64 exec, exec, s[30:31]
	s_movk_i32 s6, 0x7f
	v_cmp_gt_i16_sdwa s[30:31], v14, s6 src0_sel:BYTE_0 src1_sel:DWORD
	s_mov_b64 s[6:7], 0
	s_and_saveexec_b64 s[38:39], s[30:31]
	s_xor_b64 s[30:31], exec, s[38:39]
	s_cbranch_execz .LBB295_2252
; %bb.1157:
	s_movk_i32 s6, 0x80
	v_cmp_eq_u16_sdwa s[40:41], v14, s6 src0_sel:BYTE_0 src1_sel:DWORD
	s_mov_b64 s[6:7], -1
	s_and_saveexec_b64 s[38:39], s[40:41]
; %bb.1158:
	s_xor_b64 s[6:7], exec, -1
; %bb.1159:
	s_or_b64 exec, exec, s[38:39]
	s_and_b64 s[6:7], s[6:7], exec
	s_or_saveexec_b64 s[30:31], s[30:31]
	v_mov_b32_e32 v1, 0x7f800001
	s_xor_b64 exec, exec, s[30:31]
	s_cbranch_execnz .LBB295_2253
.LBB295_1160:
	s_or_b64 exec, exec, s[30:31]
	s_and_saveexec_b64 s[30:31], s[6:7]
	s_cbranch_execz .LBB295_1162
.LBB295_1161:
	v_and_b32_e32 v15, 7, v14
	v_ffbh_u32_e32 v18, v15
	v_min_u32_e32 v18, 32, v18
	v_lshrrev_b16_e32 v1, 3, v14
	v_subrev_u32_e32 v19, 28, v18
	v_and_b32_e32 v1, 15, v1
	v_lshlrev_b32_e32 v19, v19, v14
	v_sub_u32_e32 v18, 29, v18
	v_and_b32_e32 v19, 7, v19
	v_cmp_eq_u32_e64 s[6:7], 0, v1
	v_cndmask_b32_e64 v1, v1, v18, s[6:7]
	v_cndmask_b32_e64 v15, v15, v19, s[6:7]
	v_lshlrev_b32_e32 v14, 24, v14
	v_mov_b32_e32 v18, 0x3b800000
	v_lshlrev_b32_e32 v15, 20, v15
	v_and_b32_e32 v14, 0x80000000, v14
	v_lshl_add_u32 v1, v1, 23, v18
	v_or3_b32 v1, v14, v1, v15
.LBB295_1162:
	s_or_b64 exec, exec, s[30:31]
	v_cmp_eq_f32_e64 s[6:7], v0, v1
	s_andn2_b64 s[26:27], s[26:27], exec
	s_and_b64 s[6:7], s[6:7], exec
	s_or_b64 s[26:27], s[26:27], s[6:7]
.LBB295_1163:
	s_or_b64 exec, exec, s[28:29]
	v_add_u32_e32 v0, v17, v16
	v_ashrrev_i32_e32 v1, 31, v0
	v_add_co_u32_e64 v0, s[6:7], v10, v0
	v_addc_co_u32_e64 v1, s[6:7], v11, v1, s[6:7]
	v_cmp_lt_i16_e64 s[6:7], 10, v6
	s_mov_b64 s[38:39], 0
	s_mov_b64 s[28:29], s[22:23]
                                        ; implicit-def: $vgpr10
	s_and_saveexec_b64 s[30:31], s[6:7]
	s_xor_b64 s[30:31], exec, s[30:31]
	s_cbranch_execz .LBB295_1232
; %bb.1164:
	v_cmp_lt_i16_e64 s[6:7], 25, v6
	s_mov_b64 s[28:29], 0
	s_mov_b64 s[40:41], 0
                                        ; implicit-def: $vgpr10
	s_and_saveexec_b64 s[42:43], s[6:7]
	s_xor_b64 s[42:43], exec, s[42:43]
	s_cbranch_execz .LBB295_2254
; %bb.1165:
	v_cmp_lt_i16_e64 s[6:7], 28, v6
	s_mov_b64 s[44:45], 0
                                        ; implicit-def: $vgpr10
	s_and_saveexec_b64 s[38:39], s[6:7]
	s_xor_b64 s[38:39], exec, s[38:39]
	s_cbranch_execz .LBB295_1199
; %bb.1166:
	v_cmp_lt_i16_e64 s[6:7], 43, v6
	s_mov_b64 s[46:47], 0
	s_mov_b64 s[48:49], 0
                                        ; implicit-def: $vgpr10
	s_and_saveexec_b64 s[40:41], s[6:7]
	s_xor_b64 s[40:41], exec, s[40:41]
	s_cbranch_execz .LBB295_1188
; %bb.1167:
	v_cmp_lt_i16_e64 s[6:7], 45, v6
                                        ; implicit-def: $vgpr10
	s_and_saveexec_b64 s[48:49], s[6:7]
	s_xor_b64 s[48:49], exec, s[48:49]
	s_cbranch_execz .LBB295_1177
; %bb.1168:
	v_cmp_eq_u16_e64 s[6:7], 46, v6
	s_mov_b64 s[50:51], -1
                                        ; implicit-def: $vgpr10
	s_and_saveexec_b64 s[44:45], s[6:7]
	s_cbranch_execz .LBB295_1176
; %bb.1169:
	flat_load_dword v6, v[0:1]
	s_mov_b32 s6, 0x43800000
	v_mov_b32_e32 v10, 0x80
	s_waitcnt vmcnt(0) lgkmcnt(0)
	v_lshlrev_b32_e32 v6, 16, v6
	v_and_b32_e32 v11, 0x7fffffff, v6
	v_cmp_gt_u32_e64 s[6:7], s6, v11
	s_and_saveexec_b64 s[46:47], s[6:7]
	s_cbranch_execz .LBB295_1175
; %bb.1170:
	s_mov_b32 s6, 0x3bffffff
	v_cmp_lt_u32_e64 s[6:7], s6, v11
	s_mov_b64 s[50:51], 0
                                        ; implicit-def: $vgpr11
	s_and_saveexec_b64 s[52:53], s[6:7]
	s_xor_b64 s[6:7], exec, s[52:53]
	s_cbranch_execz .LBB295_2768
; %bb.1171:
	v_bfe_u32 v10, v6, 20, 1
	s_mov_b32 s33, 0x487ffff
	v_add3_u32 v10, v6, v10, s33
	s_mov_b64 s[50:51], exec
	v_lshrrev_b32_e32 v11, 20, v10
	s_andn2_saveexec_b64 s[52:53], s[6:7]
	s_cbranch_execnz .LBB295_2769
.LBB295_1172:
	s_or_b64 exec, exec, s[52:53]
	v_mov_b32_e32 v10, 0
	s_and_saveexec_b64 s[6:7], s[50:51]
.LBB295_1173:
	v_lshrrev_b32_e32 v6, 24, v6
	s_movk_i32 s33, 0x80
	v_and_or_b32 v10, v6, s33, v11
.LBB295_1174:
	s_or_b64 exec, exec, s[6:7]
.LBB295_1175:
	s_or_b64 exec, exec, s[46:47]
	s_mov_b64 s[46:47], exec
	s_xor_b64 s[50:51], exec, -1
.LBB295_1176:
	s_or_b64 exec, exec, s[44:45]
	s_and_b64 s[46:47], s[46:47], exec
	s_and_b64 s[44:45], s[50:51], exec
                                        ; implicit-def: $vgpr6
.LBB295_1177:
	s_andn2_saveexec_b64 s[48:49], s[48:49]
	s_cbranch_execz .LBB295_1187
; %bb.1178:
	v_cmp_eq_u16_e64 s[6:7], 44, v6
	s_mov_b64 s[52:53], -1
	s_mov_b64 s[54:55], s[46:47]
                                        ; implicit-def: $vgpr10
	s_and_saveexec_b64 s[50:51], s[6:7]
	s_cbranch_execz .LBB295_1186
; %bb.1179:
	flat_load_ubyte v6, v[0:1]
	s_movk_i32 s6, 0xff
	v_mov_b32_e32 v10, 0x7f800001
	v_mov_b32_e32 v11, 0x400000
	s_mov_b32 s33, 0x43800000
	s_waitcnt vmcnt(0) lgkmcnt(0)
	v_lshlrev_b32_e32 v14, 23, v6
	v_cmp_ne_u32_e64 s[6:7], s6, v6
	v_cndmask_b32_e64 v10, v10, v14, s[6:7]
	v_cmp_ne_u32_e64 s[6:7], 0, v6
	v_cndmask_b32_e64 v11, v11, v10, s[6:7]
	v_cmp_gt_u32_e64 s[6:7], s33, v11
	v_mov_b32_e32 v10, 0x80
	s_and_saveexec_b64 s[52:53], s[6:7]
	s_cbranch_execz .LBB295_1185
; %bb.1180:
	s_mov_b32 s6, 0x3bffffff
	v_cmp_lt_u32_e64 s[6:7], s6, v11
	s_mov_b64 s[54:55], 0
                                        ; implicit-def: $vgpr6
	s_and_saveexec_b64 s[56:57], s[6:7]
	s_xor_b64 s[6:7], exec, s[56:57]
	s_cbranch_execz .LBB295_2770
; %bb.1181:
	v_bfe_u32 v6, v11, 20, 1
	s_mov_b32 s33, 0x487ffff
	v_add3_u32 v6, v11, v6, s33
	s_mov_b64 s[54:55], exec
	v_lshrrev_b32_e32 v6, 20, v6
                                        ; implicit-def: $vgpr11
	s_andn2_saveexec_b64 s[56:57], s[6:7]
	s_cbranch_execnz .LBB295_2771
.LBB295_1182:
	s_or_b64 exec, exec, s[56:57]
	v_mov_b32_e32 v10, 0
	s_and_saveexec_b64 s[6:7], s[54:55]
.LBB295_1183:
	v_mov_b32_e32 v10, v6
.LBB295_1184:
	s_or_b64 exec, exec, s[6:7]
.LBB295_1185:
	s_or_b64 exec, exec, s[52:53]
	s_or_b64 s[54:55], s[46:47], exec
	s_xor_b64 s[52:53], exec, -1
.LBB295_1186:
	s_or_b64 exec, exec, s[50:51]
	s_andn2_b64 s[6:7], s[46:47], exec
	s_and_b64 s[46:47], s[54:55], exec
	s_or_b64 s[46:47], s[6:7], s[46:47]
	s_andn2_b64 s[6:7], s[44:45], exec
	s_and_b64 s[44:45], s[52:53], exec
	s_or_b64 s[44:45], s[6:7], s[44:45]
.LBB295_1187:
	s_or_b64 exec, exec, s[48:49]
	s_and_b64 s[48:49], s[46:47], exec
	s_and_b64 s[46:47], s[44:45], exec
                                        ; implicit-def: $vgpr6
.LBB295_1188:
	s_andn2_saveexec_b64 s[40:41], s[40:41]
	s_cbranch_execz .LBB295_1198
; %bb.1189:
	v_cmp_eq_u16_e64 s[6:7], 29, v6
	s_mov_b64 s[50:51], -1
	s_mov_b64 s[52:53], s[48:49]
                                        ; implicit-def: $vgpr10
	s_and_saveexec_b64 s[44:45], s[6:7]
	s_cbranch_execz .LBB295_1197
; %bb.1190:
	flat_load_dwordx2 v[10:11], v[0:1]
	s_mov_b32 s6, 0x43800000
	s_waitcnt vmcnt(0) lgkmcnt(0)
	v_ffbh_u32_e32 v6, v11
	v_min_u32_e32 v6, 32, v6
	v_lshlrev_b64 v[10:11], v6, v[10:11]
	v_sub_u32_e32 v6, 32, v6
	v_min_u32_e32 v10, 1, v10
	v_or_b32_e32 v10, v11, v10
	v_cvt_f32_u32_e32 v10, v10
	v_ldexp_f32 v11, v10, v6
	v_cmp_gt_u32_e64 s[6:7], s6, v11
	v_mov_b32_e32 v10, 0x80
	s_and_saveexec_b64 s[50:51], s[6:7]
	s_cbranch_execz .LBB295_1196
; %bb.1191:
	s_mov_b32 s6, 0x3bffffff
	v_cmp_lt_u32_e64 s[6:7], s6, v11
	s_mov_b64 s[52:53], 0
                                        ; implicit-def: $vgpr6
	s_and_saveexec_b64 s[54:55], s[6:7]
	s_xor_b64 s[6:7], exec, s[54:55]
	s_cbranch_execz .LBB295_2687
; %bb.1192:
	v_bfe_u32 v6, v11, 20, 1
	s_mov_b32 s33, 0x487ffff
	v_add3_u32 v6, v11, v6, s33
	s_mov_b64 s[52:53], exec
	v_lshrrev_b32_e32 v6, 20, v6
                                        ; implicit-def: $vgpr11
	s_andn2_saveexec_b64 s[54:55], s[6:7]
	s_cbranch_execnz .LBB295_2688
.LBB295_1193:
	s_or_b64 exec, exec, s[54:55]
	v_mov_b32_e32 v10, 0
	s_and_saveexec_b64 s[6:7], s[52:53]
.LBB295_1194:
	v_mov_b32_e32 v10, v6
.LBB295_1195:
	s_or_b64 exec, exec, s[6:7]
.LBB295_1196:
	s_or_b64 exec, exec, s[50:51]
	s_or_b64 s[52:53], s[48:49], exec
	s_xor_b64 s[50:51], exec, -1
.LBB295_1197:
	s_or_b64 exec, exec, s[44:45]
	s_andn2_b64 s[6:7], s[48:49], exec
	s_and_b64 s[44:45], s[52:53], exec
	s_or_b64 s[48:49], s[6:7], s[44:45]
	s_andn2_b64 s[6:7], s[46:47], exec
	s_and_b64 s[44:45], s[50:51], exec
	s_or_b64 s[46:47], s[6:7], s[44:45]
.LBB295_1198:
	s_or_b64 exec, exec, s[40:41]
	s_and_b64 s[44:45], s[48:49], exec
	s_and_b64 s[40:41], s[46:47], exec
                                        ; implicit-def: $vgpr6
.LBB295_1199:
	s_andn2_saveexec_b64 s[38:39], s[38:39]
	s_cbranch_execz .LBB295_1221
; %bb.1200:
	v_cmp_lt_i16_e64 s[6:7], 26, v6
                                        ; implicit-def: $vgpr10
	s_and_saveexec_b64 s[46:47], s[6:7]
	s_xor_b64 s[46:47], exec, s[46:47]
	s_cbranch_execz .LBB295_1218
; %bb.1201:
	v_cmp_lt_i16_e64 s[6:7], 27, v6
                                        ; implicit-def: $vgpr10
	s_and_saveexec_b64 s[48:49], s[6:7]
	s_xor_b64 s[48:49], exec, s[48:49]
	s_cbranch_execz .LBB295_1209
; %bb.1202:
	flat_load_dword v6, v[0:1]
	s_mov_b32 s6, 0x43800000
	v_mov_b32_e32 v10, 0x80
	s_waitcnt vmcnt(0) lgkmcnt(0)
	v_cvt_f32_u32_e32 v11, v6
	v_cmp_gt_u32_e64 s[6:7], s6, v11
	s_and_saveexec_b64 s[50:51], s[6:7]
	s_cbranch_execz .LBB295_1208
; %bb.1203:
	s_mov_b32 s6, 0x3bffffff
	v_cmp_lt_u32_e64 s[6:7], s6, v11
	s_mov_b64 s[52:53], 0
                                        ; implicit-def: $vgpr6
	s_and_saveexec_b64 s[54:55], s[6:7]
	s_xor_b64 s[6:7], exec, s[54:55]
	s_cbranch_execz .LBB295_2689
; %bb.1204:
	v_bfe_u32 v6, v11, 20, 1
	s_mov_b32 s33, 0x487ffff
	v_add3_u32 v6, v11, v6, s33
	s_mov_b64 s[52:53], exec
	v_lshrrev_b32_e32 v6, 20, v6
                                        ; implicit-def: $vgpr11
	s_andn2_saveexec_b64 s[54:55], s[6:7]
	s_cbranch_execnz .LBB295_2690
.LBB295_1205:
	s_or_b64 exec, exec, s[54:55]
	v_mov_b32_e32 v10, 0
	s_and_saveexec_b64 s[6:7], s[52:53]
.LBB295_1206:
	v_mov_b32_e32 v10, v6
.LBB295_1207:
	s_or_b64 exec, exec, s[6:7]
.LBB295_1208:
	s_or_b64 exec, exec, s[50:51]
.LBB295_1209:
	s_andn2_saveexec_b64 s[48:49], s[48:49]
	s_cbranch_execz .LBB295_1217
; %bb.1210:
	flat_load_ushort v6, v[0:1]
	s_mov_b32 s6, 0x43800000
	v_mov_b32_e32 v10, 0x80
	s_waitcnt vmcnt(0) lgkmcnt(0)
	v_cvt_f32_u32_e32 v11, v6
	v_cmp_gt_u32_e64 s[6:7], s6, v11
	s_and_saveexec_b64 s[50:51], s[6:7]
	s_cbranch_execz .LBB295_1216
; %bb.1211:
	s_mov_b32 s6, 0x3bffffff
	v_cmp_lt_u32_e64 s[6:7], s6, v11
	s_mov_b64 s[52:53], 0
                                        ; implicit-def: $vgpr6
	s_and_saveexec_b64 s[54:55], s[6:7]
	s_xor_b64 s[6:7], exec, s[54:55]
	s_cbranch_execz .LBB295_2691
; %bb.1212:
	v_bfe_u32 v6, v11, 20, 1
	s_mov_b32 s33, 0x487ffff
	v_add3_u32 v6, v11, v6, s33
	s_mov_b64 s[52:53], exec
	v_lshrrev_b32_e32 v6, 20, v6
                                        ; implicit-def: $vgpr11
	s_andn2_saveexec_b64 s[54:55], s[6:7]
	s_cbranch_execnz .LBB295_2692
.LBB295_1213:
	s_or_b64 exec, exec, s[54:55]
	v_mov_b32_e32 v10, 0
	s_and_saveexec_b64 s[6:7], s[52:53]
.LBB295_1214:
	v_mov_b32_e32 v10, v6
.LBB295_1215:
	s_or_b64 exec, exec, s[6:7]
.LBB295_1216:
	s_or_b64 exec, exec, s[50:51]
.LBB295_1217:
	s_or_b64 exec, exec, s[48:49]
.LBB295_1218:
	s_andn2_saveexec_b64 s[6:7], s[46:47]
	s_cbranch_execz .LBB295_1220
; %bb.1219:
	flat_load_ubyte v10, v[0:1]
.LBB295_1220:
	s_or_b64 exec, exec, s[6:7]
	s_or_b64 s[44:45], s[44:45], exec
.LBB295_1221:
	s_or_b64 exec, exec, s[38:39]
	s_and_b64 s[38:39], s[44:45], exec
	s_and_b64 s[40:41], s[40:41], exec
                                        ; implicit-def: $vgpr6
	s_andn2_saveexec_b64 s[42:43], s[42:43]
	s_cbranch_execnz .LBB295_2255
.LBB295_1222:
	s_or_b64 exec, exec, s[42:43]
	s_mov_b64 s[42:43], s[22:23]
	s_and_saveexec_b64 s[6:7], s[40:41]
	s_cbranch_execnz .LBB295_2304
.LBB295_1223:
	s_or_b64 exec, exec, s[6:7]
	s_and_saveexec_b64 s[6:7], s[28:29]
	s_xor_b64 s[28:29], exec, s[6:7]
	s_cbranch_execz .LBB295_1231
.LBB295_1224:
	flat_load_ubyte v0, v[0:1]
	s_mov_b32 s33, 0x43800000
	s_waitcnt vmcnt(0) lgkmcnt(0)
	v_mov_b32_e32 v10, 0x80
	v_cmp_ne_u16_e64 s[6:7], 0, v0
	v_cndmask_b32_e64 v1, 0, 1.0, s[6:7]
	v_cmp_gt_u32_e64 s[6:7], s33, v1
	s_and_saveexec_b64 s[40:41], s[6:7]
	s_cbranch_execz .LBB295_1230
; %bb.1225:
	s_mov_b32 s6, 0x3bffffff
	v_cmp_lt_u32_e64 s[6:7], s6, v1
	s_mov_b64 s[44:45], 0
                                        ; implicit-def: $vgpr0
	s_and_saveexec_b64 s[46:47], s[6:7]
	s_xor_b64 s[6:7], exec, s[46:47]
	s_cbranch_execz .LBB295_2438
; %bb.1226:
	v_bfe_u32 v0, v1, 20, 1
	s_mov_b32 s33, 0x487ffff
	v_add3_u32 v0, v1, v0, s33
	s_mov_b64 s[44:45], exec
	v_lshrrev_b32_e32 v0, 20, v0
                                        ; implicit-def: $vgpr1
	s_andn2_saveexec_b64 s[46:47], s[6:7]
	s_cbranch_execnz .LBB295_2439
.LBB295_1227:
	s_or_b64 exec, exec, s[46:47]
	v_mov_b32_e32 v10, 0
	s_and_saveexec_b64 s[6:7], s[44:45]
.LBB295_1228:
	v_mov_b32_e32 v10, v0
.LBB295_1229:
	s_or_b64 exec, exec, s[6:7]
.LBB295_1230:
	s_or_b64 exec, exec, s[40:41]
	s_or_b64 s[38:39], s[38:39], exec
.LBB295_1231:
	s_or_b64 exec, exec, s[28:29]
	s_andn2_b64 s[6:7], s[22:23], exec
	s_and_b64 s[28:29], s[42:43], exec
	s_or_b64 s[28:29], s[6:7], s[28:29]
	s_and_b64 s[38:39], s[38:39], exec
                                        ; implicit-def: $vgpr6
                                        ; implicit-def: $vgpr0_vgpr1
.LBB295_1232:
	s_andn2_saveexec_b64 s[30:31], s[30:31]
	s_cbranch_execz .LBB295_1340
; %bb.1233:
	v_cmp_lt_i16_e64 s[6:7], 4, v6
                                        ; implicit-def: $vgpr10
	s_and_saveexec_b64 s[40:41], s[6:7]
	s_xor_b64 s[40:41], exec, s[40:41]
	s_cbranch_execz .LBB295_1291
; %bb.1234:
	v_cmp_lt_i16_e64 s[6:7], 7, v6
                                        ; implicit-def: $vgpr10
	s_and_saveexec_b64 s[42:43], s[6:7]
	s_xor_b64 s[42:43], exec, s[42:43]
	;; [unrolled: 6-line block ×4, first 2 shown]
	s_cbranch_execz .LBB295_1244
; %bb.1237:
	flat_load_dwordx2 v[0:1], v[0:1]
	s_mov_b32 s6, 0x43800000
	s_waitcnt vmcnt(0) lgkmcnt(0)
	v_mov_b32_e32 v10, 0x80
	v_cvt_f32_f64_e32 v0, v[0:1]
	v_and_b32_e32 v1, 0x7fffffff, v0
	v_cmp_gt_u32_e64 s[6:7], s6, v1
	s_and_saveexec_b64 s[48:49], s[6:7]
	s_cbranch_execz .LBB295_1243
; %bb.1238:
	s_mov_b32 s6, 0x3bffffff
	v_cmp_lt_u32_e64 s[6:7], s6, v1
	s_mov_b64 s[50:51], 0
                                        ; implicit-def: $vgpr1
	s_and_saveexec_b64 s[52:53], s[6:7]
	s_xor_b64 s[6:7], exec, s[52:53]
	s_cbranch_execz .LBB295_2693
; %bb.1239:
	v_bfe_u32 v1, v0, 20, 1
	s_mov_b32 s33, 0x487ffff
	v_add3_u32 v1, v0, v1, s33
	s_mov_b64 s[50:51], exec
	v_lshrrev_b32_e32 v1, 20, v1
	s_andn2_saveexec_b64 s[52:53], s[6:7]
	s_cbranch_execnz .LBB295_2694
.LBB295_1240:
	s_or_b64 exec, exec, s[52:53]
	v_mov_b32_e32 v10, 0
	s_and_saveexec_b64 s[6:7], s[50:51]
.LBB295_1241:
	v_lshrrev_b32_e32 v0, 24, v0
	s_movk_i32 s33, 0x80
	v_and_or_b32 v10, v0, s33, v1
.LBB295_1242:
	s_or_b64 exec, exec, s[6:7]
.LBB295_1243:
	s_or_b64 exec, exec, s[48:49]
                                        ; implicit-def: $vgpr0_vgpr1
.LBB295_1244:
	s_andn2_saveexec_b64 s[46:47], s[46:47]
	s_cbranch_execz .LBB295_1252
; %bb.1245:
	flat_load_dword v0, v[0:1]
	s_mov_b32 s6, 0x43800000
	s_waitcnt vmcnt(0) lgkmcnt(0)
	v_mov_b32_e32 v10, 0x80
	v_and_b32_e32 v1, 0x7fffffff, v0
	v_cmp_gt_u32_e64 s[6:7], s6, v1
	s_and_saveexec_b64 s[48:49], s[6:7]
	s_cbranch_execz .LBB295_1251
; %bb.1246:
	s_mov_b32 s6, 0x3bffffff
	v_cmp_lt_u32_e64 s[6:7], s6, v1
	s_mov_b64 s[50:51], 0
                                        ; implicit-def: $vgpr1
	s_and_saveexec_b64 s[52:53], s[6:7]
	s_xor_b64 s[6:7], exec, s[52:53]
	s_cbranch_execz .LBB295_2695
; %bb.1247:
	v_bfe_u32 v1, v0, 20, 1
	s_mov_b32 s33, 0x487ffff
	v_add3_u32 v1, v0, v1, s33
	s_mov_b64 s[50:51], exec
	v_lshrrev_b32_e32 v1, 20, v1
	s_andn2_saveexec_b64 s[52:53], s[6:7]
	s_cbranch_execnz .LBB295_2696
.LBB295_1248:
	s_or_b64 exec, exec, s[52:53]
	v_mov_b32_e32 v10, 0
	s_and_saveexec_b64 s[6:7], s[50:51]
.LBB295_1249:
	v_lshrrev_b32_e32 v0, 24, v0
	s_movk_i32 s33, 0x80
	v_and_or_b32 v10, v0, s33, v1
.LBB295_1250:
	s_or_b64 exec, exec, s[6:7]
.LBB295_1251:
	s_or_b64 exec, exec, s[48:49]
.LBB295_1252:
	s_or_b64 exec, exec, s[46:47]
                                        ; implicit-def: $vgpr0_vgpr1
.LBB295_1253:
	s_andn2_saveexec_b64 s[44:45], s[44:45]
	s_cbranch_execz .LBB295_1261
; %bb.1254:
	flat_load_dword v0, v[0:1]
	s_mov_b32 s6, 0x43800000
	s_waitcnt vmcnt(0) lgkmcnt(0)
	v_mov_b32_e32 v10, 0x80
	v_cvt_f32_f16_e32 v0, v0
	v_and_b32_e32 v1, 0x7fffffff, v0
	v_cmp_gt_u32_e64 s[6:7], s6, v1
	s_and_saveexec_b64 s[46:47], s[6:7]
	s_cbranch_execz .LBB295_1260
; %bb.1255:
	s_mov_b32 s6, 0x3bffffff
	v_cmp_lt_u32_e64 s[6:7], s6, v1
	s_mov_b64 s[48:49], 0
                                        ; implicit-def: $vgpr1
	s_and_saveexec_b64 s[50:51], s[6:7]
	s_xor_b64 s[6:7], exec, s[50:51]
	s_cbranch_execz .LBB295_2618
; %bb.1256:
	v_bfe_u32 v1, v0, 20, 1
	s_mov_b32 s33, 0x487ffff
	v_add3_u32 v1, v0, v1, s33
	s_mov_b64 s[48:49], exec
	v_lshrrev_b32_e32 v1, 20, v1
	s_andn2_saveexec_b64 s[50:51], s[6:7]
	s_cbranch_execnz .LBB295_2619
.LBB295_1257:
	s_or_b64 exec, exec, s[50:51]
	v_mov_b32_e32 v10, 0
	s_and_saveexec_b64 s[6:7], s[48:49]
.LBB295_1258:
	v_lshrrev_b32_e32 v0, 24, v0
	s_movk_i32 s33, 0x80
	v_and_or_b32 v10, v0, s33, v1
.LBB295_1259:
	s_or_b64 exec, exec, s[6:7]
.LBB295_1260:
	s_or_b64 exec, exec, s[46:47]
.LBB295_1261:
	s_or_b64 exec, exec, s[44:45]
                                        ; implicit-def: $vgpr6
                                        ; implicit-def: $vgpr0_vgpr1
.LBB295_1262:
	s_andn2_saveexec_b64 s[42:43], s[42:43]
	s_cbranch_execz .LBB295_1290
; %bb.1263:
	v_cmp_lt_i16_e64 s[6:7], 5, v6
                                        ; implicit-def: $vgpr10
	s_and_saveexec_b64 s[44:45], s[6:7]
	s_xor_b64 s[44:45], exec, s[44:45]
	s_cbranch_execz .LBB295_1281
; %bb.1264:
	v_cmp_lt_i16_e64 s[6:7], 6, v6
                                        ; implicit-def: $vgpr10
	s_and_saveexec_b64 s[46:47], s[6:7]
	s_xor_b64 s[46:47], exec, s[46:47]
	s_cbranch_execz .LBB295_1272
; %bb.1265:
	flat_load_dwordx2 v[0:1], v[0:1]
	s_mov_b32 s6, 0x43800000
	s_waitcnt vmcnt(0) lgkmcnt(0)
	v_mov_b32_e32 v10, 0x80
	v_cvt_f32_f64_e32 v0, v[0:1]
	v_and_b32_e32 v1, 0x7fffffff, v0
	v_cmp_gt_u32_e64 s[6:7], s6, v1
	s_and_saveexec_b64 s[48:49], s[6:7]
	s_cbranch_execz .LBB295_1271
; %bb.1266:
	s_mov_b32 s6, 0x3bffffff
	v_cmp_lt_u32_e64 s[6:7], s6, v1
	s_mov_b64 s[50:51], 0
                                        ; implicit-def: $vgpr1
	s_and_saveexec_b64 s[52:53], s[6:7]
	s_xor_b64 s[6:7], exec, s[52:53]
	s_cbranch_execz .LBB295_2697
; %bb.1267:
	v_bfe_u32 v1, v0, 20, 1
	s_mov_b32 s33, 0x487ffff
	v_add3_u32 v1, v0, v1, s33
	s_mov_b64 s[50:51], exec
	v_lshrrev_b32_e32 v1, 20, v1
	s_andn2_saveexec_b64 s[52:53], s[6:7]
	s_cbranch_execnz .LBB295_2698
.LBB295_1268:
	s_or_b64 exec, exec, s[52:53]
	v_mov_b32_e32 v10, 0
	s_and_saveexec_b64 s[6:7], s[50:51]
.LBB295_1269:
	v_lshrrev_b32_e32 v0, 24, v0
	s_movk_i32 s33, 0x80
	v_and_or_b32 v10, v0, s33, v1
.LBB295_1270:
	s_or_b64 exec, exec, s[6:7]
.LBB295_1271:
	s_or_b64 exec, exec, s[48:49]
                                        ; implicit-def: $vgpr0_vgpr1
.LBB295_1272:
	s_andn2_saveexec_b64 s[46:47], s[46:47]
	s_cbranch_execz .LBB295_1280
; %bb.1273:
	flat_load_dword v0, v[0:1]
	s_mov_b32 s6, 0x43800000
	s_waitcnt vmcnt(0) lgkmcnt(0)
	v_mov_b32_e32 v10, 0x80
	v_and_b32_e32 v1, 0x7fffffff, v0
	v_cmp_gt_u32_e64 s[6:7], s6, v1
	s_and_saveexec_b64 s[48:49], s[6:7]
	s_cbranch_execz .LBB295_1279
; %bb.1274:
	s_mov_b32 s6, 0x3bffffff
	v_cmp_lt_u32_e64 s[6:7], s6, v1
	s_mov_b64 s[50:51], 0
                                        ; implicit-def: $vgpr1
	s_and_saveexec_b64 s[52:53], s[6:7]
	s_xor_b64 s[6:7], exec, s[52:53]
	s_cbranch_execz .LBB295_2699
; %bb.1275:
	v_bfe_u32 v1, v0, 20, 1
	s_mov_b32 s33, 0x487ffff
	v_add3_u32 v1, v0, v1, s33
	s_mov_b64 s[50:51], exec
	v_lshrrev_b32_e32 v1, 20, v1
	s_andn2_saveexec_b64 s[52:53], s[6:7]
	s_cbranch_execnz .LBB295_2700
.LBB295_1276:
	s_or_b64 exec, exec, s[52:53]
	v_mov_b32_e32 v10, 0
	s_and_saveexec_b64 s[6:7], s[50:51]
.LBB295_1277:
	v_lshrrev_b32_e32 v0, 24, v0
	s_movk_i32 s33, 0x80
	v_and_or_b32 v10, v0, s33, v1
.LBB295_1278:
	s_or_b64 exec, exec, s[6:7]
.LBB295_1279:
	s_or_b64 exec, exec, s[48:49]
.LBB295_1280:
	s_or_b64 exec, exec, s[46:47]
                                        ; implicit-def: $vgpr0_vgpr1
.LBB295_1281:
	s_andn2_saveexec_b64 s[44:45], s[44:45]
	s_cbranch_execz .LBB295_1289
; %bb.1282:
	flat_load_ushort v0, v[0:1]
	s_mov_b32 s6, 0x43800000
	s_waitcnt vmcnt(0) lgkmcnt(0)
	v_mov_b32_e32 v10, 0x80
	v_cvt_f32_f16_e32 v0, v0
	v_and_b32_e32 v1, 0x7fffffff, v0
	v_cmp_gt_u32_e64 s[6:7], s6, v1
	s_and_saveexec_b64 s[46:47], s[6:7]
	s_cbranch_execz .LBB295_1288
; %bb.1283:
	s_mov_b32 s6, 0x3bffffff
	v_cmp_lt_u32_e64 s[6:7], s6, v1
	s_mov_b64 s[48:49], 0
                                        ; implicit-def: $vgpr1
	s_and_saveexec_b64 s[50:51], s[6:7]
	s_xor_b64 s[6:7], exec, s[50:51]
	s_cbranch_execz .LBB295_2620
; %bb.1284:
	v_bfe_u32 v1, v0, 20, 1
	s_mov_b32 s33, 0x487ffff
	v_add3_u32 v1, v0, v1, s33
	s_mov_b64 s[48:49], exec
	v_lshrrev_b32_e32 v1, 20, v1
	s_andn2_saveexec_b64 s[50:51], s[6:7]
	s_cbranch_execnz .LBB295_2621
.LBB295_1285:
	s_or_b64 exec, exec, s[50:51]
	v_mov_b32_e32 v10, 0
	s_and_saveexec_b64 s[6:7], s[48:49]
.LBB295_1286:
	v_lshrrev_b32_e32 v0, 24, v0
	s_movk_i32 s33, 0x80
	v_and_or_b32 v10, v0, s33, v1
.LBB295_1287:
	s_or_b64 exec, exec, s[6:7]
.LBB295_1288:
	s_or_b64 exec, exec, s[46:47]
.LBB295_1289:
	s_or_b64 exec, exec, s[44:45]
.LBB295_1290:
	s_or_b64 exec, exec, s[42:43]
                                        ; implicit-def: $vgpr6
                                        ; implicit-def: $vgpr0_vgpr1
.LBB295_1291:
	s_andn2_saveexec_b64 s[40:41], s[40:41]
	s_cbranch_execz .LBB295_1339
; %bb.1292:
	v_cmp_lt_i16_e64 s[6:7], 1, v6
                                        ; implicit-def: $vgpr10
	s_and_saveexec_b64 s[42:43], s[6:7]
	s_xor_b64 s[42:43], exec, s[42:43]
	s_cbranch_execz .LBB295_1320
; %bb.1293:
	v_cmp_lt_i16_e64 s[6:7], 2, v6
                                        ; implicit-def: $vgpr10
	s_and_saveexec_b64 s[44:45], s[6:7]
	s_xor_b64 s[44:45], exec, s[44:45]
	;; [unrolled: 6-line block ×3, first 2 shown]
	s_cbranch_execz .LBB295_1302
; %bb.1295:
	flat_load_dwordx2 v[0:1], v[0:1]
	s_mov_b32 s6, 0x43800000
	s_waitcnt vmcnt(0) lgkmcnt(0)
	v_xor_b32_e32 v10, v0, v1
	v_ffbh_i32_e32 v6, v1
	v_ashrrev_i32_e32 v10, 31, v10
	v_add_u32_e32 v6, -1, v6
	v_add_u32_e32 v10, 32, v10
	v_min_u32_e32 v6, v6, v10
	v_lshlrev_b64 v[0:1], v6, v[0:1]
	v_mov_b32_e32 v10, 0x80
	v_min_u32_e32 v0, 1, v0
	v_or_b32_e32 v0, v1, v0
	v_cvt_f32_i32_e32 v0, v0
	v_sub_u32_e32 v1, 32, v6
	v_ldexp_f32 v0, v0, v1
	v_and_b32_e32 v1, 0x7fffffff, v0
	v_cmp_gt_u32_e64 s[6:7], s6, v1
	s_and_saveexec_b64 s[48:49], s[6:7]
	s_cbranch_execz .LBB295_1301
; %bb.1296:
	s_mov_b32 s6, 0x3bffffff
	v_cmp_lt_u32_e64 s[6:7], s6, v1
	s_mov_b64 s[50:51], 0
                                        ; implicit-def: $vgpr1
	s_and_saveexec_b64 s[52:53], s[6:7]
	s_xor_b64 s[6:7], exec, s[52:53]
	s_cbranch_execz .LBB295_2701
; %bb.1297:
	v_bfe_u32 v1, v0, 20, 1
	s_mov_b32 s33, 0x487ffff
	v_add3_u32 v1, v0, v1, s33
	s_mov_b64 s[50:51], exec
	v_lshrrev_b32_e32 v1, 20, v1
	s_andn2_saveexec_b64 s[52:53], s[6:7]
	s_cbranch_execnz .LBB295_2702
.LBB295_1298:
	s_or_b64 exec, exec, s[52:53]
	v_mov_b32_e32 v10, 0
	s_and_saveexec_b64 s[6:7], s[50:51]
.LBB295_1299:
	v_lshrrev_b32_e32 v0, 24, v0
	s_movk_i32 s33, 0x80
	v_and_or_b32 v10, v0, s33, v1
.LBB295_1300:
	s_or_b64 exec, exec, s[6:7]
.LBB295_1301:
	s_or_b64 exec, exec, s[48:49]
                                        ; implicit-def: $vgpr0_vgpr1
.LBB295_1302:
	s_andn2_saveexec_b64 s[46:47], s[46:47]
	s_cbranch_execz .LBB295_1310
; %bb.1303:
	flat_load_dword v0, v[0:1]
	s_mov_b32 s6, 0x43800000
	s_waitcnt vmcnt(0) lgkmcnt(0)
	v_mov_b32_e32 v10, 0x80
	v_cvt_f32_i32_e32 v0, v0
	v_and_b32_e32 v1, 0x7fffffff, v0
	v_cmp_gt_u32_e64 s[6:7], s6, v1
	s_and_saveexec_b64 s[48:49], s[6:7]
	s_cbranch_execz .LBB295_1309
; %bb.1304:
	s_mov_b32 s6, 0x3bffffff
	v_cmp_lt_u32_e64 s[6:7], s6, v1
	s_mov_b64 s[50:51], 0
                                        ; implicit-def: $vgpr1
	s_and_saveexec_b64 s[52:53], s[6:7]
	s_xor_b64 s[6:7], exec, s[52:53]
	s_cbranch_execz .LBB295_2703
; %bb.1305:
	v_bfe_u32 v1, v0, 20, 1
	s_mov_b32 s33, 0x487ffff
	v_add3_u32 v1, v0, v1, s33
	s_mov_b64 s[50:51], exec
	v_lshrrev_b32_e32 v1, 20, v1
	s_andn2_saveexec_b64 s[52:53], s[6:7]
	s_cbranch_execnz .LBB295_2704
.LBB295_1306:
	s_or_b64 exec, exec, s[52:53]
	v_mov_b32_e32 v10, 0
	s_and_saveexec_b64 s[6:7], s[50:51]
.LBB295_1307:
	v_lshrrev_b32_e32 v0, 24, v0
	s_movk_i32 s33, 0x80
	v_and_or_b32 v10, v0, s33, v1
.LBB295_1308:
	s_or_b64 exec, exec, s[6:7]
.LBB295_1309:
	s_or_b64 exec, exec, s[48:49]
.LBB295_1310:
	s_or_b64 exec, exec, s[46:47]
                                        ; implicit-def: $vgpr0_vgpr1
.LBB295_1311:
	s_andn2_saveexec_b64 s[44:45], s[44:45]
	s_cbranch_execz .LBB295_1319
; %bb.1312:
	flat_load_sshort v0, v[0:1]
	s_mov_b32 s6, 0x43800000
	s_waitcnt vmcnt(0) lgkmcnt(0)
	v_mov_b32_e32 v10, 0x80
	v_cvt_f32_i32_e32 v0, v0
	v_and_b32_e32 v1, 0x7fffffff, v0
	v_cmp_gt_u32_e64 s[6:7], s6, v1
	s_and_saveexec_b64 s[46:47], s[6:7]
	s_cbranch_execz .LBB295_1318
; %bb.1313:
	s_mov_b32 s6, 0x3bffffff
	v_cmp_lt_u32_e64 s[6:7], s6, v1
	s_mov_b64 s[48:49], 0
                                        ; implicit-def: $vgpr1
	s_and_saveexec_b64 s[50:51], s[6:7]
	s_xor_b64 s[6:7], exec, s[50:51]
	s_cbranch_execz .LBB295_2622
; %bb.1314:
	v_bfe_u32 v1, v0, 20, 1
	s_mov_b32 s33, 0x487ffff
	v_add3_u32 v1, v0, v1, s33
	s_mov_b64 s[48:49], exec
	v_lshrrev_b32_e32 v1, 20, v1
	s_andn2_saveexec_b64 s[50:51], s[6:7]
	s_cbranch_execnz .LBB295_2623
.LBB295_1315:
	s_or_b64 exec, exec, s[50:51]
	v_mov_b32_e32 v10, 0
	s_and_saveexec_b64 s[6:7], s[48:49]
.LBB295_1316:
	v_lshrrev_b32_e32 v0, 24, v0
	s_movk_i32 s33, 0x80
	v_and_or_b32 v10, v0, s33, v1
.LBB295_1317:
	s_or_b64 exec, exec, s[6:7]
.LBB295_1318:
	s_or_b64 exec, exec, s[46:47]
.LBB295_1319:
	s_or_b64 exec, exec, s[44:45]
                                        ; implicit-def: $vgpr6
                                        ; implicit-def: $vgpr0_vgpr1
.LBB295_1320:
	s_andn2_saveexec_b64 s[42:43], s[42:43]
	s_cbranch_execz .LBB295_1338
; %bb.1321:
	v_cmp_lt_i16_e64 s[6:7], 0, v6
                                        ; implicit-def: $vgpr10
	s_and_saveexec_b64 s[44:45], s[6:7]
	s_xor_b64 s[44:45], exec, s[44:45]
	s_cbranch_execz .LBB295_1329
; %bb.1322:
	flat_load_sbyte v0, v[0:1]
	s_mov_b32 s6, 0x43800000
	s_waitcnt vmcnt(0) lgkmcnt(0)
	v_mov_b32_e32 v10, 0x80
	v_cvt_f32_i32_e32 v0, v0
	v_and_b32_e32 v1, 0x7fffffff, v0
	v_cmp_gt_u32_e64 s[6:7], s6, v1
	s_and_saveexec_b64 s[46:47], s[6:7]
	s_cbranch_execz .LBB295_1328
; %bb.1323:
	s_mov_b32 s6, 0x3bffffff
	v_cmp_lt_u32_e64 s[6:7], s6, v1
	s_mov_b64 s[48:49], 0
                                        ; implicit-def: $vgpr1
	s_and_saveexec_b64 s[50:51], s[6:7]
	s_xor_b64 s[6:7], exec, s[50:51]
	s_cbranch_execz .LBB295_2624
; %bb.1324:
	v_bfe_u32 v1, v0, 20, 1
	s_mov_b32 s33, 0x487ffff
	v_add3_u32 v1, v0, v1, s33
	s_mov_b64 s[48:49], exec
	v_lshrrev_b32_e32 v1, 20, v1
	s_andn2_saveexec_b64 s[50:51], s[6:7]
	s_cbranch_execnz .LBB295_2625
.LBB295_1325:
	s_or_b64 exec, exec, s[50:51]
	v_mov_b32_e32 v10, 0
	s_and_saveexec_b64 s[6:7], s[48:49]
.LBB295_1326:
	v_lshrrev_b32_e32 v0, 24, v0
	s_movk_i32 s33, 0x80
	v_and_or_b32 v10, v0, s33, v1
.LBB295_1327:
	s_or_b64 exec, exec, s[6:7]
.LBB295_1328:
	s_or_b64 exec, exec, s[46:47]
                                        ; implicit-def: $vgpr0_vgpr1
.LBB295_1329:
	s_andn2_saveexec_b64 s[44:45], s[44:45]
	s_cbranch_execz .LBB295_1337
; %bb.1330:
	flat_load_ubyte v0, v[0:1]
	s_mov_b32 s6, 0x43800000
	s_waitcnt vmcnt(0) lgkmcnt(0)
	v_mov_b32_e32 v10, 0x80
	v_cvt_f32_ubyte0_e32 v1, v0
	v_cmp_gt_u32_e64 s[6:7], s6, v1
	s_and_saveexec_b64 s[46:47], s[6:7]
	s_cbranch_execz .LBB295_1336
; %bb.1331:
	s_mov_b32 s6, 0x3bffffff
	v_cmp_lt_u32_e64 s[6:7], s6, v1
	s_mov_b64 s[48:49], 0
                                        ; implicit-def: $vgpr0
	s_and_saveexec_b64 s[50:51], s[6:7]
	s_xor_b64 s[6:7], exec, s[50:51]
	s_cbranch_execz .LBB295_2626
; %bb.1332:
	v_bfe_u32 v0, v1, 20, 1
	s_mov_b32 s33, 0x487ffff
	v_add3_u32 v0, v1, v0, s33
	s_mov_b64 s[48:49], exec
	v_lshrrev_b32_e32 v0, 20, v0
                                        ; implicit-def: $vgpr1
	s_andn2_saveexec_b64 s[50:51], s[6:7]
	s_cbranch_execnz .LBB295_2627
.LBB295_1333:
	s_or_b64 exec, exec, s[50:51]
	v_mov_b32_e32 v10, 0
	s_and_saveexec_b64 s[6:7], s[48:49]
.LBB295_1334:
	v_mov_b32_e32 v10, v0
.LBB295_1335:
	s_or_b64 exec, exec, s[6:7]
.LBB295_1336:
	s_or_b64 exec, exec, s[46:47]
.LBB295_1337:
	s_or_b64 exec, exec, s[44:45]
.LBB295_1338:
	s_or_b64 exec, exec, s[42:43]
.LBB295_1339:
	s_or_b64 exec, exec, s[40:41]
	s_or_b64 s[38:39], s[38:39], exec
.LBB295_1340:
	s_or_b64 exec, exec, s[30:31]
	s_mov_b64 s[6:7], 0
	s_mov_b64 s[42:43], 0
                                        ; implicit-def: $sgpr40_sgpr41
                                        ; implicit-def: $vgpr0_vgpr1
                                        ; implicit-def: $vgpr18
	s_and_saveexec_b64 s[30:31], s[38:39]
	s_cbranch_execz .LBB295_1843
; %bb.1341:
	v_add_u32_e32 v0, v13, v12
	v_ashrrev_i32_e32 v1, 31, v0
	v_add_co_u32_e64 v0, s[6:7], v8, v0
	v_addc_co_u32_e64 v1, s[6:7], v9, v1, s[6:7]
	v_cmp_lt_i16_e64 s[6:7], 10, v5
	s_mov_b64 s[44:45], 0
	s_mov_b64 s[38:39], s[28:29]
                                        ; implicit-def: $vgpr6
	s_and_saveexec_b64 s[40:41], s[6:7]
	s_xor_b64 s[40:41], exec, s[40:41]
	s_cbranch_execz .LBB295_1410
; %bb.1342:
	v_cmp_lt_i16_e64 s[6:7], 25, v5
	s_mov_b64 s[38:39], 0
                                        ; implicit-def: $vgpr6
	s_and_saveexec_b64 s[46:47], s[6:7]
	s_xor_b64 s[46:47], exec, s[46:47]
	s_cbranch_execz .LBB295_2341
; %bb.1343:
	v_cmp_lt_i16_e64 s[6:7], 28, v5
	;; [unrolled: 7-line block ×3, first 2 shown]
	s_mov_b64 s[50:51], 0
	s_mov_b64 s[52:53], 0
                                        ; implicit-def: $vgpr6
	s_and_saveexec_b64 s[44:45], s[6:7]
	s_xor_b64 s[44:45], exec, s[44:45]
	s_cbranch_execz .LBB295_1366
; %bb.1345:
	v_cmp_lt_i16_e64 s[6:7], 45, v5
                                        ; implicit-def: $vgpr6
	s_and_saveexec_b64 s[52:53], s[6:7]
	s_xor_b64 s[52:53], exec, s[52:53]
	s_cbranch_execz .LBB295_1355
; %bb.1346:
	v_cmp_eq_u16_e64 s[6:7], 46, v5
	s_mov_b64 s[54:55], -1
                                        ; implicit-def: $vgpr6
	s_and_saveexec_b64 s[48:49], s[6:7]
	s_cbranch_execz .LBB295_1354
; %bb.1347:
	flat_load_dword v5, v[0:1]
	s_mov_b32 s6, 0x43800000
	v_mov_b32_e32 v6, 0x80
	s_waitcnt vmcnt(0) lgkmcnt(0)
	v_lshlrev_b32_e32 v5, 16, v5
	v_and_b32_e32 v8, 0x7fffffff, v5
	v_cmp_gt_u32_e64 s[6:7], s6, v8
	s_and_saveexec_b64 s[50:51], s[6:7]
	s_cbranch_execz .LBB295_1353
; %bb.1348:
	s_mov_b32 s6, 0x3bffffff
	v_cmp_lt_u32_e64 s[6:7], s6, v8
	s_mov_b64 s[54:55], 0
                                        ; implicit-def: $vgpr8
	s_and_saveexec_b64 s[56:57], s[6:7]
	s_xor_b64 s[6:7], exec, s[56:57]
	s_cbranch_execz .LBB295_2798
; %bb.1349:
	v_bfe_u32 v6, v5, 20, 1
	s_mov_b32 s33, 0x487ffff
	v_add3_u32 v6, v5, v6, s33
	s_mov_b64 s[54:55], exec
	v_lshrrev_b32_e32 v8, 20, v6
	s_andn2_saveexec_b64 s[56:57], s[6:7]
	s_cbranch_execnz .LBB295_2799
.LBB295_1350:
	s_or_b64 exec, exec, s[56:57]
	v_mov_b32_e32 v6, 0
	s_and_saveexec_b64 s[6:7], s[54:55]
.LBB295_1351:
	v_lshrrev_b32_e32 v5, 24, v5
	s_movk_i32 s33, 0x80
	v_and_or_b32 v6, v5, s33, v8
.LBB295_1352:
	s_or_b64 exec, exec, s[6:7]
.LBB295_1353:
	s_or_b64 exec, exec, s[50:51]
	s_mov_b64 s[50:51], exec
	s_xor_b64 s[54:55], exec, -1
.LBB295_1354:
	s_or_b64 exec, exec, s[48:49]
	s_and_b64 s[50:51], s[50:51], exec
	s_and_b64 s[48:49], s[54:55], exec
                                        ; implicit-def: $vgpr5
.LBB295_1355:
	s_andn2_saveexec_b64 s[52:53], s[52:53]
	s_cbranch_execz .LBB295_1365
; %bb.1356:
	v_cmp_eq_u16_e64 s[6:7], 44, v5
	s_mov_b64 s[56:57], -1
	s_mov_b64 s[58:59], s[50:51]
                                        ; implicit-def: $vgpr6
	s_and_saveexec_b64 s[54:55], s[6:7]
	s_cbranch_execz .LBB295_1364
; %bb.1357:
	flat_load_ubyte v5, v[0:1]
	s_movk_i32 s6, 0xff
	v_mov_b32_e32 v6, 0x7f800001
	v_mov_b32_e32 v8, 0x400000
	s_mov_b32 s33, 0x43800000
	s_waitcnt vmcnt(0) lgkmcnt(0)
	v_lshlrev_b32_e32 v9, 23, v5
	v_cmp_ne_u32_e64 s[6:7], s6, v5
	v_cndmask_b32_e64 v6, v6, v9, s[6:7]
	v_cmp_ne_u32_e64 s[6:7], 0, v5
	v_cndmask_b32_e64 v8, v8, v6, s[6:7]
	v_cmp_gt_u32_e64 s[6:7], s33, v8
	v_mov_b32_e32 v6, 0x80
	s_and_saveexec_b64 s[56:57], s[6:7]
	s_cbranch_execz .LBB295_1363
; %bb.1358:
	s_mov_b32 s6, 0x3bffffff
	v_cmp_lt_u32_e64 s[6:7], s6, v8
	s_mov_b64 s[58:59], 0
                                        ; implicit-def: $vgpr5
	s_and_saveexec_b64 s[60:61], s[6:7]
	s_xor_b64 s[6:7], exec, s[60:61]
	s_cbranch_execz .LBB295_2800
; %bb.1359:
	v_bfe_u32 v5, v8, 20, 1
	s_mov_b32 s33, 0x487ffff
	v_add3_u32 v5, v8, v5, s33
	s_mov_b64 s[58:59], exec
	v_lshrrev_b32_e32 v5, 20, v5
                                        ; implicit-def: $vgpr8
	s_andn2_saveexec_b64 s[60:61], s[6:7]
	s_cbranch_execnz .LBB295_2801
.LBB295_1360:
	s_or_b64 exec, exec, s[60:61]
	v_mov_b32_e32 v6, 0
	s_and_saveexec_b64 s[6:7], s[58:59]
.LBB295_1361:
	v_mov_b32_e32 v6, v5
.LBB295_1362:
	s_or_b64 exec, exec, s[6:7]
.LBB295_1363:
	s_or_b64 exec, exec, s[56:57]
	s_or_b64 s[58:59], s[50:51], exec
	s_xor_b64 s[56:57], exec, -1
.LBB295_1364:
	s_or_b64 exec, exec, s[54:55]
	s_andn2_b64 s[6:7], s[50:51], exec
	s_and_b64 s[50:51], s[58:59], exec
	s_or_b64 s[50:51], s[6:7], s[50:51]
	s_andn2_b64 s[6:7], s[48:49], exec
	s_and_b64 s[48:49], s[56:57], exec
	s_or_b64 s[48:49], s[6:7], s[48:49]
.LBB295_1365:
	s_or_b64 exec, exec, s[52:53]
	s_and_b64 s[52:53], s[50:51], exec
	s_and_b64 s[50:51], s[48:49], exec
                                        ; implicit-def: $vgpr5
.LBB295_1366:
	s_andn2_saveexec_b64 s[44:45], s[44:45]
	s_cbranch_execz .LBB295_1376
; %bb.1367:
	v_cmp_eq_u16_e64 s[6:7], 29, v5
	s_mov_b64 s[54:55], -1
	s_mov_b64 s[56:57], s[52:53]
                                        ; implicit-def: $vgpr6
	s_and_saveexec_b64 s[48:49], s[6:7]
	s_cbranch_execz .LBB295_1375
; %bb.1368:
	flat_load_dwordx2 v[5:6], v[0:1]
	s_mov_b32 s6, 0x43800000
	s_waitcnt vmcnt(0) lgkmcnt(0)
	v_ffbh_u32_e32 v8, v6
	v_min_u32_e32 v8, 32, v8
	v_lshlrev_b64 v[5:6], v8, v[5:6]
	v_min_u32_e32 v5, 1, v5
	v_or_b32_e32 v5, v6, v5
	v_cvt_f32_u32_e32 v5, v5
	v_sub_u32_e32 v6, 32, v8
	v_ldexp_f32 v8, v5, v6
	v_cmp_gt_u32_e64 s[6:7], s6, v8
	v_mov_b32_e32 v6, 0x80
	s_and_saveexec_b64 s[54:55], s[6:7]
	s_cbranch_execz .LBB295_1374
; %bb.1369:
	s_mov_b32 s6, 0x3bffffff
	v_cmp_lt_u32_e64 s[6:7], s6, v8
	s_mov_b64 s[56:57], 0
                                        ; implicit-def: $vgpr5
	s_and_saveexec_b64 s[58:59], s[6:7]
	s_xor_b64 s[6:7], exec, s[58:59]
	s_cbranch_execz .LBB295_2772
; %bb.1370:
	v_bfe_u32 v5, v8, 20, 1
	s_mov_b32 s33, 0x487ffff
	v_add3_u32 v5, v8, v5, s33
	s_mov_b64 s[56:57], exec
	v_lshrrev_b32_e32 v5, 20, v5
                                        ; implicit-def: $vgpr8
	s_andn2_saveexec_b64 s[58:59], s[6:7]
	s_cbranch_execnz .LBB295_2773
.LBB295_1371:
	s_or_b64 exec, exec, s[58:59]
	v_mov_b32_e32 v6, 0
	s_and_saveexec_b64 s[6:7], s[56:57]
.LBB295_1372:
	v_mov_b32_e32 v6, v5
.LBB295_1373:
	s_or_b64 exec, exec, s[6:7]
.LBB295_1374:
	s_or_b64 exec, exec, s[54:55]
	s_or_b64 s[56:57], s[52:53], exec
	s_xor_b64 s[54:55], exec, -1
.LBB295_1375:
	s_or_b64 exec, exec, s[48:49]
	s_andn2_b64 s[6:7], s[52:53], exec
	s_and_b64 s[48:49], s[56:57], exec
	s_or_b64 s[52:53], s[6:7], s[48:49]
	s_andn2_b64 s[6:7], s[50:51], exec
	s_and_b64 s[48:49], s[54:55], exec
	s_or_b64 s[50:51], s[6:7], s[48:49]
.LBB295_1376:
	s_or_b64 exec, exec, s[44:45]
	s_and_b64 s[48:49], s[52:53], exec
	s_and_b64 s[44:45], s[50:51], exec
                                        ; implicit-def: $vgpr5
.LBB295_1377:
	s_andn2_saveexec_b64 s[42:43], s[42:43]
	s_cbranch_execz .LBB295_1399
; %bb.1378:
	v_cmp_lt_i16_e64 s[6:7], 26, v5
                                        ; implicit-def: $vgpr6
	s_and_saveexec_b64 s[50:51], s[6:7]
	s_xor_b64 s[50:51], exec, s[50:51]
	s_cbranch_execz .LBB295_1396
; %bb.1379:
	v_cmp_lt_i16_e64 s[6:7], 27, v5
                                        ; implicit-def: $vgpr6
	s_and_saveexec_b64 s[52:53], s[6:7]
	s_xor_b64 s[52:53], exec, s[52:53]
	s_cbranch_execz .LBB295_1387
; %bb.1380:
	flat_load_dword v5, v[0:1]
	s_mov_b32 s6, 0x43800000
	v_mov_b32_e32 v6, 0x80
	s_waitcnt vmcnt(0) lgkmcnt(0)
	v_cvt_f32_u32_e32 v8, v5
	v_cmp_gt_u32_e64 s[6:7], s6, v8
	s_and_saveexec_b64 s[54:55], s[6:7]
	s_cbranch_execz .LBB295_1386
; %bb.1381:
	s_mov_b32 s6, 0x3bffffff
	v_cmp_lt_u32_e64 s[6:7], s6, v8
	s_mov_b64 s[56:57], 0
                                        ; implicit-def: $vgpr5
	s_and_saveexec_b64 s[58:59], s[6:7]
	s_xor_b64 s[6:7], exec, s[58:59]
	s_cbranch_execz .LBB295_2774
; %bb.1382:
	v_bfe_u32 v5, v8, 20, 1
	s_mov_b32 s33, 0x487ffff
	v_add3_u32 v5, v8, v5, s33
	s_mov_b64 s[56:57], exec
	v_lshrrev_b32_e32 v5, 20, v5
                                        ; implicit-def: $vgpr8
	s_andn2_saveexec_b64 s[58:59], s[6:7]
	s_cbranch_execnz .LBB295_2775
.LBB295_1383:
	s_or_b64 exec, exec, s[58:59]
	v_mov_b32_e32 v6, 0
	s_and_saveexec_b64 s[6:7], s[56:57]
.LBB295_1384:
	v_mov_b32_e32 v6, v5
.LBB295_1385:
	s_or_b64 exec, exec, s[6:7]
.LBB295_1386:
	s_or_b64 exec, exec, s[54:55]
.LBB295_1387:
	s_andn2_saveexec_b64 s[52:53], s[52:53]
	s_cbranch_execz .LBB295_1395
; %bb.1388:
	flat_load_ushort v5, v[0:1]
	s_mov_b32 s6, 0x43800000
	v_mov_b32_e32 v6, 0x80
	s_waitcnt vmcnt(0) lgkmcnt(0)
	v_cvt_f32_u32_e32 v8, v5
	v_cmp_gt_u32_e64 s[6:7], s6, v8
	s_and_saveexec_b64 s[54:55], s[6:7]
	s_cbranch_execz .LBB295_1394
; %bb.1389:
	s_mov_b32 s6, 0x3bffffff
	v_cmp_lt_u32_e64 s[6:7], s6, v8
	s_mov_b64 s[56:57], 0
                                        ; implicit-def: $vgpr5
	s_and_saveexec_b64 s[58:59], s[6:7]
	s_xor_b64 s[6:7], exec, s[58:59]
	s_cbranch_execz .LBB295_2776
; %bb.1390:
	v_bfe_u32 v5, v8, 20, 1
	s_mov_b32 s33, 0x487ffff
	v_add3_u32 v5, v8, v5, s33
	s_mov_b64 s[56:57], exec
	v_lshrrev_b32_e32 v5, 20, v5
                                        ; implicit-def: $vgpr8
	s_andn2_saveexec_b64 s[58:59], s[6:7]
	s_cbranch_execnz .LBB295_2777
.LBB295_1391:
	s_or_b64 exec, exec, s[58:59]
	v_mov_b32_e32 v6, 0
	s_and_saveexec_b64 s[6:7], s[56:57]
.LBB295_1392:
	v_mov_b32_e32 v6, v5
.LBB295_1393:
	s_or_b64 exec, exec, s[6:7]
.LBB295_1394:
	s_or_b64 exec, exec, s[54:55]
.LBB295_1395:
	s_or_b64 exec, exec, s[52:53]
.LBB295_1396:
	s_andn2_saveexec_b64 s[6:7], s[50:51]
	s_cbranch_execz .LBB295_1398
; %bb.1397:
	flat_load_ubyte v6, v[0:1]
.LBB295_1398:
	s_or_b64 exec, exec, s[6:7]
	s_or_b64 s[48:49], s[48:49], exec
.LBB295_1399:
	s_or_b64 exec, exec, s[42:43]
	s_and_b64 s[42:43], s[48:49], exec
	s_and_b64 s[44:45], s[44:45], exec
                                        ; implicit-def: $vgpr5
	s_andn2_saveexec_b64 s[46:47], s[46:47]
	s_cbranch_execnz .LBB295_2342
.LBB295_1400:
	s_or_b64 exec, exec, s[46:47]
	s_mov_b64 s[46:47], s[28:29]
	s_and_saveexec_b64 s[6:7], s[44:45]
	s_cbranch_execnz .LBB295_2391
.LBB295_1401:
	s_or_b64 exec, exec, s[6:7]
	s_and_saveexec_b64 s[6:7], s[38:39]
	s_xor_b64 s[38:39], exec, s[6:7]
	s_cbranch_execz .LBB295_1409
.LBB295_1402:
	flat_load_ubyte v0, v[0:1]
	s_mov_b32 s33, 0x43800000
	s_waitcnt vmcnt(0) lgkmcnt(0)
	v_mov_b32_e32 v6, 0x80
	v_cmp_ne_u16_e64 s[6:7], 0, v0
	v_cndmask_b32_e64 v1, 0, 1.0, s[6:7]
	v_cmp_gt_u32_e64 s[6:7], s33, v1
	s_and_saveexec_b64 s[44:45], s[6:7]
	s_cbranch_execz .LBB295_1408
; %bb.1403:
	s_mov_b32 s6, 0x3bffffff
	v_cmp_lt_u32_e64 s[6:7], s6, v1
	s_mov_b64 s[48:49], 0
                                        ; implicit-def: $vgpr0
	s_and_saveexec_b64 s[50:51], s[6:7]
	s_xor_b64 s[6:7], exec, s[50:51]
	s_cbranch_execz .LBB295_2537
; %bb.1404:
	v_bfe_u32 v0, v1, 20, 1
	s_mov_b32 s33, 0x487ffff
	v_add3_u32 v0, v1, v0, s33
	s_mov_b64 s[48:49], exec
	v_lshrrev_b32_e32 v0, 20, v0
                                        ; implicit-def: $vgpr1
	s_andn2_saveexec_b64 s[50:51], s[6:7]
	s_cbranch_execnz .LBB295_2538
.LBB295_1405:
	s_or_b64 exec, exec, s[50:51]
	v_mov_b32_e32 v6, 0
	s_and_saveexec_b64 s[6:7], s[48:49]
.LBB295_1406:
	v_mov_b32_e32 v6, v0
.LBB295_1407:
	s_or_b64 exec, exec, s[6:7]
.LBB295_1408:
	s_or_b64 exec, exec, s[44:45]
	s_or_b64 s[42:43], s[42:43], exec
.LBB295_1409:
	s_or_b64 exec, exec, s[38:39]
	s_andn2_b64 s[6:7], s[28:29], exec
	s_and_b64 s[38:39], s[46:47], exec
	s_or_b64 s[38:39], s[6:7], s[38:39]
	s_and_b64 s[44:45], s[42:43], exec
                                        ; implicit-def: $vgpr5
                                        ; implicit-def: $vgpr0_vgpr1
.LBB295_1410:
	s_andn2_saveexec_b64 s[40:41], s[40:41]
	s_cbranch_execz .LBB295_1518
; %bb.1411:
	v_cmp_lt_i16_e64 s[6:7], 4, v5
                                        ; implicit-def: $vgpr6
	s_and_saveexec_b64 s[42:43], s[6:7]
	s_xor_b64 s[42:43], exec, s[42:43]
	s_cbranch_execz .LBB295_1469
; %bb.1412:
	v_cmp_lt_i16_e64 s[6:7], 7, v5
                                        ; implicit-def: $vgpr6
	s_and_saveexec_b64 s[46:47], s[6:7]
	s_xor_b64 s[46:47], exec, s[46:47]
	;; [unrolled: 6-line block ×4, first 2 shown]
	s_cbranch_execz .LBB295_1422
; %bb.1415:
	flat_load_dwordx2 v[0:1], v[0:1]
	s_mov_b32 s6, 0x43800000
	s_waitcnt vmcnt(0) lgkmcnt(0)
	v_mov_b32_e32 v6, 0x80
	v_cvt_f32_f64_e32 v0, v[0:1]
	v_and_b32_e32 v1, 0x7fffffff, v0
	v_cmp_gt_u32_e64 s[6:7], s6, v1
	s_and_saveexec_b64 s[52:53], s[6:7]
	s_cbranch_execz .LBB295_1421
; %bb.1416:
	s_mov_b32 s6, 0x3bffffff
	v_cmp_lt_u32_e64 s[6:7], s6, v1
	s_mov_b64 s[54:55], 0
                                        ; implicit-def: $vgpr1
	s_and_saveexec_b64 s[56:57], s[6:7]
	s_xor_b64 s[6:7], exec, s[56:57]
	s_cbranch_execz .LBB295_2778
; %bb.1417:
	v_bfe_u32 v1, v0, 20, 1
	s_mov_b32 s33, 0x487ffff
	v_add3_u32 v1, v0, v1, s33
	s_mov_b64 s[54:55], exec
	v_lshrrev_b32_e32 v1, 20, v1
	s_andn2_saveexec_b64 s[56:57], s[6:7]
	s_cbranch_execnz .LBB295_2779
.LBB295_1418:
	s_or_b64 exec, exec, s[56:57]
	v_mov_b32_e32 v6, 0
	s_and_saveexec_b64 s[6:7], s[54:55]
.LBB295_1419:
	v_lshrrev_b32_e32 v0, 24, v0
	s_movk_i32 s33, 0x80
	v_and_or_b32 v6, v0, s33, v1
.LBB295_1420:
	s_or_b64 exec, exec, s[6:7]
.LBB295_1421:
	s_or_b64 exec, exec, s[52:53]
                                        ; implicit-def: $vgpr0_vgpr1
.LBB295_1422:
	s_andn2_saveexec_b64 s[50:51], s[50:51]
	s_cbranch_execz .LBB295_1430
; %bb.1423:
	flat_load_dword v0, v[0:1]
	s_mov_b32 s6, 0x43800000
	s_waitcnt vmcnt(0) lgkmcnt(0)
	v_mov_b32_e32 v6, 0x80
	v_and_b32_e32 v1, 0x7fffffff, v0
	v_cmp_gt_u32_e64 s[6:7], s6, v1
	s_and_saveexec_b64 s[52:53], s[6:7]
	s_cbranch_execz .LBB295_1429
; %bb.1424:
	s_mov_b32 s6, 0x3bffffff
	v_cmp_lt_u32_e64 s[6:7], s6, v1
	s_mov_b64 s[54:55], 0
                                        ; implicit-def: $vgpr1
	s_and_saveexec_b64 s[56:57], s[6:7]
	s_xor_b64 s[6:7], exec, s[56:57]
	s_cbranch_execz .LBB295_2780
; %bb.1425:
	v_bfe_u32 v1, v0, 20, 1
	s_mov_b32 s33, 0x487ffff
	v_add3_u32 v1, v0, v1, s33
	s_mov_b64 s[54:55], exec
	v_lshrrev_b32_e32 v1, 20, v1
	s_andn2_saveexec_b64 s[56:57], s[6:7]
	s_cbranch_execnz .LBB295_2781
.LBB295_1426:
	s_or_b64 exec, exec, s[56:57]
	v_mov_b32_e32 v6, 0
	s_and_saveexec_b64 s[6:7], s[54:55]
.LBB295_1427:
	v_lshrrev_b32_e32 v0, 24, v0
	s_movk_i32 s33, 0x80
	v_and_or_b32 v6, v0, s33, v1
.LBB295_1428:
	s_or_b64 exec, exec, s[6:7]
.LBB295_1429:
	s_or_b64 exec, exec, s[52:53]
.LBB295_1430:
	s_or_b64 exec, exec, s[50:51]
                                        ; implicit-def: $vgpr0_vgpr1
.LBB295_1431:
	s_andn2_saveexec_b64 s[48:49], s[48:49]
	s_cbranch_execz .LBB295_1439
; %bb.1432:
	flat_load_dword v0, v[0:1]
	s_mov_b32 s6, 0x43800000
	s_waitcnt vmcnt(0) lgkmcnt(0)
	v_mov_b32_e32 v6, 0x80
	v_cvt_f32_f16_e32 v0, v0
	v_and_b32_e32 v1, 0x7fffffff, v0
	v_cmp_gt_u32_e64 s[6:7], s6, v1
	s_and_saveexec_b64 s[50:51], s[6:7]
	s_cbranch_execz .LBB295_1438
; %bb.1433:
	s_mov_b32 s6, 0x3bffffff
	v_cmp_lt_u32_e64 s[6:7], s6, v1
	s_mov_b64 s[52:53], 0
                                        ; implicit-def: $vgpr1
	s_and_saveexec_b64 s[54:55], s[6:7]
	s_xor_b64 s[6:7], exec, s[54:55]
	s_cbranch_execz .LBB295_2705
; %bb.1434:
	v_bfe_u32 v1, v0, 20, 1
	s_mov_b32 s33, 0x487ffff
	v_add3_u32 v1, v0, v1, s33
	s_mov_b64 s[52:53], exec
	v_lshrrev_b32_e32 v1, 20, v1
	s_andn2_saveexec_b64 s[54:55], s[6:7]
	s_cbranch_execnz .LBB295_2706
.LBB295_1435:
	s_or_b64 exec, exec, s[54:55]
	v_mov_b32_e32 v6, 0
	s_and_saveexec_b64 s[6:7], s[52:53]
.LBB295_1436:
	v_lshrrev_b32_e32 v0, 24, v0
	s_movk_i32 s33, 0x80
	v_and_or_b32 v6, v0, s33, v1
.LBB295_1437:
	s_or_b64 exec, exec, s[6:7]
.LBB295_1438:
	s_or_b64 exec, exec, s[50:51]
.LBB295_1439:
	s_or_b64 exec, exec, s[48:49]
                                        ; implicit-def: $vgpr5
                                        ; implicit-def: $vgpr0_vgpr1
.LBB295_1440:
	s_andn2_saveexec_b64 s[46:47], s[46:47]
	s_cbranch_execz .LBB295_1468
; %bb.1441:
	v_cmp_lt_i16_e64 s[6:7], 5, v5
                                        ; implicit-def: $vgpr6
	s_and_saveexec_b64 s[48:49], s[6:7]
	s_xor_b64 s[48:49], exec, s[48:49]
	s_cbranch_execz .LBB295_1459
; %bb.1442:
	v_cmp_lt_i16_e64 s[6:7], 6, v5
                                        ; implicit-def: $vgpr6
	s_and_saveexec_b64 s[50:51], s[6:7]
	s_xor_b64 s[50:51], exec, s[50:51]
	s_cbranch_execz .LBB295_1450
; %bb.1443:
	flat_load_dwordx2 v[0:1], v[0:1]
	s_mov_b32 s6, 0x43800000
	s_waitcnt vmcnt(0) lgkmcnt(0)
	v_mov_b32_e32 v6, 0x80
	v_cvt_f32_f64_e32 v0, v[0:1]
	v_and_b32_e32 v1, 0x7fffffff, v0
	v_cmp_gt_u32_e64 s[6:7], s6, v1
	s_and_saveexec_b64 s[52:53], s[6:7]
	s_cbranch_execz .LBB295_1449
; %bb.1444:
	s_mov_b32 s6, 0x3bffffff
	v_cmp_lt_u32_e64 s[6:7], s6, v1
	s_mov_b64 s[54:55], 0
                                        ; implicit-def: $vgpr1
	s_and_saveexec_b64 s[56:57], s[6:7]
	s_xor_b64 s[6:7], exec, s[56:57]
	s_cbranch_execz .LBB295_2782
; %bb.1445:
	v_bfe_u32 v1, v0, 20, 1
	s_mov_b32 s33, 0x487ffff
	v_add3_u32 v1, v0, v1, s33
	s_mov_b64 s[54:55], exec
	v_lshrrev_b32_e32 v1, 20, v1
	s_andn2_saveexec_b64 s[56:57], s[6:7]
	s_cbranch_execnz .LBB295_2783
.LBB295_1446:
	s_or_b64 exec, exec, s[56:57]
	v_mov_b32_e32 v6, 0
	s_and_saveexec_b64 s[6:7], s[54:55]
.LBB295_1447:
	v_lshrrev_b32_e32 v0, 24, v0
	s_movk_i32 s33, 0x80
	v_and_or_b32 v6, v0, s33, v1
.LBB295_1448:
	s_or_b64 exec, exec, s[6:7]
.LBB295_1449:
	s_or_b64 exec, exec, s[52:53]
                                        ; implicit-def: $vgpr0_vgpr1
.LBB295_1450:
	s_andn2_saveexec_b64 s[50:51], s[50:51]
	s_cbranch_execz .LBB295_1458
; %bb.1451:
	flat_load_dword v0, v[0:1]
	s_mov_b32 s6, 0x43800000
	s_waitcnt vmcnt(0) lgkmcnt(0)
	v_mov_b32_e32 v6, 0x80
	v_and_b32_e32 v1, 0x7fffffff, v0
	v_cmp_gt_u32_e64 s[6:7], s6, v1
	s_and_saveexec_b64 s[52:53], s[6:7]
	s_cbranch_execz .LBB295_1457
; %bb.1452:
	s_mov_b32 s6, 0x3bffffff
	v_cmp_lt_u32_e64 s[6:7], s6, v1
	s_mov_b64 s[54:55], 0
                                        ; implicit-def: $vgpr1
	s_and_saveexec_b64 s[56:57], s[6:7]
	s_xor_b64 s[6:7], exec, s[56:57]
	s_cbranch_execz .LBB295_2784
; %bb.1453:
	v_bfe_u32 v1, v0, 20, 1
	s_mov_b32 s33, 0x487ffff
	v_add3_u32 v1, v0, v1, s33
	s_mov_b64 s[54:55], exec
	v_lshrrev_b32_e32 v1, 20, v1
	s_andn2_saveexec_b64 s[56:57], s[6:7]
	s_cbranch_execnz .LBB295_2785
.LBB295_1454:
	s_or_b64 exec, exec, s[56:57]
	v_mov_b32_e32 v6, 0
	s_and_saveexec_b64 s[6:7], s[54:55]
.LBB295_1455:
	v_lshrrev_b32_e32 v0, 24, v0
	s_movk_i32 s33, 0x80
	v_and_or_b32 v6, v0, s33, v1
.LBB295_1456:
	s_or_b64 exec, exec, s[6:7]
.LBB295_1457:
	s_or_b64 exec, exec, s[52:53]
.LBB295_1458:
	s_or_b64 exec, exec, s[50:51]
                                        ; implicit-def: $vgpr0_vgpr1
.LBB295_1459:
	s_andn2_saveexec_b64 s[48:49], s[48:49]
	s_cbranch_execz .LBB295_1467
; %bb.1460:
	flat_load_ushort v0, v[0:1]
	s_mov_b32 s6, 0x43800000
	s_waitcnt vmcnt(0) lgkmcnt(0)
	v_mov_b32_e32 v6, 0x80
	v_cvt_f32_f16_e32 v0, v0
	v_and_b32_e32 v1, 0x7fffffff, v0
	v_cmp_gt_u32_e64 s[6:7], s6, v1
	s_and_saveexec_b64 s[50:51], s[6:7]
	s_cbranch_execz .LBB295_1466
; %bb.1461:
	s_mov_b32 s6, 0x3bffffff
	v_cmp_lt_u32_e64 s[6:7], s6, v1
	s_mov_b64 s[52:53], 0
                                        ; implicit-def: $vgpr1
	s_and_saveexec_b64 s[54:55], s[6:7]
	s_xor_b64 s[6:7], exec, s[54:55]
	s_cbranch_execz .LBB295_2707
; %bb.1462:
	v_bfe_u32 v1, v0, 20, 1
	s_mov_b32 s33, 0x487ffff
	v_add3_u32 v1, v0, v1, s33
	s_mov_b64 s[52:53], exec
	v_lshrrev_b32_e32 v1, 20, v1
	s_andn2_saveexec_b64 s[54:55], s[6:7]
	s_cbranch_execnz .LBB295_2708
.LBB295_1463:
	s_or_b64 exec, exec, s[54:55]
	v_mov_b32_e32 v6, 0
	s_and_saveexec_b64 s[6:7], s[52:53]
.LBB295_1464:
	v_lshrrev_b32_e32 v0, 24, v0
	s_movk_i32 s33, 0x80
	v_and_or_b32 v6, v0, s33, v1
.LBB295_1465:
	s_or_b64 exec, exec, s[6:7]
.LBB295_1466:
	s_or_b64 exec, exec, s[50:51]
.LBB295_1467:
	s_or_b64 exec, exec, s[48:49]
.LBB295_1468:
	s_or_b64 exec, exec, s[46:47]
                                        ; implicit-def: $vgpr5
                                        ; implicit-def: $vgpr0_vgpr1
.LBB295_1469:
	s_andn2_saveexec_b64 s[42:43], s[42:43]
	s_cbranch_execz .LBB295_1517
; %bb.1470:
	v_cmp_lt_i16_e64 s[6:7], 1, v5
                                        ; implicit-def: $vgpr6
	s_and_saveexec_b64 s[46:47], s[6:7]
	s_xor_b64 s[46:47], exec, s[46:47]
	s_cbranch_execz .LBB295_1498
; %bb.1471:
	v_cmp_lt_i16_e64 s[6:7], 2, v5
                                        ; implicit-def: $vgpr6
	s_and_saveexec_b64 s[48:49], s[6:7]
	s_xor_b64 s[48:49], exec, s[48:49]
	;; [unrolled: 6-line block ×3, first 2 shown]
	s_cbranch_execz .LBB295_1480
; %bb.1473:
	flat_load_dwordx2 v[0:1], v[0:1]
	s_mov_b32 s6, 0x43800000
	s_waitcnt vmcnt(0) lgkmcnt(0)
	v_xor_b32_e32 v6, v0, v1
	v_ffbh_i32_e32 v5, v1
	v_ashrrev_i32_e32 v6, 31, v6
	v_add_u32_e32 v5, -1, v5
	v_add_u32_e32 v6, 32, v6
	v_min_u32_e32 v5, v5, v6
	v_lshlrev_b64 v[0:1], v5, v[0:1]
	v_mov_b32_e32 v6, 0x80
	v_min_u32_e32 v0, 1, v0
	v_or_b32_e32 v0, v1, v0
	v_cvt_f32_i32_e32 v0, v0
	v_sub_u32_e32 v1, 32, v5
	v_ldexp_f32 v0, v0, v1
	v_and_b32_e32 v1, 0x7fffffff, v0
	v_cmp_gt_u32_e64 s[6:7], s6, v1
	s_and_saveexec_b64 s[52:53], s[6:7]
	s_cbranch_execz .LBB295_1479
; %bb.1474:
	s_mov_b32 s6, 0x3bffffff
	v_cmp_lt_u32_e64 s[6:7], s6, v1
	s_mov_b64 s[54:55], 0
                                        ; implicit-def: $vgpr1
	s_and_saveexec_b64 s[56:57], s[6:7]
	s_xor_b64 s[6:7], exec, s[56:57]
	s_cbranch_execz .LBB295_2786
; %bb.1475:
	v_bfe_u32 v1, v0, 20, 1
	s_mov_b32 s33, 0x487ffff
	v_add3_u32 v1, v0, v1, s33
	s_mov_b64 s[54:55], exec
	v_lshrrev_b32_e32 v1, 20, v1
	s_andn2_saveexec_b64 s[56:57], s[6:7]
	s_cbranch_execnz .LBB295_2787
.LBB295_1476:
	s_or_b64 exec, exec, s[56:57]
	v_mov_b32_e32 v6, 0
	s_and_saveexec_b64 s[6:7], s[54:55]
.LBB295_1477:
	v_lshrrev_b32_e32 v0, 24, v0
	s_movk_i32 s33, 0x80
	v_and_or_b32 v6, v0, s33, v1
.LBB295_1478:
	s_or_b64 exec, exec, s[6:7]
.LBB295_1479:
	s_or_b64 exec, exec, s[52:53]
                                        ; implicit-def: $vgpr0_vgpr1
.LBB295_1480:
	s_andn2_saveexec_b64 s[50:51], s[50:51]
	s_cbranch_execz .LBB295_1488
; %bb.1481:
	flat_load_dword v0, v[0:1]
	s_mov_b32 s6, 0x43800000
	s_waitcnt vmcnt(0) lgkmcnt(0)
	v_mov_b32_e32 v6, 0x80
	v_cvt_f32_i32_e32 v0, v0
	v_and_b32_e32 v1, 0x7fffffff, v0
	v_cmp_gt_u32_e64 s[6:7], s6, v1
	s_and_saveexec_b64 s[52:53], s[6:7]
	s_cbranch_execz .LBB295_1487
; %bb.1482:
	s_mov_b32 s6, 0x3bffffff
	v_cmp_lt_u32_e64 s[6:7], s6, v1
	s_mov_b64 s[54:55], 0
                                        ; implicit-def: $vgpr1
	s_and_saveexec_b64 s[56:57], s[6:7]
	s_xor_b64 s[6:7], exec, s[56:57]
	s_cbranch_execz .LBB295_2788
; %bb.1483:
	v_bfe_u32 v1, v0, 20, 1
	s_mov_b32 s33, 0x487ffff
	v_add3_u32 v1, v0, v1, s33
	s_mov_b64 s[54:55], exec
	v_lshrrev_b32_e32 v1, 20, v1
	s_andn2_saveexec_b64 s[56:57], s[6:7]
	s_cbranch_execnz .LBB295_2789
.LBB295_1484:
	s_or_b64 exec, exec, s[56:57]
	v_mov_b32_e32 v6, 0
	s_and_saveexec_b64 s[6:7], s[54:55]
.LBB295_1485:
	v_lshrrev_b32_e32 v0, 24, v0
	s_movk_i32 s33, 0x80
	v_and_or_b32 v6, v0, s33, v1
.LBB295_1486:
	s_or_b64 exec, exec, s[6:7]
.LBB295_1487:
	s_or_b64 exec, exec, s[52:53]
.LBB295_1488:
	s_or_b64 exec, exec, s[50:51]
                                        ; implicit-def: $vgpr0_vgpr1
.LBB295_1489:
	s_andn2_saveexec_b64 s[48:49], s[48:49]
	s_cbranch_execz .LBB295_1497
; %bb.1490:
	flat_load_sshort v0, v[0:1]
	s_mov_b32 s6, 0x43800000
	s_waitcnt vmcnt(0) lgkmcnt(0)
	v_mov_b32_e32 v6, 0x80
	v_cvt_f32_i32_e32 v0, v0
	v_and_b32_e32 v1, 0x7fffffff, v0
	v_cmp_gt_u32_e64 s[6:7], s6, v1
	s_and_saveexec_b64 s[50:51], s[6:7]
	s_cbranch_execz .LBB295_1496
; %bb.1491:
	s_mov_b32 s6, 0x3bffffff
	v_cmp_lt_u32_e64 s[6:7], s6, v1
	s_mov_b64 s[52:53], 0
                                        ; implicit-def: $vgpr1
	s_and_saveexec_b64 s[54:55], s[6:7]
	s_xor_b64 s[6:7], exec, s[54:55]
	s_cbranch_execz .LBB295_2709
; %bb.1492:
	v_bfe_u32 v1, v0, 20, 1
	s_mov_b32 s33, 0x487ffff
	v_add3_u32 v1, v0, v1, s33
	s_mov_b64 s[52:53], exec
	v_lshrrev_b32_e32 v1, 20, v1
	s_andn2_saveexec_b64 s[54:55], s[6:7]
	s_cbranch_execnz .LBB295_2710
.LBB295_1493:
	s_or_b64 exec, exec, s[54:55]
	v_mov_b32_e32 v6, 0
	s_and_saveexec_b64 s[6:7], s[52:53]
.LBB295_1494:
	v_lshrrev_b32_e32 v0, 24, v0
	s_movk_i32 s33, 0x80
	v_and_or_b32 v6, v0, s33, v1
.LBB295_1495:
	s_or_b64 exec, exec, s[6:7]
.LBB295_1496:
	s_or_b64 exec, exec, s[50:51]
.LBB295_1497:
	s_or_b64 exec, exec, s[48:49]
                                        ; implicit-def: $vgpr5
                                        ; implicit-def: $vgpr0_vgpr1
.LBB295_1498:
	s_andn2_saveexec_b64 s[46:47], s[46:47]
	s_cbranch_execz .LBB295_1516
; %bb.1499:
	v_cmp_lt_i16_e64 s[6:7], 0, v5
                                        ; implicit-def: $vgpr6
	s_and_saveexec_b64 s[48:49], s[6:7]
	s_xor_b64 s[48:49], exec, s[48:49]
	s_cbranch_execz .LBB295_1507
; %bb.1500:
	flat_load_sbyte v0, v[0:1]
	s_mov_b32 s6, 0x43800000
	s_waitcnt vmcnt(0) lgkmcnt(0)
	v_mov_b32_e32 v6, 0x80
	v_cvt_f32_i32_e32 v0, v0
	v_and_b32_e32 v1, 0x7fffffff, v0
	v_cmp_gt_u32_e64 s[6:7], s6, v1
	s_and_saveexec_b64 s[50:51], s[6:7]
	s_cbranch_execz .LBB295_1506
; %bb.1501:
	s_mov_b32 s6, 0x3bffffff
	v_cmp_lt_u32_e64 s[6:7], s6, v1
	s_mov_b64 s[52:53], 0
                                        ; implicit-def: $vgpr1
	s_and_saveexec_b64 s[54:55], s[6:7]
	s_xor_b64 s[6:7], exec, s[54:55]
	s_cbranch_execz .LBB295_2711
; %bb.1502:
	v_bfe_u32 v1, v0, 20, 1
	s_mov_b32 s33, 0x487ffff
	v_add3_u32 v1, v0, v1, s33
	s_mov_b64 s[52:53], exec
	v_lshrrev_b32_e32 v1, 20, v1
	s_andn2_saveexec_b64 s[54:55], s[6:7]
	s_cbranch_execnz .LBB295_2712
.LBB295_1503:
	s_or_b64 exec, exec, s[54:55]
	v_mov_b32_e32 v6, 0
	s_and_saveexec_b64 s[6:7], s[52:53]
.LBB295_1504:
	v_lshrrev_b32_e32 v0, 24, v0
	s_movk_i32 s33, 0x80
	v_and_or_b32 v6, v0, s33, v1
.LBB295_1505:
	s_or_b64 exec, exec, s[6:7]
.LBB295_1506:
	s_or_b64 exec, exec, s[50:51]
                                        ; implicit-def: $vgpr0_vgpr1
.LBB295_1507:
	s_andn2_saveexec_b64 s[48:49], s[48:49]
	s_cbranch_execz .LBB295_1515
; %bb.1508:
	flat_load_ubyte v0, v[0:1]
	s_mov_b32 s6, 0x43800000
	s_waitcnt vmcnt(0) lgkmcnt(0)
	v_mov_b32_e32 v6, 0x80
	v_cvt_f32_ubyte0_e32 v1, v0
	v_cmp_gt_u32_e64 s[6:7], s6, v1
	s_and_saveexec_b64 s[50:51], s[6:7]
	s_cbranch_execz .LBB295_1514
; %bb.1509:
	s_mov_b32 s6, 0x3bffffff
	v_cmp_lt_u32_e64 s[6:7], s6, v1
	s_mov_b64 s[52:53], 0
                                        ; implicit-def: $vgpr0
	s_and_saveexec_b64 s[54:55], s[6:7]
	s_xor_b64 s[6:7], exec, s[54:55]
	s_cbranch_execz .LBB295_2713
; %bb.1510:
	v_bfe_u32 v0, v1, 20, 1
	s_mov_b32 s33, 0x487ffff
	v_add3_u32 v0, v1, v0, s33
	s_mov_b64 s[52:53], exec
	v_lshrrev_b32_e32 v0, 20, v0
                                        ; implicit-def: $vgpr1
	s_andn2_saveexec_b64 s[54:55], s[6:7]
	s_cbranch_execnz .LBB295_2714
.LBB295_1511:
	s_or_b64 exec, exec, s[54:55]
	v_mov_b32_e32 v6, 0
	s_and_saveexec_b64 s[6:7], s[52:53]
.LBB295_1512:
	v_mov_b32_e32 v6, v0
.LBB295_1513:
	s_or_b64 exec, exec, s[6:7]
.LBB295_1514:
	s_or_b64 exec, exec, s[50:51]
.LBB295_1515:
	s_or_b64 exec, exec, s[48:49]
.LBB295_1516:
	s_or_b64 exec, exec, s[46:47]
.LBB295_1517:
	s_or_b64 exec, exec, s[42:43]
	s_or_b64 s[44:45], s[44:45], exec
.LBB295_1518:
	s_or_b64 exec, exec, s[40:41]
	s_mov_b64 s[46:47], 0
	s_mov_b64 s[48:49], 0
                                        ; implicit-def: $sgpr40_sgpr41
                                        ; implicit-def: $vgpr0_vgpr1
                                        ; implicit-def: $vgpr18
	s_and_saveexec_b64 s[42:43], s[44:45]
	s_cbranch_execz .LBB295_1842
; %bb.1519:
                                        ; implicit-def: $sgpr40_sgpr41
	s_and_saveexec_b64 s[6:7], s[4:5]
	s_xor_b64 s[6:7], exec, s[6:7]
	s_cbranch_execz .LBB295_1533
; %bb.1520:
	s_movk_i32 s4, 0x7f
	s_waitcnt vmcnt(0) lgkmcnt(0)
	v_cmp_gt_i16_sdwa s[40:41], v10, s4 src0_sel:BYTE_0 src1_sel:DWORD
	s_mov_b64 s[4:5], 0
	s_and_saveexec_b64 s[44:45], s[40:41]
	s_xor_b64 s[40:41], exec, s[44:45]
	s_cbranch_execz .LBB295_2440
; %bb.1521:
	s_movk_i32 s4, 0x80
	v_cmp_eq_u16_sdwa s[46:47], v10, s4 src0_sel:BYTE_0 src1_sel:DWORD
	s_mov_b64 s[4:5], -1
	s_and_saveexec_b64 s[44:45], s[46:47]
; %bb.1522:
	s_xor_b64 s[4:5], exec, -1
; %bb.1523:
	s_or_b64 exec, exec, s[44:45]
	s_and_b64 s[4:5], s[4:5], exec
	s_or_saveexec_b64 s[40:41], s[40:41]
	v_mov_b32_e32 v0, 0x7f800001
	s_xor_b64 exec, exec, s[40:41]
	s_cbranch_execnz .LBB295_2441
.LBB295_1524:
	s_or_b64 exec, exec, s[40:41]
	s_and_saveexec_b64 s[40:41], s[4:5]
	s_cbranch_execz .LBB295_1526
.LBB295_1525:
	v_and_b32_e32 v1, 7, v10
	v_ffbh_u32_e32 v5, v1
	v_min_u32_e32 v5, 32, v5
	v_lshrrev_b16_e32 v0, 3, v10
	v_subrev_u32_e32 v8, 28, v5
	v_and_b32_e32 v0, 15, v0
	v_lshlrev_b32_e32 v8, v8, v10
	v_sub_u32_e32 v5, 29, v5
	v_and_b32_e32 v8, 7, v8
	v_cmp_eq_u32_e64 s[4:5], 0, v0
	v_cndmask_b32_e64 v0, v0, v5, s[4:5]
	v_cndmask_b32_e64 v1, v1, v8, s[4:5]
	v_lshlrev_b32_e32 v5, 24, v10
	v_mov_b32_e32 v8, 0x3b800000
	v_lshlrev_b32_e32 v1, 20, v1
	v_and_b32_e32 v5, 0x80000000, v5
	v_lshl_add_u32 v0, v0, 23, v8
	v_or3_b32 v0, v5, v0, v1
.LBB295_1526:
	s_or_b64 exec, exec, s[40:41]
	s_movk_i32 s4, 0x7f
	v_cmp_gt_i16_sdwa s[40:41], v6, s4 src0_sel:BYTE_0 src1_sel:DWORD
	s_mov_b64 s[4:5], 0
	s_and_saveexec_b64 s[44:45], s[40:41]
	s_xor_b64 s[40:41], exec, s[44:45]
	s_cbranch_execz .LBB295_2442
; %bb.1527:
	s_movk_i32 s4, 0x80
	v_cmp_eq_u16_sdwa s[46:47], v6, s4 src0_sel:BYTE_0 src1_sel:DWORD
	s_mov_b64 s[4:5], -1
	s_and_saveexec_b64 s[44:45], s[46:47]
; %bb.1528:
	s_xor_b64 s[4:5], exec, -1
; %bb.1529:
	s_or_b64 exec, exec, s[44:45]
	s_and_b64 s[4:5], s[4:5], exec
	s_or_saveexec_b64 s[40:41], s[40:41]
	v_mov_b32_e32 v1, 0x7f800001
	s_xor_b64 exec, exec, s[40:41]
	s_cbranch_execnz .LBB295_2443
.LBB295_1530:
	s_or_b64 exec, exec, s[40:41]
	s_and_saveexec_b64 s[40:41], s[4:5]
	s_cbranch_execz .LBB295_1532
.LBB295_1531:
	v_and_b32_e32 v5, 7, v6
	v_ffbh_u32_e32 v8, v5
	v_min_u32_e32 v8, 32, v8
	v_lshrrev_b16_e32 v1, 3, v6
	v_subrev_u32_e32 v9, 28, v8
	v_and_b32_e32 v1, 15, v1
	v_lshlrev_b32_e32 v9, v9, v6
	v_sub_u32_e32 v8, 29, v8
	v_and_b32_e32 v9, 7, v9
	v_cmp_eq_u32_e64 s[4:5], 0, v1
	v_cndmask_b32_e64 v1, v1, v8, s[4:5]
	v_cndmask_b32_e64 v5, v5, v9, s[4:5]
	v_lshlrev_b32_e32 v6, 24, v6
	v_mov_b32_e32 v8, 0x3b800000
	v_lshlrev_b32_e32 v5, 20, v5
	v_and_b32_e32 v6, 0x80000000, v6
	v_lshl_add_u32 v1, v1, 23, v8
	v_or3_b32 v1, v6, v1, v5
.LBB295_1532:
	s_or_b64 exec, exec, s[40:41]
	v_cmp_neq_f32_e64 s[40:41], v0, v1
                                        ; implicit-def: $vgpr6
                                        ; implicit-def: $vgpr10
.LBB295_1533:
	s_andn2_saveexec_b64 s[6:7], s[6:7]
	s_cbranch_execz .LBB295_1547
; %bb.1534:
	s_movk_i32 s4, 0x7f
	s_waitcnt vmcnt(0) lgkmcnt(0)
	v_cmp_gt_i16_sdwa s[44:45], v10, s4 src0_sel:BYTE_0 src1_sel:DWORD
	s_mov_b64 s[4:5], 0
	s_and_saveexec_b64 s[46:47], s[44:45]
	s_xor_b64 s[44:45], exec, s[46:47]
	s_cbranch_execz .LBB295_2444
; %bb.1535:
	s_movk_i32 s4, 0x80
	v_cmp_eq_u16_sdwa s[48:49], v10, s4 src0_sel:BYTE_0 src1_sel:DWORD
	s_mov_b64 s[4:5], -1
	s_and_saveexec_b64 s[46:47], s[48:49]
; %bb.1536:
	s_xor_b64 s[4:5], exec, -1
; %bb.1537:
	s_or_b64 exec, exec, s[46:47]
	s_and_b64 s[4:5], s[4:5], exec
	s_or_saveexec_b64 s[44:45], s[44:45]
	v_mov_b32_e32 v0, 0x7f800001
	s_xor_b64 exec, exec, s[44:45]
	s_cbranch_execnz .LBB295_2445
.LBB295_1538:
	s_or_b64 exec, exec, s[44:45]
	s_and_saveexec_b64 s[44:45], s[4:5]
	s_cbranch_execz .LBB295_1540
.LBB295_1539:
	v_and_b32_e32 v1, 7, v10
	v_ffbh_u32_e32 v5, v1
	v_min_u32_e32 v5, 32, v5
	v_lshrrev_b16_e32 v0, 3, v10
	v_subrev_u32_e32 v8, 28, v5
	v_and_b32_e32 v0, 15, v0
	v_lshlrev_b32_e32 v8, v8, v10
	v_sub_u32_e32 v5, 29, v5
	v_and_b32_e32 v8, 7, v8
	v_cmp_eq_u32_e64 s[4:5], 0, v0
	v_cndmask_b32_e64 v0, v0, v5, s[4:5]
	v_cndmask_b32_e64 v1, v1, v8, s[4:5]
	v_lshlrev_b32_e32 v5, 24, v10
	v_mov_b32_e32 v8, 0x3b800000
	v_lshlrev_b32_e32 v1, 20, v1
	v_and_b32_e32 v5, 0x80000000, v5
	v_lshl_add_u32 v0, v0, 23, v8
	v_or3_b32 v0, v5, v0, v1
.LBB295_1540:
	s_or_b64 exec, exec, s[44:45]
	s_movk_i32 s4, 0x7f
	v_cmp_gt_i16_sdwa s[44:45], v6, s4 src0_sel:BYTE_0 src1_sel:DWORD
	s_mov_b64 s[4:5], 0
	s_and_saveexec_b64 s[46:47], s[44:45]
	s_xor_b64 s[44:45], exec, s[46:47]
	s_cbranch_execz .LBB295_2446
; %bb.1541:
	s_movk_i32 s4, 0x80
	v_cmp_eq_u16_sdwa s[48:49], v6, s4 src0_sel:BYTE_0 src1_sel:DWORD
	s_mov_b64 s[4:5], -1
	s_and_saveexec_b64 s[46:47], s[48:49]
; %bb.1542:
	s_xor_b64 s[4:5], exec, -1
; %bb.1543:
	s_or_b64 exec, exec, s[46:47]
	s_and_b64 s[4:5], s[4:5], exec
	s_or_saveexec_b64 s[44:45], s[44:45]
	v_mov_b32_e32 v1, 0x7f800001
	s_xor_b64 exec, exec, s[44:45]
	s_cbranch_execnz .LBB295_2447
.LBB295_1544:
	s_or_b64 exec, exec, s[44:45]
	s_and_saveexec_b64 s[44:45], s[4:5]
	s_cbranch_execz .LBB295_1546
.LBB295_1545:
	v_and_b32_e32 v5, 7, v6
	v_ffbh_u32_e32 v8, v5
	v_min_u32_e32 v8, 32, v8
	v_lshrrev_b16_e32 v1, 3, v6
	v_subrev_u32_e32 v9, 28, v8
	v_and_b32_e32 v1, 15, v1
	v_lshlrev_b32_e32 v9, v9, v6
	v_sub_u32_e32 v8, 29, v8
	v_and_b32_e32 v9, 7, v9
	v_cmp_eq_u32_e64 s[4:5], 0, v1
	v_cndmask_b32_e64 v1, v1, v8, s[4:5]
	v_cndmask_b32_e64 v5, v5, v9, s[4:5]
	v_lshlrev_b32_e32 v6, 24, v6
	v_mov_b32_e32 v8, 0x3b800000
	v_lshlrev_b32_e32 v5, 20, v5
	v_and_b32_e32 v6, 0x80000000, v6
	v_lshl_add_u32 v1, v1, 23, v8
	v_or3_b32 v1, v6, v1, v5
.LBB295_1546:
	s_or_b64 exec, exec, s[44:45]
	v_cmp_eq_f32_e64 s[4:5], v0, v1
	s_andn2_b64 s[40:41], s[40:41], exec
	s_and_b64 s[4:5], s[4:5], exec
	s_or_b64 s[40:41], s[40:41], s[4:5]
.LBB295_1547:
	s_or_b64 exec, exec, s[6:7]
	buffer_load_ubyte v18, off, s[0:3], 0 offset:40
	v_mul_lo_u32 v5, v4, v7
	s_mov_b64 s[46:47], 0
	s_mov_b64 s[6:7], s[38:39]
	v_ashrrev_i32_e32 v1, 31, v5
	v_add_co_u32_e64 v0, s[4:5], v2, v5
	v_addc_co_u32_e64 v1, s[4:5], v3, v1, s[4:5]
	s_waitcnt vmcnt(0)
	v_cmp_lt_i16_e64 s[4:5], 10, v18
	s_and_saveexec_b64 s[44:45], s[4:5]
	s_xor_b64 s[44:45], exec, s[44:45]
	s_cbranch_execz .LBB295_1588
; %bb.1548:
	v_cmp_lt_i16_e64 s[4:5], 25, v18
	s_mov_b64 s[50:51], 0
	s_mov_b64 s[6:7], 0
	s_and_saveexec_b64 s[48:49], s[4:5]
	s_xor_b64 s[48:49], exec, s[48:49]
	s_cbranch_execz .LBB295_2448
; %bb.1549:
	v_cmp_lt_i16_e64 s[4:5], 28, v18
	s_mov_b64 s[52:53], 0
	s_and_saveexec_b64 s[46:47], s[4:5]
	s_xor_b64 s[46:47], exec, s[46:47]
	s_cbranch_execz .LBB295_1567
; %bb.1550:
	v_cmp_lt_i16_e64 s[4:5], 43, v18
	;; [unrolled: 6-line block ×3, first 2 shown]
	s_mov_b64 s[54:55], 0
	s_and_saveexec_b64 s[6:7], s[4:5]
	s_xor_b64 s[6:7], exec, s[6:7]
	s_cbranch_execz .LBB295_1555
; %bb.1552:
	v_cmp_eq_u16_e64 s[4:5], 46, v18
	s_mov_b64 s[58:59], -1
	s_and_saveexec_b64 s[56:57], s[4:5]
	s_cbranch_execz .LBB295_1554
; %bb.1553:
	s_waitcnt lgkmcnt(0)
	v_cndmask_b32_e64 v6, 0, 1.0, vcc
	v_bfe_u32 v7, v6, 16, 1
	s_movk_i32 s4, 0x7fff
	v_add3_u32 v6, v6, v7, s4
	v_lshrrev_b32_e32 v6, 16, v6
	s_mov_b64 s[54:55], exec
	flat_store_dword v[0:1], v6
	s_xor_b64 s[58:59], exec, -1
.LBB295_1554:
	s_or_b64 exec, exec, s[56:57]
	s_and_b64 s[56:57], s[54:55], exec
	s_and_b64 s[54:55], s[58:59], exec
.LBB295_1555:
	s_andn2_saveexec_b64 s[58:59], s[6:7]
	s_cbranch_execz .LBB295_1561
; %bb.1556:
	v_cmp_eq_u16_e64 s[4:5], 44, v18
	s_mov_b64 s[6:7], -1
	s_mov_b64 s[62:63], s[56:57]
	s_and_saveexec_b64 s[60:61], s[4:5]
	s_cbranch_execz .LBB295_1560
; %bb.1557:
	v_cndmask_b32_e64 v7, 0, 1.0, vcc
	s_waitcnt lgkmcnt(0)
	v_lshrrev_b32_e32 v6, 23, v7
	s_movk_i32 s4, 0xff
	v_cmp_ne_u32_e64 s[4:5], s4, v6
	v_mov_b32_e32 v8, 0xff
	s_and_saveexec_b64 s[62:63], s[4:5]
; %bb.1558:
	s_mov_b32 s6, 0x3fffff
	v_and_b32_e32 v8, 0x400000, v7
	v_and_or_b32 v7, v7, s6, v6
	v_cmp_ne_u32_e64 s[4:5], 0, v8
	v_cmp_ne_u32_e64 s[6:7], 0, v7
	s_and_b64 s[4:5], s[4:5], s[6:7]
	v_cndmask_b32_e64 v7, 0, 1, s[4:5]
	v_add_u32_e32 v8, v6, v7
; %bb.1559:
	s_or_b64 exec, exec, s[62:63]
	s_or_b64 s[62:63], s[56:57], exec
	s_xor_b64 s[6:7], exec, -1
	flat_store_byte v[0:1], v8
.LBB295_1560:
	s_or_b64 exec, exec, s[60:61]
	s_andn2_b64 s[4:5], s[56:57], exec
	s_and_b64 s[56:57], s[62:63], exec
	s_or_b64 s[56:57], s[4:5], s[56:57]
	s_andn2_b64 s[4:5], s[54:55], exec
	s_and_b64 s[6:7], s[6:7], exec
	s_or_b64 s[54:55], s[4:5], s[6:7]
.LBB295_1561:
	s_or_b64 exec, exec, s[58:59]
	s_and_b64 s[56:57], s[56:57], exec
	s_and_b64 s[6:7], s[54:55], exec
.LBB295_1562:
	s_andn2_saveexec_b64 s[52:53], s[52:53]
	s_cbranch_execz .LBB295_1566
; %bb.1563:
	v_cmp_eq_u16_e64 s[4:5], 29, v18
	s_mov_b64 s[54:55], -1
	s_mov_b64 s[60:61], s[56:57]
	s_and_saveexec_b64 s[58:59], s[4:5]
	s_cbranch_execz .LBB295_1565
; %bb.1564:
	s_mov_b32 s4, 0
	s_waitcnt lgkmcnt(0)
	v_cndmask_b32_e64 v6, 0, 1, vcc
	v_mov_b32_e32 v7, s4
	flat_store_dwordx2 v[0:1], v[6:7]
	s_or_b64 s[60:61], s[56:57], exec
	s_xor_b64 s[54:55], exec, -1
.LBB295_1565:
	s_or_b64 exec, exec, s[58:59]
	s_andn2_b64 s[4:5], s[56:57], exec
	s_and_b64 s[56:57], s[60:61], exec
	s_or_b64 s[56:57], s[4:5], s[56:57]
	s_andn2_b64 s[4:5], s[6:7], exec
	s_and_b64 s[6:7], s[54:55], exec
	s_or_b64 s[6:7], s[4:5], s[6:7]
.LBB295_1566:
	s_or_b64 exec, exec, s[52:53]
	s_and_b64 s[52:53], s[56:57], exec
	s_and_b64 s[6:7], s[6:7], exec
.LBB295_1567:
	s_andn2_saveexec_b64 s[46:47], s[46:47]
	s_cbranch_execz .LBB295_1583
; %bb.1568:
	v_cmp_lt_i16_e64 s[4:5], 26, v18
	s_and_saveexec_b64 s[54:55], s[4:5]
	s_xor_b64 s[54:55], exec, s[54:55]
	s_cbranch_execz .LBB295_1574
; %bb.1569:
	v_cmp_lt_i16_e64 s[4:5], 27, v18
	s_and_saveexec_b64 s[56:57], s[4:5]
	s_xor_b64 s[4:5], exec, s[56:57]
	s_cbranch_execz .LBB295_1571
; %bb.1570:
	s_waitcnt lgkmcnt(0)
	v_cndmask_b32_e64 v6, 0, 1, vcc
	flat_store_dword v[0:1], v6
.LBB295_1571:
	s_andn2_saveexec_b64 s[4:5], s[4:5]
	s_cbranch_execz .LBB295_1573
; %bb.1572:
	s_waitcnt lgkmcnt(0)
	v_cndmask_b32_e64 v6, 0, 1, vcc
	flat_store_short v[0:1], v6
.LBB295_1573:
	s_or_b64 exec, exec, s[4:5]
.LBB295_1574:
	s_andn2_saveexec_b64 s[54:55], s[54:55]
	s_cbranch_execz .LBB295_1582
; %bb.1575:
	v_cndmask_b32_e64 v7, 0, 1.0, vcc
	s_mov_b32 s4, 0x43800000
	v_cmp_gt_u32_e64 s[4:5], s4, v7
	v_mov_b32_e32 v8, 0x80
	s_and_saveexec_b64 s[56:57], s[4:5]
	s_cbranch_execz .LBB295_1581
; %bb.1576:
	s_mov_b32 s4, 0x3bffffff
	v_cmp_lt_u32_e64 s[4:5], s4, v7
	s_mov_b64 s[58:59], 0
                                        ; implicit-def: $vgpr6
	s_and_saveexec_b64 s[60:61], s[4:5]
	s_xor_b64 s[4:5], exec, s[60:61]
	s_cbranch_execz .LBB295_2790
; %bb.1577:
	s_waitcnt lgkmcnt(0)
	v_bfe_u32 v6, v7, 20, 1
	s_mov_b32 s33, 0x487ffff
	v_add3_u32 v6, v7, v6, s33
	s_mov_b64 s[58:59], exec
	v_lshrrev_b32_e32 v6, 20, v6
                                        ; implicit-def: $vgpr7
	s_andn2_saveexec_b64 s[60:61], s[4:5]
	s_cbranch_execnz .LBB295_2791
.LBB295_1578:
	s_or_b64 exec, exec, s[60:61]
	v_mov_b32_e32 v8, 0
	s_and_saveexec_b64 s[4:5], s[58:59]
	s_cbranch_execz .LBB295_1580
.LBB295_1579:
	s_waitcnt lgkmcnt(0)
	v_mov_b32_e32 v8, v6
.LBB295_1580:
	s_or_b64 exec, exec, s[4:5]
.LBB295_1581:
	s_or_b64 exec, exec, s[56:57]
	flat_store_byte v[0:1], v8
.LBB295_1582:
	s_or_b64 exec, exec, s[54:55]
	s_or_b64 s[52:53], s[52:53], exec
.LBB295_1583:
	s_or_b64 exec, exec, s[46:47]
	s_and_b64 s[46:47], s[52:53], exec
	s_and_b64 s[6:7], s[6:7], exec
	s_andn2_saveexec_b64 s[48:49], s[48:49]
	s_cbranch_execnz .LBB295_2449
.LBB295_1584:
	s_or_b64 exec, exec, s[48:49]
	s_mov_b64 s[4:5], s[38:39]
	s_and_saveexec_b64 s[48:49], s[6:7]
	s_cbranch_execnz .LBB295_2490
.LBB295_1585:
	s_or_b64 exec, exec, s[48:49]
	s_and_saveexec_b64 s[6:7], s[50:51]
	s_xor_b64 s[6:7], exec, s[6:7]
	s_cbranch_execz .LBB295_1587
.LBB295_1586:
	s_waitcnt lgkmcnt(0)
	v_cndmask_b32_e64 v6, 0, 1, vcc
	flat_store_byte v[0:1], v6
	s_or_b64 s[46:47], s[46:47], exec
.LBB295_1587:
	s_or_b64 exec, exec, s[6:7]
	s_andn2_b64 s[6:7], s[38:39], exec
	s_and_b64 s[4:5], s[4:5], exec
	s_or_b64 s[6:7], s[6:7], s[4:5]
	s_and_b64 s[46:47], s[46:47], exec
                                        ; implicit-def: $vgpr0_vgpr1
.LBB295_1588:
	s_andn2_saveexec_b64 s[44:45], s[44:45]
	s_cbranch_execz .LBB295_1630
; %bb.1589:
	v_cmp_lt_i16_e64 s[4:5], 4, v18
	s_and_saveexec_b64 s[48:49], s[4:5]
	s_xor_b64 s[48:49], exec, s[48:49]
	s_cbranch_execz .LBB295_1611
; %bb.1590:
	v_cmp_lt_i16_e64 s[4:5], 7, v18
	s_and_saveexec_b64 s[50:51], s[4:5]
	s_xor_b64 s[50:51], exec, s[50:51]
	;; [unrolled: 5-line block ×4, first 2 shown]
	s_cbranch_execz .LBB295_1594
; %bb.1593:
	s_waitcnt lgkmcnt(0)
	v_cndmask_b32_e64 v6, 0, 1, vcc
	v_cvt_f64_u32_e32 v[6:7], v6
	v_mov_b32_e32 v8, 0
	v_mov_b32_e32 v9, v8
	flat_store_dwordx4 v[0:1], v[6:9]
                                        ; implicit-def: $vgpr0_vgpr1
.LBB295_1594:
	s_andn2_saveexec_b64 s[4:5], s[4:5]
	s_cbranch_execz .LBB295_1596
; %bb.1595:
	s_waitcnt lgkmcnt(0)
	v_cndmask_b32_e64 v6, 0, 1.0, vcc
	v_mov_b32_e32 v7, 0
	flat_store_dwordx2 v[0:1], v[6:7]
.LBB295_1596:
	s_or_b64 exec, exec, s[4:5]
                                        ; implicit-def: $vgpr0_vgpr1
.LBB295_1597:
	s_andn2_saveexec_b64 s[4:5], s[52:53]
	s_cbranch_execz .LBB295_1599
; %bb.1598:
	s_waitcnt lgkmcnt(0)
	v_cndmask_b32_e64 v6, 0, 1.0, vcc
	v_cvt_f16_f32_e32 v6, v6
	flat_store_dword v[0:1], v6
.LBB295_1599:
	s_or_b64 exec, exec, s[4:5]
                                        ; implicit-def: $vgpr0_vgpr1
.LBB295_1600:
	s_andn2_saveexec_b64 s[50:51], s[50:51]
	s_cbranch_execz .LBB295_1610
; %bb.1601:
	v_cmp_lt_i16_e64 s[4:5], 5, v18
	s_and_saveexec_b64 s[52:53], s[4:5]
	s_xor_b64 s[52:53], exec, s[52:53]
	s_cbranch_execz .LBB295_1607
; %bb.1602:
	v_cmp_lt_i16_e64 s[4:5], 6, v18
	s_and_saveexec_b64 s[54:55], s[4:5]
	s_xor_b64 s[4:5], exec, s[54:55]
	s_cbranch_execz .LBB295_1604
; %bb.1603:
	s_waitcnt lgkmcnt(0)
	v_cndmask_b32_e64 v6, 0, 1, vcc
	v_cvt_f64_u32_e32 v[6:7], v6
	flat_store_dwordx2 v[0:1], v[6:7]
                                        ; implicit-def: $vgpr0_vgpr1
.LBB295_1604:
	s_andn2_saveexec_b64 s[4:5], s[4:5]
	s_cbranch_execz .LBB295_1606
; %bb.1605:
	s_waitcnt lgkmcnt(0)
	v_cndmask_b32_e64 v6, 0, 1.0, vcc
	flat_store_dword v[0:1], v6
.LBB295_1606:
	s_or_b64 exec, exec, s[4:5]
                                        ; implicit-def: $vgpr0_vgpr1
.LBB295_1607:
	s_andn2_saveexec_b64 s[4:5], s[52:53]
	s_cbranch_execz .LBB295_1609
; %bb.1608:
	s_waitcnt lgkmcnt(0)
	v_cndmask_b32_e64 v6, 0, 1.0, vcc
	v_cvt_f16_f32_e32 v6, v6
	flat_store_short v[0:1], v6
.LBB295_1609:
	s_or_b64 exec, exec, s[4:5]
.LBB295_1610:
	s_or_b64 exec, exec, s[50:51]
                                        ; implicit-def: $vgpr0_vgpr1
.LBB295_1611:
	s_andn2_saveexec_b64 s[48:49], s[48:49]
	s_cbranch_execz .LBB295_1629
; %bb.1612:
	v_cmp_lt_i16_e64 s[4:5], 1, v18
	s_and_saveexec_b64 s[50:51], s[4:5]
	s_xor_b64 s[50:51], exec, s[50:51]
	s_cbranch_execz .LBB295_1622
; %bb.1613:
	v_cmp_lt_i16_e64 s[4:5], 2, v18
	s_and_saveexec_b64 s[52:53], s[4:5]
	s_xor_b64 s[52:53], exec, s[52:53]
	;; [unrolled: 5-line block ×3, first 2 shown]
	s_cbranch_execz .LBB295_1616
; %bb.1615:
	s_mov_b32 s33, 0
	s_waitcnt lgkmcnt(0)
	v_cndmask_b32_e64 v6, 0, 1, vcc
	v_mov_b32_e32 v7, s33
	flat_store_dwordx2 v[0:1], v[6:7]
                                        ; implicit-def: $vgpr0_vgpr1
.LBB295_1616:
	s_andn2_saveexec_b64 s[4:5], s[4:5]
	s_cbranch_execz .LBB295_1618
; %bb.1617:
	s_waitcnt lgkmcnt(0)
	v_cndmask_b32_e64 v6, 0, 1, vcc
	flat_store_dword v[0:1], v6
.LBB295_1618:
	s_or_b64 exec, exec, s[4:5]
                                        ; implicit-def: $vgpr0_vgpr1
.LBB295_1619:
	s_andn2_saveexec_b64 s[4:5], s[52:53]
	s_cbranch_execz .LBB295_1621
; %bb.1620:
	s_waitcnt lgkmcnt(0)
	v_cndmask_b32_e64 v6, 0, 1, vcc
	flat_store_short v[0:1], v6
.LBB295_1621:
	s_or_b64 exec, exec, s[4:5]
                                        ; implicit-def: $vgpr0_vgpr1
.LBB295_1622:
	s_andn2_saveexec_b64 s[50:51], s[50:51]
	s_cbranch_execz .LBB295_1628
; %bb.1623:
	v_cmp_lt_i16_e64 s[4:5], 0, v18
	s_waitcnt lgkmcnt(0)
	v_cndmask_b32_e64 v6, 0, 1, vcc
	s_and_saveexec_b64 s[52:53], s[4:5]
	s_xor_b64 s[4:5], exec, s[52:53]
	s_cbranch_execz .LBB295_1625
; %bb.1624:
	flat_store_byte v[0:1], v6
                                        ; implicit-def: $vgpr0_vgpr1
                                        ; implicit-def: $vgpr6
.LBB295_1625:
	s_andn2_saveexec_b64 s[4:5], s[4:5]
	s_cbranch_execz .LBB295_1627
; %bb.1626:
	flat_store_byte v[0:1], v6
.LBB295_1627:
	s_or_b64 exec, exec, s[4:5]
.LBB295_1628:
	s_or_b64 exec, exec, s[50:51]
.LBB295_1629:
	s_or_b64 exec, exec, s[48:49]
	s_or_b64 s[46:47], s[46:47], exec
.LBB295_1630:
	s_or_b64 exec, exec, s[44:45]
	s_mov_b64 s[4:5], 0
	s_mov_b64 s[48:49], 0
                                        ; implicit-def: $vgpr0_vgpr1
	s_and_saveexec_b64 s[44:45], s[46:47]
	s_cbranch_execz .LBB295_1841
; %bb.1631:
	v_lshlrev_b32_e32 v4, 7, v4
	v_add_u32_e32 v5, v5, v4
	v_ashrrev_i32_e32 v1, 31, v5
	v_add_co_u32_e32 v0, vcc, v2, v5
	v_addc_co_u32_e32 v1, vcc, v3, v1, vcc
	v_cmp_lt_i16_e32 vcc, 10, v18
	s_mov_b64 s[46:47], s[6:7]
	s_and_saveexec_b64 s[48:49], vcc
	s_xor_b64 s[48:49], exec, s[48:49]
	s_cbranch_execz .LBB295_1672
; %bb.1632:
	v_cmp_lt_i16_e32 vcc, 25, v18
	s_mov_b64 s[52:53], 0
	s_mov_b64 s[46:47], 0
	s_and_saveexec_b64 s[50:51], vcc
	s_xor_b64 s[50:51], exec, s[50:51]
	s_cbranch_execz .LBB295_2539
; %bb.1633:
	v_cmp_lt_i16_e32 vcc, 28, v18
	s_mov_b64 s[54:55], 0
	s_and_saveexec_b64 s[46:47], vcc
	s_xor_b64 s[46:47], exec, s[46:47]
	s_cbranch_execz .LBB295_1651
; %bb.1634:
	v_cmp_lt_i16_e32 vcc, 43, v18
	;; [unrolled: 6-line block ×3, first 2 shown]
	s_mov_b64 s[58:59], 0
	s_and_saveexec_b64 s[4:5], vcc
	s_xor_b64 s[4:5], exec, s[4:5]
	s_cbranch_execz .LBB295_1639
; %bb.1636:
	v_cmp_eq_u16_e32 vcc, 46, v18
	s_mov_b64 s[60:61], -1
	s_and_saveexec_b64 s[58:59], vcc
	s_cbranch_execz .LBB295_1638
; %bb.1637:
	s_waitcnt lgkmcnt(0)
	v_cndmask_b32_e64 v6, 0, 1.0, s[18:19]
	v_bfe_u32 v7, v6, 16, 1
	s_movk_i32 s33, 0x7fff
	v_add3_u32 v6, v6, v7, s33
	v_lshrrev_b32_e32 v6, 16, v6
	s_mov_b64 s[56:57], exec
	flat_store_dword v[0:1], v6
	s_xor_b64 s[60:61], exec, -1
.LBB295_1638:
	s_or_b64 exec, exec, s[58:59]
	s_and_b64 s[58:59], s[56:57], exec
	s_and_b64 s[56:57], s[60:61], exec
.LBB295_1639:
	s_andn2_saveexec_b64 s[60:61], s[4:5]
	s_cbranch_execz .LBB295_1645
; %bb.1640:
	v_cmp_eq_u16_e32 vcc, 44, v18
	s_mov_b64 s[4:5], -1
	s_mov_b64 s[64:65], s[58:59]
	s_and_saveexec_b64 s[62:63], vcc
	s_cbranch_execz .LBB295_1644
; %bb.1641:
	v_cndmask_b32_e64 v7, 0, 1.0, s[18:19]
	s_waitcnt lgkmcnt(0)
	v_lshrrev_b32_e32 v6, 23, v7
	s_movk_i32 s4, 0xff
	v_cmp_ne_u32_e32 vcc, s4, v6
	v_mov_b32_e32 v8, 0xff
	s_and_saveexec_b64 s[64:65], vcc
; %bb.1642:
	s_mov_b32 s4, 0x3fffff
	v_and_b32_e32 v8, 0x400000, v7
	v_and_or_b32 v7, v7, s4, v6
	v_cmp_ne_u32_e32 vcc, 0, v8
	v_cmp_ne_u32_e64 s[4:5], 0, v7
	s_and_b64 s[4:5], vcc, s[4:5]
	v_cndmask_b32_e64 v7, 0, 1, s[4:5]
	v_add_u32_e32 v8, v6, v7
; %bb.1643:
	s_or_b64 exec, exec, s[64:65]
	s_or_b64 s[64:65], s[58:59], exec
	s_xor_b64 s[4:5], exec, -1
	flat_store_byte v[0:1], v8
.LBB295_1644:
	s_or_b64 exec, exec, s[62:63]
	s_andn2_b64 s[58:59], s[58:59], exec
	s_and_b64 s[62:63], s[64:65], exec
	s_andn2_b64 s[56:57], s[56:57], exec
	s_and_b64 s[4:5], s[4:5], exec
	s_or_b64 s[58:59], s[58:59], s[62:63]
	s_or_b64 s[56:57], s[56:57], s[4:5]
.LBB295_1645:
	s_or_b64 exec, exec, s[60:61]
	s_and_b64 s[4:5], s[58:59], exec
	s_and_b64 s[56:57], s[56:57], exec
.LBB295_1646:
	s_andn2_saveexec_b64 s[54:55], s[54:55]
	s_cbranch_execz .LBB295_1650
; %bb.1647:
	v_cmp_eq_u16_e32 vcc, 29, v18
	s_mov_b64 s[58:59], -1
	s_mov_b64 s[62:63], s[4:5]
	s_and_saveexec_b64 s[60:61], vcc
	s_cbranch_execz .LBB295_1649
; %bb.1648:
	s_mov_b32 s33, 0
	s_waitcnt lgkmcnt(0)
	v_cndmask_b32_e64 v6, 0, 1, s[18:19]
	v_mov_b32_e32 v7, s33
	flat_store_dwordx2 v[0:1], v[6:7]
	s_or_b64 s[62:63], s[4:5], exec
	s_xor_b64 s[58:59], exec, -1
.LBB295_1649:
	s_or_b64 exec, exec, s[60:61]
	s_andn2_b64 s[4:5], s[4:5], exec
	s_and_b64 s[60:61], s[62:63], exec
	s_andn2_b64 s[56:57], s[56:57], exec
	s_and_b64 s[58:59], s[58:59], exec
	s_or_b64 s[4:5], s[4:5], s[60:61]
	s_or_b64 s[56:57], s[56:57], s[58:59]
.LBB295_1650:
	s_or_b64 exec, exec, s[54:55]
	s_and_b64 s[4:5], s[4:5], exec
	s_and_b64 s[54:55], s[56:57], exec
.LBB295_1651:
	s_andn2_saveexec_b64 s[46:47], s[46:47]
	s_cbranch_execz .LBB295_1667
; %bb.1652:
	v_cmp_lt_i16_e32 vcc, 26, v18
	s_and_saveexec_b64 s[56:57], vcc
	s_xor_b64 s[56:57], exec, s[56:57]
	s_cbranch_execz .LBB295_1658
; %bb.1653:
	v_cmp_lt_i16_e32 vcc, 27, v18
	s_and_saveexec_b64 s[58:59], vcc
	s_xor_b64 s[58:59], exec, s[58:59]
	s_cbranch_execz .LBB295_1655
; %bb.1654:
	s_waitcnt lgkmcnt(0)
	v_cndmask_b32_e64 v6, 0, 1, s[18:19]
	flat_store_dword v[0:1], v6
.LBB295_1655:
	s_andn2_saveexec_b64 s[58:59], s[58:59]
	s_cbranch_execz .LBB295_1657
; %bb.1656:
	s_waitcnt lgkmcnt(0)
	v_cndmask_b32_e64 v6, 0, 1, s[18:19]
	flat_store_short v[0:1], v6
.LBB295_1657:
	s_or_b64 exec, exec, s[58:59]
.LBB295_1658:
	s_andn2_saveexec_b64 s[56:57], s[56:57]
	s_cbranch_execz .LBB295_1666
; %bb.1659:
	v_cndmask_b32_e64 v7, 0, 1.0, s[18:19]
	s_mov_b32 s33, 0x43800000
	v_cmp_gt_u32_e32 vcc, s33, v7
	v_mov_b32_e32 v8, 0x80
	s_and_saveexec_b64 s[58:59], vcc
	s_cbranch_execz .LBB295_1665
; %bb.1660:
	s_mov_b32 s33, 0x3bffffff
	v_cmp_lt_u32_e32 vcc, s33, v7
	s_mov_b64 s[60:61], 0
                                        ; implicit-def: $vgpr6
	s_and_saveexec_b64 s[62:63], vcc
	s_xor_b64 s[62:63], exec, s[62:63]
	s_cbranch_execz .LBB295_2802
; %bb.1661:
	s_waitcnt lgkmcnt(0)
	v_bfe_u32 v6, v7, 20, 1
	s_mov_b32 s33, 0x487ffff
	v_add3_u32 v6, v7, v6, s33
	s_mov_b64 s[60:61], exec
	v_lshrrev_b32_e32 v6, 20, v6
                                        ; implicit-def: $vgpr7
	s_andn2_saveexec_b64 s[62:63], s[62:63]
	s_cbranch_execnz .LBB295_2803
.LBB295_1662:
	s_or_b64 exec, exec, s[62:63]
	v_mov_b32_e32 v8, 0
	s_and_saveexec_b64 s[62:63], s[60:61]
	s_cbranch_execz .LBB295_1664
.LBB295_1663:
	s_waitcnt lgkmcnt(0)
	v_mov_b32_e32 v8, v6
.LBB295_1664:
	s_or_b64 exec, exec, s[62:63]
.LBB295_1665:
	s_or_b64 exec, exec, s[58:59]
	flat_store_byte v[0:1], v8
.LBB295_1666:
	s_or_b64 exec, exec, s[56:57]
	s_or_b64 s[4:5], s[4:5], exec
.LBB295_1667:
	s_or_b64 exec, exec, s[46:47]
	s_and_b64 s[4:5], s[4:5], exec
	s_and_b64 s[46:47], s[54:55], exec
	s_andn2_saveexec_b64 s[50:51], s[50:51]
	s_cbranch_execnz .LBB295_2540
.LBB295_1668:
	s_or_b64 exec, exec, s[50:51]
	s_mov_b64 s[50:51], s[6:7]
	s_and_saveexec_b64 s[54:55], s[46:47]
	s_cbranch_execnz .LBB295_2581
.LBB295_1669:
	s_or_b64 exec, exec, s[54:55]
	s_and_saveexec_b64 s[46:47], s[52:53]
	s_xor_b64 s[46:47], exec, s[46:47]
	s_cbranch_execz .LBB295_1671
.LBB295_1670:
	s_waitcnt lgkmcnt(0)
	v_cndmask_b32_e64 v6, 0, 1, s[18:19]
	flat_store_byte v[0:1], v6
	s_or_b64 s[4:5], s[4:5], exec
.LBB295_1671:
	s_or_b64 exec, exec, s[46:47]
	s_andn2_b64 s[46:47], s[6:7], exec
	s_and_b64 s[50:51], s[50:51], exec
	s_or_b64 s[46:47], s[46:47], s[50:51]
	s_and_b64 s[4:5], s[4:5], exec
                                        ; implicit-def: $vgpr0_vgpr1
.LBB295_1672:
	s_andn2_saveexec_b64 s[48:49], s[48:49]
	s_cbranch_execz .LBB295_1714
; %bb.1673:
	v_cmp_lt_i16_e32 vcc, 4, v18
	s_and_saveexec_b64 s[50:51], vcc
	s_xor_b64 s[50:51], exec, s[50:51]
	s_cbranch_execz .LBB295_1695
; %bb.1674:
	v_cmp_lt_i16_e32 vcc, 7, v18
	s_and_saveexec_b64 s[52:53], vcc
	s_xor_b64 s[52:53], exec, s[52:53]
	;; [unrolled: 5-line block ×4, first 2 shown]
	s_cbranch_execz .LBB295_1678
; %bb.1677:
	s_waitcnt lgkmcnt(0)
	v_cndmask_b32_e64 v6, 0, 1, s[18:19]
	v_cvt_f64_u32_e32 v[6:7], v6
	v_mov_b32_e32 v8, 0
	v_mov_b32_e32 v9, v8
	flat_store_dwordx4 v[0:1], v[6:9]
                                        ; implicit-def: $vgpr0_vgpr1
.LBB295_1678:
	s_andn2_saveexec_b64 s[56:57], s[56:57]
	s_cbranch_execz .LBB295_1680
; %bb.1679:
	s_waitcnt lgkmcnt(0)
	v_cndmask_b32_e64 v6, 0, 1.0, s[18:19]
	v_mov_b32_e32 v7, 0
	flat_store_dwordx2 v[0:1], v[6:7]
.LBB295_1680:
	s_or_b64 exec, exec, s[56:57]
                                        ; implicit-def: $vgpr0_vgpr1
.LBB295_1681:
	s_andn2_saveexec_b64 s[54:55], s[54:55]
	s_cbranch_execz .LBB295_1683
; %bb.1682:
	s_waitcnt lgkmcnt(0)
	v_cndmask_b32_e64 v6, 0, 1.0, s[18:19]
	v_cvt_f16_f32_e32 v6, v6
	flat_store_dword v[0:1], v6
.LBB295_1683:
	s_or_b64 exec, exec, s[54:55]
                                        ; implicit-def: $vgpr0_vgpr1
.LBB295_1684:
	s_andn2_saveexec_b64 s[52:53], s[52:53]
	s_cbranch_execz .LBB295_1694
; %bb.1685:
	v_cmp_lt_i16_e32 vcc, 5, v18
	s_and_saveexec_b64 s[54:55], vcc
	s_xor_b64 s[54:55], exec, s[54:55]
	s_cbranch_execz .LBB295_1691
; %bb.1686:
	v_cmp_lt_i16_e32 vcc, 6, v18
	s_and_saveexec_b64 s[56:57], vcc
	s_xor_b64 s[56:57], exec, s[56:57]
	s_cbranch_execz .LBB295_1688
; %bb.1687:
	s_waitcnt lgkmcnt(0)
	v_cndmask_b32_e64 v6, 0, 1, s[18:19]
	v_cvt_f64_u32_e32 v[6:7], v6
	flat_store_dwordx2 v[0:1], v[6:7]
                                        ; implicit-def: $vgpr0_vgpr1
.LBB295_1688:
	s_andn2_saveexec_b64 s[56:57], s[56:57]
	s_cbranch_execz .LBB295_1690
; %bb.1689:
	s_waitcnt lgkmcnt(0)
	v_cndmask_b32_e64 v6, 0, 1.0, s[18:19]
	flat_store_dword v[0:1], v6
.LBB295_1690:
	s_or_b64 exec, exec, s[56:57]
                                        ; implicit-def: $vgpr0_vgpr1
.LBB295_1691:
	s_andn2_saveexec_b64 s[54:55], s[54:55]
	s_cbranch_execz .LBB295_1693
; %bb.1692:
	s_waitcnt lgkmcnt(0)
	v_cndmask_b32_e64 v6, 0, 1.0, s[18:19]
	v_cvt_f16_f32_e32 v6, v6
	flat_store_short v[0:1], v6
.LBB295_1693:
	s_or_b64 exec, exec, s[54:55]
.LBB295_1694:
	s_or_b64 exec, exec, s[52:53]
                                        ; implicit-def: $vgpr0_vgpr1
.LBB295_1695:
	s_andn2_saveexec_b64 s[50:51], s[50:51]
	s_cbranch_execz .LBB295_1713
; %bb.1696:
	v_cmp_lt_i16_e32 vcc, 1, v18
	s_and_saveexec_b64 s[52:53], vcc
	s_xor_b64 s[52:53], exec, s[52:53]
	s_cbranch_execz .LBB295_1706
; %bb.1697:
	v_cmp_lt_i16_e32 vcc, 2, v18
	s_and_saveexec_b64 s[54:55], vcc
	s_xor_b64 s[54:55], exec, s[54:55]
	;; [unrolled: 5-line block ×3, first 2 shown]
	s_cbranch_execz .LBB295_1700
; %bb.1699:
	s_mov_b32 s33, 0
	s_waitcnt lgkmcnt(0)
	v_cndmask_b32_e64 v6, 0, 1, s[18:19]
	v_mov_b32_e32 v7, s33
	flat_store_dwordx2 v[0:1], v[6:7]
                                        ; implicit-def: $vgpr0_vgpr1
.LBB295_1700:
	s_andn2_saveexec_b64 s[56:57], s[56:57]
	s_cbranch_execz .LBB295_1702
; %bb.1701:
	s_waitcnt lgkmcnt(0)
	v_cndmask_b32_e64 v6, 0, 1, s[18:19]
	flat_store_dword v[0:1], v6
.LBB295_1702:
	s_or_b64 exec, exec, s[56:57]
                                        ; implicit-def: $vgpr0_vgpr1
.LBB295_1703:
	s_andn2_saveexec_b64 s[54:55], s[54:55]
	s_cbranch_execz .LBB295_1705
; %bb.1704:
	s_waitcnt lgkmcnt(0)
	v_cndmask_b32_e64 v6, 0, 1, s[18:19]
	flat_store_short v[0:1], v6
.LBB295_1705:
	s_or_b64 exec, exec, s[54:55]
                                        ; implicit-def: $vgpr0_vgpr1
.LBB295_1706:
	s_andn2_saveexec_b64 s[52:53], s[52:53]
	s_cbranch_execz .LBB295_1712
; %bb.1707:
	v_cmp_lt_i16_e32 vcc, 0, v18
	s_waitcnt lgkmcnt(0)
	v_cndmask_b32_e64 v6, 0, 1, s[18:19]
	s_and_saveexec_b64 s[18:19], vcc
	s_xor_b64 s[18:19], exec, s[18:19]
	s_cbranch_execz .LBB295_1709
; %bb.1708:
	flat_store_byte v[0:1], v6
                                        ; implicit-def: $vgpr0_vgpr1
                                        ; implicit-def: $vgpr6
.LBB295_1709:
	s_andn2_saveexec_b64 s[18:19], s[18:19]
	s_cbranch_execz .LBB295_1711
; %bb.1710:
	flat_store_byte v[0:1], v6
.LBB295_1711:
	s_or_b64 exec, exec, s[18:19]
.LBB295_1712:
	s_or_b64 exec, exec, s[52:53]
.LBB295_1713:
	s_or_b64 exec, exec, s[50:51]
	s_or_b64 s[4:5], s[4:5], exec
.LBB295_1714:
	s_or_b64 exec, exec, s[48:49]
	s_mov_b64 s[50:51], 0
	s_mov_b64 s[52:53], 0
                                        ; implicit-def: $vgpr0_vgpr1
	s_and_saveexec_b64 s[18:19], s[4:5]
	s_cbranch_execz .LBB295_1840
; %bb.1715:
	v_add_u32_e32 v5, v5, v4
	v_ashrrev_i32_e32 v1, 31, v5
	v_add_co_u32_e32 v0, vcc, v2, v5
	v_addc_co_u32_e32 v1, vcc, v3, v1, vcc
	v_cmp_lt_i16_e32 vcc, 10, v18
	s_mov_b64 s[4:5], 0
	s_mov_b64 s[48:49], s[46:47]
	s_and_saveexec_b64 s[50:51], vcc
	s_xor_b64 s[50:51], exec, s[50:51]
	s_cbranch_execz .LBB295_1756
; %bb.1716:
	v_cmp_lt_i16_e32 vcc, 25, v18
	s_mov_b64 s[54:55], 0
	s_mov_b64 s[48:49], 0
	s_and_saveexec_b64 s[52:53], vcc
	s_xor_b64 s[52:53], exec, s[52:53]
	s_cbranch_execz .LBB295_2628
; %bb.1717:
	v_cmp_lt_i16_e32 vcc, 28, v18
	s_mov_b64 s[56:57], 0
	s_and_saveexec_b64 s[48:49], vcc
	s_xor_b64 s[48:49], exec, s[48:49]
	s_cbranch_execz .LBB295_1735
; %bb.1718:
	v_cmp_lt_i16_e32 vcc, 43, v18
	s_mov_b64 s[58:59], 0
	s_and_saveexec_b64 s[56:57], vcc
	s_xor_b64 s[56:57], exec, s[56:57]
	s_cbranch_execz .LBB295_1730
; %bb.1719:
	v_cmp_lt_i16_e32 vcc, 45, v18
	s_mov_b64 s[60:61], 0
	s_and_saveexec_b64 s[4:5], vcc
	s_xor_b64 s[4:5], exec, s[4:5]
	s_cbranch_execz .LBB295_1723
; %bb.1720:
	v_cmp_eq_u16_e32 vcc, 46, v18
	s_mov_b64 s[62:63], -1
	s_and_saveexec_b64 s[60:61], vcc
	s_cbranch_execz .LBB295_1722
; %bb.1721:
	s_waitcnt lgkmcnt(0)
	v_cndmask_b32_e64 v6, 0, 1.0, s[26:27]
	v_bfe_u32 v7, v6, 16, 1
	s_movk_i32 s33, 0x7fff
	v_add3_u32 v6, v6, v7, s33
	v_lshrrev_b32_e32 v6, 16, v6
	s_mov_b64 s[58:59], exec
	flat_store_dword v[0:1], v6
	s_xor_b64 s[62:63], exec, -1
.LBB295_1722:
	s_or_b64 exec, exec, s[60:61]
	s_and_b64 s[60:61], s[58:59], exec
	s_and_b64 s[58:59], s[62:63], exec
.LBB295_1723:
	s_andn2_saveexec_b64 s[62:63], s[4:5]
	s_cbranch_execz .LBB295_1729
; %bb.1724:
	v_cmp_eq_u16_e32 vcc, 44, v18
	s_mov_b64 s[4:5], -1
	s_mov_b64 s[66:67], s[60:61]
	s_and_saveexec_b64 s[64:65], vcc
	s_cbranch_execz .LBB295_1728
; %bb.1725:
	v_cndmask_b32_e64 v7, 0, 1.0, s[26:27]
	s_waitcnt lgkmcnt(0)
	v_lshrrev_b32_e32 v6, 23, v7
	s_movk_i32 s4, 0xff
	v_cmp_ne_u32_e32 vcc, s4, v6
	v_mov_b32_e32 v8, 0xff
	s_and_saveexec_b64 s[66:67], vcc
; %bb.1726:
	s_mov_b32 s4, 0x3fffff
	v_and_b32_e32 v8, 0x400000, v7
	v_and_or_b32 v7, v7, s4, v6
	v_cmp_ne_u32_e32 vcc, 0, v8
	v_cmp_ne_u32_e64 s[4:5], 0, v7
	s_and_b64 s[4:5], vcc, s[4:5]
	v_cndmask_b32_e64 v7, 0, 1, s[4:5]
	v_add_u32_e32 v8, v6, v7
; %bb.1727:
	s_or_b64 exec, exec, s[66:67]
	s_or_b64 s[66:67], s[60:61], exec
	s_xor_b64 s[4:5], exec, -1
	flat_store_byte v[0:1], v8
.LBB295_1728:
	s_or_b64 exec, exec, s[64:65]
	s_andn2_b64 s[60:61], s[60:61], exec
	s_and_b64 s[64:65], s[66:67], exec
	s_andn2_b64 s[58:59], s[58:59], exec
	s_and_b64 s[4:5], s[4:5], exec
	s_or_b64 s[60:61], s[60:61], s[64:65]
	s_or_b64 s[58:59], s[58:59], s[4:5]
.LBB295_1729:
	s_or_b64 exec, exec, s[62:63]
	s_and_b64 s[4:5], s[60:61], exec
	s_and_b64 s[58:59], s[58:59], exec
.LBB295_1730:
	s_andn2_saveexec_b64 s[56:57], s[56:57]
	s_cbranch_execz .LBB295_1734
; %bb.1731:
	v_cmp_eq_u16_e32 vcc, 29, v18
	s_mov_b64 s[60:61], -1
	s_mov_b64 s[64:65], s[4:5]
	s_and_saveexec_b64 s[62:63], vcc
	s_cbranch_execz .LBB295_1733
; %bb.1732:
	s_mov_b32 s33, 0
	s_waitcnt lgkmcnt(0)
	v_cndmask_b32_e64 v6, 0, 1, s[26:27]
	v_mov_b32_e32 v7, s33
	flat_store_dwordx2 v[0:1], v[6:7]
	s_or_b64 s[64:65], s[4:5], exec
	s_xor_b64 s[60:61], exec, -1
.LBB295_1733:
	s_or_b64 exec, exec, s[62:63]
	s_andn2_b64 s[4:5], s[4:5], exec
	s_and_b64 s[62:63], s[64:65], exec
	s_andn2_b64 s[58:59], s[58:59], exec
	s_and_b64 s[60:61], s[60:61], exec
	s_or_b64 s[4:5], s[4:5], s[62:63]
	s_or_b64 s[58:59], s[58:59], s[60:61]
.LBB295_1734:
	s_or_b64 exec, exec, s[56:57]
	s_and_b64 s[4:5], s[4:5], exec
	s_and_b64 s[56:57], s[58:59], exec
.LBB295_1735:
	s_andn2_saveexec_b64 s[48:49], s[48:49]
	s_cbranch_execz .LBB295_1751
; %bb.1736:
	v_cmp_lt_i16_e32 vcc, 26, v18
	s_and_saveexec_b64 s[58:59], vcc
	s_xor_b64 s[58:59], exec, s[58:59]
	s_cbranch_execz .LBB295_1742
; %bb.1737:
	v_cmp_lt_i16_e32 vcc, 27, v18
	s_and_saveexec_b64 s[60:61], vcc
	s_xor_b64 s[60:61], exec, s[60:61]
	s_cbranch_execz .LBB295_1739
; %bb.1738:
	s_waitcnt lgkmcnt(0)
	v_cndmask_b32_e64 v6, 0, 1, s[26:27]
	flat_store_dword v[0:1], v6
.LBB295_1739:
	s_andn2_saveexec_b64 s[60:61], s[60:61]
	s_cbranch_execz .LBB295_1741
; %bb.1740:
	s_waitcnt lgkmcnt(0)
	v_cndmask_b32_e64 v6, 0, 1, s[26:27]
	flat_store_short v[0:1], v6
.LBB295_1741:
	s_or_b64 exec, exec, s[60:61]
.LBB295_1742:
	s_andn2_saveexec_b64 s[58:59], s[58:59]
	s_cbranch_execz .LBB295_1750
; %bb.1743:
	v_cndmask_b32_e64 v7, 0, 1.0, s[26:27]
	s_mov_b32 s33, 0x43800000
	v_cmp_gt_u32_e32 vcc, s33, v7
	v_mov_b32_e32 v8, 0x80
	s_and_saveexec_b64 s[60:61], vcc
	s_cbranch_execz .LBB295_1749
; %bb.1744:
	s_mov_b32 s33, 0x3bffffff
	v_cmp_lt_u32_e32 vcc, s33, v7
	s_mov_b64 s[62:63], 0
                                        ; implicit-def: $vgpr6
	s_and_saveexec_b64 s[64:65], vcc
	s_xor_b64 s[64:65], exec, s[64:65]
	s_cbranch_execz .LBB295_2806
; %bb.1745:
	s_waitcnt lgkmcnt(0)
	v_bfe_u32 v6, v7, 20, 1
	s_mov_b32 s33, 0x487ffff
	v_add3_u32 v6, v7, v6, s33
	s_mov_b64 s[62:63], exec
	v_lshrrev_b32_e32 v6, 20, v6
                                        ; implicit-def: $vgpr7
	s_andn2_saveexec_b64 s[64:65], s[64:65]
	s_cbranch_execnz .LBB295_2807
.LBB295_1746:
	s_or_b64 exec, exec, s[64:65]
	v_mov_b32_e32 v8, 0
	s_and_saveexec_b64 s[64:65], s[62:63]
	s_cbranch_execz .LBB295_1748
.LBB295_1747:
	s_waitcnt lgkmcnt(0)
	v_mov_b32_e32 v8, v6
.LBB295_1748:
	s_or_b64 exec, exec, s[64:65]
.LBB295_1749:
	s_or_b64 exec, exec, s[60:61]
	flat_store_byte v[0:1], v8
.LBB295_1750:
	s_or_b64 exec, exec, s[58:59]
	s_or_b64 s[4:5], s[4:5], exec
.LBB295_1751:
	s_or_b64 exec, exec, s[48:49]
	s_and_b64 s[4:5], s[4:5], exec
	s_and_b64 s[48:49], s[56:57], exec
	s_andn2_saveexec_b64 s[52:53], s[52:53]
	s_cbranch_execnz .LBB295_2629
.LBB295_1752:
	s_or_b64 exec, exec, s[52:53]
	s_mov_b64 s[52:53], s[46:47]
	s_and_saveexec_b64 s[56:57], s[48:49]
	s_cbranch_execnz .LBB295_2670
.LBB295_1753:
	s_or_b64 exec, exec, s[56:57]
	s_and_saveexec_b64 s[48:49], s[54:55]
	s_xor_b64 s[48:49], exec, s[48:49]
	s_cbranch_execz .LBB295_1755
.LBB295_1754:
	s_waitcnt lgkmcnt(0)
	v_cndmask_b32_e64 v6, 0, 1, s[26:27]
	flat_store_byte v[0:1], v6
	s_or_b64 s[4:5], s[4:5], exec
.LBB295_1755:
	s_or_b64 exec, exec, s[48:49]
	s_andn2_b64 s[48:49], s[46:47], exec
	s_and_b64 s[52:53], s[52:53], exec
	s_or_b64 s[48:49], s[48:49], s[52:53]
	s_and_b64 s[4:5], s[4:5], exec
                                        ; implicit-def: $vgpr0_vgpr1
.LBB295_1756:
	s_andn2_saveexec_b64 s[50:51], s[50:51]
	s_cbranch_execz .LBB295_1798
; %bb.1757:
	v_cmp_lt_i16_e32 vcc, 4, v18
	s_and_saveexec_b64 s[52:53], vcc
	s_xor_b64 s[52:53], exec, s[52:53]
	s_cbranch_execz .LBB295_1779
; %bb.1758:
	v_cmp_lt_i16_e32 vcc, 7, v18
	s_and_saveexec_b64 s[54:55], vcc
	s_xor_b64 s[54:55], exec, s[54:55]
	;; [unrolled: 5-line block ×4, first 2 shown]
	s_cbranch_execz .LBB295_1762
; %bb.1761:
	s_waitcnt lgkmcnt(0)
	v_cndmask_b32_e64 v6, 0, 1, s[26:27]
	v_cvt_f64_u32_e32 v[6:7], v6
	v_mov_b32_e32 v8, 0
	v_mov_b32_e32 v9, v8
	flat_store_dwordx4 v[0:1], v[6:9]
                                        ; implicit-def: $vgpr0_vgpr1
.LBB295_1762:
	s_andn2_saveexec_b64 s[58:59], s[58:59]
	s_cbranch_execz .LBB295_1764
; %bb.1763:
	s_waitcnt lgkmcnt(0)
	v_cndmask_b32_e64 v6, 0, 1.0, s[26:27]
	v_mov_b32_e32 v7, 0
	flat_store_dwordx2 v[0:1], v[6:7]
.LBB295_1764:
	s_or_b64 exec, exec, s[58:59]
                                        ; implicit-def: $vgpr0_vgpr1
.LBB295_1765:
	s_andn2_saveexec_b64 s[56:57], s[56:57]
	s_cbranch_execz .LBB295_1767
; %bb.1766:
	s_waitcnt lgkmcnt(0)
	v_cndmask_b32_e64 v6, 0, 1.0, s[26:27]
	v_cvt_f16_f32_e32 v6, v6
	flat_store_dword v[0:1], v6
.LBB295_1767:
	s_or_b64 exec, exec, s[56:57]
                                        ; implicit-def: $vgpr0_vgpr1
.LBB295_1768:
	s_andn2_saveexec_b64 s[54:55], s[54:55]
	s_cbranch_execz .LBB295_1778
; %bb.1769:
	v_cmp_lt_i16_e32 vcc, 5, v18
	s_and_saveexec_b64 s[56:57], vcc
	s_xor_b64 s[56:57], exec, s[56:57]
	s_cbranch_execz .LBB295_1775
; %bb.1770:
	v_cmp_lt_i16_e32 vcc, 6, v18
	s_and_saveexec_b64 s[58:59], vcc
	s_xor_b64 s[58:59], exec, s[58:59]
	s_cbranch_execz .LBB295_1772
; %bb.1771:
	s_waitcnt lgkmcnt(0)
	v_cndmask_b32_e64 v6, 0, 1, s[26:27]
	v_cvt_f64_u32_e32 v[6:7], v6
	flat_store_dwordx2 v[0:1], v[6:7]
                                        ; implicit-def: $vgpr0_vgpr1
.LBB295_1772:
	s_andn2_saveexec_b64 s[58:59], s[58:59]
	s_cbranch_execz .LBB295_1774
; %bb.1773:
	s_waitcnt lgkmcnt(0)
	v_cndmask_b32_e64 v6, 0, 1.0, s[26:27]
	flat_store_dword v[0:1], v6
.LBB295_1774:
	s_or_b64 exec, exec, s[58:59]
                                        ; implicit-def: $vgpr0_vgpr1
.LBB295_1775:
	s_andn2_saveexec_b64 s[56:57], s[56:57]
	s_cbranch_execz .LBB295_1777
; %bb.1776:
	s_waitcnt lgkmcnt(0)
	v_cndmask_b32_e64 v6, 0, 1.0, s[26:27]
	v_cvt_f16_f32_e32 v6, v6
	flat_store_short v[0:1], v6
.LBB295_1777:
	s_or_b64 exec, exec, s[56:57]
.LBB295_1778:
	s_or_b64 exec, exec, s[54:55]
                                        ; implicit-def: $vgpr0_vgpr1
.LBB295_1779:
	s_andn2_saveexec_b64 s[52:53], s[52:53]
	s_cbranch_execz .LBB295_1797
; %bb.1780:
	v_cmp_lt_i16_e32 vcc, 1, v18
	s_and_saveexec_b64 s[54:55], vcc
	s_xor_b64 s[54:55], exec, s[54:55]
	s_cbranch_execz .LBB295_1790
; %bb.1781:
	v_cmp_lt_i16_e32 vcc, 2, v18
	s_and_saveexec_b64 s[56:57], vcc
	s_xor_b64 s[56:57], exec, s[56:57]
	;; [unrolled: 5-line block ×3, first 2 shown]
	s_cbranch_execz .LBB295_1784
; %bb.1783:
	s_mov_b32 s33, 0
	s_waitcnt lgkmcnt(0)
	v_cndmask_b32_e64 v6, 0, 1, s[26:27]
	v_mov_b32_e32 v7, s33
	flat_store_dwordx2 v[0:1], v[6:7]
                                        ; implicit-def: $vgpr0_vgpr1
.LBB295_1784:
	s_andn2_saveexec_b64 s[58:59], s[58:59]
	s_cbranch_execz .LBB295_1786
; %bb.1785:
	s_waitcnt lgkmcnt(0)
	v_cndmask_b32_e64 v6, 0, 1, s[26:27]
	flat_store_dword v[0:1], v6
.LBB295_1786:
	s_or_b64 exec, exec, s[58:59]
                                        ; implicit-def: $vgpr0_vgpr1
.LBB295_1787:
	s_andn2_saveexec_b64 s[56:57], s[56:57]
	s_cbranch_execz .LBB295_1789
; %bb.1788:
	s_waitcnt lgkmcnt(0)
	v_cndmask_b32_e64 v6, 0, 1, s[26:27]
	flat_store_short v[0:1], v6
.LBB295_1789:
	s_or_b64 exec, exec, s[56:57]
                                        ; implicit-def: $vgpr0_vgpr1
.LBB295_1790:
	s_andn2_saveexec_b64 s[54:55], s[54:55]
	s_cbranch_execz .LBB295_1796
; %bb.1791:
	v_cmp_lt_i16_e32 vcc, 0, v18
	s_waitcnt lgkmcnt(0)
	v_cndmask_b32_e64 v6, 0, 1, s[26:27]
	s_and_saveexec_b64 s[26:27], vcc
	s_xor_b64 s[26:27], exec, s[26:27]
	s_cbranch_execz .LBB295_1793
; %bb.1792:
	flat_store_byte v[0:1], v6
                                        ; implicit-def: $vgpr0_vgpr1
                                        ; implicit-def: $vgpr6
.LBB295_1793:
	s_andn2_saveexec_b64 s[26:27], s[26:27]
	s_cbranch_execz .LBB295_1795
; %bb.1794:
	flat_store_byte v[0:1], v6
.LBB295_1795:
	s_or_b64 exec, exec, s[26:27]
.LBB295_1796:
	s_or_b64 exec, exec, s[54:55]
.LBB295_1797:
	s_or_b64 exec, exec, s[52:53]
	s_or_b64 s[4:5], s[4:5], exec
.LBB295_1798:
	s_or_b64 exec, exec, s[50:51]
	s_mov_b64 s[50:51], 0
	s_mov_b64 s[52:53], 0
                                        ; implicit-def: $vgpr0_vgpr1
	s_and_saveexec_b64 s[26:27], s[4:5]
	s_cbranch_execz .LBB295_1839
; %bb.1799:
	v_add_u32_e32 v0, v5, v4
	v_ashrrev_i32_e32 v1, 31, v0
	v_add_co_u32_e32 v0, vcc, v2, v0
	v_addc_co_u32_e32 v1, vcc, v3, v1, vcc
	v_cmp_lt_i16_e32 vcc, 10, v18
	s_mov_b64 s[4:5], 0
	s_mov_b64 s[52:53], -1
	s_mov_b64 s[54:55], s[48:49]
	s_and_saveexec_b64 s[50:51], vcc
	s_cbranch_execz .LBB295_1838
; %bb.1800:
	v_cmp_lt_i16_e32 vcc, 25, v18
	s_mov_b64 s[54:55], 0
	s_and_saveexec_b64 s[52:53], vcc
	s_xor_b64 s[52:53], exec, s[52:53]
	s_cbranch_execz .LBB295_2715
; %bb.1801:
	v_cmp_lt_i16_e32 vcc, 28, v18
	s_and_saveexec_b64 s[56:57], vcc
	s_xor_b64 s[56:57], exec, s[56:57]
	s_cbranch_execz .LBB295_1819
; %bb.1802:
	v_cmp_lt_i16_e32 vcc, 43, v18
	;; [unrolled: 5-line block ×3, first 2 shown]
	s_mov_b64 s[60:61], 0
	s_and_saveexec_b64 s[4:5], vcc
	s_xor_b64 s[4:5], exec, s[4:5]
	s_cbranch_execz .LBB295_1807
; %bb.1804:
	v_cmp_eq_u16_e32 vcc, 46, v18
	s_mov_b64 s[62:63], -1
	s_and_saveexec_b64 s[60:61], vcc
	s_cbranch_execz .LBB295_1806
; %bb.1805:
	v_cndmask_b32_e64 v2, 0, 1.0, s[40:41]
	v_bfe_u32 v3, v2, 16, 1
	s_movk_i32 s33, 0x7fff
	v_add3_u32 v2, v2, v3, s33
	v_lshrrev_b32_e32 v2, 16, v2
	flat_store_dword v[0:1], v2
	s_xor_b64 s[62:63], exec, -1
.LBB295_1806:
	s_or_b64 exec, exec, s[60:61]
	s_and_b64 s[60:61], s[62:63], exec
.LBB295_1807:
	s_andn2_saveexec_b64 s[62:63], s[4:5]
	s_cbranch_execz .LBB295_1813
; %bb.1808:
	v_cmp_eq_u16_e32 vcc, 44, v18
	s_mov_b64 s[4:5], -1
	s_and_saveexec_b64 s[64:65], vcc
	s_cbranch_execz .LBB295_1812
; %bb.1809:
	v_cndmask_b32_e64 v3, 0, 1.0, s[40:41]
	v_lshrrev_b32_e32 v2, 23, v3
	s_movk_i32 s4, 0xff
	v_cmp_ne_u32_e32 vcc, s4, v2
	v_mov_b32_e32 v4, 0xff
	s_and_saveexec_b64 s[66:67], vcc
; %bb.1810:
	s_mov_b32 s4, 0x3fffff
	v_and_b32_e32 v4, 0x400000, v3
	v_and_or_b32 v3, v3, s4, v2
	v_cmp_ne_u32_e32 vcc, 0, v4
	v_cmp_ne_u32_e64 s[4:5], 0, v3
	s_and_b64 s[4:5], vcc, s[4:5]
	v_cndmask_b32_e64 v3, 0, 1, s[4:5]
	v_add_u32_e32 v4, v2, v3
; %bb.1811:
	s_or_b64 exec, exec, s[66:67]
	s_xor_b64 s[4:5], exec, -1
	flat_store_byte v[0:1], v4
.LBB295_1812:
	s_or_b64 exec, exec, s[64:65]
	s_andn2_b64 s[60:61], s[60:61], exec
	s_and_b64 s[4:5], s[4:5], exec
	s_or_b64 s[60:61], s[60:61], s[4:5]
.LBB295_1813:
	s_or_b64 exec, exec, s[62:63]
	s_and_b64 s[4:5], s[60:61], exec
.LBB295_1814:
	s_andn2_saveexec_b64 s[58:59], s[58:59]
	s_cbranch_execz .LBB295_1818
; %bb.1815:
	v_cmp_eq_u16_e32 vcc, 29, v18
	s_mov_b64 s[62:63], -1
	s_and_saveexec_b64 s[60:61], vcc
	s_cbranch_execz .LBB295_1817
; %bb.1816:
	s_mov_b32 s33, 0
	v_cndmask_b32_e64 v2, 0, 1, s[40:41]
	v_mov_b32_e32 v3, s33
	flat_store_dwordx2 v[0:1], v[2:3]
	s_xor_b64 s[62:63], exec, -1
.LBB295_1817:
	s_or_b64 exec, exec, s[60:61]
	s_andn2_b64 s[4:5], s[4:5], exec
	s_and_b64 s[60:61], s[62:63], exec
	s_or_b64 s[4:5], s[4:5], s[60:61]
.LBB295_1818:
	s_or_b64 exec, exec, s[58:59]
	s_and_b64 s[4:5], s[4:5], exec
.LBB295_1819:
	s_andn2_saveexec_b64 s[56:57], s[56:57]
	s_cbranch_execz .LBB295_1835
; %bb.1820:
	v_cmp_lt_i16_e32 vcc, 26, v18
	s_and_saveexec_b64 s[58:59], vcc
	s_xor_b64 s[58:59], exec, s[58:59]
	s_cbranch_execz .LBB295_1826
; %bb.1821:
	v_cmp_lt_i16_e32 vcc, 27, v18
	v_cndmask_b32_e64 v2, 0, 1, s[40:41]
	s_and_saveexec_b64 s[60:61], vcc
	s_xor_b64 s[60:61], exec, s[60:61]
	s_cbranch_execz .LBB295_1823
; %bb.1822:
	flat_store_dword v[0:1], v2
                                        ; implicit-def: $vgpr2
.LBB295_1823:
	s_andn2_saveexec_b64 s[60:61], s[60:61]
	s_cbranch_execz .LBB295_1825
; %bb.1824:
	flat_store_short v[0:1], v2
.LBB295_1825:
	s_or_b64 exec, exec, s[60:61]
.LBB295_1826:
	s_andn2_saveexec_b64 s[58:59], s[58:59]
	s_cbranch_execz .LBB295_1834
; %bb.1827:
	v_cndmask_b32_e64 v3, 0, 1.0, s[40:41]
	s_mov_b32 s33, 0x43800000
	v_cmp_gt_u32_e32 vcc, s33, v3
	v_mov_b32_e32 v4, 0x80
	s_and_saveexec_b64 s[60:61], vcc
	s_cbranch_execz .LBB295_1833
; %bb.1828:
	s_mov_b32 s33, 0x3bffffff
	v_cmp_lt_u32_e32 vcc, s33, v3
	s_mov_b64 s[62:63], 0
                                        ; implicit-def: $vgpr2
	s_and_saveexec_b64 s[64:65], vcc
	s_xor_b64 s[64:65], exec, s[64:65]
	s_cbranch_execz .LBB295_2810
; %bb.1829:
	v_bfe_u32 v2, v3, 20, 1
	s_mov_b32 s33, 0x487ffff
	v_add3_u32 v2, v3, v2, s33
	s_mov_b64 s[62:63], exec
	v_lshrrev_b32_e32 v2, 20, v2
                                        ; implicit-def: $vgpr3
	s_andn2_saveexec_b64 s[64:65], s[64:65]
	s_cbranch_execnz .LBB295_2811
.LBB295_1830:
	s_or_b64 exec, exec, s[64:65]
	v_mov_b32_e32 v4, 0
	s_and_saveexec_b64 s[64:65], s[62:63]
.LBB295_1831:
	v_mov_b32_e32 v4, v2
.LBB295_1832:
	s_or_b64 exec, exec, s[64:65]
.LBB295_1833:
	s_or_b64 exec, exec, s[60:61]
	flat_store_byte v[0:1], v4
.LBB295_1834:
	s_or_b64 exec, exec, s[58:59]
.LBB295_1835:
	s_or_b64 exec, exec, s[56:57]
	s_and_b64 s[4:5], s[4:5], exec
	s_andn2_saveexec_b64 s[52:53], s[52:53]
	s_cbranch_execnz .LBB295_2716
.LBB295_1836:
	s_or_b64 exec, exec, s[52:53]
	s_mov_b64 s[56:57], s[48:49]
	s_and_saveexec_b64 s[52:53], s[4:5]
	s_cbranch_execnz .LBB295_2757
.LBB295_1837:
	s_or_b64 exec, exec, s[52:53]
	s_and_b64 s[4:5], s[54:55], exec
	s_andn2_b64 s[54:55], s[48:49], exec
	s_and_b64 s[56:57], s[56:57], exec
	s_xor_b64 s[52:53], exec, -1
	s_or_b64 s[54:55], s[54:55], s[56:57]
.LBB295_1838:
	s_or_b64 exec, exec, s[50:51]
	s_and_b64 s[50:51], s[4:5], exec
	s_andn2_b64 s[4:5], s[48:49], exec
	s_and_b64 s[48:49], s[54:55], exec
	s_and_b64 s[52:53], s[52:53], exec
	s_or_b64 s[48:49], s[4:5], s[48:49]
.LBB295_1839:
	s_or_b64 exec, exec, s[26:27]
	s_andn2_b64 s[4:5], s[46:47], exec
	s_and_b64 s[26:27], s[48:49], exec
	s_and_b64 s[52:53], s[52:53], exec
	;; [unrolled: 1-line block ×3, first 2 shown]
	s_or_b64 s[46:47], s[4:5], s[26:27]
.LBB295_1840:
	s_or_b64 exec, exec, s[18:19]
	s_andn2_b64 s[6:7], s[6:7], exec
	s_and_b64 s[18:19], s[46:47], exec
	s_and_b64 s[48:49], s[52:53], exec
	;; [unrolled: 1-line block ×3, first 2 shown]
	s_or_b64 s[6:7], s[6:7], s[18:19]
.LBB295_1841:
	s_or_b64 exec, exec, s[44:45]
	s_and_b64 s[46:47], s[4:5], exec
	s_andn2_b64 s[4:5], s[38:39], exec
	s_and_b64 s[6:7], s[6:7], exec
	s_and_b64 s[48:49], s[48:49], exec
	s_or_b64 s[38:39], s[4:5], s[6:7]
.LBB295_1842:
	s_or_b64 exec, exec, s[42:43]
	s_andn2_b64 s[4:5], s[28:29], exec
	s_and_b64 s[18:19], s[38:39], exec
	s_and_b64 s[42:43], s[48:49], exec
	s_and_b64 s[6:7], s[46:47], exec
	s_or_b64 s[28:29], s[4:5], s[18:19]
.LBB295_1843:
	s_or_b64 exec, exec, s[30:31]
	s_andn2_b64 s[4:5], s[22:23], exec
	s_and_b64 s[18:19], s[28:29], exec
	s_and_b64 s[30:31], s[42:43], exec
	;; [unrolled: 1-line block ×3, first 2 shown]
	s_or_b64 s[22:23], s[4:5], s[18:19]
.LBB295_1844:
	s_or_b64 exec, exec, s[24:25]
	s_andn2_b64 s[4:5], s[16:17], exec
	s_and_b64 s[16:17], s[22:23], exec
	s_and_b64 s[24:25], s[30:31], exec
	;; [unrolled: 1-line block ×3, first 2 shown]
	s_or_b64 s[16:17], s[4:5], s[16:17]
.LBB295_1845:
	s_or_b64 exec, exec, s[20:21]
	s_and_b64 s[4:5], s[6:7], exec
	s_andn2_b64 s[6:7], s[12:13], exec
	s_and_b64 s[12:13], s[16:17], exec
	s_and_b64 s[18:19], s[24:25], exec
	s_or_b64 s[12:13], s[6:7], s[12:13]
.LBB295_1846:
	s_or_b64 exec, exec, s[14:15]
	s_and_b64 s[6:7], s[4:5], exec
	s_andn2_b64 s[4:5], s[8:9], exec
	s_and_b64 s[8:9], s[12:13], exec
	s_and_b64 s[14:15], s[18:19], exec
	s_or_b64 s[8:9], s[4:5], s[8:9]
.LBB295_1847:
	s_or_b64 exec, exec, s[10:11]
	s_and_b64 s[38:39], s[6:7], exec
	s_andn2_b64 s[6:7], s[34:35], exec
	s_and_b64 s[8:9], s[8:9], exec
	s_and_b64 s[4:5], s[14:15], exec
	s_or_b64 s[34:35], s[6:7], s[8:9]
	s_or_b64 exec, exec, s[36:37]
	s_and_saveexec_b64 s[6:7], s[34:35]
	s_cbranch_execnz .LBB295_1851
.LBB295_1848:
	s_or_b64 exec, exec, s[6:7]
	s_and_saveexec_b64 s[6:7], s[38:39]
	s_xor_b64 s[6:7], exec, s[6:7]
	s_cbranch_execz .LBB295_1852
.LBB295_1849:
	s_waitcnt vmcnt(0)
	v_cndmask_b32_e64 v2, 0, 1, s[40:41]
	flat_store_byte v[0:1], v2
	s_or_b64 exec, exec, s[6:7]
	s_and_saveexec_b64 s[6:7], s[4:5]
	s_cbranch_execz .LBB295_1891
	s_branch .LBB295_1853
.LBB295_1850:
	s_or_b64 exec, exec, s[36:37]
	s_and_saveexec_b64 s[6:7], s[34:35]
	s_cbranch_execz .LBB295_1848
.LBB295_1851:
	; divergent unreachable
	s_or_b64 exec, exec, s[6:7]
	s_and_saveexec_b64 s[6:7], s[38:39]
	s_xor_b64 s[6:7], exec, s[6:7]
	s_cbranch_execnz .LBB295_1849
.LBB295_1852:
	s_or_b64 exec, exec, s[6:7]
	s_and_saveexec_b64 s[6:7], s[4:5]
	s_cbranch_execz .LBB295_1891
.LBB295_1853:
	s_waitcnt vmcnt(0)
	v_cmp_lt_i16_e32 vcc, 4, v18
	s_and_saveexec_b64 s[4:5], vcc
	s_xor_b64 s[4:5], exec, s[4:5]
	s_cbranch_execz .LBB295_1875
; %bb.1854:
	v_cmp_lt_i16_e32 vcc, 7, v18
	s_and_saveexec_b64 s[6:7], vcc
	s_xor_b64 s[6:7], exec, s[6:7]
	s_cbranch_execz .LBB295_1864
; %bb.1855:
	;; [unrolled: 5-line block ×4, first 2 shown]
	v_cndmask_b32_e64 v2, 0, 1, s[40:41]
	v_cvt_f64_u32_e32 v[2:3], v2
	v_mov_b32_e32 v4, 0
	v_mov_b32_e32 v5, v4
	flat_store_dwordx4 v[0:1], v[2:5]
.LBB295_1858:
	s_andn2_saveexec_b64 s[10:11], s[10:11]
	s_cbranch_execz .LBB295_1860
; %bb.1859:
	v_cndmask_b32_e64 v2, 0, 1.0, s[40:41]
	v_mov_b32_e32 v3, 0
	flat_store_dwordx2 v[0:1], v[2:3]
.LBB295_1860:
	s_or_b64 exec, exec, s[10:11]
.LBB295_1861:
	s_andn2_saveexec_b64 s[8:9], s[8:9]
	s_cbranch_execz .LBB295_1863
; %bb.1862:
	v_cndmask_b32_e64 v2, 0, 1.0, s[40:41]
	v_cvt_f16_f32_e32 v2, v2
	flat_store_dword v[0:1], v2
.LBB295_1863:
	s_or_b64 exec, exec, s[8:9]
.LBB295_1864:
	s_andn2_saveexec_b64 s[6:7], s[6:7]
	s_cbranch_execz .LBB295_1874
; %bb.1865:
	v_cmp_lt_i16_e32 vcc, 5, v18
	s_and_saveexec_b64 s[8:9], vcc
	s_xor_b64 s[8:9], exec, s[8:9]
	s_cbranch_execz .LBB295_1871
; %bb.1866:
	v_cmp_lt_i16_e32 vcc, 6, v18
	s_and_saveexec_b64 s[10:11], vcc
	s_xor_b64 s[10:11], exec, s[10:11]
	s_cbranch_execz .LBB295_1868
; %bb.1867:
	v_cndmask_b32_e64 v2, 0, 1, s[40:41]
	v_cvt_f64_u32_e32 v[2:3], v2
	flat_store_dwordx2 v[0:1], v[2:3]
.LBB295_1868:
	s_andn2_saveexec_b64 s[10:11], s[10:11]
	s_cbranch_execz .LBB295_1870
; %bb.1869:
	v_cndmask_b32_e64 v2, 0, 1.0, s[40:41]
	flat_store_dword v[0:1], v2
.LBB295_1870:
	s_or_b64 exec, exec, s[10:11]
.LBB295_1871:
	s_andn2_saveexec_b64 s[8:9], s[8:9]
	s_cbranch_execz .LBB295_1873
; %bb.1872:
	v_cndmask_b32_e64 v2, 0, 1.0, s[40:41]
	v_cvt_f16_f32_e32 v2, v2
	flat_store_short v[0:1], v2
.LBB295_1873:
	s_or_b64 exec, exec, s[8:9]
.LBB295_1874:
	s_or_b64 exec, exec, s[6:7]
.LBB295_1875:
	s_andn2_saveexec_b64 s[4:5], s[4:5]
	s_cbranch_execz .LBB295_1891
; %bb.1876:
	v_cmp_lt_i16_e32 vcc, 1, v18
	s_and_saveexec_b64 s[4:5], vcc
	s_xor_b64 s[4:5], exec, s[4:5]
	s_cbranch_execz .LBB295_1886
; %bb.1877:
	v_cmp_lt_i16_e32 vcc, 2, v18
	s_and_saveexec_b64 s[6:7], vcc
	s_xor_b64 s[6:7], exec, s[6:7]
	;; [unrolled: 5-line block ×3, first 2 shown]
	s_cbranch_execz .LBB295_1880
; %bb.1879:
	s_mov_b32 s10, 0
	v_cndmask_b32_e64 v2, 0, 1, s[40:41]
	v_mov_b32_e32 v3, s10
	flat_store_dwordx2 v[0:1], v[2:3]
                                        ; implicit-def: $vgpr0_vgpr1
.LBB295_1880:
	s_andn2_saveexec_b64 s[8:9], s[8:9]
	s_cbranch_execz .LBB295_1882
; %bb.1881:
	v_cndmask_b32_e64 v2, 0, 1, s[40:41]
	flat_store_dword v[0:1], v2
.LBB295_1882:
	s_or_b64 exec, exec, s[8:9]
                                        ; implicit-def: $vgpr0_vgpr1
.LBB295_1883:
	s_andn2_saveexec_b64 s[6:7], s[6:7]
	s_cbranch_execz .LBB295_1885
; %bb.1884:
	v_cndmask_b32_e64 v2, 0, 1, s[40:41]
	flat_store_short v[0:1], v2
.LBB295_1885:
	s_or_b64 exec, exec, s[6:7]
                                        ; implicit-def: $vgpr0_vgpr1
.LBB295_1886:
	s_andn2_saveexec_b64 s[4:5], s[4:5]
	s_cbranch_execz .LBB295_1891
; %bb.1887:
	v_cmp_lt_i16_e32 vcc, 0, v18
	v_cndmask_b32_e64 v2, 0, 1, s[40:41]
	s_and_saveexec_b64 s[4:5], vcc
	s_xor_b64 s[4:5], exec, s[4:5]
	s_cbranch_execz .LBB295_1889
; %bb.1888:
	flat_store_byte v[0:1], v2
                                        ; implicit-def: $vgpr0_vgpr1
                                        ; implicit-def: $vgpr2
.LBB295_1889:
	s_andn2_saveexec_b64 s[4:5], s[4:5]
	s_cbranch_execz .LBB295_1891
; %bb.1890:
	flat_store_byte v[0:1], v2
	s_endpgm
.LBB295_1891:
	s_endpgm
.LBB295_1892:
	s_andn2_saveexec_b64 s[8:9], s[8:9]
	s_cbranch_execz .LBB295_84
.LBB295_1893:
	v_mov_b32_e32 v2, 4
	v_cmp_gt_i16_sdwa s[10:11], v17, v2 src0_sel:BYTE_0 src1_sel:DWORD
	s_and_saveexec_b64 s[12:13], s[10:11]
	s_xor_b64 s[10:11], exec, s[12:13]
	s_cbranch_execz .LBB295_1915
; %bb.1894:
	v_mov_b32_e32 v2, 7
	v_cmp_gt_i16_sdwa s[12:13], v17, v2 src0_sel:BYTE_0 src1_sel:DWORD
	s_and_saveexec_b64 s[14:15], s[12:13]
	s_xor_b64 s[12:13], exec, s[14:15]
	s_cbranch_execz .LBB295_1904
; %bb.1895:
	;; [unrolled: 6-line block ×4, first 2 shown]
	v_cndmask_b32_e64 v2, 0, 1, vcc
	v_cvt_f64_u32_e32 v[2:3], v2
	v_mov_b32_e32 v4, 0
	v_mov_b32_e32 v5, v4
	flat_store_dwordx4 v[0:1], v[2:5]
                                        ; implicit-def: $vgpr0_vgpr1
.LBB295_1898:
	s_andn2_saveexec_b64 s[16:17], s[16:17]
	s_cbranch_execz .LBB295_1900
; %bb.1899:
	v_cndmask_b32_e64 v2, 0, 1.0, vcc
	v_mov_b32_e32 v3, 0
	flat_store_dwordx2 v[0:1], v[2:3]
.LBB295_1900:
	s_or_b64 exec, exec, s[16:17]
                                        ; implicit-def: $vgpr0_vgpr1
.LBB295_1901:
	s_andn2_saveexec_b64 s[14:15], s[14:15]
	s_cbranch_execz .LBB295_1903
; %bb.1902:
	v_cndmask_b32_e64 v2, 0, 1.0, vcc
	v_cvt_f16_f32_e32 v2, v2
	flat_store_dword v[0:1], v2
.LBB295_1903:
	s_or_b64 exec, exec, s[14:15]
                                        ; implicit-def: $vgpr0_vgpr1
.LBB295_1904:
	s_andn2_saveexec_b64 s[12:13], s[12:13]
	s_cbranch_execz .LBB295_1914
; %bb.1905:
	v_mov_b32_e32 v2, 5
	v_cmp_gt_i16_sdwa s[14:15], v17, v2 src0_sel:BYTE_0 src1_sel:DWORD
	s_and_saveexec_b64 s[16:17], s[14:15]
	s_xor_b64 s[14:15], exec, s[16:17]
	s_cbranch_execz .LBB295_1911
; %bb.1906:
	v_mov_b32_e32 v2, 6
	v_cmp_gt_i16_sdwa s[16:17], v17, v2 src0_sel:BYTE_0 src1_sel:DWORD
	s_and_saveexec_b64 s[18:19], s[16:17]
	s_xor_b64 s[16:17], exec, s[18:19]
	s_cbranch_execz .LBB295_1908
; %bb.1907:
	v_cndmask_b32_e64 v2, 0, 1, vcc
	v_cvt_f64_u32_e32 v[2:3], v2
	flat_store_dwordx2 v[0:1], v[2:3]
                                        ; implicit-def: $vgpr0_vgpr1
.LBB295_1908:
	s_andn2_saveexec_b64 s[16:17], s[16:17]
	s_cbranch_execz .LBB295_1910
; %bb.1909:
	v_cndmask_b32_e64 v2, 0, 1.0, vcc
	flat_store_dword v[0:1], v2
.LBB295_1910:
	s_or_b64 exec, exec, s[16:17]
                                        ; implicit-def: $vgpr0_vgpr1
.LBB295_1911:
	s_andn2_saveexec_b64 s[14:15], s[14:15]
	s_cbranch_execz .LBB295_1913
; %bb.1912:
	v_cndmask_b32_e64 v2, 0, 1.0, vcc
	v_cvt_f16_f32_e32 v2, v2
	flat_store_short v[0:1], v2
.LBB295_1913:
	s_or_b64 exec, exec, s[14:15]
.LBB295_1914:
	s_or_b64 exec, exec, s[12:13]
                                        ; implicit-def: $vgpr0_vgpr1
.LBB295_1915:
	s_andn2_saveexec_b64 s[10:11], s[10:11]
	s_cbranch_execz .LBB295_1933
; %bb.1916:
	v_mov_b32_e32 v2, 1
	v_cmp_gt_i16_sdwa s[12:13], v17, v2 src0_sel:BYTE_0 src1_sel:DWORD
	s_and_saveexec_b64 s[14:15], s[12:13]
	s_xor_b64 s[12:13], exec, s[14:15]
	s_cbranch_execz .LBB295_1926
; %bb.1917:
	v_mov_b32_e32 v2, 2
	v_cmp_gt_i16_sdwa s[14:15], v17, v2 src0_sel:BYTE_0 src1_sel:DWORD
	s_and_saveexec_b64 s[16:17], s[14:15]
	s_xor_b64 s[14:15], exec, s[16:17]
	;; [unrolled: 6-line block ×3, first 2 shown]
	s_cbranch_execz .LBB295_1920
; %bb.1919:
	s_mov_b32 s18, 0
	v_cndmask_b32_e64 v2, 0, 1, vcc
	v_mov_b32_e32 v3, s18
	flat_store_dwordx2 v[0:1], v[2:3]
                                        ; implicit-def: $vgpr0_vgpr1
.LBB295_1920:
	s_andn2_saveexec_b64 s[16:17], s[16:17]
	s_cbranch_execz .LBB295_1922
; %bb.1921:
	v_cndmask_b32_e64 v2, 0, 1, vcc
	flat_store_dword v[0:1], v2
.LBB295_1922:
	s_or_b64 exec, exec, s[16:17]
                                        ; implicit-def: $vgpr0_vgpr1
.LBB295_1923:
	s_andn2_saveexec_b64 s[14:15], s[14:15]
	s_cbranch_execz .LBB295_1925
; %bb.1924:
	v_cndmask_b32_e64 v2, 0, 1, vcc
	flat_store_short v[0:1], v2
.LBB295_1925:
	s_or_b64 exec, exec, s[14:15]
                                        ; implicit-def: $vgpr0_vgpr1
.LBB295_1926:
	s_andn2_saveexec_b64 s[12:13], s[12:13]
	s_cbranch_execz .LBB295_1932
; %bb.1927:
	v_mov_b32_e32 v2, 0
	v_cmp_gt_i16_sdwa s[14:15], v17, v2 src0_sel:BYTE_0 src1_sel:DWORD
	v_cndmask_b32_e64 v2, 0, 1, vcc
	s_and_saveexec_b64 s[16:17], s[14:15]
	s_xor_b64 s[14:15], exec, s[16:17]
	s_cbranch_execz .LBB295_1929
; %bb.1928:
	flat_store_byte v[0:1], v2
                                        ; implicit-def: $vgpr0_vgpr1
                                        ; implicit-def: $vgpr2
.LBB295_1929:
	s_andn2_saveexec_b64 s[14:15], s[14:15]
	s_cbranch_execz .LBB295_1931
; %bb.1930:
	flat_store_byte v[0:1], v2
.LBB295_1931:
	s_or_b64 exec, exec, s[14:15]
.LBB295_1932:
	s_or_b64 exec, exec, s[12:13]
.LBB295_1933:
	s_or_b64 exec, exec, s[10:11]
	s_or_b64 s[6:7], s[6:7], exec
	s_or_b64 exec, exec, s[8:9]
	s_mov_b64 s[8:9], 0
	s_and_saveexec_b64 s[10:11], s[6:7]
	s_cbranch_execnz .LBB295_85
	s_branch .LBB295_86
.LBB295_1934:
	s_andn2_saveexec_b64 s[14:15], s[14:15]
	s_cbranch_execz .LBB295_454
.LBB295_1935:
	v_cmp_lt_i16_e64 s[4:5], 22, v6
	s_mov_b64 s[16:17], s[10:11]
                                        ; implicit-def: $vgpr17
	s_and_saveexec_b64 s[8:9], s[4:5]
	s_xor_b64 s[8:9], exec, s[8:9]
	s_cbranch_execz .LBB295_1969
; %bb.1936:
	v_cmp_lt_i16_e64 s[4:5], 23, v6
                                        ; implicit-def: $vgpr17
	s_and_saveexec_b64 s[16:17], s[4:5]
	s_xor_b64 s[16:17], exec, s[16:17]
	s_cbranch_execz .LBB295_1960
; %bb.1937:
	v_cmp_lt_i16_e64 s[4:5], 24, v6
                                        ; implicit-def: $vgpr17
	s_and_saveexec_b64 s[18:19], s[4:5]
	s_xor_b64 s[18:19], exec, s[18:19]
	s_cbranch_execz .LBB295_1951
; %bb.1938:
	flat_load_ubyte v8, v[0:1]
	s_movk_i32 s4, 0x7f
	s_mov_b64 s[20:21], 0
	s_waitcnt vmcnt(0) lgkmcnt(0)
	v_cmp_lt_i16_e64 s[4:5], s4, v8
	s_and_saveexec_b64 s[22:23], s[4:5]
	s_xor_b64 s[22:23], exec, s[22:23]
	s_cbranch_execz .LBB295_2305
; %bb.1939:
	s_movk_i32 s4, 0x80
	v_cmp_eq_u16_e64 s[4:5], s4, v8
	s_mov_b64 s[20:21], -1
	s_and_saveexec_b64 s[24:25], s[4:5]
; %bb.1940:
	s_xor_b64 s[20:21], exec, -1
; %bb.1941:
	s_or_b64 exec, exec, s[24:25]
	s_and_b64 s[20:21], s[20:21], exec
	s_or_saveexec_b64 s[22:23], s[22:23]
	v_mov_b32_e32 v5, 0x7f800001
	s_xor_b64 exec, exec, s[22:23]
	s_cbranch_execnz .LBB295_2306
.LBB295_1942:
	s_or_b64 exec, exec, s[22:23]
	s_and_saveexec_b64 s[22:23], s[20:21]
	s_cbranch_execz .LBB295_1944
.LBB295_1943:
	v_lshlrev_b32_e32 v5, 24, v8
	v_and_b32_e32 v8, 0xffff, v8
	v_and_b32_e32 v9, 3, v8
	v_ffbh_u32_e32 v17, v9
	v_min_u32_e32 v17, 32, v17
	v_subrev_u32_e32 v18, 29, v17
	v_bfe_u32 v14, v8, 2, 5
	v_lshlrev_b32_e32 v8, v18, v8
	v_sub_u32_e32 v17, 30, v17
	v_and_b32_e32 v8, 3, v8
	v_cmp_eq_u32_e64 s[4:5], 0, v14
	v_cndmask_b32_e64 v14, v14, v17, s[4:5]
	v_cndmask_b32_e64 v8, v9, v8, s[4:5]
	v_mov_b32_e32 v9, 0x37800000
	v_lshlrev_b32_e32 v8, 21, v8
	v_and_b32_e32 v5, 0x80000000, v5
	v_lshl_add_u32 v9, v14, 23, v9
	v_or3_b32 v5, v5, v9, v8
.LBB295_1944:
	s_or_b64 exec, exec, s[22:23]
	v_and_b32_e32 v8, 0x7fffffff, v5
	s_mov_b32 s4, 0x43800000
	v_cmp_gt_u32_e64 s[4:5], s4, v8
	v_mov_b32_e32 v17, 0x80
	s_and_saveexec_b64 s[20:21], s[4:5]
	s_cbranch_execz .LBB295_1950
; %bb.1945:
	s_mov_b32 s4, 0x3bffffff
	v_cmp_lt_u32_e64 s[4:5], s4, v8
	s_mov_b64 s[22:23], 0
                                        ; implicit-def: $vgpr8
	s_and_saveexec_b64 s[24:25], s[4:5]
	s_xor_b64 s[4:5], exec, s[24:25]
	s_cbranch_execz .LBB295_2392
; %bb.1946:
	v_bfe_u32 v8, v5, 20, 1
	s_mov_b32 s24, 0x487ffff
	v_add3_u32 v8, v5, v8, s24
	s_mov_b64 s[22:23], exec
	v_lshrrev_b32_e32 v8, 20, v8
	s_andn2_saveexec_b64 s[24:25], s[4:5]
	s_cbranch_execnz .LBB295_2393
.LBB295_1947:
	s_or_b64 exec, exec, s[24:25]
	v_mov_b32_e32 v17, 0
	s_and_saveexec_b64 s[4:5], s[22:23]
.LBB295_1948:
	v_lshrrev_b32_e32 v5, 24, v5
	s_movk_i32 s22, 0x80
	v_and_or_b32 v17, v5, s22, v8
.LBB295_1949:
	s_or_b64 exec, exec, s[4:5]
.LBB295_1950:
	s_or_b64 exec, exec, s[20:21]
.LBB295_1951:
	s_andn2_saveexec_b64 s[18:19], s[18:19]
	s_cbranch_execz .LBB295_1959
; %bb.1952:
	flat_load_ubyte v5, v[0:1]
	s_mov_b32 s4, 0x7f800000
	s_brev_b32 s20, 1
	s_mov_b32 s21, 0x43800000
	s_waitcnt vmcnt(0) lgkmcnt(0)
	v_lshlrev_b32_e32 v5, 24, v5
	v_and_b32_e32 v8, 0x7f000000, v5
	v_ffbh_u32_e32 v9, v8
	v_min_u32_e32 v9, 32, v9
	v_sub_u32_e64 v9, v9, 4 clamp
	v_lshlrev_b32_e32 v17, v9, v8
	v_lshlrev_b32_e32 v9, 23, v9
	v_lshrrev_b32_e32 v17, 4, v17
	v_add_u32_e32 v14, 0x1000000, v8
	v_sub_u32_e32 v9, v17, v9
	v_ashrrev_i32_e32 v14, 8, v14
	v_add_u32_e32 v9, 0x3c000000, v9
	v_and_or_b32 v9, v14, s4, v9
	v_cmp_ne_u32_e64 s[4:5], 0, v8
	v_cndmask_b32_e64 v9, 0, v9, s[4:5]
	v_and_or_b32 v5, v5, s20, v9
	v_and_b32_e32 v8, 0x7fffffff, v5
	v_cmp_gt_u32_e64 s[4:5], s21, v8
	v_mov_b32_e32 v17, 0x80
	s_and_saveexec_b64 s[20:21], s[4:5]
	s_cbranch_execz .LBB295_1958
; %bb.1953:
	s_mov_b32 s4, 0x3bffffff
	v_cmp_lt_u32_e64 s[4:5], s4, v8
	s_mov_b64 s[22:23], 0
                                        ; implicit-def: $vgpr8
	s_and_saveexec_b64 s[24:25], s[4:5]
	s_xor_b64 s[4:5], exec, s[24:25]
	s_cbranch_execz .LBB295_2394
; %bb.1954:
	v_bfe_u32 v8, v9, 20, 1
	s_mov_b32 s24, 0x487ffff
	v_add3_u32 v8, v5, v8, s24
	s_mov_b64 s[22:23], exec
	v_lshrrev_b32_e32 v8, 20, v8
	s_andn2_saveexec_b64 s[24:25], s[4:5]
	s_cbranch_execnz .LBB295_2395
.LBB295_1955:
	s_or_b64 exec, exec, s[24:25]
	v_mov_b32_e32 v17, 0
	s_and_saveexec_b64 s[4:5], s[22:23]
.LBB295_1956:
	v_lshrrev_b32_e32 v5, 24, v5
	s_movk_i32 s22, 0x80
	v_and_or_b32 v17, v5, s22, v8
.LBB295_1957:
	s_or_b64 exec, exec, s[4:5]
.LBB295_1958:
	s_or_b64 exec, exec, s[20:21]
.LBB295_1959:
	s_or_b64 exec, exec, s[18:19]
.LBB295_1960:
	s_andn2_saveexec_b64 s[16:17], s[16:17]
	s_cbranch_execz .LBB295_1968
; %bb.1961:
	flat_load_ubyte v5, v[0:1]
	s_movk_i32 s4, 0x7f00
	s_brev_b32 s5, 16
	s_brev_b32 s18, 1
	s_mov_b32 s19, 0x43800000
	s_waitcnt vmcnt(0) lgkmcnt(0)
	v_mov_b32_e32 v17, 0x80
	v_lshlrev_b16_e32 v8, 8, v5
	v_lshlrev_b32_e32 v5, 25, v5
	v_lshrrev_b32_e32 v9, 4, v5
	v_and_or_b32 v14, v8, s4, 0.5
	v_or_b32_e32 v9, 0x70000000, v9
	v_add_f32_e32 v14, -0.5, v14
	v_mul_f32_e32 v9, 0x7800000, v9
	v_cmp_gt_u32_e64 s[4:5], s5, v5
	v_bfe_i32 v8, v8, 0, 16
	v_cndmask_b32_e64 v9, v9, v14, s[4:5]
	v_and_or_b32 v5, v8, s18, v9
	v_and_b32_e32 v8, 0x7fffffff, v5
	v_cmp_gt_u32_e64 s[4:5], s19, v8
	s_and_saveexec_b64 s[18:19], s[4:5]
	s_cbranch_execz .LBB295_1967
; %bb.1962:
	s_mov_b32 s4, 0x3bffffff
	v_cmp_lt_u32_e64 s[4:5], s4, v8
	s_mov_b64 s[20:21], 0
                                        ; implicit-def: $vgpr8
	s_and_saveexec_b64 s[22:23], s[4:5]
	s_xor_b64 s[4:5], exec, s[22:23]
	s_cbranch_execz .LBB295_2307
; %bb.1963:
	v_bfe_u32 v8, v9, 20, 1
	s_mov_b32 s22, 0x487ffff
	v_add3_u32 v8, v5, v8, s22
	s_mov_b64 s[20:21], exec
	v_lshrrev_b32_e32 v8, 20, v8
	s_andn2_saveexec_b64 s[22:23], s[4:5]
	s_cbranch_execnz .LBB295_2308
.LBB295_1964:
	s_or_b64 exec, exec, s[22:23]
	v_mov_b32_e32 v17, 0
	s_and_saveexec_b64 s[4:5], s[20:21]
.LBB295_1965:
	v_lshrrev_b32_e32 v5, 24, v5
	s_movk_i32 s20, 0x80
	v_and_or_b32 v17, v5, s20, v8
.LBB295_1966:
	s_or_b64 exec, exec, s[4:5]
.LBB295_1967:
	s_or_b64 exec, exec, s[18:19]
.LBB295_1968:
	s_or_b64 exec, exec, s[16:17]
	s_or_b64 s[16:17], s[10:11], exec
.LBB295_1969:
	s_or_saveexec_b64 s[8:9], s[8:9]
	s_mov_b64 s[4:5], 0
	s_mov_b64 s[18:19], s[12:13]
	s_xor_b64 exec, exec, s[8:9]
	s_cbranch_execz .LBB295_1983
; %bb.1970:
	v_cmp_lt_i16_e64 s[4:5], 14, v6
	s_mov_b64 s[20:21], s[12:13]
	s_mov_b64 s[22:23], s[16:17]
                                        ; implicit-def: $vgpr17
	s_and_saveexec_b64 s[18:19], s[4:5]
	s_xor_b64 s[18:19], exec, s[18:19]
	s_cbranch_execz .LBB295_1980
; %bb.1971:
	v_cmp_eq_u16_e64 s[4:5], 15, v6
	s_mov_b64 s[24:25], -1
	s_mov_b64 s[22:23], s[16:17]
                                        ; implicit-def: $vgpr17
	s_and_saveexec_b64 s[20:21], s[4:5]
	s_cbranch_execz .LBB295_1979
; %bb.1972:
	flat_load_ushort v5, v[0:1]
	s_mov_b32 s4, 0x43800000
	s_waitcnt vmcnt(0) lgkmcnt(0)
	v_mov_b32_e32 v17, 0x80
	v_lshlrev_b32_e32 v9, 16, v5
	v_and_b32_e32 v8, 0x7fffffff, v9
	v_cmp_gt_u32_e64 s[4:5], s4, v8
	s_and_saveexec_b64 s[22:23], s[4:5]
	s_cbranch_execz .LBB295_1978
; %bb.1973:
	s_mov_b32 s4, 0x3bffffff
	v_cmp_lt_u32_e64 s[4:5], s4, v8
	s_mov_b64 s[24:25], 0
                                        ; implicit-def: $vgpr8
	s_and_saveexec_b64 s[26:27], s[4:5]
	s_xor_b64 s[4:5], exec, s[26:27]
	s_cbranch_execz .LBB295_2396
; %bb.1974:
	v_bfe_u32 v8, v5, 4, 1
	s_mov_b32 s26, 0x487ffff
	v_add3_u32 v8, v9, v8, s26
	s_mov_b64 s[24:25], exec
	v_lshrrev_b32_e32 v8, 20, v8
                                        ; implicit-def: $vgpr9
	s_andn2_saveexec_b64 s[26:27], s[4:5]
	s_cbranch_execnz .LBB295_2397
.LBB295_1975:
	s_or_b64 exec, exec, s[26:27]
	v_mov_b32_e32 v17, 0
	s_and_saveexec_b64 s[4:5], s[24:25]
.LBB295_1976:
	v_lshrrev_b32_e32 v5, 8, v5
	s_movk_i32 s24, 0x80
	v_and_or_b32 v17, v5, s24, v8
.LBB295_1977:
	s_or_b64 exec, exec, s[4:5]
.LBB295_1978:
	s_or_b64 exec, exec, s[22:23]
	s_or_b64 s[22:23], s[16:17], exec
	s_xor_b64 s[24:25], exec, -1
.LBB295_1979:
	s_or_b64 exec, exec, s[20:21]
	s_andn2_b64 s[4:5], s[16:17], exec
	s_and_b64 s[20:21], s[22:23], exec
	s_or_b64 s[22:23], s[4:5], s[20:21]
	s_andn2_b64 s[4:5], s[12:13], exec
	s_and_b64 s[20:21], s[24:25], exec
	s_or_b64 s[20:21], s[4:5], s[20:21]
.LBB295_1980:
	s_or_saveexec_b64 s[18:19], s[18:19]
	s_mov_b64 s[24:25], 0
	s_xor_b64 exec, exec, s[18:19]
; %bb.1981:
	v_cmp_ne_u16_e64 s[4:5], 11, v6
	s_andn2_b64 s[20:21], s[20:21], exec
	s_and_b64 s[4:5], s[4:5], exec
	s_mov_b64 s[24:25], exec
	s_or_b64 s[20:21], s[20:21], s[4:5]
; %bb.1982:
	s_or_b64 exec, exec, s[18:19]
	s_andn2_b64 s[4:5], s[16:17], exec
	s_and_b64 s[16:17], s[22:23], exec
	s_andn2_b64 s[18:19], s[12:13], exec
	s_and_b64 s[20:21], s[20:21], exec
	s_or_b64 s[16:17], s[4:5], s[16:17]
	s_and_b64 s[4:5], s[24:25], exec
	s_or_b64 s[18:19], s[18:19], s[20:21]
.LBB295_1983:
	s_or_b64 exec, exec, s[8:9]
	s_andn2_b64 s[8:9], s[10:11], exec
	s_and_b64 s[10:11], s[16:17], exec
	s_or_b64 s[10:11], s[8:9], s[10:11]
	s_and_b64 s[8:9], s[4:5], exec
	s_andn2_b64 s[4:5], s[12:13], exec
	s_and_b64 s[12:13], s[18:19], exec
	s_or_b64 s[12:13], s[4:5], s[12:13]
	s_or_b64 exec, exec, s[14:15]
	s_mov_b64 s[14:15], s[34:35]
	s_and_saveexec_b64 s[4:5], s[12:13]
	s_cbranch_execz .LBB295_455
.LBB295_1984:
	s_trap 2
	s_or_b64 s[14:15], s[34:35], exec
	s_andn2_b64 s[8:9], s[8:9], exec
	s_or_b64 exec, exec, s[4:5]
	s_and_saveexec_b64 s[4:5], s[8:9]
	s_xor_b64 s[8:9], exec, s[4:5]
	s_cbranch_execnz .LBB295_456
	s_branch .LBB295_463
.LBB295_1985:
	s_andn2_saveexec_b64 s[8:9], s[8:9]
	s_cbranch_execz .LBB295_171
.LBB295_1986:
	v_mov_b32_e32 v2, 4
	v_cmp_gt_i16_sdwa s[10:11], v17, v2 src0_sel:BYTE_0 src1_sel:DWORD
	s_and_saveexec_b64 s[12:13], s[10:11]
	s_xor_b64 s[10:11], exec, s[12:13]
	s_cbranch_execz .LBB295_2008
; %bb.1987:
	v_mov_b32_e32 v2, 7
	v_cmp_gt_i16_sdwa s[12:13], v17, v2 src0_sel:BYTE_0 src1_sel:DWORD
	s_and_saveexec_b64 s[14:15], s[12:13]
	s_xor_b64 s[12:13], exec, s[14:15]
	s_cbranch_execz .LBB295_1997
; %bb.1988:
	;; [unrolled: 6-line block ×4, first 2 shown]
	v_cndmask_b32_e64 v2, 0, 1, vcc
	v_cvt_f64_u32_e32 v[2:3], v2
	v_mov_b32_e32 v4, 0
	v_mov_b32_e32 v5, v4
	flat_store_dwordx4 v[0:1], v[2:5]
                                        ; implicit-def: $vgpr0_vgpr1
.LBB295_1991:
	s_andn2_saveexec_b64 s[16:17], s[16:17]
	s_cbranch_execz .LBB295_1993
; %bb.1992:
	v_cndmask_b32_e64 v2, 0, 1.0, vcc
	v_mov_b32_e32 v3, 0
	flat_store_dwordx2 v[0:1], v[2:3]
.LBB295_1993:
	s_or_b64 exec, exec, s[16:17]
                                        ; implicit-def: $vgpr0_vgpr1
.LBB295_1994:
	s_andn2_saveexec_b64 s[14:15], s[14:15]
	s_cbranch_execz .LBB295_1996
; %bb.1995:
	v_cndmask_b32_e64 v2, 0, 1.0, vcc
	v_cvt_f16_f32_e32 v2, v2
	flat_store_dword v[0:1], v2
.LBB295_1996:
	s_or_b64 exec, exec, s[14:15]
                                        ; implicit-def: $vgpr0_vgpr1
.LBB295_1997:
	s_andn2_saveexec_b64 s[12:13], s[12:13]
	s_cbranch_execz .LBB295_2007
; %bb.1998:
	v_mov_b32_e32 v2, 5
	v_cmp_gt_i16_sdwa s[14:15], v17, v2 src0_sel:BYTE_0 src1_sel:DWORD
	s_and_saveexec_b64 s[16:17], s[14:15]
	s_xor_b64 s[14:15], exec, s[16:17]
	s_cbranch_execz .LBB295_2004
; %bb.1999:
	v_mov_b32_e32 v2, 6
	v_cmp_gt_i16_sdwa s[16:17], v17, v2 src0_sel:BYTE_0 src1_sel:DWORD
	s_and_saveexec_b64 s[18:19], s[16:17]
	s_xor_b64 s[16:17], exec, s[18:19]
	s_cbranch_execz .LBB295_2001
; %bb.2000:
	v_cndmask_b32_e64 v2, 0, 1, vcc
	v_cvt_f64_u32_e32 v[2:3], v2
	flat_store_dwordx2 v[0:1], v[2:3]
                                        ; implicit-def: $vgpr0_vgpr1
.LBB295_2001:
	s_andn2_saveexec_b64 s[16:17], s[16:17]
	s_cbranch_execz .LBB295_2003
; %bb.2002:
	v_cndmask_b32_e64 v2, 0, 1.0, vcc
	flat_store_dword v[0:1], v2
.LBB295_2003:
	s_or_b64 exec, exec, s[16:17]
                                        ; implicit-def: $vgpr0_vgpr1
.LBB295_2004:
	s_andn2_saveexec_b64 s[14:15], s[14:15]
	s_cbranch_execz .LBB295_2006
; %bb.2005:
	v_cndmask_b32_e64 v2, 0, 1.0, vcc
	v_cvt_f16_f32_e32 v2, v2
	flat_store_short v[0:1], v2
.LBB295_2006:
	s_or_b64 exec, exec, s[14:15]
.LBB295_2007:
	s_or_b64 exec, exec, s[12:13]
                                        ; implicit-def: $vgpr0_vgpr1
.LBB295_2008:
	s_andn2_saveexec_b64 s[10:11], s[10:11]
	s_cbranch_execz .LBB295_2026
; %bb.2009:
	v_mov_b32_e32 v2, 1
	v_cmp_gt_i16_sdwa s[12:13], v17, v2 src0_sel:BYTE_0 src1_sel:DWORD
	s_and_saveexec_b64 s[14:15], s[12:13]
	s_xor_b64 s[12:13], exec, s[14:15]
	s_cbranch_execz .LBB295_2019
; %bb.2010:
	v_mov_b32_e32 v2, 2
	v_cmp_gt_i16_sdwa s[14:15], v17, v2 src0_sel:BYTE_0 src1_sel:DWORD
	s_and_saveexec_b64 s[16:17], s[14:15]
	s_xor_b64 s[14:15], exec, s[16:17]
	;; [unrolled: 6-line block ×3, first 2 shown]
	s_cbranch_execz .LBB295_2013
; %bb.2012:
	s_mov_b32 s18, 0
	v_cndmask_b32_e64 v2, 0, 1, vcc
	v_mov_b32_e32 v3, s18
	flat_store_dwordx2 v[0:1], v[2:3]
                                        ; implicit-def: $vgpr0_vgpr1
.LBB295_2013:
	s_andn2_saveexec_b64 s[16:17], s[16:17]
	s_cbranch_execz .LBB295_2015
; %bb.2014:
	v_cndmask_b32_e64 v2, 0, 1, vcc
	flat_store_dword v[0:1], v2
.LBB295_2015:
	s_or_b64 exec, exec, s[16:17]
                                        ; implicit-def: $vgpr0_vgpr1
.LBB295_2016:
	s_andn2_saveexec_b64 s[14:15], s[14:15]
	s_cbranch_execz .LBB295_2018
; %bb.2017:
	v_cndmask_b32_e64 v2, 0, 1, vcc
	flat_store_short v[0:1], v2
.LBB295_2018:
	s_or_b64 exec, exec, s[14:15]
                                        ; implicit-def: $vgpr0_vgpr1
.LBB295_2019:
	s_andn2_saveexec_b64 s[12:13], s[12:13]
	s_cbranch_execz .LBB295_2025
; %bb.2020:
	v_mov_b32_e32 v2, 0
	v_cmp_gt_i16_sdwa s[14:15], v17, v2 src0_sel:BYTE_0 src1_sel:DWORD
	v_cndmask_b32_e64 v2, 0, 1, vcc
	s_and_saveexec_b64 s[16:17], s[14:15]
	s_xor_b64 s[14:15], exec, s[16:17]
	s_cbranch_execz .LBB295_2022
; %bb.2021:
	flat_store_byte v[0:1], v2
                                        ; implicit-def: $vgpr0_vgpr1
                                        ; implicit-def: $vgpr2
.LBB295_2022:
	s_andn2_saveexec_b64 s[14:15], s[14:15]
	s_cbranch_execz .LBB295_2024
; %bb.2023:
	flat_store_byte v[0:1], v2
.LBB295_2024:
	s_or_b64 exec, exec, s[14:15]
.LBB295_2025:
	s_or_b64 exec, exec, s[12:13]
.LBB295_2026:
	s_or_b64 exec, exec, s[10:11]
	s_or_b64 s[6:7], s[6:7], exec
	s_or_b64 exec, exec, s[8:9]
	s_mov_b64 s[8:9], 0
	s_and_saveexec_b64 s[10:11], s[6:7]
	s_cbranch_execnz .LBB295_172
	s_branch .LBB295_173
.LBB295_2027:
	s_andn2_saveexec_b64 s[18:19], s[18:19]
	s_cbranch_execz .LBB295_632
.LBB295_2028:
	v_cmp_lt_i16_e64 s[4:5], 22, v5
	s_mov_b64 s[20:21], s[14:15]
                                        ; implicit-def: $vgpr19
	s_and_saveexec_b64 s[12:13], s[4:5]
	s_xor_b64 s[12:13], exec, s[12:13]
	s_cbranch_execz .LBB295_2062
; %bb.2029:
	v_cmp_lt_i16_e64 s[4:5], 23, v5
                                        ; implicit-def: $vgpr19
	s_and_saveexec_b64 s[20:21], s[4:5]
	s_xor_b64 s[20:21], exec, s[20:21]
	s_cbranch_execz .LBB295_2053
; %bb.2030:
	v_cmp_lt_i16_e64 s[4:5], 24, v5
                                        ; implicit-def: $vgpr19
	s_and_saveexec_b64 s[22:23], s[4:5]
	s_xor_b64 s[22:23], exec, s[22:23]
	s_cbranch_execz .LBB295_2044
; %bb.2031:
	s_waitcnt vmcnt(0) lgkmcnt(0)
	flat_load_ubyte v19, v[0:1]
	s_movk_i32 s4, 0x7f
	s_mov_b64 s[24:25], 0
	s_waitcnt vmcnt(0) lgkmcnt(0)
	v_cmp_lt_i16_e64 s[4:5], s4, v19
	s_and_saveexec_b64 s[26:27], s[4:5]
	s_xor_b64 s[26:27], exec, s[26:27]
	s_cbranch_execz .LBB295_2398
; %bb.2032:
	s_movk_i32 s4, 0x80
	v_cmp_eq_u16_e64 s[4:5], s4, v19
	s_mov_b64 s[24:25], -1
	s_and_saveexec_b64 s[28:29], s[4:5]
; %bb.2033:
	s_xor_b64 s[24:25], exec, -1
; %bb.2034:
	s_or_b64 exec, exec, s[28:29]
	s_and_b64 s[24:25], s[24:25], exec
	s_or_saveexec_b64 s[26:27], s[26:27]
	v_mov_b32_e32 v18, 0x7f800001
	s_xor_b64 exec, exec, s[26:27]
	s_cbranch_execnz .LBB295_2399
.LBB295_2035:
	s_or_b64 exec, exec, s[26:27]
	s_and_saveexec_b64 s[26:27], s[24:25]
	s_cbranch_execz .LBB295_2037
.LBB295_2036:
	v_lshlrev_b32_e32 v18, 24, v19
	v_and_b32_e32 v19, 0xffff, v19
	v_and_b32_e32 v20, 3, v19
	v_ffbh_u32_e32 v22, v20
	v_min_u32_e32 v22, 32, v22
	v_subrev_u32_e32 v23, 29, v22
	v_bfe_u32 v21, v19, 2, 5
	v_lshlrev_b32_e32 v19, v23, v19
	v_sub_u32_e32 v22, 30, v22
	v_and_b32_e32 v19, 3, v19
	v_cmp_eq_u32_e64 s[4:5], 0, v21
	v_cndmask_b32_e64 v21, v21, v22, s[4:5]
	v_cndmask_b32_e64 v19, v20, v19, s[4:5]
	v_mov_b32_e32 v20, 0x37800000
	v_lshlrev_b32_e32 v19, 21, v19
	v_and_b32_e32 v18, 0x80000000, v18
	v_lshl_add_u32 v20, v21, 23, v20
	v_or3_b32 v18, v18, v20, v19
.LBB295_2037:
	s_or_b64 exec, exec, s[26:27]
	v_and_b32_e32 v20, 0x7fffffff, v18
	s_mov_b32 s4, 0x43800000
	v_cmp_gt_u32_e64 s[4:5], s4, v20
	v_mov_b32_e32 v19, 0x80
	s_and_saveexec_b64 s[24:25], s[4:5]
	s_cbranch_execz .LBB295_2043
; %bb.2038:
	s_mov_b32 s4, 0x3bffffff
	v_cmp_lt_u32_e64 s[4:5], s4, v20
	s_mov_b64 s[26:27], 0
                                        ; implicit-def: $vgpr20
	s_and_saveexec_b64 s[28:29], s[4:5]
	s_xor_b64 s[4:5], exec, s[28:29]
	s_cbranch_execz .LBB295_2491
; %bb.2039:
	v_bfe_u32 v19, v18, 20, 1
	s_mov_b32 s28, 0x487ffff
	v_add3_u32 v19, v18, v19, s28
	s_mov_b64 s[26:27], exec
	v_lshrrev_b32_e32 v20, 20, v19
	s_andn2_saveexec_b64 s[28:29], s[4:5]
	s_cbranch_execnz .LBB295_2492
.LBB295_2040:
	s_or_b64 exec, exec, s[28:29]
	v_mov_b32_e32 v19, 0
	s_and_saveexec_b64 s[4:5], s[26:27]
.LBB295_2041:
	v_lshrrev_b32_e32 v18, 24, v18
	s_movk_i32 s26, 0x80
	v_and_or_b32 v19, v18, s26, v20
.LBB295_2042:
	s_or_b64 exec, exec, s[4:5]
.LBB295_2043:
	s_or_b64 exec, exec, s[24:25]
.LBB295_2044:
	s_andn2_saveexec_b64 s[22:23], s[22:23]
	s_cbranch_execz .LBB295_2052
; %bb.2045:
	flat_load_ubyte v18, v[0:1]
	s_mov_b32 s4, 0x7f800000
	s_brev_b32 s24, 1
	s_mov_b32 s25, 0x43800000
	s_waitcnt vmcnt(0) lgkmcnt(0)
	v_lshlrev_b32_e32 v18, 24, v18
	v_and_b32_e32 v19, 0x7f000000, v18
	v_ffbh_u32_e32 v20, v19
	v_min_u32_e32 v20, 32, v20
	v_sub_u32_e64 v20, v20, 4 clamp
	v_lshlrev_b32_e32 v22, v20, v19
	v_lshlrev_b32_e32 v20, 23, v20
	v_lshrrev_b32_e32 v22, 4, v22
	v_add_u32_e32 v21, 0x1000000, v19
	v_sub_u32_e32 v20, v22, v20
	v_ashrrev_i32_e32 v21, 8, v21
	v_add_u32_e32 v20, 0x3c000000, v20
	v_and_or_b32 v20, v21, s4, v20
	v_cmp_ne_u32_e64 s[4:5], 0, v19
	v_cndmask_b32_e64 v21, 0, v20, s[4:5]
	v_and_or_b32 v18, v18, s24, v21
	v_and_b32_e32 v20, 0x7fffffff, v18
	v_cmp_gt_u32_e64 s[4:5], s25, v20
	v_mov_b32_e32 v19, 0x80
	s_and_saveexec_b64 s[24:25], s[4:5]
	s_cbranch_execz .LBB295_2051
; %bb.2046:
	s_mov_b32 s4, 0x3bffffff
	v_cmp_lt_u32_e64 s[4:5], s4, v20
	s_mov_b64 s[26:27], 0
                                        ; implicit-def: $vgpr20
	s_and_saveexec_b64 s[28:29], s[4:5]
	s_xor_b64 s[4:5], exec, s[28:29]
	s_cbranch_execz .LBB295_2493
; %bb.2047:
	v_bfe_u32 v19, v21, 20, 1
	s_mov_b32 s28, 0x487ffff
	v_add3_u32 v19, v18, v19, s28
	s_mov_b64 s[26:27], exec
	v_lshrrev_b32_e32 v20, 20, v19
	s_andn2_saveexec_b64 s[28:29], s[4:5]
	s_cbranch_execnz .LBB295_2494
.LBB295_2048:
	s_or_b64 exec, exec, s[28:29]
	v_mov_b32_e32 v19, 0
	s_and_saveexec_b64 s[4:5], s[26:27]
.LBB295_2049:
	v_lshrrev_b32_e32 v18, 24, v18
	s_movk_i32 s26, 0x80
	v_and_or_b32 v19, v18, s26, v20
.LBB295_2050:
	s_or_b64 exec, exec, s[4:5]
.LBB295_2051:
	s_or_b64 exec, exec, s[24:25]
.LBB295_2052:
	s_or_b64 exec, exec, s[22:23]
.LBB295_2053:
	s_andn2_saveexec_b64 s[20:21], s[20:21]
	s_cbranch_execz .LBB295_2061
; %bb.2054:
	flat_load_ubyte v18, v[0:1]
	s_movk_i32 s4, 0x7f00
	s_brev_b32 s5, 16
	s_brev_b32 s22, 1
	s_mov_b32 s23, 0x43800000
	s_waitcnt vmcnt(0) lgkmcnt(0)
	v_lshlrev_b16_e32 v19, 8, v18
	v_lshlrev_b32_e32 v18, 25, v18
	v_lshrrev_b32_e32 v20, 4, v18
	v_and_or_b32 v21, v19, s4, 0.5
	v_or_b32_e32 v20, 0x70000000, v20
	v_add_f32_e32 v21, -0.5, v21
	v_mul_f32_e32 v20, 0x7800000, v20
	v_cmp_gt_u32_e64 s[4:5], s5, v18
	v_bfe_i32 v19, v19, 0, 16
	v_cndmask_b32_e64 v21, v20, v21, s[4:5]
	v_and_or_b32 v18, v19, s22, v21
	v_and_b32_e32 v20, 0x7fffffff, v18
	v_cmp_gt_u32_e64 s[4:5], s23, v20
	v_mov_b32_e32 v19, 0x80
	s_and_saveexec_b64 s[22:23], s[4:5]
	s_cbranch_execz .LBB295_2060
; %bb.2055:
	s_mov_b32 s4, 0x3bffffff
	v_cmp_lt_u32_e64 s[4:5], s4, v20
	s_mov_b64 s[24:25], 0
                                        ; implicit-def: $vgpr20
	s_and_saveexec_b64 s[26:27], s[4:5]
	s_xor_b64 s[4:5], exec, s[26:27]
	s_cbranch_execz .LBB295_2400
; %bb.2056:
	v_bfe_u32 v19, v21, 20, 1
	s_mov_b32 s26, 0x487ffff
	v_add3_u32 v19, v18, v19, s26
	s_mov_b64 s[24:25], exec
	v_lshrrev_b32_e32 v20, 20, v19
	s_andn2_saveexec_b64 s[26:27], s[4:5]
	s_cbranch_execnz .LBB295_2401
.LBB295_2057:
	s_or_b64 exec, exec, s[26:27]
	v_mov_b32_e32 v19, 0
	s_and_saveexec_b64 s[4:5], s[24:25]
.LBB295_2058:
	v_lshrrev_b32_e32 v18, 24, v18
	s_movk_i32 s24, 0x80
	v_and_or_b32 v19, v18, s24, v20
.LBB295_2059:
	s_or_b64 exec, exec, s[4:5]
.LBB295_2060:
	s_or_b64 exec, exec, s[22:23]
.LBB295_2061:
	s_or_b64 exec, exec, s[20:21]
	s_or_b64 s[20:21], s[14:15], exec
.LBB295_2062:
	s_or_saveexec_b64 s[12:13], s[12:13]
	s_mov_b64 s[4:5], 0
	s_mov_b64 s[22:23], s[16:17]
	s_xor_b64 exec, exec, s[12:13]
	s_cbranch_execz .LBB295_2076
; %bb.2063:
	v_cmp_lt_i16_e64 s[4:5], 14, v5
	s_mov_b64 s[24:25], s[16:17]
	s_mov_b64 s[26:27], s[20:21]
                                        ; implicit-def: $vgpr19
	s_and_saveexec_b64 s[22:23], s[4:5]
	s_xor_b64 s[22:23], exec, s[22:23]
	s_cbranch_execz .LBB295_2073
; %bb.2064:
	v_cmp_eq_u16_e64 s[4:5], 15, v5
	s_mov_b64 s[28:29], -1
	s_mov_b64 s[26:27], s[20:21]
                                        ; implicit-def: $vgpr19
	s_and_saveexec_b64 s[24:25], s[4:5]
	s_cbranch_execz .LBB295_2072
; %bb.2065:
	flat_load_ushort v18, v[0:1]
	s_mov_b32 s4, 0x43800000
	s_waitcnt vmcnt(0) lgkmcnt(0)
	v_mov_b32_e32 v19, 0x80
	v_lshlrev_b32_e32 v21, 16, v18
	v_and_b32_e32 v20, 0x7fffffff, v21
	v_cmp_gt_u32_e64 s[4:5], s4, v20
	s_and_saveexec_b64 s[26:27], s[4:5]
	s_cbranch_execz .LBB295_2071
; %bb.2066:
	s_mov_b32 s4, 0x3bffffff
	v_cmp_lt_u32_e64 s[4:5], s4, v20
	s_mov_b64 s[28:29], 0
                                        ; implicit-def: $vgpr20
	s_and_saveexec_b64 s[30:31], s[4:5]
	s_xor_b64 s[4:5], exec, s[30:31]
	s_cbranch_execz .LBB295_2495
; %bb.2067:
	v_bfe_u32 v19, v18, 4, 1
	s_mov_b32 s30, 0x487ffff
	v_add3_u32 v19, v21, v19, s30
	s_mov_b64 s[28:29], exec
	v_lshrrev_b32_e32 v20, 20, v19
                                        ; implicit-def: $vgpr21
	s_andn2_saveexec_b64 s[30:31], s[4:5]
	s_cbranch_execnz .LBB295_2496
.LBB295_2068:
	s_or_b64 exec, exec, s[30:31]
	v_mov_b32_e32 v19, 0
	s_and_saveexec_b64 s[4:5], s[28:29]
.LBB295_2069:
	v_lshrrev_b32_e32 v18, 8, v18
	s_movk_i32 s28, 0x80
	v_and_or_b32 v19, v18, s28, v20
.LBB295_2070:
	s_or_b64 exec, exec, s[4:5]
.LBB295_2071:
	s_or_b64 exec, exec, s[26:27]
	s_or_b64 s[26:27], s[20:21], exec
	s_xor_b64 s[28:29], exec, -1
.LBB295_2072:
	s_or_b64 exec, exec, s[24:25]
	s_andn2_b64 s[4:5], s[20:21], exec
	s_and_b64 s[24:25], s[26:27], exec
	s_or_b64 s[26:27], s[4:5], s[24:25]
	s_andn2_b64 s[4:5], s[16:17], exec
	s_and_b64 s[24:25], s[28:29], exec
	s_or_b64 s[24:25], s[4:5], s[24:25]
.LBB295_2073:
	s_or_saveexec_b64 s[22:23], s[22:23]
	s_mov_b64 s[28:29], 0
	s_xor_b64 exec, exec, s[22:23]
; %bb.2074:
	v_cmp_ne_u16_e64 s[4:5], 11, v5
	s_andn2_b64 s[24:25], s[24:25], exec
	s_and_b64 s[4:5], s[4:5], exec
	s_mov_b64 s[28:29], exec
	s_or_b64 s[24:25], s[24:25], s[4:5]
; %bb.2075:
	s_or_b64 exec, exec, s[22:23]
	s_andn2_b64 s[4:5], s[20:21], exec
	s_and_b64 s[20:21], s[26:27], exec
	s_andn2_b64 s[22:23], s[16:17], exec
	s_and_b64 s[24:25], s[24:25], exec
	s_or_b64 s[20:21], s[4:5], s[20:21]
	s_and_b64 s[4:5], s[28:29], exec
	s_or_b64 s[22:23], s[22:23], s[24:25]
.LBB295_2076:
	s_or_b64 exec, exec, s[12:13]
	s_andn2_b64 s[12:13], s[14:15], exec
	s_and_b64 s[14:15], s[20:21], exec
	s_or_b64 s[14:15], s[12:13], s[14:15]
	s_and_b64 s[12:13], s[4:5], exec
	s_andn2_b64 s[4:5], s[16:17], exec
	s_and_b64 s[16:17], s[22:23], exec
	s_or_b64 s[16:17], s[4:5], s[16:17]
	s_or_b64 exec, exec, s[18:19]
	s_mov_b64 s[18:19], s[8:9]
	s_and_saveexec_b64 s[4:5], s[16:17]
	s_cbranch_execz .LBB295_633
.LBB295_2077:
	s_trap 2
	s_or_b64 s[18:19], s[8:9], exec
	s_andn2_b64 s[12:13], s[12:13], exec
	s_or_b64 exec, exec, s[4:5]
	s_and_saveexec_b64 s[4:5], s[12:13]
	s_xor_b64 s[12:13], exec, s[4:5]
	s_cbranch_execnz .LBB295_634
	s_branch .LBB295_641
.LBB295_2078:
	s_andn2_saveexec_b64 s[8:9], s[8:9]
	s_cbranch_execz .LBB295_258
.LBB295_2079:
	v_mov_b32_e32 v2, 4
	v_cmp_gt_i16_sdwa s[10:11], v17, v2 src0_sel:BYTE_0 src1_sel:DWORD
	s_and_saveexec_b64 s[12:13], s[10:11]
	s_xor_b64 s[10:11], exec, s[12:13]
	s_cbranch_execz .LBB295_2101
; %bb.2080:
	v_mov_b32_e32 v2, 7
	v_cmp_gt_i16_sdwa s[12:13], v17, v2 src0_sel:BYTE_0 src1_sel:DWORD
	s_and_saveexec_b64 s[14:15], s[12:13]
	s_xor_b64 s[12:13], exec, s[14:15]
	s_cbranch_execz .LBB295_2090
; %bb.2081:
	;; [unrolled: 6-line block ×4, first 2 shown]
	v_cndmask_b32_e64 v2, 0, 1, vcc
	v_cvt_f64_u32_e32 v[2:3], v2
	v_mov_b32_e32 v4, 0
	v_mov_b32_e32 v5, v4
	flat_store_dwordx4 v[0:1], v[2:5]
                                        ; implicit-def: $vgpr0_vgpr1
.LBB295_2084:
	s_andn2_saveexec_b64 s[16:17], s[16:17]
	s_cbranch_execz .LBB295_2086
; %bb.2085:
	v_cndmask_b32_e64 v2, 0, 1.0, vcc
	v_mov_b32_e32 v3, 0
	flat_store_dwordx2 v[0:1], v[2:3]
.LBB295_2086:
	s_or_b64 exec, exec, s[16:17]
                                        ; implicit-def: $vgpr0_vgpr1
.LBB295_2087:
	s_andn2_saveexec_b64 s[14:15], s[14:15]
	s_cbranch_execz .LBB295_2089
; %bb.2088:
	v_cndmask_b32_e64 v2, 0, 1.0, vcc
	v_cvt_f16_f32_e32 v2, v2
	flat_store_dword v[0:1], v2
.LBB295_2089:
	s_or_b64 exec, exec, s[14:15]
                                        ; implicit-def: $vgpr0_vgpr1
.LBB295_2090:
	s_andn2_saveexec_b64 s[12:13], s[12:13]
	s_cbranch_execz .LBB295_2100
; %bb.2091:
	v_mov_b32_e32 v2, 5
	v_cmp_gt_i16_sdwa s[14:15], v17, v2 src0_sel:BYTE_0 src1_sel:DWORD
	s_and_saveexec_b64 s[16:17], s[14:15]
	s_xor_b64 s[14:15], exec, s[16:17]
	s_cbranch_execz .LBB295_2097
; %bb.2092:
	v_mov_b32_e32 v2, 6
	v_cmp_gt_i16_sdwa s[16:17], v17, v2 src0_sel:BYTE_0 src1_sel:DWORD
	s_and_saveexec_b64 s[18:19], s[16:17]
	s_xor_b64 s[16:17], exec, s[18:19]
	s_cbranch_execz .LBB295_2094
; %bb.2093:
	v_cndmask_b32_e64 v2, 0, 1, vcc
	v_cvt_f64_u32_e32 v[2:3], v2
	flat_store_dwordx2 v[0:1], v[2:3]
                                        ; implicit-def: $vgpr0_vgpr1
.LBB295_2094:
	s_andn2_saveexec_b64 s[16:17], s[16:17]
	s_cbranch_execz .LBB295_2096
; %bb.2095:
	v_cndmask_b32_e64 v2, 0, 1.0, vcc
	flat_store_dword v[0:1], v2
.LBB295_2096:
	s_or_b64 exec, exec, s[16:17]
                                        ; implicit-def: $vgpr0_vgpr1
.LBB295_2097:
	s_andn2_saveexec_b64 s[14:15], s[14:15]
	s_cbranch_execz .LBB295_2099
; %bb.2098:
	v_cndmask_b32_e64 v2, 0, 1.0, vcc
	v_cvt_f16_f32_e32 v2, v2
	flat_store_short v[0:1], v2
.LBB295_2099:
	s_or_b64 exec, exec, s[14:15]
.LBB295_2100:
	s_or_b64 exec, exec, s[12:13]
                                        ; implicit-def: $vgpr0_vgpr1
.LBB295_2101:
	s_andn2_saveexec_b64 s[10:11], s[10:11]
	s_cbranch_execz .LBB295_2119
; %bb.2102:
	v_mov_b32_e32 v2, 1
	v_cmp_gt_i16_sdwa s[12:13], v17, v2 src0_sel:BYTE_0 src1_sel:DWORD
	s_and_saveexec_b64 s[14:15], s[12:13]
	s_xor_b64 s[12:13], exec, s[14:15]
	s_cbranch_execz .LBB295_2112
; %bb.2103:
	v_mov_b32_e32 v2, 2
	v_cmp_gt_i16_sdwa s[14:15], v17, v2 src0_sel:BYTE_0 src1_sel:DWORD
	s_and_saveexec_b64 s[16:17], s[14:15]
	s_xor_b64 s[14:15], exec, s[16:17]
	;; [unrolled: 6-line block ×3, first 2 shown]
	s_cbranch_execz .LBB295_2106
; %bb.2105:
	s_mov_b32 s18, 0
	v_cndmask_b32_e64 v2, 0, 1, vcc
	v_mov_b32_e32 v3, s18
	flat_store_dwordx2 v[0:1], v[2:3]
                                        ; implicit-def: $vgpr0_vgpr1
.LBB295_2106:
	s_andn2_saveexec_b64 s[16:17], s[16:17]
	s_cbranch_execz .LBB295_2108
; %bb.2107:
	v_cndmask_b32_e64 v2, 0, 1, vcc
	flat_store_dword v[0:1], v2
.LBB295_2108:
	s_or_b64 exec, exec, s[16:17]
                                        ; implicit-def: $vgpr0_vgpr1
.LBB295_2109:
	s_andn2_saveexec_b64 s[14:15], s[14:15]
	s_cbranch_execz .LBB295_2111
; %bb.2110:
	v_cndmask_b32_e64 v2, 0, 1, vcc
	flat_store_short v[0:1], v2
.LBB295_2111:
	s_or_b64 exec, exec, s[14:15]
                                        ; implicit-def: $vgpr0_vgpr1
.LBB295_2112:
	s_andn2_saveexec_b64 s[12:13], s[12:13]
	s_cbranch_execz .LBB295_2118
; %bb.2113:
	v_mov_b32_e32 v2, 0
	v_cmp_gt_i16_sdwa s[14:15], v17, v2 src0_sel:BYTE_0 src1_sel:DWORD
	v_cndmask_b32_e64 v2, 0, 1, vcc
	s_and_saveexec_b64 s[16:17], s[14:15]
	s_xor_b64 s[14:15], exec, s[16:17]
	s_cbranch_execz .LBB295_2115
; %bb.2114:
	flat_store_byte v[0:1], v2
                                        ; implicit-def: $vgpr0_vgpr1
                                        ; implicit-def: $vgpr2
.LBB295_2115:
	s_andn2_saveexec_b64 s[14:15], s[14:15]
	s_cbranch_execz .LBB295_2117
; %bb.2116:
	flat_store_byte v[0:1], v2
.LBB295_2117:
	s_or_b64 exec, exec, s[14:15]
.LBB295_2118:
	s_or_b64 exec, exec, s[12:13]
.LBB295_2119:
	s_or_b64 exec, exec, s[10:11]
	s_or_b64 s[6:7], s[6:7], exec
	s_or_b64 exec, exec, s[8:9]
	s_mov_b64 s[8:9], 0
	s_and_saveexec_b64 s[10:11], s[6:7]
	s_cbranch_execnz .LBB295_259
	s_branch .LBB295_260
.LBB295_2120:
	s_andn2_saveexec_b64 s[18:19], s[4:5]
	s_cbranch_execz .LBB295_459
.LBB295_2121:
	v_add_f32_e32 v0, 0x46000000, v1
	v_and_b32_e32 v0, 0xff, v0
	v_cmp_ne_u32_e64 s[4:5], 0, v0
	s_andn2_b64 s[16:17], s[16:17], exec
	s_and_b64 s[4:5], s[4:5], exec
	s_or_b64 s[16:17], s[16:17], s[4:5]
	s_or_b64 exec, exec, s[18:19]
	v_mov_b32_e32 v17, 0
	s_and_saveexec_b64 s[4:5], s[16:17]
	s_cbranch_execnz .LBB295_460
	s_branch .LBB295_461
.LBB295_2122:
	s_or_saveexec_b64 s[18:19], s[18:19]
	v_mov_b32_e32 v0, 0x7f800001
	s_xor_b64 exec, exec, s[18:19]
	s_cbranch_execz .LBB295_756
.LBB295_2123:
	v_mov_b32_e32 v0, 0
	v_cmp_ne_u16_sdwa s[20:21], v17, v0 src0_sel:BYTE_0 src1_sel:DWORD
	s_andn2_b64 s[6:7], s[6:7], exec
	s_and_b64 s[20:21], s[20:21], exec
	s_or_b64 s[6:7], s[6:7], s[20:21]
	s_or_b64 exec, exec, s[18:19]
	s_and_saveexec_b64 s[18:19], s[6:7]
	s_cbranch_execnz .LBB295_757
	s_branch .LBB295_758
.LBB295_2124:
	s_or_saveexec_b64 s[18:19], s[18:19]
	v_mov_b32_e32 v1, 0x7f800001
	s_xor_b64 exec, exec, s[18:19]
	s_cbranch_execz .LBB295_762
.LBB295_2125:
	v_mov_b32_e32 v1, 0
	v_cmp_ne_u16_sdwa s[20:21], v19, v1 src0_sel:BYTE_0 src1_sel:DWORD
	s_andn2_b64 s[6:7], s[6:7], exec
	s_and_b64 s[20:21], s[20:21], exec
	s_or_b64 s[6:7], s[6:7], s[20:21]
	s_or_b64 exec, exec, s[18:19]
	s_and_saveexec_b64 s[18:19], s[6:7]
	s_cbranch_execnz .LBB295_763
	s_branch .LBB295_764
.LBB295_2126:
	s_or_saveexec_b64 s[20:21], s[20:21]
	v_mov_b32_e32 v0, 0x7f800001
	s_xor_b64 exec, exec, s[20:21]
	s_cbranch_execz .LBB295_770
.LBB295_2127:
	v_mov_b32_e32 v0, 0
	v_cmp_ne_u16_sdwa s[22:23], v17, v0 src0_sel:BYTE_0 src1_sel:DWORD
	s_andn2_b64 s[6:7], s[6:7], exec
	s_and_b64 s[22:23], s[22:23], exec
	s_or_b64 s[6:7], s[6:7], s[22:23]
	s_or_b64 exec, exec, s[20:21]
	s_and_saveexec_b64 s[20:21], s[6:7]
	s_cbranch_execnz .LBB295_771
	s_branch .LBB295_772
.LBB295_2128:
	s_or_saveexec_b64 s[20:21], s[20:21]
	v_mov_b32_e32 v1, 0x7f800001
	s_xor_b64 exec, exec, s[20:21]
	s_cbranch_execz .LBB295_776
.LBB295_2129:
	v_mov_b32_e32 v1, 0
	v_cmp_ne_u16_sdwa s[22:23], v19, v1 src0_sel:BYTE_0 src1_sel:DWORD
	s_andn2_b64 s[6:7], s[6:7], exec
	s_and_b64 s[22:23], s[22:23], exec
	s_or_b64 s[6:7], s[6:7], s[22:23]
	s_or_b64 exec, exec, s[20:21]
	s_and_saveexec_b64 s[20:21], s[6:7]
	s_cbranch_execnz .LBB295_777
	s_branch .LBB295_778
.LBB295_2130:
	s_andn2_saveexec_b64 s[26:27], s[26:27]
	s_cbranch_execz .LBB295_838
.LBB295_2131:
	v_cmp_lt_i16_e64 s[6:7], 22, v6
	s_mov_b64 s[28:29], s[22:23]
                                        ; implicit-def: $vgpr19
	s_and_saveexec_b64 s[16:17], s[6:7]
	s_xor_b64 s[16:17], exec, s[16:17]
	s_cbranch_execz .LBB295_2165
; %bb.2132:
	v_cmp_lt_i16_e64 s[6:7], 23, v6
                                        ; implicit-def: $vgpr19
	s_and_saveexec_b64 s[28:29], s[6:7]
	s_xor_b64 s[28:29], exec, s[28:29]
	s_cbranch_execz .LBB295_2156
; %bb.2133:
	v_cmp_lt_i16_e64 s[6:7], 24, v6
                                        ; implicit-def: $vgpr19
	s_and_saveexec_b64 s[30:31], s[6:7]
	s_xor_b64 s[30:31], exec, s[30:31]
	s_cbranch_execz .LBB295_2147
; %bb.2134:
	flat_load_ubyte v13, v[0:1]
	s_movk_i32 s6, 0x7f
	s_mov_b64 s[38:39], 0
	s_waitcnt vmcnt(0) lgkmcnt(0)
	v_cmp_lt_i16_e64 s[6:7], s6, v13
	s_and_saveexec_b64 s[40:41], s[6:7]
	s_xor_b64 s[40:41], exec, s[40:41]
	s_cbranch_execz .LBB295_2497
; %bb.2135:
	s_movk_i32 s6, 0x80
	v_cmp_eq_u16_e64 s[6:7], s6, v13
	s_mov_b64 s[38:39], -1
	s_and_saveexec_b64 s[42:43], s[6:7]
; %bb.2136:
	s_xor_b64 s[38:39], exec, -1
; %bb.2137:
	s_or_b64 exec, exec, s[42:43]
	s_and_b64 s[38:39], s[38:39], exec
	s_or_saveexec_b64 s[40:41], s[40:41]
	v_mov_b32_e32 v12, 0x7f800001
	s_xor_b64 exec, exec, s[40:41]
	s_cbranch_execnz .LBB295_2498
.LBB295_2138:
	s_or_b64 exec, exec, s[40:41]
	s_and_saveexec_b64 s[40:41], s[38:39]
	s_cbranch_execz .LBB295_2140
.LBB295_2139:
	v_lshlrev_b32_e32 v12, 24, v13
	v_and_b32_e32 v13, 0xffff, v13
	v_and_b32_e32 v18, 3, v13
	v_ffbh_u32_e32 v20, v18
	v_min_u32_e32 v20, 32, v20
	v_subrev_u32_e32 v21, 29, v20
	v_bfe_u32 v19, v13, 2, 5
	v_lshlrev_b32_e32 v13, v21, v13
	v_sub_u32_e32 v20, 30, v20
	v_and_b32_e32 v13, 3, v13
	v_cmp_eq_u32_e64 s[6:7], 0, v19
	v_cndmask_b32_e64 v19, v19, v20, s[6:7]
	v_cndmask_b32_e64 v13, v18, v13, s[6:7]
	v_mov_b32_e32 v18, 0x37800000
	v_lshlrev_b32_e32 v13, 21, v13
	v_and_b32_e32 v12, 0x80000000, v12
	v_lshl_add_u32 v18, v19, 23, v18
	v_or3_b32 v12, v12, v18, v13
.LBB295_2140:
	s_or_b64 exec, exec, s[40:41]
	v_and_b32_e32 v13, 0x7fffffff, v12
	s_mov_b32 s6, 0x43800000
	v_cmp_gt_u32_e64 s[6:7], s6, v13
	v_mov_b32_e32 v19, 0x80
	s_and_saveexec_b64 s[38:39], s[6:7]
	s_cbranch_execz .LBB295_2146
; %bb.2141:
	s_mov_b32 s6, 0x3bffffff
	v_cmp_lt_u32_e64 s[6:7], s6, v13
	s_mov_b64 s[40:41], 0
                                        ; implicit-def: $vgpr13
	s_and_saveexec_b64 s[42:43], s[6:7]
	s_xor_b64 s[6:7], exec, s[42:43]
	s_cbranch_execz .LBB295_2582
; %bb.2142:
	v_bfe_u32 v13, v12, 20, 1
	s_mov_b32 s33, 0x487ffff
	v_add3_u32 v13, v12, v13, s33
	s_mov_b64 s[40:41], exec
	v_lshrrev_b32_e32 v13, 20, v13
	s_andn2_saveexec_b64 s[42:43], s[6:7]
	s_cbranch_execnz .LBB295_2583
.LBB295_2143:
	s_or_b64 exec, exec, s[42:43]
	v_mov_b32_e32 v19, 0
	s_and_saveexec_b64 s[6:7], s[40:41]
.LBB295_2144:
	v_lshrrev_b32_e32 v12, 24, v12
	s_movk_i32 s33, 0x80
	v_and_or_b32 v19, v12, s33, v13
.LBB295_2145:
	s_or_b64 exec, exec, s[6:7]
.LBB295_2146:
	s_or_b64 exec, exec, s[38:39]
.LBB295_2147:
	s_andn2_saveexec_b64 s[30:31], s[30:31]
	s_cbranch_execz .LBB295_2155
; %bb.2148:
	flat_load_ubyte v12, v[0:1]
	s_mov_b32 s6, 0x7f800000
	s_brev_b32 s33, 1
	s_mov_b32 s38, 0x43800000
	s_waitcnt vmcnt(0) lgkmcnt(0)
	v_lshlrev_b32_e32 v12, 24, v12
	v_and_b32_e32 v13, 0x7f000000, v12
	v_ffbh_u32_e32 v18, v13
	v_min_u32_e32 v18, 32, v18
	v_sub_u32_e64 v18, v18, 4 clamp
	v_lshlrev_b32_e32 v20, v18, v13
	v_lshlrev_b32_e32 v18, 23, v18
	v_lshrrev_b32_e32 v20, 4, v20
	v_add_u32_e32 v19, 0x1000000, v13
	v_sub_u32_e32 v18, v20, v18
	v_ashrrev_i32_e32 v19, 8, v19
	v_add_u32_e32 v18, 0x3c000000, v18
	v_and_or_b32 v18, v19, s6, v18
	v_cmp_ne_u32_e64 s[6:7], 0, v13
	v_cndmask_b32_e64 v18, 0, v18, s[6:7]
	v_and_or_b32 v12, v12, s33, v18
	v_and_b32_e32 v13, 0x7fffffff, v12
	v_cmp_gt_u32_e64 s[6:7], s38, v13
	v_mov_b32_e32 v19, 0x80
	s_and_saveexec_b64 s[38:39], s[6:7]
	s_cbranch_execz .LBB295_2154
; %bb.2149:
	s_mov_b32 s6, 0x3bffffff
	v_cmp_lt_u32_e64 s[6:7], s6, v13
	s_mov_b64 s[40:41], 0
                                        ; implicit-def: $vgpr13
	s_and_saveexec_b64 s[42:43], s[6:7]
	s_xor_b64 s[6:7], exec, s[42:43]
	s_cbranch_execz .LBB295_2584
; %bb.2150:
	v_bfe_u32 v13, v18, 20, 1
	s_mov_b32 s33, 0x487ffff
	v_add3_u32 v13, v12, v13, s33
	s_mov_b64 s[40:41], exec
	v_lshrrev_b32_e32 v13, 20, v13
	s_andn2_saveexec_b64 s[42:43], s[6:7]
	s_cbranch_execnz .LBB295_2585
.LBB295_2151:
	s_or_b64 exec, exec, s[42:43]
	v_mov_b32_e32 v19, 0
	s_and_saveexec_b64 s[6:7], s[40:41]
.LBB295_2152:
	v_lshrrev_b32_e32 v12, 24, v12
	s_movk_i32 s33, 0x80
	v_and_or_b32 v19, v12, s33, v13
.LBB295_2153:
	s_or_b64 exec, exec, s[6:7]
.LBB295_2154:
	s_or_b64 exec, exec, s[38:39]
.LBB295_2155:
	s_or_b64 exec, exec, s[30:31]
.LBB295_2156:
	s_andn2_saveexec_b64 s[28:29], s[28:29]
	s_cbranch_execz .LBB295_2164
; %bb.2157:
	flat_load_ubyte v12, v[0:1]
	s_movk_i32 s6, 0x7f00
	s_brev_b32 s7, 16
	s_brev_b32 s30, 1
	s_mov_b32 s31, 0x43800000
	s_waitcnt vmcnt(0) lgkmcnt(0)
	v_lshlrev_b16_e32 v13, 8, v12
	v_lshlrev_b32_e32 v12, 25, v12
	v_lshrrev_b32_e32 v18, 4, v12
	v_and_or_b32 v19, v13, s6, 0.5
	v_or_b32_e32 v18, 0x70000000, v18
	v_add_f32_e32 v19, -0.5, v19
	v_mul_f32_e32 v18, 0x7800000, v18
	v_cmp_gt_u32_e64 s[6:7], s7, v12
	v_bfe_i32 v13, v13, 0, 16
	v_cndmask_b32_e64 v18, v18, v19, s[6:7]
	v_and_or_b32 v12, v13, s30, v18
	v_and_b32_e32 v13, 0x7fffffff, v12
	v_cmp_gt_u32_e64 s[6:7], s31, v13
	v_mov_b32_e32 v19, 0x80
	s_and_saveexec_b64 s[30:31], s[6:7]
	s_cbranch_execz .LBB295_2163
; %bb.2158:
	s_mov_b32 s6, 0x3bffffff
	v_cmp_lt_u32_e64 s[6:7], s6, v13
	s_mov_b64 s[38:39], 0
                                        ; implicit-def: $vgpr13
	s_and_saveexec_b64 s[40:41], s[6:7]
	s_xor_b64 s[6:7], exec, s[40:41]
	s_cbranch_execz .LBB295_2499
; %bb.2159:
	v_bfe_u32 v13, v18, 20, 1
	s_mov_b32 s33, 0x487ffff
	v_add3_u32 v13, v12, v13, s33
	s_mov_b64 s[38:39], exec
	v_lshrrev_b32_e32 v13, 20, v13
	s_andn2_saveexec_b64 s[40:41], s[6:7]
	s_cbranch_execnz .LBB295_2500
.LBB295_2160:
	s_or_b64 exec, exec, s[40:41]
	v_mov_b32_e32 v19, 0
	s_and_saveexec_b64 s[6:7], s[38:39]
.LBB295_2161:
	v_lshrrev_b32_e32 v12, 24, v12
	s_movk_i32 s33, 0x80
	v_and_or_b32 v19, v12, s33, v13
.LBB295_2162:
	s_or_b64 exec, exec, s[6:7]
.LBB295_2163:
	s_or_b64 exec, exec, s[30:31]
.LBB295_2164:
	s_or_b64 exec, exec, s[28:29]
	s_or_b64 s[28:29], s[22:23], exec
.LBB295_2165:
	s_or_saveexec_b64 s[16:17], s[16:17]
	s_mov_b64 s[6:7], 0
	s_mov_b64 s[30:31], s[24:25]
	s_xor_b64 exec, exec, s[16:17]
	s_cbranch_execz .LBB295_2179
; %bb.2166:
	v_cmp_lt_i16_e64 s[6:7], 14, v6
	s_mov_b64 s[38:39], s[24:25]
	s_mov_b64 s[40:41], s[28:29]
                                        ; implicit-def: $vgpr19
	s_and_saveexec_b64 s[30:31], s[6:7]
	s_xor_b64 s[30:31], exec, s[30:31]
	s_cbranch_execz .LBB295_2176
; %bb.2167:
	v_cmp_eq_u16_e64 s[6:7], 15, v6
	s_mov_b64 s[42:43], -1
	s_mov_b64 s[40:41], s[28:29]
                                        ; implicit-def: $vgpr19
	s_and_saveexec_b64 s[38:39], s[6:7]
	s_cbranch_execz .LBB295_2175
; %bb.2168:
	flat_load_ushort v12, v[0:1]
	s_mov_b32 s6, 0x43800000
	s_waitcnt vmcnt(0) lgkmcnt(0)
	v_mov_b32_e32 v19, 0x80
	v_lshlrev_b32_e32 v18, 16, v12
	v_and_b32_e32 v13, 0x7fffffff, v18
	v_cmp_gt_u32_e64 s[6:7], s6, v13
	s_and_saveexec_b64 s[40:41], s[6:7]
	s_cbranch_execz .LBB295_2174
; %bb.2169:
	s_mov_b32 s6, 0x3bffffff
	v_cmp_lt_u32_e64 s[6:7], s6, v13
	s_mov_b64 s[42:43], 0
                                        ; implicit-def: $vgpr13
	s_and_saveexec_b64 s[44:45], s[6:7]
	s_xor_b64 s[6:7], exec, s[44:45]
	s_cbranch_execz .LBB295_2586
; %bb.2170:
	v_bfe_u32 v13, v12, 4, 1
	s_mov_b32 s33, 0x487ffff
	v_add3_u32 v13, v18, v13, s33
	s_mov_b64 s[42:43], exec
	v_lshrrev_b32_e32 v13, 20, v13
                                        ; implicit-def: $vgpr18
	s_andn2_saveexec_b64 s[44:45], s[6:7]
	s_cbranch_execnz .LBB295_2587
.LBB295_2171:
	s_or_b64 exec, exec, s[44:45]
	v_mov_b32_e32 v19, 0
	s_and_saveexec_b64 s[6:7], s[42:43]
.LBB295_2172:
	v_lshrrev_b32_e32 v12, 8, v12
	s_movk_i32 s33, 0x80
	v_and_or_b32 v19, v12, s33, v13
.LBB295_2173:
	s_or_b64 exec, exec, s[6:7]
.LBB295_2174:
	s_or_b64 exec, exec, s[40:41]
	s_or_b64 s[40:41], s[28:29], exec
	s_xor_b64 s[42:43], exec, -1
.LBB295_2175:
	s_or_b64 exec, exec, s[38:39]
	s_andn2_b64 s[6:7], s[28:29], exec
	s_and_b64 s[38:39], s[40:41], exec
	s_or_b64 s[40:41], s[6:7], s[38:39]
	s_andn2_b64 s[6:7], s[24:25], exec
	s_and_b64 s[38:39], s[42:43], exec
	s_or_b64 s[38:39], s[6:7], s[38:39]
.LBB295_2176:
	s_or_saveexec_b64 s[30:31], s[30:31]
	s_mov_b64 s[42:43], 0
	s_xor_b64 exec, exec, s[30:31]
; %bb.2177:
	v_cmp_ne_u16_e64 s[6:7], 11, v6
	s_andn2_b64 s[38:39], s[38:39], exec
	s_and_b64 s[6:7], s[6:7], exec
	s_mov_b64 s[42:43], exec
	s_or_b64 s[38:39], s[38:39], s[6:7]
; %bb.2178:
	s_or_b64 exec, exec, s[30:31]
	s_andn2_b64 s[6:7], s[28:29], exec
	s_and_b64 s[28:29], s[40:41], exec
	s_andn2_b64 s[30:31], s[24:25], exec
	s_and_b64 s[38:39], s[38:39], exec
	s_or_b64 s[28:29], s[6:7], s[28:29]
	s_and_b64 s[6:7], s[42:43], exec
	s_or_b64 s[30:31], s[30:31], s[38:39]
.LBB295_2179:
	s_or_b64 exec, exec, s[16:17]
	s_andn2_b64 s[16:17], s[22:23], exec
	s_and_b64 s[22:23], s[28:29], exec
	s_or_b64 s[22:23], s[16:17], s[22:23]
	s_and_b64 s[16:17], s[6:7], exec
	s_andn2_b64 s[6:7], s[24:25], exec
	s_and_b64 s[24:25], s[30:31], exec
	s_or_b64 s[24:25], s[6:7], s[24:25]
	s_or_b64 exec, exec, s[26:27]
	s_mov_b64 s[26:27], s[12:13]
	s_and_saveexec_b64 s[6:7], s[24:25]
	s_cbranch_execz .LBB295_839
.LBB295_2180:
	s_trap 2
	s_or_b64 s[26:27], s[12:13], exec
	s_andn2_b64 s[16:17], s[16:17], exec
	s_or_b64 exec, exec, s[6:7]
	s_and_saveexec_b64 s[6:7], s[16:17]
	s_xor_b64 s[16:17], exec, s[6:7]
	s_cbranch_execnz .LBB295_840
	s_branch .LBB295_847
.LBB295_2181:
	s_andn2_saveexec_b64 s[22:23], s[4:5]
	s_cbranch_execz .LBB295_637
.LBB295_2182:
	v_add_f32_e32 v0, 0x46000000, v1
	v_and_b32_e32 v0, 0xff, v0
	v_cmp_ne_u32_e64 s[4:5], 0, v0
	s_andn2_b64 s[20:21], s[20:21], exec
	s_and_b64 s[4:5], s[4:5], exec
	s_or_b64 s[20:21], s[20:21], s[4:5]
	s_or_b64 exec, exec, s[22:23]
	v_mov_b32_e32 v19, 0
	s_and_saveexec_b64 s[4:5], s[20:21]
	s_cbranch_execnz .LBB295_638
	s_branch .LBB295_639
.LBB295_2183:
	s_andn2_saveexec_b64 s[30:31], s[30:31]
	s_cbranch_execz .LBB295_1016
.LBB295_2184:
	v_cmp_lt_i16_e64 s[6:7], 22, v5
	s_mov_b64 s[38:39], s[26:27]
                                        ; implicit-def: $vgpr14
	s_and_saveexec_b64 s[22:23], s[6:7]
	s_xor_b64 s[22:23], exec, s[22:23]
	s_cbranch_execz .LBB295_2218
; %bb.2185:
	v_cmp_lt_i16_e64 s[6:7], 23, v5
                                        ; implicit-def: $vgpr14
	s_and_saveexec_b64 s[38:39], s[6:7]
	s_xor_b64 s[38:39], exec, s[38:39]
	s_cbranch_execz .LBB295_2209
; %bb.2186:
	v_cmp_lt_i16_e64 s[6:7], 24, v5
                                        ; implicit-def: $vgpr14
	s_and_saveexec_b64 s[40:41], s[6:7]
	s_xor_b64 s[40:41], exec, s[40:41]
	s_cbranch_execz .LBB295_2200
; %bb.2187:
	s_waitcnt vmcnt(0) lgkmcnt(0)
	flat_load_ubyte v14, v[0:1]
	s_movk_i32 s6, 0x7f
	s_mov_b64 s[42:43], 0
	s_waitcnt vmcnt(0) lgkmcnt(0)
	v_cmp_lt_i16_e64 s[6:7], s6, v14
	s_and_saveexec_b64 s[44:45], s[6:7]
	s_xor_b64 s[44:45], exec, s[44:45]
	s_cbranch_execz .LBB295_2588
; %bb.2188:
	s_movk_i32 s6, 0x80
	v_cmp_eq_u16_e64 s[6:7], s6, v14
	s_mov_b64 s[42:43], -1
	s_and_saveexec_b64 s[46:47], s[6:7]
; %bb.2189:
	s_xor_b64 s[42:43], exec, -1
; %bb.2190:
	s_or_b64 exec, exec, s[46:47]
	s_and_b64 s[42:43], s[42:43], exec
	s_or_saveexec_b64 s[44:45], s[44:45]
	v_mov_b32_e32 v15, 0x7f800001
	s_xor_b64 exec, exec, s[44:45]
	s_cbranch_execnz .LBB295_2589
.LBB295_2191:
	s_or_b64 exec, exec, s[44:45]
	s_and_saveexec_b64 s[44:45], s[42:43]
	s_cbranch_execz .LBB295_2193
.LBB295_2192:
	v_lshlrev_b32_e32 v15, 24, v14
	v_and_b32_e32 v14, 0xffff, v14
	v_and_b32_e32 v18, 3, v14
	v_ffbh_u32_e32 v21, v18
	v_min_u32_e32 v21, 32, v21
	v_subrev_u32_e32 v22, 29, v21
	v_bfe_u32 v20, v14, 2, 5
	v_lshlrev_b32_e32 v14, v22, v14
	v_sub_u32_e32 v21, 30, v21
	v_and_b32_e32 v14, 3, v14
	v_cmp_eq_u32_e64 s[6:7], 0, v20
	v_cndmask_b32_e64 v20, v20, v21, s[6:7]
	v_cndmask_b32_e64 v14, v18, v14, s[6:7]
	v_mov_b32_e32 v18, 0x37800000
	v_lshlrev_b32_e32 v14, 21, v14
	v_and_b32_e32 v15, 0x80000000, v15
	v_lshl_add_u32 v18, v20, 23, v18
	v_or3_b32 v15, v15, v18, v14
.LBB295_2193:
	s_or_b64 exec, exec, s[44:45]
	v_and_b32_e32 v18, 0x7fffffff, v15
	s_mov_b32 s6, 0x43800000
	v_cmp_gt_u32_e64 s[6:7], s6, v18
	v_mov_b32_e32 v14, 0x80
	s_and_saveexec_b64 s[42:43], s[6:7]
	s_cbranch_execz .LBB295_2199
; %bb.2194:
	s_mov_b32 s6, 0x3bffffff
	v_cmp_lt_u32_e64 s[6:7], s6, v18
	s_mov_b64 s[44:45], 0
                                        ; implicit-def: $vgpr18
	s_and_saveexec_b64 s[46:47], s[6:7]
	s_xor_b64 s[6:7], exec, s[46:47]
	s_cbranch_execz .LBB295_2671
; %bb.2195:
	v_bfe_u32 v14, v15, 20, 1
	s_mov_b32 s33, 0x487ffff
	v_add3_u32 v14, v15, v14, s33
	s_mov_b64 s[44:45], exec
	v_lshrrev_b32_e32 v18, 20, v14
	s_andn2_saveexec_b64 s[46:47], s[6:7]
	s_cbranch_execnz .LBB295_2672
.LBB295_2196:
	s_or_b64 exec, exec, s[46:47]
	v_mov_b32_e32 v14, 0
	s_and_saveexec_b64 s[6:7], s[44:45]
.LBB295_2197:
	v_lshrrev_b32_e32 v14, 24, v15
	s_movk_i32 s33, 0x80
	v_and_or_b32 v14, v14, s33, v18
.LBB295_2198:
	s_or_b64 exec, exec, s[6:7]
.LBB295_2199:
	s_or_b64 exec, exec, s[42:43]
.LBB295_2200:
	s_andn2_saveexec_b64 s[40:41], s[40:41]
	s_cbranch_execz .LBB295_2208
; %bb.2201:
	s_waitcnt vmcnt(0) lgkmcnt(0)
	flat_load_ubyte v14, v[0:1]
	s_mov_b32 s6, 0x7f800000
	s_brev_b32 s33, 1
	s_mov_b32 s42, 0x43800000
	s_waitcnt vmcnt(0) lgkmcnt(0)
	v_lshlrev_b32_e32 v14, 24, v14
	v_and_b32_e32 v15, 0x7f000000, v14
	v_ffbh_u32_e32 v18, v15
	v_min_u32_e32 v18, 32, v18
	v_sub_u32_e64 v18, v18, 4 clamp
	v_lshlrev_b32_e32 v21, v18, v15
	v_lshlrev_b32_e32 v18, 23, v18
	v_lshrrev_b32_e32 v21, 4, v21
	v_add_u32_e32 v20, 0x1000000, v15
	v_sub_u32_e32 v18, v21, v18
	v_ashrrev_i32_e32 v20, 8, v20
	v_add_u32_e32 v18, 0x3c000000, v18
	v_and_or_b32 v18, v20, s6, v18
	v_cmp_ne_u32_e64 s[6:7], 0, v15
	v_cndmask_b32_e64 v20, 0, v18, s[6:7]
	v_and_or_b32 v15, v14, s33, v20
	v_and_b32_e32 v18, 0x7fffffff, v15
	v_cmp_gt_u32_e64 s[6:7], s42, v18
	v_mov_b32_e32 v14, 0x80
	s_and_saveexec_b64 s[42:43], s[6:7]
	s_cbranch_execz .LBB295_2207
; %bb.2202:
	s_mov_b32 s6, 0x3bffffff
	v_cmp_lt_u32_e64 s[6:7], s6, v18
	s_mov_b64 s[44:45], 0
                                        ; implicit-def: $vgpr18
	s_and_saveexec_b64 s[46:47], s[6:7]
	s_xor_b64 s[6:7], exec, s[46:47]
	s_cbranch_execz .LBB295_2673
; %bb.2203:
	v_bfe_u32 v14, v20, 20, 1
	s_mov_b32 s33, 0x487ffff
	v_add3_u32 v14, v15, v14, s33
	s_mov_b64 s[44:45], exec
	v_lshrrev_b32_e32 v18, 20, v14
	s_andn2_saveexec_b64 s[46:47], s[6:7]
	s_cbranch_execnz .LBB295_2674
.LBB295_2204:
	s_or_b64 exec, exec, s[46:47]
	v_mov_b32_e32 v14, 0
	s_and_saveexec_b64 s[6:7], s[44:45]
.LBB295_2205:
	v_lshrrev_b32_e32 v14, 24, v15
	s_movk_i32 s33, 0x80
	v_and_or_b32 v14, v14, s33, v18
.LBB295_2206:
	s_or_b64 exec, exec, s[6:7]
.LBB295_2207:
	s_or_b64 exec, exec, s[42:43]
.LBB295_2208:
	s_or_b64 exec, exec, s[40:41]
.LBB295_2209:
	s_andn2_saveexec_b64 s[38:39], s[38:39]
	s_cbranch_execz .LBB295_2217
; %bb.2210:
	s_waitcnt vmcnt(0) lgkmcnt(0)
	flat_load_ubyte v14, v[0:1]
	s_movk_i32 s6, 0x7f00
	s_brev_b32 s7, 16
	s_brev_b32 s33, 1
	s_mov_b32 s40, 0x43800000
	s_waitcnt vmcnt(0) lgkmcnt(0)
	v_lshlrev_b16_e32 v15, 8, v14
	v_lshlrev_b32_e32 v14, 25, v14
	v_lshrrev_b32_e32 v18, 4, v14
	v_and_or_b32 v20, v15, s6, 0.5
	v_or_b32_e32 v18, 0x70000000, v18
	v_add_f32_e32 v20, -0.5, v20
	v_mul_f32_e32 v18, 0x7800000, v18
	v_cmp_gt_u32_e64 s[6:7], s7, v14
	v_bfe_i32 v15, v15, 0, 16
	v_cndmask_b32_e64 v20, v18, v20, s[6:7]
	v_and_or_b32 v15, v15, s33, v20
	v_and_b32_e32 v18, 0x7fffffff, v15
	v_cmp_gt_u32_e64 s[6:7], s40, v18
	v_mov_b32_e32 v14, 0x80
	s_and_saveexec_b64 s[40:41], s[6:7]
	s_cbranch_execz .LBB295_2216
; %bb.2211:
	s_mov_b32 s6, 0x3bffffff
	v_cmp_lt_u32_e64 s[6:7], s6, v18
	s_mov_b64 s[42:43], 0
                                        ; implicit-def: $vgpr18
	s_and_saveexec_b64 s[44:45], s[6:7]
	s_xor_b64 s[6:7], exec, s[44:45]
	s_cbranch_execz .LBB295_2590
; %bb.2212:
	v_bfe_u32 v14, v20, 20, 1
	s_mov_b32 s33, 0x487ffff
	v_add3_u32 v14, v15, v14, s33
	s_mov_b64 s[42:43], exec
	v_lshrrev_b32_e32 v18, 20, v14
	s_andn2_saveexec_b64 s[44:45], s[6:7]
	s_cbranch_execnz .LBB295_2591
.LBB295_2213:
	s_or_b64 exec, exec, s[44:45]
	v_mov_b32_e32 v14, 0
	s_and_saveexec_b64 s[6:7], s[42:43]
.LBB295_2214:
	v_lshrrev_b32_e32 v14, 24, v15
	s_movk_i32 s33, 0x80
	v_and_or_b32 v14, v14, s33, v18
.LBB295_2215:
	s_or_b64 exec, exec, s[6:7]
.LBB295_2216:
	s_or_b64 exec, exec, s[40:41]
.LBB295_2217:
	s_or_b64 exec, exec, s[38:39]
	s_or_b64 s[38:39], s[26:27], exec
.LBB295_2218:
	s_or_saveexec_b64 s[22:23], s[22:23]
	s_mov_b64 s[6:7], 0
	s_mov_b64 s[40:41], s[28:29]
	s_xor_b64 exec, exec, s[22:23]
	s_cbranch_execz .LBB295_2232
; %bb.2219:
	v_cmp_lt_i16_e64 s[6:7], 14, v5
	s_mov_b64 s[42:43], s[28:29]
	s_mov_b64 s[44:45], s[38:39]
                                        ; implicit-def: $vgpr14
	s_and_saveexec_b64 s[40:41], s[6:7]
	s_xor_b64 s[40:41], exec, s[40:41]
	s_cbranch_execz .LBB295_2229
; %bb.2220:
	v_cmp_eq_u16_e64 s[6:7], 15, v5
	s_mov_b64 s[46:47], -1
	s_mov_b64 s[44:45], s[38:39]
                                        ; implicit-def: $vgpr14
	s_and_saveexec_b64 s[42:43], s[6:7]
	s_cbranch_execz .LBB295_2228
; %bb.2221:
	flat_load_ushort v15, v[0:1]
	s_mov_b32 s6, 0x43800000
	s_waitcnt vmcnt(0) lgkmcnt(0)
	v_mov_b32_e32 v14, 0x80
	v_lshlrev_b32_e32 v20, 16, v15
	v_and_b32_e32 v18, 0x7fffffff, v20
	v_cmp_gt_u32_e64 s[6:7], s6, v18
	s_and_saveexec_b64 s[44:45], s[6:7]
	s_cbranch_execz .LBB295_2227
; %bb.2222:
	s_mov_b32 s6, 0x3bffffff
	v_cmp_lt_u32_e64 s[6:7], s6, v18
	s_mov_b64 s[46:47], 0
                                        ; implicit-def: $vgpr18
	s_and_saveexec_b64 s[48:49], s[6:7]
	s_xor_b64 s[6:7], exec, s[48:49]
	s_cbranch_execz .LBB295_2675
; %bb.2223:
	v_bfe_u32 v14, v15, 4, 1
	s_mov_b32 s33, 0x487ffff
	v_add3_u32 v14, v20, v14, s33
	s_mov_b64 s[46:47], exec
	v_lshrrev_b32_e32 v18, 20, v14
                                        ; implicit-def: $vgpr20
	s_andn2_saveexec_b64 s[48:49], s[6:7]
	s_cbranch_execnz .LBB295_2676
.LBB295_2224:
	s_or_b64 exec, exec, s[48:49]
	v_mov_b32_e32 v14, 0
	s_and_saveexec_b64 s[6:7], s[46:47]
.LBB295_2225:
	v_lshrrev_b32_e32 v14, 8, v15
	s_movk_i32 s33, 0x80
	v_and_or_b32 v14, v14, s33, v18
.LBB295_2226:
	s_or_b64 exec, exec, s[6:7]
.LBB295_2227:
	s_or_b64 exec, exec, s[44:45]
	s_or_b64 s[44:45], s[38:39], exec
	s_xor_b64 s[46:47], exec, -1
.LBB295_2228:
	s_or_b64 exec, exec, s[42:43]
	s_andn2_b64 s[6:7], s[38:39], exec
	s_and_b64 s[42:43], s[44:45], exec
	s_or_b64 s[44:45], s[6:7], s[42:43]
	s_andn2_b64 s[6:7], s[28:29], exec
	s_and_b64 s[42:43], s[46:47], exec
	s_or_b64 s[42:43], s[6:7], s[42:43]
.LBB295_2229:
	s_or_saveexec_b64 s[40:41], s[40:41]
	s_mov_b64 s[46:47], 0
	s_xor_b64 exec, exec, s[40:41]
; %bb.2230:
	v_cmp_ne_u16_e64 s[6:7], 11, v5
	s_andn2_b64 s[42:43], s[42:43], exec
	s_and_b64 s[6:7], s[6:7], exec
	s_mov_b64 s[46:47], exec
	s_or_b64 s[42:43], s[42:43], s[6:7]
; %bb.2231:
	s_or_b64 exec, exec, s[40:41]
	s_andn2_b64 s[6:7], s[38:39], exec
	s_and_b64 s[38:39], s[44:45], exec
	s_andn2_b64 s[40:41], s[28:29], exec
	s_and_b64 s[42:43], s[42:43], exec
	s_or_b64 s[38:39], s[6:7], s[38:39]
	s_and_b64 s[6:7], s[46:47], exec
	s_or_b64 s[40:41], s[40:41], s[42:43]
.LBB295_2232:
	s_or_b64 exec, exec, s[22:23]
	s_andn2_b64 s[22:23], s[26:27], exec
	s_and_b64 s[26:27], s[38:39], exec
	s_or_b64 s[26:27], s[22:23], s[26:27]
	s_and_b64 s[22:23], s[6:7], exec
	s_andn2_b64 s[6:7], s[28:29], exec
	s_and_b64 s[28:29], s[40:41], exec
	s_or_b64 s[28:29], s[6:7], s[28:29]
	s_or_b64 exec, exec, s[30:31]
	s_mov_b64 s[30:31], s[16:17]
	s_and_saveexec_b64 s[6:7], s[28:29]
	s_cbranch_execz .LBB295_1017
.LBB295_2233:
	s_trap 2
	s_or_b64 s[30:31], s[16:17], exec
	s_andn2_b64 s[22:23], s[22:23], exec
	s_or_b64 exec, exec, s[6:7]
	s_and_saveexec_b64 s[6:7], s[22:23]
	s_xor_b64 s[22:23], exec, s[6:7]
	s_cbranch_execnz .LBB295_1018
	s_branch .LBB295_1025
.LBB295_2234:
	s_andn2_saveexec_b64 s[22:23], s[4:5]
	s_cbranch_execz .LBB295_489
.LBB295_2235:
	s_mov_b32 s4, 0x46000000
	v_add_f32_e64 v1, |v0|, s4
	v_and_b32_e32 v1, 0xff, v1
	v_cmp_ne_u32_e64 s[4:5], 0, v1
	s_andn2_b64 s[20:21], s[20:21], exec
	s_and_b64 s[4:5], s[4:5], exec
	s_or_b64 s[20:21], s[20:21], s[4:5]
	s_or_b64 exec, exec, s[22:23]
	v_mov_b32_e32 v17, 0
	s_and_saveexec_b64 s[4:5], s[20:21]
	s_cbranch_execnz .LBB295_490
	s_branch .LBB295_491
.LBB295_2236:
	s_andn2_saveexec_b64 s[22:23], s[4:5]
	s_cbranch_execz .LBB295_517
.LBB295_2237:
	s_mov_b32 s4, 0x46000000
	v_add_f32_e64 v1, |v0|, s4
	v_and_b32_e32 v1, 0xff, v1
	v_cmp_ne_u32_e64 s[4:5], 0, v1
	s_andn2_b64 s[20:21], s[20:21], exec
	s_and_b64 s[4:5], s[4:5], exec
	s_or_b64 s[20:21], s[20:21], s[4:5]
	s_or_b64 exec, exec, s[22:23]
	v_mov_b32_e32 v17, 0
	s_and_saveexec_b64 s[4:5], s[20:21]
	s_cbranch_execnz .LBB295_518
	s_branch .LBB295_519
.LBB295_2238:
	s_andn2_saveexec_b64 s[22:23], s[4:5]
	s_cbranch_execz .LBB295_547
.LBB295_2239:
	s_mov_b32 s4, 0x46000000
	v_add_f32_e64 v1, |v0|, s4
	v_and_b32_e32 v1, 0xff, v1
	v_cmp_ne_u32_e64 s[4:5], 0, v1
	s_andn2_b64 s[20:21], s[20:21], exec
	s_and_b64 s[4:5], s[4:5], exec
	s_or_b64 s[20:21], s[20:21], s[4:5]
	s_or_b64 exec, exec, s[22:23]
	v_mov_b32_e32 v17, 0
	s_and_saveexec_b64 s[4:5], s[20:21]
	s_cbranch_execnz .LBB295_548
	s_branch .LBB295_549
.LBB295_2240:
	s_andn2_saveexec_b64 s[22:23], s[4:5]
	s_cbranch_execz .LBB295_557
.LBB295_2241:
	s_mov_b32 s4, 0x46000000
	v_add_f32_e64 v1, |v0|, s4
	v_and_b32_e32 v1, 0xff, v1
	v_cmp_ne_u32_e64 s[4:5], 0, v1
	s_andn2_b64 s[20:21], s[20:21], exec
	s_and_b64 s[4:5], s[4:5], exec
	s_or_b64 s[20:21], s[20:21], s[4:5]
	s_or_b64 exec, exec, s[22:23]
	v_mov_b32_e32 v17, 0
	s_and_saveexec_b64 s[4:5], s[20:21]
	s_cbranch_execnz .LBB295_558
	s_branch .LBB295_559
.LBB295_2242:
	s_andn2_saveexec_b64 s[22:23], s[4:5]
	s_cbranch_execz .LBB295_565
.LBB295_2243:
	v_add_f32_e32 v0, 0x46000000, v1
	v_and_b32_e32 v0, 0xff, v0
	v_cmp_ne_u32_e64 s[4:5], 0, v0
	s_andn2_b64 s[20:21], s[20:21], exec
	s_and_b64 s[4:5], s[4:5], exec
	s_or_b64 s[20:21], s[20:21], s[4:5]
	s_or_b64 exec, exec, s[22:23]
	v_mov_b32_e32 v17, 0
	s_and_saveexec_b64 s[4:5], s[20:21]
	s_cbranch_execnz .LBB295_566
	s_branch .LBB295_567
.LBB295_2244:
	s_andn2_saveexec_b64 s[30:31], s[6:7]
	s_cbranch_execz .LBB295_843
.LBB295_2245:
	v_add_f32_e32 v0, 0x46000000, v1
	v_and_b32_e32 v0, 0xff, v0
	v_cmp_ne_u32_e64 s[6:7], 0, v0
	s_andn2_b64 s[28:29], s[28:29], exec
	s_and_b64 s[6:7], s[6:7], exec
	s_or_b64 s[28:29], s[28:29], s[6:7]
	s_or_b64 exec, exec, s[30:31]
	v_mov_b32_e32 v19, 0
	s_and_saveexec_b64 s[6:7], s[28:29]
	s_cbranch_execnz .LBB295_844
	s_branch .LBB295_845
.LBB295_2246:
	s_or_saveexec_b64 s[26:27], s[26:27]
	v_mov_b32_e32 v0, 0x7f800001
	s_xor_b64 exec, exec, s[26:27]
	s_cbranch_execz .LBB295_1140
.LBB295_2247:
	v_mov_b32_e32 v0, 0
	v_cmp_ne_u16_sdwa s[30:31], v19, v0 src0_sel:BYTE_0 src1_sel:DWORD
	s_andn2_b64 s[6:7], s[6:7], exec
	s_and_b64 s[30:31], s[30:31], exec
	s_or_b64 s[6:7], s[6:7], s[30:31]
	s_or_b64 exec, exec, s[26:27]
	s_and_saveexec_b64 s[26:27], s[6:7]
	s_cbranch_execnz .LBB295_1141
	s_branch .LBB295_1142
.LBB295_2248:
	s_or_saveexec_b64 s[26:27], s[26:27]
	v_mov_b32_e32 v1, 0x7f800001
	s_xor_b64 exec, exec, s[26:27]
	s_cbranch_execz .LBB295_1146
.LBB295_2249:
	v_mov_b32_e32 v1, 0
	v_cmp_ne_u16_sdwa s[30:31], v14, v1 src0_sel:BYTE_0 src1_sel:DWORD
	s_andn2_b64 s[6:7], s[6:7], exec
	s_and_b64 s[30:31], s[30:31], exec
	s_or_b64 s[6:7], s[6:7], s[30:31]
	s_or_b64 exec, exec, s[26:27]
	s_and_saveexec_b64 s[26:27], s[6:7]
	s_cbranch_execnz .LBB295_1147
	s_branch .LBB295_1148
.LBB295_2250:
	s_or_saveexec_b64 s[30:31], s[30:31]
	v_mov_b32_e32 v0, 0x7f800001
	s_xor_b64 exec, exec, s[30:31]
	s_cbranch_execz .LBB295_1154
.LBB295_2251:
	v_mov_b32_e32 v0, 0
	v_cmp_ne_u16_sdwa s[38:39], v19, v0 src0_sel:BYTE_0 src1_sel:DWORD
	s_andn2_b64 s[6:7], s[6:7], exec
	s_and_b64 s[38:39], s[38:39], exec
	s_or_b64 s[6:7], s[6:7], s[38:39]
	s_or_b64 exec, exec, s[30:31]
	s_and_saveexec_b64 s[30:31], s[6:7]
	s_cbranch_execnz .LBB295_1155
	s_branch .LBB295_1156
.LBB295_2252:
	s_or_saveexec_b64 s[30:31], s[30:31]
	v_mov_b32_e32 v1, 0x7f800001
	s_xor_b64 exec, exec, s[30:31]
	s_cbranch_execz .LBB295_1160
.LBB295_2253:
	v_mov_b32_e32 v1, 0
	v_cmp_ne_u16_sdwa s[38:39], v14, v1 src0_sel:BYTE_0 src1_sel:DWORD
	s_andn2_b64 s[6:7], s[6:7], exec
	s_and_b64 s[38:39], s[38:39], exec
	s_or_b64 s[6:7], s[6:7], s[38:39]
	s_or_b64 exec, exec, s[30:31]
	s_and_saveexec_b64 s[30:31], s[6:7]
	s_cbranch_execnz .LBB295_1161
	s_branch .LBB295_1162
.LBB295_2254:
	s_andn2_saveexec_b64 s[42:43], s[42:43]
	s_cbranch_execz .LBB295_1222
.LBB295_2255:
	v_cmp_lt_i16_e64 s[6:7], 22, v6
	s_mov_b64 s[44:45], s[38:39]
                                        ; implicit-def: $vgpr10
	s_and_saveexec_b64 s[28:29], s[6:7]
	s_xor_b64 s[28:29], exec, s[28:29]
	s_cbranch_execz .LBB295_2289
; %bb.2256:
	v_cmp_lt_i16_e64 s[6:7], 23, v6
                                        ; implicit-def: $vgpr10
	s_and_saveexec_b64 s[44:45], s[6:7]
	s_xor_b64 s[44:45], exec, s[44:45]
	s_cbranch_execz .LBB295_2280
; %bb.2257:
	v_cmp_lt_i16_e64 s[6:7], 24, v6
                                        ; implicit-def: $vgpr10
	s_and_saveexec_b64 s[46:47], s[6:7]
	s_xor_b64 s[46:47], exec, s[46:47]
	s_cbranch_execz .LBB295_2271
; %bb.2258:
	s_waitcnt vmcnt(0) lgkmcnt(0)
	flat_load_ubyte v10, v[0:1]
	s_movk_i32 s6, 0x7f
	s_mov_b64 s[48:49], 0
	s_waitcnt vmcnt(0) lgkmcnt(0)
	v_cmp_lt_i16_e64 s[6:7], s6, v10
	s_and_saveexec_b64 s[50:51], s[6:7]
	s_xor_b64 s[50:51], exec, s[50:51]
	s_cbranch_execz .LBB295_2677
; %bb.2259:
	s_movk_i32 s6, 0x80
	v_cmp_eq_u16_e64 s[6:7], s6, v10
	s_mov_b64 s[48:49], -1
	s_and_saveexec_b64 s[52:53], s[6:7]
; %bb.2260:
	s_xor_b64 s[48:49], exec, -1
; %bb.2261:
	s_or_b64 exec, exec, s[52:53]
	s_and_b64 s[48:49], s[48:49], exec
	s_or_saveexec_b64 s[50:51], s[50:51]
	v_mov_b32_e32 v6, 0x7f800001
	s_xor_b64 exec, exec, s[50:51]
	s_cbranch_execnz .LBB295_2678
.LBB295_2262:
	s_or_b64 exec, exec, s[50:51]
	s_and_saveexec_b64 s[50:51], s[48:49]
	s_cbranch_execz .LBB295_2264
.LBB295_2263:
	v_lshlrev_b32_e32 v6, 24, v10
	v_and_b32_e32 v10, 0xffff, v10
	v_and_b32_e32 v11, 3, v10
	v_ffbh_u32_e32 v15, v11
	v_min_u32_e32 v15, 32, v15
	v_subrev_u32_e32 v16, 29, v15
	v_bfe_u32 v14, v10, 2, 5
	v_lshlrev_b32_e32 v10, v16, v10
	v_sub_u32_e32 v15, 30, v15
	v_and_b32_e32 v10, 3, v10
	v_cmp_eq_u32_e64 s[6:7], 0, v14
	v_cndmask_b32_e64 v14, v14, v15, s[6:7]
	v_cndmask_b32_e64 v10, v11, v10, s[6:7]
	v_mov_b32_e32 v11, 0x37800000
	v_lshlrev_b32_e32 v10, 21, v10
	v_and_b32_e32 v6, 0x80000000, v6
	v_lshl_add_u32 v11, v14, 23, v11
	v_or3_b32 v6, v6, v11, v10
.LBB295_2264:
	s_or_b64 exec, exec, s[50:51]
	v_and_b32_e32 v11, 0x7fffffff, v6
	s_mov_b32 s6, 0x43800000
	v_cmp_gt_u32_e64 s[6:7], s6, v11
	v_mov_b32_e32 v10, 0x80
	s_and_saveexec_b64 s[48:49], s[6:7]
	s_cbranch_execz .LBB295_2270
; %bb.2265:
	s_mov_b32 s6, 0x3bffffff
	v_cmp_lt_u32_e64 s[6:7], s6, v11
	s_mov_b64 s[50:51], 0
                                        ; implicit-def: $vgpr11
	s_and_saveexec_b64 s[52:53], s[6:7]
	s_xor_b64 s[6:7], exec, s[52:53]
	s_cbranch_execz .LBB295_2758
; %bb.2266:
	v_bfe_u32 v10, v6, 20, 1
	s_mov_b32 s33, 0x487ffff
	v_add3_u32 v10, v6, v10, s33
	s_mov_b64 s[50:51], exec
	v_lshrrev_b32_e32 v11, 20, v10
	s_andn2_saveexec_b64 s[52:53], s[6:7]
	s_cbranch_execnz .LBB295_2759
.LBB295_2267:
	s_or_b64 exec, exec, s[52:53]
	v_mov_b32_e32 v10, 0
	s_and_saveexec_b64 s[6:7], s[50:51]
.LBB295_2268:
	v_lshrrev_b32_e32 v6, 24, v6
	s_movk_i32 s33, 0x80
	v_and_or_b32 v10, v6, s33, v11
.LBB295_2269:
	s_or_b64 exec, exec, s[6:7]
.LBB295_2270:
	s_or_b64 exec, exec, s[48:49]
.LBB295_2271:
	s_andn2_saveexec_b64 s[46:47], s[46:47]
	s_cbranch_execz .LBB295_2279
; %bb.2272:
	flat_load_ubyte v6, v[0:1]
	s_mov_b32 s6, 0x7f800000
	s_brev_b32 s33, 1
	s_mov_b32 s48, 0x43800000
	s_waitcnt vmcnt(0) lgkmcnt(0)
	v_lshlrev_b32_e32 v6, 24, v6
	v_and_b32_e32 v10, 0x7f000000, v6
	v_ffbh_u32_e32 v11, v10
	v_min_u32_e32 v11, 32, v11
	v_sub_u32_e64 v11, v11, 4 clamp
	v_lshlrev_b32_e32 v15, v11, v10
	v_lshlrev_b32_e32 v11, 23, v11
	v_lshrrev_b32_e32 v15, 4, v15
	v_add_u32_e32 v14, 0x1000000, v10
	v_sub_u32_e32 v11, v15, v11
	v_ashrrev_i32_e32 v14, 8, v14
	v_add_u32_e32 v11, 0x3c000000, v11
	v_and_or_b32 v11, v14, s6, v11
	v_cmp_ne_u32_e64 s[6:7], 0, v10
	v_cndmask_b32_e64 v14, 0, v11, s[6:7]
	v_and_or_b32 v6, v6, s33, v14
	v_and_b32_e32 v11, 0x7fffffff, v6
	v_cmp_gt_u32_e64 s[6:7], s48, v11
	v_mov_b32_e32 v10, 0x80
	s_and_saveexec_b64 s[48:49], s[6:7]
	s_cbranch_execz .LBB295_2278
; %bb.2273:
	s_mov_b32 s6, 0x3bffffff
	v_cmp_lt_u32_e64 s[6:7], s6, v11
	s_mov_b64 s[50:51], 0
                                        ; implicit-def: $vgpr11
	s_and_saveexec_b64 s[52:53], s[6:7]
	s_xor_b64 s[6:7], exec, s[52:53]
	s_cbranch_execz .LBB295_2760
; %bb.2274:
	v_bfe_u32 v10, v14, 20, 1
	s_mov_b32 s33, 0x487ffff
	v_add3_u32 v10, v6, v10, s33
	s_mov_b64 s[50:51], exec
	v_lshrrev_b32_e32 v11, 20, v10
	s_andn2_saveexec_b64 s[52:53], s[6:7]
	s_cbranch_execnz .LBB295_2761
.LBB295_2275:
	s_or_b64 exec, exec, s[52:53]
	v_mov_b32_e32 v10, 0
	s_and_saveexec_b64 s[6:7], s[50:51]
.LBB295_2276:
	v_lshrrev_b32_e32 v6, 24, v6
	s_movk_i32 s33, 0x80
	v_and_or_b32 v10, v6, s33, v11
.LBB295_2277:
	s_or_b64 exec, exec, s[6:7]
.LBB295_2278:
	s_or_b64 exec, exec, s[48:49]
.LBB295_2279:
	s_or_b64 exec, exec, s[46:47]
.LBB295_2280:
	s_andn2_saveexec_b64 s[44:45], s[44:45]
	s_cbranch_execz .LBB295_2288
; %bb.2281:
	flat_load_ubyte v6, v[0:1]
	s_movk_i32 s6, 0x7f00
	s_brev_b32 s7, 16
	s_brev_b32 s33, 1
	s_mov_b32 s46, 0x43800000
	s_waitcnt vmcnt(0) lgkmcnt(0)
	v_lshlrev_b16_e32 v10, 8, v6
	v_lshlrev_b32_e32 v6, 25, v6
	v_lshrrev_b32_e32 v11, 4, v6
	v_and_or_b32 v14, v10, s6, 0.5
	v_or_b32_e32 v11, 0x70000000, v11
	v_add_f32_e32 v14, -0.5, v14
	v_mul_f32_e32 v11, 0x7800000, v11
	v_cmp_gt_u32_e64 s[6:7], s7, v6
	v_bfe_i32 v10, v10, 0, 16
	v_cndmask_b32_e64 v14, v11, v14, s[6:7]
	v_and_or_b32 v6, v10, s33, v14
	v_and_b32_e32 v11, 0x7fffffff, v6
	v_cmp_gt_u32_e64 s[6:7], s46, v11
	v_mov_b32_e32 v10, 0x80
	s_and_saveexec_b64 s[46:47], s[6:7]
	s_cbranch_execz .LBB295_2287
; %bb.2282:
	s_mov_b32 s6, 0x3bffffff
	v_cmp_lt_u32_e64 s[6:7], s6, v11
	s_mov_b64 s[48:49], 0
                                        ; implicit-def: $vgpr11
	s_and_saveexec_b64 s[50:51], s[6:7]
	s_xor_b64 s[6:7], exec, s[50:51]
	s_cbranch_execz .LBB295_2679
; %bb.2283:
	v_bfe_u32 v10, v14, 20, 1
	s_mov_b32 s33, 0x487ffff
	v_add3_u32 v10, v6, v10, s33
	s_mov_b64 s[48:49], exec
	v_lshrrev_b32_e32 v11, 20, v10
	s_andn2_saveexec_b64 s[50:51], s[6:7]
	s_cbranch_execnz .LBB295_2680
.LBB295_2284:
	s_or_b64 exec, exec, s[50:51]
	v_mov_b32_e32 v10, 0
	s_and_saveexec_b64 s[6:7], s[48:49]
.LBB295_2285:
	v_lshrrev_b32_e32 v6, 24, v6
	s_movk_i32 s33, 0x80
	v_and_or_b32 v10, v6, s33, v11
.LBB295_2286:
	s_or_b64 exec, exec, s[6:7]
.LBB295_2287:
	s_or_b64 exec, exec, s[46:47]
.LBB295_2288:
	s_or_b64 exec, exec, s[44:45]
	s_or_b64 s[44:45], s[38:39], exec
                                        ; implicit-def: $vgpr6
.LBB295_2289:
	s_or_saveexec_b64 s[28:29], s[28:29]
	s_mov_b64 s[6:7], 0
	s_mov_b64 s[46:47], s[40:41]
	s_xor_b64 exec, exec, s[28:29]
	s_cbranch_execz .LBB295_2303
; %bb.2290:
	v_cmp_lt_i16_e64 s[6:7], 14, v6
	s_mov_b64 s[48:49], s[40:41]
	s_mov_b64 s[50:51], s[44:45]
                                        ; implicit-def: $vgpr10
	s_and_saveexec_b64 s[46:47], s[6:7]
	s_xor_b64 s[46:47], exec, s[46:47]
	s_cbranch_execz .LBB295_2300
; %bb.2291:
	v_cmp_eq_u16_e64 s[6:7], 15, v6
	s_mov_b64 s[52:53], -1
	s_mov_b64 s[50:51], s[44:45]
                                        ; implicit-def: $vgpr10
	s_and_saveexec_b64 s[48:49], s[6:7]
	s_cbranch_execz .LBB295_2299
; %bb.2292:
	flat_load_ushort v6, v[0:1]
	s_mov_b32 s6, 0x43800000
	s_waitcnt vmcnt(0) lgkmcnt(0)
	v_mov_b32_e32 v10, 0x80
	v_lshlrev_b32_e32 v14, 16, v6
	v_and_b32_e32 v11, 0x7fffffff, v14
	v_cmp_gt_u32_e64 s[6:7], s6, v11
	s_and_saveexec_b64 s[50:51], s[6:7]
	s_cbranch_execz .LBB295_2298
; %bb.2293:
	s_mov_b32 s6, 0x3bffffff
	v_cmp_lt_u32_e64 s[6:7], s6, v11
	s_mov_b64 s[52:53], 0
                                        ; implicit-def: $vgpr11
	s_and_saveexec_b64 s[54:55], s[6:7]
	s_xor_b64 s[6:7], exec, s[54:55]
	s_cbranch_execz .LBB295_2762
; %bb.2294:
	v_bfe_u32 v10, v6, 4, 1
	s_mov_b32 s33, 0x487ffff
	v_add3_u32 v10, v14, v10, s33
	s_mov_b64 s[52:53], exec
	v_lshrrev_b32_e32 v11, 20, v10
                                        ; implicit-def: $vgpr14
	s_andn2_saveexec_b64 s[54:55], s[6:7]
	s_cbranch_execnz .LBB295_2763
.LBB295_2295:
	s_or_b64 exec, exec, s[54:55]
	v_mov_b32_e32 v10, 0
	s_and_saveexec_b64 s[6:7], s[52:53]
.LBB295_2296:
	v_lshrrev_b32_e32 v6, 8, v6
	s_movk_i32 s33, 0x80
	v_and_or_b32 v10, v6, s33, v11
.LBB295_2297:
	s_or_b64 exec, exec, s[6:7]
.LBB295_2298:
	s_or_b64 exec, exec, s[50:51]
	s_or_b64 s[50:51], s[44:45], exec
	s_xor_b64 s[52:53], exec, -1
.LBB295_2299:
	s_or_b64 exec, exec, s[48:49]
	s_andn2_b64 s[6:7], s[44:45], exec
	s_and_b64 s[48:49], s[50:51], exec
	s_or_b64 s[50:51], s[6:7], s[48:49]
	s_andn2_b64 s[6:7], s[40:41], exec
	s_and_b64 s[48:49], s[52:53], exec
	s_or_b64 s[48:49], s[6:7], s[48:49]
                                        ; implicit-def: $vgpr6
.LBB295_2300:
	s_or_saveexec_b64 s[46:47], s[46:47]
	s_mov_b64 s[52:53], 0
	s_xor_b64 exec, exec, s[46:47]
; %bb.2301:
	v_cmp_ne_u16_e64 s[6:7], 11, v6
	s_andn2_b64 s[48:49], s[48:49], exec
	s_and_b64 s[6:7], s[6:7], exec
	s_mov_b64 s[52:53], exec
	s_or_b64 s[48:49], s[48:49], s[6:7]
; %bb.2302:
	s_or_b64 exec, exec, s[46:47]
	s_andn2_b64 s[6:7], s[44:45], exec
	s_and_b64 s[44:45], s[50:51], exec
	s_andn2_b64 s[46:47], s[40:41], exec
	s_and_b64 s[48:49], s[48:49], exec
	s_or_b64 s[44:45], s[6:7], s[44:45]
	s_and_b64 s[6:7], s[52:53], exec
	s_or_b64 s[46:47], s[46:47], s[48:49]
.LBB295_2303:
	s_or_b64 exec, exec, s[28:29]
	s_andn2_b64 s[28:29], s[38:39], exec
	s_and_b64 s[38:39], s[44:45], exec
	s_or_b64 s[38:39], s[28:29], s[38:39]
	s_and_b64 s[28:29], s[6:7], exec
	s_andn2_b64 s[6:7], s[40:41], exec
	s_and_b64 s[40:41], s[46:47], exec
	s_or_b64 s[40:41], s[6:7], s[40:41]
	s_or_b64 exec, exec, s[42:43]
	s_mov_b64 s[42:43], s[22:23]
	s_and_saveexec_b64 s[6:7], s[40:41]
	s_cbranch_execz .LBB295_1223
.LBB295_2304:
	s_trap 2
	s_or_b64 s[42:43], s[22:23], exec
	s_andn2_b64 s[28:29], s[28:29], exec
	s_or_b64 exec, exec, s[6:7]
	s_and_saveexec_b64 s[6:7], s[28:29]
	s_xor_b64 s[28:29], exec, s[6:7]
	s_cbranch_execnz .LBB295_1224
	s_branch .LBB295_1231
.LBB295_2305:
	s_or_saveexec_b64 s[22:23], s[22:23]
	v_mov_b32_e32 v5, 0x7f800001
	s_xor_b64 exec, exec, s[22:23]
	s_cbranch_execz .LBB295_1942
.LBB295_2306:
	v_cmp_ne_u16_e64 s[4:5], 0, v8
	s_andn2_b64 s[20:21], s[20:21], exec
	s_and_b64 s[4:5], s[4:5], exec
	v_mov_b32_e32 v5, 0
	s_or_b64 s[20:21], s[20:21], s[4:5]
	s_or_b64 exec, exec, s[22:23]
	s_and_saveexec_b64 s[22:23], s[20:21]
	s_cbranch_execnz .LBB295_1943
	s_branch .LBB295_1944
.LBB295_2307:
	s_andn2_saveexec_b64 s[22:23], s[4:5]
	s_cbranch_execz .LBB295_1964
.LBB295_2308:
	s_mov_b32 s4, 0x46000000
	v_add_f32_e64 v8, |v5|, s4
	v_and_b32_e32 v8, 0xff, v8
	v_cmp_ne_u32_e64 s[4:5], 0, v8
	s_andn2_b64 s[20:21], s[20:21], exec
	s_and_b64 s[4:5], s[4:5], exec
	s_or_b64 s[20:21], s[20:21], s[4:5]
	s_or_b64 exec, exec, s[22:23]
	v_mov_b32_e32 v17, 0
	s_and_saveexec_b64 s[4:5], s[20:21]
	s_cbranch_execnz .LBB295_1965
	s_branch .LBB295_1966
.LBB295_2309:
	s_andn2_saveexec_b64 s[22:23], s[4:5]
	s_cbranch_execz .LBB295_33
.LBB295_2310:
	v_add_f32_e32 v2, 0x46000000, v3
	v_and_b32_e32 v2, 0xff, v2
	v_cmp_ne_u32_e64 s[4:5], 0, v2
	s_andn2_b64 s[20:21], s[20:21], exec
	s_and_b64 s[4:5], s[4:5], exec
	s_or_b64 s[20:21], s[20:21], s[4:5]
	s_or_b64 exec, exec, s[22:23]
	v_mov_b32_e32 v4, 0
	s_and_saveexec_b64 s[4:5], s[20:21]
	s_cbranch_execnz .LBB295_34
	s_branch .LBB295_35
.LBB295_2311:
	s_andn2_saveexec_b64 s[26:27], s[4:5]
	s_cbranch_execz .LBB295_425
.LBB295_2312:
	v_add_f32_e32 v5, 0x46000000, v8
	v_and_b32_e32 v5, 0xff, v5
	v_cmp_ne_u32_e64 s[4:5], 0, v5
	s_andn2_b64 s[24:25], s[24:25], exec
	s_and_b64 s[4:5], s[4:5], exec
	s_or_b64 s[24:25], s[24:25], s[4:5]
	s_or_b64 exec, exec, s[26:27]
	v_mov_b32_e32 v17, 0
	s_and_saveexec_b64 s[4:5], s[24:25]
	s_cbranch_execnz .LBB295_426
	s_branch .LBB295_427
.LBB295_2313:
	s_andn2_saveexec_b64 s[26:27], s[4:5]
	s_cbranch_execz .LBB295_437
.LBB295_2314:
	v_add_f32_e32 v5, 0x46000000, v8
	v_and_b32_e32 v5, 0xff, v5
	v_cmp_ne_u32_e64 s[4:5], 0, v5
	s_andn2_b64 s[24:25], s[24:25], exec
	s_and_b64 s[4:5], s[4:5], exec
	s_or_b64 s[24:25], s[24:25], s[4:5]
	s_or_b64 exec, exec, s[26:27]
	v_mov_b32_e32 v17, 0
	s_and_saveexec_b64 s[4:5], s[24:25]
	s_cbranch_execnz .LBB295_438
	s_branch .LBB295_439
.LBB295_2315:
	s_andn2_saveexec_b64 s[26:27], s[4:5]
	s_cbranch_execz .LBB295_445
.LBB295_2316:
	v_add_f32_e32 v5, 0x46000000, v8
	v_and_b32_e32 v5, 0xff, v5
	v_cmp_ne_u32_e64 s[4:5], 0, v5
	s_andn2_b64 s[24:25], s[24:25], exec
	s_and_b64 s[4:5], s[4:5], exec
	s_or_b64 s[24:25], s[24:25], s[4:5]
	s_or_b64 exec, exec, s[26:27]
	v_mov_b32_e32 v17, 0
	s_and_saveexec_b64 s[4:5], s[24:25]
	s_cbranch_execnz .LBB295_446
	s_branch .LBB295_447
.LBB295_2317:
	s_andn2_saveexec_b64 s[24:25], s[4:5]
	s_cbranch_execz .LBB295_472
.LBB295_2318:
	s_mov_b32 s4, 0x46000000
	v_add_f32_e64 v1, |v0|, s4
	v_and_b32_e32 v1, 0xff, v1
	v_cmp_ne_u32_e64 s[4:5], 0, v1
	s_andn2_b64 s[22:23], s[22:23], exec
	s_and_b64 s[4:5], s[4:5], exec
	s_or_b64 s[22:23], s[22:23], s[4:5]
	s_or_b64 exec, exec, s[24:25]
	v_mov_b32_e32 v17, 0
	s_and_saveexec_b64 s[4:5], s[22:23]
	s_cbranch_execnz .LBB295_473
	s_branch .LBB295_474
.LBB295_2319:
	s_andn2_saveexec_b64 s[24:25], s[4:5]
	s_cbranch_execz .LBB295_480
.LBB295_2320:
	s_mov_b32 s4, 0x46000000
	v_add_f32_e64 v1, |v0|, s4
	v_and_b32_e32 v1, 0xff, v1
	v_cmp_ne_u32_e64 s[4:5], 0, v1
	s_andn2_b64 s[22:23], s[22:23], exec
	s_and_b64 s[4:5], s[4:5], exec
	s_or_b64 s[22:23], s[22:23], s[4:5]
	s_or_b64 exec, exec, s[24:25]
	v_mov_b32_e32 v17, 0
	s_and_saveexec_b64 s[4:5], s[22:23]
	s_cbranch_execnz .LBB295_481
	s_branch .LBB295_482
.LBB295_2321:
	s_andn2_saveexec_b64 s[24:25], s[4:5]
	s_cbranch_execz .LBB295_500
.LBB295_2322:
	s_mov_b32 s4, 0x46000000
	v_add_f32_e64 v1, |v0|, s4
	v_and_b32_e32 v1, 0xff, v1
	v_cmp_ne_u32_e64 s[4:5], 0, v1
	s_andn2_b64 s[22:23], s[22:23], exec
	s_and_b64 s[4:5], s[4:5], exec
	s_or_b64 s[22:23], s[22:23], s[4:5]
	s_or_b64 exec, exec, s[24:25]
	v_mov_b32_e32 v17, 0
	s_and_saveexec_b64 s[4:5], s[22:23]
	s_cbranch_execnz .LBB295_501
	s_branch .LBB295_502
.LBB295_2323:
	s_andn2_saveexec_b64 s[24:25], s[4:5]
	s_cbranch_execz .LBB295_508
.LBB295_2324:
	s_mov_b32 s4, 0x46000000
	v_add_f32_e64 v1, |v0|, s4
	v_and_b32_e32 v1, 0xff, v1
	v_cmp_ne_u32_e64 s[4:5], 0, v1
	s_andn2_b64 s[22:23], s[22:23], exec
	s_and_b64 s[4:5], s[4:5], exec
	s_or_b64 s[22:23], s[22:23], s[4:5]
	s_or_b64 exec, exec, s[24:25]
	v_mov_b32_e32 v17, 0
	s_and_saveexec_b64 s[4:5], s[22:23]
	s_cbranch_execnz .LBB295_509
	s_branch .LBB295_510
.LBB295_2325:
	s_andn2_saveexec_b64 s[24:25], s[4:5]
	s_cbranch_execz .LBB295_530
.LBB295_2326:
	s_mov_b32 s4, 0x46000000
	v_add_f32_e64 v1, |v0|, s4
	v_and_b32_e32 v1, 0xff, v1
	v_cmp_ne_u32_e64 s[4:5], 0, v1
	s_andn2_b64 s[22:23], s[22:23], exec
	s_and_b64 s[4:5], s[4:5], exec
	s_or_b64 s[22:23], s[22:23], s[4:5]
	s_or_b64 exec, exec, s[24:25]
	v_mov_b32_e32 v17, 0
	s_and_saveexec_b64 s[4:5], s[22:23]
	s_cbranch_execnz .LBB295_531
	s_branch .LBB295_532
.LBB295_2327:
	s_andn2_saveexec_b64 s[24:25], s[4:5]
	s_cbranch_execz .LBB295_538
.LBB295_2328:
	s_mov_b32 s4, 0x46000000
	v_add_f32_e64 v1, |v0|, s4
	v_and_b32_e32 v1, 0xff, v1
	v_cmp_ne_u32_e64 s[4:5], 0, v1
	s_andn2_b64 s[22:23], s[22:23], exec
	s_and_b64 s[4:5], s[4:5], exec
	s_or_b64 s[22:23], s[22:23], s[4:5]
	s_or_b64 exec, exec, s[24:25]
	v_mov_b32_e32 v17, 0
	s_and_saveexec_b64 s[4:5], s[22:23]
	s_cbranch_execnz .LBB295_539
	s_branch .LBB295_540
.LBB295_2329:
	s_andn2_saveexec_b64 s[26:27], s[4:5]
	s_cbranch_execz .LBB295_667
.LBB295_2330:
	s_mov_b32 s4, 0x46000000
	v_add_f32_e64 v1, |v0|, s4
	v_and_b32_e32 v1, 0xff, v1
	v_cmp_ne_u32_e64 s[4:5], 0, v1
	s_andn2_b64 s[24:25], s[24:25], exec
	s_and_b64 s[4:5], s[4:5], exec
	s_or_b64 s[24:25], s[24:25], s[4:5]
	s_or_b64 exec, exec, s[26:27]
	v_mov_b32_e32 v19, 0
	s_and_saveexec_b64 s[4:5], s[24:25]
	s_cbranch_execnz .LBB295_668
	s_branch .LBB295_669
.LBB295_2331:
	s_andn2_saveexec_b64 s[26:27], s[4:5]
	s_cbranch_execz .LBB295_695
.LBB295_2332:
	s_mov_b32 s4, 0x46000000
	v_add_f32_e64 v1, |v0|, s4
	v_and_b32_e32 v1, 0xff, v1
	v_cmp_ne_u32_e64 s[4:5], 0, v1
	s_andn2_b64 s[24:25], s[24:25], exec
	s_and_b64 s[4:5], s[4:5], exec
	s_or_b64 s[24:25], s[24:25], s[4:5]
	s_or_b64 exec, exec, s[26:27]
	v_mov_b32_e32 v19, 0
	s_and_saveexec_b64 s[4:5], s[24:25]
	s_cbranch_execnz .LBB295_696
	s_branch .LBB295_697
.LBB295_2333:
	s_andn2_saveexec_b64 s[26:27], s[4:5]
	s_cbranch_execz .LBB295_725
.LBB295_2334:
	s_mov_b32 s4, 0x46000000
	v_add_f32_e64 v1, |v0|, s4
	v_and_b32_e32 v1, 0xff, v1
	v_cmp_ne_u32_e64 s[4:5], 0, v1
	s_andn2_b64 s[24:25], s[24:25], exec
	s_and_b64 s[4:5], s[4:5], exec
	s_or_b64 s[24:25], s[24:25], s[4:5]
	s_or_b64 exec, exec, s[26:27]
	v_mov_b32_e32 v19, 0
	s_and_saveexec_b64 s[4:5], s[24:25]
	s_cbranch_execnz .LBB295_726
	s_branch .LBB295_727
.LBB295_2335:
	s_andn2_saveexec_b64 s[26:27], s[4:5]
	s_cbranch_execz .LBB295_735
.LBB295_2336:
	s_mov_b32 s4, 0x46000000
	v_add_f32_e64 v1, |v0|, s4
	v_and_b32_e32 v1, 0xff, v1
	v_cmp_ne_u32_e64 s[4:5], 0, v1
	s_andn2_b64 s[24:25], s[24:25], exec
	s_and_b64 s[4:5], s[4:5], exec
	s_or_b64 s[24:25], s[24:25], s[4:5]
	s_or_b64 exec, exec, s[26:27]
	v_mov_b32_e32 v19, 0
	s_and_saveexec_b64 s[4:5], s[24:25]
	s_cbranch_execnz .LBB295_736
	s_branch .LBB295_737
.LBB295_2337:
	s_andn2_saveexec_b64 s[26:27], s[4:5]
	s_cbranch_execz .LBB295_743
.LBB295_2338:
	v_add_f32_e32 v0, 0x46000000, v1
	v_and_b32_e32 v0, 0xff, v0
	v_cmp_ne_u32_e64 s[4:5], 0, v0
	s_andn2_b64 s[24:25], s[24:25], exec
	s_and_b64 s[4:5], s[4:5], exec
	s_or_b64 s[24:25], s[24:25], s[4:5]
	s_or_b64 exec, exec, s[26:27]
	v_mov_b32_e32 v19, 0
	s_and_saveexec_b64 s[4:5], s[24:25]
	s_cbranch_execnz .LBB295_744
	s_branch .LBB295_745
.LBB295_2339:
	s_andn2_saveexec_b64 s[40:41], s[6:7]
	s_cbranch_execz .LBB295_1021
.LBB295_2340:
	v_add_f32_e32 v0, 0x46000000, v1
	v_and_b32_e32 v0, 0xff, v0
	v_cmp_ne_u32_e64 s[6:7], 0, v0
	s_andn2_b64 s[38:39], s[38:39], exec
	s_and_b64 s[6:7], s[6:7], exec
	s_or_b64 s[38:39], s[38:39], s[6:7]
	s_or_b64 exec, exec, s[40:41]
	v_mov_b32_e32 v14, 0
	s_and_saveexec_b64 s[6:7], s[38:39]
	s_cbranch_execnz .LBB295_1022
	s_branch .LBB295_1023
.LBB295_2341:
	s_andn2_saveexec_b64 s[46:47], s[46:47]
	s_cbranch_execz .LBB295_1400
.LBB295_2342:
	v_cmp_lt_i16_e64 s[6:7], 22, v5
	s_mov_b64 s[48:49], s[42:43]
                                        ; implicit-def: $vgpr6
	s_and_saveexec_b64 s[38:39], s[6:7]
	s_xor_b64 s[38:39], exec, s[38:39]
	s_cbranch_execz .LBB295_2376
; %bb.2343:
	v_cmp_lt_i16_e64 s[6:7], 23, v5
                                        ; implicit-def: $vgpr6
	s_and_saveexec_b64 s[48:49], s[6:7]
	s_xor_b64 s[48:49], exec, s[48:49]
	s_cbranch_execz .LBB295_2367
; %bb.2344:
	v_cmp_lt_i16_e64 s[6:7], 24, v5
                                        ; implicit-def: $vgpr6
	s_and_saveexec_b64 s[50:51], s[6:7]
	s_xor_b64 s[50:51], exec, s[50:51]
	s_cbranch_execz .LBB295_2358
; %bb.2345:
	s_waitcnt vmcnt(0) lgkmcnt(0)
	flat_load_ubyte v6, v[0:1]
	s_movk_i32 s6, 0x7f
	s_mov_b64 s[52:53], 0
	s_waitcnt vmcnt(0) lgkmcnt(0)
	v_cmp_lt_i16_e64 s[6:7], s6, v6
	s_and_saveexec_b64 s[54:55], s[6:7]
	s_xor_b64 s[54:55], exec, s[54:55]
	s_cbranch_execz .LBB295_2764
; %bb.2346:
	s_movk_i32 s6, 0x80
	v_cmp_eq_u16_e64 s[6:7], s6, v6
	s_mov_b64 s[52:53], -1
	s_and_saveexec_b64 s[56:57], s[6:7]
; %bb.2347:
	s_xor_b64 s[52:53], exec, -1
; %bb.2348:
	s_or_b64 exec, exec, s[56:57]
	s_and_b64 s[52:53], s[52:53], exec
	s_or_saveexec_b64 s[54:55], s[54:55]
	v_mov_b32_e32 v5, 0x7f800001
	s_xor_b64 exec, exec, s[54:55]
	s_cbranch_execnz .LBB295_2765
.LBB295_2349:
	s_or_b64 exec, exec, s[54:55]
	s_and_saveexec_b64 s[54:55], s[52:53]
	s_cbranch_execz .LBB295_2351
.LBB295_2350:
	v_lshlrev_b32_e32 v5, 24, v6
	v_and_b32_e32 v6, 0xffff, v6
	v_and_b32_e32 v8, 3, v6
	v_ffbh_u32_e32 v11, v8
	v_min_u32_e32 v11, 32, v11
	v_subrev_u32_e32 v12, 29, v11
	v_bfe_u32 v9, v6, 2, 5
	v_lshlrev_b32_e32 v6, v12, v6
	v_sub_u32_e32 v11, 30, v11
	v_and_b32_e32 v6, 3, v6
	v_cmp_eq_u32_e64 s[6:7], 0, v9
	v_cndmask_b32_e64 v9, v9, v11, s[6:7]
	v_cndmask_b32_e64 v6, v8, v6, s[6:7]
	v_mov_b32_e32 v8, 0x37800000
	v_lshlrev_b32_e32 v6, 21, v6
	v_and_b32_e32 v5, 0x80000000, v5
	v_lshl_add_u32 v8, v9, 23, v8
	v_or3_b32 v5, v5, v8, v6
.LBB295_2351:
	s_or_b64 exec, exec, s[54:55]
	v_and_b32_e32 v8, 0x7fffffff, v5
	s_mov_b32 s6, 0x43800000
	v_cmp_gt_u32_e64 s[6:7], s6, v8
	v_mov_b32_e32 v6, 0x80
	s_and_saveexec_b64 s[52:53], s[6:7]
	s_cbranch_execz .LBB295_2357
; %bb.2352:
	s_mov_b32 s6, 0x3bffffff
	v_cmp_lt_u32_e64 s[6:7], s6, v8
	s_mov_b64 s[54:55], 0
                                        ; implicit-def: $vgpr8
	s_and_saveexec_b64 s[56:57], s[6:7]
	s_xor_b64 s[6:7], exec, s[56:57]
	s_cbranch_execz .LBB295_2792
; %bb.2353:
	v_bfe_u32 v6, v5, 20, 1
	s_mov_b32 s33, 0x487ffff
	v_add3_u32 v6, v5, v6, s33
	s_mov_b64 s[54:55], exec
	v_lshrrev_b32_e32 v8, 20, v6
	s_andn2_saveexec_b64 s[56:57], s[6:7]
	s_cbranch_execnz .LBB295_2793
.LBB295_2354:
	s_or_b64 exec, exec, s[56:57]
	v_mov_b32_e32 v6, 0
	s_and_saveexec_b64 s[6:7], s[54:55]
.LBB295_2355:
	v_lshrrev_b32_e32 v5, 24, v5
	s_movk_i32 s33, 0x80
	v_and_or_b32 v6, v5, s33, v8
.LBB295_2356:
	s_or_b64 exec, exec, s[6:7]
.LBB295_2357:
	s_or_b64 exec, exec, s[52:53]
.LBB295_2358:
	s_andn2_saveexec_b64 s[50:51], s[50:51]
	s_cbranch_execz .LBB295_2366
; %bb.2359:
	flat_load_ubyte v5, v[0:1]
	s_mov_b32 s6, 0x7f800000
	s_brev_b32 s33, 1
	s_mov_b32 s52, 0x43800000
	s_waitcnt vmcnt(0) lgkmcnt(0)
	v_lshlrev_b32_e32 v5, 24, v5
	v_and_b32_e32 v6, 0x7f000000, v5
	v_ffbh_u32_e32 v8, v6
	v_min_u32_e32 v8, 32, v8
	v_sub_u32_e64 v8, v8, 4 clamp
	v_lshlrev_b32_e32 v11, v8, v6
	v_lshlrev_b32_e32 v8, 23, v8
	v_lshrrev_b32_e32 v11, 4, v11
	v_add_u32_e32 v9, 0x1000000, v6
	v_sub_u32_e32 v8, v11, v8
	v_ashrrev_i32_e32 v9, 8, v9
	v_add_u32_e32 v8, 0x3c000000, v8
	v_and_or_b32 v8, v9, s6, v8
	v_cmp_ne_u32_e64 s[6:7], 0, v6
	v_cndmask_b32_e64 v9, 0, v8, s[6:7]
	v_and_or_b32 v5, v5, s33, v9
	v_and_b32_e32 v8, 0x7fffffff, v5
	v_cmp_gt_u32_e64 s[6:7], s52, v8
	v_mov_b32_e32 v6, 0x80
	s_and_saveexec_b64 s[52:53], s[6:7]
	s_cbranch_execz .LBB295_2365
; %bb.2360:
	s_mov_b32 s6, 0x3bffffff
	v_cmp_lt_u32_e64 s[6:7], s6, v8
	s_mov_b64 s[54:55], 0
                                        ; implicit-def: $vgpr8
	s_and_saveexec_b64 s[56:57], s[6:7]
	s_xor_b64 s[6:7], exec, s[56:57]
	s_cbranch_execz .LBB295_2794
; %bb.2361:
	v_bfe_u32 v6, v9, 20, 1
	s_mov_b32 s33, 0x487ffff
	v_add3_u32 v6, v5, v6, s33
	s_mov_b64 s[54:55], exec
	v_lshrrev_b32_e32 v8, 20, v6
	s_andn2_saveexec_b64 s[56:57], s[6:7]
	s_cbranch_execnz .LBB295_2795
.LBB295_2362:
	s_or_b64 exec, exec, s[56:57]
	v_mov_b32_e32 v6, 0
	s_and_saveexec_b64 s[6:7], s[54:55]
.LBB295_2363:
	v_lshrrev_b32_e32 v5, 24, v5
	s_movk_i32 s33, 0x80
	v_and_or_b32 v6, v5, s33, v8
.LBB295_2364:
	s_or_b64 exec, exec, s[6:7]
.LBB295_2365:
	s_or_b64 exec, exec, s[52:53]
.LBB295_2366:
	s_or_b64 exec, exec, s[50:51]
.LBB295_2367:
	s_andn2_saveexec_b64 s[48:49], s[48:49]
	s_cbranch_execz .LBB295_2375
; %bb.2368:
	flat_load_ubyte v5, v[0:1]
	s_movk_i32 s6, 0x7f00
	s_brev_b32 s7, 16
	s_brev_b32 s33, 1
	s_mov_b32 s50, 0x43800000
	s_waitcnt vmcnt(0) lgkmcnt(0)
	v_lshlrev_b16_e32 v6, 8, v5
	v_lshlrev_b32_e32 v5, 25, v5
	v_lshrrev_b32_e32 v8, 4, v5
	v_and_or_b32 v9, v6, s6, 0.5
	v_or_b32_e32 v8, 0x70000000, v8
	v_add_f32_e32 v9, -0.5, v9
	v_mul_f32_e32 v8, 0x7800000, v8
	v_cmp_gt_u32_e64 s[6:7], s7, v5
	v_bfe_i32 v6, v6, 0, 16
	v_cndmask_b32_e64 v9, v8, v9, s[6:7]
	v_and_or_b32 v5, v6, s33, v9
	v_and_b32_e32 v8, 0x7fffffff, v5
	v_cmp_gt_u32_e64 s[6:7], s50, v8
	v_mov_b32_e32 v6, 0x80
	s_and_saveexec_b64 s[50:51], s[6:7]
	s_cbranch_execz .LBB295_2374
; %bb.2369:
	s_mov_b32 s6, 0x3bffffff
	v_cmp_lt_u32_e64 s[6:7], s6, v8
	s_mov_b64 s[52:53], 0
                                        ; implicit-def: $vgpr8
	s_and_saveexec_b64 s[54:55], s[6:7]
	s_xor_b64 s[6:7], exec, s[54:55]
	s_cbranch_execz .LBB295_2766
; %bb.2370:
	v_bfe_u32 v6, v9, 20, 1
	s_mov_b32 s33, 0x487ffff
	v_add3_u32 v6, v5, v6, s33
	s_mov_b64 s[52:53], exec
	v_lshrrev_b32_e32 v8, 20, v6
	s_andn2_saveexec_b64 s[54:55], s[6:7]
	s_cbranch_execnz .LBB295_2767
.LBB295_2371:
	s_or_b64 exec, exec, s[54:55]
	v_mov_b32_e32 v6, 0
	s_and_saveexec_b64 s[6:7], s[52:53]
.LBB295_2372:
	v_lshrrev_b32_e32 v5, 24, v5
	s_movk_i32 s33, 0x80
	v_and_or_b32 v6, v5, s33, v8
.LBB295_2373:
	s_or_b64 exec, exec, s[6:7]
.LBB295_2374:
	s_or_b64 exec, exec, s[50:51]
.LBB295_2375:
	s_or_b64 exec, exec, s[48:49]
	s_or_b64 s[48:49], s[42:43], exec
                                        ; implicit-def: $vgpr5
.LBB295_2376:
	s_or_saveexec_b64 s[38:39], s[38:39]
	s_mov_b64 s[6:7], 0
	s_mov_b64 s[50:51], s[44:45]
	s_xor_b64 exec, exec, s[38:39]
	s_cbranch_execz .LBB295_2390
; %bb.2377:
	v_cmp_lt_i16_e64 s[6:7], 14, v5
	s_mov_b64 s[52:53], s[44:45]
	s_mov_b64 s[54:55], s[48:49]
                                        ; implicit-def: $vgpr6
	s_and_saveexec_b64 s[50:51], s[6:7]
	s_xor_b64 s[50:51], exec, s[50:51]
	s_cbranch_execz .LBB295_2387
; %bb.2378:
	v_cmp_eq_u16_e64 s[6:7], 15, v5
	s_mov_b64 s[56:57], -1
	s_mov_b64 s[54:55], s[48:49]
                                        ; implicit-def: $vgpr6
	s_and_saveexec_b64 s[52:53], s[6:7]
	s_cbranch_execz .LBB295_2386
; %bb.2379:
	flat_load_ushort v5, v[0:1]
	s_mov_b32 s6, 0x43800000
	s_waitcnt vmcnt(0) lgkmcnt(0)
	v_mov_b32_e32 v6, 0x80
	v_lshlrev_b32_e32 v9, 16, v5
	v_and_b32_e32 v8, 0x7fffffff, v9
	v_cmp_gt_u32_e64 s[6:7], s6, v8
	s_and_saveexec_b64 s[54:55], s[6:7]
	s_cbranch_execz .LBB295_2385
; %bb.2380:
	s_mov_b32 s6, 0x3bffffff
	v_cmp_lt_u32_e64 s[6:7], s6, v8
	s_mov_b64 s[56:57], 0
                                        ; implicit-def: $vgpr8
	s_and_saveexec_b64 s[58:59], s[6:7]
	s_xor_b64 s[6:7], exec, s[58:59]
	s_cbranch_execz .LBB295_2796
; %bb.2381:
	v_bfe_u32 v6, v5, 4, 1
	s_mov_b32 s33, 0x487ffff
	v_add3_u32 v6, v9, v6, s33
	s_mov_b64 s[56:57], exec
	v_lshrrev_b32_e32 v8, 20, v6
                                        ; implicit-def: $vgpr9
	s_andn2_saveexec_b64 s[58:59], s[6:7]
	s_cbranch_execnz .LBB295_2797
.LBB295_2382:
	s_or_b64 exec, exec, s[58:59]
	v_mov_b32_e32 v6, 0
	s_and_saveexec_b64 s[6:7], s[56:57]
.LBB295_2383:
	v_lshrrev_b32_e32 v5, 8, v5
	s_movk_i32 s33, 0x80
	v_and_or_b32 v6, v5, s33, v8
.LBB295_2384:
	s_or_b64 exec, exec, s[6:7]
.LBB295_2385:
	s_or_b64 exec, exec, s[54:55]
	s_or_b64 s[54:55], s[48:49], exec
	s_xor_b64 s[56:57], exec, -1
.LBB295_2386:
	s_or_b64 exec, exec, s[52:53]
	s_andn2_b64 s[6:7], s[48:49], exec
	s_and_b64 s[52:53], s[54:55], exec
	s_or_b64 s[54:55], s[6:7], s[52:53]
	s_andn2_b64 s[6:7], s[44:45], exec
	s_and_b64 s[52:53], s[56:57], exec
	s_or_b64 s[52:53], s[6:7], s[52:53]
                                        ; implicit-def: $vgpr5
.LBB295_2387:
	s_or_saveexec_b64 s[50:51], s[50:51]
	s_mov_b64 s[56:57], 0
	s_xor_b64 exec, exec, s[50:51]
; %bb.2388:
	v_cmp_ne_u16_e64 s[6:7], 11, v5
	s_andn2_b64 s[52:53], s[52:53], exec
	s_and_b64 s[6:7], s[6:7], exec
	s_mov_b64 s[56:57], exec
	s_or_b64 s[52:53], s[52:53], s[6:7]
; %bb.2389:
	s_or_b64 exec, exec, s[50:51]
	s_andn2_b64 s[6:7], s[48:49], exec
	s_and_b64 s[48:49], s[54:55], exec
	s_andn2_b64 s[50:51], s[44:45], exec
	s_and_b64 s[52:53], s[52:53], exec
	s_or_b64 s[48:49], s[6:7], s[48:49]
	s_and_b64 s[6:7], s[56:57], exec
	s_or_b64 s[50:51], s[50:51], s[52:53]
.LBB295_2390:
	s_or_b64 exec, exec, s[38:39]
	s_andn2_b64 s[38:39], s[42:43], exec
	s_and_b64 s[42:43], s[48:49], exec
	s_or_b64 s[42:43], s[38:39], s[42:43]
	s_and_b64 s[38:39], s[6:7], exec
	s_andn2_b64 s[6:7], s[44:45], exec
	s_and_b64 s[44:45], s[50:51], exec
	s_or_b64 s[44:45], s[6:7], s[44:45]
	s_or_b64 exec, exec, s[46:47]
	s_mov_b64 s[46:47], s[28:29]
	s_and_saveexec_b64 s[6:7], s[44:45]
	s_cbranch_execz .LBB295_1401
.LBB295_2391:
	s_trap 2
	s_or_b64 s[46:47], s[28:29], exec
	s_andn2_b64 s[38:39], s[38:39], exec
	s_or_b64 exec, exec, s[6:7]
	s_and_saveexec_b64 s[6:7], s[38:39]
	s_xor_b64 s[38:39], exec, s[6:7]
	s_cbranch_execnz .LBB295_1402
	s_branch .LBB295_1409
.LBB295_2392:
	s_andn2_saveexec_b64 s[24:25], s[4:5]
	s_cbranch_execz .LBB295_1947
.LBB295_2393:
	s_mov_b32 s4, 0x46000000
	v_add_f32_e64 v8, |v5|, s4
	v_and_b32_e32 v8, 0xff, v8
	v_cmp_ne_u32_e64 s[4:5], 0, v8
	s_andn2_b64 s[22:23], s[22:23], exec
	s_and_b64 s[4:5], s[4:5], exec
	s_or_b64 s[22:23], s[22:23], s[4:5]
	s_or_b64 exec, exec, s[24:25]
	v_mov_b32_e32 v17, 0
	s_and_saveexec_b64 s[4:5], s[22:23]
	s_cbranch_execnz .LBB295_1948
	s_branch .LBB295_1949
.LBB295_2394:
	s_andn2_saveexec_b64 s[24:25], s[4:5]
	s_cbranch_execz .LBB295_1955
.LBB295_2395:
	s_mov_b32 s4, 0x46000000
	v_add_f32_e64 v8, |v5|, s4
	v_and_b32_e32 v8, 0xff, v8
	v_cmp_ne_u32_e64 s[4:5], 0, v8
	s_andn2_b64 s[22:23], s[22:23], exec
	s_and_b64 s[4:5], s[4:5], exec
	s_or_b64 s[22:23], s[22:23], s[4:5]
	s_or_b64 exec, exec, s[24:25]
	v_mov_b32_e32 v17, 0
	s_and_saveexec_b64 s[4:5], s[22:23]
	s_cbranch_execnz .LBB295_1956
	s_branch .LBB295_1957
.LBB295_2396:
	s_andn2_saveexec_b64 s[26:27], s[4:5]
	s_cbranch_execz .LBB295_1975
.LBB295_2397:
	s_mov_b32 s4, 0x46000000
	v_add_f32_e64 v8, |v9|, s4
	v_and_b32_e32 v8, 0xff, v8
	v_cmp_ne_u32_e64 s[4:5], 0, v8
	s_andn2_b64 s[24:25], s[24:25], exec
	s_and_b64 s[4:5], s[4:5], exec
	s_or_b64 s[24:25], s[24:25], s[4:5]
	s_or_b64 exec, exec, s[26:27]
	v_mov_b32_e32 v17, 0
	s_and_saveexec_b64 s[4:5], s[24:25]
	s_cbranch_execnz .LBB295_1976
	s_branch .LBB295_1977
.LBB295_2398:
	s_or_saveexec_b64 s[26:27], s[26:27]
	v_mov_b32_e32 v18, 0x7f800001
	s_xor_b64 exec, exec, s[26:27]
	s_cbranch_execz .LBB295_2035
.LBB295_2399:
	v_cmp_ne_u16_e64 s[4:5], 0, v19
	s_andn2_b64 s[24:25], s[24:25], exec
	s_and_b64 s[4:5], s[4:5], exec
	v_mov_b32_e32 v18, 0
	s_or_b64 s[24:25], s[24:25], s[4:5]
	s_or_b64 exec, exec, s[26:27]
	s_and_saveexec_b64 s[26:27], s[24:25]
	s_cbranch_execnz .LBB295_2036
	s_branch .LBB295_2037
.LBB295_2400:
	s_andn2_saveexec_b64 s[26:27], s[4:5]
	s_cbranch_execz .LBB295_2057
.LBB295_2401:
	s_mov_b32 s4, 0x46000000
	v_add_f32_e64 v19, |v18|, s4
	v_and_b32_e32 v20, 0xff, v19
	v_cmp_ne_u32_e64 s[4:5], 0, v20
	s_andn2_b64 s[24:25], s[24:25], exec
	s_and_b64 s[4:5], s[4:5], exec
	s_or_b64 s[24:25], s[24:25], s[4:5]
	s_or_b64 exec, exec, s[26:27]
	v_mov_b32_e32 v19, 0
	s_and_saveexec_b64 s[4:5], s[24:25]
	s_cbranch_execnz .LBB295_2058
	s_branch .LBB295_2059
.LBB295_2402:
	s_andn2_saveexec_b64 s[24:25], s[4:5]
	s_cbranch_execz .LBB295_46
.LBB295_2403:
	v_add_f32_e32 v2, 0x42800000, v3
	v_and_b32_e32 v2, 0xff, v2
	v_cmp_ne_u32_e64 s[4:5], 0, v2
	s_andn2_b64 s[22:23], s[22:23], exec
	s_and_b64 s[4:5], s[4:5], exec
	s_or_b64 s[22:23], s[22:23], s[4:5]
	s_or_b64 exec, exec, s[24:25]
	v_mov_b32_e32 v4, 0
	s_and_saveexec_b64 s[4:5], s[22:23]
	s_cbranch_execnz .LBB295_47
	s_branch .LBB295_48
.LBB295_2404:
	s_andn2_saveexec_b64 s[22:23], s[4:5]
	s_cbranch_execz .LBB295_120
.LBB295_2405:
	v_add_f32_e32 v2, 0x46000000, v3
	v_and_b32_e32 v2, 0xff, v2
	v_cmp_ne_u32_e64 s[4:5], 0, v2
	s_andn2_b64 s[20:21], s[20:21], exec
	s_and_b64 s[4:5], s[4:5], exec
	s_or_b64 s[20:21], s[20:21], s[4:5]
	s_or_b64 exec, exec, s[22:23]
	v_mov_b32_e32 v4, 0
	s_and_saveexec_b64 s[4:5], s[20:21]
	s_cbranch_execnz .LBB295_121
	s_branch .LBB295_122
.LBB295_2406:
	s_andn2_saveexec_b64 s[24:25], s[4:5]
	s_cbranch_execz .LBB295_404
.LBB295_2407:
	s_mov_b32 s4, 0x46000000
	v_add_f32_e64 v8, |v5|, s4
	v_and_b32_e32 v8, 0xff, v8
	v_cmp_ne_u32_e64 s[4:5], 0, v8
	s_andn2_b64 s[22:23], s[22:23], exec
	s_and_b64 s[4:5], s[4:5], exec
	s_or_b64 s[22:23], s[22:23], s[4:5]
	s_or_b64 exec, exec, s[24:25]
	v_mov_b32_e32 v17, 0
	s_and_saveexec_b64 s[4:5], s[22:23]
	s_cbranch_execnz .LBB295_405
	s_branch .LBB295_406
.LBB295_2408:
	s_andn2_saveexec_b64 s[28:29], s[4:5]
	s_cbranch_execz .LBB295_414
.LBB295_2409:
	v_add_f32_e32 v5, 0x46000000, v8
	v_and_b32_e32 v5, 0xff, v5
	v_cmp_ne_u32_e64 s[4:5], 0, v5
	s_andn2_b64 s[26:27], s[26:27], exec
	s_and_b64 s[4:5], s[4:5], exec
	s_or_b64 s[26:27], s[26:27], s[4:5]
	s_or_b64 exec, exec, s[28:29]
	v_mov_b32_e32 v17, 0
	s_and_saveexec_b64 s[4:5], s[26:27]
	s_cbranch_execnz .LBB295_415
	s_branch .LBB295_416
.LBB295_2410:
	s_andn2_saveexec_b64 s[30:31], s[4:5]
	s_cbranch_execz .LBB295_603
.LBB295_2411:
	v_add_f32_e32 v18, 0x46000000, v20
	v_and_b32_e32 v18, 0xff, v18
	v_cmp_ne_u32_e64 s[4:5], 0, v18
	s_andn2_b64 s[28:29], s[28:29], exec
	s_and_b64 s[4:5], s[4:5], exec
	s_or_b64 s[28:29], s[28:29], s[4:5]
	s_or_b64 exec, exec, s[30:31]
	v_mov_b32_e32 v19, 0
	s_and_saveexec_b64 s[4:5], s[28:29]
	s_cbranch_execnz .LBB295_604
	s_branch .LBB295_605
.LBB295_2412:
	s_andn2_saveexec_b64 s[30:31], s[4:5]
	s_cbranch_execz .LBB295_615
.LBB295_2413:
	v_add_f32_e32 v18, 0x46000000, v20
	v_and_b32_e32 v18, 0xff, v18
	v_cmp_ne_u32_e64 s[4:5], 0, v18
	s_andn2_b64 s[28:29], s[28:29], exec
	s_and_b64 s[4:5], s[4:5], exec
	s_or_b64 s[28:29], s[28:29], s[4:5]
	s_or_b64 exec, exec, s[30:31]
	v_mov_b32_e32 v19, 0
	s_and_saveexec_b64 s[4:5], s[28:29]
	s_cbranch_execnz .LBB295_616
	s_branch .LBB295_617
.LBB295_2414:
	s_andn2_saveexec_b64 s[30:31], s[4:5]
	s_cbranch_execz .LBB295_623
.LBB295_2415:
	v_add_f32_e32 v18, 0x46000000, v20
	v_and_b32_e32 v18, 0xff, v18
	v_cmp_ne_u32_e64 s[4:5], 0, v18
	s_andn2_b64 s[28:29], s[28:29], exec
	s_and_b64 s[4:5], s[4:5], exec
	s_or_b64 s[28:29], s[28:29], s[4:5]
	s_or_b64 exec, exec, s[30:31]
	v_mov_b32_e32 v19, 0
	s_and_saveexec_b64 s[4:5], s[28:29]
	s_cbranch_execnz .LBB295_624
	s_branch .LBB295_625
.LBB295_2416:
	s_andn2_saveexec_b64 s[28:29], s[4:5]
	s_cbranch_execz .LBB295_650
.LBB295_2417:
	s_mov_b32 s4, 0x46000000
	v_add_f32_e64 v1, |v0|, s4
	v_and_b32_e32 v1, 0xff, v1
	v_cmp_ne_u32_e64 s[4:5], 0, v1
	s_andn2_b64 s[26:27], s[26:27], exec
	s_and_b64 s[4:5], s[4:5], exec
	s_or_b64 s[26:27], s[26:27], s[4:5]
	s_or_b64 exec, exec, s[28:29]
	v_mov_b32_e32 v19, 0
	s_and_saveexec_b64 s[4:5], s[26:27]
	s_cbranch_execnz .LBB295_651
	s_branch .LBB295_652
.LBB295_2418:
	s_andn2_saveexec_b64 s[28:29], s[4:5]
	s_cbranch_execz .LBB295_658
.LBB295_2419:
	s_mov_b32 s4, 0x46000000
	v_add_f32_e64 v1, |v0|, s4
	v_and_b32_e32 v1, 0xff, v1
	v_cmp_ne_u32_e64 s[4:5], 0, v1
	s_andn2_b64 s[26:27], s[26:27], exec
	s_and_b64 s[4:5], s[4:5], exec
	s_or_b64 s[26:27], s[26:27], s[4:5]
	s_or_b64 exec, exec, s[28:29]
	v_mov_b32_e32 v19, 0
	s_and_saveexec_b64 s[4:5], s[26:27]
	s_cbranch_execnz .LBB295_659
	s_branch .LBB295_660
.LBB295_2420:
	s_andn2_saveexec_b64 s[28:29], s[4:5]
	s_cbranch_execz .LBB295_678
.LBB295_2421:
	s_mov_b32 s4, 0x46000000
	v_add_f32_e64 v1, |v0|, s4
	v_and_b32_e32 v1, 0xff, v1
	v_cmp_ne_u32_e64 s[4:5], 0, v1
	s_andn2_b64 s[26:27], s[26:27], exec
	s_and_b64 s[4:5], s[4:5], exec
	s_or_b64 s[26:27], s[26:27], s[4:5]
	s_or_b64 exec, exec, s[28:29]
	v_mov_b32_e32 v19, 0
	s_and_saveexec_b64 s[4:5], s[26:27]
	s_cbranch_execnz .LBB295_679
	s_branch .LBB295_680
.LBB295_2422:
	s_andn2_saveexec_b64 s[28:29], s[4:5]
	s_cbranch_execz .LBB295_686
.LBB295_2423:
	s_mov_b32 s4, 0x46000000
	v_add_f32_e64 v1, |v0|, s4
	v_and_b32_e32 v1, 0xff, v1
	v_cmp_ne_u32_e64 s[4:5], 0, v1
	s_andn2_b64 s[26:27], s[26:27], exec
	s_and_b64 s[4:5], s[4:5], exec
	s_or_b64 s[26:27], s[26:27], s[4:5]
	s_or_b64 exec, exec, s[28:29]
	v_mov_b32_e32 v19, 0
	s_and_saveexec_b64 s[4:5], s[26:27]
	s_cbranch_execnz .LBB295_687
	s_branch .LBB295_688
.LBB295_2424:
	s_andn2_saveexec_b64 s[28:29], s[4:5]
	s_cbranch_execz .LBB295_708
.LBB295_2425:
	s_mov_b32 s4, 0x46000000
	v_add_f32_e64 v1, |v0|, s4
	v_and_b32_e32 v1, 0xff, v1
	v_cmp_ne_u32_e64 s[4:5], 0, v1
	s_andn2_b64 s[26:27], s[26:27], exec
	s_and_b64 s[4:5], s[4:5], exec
	s_or_b64 s[26:27], s[26:27], s[4:5]
	s_or_b64 exec, exec, s[28:29]
	v_mov_b32_e32 v19, 0
	s_and_saveexec_b64 s[4:5], s[26:27]
	s_cbranch_execnz .LBB295_709
	s_branch .LBB295_710
.LBB295_2426:
	s_andn2_saveexec_b64 s[28:29], s[4:5]
	s_cbranch_execz .LBB295_716
.LBB295_2427:
	s_mov_b32 s4, 0x46000000
	v_add_f32_e64 v1, |v0|, s4
	v_and_b32_e32 v1, 0xff, v1
	v_cmp_ne_u32_e64 s[4:5], 0, v1
	s_andn2_b64 s[26:27], s[26:27], exec
	s_and_b64 s[4:5], s[4:5], exec
	s_or_b64 s[26:27], s[26:27], s[4:5]
	s_or_b64 exec, exec, s[28:29]
	v_mov_b32_e32 v19, 0
	s_and_saveexec_b64 s[4:5], s[26:27]
	s_cbranch_execnz .LBB295_717
	s_branch .LBB295_718
.LBB295_2428:
	s_andn2_saveexec_b64 s[40:41], s[6:7]
	s_cbranch_execz .LBB295_873
.LBB295_2429:
	s_mov_b32 s6, 0x46000000
	v_add_f32_e64 v1, |v0|, s6
	v_and_b32_e32 v1, 0xff, v1
	v_cmp_ne_u32_e64 s[6:7], 0, v1
	s_andn2_b64 s[38:39], s[38:39], exec
	s_and_b64 s[6:7], s[6:7], exec
	s_or_b64 s[38:39], s[38:39], s[6:7]
	s_or_b64 exec, exec, s[40:41]
	v_mov_b32_e32 v19, 0
	s_and_saveexec_b64 s[6:7], s[38:39]
	s_cbranch_execnz .LBB295_874
	s_branch .LBB295_875
.LBB295_2430:
	s_andn2_saveexec_b64 s[40:41], s[6:7]
	s_cbranch_execz .LBB295_901
.LBB295_2431:
	s_mov_b32 s6, 0x46000000
	v_add_f32_e64 v1, |v0|, s6
	v_and_b32_e32 v1, 0xff, v1
	v_cmp_ne_u32_e64 s[6:7], 0, v1
	s_andn2_b64 s[38:39], s[38:39], exec
	s_and_b64 s[6:7], s[6:7], exec
	s_or_b64 s[38:39], s[38:39], s[6:7]
	s_or_b64 exec, exec, s[40:41]
	v_mov_b32_e32 v19, 0
	s_and_saveexec_b64 s[6:7], s[38:39]
	s_cbranch_execnz .LBB295_902
	s_branch .LBB295_903
.LBB295_2432:
	s_andn2_saveexec_b64 s[40:41], s[6:7]
	s_cbranch_execz .LBB295_931
.LBB295_2433:
	s_mov_b32 s6, 0x46000000
	v_add_f32_e64 v1, |v0|, s6
	v_and_b32_e32 v1, 0xff, v1
	v_cmp_ne_u32_e64 s[6:7], 0, v1
	s_andn2_b64 s[38:39], s[38:39], exec
	s_and_b64 s[6:7], s[6:7], exec
	s_or_b64 s[38:39], s[38:39], s[6:7]
	s_or_b64 exec, exec, s[40:41]
	v_mov_b32_e32 v19, 0
	s_and_saveexec_b64 s[6:7], s[38:39]
	s_cbranch_execnz .LBB295_932
	s_branch .LBB295_933
.LBB295_2434:
	s_andn2_saveexec_b64 s[40:41], s[6:7]
	s_cbranch_execz .LBB295_941
.LBB295_2435:
	s_mov_b32 s6, 0x46000000
	v_add_f32_e64 v1, |v0|, s6
	v_and_b32_e32 v1, 0xff, v1
	v_cmp_ne_u32_e64 s[6:7], 0, v1
	s_andn2_b64 s[38:39], s[38:39], exec
	s_and_b64 s[6:7], s[6:7], exec
	s_or_b64 s[38:39], s[38:39], s[6:7]
	s_or_b64 exec, exec, s[40:41]
	v_mov_b32_e32 v19, 0
	s_and_saveexec_b64 s[6:7], s[38:39]
	s_cbranch_execnz .LBB295_942
	s_branch .LBB295_943
.LBB295_2436:
	s_andn2_saveexec_b64 s[40:41], s[6:7]
	s_cbranch_execz .LBB295_949
.LBB295_2437:
	v_add_f32_e32 v0, 0x46000000, v1
	v_and_b32_e32 v0, 0xff, v0
	v_cmp_ne_u32_e64 s[6:7], 0, v0
	s_andn2_b64 s[38:39], s[38:39], exec
	s_and_b64 s[6:7], s[6:7], exec
	s_or_b64 s[38:39], s[38:39], s[6:7]
	s_or_b64 exec, exec, s[40:41]
	v_mov_b32_e32 v19, 0
	s_and_saveexec_b64 s[6:7], s[38:39]
	s_cbranch_execnz .LBB295_950
	s_branch .LBB295_951
.LBB295_2438:
	s_andn2_saveexec_b64 s[46:47], s[6:7]
	s_cbranch_execz .LBB295_1227
.LBB295_2439:
	v_add_f32_e32 v0, 0x46000000, v1
	v_and_b32_e32 v0, 0xff, v0
	v_cmp_ne_u32_e64 s[6:7], 0, v0
	s_andn2_b64 s[44:45], s[44:45], exec
	s_and_b64 s[6:7], s[6:7], exec
	s_or_b64 s[44:45], s[44:45], s[6:7]
	s_or_b64 exec, exec, s[46:47]
	v_mov_b32_e32 v10, 0
	s_and_saveexec_b64 s[6:7], s[44:45]
	s_cbranch_execnz .LBB295_1228
	s_branch .LBB295_1229
.LBB295_2440:
	s_or_saveexec_b64 s[40:41], s[40:41]
	v_mov_b32_e32 v0, 0x7f800001
	s_xor_b64 exec, exec, s[40:41]
	s_cbranch_execz .LBB295_1524
.LBB295_2441:
	v_mov_b32_e32 v0, 0
	v_cmp_ne_u16_sdwa s[44:45], v10, v0 src0_sel:BYTE_0 src1_sel:DWORD
	s_andn2_b64 s[4:5], s[4:5], exec
	s_and_b64 s[44:45], s[44:45], exec
	s_or_b64 s[4:5], s[4:5], s[44:45]
	s_or_b64 exec, exec, s[40:41]
	s_and_saveexec_b64 s[40:41], s[4:5]
	s_cbranch_execnz .LBB295_1525
	s_branch .LBB295_1526
.LBB295_2442:
	s_or_saveexec_b64 s[40:41], s[40:41]
	v_mov_b32_e32 v1, 0x7f800001
	s_xor_b64 exec, exec, s[40:41]
	s_cbranch_execz .LBB295_1530
.LBB295_2443:
	v_mov_b32_e32 v1, 0
	v_cmp_ne_u16_sdwa s[44:45], v6, v1 src0_sel:BYTE_0 src1_sel:DWORD
	s_andn2_b64 s[4:5], s[4:5], exec
	s_and_b64 s[44:45], s[44:45], exec
	s_or_b64 s[4:5], s[4:5], s[44:45]
	s_or_b64 exec, exec, s[40:41]
	s_and_saveexec_b64 s[40:41], s[4:5]
	s_cbranch_execnz .LBB295_1531
	s_branch .LBB295_1532
.LBB295_2444:
	s_or_saveexec_b64 s[44:45], s[44:45]
	v_mov_b32_e32 v0, 0x7f800001
	s_xor_b64 exec, exec, s[44:45]
	s_cbranch_execz .LBB295_1538
.LBB295_2445:
	v_mov_b32_e32 v0, 0
	v_cmp_ne_u16_sdwa s[46:47], v10, v0 src0_sel:BYTE_0 src1_sel:DWORD
	s_andn2_b64 s[4:5], s[4:5], exec
	s_and_b64 s[46:47], s[46:47], exec
	s_or_b64 s[4:5], s[4:5], s[46:47]
	s_or_b64 exec, exec, s[44:45]
	s_and_saveexec_b64 s[44:45], s[4:5]
	s_cbranch_execnz .LBB295_1539
	s_branch .LBB295_1540
.LBB295_2446:
	s_or_saveexec_b64 s[44:45], s[44:45]
	v_mov_b32_e32 v1, 0x7f800001
	s_xor_b64 exec, exec, s[44:45]
	s_cbranch_execz .LBB295_1544
.LBB295_2447:
	v_mov_b32_e32 v1, 0
	v_cmp_ne_u16_sdwa s[46:47], v6, v1 src0_sel:BYTE_0 src1_sel:DWORD
	s_andn2_b64 s[4:5], s[4:5], exec
	s_and_b64 s[46:47], s[46:47], exec
	s_or_b64 s[4:5], s[4:5], s[46:47]
	s_or_b64 exec, exec, s[44:45]
	s_and_saveexec_b64 s[44:45], s[4:5]
	s_cbranch_execnz .LBB295_1545
	s_branch .LBB295_1546
.LBB295_2448:
	s_andn2_saveexec_b64 s[48:49], s[48:49]
	s_cbranch_execz .LBB295_1584
.LBB295_2449:
	v_cmp_lt_i16_e64 s[4:5], 22, v18
	s_mov_b64 s[52:53], s[46:47]
	s_and_saveexec_b64 s[50:51], s[4:5]
	s_xor_b64 s[50:51], exec, s[50:51]
	s_cbranch_execz .LBB295_2481
; %bb.2450:
	v_cmp_lt_i16_e64 s[4:5], 23, v18
	s_and_saveexec_b64 s[52:53], s[4:5]
	s_xor_b64 s[52:53], exec, s[52:53]
	s_cbranch_execz .LBB295_2470
; %bb.2451:
	v_cmp_lt_i16_e64 s[4:5], 24, v18
	s_and_saveexec_b64 s[54:55], s[4:5]
	s_xor_b64 s[54:55], exec, s[54:55]
	s_cbranch_execz .LBB295_2459
; %bb.2452:
	v_cndmask_b32_e64 v7, 0, 1.0, vcc
	s_mov_b32 s4, 0x47800000
	v_cmp_gt_u32_e64 s[4:5], s4, v7
	v_mov_b32_e32 v8, 0x80
	s_and_saveexec_b64 s[56:57], s[4:5]
	s_cbranch_execz .LBB295_2458
; %bb.2453:
	s_mov_b32 s4, 0x37ffffff
	v_cmp_lt_u32_e64 s[4:5], s4, v7
	s_mov_b64 s[58:59], 0
                                        ; implicit-def: $vgpr6
	s_and_saveexec_b64 s[60:61], s[4:5]
	s_xor_b64 s[4:5], exec, s[60:61]
	s_cbranch_execz .LBB295_2804
; %bb.2454:
	s_waitcnt lgkmcnt(0)
	v_bfe_u32 v6, v7, 21, 1
	s_mov_b32 s33, 0x88fffff
	v_add3_u32 v6, v7, v6, s33
	s_mov_b64 s[58:59], exec
	v_lshrrev_b32_e32 v6, 21, v6
                                        ; implicit-def: $vgpr7
	s_andn2_saveexec_b64 s[60:61], s[4:5]
	s_cbranch_execnz .LBB295_2805
.LBB295_2455:
	s_or_b64 exec, exec, s[60:61]
	v_mov_b32_e32 v8, 0
	s_and_saveexec_b64 s[4:5], s[58:59]
	s_cbranch_execz .LBB295_2457
.LBB295_2456:
	s_waitcnt lgkmcnt(0)
	v_mov_b32_e32 v8, v6
.LBB295_2457:
	s_or_b64 exec, exec, s[4:5]
.LBB295_2458:
	s_or_b64 exec, exec, s[56:57]
	flat_store_byte v[0:1], v8
.LBB295_2459:
	s_andn2_saveexec_b64 s[54:55], s[54:55]
	s_cbranch_execz .LBB295_2469
; %bb.2460:
	s_waitcnt lgkmcnt(0)
	v_cndmask_b32_e64 v6, 0, 1.0, vcc
	s_mov_b32 s4, 0x43f00000
	v_cmp_gt_u32_e64 s[4:5], s4, v6
                                        ; implicit-def: $vgpr7
	s_and_saveexec_b64 s[56:57], s[4:5]
	s_xor_b64 s[56:57], exec, s[56:57]
	s_cbranch_execz .LBB295_2466
; %bb.2461:
	s_mov_b32 s4, 0x3c7fffff
	v_cmp_lt_u32_e64 s[4:5], s4, v6
                                        ; implicit-def: $vgpr7
	s_and_saveexec_b64 s[58:59], s[4:5]
	s_xor_b64 s[58:59], exec, s[58:59]
; %bb.2462:
	v_bfe_u32 v7, v6, 20, 1
	s_mov_b32 s4, 0x407ffff
	v_add3_u32 v6, v6, v7, s4
	v_lshrrev_b32_e32 v7, 20, v6
	v_and_b32_e32 v6, 0xff00000, v6
	s_mov_b32 s4, 0x7f00000
	v_mov_b32_e32 v8, 0x7e
	v_cmp_ne_u32_e64 s[4:5], s4, v6
	v_cndmask_b32_e64 v7, v8, v7, s[4:5]
                                        ; implicit-def: $vgpr6
; %bb.2463:
	s_andn2_saveexec_b64 s[4:5], s[58:59]
; %bb.2464:
	v_add_f32_e32 v7, 0x46800000, v6
; %bb.2465:
	s_or_b64 exec, exec, s[4:5]
                                        ; implicit-def: $vgpr6
.LBB295_2466:
	s_andn2_saveexec_b64 s[56:57], s[56:57]
; %bb.2467:
	s_mov_b32 s4, 0x7f800000
	v_mov_b32_e32 v7, 0x7e
	v_mov_b32_e32 v8, 0x7f
	v_cmp_lt_u32_e64 s[4:5], s4, v6
	v_cndmask_b32_e64 v7, v7, v8, s[4:5]
; %bb.2468:
	s_or_b64 exec, exec, s[56:57]
	flat_store_byte v[0:1], v7
.LBB295_2469:
	s_or_b64 exec, exec, s[54:55]
.LBB295_2470:
	s_andn2_saveexec_b64 s[52:53], s[52:53]
	s_cbranch_execz .LBB295_2480
; %bb.2471:
	s_waitcnt lgkmcnt(0)
	v_cndmask_b32_e64 v6, 0, 1.0, vcc
	s_mov_b32 s4, 0x47800000
	v_cmp_gt_u32_e64 s[4:5], s4, v6
                                        ; implicit-def: $vgpr7
	s_and_saveexec_b64 s[54:55], s[4:5]
	s_xor_b64 s[54:55], exec, s[54:55]
	s_cbranch_execz .LBB295_2477
; %bb.2472:
	s_mov_b32 s4, 0x387fffff
	v_cmp_lt_u32_e64 s[4:5], s4, v6
                                        ; implicit-def: $vgpr7
	s_and_saveexec_b64 s[56:57], s[4:5]
	s_xor_b64 s[4:5], exec, s[56:57]
; %bb.2473:
	v_bfe_u32 v7, v6, 21, 1
	s_mov_b32 s33, 0x80fffff
	v_add3_u32 v6, v6, v7, s33
	v_lshrrev_b32_e32 v7, 21, v6
                                        ; implicit-def: $vgpr6
; %bb.2474:
	s_andn2_saveexec_b64 s[4:5], s[4:5]
; %bb.2475:
	v_add_f32_e32 v7, 0x43000000, v6
; %bb.2476:
	s_or_b64 exec, exec, s[4:5]
                                        ; implicit-def: $vgpr6
.LBB295_2477:
	s_andn2_saveexec_b64 s[54:55], s[54:55]
; %bb.2478:
	s_mov_b32 s4, 0x7f800000
	v_mov_b32_e32 v7, 0x7c
	v_mov_b32_e32 v8, 0x7f
	v_cmp_lt_u32_e64 s[4:5], s4, v6
	v_cndmask_b32_e64 v7, v7, v8, s[4:5]
; %bb.2479:
	s_or_b64 exec, exec, s[54:55]
	flat_store_byte v[0:1], v7
.LBB295_2480:
	s_or_b64 exec, exec, s[52:53]
	s_or_b64 s[52:53], s[46:47], exec
.LBB295_2481:
	s_or_saveexec_b64 s[50:51], s[50:51]
	s_mov_b64 s[4:5], 0
	s_mov_b64 s[54:55], s[6:7]
	s_xor_b64 exec, exec, s[50:51]
	s_cbranch_execz .LBB295_2489
; %bb.2482:
	v_cmp_lt_i16_e64 s[4:5], 14, v18
	s_mov_b64 s[54:55], s[6:7]
	s_mov_b64 s[56:57], s[52:53]
	s_and_saveexec_b64 s[58:59], s[4:5]
	s_xor_b64 s[58:59], exec, s[58:59]
	s_cbranch_execz .LBB295_2486
; %bb.2483:
	v_cmp_eq_u16_e64 s[4:5], 15, v18
	s_mov_b64 s[54:55], -1
	s_mov_b64 s[60:61], s[52:53]
	s_and_saveexec_b64 s[56:57], s[4:5]
	s_cbranch_execz .LBB295_2485
; %bb.2484:
	s_waitcnt lgkmcnt(0)
	v_cndmask_b32_e64 v6, 0, 1.0, vcc
	v_bfe_u32 v7, v6, 16, 1
	s_movk_i32 s4, 0x7fff
	v_add3_u32 v6, v6, v7, s4
	flat_store_short_d16_hi v[0:1], v6
	s_or_b64 s[60:61], s[52:53], exec
	s_xor_b64 s[54:55], exec, -1
.LBB295_2485:
	s_or_b64 exec, exec, s[56:57]
	s_andn2_b64 s[4:5], s[52:53], exec
	s_and_b64 s[56:57], s[60:61], exec
	s_or_b64 s[56:57], s[4:5], s[56:57]
	s_andn2_b64 s[4:5], s[6:7], exec
	s_and_b64 s[54:55], s[54:55], exec
	s_or_b64 s[54:55], s[4:5], s[54:55]
.LBB295_2486:
	s_or_saveexec_b64 s[58:59], s[58:59]
	s_mov_b64 s[60:61], 0
	s_xor_b64 exec, exec, s[58:59]
; %bb.2487:
	v_cmp_ne_u16_e64 s[4:5], 11, v18
	s_andn2_b64 s[54:55], s[54:55], exec
	s_and_b64 s[4:5], s[4:5], exec
	s_mov_b64 s[60:61], exec
	s_or_b64 s[54:55], s[54:55], s[4:5]
; %bb.2488:
	s_or_b64 exec, exec, s[58:59]
	s_andn2_b64 s[4:5], s[52:53], exec
	s_and_b64 s[52:53], s[56:57], exec
	s_andn2_b64 s[56:57], s[6:7], exec
	s_and_b64 s[54:55], s[54:55], exec
	s_or_b64 s[52:53], s[4:5], s[52:53]
	s_and_b64 s[4:5], s[60:61], exec
	s_or_b64 s[54:55], s[56:57], s[54:55]
.LBB295_2489:
	s_or_b64 exec, exec, s[50:51]
	s_andn2_b64 s[46:47], s[46:47], exec
	s_and_b64 s[50:51], s[52:53], exec
	s_or_b64 s[46:47], s[46:47], s[50:51]
	s_and_b64 s[50:51], s[4:5], exec
	s_andn2_b64 s[4:5], s[6:7], exec
	s_and_b64 s[6:7], s[54:55], exec
	s_or_b64 s[6:7], s[4:5], s[6:7]
	s_or_b64 exec, exec, s[48:49]
	s_mov_b64 s[4:5], s[38:39]
	s_and_saveexec_b64 s[48:49], s[6:7]
	s_cbranch_execz .LBB295_1585
.LBB295_2490:
	s_trap 2
	s_or_b64 s[4:5], s[38:39], exec
	s_andn2_b64 s[50:51], s[50:51], exec
	s_or_b64 exec, exec, s[48:49]
	s_and_saveexec_b64 s[6:7], s[50:51]
	s_xor_b64 s[6:7], exec, s[6:7]
	s_cbranch_execnz .LBB295_1586
	s_branch .LBB295_1587
.LBB295_2491:
	s_andn2_saveexec_b64 s[28:29], s[4:5]
	s_cbranch_execz .LBB295_2040
.LBB295_2492:
	s_mov_b32 s4, 0x46000000
	v_add_f32_e64 v19, |v18|, s4
	v_and_b32_e32 v20, 0xff, v19
	v_cmp_ne_u32_e64 s[4:5], 0, v20
	s_andn2_b64 s[26:27], s[26:27], exec
	s_and_b64 s[4:5], s[4:5], exec
	s_or_b64 s[26:27], s[26:27], s[4:5]
	s_or_b64 exec, exec, s[28:29]
	v_mov_b32_e32 v19, 0
	s_and_saveexec_b64 s[4:5], s[26:27]
	s_cbranch_execnz .LBB295_2041
	s_branch .LBB295_2042
.LBB295_2493:
	s_andn2_saveexec_b64 s[28:29], s[4:5]
	s_cbranch_execz .LBB295_2048
.LBB295_2494:
	s_mov_b32 s4, 0x46000000
	v_add_f32_e64 v19, |v18|, s4
	v_and_b32_e32 v20, 0xff, v19
	v_cmp_ne_u32_e64 s[4:5], 0, v20
	s_andn2_b64 s[26:27], s[26:27], exec
	s_and_b64 s[4:5], s[4:5], exec
	s_or_b64 s[26:27], s[26:27], s[4:5]
	s_or_b64 exec, exec, s[28:29]
	v_mov_b32_e32 v19, 0
	s_and_saveexec_b64 s[4:5], s[26:27]
	s_cbranch_execnz .LBB295_2049
	s_branch .LBB295_2050
.LBB295_2495:
	s_andn2_saveexec_b64 s[30:31], s[4:5]
	s_cbranch_execz .LBB295_2068
.LBB295_2496:
	s_mov_b32 s4, 0x46000000
	v_add_f32_e64 v19, |v21|, s4
	v_and_b32_e32 v20, 0xff, v19
	v_cmp_ne_u32_e64 s[4:5], 0, v20
	s_andn2_b64 s[28:29], s[28:29], exec
	s_and_b64 s[4:5], s[4:5], exec
	s_or_b64 s[28:29], s[28:29], s[4:5]
	s_or_b64 exec, exec, s[30:31]
	v_mov_b32_e32 v19, 0
	s_and_saveexec_b64 s[4:5], s[28:29]
	s_cbranch_execnz .LBB295_2069
	s_branch .LBB295_2070
.LBB295_2497:
	s_or_saveexec_b64 s[40:41], s[40:41]
	v_mov_b32_e32 v12, 0x7f800001
	s_xor_b64 exec, exec, s[40:41]
	s_cbranch_execz .LBB295_2138
.LBB295_2498:
	v_cmp_ne_u16_e64 s[6:7], 0, v13
	s_andn2_b64 s[38:39], s[38:39], exec
	s_and_b64 s[6:7], s[6:7], exec
	v_mov_b32_e32 v12, 0
	s_or_b64 s[38:39], s[38:39], s[6:7]
	s_or_b64 exec, exec, s[40:41]
	s_and_saveexec_b64 s[40:41], s[38:39]
	s_cbranch_execnz .LBB295_2139
	s_branch .LBB295_2140
.LBB295_2499:
	s_andn2_saveexec_b64 s[40:41], s[6:7]
	s_cbranch_execz .LBB295_2160
.LBB295_2500:
	s_mov_b32 s6, 0x46000000
	v_add_f32_e64 v13, |v12|, s6
	v_and_b32_e32 v13, 0xff, v13
	v_cmp_ne_u32_e64 s[6:7], 0, v13
	s_andn2_b64 s[38:39], s[38:39], exec
	s_and_b64 s[6:7], s[6:7], exec
	s_or_b64 s[38:39], s[38:39], s[6:7]
	s_or_b64 exec, exec, s[40:41]
	v_mov_b32_e32 v19, 0
	s_and_saveexec_b64 s[6:7], s[38:39]
	s_cbranch_execnz .LBB295_2161
	s_branch .LBB295_2162
.LBB295_2501:
	s_andn2_saveexec_b64 s[24:25], s[4:5]
	s_cbranch_execz .LBB295_133
.LBB295_2502:
	v_add_f32_e32 v2, 0x42800000, v3
	v_and_b32_e32 v2, 0xff, v2
	v_cmp_ne_u32_e64 s[4:5], 0, v2
	s_andn2_b64 s[22:23], s[22:23], exec
	s_and_b64 s[4:5], s[4:5], exec
	s_or_b64 s[22:23], s[22:23], s[4:5]
	s_or_b64 exec, exec, s[24:25]
	v_mov_b32_e32 v4, 0
	s_and_saveexec_b64 s[4:5], s[22:23]
	s_cbranch_execnz .LBB295_134
	s_branch .LBB295_135
.LBB295_2503:
	s_andn2_saveexec_b64 s[22:23], s[4:5]
	s_cbranch_execz .LBB295_207
.LBB295_2504:
	v_add_f32_e32 v2, 0x46000000, v3
	v_and_b32_e32 v2, 0xff, v2
	v_cmp_ne_u32_e64 s[4:5], 0, v2
	s_andn2_b64 s[20:21], s[20:21], exec
	s_and_b64 s[4:5], s[4:5], exec
	s_or_b64 s[20:21], s[20:21], s[4:5]
	s_or_b64 exec, exec, s[22:23]
	v_mov_b32_e32 v4, 0
	s_and_saveexec_b64 s[4:5], s[20:21]
	s_cbranch_execnz .LBB295_208
	s_branch .LBB295_209
.LBB295_2505:
	s_andn2_saveexec_b64 s[28:29], s[4:5]
	s_cbranch_execz .LBB295_582
.LBB295_2506:
	s_mov_b32 s4, 0x46000000
	v_add_f32_e64 v19, |v18|, s4
	v_and_b32_e32 v20, 0xff, v19
	v_cmp_ne_u32_e64 s[4:5], 0, v20
	s_andn2_b64 s[26:27], s[26:27], exec
	s_and_b64 s[4:5], s[4:5], exec
	s_or_b64 s[26:27], s[26:27], s[4:5]
	s_or_b64 exec, exec, s[28:29]
	v_mov_b32_e32 v19, 0
	s_and_saveexec_b64 s[4:5], s[26:27]
	s_cbranch_execnz .LBB295_583
	s_branch .LBB295_584
.LBB295_2507:
	s_andn2_saveexec_b64 s[38:39], s[4:5]
	s_cbranch_execz .LBB295_592
.LBB295_2508:
	v_add_f32_e32 v18, 0x46000000, v20
	v_and_b32_e32 v18, 0xff, v18
	v_cmp_ne_u32_e64 s[4:5], 0, v18
	s_andn2_b64 s[30:31], s[30:31], exec
	s_and_b64 s[4:5], s[4:5], exec
	s_or_b64 s[30:31], s[30:31], s[4:5]
	s_or_b64 exec, exec, s[38:39]
	v_mov_b32_e32 v19, 0
	s_and_saveexec_b64 s[4:5], s[30:31]
	s_cbranch_execnz .LBB295_593
	s_branch .LBB295_594
.LBB295_2509:
	s_andn2_saveexec_b64 s[44:45], s[6:7]
	s_cbranch_execz .LBB295_809
.LBB295_2510:
	v_add_f32_e32 v12, 0x46000000, v13
	v_and_b32_e32 v12, 0xff, v12
	v_cmp_ne_u32_e64 s[6:7], 0, v12
	s_andn2_b64 s[42:43], s[42:43], exec
	s_and_b64 s[6:7], s[6:7], exec
	s_or_b64 s[42:43], s[42:43], s[6:7]
	s_or_b64 exec, exec, s[44:45]
	v_mov_b32_e32 v19, 0
	s_and_saveexec_b64 s[6:7], s[42:43]
	s_cbranch_execnz .LBB295_810
	s_branch .LBB295_811
.LBB295_2511:
	s_andn2_saveexec_b64 s[44:45], s[6:7]
	s_cbranch_execz .LBB295_821
.LBB295_2512:
	v_add_f32_e32 v12, 0x46000000, v13
	v_and_b32_e32 v12, 0xff, v12
	v_cmp_ne_u32_e64 s[6:7], 0, v12
	s_andn2_b64 s[42:43], s[42:43], exec
	s_and_b64 s[6:7], s[6:7], exec
	s_or_b64 s[42:43], s[42:43], s[6:7]
	s_or_b64 exec, exec, s[44:45]
	v_mov_b32_e32 v19, 0
	s_and_saveexec_b64 s[6:7], s[42:43]
	s_cbranch_execnz .LBB295_822
	s_branch .LBB295_823
.LBB295_2513:
	s_andn2_saveexec_b64 s[44:45], s[6:7]
	s_cbranch_execz .LBB295_829
.LBB295_2514:
	v_add_f32_e32 v12, 0x46000000, v13
	v_and_b32_e32 v12, 0xff, v12
	v_cmp_ne_u32_e64 s[6:7], 0, v12
	s_andn2_b64 s[42:43], s[42:43], exec
	s_and_b64 s[6:7], s[6:7], exec
	s_or_b64 s[42:43], s[42:43], s[6:7]
	s_or_b64 exec, exec, s[44:45]
	v_mov_b32_e32 v19, 0
	s_and_saveexec_b64 s[6:7], s[42:43]
	s_cbranch_execnz .LBB295_830
	s_branch .LBB295_831
.LBB295_2515:
	s_andn2_saveexec_b64 s[42:43], s[6:7]
	s_cbranch_execz .LBB295_856
.LBB295_2516:
	s_mov_b32 s6, 0x46000000
	v_add_f32_e64 v1, |v0|, s6
	v_and_b32_e32 v1, 0xff, v1
	v_cmp_ne_u32_e64 s[6:7], 0, v1
	s_andn2_b64 s[40:41], s[40:41], exec
	s_and_b64 s[6:7], s[6:7], exec
	s_or_b64 s[40:41], s[40:41], s[6:7]
	s_or_b64 exec, exec, s[42:43]
	v_mov_b32_e32 v19, 0
	s_and_saveexec_b64 s[6:7], s[40:41]
	s_cbranch_execnz .LBB295_857
	s_branch .LBB295_858
.LBB295_2517:
	s_andn2_saveexec_b64 s[42:43], s[6:7]
	s_cbranch_execz .LBB295_864
.LBB295_2518:
	s_mov_b32 s6, 0x46000000
	v_add_f32_e64 v1, |v0|, s6
	v_and_b32_e32 v1, 0xff, v1
	v_cmp_ne_u32_e64 s[6:7], 0, v1
	s_andn2_b64 s[40:41], s[40:41], exec
	s_and_b64 s[6:7], s[6:7], exec
	s_or_b64 s[40:41], s[40:41], s[6:7]
	s_or_b64 exec, exec, s[42:43]
	v_mov_b32_e32 v19, 0
	s_and_saveexec_b64 s[6:7], s[40:41]
	s_cbranch_execnz .LBB295_865
	s_branch .LBB295_866
.LBB295_2519:
	s_andn2_saveexec_b64 s[42:43], s[6:7]
	s_cbranch_execz .LBB295_884
.LBB295_2520:
	s_mov_b32 s6, 0x46000000
	v_add_f32_e64 v1, |v0|, s6
	v_and_b32_e32 v1, 0xff, v1
	v_cmp_ne_u32_e64 s[6:7], 0, v1
	s_andn2_b64 s[40:41], s[40:41], exec
	s_and_b64 s[6:7], s[6:7], exec
	s_or_b64 s[40:41], s[40:41], s[6:7]
	s_or_b64 exec, exec, s[42:43]
	v_mov_b32_e32 v19, 0
	s_and_saveexec_b64 s[6:7], s[40:41]
	s_cbranch_execnz .LBB295_885
	s_branch .LBB295_886
.LBB295_2521:
	s_andn2_saveexec_b64 s[42:43], s[6:7]
	s_cbranch_execz .LBB295_892
.LBB295_2522:
	s_mov_b32 s6, 0x46000000
	v_add_f32_e64 v1, |v0|, s6
	v_and_b32_e32 v1, 0xff, v1
	v_cmp_ne_u32_e64 s[6:7], 0, v1
	s_andn2_b64 s[40:41], s[40:41], exec
	s_and_b64 s[6:7], s[6:7], exec
	s_or_b64 s[40:41], s[40:41], s[6:7]
	s_or_b64 exec, exec, s[42:43]
	v_mov_b32_e32 v19, 0
	s_and_saveexec_b64 s[6:7], s[40:41]
	s_cbranch_execnz .LBB295_893
	s_branch .LBB295_894
.LBB295_2523:
	s_andn2_saveexec_b64 s[42:43], s[6:7]
	s_cbranch_execz .LBB295_914
.LBB295_2524:
	s_mov_b32 s6, 0x46000000
	v_add_f32_e64 v1, |v0|, s6
	v_and_b32_e32 v1, 0xff, v1
	v_cmp_ne_u32_e64 s[6:7], 0, v1
	s_andn2_b64 s[40:41], s[40:41], exec
	s_and_b64 s[6:7], s[6:7], exec
	s_or_b64 s[40:41], s[40:41], s[6:7]
	s_or_b64 exec, exec, s[42:43]
	v_mov_b32_e32 v19, 0
	s_and_saveexec_b64 s[6:7], s[40:41]
	s_cbranch_execnz .LBB295_915
	s_branch .LBB295_916
.LBB295_2525:
	s_andn2_saveexec_b64 s[42:43], s[6:7]
	s_cbranch_execz .LBB295_922
.LBB295_2526:
	s_mov_b32 s6, 0x46000000
	v_add_f32_e64 v1, |v0|, s6
	v_and_b32_e32 v1, 0xff, v1
	v_cmp_ne_u32_e64 s[6:7], 0, v1
	s_andn2_b64 s[40:41], s[40:41], exec
	s_and_b64 s[6:7], s[6:7], exec
	s_or_b64 s[40:41], s[40:41], s[6:7]
	s_or_b64 exec, exec, s[42:43]
	v_mov_b32_e32 v19, 0
	s_and_saveexec_b64 s[6:7], s[40:41]
	s_cbranch_execnz .LBB295_923
	s_branch .LBB295_924
.LBB295_2527:
	s_andn2_saveexec_b64 s[44:45], s[6:7]
	s_cbranch_execz .LBB295_1051
.LBB295_2528:
	s_mov_b32 s6, 0x46000000
	v_add_f32_e64 v1, |v0|, s6
	v_and_b32_e32 v1, 0xff, v1
	v_cmp_ne_u32_e64 s[6:7], 0, v1
	s_andn2_b64 s[42:43], s[42:43], exec
	s_and_b64 s[6:7], s[6:7], exec
	s_or_b64 s[42:43], s[42:43], s[6:7]
	s_or_b64 exec, exec, s[44:45]
	v_mov_b32_e32 v14, 0
	s_and_saveexec_b64 s[6:7], s[42:43]
	s_cbranch_execnz .LBB295_1052
	s_branch .LBB295_1053
.LBB295_2529:
	s_andn2_saveexec_b64 s[44:45], s[6:7]
	s_cbranch_execz .LBB295_1079
.LBB295_2530:
	s_mov_b32 s6, 0x46000000
	v_add_f32_e64 v1, |v0|, s6
	v_and_b32_e32 v1, 0xff, v1
	v_cmp_ne_u32_e64 s[6:7], 0, v1
	s_andn2_b64 s[42:43], s[42:43], exec
	s_and_b64 s[6:7], s[6:7], exec
	s_or_b64 s[42:43], s[42:43], s[6:7]
	s_or_b64 exec, exec, s[44:45]
	v_mov_b32_e32 v14, 0
	s_and_saveexec_b64 s[6:7], s[42:43]
	s_cbranch_execnz .LBB295_1080
	s_branch .LBB295_1081
.LBB295_2531:
	s_andn2_saveexec_b64 s[44:45], s[6:7]
	s_cbranch_execz .LBB295_1109
.LBB295_2532:
	s_mov_b32 s6, 0x46000000
	v_add_f32_e64 v1, |v0|, s6
	v_and_b32_e32 v1, 0xff, v1
	v_cmp_ne_u32_e64 s[6:7], 0, v1
	s_andn2_b64 s[42:43], s[42:43], exec
	s_and_b64 s[6:7], s[6:7], exec
	s_or_b64 s[42:43], s[42:43], s[6:7]
	s_or_b64 exec, exec, s[44:45]
	v_mov_b32_e32 v14, 0
	s_and_saveexec_b64 s[6:7], s[42:43]
	s_cbranch_execnz .LBB295_1110
	s_branch .LBB295_1111
.LBB295_2533:
	s_andn2_saveexec_b64 s[44:45], s[6:7]
	s_cbranch_execz .LBB295_1119
.LBB295_2534:
	s_mov_b32 s6, 0x46000000
	v_add_f32_e64 v1, |v0|, s6
	v_and_b32_e32 v1, 0xff, v1
	v_cmp_ne_u32_e64 s[6:7], 0, v1
	s_andn2_b64 s[42:43], s[42:43], exec
	s_and_b64 s[6:7], s[6:7], exec
	s_or_b64 s[42:43], s[42:43], s[6:7]
	s_or_b64 exec, exec, s[44:45]
	v_mov_b32_e32 v14, 0
	s_and_saveexec_b64 s[6:7], s[42:43]
	s_cbranch_execnz .LBB295_1120
	s_branch .LBB295_1121
.LBB295_2535:
	s_andn2_saveexec_b64 s[44:45], s[6:7]
	s_cbranch_execz .LBB295_1127
.LBB295_2536:
	v_add_f32_e32 v0, 0x46000000, v1
	v_and_b32_e32 v0, 0xff, v0
	v_cmp_ne_u32_e64 s[6:7], 0, v0
	s_andn2_b64 s[42:43], s[42:43], exec
	s_and_b64 s[6:7], s[6:7], exec
	s_or_b64 s[42:43], s[42:43], s[6:7]
	s_or_b64 exec, exec, s[44:45]
	v_mov_b32_e32 v14, 0
	s_and_saveexec_b64 s[6:7], s[42:43]
	s_cbranch_execnz .LBB295_1128
	s_branch .LBB295_1129
.LBB295_2537:
	s_andn2_saveexec_b64 s[50:51], s[6:7]
	s_cbranch_execz .LBB295_1405
.LBB295_2538:
	v_add_f32_e32 v0, 0x46000000, v1
	v_and_b32_e32 v0, 0xff, v0
	v_cmp_ne_u32_e64 s[6:7], 0, v0
	s_andn2_b64 s[48:49], s[48:49], exec
	s_and_b64 s[6:7], s[6:7], exec
	s_or_b64 s[48:49], s[48:49], s[6:7]
	s_or_b64 exec, exec, s[50:51]
	v_mov_b32_e32 v6, 0
	s_and_saveexec_b64 s[6:7], s[48:49]
	s_cbranch_execnz .LBB295_1406
	s_branch .LBB295_1407
.LBB295_2539:
	s_andn2_saveexec_b64 s[50:51], s[50:51]
	s_cbranch_execz .LBB295_1668
.LBB295_2540:
	v_cmp_lt_i16_e32 vcc, 22, v18
	s_mov_b64 s[54:55], s[4:5]
	s_and_saveexec_b64 s[52:53], vcc
	s_xor_b64 s[52:53], exec, s[52:53]
	s_cbranch_execz .LBB295_2572
; %bb.2541:
	v_cmp_lt_i16_e32 vcc, 23, v18
	s_and_saveexec_b64 s[54:55], vcc
	s_xor_b64 s[54:55], exec, s[54:55]
	s_cbranch_execz .LBB295_2561
; %bb.2542:
	v_cmp_lt_i16_e32 vcc, 24, v18
	s_and_saveexec_b64 s[56:57], vcc
	s_xor_b64 s[56:57], exec, s[56:57]
	s_cbranch_execz .LBB295_2550
; %bb.2543:
	v_cndmask_b32_e64 v7, 0, 1.0, s[18:19]
	s_mov_b32 s33, 0x47800000
	v_cmp_gt_u32_e32 vcc, s33, v7
	v_mov_b32_e32 v8, 0x80
	s_and_saveexec_b64 s[58:59], vcc
	s_cbranch_execz .LBB295_2549
; %bb.2544:
	s_mov_b32 s33, 0x37ffffff
	v_cmp_lt_u32_e32 vcc, s33, v7
	s_mov_b64 s[60:61], 0
                                        ; implicit-def: $vgpr6
	s_and_saveexec_b64 s[62:63], vcc
	s_xor_b64 s[62:63], exec, s[62:63]
	s_cbranch_execz .LBB295_2808
; %bb.2545:
	s_waitcnt lgkmcnt(0)
	v_bfe_u32 v6, v7, 21, 1
	s_mov_b32 s33, 0x88fffff
	v_add3_u32 v6, v7, v6, s33
	s_mov_b64 s[60:61], exec
	v_lshrrev_b32_e32 v6, 21, v6
                                        ; implicit-def: $vgpr7
	s_andn2_saveexec_b64 s[62:63], s[62:63]
	s_cbranch_execnz .LBB295_2809
.LBB295_2546:
	s_or_b64 exec, exec, s[62:63]
	v_mov_b32_e32 v8, 0
	s_and_saveexec_b64 s[62:63], s[60:61]
	s_cbranch_execz .LBB295_2548
.LBB295_2547:
	s_waitcnt lgkmcnt(0)
	v_mov_b32_e32 v8, v6
.LBB295_2548:
	s_or_b64 exec, exec, s[62:63]
.LBB295_2549:
	s_or_b64 exec, exec, s[58:59]
	flat_store_byte v[0:1], v8
.LBB295_2550:
	s_andn2_saveexec_b64 s[56:57], s[56:57]
	s_cbranch_execz .LBB295_2560
; %bb.2551:
	s_waitcnt lgkmcnt(0)
	v_cndmask_b32_e64 v6, 0, 1.0, s[18:19]
	s_mov_b32 s33, 0x43f00000
	v_cmp_gt_u32_e32 vcc, s33, v6
                                        ; implicit-def: $vgpr7
	s_and_saveexec_b64 s[58:59], vcc
	s_xor_b64 s[58:59], exec, s[58:59]
	s_cbranch_execz .LBB295_2557
; %bb.2552:
	s_mov_b32 s33, 0x3c7fffff
	v_cmp_lt_u32_e32 vcc, s33, v6
                                        ; implicit-def: $vgpr7
	s_and_saveexec_b64 s[60:61], vcc
	s_xor_b64 s[60:61], exec, s[60:61]
; %bb.2553:
	v_bfe_u32 v7, v6, 20, 1
	s_mov_b32 s33, 0x407ffff
	v_add3_u32 v6, v6, v7, s33
	v_lshrrev_b32_e32 v7, 20, v6
	v_and_b32_e32 v6, 0xff00000, v6
	s_mov_b32 s33, 0x7f00000
	v_mov_b32_e32 v8, 0x7e
	v_cmp_ne_u32_e32 vcc, s33, v6
	v_cndmask_b32_e32 v7, v8, v7, vcc
                                        ; implicit-def: $vgpr6
; %bb.2554:
	s_andn2_saveexec_b64 s[60:61], s[60:61]
; %bb.2555:
	v_add_f32_e32 v7, 0x46800000, v6
; %bb.2556:
	s_or_b64 exec, exec, s[60:61]
                                        ; implicit-def: $vgpr6
.LBB295_2557:
	s_andn2_saveexec_b64 s[58:59], s[58:59]
; %bb.2558:
	s_mov_b32 s33, 0x7f800000
	v_mov_b32_e32 v7, 0x7e
	v_mov_b32_e32 v8, 0x7f
	v_cmp_lt_u32_e32 vcc, s33, v6
	v_cndmask_b32_e32 v7, v7, v8, vcc
; %bb.2559:
	s_or_b64 exec, exec, s[58:59]
	flat_store_byte v[0:1], v7
.LBB295_2560:
	s_or_b64 exec, exec, s[56:57]
.LBB295_2561:
	s_andn2_saveexec_b64 s[54:55], s[54:55]
	s_cbranch_execz .LBB295_2571
; %bb.2562:
	s_waitcnt lgkmcnt(0)
	v_cndmask_b32_e64 v6, 0, 1.0, s[18:19]
	s_mov_b32 s33, 0x47800000
	v_cmp_gt_u32_e32 vcc, s33, v6
                                        ; implicit-def: $vgpr7
	s_and_saveexec_b64 s[56:57], vcc
	s_xor_b64 s[56:57], exec, s[56:57]
	s_cbranch_execz .LBB295_2568
; %bb.2563:
	s_mov_b32 s33, 0x387fffff
	v_cmp_lt_u32_e32 vcc, s33, v6
                                        ; implicit-def: $vgpr7
	s_and_saveexec_b64 s[58:59], vcc
	s_xor_b64 s[58:59], exec, s[58:59]
; %bb.2564:
	v_bfe_u32 v7, v6, 21, 1
	s_mov_b32 s33, 0x80fffff
	v_add3_u32 v6, v6, v7, s33
	v_lshrrev_b32_e32 v7, 21, v6
                                        ; implicit-def: $vgpr6
; %bb.2565:
	s_andn2_saveexec_b64 s[58:59], s[58:59]
; %bb.2566:
	v_add_f32_e32 v7, 0x43000000, v6
; %bb.2567:
	s_or_b64 exec, exec, s[58:59]
                                        ; implicit-def: $vgpr6
.LBB295_2568:
	s_andn2_saveexec_b64 s[56:57], s[56:57]
; %bb.2569:
	s_mov_b32 s33, 0x7f800000
	v_mov_b32_e32 v7, 0x7c
	v_mov_b32_e32 v8, 0x7f
	v_cmp_lt_u32_e32 vcc, s33, v6
	v_cndmask_b32_e32 v7, v7, v8, vcc
; %bb.2570:
	s_or_b64 exec, exec, s[56:57]
	flat_store_byte v[0:1], v7
.LBB295_2571:
	s_or_b64 exec, exec, s[54:55]
	s_or_b64 s[54:55], s[4:5], exec
.LBB295_2572:
	s_or_saveexec_b64 s[52:53], s[52:53]
	s_mov_b64 s[58:59], 0
	s_mov_b64 s[56:57], s[46:47]
	s_xor_b64 exec, exec, s[52:53]
	s_cbranch_execz .LBB295_2580
; %bb.2573:
	v_cmp_lt_i16_e32 vcc, 14, v18
	s_mov_b64 s[56:57], s[46:47]
	s_mov_b64 s[58:59], s[54:55]
	s_and_saveexec_b64 s[60:61], vcc
	s_xor_b64 s[60:61], exec, s[60:61]
	s_cbranch_execz .LBB295_2577
; %bb.2574:
	v_cmp_eq_u16_e32 vcc, 15, v18
	s_mov_b64 s[56:57], -1
	s_mov_b64 s[62:63], s[54:55]
	s_and_saveexec_b64 s[58:59], vcc
	s_cbranch_execz .LBB295_2576
; %bb.2575:
	s_waitcnt lgkmcnt(0)
	v_cndmask_b32_e64 v6, 0, 1.0, s[18:19]
	v_bfe_u32 v7, v6, 16, 1
	s_movk_i32 s33, 0x7fff
	v_add3_u32 v6, v6, v7, s33
	flat_store_short_d16_hi v[0:1], v6
	s_or_b64 s[62:63], s[54:55], exec
	s_xor_b64 s[56:57], exec, -1
.LBB295_2576:
	s_or_b64 exec, exec, s[58:59]
	s_andn2_b64 s[58:59], s[54:55], exec
	s_and_b64 s[62:63], s[62:63], exec
	s_or_b64 s[58:59], s[58:59], s[62:63]
	s_andn2_b64 s[62:63], s[46:47], exec
	s_and_b64 s[56:57], s[56:57], exec
	s_or_b64 s[56:57], s[62:63], s[56:57]
.LBB295_2577:
	s_or_saveexec_b64 s[60:61], s[60:61]
	s_mov_b64 s[62:63], 0
	s_xor_b64 exec, exec, s[60:61]
; %bb.2578:
	v_cmp_ne_u16_e32 vcc, 11, v18
	s_andn2_b64 s[56:57], s[56:57], exec
	s_and_b64 s[64:65], vcc, exec
	s_mov_b64 s[62:63], exec
	s_or_b64 s[56:57], s[56:57], s[64:65]
; %bb.2579:
	s_or_b64 exec, exec, s[60:61]
	s_andn2_b64 s[54:55], s[54:55], exec
	s_and_b64 s[58:59], s[58:59], exec
	s_andn2_b64 s[60:61], s[46:47], exec
	s_and_b64 s[56:57], s[56:57], exec
	s_or_b64 s[54:55], s[54:55], s[58:59]
	s_and_b64 s[58:59], s[62:63], exec
	s_or_b64 s[56:57], s[60:61], s[56:57]
.LBB295_2580:
	s_or_b64 exec, exec, s[52:53]
	s_andn2_b64 s[4:5], s[4:5], exec
	s_and_b64 s[52:53], s[54:55], exec
	s_andn2_b64 s[46:47], s[46:47], exec
	s_and_b64 s[54:55], s[56:57], exec
	s_or_b64 s[4:5], s[4:5], s[52:53]
	s_and_b64 s[52:53], s[58:59], exec
	s_or_b64 s[46:47], s[46:47], s[54:55]
	s_or_b64 exec, exec, s[50:51]
	s_mov_b64 s[50:51], s[6:7]
	s_and_saveexec_b64 s[54:55], s[46:47]
	s_cbranch_execz .LBB295_1669
.LBB295_2581:
	s_trap 2
	s_or_b64 s[50:51], s[6:7], exec
	s_andn2_b64 s[52:53], s[52:53], exec
	s_or_b64 exec, exec, s[54:55]
	s_and_saveexec_b64 s[46:47], s[52:53]
	s_xor_b64 s[46:47], exec, s[46:47]
	s_cbranch_execnz .LBB295_1670
	s_branch .LBB295_1671
.LBB295_2582:
	s_andn2_saveexec_b64 s[42:43], s[6:7]
	s_cbranch_execz .LBB295_2143
.LBB295_2583:
	s_mov_b32 s6, 0x46000000
	v_add_f32_e64 v13, |v12|, s6
	v_and_b32_e32 v13, 0xff, v13
	v_cmp_ne_u32_e64 s[6:7], 0, v13
	s_andn2_b64 s[40:41], s[40:41], exec
	s_and_b64 s[6:7], s[6:7], exec
	s_or_b64 s[40:41], s[40:41], s[6:7]
	s_or_b64 exec, exec, s[42:43]
	v_mov_b32_e32 v19, 0
	s_and_saveexec_b64 s[6:7], s[40:41]
	s_cbranch_execnz .LBB295_2144
	s_branch .LBB295_2145
.LBB295_2584:
	s_andn2_saveexec_b64 s[42:43], s[6:7]
	s_cbranch_execz .LBB295_2151
.LBB295_2585:
	s_mov_b32 s6, 0x46000000
	v_add_f32_e64 v13, |v12|, s6
	v_and_b32_e32 v13, 0xff, v13
	v_cmp_ne_u32_e64 s[6:7], 0, v13
	s_andn2_b64 s[40:41], s[40:41], exec
	s_and_b64 s[6:7], s[6:7], exec
	s_or_b64 s[40:41], s[40:41], s[6:7]
	s_or_b64 exec, exec, s[42:43]
	v_mov_b32_e32 v19, 0
	s_and_saveexec_b64 s[6:7], s[40:41]
	s_cbranch_execnz .LBB295_2152
	s_branch .LBB295_2153
.LBB295_2586:
	s_andn2_saveexec_b64 s[44:45], s[6:7]
	s_cbranch_execz .LBB295_2171
.LBB295_2587:
	s_mov_b32 s6, 0x46000000
	v_add_f32_e64 v13, |v18|, s6
	v_and_b32_e32 v13, 0xff, v13
	v_cmp_ne_u32_e64 s[6:7], 0, v13
	s_andn2_b64 s[42:43], s[42:43], exec
	s_and_b64 s[6:7], s[6:7], exec
	s_or_b64 s[42:43], s[42:43], s[6:7]
	s_or_b64 exec, exec, s[44:45]
	v_mov_b32_e32 v19, 0
	s_and_saveexec_b64 s[6:7], s[42:43]
	s_cbranch_execnz .LBB295_2172
	s_branch .LBB295_2173
.LBB295_2588:
	s_or_saveexec_b64 s[44:45], s[44:45]
	v_mov_b32_e32 v15, 0x7f800001
	s_xor_b64 exec, exec, s[44:45]
	s_cbranch_execz .LBB295_2191
.LBB295_2589:
	v_cmp_ne_u16_e64 s[6:7], 0, v14
	s_andn2_b64 s[42:43], s[42:43], exec
	s_and_b64 s[6:7], s[6:7], exec
	v_mov_b32_e32 v15, 0
	s_or_b64 s[42:43], s[42:43], s[6:7]
	s_or_b64 exec, exec, s[44:45]
	s_and_saveexec_b64 s[44:45], s[42:43]
	s_cbranch_execnz .LBB295_2192
	s_branch .LBB295_2193
.LBB295_2590:
	s_andn2_saveexec_b64 s[44:45], s[6:7]
	s_cbranch_execz .LBB295_2213
.LBB295_2591:
	s_mov_b32 s6, 0x46000000
	v_add_f32_e64 v14, |v15|, s6
	v_and_b32_e32 v18, 0xff, v14
	v_cmp_ne_u32_e64 s[6:7], 0, v18
	s_andn2_b64 s[42:43], s[42:43], exec
	s_and_b64 s[6:7], s[6:7], exec
	s_or_b64 s[42:43], s[42:43], s[6:7]
	s_or_b64 exec, exec, s[44:45]
	v_mov_b32_e32 v14, 0
	s_and_saveexec_b64 s[6:7], s[42:43]
	s_cbranch_execnz .LBB295_2214
	s_branch .LBB295_2215
.LBB295_2592:
	s_andn2_saveexec_b64 s[24:25], s[4:5]
	s_cbranch_execz .LBB295_220
.LBB295_2593:
	v_add_f32_e32 v2, 0x42800000, v3
	v_and_b32_e32 v2, 0xff, v2
	v_cmp_ne_u32_e64 s[4:5], 0, v2
	s_andn2_b64 s[22:23], s[22:23], exec
	s_and_b64 s[4:5], s[4:5], exec
	s_or_b64 s[22:23], s[22:23], s[4:5]
	s_or_b64 exec, exec, s[24:25]
	v_mov_b32_e32 v4, 0
	s_and_saveexec_b64 s[4:5], s[22:23]
	s_cbranch_execnz .LBB295_221
	s_branch .LBB295_222
.LBB295_2594:
	s_andn2_saveexec_b64 s[20:21], s[20:21]
	s_cbranch_execz .LBB295_294
.LBB295_2595:
	v_add_f32_e32 v3, 0x46000000, v4
	v_and_b32_e32 v3, 0xff, v3
	v_cmp_ne_u32_e32 vcc, 0, v3
	s_andn2_b64 s[18:19], s[18:19], exec
	s_and_b64 s[22:23], vcc, exec
	s_or_b64 s[18:19], s[18:19], s[22:23]
	s_or_b64 exec, exec, s[20:21]
	v_mov_b32_e32 v5, 0
	s_and_saveexec_b64 s[20:21], s[18:19]
	s_cbranch_execnz .LBB295_295
	s_branch .LBB295_296
.LBB295_2596:
	s_andn2_saveexec_b64 s[42:43], s[6:7]
	s_cbranch_execz .LBB295_788
.LBB295_2597:
	s_mov_b32 s6, 0x46000000
	v_add_f32_e64 v13, |v12|, s6
	v_and_b32_e32 v13, 0xff, v13
	v_cmp_ne_u32_e64 s[6:7], 0, v13
	s_andn2_b64 s[40:41], s[40:41], exec
	s_and_b64 s[6:7], s[6:7], exec
	s_or_b64 s[40:41], s[40:41], s[6:7]
	s_or_b64 exec, exec, s[42:43]
	v_mov_b32_e32 v19, 0
	s_and_saveexec_b64 s[6:7], s[40:41]
	s_cbranch_execnz .LBB295_789
	s_branch .LBB295_790
.LBB295_2598:
	s_andn2_saveexec_b64 s[46:47], s[6:7]
	s_cbranch_execz .LBB295_798
.LBB295_2599:
	v_add_f32_e32 v12, 0x46000000, v13
	v_and_b32_e32 v12, 0xff, v12
	v_cmp_ne_u32_e64 s[6:7], 0, v12
	s_andn2_b64 s[44:45], s[44:45], exec
	s_and_b64 s[6:7], s[6:7], exec
	s_or_b64 s[44:45], s[44:45], s[6:7]
	s_or_b64 exec, exec, s[46:47]
	v_mov_b32_e32 v19, 0
	s_and_saveexec_b64 s[6:7], s[44:45]
	s_cbranch_execnz .LBB295_799
	s_branch .LBB295_800
.LBB295_2600:
	s_andn2_saveexec_b64 s[48:49], s[6:7]
	s_cbranch_execz .LBB295_987
.LBB295_2601:
	v_add_f32_e32 v14, 0x46000000, v18
	v_and_b32_e32 v15, 0xff, v14
	v_cmp_ne_u32_e64 s[6:7], 0, v15
	s_andn2_b64 s[46:47], s[46:47], exec
	s_and_b64 s[6:7], s[6:7], exec
	s_or_b64 s[46:47], s[46:47], s[6:7]
	s_or_b64 exec, exec, s[48:49]
	v_mov_b32_e32 v14, 0
	s_and_saveexec_b64 s[6:7], s[46:47]
	s_cbranch_execnz .LBB295_988
	s_branch .LBB295_989
.LBB295_2602:
	s_andn2_saveexec_b64 s[48:49], s[6:7]
	s_cbranch_execz .LBB295_999
.LBB295_2603:
	v_add_f32_e32 v14, 0x46000000, v18
	v_and_b32_e32 v15, 0xff, v14
	v_cmp_ne_u32_e64 s[6:7], 0, v15
	s_andn2_b64 s[46:47], s[46:47], exec
	s_and_b64 s[6:7], s[6:7], exec
	s_or_b64 s[46:47], s[46:47], s[6:7]
	s_or_b64 exec, exec, s[48:49]
	v_mov_b32_e32 v14, 0
	s_and_saveexec_b64 s[6:7], s[46:47]
	s_cbranch_execnz .LBB295_1000
	s_branch .LBB295_1001
.LBB295_2604:
	s_andn2_saveexec_b64 s[48:49], s[6:7]
	s_cbranch_execz .LBB295_1007
.LBB295_2605:
	v_add_f32_e32 v14, 0x46000000, v18
	v_and_b32_e32 v15, 0xff, v14
	v_cmp_ne_u32_e64 s[6:7], 0, v15
	s_andn2_b64 s[46:47], s[46:47], exec
	s_and_b64 s[6:7], s[6:7], exec
	s_or_b64 s[46:47], s[46:47], s[6:7]
	s_or_b64 exec, exec, s[48:49]
	v_mov_b32_e32 v14, 0
	s_and_saveexec_b64 s[6:7], s[46:47]
	s_cbranch_execnz .LBB295_1008
	s_branch .LBB295_1009
.LBB295_2606:
	s_andn2_saveexec_b64 s[46:47], s[6:7]
	s_cbranch_execz .LBB295_1034
.LBB295_2607:
	s_mov_b32 s6, 0x46000000
	v_add_f32_e64 v1, |v0|, s6
	v_and_b32_e32 v1, 0xff, v1
	v_cmp_ne_u32_e64 s[6:7], 0, v1
	s_andn2_b64 s[44:45], s[44:45], exec
	s_and_b64 s[6:7], s[6:7], exec
	s_or_b64 s[44:45], s[44:45], s[6:7]
	s_or_b64 exec, exec, s[46:47]
	v_mov_b32_e32 v14, 0
	s_and_saveexec_b64 s[6:7], s[44:45]
	s_cbranch_execnz .LBB295_1035
	s_branch .LBB295_1036
.LBB295_2608:
	s_andn2_saveexec_b64 s[46:47], s[6:7]
	s_cbranch_execz .LBB295_1042
.LBB295_2609:
	s_mov_b32 s6, 0x46000000
	v_add_f32_e64 v1, |v0|, s6
	v_and_b32_e32 v1, 0xff, v1
	v_cmp_ne_u32_e64 s[6:7], 0, v1
	s_andn2_b64 s[44:45], s[44:45], exec
	s_and_b64 s[6:7], s[6:7], exec
	s_or_b64 s[44:45], s[44:45], s[6:7]
	s_or_b64 exec, exec, s[46:47]
	v_mov_b32_e32 v14, 0
	s_and_saveexec_b64 s[6:7], s[44:45]
	s_cbranch_execnz .LBB295_1043
	s_branch .LBB295_1044
.LBB295_2610:
	s_andn2_saveexec_b64 s[46:47], s[6:7]
	s_cbranch_execz .LBB295_1062
.LBB295_2611:
	s_mov_b32 s6, 0x46000000
	v_add_f32_e64 v1, |v0|, s6
	v_and_b32_e32 v1, 0xff, v1
	v_cmp_ne_u32_e64 s[6:7], 0, v1
	s_andn2_b64 s[44:45], s[44:45], exec
	s_and_b64 s[6:7], s[6:7], exec
	s_or_b64 s[44:45], s[44:45], s[6:7]
	s_or_b64 exec, exec, s[46:47]
	v_mov_b32_e32 v14, 0
	s_and_saveexec_b64 s[6:7], s[44:45]
	s_cbranch_execnz .LBB295_1063
	s_branch .LBB295_1064
.LBB295_2612:
	s_andn2_saveexec_b64 s[46:47], s[6:7]
	s_cbranch_execz .LBB295_1070
.LBB295_2613:
	s_mov_b32 s6, 0x46000000
	v_add_f32_e64 v1, |v0|, s6
	v_and_b32_e32 v1, 0xff, v1
	v_cmp_ne_u32_e64 s[6:7], 0, v1
	s_andn2_b64 s[44:45], s[44:45], exec
	s_and_b64 s[6:7], s[6:7], exec
	s_or_b64 s[44:45], s[44:45], s[6:7]
	s_or_b64 exec, exec, s[46:47]
	v_mov_b32_e32 v14, 0
	s_and_saveexec_b64 s[6:7], s[44:45]
	s_cbranch_execnz .LBB295_1071
	s_branch .LBB295_1072
.LBB295_2614:
	s_andn2_saveexec_b64 s[46:47], s[6:7]
	s_cbranch_execz .LBB295_1092
.LBB295_2615:
	s_mov_b32 s6, 0x46000000
	v_add_f32_e64 v1, |v0|, s6
	v_and_b32_e32 v1, 0xff, v1
	v_cmp_ne_u32_e64 s[6:7], 0, v1
	s_andn2_b64 s[44:45], s[44:45], exec
	s_and_b64 s[6:7], s[6:7], exec
	s_or_b64 s[44:45], s[44:45], s[6:7]
	s_or_b64 exec, exec, s[46:47]
	v_mov_b32_e32 v14, 0
	s_and_saveexec_b64 s[6:7], s[44:45]
	s_cbranch_execnz .LBB295_1093
	s_branch .LBB295_1094
.LBB295_2616:
	s_andn2_saveexec_b64 s[46:47], s[6:7]
	s_cbranch_execz .LBB295_1100
.LBB295_2617:
	s_mov_b32 s6, 0x46000000
	v_add_f32_e64 v1, |v0|, s6
	v_and_b32_e32 v1, 0xff, v1
	v_cmp_ne_u32_e64 s[6:7], 0, v1
	s_andn2_b64 s[44:45], s[44:45], exec
	s_and_b64 s[6:7], s[6:7], exec
	s_or_b64 s[44:45], s[44:45], s[6:7]
	s_or_b64 exec, exec, s[46:47]
	v_mov_b32_e32 v14, 0
	s_and_saveexec_b64 s[6:7], s[44:45]
	s_cbranch_execnz .LBB295_1101
	s_branch .LBB295_1102
.LBB295_2618:
	s_andn2_saveexec_b64 s[50:51], s[6:7]
	s_cbranch_execz .LBB295_1257
.LBB295_2619:
	s_mov_b32 s6, 0x46000000
	v_add_f32_e64 v1, |v0|, s6
	v_and_b32_e32 v1, 0xff, v1
	v_cmp_ne_u32_e64 s[6:7], 0, v1
	s_andn2_b64 s[48:49], s[48:49], exec
	s_and_b64 s[6:7], s[6:7], exec
	s_or_b64 s[48:49], s[48:49], s[6:7]
	s_or_b64 exec, exec, s[50:51]
	v_mov_b32_e32 v10, 0
	s_and_saveexec_b64 s[6:7], s[48:49]
	s_cbranch_execnz .LBB295_1258
	s_branch .LBB295_1259
.LBB295_2620:
	s_andn2_saveexec_b64 s[50:51], s[6:7]
	s_cbranch_execz .LBB295_1285
.LBB295_2621:
	s_mov_b32 s6, 0x46000000
	v_add_f32_e64 v1, |v0|, s6
	v_and_b32_e32 v1, 0xff, v1
	v_cmp_ne_u32_e64 s[6:7], 0, v1
	s_andn2_b64 s[48:49], s[48:49], exec
	s_and_b64 s[6:7], s[6:7], exec
	s_or_b64 s[48:49], s[48:49], s[6:7]
	s_or_b64 exec, exec, s[50:51]
	v_mov_b32_e32 v10, 0
	s_and_saveexec_b64 s[6:7], s[48:49]
	s_cbranch_execnz .LBB295_1286
	s_branch .LBB295_1287
.LBB295_2622:
	s_andn2_saveexec_b64 s[50:51], s[6:7]
	s_cbranch_execz .LBB295_1315
.LBB295_2623:
	s_mov_b32 s6, 0x46000000
	v_add_f32_e64 v1, |v0|, s6
	v_and_b32_e32 v1, 0xff, v1
	v_cmp_ne_u32_e64 s[6:7], 0, v1
	s_andn2_b64 s[48:49], s[48:49], exec
	s_and_b64 s[6:7], s[6:7], exec
	s_or_b64 s[48:49], s[48:49], s[6:7]
	s_or_b64 exec, exec, s[50:51]
	v_mov_b32_e32 v10, 0
	s_and_saveexec_b64 s[6:7], s[48:49]
	s_cbranch_execnz .LBB295_1316
	s_branch .LBB295_1317
.LBB295_2624:
	s_andn2_saveexec_b64 s[50:51], s[6:7]
	s_cbranch_execz .LBB295_1325
.LBB295_2625:
	s_mov_b32 s6, 0x46000000
	v_add_f32_e64 v1, |v0|, s6
	v_and_b32_e32 v1, 0xff, v1
	v_cmp_ne_u32_e64 s[6:7], 0, v1
	s_andn2_b64 s[48:49], s[48:49], exec
	s_and_b64 s[6:7], s[6:7], exec
	s_or_b64 s[48:49], s[48:49], s[6:7]
	s_or_b64 exec, exec, s[50:51]
	v_mov_b32_e32 v10, 0
	s_and_saveexec_b64 s[6:7], s[48:49]
	s_cbranch_execnz .LBB295_1326
	s_branch .LBB295_1327
.LBB295_2626:
	s_andn2_saveexec_b64 s[50:51], s[6:7]
	s_cbranch_execz .LBB295_1333
.LBB295_2627:
	v_add_f32_e32 v0, 0x46000000, v1
	v_and_b32_e32 v0, 0xff, v0
	v_cmp_ne_u32_e64 s[6:7], 0, v0
	s_andn2_b64 s[48:49], s[48:49], exec
	s_and_b64 s[6:7], s[6:7], exec
	s_or_b64 s[48:49], s[48:49], s[6:7]
	s_or_b64 exec, exec, s[50:51]
	v_mov_b32_e32 v10, 0
	s_and_saveexec_b64 s[6:7], s[48:49]
	s_cbranch_execnz .LBB295_1334
	s_branch .LBB295_1335
.LBB295_2628:
	s_andn2_saveexec_b64 s[52:53], s[52:53]
	s_cbranch_execz .LBB295_1752
.LBB295_2629:
	v_cmp_lt_i16_e32 vcc, 22, v18
	s_mov_b64 s[56:57], s[4:5]
	s_and_saveexec_b64 s[54:55], vcc
	s_xor_b64 s[54:55], exec, s[54:55]
	s_cbranch_execz .LBB295_2661
; %bb.2630:
	v_cmp_lt_i16_e32 vcc, 23, v18
	s_and_saveexec_b64 s[56:57], vcc
	s_xor_b64 s[56:57], exec, s[56:57]
	s_cbranch_execz .LBB295_2650
; %bb.2631:
	v_cmp_lt_i16_e32 vcc, 24, v18
	s_and_saveexec_b64 s[58:59], vcc
	s_xor_b64 s[58:59], exec, s[58:59]
	s_cbranch_execz .LBB295_2639
; %bb.2632:
	v_cndmask_b32_e64 v7, 0, 1.0, s[26:27]
	s_mov_b32 s33, 0x47800000
	v_cmp_gt_u32_e32 vcc, s33, v7
	v_mov_b32_e32 v8, 0x80
	s_and_saveexec_b64 s[60:61], vcc
	s_cbranch_execz .LBB295_2638
; %bb.2633:
	s_mov_b32 s33, 0x37ffffff
	v_cmp_lt_u32_e32 vcc, s33, v7
	s_mov_b64 s[62:63], 0
                                        ; implicit-def: $vgpr6
	s_and_saveexec_b64 s[64:65], vcc
	s_xor_b64 s[64:65], exec, s[64:65]
	s_cbranch_execz .LBB295_2812
; %bb.2634:
	s_waitcnt lgkmcnt(0)
	v_bfe_u32 v6, v7, 21, 1
	s_mov_b32 s33, 0x88fffff
	v_add3_u32 v6, v7, v6, s33
	s_mov_b64 s[62:63], exec
	v_lshrrev_b32_e32 v6, 21, v6
                                        ; implicit-def: $vgpr7
	s_andn2_saveexec_b64 s[64:65], s[64:65]
	s_cbranch_execnz .LBB295_2813
.LBB295_2635:
	s_or_b64 exec, exec, s[64:65]
	v_mov_b32_e32 v8, 0
	s_and_saveexec_b64 s[64:65], s[62:63]
	s_cbranch_execz .LBB295_2637
.LBB295_2636:
	s_waitcnt lgkmcnt(0)
	v_mov_b32_e32 v8, v6
.LBB295_2637:
	s_or_b64 exec, exec, s[64:65]
.LBB295_2638:
	s_or_b64 exec, exec, s[60:61]
	flat_store_byte v[0:1], v8
.LBB295_2639:
	s_andn2_saveexec_b64 s[58:59], s[58:59]
	s_cbranch_execz .LBB295_2649
; %bb.2640:
	s_waitcnt lgkmcnt(0)
	v_cndmask_b32_e64 v6, 0, 1.0, s[26:27]
	s_mov_b32 s33, 0x43f00000
	v_cmp_gt_u32_e32 vcc, s33, v6
                                        ; implicit-def: $vgpr7
	s_and_saveexec_b64 s[60:61], vcc
	s_xor_b64 s[60:61], exec, s[60:61]
	s_cbranch_execz .LBB295_2646
; %bb.2641:
	s_mov_b32 s33, 0x3c7fffff
	v_cmp_lt_u32_e32 vcc, s33, v6
                                        ; implicit-def: $vgpr7
	s_and_saveexec_b64 s[62:63], vcc
	s_xor_b64 s[62:63], exec, s[62:63]
; %bb.2642:
	v_bfe_u32 v7, v6, 20, 1
	s_mov_b32 s33, 0x407ffff
	v_add3_u32 v6, v6, v7, s33
	v_lshrrev_b32_e32 v7, 20, v6
	v_and_b32_e32 v6, 0xff00000, v6
	s_mov_b32 s33, 0x7f00000
	v_mov_b32_e32 v8, 0x7e
	v_cmp_ne_u32_e32 vcc, s33, v6
	v_cndmask_b32_e32 v7, v8, v7, vcc
                                        ; implicit-def: $vgpr6
; %bb.2643:
	s_andn2_saveexec_b64 s[62:63], s[62:63]
; %bb.2644:
	v_add_f32_e32 v7, 0x46800000, v6
; %bb.2645:
	s_or_b64 exec, exec, s[62:63]
                                        ; implicit-def: $vgpr6
.LBB295_2646:
	s_andn2_saveexec_b64 s[60:61], s[60:61]
; %bb.2647:
	s_mov_b32 s33, 0x7f800000
	v_mov_b32_e32 v7, 0x7e
	v_mov_b32_e32 v8, 0x7f
	v_cmp_lt_u32_e32 vcc, s33, v6
	v_cndmask_b32_e32 v7, v7, v8, vcc
; %bb.2648:
	s_or_b64 exec, exec, s[60:61]
	flat_store_byte v[0:1], v7
.LBB295_2649:
	s_or_b64 exec, exec, s[58:59]
.LBB295_2650:
	s_andn2_saveexec_b64 s[56:57], s[56:57]
	s_cbranch_execz .LBB295_2660
; %bb.2651:
	s_waitcnt lgkmcnt(0)
	v_cndmask_b32_e64 v6, 0, 1.0, s[26:27]
	s_mov_b32 s33, 0x47800000
	v_cmp_gt_u32_e32 vcc, s33, v6
                                        ; implicit-def: $vgpr7
	s_and_saveexec_b64 s[58:59], vcc
	s_xor_b64 s[58:59], exec, s[58:59]
	s_cbranch_execz .LBB295_2657
; %bb.2652:
	s_mov_b32 s33, 0x387fffff
	v_cmp_lt_u32_e32 vcc, s33, v6
                                        ; implicit-def: $vgpr7
	s_and_saveexec_b64 s[60:61], vcc
	s_xor_b64 s[60:61], exec, s[60:61]
; %bb.2653:
	v_bfe_u32 v7, v6, 21, 1
	s_mov_b32 s33, 0x80fffff
	v_add3_u32 v6, v6, v7, s33
	v_lshrrev_b32_e32 v7, 21, v6
                                        ; implicit-def: $vgpr6
; %bb.2654:
	s_andn2_saveexec_b64 s[60:61], s[60:61]
; %bb.2655:
	v_add_f32_e32 v7, 0x43000000, v6
; %bb.2656:
	s_or_b64 exec, exec, s[60:61]
                                        ; implicit-def: $vgpr6
.LBB295_2657:
	s_andn2_saveexec_b64 s[58:59], s[58:59]
; %bb.2658:
	s_mov_b32 s33, 0x7f800000
	v_mov_b32_e32 v7, 0x7c
	v_mov_b32_e32 v8, 0x7f
	v_cmp_lt_u32_e32 vcc, s33, v6
	v_cndmask_b32_e32 v7, v7, v8, vcc
; %bb.2659:
	s_or_b64 exec, exec, s[58:59]
	flat_store_byte v[0:1], v7
.LBB295_2660:
	s_or_b64 exec, exec, s[56:57]
	s_or_b64 s[56:57], s[4:5], exec
.LBB295_2661:
	s_or_saveexec_b64 s[54:55], s[54:55]
	s_mov_b64 s[60:61], 0
	s_mov_b64 s[58:59], s[48:49]
	s_xor_b64 exec, exec, s[54:55]
	s_cbranch_execz .LBB295_2669
; %bb.2662:
	v_cmp_lt_i16_e32 vcc, 14, v18
	s_mov_b64 s[58:59], s[48:49]
	s_mov_b64 s[60:61], s[56:57]
	s_and_saveexec_b64 s[62:63], vcc
	s_xor_b64 s[62:63], exec, s[62:63]
	s_cbranch_execz .LBB295_2666
; %bb.2663:
	v_cmp_eq_u16_e32 vcc, 15, v18
	s_mov_b64 s[58:59], -1
	s_mov_b64 s[64:65], s[56:57]
	s_and_saveexec_b64 s[60:61], vcc
	s_cbranch_execz .LBB295_2665
; %bb.2664:
	s_waitcnt lgkmcnt(0)
	v_cndmask_b32_e64 v6, 0, 1.0, s[26:27]
	v_bfe_u32 v7, v6, 16, 1
	s_movk_i32 s33, 0x7fff
	v_add3_u32 v6, v6, v7, s33
	flat_store_short_d16_hi v[0:1], v6
	s_or_b64 s[64:65], s[56:57], exec
	s_xor_b64 s[58:59], exec, -1
.LBB295_2665:
	s_or_b64 exec, exec, s[60:61]
	s_andn2_b64 s[60:61], s[56:57], exec
	s_and_b64 s[64:65], s[64:65], exec
	s_or_b64 s[60:61], s[60:61], s[64:65]
	s_andn2_b64 s[64:65], s[48:49], exec
	s_and_b64 s[58:59], s[58:59], exec
	s_or_b64 s[58:59], s[64:65], s[58:59]
.LBB295_2666:
	s_or_saveexec_b64 s[62:63], s[62:63]
	s_mov_b64 s[64:65], 0
	s_xor_b64 exec, exec, s[62:63]
; %bb.2667:
	v_cmp_ne_u16_e32 vcc, 11, v18
	s_andn2_b64 s[58:59], s[58:59], exec
	s_and_b64 s[66:67], vcc, exec
	s_mov_b64 s[64:65], exec
	s_or_b64 s[58:59], s[58:59], s[66:67]
; %bb.2668:
	s_or_b64 exec, exec, s[62:63]
	s_andn2_b64 s[56:57], s[56:57], exec
	s_and_b64 s[60:61], s[60:61], exec
	s_andn2_b64 s[62:63], s[48:49], exec
	s_and_b64 s[58:59], s[58:59], exec
	s_or_b64 s[56:57], s[56:57], s[60:61]
	s_and_b64 s[60:61], s[64:65], exec
	s_or_b64 s[58:59], s[62:63], s[58:59]
.LBB295_2669:
	s_or_b64 exec, exec, s[54:55]
	s_andn2_b64 s[4:5], s[4:5], exec
	s_and_b64 s[54:55], s[56:57], exec
	s_andn2_b64 s[48:49], s[48:49], exec
	s_and_b64 s[56:57], s[58:59], exec
	s_or_b64 s[4:5], s[4:5], s[54:55]
	s_and_b64 s[54:55], s[60:61], exec
	s_or_b64 s[48:49], s[48:49], s[56:57]
	s_or_b64 exec, exec, s[52:53]
	s_mov_b64 s[52:53], s[46:47]
	s_and_saveexec_b64 s[56:57], s[48:49]
	s_cbranch_execz .LBB295_1753
.LBB295_2670:
	s_trap 2
	s_or_b64 s[52:53], s[46:47], exec
	s_andn2_b64 s[54:55], s[54:55], exec
	s_or_b64 exec, exec, s[56:57]
	s_and_saveexec_b64 s[48:49], s[54:55]
	s_xor_b64 s[48:49], exec, s[48:49]
	s_cbranch_execnz .LBB295_1754
	s_branch .LBB295_1755
.LBB295_2671:
	s_andn2_saveexec_b64 s[46:47], s[6:7]
	s_cbranch_execz .LBB295_2196
.LBB295_2672:
	s_mov_b32 s6, 0x46000000
	v_add_f32_e64 v14, |v15|, s6
	v_and_b32_e32 v18, 0xff, v14
	v_cmp_ne_u32_e64 s[6:7], 0, v18
	s_andn2_b64 s[44:45], s[44:45], exec
	s_and_b64 s[6:7], s[6:7], exec
	s_or_b64 s[44:45], s[44:45], s[6:7]
	s_or_b64 exec, exec, s[46:47]
	v_mov_b32_e32 v14, 0
	s_and_saveexec_b64 s[6:7], s[44:45]
	s_cbranch_execnz .LBB295_2197
	s_branch .LBB295_2198
.LBB295_2673:
	s_andn2_saveexec_b64 s[46:47], s[6:7]
	s_cbranch_execz .LBB295_2204
.LBB295_2674:
	s_mov_b32 s6, 0x46000000
	v_add_f32_e64 v14, |v15|, s6
	v_and_b32_e32 v18, 0xff, v14
	v_cmp_ne_u32_e64 s[6:7], 0, v18
	s_andn2_b64 s[44:45], s[44:45], exec
	s_and_b64 s[6:7], s[6:7], exec
	s_or_b64 s[44:45], s[44:45], s[6:7]
	s_or_b64 exec, exec, s[46:47]
	v_mov_b32_e32 v14, 0
	s_and_saveexec_b64 s[6:7], s[44:45]
	s_cbranch_execnz .LBB295_2205
	s_branch .LBB295_2206
.LBB295_2675:
	s_andn2_saveexec_b64 s[48:49], s[6:7]
	s_cbranch_execz .LBB295_2224
.LBB295_2676:
	s_mov_b32 s6, 0x46000000
	v_add_f32_e64 v14, |v20|, s6
	v_and_b32_e32 v18, 0xff, v14
	v_cmp_ne_u32_e64 s[6:7], 0, v18
	s_andn2_b64 s[46:47], s[46:47], exec
	s_and_b64 s[6:7], s[6:7], exec
	s_or_b64 s[46:47], s[46:47], s[6:7]
	s_or_b64 exec, exec, s[48:49]
	v_mov_b32_e32 v14, 0
	s_and_saveexec_b64 s[6:7], s[46:47]
	s_cbranch_execnz .LBB295_2225
	s_branch .LBB295_2226
.LBB295_2677:
	s_or_saveexec_b64 s[50:51], s[50:51]
	v_mov_b32_e32 v6, 0x7f800001
	s_xor_b64 exec, exec, s[50:51]
	s_cbranch_execz .LBB295_2262
.LBB295_2678:
	v_cmp_ne_u16_e64 s[6:7], 0, v10
	s_andn2_b64 s[48:49], s[48:49], exec
	s_and_b64 s[6:7], s[6:7], exec
	v_mov_b32_e32 v6, 0
	s_or_b64 s[48:49], s[48:49], s[6:7]
	s_or_b64 exec, exec, s[50:51]
	s_and_saveexec_b64 s[50:51], s[48:49]
	s_cbranch_execnz .LBB295_2263
	s_branch .LBB295_2264
.LBB295_2679:
	s_andn2_saveexec_b64 s[50:51], s[6:7]
	s_cbranch_execz .LBB295_2284
.LBB295_2680:
	s_mov_b32 s6, 0x46000000
	v_add_f32_e64 v10, |v6|, s6
	v_and_b32_e32 v11, 0xff, v10
	v_cmp_ne_u32_e64 s[6:7], 0, v11
	s_andn2_b64 s[48:49], s[48:49], exec
	s_and_b64 s[6:7], s[6:7], exec
	s_or_b64 s[48:49], s[48:49], s[6:7]
	s_or_b64 exec, exec, s[50:51]
	v_mov_b32_e32 v10, 0
	s_and_saveexec_b64 s[6:7], s[48:49]
	s_cbranch_execnz .LBB295_2285
	s_branch .LBB295_2286
.LBB295_2681:
	s_andn2_saveexec_b64 s[22:23], s[22:23]
	s_cbranch_execz .LBB295_307
.LBB295_2682:
	v_add_f32_e32 v3, 0x42800000, v4
	v_and_b32_e32 v3, 0xff, v3
	v_cmp_ne_u32_e32 vcc, 0, v3
	s_andn2_b64 s[20:21], s[20:21], exec
	s_and_b64 s[24:25], vcc, exec
	s_or_b64 s[20:21], s[20:21], s[24:25]
	s_or_b64 exec, exec, s[22:23]
	v_mov_b32_e32 v5, 0
	s_and_saveexec_b64 s[22:23], s[20:21]
	s_cbranch_execnz .LBB295_308
	s_branch .LBB295_309
.LBB295_2683:
	s_andn2_saveexec_b64 s[46:47], s[6:7]
	s_cbranch_execz .LBB295_966
.LBB295_2684:
	s_mov_b32 s6, 0x46000000
	v_add_f32_e64 v14, |v15|, s6
	v_and_b32_e32 v18, 0xff, v14
	v_cmp_ne_u32_e64 s[6:7], 0, v18
	s_andn2_b64 s[44:45], s[44:45], exec
	s_and_b64 s[6:7], s[6:7], exec
	s_or_b64 s[44:45], s[44:45], s[6:7]
	s_or_b64 exec, exec, s[46:47]
	v_mov_b32_e32 v14, 0
	s_and_saveexec_b64 s[6:7], s[44:45]
	s_cbranch_execnz .LBB295_967
	s_branch .LBB295_968
.LBB295_2685:
	s_andn2_saveexec_b64 s[50:51], s[6:7]
	s_cbranch_execz .LBB295_976
.LBB295_2686:
	v_add_f32_e32 v14, 0x46000000, v18
	v_and_b32_e32 v15, 0xff, v14
	v_cmp_ne_u32_e64 s[6:7], 0, v15
	s_andn2_b64 s[48:49], s[48:49], exec
	s_and_b64 s[6:7], s[6:7], exec
	s_or_b64 s[48:49], s[48:49], s[6:7]
	s_or_b64 exec, exec, s[50:51]
	v_mov_b32_e32 v14, 0
	s_and_saveexec_b64 s[6:7], s[48:49]
	s_cbranch_execnz .LBB295_977
	s_branch .LBB295_978
.LBB295_2687:
	s_andn2_saveexec_b64 s[54:55], s[6:7]
	s_cbranch_execz .LBB295_1193
.LBB295_2688:
	v_add_f32_e32 v6, 0x46000000, v11
	v_and_b32_e32 v6, 0xff, v6
	v_cmp_ne_u32_e64 s[6:7], 0, v6
	s_andn2_b64 s[52:53], s[52:53], exec
	s_and_b64 s[6:7], s[6:7], exec
	s_or_b64 s[52:53], s[52:53], s[6:7]
	s_or_b64 exec, exec, s[54:55]
	v_mov_b32_e32 v10, 0
	s_and_saveexec_b64 s[6:7], s[52:53]
	s_cbranch_execnz .LBB295_1194
	s_branch .LBB295_1195
.LBB295_2689:
	s_andn2_saveexec_b64 s[54:55], s[6:7]
	s_cbranch_execz .LBB295_1205
.LBB295_2690:
	v_add_f32_e32 v6, 0x46000000, v11
	v_and_b32_e32 v6, 0xff, v6
	v_cmp_ne_u32_e64 s[6:7], 0, v6
	s_andn2_b64 s[52:53], s[52:53], exec
	s_and_b64 s[6:7], s[6:7], exec
	s_or_b64 s[52:53], s[52:53], s[6:7]
	s_or_b64 exec, exec, s[54:55]
	v_mov_b32_e32 v10, 0
	s_and_saveexec_b64 s[6:7], s[52:53]
	s_cbranch_execnz .LBB295_1206
	s_branch .LBB295_1207
.LBB295_2691:
	s_andn2_saveexec_b64 s[54:55], s[6:7]
	s_cbranch_execz .LBB295_1213
.LBB295_2692:
	v_add_f32_e32 v6, 0x46000000, v11
	v_and_b32_e32 v6, 0xff, v6
	v_cmp_ne_u32_e64 s[6:7], 0, v6
	s_andn2_b64 s[52:53], s[52:53], exec
	s_and_b64 s[6:7], s[6:7], exec
	s_or_b64 s[52:53], s[52:53], s[6:7]
	s_or_b64 exec, exec, s[54:55]
	v_mov_b32_e32 v10, 0
	s_and_saveexec_b64 s[6:7], s[52:53]
	s_cbranch_execnz .LBB295_1214
	s_branch .LBB295_1215
.LBB295_2693:
	s_andn2_saveexec_b64 s[52:53], s[6:7]
	s_cbranch_execz .LBB295_1240
.LBB295_2694:
	s_mov_b32 s6, 0x46000000
	v_add_f32_e64 v1, |v0|, s6
	v_and_b32_e32 v1, 0xff, v1
	v_cmp_ne_u32_e64 s[6:7], 0, v1
	s_andn2_b64 s[50:51], s[50:51], exec
	s_and_b64 s[6:7], s[6:7], exec
	s_or_b64 s[50:51], s[50:51], s[6:7]
	s_or_b64 exec, exec, s[52:53]
	v_mov_b32_e32 v10, 0
	s_and_saveexec_b64 s[6:7], s[50:51]
	s_cbranch_execnz .LBB295_1241
	s_branch .LBB295_1242
.LBB295_2695:
	s_andn2_saveexec_b64 s[52:53], s[6:7]
	s_cbranch_execz .LBB295_1248
.LBB295_2696:
	s_mov_b32 s6, 0x46000000
	v_add_f32_e64 v1, |v0|, s6
	v_and_b32_e32 v1, 0xff, v1
	v_cmp_ne_u32_e64 s[6:7], 0, v1
	s_andn2_b64 s[50:51], s[50:51], exec
	s_and_b64 s[6:7], s[6:7], exec
	s_or_b64 s[50:51], s[50:51], s[6:7]
	s_or_b64 exec, exec, s[52:53]
	v_mov_b32_e32 v10, 0
	s_and_saveexec_b64 s[6:7], s[50:51]
	s_cbranch_execnz .LBB295_1249
	s_branch .LBB295_1250
.LBB295_2697:
	s_andn2_saveexec_b64 s[52:53], s[6:7]
	s_cbranch_execz .LBB295_1268
.LBB295_2698:
	s_mov_b32 s6, 0x46000000
	v_add_f32_e64 v1, |v0|, s6
	v_and_b32_e32 v1, 0xff, v1
	v_cmp_ne_u32_e64 s[6:7], 0, v1
	s_andn2_b64 s[50:51], s[50:51], exec
	s_and_b64 s[6:7], s[6:7], exec
	s_or_b64 s[50:51], s[50:51], s[6:7]
	s_or_b64 exec, exec, s[52:53]
	v_mov_b32_e32 v10, 0
	s_and_saveexec_b64 s[6:7], s[50:51]
	s_cbranch_execnz .LBB295_1269
	s_branch .LBB295_1270
.LBB295_2699:
	s_andn2_saveexec_b64 s[52:53], s[6:7]
	s_cbranch_execz .LBB295_1276
.LBB295_2700:
	s_mov_b32 s6, 0x46000000
	v_add_f32_e64 v1, |v0|, s6
	v_and_b32_e32 v1, 0xff, v1
	v_cmp_ne_u32_e64 s[6:7], 0, v1
	s_andn2_b64 s[50:51], s[50:51], exec
	s_and_b64 s[6:7], s[6:7], exec
	s_or_b64 s[50:51], s[50:51], s[6:7]
	s_or_b64 exec, exec, s[52:53]
	v_mov_b32_e32 v10, 0
	s_and_saveexec_b64 s[6:7], s[50:51]
	s_cbranch_execnz .LBB295_1277
	s_branch .LBB295_1278
.LBB295_2701:
	s_andn2_saveexec_b64 s[52:53], s[6:7]
	s_cbranch_execz .LBB295_1298
.LBB295_2702:
	s_mov_b32 s6, 0x46000000
	v_add_f32_e64 v1, |v0|, s6
	v_and_b32_e32 v1, 0xff, v1
	v_cmp_ne_u32_e64 s[6:7], 0, v1
	s_andn2_b64 s[50:51], s[50:51], exec
	s_and_b64 s[6:7], s[6:7], exec
	s_or_b64 s[50:51], s[50:51], s[6:7]
	s_or_b64 exec, exec, s[52:53]
	v_mov_b32_e32 v10, 0
	s_and_saveexec_b64 s[6:7], s[50:51]
	s_cbranch_execnz .LBB295_1299
	s_branch .LBB295_1300
.LBB295_2703:
	s_andn2_saveexec_b64 s[52:53], s[6:7]
	s_cbranch_execz .LBB295_1306
.LBB295_2704:
	s_mov_b32 s6, 0x46000000
	v_add_f32_e64 v1, |v0|, s6
	v_and_b32_e32 v1, 0xff, v1
	v_cmp_ne_u32_e64 s[6:7], 0, v1
	s_andn2_b64 s[50:51], s[50:51], exec
	s_and_b64 s[6:7], s[6:7], exec
	s_or_b64 s[50:51], s[50:51], s[6:7]
	s_or_b64 exec, exec, s[52:53]
	v_mov_b32_e32 v10, 0
	s_and_saveexec_b64 s[6:7], s[50:51]
	s_cbranch_execnz .LBB295_1307
	s_branch .LBB295_1308
.LBB295_2705:
	s_andn2_saveexec_b64 s[54:55], s[6:7]
	s_cbranch_execz .LBB295_1435
.LBB295_2706:
	s_mov_b32 s6, 0x46000000
	v_add_f32_e64 v1, |v0|, s6
	v_and_b32_e32 v1, 0xff, v1
	v_cmp_ne_u32_e64 s[6:7], 0, v1
	s_andn2_b64 s[52:53], s[52:53], exec
	s_and_b64 s[6:7], s[6:7], exec
	s_or_b64 s[52:53], s[52:53], s[6:7]
	s_or_b64 exec, exec, s[54:55]
	v_mov_b32_e32 v6, 0
	s_and_saveexec_b64 s[6:7], s[52:53]
	s_cbranch_execnz .LBB295_1436
	s_branch .LBB295_1437
.LBB295_2707:
	s_andn2_saveexec_b64 s[54:55], s[6:7]
	s_cbranch_execz .LBB295_1463
.LBB295_2708:
	s_mov_b32 s6, 0x46000000
	v_add_f32_e64 v1, |v0|, s6
	v_and_b32_e32 v1, 0xff, v1
	v_cmp_ne_u32_e64 s[6:7], 0, v1
	s_andn2_b64 s[52:53], s[52:53], exec
	s_and_b64 s[6:7], s[6:7], exec
	s_or_b64 s[52:53], s[52:53], s[6:7]
	s_or_b64 exec, exec, s[54:55]
	v_mov_b32_e32 v6, 0
	s_and_saveexec_b64 s[6:7], s[52:53]
	s_cbranch_execnz .LBB295_1464
	s_branch .LBB295_1465
.LBB295_2709:
	s_andn2_saveexec_b64 s[54:55], s[6:7]
	s_cbranch_execz .LBB295_1493
.LBB295_2710:
	s_mov_b32 s6, 0x46000000
	v_add_f32_e64 v1, |v0|, s6
	v_and_b32_e32 v1, 0xff, v1
	v_cmp_ne_u32_e64 s[6:7], 0, v1
	s_andn2_b64 s[52:53], s[52:53], exec
	s_and_b64 s[6:7], s[6:7], exec
	s_or_b64 s[52:53], s[52:53], s[6:7]
	s_or_b64 exec, exec, s[54:55]
	v_mov_b32_e32 v6, 0
	s_and_saveexec_b64 s[6:7], s[52:53]
	s_cbranch_execnz .LBB295_1494
	s_branch .LBB295_1495
.LBB295_2711:
	s_andn2_saveexec_b64 s[54:55], s[6:7]
	s_cbranch_execz .LBB295_1503
.LBB295_2712:
	s_mov_b32 s6, 0x46000000
	v_add_f32_e64 v1, |v0|, s6
	v_and_b32_e32 v1, 0xff, v1
	v_cmp_ne_u32_e64 s[6:7], 0, v1
	s_andn2_b64 s[52:53], s[52:53], exec
	s_and_b64 s[6:7], s[6:7], exec
	s_or_b64 s[52:53], s[52:53], s[6:7]
	s_or_b64 exec, exec, s[54:55]
	v_mov_b32_e32 v6, 0
	s_and_saveexec_b64 s[6:7], s[52:53]
	s_cbranch_execnz .LBB295_1504
	s_branch .LBB295_1505
.LBB295_2713:
	s_andn2_saveexec_b64 s[54:55], s[6:7]
	s_cbranch_execz .LBB295_1511
.LBB295_2714:
	v_add_f32_e32 v0, 0x46000000, v1
	v_and_b32_e32 v0, 0xff, v0
	v_cmp_ne_u32_e64 s[6:7], 0, v0
	s_andn2_b64 s[52:53], s[52:53], exec
	s_and_b64 s[6:7], s[6:7], exec
	s_or_b64 s[52:53], s[52:53], s[6:7]
	s_or_b64 exec, exec, s[54:55]
	v_mov_b32_e32 v6, 0
	s_and_saveexec_b64 s[6:7], s[52:53]
	s_cbranch_execnz .LBB295_1512
	s_branch .LBB295_1513
.LBB295_2715:
	s_andn2_saveexec_b64 s[52:53], s[52:53]
	s_cbranch_execz .LBB295_1836
.LBB295_2716:
	v_cmp_lt_i16_e32 vcc, 22, v18
	s_and_saveexec_b64 s[54:55], vcc
	s_xor_b64 s[54:55], exec, s[54:55]
	s_cbranch_execz .LBB295_2748
; %bb.2717:
	v_cmp_lt_i16_e32 vcc, 23, v18
	s_and_saveexec_b64 s[56:57], vcc
	s_xor_b64 s[56:57], exec, s[56:57]
	s_cbranch_execz .LBB295_2737
; %bb.2718:
	;; [unrolled: 5-line block ×3, first 2 shown]
	v_cndmask_b32_e64 v3, 0, 1.0, s[40:41]
	s_mov_b32 s33, 0x47800000
	v_cmp_gt_u32_e32 vcc, s33, v3
	v_mov_b32_e32 v4, 0x80
	s_and_saveexec_b64 s[60:61], vcc
	s_cbranch_execz .LBB295_2725
; %bb.2720:
	s_mov_b32 s33, 0x37ffffff
	v_cmp_lt_u32_e32 vcc, s33, v3
	s_mov_b64 s[62:63], 0
                                        ; implicit-def: $vgpr2
	s_and_saveexec_b64 s[64:65], vcc
	s_xor_b64 s[64:65], exec, s[64:65]
	s_cbranch_execz .LBB295_2814
; %bb.2721:
	v_bfe_u32 v2, v3, 21, 1
	s_mov_b32 s33, 0x88fffff
	v_add3_u32 v2, v3, v2, s33
	s_mov_b64 s[62:63], exec
	v_lshrrev_b32_e32 v2, 21, v2
                                        ; implicit-def: $vgpr3
	s_andn2_saveexec_b64 s[64:65], s[64:65]
	s_cbranch_execnz .LBB295_2815
.LBB295_2722:
	s_or_b64 exec, exec, s[64:65]
	v_mov_b32_e32 v4, 0
	s_and_saveexec_b64 s[64:65], s[62:63]
.LBB295_2723:
	v_mov_b32_e32 v4, v2
.LBB295_2724:
	s_or_b64 exec, exec, s[64:65]
.LBB295_2725:
	s_or_b64 exec, exec, s[60:61]
	flat_store_byte v[0:1], v4
.LBB295_2726:
	s_andn2_saveexec_b64 s[58:59], s[58:59]
	s_cbranch_execz .LBB295_2736
; %bb.2727:
	v_cndmask_b32_e64 v2, 0, 1.0, s[40:41]
	s_mov_b32 s33, 0x43f00000
	v_cmp_gt_u32_e32 vcc, s33, v2
                                        ; implicit-def: $vgpr3
	s_and_saveexec_b64 s[60:61], vcc
	s_xor_b64 s[60:61], exec, s[60:61]
	s_cbranch_execz .LBB295_2733
; %bb.2728:
	s_mov_b32 s33, 0x3c7fffff
	v_cmp_lt_u32_e32 vcc, s33, v2
                                        ; implicit-def: $vgpr3
	s_and_saveexec_b64 s[62:63], vcc
	s_xor_b64 s[62:63], exec, s[62:63]
; %bb.2729:
	v_bfe_u32 v3, v2, 20, 1
	s_mov_b32 s33, 0x407ffff
	v_add3_u32 v2, v2, v3, s33
	v_lshrrev_b32_e32 v3, 20, v2
	v_and_b32_e32 v2, 0xff00000, v2
	s_mov_b32 s33, 0x7f00000
	v_mov_b32_e32 v4, 0x7e
	v_cmp_ne_u32_e32 vcc, s33, v2
	v_cndmask_b32_e32 v3, v4, v3, vcc
                                        ; implicit-def: $vgpr2
; %bb.2730:
	s_andn2_saveexec_b64 s[62:63], s[62:63]
; %bb.2731:
	v_add_f32_e32 v3, 0x46800000, v2
; %bb.2732:
	s_or_b64 exec, exec, s[62:63]
                                        ; implicit-def: $vgpr2
.LBB295_2733:
	s_andn2_saveexec_b64 s[60:61], s[60:61]
; %bb.2734:
	s_mov_b32 s33, 0x7f800000
	v_mov_b32_e32 v3, 0x7e
	v_mov_b32_e32 v4, 0x7f
	v_cmp_lt_u32_e32 vcc, s33, v2
	v_cndmask_b32_e32 v3, v3, v4, vcc
; %bb.2735:
	s_or_b64 exec, exec, s[60:61]
	flat_store_byte v[0:1], v3
.LBB295_2736:
	s_or_b64 exec, exec, s[58:59]
.LBB295_2737:
	s_andn2_saveexec_b64 s[56:57], s[56:57]
	s_cbranch_execz .LBB295_2747
; %bb.2738:
	v_cndmask_b32_e64 v2, 0, 1.0, s[40:41]
	s_mov_b32 s33, 0x47800000
	v_cmp_gt_u32_e32 vcc, s33, v2
                                        ; implicit-def: $vgpr3
	s_and_saveexec_b64 s[58:59], vcc
	s_xor_b64 s[58:59], exec, s[58:59]
	s_cbranch_execz .LBB295_2744
; %bb.2739:
	s_mov_b32 s33, 0x387fffff
	v_cmp_lt_u32_e32 vcc, s33, v2
                                        ; implicit-def: $vgpr3
	s_and_saveexec_b64 s[60:61], vcc
	s_xor_b64 s[60:61], exec, s[60:61]
; %bb.2740:
	v_bfe_u32 v3, v2, 21, 1
	s_mov_b32 s33, 0x80fffff
	v_add3_u32 v2, v2, v3, s33
	v_lshrrev_b32_e32 v3, 21, v2
                                        ; implicit-def: $vgpr2
; %bb.2741:
	s_andn2_saveexec_b64 s[60:61], s[60:61]
; %bb.2742:
	v_add_f32_e32 v3, 0x43000000, v2
; %bb.2743:
	s_or_b64 exec, exec, s[60:61]
                                        ; implicit-def: $vgpr2
.LBB295_2744:
	s_andn2_saveexec_b64 s[58:59], s[58:59]
; %bb.2745:
	s_mov_b32 s33, 0x7f800000
	v_mov_b32_e32 v3, 0x7c
	v_mov_b32_e32 v4, 0x7f
	v_cmp_lt_u32_e32 vcc, s33, v2
	v_cndmask_b32_e32 v3, v3, v4, vcc
; %bb.2746:
	s_or_b64 exec, exec, s[58:59]
	flat_store_byte v[0:1], v3
.LBB295_2747:
	s_or_b64 exec, exec, s[56:57]
.LBB295_2748:
	s_or_saveexec_b64 s[54:55], s[54:55]
	s_mov_b64 s[58:59], 0
	s_mov_b64 s[56:57], s[4:5]
	s_xor_b64 exec, exec, s[54:55]
	s_cbranch_execz .LBB295_2756
; %bb.2749:
	v_cmp_lt_i16_e32 vcc, 14, v18
	s_mov_b64 s[56:57], s[4:5]
	s_and_saveexec_b64 s[58:59], vcc
	s_xor_b64 s[58:59], exec, s[58:59]
	s_cbranch_execz .LBB295_2753
; %bb.2750:
	v_cmp_eq_u16_e32 vcc, 15, v18
	s_mov_b64 s[60:61], -1
	s_and_saveexec_b64 s[56:57], vcc
	s_cbranch_execz .LBB295_2752
; %bb.2751:
	v_cndmask_b32_e64 v2, 0, 1.0, s[40:41]
	v_bfe_u32 v3, v2, 16, 1
	s_movk_i32 s33, 0x7fff
	v_add3_u32 v2, v2, v3, s33
	flat_store_short_d16_hi v[0:1], v2
	s_xor_b64 s[60:61], exec, -1
.LBB295_2752:
	s_or_b64 exec, exec, s[56:57]
	s_andn2_b64 s[56:57], s[4:5], exec
	s_and_b64 s[60:61], s[60:61], exec
	s_or_b64 s[56:57], s[56:57], s[60:61]
.LBB295_2753:
	s_or_saveexec_b64 s[58:59], s[58:59]
	s_mov_b64 s[60:61], 0
	s_xor_b64 exec, exec, s[58:59]
; %bb.2754:
	v_cmp_ne_u16_e32 vcc, 11, v18
	s_andn2_b64 s[56:57], s[56:57], exec
	s_and_b64 s[62:63], vcc, exec
	s_mov_b64 s[60:61], exec
	s_or_b64 s[56:57], s[56:57], s[62:63]
; %bb.2755:
	s_or_b64 exec, exec, s[58:59]
	s_and_b64 s[58:59], s[60:61], exec
	s_andn2_b64 s[60:61], s[4:5], exec
	s_and_b64 s[56:57], s[56:57], exec
	s_or_b64 s[56:57], s[60:61], s[56:57]
.LBB295_2756:
	s_or_b64 exec, exec, s[54:55]
	s_andn2_b64 s[4:5], s[4:5], exec
	s_and_b64 s[56:57], s[56:57], exec
	s_and_b64 s[54:55], s[58:59], exec
	s_or_b64 s[4:5], s[4:5], s[56:57]
	s_or_b64 exec, exec, s[52:53]
	s_mov_b64 s[56:57], s[48:49]
	s_and_saveexec_b64 s[52:53], s[4:5]
	s_cbranch_execz .LBB295_1837
.LBB295_2757:
	s_andn2_b64 s[54:55], s[54:55], exec
	s_or_b64 s[56:57], s[48:49], exec
	s_trap 2
	s_branch .LBB295_1837
.LBB295_2758:
	s_andn2_saveexec_b64 s[52:53], s[6:7]
	s_cbranch_execz .LBB295_2267
.LBB295_2759:
	s_mov_b32 s6, 0x46000000
	v_add_f32_e64 v10, |v6|, s6
	v_and_b32_e32 v11, 0xff, v10
	v_cmp_ne_u32_e64 s[6:7], 0, v11
	s_andn2_b64 s[50:51], s[50:51], exec
	s_and_b64 s[6:7], s[6:7], exec
	s_or_b64 s[50:51], s[50:51], s[6:7]
	s_or_b64 exec, exec, s[52:53]
	v_mov_b32_e32 v10, 0
	s_and_saveexec_b64 s[6:7], s[50:51]
	s_cbranch_execnz .LBB295_2268
	s_branch .LBB295_2269
.LBB295_2760:
	s_andn2_saveexec_b64 s[52:53], s[6:7]
	s_cbranch_execz .LBB295_2275
.LBB295_2761:
	s_mov_b32 s6, 0x46000000
	v_add_f32_e64 v10, |v6|, s6
	v_and_b32_e32 v11, 0xff, v10
	v_cmp_ne_u32_e64 s[6:7], 0, v11
	s_andn2_b64 s[50:51], s[50:51], exec
	s_and_b64 s[6:7], s[6:7], exec
	s_or_b64 s[50:51], s[50:51], s[6:7]
	s_or_b64 exec, exec, s[52:53]
	v_mov_b32_e32 v10, 0
	s_and_saveexec_b64 s[6:7], s[50:51]
	s_cbranch_execnz .LBB295_2276
	s_branch .LBB295_2277
.LBB295_2762:
	s_andn2_saveexec_b64 s[54:55], s[6:7]
	s_cbranch_execz .LBB295_2295
.LBB295_2763:
	s_mov_b32 s6, 0x46000000
	v_add_f32_e64 v10, |v14|, s6
	v_and_b32_e32 v11, 0xff, v10
	v_cmp_ne_u32_e64 s[6:7], 0, v11
	s_andn2_b64 s[52:53], s[52:53], exec
	s_and_b64 s[6:7], s[6:7], exec
	s_or_b64 s[52:53], s[52:53], s[6:7]
	s_or_b64 exec, exec, s[54:55]
	v_mov_b32_e32 v10, 0
	s_and_saveexec_b64 s[6:7], s[52:53]
	s_cbranch_execnz .LBB295_2296
	s_branch .LBB295_2297
.LBB295_2764:
	s_or_saveexec_b64 s[54:55], s[54:55]
	v_mov_b32_e32 v5, 0x7f800001
	s_xor_b64 exec, exec, s[54:55]
	s_cbranch_execz .LBB295_2349
.LBB295_2765:
	v_cmp_ne_u16_e64 s[6:7], 0, v6
	s_andn2_b64 s[52:53], s[52:53], exec
	s_and_b64 s[6:7], s[6:7], exec
	v_mov_b32_e32 v5, 0
	s_or_b64 s[52:53], s[52:53], s[6:7]
	s_or_b64 exec, exec, s[54:55]
	s_and_saveexec_b64 s[54:55], s[52:53]
	s_cbranch_execnz .LBB295_2350
	s_branch .LBB295_2351
.LBB295_2766:
	s_andn2_saveexec_b64 s[54:55], s[6:7]
	s_cbranch_execz .LBB295_2371
.LBB295_2767:
	s_mov_b32 s6, 0x46000000
	v_add_f32_e64 v6, |v5|, s6
	v_and_b32_e32 v8, 0xff, v6
	v_cmp_ne_u32_e64 s[6:7], 0, v8
	s_andn2_b64 s[52:53], s[52:53], exec
	s_and_b64 s[6:7], s[6:7], exec
	s_or_b64 s[52:53], s[52:53], s[6:7]
	s_or_b64 exec, exec, s[54:55]
	v_mov_b32_e32 v6, 0
	s_and_saveexec_b64 s[6:7], s[52:53]
	s_cbranch_execnz .LBB295_2372
	s_branch .LBB295_2373
.LBB295_2768:
	s_andn2_saveexec_b64 s[52:53], s[6:7]
	s_cbranch_execz .LBB295_1172
.LBB295_2769:
	s_mov_b32 s6, 0x46000000
	v_add_f32_e64 v10, |v6|, s6
	v_and_b32_e32 v11, 0xff, v10
	v_cmp_ne_u32_e64 s[6:7], 0, v11
	s_andn2_b64 s[50:51], s[50:51], exec
	s_and_b64 s[6:7], s[6:7], exec
	s_or_b64 s[50:51], s[50:51], s[6:7]
	s_or_b64 exec, exec, s[52:53]
	v_mov_b32_e32 v10, 0
	s_and_saveexec_b64 s[6:7], s[50:51]
	s_cbranch_execnz .LBB295_1173
	s_branch .LBB295_1174
.LBB295_2770:
	s_andn2_saveexec_b64 s[56:57], s[6:7]
	s_cbranch_execz .LBB295_1182
.LBB295_2771:
	v_add_f32_e32 v6, 0x46000000, v11
	v_and_b32_e32 v6, 0xff, v6
	v_cmp_ne_u32_e64 s[6:7], 0, v6
	s_andn2_b64 s[54:55], s[54:55], exec
	s_and_b64 s[6:7], s[6:7], exec
	s_or_b64 s[54:55], s[54:55], s[6:7]
	s_or_b64 exec, exec, s[56:57]
	v_mov_b32_e32 v10, 0
	s_and_saveexec_b64 s[6:7], s[54:55]
	s_cbranch_execnz .LBB295_1183
	s_branch .LBB295_1184
.LBB295_2772:
	s_andn2_saveexec_b64 s[58:59], s[6:7]
	s_cbranch_execz .LBB295_1371
.LBB295_2773:
	v_add_f32_e32 v5, 0x46000000, v8
	v_and_b32_e32 v5, 0xff, v5
	v_cmp_ne_u32_e64 s[6:7], 0, v5
	s_andn2_b64 s[56:57], s[56:57], exec
	s_and_b64 s[6:7], s[6:7], exec
	s_or_b64 s[56:57], s[56:57], s[6:7]
	s_or_b64 exec, exec, s[58:59]
	v_mov_b32_e32 v6, 0
	s_and_saveexec_b64 s[6:7], s[56:57]
	s_cbranch_execnz .LBB295_1372
	s_branch .LBB295_1373
.LBB295_2774:
	s_andn2_saveexec_b64 s[58:59], s[6:7]
	s_cbranch_execz .LBB295_1383
.LBB295_2775:
	v_add_f32_e32 v5, 0x46000000, v8
	v_and_b32_e32 v5, 0xff, v5
	v_cmp_ne_u32_e64 s[6:7], 0, v5
	s_andn2_b64 s[56:57], s[56:57], exec
	s_and_b64 s[6:7], s[6:7], exec
	s_or_b64 s[56:57], s[56:57], s[6:7]
	s_or_b64 exec, exec, s[58:59]
	v_mov_b32_e32 v6, 0
	s_and_saveexec_b64 s[6:7], s[56:57]
	s_cbranch_execnz .LBB295_1384
	s_branch .LBB295_1385
.LBB295_2776:
	s_andn2_saveexec_b64 s[58:59], s[6:7]
	s_cbranch_execz .LBB295_1391
.LBB295_2777:
	v_add_f32_e32 v5, 0x46000000, v8
	v_and_b32_e32 v5, 0xff, v5
	v_cmp_ne_u32_e64 s[6:7], 0, v5
	s_andn2_b64 s[56:57], s[56:57], exec
	s_and_b64 s[6:7], s[6:7], exec
	s_or_b64 s[56:57], s[56:57], s[6:7]
	s_or_b64 exec, exec, s[58:59]
	v_mov_b32_e32 v6, 0
	s_and_saveexec_b64 s[6:7], s[56:57]
	s_cbranch_execnz .LBB295_1392
	s_branch .LBB295_1393
.LBB295_2778:
	s_andn2_saveexec_b64 s[56:57], s[6:7]
	s_cbranch_execz .LBB295_1418
.LBB295_2779:
	s_mov_b32 s6, 0x46000000
	v_add_f32_e64 v1, |v0|, s6
	v_and_b32_e32 v1, 0xff, v1
	v_cmp_ne_u32_e64 s[6:7], 0, v1
	s_andn2_b64 s[54:55], s[54:55], exec
	s_and_b64 s[6:7], s[6:7], exec
	s_or_b64 s[54:55], s[54:55], s[6:7]
	s_or_b64 exec, exec, s[56:57]
	v_mov_b32_e32 v6, 0
	s_and_saveexec_b64 s[6:7], s[54:55]
	s_cbranch_execnz .LBB295_1419
	s_branch .LBB295_1420
.LBB295_2780:
	s_andn2_saveexec_b64 s[56:57], s[6:7]
	s_cbranch_execz .LBB295_1426
.LBB295_2781:
	s_mov_b32 s6, 0x46000000
	v_add_f32_e64 v1, |v0|, s6
	v_and_b32_e32 v1, 0xff, v1
	v_cmp_ne_u32_e64 s[6:7], 0, v1
	s_andn2_b64 s[54:55], s[54:55], exec
	s_and_b64 s[6:7], s[6:7], exec
	s_or_b64 s[54:55], s[54:55], s[6:7]
	s_or_b64 exec, exec, s[56:57]
	v_mov_b32_e32 v6, 0
	s_and_saveexec_b64 s[6:7], s[54:55]
	s_cbranch_execnz .LBB295_1427
	s_branch .LBB295_1428
.LBB295_2782:
	s_andn2_saveexec_b64 s[56:57], s[6:7]
	s_cbranch_execz .LBB295_1446
.LBB295_2783:
	s_mov_b32 s6, 0x46000000
	v_add_f32_e64 v1, |v0|, s6
	v_and_b32_e32 v1, 0xff, v1
	v_cmp_ne_u32_e64 s[6:7], 0, v1
	s_andn2_b64 s[54:55], s[54:55], exec
	s_and_b64 s[6:7], s[6:7], exec
	s_or_b64 s[54:55], s[54:55], s[6:7]
	s_or_b64 exec, exec, s[56:57]
	v_mov_b32_e32 v6, 0
	s_and_saveexec_b64 s[6:7], s[54:55]
	s_cbranch_execnz .LBB295_1447
	s_branch .LBB295_1448
.LBB295_2784:
	s_andn2_saveexec_b64 s[56:57], s[6:7]
	s_cbranch_execz .LBB295_1454
.LBB295_2785:
	s_mov_b32 s6, 0x46000000
	v_add_f32_e64 v1, |v0|, s6
	v_and_b32_e32 v1, 0xff, v1
	v_cmp_ne_u32_e64 s[6:7], 0, v1
	s_andn2_b64 s[54:55], s[54:55], exec
	s_and_b64 s[6:7], s[6:7], exec
	s_or_b64 s[54:55], s[54:55], s[6:7]
	s_or_b64 exec, exec, s[56:57]
	v_mov_b32_e32 v6, 0
	s_and_saveexec_b64 s[6:7], s[54:55]
	s_cbranch_execnz .LBB295_1455
	s_branch .LBB295_1456
.LBB295_2786:
	s_andn2_saveexec_b64 s[56:57], s[6:7]
	s_cbranch_execz .LBB295_1476
.LBB295_2787:
	s_mov_b32 s6, 0x46000000
	v_add_f32_e64 v1, |v0|, s6
	v_and_b32_e32 v1, 0xff, v1
	v_cmp_ne_u32_e64 s[6:7], 0, v1
	s_andn2_b64 s[54:55], s[54:55], exec
	s_and_b64 s[6:7], s[6:7], exec
	s_or_b64 s[54:55], s[54:55], s[6:7]
	s_or_b64 exec, exec, s[56:57]
	v_mov_b32_e32 v6, 0
	s_and_saveexec_b64 s[6:7], s[54:55]
	s_cbranch_execnz .LBB295_1477
	s_branch .LBB295_1478
.LBB295_2788:
	s_andn2_saveexec_b64 s[56:57], s[6:7]
	s_cbranch_execz .LBB295_1484
.LBB295_2789:
	s_mov_b32 s6, 0x46000000
	v_add_f32_e64 v1, |v0|, s6
	v_and_b32_e32 v1, 0xff, v1
	v_cmp_ne_u32_e64 s[6:7], 0, v1
	s_andn2_b64 s[54:55], s[54:55], exec
	s_and_b64 s[6:7], s[6:7], exec
	s_or_b64 s[54:55], s[54:55], s[6:7]
	s_or_b64 exec, exec, s[56:57]
	v_mov_b32_e32 v6, 0
	s_and_saveexec_b64 s[6:7], s[54:55]
	s_cbranch_execnz .LBB295_1485
	s_branch .LBB295_1486
.LBB295_2790:
	s_andn2_saveexec_b64 s[60:61], s[4:5]
	s_cbranch_execz .LBB295_1578
.LBB295_2791:
	s_waitcnt lgkmcnt(0)
	v_add_f32_e32 v6, 0x46000000, v7
	v_and_b32_e32 v6, 0xff, v6
	v_cmp_ne_u32_e64 s[4:5], 0, v6
	s_andn2_b64 s[58:59], s[58:59], exec
	s_and_b64 s[4:5], s[4:5], exec
	s_or_b64 s[58:59], s[58:59], s[4:5]
	s_or_b64 exec, exec, s[60:61]
	v_mov_b32_e32 v8, 0
	s_and_saveexec_b64 s[4:5], s[58:59]
	s_cbranch_execnz .LBB295_1579
	s_branch .LBB295_1580
.LBB295_2792:
	s_andn2_saveexec_b64 s[56:57], s[6:7]
	s_cbranch_execz .LBB295_2354
.LBB295_2793:
	s_mov_b32 s6, 0x46000000
	v_add_f32_e64 v6, |v5|, s6
	v_and_b32_e32 v8, 0xff, v6
	v_cmp_ne_u32_e64 s[6:7], 0, v8
	s_andn2_b64 s[54:55], s[54:55], exec
	s_and_b64 s[6:7], s[6:7], exec
	s_or_b64 s[54:55], s[54:55], s[6:7]
	s_or_b64 exec, exec, s[56:57]
	v_mov_b32_e32 v6, 0
	s_and_saveexec_b64 s[6:7], s[54:55]
	s_cbranch_execnz .LBB295_2355
	s_branch .LBB295_2356
.LBB295_2794:
	s_andn2_saveexec_b64 s[56:57], s[6:7]
	s_cbranch_execz .LBB295_2362
.LBB295_2795:
	s_mov_b32 s6, 0x46000000
	v_add_f32_e64 v6, |v5|, s6
	v_and_b32_e32 v8, 0xff, v6
	v_cmp_ne_u32_e64 s[6:7], 0, v8
	s_andn2_b64 s[54:55], s[54:55], exec
	s_and_b64 s[6:7], s[6:7], exec
	s_or_b64 s[54:55], s[54:55], s[6:7]
	s_or_b64 exec, exec, s[56:57]
	v_mov_b32_e32 v6, 0
	s_and_saveexec_b64 s[6:7], s[54:55]
	s_cbranch_execnz .LBB295_2363
	s_branch .LBB295_2364
.LBB295_2796:
	s_andn2_saveexec_b64 s[58:59], s[6:7]
	s_cbranch_execz .LBB295_2382
.LBB295_2797:
	s_mov_b32 s6, 0x46000000
	v_add_f32_e64 v6, |v9|, s6
	v_and_b32_e32 v8, 0xff, v6
	v_cmp_ne_u32_e64 s[6:7], 0, v8
	s_andn2_b64 s[56:57], s[56:57], exec
	s_and_b64 s[6:7], s[6:7], exec
	s_or_b64 s[56:57], s[56:57], s[6:7]
	s_or_b64 exec, exec, s[58:59]
	v_mov_b32_e32 v6, 0
	s_and_saveexec_b64 s[6:7], s[56:57]
	s_cbranch_execnz .LBB295_2383
	s_branch .LBB295_2384
.LBB295_2798:
	s_andn2_saveexec_b64 s[56:57], s[6:7]
	s_cbranch_execz .LBB295_1350
.LBB295_2799:
	s_mov_b32 s6, 0x46000000
	v_add_f32_e64 v6, |v5|, s6
	v_and_b32_e32 v8, 0xff, v6
	v_cmp_ne_u32_e64 s[6:7], 0, v8
	s_andn2_b64 s[54:55], s[54:55], exec
	s_and_b64 s[6:7], s[6:7], exec
	s_or_b64 s[54:55], s[54:55], s[6:7]
	s_or_b64 exec, exec, s[56:57]
	v_mov_b32_e32 v6, 0
	s_and_saveexec_b64 s[6:7], s[54:55]
	s_cbranch_execnz .LBB295_1351
	s_branch .LBB295_1352
.LBB295_2800:
	s_andn2_saveexec_b64 s[60:61], s[6:7]
	s_cbranch_execz .LBB295_1360
.LBB295_2801:
	v_add_f32_e32 v5, 0x46000000, v8
	v_and_b32_e32 v5, 0xff, v5
	v_cmp_ne_u32_e64 s[6:7], 0, v5
	s_andn2_b64 s[58:59], s[58:59], exec
	s_and_b64 s[6:7], s[6:7], exec
	s_or_b64 s[58:59], s[58:59], s[6:7]
	s_or_b64 exec, exec, s[60:61]
	v_mov_b32_e32 v6, 0
	s_and_saveexec_b64 s[6:7], s[58:59]
	s_cbranch_execnz .LBB295_1361
	s_branch .LBB295_1362
.LBB295_2802:
	s_andn2_saveexec_b64 s[62:63], s[62:63]
	s_cbranch_execz .LBB295_1662
.LBB295_2803:
	s_waitcnt lgkmcnt(0)
	v_add_f32_e32 v6, 0x46000000, v7
	v_and_b32_e32 v6, 0xff, v6
	v_cmp_ne_u32_e32 vcc, 0, v6
	s_andn2_b64 s[60:61], s[60:61], exec
	s_and_b64 s[64:65], vcc, exec
	s_or_b64 s[60:61], s[60:61], s[64:65]
	s_or_b64 exec, exec, s[62:63]
	v_mov_b32_e32 v8, 0
	s_and_saveexec_b64 s[62:63], s[60:61]
	s_cbranch_execnz .LBB295_1663
	s_branch .LBB295_1664
.LBB295_2804:
	s_andn2_saveexec_b64 s[60:61], s[4:5]
	s_cbranch_execz .LBB295_2455
.LBB295_2805:
	s_waitcnt lgkmcnt(0)
	v_add_f32_e32 v6, 0x42800000, v7
	v_and_b32_e32 v6, 0xff, v6
	v_cmp_ne_u32_e64 s[4:5], 0, v6
	s_andn2_b64 s[58:59], s[58:59], exec
	s_and_b64 s[4:5], s[4:5], exec
	s_or_b64 s[58:59], s[58:59], s[4:5]
	s_or_b64 exec, exec, s[60:61]
	v_mov_b32_e32 v8, 0
	s_and_saveexec_b64 s[4:5], s[58:59]
	s_cbranch_execnz .LBB295_2456
	s_branch .LBB295_2457
.LBB295_2806:
	s_andn2_saveexec_b64 s[64:65], s[64:65]
	s_cbranch_execz .LBB295_1746
.LBB295_2807:
	s_waitcnt lgkmcnt(0)
	v_add_f32_e32 v6, 0x46000000, v7
	v_and_b32_e32 v6, 0xff, v6
	v_cmp_ne_u32_e32 vcc, 0, v6
	s_andn2_b64 s[62:63], s[62:63], exec
	s_and_b64 s[66:67], vcc, exec
	s_or_b64 s[62:63], s[62:63], s[66:67]
	s_or_b64 exec, exec, s[64:65]
	v_mov_b32_e32 v8, 0
	s_and_saveexec_b64 s[64:65], s[62:63]
	s_cbranch_execnz .LBB295_1747
	s_branch .LBB295_1748
.LBB295_2808:
	s_andn2_saveexec_b64 s[62:63], s[62:63]
	s_cbranch_execz .LBB295_2546
.LBB295_2809:
	s_waitcnt lgkmcnt(0)
	v_add_f32_e32 v6, 0x42800000, v7
	v_and_b32_e32 v6, 0xff, v6
	v_cmp_ne_u32_e32 vcc, 0, v6
	s_andn2_b64 s[60:61], s[60:61], exec
	s_and_b64 s[64:65], vcc, exec
	s_or_b64 s[60:61], s[60:61], s[64:65]
	s_or_b64 exec, exec, s[62:63]
	v_mov_b32_e32 v8, 0
	s_and_saveexec_b64 s[62:63], s[60:61]
	s_cbranch_execnz .LBB295_2547
	s_branch .LBB295_2548
.LBB295_2810:
	s_andn2_saveexec_b64 s[64:65], s[64:65]
	s_cbranch_execz .LBB295_1830
.LBB295_2811:
	v_add_f32_e32 v2, 0x46000000, v3
	v_and_b32_e32 v2, 0xff, v2
	v_cmp_ne_u32_e32 vcc, 0, v2
	s_andn2_b64 s[62:63], s[62:63], exec
	s_and_b64 s[66:67], vcc, exec
	s_or_b64 s[62:63], s[62:63], s[66:67]
	s_or_b64 exec, exec, s[64:65]
	v_mov_b32_e32 v4, 0
	s_and_saveexec_b64 s[64:65], s[62:63]
	s_cbranch_execnz .LBB295_1831
	s_branch .LBB295_1832
.LBB295_2812:
	s_andn2_saveexec_b64 s[64:65], s[64:65]
	s_cbranch_execz .LBB295_2635
.LBB295_2813:
	s_waitcnt lgkmcnt(0)
	v_add_f32_e32 v6, 0x42800000, v7
	v_and_b32_e32 v6, 0xff, v6
	v_cmp_ne_u32_e32 vcc, 0, v6
	s_andn2_b64 s[62:63], s[62:63], exec
	s_and_b64 s[66:67], vcc, exec
	s_or_b64 s[62:63], s[62:63], s[66:67]
	s_or_b64 exec, exec, s[64:65]
	v_mov_b32_e32 v8, 0
	s_and_saveexec_b64 s[64:65], s[62:63]
	s_cbranch_execnz .LBB295_2636
	s_branch .LBB295_2637
.LBB295_2814:
	s_andn2_saveexec_b64 s[64:65], s[64:65]
	s_cbranch_execz .LBB295_2722
.LBB295_2815:
	v_add_f32_e32 v2, 0x42800000, v3
	v_and_b32_e32 v2, 0xff, v2
	v_cmp_ne_u32_e32 vcc, 0, v2
	s_andn2_b64 s[62:63], s[62:63], exec
	s_and_b64 s[66:67], vcc, exec
	s_or_b64 s[62:63], s[62:63], s[66:67]
	s_or_b64 exec, exec, s[64:65]
	v_mov_b32_e32 v4, 0
	s_and_saveexec_b64 s[64:65], s[62:63]
	s_cbranch_execnz .LBB295_2723
	s_branch .LBB295_2724
	.section	.rodata,"a",@progbits
	.p2align	6, 0x0
	.amdhsa_kernel _ZN2at6native32elementwise_kernel_manual_unrollILi128ELi4EZNS0_15gpu_kernel_implINS0_13BinaryFunctorIN3c1015Float8_e4m3fnuzES5_bNS0_12_GLOBAL__N_116CompareEqFunctorIS5_EEEEEEvRNS_18TensorIteratorBaseERKT_EUlibE_EEviT1_
		.amdhsa_group_segment_fixed_size 0
		.amdhsa_private_segment_fixed_size 64
		.amdhsa_kernarg_size 56
		.amdhsa_user_sgpr_count 8
		.amdhsa_user_sgpr_private_segment_buffer 1
		.amdhsa_user_sgpr_dispatch_ptr 0
		.amdhsa_user_sgpr_queue_ptr 0
		.amdhsa_user_sgpr_kernarg_segment_ptr 1
		.amdhsa_user_sgpr_dispatch_id 0
		.amdhsa_user_sgpr_flat_scratch_init 1
		.amdhsa_user_sgpr_private_segment_size 0
		.amdhsa_uses_dynamic_stack 0
		.amdhsa_system_sgpr_private_segment_wavefront_offset 1
		.amdhsa_system_sgpr_workgroup_id_x 1
		.amdhsa_system_sgpr_workgroup_id_y 0
		.amdhsa_system_sgpr_workgroup_id_z 0
		.amdhsa_system_sgpr_workgroup_info 0
		.amdhsa_system_vgpr_workitem_id 0
		.amdhsa_next_free_vgpr 24
		.amdhsa_next_free_sgpr 68
		.amdhsa_reserve_vcc 1
		.amdhsa_reserve_flat_scratch 1
		.amdhsa_float_round_mode_32 0
		.amdhsa_float_round_mode_16_64 0
		.amdhsa_float_denorm_mode_32 3
		.amdhsa_float_denorm_mode_16_64 3
		.amdhsa_dx10_clamp 1
		.amdhsa_ieee_mode 1
		.amdhsa_fp16_overflow 0
		.amdhsa_exception_fp_ieee_invalid_op 0
		.amdhsa_exception_fp_denorm_src 0
		.amdhsa_exception_fp_ieee_div_zero 0
		.amdhsa_exception_fp_ieee_overflow 0
		.amdhsa_exception_fp_ieee_underflow 0
		.amdhsa_exception_fp_ieee_inexact 0
		.amdhsa_exception_int_div_zero 0
	.end_amdhsa_kernel
	.section	.text._ZN2at6native32elementwise_kernel_manual_unrollILi128ELi4EZNS0_15gpu_kernel_implINS0_13BinaryFunctorIN3c1015Float8_e4m3fnuzES5_bNS0_12_GLOBAL__N_116CompareEqFunctorIS5_EEEEEEvRNS_18TensorIteratorBaseERKT_EUlibE_EEviT1_,"axG",@progbits,_ZN2at6native32elementwise_kernel_manual_unrollILi128ELi4EZNS0_15gpu_kernel_implINS0_13BinaryFunctorIN3c1015Float8_e4m3fnuzES5_bNS0_12_GLOBAL__N_116CompareEqFunctorIS5_EEEEEEvRNS_18TensorIteratorBaseERKT_EUlibE_EEviT1_,comdat
.Lfunc_end295:
	.size	_ZN2at6native32elementwise_kernel_manual_unrollILi128ELi4EZNS0_15gpu_kernel_implINS0_13BinaryFunctorIN3c1015Float8_e4m3fnuzES5_bNS0_12_GLOBAL__N_116CompareEqFunctorIS5_EEEEEEvRNS_18TensorIteratorBaseERKT_EUlibE_EEviT1_, .Lfunc_end295-_ZN2at6native32elementwise_kernel_manual_unrollILi128ELi4EZNS0_15gpu_kernel_implINS0_13BinaryFunctorIN3c1015Float8_e4m3fnuzES5_bNS0_12_GLOBAL__N_116CompareEqFunctorIS5_EEEEEEvRNS_18TensorIteratorBaseERKT_EUlibE_EEviT1_
                                        ; -- End function
	.set _ZN2at6native32elementwise_kernel_manual_unrollILi128ELi4EZNS0_15gpu_kernel_implINS0_13BinaryFunctorIN3c1015Float8_e4m3fnuzES5_bNS0_12_GLOBAL__N_116CompareEqFunctorIS5_EEEEEEvRNS_18TensorIteratorBaseERKT_EUlibE_EEviT1_.num_vgpr, max(24, .L_ZN2at6native6invokeINS0_13BinaryFunctorIN3c1015Float8_e4m3fnuzES4_bNS0_12_GLOBAL__N_116CompareEqFunctorIS4_EEEEi15function_traitsIS8_EEENT1_11result_typeERKT_PrKPcPKT0_PKNS3_10ScalarTypeEi.num_vgpr)
	.set _ZN2at6native32elementwise_kernel_manual_unrollILi128ELi4EZNS0_15gpu_kernel_implINS0_13BinaryFunctorIN3c1015Float8_e4m3fnuzES5_bNS0_12_GLOBAL__N_116CompareEqFunctorIS5_EEEEEEvRNS_18TensorIteratorBaseERKT_EUlibE_EEviT1_.num_agpr, max(0, .L_ZN2at6native6invokeINS0_13BinaryFunctorIN3c1015Float8_e4m3fnuzES4_bNS0_12_GLOBAL__N_116CompareEqFunctorIS4_EEEEi15function_traitsIS8_EEENT1_11result_typeERKT_PrKPcPKT0_PKNS3_10ScalarTypeEi.num_agpr)
	.set _ZN2at6native32elementwise_kernel_manual_unrollILi128ELi4EZNS0_15gpu_kernel_implINS0_13BinaryFunctorIN3c1015Float8_e4m3fnuzES5_bNS0_12_GLOBAL__N_116CompareEqFunctorIS5_EEEEEEvRNS_18TensorIteratorBaseERKT_EUlibE_EEviT1_.numbered_sgpr, max(68, .L_ZN2at6native6invokeINS0_13BinaryFunctorIN3c1015Float8_e4m3fnuzES4_bNS0_12_GLOBAL__N_116CompareEqFunctorIS4_EEEEi15function_traitsIS8_EEENT1_11result_typeERKT_PrKPcPKT0_PKNS3_10ScalarTypeEi.numbered_sgpr)
	.set _ZN2at6native32elementwise_kernel_manual_unrollILi128ELi4EZNS0_15gpu_kernel_implINS0_13BinaryFunctorIN3c1015Float8_e4m3fnuzES5_bNS0_12_GLOBAL__N_116CompareEqFunctorIS5_EEEEEEvRNS_18TensorIteratorBaseERKT_EUlibE_EEviT1_.num_named_barrier, max(0, .L_ZN2at6native6invokeINS0_13BinaryFunctorIN3c1015Float8_e4m3fnuzES4_bNS0_12_GLOBAL__N_116CompareEqFunctorIS4_EEEEi15function_traitsIS8_EEENT1_11result_typeERKT_PrKPcPKT0_PKNS3_10ScalarTypeEi.num_named_barrier)
	.set _ZN2at6native32elementwise_kernel_manual_unrollILi128ELi4EZNS0_15gpu_kernel_implINS0_13BinaryFunctorIN3c1015Float8_e4m3fnuzES5_bNS0_12_GLOBAL__N_116CompareEqFunctorIS5_EEEEEEvRNS_18TensorIteratorBaseERKT_EUlibE_EEviT1_.private_seg_size, 64+max(.L_ZN2at6native6invokeINS0_13BinaryFunctorIN3c1015Float8_e4m3fnuzES4_bNS0_12_GLOBAL__N_116CompareEqFunctorIS4_EEEEi15function_traitsIS8_EEENT1_11result_typeERKT_PrKPcPKT0_PKNS3_10ScalarTypeEi.private_seg_size)
	.set _ZN2at6native32elementwise_kernel_manual_unrollILi128ELi4EZNS0_15gpu_kernel_implINS0_13BinaryFunctorIN3c1015Float8_e4m3fnuzES5_bNS0_12_GLOBAL__N_116CompareEqFunctorIS5_EEEEEEvRNS_18TensorIteratorBaseERKT_EUlibE_EEviT1_.uses_vcc, or(1, .L_ZN2at6native6invokeINS0_13BinaryFunctorIN3c1015Float8_e4m3fnuzES4_bNS0_12_GLOBAL__N_116CompareEqFunctorIS4_EEEEi15function_traitsIS8_EEENT1_11result_typeERKT_PrKPcPKT0_PKNS3_10ScalarTypeEi.uses_vcc)
	.set _ZN2at6native32elementwise_kernel_manual_unrollILi128ELi4EZNS0_15gpu_kernel_implINS0_13BinaryFunctorIN3c1015Float8_e4m3fnuzES5_bNS0_12_GLOBAL__N_116CompareEqFunctorIS5_EEEEEEvRNS_18TensorIteratorBaseERKT_EUlibE_EEviT1_.uses_flat_scratch, or(1, .L_ZN2at6native6invokeINS0_13BinaryFunctorIN3c1015Float8_e4m3fnuzES4_bNS0_12_GLOBAL__N_116CompareEqFunctorIS4_EEEEi15function_traitsIS8_EEENT1_11result_typeERKT_PrKPcPKT0_PKNS3_10ScalarTypeEi.uses_flat_scratch)
	.set _ZN2at6native32elementwise_kernel_manual_unrollILi128ELi4EZNS0_15gpu_kernel_implINS0_13BinaryFunctorIN3c1015Float8_e4m3fnuzES5_bNS0_12_GLOBAL__N_116CompareEqFunctorIS5_EEEEEEvRNS_18TensorIteratorBaseERKT_EUlibE_EEviT1_.has_dyn_sized_stack, or(0, .L_ZN2at6native6invokeINS0_13BinaryFunctorIN3c1015Float8_e4m3fnuzES4_bNS0_12_GLOBAL__N_116CompareEqFunctorIS4_EEEEi15function_traitsIS8_EEENT1_11result_typeERKT_PrKPcPKT0_PKNS3_10ScalarTypeEi.has_dyn_sized_stack)
	.set _ZN2at6native32elementwise_kernel_manual_unrollILi128ELi4EZNS0_15gpu_kernel_implINS0_13BinaryFunctorIN3c1015Float8_e4m3fnuzES5_bNS0_12_GLOBAL__N_116CompareEqFunctorIS5_EEEEEEvRNS_18TensorIteratorBaseERKT_EUlibE_EEviT1_.has_recursion, or(0, .L_ZN2at6native6invokeINS0_13BinaryFunctorIN3c1015Float8_e4m3fnuzES4_bNS0_12_GLOBAL__N_116CompareEqFunctorIS4_EEEEi15function_traitsIS8_EEENT1_11result_typeERKT_PrKPcPKT0_PKNS3_10ScalarTypeEi.has_recursion)
	.set _ZN2at6native32elementwise_kernel_manual_unrollILi128ELi4EZNS0_15gpu_kernel_implINS0_13BinaryFunctorIN3c1015Float8_e4m3fnuzES5_bNS0_12_GLOBAL__N_116CompareEqFunctorIS5_EEEEEEvRNS_18TensorIteratorBaseERKT_EUlibE_EEviT1_.has_indirect_call, or(0, .L_ZN2at6native6invokeINS0_13BinaryFunctorIN3c1015Float8_e4m3fnuzES4_bNS0_12_GLOBAL__N_116CompareEqFunctorIS4_EEEEi15function_traitsIS8_EEENT1_11result_typeERKT_PrKPcPKT0_PKNS3_10ScalarTypeEi.has_indirect_call)
	.section	.AMDGPU.csdata,"",@progbits
; Kernel info:
; codeLenInByte = 63452
; TotalNumSgprs: 74
; NumVgprs: 24
; ScratchSize: 64
; MemoryBound: 0
; FloatMode: 240
; IeeeMode: 1
; LDSByteSize: 0 bytes/workgroup (compile time only)
; SGPRBlocks: 9
; VGPRBlocks: 5
; NumSGPRsForWavesPerEU: 74
; NumVGPRsForWavesPerEU: 24
; Occupancy: 10
; WaveLimiterHint : 1
; COMPUTE_PGM_RSRC2:SCRATCH_EN: 1
; COMPUTE_PGM_RSRC2:USER_SGPR: 8
; COMPUTE_PGM_RSRC2:TRAP_HANDLER: 0
; COMPUTE_PGM_RSRC2:TGID_X_EN: 1
; COMPUTE_PGM_RSRC2:TGID_Y_EN: 0
; COMPUTE_PGM_RSRC2:TGID_Z_EN: 0
; COMPUTE_PGM_RSRC2:TIDIG_COMP_CNT: 0
	.text
	.p2align	2                               ; -- Begin function _ZN2at6native6invokeINS0_13BinaryFunctorIN3c1015Float8_e4m3fnuzES4_bNS0_12_GLOBAL__N_116CompareEqFunctorIS4_EEEEj15function_traitsIS8_EEENT1_11result_typeERKT_PrKPcPKT0_PKNS3_10ScalarTypeEi
	.type	_ZN2at6native6invokeINS0_13BinaryFunctorIN3c1015Float8_e4m3fnuzES4_bNS0_12_GLOBAL__N_116CompareEqFunctorIS4_EEEEj15function_traitsIS8_EEENT1_11result_typeERKT_PrKPcPKT0_PKNS3_10ScalarTypeEi,@function
_ZN2at6native6invokeINS0_13BinaryFunctorIN3c1015Float8_e4m3fnuzES4_bNS0_12_GLOBAL__N_116CompareEqFunctorIS4_EEEEj15function_traitsIS8_EEENT1_11result_typeERKT_PrKPcPKT0_PKNS3_10ScalarTypeEi: ; @_ZN2at6native6invokeINS0_13BinaryFunctorIN3c1015Float8_e4m3fnuzES4_bNS0_12_GLOBAL__N_116CompareEqFunctorIS4_EEEEj15function_traitsIS8_EEENT1_11result_typeERKT_PrKPcPKT0_PKNS3_10ScalarTypeEi
; %bb.0:
	s_waitcnt vmcnt(0) expcnt(0) lgkmcnt(0)
	flat_load_dwordx2 v[7:8], v[1:2]
	flat_load_dword v9, v[3:4]
	flat_load_ubyte v10, v[5:6]
	s_mov_b64 s[10:11], 0
	s_mov_b64 s[4:5], 0
	s_waitcnt vmcnt(0) lgkmcnt(0)
	v_add_co_u32_e32 v7, vcc, v7, v9
	v_addc_co_u32_e32 v8, vcc, 0, v8, vcc
	v_cmp_lt_i16_e32 vcc, 10, v10
                                        ; implicit-def: $vgpr9
	s_and_saveexec_b64 s[6:7], vcc
	s_xor_b64 s[6:7], exec, s[6:7]
	s_cbranch_execz .LBB296_13
; %bb.1:
	v_cmp_lt_i16_e32 vcc, 25, v10
	s_mov_b64 s[8:9], 0
                                        ; implicit-def: $vgpr9
	s_and_saveexec_b64 s[12:13], vcc
	s_xor_b64 s[12:13], exec, s[12:13]
	s_cbranch_execnz .LBB296_268
; %bb.2:
	s_andn2_saveexec_b64 s[12:13], s[12:13]
	s_cbranch_execnz .LBB296_325
.LBB296_3:
	s_or_b64 exec, exec, s[12:13]
	s_mov_b64 s[12:13], 0
	s_and_saveexec_b64 s[14:15], s[10:11]
	s_cbranch_execnz .LBB296_372
.LBB296_4:
	s_or_b64 exec, exec, s[14:15]
	s_and_saveexec_b64 s[10:11], s[4:5]
	s_xor_b64 s[4:5], exec, s[10:11]
	s_cbranch_execz .LBB296_12
.LBB296_5:
	flat_load_ubyte v7, v[7:8]
	s_mov_b32 s10, 0x43800000
	s_waitcnt vmcnt(0) lgkmcnt(0)
	v_mov_b32_e32 v9, 0x80
	v_cmp_ne_u16_e32 vcc, 0, v7
	v_cndmask_b32_e64 v8, 0, 1.0, vcc
	v_cmp_gt_u32_e32 vcc, s10, v8
	s_and_saveexec_b64 s[10:11], vcc
	s_cbranch_execz .LBB296_11
; %bb.6:
	s_mov_b32 s14, 0x3bffffff
	v_cmp_lt_u32_e32 vcc, s14, v8
	s_mov_b64 s[14:15], 0
                                        ; implicit-def: $vgpr7
	s_and_saveexec_b64 s[16:17], vcc
	s_xor_b64 s[16:17], exec, s[16:17]
	s_cbranch_execnz .LBB296_496
; %bb.7:
	s_andn2_saveexec_b64 s[16:17], s[16:17]
	s_cbranch_execnz .LBB296_497
.LBB296_8:
	s_or_b64 exec, exec, s[16:17]
	v_mov_b32_e32 v9, 0
	s_and_saveexec_b64 s[16:17], s[14:15]
.LBB296_9:
	v_mov_b32_e32 v9, v7
.LBB296_10:
	s_or_b64 exec, exec, s[16:17]
.LBB296_11:
	s_or_b64 exec, exec, s[10:11]
	s_or_b64 s[8:9], s[8:9], exec
.LBB296_12:
	s_or_b64 exec, exec, s[4:5]
	s_and_b64 s[4:5], s[12:13], exec
	s_and_b64 s[10:11], s[8:9], exec
                                        ; implicit-def: $vgpr10
                                        ; implicit-def: $vgpr7_vgpr8
.LBB296_13:
	s_andn2_saveexec_b64 s[6:7], s[6:7]
	s_cbranch_execz .LBB296_121
; %bb.14:
	v_cmp_lt_i16_e32 vcc, 4, v10
                                        ; implicit-def: $vgpr9
	s_and_saveexec_b64 s[8:9], vcc
	s_xor_b64 s[8:9], exec, s[8:9]
	s_cbranch_execz .LBB296_72
; %bb.15:
	v_cmp_lt_i16_e32 vcc, 7, v10
                                        ; implicit-def: $vgpr9
	s_and_saveexec_b64 s[12:13], vcc
	s_xor_b64 s[12:13], exec, s[12:13]
	;; [unrolled: 6-line block ×4, first 2 shown]
	s_cbranch_execz .LBB296_25
; %bb.18:
	flat_load_dwordx2 v[7:8], v[7:8]
	s_mov_b32 s18, 0x43800000
	s_waitcnt vmcnt(0) lgkmcnt(0)
	v_mov_b32_e32 v9, 0x80
	v_cvt_f32_f64_e32 v7, v[7:8]
	v_and_b32_e32 v8, 0x7fffffff, v7
	v_cmp_gt_u32_e32 vcc, s18, v8
	s_and_saveexec_b64 s[18:19], vcc
	s_cbranch_execz .LBB296_24
; %bb.19:
	s_mov_b32 s20, 0x3bffffff
	v_cmp_lt_u32_e32 vcc, s20, v8
	s_mov_b64 s[20:21], 0
                                        ; implicit-def: $vgpr8
	s_and_saveexec_b64 s[22:23], vcc
	s_xor_b64 s[22:23], exec, s[22:23]
	s_cbranch_execnz .LBB296_524
; %bb.20:
	s_andn2_saveexec_b64 s[22:23], s[22:23]
	s_cbranch_execnz .LBB296_525
.LBB296_21:
	s_or_b64 exec, exec, s[22:23]
	v_mov_b32_e32 v9, 0
	s_and_saveexec_b64 s[22:23], s[20:21]
.LBB296_22:
	v_lshrrev_b32_e32 v7, 24, v7
	s_movk_i32 s20, 0x80
	v_and_or_b32 v9, v7, s20, v8
.LBB296_23:
	s_or_b64 exec, exec, s[22:23]
.LBB296_24:
	s_or_b64 exec, exec, s[18:19]
                                        ; implicit-def: $vgpr7_vgpr8
.LBB296_25:
	s_andn2_saveexec_b64 s[16:17], s[16:17]
	s_cbranch_execz .LBB296_33
; %bb.26:
	flat_load_dword v7, v[7:8]
	s_mov_b32 s18, 0x43800000
	s_waitcnt vmcnt(0) lgkmcnt(0)
	v_mov_b32_e32 v9, 0x80
	v_and_b32_e32 v8, 0x7fffffff, v7
	v_cmp_gt_u32_e32 vcc, s18, v8
	s_and_saveexec_b64 s[18:19], vcc
	s_cbranch_execz .LBB296_32
; %bb.27:
	s_mov_b32 s20, 0x3bffffff
	v_cmp_lt_u32_e32 vcc, s20, v8
	s_mov_b64 s[20:21], 0
                                        ; implicit-def: $vgpr8
	s_and_saveexec_b64 s[22:23], vcc
	s_xor_b64 s[22:23], exec, s[22:23]
	s_cbranch_execnz .LBB296_526
; %bb.28:
	s_andn2_saveexec_b64 s[22:23], s[22:23]
	s_cbranch_execnz .LBB296_527
.LBB296_29:
	s_or_b64 exec, exec, s[22:23]
	v_mov_b32_e32 v9, 0
	s_and_saveexec_b64 s[22:23], s[20:21]
.LBB296_30:
	v_lshrrev_b32_e32 v7, 24, v7
	s_movk_i32 s20, 0x80
	v_and_or_b32 v9, v7, s20, v8
.LBB296_31:
	s_or_b64 exec, exec, s[22:23]
.LBB296_32:
	s_or_b64 exec, exec, s[18:19]
.LBB296_33:
	s_or_b64 exec, exec, s[16:17]
                                        ; implicit-def: $vgpr7_vgpr8
.LBB296_34:
	s_andn2_saveexec_b64 s[14:15], s[14:15]
	s_cbranch_execz .LBB296_42
; %bb.35:
	flat_load_dword v7, v[7:8]
	s_mov_b32 s16, 0x43800000
	s_waitcnt vmcnt(0) lgkmcnt(0)
	v_mov_b32_e32 v9, 0x80
	v_cvt_f32_f16_e32 v7, v7
	v_and_b32_e32 v8, 0x7fffffff, v7
	v_cmp_gt_u32_e32 vcc, s16, v8
	s_and_saveexec_b64 s[16:17], vcc
	s_cbranch_execz .LBB296_41
; %bb.36:
	s_mov_b32 s18, 0x3bffffff
	v_cmp_lt_u32_e32 vcc, s18, v8
	s_mov_b64 s[18:19], 0
                                        ; implicit-def: $vgpr8
	s_and_saveexec_b64 s[20:21], vcc
	s_xor_b64 s[20:21], exec, s[20:21]
	s_cbranch_execnz .LBB296_498
; %bb.37:
	s_andn2_saveexec_b64 s[20:21], s[20:21]
	s_cbranch_execnz .LBB296_499
.LBB296_38:
	s_or_b64 exec, exec, s[20:21]
	v_mov_b32_e32 v9, 0
	s_and_saveexec_b64 s[20:21], s[18:19]
.LBB296_39:
	v_lshrrev_b32_e32 v7, 24, v7
	s_movk_i32 s18, 0x80
	v_and_or_b32 v9, v7, s18, v8
.LBB296_40:
	s_or_b64 exec, exec, s[20:21]
.LBB296_41:
	s_or_b64 exec, exec, s[16:17]
.LBB296_42:
	s_or_b64 exec, exec, s[14:15]
                                        ; implicit-def: $vgpr10
                                        ; implicit-def: $vgpr7_vgpr8
.LBB296_43:
	s_andn2_saveexec_b64 s[12:13], s[12:13]
	s_cbranch_execz .LBB296_71
; %bb.44:
	v_cmp_lt_i16_e32 vcc, 5, v10
                                        ; implicit-def: $vgpr9
	s_and_saveexec_b64 s[14:15], vcc
	s_xor_b64 s[14:15], exec, s[14:15]
	s_cbranch_execz .LBB296_62
; %bb.45:
	v_cmp_lt_i16_e32 vcc, 6, v10
                                        ; implicit-def: $vgpr9
	s_and_saveexec_b64 s[16:17], vcc
	s_xor_b64 s[16:17], exec, s[16:17]
	s_cbranch_execz .LBB296_53
; %bb.46:
	flat_load_dwordx2 v[7:8], v[7:8]
	s_mov_b32 s18, 0x43800000
	s_waitcnt vmcnt(0) lgkmcnt(0)
	v_mov_b32_e32 v9, 0x80
	v_cvt_f32_f64_e32 v7, v[7:8]
	v_and_b32_e32 v8, 0x7fffffff, v7
	v_cmp_gt_u32_e32 vcc, s18, v8
	s_and_saveexec_b64 s[18:19], vcc
	s_cbranch_execz .LBB296_52
; %bb.47:
	s_mov_b32 s20, 0x3bffffff
	v_cmp_lt_u32_e32 vcc, s20, v8
	s_mov_b64 s[20:21], 0
                                        ; implicit-def: $vgpr8
	s_and_saveexec_b64 s[22:23], vcc
	s_xor_b64 s[22:23], exec, s[22:23]
	s_cbranch_execnz .LBB296_528
; %bb.48:
	s_andn2_saveexec_b64 s[22:23], s[22:23]
	s_cbranch_execnz .LBB296_529
.LBB296_49:
	s_or_b64 exec, exec, s[22:23]
	v_mov_b32_e32 v9, 0
	s_and_saveexec_b64 s[22:23], s[20:21]
.LBB296_50:
	v_lshrrev_b32_e32 v7, 24, v7
	s_movk_i32 s20, 0x80
	v_and_or_b32 v9, v7, s20, v8
.LBB296_51:
	s_or_b64 exec, exec, s[22:23]
.LBB296_52:
	s_or_b64 exec, exec, s[18:19]
                                        ; implicit-def: $vgpr7_vgpr8
.LBB296_53:
	s_andn2_saveexec_b64 s[16:17], s[16:17]
	s_cbranch_execz .LBB296_61
; %bb.54:
	flat_load_dword v7, v[7:8]
	s_mov_b32 s18, 0x43800000
	s_waitcnt vmcnt(0) lgkmcnt(0)
	v_mov_b32_e32 v9, 0x80
	v_and_b32_e32 v8, 0x7fffffff, v7
	v_cmp_gt_u32_e32 vcc, s18, v8
	s_and_saveexec_b64 s[18:19], vcc
	s_cbranch_execz .LBB296_60
; %bb.55:
	s_mov_b32 s20, 0x3bffffff
	v_cmp_lt_u32_e32 vcc, s20, v8
	s_mov_b64 s[20:21], 0
                                        ; implicit-def: $vgpr8
	s_and_saveexec_b64 s[22:23], vcc
	s_xor_b64 s[22:23], exec, s[22:23]
	s_cbranch_execnz .LBB296_530
; %bb.56:
	s_andn2_saveexec_b64 s[22:23], s[22:23]
	s_cbranch_execnz .LBB296_531
.LBB296_57:
	s_or_b64 exec, exec, s[22:23]
	v_mov_b32_e32 v9, 0
	s_and_saveexec_b64 s[22:23], s[20:21]
.LBB296_58:
	v_lshrrev_b32_e32 v7, 24, v7
	s_movk_i32 s20, 0x80
	v_and_or_b32 v9, v7, s20, v8
.LBB296_59:
	s_or_b64 exec, exec, s[22:23]
.LBB296_60:
	s_or_b64 exec, exec, s[18:19]
.LBB296_61:
	s_or_b64 exec, exec, s[16:17]
                                        ; implicit-def: $vgpr7_vgpr8
.LBB296_62:
	s_andn2_saveexec_b64 s[14:15], s[14:15]
	s_cbranch_execz .LBB296_70
; %bb.63:
	flat_load_ushort v7, v[7:8]
	s_mov_b32 s16, 0x43800000
	s_waitcnt vmcnt(0) lgkmcnt(0)
	v_mov_b32_e32 v9, 0x80
	v_cvt_f32_f16_e32 v7, v7
	v_and_b32_e32 v8, 0x7fffffff, v7
	v_cmp_gt_u32_e32 vcc, s16, v8
	s_and_saveexec_b64 s[16:17], vcc
	s_cbranch_execz .LBB296_69
; %bb.64:
	s_mov_b32 s18, 0x3bffffff
	v_cmp_lt_u32_e32 vcc, s18, v8
	s_mov_b64 s[18:19], 0
                                        ; implicit-def: $vgpr8
	s_and_saveexec_b64 s[20:21], vcc
	s_xor_b64 s[20:21], exec, s[20:21]
	s_cbranch_execnz .LBB296_500
; %bb.65:
	s_andn2_saveexec_b64 s[20:21], s[20:21]
	s_cbranch_execnz .LBB296_501
.LBB296_66:
	s_or_b64 exec, exec, s[20:21]
	v_mov_b32_e32 v9, 0
	s_and_saveexec_b64 s[20:21], s[18:19]
.LBB296_67:
	v_lshrrev_b32_e32 v7, 24, v7
	s_movk_i32 s18, 0x80
	v_and_or_b32 v9, v7, s18, v8
.LBB296_68:
	s_or_b64 exec, exec, s[20:21]
.LBB296_69:
	s_or_b64 exec, exec, s[16:17]
.LBB296_70:
	s_or_b64 exec, exec, s[14:15]
.LBB296_71:
	s_or_b64 exec, exec, s[12:13]
                                        ; implicit-def: $vgpr10
                                        ; implicit-def: $vgpr7_vgpr8
.LBB296_72:
	s_andn2_saveexec_b64 s[8:9], s[8:9]
	s_cbranch_execz .LBB296_120
; %bb.73:
	v_cmp_lt_i16_e32 vcc, 1, v10
                                        ; implicit-def: $vgpr9
	s_and_saveexec_b64 s[12:13], vcc
	s_xor_b64 s[12:13], exec, s[12:13]
	s_cbranch_execz .LBB296_101
; %bb.74:
	v_cmp_lt_i16_e32 vcc, 2, v10
                                        ; implicit-def: $vgpr9
	s_and_saveexec_b64 s[14:15], vcc
	s_xor_b64 s[14:15], exec, s[14:15]
	;; [unrolled: 6-line block ×3, first 2 shown]
	s_cbranch_execz .LBB296_83
; %bb.76:
	flat_load_dwordx2 v[7:8], v[7:8]
	s_mov_b32 s18, 0x43800000
	s_waitcnt vmcnt(0) lgkmcnt(0)
	v_xor_b32_e32 v10, v7, v8
	v_ffbh_i32_e32 v9, v8
	v_ashrrev_i32_e32 v10, 31, v10
	v_add_u32_e32 v9, -1, v9
	v_add_u32_e32 v10, 32, v10
	v_min_u32_e32 v9, v9, v10
	v_lshlrev_b64 v[7:8], v9, v[7:8]
	v_min_u32_e32 v7, 1, v7
	v_or_b32_e32 v7, v8, v7
	v_cvt_f32_i32_e32 v7, v7
	v_sub_u32_e32 v8, 32, v9
	v_mov_b32_e32 v9, 0x80
	v_ldexp_f32 v7, v7, v8
	v_and_b32_e32 v8, 0x7fffffff, v7
	v_cmp_gt_u32_e32 vcc, s18, v8
	s_and_saveexec_b64 s[18:19], vcc
	s_cbranch_execz .LBB296_82
; %bb.77:
	s_mov_b32 s20, 0x3bffffff
	v_cmp_lt_u32_e32 vcc, s20, v8
	s_mov_b64 s[20:21], 0
                                        ; implicit-def: $vgpr8
	s_and_saveexec_b64 s[22:23], vcc
	s_xor_b64 s[22:23], exec, s[22:23]
	s_cbranch_execnz .LBB296_532
; %bb.78:
	s_andn2_saveexec_b64 s[22:23], s[22:23]
	s_cbranch_execnz .LBB296_533
.LBB296_79:
	s_or_b64 exec, exec, s[22:23]
	v_mov_b32_e32 v9, 0
	s_and_saveexec_b64 s[22:23], s[20:21]
.LBB296_80:
	v_lshrrev_b32_e32 v7, 24, v7
	s_movk_i32 s20, 0x80
	v_and_or_b32 v9, v7, s20, v8
.LBB296_81:
	s_or_b64 exec, exec, s[22:23]
.LBB296_82:
	s_or_b64 exec, exec, s[18:19]
                                        ; implicit-def: $vgpr7_vgpr8
.LBB296_83:
	s_andn2_saveexec_b64 s[16:17], s[16:17]
	s_cbranch_execz .LBB296_91
; %bb.84:
	flat_load_dword v7, v[7:8]
	s_mov_b32 s18, 0x43800000
	s_waitcnt vmcnt(0) lgkmcnt(0)
	v_mov_b32_e32 v9, 0x80
	v_cvt_f32_i32_e32 v7, v7
	v_and_b32_e32 v8, 0x7fffffff, v7
	v_cmp_gt_u32_e32 vcc, s18, v8
	s_and_saveexec_b64 s[18:19], vcc
	s_cbranch_execz .LBB296_90
; %bb.85:
	s_mov_b32 s20, 0x3bffffff
	v_cmp_lt_u32_e32 vcc, s20, v8
	s_mov_b64 s[20:21], 0
                                        ; implicit-def: $vgpr8
	s_and_saveexec_b64 s[22:23], vcc
	s_xor_b64 s[22:23], exec, s[22:23]
	s_cbranch_execnz .LBB296_534
; %bb.86:
	s_andn2_saveexec_b64 s[22:23], s[22:23]
	s_cbranch_execnz .LBB296_535
.LBB296_87:
	s_or_b64 exec, exec, s[22:23]
	v_mov_b32_e32 v9, 0
	s_and_saveexec_b64 s[22:23], s[20:21]
.LBB296_88:
	v_lshrrev_b32_e32 v7, 24, v7
	s_movk_i32 s20, 0x80
	v_and_or_b32 v9, v7, s20, v8
.LBB296_89:
	s_or_b64 exec, exec, s[22:23]
.LBB296_90:
	s_or_b64 exec, exec, s[18:19]
.LBB296_91:
	s_or_b64 exec, exec, s[16:17]
                                        ; implicit-def: $vgpr7_vgpr8
.LBB296_92:
	s_andn2_saveexec_b64 s[14:15], s[14:15]
	s_cbranch_execz .LBB296_100
; %bb.93:
	flat_load_sshort v7, v[7:8]
	s_mov_b32 s16, 0x43800000
	s_waitcnt vmcnt(0) lgkmcnt(0)
	v_mov_b32_e32 v9, 0x80
	v_cvt_f32_i32_e32 v7, v7
	v_and_b32_e32 v8, 0x7fffffff, v7
	v_cmp_gt_u32_e32 vcc, s16, v8
	s_and_saveexec_b64 s[16:17], vcc
	s_cbranch_execz .LBB296_99
; %bb.94:
	s_mov_b32 s18, 0x3bffffff
	v_cmp_lt_u32_e32 vcc, s18, v8
	s_mov_b64 s[18:19], 0
                                        ; implicit-def: $vgpr8
	s_and_saveexec_b64 s[20:21], vcc
	s_xor_b64 s[20:21], exec, s[20:21]
	s_cbranch_execnz .LBB296_502
; %bb.95:
	s_andn2_saveexec_b64 s[20:21], s[20:21]
	s_cbranch_execnz .LBB296_503
.LBB296_96:
	s_or_b64 exec, exec, s[20:21]
	v_mov_b32_e32 v9, 0
	s_and_saveexec_b64 s[20:21], s[18:19]
.LBB296_97:
	v_lshrrev_b32_e32 v7, 24, v7
	s_movk_i32 s18, 0x80
	v_and_or_b32 v9, v7, s18, v8
.LBB296_98:
	s_or_b64 exec, exec, s[20:21]
.LBB296_99:
	s_or_b64 exec, exec, s[16:17]
.LBB296_100:
	s_or_b64 exec, exec, s[14:15]
                                        ; implicit-def: $vgpr10
                                        ; implicit-def: $vgpr7_vgpr8
.LBB296_101:
	s_andn2_saveexec_b64 s[12:13], s[12:13]
	s_cbranch_execz .LBB296_119
; %bb.102:
	v_cmp_lt_i16_e32 vcc, 0, v10
                                        ; implicit-def: $vgpr9
	s_and_saveexec_b64 s[14:15], vcc
	s_xor_b64 s[14:15], exec, s[14:15]
	s_cbranch_execz .LBB296_110
; %bb.103:
	flat_load_sbyte v7, v[7:8]
	s_mov_b32 s16, 0x43800000
	s_waitcnt vmcnt(0) lgkmcnt(0)
	v_mov_b32_e32 v9, 0x80
	v_cvt_f32_i32_e32 v7, v7
	v_and_b32_e32 v8, 0x7fffffff, v7
	v_cmp_gt_u32_e32 vcc, s16, v8
	s_and_saveexec_b64 s[16:17], vcc
	s_cbranch_execz .LBB296_109
; %bb.104:
	s_mov_b32 s18, 0x3bffffff
	v_cmp_lt_u32_e32 vcc, s18, v8
	s_mov_b64 s[18:19], 0
                                        ; implicit-def: $vgpr8
	s_and_saveexec_b64 s[20:21], vcc
	s_xor_b64 s[20:21], exec, s[20:21]
	s_cbranch_execnz .LBB296_504
; %bb.105:
	s_andn2_saveexec_b64 s[20:21], s[20:21]
	s_cbranch_execnz .LBB296_505
.LBB296_106:
	s_or_b64 exec, exec, s[20:21]
	v_mov_b32_e32 v9, 0
	s_and_saveexec_b64 s[20:21], s[18:19]
.LBB296_107:
	v_lshrrev_b32_e32 v7, 24, v7
	s_movk_i32 s18, 0x80
	v_and_or_b32 v9, v7, s18, v8
.LBB296_108:
	s_or_b64 exec, exec, s[20:21]
.LBB296_109:
	s_or_b64 exec, exec, s[16:17]
                                        ; implicit-def: $vgpr7_vgpr8
.LBB296_110:
	s_andn2_saveexec_b64 s[14:15], s[14:15]
	s_cbranch_execz .LBB296_118
; %bb.111:
	flat_load_ubyte v7, v[7:8]
	s_mov_b32 s16, 0x43800000
	s_waitcnt vmcnt(0) lgkmcnt(0)
	v_mov_b32_e32 v9, 0x80
	v_cvt_f32_ubyte0_e32 v8, v7
	v_cmp_gt_u32_e32 vcc, s16, v8
	s_and_saveexec_b64 s[16:17], vcc
	s_cbranch_execz .LBB296_117
; %bb.112:
	s_mov_b32 s18, 0x3bffffff
	v_cmp_lt_u32_e32 vcc, s18, v8
	s_mov_b64 s[18:19], 0
                                        ; implicit-def: $vgpr7
	s_and_saveexec_b64 s[20:21], vcc
	s_xor_b64 s[20:21], exec, s[20:21]
	s_cbranch_execnz .LBB296_506
; %bb.113:
	s_andn2_saveexec_b64 s[20:21], s[20:21]
	s_cbranch_execnz .LBB296_507
.LBB296_114:
	s_or_b64 exec, exec, s[20:21]
	v_mov_b32_e32 v9, 0
	s_and_saveexec_b64 s[20:21], s[18:19]
.LBB296_115:
	v_mov_b32_e32 v9, v7
.LBB296_116:
	s_or_b64 exec, exec, s[20:21]
.LBB296_117:
	s_or_b64 exec, exec, s[16:17]
.LBB296_118:
	s_or_b64 exec, exec, s[14:15]
.LBB296_119:
	s_or_b64 exec, exec, s[12:13]
.LBB296_120:
	s_or_b64 exec, exec, s[8:9]
	s_or_b64 s[10:11], s[10:11], exec
.LBB296_121:
	s_or_b64 exec, exec, s[6:7]
	s_mov_b64 s[14:15], 0
	s_mov_b64 s[12:13], 0
	s_mov_b64 s[8:9], 0
                                        ; implicit-def: $vgpr10
                                        ; implicit-def: $vgpr7_vgpr8
                                        ; implicit-def: $vgpr11
	s_and_saveexec_b64 s[6:7], s[10:11]
	s_cbranch_execnz .LBB296_127
; %bb.122:
	s_or_b64 exec, exec, s[6:7]
	s_and_saveexec_b64 s[6:7], s[4:5]
	s_cbranch_execnz .LBB296_133
.LBB296_123:
	s_or_b64 exec, exec, s[6:7]
	s_and_saveexec_b64 s[4:5], s[14:15]
	s_xor_b64 s[4:5], exec, s[4:5]
	s_cbranch_execnz .LBB296_134
.LBB296_124:
	s_or_b64 exec, exec, s[4:5]
	s_and_saveexec_b64 s[4:5], s[12:13]
	s_cbranch_execnz .LBB296_141
.LBB296_125:
	s_or_b64 exec, exec, s[4:5]
                                        ; implicit-def: $sgpr6_sgpr7
	s_and_saveexec_b64 s[4:5], s[8:9]
	s_cbranch_execnz .LBB296_248
.LBB296_126:
	s_or_b64 exec, exec, s[4:5]
	v_cndmask_b32_e64 v0, 0, 1, s[6:7]
	s_waitcnt vmcnt(0) lgkmcnt(0)
	s_setpc_b64 s[30:31]
.LBB296_127:
	flat_load_dwordx2 v[7:8], v[1:2] offset:8
	flat_load_dword v11, v[3:4] offset:4
	flat_load_ubyte v10, v[5:6] offset:1
	s_mov_b64 s[12:13], -1
	s_mov_b64 s[10:11], 0
	s_mov_b64 s[16:17], s[4:5]
	s_waitcnt vmcnt(0) lgkmcnt(0)
	v_add_co_u32_e32 v7, vcc, v7, v11
	v_addc_co_u32_e32 v8, vcc, 0, v8, vcc
	v_cmp_lt_i16_e32 vcc, 10, v10
                                        ; implicit-def: $vgpr11
	s_and_saveexec_b64 s[8:9], vcc
	s_cbranch_execz .LBB296_132
; %bb.128:
	v_cmp_lt_i16_e32 vcc, 25, v10
	s_mov_b64 s[12:13], 0
                                        ; implicit-def: $vgpr11
	s_and_saveexec_b64 s[16:17], vcc
	s_xor_b64 s[16:17], exec, s[16:17]
	s_cbranch_execnz .LBB296_373
; %bb.129:
	s_andn2_saveexec_b64 s[16:17], s[16:17]
	s_cbranch_execnz .LBB296_430
.LBB296_130:
	s_or_b64 exec, exec, s[16:17]
	s_mov_b64 s[16:17], s[4:5]
	s_and_saveexec_b64 s[18:19], s[14:15]
	s_cbranch_execnz .LBB296_477
.LBB296_131:
	s_or_b64 exec, exec, s[18:19]
	s_andn2_b64 s[18:19], s[4:5], exec
	s_and_b64 s[16:17], s[16:17], exec
	s_and_b64 s[14:15], s[12:13], exec
	s_xor_b64 s[12:13], exec, -1
	s_and_b64 s[10:11], s[10:11], exec
	s_or_b64 s[16:17], s[18:19], s[16:17]
.LBB296_132:
	s_or_b64 exec, exec, s[8:9]
	s_and_b64 s[8:9], s[14:15], exec
	s_and_b64 s[14:15], s[10:11], exec
	s_andn2_b64 s[4:5], s[4:5], exec
	s_and_b64 s[10:11], s[16:17], exec
	s_and_b64 s[12:13], s[12:13], exec
	s_or_b64 s[4:5], s[4:5], s[10:11]
	s_or_b64 exec, exec, s[6:7]
	s_and_saveexec_b64 s[6:7], s[4:5]
	s_cbranch_execz .LBB296_123
.LBB296_133:
	; divergent unreachable
	s_or_b64 exec, exec, s[6:7]
	s_and_saveexec_b64 s[4:5], s[14:15]
	s_xor_b64 s[4:5], exec, s[4:5]
	s_cbranch_execz .LBB296_124
.LBB296_134:
	flat_load_ubyte v1, v[7:8]
	s_mov_b32 s6, 0x43800000
	s_waitcnt vmcnt(0) lgkmcnt(0)
	v_mov_b32_e32 v11, 0x80
	v_cmp_ne_u16_e32 vcc, 0, v1
	v_cndmask_b32_e64 v2, 0, 1.0, vcc
	v_cmp_gt_u32_e32 vcc, s6, v2
	s_and_saveexec_b64 s[6:7], vcc
	s_cbranch_execz .LBB296_140
; %bb.135:
	s_mov_b32 s10, 0x3bffffff
	v_cmp_lt_u32_e32 vcc, s10, v2
	s_mov_b64 s[10:11], 0
                                        ; implicit-def: $vgpr1
	s_and_saveexec_b64 s[14:15], vcc
	s_xor_b64 s[14:15], exec, s[14:15]
	s_cbranch_execnz .LBB296_478
; %bb.136:
	s_andn2_saveexec_b64 s[14:15], s[14:15]
	s_cbranch_execnz .LBB296_479
.LBB296_137:
	s_or_b64 exec, exec, s[14:15]
	v_mov_b32_e32 v11, 0
	s_and_saveexec_b64 s[14:15], s[10:11]
.LBB296_138:
	v_mov_b32_e32 v11, v1
.LBB296_139:
	s_or_b64 exec, exec, s[14:15]
.LBB296_140:
	s_or_b64 exec, exec, s[6:7]
	s_or_b64 s[8:9], s[8:9], exec
	s_or_b64 exec, exec, s[4:5]
	s_and_saveexec_b64 s[4:5], s[12:13]
	s_cbranch_execz .LBB296_125
.LBB296_141:
	v_cmp_lt_i16_e32 vcc, 4, v10
                                        ; implicit-def: $vgpr11
	s_and_saveexec_b64 s[6:7], vcc
	s_xor_b64 s[6:7], exec, s[6:7]
	s_cbranch_execz .LBB296_199
; %bb.142:
	v_cmp_lt_i16_e32 vcc, 7, v10
                                        ; implicit-def: $vgpr11
	s_and_saveexec_b64 s[10:11], vcc
	s_xor_b64 s[10:11], exec, s[10:11]
	s_cbranch_execz .LBB296_170
; %bb.143:
	;; [unrolled: 6-line block ×4, first 2 shown]
	flat_load_dwordx2 v[1:2], v[7:8]
	s_mov_b32 s16, 0x43800000
	s_waitcnt vmcnt(0) lgkmcnt(0)
	v_mov_b32_e32 v11, 0x80
	v_cvt_f32_f64_e32 v1, v[1:2]
	v_and_b32_e32 v2, 0x7fffffff, v1
	v_cmp_gt_u32_e32 vcc, s16, v2
	s_and_saveexec_b64 s[16:17], vcc
	s_cbranch_execz .LBB296_151
; %bb.146:
	s_mov_b32 s18, 0x3bffffff
	v_cmp_lt_u32_e32 vcc, s18, v2
	s_mov_b64 s[18:19], 0
                                        ; implicit-def: $vgpr2
	s_and_saveexec_b64 s[20:21], vcc
	s_xor_b64 s[20:21], exec, s[20:21]
	s_cbranch_execnz .LBB296_536
; %bb.147:
	s_andn2_saveexec_b64 s[20:21], s[20:21]
	s_cbranch_execnz .LBB296_537
.LBB296_148:
	s_or_b64 exec, exec, s[20:21]
	v_mov_b32_e32 v11, 0
	s_and_saveexec_b64 s[20:21], s[18:19]
.LBB296_149:
	v_lshrrev_b32_e32 v1, 24, v1
	s_movk_i32 s18, 0x80
	v_and_or_b32 v11, v1, s18, v2
.LBB296_150:
	s_or_b64 exec, exec, s[20:21]
.LBB296_151:
	s_or_b64 exec, exec, s[16:17]
                                        ; implicit-def: $vgpr7_vgpr8
.LBB296_152:
	s_andn2_saveexec_b64 s[14:15], s[14:15]
	s_cbranch_execz .LBB296_160
; %bb.153:
	flat_load_dword v1, v[7:8]
	s_mov_b32 s16, 0x43800000
	s_waitcnt vmcnt(0) lgkmcnt(0)
	v_mov_b32_e32 v11, 0x80
	v_and_b32_e32 v2, 0x7fffffff, v1
	v_cmp_gt_u32_e32 vcc, s16, v2
	s_and_saveexec_b64 s[16:17], vcc
	s_cbranch_execz .LBB296_159
; %bb.154:
	s_mov_b32 s18, 0x3bffffff
	v_cmp_lt_u32_e32 vcc, s18, v2
	s_mov_b64 s[18:19], 0
                                        ; implicit-def: $vgpr2
	s_and_saveexec_b64 s[20:21], vcc
	s_xor_b64 s[20:21], exec, s[20:21]
	s_cbranch_execnz .LBB296_538
; %bb.155:
	s_andn2_saveexec_b64 s[20:21], s[20:21]
	s_cbranch_execnz .LBB296_539
.LBB296_156:
	s_or_b64 exec, exec, s[20:21]
	v_mov_b32_e32 v11, 0
	s_and_saveexec_b64 s[20:21], s[18:19]
.LBB296_157:
	v_lshrrev_b32_e32 v1, 24, v1
	s_movk_i32 s18, 0x80
	v_and_or_b32 v11, v1, s18, v2
.LBB296_158:
	s_or_b64 exec, exec, s[20:21]
.LBB296_159:
	s_or_b64 exec, exec, s[16:17]
.LBB296_160:
	s_or_b64 exec, exec, s[14:15]
                                        ; implicit-def: $vgpr7_vgpr8
.LBB296_161:
	s_andn2_saveexec_b64 s[12:13], s[12:13]
	s_cbranch_execz .LBB296_169
; %bb.162:
	flat_load_dword v1, v[7:8]
	s_mov_b32 s14, 0x43800000
	s_waitcnt vmcnt(0) lgkmcnt(0)
	v_mov_b32_e32 v11, 0x80
	v_cvt_f32_f16_e32 v1, v1
	v_and_b32_e32 v2, 0x7fffffff, v1
	v_cmp_gt_u32_e32 vcc, s14, v2
	s_and_saveexec_b64 s[14:15], vcc
	s_cbranch_execz .LBB296_168
; %bb.163:
	s_mov_b32 s16, 0x3bffffff
	v_cmp_lt_u32_e32 vcc, s16, v2
	s_mov_b64 s[16:17], 0
                                        ; implicit-def: $vgpr2
	s_and_saveexec_b64 s[18:19], vcc
	s_xor_b64 s[18:19], exec, s[18:19]
	s_cbranch_execnz .LBB296_508
; %bb.164:
	s_andn2_saveexec_b64 s[18:19], s[18:19]
	s_cbranch_execnz .LBB296_509
.LBB296_165:
	s_or_b64 exec, exec, s[18:19]
	v_mov_b32_e32 v11, 0
	s_and_saveexec_b64 s[18:19], s[16:17]
.LBB296_166:
	v_lshrrev_b32_e32 v1, 24, v1
	s_movk_i32 s16, 0x80
	v_and_or_b32 v11, v1, s16, v2
.LBB296_167:
	s_or_b64 exec, exec, s[18:19]
.LBB296_168:
	s_or_b64 exec, exec, s[14:15]
.LBB296_169:
	s_or_b64 exec, exec, s[12:13]
                                        ; implicit-def: $vgpr7_vgpr8
.LBB296_170:
	s_andn2_saveexec_b64 s[10:11], s[10:11]
	s_cbranch_execz .LBB296_198
; %bb.171:
	v_cmp_lt_i16_e32 vcc, 5, v10
                                        ; implicit-def: $vgpr11
	s_and_saveexec_b64 s[12:13], vcc
	s_xor_b64 s[12:13], exec, s[12:13]
	s_cbranch_execz .LBB296_189
; %bb.172:
	v_cmp_lt_i16_e32 vcc, 6, v10
                                        ; implicit-def: $vgpr11
	s_and_saveexec_b64 s[14:15], vcc
	s_xor_b64 s[14:15], exec, s[14:15]
	s_cbranch_execz .LBB296_180
; %bb.173:
	flat_load_dwordx2 v[1:2], v[7:8]
	s_mov_b32 s16, 0x43800000
	s_waitcnt vmcnt(0) lgkmcnt(0)
	v_mov_b32_e32 v11, 0x80
	v_cvt_f32_f64_e32 v1, v[1:2]
	v_and_b32_e32 v2, 0x7fffffff, v1
	v_cmp_gt_u32_e32 vcc, s16, v2
	s_and_saveexec_b64 s[16:17], vcc
	s_cbranch_execz .LBB296_179
; %bb.174:
	s_mov_b32 s18, 0x3bffffff
	v_cmp_lt_u32_e32 vcc, s18, v2
	s_mov_b64 s[18:19], 0
                                        ; implicit-def: $vgpr2
	s_and_saveexec_b64 s[20:21], vcc
	s_xor_b64 s[20:21], exec, s[20:21]
	s_cbranch_execnz .LBB296_540
; %bb.175:
	s_andn2_saveexec_b64 s[20:21], s[20:21]
	s_cbranch_execnz .LBB296_541
.LBB296_176:
	s_or_b64 exec, exec, s[20:21]
	v_mov_b32_e32 v11, 0
	s_and_saveexec_b64 s[20:21], s[18:19]
.LBB296_177:
	v_lshrrev_b32_e32 v1, 24, v1
	s_movk_i32 s18, 0x80
	v_and_or_b32 v11, v1, s18, v2
.LBB296_178:
	s_or_b64 exec, exec, s[20:21]
.LBB296_179:
	s_or_b64 exec, exec, s[16:17]
                                        ; implicit-def: $vgpr7_vgpr8
.LBB296_180:
	s_andn2_saveexec_b64 s[14:15], s[14:15]
	s_cbranch_execz .LBB296_188
; %bb.181:
	flat_load_dword v1, v[7:8]
	s_mov_b32 s16, 0x43800000
	s_waitcnt vmcnt(0) lgkmcnt(0)
	v_mov_b32_e32 v11, 0x80
	v_and_b32_e32 v2, 0x7fffffff, v1
	v_cmp_gt_u32_e32 vcc, s16, v2
	s_and_saveexec_b64 s[16:17], vcc
	s_cbranch_execz .LBB296_187
; %bb.182:
	s_mov_b32 s18, 0x3bffffff
	v_cmp_lt_u32_e32 vcc, s18, v2
	s_mov_b64 s[18:19], 0
                                        ; implicit-def: $vgpr2
	s_and_saveexec_b64 s[20:21], vcc
	s_xor_b64 s[20:21], exec, s[20:21]
	s_cbranch_execnz .LBB296_542
; %bb.183:
	s_andn2_saveexec_b64 s[20:21], s[20:21]
	s_cbranch_execnz .LBB296_543
.LBB296_184:
	s_or_b64 exec, exec, s[20:21]
	v_mov_b32_e32 v11, 0
	s_and_saveexec_b64 s[20:21], s[18:19]
.LBB296_185:
	v_lshrrev_b32_e32 v1, 24, v1
	s_movk_i32 s18, 0x80
	v_and_or_b32 v11, v1, s18, v2
.LBB296_186:
	s_or_b64 exec, exec, s[20:21]
.LBB296_187:
	s_or_b64 exec, exec, s[16:17]
.LBB296_188:
	s_or_b64 exec, exec, s[14:15]
                                        ; implicit-def: $vgpr7_vgpr8
.LBB296_189:
	s_andn2_saveexec_b64 s[12:13], s[12:13]
	s_cbranch_execz .LBB296_197
; %bb.190:
	flat_load_ushort v1, v[7:8]
	s_mov_b32 s14, 0x43800000
	s_waitcnt vmcnt(0) lgkmcnt(0)
	v_mov_b32_e32 v11, 0x80
	v_cvt_f32_f16_e32 v1, v1
	v_and_b32_e32 v2, 0x7fffffff, v1
	v_cmp_gt_u32_e32 vcc, s14, v2
	s_and_saveexec_b64 s[14:15], vcc
	s_cbranch_execz .LBB296_196
; %bb.191:
	s_mov_b32 s16, 0x3bffffff
	v_cmp_lt_u32_e32 vcc, s16, v2
	s_mov_b64 s[16:17], 0
                                        ; implicit-def: $vgpr2
	s_and_saveexec_b64 s[18:19], vcc
	s_xor_b64 s[18:19], exec, s[18:19]
	s_cbranch_execnz .LBB296_510
; %bb.192:
	s_andn2_saveexec_b64 s[18:19], s[18:19]
	s_cbranch_execnz .LBB296_511
.LBB296_193:
	s_or_b64 exec, exec, s[18:19]
	v_mov_b32_e32 v11, 0
	s_and_saveexec_b64 s[18:19], s[16:17]
.LBB296_194:
	v_lshrrev_b32_e32 v1, 24, v1
	s_movk_i32 s16, 0x80
	v_and_or_b32 v11, v1, s16, v2
.LBB296_195:
	s_or_b64 exec, exec, s[18:19]
.LBB296_196:
	s_or_b64 exec, exec, s[14:15]
.LBB296_197:
	s_or_b64 exec, exec, s[12:13]
.LBB296_198:
	s_or_b64 exec, exec, s[10:11]
                                        ; implicit-def: $vgpr7_vgpr8
.LBB296_199:
	s_andn2_saveexec_b64 s[6:7], s[6:7]
	s_cbranch_execz .LBB296_247
; %bb.200:
	v_cmp_lt_i16_e32 vcc, 1, v10
                                        ; implicit-def: $vgpr11
	s_and_saveexec_b64 s[10:11], vcc
	s_xor_b64 s[10:11], exec, s[10:11]
	s_cbranch_execz .LBB296_228
; %bb.201:
	v_cmp_lt_i16_e32 vcc, 2, v10
                                        ; implicit-def: $vgpr11
	s_and_saveexec_b64 s[12:13], vcc
	s_xor_b64 s[12:13], exec, s[12:13]
	;; [unrolled: 6-line block ×3, first 2 shown]
	s_cbranch_execz .LBB296_210
; %bb.203:
	flat_load_dwordx2 v[1:2], v[7:8]
	s_mov_b32 s16, 0x43800000
	s_waitcnt vmcnt(0) lgkmcnt(0)
	v_mov_b32_e32 v11, 0x80
	v_xor_b32_e32 v4, v1, v2
	v_ffbh_i32_e32 v3, v2
	v_ashrrev_i32_e32 v4, 31, v4
	v_add_u32_e32 v3, -1, v3
	v_add_u32_e32 v4, 32, v4
	v_min_u32_e32 v3, v3, v4
	v_lshlrev_b64 v[1:2], v3, v[1:2]
	v_min_u32_e32 v1, 1, v1
	v_or_b32_e32 v1, v2, v1
	v_cvt_f32_i32_e32 v1, v1
	v_sub_u32_e32 v2, 32, v3
	v_ldexp_f32 v1, v1, v2
	v_and_b32_e32 v2, 0x7fffffff, v1
	v_cmp_gt_u32_e32 vcc, s16, v2
	s_and_saveexec_b64 s[16:17], vcc
	s_cbranch_execz .LBB296_209
; %bb.204:
	s_mov_b32 s18, 0x3bffffff
	v_cmp_lt_u32_e32 vcc, s18, v2
	s_mov_b64 s[18:19], 0
                                        ; implicit-def: $vgpr2
	s_and_saveexec_b64 s[20:21], vcc
	s_xor_b64 s[20:21], exec, s[20:21]
	s_cbranch_execnz .LBB296_544
; %bb.205:
	s_andn2_saveexec_b64 s[20:21], s[20:21]
	s_cbranch_execnz .LBB296_545
.LBB296_206:
	s_or_b64 exec, exec, s[20:21]
	v_mov_b32_e32 v11, 0
	s_and_saveexec_b64 s[20:21], s[18:19]
.LBB296_207:
	v_lshrrev_b32_e32 v1, 24, v1
	s_movk_i32 s18, 0x80
	v_and_or_b32 v11, v1, s18, v2
.LBB296_208:
	s_or_b64 exec, exec, s[20:21]
.LBB296_209:
	s_or_b64 exec, exec, s[16:17]
                                        ; implicit-def: $vgpr7_vgpr8
.LBB296_210:
	s_andn2_saveexec_b64 s[14:15], s[14:15]
	s_cbranch_execz .LBB296_218
; %bb.211:
	flat_load_dword v1, v[7:8]
	s_mov_b32 s16, 0x43800000
	s_waitcnt vmcnt(0) lgkmcnt(0)
	v_mov_b32_e32 v11, 0x80
	v_cvt_f32_i32_e32 v1, v1
	v_and_b32_e32 v2, 0x7fffffff, v1
	v_cmp_gt_u32_e32 vcc, s16, v2
	s_and_saveexec_b64 s[16:17], vcc
	s_cbranch_execz .LBB296_217
; %bb.212:
	s_mov_b32 s18, 0x3bffffff
	v_cmp_lt_u32_e32 vcc, s18, v2
	s_mov_b64 s[18:19], 0
                                        ; implicit-def: $vgpr2
	s_and_saveexec_b64 s[20:21], vcc
	s_xor_b64 s[20:21], exec, s[20:21]
	s_cbranch_execnz .LBB296_546
; %bb.213:
	s_andn2_saveexec_b64 s[20:21], s[20:21]
	s_cbranch_execnz .LBB296_547
.LBB296_214:
	s_or_b64 exec, exec, s[20:21]
	v_mov_b32_e32 v11, 0
	s_and_saveexec_b64 s[20:21], s[18:19]
.LBB296_215:
	v_lshrrev_b32_e32 v1, 24, v1
	s_movk_i32 s18, 0x80
	v_and_or_b32 v11, v1, s18, v2
.LBB296_216:
	s_or_b64 exec, exec, s[20:21]
.LBB296_217:
	s_or_b64 exec, exec, s[16:17]
.LBB296_218:
	s_or_b64 exec, exec, s[14:15]
                                        ; implicit-def: $vgpr7_vgpr8
.LBB296_219:
	s_andn2_saveexec_b64 s[12:13], s[12:13]
	s_cbranch_execz .LBB296_227
; %bb.220:
	flat_load_sshort v1, v[7:8]
	s_mov_b32 s14, 0x43800000
	s_waitcnt vmcnt(0) lgkmcnt(0)
	v_mov_b32_e32 v11, 0x80
	v_cvt_f32_i32_e32 v1, v1
	v_and_b32_e32 v2, 0x7fffffff, v1
	v_cmp_gt_u32_e32 vcc, s14, v2
	s_and_saveexec_b64 s[14:15], vcc
	s_cbranch_execz .LBB296_226
; %bb.221:
	s_mov_b32 s16, 0x3bffffff
	v_cmp_lt_u32_e32 vcc, s16, v2
	s_mov_b64 s[16:17], 0
                                        ; implicit-def: $vgpr2
	s_and_saveexec_b64 s[18:19], vcc
	s_xor_b64 s[18:19], exec, s[18:19]
	s_cbranch_execnz .LBB296_512
; %bb.222:
	s_andn2_saveexec_b64 s[18:19], s[18:19]
	s_cbranch_execnz .LBB296_513
.LBB296_223:
	s_or_b64 exec, exec, s[18:19]
	v_mov_b32_e32 v11, 0
	s_and_saveexec_b64 s[18:19], s[16:17]
.LBB296_224:
	v_lshrrev_b32_e32 v1, 24, v1
	s_movk_i32 s16, 0x80
	v_and_or_b32 v11, v1, s16, v2
.LBB296_225:
	s_or_b64 exec, exec, s[18:19]
.LBB296_226:
	s_or_b64 exec, exec, s[14:15]
.LBB296_227:
	s_or_b64 exec, exec, s[12:13]
                                        ; implicit-def: $vgpr7_vgpr8
.LBB296_228:
	s_andn2_saveexec_b64 s[10:11], s[10:11]
	s_cbranch_execz .LBB296_246
; %bb.229:
	v_cmp_lt_i16_e32 vcc, 0, v10
                                        ; implicit-def: $vgpr11
	s_and_saveexec_b64 s[12:13], vcc
	s_xor_b64 s[12:13], exec, s[12:13]
	s_cbranch_execz .LBB296_237
; %bb.230:
	flat_load_sbyte v1, v[7:8]
	s_mov_b32 s14, 0x43800000
	s_waitcnt vmcnt(0) lgkmcnt(0)
	v_mov_b32_e32 v11, 0x80
	v_cvt_f32_i32_e32 v1, v1
	v_and_b32_e32 v2, 0x7fffffff, v1
	v_cmp_gt_u32_e32 vcc, s14, v2
	s_and_saveexec_b64 s[14:15], vcc
	s_cbranch_execz .LBB296_236
; %bb.231:
	s_mov_b32 s16, 0x3bffffff
	v_cmp_lt_u32_e32 vcc, s16, v2
	s_mov_b64 s[16:17], 0
                                        ; implicit-def: $vgpr2
	s_and_saveexec_b64 s[18:19], vcc
	s_xor_b64 s[18:19], exec, s[18:19]
	s_cbranch_execnz .LBB296_514
; %bb.232:
	s_andn2_saveexec_b64 s[18:19], s[18:19]
	s_cbranch_execnz .LBB296_515
.LBB296_233:
	s_or_b64 exec, exec, s[18:19]
	v_mov_b32_e32 v11, 0
	s_and_saveexec_b64 s[18:19], s[16:17]
.LBB296_234:
	v_lshrrev_b32_e32 v1, 24, v1
	s_movk_i32 s16, 0x80
	v_and_or_b32 v11, v1, s16, v2
.LBB296_235:
	s_or_b64 exec, exec, s[18:19]
.LBB296_236:
	s_or_b64 exec, exec, s[14:15]
                                        ; implicit-def: $vgpr7_vgpr8
.LBB296_237:
	s_andn2_saveexec_b64 s[12:13], s[12:13]
	s_cbranch_execz .LBB296_245
; %bb.238:
	flat_load_ubyte v1, v[7:8]
	s_mov_b32 s14, 0x43800000
	s_waitcnt vmcnt(0) lgkmcnt(0)
	v_mov_b32_e32 v11, 0x80
	v_cvt_f32_ubyte0_e32 v2, v1
	v_cmp_gt_u32_e32 vcc, s14, v2
	s_and_saveexec_b64 s[14:15], vcc
	s_cbranch_execz .LBB296_244
; %bb.239:
	s_mov_b32 s16, 0x3bffffff
	v_cmp_lt_u32_e32 vcc, s16, v2
	s_mov_b64 s[16:17], 0
                                        ; implicit-def: $vgpr1
	s_and_saveexec_b64 s[18:19], vcc
	s_xor_b64 s[18:19], exec, s[18:19]
	s_cbranch_execnz .LBB296_516
; %bb.240:
	s_andn2_saveexec_b64 s[18:19], s[18:19]
	s_cbranch_execnz .LBB296_517
.LBB296_241:
	s_or_b64 exec, exec, s[18:19]
	v_mov_b32_e32 v11, 0
	s_and_saveexec_b64 s[18:19], s[16:17]
.LBB296_242:
	v_mov_b32_e32 v11, v1
.LBB296_243:
	s_or_b64 exec, exec, s[18:19]
.LBB296_244:
	s_or_b64 exec, exec, s[14:15]
.LBB296_245:
	s_or_b64 exec, exec, s[12:13]
.LBB296_246:
	s_or_b64 exec, exec, s[10:11]
.LBB296_247:
	s_or_b64 exec, exec, s[6:7]
	s_or_b64 s[8:9], s[8:9], exec
	s_or_b64 exec, exec, s[4:5]
                                        ; implicit-def: $sgpr6_sgpr7
	s_and_saveexec_b64 s[4:5], s[8:9]
	s_cbranch_execz .LBB296_126
.LBB296_248:
	v_cmp_ne_u32_e32 vcc, 0, v0
                                        ; implicit-def: $sgpr6_sgpr7
	s_and_saveexec_b64 s[8:9], vcc
	s_xor_b64 s[8:9], exec, s[8:9]
	s_cbranch_execz .LBB296_258
; %bb.249:
	s_movk_i32 s6, 0x7f
	s_waitcnt vmcnt(0) lgkmcnt(0)
	v_cmp_gt_i16_sdwa s[10:11], v9, s6 src0_sel:BYTE_0 src1_sel:DWORD
	s_mov_b64 s[6:7], 0
	s_and_saveexec_b64 s[12:13], s[10:11]
	s_xor_b64 s[10:11], exec, s[12:13]
	s_cbranch_execnz .LBB296_480
; %bb.250:
	s_or_saveexec_b64 s[10:11], s[10:11]
	v_mov_b32_e32 v0, 0x7f800001
	s_xor_b64 exec, exec, s[10:11]
	s_cbranch_execnz .LBB296_483
.LBB296_251:
	s_or_b64 exec, exec, s[10:11]
	s_and_saveexec_b64 s[10:11], s[6:7]
	s_cbranch_execz .LBB296_253
.LBB296_252:
	v_and_b32_e32 v1, 7, v9
	v_ffbh_u32_e32 v2, v1
	v_min_u32_e32 v2, 32, v2
	v_lshrrev_b16_e32 v0, 3, v9
	v_subrev_u32_e32 v3, 28, v2
	v_and_b32_e32 v0, 15, v0
	v_lshlrev_b32_e32 v3, v3, v9
	v_sub_u32_e32 v2, 29, v2
	v_and_b32_e32 v3, 7, v3
	v_cmp_eq_u32_e32 vcc, 0, v0
	v_cndmask_b32_e32 v0, v0, v2, vcc
	v_cndmask_b32_e32 v1, v1, v3, vcc
	v_lshlrev_b32_e32 v2, 24, v9
	v_mov_b32_e32 v3, 0x3b800000
	v_lshlrev_b32_e32 v1, 20, v1
	v_and_b32_e32 v2, 0x80000000, v2
	v_lshl_add_u32 v0, v0, 23, v3
	v_or3_b32 v0, v2, v0, v1
.LBB296_253:
	s_or_b64 exec, exec, s[10:11]
	s_movk_i32 s6, 0x7f
	v_cmp_gt_i16_sdwa s[10:11], v11, s6 src0_sel:BYTE_0 src1_sel:DWORD
	s_mov_b64 s[6:7], 0
	s_and_saveexec_b64 s[12:13], s[10:11]
	s_xor_b64 s[10:11], exec, s[12:13]
	s_cbranch_execnz .LBB296_484
; %bb.254:
	s_or_saveexec_b64 s[10:11], s[10:11]
	v_mov_b32_e32 v1, 0x7f800001
	s_xor_b64 exec, exec, s[10:11]
	s_cbranch_execnz .LBB296_487
.LBB296_255:
	s_or_b64 exec, exec, s[10:11]
	s_and_saveexec_b64 s[10:11], s[6:7]
	s_cbranch_execz .LBB296_257
.LBB296_256:
	v_and_b32_e32 v2, 7, v11
	v_ffbh_u32_e32 v3, v2
	v_min_u32_e32 v3, 32, v3
	v_lshrrev_b16_e32 v1, 3, v11
	v_subrev_u32_e32 v4, 28, v3
	v_and_b32_e32 v1, 15, v1
	v_lshlrev_b32_e32 v4, v4, v11
	v_sub_u32_e32 v3, 29, v3
	v_and_b32_e32 v4, 7, v4
	v_cmp_eq_u32_e32 vcc, 0, v1
	v_cndmask_b32_e32 v1, v1, v3, vcc
	v_cndmask_b32_e32 v2, v2, v4, vcc
	v_lshlrev_b32_e32 v3, 24, v11
	v_mov_b32_e32 v4, 0x3b800000
	v_lshlrev_b32_e32 v2, 20, v2
	v_and_b32_e32 v3, 0x80000000, v3
	v_lshl_add_u32 v1, v1, 23, v4
	v_or3_b32 v1, v3, v1, v2
.LBB296_257:
	s_or_b64 exec, exec, s[10:11]
	v_cmp_neq_f32_e64 s[6:7], v0, v1
                                        ; implicit-def: $vgpr11
                                        ; implicit-def: $vgpr9
.LBB296_258:
	s_andn2_saveexec_b64 s[8:9], s[8:9]
	s_cbranch_execz .LBB296_126
; %bb.259:
	s_movk_i32 s8, 0x7f
	s_waitcnt vmcnt(0) lgkmcnt(0)
	v_cmp_gt_i16_sdwa s[10:11], v9, s8 src0_sel:BYTE_0 src1_sel:DWORD
	s_mov_b64 s[8:9], 0
	s_and_saveexec_b64 s[12:13], s[10:11]
	s_xor_b64 s[10:11], exec, s[12:13]
	s_cbranch_execnz .LBB296_488
; %bb.260:
	s_or_saveexec_b64 s[10:11], s[10:11]
	v_mov_b32_e32 v0, 0x7f800001
	s_xor_b64 exec, exec, s[10:11]
	s_cbranch_execnz .LBB296_491
.LBB296_261:
	s_or_b64 exec, exec, s[10:11]
	s_and_saveexec_b64 s[10:11], s[8:9]
	s_cbranch_execz .LBB296_263
.LBB296_262:
	v_and_b32_e32 v1, 7, v9
	v_ffbh_u32_e32 v2, v1
	v_min_u32_e32 v2, 32, v2
	v_lshrrev_b16_e32 v0, 3, v9
	v_subrev_u32_e32 v3, 28, v2
	v_and_b32_e32 v0, 15, v0
	v_lshlrev_b32_e32 v3, v3, v9
	v_sub_u32_e32 v2, 29, v2
	v_and_b32_e32 v3, 7, v3
	v_cmp_eq_u32_e32 vcc, 0, v0
	v_cndmask_b32_e32 v0, v0, v2, vcc
	v_cndmask_b32_e32 v1, v1, v3, vcc
	v_lshlrev_b32_e32 v2, 24, v9
	v_mov_b32_e32 v3, 0x3b800000
	v_lshlrev_b32_e32 v1, 20, v1
	v_and_b32_e32 v2, 0x80000000, v2
	v_lshl_add_u32 v0, v0, 23, v3
	v_or3_b32 v0, v2, v0, v1
.LBB296_263:
	s_or_b64 exec, exec, s[10:11]
	s_movk_i32 s8, 0x7f
	v_cmp_gt_i16_sdwa s[10:11], v11, s8 src0_sel:BYTE_0 src1_sel:DWORD
	s_mov_b64 s[8:9], 0
	s_and_saveexec_b64 s[12:13], s[10:11]
	s_xor_b64 s[10:11], exec, s[12:13]
	s_cbranch_execnz .LBB296_492
; %bb.264:
	s_or_saveexec_b64 s[10:11], s[10:11]
	v_mov_b32_e32 v1, 0x7f800001
	s_xor_b64 exec, exec, s[10:11]
	s_cbranch_execnz .LBB296_495
.LBB296_265:
	s_or_b64 exec, exec, s[10:11]
	s_and_saveexec_b64 s[10:11], s[8:9]
	s_cbranch_execz .LBB296_267
.LBB296_266:
	v_and_b32_e32 v2, 7, v11
	v_ffbh_u32_e32 v3, v2
	v_min_u32_e32 v3, 32, v3
	v_lshrrev_b16_e32 v1, 3, v11
	v_subrev_u32_e32 v4, 28, v3
	v_and_b32_e32 v1, 15, v1
	v_lshlrev_b32_e32 v4, v4, v11
	v_sub_u32_e32 v3, 29, v3
	v_and_b32_e32 v4, 7, v4
	v_cmp_eq_u32_e32 vcc, 0, v1
	v_cndmask_b32_e32 v1, v1, v3, vcc
	v_cndmask_b32_e32 v2, v2, v4, vcc
	v_lshlrev_b32_e32 v3, 24, v11
	v_mov_b32_e32 v4, 0x3b800000
	v_lshlrev_b32_e32 v2, 20, v2
	v_and_b32_e32 v3, 0x80000000, v3
	v_lshl_add_u32 v1, v1, 23, v4
	v_or3_b32 v1, v3, v1, v2
.LBB296_267:
	s_or_b64 exec, exec, s[10:11]
	v_cmp_eq_f32_e32 vcc, v0, v1
	s_andn2_b64 s[6:7], s[6:7], exec
	s_and_b64 s[8:9], vcc, exec
	s_or_b64 s[6:7], s[6:7], s[8:9]
	s_or_b64 exec, exec, s[4:5]
	v_cndmask_b32_e64 v0, 0, 1, s[6:7]
	s_setpc_b64 s[30:31]
.LBB296_268:
	v_cmp_lt_i16_e32 vcc, 28, v10
	s_mov_b64 s[14:15], 0
                                        ; implicit-def: $vgpr9
	s_and_saveexec_b64 s[8:9], vcc
	s_xor_b64 s[8:9], exec, s[8:9]
	s_cbranch_execz .LBB296_302
; %bb.269:
	v_cmp_lt_i16_e32 vcc, 43, v10
	s_mov_b64 s[16:17], 0
	s_mov_b64 s[18:19], 0
                                        ; implicit-def: $vgpr9
	s_and_saveexec_b64 s[10:11], vcc
	s_xor_b64 s[10:11], exec, s[10:11]
	s_cbranch_execz .LBB296_291
; %bb.270:
	v_cmp_lt_i16_e32 vcc, 45, v10
                                        ; implicit-def: $vgpr9
	s_and_saveexec_b64 s[18:19], vcc
	s_xor_b64 s[18:19], exec, s[18:19]
	s_cbranch_execz .LBB296_280
; %bb.271:
	v_cmp_eq_u16_e32 vcc, 46, v10
	s_mov_b64 s[20:21], -1
                                        ; implicit-def: $vgpr9
	s_and_saveexec_b64 s[14:15], vcc
	s_cbranch_execz .LBB296_279
; %bb.272:
	flat_load_dword v9, v[7:8]
	s_mov_b32 s16, 0x43800000
	s_waitcnt vmcnt(0) lgkmcnt(0)
	v_lshlrev_b32_e32 v10, 16, v9
	v_and_b32_e32 v11, 0x7fffffff, v10
	v_cmp_gt_u32_e32 vcc, s16, v11
	v_mov_b32_e32 v9, 0x80
	s_and_saveexec_b64 s[16:17], vcc
	s_cbranch_execz .LBB296_278
; %bb.273:
	s_mov_b32 s20, 0x3bffffff
	v_cmp_lt_u32_e32 vcc, s20, v11
	s_mov_b64 s[20:21], 0
                                        ; implicit-def: $vgpr11
	s_and_saveexec_b64 s[22:23], vcc
	s_xor_b64 s[22:23], exec, s[22:23]
	s_cbranch_execnz .LBB296_566
; %bb.274:
	s_andn2_saveexec_b64 s[22:23], s[22:23]
	s_cbranch_execnz .LBB296_567
.LBB296_275:
	s_or_b64 exec, exec, s[22:23]
	v_mov_b32_e32 v9, 0
	s_and_saveexec_b64 s[22:23], s[20:21]
.LBB296_276:
	v_lshrrev_b32_e32 v9, 24, v10
	s_movk_i32 s20, 0x80
	v_and_or_b32 v9, v9, s20, v11
.LBB296_277:
	s_or_b64 exec, exec, s[22:23]
.LBB296_278:
	s_or_b64 exec, exec, s[16:17]
	s_mov_b64 s[16:17], exec
	s_xor_b64 s[20:21], exec, -1
.LBB296_279:
	s_or_b64 exec, exec, s[14:15]
	s_and_b64 s[16:17], s[16:17], exec
	s_and_b64 s[14:15], s[20:21], exec
                                        ; implicit-def: $vgpr10
.LBB296_280:
	s_andn2_saveexec_b64 s[18:19], s[18:19]
	s_cbranch_execz .LBB296_290
; %bb.281:
	v_cmp_eq_u16_e32 vcc, 44, v10
	s_mov_b64 s[22:23], -1
	s_mov_b64 s[24:25], s[16:17]
                                        ; implicit-def: $vgpr9
	s_and_saveexec_b64 s[20:21], vcc
	s_cbranch_execz .LBB296_289
; %bb.282:
	flat_load_ubyte v9, v[7:8]
	s_movk_i32 s22, 0xff
	v_mov_b32_e32 v10, 0x7f800001
	v_mov_b32_e32 v11, 0x400000
	s_mov_b32 s23, 0x43800000
	s_waitcnt vmcnt(0) lgkmcnt(0)
	v_lshlrev_b32_e32 v12, 23, v9
	v_cmp_ne_u32_e32 vcc, s22, v9
	v_cndmask_b32_e32 v10, v10, v12, vcc
	v_cmp_ne_u32_e32 vcc, 0, v9
	v_cndmask_b32_e32 v11, v11, v10, vcc
	v_cmp_gt_u32_e32 vcc, s23, v11
	v_mov_b32_e32 v9, 0x80
	s_and_saveexec_b64 s[22:23], vcc
	s_cbranch_execz .LBB296_288
; %bb.283:
	s_mov_b32 s24, 0x3bffffff
	v_cmp_lt_u32_e32 vcc, s24, v11
	s_mov_b64 s[24:25], 0
                                        ; implicit-def: $vgpr10
	s_and_saveexec_b64 s[26:27], vcc
	s_xor_b64 s[26:27], exec, s[26:27]
	s_cbranch_execnz .LBB296_568
; %bb.284:
	s_andn2_saveexec_b64 s[26:27], s[26:27]
	s_cbranch_execnz .LBB296_569
.LBB296_285:
	s_or_b64 exec, exec, s[26:27]
	v_mov_b32_e32 v9, 0
	s_and_saveexec_b64 s[26:27], s[24:25]
.LBB296_286:
	v_mov_b32_e32 v9, v10
.LBB296_287:
	s_or_b64 exec, exec, s[26:27]
.LBB296_288:
	s_or_b64 exec, exec, s[22:23]
	s_or_b64 s[24:25], s[16:17], exec
	s_xor_b64 s[22:23], exec, -1
.LBB296_289:
	s_or_b64 exec, exec, s[20:21]
	s_andn2_b64 s[16:17], s[16:17], exec
	s_and_b64 s[20:21], s[24:25], exec
	s_or_b64 s[16:17], s[16:17], s[20:21]
	s_andn2_b64 s[14:15], s[14:15], exec
	s_and_b64 s[20:21], s[22:23], exec
	s_or_b64 s[14:15], s[14:15], s[20:21]
.LBB296_290:
	s_or_b64 exec, exec, s[18:19]
	s_and_b64 s[18:19], s[16:17], exec
	s_and_b64 s[16:17], s[14:15], exec
                                        ; implicit-def: $vgpr10
.LBB296_291:
	s_andn2_saveexec_b64 s[10:11], s[10:11]
	s_cbranch_execz .LBB296_301
; %bb.292:
	v_cmp_eq_u16_e32 vcc, 29, v10
	s_mov_b64 s[20:21], -1
	s_mov_b64 s[22:23], s[18:19]
                                        ; implicit-def: $vgpr9
	s_and_saveexec_b64 s[14:15], vcc
	s_cbranch_execz .LBB296_300
; %bb.293:
	flat_load_dwordx2 v[9:10], v[7:8]
	s_mov_b32 s20, 0x43800000
	s_waitcnt vmcnt(0) lgkmcnt(0)
	v_ffbh_u32_e32 v11, v10
	v_min_u32_e32 v11, 32, v11
	v_lshlrev_b64 v[9:10], v11, v[9:10]
	v_min_u32_e32 v9, 1, v9
	v_or_b32_e32 v9, v10, v9
	v_cvt_f32_u32_e32 v9, v9
	v_sub_u32_e32 v10, 32, v11
	v_ldexp_f32 v11, v9, v10
	v_cmp_gt_u32_e32 vcc, s20, v11
	v_mov_b32_e32 v9, 0x80
	s_and_saveexec_b64 s[20:21], vcc
	s_cbranch_execz .LBB296_299
; %bb.294:
	s_mov_b32 s22, 0x3bffffff
	v_cmp_lt_u32_e32 vcc, s22, v11
	s_mov_b64 s[22:23], 0
                                        ; implicit-def: $vgpr10
	s_and_saveexec_b64 s[24:25], vcc
	s_xor_b64 s[24:25], exec, s[24:25]
	s_cbranch_execnz .LBB296_548
; %bb.295:
	s_andn2_saveexec_b64 s[24:25], s[24:25]
	s_cbranch_execnz .LBB296_549
.LBB296_296:
	s_or_b64 exec, exec, s[24:25]
	v_mov_b32_e32 v9, 0
	s_and_saveexec_b64 s[24:25], s[22:23]
.LBB296_297:
	v_mov_b32_e32 v9, v10
.LBB296_298:
	s_or_b64 exec, exec, s[24:25]
.LBB296_299:
	s_or_b64 exec, exec, s[20:21]
	s_or_b64 s[22:23], s[18:19], exec
	s_xor_b64 s[20:21], exec, -1
.LBB296_300:
	s_or_b64 exec, exec, s[14:15]
	s_andn2_b64 s[14:15], s[18:19], exec
	s_and_b64 s[18:19], s[22:23], exec
	s_or_b64 s[18:19], s[14:15], s[18:19]
	s_andn2_b64 s[14:15], s[16:17], exec
	s_and_b64 s[16:17], s[20:21], exec
	s_or_b64 s[16:17], s[14:15], s[16:17]
.LBB296_301:
	s_or_b64 exec, exec, s[10:11]
	s_and_b64 s[14:15], s[18:19], exec
	s_and_b64 s[10:11], s[16:17], exec
                                        ; implicit-def: $vgpr10
.LBB296_302:
	s_andn2_saveexec_b64 s[8:9], s[8:9]
	s_cbranch_execz .LBB296_324
; %bb.303:
	v_cmp_lt_i16_e32 vcc, 26, v10
                                        ; implicit-def: $vgpr9
	s_and_saveexec_b64 s[16:17], vcc
	s_xor_b64 s[16:17], exec, s[16:17]
	s_cbranch_execz .LBB296_321
; %bb.304:
	v_cmp_lt_i16_e32 vcc, 27, v10
                                        ; implicit-def: $vgpr9
	s_and_saveexec_b64 s[18:19], vcc
	s_xor_b64 s[18:19], exec, s[18:19]
	s_cbranch_execz .LBB296_312
; %bb.305:
	flat_load_dword v9, v[7:8]
	s_mov_b32 s20, 0x43800000
	s_waitcnt vmcnt(0) lgkmcnt(0)
	v_cvt_f32_u32_e32 v11, v9
	v_mov_b32_e32 v9, 0x80
	v_cmp_gt_u32_e32 vcc, s20, v11
	s_and_saveexec_b64 s[20:21], vcc
	s_cbranch_execz .LBB296_311
; %bb.306:
	s_mov_b32 s22, 0x3bffffff
	v_cmp_lt_u32_e32 vcc, s22, v11
	s_mov_b64 s[22:23], 0
                                        ; implicit-def: $vgpr10
	s_and_saveexec_b64 s[24:25], vcc
	s_xor_b64 s[24:25], exec, s[24:25]
	s_cbranch_execnz .LBB296_550
; %bb.307:
	s_andn2_saveexec_b64 s[24:25], s[24:25]
	s_cbranch_execnz .LBB296_551
.LBB296_308:
	s_or_b64 exec, exec, s[24:25]
	v_mov_b32_e32 v9, 0
	s_and_saveexec_b64 s[24:25], s[22:23]
.LBB296_309:
	v_mov_b32_e32 v9, v10
.LBB296_310:
	s_or_b64 exec, exec, s[24:25]
.LBB296_311:
	s_or_b64 exec, exec, s[20:21]
.LBB296_312:
	s_andn2_saveexec_b64 s[18:19], s[18:19]
	s_cbranch_execz .LBB296_320
; %bb.313:
	flat_load_ushort v9, v[7:8]
	s_mov_b32 s20, 0x43800000
	s_waitcnt vmcnt(0) lgkmcnt(0)
	v_cvt_f32_u32_e32 v11, v9
	v_mov_b32_e32 v9, 0x80
	v_cmp_gt_u32_e32 vcc, s20, v11
	s_and_saveexec_b64 s[20:21], vcc
	s_cbranch_execz .LBB296_319
; %bb.314:
	s_mov_b32 s22, 0x3bffffff
	v_cmp_lt_u32_e32 vcc, s22, v11
	s_mov_b64 s[22:23], 0
                                        ; implicit-def: $vgpr10
	s_and_saveexec_b64 s[24:25], vcc
	s_xor_b64 s[24:25], exec, s[24:25]
	s_cbranch_execnz .LBB296_552
; %bb.315:
	s_andn2_saveexec_b64 s[24:25], s[24:25]
	s_cbranch_execnz .LBB296_553
.LBB296_316:
	s_or_b64 exec, exec, s[24:25]
	v_mov_b32_e32 v9, 0
	s_and_saveexec_b64 s[24:25], s[22:23]
.LBB296_317:
	v_mov_b32_e32 v9, v10
.LBB296_318:
	s_or_b64 exec, exec, s[24:25]
.LBB296_319:
	s_or_b64 exec, exec, s[20:21]
.LBB296_320:
	s_or_b64 exec, exec, s[18:19]
.LBB296_321:
	s_andn2_saveexec_b64 s[16:17], s[16:17]
	s_cbranch_execz .LBB296_323
; %bb.322:
	flat_load_ubyte v9, v[7:8]
.LBB296_323:
	s_or_b64 exec, exec, s[16:17]
	s_or_b64 s[14:15], s[14:15], exec
.LBB296_324:
	s_or_b64 exec, exec, s[8:9]
	s_and_b64 s[8:9], s[14:15], exec
	s_and_b64 s[10:11], s[10:11], exec
                                        ; implicit-def: $vgpr10
	s_andn2_saveexec_b64 s[12:13], s[12:13]
	s_cbranch_execz .LBB296_3
.LBB296_325:
	v_cmp_lt_i16_e32 vcc, 22, v10
	s_mov_b64 s[14:15], s[8:9]
                                        ; implicit-def: $vgpr9
	s_and_saveexec_b64 s[4:5], vcc
	s_xor_b64 s[4:5], exec, s[4:5]
	s_cbranch_execz .LBB296_357
; %bb.326:
	v_cmp_lt_i16_e32 vcc, 23, v10
                                        ; implicit-def: $vgpr9
	s_and_saveexec_b64 s[14:15], vcc
	s_xor_b64 s[14:15], exec, s[14:15]
	s_cbranch_execz .LBB296_348
; %bb.327:
	v_cmp_lt_i16_e32 vcc, 24, v10
                                        ; implicit-def: $vgpr9
	s_and_saveexec_b64 s[16:17], vcc
	s_xor_b64 s[16:17], exec, s[16:17]
	s_cbranch_execz .LBB296_339
; %bb.328:
	s_waitcnt vmcnt(0) lgkmcnt(0)
	flat_load_ubyte v9, v[7:8]
	s_movk_i32 s18, 0x7f
	s_waitcnt vmcnt(0) lgkmcnt(0)
	v_cmp_lt_i16_e32 vcc, s18, v9
	s_mov_b64 s[18:19], 0
	s_and_saveexec_b64 s[20:21], vcc
	s_xor_b64 s[20:21], exec, s[20:21]
	s_cbranch_execnz .LBB296_518
; %bb.329:
	s_or_saveexec_b64 s[20:21], s[20:21]
	v_mov_b32_e32 v10, 0x7f800001
	s_xor_b64 exec, exec, s[20:21]
	s_cbranch_execnz .LBB296_521
.LBB296_330:
	s_or_b64 exec, exec, s[20:21]
	s_and_saveexec_b64 s[20:21], s[18:19]
	s_cbranch_execz .LBB296_332
.LBB296_331:
	v_lshlrev_b32_e32 v10, 24, v9
	v_and_b32_e32 v9, 0xffff, v9
	v_and_b32_e32 v11, 3, v9
	v_ffbh_u32_e32 v13, v11
	v_min_u32_e32 v13, 32, v13
	v_subrev_u32_e32 v14, 29, v13
	v_bfe_u32 v12, v9, 2, 5
	v_lshlrev_b32_e32 v9, v14, v9
	v_sub_u32_e32 v13, 30, v13
	v_and_b32_e32 v9, 3, v9
	v_cmp_eq_u32_e32 vcc, 0, v12
	v_cndmask_b32_e32 v12, v12, v13, vcc
	v_cndmask_b32_e32 v9, v11, v9, vcc
	v_mov_b32_e32 v11, 0x37800000
	v_lshlrev_b32_e32 v9, 21, v9
	v_and_b32_e32 v10, 0x80000000, v10
	v_lshl_add_u32 v11, v12, 23, v11
	v_or3_b32 v10, v10, v11, v9
.LBB296_332:
	s_or_b64 exec, exec, s[20:21]
	v_and_b32_e32 v11, 0x7fffffff, v10
	s_mov_b32 s18, 0x43800000
	v_cmp_gt_u32_e32 vcc, s18, v11
	v_mov_b32_e32 v9, 0x80
	s_and_saveexec_b64 s[18:19], vcc
	s_cbranch_execz .LBB296_338
; %bb.333:
	s_mov_b32 s20, 0x3bffffff
	v_cmp_lt_u32_e32 vcc, s20, v11
	s_mov_b64 s[20:21], 0
                                        ; implicit-def: $vgpr11
	s_and_saveexec_b64 s[22:23], vcc
	s_xor_b64 s[22:23], exec, s[22:23]
	s_cbranch_execnz .LBB296_554
; %bb.334:
	s_andn2_saveexec_b64 s[22:23], s[22:23]
	s_cbranch_execnz .LBB296_555
.LBB296_335:
	s_or_b64 exec, exec, s[22:23]
	v_mov_b32_e32 v9, 0
	s_and_saveexec_b64 s[22:23], s[20:21]
.LBB296_336:
	v_lshrrev_b32_e32 v9, 24, v10
	s_movk_i32 s20, 0x80
	v_and_or_b32 v9, v9, s20, v11
.LBB296_337:
	s_or_b64 exec, exec, s[22:23]
.LBB296_338:
	s_or_b64 exec, exec, s[18:19]
.LBB296_339:
	s_andn2_saveexec_b64 s[16:17], s[16:17]
	s_cbranch_execz .LBB296_347
; %bb.340:
	s_waitcnt vmcnt(0) lgkmcnt(0)
	flat_load_ubyte v9, v[7:8]
	s_mov_b32 s18, 0x7f800000
	s_brev_b32 s19, 1
	s_mov_b32 s20, 0x43800000
	s_waitcnt vmcnt(0) lgkmcnt(0)
	v_lshlrev_b32_e32 v9, 24, v9
	v_and_b32_e32 v10, 0x7f000000, v9
	v_ffbh_u32_e32 v11, v10
	v_min_u32_e32 v11, 32, v11
	v_sub_u32_e64 v11, v11, 4 clamp
	v_lshlrev_b32_e32 v13, v11, v10
	v_lshlrev_b32_e32 v11, 23, v11
	v_lshrrev_b32_e32 v13, 4, v13
	v_add_u32_e32 v12, 0x1000000, v10
	v_sub_u32_e32 v11, v13, v11
	v_ashrrev_i32_e32 v12, 8, v12
	v_add_u32_e32 v11, 0x3c000000, v11
	v_and_or_b32 v11, v12, s18, v11
	v_cmp_ne_u32_e32 vcc, 0, v10
	v_cndmask_b32_e32 v12, 0, v11, vcc
	v_and_or_b32 v10, v9, s19, v12
	v_and_b32_e32 v11, 0x7fffffff, v10
	v_cmp_gt_u32_e32 vcc, s20, v11
	v_mov_b32_e32 v9, 0x80
	s_and_saveexec_b64 s[18:19], vcc
	s_cbranch_execz .LBB296_346
; %bb.341:
	s_mov_b32 s20, 0x3bffffff
	v_cmp_lt_u32_e32 vcc, s20, v11
	s_mov_b64 s[20:21], 0
                                        ; implicit-def: $vgpr11
	s_and_saveexec_b64 s[22:23], vcc
	s_xor_b64 s[22:23], exec, s[22:23]
	s_cbranch_execnz .LBB296_556
; %bb.342:
	s_andn2_saveexec_b64 s[22:23], s[22:23]
	s_cbranch_execnz .LBB296_557
.LBB296_343:
	s_or_b64 exec, exec, s[22:23]
	v_mov_b32_e32 v9, 0
	s_and_saveexec_b64 s[22:23], s[20:21]
.LBB296_344:
	v_lshrrev_b32_e32 v9, 24, v10
	s_movk_i32 s20, 0x80
	v_and_or_b32 v9, v9, s20, v11
.LBB296_345:
	s_or_b64 exec, exec, s[22:23]
.LBB296_346:
	s_or_b64 exec, exec, s[18:19]
.LBB296_347:
	s_or_b64 exec, exec, s[16:17]
.LBB296_348:
	s_andn2_saveexec_b64 s[14:15], s[14:15]
	s_cbranch_execz .LBB296_356
; %bb.349:
	s_waitcnt vmcnt(0) lgkmcnt(0)
	flat_load_ubyte v9, v[7:8]
	s_movk_i32 s16, 0x7f00
	s_brev_b32 s17, 16
	s_brev_b32 s18, 1
	s_mov_b32 s19, 0x43800000
	s_waitcnt vmcnt(0) lgkmcnt(0)
	v_lshlrev_b16_e32 v10, 8, v9
	v_lshlrev_b32_e32 v9, 25, v9
	v_lshrrev_b32_e32 v11, 4, v9
	v_and_or_b32 v12, v10, s16, 0.5
	v_or_b32_e32 v11, 0x70000000, v11
	v_add_f32_e32 v12, -0.5, v12
	v_mul_f32_e32 v11, 0x7800000, v11
	v_cmp_gt_u32_e32 vcc, s17, v9
	v_bfe_i32 v10, v10, 0, 16
	v_cndmask_b32_e32 v12, v11, v12, vcc
	v_and_or_b32 v10, v10, s18, v12
	v_and_b32_e32 v11, 0x7fffffff, v10
	v_cmp_gt_u32_e32 vcc, s19, v11
	v_mov_b32_e32 v9, 0x80
	s_and_saveexec_b64 s[16:17], vcc
	s_cbranch_execz .LBB296_355
; %bb.350:
	s_mov_b32 s18, 0x3bffffff
	v_cmp_lt_u32_e32 vcc, s18, v11
	s_mov_b64 s[18:19], 0
                                        ; implicit-def: $vgpr11
	s_and_saveexec_b64 s[20:21], vcc
	s_xor_b64 s[20:21], exec, s[20:21]
	s_cbranch_execnz .LBB296_522
; %bb.351:
	s_andn2_saveexec_b64 s[20:21], s[20:21]
	s_cbranch_execnz .LBB296_523
.LBB296_352:
	s_or_b64 exec, exec, s[20:21]
	v_mov_b32_e32 v9, 0
	s_and_saveexec_b64 s[20:21], s[18:19]
.LBB296_353:
	v_lshrrev_b32_e32 v9, 24, v10
	s_movk_i32 s18, 0x80
	v_and_or_b32 v9, v9, s18, v11
.LBB296_354:
	s_or_b64 exec, exec, s[20:21]
.LBB296_355:
	s_or_b64 exec, exec, s[16:17]
.LBB296_356:
	s_or_b64 exec, exec, s[14:15]
	s_or_b64 s[14:15], s[8:9], exec
                                        ; implicit-def: $vgpr10
.LBB296_357:
	s_or_saveexec_b64 s[4:5], s[4:5]
	s_mov_b64 s[16:17], 0
	s_mov_b64 s[18:19], s[10:11]
	s_xor_b64 exec, exec, s[4:5]
	s_cbranch_execz .LBB296_371
; %bb.358:
	v_cmp_lt_i16_e32 vcc, 14, v10
	s_mov_b64 s[18:19], s[10:11]
	s_mov_b64 s[20:21], s[14:15]
                                        ; implicit-def: $vgpr9
	s_and_saveexec_b64 s[16:17], vcc
	s_xor_b64 s[16:17], exec, s[16:17]
	s_cbranch_execz .LBB296_368
; %bb.359:
	v_cmp_eq_u16_e32 vcc, 15, v10
	s_mov_b64 s[22:23], -1
	s_mov_b64 s[20:21], s[14:15]
                                        ; implicit-def: $vgpr9
	s_and_saveexec_b64 s[18:19], vcc
	s_cbranch_execz .LBB296_367
; %bb.360:
	flat_load_ushort v10, v[7:8]
	s_mov_b32 s20, 0x43800000
	s_waitcnt vmcnt(0) lgkmcnt(0)
	v_mov_b32_e32 v9, 0x80
	v_lshlrev_b32_e32 v12, 16, v10
	v_and_b32_e32 v11, 0x7fffffff, v12
	v_cmp_gt_u32_e32 vcc, s20, v11
	s_and_saveexec_b64 s[20:21], vcc
	s_cbranch_execz .LBB296_366
; %bb.361:
	s_mov_b32 s22, 0x3bffffff
	v_cmp_lt_u32_e32 vcc, s22, v11
	s_mov_b64 s[22:23], 0
                                        ; implicit-def: $vgpr11
	s_and_saveexec_b64 s[24:25], vcc
	s_xor_b64 s[24:25], exec, s[24:25]
	s_cbranch_execnz .LBB296_558
; %bb.362:
	s_andn2_saveexec_b64 s[24:25], s[24:25]
	s_cbranch_execnz .LBB296_559
.LBB296_363:
	s_or_b64 exec, exec, s[24:25]
	v_mov_b32_e32 v9, 0
	s_and_saveexec_b64 s[24:25], s[22:23]
.LBB296_364:
	v_lshrrev_b32_e32 v9, 8, v10
	s_movk_i32 s22, 0x80
	v_and_or_b32 v9, v9, s22, v11
.LBB296_365:
	s_or_b64 exec, exec, s[24:25]
.LBB296_366:
	s_or_b64 exec, exec, s[20:21]
	s_or_b64 s[20:21], s[14:15], exec
	s_xor_b64 s[22:23], exec, -1
.LBB296_367:
	s_or_b64 exec, exec, s[18:19]
	s_andn2_b64 s[18:19], s[14:15], exec
	s_and_b64 s[20:21], s[20:21], exec
	s_or_b64 s[20:21], s[18:19], s[20:21]
	s_andn2_b64 s[18:19], s[10:11], exec
	s_and_b64 s[22:23], s[22:23], exec
	s_or_b64 s[18:19], s[18:19], s[22:23]
                                        ; implicit-def: $vgpr10
.LBB296_368:
	s_or_saveexec_b64 s[16:17], s[16:17]
	s_mov_b64 s[22:23], 0
	s_xor_b64 exec, exec, s[16:17]
; %bb.369:
	v_cmp_ne_u16_e32 vcc, 11, v10
	s_andn2_b64 s[18:19], s[18:19], exec
	s_and_b64 s[24:25], vcc, exec
	s_mov_b64 s[22:23], exec
	s_or_b64 s[18:19], s[18:19], s[24:25]
; %bb.370:
	s_or_b64 exec, exec, s[16:17]
	s_andn2_b64 s[14:15], s[14:15], exec
	s_and_b64 s[16:17], s[20:21], exec
	s_andn2_b64 s[20:21], s[10:11], exec
	s_and_b64 s[18:19], s[18:19], exec
	s_or_b64 s[14:15], s[14:15], s[16:17]
	s_and_b64 s[16:17], s[22:23], exec
	s_or_b64 s[18:19], s[20:21], s[18:19]
.LBB296_371:
	s_or_b64 exec, exec, s[4:5]
	s_andn2_b64 s[4:5], s[8:9], exec
	s_and_b64 s[8:9], s[14:15], exec
	s_andn2_b64 s[10:11], s[10:11], exec
	s_and_b64 s[14:15], s[18:19], exec
	s_or_b64 s[8:9], s[4:5], s[8:9]
	s_and_b64 s[4:5], s[16:17], exec
	s_or_b64 s[10:11], s[10:11], s[14:15]
	s_or_b64 exec, exec, s[12:13]
	s_mov_b64 s[12:13], 0
	s_and_saveexec_b64 s[14:15], s[10:11]
	s_cbranch_execz .LBB296_4
.LBB296_372:
	s_mov_b64 s[12:13], exec
	s_trap 2
	s_andn2_b64 s[4:5], s[4:5], exec
	s_or_b64 exec, exec, s[14:15]
	s_and_saveexec_b64 s[10:11], s[4:5]
	s_xor_b64 s[4:5], exec, s[10:11]
	s_cbranch_execnz .LBB296_5
	s_branch .LBB296_12
.LBB296_373:
	v_cmp_lt_i16_e32 vcc, 28, v10
	s_mov_b64 s[18:19], 0
                                        ; implicit-def: $vgpr11
	s_and_saveexec_b64 s[12:13], vcc
	s_xor_b64 s[12:13], exec, s[12:13]
	s_cbranch_execz .LBB296_407
; %bb.374:
	v_cmp_lt_i16_e32 vcc, 43, v10
	s_mov_b64 s[20:21], 0
	s_mov_b64 s[22:23], 0
                                        ; implicit-def: $vgpr11
	s_and_saveexec_b64 s[14:15], vcc
	s_xor_b64 s[14:15], exec, s[14:15]
	s_cbranch_execz .LBB296_396
; %bb.375:
	v_cmp_lt_i16_e32 vcc, 45, v10
                                        ; implicit-def: $vgpr11
	s_and_saveexec_b64 s[22:23], vcc
	s_xor_b64 s[22:23], exec, s[22:23]
	s_cbranch_execz .LBB296_385
; %bb.376:
	v_cmp_eq_u16_e32 vcc, 46, v10
	s_mov_b64 s[24:25], -1
                                        ; implicit-def: $vgpr11
	s_and_saveexec_b64 s[18:19], vcc
	s_cbranch_execz .LBB296_384
; %bb.377:
	flat_load_dword v1, v[7:8]
	s_mov_b32 s20, 0x43800000
	v_mov_b32_e32 v11, 0x80
	s_waitcnt vmcnt(0) lgkmcnt(0)
	v_lshlrev_b32_e32 v1, 16, v1
	v_and_b32_e32 v2, 0x7fffffff, v1
	v_cmp_gt_u32_e32 vcc, s20, v2
	s_and_saveexec_b64 s[20:21], vcc
	s_cbranch_execz .LBB296_383
; %bb.378:
	s_mov_b32 s24, 0x3bffffff
	v_cmp_lt_u32_e32 vcc, s24, v2
	s_mov_b64 s[24:25], 0
                                        ; implicit-def: $vgpr2
	s_and_saveexec_b64 s[26:27], vcc
	s_xor_b64 s[26:27], exec, s[26:27]
	s_cbranch_execnz .LBB296_582
; %bb.379:
	s_andn2_saveexec_b64 s[26:27], s[26:27]
	s_cbranch_execnz .LBB296_583
.LBB296_380:
	s_or_b64 exec, exec, s[26:27]
	v_mov_b32_e32 v11, 0
	s_and_saveexec_b64 s[26:27], s[24:25]
.LBB296_381:
	v_lshrrev_b32_e32 v1, 24, v1
	s_movk_i32 s24, 0x80
	v_and_or_b32 v11, v1, s24, v2
.LBB296_382:
	s_or_b64 exec, exec, s[26:27]
.LBB296_383:
	s_or_b64 exec, exec, s[20:21]
	s_mov_b64 s[20:21], exec
	s_xor_b64 s[24:25], exec, -1
.LBB296_384:
	s_or_b64 exec, exec, s[18:19]
	s_and_b64 s[20:21], s[20:21], exec
	s_and_b64 s[18:19], s[24:25], exec
.LBB296_385:
	s_andn2_saveexec_b64 s[22:23], s[22:23]
	s_cbranch_execz .LBB296_395
; %bb.386:
	v_cmp_eq_u16_e32 vcc, 44, v10
	s_mov_b64 s[26:27], -1
	s_mov_b64 s[28:29], s[20:21]
                                        ; implicit-def: $vgpr11
	s_and_saveexec_b64 s[24:25], vcc
	s_cbranch_execz .LBB296_394
; %bb.387:
	flat_load_ubyte v1, v[7:8]
	s_movk_i32 s26, 0xff
	v_mov_b32_e32 v2, 0x7f800001
	v_mov_b32_e32 v3, 0x400000
	s_mov_b32 s27, 0x43800000
	v_mov_b32_e32 v11, 0x80
	s_waitcnt vmcnt(0) lgkmcnt(0)
	v_lshlrev_b32_e32 v4, 23, v1
	v_cmp_ne_u32_e32 vcc, s26, v1
	v_cndmask_b32_e32 v2, v2, v4, vcc
	v_cmp_ne_u32_e32 vcc, 0, v1
	v_cndmask_b32_e32 v2, v3, v2, vcc
	v_cmp_gt_u32_e32 vcc, s27, v2
	s_and_saveexec_b64 s[26:27], vcc
	s_cbranch_execz .LBB296_393
; %bb.388:
	s_mov_b32 s28, 0x3bffffff
	v_cmp_lt_u32_e32 vcc, s28, v2
	s_mov_b64 s[28:29], 0
                                        ; implicit-def: $vgpr1
	s_and_saveexec_b64 s[40:41], vcc
	s_xor_b64 s[40:41], exec, s[40:41]
	s_cbranch_execnz .LBB296_584
; %bb.389:
	s_andn2_saveexec_b64 s[40:41], s[40:41]
	s_cbranch_execnz .LBB296_585
.LBB296_390:
	s_or_b64 exec, exec, s[40:41]
	v_mov_b32_e32 v11, 0
	s_and_saveexec_b64 s[40:41], s[28:29]
.LBB296_391:
	v_mov_b32_e32 v11, v1
.LBB296_392:
	s_or_b64 exec, exec, s[40:41]
.LBB296_393:
	s_or_b64 exec, exec, s[26:27]
	s_or_b64 s[28:29], s[20:21], exec
	s_xor_b64 s[26:27], exec, -1
.LBB296_394:
	s_or_b64 exec, exec, s[24:25]
	s_andn2_b64 s[20:21], s[20:21], exec
	s_and_b64 s[24:25], s[28:29], exec
	s_or_b64 s[20:21], s[20:21], s[24:25]
	s_andn2_b64 s[18:19], s[18:19], exec
	s_and_b64 s[24:25], s[26:27], exec
	s_or_b64 s[18:19], s[18:19], s[24:25]
.LBB296_395:
	s_or_b64 exec, exec, s[22:23]
	s_and_b64 s[22:23], s[20:21], exec
	s_and_b64 s[20:21], s[18:19], exec
.LBB296_396:
	s_andn2_saveexec_b64 s[14:15], s[14:15]
	s_cbranch_execz .LBB296_406
; %bb.397:
	v_cmp_eq_u16_e32 vcc, 29, v10
	s_mov_b64 s[24:25], -1
	s_mov_b64 s[26:27], s[22:23]
                                        ; implicit-def: $vgpr11
	s_and_saveexec_b64 s[18:19], vcc
	s_cbranch_execz .LBB296_405
; %bb.398:
	flat_load_dwordx2 v[1:2], v[7:8]
	s_mov_b32 s24, 0x43800000
	v_mov_b32_e32 v11, 0x80
	s_waitcnt vmcnt(0) lgkmcnt(0)
	v_ffbh_u32_e32 v3, v2
	v_min_u32_e32 v3, 32, v3
	v_lshlrev_b64 v[1:2], v3, v[1:2]
	v_min_u32_e32 v1, 1, v1
	v_or_b32_e32 v1, v2, v1
	v_cvt_f32_u32_e32 v1, v1
	v_sub_u32_e32 v2, 32, v3
	v_ldexp_f32 v2, v1, v2
	v_cmp_gt_u32_e32 vcc, s24, v2
	s_and_saveexec_b64 s[24:25], vcc
	s_cbranch_execz .LBB296_404
; %bb.399:
	s_mov_b32 s26, 0x3bffffff
	v_cmp_lt_u32_e32 vcc, s26, v2
	s_mov_b64 s[26:27], 0
                                        ; implicit-def: $vgpr1
	s_and_saveexec_b64 s[28:29], vcc
	s_xor_b64 s[28:29], exec, s[28:29]
	s_cbranch_execnz .LBB296_570
; %bb.400:
	s_andn2_saveexec_b64 s[28:29], s[28:29]
	s_cbranch_execnz .LBB296_571
.LBB296_401:
	s_or_b64 exec, exec, s[28:29]
	v_mov_b32_e32 v11, 0
	s_and_saveexec_b64 s[28:29], s[26:27]
.LBB296_402:
	v_mov_b32_e32 v11, v1
.LBB296_403:
	s_or_b64 exec, exec, s[28:29]
.LBB296_404:
	s_or_b64 exec, exec, s[24:25]
	s_or_b64 s[26:27], s[22:23], exec
	s_xor_b64 s[24:25], exec, -1
.LBB296_405:
	s_or_b64 exec, exec, s[18:19]
	s_andn2_b64 s[18:19], s[22:23], exec
	s_and_b64 s[22:23], s[26:27], exec
	s_or_b64 s[22:23], s[18:19], s[22:23]
	s_andn2_b64 s[18:19], s[20:21], exec
	s_and_b64 s[20:21], s[24:25], exec
	s_or_b64 s[20:21], s[18:19], s[20:21]
.LBB296_406:
	s_or_b64 exec, exec, s[14:15]
	s_and_b64 s[18:19], s[22:23], exec
	s_and_b64 s[14:15], s[20:21], exec
.LBB296_407:
	s_andn2_saveexec_b64 s[12:13], s[12:13]
	s_cbranch_execz .LBB296_429
; %bb.408:
	v_cmp_lt_i16_e32 vcc, 26, v10
                                        ; implicit-def: $vgpr11
	s_and_saveexec_b64 s[20:21], vcc
	s_xor_b64 s[20:21], exec, s[20:21]
	s_cbranch_execz .LBB296_426
; %bb.409:
	v_cmp_lt_i16_e32 vcc, 27, v10
                                        ; implicit-def: $vgpr11
	s_and_saveexec_b64 s[22:23], vcc
	s_xor_b64 s[22:23], exec, s[22:23]
	s_cbranch_execz .LBB296_417
; %bb.410:
	flat_load_dword v1, v[7:8]
	s_mov_b32 s24, 0x43800000
	v_mov_b32_e32 v11, 0x80
	s_waitcnt vmcnt(0) lgkmcnt(0)
	v_cvt_f32_u32_e32 v2, v1
	v_cmp_gt_u32_e32 vcc, s24, v2
	s_and_saveexec_b64 s[24:25], vcc
	s_cbranch_execz .LBB296_416
; %bb.411:
	s_mov_b32 s26, 0x3bffffff
	v_cmp_lt_u32_e32 vcc, s26, v2
	s_mov_b64 s[26:27], 0
                                        ; implicit-def: $vgpr1
	s_and_saveexec_b64 s[28:29], vcc
	s_xor_b64 s[28:29], exec, s[28:29]
	s_cbranch_execnz .LBB296_572
; %bb.412:
	s_andn2_saveexec_b64 s[28:29], s[28:29]
	s_cbranch_execnz .LBB296_573
.LBB296_413:
	s_or_b64 exec, exec, s[28:29]
	v_mov_b32_e32 v11, 0
	s_and_saveexec_b64 s[28:29], s[26:27]
.LBB296_414:
	v_mov_b32_e32 v11, v1
.LBB296_415:
	s_or_b64 exec, exec, s[28:29]
.LBB296_416:
	s_or_b64 exec, exec, s[24:25]
.LBB296_417:
	s_andn2_saveexec_b64 s[22:23], s[22:23]
	s_cbranch_execz .LBB296_425
; %bb.418:
	flat_load_ushort v1, v[7:8]
	s_mov_b32 s24, 0x43800000
	v_mov_b32_e32 v11, 0x80
	s_waitcnt vmcnt(0) lgkmcnt(0)
	v_cvt_f32_u32_e32 v2, v1
	v_cmp_gt_u32_e32 vcc, s24, v2
	s_and_saveexec_b64 s[24:25], vcc
	s_cbranch_execz .LBB296_424
; %bb.419:
	s_mov_b32 s26, 0x3bffffff
	v_cmp_lt_u32_e32 vcc, s26, v2
	s_mov_b64 s[26:27], 0
                                        ; implicit-def: $vgpr1
	s_and_saveexec_b64 s[28:29], vcc
	s_xor_b64 s[28:29], exec, s[28:29]
	s_cbranch_execnz .LBB296_574
; %bb.420:
	s_andn2_saveexec_b64 s[28:29], s[28:29]
	s_cbranch_execnz .LBB296_575
.LBB296_421:
	s_or_b64 exec, exec, s[28:29]
	v_mov_b32_e32 v11, 0
	s_and_saveexec_b64 s[28:29], s[26:27]
.LBB296_422:
	v_mov_b32_e32 v11, v1
.LBB296_423:
	s_or_b64 exec, exec, s[28:29]
.LBB296_424:
	s_or_b64 exec, exec, s[24:25]
.LBB296_425:
	s_or_b64 exec, exec, s[22:23]
.LBB296_426:
	s_andn2_saveexec_b64 s[20:21], s[20:21]
	s_cbranch_execz .LBB296_428
; %bb.427:
	flat_load_ubyte v11, v[7:8]
.LBB296_428:
	s_or_b64 exec, exec, s[20:21]
	s_or_b64 s[18:19], s[18:19], exec
.LBB296_429:
	s_or_b64 exec, exec, s[12:13]
	s_and_b64 s[12:13], s[18:19], exec
	s_and_b64 s[14:15], s[14:15], exec
	s_andn2_saveexec_b64 s[16:17], s[16:17]
	s_cbranch_execz .LBB296_130
.LBB296_430:
	v_cmp_lt_i16_e32 vcc, 22, v10
	s_mov_b64 s[18:19], s[12:13]
                                        ; implicit-def: $vgpr11
	s_and_saveexec_b64 s[10:11], vcc
	s_xor_b64 s[10:11], exec, s[10:11]
	s_cbranch_execz .LBB296_462
; %bb.431:
	v_cmp_lt_i16_e32 vcc, 23, v10
                                        ; implicit-def: $vgpr11
	s_and_saveexec_b64 s[18:19], vcc
	s_xor_b64 s[18:19], exec, s[18:19]
	s_cbranch_execz .LBB296_453
; %bb.432:
	v_cmp_lt_i16_e32 vcc, 24, v10
                                        ; implicit-def: $vgpr11
	s_and_saveexec_b64 s[20:21], vcc
	s_xor_b64 s[20:21], exec, s[20:21]
	s_cbranch_execz .LBB296_444
; %bb.433:
	flat_load_ubyte v2, v[7:8]
	s_movk_i32 s22, 0x7f
	s_waitcnt vmcnt(0) lgkmcnt(0)
	v_cmp_lt_i16_e32 vcc, s22, v2
	s_mov_b64 s[22:23], 0
	s_and_saveexec_b64 s[24:25], vcc
	s_xor_b64 s[24:25], exec, s[24:25]
	s_cbranch_execnz .LBB296_560
; %bb.434:
	s_or_saveexec_b64 s[24:25], s[24:25]
	v_mov_b32_e32 v1, 0x7f800001
	s_xor_b64 exec, exec, s[24:25]
	s_cbranch_execnz .LBB296_563
.LBB296_435:
	s_or_b64 exec, exec, s[24:25]
	s_and_saveexec_b64 s[24:25], s[22:23]
	s_cbranch_execz .LBB296_437
.LBB296_436:
	v_lshlrev_b32_e32 v1, 24, v2
	v_and_b32_e32 v2, 0xffff, v2
	v_and_b32_e32 v3, 3, v2
	v_ffbh_u32_e32 v5, v3
	v_min_u32_e32 v5, 32, v5
	v_subrev_u32_e32 v6, 29, v5
	v_bfe_u32 v4, v2, 2, 5
	v_lshlrev_b32_e32 v2, v6, v2
	v_sub_u32_e32 v5, 30, v5
	v_and_b32_e32 v2, 3, v2
	v_cmp_eq_u32_e32 vcc, 0, v4
	v_cndmask_b32_e32 v4, v4, v5, vcc
	v_cndmask_b32_e32 v2, v3, v2, vcc
	v_mov_b32_e32 v3, 0x37800000
	v_lshlrev_b32_e32 v2, 21, v2
	v_and_b32_e32 v1, 0x80000000, v1
	v_lshl_add_u32 v3, v4, 23, v3
	v_or3_b32 v1, v1, v3, v2
.LBB296_437:
	s_or_b64 exec, exec, s[24:25]
	v_and_b32_e32 v2, 0x7fffffff, v1
	s_mov_b32 s22, 0x43800000
	v_cmp_gt_u32_e32 vcc, s22, v2
	v_mov_b32_e32 v11, 0x80
	s_and_saveexec_b64 s[22:23], vcc
	s_cbranch_execz .LBB296_443
; %bb.438:
	s_mov_b32 s24, 0x3bffffff
	v_cmp_lt_u32_e32 vcc, s24, v2
	s_mov_b64 s[24:25], 0
                                        ; implicit-def: $vgpr2
	s_and_saveexec_b64 s[26:27], vcc
	s_xor_b64 s[26:27], exec, s[26:27]
	s_cbranch_execnz .LBB296_576
; %bb.439:
	s_andn2_saveexec_b64 s[26:27], s[26:27]
	s_cbranch_execnz .LBB296_577
.LBB296_440:
	s_or_b64 exec, exec, s[26:27]
	v_mov_b32_e32 v11, 0
	s_and_saveexec_b64 s[26:27], s[24:25]
.LBB296_441:
	v_lshrrev_b32_e32 v1, 24, v1
	s_movk_i32 s24, 0x80
	v_and_or_b32 v11, v1, s24, v2
.LBB296_442:
	s_or_b64 exec, exec, s[26:27]
.LBB296_443:
	s_or_b64 exec, exec, s[22:23]
.LBB296_444:
	s_andn2_saveexec_b64 s[20:21], s[20:21]
	s_cbranch_execz .LBB296_452
; %bb.445:
	flat_load_ubyte v1, v[7:8]
	s_mov_b32 s22, 0x7f800000
	s_brev_b32 s23, 1
	s_mov_b32 s24, 0x43800000
	s_waitcnt vmcnt(0) lgkmcnt(0)
	v_mov_b32_e32 v11, 0x80
	v_lshlrev_b32_e32 v1, 24, v1
	v_and_b32_e32 v2, 0x7f000000, v1
	v_ffbh_u32_e32 v3, v2
	v_min_u32_e32 v3, 32, v3
	v_sub_u32_e64 v3, v3, 4 clamp
	v_lshlrev_b32_e32 v5, v3, v2
	v_lshlrev_b32_e32 v3, 23, v3
	v_lshrrev_b32_e32 v5, 4, v5
	v_add_u32_e32 v4, 0x1000000, v2
	v_sub_u32_e32 v3, v5, v3
	v_ashrrev_i32_e32 v4, 8, v4
	v_add_u32_e32 v3, 0x3c000000, v3
	v_and_or_b32 v3, v4, s22, v3
	v_cmp_ne_u32_e32 vcc, 0, v2
	v_cndmask_b32_e32 v3, 0, v3, vcc
	v_and_or_b32 v1, v1, s23, v3
	v_and_b32_e32 v2, 0x7fffffff, v1
	v_cmp_gt_u32_e32 vcc, s24, v2
	s_and_saveexec_b64 s[22:23], vcc
	s_cbranch_execz .LBB296_451
; %bb.446:
	s_mov_b32 s24, 0x3bffffff
	v_cmp_lt_u32_e32 vcc, s24, v2
	s_mov_b64 s[24:25], 0
                                        ; implicit-def: $vgpr2
	s_and_saveexec_b64 s[26:27], vcc
	s_xor_b64 s[26:27], exec, s[26:27]
	s_cbranch_execnz .LBB296_578
; %bb.447:
	s_andn2_saveexec_b64 s[26:27], s[26:27]
	s_cbranch_execnz .LBB296_579
.LBB296_448:
	s_or_b64 exec, exec, s[26:27]
	v_mov_b32_e32 v11, 0
	s_and_saveexec_b64 s[26:27], s[24:25]
.LBB296_449:
	v_lshrrev_b32_e32 v1, 24, v1
	s_movk_i32 s24, 0x80
	v_and_or_b32 v11, v1, s24, v2
.LBB296_450:
	s_or_b64 exec, exec, s[26:27]
.LBB296_451:
	s_or_b64 exec, exec, s[22:23]
.LBB296_452:
	s_or_b64 exec, exec, s[20:21]
.LBB296_453:
	s_andn2_saveexec_b64 s[18:19], s[18:19]
	s_cbranch_execz .LBB296_461
; %bb.454:
	flat_load_ubyte v1, v[7:8]
	s_movk_i32 s20, 0x7f00
	s_brev_b32 s21, 16
	s_brev_b32 s22, 1
	s_mov_b32 s23, 0x43800000
	s_waitcnt vmcnt(0) lgkmcnt(0)
	v_mov_b32_e32 v11, 0x80
	v_lshlrev_b16_e32 v2, 8, v1
	v_lshlrev_b32_e32 v1, 25, v1
	v_lshrrev_b32_e32 v3, 4, v1
	v_and_or_b32 v4, v2, s20, 0.5
	v_or_b32_e32 v3, 0x70000000, v3
	v_add_f32_e32 v4, -0.5, v4
	v_mul_f32_e32 v3, 0x7800000, v3
	v_cmp_gt_u32_e32 vcc, s21, v1
	v_bfe_i32 v2, v2, 0, 16
	v_cndmask_b32_e32 v3, v3, v4, vcc
	v_and_or_b32 v1, v2, s22, v3
	v_and_b32_e32 v2, 0x7fffffff, v1
	v_cmp_gt_u32_e32 vcc, s23, v2
	s_and_saveexec_b64 s[20:21], vcc
	s_cbranch_execz .LBB296_460
; %bb.455:
	s_mov_b32 s22, 0x3bffffff
	v_cmp_lt_u32_e32 vcc, s22, v2
	s_mov_b64 s[22:23], 0
                                        ; implicit-def: $vgpr2
	s_and_saveexec_b64 s[24:25], vcc
	s_xor_b64 s[24:25], exec, s[24:25]
	s_cbranch_execnz .LBB296_564
; %bb.456:
	s_andn2_saveexec_b64 s[24:25], s[24:25]
	s_cbranch_execnz .LBB296_565
.LBB296_457:
	s_or_b64 exec, exec, s[24:25]
	v_mov_b32_e32 v11, 0
	s_and_saveexec_b64 s[24:25], s[22:23]
.LBB296_458:
	v_lshrrev_b32_e32 v1, 24, v1
	s_movk_i32 s22, 0x80
	v_and_or_b32 v11, v1, s22, v2
.LBB296_459:
	s_or_b64 exec, exec, s[24:25]
.LBB296_460:
	s_or_b64 exec, exec, s[20:21]
.LBB296_461:
	s_or_b64 exec, exec, s[18:19]
	s_or_b64 s[18:19], s[12:13], exec
.LBB296_462:
	s_or_saveexec_b64 s[10:11], s[10:11]
	s_mov_b64 s[20:21], 0
	s_mov_b64 s[22:23], s[14:15]
	s_xor_b64 exec, exec, s[10:11]
	s_cbranch_execz .LBB296_476
; %bb.463:
	v_cmp_lt_i16_e32 vcc, 14, v10
	s_mov_b64 s[22:23], s[14:15]
	s_mov_b64 s[24:25], s[18:19]
                                        ; implicit-def: $vgpr11
	s_and_saveexec_b64 s[20:21], vcc
	s_xor_b64 s[20:21], exec, s[20:21]
	s_cbranch_execz .LBB296_473
; %bb.464:
	v_cmp_eq_u16_e32 vcc, 15, v10
	s_mov_b64 s[26:27], -1
	s_mov_b64 s[24:25], s[18:19]
                                        ; implicit-def: $vgpr11
	s_and_saveexec_b64 s[22:23], vcc
	s_cbranch_execz .LBB296_472
; %bb.465:
	flat_load_ushort v1, v[7:8]
	s_mov_b32 s24, 0x43800000
	s_waitcnt vmcnt(0) lgkmcnt(0)
	v_mov_b32_e32 v11, 0x80
	v_lshlrev_b32_e32 v3, 16, v1
	v_and_b32_e32 v2, 0x7fffffff, v3
	v_cmp_gt_u32_e32 vcc, s24, v2
	s_and_saveexec_b64 s[24:25], vcc
	s_cbranch_execz .LBB296_471
; %bb.466:
	s_mov_b32 s26, 0x3bffffff
	v_cmp_lt_u32_e32 vcc, s26, v2
	s_mov_b64 s[26:27], 0
                                        ; implicit-def: $vgpr2
	s_and_saveexec_b64 s[28:29], vcc
	s_xor_b64 s[28:29], exec, s[28:29]
	s_cbranch_execnz .LBB296_580
; %bb.467:
	s_andn2_saveexec_b64 s[28:29], s[28:29]
	s_cbranch_execnz .LBB296_581
.LBB296_468:
	s_or_b64 exec, exec, s[28:29]
	v_mov_b32_e32 v11, 0
	s_and_saveexec_b64 s[28:29], s[26:27]
.LBB296_469:
	v_lshrrev_b32_e32 v1, 8, v1
	s_movk_i32 s26, 0x80
	v_and_or_b32 v11, v1, s26, v2
.LBB296_470:
	s_or_b64 exec, exec, s[28:29]
.LBB296_471:
	s_or_b64 exec, exec, s[24:25]
	s_or_b64 s[24:25], s[18:19], exec
	s_xor_b64 s[26:27], exec, -1
.LBB296_472:
	s_or_b64 exec, exec, s[22:23]
	s_andn2_b64 s[22:23], s[18:19], exec
	s_and_b64 s[24:25], s[24:25], exec
	s_or_b64 s[24:25], s[22:23], s[24:25]
	s_andn2_b64 s[22:23], s[14:15], exec
	s_and_b64 s[26:27], s[26:27], exec
	s_or_b64 s[22:23], s[22:23], s[26:27]
.LBB296_473:
	s_or_saveexec_b64 s[20:21], s[20:21]
	s_mov_b64 s[26:27], 0
	s_xor_b64 exec, exec, s[20:21]
; %bb.474:
	v_cmp_ne_u16_e32 vcc, 11, v10
	s_andn2_b64 s[22:23], s[22:23], exec
	s_and_b64 s[28:29], vcc, exec
	s_mov_b64 s[26:27], exec
	s_or_b64 s[22:23], s[22:23], s[28:29]
; %bb.475:
	s_or_b64 exec, exec, s[20:21]
	s_andn2_b64 s[18:19], s[18:19], exec
	s_and_b64 s[20:21], s[24:25], exec
	s_andn2_b64 s[24:25], s[14:15], exec
	s_and_b64 s[22:23], s[22:23], exec
	s_or_b64 s[18:19], s[18:19], s[20:21]
	s_and_b64 s[20:21], s[26:27], exec
	s_or_b64 s[22:23], s[24:25], s[22:23]
.LBB296_476:
	s_or_b64 exec, exec, s[10:11]
	s_andn2_b64 s[10:11], s[12:13], exec
	s_and_b64 s[12:13], s[18:19], exec
	s_andn2_b64 s[14:15], s[14:15], exec
	s_and_b64 s[18:19], s[22:23], exec
	s_or_b64 s[12:13], s[10:11], s[12:13]
	s_and_b64 s[10:11], s[20:21], exec
	s_or_b64 s[14:15], s[14:15], s[18:19]
	s_or_b64 exec, exec, s[16:17]
	s_mov_b64 s[16:17], s[4:5]
	s_and_saveexec_b64 s[18:19], s[14:15]
	s_cbranch_execz .LBB296_131
.LBB296_477:
	s_andn2_b64 s[10:11], s[10:11], exec
	s_or_b64 s[16:17], s[4:5], exec
	s_trap 2
	s_branch .LBB296_131
.LBB296_478:
	v_bfe_u32 v1, v2, 20, 1
	s_mov_b32 s16, 0x487ffff
	v_add3_u32 v1, v2, v1, s16
	s_mov_b64 s[10:11], exec
	v_lshrrev_b32_e32 v1, 20, v1
                                        ; implicit-def: $vgpr2
	s_andn2_saveexec_b64 s[14:15], s[14:15]
	s_cbranch_execz .LBB296_137
.LBB296_479:
	v_add_f32_e32 v1, 0x46000000, v2
	v_and_b32_e32 v1, 0xff, v1
	v_cmp_ne_u32_e32 vcc, 0, v1
	s_andn2_b64 s[10:11], s[10:11], exec
	s_and_b64 s[16:17], vcc, exec
	s_or_b64 s[10:11], s[10:11], s[16:17]
	s_or_b64 exec, exec, s[14:15]
	v_mov_b32_e32 v11, 0
	s_and_saveexec_b64 s[14:15], s[10:11]
	s_cbranch_execnz .LBB296_138
	s_branch .LBB296_139
.LBB296_480:
	s_movk_i32 s6, 0x80
	v_cmp_eq_u16_sdwa s[14:15], v9, s6 src0_sel:BYTE_0 src1_sel:DWORD
	s_mov_b64 s[6:7], -1
	s_and_saveexec_b64 s[12:13], s[14:15]
; %bb.481:
	s_xor_b64 s[6:7], exec, -1
; %bb.482:
	s_or_b64 exec, exec, s[12:13]
	s_and_b64 s[6:7], s[6:7], exec
	s_or_saveexec_b64 s[10:11], s[10:11]
	v_mov_b32_e32 v0, 0x7f800001
	s_xor_b64 exec, exec, s[10:11]
	s_cbranch_execz .LBB296_251
.LBB296_483:
	v_mov_b32_e32 v0, 0
	v_cmp_ne_u16_sdwa s[12:13], v9, v0 src0_sel:BYTE_0 src1_sel:DWORD
	s_andn2_b64 s[6:7], s[6:7], exec
	s_and_b64 s[12:13], s[12:13], exec
	s_or_b64 s[6:7], s[6:7], s[12:13]
	s_or_b64 exec, exec, s[10:11]
	s_and_saveexec_b64 s[10:11], s[6:7]
	s_cbranch_execnz .LBB296_252
	s_branch .LBB296_253
.LBB296_484:
	s_movk_i32 s6, 0x80
	v_cmp_eq_u16_sdwa s[14:15], v11, s6 src0_sel:BYTE_0 src1_sel:DWORD
	s_mov_b64 s[6:7], -1
	s_and_saveexec_b64 s[12:13], s[14:15]
; %bb.485:
	s_xor_b64 s[6:7], exec, -1
; %bb.486:
	s_or_b64 exec, exec, s[12:13]
	s_and_b64 s[6:7], s[6:7], exec
	s_or_saveexec_b64 s[10:11], s[10:11]
	v_mov_b32_e32 v1, 0x7f800001
	s_xor_b64 exec, exec, s[10:11]
	s_cbranch_execz .LBB296_255
.LBB296_487:
	v_mov_b32_e32 v1, 0
	v_cmp_ne_u16_sdwa s[12:13], v11, v1 src0_sel:BYTE_0 src1_sel:DWORD
	s_andn2_b64 s[6:7], s[6:7], exec
	s_and_b64 s[12:13], s[12:13], exec
	s_or_b64 s[6:7], s[6:7], s[12:13]
	s_or_b64 exec, exec, s[10:11]
	s_and_saveexec_b64 s[10:11], s[6:7]
	s_cbranch_execnz .LBB296_256
	s_branch .LBB296_257
.LBB296_488:
	s_movk_i32 s8, 0x80
	v_cmp_eq_u16_sdwa s[14:15], v9, s8 src0_sel:BYTE_0 src1_sel:DWORD
	s_mov_b64 s[8:9], -1
	s_and_saveexec_b64 s[12:13], s[14:15]
; %bb.489:
	s_xor_b64 s[8:9], exec, -1
; %bb.490:
	s_or_b64 exec, exec, s[12:13]
	s_and_b64 s[8:9], s[8:9], exec
	s_or_saveexec_b64 s[10:11], s[10:11]
	v_mov_b32_e32 v0, 0x7f800001
	s_xor_b64 exec, exec, s[10:11]
	s_cbranch_execz .LBB296_261
.LBB296_491:
	v_mov_b32_e32 v0, 0
	v_cmp_ne_u16_sdwa s[12:13], v9, v0 src0_sel:BYTE_0 src1_sel:DWORD
	s_andn2_b64 s[8:9], s[8:9], exec
	s_and_b64 s[12:13], s[12:13], exec
	s_or_b64 s[8:9], s[8:9], s[12:13]
	s_or_b64 exec, exec, s[10:11]
	s_and_saveexec_b64 s[10:11], s[8:9]
	s_cbranch_execnz .LBB296_262
	s_branch .LBB296_263
.LBB296_492:
	s_movk_i32 s8, 0x80
	v_cmp_eq_u16_sdwa s[14:15], v11, s8 src0_sel:BYTE_0 src1_sel:DWORD
	s_mov_b64 s[8:9], -1
	s_and_saveexec_b64 s[12:13], s[14:15]
; %bb.493:
	s_xor_b64 s[8:9], exec, -1
; %bb.494:
	s_or_b64 exec, exec, s[12:13]
	s_and_b64 s[8:9], s[8:9], exec
	s_or_saveexec_b64 s[10:11], s[10:11]
	v_mov_b32_e32 v1, 0x7f800001
	s_xor_b64 exec, exec, s[10:11]
	s_cbranch_execz .LBB296_265
.LBB296_495:
	v_mov_b32_e32 v1, 0
	v_cmp_ne_u16_sdwa s[12:13], v11, v1 src0_sel:BYTE_0 src1_sel:DWORD
	s_andn2_b64 s[8:9], s[8:9], exec
	s_and_b64 s[12:13], s[12:13], exec
	s_or_b64 s[8:9], s[8:9], s[12:13]
	s_or_b64 exec, exec, s[10:11]
	s_and_saveexec_b64 s[10:11], s[8:9]
	s_cbranch_execnz .LBB296_266
	s_branch .LBB296_267
.LBB296_496:
	v_bfe_u32 v7, v8, 20, 1
	s_mov_b32 s18, 0x487ffff
	v_add3_u32 v7, v8, v7, s18
	s_mov_b64 s[14:15], exec
	v_lshrrev_b32_e32 v7, 20, v7
                                        ; implicit-def: $vgpr8
	s_andn2_saveexec_b64 s[16:17], s[16:17]
	s_cbranch_execz .LBB296_8
.LBB296_497:
	v_add_f32_e32 v7, 0x46000000, v8
	v_and_b32_e32 v7, 0xff, v7
	v_cmp_ne_u32_e32 vcc, 0, v7
	s_andn2_b64 s[14:15], s[14:15], exec
	s_and_b64 s[18:19], vcc, exec
	s_or_b64 s[14:15], s[14:15], s[18:19]
	s_or_b64 exec, exec, s[16:17]
	v_mov_b32_e32 v9, 0
	s_and_saveexec_b64 s[16:17], s[14:15]
	s_cbranch_execnz .LBB296_9
	s_branch .LBB296_10
.LBB296_498:
	v_bfe_u32 v8, v7, 20, 1
	s_mov_b32 s22, 0x487ffff
	v_add3_u32 v8, v7, v8, s22
	s_mov_b64 s[18:19], exec
	v_lshrrev_b32_e32 v8, 20, v8
	s_andn2_saveexec_b64 s[20:21], s[20:21]
	s_cbranch_execz .LBB296_38
.LBB296_499:
	s_mov_b32 s22, 0x46000000
	v_add_f32_e64 v8, |v7|, s22
	v_and_b32_e32 v8, 0xff, v8
	v_cmp_ne_u32_e32 vcc, 0, v8
	s_andn2_b64 s[18:19], s[18:19], exec
	s_and_b64 s[22:23], vcc, exec
	s_or_b64 s[18:19], s[18:19], s[22:23]
	s_or_b64 exec, exec, s[20:21]
	v_mov_b32_e32 v9, 0
	s_and_saveexec_b64 s[20:21], s[18:19]
	s_cbranch_execnz .LBB296_39
	s_branch .LBB296_40
.LBB296_500:
	v_bfe_u32 v8, v7, 20, 1
	s_mov_b32 s22, 0x487ffff
	v_add3_u32 v8, v7, v8, s22
	s_mov_b64 s[18:19], exec
	v_lshrrev_b32_e32 v8, 20, v8
	s_andn2_saveexec_b64 s[20:21], s[20:21]
	s_cbranch_execz .LBB296_66
.LBB296_501:
	s_mov_b32 s22, 0x46000000
	v_add_f32_e64 v8, |v7|, s22
	v_and_b32_e32 v8, 0xff, v8
	v_cmp_ne_u32_e32 vcc, 0, v8
	s_andn2_b64 s[18:19], s[18:19], exec
	s_and_b64 s[22:23], vcc, exec
	s_or_b64 s[18:19], s[18:19], s[22:23]
	s_or_b64 exec, exec, s[20:21]
	v_mov_b32_e32 v9, 0
	s_and_saveexec_b64 s[20:21], s[18:19]
	s_cbranch_execnz .LBB296_67
	s_branch .LBB296_68
.LBB296_502:
	v_bfe_u32 v8, v7, 20, 1
	s_mov_b32 s22, 0x487ffff
	v_add3_u32 v8, v7, v8, s22
	s_mov_b64 s[18:19], exec
	v_lshrrev_b32_e32 v8, 20, v8
	s_andn2_saveexec_b64 s[20:21], s[20:21]
	s_cbranch_execz .LBB296_96
.LBB296_503:
	s_mov_b32 s22, 0x46000000
	v_add_f32_e64 v8, |v7|, s22
	v_and_b32_e32 v8, 0xff, v8
	v_cmp_ne_u32_e32 vcc, 0, v8
	s_andn2_b64 s[18:19], s[18:19], exec
	s_and_b64 s[22:23], vcc, exec
	s_or_b64 s[18:19], s[18:19], s[22:23]
	s_or_b64 exec, exec, s[20:21]
	v_mov_b32_e32 v9, 0
	s_and_saveexec_b64 s[20:21], s[18:19]
	s_cbranch_execnz .LBB296_97
	s_branch .LBB296_98
.LBB296_504:
	v_bfe_u32 v8, v7, 20, 1
	s_mov_b32 s22, 0x487ffff
	v_add3_u32 v8, v7, v8, s22
	s_mov_b64 s[18:19], exec
	v_lshrrev_b32_e32 v8, 20, v8
	s_andn2_saveexec_b64 s[20:21], s[20:21]
	s_cbranch_execz .LBB296_106
.LBB296_505:
	s_mov_b32 s22, 0x46000000
	v_add_f32_e64 v8, |v7|, s22
	v_and_b32_e32 v8, 0xff, v8
	v_cmp_ne_u32_e32 vcc, 0, v8
	s_andn2_b64 s[18:19], s[18:19], exec
	s_and_b64 s[22:23], vcc, exec
	s_or_b64 s[18:19], s[18:19], s[22:23]
	s_or_b64 exec, exec, s[20:21]
	v_mov_b32_e32 v9, 0
	s_and_saveexec_b64 s[20:21], s[18:19]
	s_cbranch_execnz .LBB296_107
	s_branch .LBB296_108
.LBB296_506:
	v_bfe_u32 v7, v8, 20, 1
	s_mov_b32 s22, 0x487ffff
	v_add3_u32 v7, v8, v7, s22
	s_mov_b64 s[18:19], exec
	v_lshrrev_b32_e32 v7, 20, v7
                                        ; implicit-def: $vgpr8
	s_andn2_saveexec_b64 s[20:21], s[20:21]
	s_cbranch_execz .LBB296_114
.LBB296_507:
	v_add_f32_e32 v7, 0x46000000, v8
	v_and_b32_e32 v7, 0xff, v7
	v_cmp_ne_u32_e32 vcc, 0, v7
	s_andn2_b64 s[18:19], s[18:19], exec
	s_and_b64 s[22:23], vcc, exec
	s_or_b64 s[18:19], s[18:19], s[22:23]
	s_or_b64 exec, exec, s[20:21]
	v_mov_b32_e32 v9, 0
	s_and_saveexec_b64 s[20:21], s[18:19]
	s_cbranch_execnz .LBB296_115
	s_branch .LBB296_116
.LBB296_508:
	v_bfe_u32 v2, v1, 20, 1
	s_mov_b32 s20, 0x487ffff
	v_add3_u32 v2, v1, v2, s20
	s_mov_b64 s[16:17], exec
	v_lshrrev_b32_e32 v2, 20, v2
	s_andn2_saveexec_b64 s[18:19], s[18:19]
	s_cbranch_execz .LBB296_165
.LBB296_509:
	s_mov_b32 s20, 0x46000000
	v_add_f32_e64 v2, |v1|, s20
	v_and_b32_e32 v2, 0xff, v2
	v_cmp_ne_u32_e32 vcc, 0, v2
	s_andn2_b64 s[16:17], s[16:17], exec
	s_and_b64 s[20:21], vcc, exec
	s_or_b64 s[16:17], s[16:17], s[20:21]
	s_or_b64 exec, exec, s[18:19]
	v_mov_b32_e32 v11, 0
	s_and_saveexec_b64 s[18:19], s[16:17]
	s_cbranch_execnz .LBB296_166
	s_branch .LBB296_167
.LBB296_510:
	v_bfe_u32 v2, v1, 20, 1
	s_mov_b32 s20, 0x487ffff
	v_add3_u32 v2, v1, v2, s20
	s_mov_b64 s[16:17], exec
	v_lshrrev_b32_e32 v2, 20, v2
	s_andn2_saveexec_b64 s[18:19], s[18:19]
	s_cbranch_execz .LBB296_193
.LBB296_511:
	s_mov_b32 s20, 0x46000000
	v_add_f32_e64 v2, |v1|, s20
	v_and_b32_e32 v2, 0xff, v2
	v_cmp_ne_u32_e32 vcc, 0, v2
	s_andn2_b64 s[16:17], s[16:17], exec
	s_and_b64 s[20:21], vcc, exec
	s_or_b64 s[16:17], s[16:17], s[20:21]
	s_or_b64 exec, exec, s[18:19]
	v_mov_b32_e32 v11, 0
	s_and_saveexec_b64 s[18:19], s[16:17]
	s_cbranch_execnz .LBB296_194
	s_branch .LBB296_195
.LBB296_512:
	v_bfe_u32 v2, v1, 20, 1
	s_mov_b32 s20, 0x487ffff
	v_add3_u32 v2, v1, v2, s20
	s_mov_b64 s[16:17], exec
	v_lshrrev_b32_e32 v2, 20, v2
	s_andn2_saveexec_b64 s[18:19], s[18:19]
	s_cbranch_execz .LBB296_223
.LBB296_513:
	s_mov_b32 s20, 0x46000000
	v_add_f32_e64 v2, |v1|, s20
	v_and_b32_e32 v2, 0xff, v2
	v_cmp_ne_u32_e32 vcc, 0, v2
	s_andn2_b64 s[16:17], s[16:17], exec
	s_and_b64 s[20:21], vcc, exec
	s_or_b64 s[16:17], s[16:17], s[20:21]
	s_or_b64 exec, exec, s[18:19]
	v_mov_b32_e32 v11, 0
	s_and_saveexec_b64 s[18:19], s[16:17]
	s_cbranch_execnz .LBB296_224
	s_branch .LBB296_225
.LBB296_514:
	v_bfe_u32 v2, v1, 20, 1
	s_mov_b32 s20, 0x487ffff
	v_add3_u32 v2, v1, v2, s20
	s_mov_b64 s[16:17], exec
	v_lshrrev_b32_e32 v2, 20, v2
	s_andn2_saveexec_b64 s[18:19], s[18:19]
	s_cbranch_execz .LBB296_233
.LBB296_515:
	s_mov_b32 s20, 0x46000000
	v_add_f32_e64 v2, |v1|, s20
	v_and_b32_e32 v2, 0xff, v2
	v_cmp_ne_u32_e32 vcc, 0, v2
	s_andn2_b64 s[16:17], s[16:17], exec
	s_and_b64 s[20:21], vcc, exec
	s_or_b64 s[16:17], s[16:17], s[20:21]
	s_or_b64 exec, exec, s[18:19]
	v_mov_b32_e32 v11, 0
	s_and_saveexec_b64 s[18:19], s[16:17]
	s_cbranch_execnz .LBB296_234
	s_branch .LBB296_235
.LBB296_516:
	v_bfe_u32 v1, v2, 20, 1
	s_mov_b32 s20, 0x487ffff
	v_add3_u32 v1, v2, v1, s20
	s_mov_b64 s[16:17], exec
	v_lshrrev_b32_e32 v1, 20, v1
                                        ; implicit-def: $vgpr2
	s_andn2_saveexec_b64 s[18:19], s[18:19]
	s_cbranch_execz .LBB296_241
.LBB296_517:
	v_add_f32_e32 v1, 0x46000000, v2
	v_and_b32_e32 v1, 0xff, v1
	v_cmp_ne_u32_e32 vcc, 0, v1
	s_andn2_b64 s[16:17], s[16:17], exec
	s_and_b64 s[20:21], vcc, exec
	s_or_b64 s[16:17], s[16:17], s[20:21]
	s_or_b64 exec, exec, s[18:19]
	v_mov_b32_e32 v11, 0
	s_and_saveexec_b64 s[18:19], s[16:17]
	s_cbranch_execnz .LBB296_242
	s_branch .LBB296_243
.LBB296_518:
	s_movk_i32 s18, 0x80
	v_cmp_eq_u16_e32 vcc, s18, v9
	s_mov_b64 s[18:19], -1
	s_and_saveexec_b64 s[22:23], vcc
; %bb.519:
	s_xor_b64 s[18:19], exec, -1
; %bb.520:
	s_or_b64 exec, exec, s[22:23]
	s_and_b64 s[18:19], s[18:19], exec
	s_or_saveexec_b64 s[20:21], s[20:21]
	v_mov_b32_e32 v10, 0x7f800001
	s_xor_b64 exec, exec, s[20:21]
	s_cbranch_execz .LBB296_330
.LBB296_521:
	v_cmp_ne_u16_e32 vcc, 0, v9
	s_andn2_b64 s[18:19], s[18:19], exec
	s_and_b64 s[22:23], vcc, exec
	v_mov_b32_e32 v10, 0
	s_or_b64 s[18:19], s[18:19], s[22:23]
	s_or_b64 exec, exec, s[20:21]
	s_and_saveexec_b64 s[20:21], s[18:19]
	s_cbranch_execnz .LBB296_331
	s_branch .LBB296_332
.LBB296_522:
	v_bfe_u32 v9, v12, 20, 1
	s_mov_b32 s22, 0x487ffff
	v_add3_u32 v9, v10, v9, s22
	s_mov_b64 s[18:19], exec
	v_lshrrev_b32_e32 v11, 20, v9
	s_andn2_saveexec_b64 s[20:21], s[20:21]
	s_cbranch_execz .LBB296_352
.LBB296_523:
	s_mov_b32 s22, 0x46000000
	v_add_f32_e64 v9, |v10|, s22
	v_and_b32_e32 v11, 0xff, v9
	v_cmp_ne_u32_e32 vcc, 0, v11
	s_andn2_b64 s[18:19], s[18:19], exec
	s_and_b64 s[22:23], vcc, exec
	s_or_b64 s[18:19], s[18:19], s[22:23]
	s_or_b64 exec, exec, s[20:21]
	v_mov_b32_e32 v9, 0
	s_and_saveexec_b64 s[20:21], s[18:19]
	s_cbranch_execnz .LBB296_353
	s_branch .LBB296_354
.LBB296_524:
	v_bfe_u32 v8, v7, 20, 1
	s_mov_b32 s24, 0x487ffff
	v_add3_u32 v8, v7, v8, s24
	s_mov_b64 s[20:21], exec
	v_lshrrev_b32_e32 v8, 20, v8
	s_andn2_saveexec_b64 s[22:23], s[22:23]
	s_cbranch_execz .LBB296_21
.LBB296_525:
	s_mov_b32 s24, 0x46000000
	v_add_f32_e64 v8, |v7|, s24
	v_and_b32_e32 v8, 0xff, v8
	v_cmp_ne_u32_e32 vcc, 0, v8
	s_andn2_b64 s[20:21], s[20:21], exec
	s_and_b64 s[24:25], vcc, exec
	s_or_b64 s[20:21], s[20:21], s[24:25]
	s_or_b64 exec, exec, s[22:23]
	v_mov_b32_e32 v9, 0
	s_and_saveexec_b64 s[22:23], s[20:21]
	s_cbranch_execnz .LBB296_22
	s_branch .LBB296_23
.LBB296_526:
	v_bfe_u32 v8, v7, 20, 1
	s_mov_b32 s24, 0x487ffff
	v_add3_u32 v8, v7, v8, s24
	s_mov_b64 s[20:21], exec
	v_lshrrev_b32_e32 v8, 20, v8
	s_andn2_saveexec_b64 s[22:23], s[22:23]
	s_cbranch_execz .LBB296_29
.LBB296_527:
	s_mov_b32 s24, 0x46000000
	v_add_f32_e64 v8, |v7|, s24
	v_and_b32_e32 v8, 0xff, v8
	v_cmp_ne_u32_e32 vcc, 0, v8
	s_andn2_b64 s[20:21], s[20:21], exec
	s_and_b64 s[24:25], vcc, exec
	s_or_b64 s[20:21], s[20:21], s[24:25]
	s_or_b64 exec, exec, s[22:23]
	v_mov_b32_e32 v9, 0
	s_and_saveexec_b64 s[22:23], s[20:21]
	s_cbranch_execnz .LBB296_30
	s_branch .LBB296_31
.LBB296_528:
	v_bfe_u32 v8, v7, 20, 1
	s_mov_b32 s24, 0x487ffff
	v_add3_u32 v8, v7, v8, s24
	s_mov_b64 s[20:21], exec
	v_lshrrev_b32_e32 v8, 20, v8
	s_andn2_saveexec_b64 s[22:23], s[22:23]
	s_cbranch_execz .LBB296_49
.LBB296_529:
	s_mov_b32 s24, 0x46000000
	v_add_f32_e64 v8, |v7|, s24
	v_and_b32_e32 v8, 0xff, v8
	v_cmp_ne_u32_e32 vcc, 0, v8
	s_andn2_b64 s[20:21], s[20:21], exec
	s_and_b64 s[24:25], vcc, exec
	s_or_b64 s[20:21], s[20:21], s[24:25]
	s_or_b64 exec, exec, s[22:23]
	v_mov_b32_e32 v9, 0
	s_and_saveexec_b64 s[22:23], s[20:21]
	s_cbranch_execnz .LBB296_50
	s_branch .LBB296_51
.LBB296_530:
	v_bfe_u32 v8, v7, 20, 1
	s_mov_b32 s24, 0x487ffff
	v_add3_u32 v8, v7, v8, s24
	s_mov_b64 s[20:21], exec
	v_lshrrev_b32_e32 v8, 20, v8
	s_andn2_saveexec_b64 s[22:23], s[22:23]
	s_cbranch_execz .LBB296_57
.LBB296_531:
	s_mov_b32 s24, 0x46000000
	v_add_f32_e64 v8, |v7|, s24
	v_and_b32_e32 v8, 0xff, v8
	v_cmp_ne_u32_e32 vcc, 0, v8
	s_andn2_b64 s[20:21], s[20:21], exec
	s_and_b64 s[24:25], vcc, exec
	s_or_b64 s[20:21], s[20:21], s[24:25]
	s_or_b64 exec, exec, s[22:23]
	v_mov_b32_e32 v9, 0
	s_and_saveexec_b64 s[22:23], s[20:21]
	s_cbranch_execnz .LBB296_58
	s_branch .LBB296_59
.LBB296_532:
	v_bfe_u32 v8, v7, 20, 1
	s_mov_b32 s24, 0x487ffff
	v_add3_u32 v8, v7, v8, s24
	s_mov_b64 s[20:21], exec
	v_lshrrev_b32_e32 v8, 20, v8
	s_andn2_saveexec_b64 s[22:23], s[22:23]
	s_cbranch_execz .LBB296_79
.LBB296_533:
	s_mov_b32 s24, 0x46000000
	v_add_f32_e64 v8, |v7|, s24
	v_and_b32_e32 v8, 0xff, v8
	v_cmp_ne_u32_e32 vcc, 0, v8
	s_andn2_b64 s[20:21], s[20:21], exec
	s_and_b64 s[24:25], vcc, exec
	s_or_b64 s[20:21], s[20:21], s[24:25]
	s_or_b64 exec, exec, s[22:23]
	v_mov_b32_e32 v9, 0
	s_and_saveexec_b64 s[22:23], s[20:21]
	s_cbranch_execnz .LBB296_80
	s_branch .LBB296_81
.LBB296_534:
	v_bfe_u32 v8, v7, 20, 1
	s_mov_b32 s24, 0x487ffff
	v_add3_u32 v8, v7, v8, s24
	s_mov_b64 s[20:21], exec
	v_lshrrev_b32_e32 v8, 20, v8
	s_andn2_saveexec_b64 s[22:23], s[22:23]
	s_cbranch_execz .LBB296_87
.LBB296_535:
	s_mov_b32 s24, 0x46000000
	v_add_f32_e64 v8, |v7|, s24
	v_and_b32_e32 v8, 0xff, v8
	v_cmp_ne_u32_e32 vcc, 0, v8
	s_andn2_b64 s[20:21], s[20:21], exec
	s_and_b64 s[24:25], vcc, exec
	s_or_b64 s[20:21], s[20:21], s[24:25]
	s_or_b64 exec, exec, s[22:23]
	v_mov_b32_e32 v9, 0
	s_and_saveexec_b64 s[22:23], s[20:21]
	s_cbranch_execnz .LBB296_88
	s_branch .LBB296_89
.LBB296_536:
	v_bfe_u32 v2, v1, 20, 1
	s_mov_b32 s22, 0x487ffff
	v_add3_u32 v2, v1, v2, s22
	s_mov_b64 s[18:19], exec
	v_lshrrev_b32_e32 v2, 20, v2
	s_andn2_saveexec_b64 s[20:21], s[20:21]
	s_cbranch_execz .LBB296_148
.LBB296_537:
	s_mov_b32 s22, 0x46000000
	v_add_f32_e64 v2, |v1|, s22
	v_and_b32_e32 v2, 0xff, v2
	v_cmp_ne_u32_e32 vcc, 0, v2
	s_andn2_b64 s[18:19], s[18:19], exec
	s_and_b64 s[22:23], vcc, exec
	s_or_b64 s[18:19], s[18:19], s[22:23]
	s_or_b64 exec, exec, s[20:21]
	v_mov_b32_e32 v11, 0
	s_and_saveexec_b64 s[20:21], s[18:19]
	s_cbranch_execnz .LBB296_149
	s_branch .LBB296_150
.LBB296_538:
	v_bfe_u32 v2, v1, 20, 1
	s_mov_b32 s22, 0x487ffff
	v_add3_u32 v2, v1, v2, s22
	s_mov_b64 s[18:19], exec
	v_lshrrev_b32_e32 v2, 20, v2
	s_andn2_saveexec_b64 s[20:21], s[20:21]
	s_cbranch_execz .LBB296_156
.LBB296_539:
	s_mov_b32 s22, 0x46000000
	v_add_f32_e64 v2, |v1|, s22
	v_and_b32_e32 v2, 0xff, v2
	v_cmp_ne_u32_e32 vcc, 0, v2
	s_andn2_b64 s[18:19], s[18:19], exec
	s_and_b64 s[22:23], vcc, exec
	s_or_b64 s[18:19], s[18:19], s[22:23]
	s_or_b64 exec, exec, s[20:21]
	v_mov_b32_e32 v11, 0
	s_and_saveexec_b64 s[20:21], s[18:19]
	s_cbranch_execnz .LBB296_157
	s_branch .LBB296_158
.LBB296_540:
	v_bfe_u32 v2, v1, 20, 1
	s_mov_b32 s22, 0x487ffff
	v_add3_u32 v2, v1, v2, s22
	s_mov_b64 s[18:19], exec
	v_lshrrev_b32_e32 v2, 20, v2
	s_andn2_saveexec_b64 s[20:21], s[20:21]
	s_cbranch_execz .LBB296_176
.LBB296_541:
	s_mov_b32 s22, 0x46000000
	v_add_f32_e64 v2, |v1|, s22
	v_and_b32_e32 v2, 0xff, v2
	v_cmp_ne_u32_e32 vcc, 0, v2
	s_andn2_b64 s[18:19], s[18:19], exec
	s_and_b64 s[22:23], vcc, exec
	s_or_b64 s[18:19], s[18:19], s[22:23]
	s_or_b64 exec, exec, s[20:21]
	v_mov_b32_e32 v11, 0
	s_and_saveexec_b64 s[20:21], s[18:19]
	s_cbranch_execnz .LBB296_177
	s_branch .LBB296_178
.LBB296_542:
	v_bfe_u32 v2, v1, 20, 1
	s_mov_b32 s22, 0x487ffff
	v_add3_u32 v2, v1, v2, s22
	s_mov_b64 s[18:19], exec
	v_lshrrev_b32_e32 v2, 20, v2
	s_andn2_saveexec_b64 s[20:21], s[20:21]
	s_cbranch_execz .LBB296_184
.LBB296_543:
	s_mov_b32 s22, 0x46000000
	v_add_f32_e64 v2, |v1|, s22
	v_and_b32_e32 v2, 0xff, v2
	v_cmp_ne_u32_e32 vcc, 0, v2
	s_andn2_b64 s[18:19], s[18:19], exec
	s_and_b64 s[22:23], vcc, exec
	s_or_b64 s[18:19], s[18:19], s[22:23]
	s_or_b64 exec, exec, s[20:21]
	v_mov_b32_e32 v11, 0
	s_and_saveexec_b64 s[20:21], s[18:19]
	s_cbranch_execnz .LBB296_185
	s_branch .LBB296_186
.LBB296_544:
	v_bfe_u32 v2, v1, 20, 1
	s_mov_b32 s22, 0x487ffff
	v_add3_u32 v2, v1, v2, s22
	s_mov_b64 s[18:19], exec
	v_lshrrev_b32_e32 v2, 20, v2
	s_andn2_saveexec_b64 s[20:21], s[20:21]
	s_cbranch_execz .LBB296_206
.LBB296_545:
	s_mov_b32 s22, 0x46000000
	v_add_f32_e64 v2, |v1|, s22
	v_and_b32_e32 v2, 0xff, v2
	v_cmp_ne_u32_e32 vcc, 0, v2
	s_andn2_b64 s[18:19], s[18:19], exec
	s_and_b64 s[22:23], vcc, exec
	s_or_b64 s[18:19], s[18:19], s[22:23]
	s_or_b64 exec, exec, s[20:21]
	v_mov_b32_e32 v11, 0
	s_and_saveexec_b64 s[20:21], s[18:19]
	s_cbranch_execnz .LBB296_207
	s_branch .LBB296_208
.LBB296_546:
	v_bfe_u32 v2, v1, 20, 1
	s_mov_b32 s22, 0x487ffff
	v_add3_u32 v2, v1, v2, s22
	s_mov_b64 s[18:19], exec
	v_lshrrev_b32_e32 v2, 20, v2
	s_andn2_saveexec_b64 s[20:21], s[20:21]
	s_cbranch_execz .LBB296_214
.LBB296_547:
	s_mov_b32 s22, 0x46000000
	v_add_f32_e64 v2, |v1|, s22
	v_and_b32_e32 v2, 0xff, v2
	v_cmp_ne_u32_e32 vcc, 0, v2
	s_andn2_b64 s[18:19], s[18:19], exec
	s_and_b64 s[22:23], vcc, exec
	s_or_b64 s[18:19], s[18:19], s[22:23]
	s_or_b64 exec, exec, s[20:21]
	v_mov_b32_e32 v11, 0
	s_and_saveexec_b64 s[20:21], s[18:19]
	s_cbranch_execnz .LBB296_215
	s_branch .LBB296_216
.LBB296_548:
	v_bfe_u32 v9, v11, 20, 1
	s_mov_b32 s26, 0x487ffff
	v_add3_u32 v9, v11, v9, s26
	s_mov_b64 s[22:23], exec
	v_lshrrev_b32_e32 v10, 20, v9
                                        ; implicit-def: $vgpr11
	s_andn2_saveexec_b64 s[24:25], s[24:25]
	s_cbranch_execz .LBB296_296
.LBB296_549:
	v_add_f32_e32 v9, 0x46000000, v11
	v_and_b32_e32 v10, 0xff, v9
	v_cmp_ne_u32_e32 vcc, 0, v10
	s_andn2_b64 s[22:23], s[22:23], exec
	s_and_b64 s[26:27], vcc, exec
	s_or_b64 s[22:23], s[22:23], s[26:27]
	s_or_b64 exec, exec, s[24:25]
	v_mov_b32_e32 v9, 0
	s_and_saveexec_b64 s[24:25], s[22:23]
	s_cbranch_execnz .LBB296_297
	s_branch .LBB296_298
.LBB296_550:
	v_bfe_u32 v9, v11, 20, 1
	s_mov_b32 s26, 0x487ffff
	v_add3_u32 v9, v11, v9, s26
	s_mov_b64 s[22:23], exec
	v_lshrrev_b32_e32 v10, 20, v9
                                        ; implicit-def: $vgpr11
	s_andn2_saveexec_b64 s[24:25], s[24:25]
	s_cbranch_execz .LBB296_308
.LBB296_551:
	v_add_f32_e32 v9, 0x46000000, v11
	v_and_b32_e32 v10, 0xff, v9
	v_cmp_ne_u32_e32 vcc, 0, v10
	s_andn2_b64 s[22:23], s[22:23], exec
	s_and_b64 s[26:27], vcc, exec
	s_or_b64 s[22:23], s[22:23], s[26:27]
	s_or_b64 exec, exec, s[24:25]
	v_mov_b32_e32 v9, 0
	s_and_saveexec_b64 s[24:25], s[22:23]
	s_cbranch_execnz .LBB296_309
	s_branch .LBB296_310
.LBB296_552:
	v_bfe_u32 v9, v11, 20, 1
	s_mov_b32 s26, 0x487ffff
	v_add3_u32 v9, v11, v9, s26
	s_mov_b64 s[22:23], exec
	v_lshrrev_b32_e32 v10, 20, v9
                                        ; implicit-def: $vgpr11
	s_andn2_saveexec_b64 s[24:25], s[24:25]
	s_cbranch_execz .LBB296_316
.LBB296_553:
	v_add_f32_e32 v9, 0x46000000, v11
	v_and_b32_e32 v10, 0xff, v9
	v_cmp_ne_u32_e32 vcc, 0, v10
	s_andn2_b64 s[22:23], s[22:23], exec
	s_and_b64 s[26:27], vcc, exec
	s_or_b64 s[22:23], s[22:23], s[26:27]
	s_or_b64 exec, exec, s[24:25]
	v_mov_b32_e32 v9, 0
	s_and_saveexec_b64 s[24:25], s[22:23]
	s_cbranch_execnz .LBB296_317
	s_branch .LBB296_318
.LBB296_554:
	v_bfe_u32 v9, v10, 20, 1
	s_mov_b32 s24, 0x487ffff
	v_add3_u32 v9, v10, v9, s24
	s_mov_b64 s[20:21], exec
	v_lshrrev_b32_e32 v11, 20, v9
	s_andn2_saveexec_b64 s[22:23], s[22:23]
	s_cbranch_execz .LBB296_335
.LBB296_555:
	s_mov_b32 s24, 0x46000000
	v_add_f32_e64 v9, |v10|, s24
	v_and_b32_e32 v11, 0xff, v9
	v_cmp_ne_u32_e32 vcc, 0, v11
	s_andn2_b64 s[20:21], s[20:21], exec
	s_and_b64 s[24:25], vcc, exec
	s_or_b64 s[20:21], s[20:21], s[24:25]
	s_or_b64 exec, exec, s[22:23]
	v_mov_b32_e32 v9, 0
	s_and_saveexec_b64 s[22:23], s[20:21]
	s_cbranch_execnz .LBB296_336
	s_branch .LBB296_337
.LBB296_556:
	v_bfe_u32 v9, v12, 20, 1
	s_mov_b32 s24, 0x487ffff
	v_add3_u32 v9, v10, v9, s24
	s_mov_b64 s[20:21], exec
	v_lshrrev_b32_e32 v11, 20, v9
	s_andn2_saveexec_b64 s[22:23], s[22:23]
	s_cbranch_execz .LBB296_343
.LBB296_557:
	s_mov_b32 s24, 0x46000000
	v_add_f32_e64 v9, |v10|, s24
	v_and_b32_e32 v11, 0xff, v9
	v_cmp_ne_u32_e32 vcc, 0, v11
	s_andn2_b64 s[20:21], s[20:21], exec
	s_and_b64 s[24:25], vcc, exec
	s_or_b64 s[20:21], s[20:21], s[24:25]
	s_or_b64 exec, exec, s[22:23]
	v_mov_b32_e32 v9, 0
	s_and_saveexec_b64 s[22:23], s[20:21]
	s_cbranch_execnz .LBB296_344
	s_branch .LBB296_345
.LBB296_558:
	v_bfe_u32 v9, v10, 4, 1
	s_mov_b32 s26, 0x487ffff
	v_add3_u32 v9, v12, v9, s26
	s_mov_b64 s[22:23], exec
	v_lshrrev_b32_e32 v11, 20, v9
                                        ; implicit-def: $vgpr12
	s_andn2_saveexec_b64 s[24:25], s[24:25]
	s_cbranch_execz .LBB296_363
.LBB296_559:
	s_mov_b32 s26, 0x46000000
	v_add_f32_e64 v9, |v12|, s26
	v_and_b32_e32 v11, 0xff, v9
	v_cmp_ne_u32_e32 vcc, 0, v11
	s_andn2_b64 s[22:23], s[22:23], exec
	s_and_b64 s[26:27], vcc, exec
	s_or_b64 s[22:23], s[22:23], s[26:27]
	s_or_b64 exec, exec, s[24:25]
	v_mov_b32_e32 v9, 0
	s_and_saveexec_b64 s[24:25], s[22:23]
	s_cbranch_execnz .LBB296_364
	s_branch .LBB296_365
.LBB296_560:
	s_movk_i32 s22, 0x80
	v_cmp_eq_u16_e32 vcc, s22, v2
	s_mov_b64 s[22:23], -1
	s_and_saveexec_b64 s[26:27], vcc
; %bb.561:
	s_xor_b64 s[22:23], exec, -1
; %bb.562:
	s_or_b64 exec, exec, s[26:27]
	s_and_b64 s[22:23], s[22:23], exec
	s_or_saveexec_b64 s[24:25], s[24:25]
	v_mov_b32_e32 v1, 0x7f800001
	s_xor_b64 exec, exec, s[24:25]
	s_cbranch_execz .LBB296_435
.LBB296_563:
	v_cmp_ne_u16_e32 vcc, 0, v2
	s_andn2_b64 s[22:23], s[22:23], exec
	s_and_b64 s[26:27], vcc, exec
	v_mov_b32_e32 v1, 0
	s_or_b64 s[22:23], s[22:23], s[26:27]
	s_or_b64 exec, exec, s[24:25]
	s_and_saveexec_b64 s[24:25], s[22:23]
	s_cbranch_execnz .LBB296_436
	s_branch .LBB296_437
.LBB296_564:
	v_bfe_u32 v2, v3, 20, 1
	s_mov_b32 s26, 0x487ffff
	v_add3_u32 v2, v1, v2, s26
	s_mov_b64 s[22:23], exec
	v_lshrrev_b32_e32 v2, 20, v2
	s_andn2_saveexec_b64 s[24:25], s[24:25]
	s_cbranch_execz .LBB296_457
.LBB296_565:
	s_mov_b32 s26, 0x46000000
	v_add_f32_e64 v2, |v1|, s26
	v_and_b32_e32 v2, 0xff, v2
	v_cmp_ne_u32_e32 vcc, 0, v2
	s_andn2_b64 s[22:23], s[22:23], exec
	s_and_b64 s[26:27], vcc, exec
	s_or_b64 s[22:23], s[22:23], s[26:27]
	s_or_b64 exec, exec, s[24:25]
	v_mov_b32_e32 v11, 0
	s_and_saveexec_b64 s[24:25], s[22:23]
	s_cbranch_execnz .LBB296_458
	s_branch .LBB296_459
.LBB296_566:
	v_bfe_u32 v9, v10, 20, 1
	s_mov_b32 s24, 0x487ffff
	v_add3_u32 v9, v10, v9, s24
	s_mov_b64 s[20:21], exec
	v_lshrrev_b32_e32 v11, 20, v9
	s_andn2_saveexec_b64 s[22:23], s[22:23]
	s_cbranch_execz .LBB296_275
.LBB296_567:
	s_mov_b32 s24, 0x46000000
	v_add_f32_e64 v9, |v10|, s24
	v_and_b32_e32 v11, 0xff, v9
	v_cmp_ne_u32_e32 vcc, 0, v11
	s_andn2_b64 s[20:21], s[20:21], exec
	s_and_b64 s[24:25], vcc, exec
	s_or_b64 s[20:21], s[20:21], s[24:25]
	s_or_b64 exec, exec, s[22:23]
	v_mov_b32_e32 v9, 0
	s_and_saveexec_b64 s[22:23], s[20:21]
	s_cbranch_execnz .LBB296_276
	s_branch .LBB296_277
.LBB296_568:
	v_bfe_u32 v9, v11, 20, 1
	s_mov_b32 s28, 0x487ffff
	v_add3_u32 v9, v11, v9, s28
	s_mov_b64 s[24:25], exec
	v_lshrrev_b32_e32 v10, 20, v9
                                        ; implicit-def: $vgpr11
	s_andn2_saveexec_b64 s[26:27], s[26:27]
	s_cbranch_execz .LBB296_285
.LBB296_569:
	v_add_f32_e32 v9, 0x46000000, v11
	v_and_b32_e32 v10, 0xff, v9
	v_cmp_ne_u32_e32 vcc, 0, v10
	s_andn2_b64 s[24:25], s[24:25], exec
	s_and_b64 s[28:29], vcc, exec
	s_or_b64 s[24:25], s[24:25], s[28:29]
	s_or_b64 exec, exec, s[26:27]
	v_mov_b32_e32 v9, 0
	s_and_saveexec_b64 s[26:27], s[24:25]
	s_cbranch_execnz .LBB296_286
	s_branch .LBB296_287
.LBB296_570:
	v_bfe_u32 v1, v2, 20, 1
	s_mov_b32 s40, 0x487ffff
	v_add3_u32 v1, v2, v1, s40
	s_mov_b64 s[26:27], exec
	v_lshrrev_b32_e32 v1, 20, v1
                                        ; implicit-def: $vgpr2
	s_andn2_saveexec_b64 s[28:29], s[28:29]
	s_cbranch_execz .LBB296_401
.LBB296_571:
	v_add_f32_e32 v1, 0x46000000, v2
	v_and_b32_e32 v1, 0xff, v1
	v_cmp_ne_u32_e32 vcc, 0, v1
	s_andn2_b64 s[26:27], s[26:27], exec
	s_and_b64 s[40:41], vcc, exec
	s_or_b64 s[26:27], s[26:27], s[40:41]
	s_or_b64 exec, exec, s[28:29]
	v_mov_b32_e32 v11, 0
	s_and_saveexec_b64 s[28:29], s[26:27]
	s_cbranch_execnz .LBB296_402
	s_branch .LBB296_403
.LBB296_572:
	v_bfe_u32 v1, v2, 20, 1
	s_mov_b32 s40, 0x487ffff
	v_add3_u32 v1, v2, v1, s40
	s_mov_b64 s[26:27], exec
	v_lshrrev_b32_e32 v1, 20, v1
                                        ; implicit-def: $vgpr2
	s_andn2_saveexec_b64 s[28:29], s[28:29]
	s_cbranch_execz .LBB296_413
.LBB296_573:
	v_add_f32_e32 v1, 0x46000000, v2
	v_and_b32_e32 v1, 0xff, v1
	v_cmp_ne_u32_e32 vcc, 0, v1
	s_andn2_b64 s[26:27], s[26:27], exec
	s_and_b64 s[40:41], vcc, exec
	s_or_b64 s[26:27], s[26:27], s[40:41]
	s_or_b64 exec, exec, s[28:29]
	v_mov_b32_e32 v11, 0
	s_and_saveexec_b64 s[28:29], s[26:27]
	s_cbranch_execnz .LBB296_414
	s_branch .LBB296_415
.LBB296_574:
	v_bfe_u32 v1, v2, 20, 1
	s_mov_b32 s40, 0x487ffff
	v_add3_u32 v1, v2, v1, s40
	s_mov_b64 s[26:27], exec
	v_lshrrev_b32_e32 v1, 20, v1
                                        ; implicit-def: $vgpr2
	s_andn2_saveexec_b64 s[28:29], s[28:29]
	s_cbranch_execz .LBB296_421
.LBB296_575:
	v_add_f32_e32 v1, 0x46000000, v2
	v_and_b32_e32 v1, 0xff, v1
	v_cmp_ne_u32_e32 vcc, 0, v1
	s_andn2_b64 s[26:27], s[26:27], exec
	s_and_b64 s[40:41], vcc, exec
	s_or_b64 s[26:27], s[26:27], s[40:41]
	s_or_b64 exec, exec, s[28:29]
	v_mov_b32_e32 v11, 0
	s_and_saveexec_b64 s[28:29], s[26:27]
	s_cbranch_execnz .LBB296_422
	s_branch .LBB296_423
.LBB296_576:
	v_bfe_u32 v2, v1, 20, 1
	s_mov_b32 s28, 0x487ffff
	v_add3_u32 v2, v1, v2, s28
	s_mov_b64 s[24:25], exec
	v_lshrrev_b32_e32 v2, 20, v2
	s_andn2_saveexec_b64 s[26:27], s[26:27]
	s_cbranch_execz .LBB296_440
.LBB296_577:
	s_mov_b32 s28, 0x46000000
	v_add_f32_e64 v2, |v1|, s28
	v_and_b32_e32 v2, 0xff, v2
	v_cmp_ne_u32_e32 vcc, 0, v2
	s_andn2_b64 s[24:25], s[24:25], exec
	s_and_b64 s[28:29], vcc, exec
	s_or_b64 s[24:25], s[24:25], s[28:29]
	s_or_b64 exec, exec, s[26:27]
	v_mov_b32_e32 v11, 0
	s_and_saveexec_b64 s[26:27], s[24:25]
	s_cbranch_execnz .LBB296_441
	s_branch .LBB296_442
.LBB296_578:
	v_bfe_u32 v2, v3, 20, 1
	s_mov_b32 s28, 0x487ffff
	v_add3_u32 v2, v1, v2, s28
	s_mov_b64 s[24:25], exec
	v_lshrrev_b32_e32 v2, 20, v2
	s_andn2_saveexec_b64 s[26:27], s[26:27]
	s_cbranch_execz .LBB296_448
.LBB296_579:
	s_mov_b32 s28, 0x46000000
	v_add_f32_e64 v2, |v1|, s28
	v_and_b32_e32 v2, 0xff, v2
	v_cmp_ne_u32_e32 vcc, 0, v2
	s_andn2_b64 s[24:25], s[24:25], exec
	s_and_b64 s[28:29], vcc, exec
	s_or_b64 s[24:25], s[24:25], s[28:29]
	s_or_b64 exec, exec, s[26:27]
	v_mov_b32_e32 v11, 0
	s_and_saveexec_b64 s[26:27], s[24:25]
	s_cbranch_execnz .LBB296_449
	s_branch .LBB296_450
.LBB296_580:
	v_bfe_u32 v2, v1, 4, 1
	s_mov_b32 s40, 0x487ffff
	v_add3_u32 v2, v3, v2, s40
	s_mov_b64 s[26:27], exec
	v_lshrrev_b32_e32 v2, 20, v2
                                        ; implicit-def: $vgpr3
	s_andn2_saveexec_b64 s[28:29], s[28:29]
	s_cbranch_execz .LBB296_468
.LBB296_581:
	s_mov_b32 s40, 0x46000000
	v_add_f32_e64 v2, |v3|, s40
	v_and_b32_e32 v2, 0xff, v2
	v_cmp_ne_u32_e32 vcc, 0, v2
	s_andn2_b64 s[26:27], s[26:27], exec
	s_and_b64 s[40:41], vcc, exec
	s_or_b64 s[26:27], s[26:27], s[40:41]
	s_or_b64 exec, exec, s[28:29]
	v_mov_b32_e32 v11, 0
	s_and_saveexec_b64 s[28:29], s[26:27]
	s_cbranch_execnz .LBB296_469
	s_branch .LBB296_470
.LBB296_582:
	v_bfe_u32 v2, v1, 20, 1
	s_mov_b32 s28, 0x487ffff
	v_add3_u32 v2, v1, v2, s28
	s_mov_b64 s[24:25], exec
	v_lshrrev_b32_e32 v2, 20, v2
	s_andn2_saveexec_b64 s[26:27], s[26:27]
	s_cbranch_execz .LBB296_380
.LBB296_583:
	s_mov_b32 s28, 0x46000000
	v_add_f32_e64 v2, |v1|, s28
	v_and_b32_e32 v2, 0xff, v2
	v_cmp_ne_u32_e32 vcc, 0, v2
	s_andn2_b64 s[24:25], s[24:25], exec
	s_and_b64 s[28:29], vcc, exec
	s_or_b64 s[24:25], s[24:25], s[28:29]
	s_or_b64 exec, exec, s[26:27]
	v_mov_b32_e32 v11, 0
	s_and_saveexec_b64 s[26:27], s[24:25]
	s_cbranch_execnz .LBB296_381
	s_branch .LBB296_382
.LBB296_584:
	v_bfe_u32 v1, v2, 20, 1
	s_mov_b32 s42, 0x487ffff
	v_add3_u32 v1, v2, v1, s42
	s_mov_b64 s[28:29], exec
	v_lshrrev_b32_e32 v1, 20, v1
                                        ; implicit-def: $vgpr2
	s_andn2_saveexec_b64 s[40:41], s[40:41]
	s_cbranch_execz .LBB296_390
.LBB296_585:
	v_add_f32_e32 v1, 0x46000000, v2
	v_and_b32_e32 v1, 0xff, v1
	v_cmp_ne_u32_e32 vcc, 0, v1
	s_andn2_b64 s[28:29], s[28:29], exec
	s_and_b64 s[42:43], vcc, exec
	s_or_b64 s[28:29], s[28:29], s[42:43]
	s_or_b64 exec, exec, s[40:41]
	v_mov_b32_e32 v11, 0
	s_and_saveexec_b64 s[40:41], s[28:29]
	s_cbranch_execnz .LBB296_391
	s_branch .LBB296_392
.Lfunc_end296:
	.size	_ZN2at6native6invokeINS0_13BinaryFunctorIN3c1015Float8_e4m3fnuzES4_bNS0_12_GLOBAL__N_116CompareEqFunctorIS4_EEEEj15function_traitsIS8_EEENT1_11result_typeERKT_PrKPcPKT0_PKNS3_10ScalarTypeEi, .Lfunc_end296-_ZN2at6native6invokeINS0_13BinaryFunctorIN3c1015Float8_e4m3fnuzES4_bNS0_12_GLOBAL__N_116CompareEqFunctorIS4_EEEEj15function_traitsIS8_EEENT1_11result_typeERKT_PrKPcPKT0_PKNS3_10ScalarTypeEi
                                        ; -- End function
	.set .L_ZN2at6native6invokeINS0_13BinaryFunctorIN3c1015Float8_e4m3fnuzES4_bNS0_12_GLOBAL__N_116CompareEqFunctorIS4_EEEEj15function_traitsIS8_EEENT1_11result_typeERKT_PrKPcPKT0_PKNS3_10ScalarTypeEi.num_vgpr, 15
	.set .L_ZN2at6native6invokeINS0_13BinaryFunctorIN3c1015Float8_e4m3fnuzES4_bNS0_12_GLOBAL__N_116CompareEqFunctorIS4_EEEEj15function_traitsIS8_EEENT1_11result_typeERKT_PrKPcPKT0_PKNS3_10ScalarTypeEi.num_agpr, 0
	.set .L_ZN2at6native6invokeINS0_13BinaryFunctorIN3c1015Float8_e4m3fnuzES4_bNS0_12_GLOBAL__N_116CompareEqFunctorIS4_EEEEj15function_traitsIS8_EEENT1_11result_typeERKT_PrKPcPKT0_PKNS3_10ScalarTypeEi.numbered_sgpr, 44
	.set .L_ZN2at6native6invokeINS0_13BinaryFunctorIN3c1015Float8_e4m3fnuzES4_bNS0_12_GLOBAL__N_116CompareEqFunctorIS4_EEEEj15function_traitsIS8_EEENT1_11result_typeERKT_PrKPcPKT0_PKNS3_10ScalarTypeEi.num_named_barrier, 0
	.set .L_ZN2at6native6invokeINS0_13BinaryFunctorIN3c1015Float8_e4m3fnuzES4_bNS0_12_GLOBAL__N_116CompareEqFunctorIS4_EEEEj15function_traitsIS8_EEENT1_11result_typeERKT_PrKPcPKT0_PKNS3_10ScalarTypeEi.private_seg_size, 0
	.set .L_ZN2at6native6invokeINS0_13BinaryFunctorIN3c1015Float8_e4m3fnuzES4_bNS0_12_GLOBAL__N_116CompareEqFunctorIS4_EEEEj15function_traitsIS8_EEENT1_11result_typeERKT_PrKPcPKT0_PKNS3_10ScalarTypeEi.uses_vcc, 1
	.set .L_ZN2at6native6invokeINS0_13BinaryFunctorIN3c1015Float8_e4m3fnuzES4_bNS0_12_GLOBAL__N_116CompareEqFunctorIS4_EEEEj15function_traitsIS8_EEENT1_11result_typeERKT_PrKPcPKT0_PKNS3_10ScalarTypeEi.uses_flat_scratch, 0
	.set .L_ZN2at6native6invokeINS0_13BinaryFunctorIN3c1015Float8_e4m3fnuzES4_bNS0_12_GLOBAL__N_116CompareEqFunctorIS4_EEEEj15function_traitsIS8_EEENT1_11result_typeERKT_PrKPcPKT0_PKNS3_10ScalarTypeEi.has_dyn_sized_stack, 0
	.set .L_ZN2at6native6invokeINS0_13BinaryFunctorIN3c1015Float8_e4m3fnuzES4_bNS0_12_GLOBAL__N_116CompareEqFunctorIS4_EEEEj15function_traitsIS8_EEENT1_11result_typeERKT_PrKPcPKT0_PKNS3_10ScalarTypeEi.has_recursion, 0
	.set .L_ZN2at6native6invokeINS0_13BinaryFunctorIN3c1015Float8_e4m3fnuzES4_bNS0_12_GLOBAL__N_116CompareEqFunctorIS4_EEEEj15function_traitsIS8_EEENT1_11result_typeERKT_PrKPcPKT0_PKNS3_10ScalarTypeEi.has_indirect_call, 0
	.section	.AMDGPU.csdata,"",@progbits
; Function info:
; codeLenInByte = 13536
; TotalNumSgprs: 48
; NumVgprs: 15
; ScratchSize: 0
; MemoryBound: 0
	.section	.text._ZN2at6native32elementwise_kernel_manual_unrollILi128ELi4EZNS0_15gpu_kernel_implINS0_13BinaryFunctorIN3c1015Float8_e4m3fnuzES5_bNS0_12_GLOBAL__N_116CompareEqFunctorIS5_EEEEEEvRNS_18TensorIteratorBaseERKT_EUlibE0_EEviT1_,"axG",@progbits,_ZN2at6native32elementwise_kernel_manual_unrollILi128ELi4EZNS0_15gpu_kernel_implINS0_13BinaryFunctorIN3c1015Float8_e4m3fnuzES5_bNS0_12_GLOBAL__N_116CompareEqFunctorIS5_EEEEEEvRNS_18TensorIteratorBaseERKT_EUlibE0_EEviT1_,comdat
	.globl	_ZN2at6native32elementwise_kernel_manual_unrollILi128ELi4EZNS0_15gpu_kernel_implINS0_13BinaryFunctorIN3c1015Float8_e4m3fnuzES5_bNS0_12_GLOBAL__N_116CompareEqFunctorIS5_EEEEEEvRNS_18TensorIteratorBaseERKT_EUlibE0_EEviT1_ ; -- Begin function _ZN2at6native32elementwise_kernel_manual_unrollILi128ELi4EZNS0_15gpu_kernel_implINS0_13BinaryFunctorIN3c1015Float8_e4m3fnuzES5_bNS0_12_GLOBAL__N_116CompareEqFunctorIS5_EEEEEEvRNS_18TensorIteratorBaseERKT_EUlibE0_EEviT1_
	.p2align	8
	.type	_ZN2at6native32elementwise_kernel_manual_unrollILi128ELi4EZNS0_15gpu_kernel_implINS0_13BinaryFunctorIN3c1015Float8_e4m3fnuzES5_bNS0_12_GLOBAL__N_116CompareEqFunctorIS5_EEEEEEvRNS_18TensorIteratorBaseERKT_EUlibE0_EEviT1_,@function
_ZN2at6native32elementwise_kernel_manual_unrollILi128ELi4EZNS0_15gpu_kernel_implINS0_13BinaryFunctorIN3c1015Float8_e4m3fnuzES5_bNS0_12_GLOBAL__N_116CompareEqFunctorIS5_EEEEEEvRNS_18TensorIteratorBaseERKT_EUlibE0_EEviT1_: ; @_ZN2at6native32elementwise_kernel_manual_unrollILi128ELi4EZNS0_15gpu_kernel_implINS0_13BinaryFunctorIN3c1015Float8_e4m3fnuzES5_bNS0_12_GLOBAL__N_116CompareEqFunctorIS5_EEEEEEvRNS_18TensorIteratorBaseERKT_EUlibE0_EEviT1_
; %bb.0:
	s_add_u32 flat_scratch_lo, s6, s9
	s_addc_u32 flat_scratch_hi, s7, 0
	s_load_dwordx8 s[12:19], s[4:5], 0xa8
	s_load_dword s33, s[4:5], 0x0
	s_load_dwordx8 s[36:43], s[4:5], 0x8
	s_load_dwordx8 s[20:27], s[4:5], 0x28
	s_add_u32 s0, s0, s9
	s_load_dwordx8 s[44:51], s[4:5], 0xc8
	s_addc_u32 s1, s1, 0
	s_waitcnt lgkmcnt(0)
	v_mov_b32_e32 v1, s19
	buffer_store_dword v1, off, s[0:3], 0 offset:204
	v_mov_b32_e32 v1, s18
	buffer_store_dword v1, off, s[0:3], 0 offset:200
	;; [unrolled: 2-line block ×7, first 2 shown]
	v_mov_b32_e32 v1, s44
	s_load_dwordx8 s[52:59], s[4:5], 0xe8
	buffer_store_dword v1, off, s[0:3], 0 offset:208
	v_mov_b32_e32 v1, s51
	buffer_store_dword v1, off, s[0:3], 0 offset:236
	v_mov_b32_e32 v1, s50
	buffer_store_dword v1, off, s[0:3], 0 offset:232
	v_mov_b32_e32 v1, s49
	buffer_store_dword v1, off, s[0:3], 0 offset:228
	v_mov_b32_e32 v1, s48
	buffer_store_dword v1, off, s[0:3], 0 offset:224
	s_waitcnt lgkmcnt(0)
	v_mov_b32_e32 v1, s55
	buffer_store_dword v1, off, s[0:3], 0 offset:252
	v_mov_b32_e32 v1, s54
	buffer_store_dword v1, off, s[0:3], 0 offset:248
	v_mov_b32_e32 v1, s53
	buffer_store_dword v1, off, s[0:3], 0 offset:244
	v_mov_b32_e32 v1, s52
	s_load_dwordx8 s[44:51], s[4:5], 0x108
	buffer_store_dword v1, off, s[0:3], 0 offset:240
	v_mov_b32_e32 v1, s59
	buffer_store_dword v1, off, s[0:3], 0 offset:268
	v_mov_b32_e32 v1, s58
	buffer_store_dword v1, off, s[0:3], 0 offset:264
	v_mov_b32_e32 v1, s57
	buffer_store_dword v1, off, s[0:3], 0 offset:260
	v_mov_b32_e32 v1, s56
	buffer_store_dword v1, off, s[0:3], 0 offset:256
	s_waitcnt lgkmcnt(0)
	v_mov_b32_e32 v1, s47
	buffer_store_dword v1, off, s[0:3], 0 offset:284
	v_mov_b32_e32 v1, s46
	buffer_store_dword v1, off, s[0:3], 0 offset:280
	v_mov_b32_e32 v1, s45
	buffer_store_dword v1, off, s[0:3], 0 offset:276
	;; [unrolled: 18-line block ×6, first 2 shown]
	v_mov_b32_e32 v1, s44
	s_load_dwordx4 s[16:19], s[4:5], 0x1a0
	buffer_store_dword v1, off, s[0:3], 0 offset:400
	v_mov_b32_e32 v1, s51
	buffer_store_dword v1, off, s[0:3], 0 offset:428
	v_mov_b32_e32 v1, s50
	;; [unrolled: 2-line block ×4, first 2 shown]
	buffer_store_dword v1, off, s[0:3], 0 offset:416
	s_waitcnt lgkmcnt(0)
	v_mov_b32_e32 v1, s19
	buffer_store_dword v1, off, s[0:3], 0 offset:436
	v_mov_b32_e32 v1, s18
	buffer_store_dword v1, off, s[0:3], 0 offset:432
	;; [unrolled: 2-line block ×15, first 2 shown]
	v_mov_b32_e32 v1, s20
	s_load_dwordx8 s[16:23], s[4:5], 0x48
	buffer_store_dword v1, off, s[0:3], 0 offset:48
	v_mov_b32_e32 v1, s27
	buffer_store_dword v1, off, s[0:3], 0 offset:76
	v_mov_b32_e32 v1, s26
	buffer_store_dword v1, off, s[0:3], 0 offset:72
	v_mov_b32_e32 v1, s25
	buffer_store_dword v1, off, s[0:3], 0 offset:68
	v_mov_b32_e32 v1, s24
	buffer_store_dword v1, off, s[0:3], 0 offset:64
	s_waitcnt lgkmcnt(0)
	v_mov_b32_e32 v1, s19
	buffer_store_dword v1, off, s[0:3], 0 offset:92
	v_mov_b32_e32 v1, s18
	buffer_store_dword v1, off, s[0:3], 0 offset:88
	v_mov_b32_e32 v1, s17
	buffer_store_dword v1, off, s[0:3], 0 offset:84
	v_mov_b32_e32 v1, s16
	s_load_dwordx8 s[24:31], s[4:5], 0x68
	buffer_store_dword v1, off, s[0:3], 0 offset:80
	v_mov_b32_e32 v1, s23
	buffer_store_dword v1, off, s[0:3], 0 offset:108
	v_mov_b32_e32 v1, s22
	buffer_store_dword v1, off, s[0:3], 0 offset:104
	v_mov_b32_e32 v1, s21
	buffer_store_dword v1, off, s[0:3], 0 offset:100
	v_mov_b32_e32 v1, s20
	buffer_store_dword v1, off, s[0:3], 0 offset:96
	s_waitcnt lgkmcnt(0)
	v_mov_b32_e32 v1, s27
	buffer_store_dword v1, off, s[0:3], 0 offset:124
	v_mov_b32_e32 v1, s26
	buffer_store_dword v1, off, s[0:3], 0 offset:120
	v_mov_b32_e32 v1, s25
	buffer_store_dword v1, off, s[0:3], 0 offset:116
	;; [unrolled: 18-line block ×3, first 2 shown]
	v_mov_b32_e32 v1, s16
	buffer_store_dword v1, off, s[0:3], 0 offset:144
	v_mov_b32_e32 v1, s23
	buffer_store_dword v1, off, s[0:3], 0 offset:172
	;; [unrolled: 2-line block ×8, first 2 shown]
	v_mov_b32_e32 v1, s12
	v_lshl_or_b32 v17, s8, 9, v0
	buffer_store_dword v1, off, s[0:3], 0 offset:176
	v_or_b32_e32 v1, 0x180, v17
	v_cmp_le_i32_e32 vcc, s33, v1
	s_mov_b64 s[34:35], 0
	s_mov_b64 s[6:7], 0
	s_movk_i32 s32, 0x7000
	s_and_saveexec_b64 s[4:5], vcc
	s_xor_b64 s[36:37], exec, s[4:5]
	s_cbranch_execz .LBB297_139
; %bb.1:
	s_mov_b64 s[38:39], src_private_base
	s_movk_i32 s4, 0x190
	s_add_u32 s38, 16, s4
	s_addc_u32 s54, s39, 0
	s_add_u32 s55, 0, 4
	s_addc_u32 s56, s39, 0
	s_movk_i32 s4, 0x1a5
	s_add_u32 s57, 16, s4
	s_addc_u32 s58, s39, 0
	s_mov_b32 s59, 4
	s_mov_b64 s[44:45], 0
	v_mov_b32_e32 v20, 0
	s_movk_i32 s60, 0x7fff
	s_movk_i32 s61, 0xff
	s_mov_b32 s62, 0x3fffff
	s_mov_b32 s63, 0
	;; [unrolled: 1-line block ×15, first 2 shown]
	v_mov_b32_e32 v22, 0x7e
	v_mov_b32_e32 v23, 0x7f
	;; [unrolled: 1-line block ×3, first 2 shown]
                                        ; implicit-def: $sgpr46_sgpr47
                                        ; implicit-def: $sgpr48_sgpr49
	s_branch .LBB297_3
.LBB297_2:                              ;   in Loop: Header=BB297_3 Depth=1
	s_or_b64 exec, exec, s[6:7]
	s_and_b64 s[4:5], exec, s[50:51]
	s_or_b64 s[44:45], s[4:5], s[44:45]
	s_andn2_b64 s[4:5], s[46:47], exec
	s_and_b64 s[6:7], s[48:49], exec
	s_or_b64 s[46:47], s[4:5], s[6:7]
	s_andn2_b64 exec, exec, s[44:45]
	s_cbranch_execz .LBB297_137
.LBB297_3:                              ; =>This Inner Loop Header: Depth=1
	v_cmp_gt_i32_e32 vcc, s33, v17
	s_mov_b64 s[50:51], -1
	s_mov_b64 s[4:5], -1
	s_and_saveexec_b64 s[52:53], vcc
	s_cbranch_execz .LBB297_89
; %bb.4:                                ;   in Loop: Header=BB297_3 Depth=1
	s_getpc_b64 s[4:5]
	s_add_u32 s4, s4, _ZNK16OffsetCalculatorILi3EjLb0EE3getEj@rel32@lo+4
	s_addc_u32 s5, s5, _ZNK16OffsetCalculatorILi3EjLb0EE3getEj@rel32@hi+12
	v_mov_b32_e32 v0, 16
	v_mov_b32_e32 v1, s39
	;; [unrolled: 1-line block ×3, first 2 shown]
	s_swappc_b64 s[30:31], s[4:5]
	v_mov_b32_e32 v15, v0
	buffer_load_dword v0, off, s[0:3], 0 offset:432
	s_getpc_b64 s[4:5]
	s_add_u32 s4, s4, _ZN2at6native6invokeINS0_13BinaryFunctorIN3c1015Float8_e4m3fnuzES4_bNS0_12_GLOBAL__N_116CompareEqFunctorIS4_EEEEj15function_traitsIS8_EEENT1_11result_typeERKT_PrKPcPKT0_PKNS3_10ScalarTypeEi@rel32@lo+4
	s_addc_u32 s5, s5, _ZN2at6native6invokeINS0_13BinaryFunctorIN3c1015Float8_e4m3fnuzES4_bNS0_12_GLOBAL__N_116CompareEqFunctorIS4_EEEEj15function_traitsIS8_EEENT1_11result_typeERKT_PrKPcPKT0_PKNS3_10ScalarTypeEi@rel32@hi+12
	buffer_store_dword v15, off, s[0:3], 0
	buffer_store_dword v1, off, s[0:3], 0 offset:4
	buffer_store_dword v2, off, s[0:3], 0 offset:8
	v_mov_b32_e32 v1, s38
	v_mov_b32_e32 v2, s54
	;; [unrolled: 1-line block ×6, first 2 shown]
	s_swappc_b64 s[30:31], s[4:5]
	v_and_b32_e32 v0, 1, v0
	v_cmp_eq_u32_e32 vcc, 1, v0
	buffer_load_dword v0, off, s[0:3], 0 offset:408
	buffer_load_dword v1, off, s[0:3], 0 offset:412
	buffer_load_ubyte v2, off, s[0:3], 0 offset:436
	s_mov_b64 s[6:7], 0
	s_waitcnt vmcnt(2)
	v_add_co_u32_e64 v0, s[4:5], v0, v15
	s_waitcnt vmcnt(1)
	v_addc_co_u32_e64 v1, s[4:5], 0, v1, s[4:5]
	s_waitcnt vmcnt(0)
	v_cmp_lt_i16_e64 s[4:5], 10, v2
	s_and_saveexec_b64 s[8:9], s[4:5]
	s_xor_b64 s[8:9], exec, s[8:9]
	s_cbranch_execz .LBB297_91
; %bb.5:                                ;   in Loop: Header=BB297_3 Depth=1
	v_cmp_lt_i16_e64 s[4:5], 25, v2
	s_and_saveexec_b64 s[10:11], s[4:5]
	s_xor_b64 s[10:11], exec, s[10:11]
	s_cbranch_execz .LBB297_41
; %bb.6:                                ;   in Loop: Header=BB297_3 Depth=1
	;; [unrolled: 5-line block ×4, first 2 shown]
	v_cmp_lt_i16_e64 s[4:5], 45, v2
	s_mov_b64 s[16:17], 0
	s_and_saveexec_b64 s[6:7], s[4:5]
	s_xor_b64 s[6:7], exec, s[6:7]
	s_cbranch_execz .LBB297_12
; %bb.9:                                ;   in Loop: Header=BB297_3 Depth=1
	v_cmp_eq_u16_e64 s[4:5], 46, v2
	s_and_saveexec_b64 s[18:19], s[4:5]
	s_cbranch_execz .LBB297_11
; %bb.10:                               ;   in Loop: Header=BB297_3 Depth=1
	v_cndmask_b32_e64 v2, 0, 1.0, vcc
	v_bfe_u32 v3, v2, 16, 1
	v_add3_u32 v2, v2, v3, s60
	v_lshrrev_b32_e32 v2, 16, v2
	s_mov_b64 s[16:17], exec
	flat_store_dword v[0:1], v2
.LBB297_11:                             ;   in Loop: Header=BB297_3 Depth=1
	s_or_b64 exec, exec, s[18:19]
	s_and_b64 s[16:17], s[16:17], exec
                                        ; implicit-def: $vgpr2
                                        ; implicit-def: $vgpr0_vgpr1
.LBB297_12:                             ;   in Loop: Header=BB297_3 Depth=1
	s_andn2_saveexec_b64 s[18:19], s[6:7]
	s_cbranch_execz .LBB297_18
; %bb.13:                               ;   in Loop: Header=BB297_3 Depth=1
	v_cmp_eq_u16_e64 s[4:5], 44, v2
	s_mov_b64 s[6:7], s[16:17]
	s_and_saveexec_b64 s[20:21], s[4:5]
	s_cbranch_execz .LBB297_17
; %bb.14:                               ;   in Loop: Header=BB297_3 Depth=1
	v_cndmask_b32_e64 v4, 0, 1.0, vcc
	v_lshrrev_b32_e32 v2, 23, v4
	v_cmp_ne_u32_e64 s[4:5], s61, v2
	v_mov_b32_e32 v3, 0xff
	s_and_saveexec_b64 s[22:23], s[4:5]
; %bb.15:                               ;   in Loop: Header=BB297_3 Depth=1
	v_and_b32_e32 v3, 0x400000, v4
	v_cmp_ne_u32_e64 s[4:5], 0, v3
	v_and_or_b32 v3, v4, s62, v2
	v_cmp_ne_u32_e64 s[6:7], 0, v3
	s_and_b64 s[4:5], s[4:5], s[6:7]
	v_cndmask_b32_e64 v3, 0, 1, s[4:5]
	v_add_u32_e32 v3, v2, v3
; %bb.16:                               ;   in Loop: Header=BB297_3 Depth=1
	s_or_b64 exec, exec, s[22:23]
	s_or_b64 s[6:7], s[16:17], exec
	flat_store_byte v[0:1], v3
.LBB297_17:                             ;   in Loop: Header=BB297_3 Depth=1
	s_or_b64 exec, exec, s[20:21]
	s_andn2_b64 s[4:5], s[16:17], exec
	s_and_b64 s[6:7], s[6:7], exec
	s_or_b64 s[16:17], s[4:5], s[6:7]
.LBB297_18:                             ;   in Loop: Header=BB297_3 Depth=1
	s_or_b64 exec, exec, s[18:19]
	s_and_b64 s[6:7], s[16:17], exec
                                        ; implicit-def: $vgpr2
                                        ; implicit-def: $vgpr0_vgpr1
.LBB297_19:                             ;   in Loop: Header=BB297_3 Depth=1
	s_andn2_saveexec_b64 s[14:15], s[14:15]
	s_cbranch_execz .LBB297_23
; %bb.20:                               ;   in Loop: Header=BB297_3 Depth=1
	v_cmp_eq_u16_e64 s[4:5], 29, v2
	s_mov_b64 s[18:19], s[6:7]
	s_and_saveexec_b64 s[16:17], s[4:5]
	s_cbranch_execz .LBB297_22
; %bb.21:                               ;   in Loop: Header=BB297_3 Depth=1
	v_cndmask_b32_e64 v2, 0, 1, vcc
	v_mov_b32_e32 v3, s63
	flat_store_dwordx2 v[0:1], v[2:3]
	s_or_b64 s[18:19], s[6:7], exec
.LBB297_22:                             ;   in Loop: Header=BB297_3 Depth=1
	s_or_b64 exec, exec, s[16:17]
	s_andn2_b64 s[4:5], s[6:7], exec
	s_and_b64 s[6:7], s[18:19], exec
	s_or_b64 s[6:7], s[4:5], s[6:7]
.LBB297_23:                             ;   in Loop: Header=BB297_3 Depth=1
	s_or_b64 exec, exec, s[14:15]
	s_and_b64 s[6:7], s[6:7], exec
                                        ; implicit-def: $vgpr0_vgpr1
                                        ; implicit-def: $vgpr2
.LBB297_24:                             ;   in Loop: Header=BB297_3 Depth=1
	s_andn2_saveexec_b64 s[12:13], s[12:13]
	s_cbranch_execz .LBB297_40
; %bb.25:                               ;   in Loop: Header=BB297_3 Depth=1
	v_cmp_lt_i16_e64 s[4:5], 26, v2
	s_and_saveexec_b64 s[14:15], s[4:5]
	s_xor_b64 s[14:15], exec, s[14:15]
	s_cbranch_execz .LBB297_31
; %bb.26:                               ;   in Loop: Header=BB297_3 Depth=1
	v_cmp_lt_i16_e64 s[4:5], 27, v2
	s_and_saveexec_b64 s[16:17], s[4:5]
	s_xor_b64 s[4:5], exec, s[16:17]
	s_cbranch_execz .LBB297_28
; %bb.27:                               ;   in Loop: Header=BB297_3 Depth=1
	v_cndmask_b32_e64 v2, 0, 1, vcc
	flat_store_dword v[0:1], v2
                                        ; implicit-def: $vgpr0_vgpr1
.LBB297_28:                             ;   in Loop: Header=BB297_3 Depth=1
	s_andn2_saveexec_b64 s[4:5], s[4:5]
	s_cbranch_execz .LBB297_30
; %bb.29:                               ;   in Loop: Header=BB297_3 Depth=1
	v_cndmask_b32_e64 v2, 0, 1, vcc
	flat_store_short v[0:1], v2
.LBB297_30:                             ;   in Loop: Header=BB297_3 Depth=1
	s_or_b64 exec, exec, s[4:5]
                                        ; implicit-def: $vgpr0_vgpr1
.LBB297_31:                             ;   in Loop: Header=BB297_3 Depth=1
	s_andn2_saveexec_b64 s[14:15], s[14:15]
	s_cbranch_execz .LBB297_39
; %bb.32:                               ;   in Loop: Header=BB297_3 Depth=1
	v_cndmask_b32_e64 v3, 0, 1.0, vcc
	v_cmp_gt_u32_e64 s[4:5], s64, v3
	v_mov_b32_e32 v4, 0x80
	s_and_saveexec_b64 s[16:17], s[4:5]
	s_cbranch_execz .LBB297_38
; %bb.33:                               ;   in Loop: Header=BB297_3 Depth=1
	v_cmp_lt_u32_e64 s[4:5], s65, v3
	s_mov_b64 s[18:19], 0
                                        ; implicit-def: $vgpr2
	s_and_saveexec_b64 s[20:21], s[4:5]
	s_xor_b64 s[4:5], exec, s[20:21]
	s_cbranch_execz .LBB297_133
; %bb.34:                               ;   in Loop: Header=BB297_3 Depth=1
	v_bfe_u32 v2, v3, 20, 1
	v_add3_u32 v2, v3, v2, s66
	s_mov_b64 s[18:19], exec
	v_lshrrev_b32_e32 v2, 20, v2
                                        ; implicit-def: $vgpr3
	s_andn2_saveexec_b64 s[20:21], s[4:5]
	s_cbranch_execnz .LBB297_134
.LBB297_35:                             ;   in Loop: Header=BB297_3 Depth=1
	s_or_b64 exec, exec, s[20:21]
	v_mov_b32_e32 v4, 0
	s_and_saveexec_b64 s[4:5], s[18:19]
.LBB297_36:                             ;   in Loop: Header=BB297_3 Depth=1
	v_mov_b32_e32 v4, v2
.LBB297_37:                             ;   in Loop: Header=BB297_3 Depth=1
	s_or_b64 exec, exec, s[4:5]
.LBB297_38:                             ;   in Loop: Header=BB297_3 Depth=1
	s_or_b64 exec, exec, s[16:17]
	flat_store_byte v[0:1], v4
.LBB297_39:                             ;   in Loop: Header=BB297_3 Depth=1
	s_or_b64 exec, exec, s[14:15]
	s_or_b64 s[6:7], s[6:7], exec
.LBB297_40:                             ;   in Loop: Header=BB297_3 Depth=1
	s_or_b64 exec, exec, s[12:13]
	s_and_b64 s[6:7], s[6:7], exec
                                        ; implicit-def: $vgpr2
                                        ; implicit-def: $vgpr0_vgpr1
.LBB297_41:                             ;   in Loop: Header=BB297_3 Depth=1
	s_andn2_saveexec_b64 s[10:11], s[10:11]
	s_cbranch_execz .LBB297_85
; %bb.42:                               ;   in Loop: Header=BB297_3 Depth=1
	v_cmp_lt_i16_e64 s[4:5], 22, v2
	s_mov_b64 s[14:15], s[6:7]
	s_and_saveexec_b64 s[12:13], s[4:5]
	s_xor_b64 s[12:13], exec, s[12:13]
	s_cbranch_execz .LBB297_74
; %bb.43:                               ;   in Loop: Header=BB297_3 Depth=1
	v_cmp_lt_i16_e64 s[4:5], 23, v2
	s_and_saveexec_b64 s[14:15], s[4:5]
	s_xor_b64 s[14:15], exec, s[14:15]
	s_cbranch_execz .LBB297_63
; %bb.44:                               ;   in Loop: Header=BB297_3 Depth=1
	v_cmp_lt_i16_e64 s[4:5], 24, v2
	s_and_saveexec_b64 s[16:17], s[4:5]
	s_xor_b64 s[16:17], exec, s[16:17]
	s_cbranch_execz .LBB297_52
; %bb.45:                               ;   in Loop: Header=BB297_3 Depth=1
	v_cndmask_b32_e64 v3, 0, 1.0, vcc
	v_cmp_gt_u32_e64 s[4:5], s67, v3
	v_mov_b32_e32 v4, 0x80
	s_and_saveexec_b64 s[18:19], s[4:5]
	s_cbranch_execz .LBB297_51
; %bb.46:                               ;   in Loop: Header=BB297_3 Depth=1
	v_cmp_lt_u32_e64 s[4:5], s68, v3
	s_mov_b64 s[20:21], 0
                                        ; implicit-def: $vgpr2
	s_and_saveexec_b64 s[22:23], s[4:5]
	s_xor_b64 s[4:5], exec, s[22:23]
	s_cbranch_execz .LBB297_135
; %bb.47:                               ;   in Loop: Header=BB297_3 Depth=1
	v_bfe_u32 v2, v3, 21, 1
	v_add3_u32 v2, v3, v2, s69
	s_mov_b64 s[20:21], exec
	v_lshrrev_b32_e32 v2, 21, v2
                                        ; implicit-def: $vgpr3
	s_andn2_saveexec_b64 s[22:23], s[4:5]
	s_cbranch_execnz .LBB297_136
.LBB297_48:                             ;   in Loop: Header=BB297_3 Depth=1
	s_or_b64 exec, exec, s[22:23]
	v_mov_b32_e32 v4, 0
	s_and_saveexec_b64 s[4:5], s[20:21]
.LBB297_49:                             ;   in Loop: Header=BB297_3 Depth=1
	v_mov_b32_e32 v4, v2
.LBB297_50:                             ;   in Loop: Header=BB297_3 Depth=1
	s_or_b64 exec, exec, s[4:5]
.LBB297_51:                             ;   in Loop: Header=BB297_3 Depth=1
	s_or_b64 exec, exec, s[18:19]
	flat_store_byte v[0:1], v4
                                        ; implicit-def: $vgpr0_vgpr1
.LBB297_52:                             ;   in Loop: Header=BB297_3 Depth=1
	s_andn2_saveexec_b64 s[16:17], s[16:17]
	s_cbranch_execz .LBB297_62
; %bb.53:                               ;   in Loop: Header=BB297_3 Depth=1
	v_cndmask_b32_e64 v3, 0, 1.0, vcc
	v_cmp_gt_u32_e64 s[4:5], s70, v3
                                        ; implicit-def: $vgpr2
	s_and_saveexec_b64 s[18:19], s[4:5]
	s_xor_b64 s[18:19], exec, s[18:19]
	s_cbranch_execz .LBB297_59
; %bb.54:                               ;   in Loop: Header=BB297_3 Depth=1
	v_cmp_lt_u32_e64 s[4:5], s71, v3
                                        ; implicit-def: $vgpr2
	s_and_saveexec_b64 s[20:21], s[4:5]
	s_xor_b64 s[20:21], exec, s[20:21]
; %bb.55:                               ;   in Loop: Header=BB297_3 Depth=1
	v_bfe_u32 v2, v3, 20, 1
	v_add3_u32 v2, v3, v2, s72
	v_lshrrev_b32_e32 v3, 20, v2
	v_and_b32_e32 v2, 0xff00000, v2
	v_cmp_ne_u32_e64 s[4:5], s73, v2
	v_cndmask_b32_e64 v2, v22, v3, s[4:5]
                                        ; implicit-def: $vgpr3
; %bb.56:                               ;   in Loop: Header=BB297_3 Depth=1
	s_andn2_saveexec_b64 s[4:5], s[20:21]
; %bb.57:                               ;   in Loop: Header=BB297_3 Depth=1
	v_add_f32_e32 v2, 0x46800000, v3
; %bb.58:                               ;   in Loop: Header=BB297_3 Depth=1
	s_or_b64 exec, exec, s[4:5]
                                        ; implicit-def: $vgpr3
.LBB297_59:                             ;   in Loop: Header=BB297_3 Depth=1
	s_andn2_saveexec_b64 s[18:19], s[18:19]
; %bb.60:                               ;   in Loop: Header=BB297_3 Depth=1
	v_cmp_lt_u32_e64 s[4:5], s74, v3
	v_cndmask_b32_e64 v2, v22, v23, s[4:5]
; %bb.61:                               ;   in Loop: Header=BB297_3 Depth=1
	s_or_b64 exec, exec, s[18:19]
	flat_store_byte v[0:1], v2
.LBB297_62:                             ;   in Loop: Header=BB297_3 Depth=1
	s_or_b64 exec, exec, s[16:17]
                                        ; implicit-def: $vgpr0_vgpr1
.LBB297_63:                             ;   in Loop: Header=BB297_3 Depth=1
	s_andn2_saveexec_b64 s[14:15], s[14:15]
	s_cbranch_execz .LBB297_73
; %bb.64:                               ;   in Loop: Header=BB297_3 Depth=1
	v_cndmask_b32_e64 v3, 0, 1.0, vcc
	v_cmp_gt_u32_e64 s[4:5], s67, v3
                                        ; implicit-def: $vgpr2
	s_and_saveexec_b64 s[16:17], s[4:5]
	s_xor_b64 s[16:17], exec, s[16:17]
	s_cbranch_execz .LBB297_70
; %bb.65:                               ;   in Loop: Header=BB297_3 Depth=1
	v_cmp_lt_u32_e64 s[4:5], s75, v3
                                        ; implicit-def: $vgpr2
	s_and_saveexec_b64 s[18:19], s[4:5]
	s_xor_b64 s[4:5], exec, s[18:19]
; %bb.66:                               ;   in Loop: Header=BB297_3 Depth=1
	v_bfe_u32 v2, v3, 21, 1
	v_add3_u32 v2, v3, v2, s76
	v_lshrrev_b32_e32 v2, 21, v2
                                        ; implicit-def: $vgpr3
; %bb.67:                               ;   in Loop: Header=BB297_3 Depth=1
	s_andn2_saveexec_b64 s[4:5], s[4:5]
; %bb.68:                               ;   in Loop: Header=BB297_3 Depth=1
	v_add_f32_e32 v2, 0x43000000, v3
; %bb.69:                               ;   in Loop: Header=BB297_3 Depth=1
	s_or_b64 exec, exec, s[4:5]
                                        ; implicit-def: $vgpr3
.LBB297_70:                             ;   in Loop: Header=BB297_3 Depth=1
	s_andn2_saveexec_b64 s[16:17], s[16:17]
; %bb.71:                               ;   in Loop: Header=BB297_3 Depth=1
	v_cmp_lt_u32_e64 s[4:5], s74, v3
	v_cndmask_b32_e64 v2, v24, v23, s[4:5]
; %bb.72:                               ;   in Loop: Header=BB297_3 Depth=1
	s_or_b64 exec, exec, s[16:17]
	flat_store_byte v[0:1], v2
.LBB297_73:                             ;   in Loop: Header=BB297_3 Depth=1
	s_or_b64 exec, exec, s[14:15]
	s_or_b64 s[14:15], s[6:7], exec
                                        ; implicit-def: $vgpr2
                                        ; implicit-def: $vgpr0_vgpr1
.LBB297_74:                             ;   in Loop: Header=BB297_3 Depth=1
	s_andn2_saveexec_b64 s[12:13], s[12:13]
	s_cbranch_execz .LBB297_84
; %bb.75:                               ;   in Loop: Header=BB297_3 Depth=1
	v_cmp_lt_i16_e64 s[4:5], 14, v2
	s_mov_b64 s[16:17], s[14:15]
	s_and_saveexec_b64 s[18:19], s[4:5]
	s_xor_b64 s[18:19], exec, s[18:19]
	s_cbranch_execz .LBB297_79
; %bb.76:                               ;   in Loop: Header=BB297_3 Depth=1
	v_cmp_eq_u16_e64 s[4:5], 15, v2
	s_mov_b64 s[20:21], s[14:15]
	s_and_saveexec_b64 s[16:17], s[4:5]
	s_cbranch_execz .LBB297_78
; %bb.77:                               ;   in Loop: Header=BB297_3 Depth=1
	v_cndmask_b32_e64 v2, 0, 1.0, vcc
	v_bfe_u32 v3, v2, 16, 1
	v_add3_u32 v2, v2, v3, s60
	flat_store_short_d16_hi v[0:1], v2
	s_or_b64 s[20:21], s[14:15], exec
.LBB297_78:                             ;   in Loop: Header=BB297_3 Depth=1
	s_or_b64 exec, exec, s[16:17]
	s_andn2_b64 s[4:5], s[14:15], exec
	s_and_b64 s[16:17], s[20:21], exec
	s_or_b64 s[16:17], s[4:5], s[16:17]
                                        ; implicit-def: $vgpr2
                                        ; implicit-def: $vgpr0_vgpr1
.LBB297_79:                             ;   in Loop: Header=BB297_3 Depth=1
	s_andn2_saveexec_b64 s[18:19], s[18:19]
	s_cbranch_execz .LBB297_83
; %bb.80:                               ;   in Loop: Header=BB297_3 Depth=1
	v_cmp_eq_u16_e64 s[4:5], 11, v2
	s_mov_b64 s[20:21], s[16:17]
	s_and_saveexec_b64 s[22:23], s[4:5]
	s_cbranch_execz .LBB297_82
; %bb.81:                               ;   in Loop: Header=BB297_3 Depth=1
	v_cndmask_b32_e64 v2, 0, 1, vcc
	flat_store_byte v[0:1], v2
	s_or_b64 s[20:21], s[16:17], exec
.LBB297_82:                             ;   in Loop: Header=BB297_3 Depth=1
	s_or_b64 exec, exec, s[22:23]
	s_andn2_b64 s[4:5], s[16:17], exec
	s_and_b64 s[16:17], s[20:21], exec
	s_or_b64 s[16:17], s[4:5], s[16:17]
.LBB297_83:                             ;   in Loop: Header=BB297_3 Depth=1
	s_or_b64 exec, exec, s[18:19]
	s_andn2_b64 s[4:5], s[14:15], exec
	s_and_b64 s[14:15], s[16:17], exec
	s_or_b64 s[14:15], s[4:5], s[14:15]
.LBB297_84:                             ;   in Loop: Header=BB297_3 Depth=1
	s_or_b64 exec, exec, s[12:13]
	s_andn2_b64 s[4:5], s[6:7], exec
	s_and_b64 s[6:7], s[14:15], exec
	s_or_b64 s[6:7], s[4:5], s[6:7]
.LBB297_85:                             ;   in Loop: Header=BB297_3 Depth=1
	s_or_b64 exec, exec, s[10:11]
	s_and_b64 s[6:7], s[6:7], exec
                                        ; implicit-def: $vgpr2
                                        ; implicit-def: $vgpr0_vgpr1
	s_andn2_saveexec_b64 s[8:9], s[8:9]
	s_cbranch_execnz .LBB297_92
.LBB297_86:                             ;   in Loop: Header=BB297_3 Depth=1
	s_or_b64 exec, exec, s[8:9]
	s_mov_b64 s[4:5], 0
	s_and_saveexec_b64 s[8:9], s[6:7]
.LBB297_87:                             ;   in Loop: Header=BB297_3 Depth=1
	s_mov_b64 s[4:5], exec
	v_add_u32_e32 v17, 0x80, v17
.LBB297_88:                             ;   in Loop: Header=BB297_3 Depth=1
	s_or_b64 exec, exec, s[8:9]
	s_orn2_b64 s[4:5], s[4:5], exec
.LBB297_89:                             ;   in Loop: Header=BB297_3 Depth=1
	s_or_b64 exec, exec, s[52:53]
	s_or_b64 s[48:49], s[48:49], exec
	s_and_saveexec_b64 s[6:7], s[4:5]
	s_cbranch_execz .LBB297_2
; %bb.90:                               ;   in Loop: Header=BB297_3 Depth=1
	s_add_i32 s59, s59, -1
	s_cmp_eq_u32 s59, 0
	s_cselect_b64 s[4:5], -1, 0
	s_andn2_b64 s[48:49], s[48:49], exec
	s_orn2_b64 s[50:51], s[4:5], exec
	s_branch .LBB297_2
.LBB297_91:                             ;   in Loop: Header=BB297_3 Depth=1
	s_andn2_saveexec_b64 s[8:9], s[8:9]
	s_cbranch_execz .LBB297_86
.LBB297_92:                             ;   in Loop: Header=BB297_3 Depth=1
	v_cmp_lt_i16_e64 s[4:5], 4, v2
	s_and_saveexec_b64 s[10:11], s[4:5]
	s_xor_b64 s[10:11], exec, s[10:11]
	s_cbranch_execz .LBB297_114
; %bb.93:                               ;   in Loop: Header=BB297_3 Depth=1
	v_cmp_lt_i16_e64 s[4:5], 7, v2
	s_and_saveexec_b64 s[12:13], s[4:5]
	s_xor_b64 s[12:13], exec, s[12:13]
	s_cbranch_execz .LBB297_103
; %bb.94:                               ;   in Loop: Header=BB297_3 Depth=1
	;; [unrolled: 5-line block ×4, first 2 shown]
	v_cndmask_b32_e64 v2, 0, 1, vcc
	v_cvt_f64_u32_e32 v[18:19], v2
	v_mov_b32_e32 v21, v20
	flat_store_dwordx4 v[0:1], v[18:21]
                                        ; implicit-def: $vgpr0_vgpr1
.LBB297_97:                             ;   in Loop: Header=BB297_3 Depth=1
	s_andn2_saveexec_b64 s[4:5], s[4:5]
	s_cbranch_execz .LBB297_99
; %bb.98:                               ;   in Loop: Header=BB297_3 Depth=1
	v_cndmask_b32_e64 v19, 0, 1.0, vcc
	flat_store_dwordx2 v[0:1], v[19:20]
.LBB297_99:                             ;   in Loop: Header=BB297_3 Depth=1
	s_or_b64 exec, exec, s[4:5]
                                        ; implicit-def: $vgpr0_vgpr1
.LBB297_100:                            ;   in Loop: Header=BB297_3 Depth=1
	s_andn2_saveexec_b64 s[4:5], s[14:15]
	s_cbranch_execz .LBB297_102
; %bb.101:                              ;   in Loop: Header=BB297_3 Depth=1
	v_cndmask_b32_e64 v2, 0, 1.0, vcc
	v_cvt_f16_f32_e32 v2, v2
	flat_store_dword v[0:1], v2
.LBB297_102:                            ;   in Loop: Header=BB297_3 Depth=1
	s_or_b64 exec, exec, s[4:5]
                                        ; implicit-def: $vgpr0_vgpr1
                                        ; implicit-def: $vgpr2
.LBB297_103:                            ;   in Loop: Header=BB297_3 Depth=1
	s_andn2_saveexec_b64 s[12:13], s[12:13]
	s_cbranch_execz .LBB297_113
; %bb.104:                              ;   in Loop: Header=BB297_3 Depth=1
	v_cmp_lt_i16_e64 s[4:5], 5, v2
	s_and_saveexec_b64 s[14:15], s[4:5]
	s_xor_b64 s[14:15], exec, s[14:15]
	s_cbranch_execz .LBB297_110
; %bb.105:                              ;   in Loop: Header=BB297_3 Depth=1
	v_cmp_lt_i16_e64 s[4:5], 6, v2
	s_and_saveexec_b64 s[16:17], s[4:5]
	s_xor_b64 s[4:5], exec, s[16:17]
	s_cbranch_execz .LBB297_107
; %bb.106:                              ;   in Loop: Header=BB297_3 Depth=1
	v_cndmask_b32_e64 v2, 0, 1, vcc
	v_cvt_f64_u32_e32 v[2:3], v2
	flat_store_dwordx2 v[0:1], v[2:3]
                                        ; implicit-def: $vgpr0_vgpr1
.LBB297_107:                            ;   in Loop: Header=BB297_3 Depth=1
	s_andn2_saveexec_b64 s[4:5], s[4:5]
	s_cbranch_execz .LBB297_109
; %bb.108:                              ;   in Loop: Header=BB297_3 Depth=1
	v_cndmask_b32_e64 v2, 0, 1.0, vcc
	flat_store_dword v[0:1], v2
.LBB297_109:                            ;   in Loop: Header=BB297_3 Depth=1
	s_or_b64 exec, exec, s[4:5]
                                        ; implicit-def: $vgpr0_vgpr1
.LBB297_110:                            ;   in Loop: Header=BB297_3 Depth=1
	s_andn2_saveexec_b64 s[4:5], s[14:15]
	s_cbranch_execz .LBB297_112
; %bb.111:                              ;   in Loop: Header=BB297_3 Depth=1
	v_cndmask_b32_e64 v2, 0, 1.0, vcc
	v_cvt_f16_f32_e32 v2, v2
	flat_store_short v[0:1], v2
.LBB297_112:                            ;   in Loop: Header=BB297_3 Depth=1
	s_or_b64 exec, exec, s[4:5]
.LBB297_113:                            ;   in Loop: Header=BB297_3 Depth=1
	s_or_b64 exec, exec, s[12:13]
                                        ; implicit-def: $vgpr2
                                        ; implicit-def: $vgpr0_vgpr1
.LBB297_114:                            ;   in Loop: Header=BB297_3 Depth=1
	s_andn2_saveexec_b64 s[10:11], s[10:11]
	s_cbranch_execz .LBB297_132
; %bb.115:                              ;   in Loop: Header=BB297_3 Depth=1
	v_cmp_lt_i16_e64 s[4:5], 1, v2
	s_and_saveexec_b64 s[12:13], s[4:5]
	s_xor_b64 s[12:13], exec, s[12:13]
	s_cbranch_execz .LBB297_125
; %bb.116:                              ;   in Loop: Header=BB297_3 Depth=1
	v_cmp_lt_i16_e64 s[4:5], 2, v2
	s_and_saveexec_b64 s[14:15], s[4:5]
	s_xor_b64 s[14:15], exec, s[14:15]
	s_cbranch_execz .LBB297_122
; %bb.117:                              ;   in Loop: Header=BB297_3 Depth=1
	v_cmp_lt_i16_e64 s[4:5], 3, v2
	s_and_saveexec_b64 s[16:17], s[4:5]
	s_xor_b64 s[4:5], exec, s[16:17]
	s_cbranch_execz .LBB297_119
; %bb.118:                              ;   in Loop: Header=BB297_3 Depth=1
	v_cndmask_b32_e64 v2, 0, 1, vcc
	v_mov_b32_e32 v3, s63
	flat_store_dwordx2 v[0:1], v[2:3]
                                        ; implicit-def: $vgpr0_vgpr1
.LBB297_119:                            ;   in Loop: Header=BB297_3 Depth=1
	s_andn2_saveexec_b64 s[4:5], s[4:5]
	s_cbranch_execz .LBB297_121
; %bb.120:                              ;   in Loop: Header=BB297_3 Depth=1
	v_cndmask_b32_e64 v2, 0, 1, vcc
	flat_store_dword v[0:1], v2
.LBB297_121:                            ;   in Loop: Header=BB297_3 Depth=1
	s_or_b64 exec, exec, s[4:5]
                                        ; implicit-def: $vgpr0_vgpr1
.LBB297_122:                            ;   in Loop: Header=BB297_3 Depth=1
	s_andn2_saveexec_b64 s[4:5], s[14:15]
	s_cbranch_execz .LBB297_124
; %bb.123:                              ;   in Loop: Header=BB297_3 Depth=1
	v_cndmask_b32_e64 v2, 0, 1, vcc
	flat_store_short v[0:1], v2
.LBB297_124:                            ;   in Loop: Header=BB297_3 Depth=1
	s_or_b64 exec, exec, s[4:5]
                                        ; implicit-def: $vgpr0_vgpr1
                                        ; implicit-def: $vgpr2
.LBB297_125:                            ;   in Loop: Header=BB297_3 Depth=1
	s_andn2_saveexec_b64 s[12:13], s[12:13]
	s_cbranch_execz .LBB297_131
; %bb.126:                              ;   in Loop: Header=BB297_3 Depth=1
	v_cmp_lt_i16_e64 s[4:5], 0, v2
	v_cndmask_b32_e64 v2, 0, 1, vcc
	s_and_saveexec_b64 s[14:15], s[4:5]
	s_xor_b64 s[4:5], exec, s[14:15]
	s_cbranch_execz .LBB297_128
; %bb.127:                              ;   in Loop: Header=BB297_3 Depth=1
	flat_store_byte v[0:1], v2
                                        ; implicit-def: $vgpr0_vgpr1
                                        ; implicit-def: $vgpr2
.LBB297_128:                            ;   in Loop: Header=BB297_3 Depth=1
	s_andn2_saveexec_b64 s[4:5], s[4:5]
	s_cbranch_execz .LBB297_130
; %bb.129:                              ;   in Loop: Header=BB297_3 Depth=1
	flat_store_byte v[0:1], v2
.LBB297_130:                            ;   in Loop: Header=BB297_3 Depth=1
	s_or_b64 exec, exec, s[4:5]
.LBB297_131:                            ;   in Loop: Header=BB297_3 Depth=1
	s_or_b64 exec, exec, s[12:13]
.LBB297_132:                            ;   in Loop: Header=BB297_3 Depth=1
	s_or_b64 exec, exec, s[10:11]
	s_or_b64 s[6:7], s[6:7], exec
	s_or_b64 exec, exec, s[8:9]
	s_mov_b64 s[4:5], 0
	s_and_saveexec_b64 s[8:9], s[6:7]
	s_cbranch_execnz .LBB297_87
	s_branch .LBB297_88
.LBB297_133:                            ;   in Loop: Header=BB297_3 Depth=1
	s_andn2_saveexec_b64 s[20:21], s[4:5]
	s_cbranch_execz .LBB297_35
.LBB297_134:                            ;   in Loop: Header=BB297_3 Depth=1
	v_add_f32_e32 v2, 0x46000000, v3
	v_and_b32_e32 v2, 0xff, v2
	v_cmp_ne_u32_e64 s[4:5], 0, v2
	s_andn2_b64 s[18:19], s[18:19], exec
	s_and_b64 s[4:5], s[4:5], exec
	s_or_b64 s[18:19], s[18:19], s[4:5]
	s_or_b64 exec, exec, s[20:21]
	v_mov_b32_e32 v4, 0
	s_and_saveexec_b64 s[4:5], s[18:19]
	s_cbranch_execnz .LBB297_36
	s_branch .LBB297_37
.LBB297_135:                            ;   in Loop: Header=BB297_3 Depth=1
	s_andn2_saveexec_b64 s[22:23], s[4:5]
	s_cbranch_execz .LBB297_48
.LBB297_136:                            ;   in Loop: Header=BB297_3 Depth=1
	v_add_f32_e32 v2, 0x42800000, v3
	v_and_b32_e32 v2, 0xff, v2
	v_cmp_ne_u32_e64 s[4:5], 0, v2
	s_andn2_b64 s[20:21], s[20:21], exec
	s_and_b64 s[4:5], s[4:5], exec
	s_or_b64 s[20:21], s[20:21], s[4:5]
	s_or_b64 exec, exec, s[22:23]
	v_mov_b32_e32 v4, 0
	s_and_saveexec_b64 s[4:5], s[20:21]
	s_cbranch_execnz .LBB297_49
	s_branch .LBB297_50
.LBB297_137:
	s_or_b64 exec, exec, s[44:45]
	s_mov_b64 s[4:5], 0
	s_and_saveexec_b64 s[6:7], s[46:47]
	s_xor_b64 s[6:7], exec, s[6:7]
	s_cbranch_execnz .LBB297_2287
.LBB297_138:
	s_or_b64 exec, exec, s[6:7]
	s_and_b64 s[6:7], s[4:5], exec
                                        ; implicit-def: $vgpr1
                                        ; implicit-def: $vgpr17
.LBB297_139:
	s_or_saveexec_b64 s[8:9], s[36:37]
	s_mov_b64 s[4:5], 0
                                        ; implicit-def: $sgpr48_sgpr49
                                        ; implicit-def: $vgpr21_vgpr22
                                        ; implicit-def: $vgpr16
	s_xor_b64 exec, exec, s[8:9]
	s_cbranch_execz .LBB297_180
; %bb.140:
	buffer_load_dword v8, off, s[0:3], 0 offset:16
                                        ; implicit-def: $vgpr6
                                        ; implicit-def: $vgpr22
                                        ; implicit-def: $vgpr20
	s_waitcnt vmcnt(0)
	v_add_u32_e32 v10, -1, v8
	v_cmp_lt_u32_e32 vcc, 1, v10
	s_and_saveexec_b64 s[4:5], vcc
	s_xor_b64 s[10:11], exec, s[4:5]
	s_cbranch_execz .LBB297_148
; %bb.141:
	v_mov_b32_e32 v6, 0
	v_cmp_ne_u32_e64 s[4:5], 0, v8
	v_mov_b32_e32 v22, 0
	v_mov_b32_e32 v20, 0
	s_and_saveexec_b64 s[12:13], s[4:5]
	s_cbranch_execz .LBB297_147
; %bb.142:
	v_min_u32_e32 v2, 15, v10
	v_add_u32_e32 v0, 1, v2
	v_and_b32_e32 v3, 30, v0
	s_sub_i32 s16, 16, 24
	v_mov_b32_e32 v20, 0
	s_mov_b64 s[14:15], 0
	v_mov_b32_e32 v22, 0
	v_mov_b32_e32 v6, 0
	;; [unrolled: 1-line block ×3, first 2 shown]
.LBB297_143:                            ; =>This Inner Loop Header: Depth=1
	v_mov_b32_e32 v4, s16
	buffer_load_dword v5, v4, s[0:3], 0 offen offset:32
	buffer_load_dword v7, v4, s[0:3], 0 offen offset:36
	;; [unrolled: 1-line block ×12, first 2 shown]
	v_add_u32_e32 v3, -2, v3
	s_add_i32 s16, s16, 24
	v_cmp_eq_u32_e64 s[4:5], 0, v3
	v_mov_b32_e32 v4, s16
	s_or_b64 s[14:15], s[4:5], s[14:15]
	s_waitcnt vmcnt(0)
	v_mul_hi_u32 v5, v5, v0
	v_add_u32_e32 v5, v0, v5
	v_lshrrev_b32_e32 v5, v7, v5
	v_mul_hi_u32 v9, v9, v5
	v_mul_lo_u32 v7, v5, v15
	v_sub_u32_e32 v7, v0, v7
	v_add_u32_e32 v0, v5, v9
	v_lshrrev_b32_e32 v0, v11, v0
	v_mul_lo_u32 v11, v0, v14
	v_mul_lo_u32 v9, v7, v12
	;; [unrolled: 1-line block ×4, first 2 shown]
	v_sub_u32_e32 v5, v5, v11
	v_mul_lo_u32 v11, v5, v18
	v_mul_lo_u32 v13, v5, v19
	;; [unrolled: 1-line block ×3, first 2 shown]
	v_add3_u32 v6, v9, v6, v11
	v_add3_u32 v22, v12, v22, v13
	;; [unrolled: 1-line block ×3, first 2 shown]
	s_andn2_b64 exec, exec, s[14:15]
	s_cbranch_execnz .LBB297_143
; %bb.144:
	s_or_b64 exec, exec, s[14:15]
	v_and_b32_e32 v2, 1, v2
	v_cmp_eq_u32_e64 s[4:5], 0, v2
	s_and_saveexec_b64 s[14:15], s[4:5]
	s_cbranch_execz .LBB297_146
; %bb.145:
	buffer_load_dword v2, v4, s[0:3], 0 offen offset:32
	buffer_load_dword v3, v4, s[0:3], 0 offen offset:36
	;; [unrolled: 1-line block ×6, first 2 shown]
	s_waitcnt vmcnt(0)
	v_mul_hi_u32 v2, v2, v0
	v_add_u32_e32 v2, v0, v2
	v_lshrrev_b32_e32 v2, v3, v2
	v_mul_lo_u32 v2, v2, v5
	v_sub_u32_e32 v0, v0, v2
	v_mad_u64_u32 v[6:7], s[4:5], v0, v7, v[6:7]
	v_mad_u64_u32 v[22:23], s[4:5], v0, v9, v[22:23]
	;; [unrolled: 1-line block ×3, first 2 shown]
.LBB297_146:
	s_or_b64 exec, exec, s[14:15]
.LBB297_147:
	s_or_b64 exec, exec, s[12:13]
.LBB297_148:
	s_andn2_saveexec_b64 s[10:11], s[10:11]
	s_cbranch_execz .LBB297_152
; %bb.149:
	buffer_load_dword v0, off, s[0:3], 0 offset:24
	buffer_load_dword v2, off, s[0:3], 0 offset:28
	;; [unrolled: 1-line block ×6, first 2 shown]
	v_cmp_lt_u32_e64 s[4:5], 1, v8
	s_waitcnt vmcnt(0)
	v_mul_hi_u32 v0, v0, v17
	v_add_u32_e32 v0, v17, v0
	v_lshrrev_b32_e32 v0, v2, v0
	v_mul_lo_u32 v2, v0, v3
	v_sub_u32_e32 v2, v17, v2
	v_mul_lo_u32 v6, v2, v4
	v_mul_lo_u32 v22, v2, v5
	;; [unrolled: 1-line block ×3, first 2 shown]
	s_and_saveexec_b64 s[12:13], s[4:5]
	s_cbranch_execz .LBB297_151
; %bb.150:
	buffer_load_dword v2, off, s[0:3], 0 offset:36
	buffer_load_dword v3, off, s[0:3], 0 offset:40
	;; [unrolled: 1-line block ×6, first 2 shown]
	s_waitcnt vmcnt(0)
	v_mul_hi_u32 v2, v2, v0
	v_add_u32_e32 v2, v0, v2
	v_lshrrev_b32_e32 v2, v3, v2
	v_mul_lo_u32 v2, v2, v4
	v_sub_u32_e32 v0, v0, v2
	v_mad_u64_u32 v[6:7], s[4:5], v0, v5, v[6:7]
	v_mad_u64_u32 v[22:23], s[4:5], v0, v9, v[22:23]
	v_mad_u64_u32 v[20:21], s[4:5], v0, v11, v[20:21]
.LBB297_151:
	s_or_b64 exec, exec, s[12:13]
.LBB297_152:
	s_or_b64 exec, exec, s[10:11]
	v_add_u32_e32 v0, 0x80, v17
                                        ; implicit-def: $vgpr4
                                        ; implicit-def: $vgpr18
                                        ; implicit-def: $vgpr15
	s_and_saveexec_b64 s[4:5], vcc
	s_xor_b64 s[10:11], exec, s[4:5]
	s_cbranch_execz .LBB297_160
; %bb.153:
	v_mov_b32_e32 v4, 0
	v_cmp_ne_u32_e64 s[4:5], 0, v8
	v_mov_b32_e32 v18, 0
	v_mov_b32_e32 v15, 0
	s_and_saveexec_b64 s[12:13], s[4:5]
	s_cbranch_execz .LBB297_159
; %bb.154:
	v_min_u32_e32 v2, 15, v10
	v_add_u32_e32 v3, 1, v2
	v_and_b32_e32 v3, 30, v3
	s_sub_i32 s16, 16, 24
	v_mov_b32_e32 v15, 0
	s_mov_b64 s[14:15], 0
	v_mov_b32_e32 v18, 0
	v_mov_b32_e32 v4, 0
.LBB297_155:                            ; =>This Inner Loop Header: Depth=1
	v_mov_b32_e32 v5, s16
	buffer_load_dword v7, v5, s[0:3], 0 offen offset:32
	buffer_load_dword v9, v5, s[0:3], 0 offen offset:36
	;; [unrolled: 1-line block ×12, first 2 shown]
	v_add_u32_e32 v3, -2, v3
	s_add_i32 s16, s16, 24
	v_cmp_eq_u32_e64 s[4:5], 0, v3
	v_mov_b32_e32 v5, s16
	s_or_b64 s[14:15], s[4:5], s[14:15]
	s_waitcnt vmcnt(0)
	v_mul_hi_u32 v7, v7, v0
	v_add_u32_e32 v7, v0, v7
	v_lshrrev_b32_e32 v7, v9, v7
	v_mul_hi_u32 v11, v11, v7
	v_mul_lo_u32 v9, v7, v19
	v_sub_u32_e32 v9, v0, v9
	v_add_u32_e32 v0, v7, v11
	v_lshrrev_b32_e32 v0, v12, v0
	v_mul_lo_u32 v12, v0, v16
	v_mul_lo_u32 v11, v9, v13
	;; [unrolled: 1-line block ×4, first 2 shown]
	v_sub_u32_e32 v7, v7, v12
	v_mul_lo_u32 v12, v7, v23
	v_mul_lo_u32 v14, v7, v24
	;; [unrolled: 1-line block ×3, first 2 shown]
	v_add3_u32 v4, v11, v4, v12
	v_add3_u32 v18, v13, v18, v14
	;; [unrolled: 1-line block ×3, first 2 shown]
	s_andn2_b64 exec, exec, s[14:15]
	s_cbranch_execnz .LBB297_155
; %bb.156:
	s_or_b64 exec, exec, s[14:15]
	v_and_b32_e32 v2, 1, v2
	v_cmp_eq_u32_e64 s[4:5], 0, v2
	s_and_saveexec_b64 s[14:15], s[4:5]
	s_cbranch_execz .LBB297_158
; %bb.157:
	buffer_load_dword v2, v5, s[0:3], 0 offen offset:32
	buffer_load_dword v3, v5, s[0:3], 0 offen offset:36
	buffer_load_dword v7, v5, s[0:3], 0 offen offset:28
	buffer_load_dword v9, v5, s[0:3], 0 offen offset:220
	buffer_load_dword v11, v5, s[0:3], 0 offen offset:224
	buffer_load_dword v12, v5, s[0:3], 0 offen offset:228
	s_waitcnt vmcnt(0)
	v_mul_hi_u32 v2, v2, v0
	v_add_u32_e32 v2, v0, v2
	v_lshrrev_b32_e32 v2, v3, v2
	v_mul_lo_u32 v2, v2, v7
	v_sub_u32_e32 v0, v0, v2
	v_mad_u64_u32 v[4:5], s[4:5], v0, v9, v[4:5]
	v_mad_u64_u32 v[18:19], s[4:5], v0, v11, v[18:19]
	;; [unrolled: 1-line block ×3, first 2 shown]
.LBB297_158:
	s_or_b64 exec, exec, s[14:15]
.LBB297_159:
	s_or_b64 exec, exec, s[12:13]
                                        ; implicit-def: $vgpr0
.LBB297_160:
	s_andn2_saveexec_b64 s[10:11], s[10:11]
	s_cbranch_execz .LBB297_164
; %bb.161:
	buffer_load_dword v2, off, s[0:3], 0 offset:24
	buffer_load_dword v3, off, s[0:3], 0 offset:28
	;; [unrolled: 1-line block ×6, first 2 shown]
	v_cmp_lt_u32_e64 s[4:5], 1, v8
	s_waitcnt vmcnt(0)
	v_mul_hi_u32 v2, v2, v0
	v_add_u32_e32 v2, v0, v2
	v_lshrrev_b32_e32 v2, v3, v2
	v_mul_lo_u32 v3, v2, v4
	v_sub_u32_e32 v0, v0, v3
	v_mul_lo_u32 v4, v0, v5
	v_mul_lo_u32 v18, v0, v7
	;; [unrolled: 1-line block ×3, first 2 shown]
	s_and_saveexec_b64 s[12:13], s[4:5]
	s_cbranch_execz .LBB297_163
; %bb.162:
	buffer_load_dword v0, off, s[0:3], 0 offset:36
	buffer_load_dword v3, off, s[0:3], 0 offset:40
	;; [unrolled: 1-line block ×6, first 2 shown]
	s_waitcnt vmcnt(0)
	v_mul_hi_u32 v0, v0, v2
	v_add_u32_e32 v0, v2, v0
	v_lshrrev_b32_e32 v0, v3, v0
	v_mul_lo_u32 v0, v0, v5
	v_sub_u32_e32 v0, v2, v0
	v_mad_u64_u32 v[4:5], s[4:5], v0, v7, v[4:5]
	v_mad_u64_u32 v[18:19], s[4:5], v0, v9, v[18:19]
	;; [unrolled: 1-line block ×3, first 2 shown]
.LBB297_163:
	s_or_b64 exec, exec, s[12:13]
.LBB297_164:
	s_or_b64 exec, exec, s[10:11]
	v_add_u32_e32 v0, 0x100, v17
                                        ; implicit-def: $vgpr2
                                        ; implicit-def: $vgpr13
                                        ; implicit-def: $vgpr11
	s_and_saveexec_b64 s[4:5], vcc
	s_xor_b64 s[10:11], exec, s[4:5]
	s_cbranch_execz .LBB297_183
; %bb.165:
	v_mov_b32_e32 v2, 0
	v_cmp_ne_u32_e64 s[4:5], 0, v8
	v_mov_b32_e32 v13, 0
	v_mov_b32_e32 v11, 0
	s_and_saveexec_b64 s[12:13], s[4:5]
	s_cbranch_execz .LBB297_171
; %bb.166:
	v_min_u32_e32 v3, 15, v10
	v_add_u32_e32 v2, 1, v3
	v_and_b32_e32 v5, 30, v2
	s_sub_i32 s16, 16, 24
	v_mov_b32_e32 v11, 0
	s_mov_b64 s[14:15], 0
	v_mov_b32_e32 v13, 0
	v_mov_b32_e32 v2, 0
.LBB297_167:                            ; =>This Inner Loop Header: Depth=1
	v_mov_b32_e32 v7, s16
	buffer_load_dword v9, v7, s[0:3], 0 offen offset:32
	buffer_load_dword v12, v7, s[0:3], 0 offen offset:36
	;; [unrolled: 1-line block ×12, first 2 shown]
	v_add_u32_e32 v5, -2, v5
	s_add_i32 s16, s16, 24
	v_cmp_eq_u32_e64 s[4:5], 0, v5
	v_mov_b32_e32 v7, s16
	s_or_b64 s[14:15], s[4:5], s[14:15]
	s_waitcnt vmcnt(0)
	v_mul_hi_u32 v9, v9, v0
	v_add_u32_e32 v9, v0, v9
	v_lshrrev_b32_e32 v9, v12, v9
	v_mul_hi_u32 v14, v14, v9
	v_mul_lo_u32 v12, v9, v23
	v_sub_u32_e32 v12, v0, v12
	v_add_u32_e32 v0, v9, v14
	v_lshrrev_b32_e32 v0, v16, v0
	v_mul_lo_u32 v14, v12, v17
	v_mul_lo_u32 v17, v0, v21
	;; [unrolled: 1-line block ×4, first 2 shown]
	v_sub_u32_e32 v9, v9, v17
	v_mul_lo_u32 v17, v9, v25
	v_mul_lo_u32 v19, v9, v26
	;; [unrolled: 1-line block ×3, first 2 shown]
	v_add3_u32 v2, v14, v2, v17
	v_add3_u32 v13, v16, v13, v19
	;; [unrolled: 1-line block ×3, first 2 shown]
	s_andn2_b64 exec, exec, s[14:15]
	s_cbranch_execnz .LBB297_167
; %bb.168:
	s_or_b64 exec, exec, s[14:15]
	v_and_b32_e32 v3, 1, v3
	v_cmp_eq_u32_e64 s[4:5], 0, v3
	s_and_saveexec_b64 s[14:15], s[4:5]
	s_cbranch_execz .LBB297_170
; %bb.169:
	buffer_load_dword v3, v7, s[0:3], 0 offen offset:32
	buffer_load_dword v5, v7, s[0:3], 0 offen offset:36
	;; [unrolled: 1-line block ×6, first 2 shown]
	s_waitcnt vmcnt(0)
	v_mul_hi_u32 v3, v3, v0
	v_add_u32_e32 v3, v0, v3
	v_lshrrev_b32_e32 v3, v5, v3
	v_mul_lo_u32 v3, v3, v9
	v_sub_u32_e32 v0, v0, v3
	v_mad_u64_u32 v[2:3], s[4:5], v0, v12, v[2:3]
	v_mad_u64_u32 v[13:14], s[4:5], v0, v14, v[13:14]
	;; [unrolled: 1-line block ×3, first 2 shown]
.LBB297_170:
	s_or_b64 exec, exec, s[14:15]
.LBB297_171:
	s_or_b64 exec, exec, s[12:13]
                                        ; implicit-def: $vgpr0
	s_andn2_saveexec_b64 s[10:11], s[10:11]
	s_cbranch_execnz .LBB297_184
.LBB297_172:
	s_or_b64 exec, exec, s[10:11]
                                        ; implicit-def: $vgpr0
                                        ; implicit-def: $vgpr9
                                        ; implicit-def: $vgpr7
	s_and_saveexec_b64 s[4:5], vcc
	s_xor_b64 s[4:5], exec, s[4:5]
	s_cbranch_execz .LBB297_187
.LBB297_173:
	v_mov_b32_e32 v0, 0
	v_cmp_ne_u32_e32 vcc, 0, v8
	v_mov_b32_e32 v9, 0
	v_mov_b32_e32 v7, 0
	s_and_saveexec_b64 s[10:11], vcc
	s_cbranch_execz .LBB297_179
; %bb.174:
	v_min_u32_e32 v3, 15, v10
	v_add_u32_e32 v0, 1, v3
	v_and_b32_e32 v5, 30, v0
	s_sub_i32 s14, 16, 24
	v_mov_b32_e32 v7, 0
	s_mov_b64 s[12:13], 0
	v_mov_b32_e32 v9, 0
	v_mov_b32_e32 v0, 0
.LBB297_175:                            ; =>This Inner Loop Header: Depth=1
	v_mov_b32_e32 v8, s14
	buffer_load_dword v10, v8, s[0:3], 0 offen offset:32
	buffer_load_dword v12, v8, s[0:3], 0 offen offset:36
	;; [unrolled: 1-line block ×12, first 2 shown]
	v_add_u32_e32 v5, -2, v5
	s_add_i32 s14, s14, 24
	v_cmp_eq_u32_e32 vcc, 0, v5
	v_mov_b32_e32 v8, s14
	s_or_b64 s[12:13], vcc, s[12:13]
	s_waitcnt vmcnt(0)
	v_mul_hi_u32 v10, v10, v1
	v_add_u32_e32 v10, v1, v10
	v_lshrrev_b32_e32 v10, v12, v10
	v_mul_hi_u32 v14, v14, v10
	v_mul_lo_u32 v12, v10, v23
	v_sub_u32_e32 v12, v1, v12
	v_add_u32_e32 v1, v10, v14
	v_lshrrev_b32_e32 v1, v16, v1
	v_mul_lo_u32 v14, v12, v17
	v_mul_lo_u32 v17, v1, v21
	;; [unrolled: 1-line block ×4, first 2 shown]
	v_sub_u32_e32 v10, v10, v17
	v_mul_lo_u32 v17, v10, v25
	v_mul_lo_u32 v19, v10, v26
	v_mul_lo_u32 v10, v10, v27
	v_add3_u32 v0, v14, v0, v17
	v_add3_u32 v9, v16, v9, v19
	;; [unrolled: 1-line block ×3, first 2 shown]
	s_andn2_b64 exec, exec, s[12:13]
	s_cbranch_execnz .LBB297_175
; %bb.176:
	s_or_b64 exec, exec, s[12:13]
	v_and_b32_e32 v3, 1, v3
	v_cmp_eq_u32_e32 vcc, 0, v3
	s_and_saveexec_b64 s[12:13], vcc
	s_cbranch_execz .LBB297_178
; %bb.177:
	buffer_load_dword v3, v8, s[0:3], 0 offen offset:32
	buffer_load_dword v5, v8, s[0:3], 0 offen offset:36
	;; [unrolled: 1-line block ×6, first 2 shown]
	s_waitcnt vmcnt(0)
	v_mul_hi_u32 v3, v3, v1
	v_add_u32_e32 v3, v1, v3
	v_lshrrev_b32_e32 v3, v5, v3
	v_mul_lo_u32 v3, v3, v10
	v_sub_u32_e32 v3, v1, v3
	v_mad_u64_u32 v[0:1], s[14:15], v3, v12, v[0:1]
	v_mad_u64_u32 v[9:10], s[14:15], v3, v14, v[9:10]
	;; [unrolled: 1-line block ×3, first 2 shown]
.LBB297_178:
	s_or_b64 exec, exec, s[12:13]
.LBB297_179:
	s_or_b64 exec, exec, s[10:11]
                                        ; implicit-def: $vgpr1
                                        ; implicit-def: $vgpr8
	s_andn2_saveexec_b64 s[4:5], s[4:5]
	s_cbranch_execz .LBB297_191
	s_branch .LBB297_188
.LBB297_180:
	s_or_b64 exec, exec, s[8:9]
	s_and_saveexec_b64 s[8:9], s[6:7]
	s_cbranch_execz .LBB297_2030
.LBB297_181:
	; divergent unreachable
	s_or_b64 exec, exec, s[8:9]
	s_and_saveexec_b64 s[6:7], s[34:35]
	s_xor_b64 s[6:7], exec, s[6:7]
	s_cbranch_execnz .LBB297_2031
.LBB297_182:
	s_or_b64 exec, exec, s[6:7]
	s_and_saveexec_b64 s[6:7], s[4:5]
	s_cbranch_execnz .LBB297_2032
	s_branch .LBB297_2070
.LBB297_183:
	s_andn2_saveexec_b64 s[10:11], s[10:11]
	s_cbranch_execz .LBB297_172
.LBB297_184:
	buffer_load_dword v2, off, s[0:3], 0 offset:24
	buffer_load_dword v3, off, s[0:3], 0 offset:28
	;; [unrolled: 1-line block ×6, first 2 shown]
	v_cmp_lt_u32_e64 s[4:5], 1, v8
	s_waitcnt vmcnt(0)
	v_mul_hi_u32 v2, v2, v0
	v_add_u32_e32 v2, v0, v2
	v_lshrrev_b32_e32 v3, v3, v2
	v_mul_lo_u32 v2, v3, v5
	v_sub_u32_e32 v0, v0, v2
	v_mul_lo_u32 v2, v0, v7
	v_mul_lo_u32 v13, v0, v9
	;; [unrolled: 1-line block ×3, first 2 shown]
	s_and_saveexec_b64 s[12:13], s[4:5]
	s_cbranch_execz .LBB297_186
; %bb.185:
	buffer_load_dword v0, off, s[0:3], 0 offset:36
	buffer_load_dword v5, off, s[0:3], 0 offset:40
	;; [unrolled: 1-line block ×6, first 2 shown]
	s_waitcnt vmcnt(0)
	v_mul_hi_u32 v0, v0, v3
	v_add_u32_e32 v0, v3, v0
	v_lshrrev_b32_e32 v0, v5, v0
	v_mul_lo_u32 v0, v0, v7
	v_sub_u32_e32 v0, v3, v0
	v_mad_u64_u32 v[2:3], s[4:5], v0, v9, v[2:3]
	v_mad_u64_u32 v[13:14], s[4:5], v0, v12, v[13:14]
	;; [unrolled: 1-line block ×3, first 2 shown]
.LBB297_186:
	s_or_b64 exec, exec, s[12:13]
	s_or_b64 exec, exec, s[10:11]
                                        ; implicit-def: $vgpr0
                                        ; implicit-def: $vgpr9
                                        ; implicit-def: $vgpr7
	s_and_saveexec_b64 s[4:5], vcc
	s_xor_b64 s[4:5], exec, s[4:5]
	s_cbranch_execnz .LBB297_173
.LBB297_187:
	s_andn2_saveexec_b64 s[4:5], s[4:5]
	s_cbranch_execz .LBB297_191
.LBB297_188:
	buffer_load_dword v0, off, s[0:3], 0 offset:24
	buffer_load_dword v3, off, s[0:3], 0 offset:28
	;; [unrolled: 1-line block ×6, first 2 shown]
	v_cmp_lt_u32_e32 vcc, 1, v8
	s_waitcnt vmcnt(0)
	v_mul_hi_u32 v0, v0, v1
	v_add_u32_e32 v0, v1, v0
	v_lshrrev_b32_e32 v3, v3, v0
	v_mul_lo_u32 v0, v3, v5
	v_sub_u32_e32 v1, v1, v0
	v_mul_lo_u32 v0, v1, v7
	v_mul_lo_u32 v9, v1, v9
	;; [unrolled: 1-line block ×3, first 2 shown]
	s_and_saveexec_b64 s[10:11], vcc
	s_cbranch_execz .LBB297_190
; %bb.189:
	buffer_load_dword v1, off, s[0:3], 0 offset:36
	buffer_load_dword v5, off, s[0:3], 0 offset:40
	;; [unrolled: 1-line block ×6, first 2 shown]
	s_waitcnt vmcnt(0)
	v_mul_hi_u32 v1, v1, v3
	v_add_u32_e32 v1, v3, v1
	v_lshrrev_b32_e32 v1, v5, v1
	v_mul_lo_u32 v1, v1, v8
	v_sub_u32_e32 v3, v3, v1
	v_mad_u64_u32 v[0:1], s[12:13], v3, v10, v[0:1]
	v_mad_u64_u32 v[9:10], s[12:13], v3, v12, v[9:10]
	;; [unrolled: 1-line block ×3, first 2 shown]
.LBB297_190:
	s_or_b64 exec, exec, s[10:11]
.LBB297_191:
	s_or_b64 exec, exec, s[4:5]
	buffer_load_dword v8, off, s[0:3], 0 offset:416
	buffer_load_dword v19, off, s[0:3], 0 offset:408
	;; [unrolled: 1-line block ×3, first 2 shown]
	buffer_load_ubyte v3, off, s[0:3], 0 offset:437
	buffer_load_dword v23, off, s[0:3], 0 offset:412
	buffer_load_dword v10, off, s[0:3], 0 offset:432
	s_mov_b64 s[14:15], 0
	s_mov_b64 s[10:11], s[6:7]
                                        ; implicit-def: $vgpr12
	s_waitcnt vmcnt(0)
	v_add_co_u32_e32 v16, vcc, v8, v22
	v_addc_co_u32_e32 v17, vcc, 0, v25, vcc
	v_cmp_lt_i16_e32 vcc, 10, v3
	s_and_saveexec_b64 s[4:5], vcc
	s_xor_b64 s[4:5], exec, s[4:5]
	s_cbranch_execz .LBB297_260
; %bb.192:
	v_cmp_lt_i16_e32 vcc, 25, v3
	s_mov_b64 s[10:11], 0
	s_mov_b64 s[12:13], 0
                                        ; implicit-def: $vgpr12
	s_and_saveexec_b64 s[16:17], vcc
	s_xor_b64 s[16:17], exec, s[16:17]
	s_cbranch_execz .LBB297_2071
; %bb.193:
	v_cmp_lt_i16_e32 vcc, 28, v3
	s_mov_b64 s[18:19], 0
                                        ; implicit-def: $vgpr12
	s_and_saveexec_b64 s[12:13], vcc
	s_xor_b64 s[12:13], exec, s[12:13]
	s_cbranch_execz .LBB297_227
; %bb.194:
	v_cmp_lt_i16_e32 vcc, 43, v3
	s_mov_b64 s[20:21], 0
	s_mov_b64 s[22:23], 0
                                        ; implicit-def: $vgpr12
	s_and_saveexec_b64 s[14:15], vcc
	s_xor_b64 s[14:15], exec, s[14:15]
	s_cbranch_execz .LBB297_216
; %bb.195:
	v_cmp_lt_i16_e32 vcc, 45, v3
                                        ; implicit-def: $vgpr12
	s_and_saveexec_b64 s[22:23], vcc
	s_xor_b64 s[22:23], exec, s[22:23]
	s_cbranch_execz .LBB297_205
; %bb.196:
	v_cmp_eq_u16_e32 vcc, 46, v3
	s_mov_b64 s[24:25], -1
                                        ; implicit-def: $vgpr12
	s_and_saveexec_b64 s[18:19], vcc
	s_cbranch_execz .LBB297_204
; %bb.197:
	flat_load_dword v1, v[16:17]
	s_mov_b32 s20, 0x43800000
	v_mov_b32_e32 v12, 0x80
	s_waitcnt vmcnt(0) lgkmcnt(0)
	v_lshlrev_b32_e32 v1, 16, v1
	v_and_b32_e32 v5, 0x7fffffff, v1
	v_cmp_gt_u32_e32 vcc, s20, v5
	s_and_saveexec_b64 s[20:21], vcc
	s_cbranch_execz .LBB297_203
; %bb.198:
	s_mov_b32 s24, 0x3bffffff
	v_cmp_lt_u32_e32 vcc, s24, v5
	s_mov_b64 s[24:25], 0
                                        ; implicit-def: $vgpr5
	s_and_saveexec_b64 s[26:27], vcc
	s_xor_b64 s[26:27], exec, s[26:27]
	s_cbranch_execz .LBB297_2454
; %bb.199:
	v_bfe_u32 v5, v1, 20, 1
	s_mov_b32 s28, 0x487ffff
	v_add3_u32 v5, v1, v5, s28
	s_mov_b64 s[24:25], exec
	v_lshrrev_b32_e32 v5, 20, v5
	s_andn2_saveexec_b64 s[26:27], s[26:27]
	s_cbranch_execnz .LBB297_2455
.LBB297_200:
	s_or_b64 exec, exec, s[26:27]
	v_mov_b32_e32 v12, 0
	s_and_saveexec_b64 s[26:27], s[24:25]
.LBB297_201:
	v_lshrrev_b32_e32 v1, 24, v1
	s_movk_i32 s24, 0x80
	v_and_or_b32 v12, v1, s24, v5
.LBB297_202:
	s_or_b64 exec, exec, s[26:27]
.LBB297_203:
	s_or_b64 exec, exec, s[20:21]
	s_mov_b64 s[20:21], exec
	s_xor_b64 s[24:25], exec, -1
.LBB297_204:
	s_or_b64 exec, exec, s[18:19]
	s_and_b64 s[20:21], s[20:21], exec
	s_and_b64 s[18:19], s[24:25], exec
.LBB297_205:
	s_andn2_saveexec_b64 s[22:23], s[22:23]
	s_cbranch_execz .LBB297_215
; %bb.206:
	v_cmp_eq_u16_e32 vcc, 44, v3
	s_mov_b64 s[26:27], -1
	s_mov_b64 s[28:29], s[20:21]
                                        ; implicit-def: $vgpr12
	s_and_saveexec_b64 s[24:25], vcc
	s_cbranch_execz .LBB297_214
; %bb.207:
	flat_load_ubyte v1, v[16:17]
	s_movk_i32 s26, 0xff
	v_mov_b32_e32 v5, 0x7f800001
	v_mov_b32_e32 v12, 0x400000
	s_mov_b32 s27, 0x43800000
	s_waitcnt vmcnt(0) lgkmcnt(0)
	v_lshlrev_b32_e32 v14, 23, v1
	v_cmp_ne_u32_e32 vcc, s26, v1
	v_cndmask_b32_e32 v5, v5, v14, vcc
	v_cmp_ne_u32_e32 vcc, 0, v1
	v_cndmask_b32_e32 v5, v12, v5, vcc
	v_cmp_gt_u32_e32 vcc, s27, v5
	v_mov_b32_e32 v12, 0x80
	s_and_saveexec_b64 s[26:27], vcc
	s_cbranch_execz .LBB297_213
; %bb.208:
	s_mov_b32 s28, 0x3bffffff
	v_cmp_lt_u32_e32 vcc, s28, v5
	s_mov_b64 s[28:29], 0
                                        ; implicit-def: $vgpr1
	s_and_saveexec_b64 s[30:31], vcc
	s_xor_b64 s[30:31], exec, s[30:31]
	s_cbranch_execz .LBB297_2456
; %bb.209:
	v_bfe_u32 v1, v5, 20, 1
	s_mov_b32 s33, 0x487ffff
	v_add3_u32 v1, v5, v1, s33
	s_mov_b64 s[28:29], exec
	v_lshrrev_b32_e32 v1, 20, v1
                                        ; implicit-def: $vgpr5
	s_andn2_saveexec_b64 s[30:31], s[30:31]
	s_cbranch_execnz .LBB297_2457
.LBB297_210:
	s_or_b64 exec, exec, s[30:31]
	v_mov_b32_e32 v12, 0
	s_and_saveexec_b64 s[30:31], s[28:29]
.LBB297_211:
	v_mov_b32_e32 v12, v1
.LBB297_212:
	s_or_b64 exec, exec, s[30:31]
.LBB297_213:
	s_or_b64 exec, exec, s[26:27]
	s_or_b64 s[28:29], s[20:21], exec
	s_xor_b64 s[26:27], exec, -1
.LBB297_214:
	s_or_b64 exec, exec, s[24:25]
	s_andn2_b64 s[20:21], s[20:21], exec
	s_and_b64 s[24:25], s[28:29], exec
	s_or_b64 s[20:21], s[20:21], s[24:25]
	s_andn2_b64 s[18:19], s[18:19], exec
	s_and_b64 s[24:25], s[26:27], exec
	s_or_b64 s[18:19], s[18:19], s[24:25]
.LBB297_215:
	s_or_b64 exec, exec, s[22:23]
	s_and_b64 s[22:23], s[20:21], exec
	s_and_b64 s[20:21], s[18:19], exec
.LBB297_216:
	s_andn2_saveexec_b64 s[14:15], s[14:15]
	s_cbranch_execz .LBB297_226
; %bb.217:
	v_cmp_eq_u16_e32 vcc, 29, v3
	s_mov_b64 s[24:25], -1
	s_mov_b64 s[26:27], s[22:23]
                                        ; implicit-def: $vgpr12
	s_and_saveexec_b64 s[18:19], vcc
	s_cbranch_execz .LBB297_225
; %bb.218:
	flat_load_dwordx2 v[21:22], v[16:17]
	s_mov_b32 s24, 0x43800000
	v_mov_b32_e32 v12, 0x80
	s_waitcnt vmcnt(0) lgkmcnt(0)
	v_ffbh_u32_e32 v1, v22
	v_min_u32_e32 v1, 32, v1
	v_lshlrev_b64 v[21:22], v1, v[21:22]
	v_sub_u32_e32 v1, 32, v1
	v_min_u32_e32 v5, 1, v21
	v_or_b32_e32 v5, v22, v5
	v_cvt_f32_u32_e32 v5, v5
	v_ldexp_f32 v5, v5, v1
	v_cmp_gt_u32_e32 vcc, s24, v5
	s_and_saveexec_b64 s[24:25], vcc
	s_cbranch_execz .LBB297_224
; %bb.219:
	s_mov_b32 s26, 0x3bffffff
	v_cmp_lt_u32_e32 vcc, s26, v5
	s_mov_b64 s[26:27], 0
                                        ; implicit-def: $vgpr1
	s_and_saveexec_b64 s[28:29], vcc
	s_xor_b64 s[28:29], exec, s[28:29]
	s_cbranch_execz .LBB297_2363
; %bb.220:
	v_bfe_u32 v1, v5, 20, 1
	s_mov_b32 s30, 0x487ffff
	v_add3_u32 v1, v5, v1, s30
	s_mov_b64 s[26:27], exec
	v_lshrrev_b32_e32 v1, 20, v1
                                        ; implicit-def: $vgpr5
	s_andn2_saveexec_b64 s[28:29], s[28:29]
	s_cbranch_execnz .LBB297_2364
.LBB297_221:
	s_or_b64 exec, exec, s[28:29]
	v_mov_b32_e32 v12, 0
	s_and_saveexec_b64 s[28:29], s[26:27]
.LBB297_222:
	v_mov_b32_e32 v12, v1
.LBB297_223:
	s_or_b64 exec, exec, s[28:29]
.LBB297_224:
	s_or_b64 exec, exec, s[24:25]
	s_or_b64 s[26:27], s[22:23], exec
	s_xor_b64 s[24:25], exec, -1
.LBB297_225:
	s_or_b64 exec, exec, s[18:19]
	s_andn2_b64 s[18:19], s[22:23], exec
	s_and_b64 s[22:23], s[26:27], exec
	s_or_b64 s[22:23], s[18:19], s[22:23]
	s_andn2_b64 s[18:19], s[20:21], exec
	s_and_b64 s[20:21], s[24:25], exec
	s_or_b64 s[20:21], s[18:19], s[20:21]
.LBB297_226:
	s_or_b64 exec, exec, s[14:15]
	s_and_b64 s[18:19], s[22:23], exec
	s_and_b64 s[14:15], s[20:21], exec
.LBB297_227:
	s_andn2_saveexec_b64 s[12:13], s[12:13]
	s_cbranch_execz .LBB297_249
; %bb.228:
	v_cmp_lt_i16_e32 vcc, 26, v3
                                        ; implicit-def: $vgpr12
	s_and_saveexec_b64 s[20:21], vcc
	s_xor_b64 s[20:21], exec, s[20:21]
	s_cbranch_execz .LBB297_246
; %bb.229:
	v_cmp_lt_i16_e32 vcc, 27, v3
                                        ; implicit-def: $vgpr12
	s_and_saveexec_b64 s[22:23], vcc
	s_xor_b64 s[22:23], exec, s[22:23]
	s_cbranch_execz .LBB297_237
; %bb.230:
	flat_load_dword v1, v[16:17]
	s_mov_b32 s24, 0x43800000
	v_mov_b32_e32 v12, 0x80
	s_waitcnt vmcnt(0) lgkmcnt(0)
	v_cvt_f32_u32_e32 v5, v1
	v_cmp_gt_u32_e32 vcc, s24, v5
	s_and_saveexec_b64 s[24:25], vcc
	s_cbranch_execz .LBB297_236
; %bb.231:
	s_mov_b32 s26, 0x3bffffff
	v_cmp_lt_u32_e32 vcc, s26, v5
	s_mov_b64 s[26:27], 0
                                        ; implicit-def: $vgpr1
	s_and_saveexec_b64 s[28:29], vcc
	s_xor_b64 s[28:29], exec, s[28:29]
	s_cbranch_execz .LBB297_2365
; %bb.232:
	v_bfe_u32 v1, v5, 20, 1
	s_mov_b32 s30, 0x487ffff
	v_add3_u32 v1, v5, v1, s30
	s_mov_b64 s[26:27], exec
	v_lshrrev_b32_e32 v1, 20, v1
                                        ; implicit-def: $vgpr5
	s_andn2_saveexec_b64 s[28:29], s[28:29]
	s_cbranch_execnz .LBB297_2366
.LBB297_233:
	s_or_b64 exec, exec, s[28:29]
	v_mov_b32_e32 v12, 0
	s_and_saveexec_b64 s[28:29], s[26:27]
.LBB297_234:
	v_mov_b32_e32 v12, v1
.LBB297_235:
	s_or_b64 exec, exec, s[28:29]
.LBB297_236:
	s_or_b64 exec, exec, s[24:25]
.LBB297_237:
	s_andn2_saveexec_b64 s[22:23], s[22:23]
	s_cbranch_execz .LBB297_245
; %bb.238:
	flat_load_ushort v1, v[16:17]
	s_mov_b32 s24, 0x43800000
	v_mov_b32_e32 v12, 0x80
	s_waitcnt vmcnt(0) lgkmcnt(0)
	v_cvt_f32_u32_e32 v5, v1
	v_cmp_gt_u32_e32 vcc, s24, v5
	s_and_saveexec_b64 s[24:25], vcc
	s_cbranch_execz .LBB297_244
; %bb.239:
	s_mov_b32 s26, 0x3bffffff
	v_cmp_lt_u32_e32 vcc, s26, v5
	s_mov_b64 s[26:27], 0
                                        ; implicit-def: $vgpr1
	s_and_saveexec_b64 s[28:29], vcc
	s_xor_b64 s[28:29], exec, s[28:29]
	s_cbranch_execz .LBB297_2367
; %bb.240:
	v_bfe_u32 v1, v5, 20, 1
	s_mov_b32 s30, 0x487ffff
	v_add3_u32 v1, v5, v1, s30
	s_mov_b64 s[26:27], exec
	v_lshrrev_b32_e32 v1, 20, v1
                                        ; implicit-def: $vgpr5
	s_andn2_saveexec_b64 s[28:29], s[28:29]
	s_cbranch_execnz .LBB297_2368
.LBB297_241:
	s_or_b64 exec, exec, s[28:29]
	v_mov_b32_e32 v12, 0
	s_and_saveexec_b64 s[28:29], s[26:27]
.LBB297_242:
	v_mov_b32_e32 v12, v1
.LBB297_243:
	s_or_b64 exec, exec, s[28:29]
.LBB297_244:
	s_or_b64 exec, exec, s[24:25]
.LBB297_245:
	s_or_b64 exec, exec, s[22:23]
.LBB297_246:
	s_andn2_saveexec_b64 s[20:21], s[20:21]
	s_cbranch_execz .LBB297_248
; %bb.247:
	flat_load_ubyte v12, v[16:17]
.LBB297_248:
	s_or_b64 exec, exec, s[20:21]
	s_or_b64 s[18:19], s[18:19], exec
.LBB297_249:
	s_or_b64 exec, exec, s[12:13]
	s_and_b64 s[12:13], s[18:19], exec
	s_and_b64 s[14:15], s[14:15], exec
	s_andn2_saveexec_b64 s[16:17], s[16:17]
	s_cbranch_execnz .LBB297_2072
.LBB297_250:
	s_or_b64 exec, exec, s[16:17]
	s_mov_b64 s[16:17], s[6:7]
	s_and_saveexec_b64 s[18:19], s[14:15]
	s_cbranch_execnz .LBB297_2121
.LBB297_251:
	s_or_b64 exec, exec, s[18:19]
	s_and_saveexec_b64 s[14:15], s[10:11]
	s_xor_b64 s[10:11], exec, s[14:15]
	s_cbranch_execz .LBB297_259
.LBB297_252:
	flat_load_ubyte v1, v[16:17]
	s_mov_b32 s14, 0x43800000
	s_waitcnt vmcnt(0) lgkmcnt(0)
	v_mov_b32_e32 v12, 0x80
	v_cmp_ne_u16_e32 vcc, 0, v1
	v_cndmask_b32_e64 v5, 0, 1.0, vcc
	v_cmp_gt_u32_e32 vcc, s14, v5
	s_and_saveexec_b64 s[14:15], vcc
	s_cbranch_execz .LBB297_258
; %bb.253:
	s_mov_b32 s18, 0x3bffffff
	v_cmp_lt_u32_e32 vcc, s18, v5
	s_mov_b64 s[18:19], 0
                                        ; implicit-def: $vgpr1
	s_and_saveexec_b64 s[20:21], vcc
	s_xor_b64 s[20:21], exec, s[20:21]
	s_cbranch_execz .LBB297_2173
; %bb.254:
	v_bfe_u32 v1, v5, 20, 1
	s_mov_b32 s22, 0x487ffff
	v_add3_u32 v1, v5, v1, s22
	s_mov_b64 s[18:19], exec
	v_lshrrev_b32_e32 v1, 20, v1
                                        ; implicit-def: $vgpr5
	s_andn2_saveexec_b64 s[20:21], s[20:21]
	s_cbranch_execnz .LBB297_2174
.LBB297_255:
	s_or_b64 exec, exec, s[20:21]
	v_mov_b32_e32 v12, 0
	s_and_saveexec_b64 s[20:21], s[18:19]
.LBB297_256:
	v_mov_b32_e32 v12, v1
.LBB297_257:
	s_or_b64 exec, exec, s[20:21]
.LBB297_258:
	s_or_b64 exec, exec, s[14:15]
	s_or_b64 s[12:13], s[12:13], exec
.LBB297_259:
	s_or_b64 exec, exec, s[10:11]
	s_andn2_b64 s[10:11], s[6:7], exec
	s_and_b64 s[14:15], s[16:17], exec
	s_or_b64 s[10:11], s[10:11], s[14:15]
	s_and_b64 s[14:15], s[12:13], exec
                                        ; implicit-def: $vgpr16_vgpr17
.LBB297_260:
	s_andn2_saveexec_b64 s[4:5], s[4:5]
	s_cbranch_execz .LBB297_368
; %bb.261:
	v_cmp_lt_i16_e32 vcc, 4, v3
                                        ; implicit-def: $vgpr12
	s_and_saveexec_b64 s[12:13], vcc
	s_xor_b64 s[12:13], exec, s[12:13]
	s_cbranch_execz .LBB297_319
; %bb.262:
	v_cmp_lt_i16_e32 vcc, 7, v3
                                        ; implicit-def: $vgpr12
	s_and_saveexec_b64 s[16:17], vcc
	s_xor_b64 s[16:17], exec, s[16:17]
	;; [unrolled: 6-line block ×4, first 2 shown]
	s_cbranch_execz .LBB297_272
; %bb.265:
	flat_load_dwordx2 v[16:17], v[16:17]
	s_mov_b32 s22, 0x43800000
	s_waitcnt vmcnt(0) lgkmcnt(0)
	v_mov_b32_e32 v12, 0x80
	v_cvt_f32_f64_e32 v1, v[16:17]
	v_and_b32_e32 v5, 0x7fffffff, v1
	v_cmp_gt_u32_e32 vcc, s22, v5
	s_and_saveexec_b64 s[22:23], vcc
	s_cbranch_execz .LBB297_271
; %bb.266:
	s_mov_b32 s24, 0x3bffffff
	v_cmp_lt_u32_e32 vcc, s24, v5
	s_mov_b64 s[24:25], 0
                                        ; implicit-def: $vgpr5
	s_and_saveexec_b64 s[26:27], vcc
	s_xor_b64 s[26:27], exec, s[26:27]
	s_cbranch_execz .LBB297_2369
; %bb.267:
	v_bfe_u32 v5, v1, 20, 1
	s_mov_b32 s28, 0x487ffff
	v_add3_u32 v5, v1, v5, s28
	s_mov_b64 s[24:25], exec
	v_lshrrev_b32_e32 v5, 20, v5
	s_andn2_saveexec_b64 s[26:27], s[26:27]
	s_cbranch_execnz .LBB297_2370
.LBB297_268:
	s_or_b64 exec, exec, s[26:27]
	v_mov_b32_e32 v12, 0
	s_and_saveexec_b64 s[26:27], s[24:25]
.LBB297_269:
	v_lshrrev_b32_e32 v1, 24, v1
	s_movk_i32 s24, 0x80
	v_and_or_b32 v12, v1, s24, v5
.LBB297_270:
	s_or_b64 exec, exec, s[26:27]
.LBB297_271:
	s_or_b64 exec, exec, s[22:23]
                                        ; implicit-def: $vgpr16_vgpr17
.LBB297_272:
	s_andn2_saveexec_b64 s[20:21], s[20:21]
	s_cbranch_execz .LBB297_280
; %bb.273:
	flat_load_dword v1, v[16:17]
	s_mov_b32 s22, 0x43800000
	s_waitcnt vmcnt(0) lgkmcnt(0)
	v_mov_b32_e32 v12, 0x80
	v_and_b32_e32 v5, 0x7fffffff, v1
	v_cmp_gt_u32_e32 vcc, s22, v5
	s_and_saveexec_b64 s[22:23], vcc
	s_cbranch_execz .LBB297_279
; %bb.274:
	s_mov_b32 s24, 0x3bffffff
	v_cmp_lt_u32_e32 vcc, s24, v5
	s_mov_b64 s[24:25], 0
                                        ; implicit-def: $vgpr5
	s_and_saveexec_b64 s[26:27], vcc
	s_xor_b64 s[26:27], exec, s[26:27]
	s_cbranch_execz .LBB297_2371
; %bb.275:
	v_bfe_u32 v5, v1, 20, 1
	s_mov_b32 s28, 0x487ffff
	v_add3_u32 v5, v1, v5, s28
	s_mov_b64 s[24:25], exec
	v_lshrrev_b32_e32 v5, 20, v5
	s_andn2_saveexec_b64 s[26:27], s[26:27]
	s_cbranch_execnz .LBB297_2372
.LBB297_276:
	s_or_b64 exec, exec, s[26:27]
	v_mov_b32_e32 v12, 0
	s_and_saveexec_b64 s[26:27], s[24:25]
.LBB297_277:
	v_lshrrev_b32_e32 v1, 24, v1
	s_movk_i32 s24, 0x80
	v_and_or_b32 v12, v1, s24, v5
.LBB297_278:
	s_or_b64 exec, exec, s[26:27]
.LBB297_279:
	s_or_b64 exec, exec, s[22:23]
.LBB297_280:
	s_or_b64 exec, exec, s[20:21]
                                        ; implicit-def: $vgpr16_vgpr17
.LBB297_281:
	s_andn2_saveexec_b64 s[18:19], s[18:19]
	s_cbranch_execz .LBB297_289
; %bb.282:
	flat_load_dword v1, v[16:17]
	s_mov_b32 s20, 0x43800000
	s_waitcnt vmcnt(0) lgkmcnt(0)
	v_mov_b32_e32 v12, 0x80
	v_cvt_f32_f16_e32 v1, v1
	v_and_b32_e32 v5, 0x7fffffff, v1
	v_cmp_gt_u32_e32 vcc, s20, v5
	s_and_saveexec_b64 s[20:21], vcc
	s_cbranch_execz .LBB297_288
; %bb.283:
	s_mov_b32 s22, 0x3bffffff
	v_cmp_lt_u32_e32 vcc, s22, v5
	s_mov_b64 s[22:23], 0
                                        ; implicit-def: $vgpr5
	s_and_saveexec_b64 s[24:25], vcc
	s_xor_b64 s[24:25], exec, s[24:25]
	s_cbranch_execz .LBB297_2288
; %bb.284:
	v_bfe_u32 v5, v1, 20, 1
	s_mov_b32 s26, 0x487ffff
	v_add3_u32 v5, v1, v5, s26
	s_mov_b64 s[22:23], exec
	v_lshrrev_b32_e32 v5, 20, v5
	s_andn2_saveexec_b64 s[24:25], s[24:25]
	s_cbranch_execnz .LBB297_2289
.LBB297_285:
	s_or_b64 exec, exec, s[24:25]
	v_mov_b32_e32 v12, 0
	s_and_saveexec_b64 s[24:25], s[22:23]
.LBB297_286:
	v_lshrrev_b32_e32 v1, 24, v1
	s_movk_i32 s22, 0x80
	v_and_or_b32 v12, v1, s22, v5
.LBB297_287:
	s_or_b64 exec, exec, s[24:25]
.LBB297_288:
	s_or_b64 exec, exec, s[20:21]
.LBB297_289:
	s_or_b64 exec, exec, s[18:19]
                                        ; implicit-def: $vgpr16_vgpr17
.LBB297_290:
	s_andn2_saveexec_b64 s[16:17], s[16:17]
	s_cbranch_execz .LBB297_318
; %bb.291:
	v_cmp_lt_i16_e32 vcc, 5, v3
                                        ; implicit-def: $vgpr12
	s_and_saveexec_b64 s[18:19], vcc
	s_xor_b64 s[18:19], exec, s[18:19]
	s_cbranch_execz .LBB297_309
; %bb.292:
	v_cmp_lt_i16_e32 vcc, 6, v3
                                        ; implicit-def: $vgpr12
	s_and_saveexec_b64 s[20:21], vcc
	s_xor_b64 s[20:21], exec, s[20:21]
	s_cbranch_execz .LBB297_300
; %bb.293:
	flat_load_dwordx2 v[16:17], v[16:17]
	s_mov_b32 s22, 0x43800000
	s_waitcnt vmcnt(0) lgkmcnt(0)
	v_mov_b32_e32 v12, 0x80
	v_cvt_f32_f64_e32 v1, v[16:17]
	v_and_b32_e32 v5, 0x7fffffff, v1
	v_cmp_gt_u32_e32 vcc, s22, v5
	s_and_saveexec_b64 s[22:23], vcc
	s_cbranch_execz .LBB297_299
; %bb.294:
	s_mov_b32 s24, 0x3bffffff
	v_cmp_lt_u32_e32 vcc, s24, v5
	s_mov_b64 s[24:25], 0
                                        ; implicit-def: $vgpr5
	s_and_saveexec_b64 s[26:27], vcc
	s_xor_b64 s[26:27], exec, s[26:27]
	s_cbranch_execz .LBB297_2373
; %bb.295:
	v_bfe_u32 v5, v1, 20, 1
	s_mov_b32 s28, 0x487ffff
	v_add3_u32 v5, v1, v5, s28
	s_mov_b64 s[24:25], exec
	v_lshrrev_b32_e32 v5, 20, v5
	s_andn2_saveexec_b64 s[26:27], s[26:27]
	s_cbranch_execnz .LBB297_2374
.LBB297_296:
	s_or_b64 exec, exec, s[26:27]
	v_mov_b32_e32 v12, 0
	s_and_saveexec_b64 s[26:27], s[24:25]
.LBB297_297:
	v_lshrrev_b32_e32 v1, 24, v1
	s_movk_i32 s24, 0x80
	v_and_or_b32 v12, v1, s24, v5
.LBB297_298:
	s_or_b64 exec, exec, s[26:27]
.LBB297_299:
	s_or_b64 exec, exec, s[22:23]
                                        ; implicit-def: $vgpr16_vgpr17
.LBB297_300:
	s_andn2_saveexec_b64 s[20:21], s[20:21]
	s_cbranch_execz .LBB297_308
; %bb.301:
	flat_load_dword v1, v[16:17]
	s_mov_b32 s22, 0x43800000
	s_waitcnt vmcnt(0) lgkmcnt(0)
	v_mov_b32_e32 v12, 0x80
	v_and_b32_e32 v5, 0x7fffffff, v1
	v_cmp_gt_u32_e32 vcc, s22, v5
	s_and_saveexec_b64 s[22:23], vcc
	s_cbranch_execz .LBB297_307
; %bb.302:
	s_mov_b32 s24, 0x3bffffff
	v_cmp_lt_u32_e32 vcc, s24, v5
	s_mov_b64 s[24:25], 0
                                        ; implicit-def: $vgpr5
	s_and_saveexec_b64 s[26:27], vcc
	s_xor_b64 s[26:27], exec, s[26:27]
	s_cbranch_execz .LBB297_2375
; %bb.303:
	v_bfe_u32 v5, v1, 20, 1
	s_mov_b32 s28, 0x487ffff
	v_add3_u32 v5, v1, v5, s28
	s_mov_b64 s[24:25], exec
	v_lshrrev_b32_e32 v5, 20, v5
	s_andn2_saveexec_b64 s[26:27], s[26:27]
	s_cbranch_execnz .LBB297_2376
.LBB297_304:
	s_or_b64 exec, exec, s[26:27]
	v_mov_b32_e32 v12, 0
	s_and_saveexec_b64 s[26:27], s[24:25]
.LBB297_305:
	v_lshrrev_b32_e32 v1, 24, v1
	s_movk_i32 s24, 0x80
	v_and_or_b32 v12, v1, s24, v5
.LBB297_306:
	s_or_b64 exec, exec, s[26:27]
.LBB297_307:
	s_or_b64 exec, exec, s[22:23]
.LBB297_308:
	s_or_b64 exec, exec, s[20:21]
                                        ; implicit-def: $vgpr16_vgpr17
.LBB297_309:
	s_andn2_saveexec_b64 s[18:19], s[18:19]
	s_cbranch_execz .LBB297_317
; %bb.310:
	flat_load_ushort v1, v[16:17]
	s_mov_b32 s20, 0x43800000
	s_waitcnt vmcnt(0) lgkmcnt(0)
	v_mov_b32_e32 v12, 0x80
	v_cvt_f32_f16_e32 v1, v1
	v_and_b32_e32 v5, 0x7fffffff, v1
	v_cmp_gt_u32_e32 vcc, s20, v5
	s_and_saveexec_b64 s[20:21], vcc
	s_cbranch_execz .LBB297_316
; %bb.311:
	s_mov_b32 s22, 0x3bffffff
	v_cmp_lt_u32_e32 vcc, s22, v5
	s_mov_b64 s[22:23], 0
                                        ; implicit-def: $vgpr5
	s_and_saveexec_b64 s[24:25], vcc
	s_xor_b64 s[24:25], exec, s[24:25]
	s_cbranch_execz .LBB297_2290
; %bb.312:
	v_bfe_u32 v5, v1, 20, 1
	s_mov_b32 s26, 0x487ffff
	v_add3_u32 v5, v1, v5, s26
	s_mov_b64 s[22:23], exec
	v_lshrrev_b32_e32 v5, 20, v5
	s_andn2_saveexec_b64 s[24:25], s[24:25]
	s_cbranch_execnz .LBB297_2291
.LBB297_313:
	s_or_b64 exec, exec, s[24:25]
	v_mov_b32_e32 v12, 0
	s_and_saveexec_b64 s[24:25], s[22:23]
.LBB297_314:
	v_lshrrev_b32_e32 v1, 24, v1
	s_movk_i32 s22, 0x80
	v_and_or_b32 v12, v1, s22, v5
.LBB297_315:
	s_or_b64 exec, exec, s[24:25]
.LBB297_316:
	s_or_b64 exec, exec, s[20:21]
.LBB297_317:
	s_or_b64 exec, exec, s[18:19]
.LBB297_318:
	s_or_b64 exec, exec, s[16:17]
                                        ; implicit-def: $vgpr16_vgpr17
.LBB297_319:
	s_andn2_saveexec_b64 s[12:13], s[12:13]
	s_cbranch_execz .LBB297_367
; %bb.320:
	v_cmp_lt_i16_e32 vcc, 1, v3
                                        ; implicit-def: $vgpr12
	s_and_saveexec_b64 s[16:17], vcc
	s_xor_b64 s[16:17], exec, s[16:17]
	s_cbranch_execz .LBB297_348
; %bb.321:
	v_cmp_lt_i16_e32 vcc, 2, v3
                                        ; implicit-def: $vgpr12
	s_and_saveexec_b64 s[18:19], vcc
	s_xor_b64 s[18:19], exec, s[18:19]
	;; [unrolled: 6-line block ×3, first 2 shown]
	s_cbranch_execz .LBB297_330
; %bb.323:
	flat_load_dwordx2 v[16:17], v[16:17]
	s_mov_b32 s22, 0x43800000
	s_waitcnt vmcnt(0) lgkmcnt(0)
	v_mov_b32_e32 v12, 0x80
	v_xor_b32_e32 v5, v16, v17
	v_ffbh_i32_e32 v1, v17
	v_ashrrev_i32_e32 v5, 31, v5
	v_add_u32_e32 v1, -1, v1
	v_add_u32_e32 v5, 32, v5
	v_min_u32_e32 v1, v1, v5
	v_lshlrev_b64 v[16:17], v1, v[16:17]
	v_sub_u32_e32 v1, 32, v1
	v_min_u32_e32 v5, 1, v16
	v_or_b32_e32 v5, v17, v5
	v_cvt_f32_i32_e32 v5, v5
	v_ldexp_f32 v1, v5, v1
	v_and_b32_e32 v5, 0x7fffffff, v1
	v_cmp_gt_u32_e32 vcc, s22, v5
	s_and_saveexec_b64 s[22:23], vcc
	s_cbranch_execz .LBB297_329
; %bb.324:
	s_mov_b32 s24, 0x3bffffff
	v_cmp_lt_u32_e32 vcc, s24, v5
	s_mov_b64 s[24:25], 0
                                        ; implicit-def: $vgpr5
	s_and_saveexec_b64 s[26:27], vcc
	s_xor_b64 s[26:27], exec, s[26:27]
	s_cbranch_execz .LBB297_2377
; %bb.325:
	v_bfe_u32 v5, v1, 20, 1
	s_mov_b32 s28, 0x487ffff
	v_add3_u32 v5, v1, v5, s28
	s_mov_b64 s[24:25], exec
	v_lshrrev_b32_e32 v5, 20, v5
	s_andn2_saveexec_b64 s[26:27], s[26:27]
	s_cbranch_execnz .LBB297_2378
.LBB297_326:
	s_or_b64 exec, exec, s[26:27]
	v_mov_b32_e32 v12, 0
	s_and_saveexec_b64 s[26:27], s[24:25]
.LBB297_327:
	v_lshrrev_b32_e32 v1, 24, v1
	s_movk_i32 s24, 0x80
	v_and_or_b32 v12, v1, s24, v5
.LBB297_328:
	s_or_b64 exec, exec, s[26:27]
.LBB297_329:
	s_or_b64 exec, exec, s[22:23]
                                        ; implicit-def: $vgpr16_vgpr17
.LBB297_330:
	s_andn2_saveexec_b64 s[20:21], s[20:21]
	s_cbranch_execz .LBB297_338
; %bb.331:
	flat_load_dword v1, v[16:17]
	s_mov_b32 s22, 0x43800000
	s_waitcnt vmcnt(0) lgkmcnt(0)
	v_mov_b32_e32 v12, 0x80
	v_cvt_f32_i32_e32 v1, v1
	v_and_b32_e32 v5, 0x7fffffff, v1
	v_cmp_gt_u32_e32 vcc, s22, v5
	s_and_saveexec_b64 s[22:23], vcc
	s_cbranch_execz .LBB297_337
; %bb.332:
	s_mov_b32 s24, 0x3bffffff
	v_cmp_lt_u32_e32 vcc, s24, v5
	s_mov_b64 s[24:25], 0
                                        ; implicit-def: $vgpr5
	s_and_saveexec_b64 s[26:27], vcc
	s_xor_b64 s[26:27], exec, s[26:27]
	s_cbranch_execz .LBB297_2379
; %bb.333:
	v_bfe_u32 v5, v1, 20, 1
	s_mov_b32 s28, 0x487ffff
	v_add3_u32 v5, v1, v5, s28
	s_mov_b64 s[24:25], exec
	v_lshrrev_b32_e32 v5, 20, v5
	s_andn2_saveexec_b64 s[26:27], s[26:27]
	s_cbranch_execnz .LBB297_2380
.LBB297_334:
	s_or_b64 exec, exec, s[26:27]
	v_mov_b32_e32 v12, 0
	s_and_saveexec_b64 s[26:27], s[24:25]
.LBB297_335:
	v_lshrrev_b32_e32 v1, 24, v1
	s_movk_i32 s24, 0x80
	v_and_or_b32 v12, v1, s24, v5
.LBB297_336:
	s_or_b64 exec, exec, s[26:27]
.LBB297_337:
	s_or_b64 exec, exec, s[22:23]
.LBB297_338:
	s_or_b64 exec, exec, s[20:21]
                                        ; implicit-def: $vgpr16_vgpr17
.LBB297_339:
	s_andn2_saveexec_b64 s[18:19], s[18:19]
	s_cbranch_execz .LBB297_347
; %bb.340:
	flat_load_sshort v1, v[16:17]
	s_mov_b32 s20, 0x43800000
	s_waitcnt vmcnt(0) lgkmcnt(0)
	v_mov_b32_e32 v12, 0x80
	v_cvt_f32_i32_e32 v1, v1
	v_and_b32_e32 v5, 0x7fffffff, v1
	v_cmp_gt_u32_e32 vcc, s20, v5
	s_and_saveexec_b64 s[20:21], vcc
	s_cbranch_execz .LBB297_346
; %bb.341:
	s_mov_b32 s22, 0x3bffffff
	v_cmp_lt_u32_e32 vcc, s22, v5
	s_mov_b64 s[22:23], 0
                                        ; implicit-def: $vgpr5
	s_and_saveexec_b64 s[24:25], vcc
	s_xor_b64 s[24:25], exec, s[24:25]
	s_cbranch_execz .LBB297_2292
; %bb.342:
	v_bfe_u32 v5, v1, 20, 1
	s_mov_b32 s26, 0x487ffff
	v_add3_u32 v5, v1, v5, s26
	s_mov_b64 s[22:23], exec
	v_lshrrev_b32_e32 v5, 20, v5
	s_andn2_saveexec_b64 s[24:25], s[24:25]
	s_cbranch_execnz .LBB297_2293
.LBB297_343:
	s_or_b64 exec, exec, s[24:25]
	v_mov_b32_e32 v12, 0
	s_and_saveexec_b64 s[24:25], s[22:23]
.LBB297_344:
	v_lshrrev_b32_e32 v1, 24, v1
	s_movk_i32 s22, 0x80
	v_and_or_b32 v12, v1, s22, v5
.LBB297_345:
	s_or_b64 exec, exec, s[24:25]
.LBB297_346:
	s_or_b64 exec, exec, s[20:21]
.LBB297_347:
	s_or_b64 exec, exec, s[18:19]
                                        ; implicit-def: $vgpr16_vgpr17
.LBB297_348:
	s_andn2_saveexec_b64 s[16:17], s[16:17]
	s_cbranch_execz .LBB297_366
; %bb.349:
	v_cmp_lt_i16_e32 vcc, 0, v3
                                        ; implicit-def: $vgpr12
	s_and_saveexec_b64 s[18:19], vcc
	s_xor_b64 s[18:19], exec, s[18:19]
	s_cbranch_execz .LBB297_357
; %bb.350:
	flat_load_sbyte v1, v[16:17]
	s_mov_b32 s20, 0x43800000
	s_waitcnt vmcnt(0) lgkmcnt(0)
	v_mov_b32_e32 v12, 0x80
	v_cvt_f32_i32_e32 v1, v1
	v_and_b32_e32 v5, 0x7fffffff, v1
	v_cmp_gt_u32_e32 vcc, s20, v5
	s_and_saveexec_b64 s[20:21], vcc
	s_cbranch_execz .LBB297_356
; %bb.351:
	s_mov_b32 s22, 0x3bffffff
	v_cmp_lt_u32_e32 vcc, s22, v5
	s_mov_b64 s[22:23], 0
                                        ; implicit-def: $vgpr5
	s_and_saveexec_b64 s[24:25], vcc
	s_xor_b64 s[24:25], exec, s[24:25]
	s_cbranch_execz .LBB297_2294
; %bb.352:
	v_bfe_u32 v5, v1, 20, 1
	s_mov_b32 s26, 0x487ffff
	v_add3_u32 v5, v1, v5, s26
	s_mov_b64 s[22:23], exec
	v_lshrrev_b32_e32 v5, 20, v5
	s_andn2_saveexec_b64 s[24:25], s[24:25]
	s_cbranch_execnz .LBB297_2295
.LBB297_353:
	s_or_b64 exec, exec, s[24:25]
	v_mov_b32_e32 v12, 0
	s_and_saveexec_b64 s[24:25], s[22:23]
.LBB297_354:
	v_lshrrev_b32_e32 v1, 24, v1
	s_movk_i32 s22, 0x80
	v_and_or_b32 v12, v1, s22, v5
.LBB297_355:
	s_or_b64 exec, exec, s[24:25]
.LBB297_356:
	s_or_b64 exec, exec, s[20:21]
                                        ; implicit-def: $vgpr16_vgpr17
.LBB297_357:
	s_andn2_saveexec_b64 s[18:19], s[18:19]
	s_cbranch_execz .LBB297_365
; %bb.358:
	flat_load_ubyte v1, v[16:17]
	s_mov_b32 s20, 0x43800000
	s_waitcnt vmcnt(0) lgkmcnt(0)
	v_mov_b32_e32 v12, 0x80
	v_cvt_f32_ubyte0_e32 v5, v1
	v_cmp_gt_u32_e32 vcc, s20, v5
	s_and_saveexec_b64 s[20:21], vcc
	s_cbranch_execz .LBB297_364
; %bb.359:
	s_mov_b32 s22, 0x3bffffff
	v_cmp_lt_u32_e32 vcc, s22, v5
	s_mov_b64 s[22:23], 0
                                        ; implicit-def: $vgpr1
	s_and_saveexec_b64 s[24:25], vcc
	s_xor_b64 s[24:25], exec, s[24:25]
	s_cbranch_execz .LBB297_2296
; %bb.360:
	v_bfe_u32 v1, v5, 20, 1
	s_mov_b32 s26, 0x487ffff
	v_add3_u32 v1, v5, v1, s26
	s_mov_b64 s[22:23], exec
	v_lshrrev_b32_e32 v1, 20, v1
                                        ; implicit-def: $vgpr5
	s_andn2_saveexec_b64 s[24:25], s[24:25]
	s_cbranch_execnz .LBB297_2297
.LBB297_361:
	s_or_b64 exec, exec, s[24:25]
	v_mov_b32_e32 v12, 0
	s_and_saveexec_b64 s[24:25], s[22:23]
.LBB297_362:
	v_mov_b32_e32 v12, v1
.LBB297_363:
	s_or_b64 exec, exec, s[24:25]
.LBB297_364:
	s_or_b64 exec, exec, s[20:21]
.LBB297_365:
	s_or_b64 exec, exec, s[18:19]
.LBB297_366:
	s_or_b64 exec, exec, s[16:17]
.LBB297_367:
	s_or_b64 exec, exec, s[12:13]
	s_or_b64 s[14:15], s[14:15], exec
.LBB297_368:
	s_or_b64 exec, exec, s[4:5]
	s_mov_b64 s[16:17], 0
	s_mov_b64 s[18:19], 0
                                        ; implicit-def: $sgpr48_sgpr49
                                        ; implicit-def: $vgpr21_vgpr22
                                        ; implicit-def: $vgpr16
	s_and_saveexec_b64 s[12:13], s[14:15]
	s_cbranch_execz .LBB297_2029
; %bb.369:
	buffer_load_dword v5, off, s[0:3], 0 offset:424
	buffer_load_dword v24, off, s[0:3], 0 offset:428
	buffer_load_ubyte v1, off, s[0:3], 0 offset:438
	s_mov_b64 s[14:15], s[10:11]
                                        ; implicit-def: $vgpr14
	s_waitcnt vmcnt(0)
	v_add_co_u32_e32 v16, vcc, v5, v20
	v_addc_co_u32_e32 v17, vcc, 0, v24, vcc
	v_cmp_lt_i16_e32 vcc, 10, v1
	s_and_saveexec_b64 s[4:5], vcc
	s_xor_b64 s[4:5], exec, s[4:5]
	s_cbranch_execz .LBB297_438
; %bb.370:
	v_cmp_lt_i16_e32 vcc, 25, v1
	s_mov_b64 s[14:15], 0
                                        ; implicit-def: $vgpr14
	s_and_saveexec_b64 s[20:21], vcc
	s_xor_b64 s[20:21], exec, s[20:21]
	s_cbranch_execz .LBB297_2122
; %bb.371:
	v_cmp_lt_i16_e32 vcc, 28, v1
	s_mov_b64 s[22:23], 0
                                        ; implicit-def: $vgpr14
	s_and_saveexec_b64 s[16:17], vcc
	s_xor_b64 s[16:17], exec, s[16:17]
	s_cbranch_execz .LBB297_405
; %bb.372:
	v_cmp_lt_i16_e32 vcc, 43, v1
	s_mov_b64 s[24:25], 0
	s_mov_b64 s[26:27], 0
                                        ; implicit-def: $vgpr14
	s_and_saveexec_b64 s[18:19], vcc
	s_xor_b64 s[18:19], exec, s[18:19]
	s_cbranch_execz .LBB297_394
; %bb.373:
	v_cmp_lt_i16_e32 vcc, 45, v1
                                        ; implicit-def: $vgpr14
	s_and_saveexec_b64 s[26:27], vcc
	s_xor_b64 s[26:27], exec, s[26:27]
	s_cbranch_execz .LBB297_383
; %bb.374:
	v_cmp_eq_u16_e32 vcc, 46, v1
	s_mov_b64 s[28:29], -1
                                        ; implicit-def: $vgpr14
	s_and_saveexec_b64 s[22:23], vcc
	s_cbranch_execz .LBB297_382
; %bb.375:
	flat_load_dword v14, v[16:17]
	s_mov_b32 s24, 0x43800000
	s_waitcnt vmcnt(0) lgkmcnt(0)
	v_lshlrev_b32_e32 v20, 16, v14
	v_and_b32_e32 v21, 0x7fffffff, v20
	v_cmp_gt_u32_e32 vcc, s24, v21
	v_mov_b32_e32 v14, 0x80
	s_and_saveexec_b64 s[24:25], vcc
	s_cbranch_execz .LBB297_381
; %bb.376:
	s_mov_b32 s28, 0x3bffffff
	v_cmp_lt_u32_e32 vcc, s28, v21
	s_mov_b64 s[28:29], 0
                                        ; implicit-def: $vgpr21
	s_and_saveexec_b64 s[30:31], vcc
	s_xor_b64 s[30:31], exec, s[30:31]
	s_cbranch_execz .LBB297_2557
; %bb.377:
	v_bfe_u32 v14, v20, 20, 1
	s_mov_b32 s33, 0x487ffff
	v_add3_u32 v14, v20, v14, s33
	s_mov_b64 s[28:29], exec
	v_lshrrev_b32_e32 v21, 20, v14
	s_andn2_saveexec_b64 s[30:31], s[30:31]
	s_cbranch_execnz .LBB297_2558
.LBB297_378:
	s_or_b64 exec, exec, s[30:31]
	v_mov_b32_e32 v14, 0
	s_and_saveexec_b64 s[30:31], s[28:29]
.LBB297_379:
	v_lshrrev_b32_e32 v14, 24, v20
	s_movk_i32 s28, 0x80
	v_and_or_b32 v14, v14, s28, v21
.LBB297_380:
	s_or_b64 exec, exec, s[30:31]
.LBB297_381:
	s_or_b64 exec, exec, s[24:25]
	s_mov_b64 s[24:25], exec
	s_xor_b64 s[28:29], exec, -1
.LBB297_382:
	s_or_b64 exec, exec, s[22:23]
	s_and_b64 s[24:25], s[24:25], exec
	s_and_b64 s[22:23], s[28:29], exec
.LBB297_383:
	s_andn2_saveexec_b64 s[26:27], s[26:27]
	s_cbranch_execz .LBB297_393
; %bb.384:
	v_cmp_eq_u16_e32 vcc, 44, v1
	s_mov_b64 s[30:31], -1
	s_mov_b64 s[34:35], s[24:25]
                                        ; implicit-def: $vgpr14
	s_and_saveexec_b64 s[28:29], vcc
	s_cbranch_execz .LBB297_392
; %bb.385:
	flat_load_ubyte v14, v[16:17]
	s_movk_i32 s30, 0xff
	v_mov_b32_e32 v20, 0x7f800001
	v_mov_b32_e32 v21, 0x400000
	s_mov_b32 s31, 0x43800000
	s_waitcnt vmcnt(0) lgkmcnt(0)
	v_lshlrev_b32_e32 v22, 23, v14
	v_cmp_ne_u32_e32 vcc, s30, v14
	v_cndmask_b32_e32 v20, v20, v22, vcc
	v_cmp_ne_u32_e32 vcc, 0, v14
	v_cndmask_b32_e32 v21, v21, v20, vcc
	v_cmp_gt_u32_e32 vcc, s31, v21
	v_mov_b32_e32 v14, 0x80
	s_and_saveexec_b64 s[30:31], vcc
	s_cbranch_execz .LBB297_391
; %bb.386:
	s_mov_b32 s33, 0x3bffffff
	v_cmp_lt_u32_e32 vcc, s33, v21
	s_mov_b64 s[34:35], 0
                                        ; implicit-def: $vgpr20
	s_and_saveexec_b64 s[36:37], vcc
	s_xor_b64 s[36:37], exec, s[36:37]
	s_cbranch_execz .LBB297_2559
; %bb.387:
	v_bfe_u32 v14, v21, 20, 1
	s_mov_b32 s33, 0x487ffff
	v_add3_u32 v14, v21, v14, s33
	s_mov_b64 s[34:35], exec
	v_lshrrev_b32_e32 v20, 20, v14
                                        ; implicit-def: $vgpr21
	s_andn2_saveexec_b64 s[36:37], s[36:37]
	s_cbranch_execnz .LBB297_2560
.LBB297_388:
	s_or_b64 exec, exec, s[36:37]
	v_mov_b32_e32 v14, 0
	s_and_saveexec_b64 s[36:37], s[34:35]
.LBB297_389:
	v_mov_b32_e32 v14, v20
.LBB297_390:
	s_or_b64 exec, exec, s[36:37]
.LBB297_391:
	s_or_b64 exec, exec, s[30:31]
	s_or_b64 s[34:35], s[24:25], exec
	s_xor_b64 s[30:31], exec, -1
.LBB297_392:
	s_or_b64 exec, exec, s[28:29]
	s_andn2_b64 s[24:25], s[24:25], exec
	s_and_b64 s[28:29], s[34:35], exec
	s_or_b64 s[24:25], s[24:25], s[28:29]
	s_andn2_b64 s[22:23], s[22:23], exec
	s_and_b64 s[28:29], s[30:31], exec
	s_or_b64 s[22:23], s[22:23], s[28:29]
.LBB297_393:
	s_or_b64 exec, exec, s[26:27]
	s_and_b64 s[26:27], s[24:25], exec
	s_and_b64 s[24:25], s[22:23], exec
.LBB297_394:
	s_andn2_saveexec_b64 s[18:19], s[18:19]
	s_cbranch_execz .LBB297_404
; %bb.395:
	v_cmp_eq_u16_e32 vcc, 29, v1
	s_mov_b64 s[28:29], -1
	s_mov_b64 s[30:31], s[26:27]
                                        ; implicit-def: $vgpr14
	s_and_saveexec_b64 s[22:23], vcc
	s_cbranch_execz .LBB297_403
; %bb.396:
	flat_load_dwordx2 v[20:21], v[16:17]
	s_mov_b32 s28, 0x43800000
	s_waitcnt vmcnt(0) lgkmcnt(0)
	v_ffbh_u32_e32 v14, v21
	v_min_u32_e32 v14, 32, v14
	v_lshlrev_b64 v[20:21], v14, v[20:21]
	v_sub_u32_e32 v14, 32, v14
	v_min_u32_e32 v20, 1, v20
	v_or_b32_e32 v20, v21, v20
	v_cvt_f32_u32_e32 v20, v20
	v_ldexp_f32 v21, v20, v14
	v_cmp_gt_u32_e32 vcc, s28, v21
	v_mov_b32_e32 v14, 0x80
	s_and_saveexec_b64 s[28:29], vcc
	s_cbranch_execz .LBB297_402
; %bb.397:
	s_mov_b32 s30, 0x3bffffff
	v_cmp_lt_u32_e32 vcc, s30, v21
	s_mov_b64 s[30:31], 0
                                        ; implicit-def: $vgpr20
	s_and_saveexec_b64 s[34:35], vcc
	s_xor_b64 s[34:35], exec, s[34:35]
	s_cbranch_execz .LBB297_2458
; %bb.398:
	v_bfe_u32 v14, v21, 20, 1
	s_mov_b32 s33, 0x487ffff
	v_add3_u32 v14, v21, v14, s33
	s_mov_b64 s[30:31], exec
	v_lshrrev_b32_e32 v20, 20, v14
                                        ; implicit-def: $vgpr21
	s_andn2_saveexec_b64 s[34:35], s[34:35]
	s_cbranch_execnz .LBB297_2459
.LBB297_399:
	s_or_b64 exec, exec, s[34:35]
	v_mov_b32_e32 v14, 0
	s_and_saveexec_b64 s[34:35], s[30:31]
.LBB297_400:
	v_mov_b32_e32 v14, v20
.LBB297_401:
	s_or_b64 exec, exec, s[34:35]
.LBB297_402:
	s_or_b64 exec, exec, s[28:29]
	s_or_b64 s[30:31], s[26:27], exec
	s_xor_b64 s[28:29], exec, -1
.LBB297_403:
	s_or_b64 exec, exec, s[22:23]
	s_andn2_b64 s[22:23], s[26:27], exec
	s_and_b64 s[26:27], s[30:31], exec
	s_or_b64 s[26:27], s[22:23], s[26:27]
	s_andn2_b64 s[22:23], s[24:25], exec
	s_and_b64 s[24:25], s[28:29], exec
	s_or_b64 s[24:25], s[22:23], s[24:25]
.LBB297_404:
	s_or_b64 exec, exec, s[18:19]
	s_and_b64 s[22:23], s[26:27], exec
	s_and_b64 s[18:19], s[24:25], exec
.LBB297_405:
	s_andn2_saveexec_b64 s[16:17], s[16:17]
	s_cbranch_execz .LBB297_427
; %bb.406:
	v_cmp_lt_i16_e32 vcc, 26, v1
                                        ; implicit-def: $vgpr14
	s_and_saveexec_b64 s[24:25], vcc
	s_xor_b64 s[24:25], exec, s[24:25]
	s_cbranch_execz .LBB297_424
; %bb.407:
	v_cmp_lt_i16_e32 vcc, 27, v1
                                        ; implicit-def: $vgpr14
	s_and_saveexec_b64 s[26:27], vcc
	s_xor_b64 s[26:27], exec, s[26:27]
	s_cbranch_execz .LBB297_415
; %bb.408:
	flat_load_dword v14, v[16:17]
	s_mov_b32 s28, 0x43800000
	s_waitcnt vmcnt(0) lgkmcnt(0)
	v_cvt_f32_u32_e32 v21, v14
	v_mov_b32_e32 v14, 0x80
	v_cmp_gt_u32_e32 vcc, s28, v21
	s_and_saveexec_b64 s[28:29], vcc
	s_cbranch_execz .LBB297_414
; %bb.409:
	s_mov_b32 s30, 0x3bffffff
	v_cmp_lt_u32_e32 vcc, s30, v21
	s_mov_b64 s[30:31], 0
                                        ; implicit-def: $vgpr20
	s_and_saveexec_b64 s[34:35], vcc
	s_xor_b64 s[34:35], exec, s[34:35]
	s_cbranch_execz .LBB297_2460
; %bb.410:
	v_bfe_u32 v14, v21, 20, 1
	s_mov_b32 s33, 0x487ffff
	v_add3_u32 v14, v21, v14, s33
	s_mov_b64 s[30:31], exec
	v_lshrrev_b32_e32 v20, 20, v14
                                        ; implicit-def: $vgpr21
	s_andn2_saveexec_b64 s[34:35], s[34:35]
	s_cbranch_execnz .LBB297_2461
.LBB297_411:
	s_or_b64 exec, exec, s[34:35]
	v_mov_b32_e32 v14, 0
	s_and_saveexec_b64 s[34:35], s[30:31]
.LBB297_412:
	v_mov_b32_e32 v14, v20
.LBB297_413:
	s_or_b64 exec, exec, s[34:35]
.LBB297_414:
	s_or_b64 exec, exec, s[28:29]
.LBB297_415:
	s_andn2_saveexec_b64 s[26:27], s[26:27]
	s_cbranch_execz .LBB297_423
; %bb.416:
	flat_load_ushort v14, v[16:17]
	s_mov_b32 s28, 0x43800000
	s_waitcnt vmcnt(0) lgkmcnt(0)
	v_cvt_f32_u32_e32 v21, v14
	v_mov_b32_e32 v14, 0x80
	v_cmp_gt_u32_e32 vcc, s28, v21
	s_and_saveexec_b64 s[28:29], vcc
	s_cbranch_execz .LBB297_422
; %bb.417:
	s_mov_b32 s30, 0x3bffffff
	v_cmp_lt_u32_e32 vcc, s30, v21
	s_mov_b64 s[30:31], 0
                                        ; implicit-def: $vgpr20
	s_and_saveexec_b64 s[34:35], vcc
	s_xor_b64 s[34:35], exec, s[34:35]
	s_cbranch_execz .LBB297_2462
; %bb.418:
	v_bfe_u32 v14, v21, 20, 1
	s_mov_b32 s33, 0x487ffff
	v_add3_u32 v14, v21, v14, s33
	s_mov_b64 s[30:31], exec
	v_lshrrev_b32_e32 v20, 20, v14
                                        ; implicit-def: $vgpr21
	s_andn2_saveexec_b64 s[34:35], s[34:35]
	s_cbranch_execnz .LBB297_2463
.LBB297_419:
	s_or_b64 exec, exec, s[34:35]
	v_mov_b32_e32 v14, 0
	s_and_saveexec_b64 s[34:35], s[30:31]
.LBB297_420:
	v_mov_b32_e32 v14, v20
.LBB297_421:
	s_or_b64 exec, exec, s[34:35]
.LBB297_422:
	s_or_b64 exec, exec, s[28:29]
.LBB297_423:
	s_or_b64 exec, exec, s[26:27]
.LBB297_424:
	s_andn2_saveexec_b64 s[24:25], s[24:25]
	s_cbranch_execz .LBB297_426
; %bb.425:
	flat_load_ubyte v14, v[16:17]
.LBB297_426:
	s_or_b64 exec, exec, s[24:25]
	s_or_b64 s[22:23], s[22:23], exec
.LBB297_427:
	s_or_b64 exec, exec, s[16:17]
	s_and_b64 s[16:17], s[22:23], exec
	s_and_b64 s[18:19], s[18:19], exec
	s_andn2_saveexec_b64 s[20:21], s[20:21]
	s_cbranch_execnz .LBB297_2123
.LBB297_428:
	s_or_b64 exec, exec, s[20:21]
	s_mov_b64 s[20:21], s[10:11]
	s_and_saveexec_b64 s[22:23], s[18:19]
	s_cbranch_execnz .LBB297_2172
.LBB297_429:
	s_or_b64 exec, exec, s[22:23]
	s_and_saveexec_b64 s[18:19], s[14:15]
	s_xor_b64 s[14:15], exec, s[18:19]
	s_cbranch_execz .LBB297_437
.LBB297_430:
	s_waitcnt vmcnt(0) lgkmcnt(0)
	flat_load_ubyte v14, v[16:17]
	s_mov_b32 s18, 0x43800000
	s_waitcnt vmcnt(0) lgkmcnt(0)
	v_cmp_ne_u16_e32 vcc, 0, v14
	v_cndmask_b32_e64 v17, 0, 1.0, vcc
	v_cmp_gt_u32_e32 vcc, s18, v17
	v_mov_b32_e32 v14, 0x80
	s_and_saveexec_b64 s[18:19], vcc
	s_cbranch_execz .LBB297_436
; %bb.431:
	s_mov_b32 s22, 0x3bffffff
	v_cmp_lt_u32_e32 vcc, s22, v17
	s_mov_b64 s[22:23], 0
                                        ; implicit-def: $vgpr16
	s_and_saveexec_b64 s[24:25], vcc
	s_xor_b64 s[24:25], exec, s[24:25]
	s_cbranch_execz .LBB297_2234
; %bb.432:
	v_bfe_u32 v14, v17, 20, 1
	s_mov_b32 s26, 0x487ffff
	v_add3_u32 v14, v17, v14, s26
	s_mov_b64 s[22:23], exec
	v_lshrrev_b32_e32 v16, 20, v14
                                        ; implicit-def: $vgpr17
	s_andn2_saveexec_b64 s[24:25], s[24:25]
	s_cbranch_execnz .LBB297_2235
.LBB297_433:
	s_or_b64 exec, exec, s[24:25]
	v_mov_b32_e32 v14, 0
	s_and_saveexec_b64 s[24:25], s[22:23]
.LBB297_434:
	v_mov_b32_e32 v14, v16
.LBB297_435:
	s_or_b64 exec, exec, s[24:25]
.LBB297_436:
	s_or_b64 exec, exec, s[18:19]
	s_or_b64 s[16:17], s[16:17], exec
.LBB297_437:
	s_or_b64 exec, exec, s[14:15]
	s_andn2_b64 s[14:15], s[10:11], exec
	s_and_b64 s[18:19], s[20:21], exec
	s_or_b64 s[14:15], s[14:15], s[18:19]
	s_and_b64 s[18:19], s[16:17], exec
                                        ; implicit-def: $vgpr16_vgpr17
.LBB297_438:
	s_andn2_saveexec_b64 s[4:5], s[4:5]
	s_cbranch_execz .LBB297_546
; %bb.439:
	v_cmp_lt_i16_e32 vcc, 4, v1
                                        ; implicit-def: $vgpr14
	s_and_saveexec_b64 s[16:17], vcc
	s_xor_b64 s[16:17], exec, s[16:17]
	s_cbranch_execz .LBB297_497
; %bb.440:
	v_cmp_lt_i16_e32 vcc, 7, v1
                                        ; implicit-def: $vgpr14
	s_and_saveexec_b64 s[20:21], vcc
	s_xor_b64 s[20:21], exec, s[20:21]
	;; [unrolled: 6-line block ×4, first 2 shown]
	s_cbranch_execz .LBB297_450
; %bb.443:
	flat_load_dwordx2 v[16:17], v[16:17]
	s_mov_b32 s26, 0x43800000
	s_waitcnt vmcnt(0) lgkmcnt(0)
	v_mov_b32_e32 v14, 0x80
	v_cvt_f32_f64_e32 v16, v[16:17]
	v_and_b32_e32 v17, 0x7fffffff, v16
	v_cmp_gt_u32_e32 vcc, s26, v17
	s_and_saveexec_b64 s[26:27], vcc
	s_cbranch_execz .LBB297_449
; %bb.444:
	s_mov_b32 s28, 0x3bffffff
	v_cmp_lt_u32_e32 vcc, s28, v17
	s_mov_b64 s[28:29], 0
                                        ; implicit-def: $vgpr17
	s_and_saveexec_b64 s[30:31], vcc
	s_xor_b64 s[30:31], exec, s[30:31]
	s_cbranch_execz .LBB297_2464
; %bb.445:
	v_bfe_u32 v14, v16, 20, 1
	s_mov_b32 s33, 0x487ffff
	v_add3_u32 v14, v16, v14, s33
	s_mov_b64 s[28:29], exec
	v_lshrrev_b32_e32 v17, 20, v14
	s_andn2_saveexec_b64 s[30:31], s[30:31]
	s_cbranch_execnz .LBB297_2465
.LBB297_446:
	s_or_b64 exec, exec, s[30:31]
	v_mov_b32_e32 v14, 0
	s_and_saveexec_b64 s[30:31], s[28:29]
.LBB297_447:
	v_lshrrev_b32_e32 v14, 24, v16
	s_movk_i32 s28, 0x80
	v_and_or_b32 v14, v14, s28, v17
.LBB297_448:
	s_or_b64 exec, exec, s[30:31]
.LBB297_449:
	s_or_b64 exec, exec, s[26:27]
                                        ; implicit-def: $vgpr16_vgpr17
.LBB297_450:
	s_andn2_saveexec_b64 s[24:25], s[24:25]
	s_cbranch_execz .LBB297_458
; %bb.451:
	flat_load_dword v16, v[16:17]
	s_mov_b32 s26, 0x43800000
	s_waitcnt vmcnt(0) lgkmcnt(0)
	v_mov_b32_e32 v14, 0x80
	v_and_b32_e32 v17, 0x7fffffff, v16
	v_cmp_gt_u32_e32 vcc, s26, v17
	s_and_saveexec_b64 s[26:27], vcc
	s_cbranch_execz .LBB297_457
; %bb.452:
	s_mov_b32 s28, 0x3bffffff
	v_cmp_lt_u32_e32 vcc, s28, v17
	s_mov_b64 s[28:29], 0
                                        ; implicit-def: $vgpr17
	s_and_saveexec_b64 s[30:31], vcc
	s_xor_b64 s[30:31], exec, s[30:31]
	s_cbranch_execz .LBB297_2466
; %bb.453:
	v_bfe_u32 v14, v16, 20, 1
	s_mov_b32 s33, 0x487ffff
	v_add3_u32 v14, v16, v14, s33
	s_mov_b64 s[28:29], exec
	v_lshrrev_b32_e32 v17, 20, v14
	s_andn2_saveexec_b64 s[30:31], s[30:31]
	s_cbranch_execnz .LBB297_2467
.LBB297_454:
	s_or_b64 exec, exec, s[30:31]
	v_mov_b32_e32 v14, 0
	s_and_saveexec_b64 s[30:31], s[28:29]
.LBB297_455:
	v_lshrrev_b32_e32 v14, 24, v16
	s_movk_i32 s28, 0x80
	v_and_or_b32 v14, v14, s28, v17
.LBB297_456:
	s_or_b64 exec, exec, s[30:31]
.LBB297_457:
	s_or_b64 exec, exec, s[26:27]
.LBB297_458:
	s_or_b64 exec, exec, s[24:25]
                                        ; implicit-def: $vgpr16_vgpr17
.LBB297_459:
	s_andn2_saveexec_b64 s[22:23], s[22:23]
	s_cbranch_execz .LBB297_467
; %bb.460:
	s_waitcnt vmcnt(0) lgkmcnt(0)
	flat_load_dword v14, v[16:17]
	s_mov_b32 s24, 0x43800000
	s_waitcnt vmcnt(0) lgkmcnt(0)
	v_cvt_f32_f16_e32 v16, v14
	v_mov_b32_e32 v14, 0x80
	v_and_b32_e32 v17, 0x7fffffff, v16
	v_cmp_gt_u32_e32 vcc, s24, v17
	s_and_saveexec_b64 s[24:25], vcc
	s_cbranch_execz .LBB297_466
; %bb.461:
	s_mov_b32 s26, 0x3bffffff
	v_cmp_lt_u32_e32 vcc, s26, v17
	s_mov_b64 s[26:27], 0
                                        ; implicit-def: $vgpr17
	s_and_saveexec_b64 s[28:29], vcc
	s_xor_b64 s[28:29], exec, s[28:29]
	s_cbranch_execz .LBB297_2381
; %bb.462:
	v_bfe_u32 v14, v16, 20, 1
	s_mov_b32 s30, 0x487ffff
	v_add3_u32 v14, v16, v14, s30
	s_mov_b64 s[26:27], exec
	v_lshrrev_b32_e32 v17, 20, v14
	s_andn2_saveexec_b64 s[28:29], s[28:29]
	s_cbranch_execnz .LBB297_2382
.LBB297_463:
	s_or_b64 exec, exec, s[28:29]
	v_mov_b32_e32 v14, 0
	s_and_saveexec_b64 s[28:29], s[26:27]
.LBB297_464:
	v_lshrrev_b32_e32 v14, 24, v16
	s_movk_i32 s26, 0x80
	v_and_or_b32 v14, v14, s26, v17
.LBB297_465:
	s_or_b64 exec, exec, s[28:29]
.LBB297_466:
	s_or_b64 exec, exec, s[24:25]
.LBB297_467:
	s_or_b64 exec, exec, s[22:23]
                                        ; implicit-def: $vgpr16_vgpr17
.LBB297_468:
	s_andn2_saveexec_b64 s[20:21], s[20:21]
	s_cbranch_execz .LBB297_496
; %bb.469:
	v_cmp_lt_i16_e32 vcc, 5, v1
                                        ; implicit-def: $vgpr14
	s_and_saveexec_b64 s[22:23], vcc
	s_xor_b64 s[22:23], exec, s[22:23]
	s_cbranch_execz .LBB297_487
; %bb.470:
	v_cmp_lt_i16_e32 vcc, 6, v1
                                        ; implicit-def: $vgpr14
	s_and_saveexec_b64 s[24:25], vcc
	s_xor_b64 s[24:25], exec, s[24:25]
	s_cbranch_execz .LBB297_478
; %bb.471:
	flat_load_dwordx2 v[16:17], v[16:17]
	s_mov_b32 s26, 0x43800000
	s_waitcnt vmcnt(0) lgkmcnt(0)
	v_mov_b32_e32 v14, 0x80
	v_cvt_f32_f64_e32 v16, v[16:17]
	v_and_b32_e32 v17, 0x7fffffff, v16
	v_cmp_gt_u32_e32 vcc, s26, v17
	s_and_saveexec_b64 s[26:27], vcc
	s_cbranch_execz .LBB297_477
; %bb.472:
	s_mov_b32 s28, 0x3bffffff
	v_cmp_lt_u32_e32 vcc, s28, v17
	s_mov_b64 s[28:29], 0
                                        ; implicit-def: $vgpr17
	s_and_saveexec_b64 s[30:31], vcc
	s_xor_b64 s[30:31], exec, s[30:31]
	s_cbranch_execz .LBB297_2468
; %bb.473:
	v_bfe_u32 v14, v16, 20, 1
	s_mov_b32 s33, 0x487ffff
	v_add3_u32 v14, v16, v14, s33
	s_mov_b64 s[28:29], exec
	v_lshrrev_b32_e32 v17, 20, v14
	s_andn2_saveexec_b64 s[30:31], s[30:31]
	s_cbranch_execnz .LBB297_2469
.LBB297_474:
	s_or_b64 exec, exec, s[30:31]
	v_mov_b32_e32 v14, 0
	s_and_saveexec_b64 s[30:31], s[28:29]
.LBB297_475:
	v_lshrrev_b32_e32 v14, 24, v16
	s_movk_i32 s28, 0x80
	v_and_or_b32 v14, v14, s28, v17
.LBB297_476:
	s_or_b64 exec, exec, s[30:31]
.LBB297_477:
	s_or_b64 exec, exec, s[26:27]
                                        ; implicit-def: $vgpr16_vgpr17
.LBB297_478:
	s_andn2_saveexec_b64 s[24:25], s[24:25]
	s_cbranch_execz .LBB297_486
; %bb.479:
	flat_load_dword v16, v[16:17]
	s_mov_b32 s26, 0x43800000
	s_waitcnt vmcnt(0) lgkmcnt(0)
	v_mov_b32_e32 v14, 0x80
	v_and_b32_e32 v17, 0x7fffffff, v16
	v_cmp_gt_u32_e32 vcc, s26, v17
	s_and_saveexec_b64 s[26:27], vcc
	s_cbranch_execz .LBB297_485
; %bb.480:
	s_mov_b32 s28, 0x3bffffff
	v_cmp_lt_u32_e32 vcc, s28, v17
	s_mov_b64 s[28:29], 0
                                        ; implicit-def: $vgpr17
	s_and_saveexec_b64 s[30:31], vcc
	s_xor_b64 s[30:31], exec, s[30:31]
	s_cbranch_execz .LBB297_2470
; %bb.481:
	v_bfe_u32 v14, v16, 20, 1
	s_mov_b32 s33, 0x487ffff
	v_add3_u32 v14, v16, v14, s33
	s_mov_b64 s[28:29], exec
	v_lshrrev_b32_e32 v17, 20, v14
	s_andn2_saveexec_b64 s[30:31], s[30:31]
	s_cbranch_execnz .LBB297_2471
.LBB297_482:
	s_or_b64 exec, exec, s[30:31]
	v_mov_b32_e32 v14, 0
	s_and_saveexec_b64 s[30:31], s[28:29]
.LBB297_483:
	v_lshrrev_b32_e32 v14, 24, v16
	s_movk_i32 s28, 0x80
	v_and_or_b32 v14, v14, s28, v17
.LBB297_484:
	s_or_b64 exec, exec, s[30:31]
.LBB297_485:
	s_or_b64 exec, exec, s[26:27]
.LBB297_486:
	s_or_b64 exec, exec, s[24:25]
                                        ; implicit-def: $vgpr16_vgpr17
.LBB297_487:
	s_andn2_saveexec_b64 s[22:23], s[22:23]
	s_cbranch_execz .LBB297_495
; %bb.488:
	s_waitcnt vmcnt(0) lgkmcnt(0)
	flat_load_ushort v14, v[16:17]
	s_mov_b32 s24, 0x43800000
	s_waitcnt vmcnt(0) lgkmcnt(0)
	v_cvt_f32_f16_e32 v16, v14
	v_mov_b32_e32 v14, 0x80
	v_and_b32_e32 v17, 0x7fffffff, v16
	v_cmp_gt_u32_e32 vcc, s24, v17
	s_and_saveexec_b64 s[24:25], vcc
	s_cbranch_execz .LBB297_494
; %bb.489:
	s_mov_b32 s26, 0x3bffffff
	v_cmp_lt_u32_e32 vcc, s26, v17
	s_mov_b64 s[26:27], 0
                                        ; implicit-def: $vgpr17
	s_and_saveexec_b64 s[28:29], vcc
	s_xor_b64 s[28:29], exec, s[28:29]
	s_cbranch_execz .LBB297_2383
; %bb.490:
	v_bfe_u32 v14, v16, 20, 1
	s_mov_b32 s30, 0x487ffff
	v_add3_u32 v14, v16, v14, s30
	s_mov_b64 s[26:27], exec
	v_lshrrev_b32_e32 v17, 20, v14
	s_andn2_saveexec_b64 s[28:29], s[28:29]
	s_cbranch_execnz .LBB297_2384
.LBB297_491:
	s_or_b64 exec, exec, s[28:29]
	v_mov_b32_e32 v14, 0
	s_and_saveexec_b64 s[28:29], s[26:27]
.LBB297_492:
	v_lshrrev_b32_e32 v14, 24, v16
	s_movk_i32 s26, 0x80
	v_and_or_b32 v14, v14, s26, v17
.LBB297_493:
	s_or_b64 exec, exec, s[28:29]
.LBB297_494:
	s_or_b64 exec, exec, s[24:25]
.LBB297_495:
	s_or_b64 exec, exec, s[22:23]
.LBB297_496:
	s_or_b64 exec, exec, s[20:21]
                                        ; implicit-def: $vgpr16_vgpr17
.LBB297_497:
	s_andn2_saveexec_b64 s[16:17], s[16:17]
	s_cbranch_execz .LBB297_545
; %bb.498:
	v_cmp_lt_i16_e32 vcc, 1, v1
                                        ; implicit-def: $vgpr14
	s_and_saveexec_b64 s[20:21], vcc
	s_xor_b64 s[20:21], exec, s[20:21]
	s_cbranch_execz .LBB297_526
; %bb.499:
	v_cmp_lt_i16_e32 vcc, 2, v1
                                        ; implicit-def: $vgpr14
	s_and_saveexec_b64 s[22:23], vcc
	s_xor_b64 s[22:23], exec, s[22:23]
	;; [unrolled: 6-line block ×3, first 2 shown]
	s_cbranch_execz .LBB297_508
; %bb.501:
	flat_load_dwordx2 v[16:17], v[16:17]
	s_mov_b32 s26, 0x43800000
	s_waitcnt vmcnt(0) lgkmcnt(0)
	v_xor_b32_e32 v20, v16, v17
	v_ffbh_i32_e32 v14, v17
	v_ashrrev_i32_e32 v20, 31, v20
	v_add_u32_e32 v14, -1, v14
	v_add_u32_e32 v20, 32, v20
	v_min_u32_e32 v14, v14, v20
	v_lshlrev_b64 v[16:17], v14, v[16:17]
	v_sub_u32_e32 v14, 32, v14
	v_min_u32_e32 v16, 1, v16
	v_or_b32_e32 v16, v17, v16
	v_cvt_f32_i32_e32 v16, v16
	v_ldexp_f32 v16, v16, v14
	v_and_b32_e32 v17, 0x7fffffff, v16
	v_cmp_gt_u32_e32 vcc, s26, v17
	v_mov_b32_e32 v14, 0x80
	s_and_saveexec_b64 s[26:27], vcc
	s_cbranch_execz .LBB297_507
; %bb.502:
	s_mov_b32 s28, 0x3bffffff
	v_cmp_lt_u32_e32 vcc, s28, v17
	s_mov_b64 s[28:29], 0
                                        ; implicit-def: $vgpr17
	s_and_saveexec_b64 s[30:31], vcc
	s_xor_b64 s[30:31], exec, s[30:31]
	s_cbranch_execz .LBB297_2472
; %bb.503:
	v_bfe_u32 v14, v16, 20, 1
	s_mov_b32 s33, 0x487ffff
	v_add3_u32 v14, v16, v14, s33
	s_mov_b64 s[28:29], exec
	v_lshrrev_b32_e32 v17, 20, v14
	s_andn2_saveexec_b64 s[30:31], s[30:31]
	s_cbranch_execnz .LBB297_2473
.LBB297_504:
	s_or_b64 exec, exec, s[30:31]
	v_mov_b32_e32 v14, 0
	s_and_saveexec_b64 s[30:31], s[28:29]
.LBB297_505:
	v_lshrrev_b32_e32 v14, 24, v16
	s_movk_i32 s28, 0x80
	v_and_or_b32 v14, v14, s28, v17
.LBB297_506:
	s_or_b64 exec, exec, s[30:31]
.LBB297_507:
	s_or_b64 exec, exec, s[26:27]
                                        ; implicit-def: $vgpr16_vgpr17
.LBB297_508:
	s_andn2_saveexec_b64 s[24:25], s[24:25]
	s_cbranch_execz .LBB297_516
; %bb.509:
	s_waitcnt vmcnt(0) lgkmcnt(0)
	flat_load_dword v14, v[16:17]
	s_mov_b32 s26, 0x43800000
	s_waitcnt vmcnt(0) lgkmcnt(0)
	v_cvt_f32_i32_e32 v16, v14
	v_mov_b32_e32 v14, 0x80
	v_and_b32_e32 v17, 0x7fffffff, v16
	v_cmp_gt_u32_e32 vcc, s26, v17
	s_and_saveexec_b64 s[26:27], vcc
	s_cbranch_execz .LBB297_515
; %bb.510:
	s_mov_b32 s28, 0x3bffffff
	v_cmp_lt_u32_e32 vcc, s28, v17
	s_mov_b64 s[28:29], 0
                                        ; implicit-def: $vgpr17
	s_and_saveexec_b64 s[30:31], vcc
	s_xor_b64 s[30:31], exec, s[30:31]
	s_cbranch_execz .LBB297_2474
; %bb.511:
	v_bfe_u32 v14, v16, 20, 1
	s_mov_b32 s33, 0x487ffff
	v_add3_u32 v14, v16, v14, s33
	s_mov_b64 s[28:29], exec
	v_lshrrev_b32_e32 v17, 20, v14
	s_andn2_saveexec_b64 s[30:31], s[30:31]
	s_cbranch_execnz .LBB297_2475
.LBB297_512:
	s_or_b64 exec, exec, s[30:31]
	v_mov_b32_e32 v14, 0
	s_and_saveexec_b64 s[30:31], s[28:29]
.LBB297_513:
	v_lshrrev_b32_e32 v14, 24, v16
	s_movk_i32 s28, 0x80
	v_and_or_b32 v14, v14, s28, v17
.LBB297_514:
	s_or_b64 exec, exec, s[30:31]
.LBB297_515:
	s_or_b64 exec, exec, s[26:27]
.LBB297_516:
	s_or_b64 exec, exec, s[24:25]
                                        ; implicit-def: $vgpr16_vgpr17
.LBB297_517:
	s_andn2_saveexec_b64 s[22:23], s[22:23]
	s_cbranch_execz .LBB297_525
; %bb.518:
	s_waitcnt vmcnt(0) lgkmcnt(0)
	flat_load_sshort v14, v[16:17]
	s_mov_b32 s24, 0x43800000
	s_waitcnt vmcnt(0) lgkmcnt(0)
	v_cvt_f32_i32_e32 v16, v14
	v_mov_b32_e32 v14, 0x80
	v_and_b32_e32 v17, 0x7fffffff, v16
	v_cmp_gt_u32_e32 vcc, s24, v17
	s_and_saveexec_b64 s[24:25], vcc
	s_cbranch_execz .LBB297_524
; %bb.519:
	s_mov_b32 s26, 0x3bffffff
	v_cmp_lt_u32_e32 vcc, s26, v17
	s_mov_b64 s[26:27], 0
                                        ; implicit-def: $vgpr17
	s_and_saveexec_b64 s[28:29], vcc
	s_xor_b64 s[28:29], exec, s[28:29]
	s_cbranch_execz .LBB297_2385
; %bb.520:
	v_bfe_u32 v14, v16, 20, 1
	s_mov_b32 s30, 0x487ffff
	v_add3_u32 v14, v16, v14, s30
	s_mov_b64 s[26:27], exec
	v_lshrrev_b32_e32 v17, 20, v14
	s_andn2_saveexec_b64 s[28:29], s[28:29]
	s_cbranch_execnz .LBB297_2386
.LBB297_521:
	s_or_b64 exec, exec, s[28:29]
	v_mov_b32_e32 v14, 0
	s_and_saveexec_b64 s[28:29], s[26:27]
.LBB297_522:
	v_lshrrev_b32_e32 v14, 24, v16
	s_movk_i32 s26, 0x80
	v_and_or_b32 v14, v14, s26, v17
.LBB297_523:
	s_or_b64 exec, exec, s[28:29]
.LBB297_524:
	s_or_b64 exec, exec, s[24:25]
.LBB297_525:
	s_or_b64 exec, exec, s[22:23]
                                        ; implicit-def: $vgpr16_vgpr17
.LBB297_526:
	s_andn2_saveexec_b64 s[20:21], s[20:21]
	s_cbranch_execz .LBB297_544
; %bb.527:
	v_cmp_lt_i16_e32 vcc, 0, v1
                                        ; implicit-def: $vgpr14
	s_and_saveexec_b64 s[22:23], vcc
	s_xor_b64 s[22:23], exec, s[22:23]
	s_cbranch_execz .LBB297_535
; %bb.528:
	s_waitcnt vmcnt(0) lgkmcnt(0)
	flat_load_sbyte v14, v[16:17]
	s_mov_b32 s24, 0x43800000
	s_waitcnt vmcnt(0) lgkmcnt(0)
	v_cvt_f32_i32_e32 v16, v14
	v_mov_b32_e32 v14, 0x80
	v_and_b32_e32 v17, 0x7fffffff, v16
	v_cmp_gt_u32_e32 vcc, s24, v17
	s_and_saveexec_b64 s[24:25], vcc
	s_cbranch_execz .LBB297_534
; %bb.529:
	s_mov_b32 s26, 0x3bffffff
	v_cmp_lt_u32_e32 vcc, s26, v17
	s_mov_b64 s[26:27], 0
                                        ; implicit-def: $vgpr17
	s_and_saveexec_b64 s[28:29], vcc
	s_xor_b64 s[28:29], exec, s[28:29]
	s_cbranch_execz .LBB297_2387
; %bb.530:
	v_bfe_u32 v14, v16, 20, 1
	s_mov_b32 s30, 0x487ffff
	v_add3_u32 v14, v16, v14, s30
	s_mov_b64 s[26:27], exec
	v_lshrrev_b32_e32 v17, 20, v14
	s_andn2_saveexec_b64 s[28:29], s[28:29]
	s_cbranch_execnz .LBB297_2388
.LBB297_531:
	s_or_b64 exec, exec, s[28:29]
	v_mov_b32_e32 v14, 0
	s_and_saveexec_b64 s[28:29], s[26:27]
.LBB297_532:
	v_lshrrev_b32_e32 v14, 24, v16
	s_movk_i32 s26, 0x80
	v_and_or_b32 v14, v14, s26, v17
.LBB297_533:
	s_or_b64 exec, exec, s[28:29]
.LBB297_534:
	s_or_b64 exec, exec, s[24:25]
                                        ; implicit-def: $vgpr16_vgpr17
.LBB297_535:
	s_andn2_saveexec_b64 s[22:23], s[22:23]
	s_cbranch_execz .LBB297_543
; %bb.536:
	s_waitcnt vmcnt(0) lgkmcnt(0)
	flat_load_ubyte v14, v[16:17]
	s_mov_b32 s24, 0x43800000
	s_waitcnt vmcnt(0) lgkmcnt(0)
	v_cvt_f32_ubyte0_e32 v17, v14
	v_cmp_gt_u32_e32 vcc, s24, v17
	v_mov_b32_e32 v14, 0x80
	s_and_saveexec_b64 s[24:25], vcc
	s_cbranch_execz .LBB297_542
; %bb.537:
	s_mov_b32 s26, 0x3bffffff
	v_cmp_lt_u32_e32 vcc, s26, v17
	s_mov_b64 s[26:27], 0
                                        ; implicit-def: $vgpr16
	s_and_saveexec_b64 s[28:29], vcc
	s_xor_b64 s[28:29], exec, s[28:29]
	s_cbranch_execz .LBB297_2389
; %bb.538:
	v_bfe_u32 v14, v17, 20, 1
	s_mov_b32 s30, 0x487ffff
	v_add3_u32 v14, v17, v14, s30
	s_mov_b64 s[26:27], exec
	v_lshrrev_b32_e32 v16, 20, v14
                                        ; implicit-def: $vgpr17
	s_andn2_saveexec_b64 s[28:29], s[28:29]
	s_cbranch_execnz .LBB297_2390
.LBB297_539:
	s_or_b64 exec, exec, s[28:29]
	v_mov_b32_e32 v14, 0
	s_and_saveexec_b64 s[28:29], s[26:27]
.LBB297_540:
	v_mov_b32_e32 v14, v16
.LBB297_541:
	s_or_b64 exec, exec, s[28:29]
.LBB297_542:
	s_or_b64 exec, exec, s[24:25]
.LBB297_543:
	s_or_b64 exec, exec, s[22:23]
.LBB297_544:
	s_or_b64 exec, exec, s[20:21]
.LBB297_545:
	s_or_b64 exec, exec, s[16:17]
	s_or_b64 s[18:19], s[18:19], exec
.LBB297_546:
	s_or_b64 exec, exec, s[4:5]
	s_mov_b64 s[4:5], 0
	s_mov_b64 s[20:21], 0
                                        ; implicit-def: $sgpr48_sgpr49
                                        ; implicit-def: $vgpr21_vgpr22
                                        ; implicit-def: $vgpr16
	s_and_saveexec_b64 s[16:17], s[18:19]
	s_cbranch_execz .LBB297_2028
; %bb.547:
	v_cmp_ne_u32_e32 vcc, 0, v10
                                        ; implicit-def: $sgpr22_sgpr23
	s_and_saveexec_b64 s[4:5], vcc
	s_xor_b64 s[18:19], exec, s[4:5]
	s_cbranch_execz .LBB297_561
; %bb.548:
	s_movk_i32 s4, 0x7f
	s_waitcnt lgkmcnt(0)
	v_cmp_gt_i16_sdwa s[20:21], v12, s4 src0_sel:BYTE_0 src1_sel:DWORD
	s_mov_b64 s[4:5], 0
	s_and_saveexec_b64 s[22:23], s[20:21]
	s_xor_b64 s[20:21], exec, s[22:23]
	s_cbranch_execz .LBB297_2175
; %bb.549:
	s_movk_i32 s4, 0x80
	v_cmp_eq_u16_sdwa s[24:25], v12, s4 src0_sel:BYTE_0 src1_sel:DWORD
	s_mov_b64 s[4:5], -1
	s_and_saveexec_b64 s[22:23], s[24:25]
; %bb.550:
	s_xor_b64 s[4:5], exec, -1
; %bb.551:
	s_or_b64 exec, exec, s[22:23]
	s_and_b64 s[4:5], s[4:5], exec
	s_or_saveexec_b64 s[20:21], s[20:21]
	v_mov_b32_e32 v10, 0x7f800001
	s_xor_b64 exec, exec, s[20:21]
	s_cbranch_execnz .LBB297_2176
.LBB297_552:
	s_or_b64 exec, exec, s[20:21]
	s_and_saveexec_b64 s[20:21], s[4:5]
	s_cbranch_execz .LBB297_554
.LBB297_553:
	v_and_b32_e32 v16, 7, v12
	v_ffbh_u32_e32 v17, v16
	v_min_u32_e32 v17, 32, v17
	v_lshrrev_b16_e32 v10, 3, v12
	v_subrev_u32_e32 v20, 28, v17
	v_and_b32_e32 v10, 15, v10
	v_lshlrev_b32_e32 v20, v20, v12
	v_sub_u32_e32 v17, 29, v17
	v_and_b32_e32 v20, 7, v20
	v_cmp_eq_u32_e64 s[4:5], 0, v10
	v_cndmask_b32_e64 v10, v10, v17, s[4:5]
	v_cndmask_b32_e64 v16, v16, v20, s[4:5]
	v_lshlrev_b32_e32 v12, 24, v12
	v_mov_b32_e32 v17, 0x3b800000
	v_lshlrev_b32_e32 v16, 20, v16
	v_and_b32_e32 v12, 0x80000000, v12
	v_lshl_add_u32 v10, v10, 23, v17
	v_or3_b32 v10, v12, v10, v16
.LBB297_554:
	s_or_b64 exec, exec, s[20:21]
	s_movk_i32 s4, 0x7f
	s_waitcnt vmcnt(0)
	v_cmp_gt_i16_sdwa s[20:21], v14, s4 src0_sel:BYTE_0 src1_sel:DWORD
	s_mov_b64 s[4:5], 0
	s_and_saveexec_b64 s[22:23], s[20:21]
	s_xor_b64 s[20:21], exec, s[22:23]
	s_cbranch_execz .LBB297_2177
; %bb.555:
	s_movk_i32 s4, 0x80
	v_cmp_eq_u16_sdwa s[24:25], v14, s4 src0_sel:BYTE_0 src1_sel:DWORD
	s_mov_b64 s[4:5], -1
	s_and_saveexec_b64 s[22:23], s[24:25]
; %bb.556:
	s_xor_b64 s[4:5], exec, -1
; %bb.557:
	s_or_b64 exec, exec, s[22:23]
	s_and_b64 s[4:5], s[4:5], exec
	s_or_saveexec_b64 s[20:21], s[20:21]
	v_mov_b32_e32 v12, 0x7f800001
	s_xor_b64 exec, exec, s[20:21]
	s_cbranch_execnz .LBB297_2178
.LBB297_558:
	s_or_b64 exec, exec, s[20:21]
	s_and_saveexec_b64 s[20:21], s[4:5]
	s_cbranch_execz .LBB297_560
.LBB297_559:
	v_and_b32_e32 v16, 7, v14
	v_ffbh_u32_e32 v17, v16
	v_min_u32_e32 v17, 32, v17
	v_lshrrev_b16_e32 v12, 3, v14
	v_subrev_u32_e32 v20, 28, v17
	v_and_b32_e32 v12, 15, v12
	v_lshlrev_b32_e32 v20, v20, v14
	v_sub_u32_e32 v17, 29, v17
	v_and_b32_e32 v20, 7, v20
	v_cmp_eq_u32_e64 s[4:5], 0, v12
	v_cndmask_b32_e64 v12, v12, v17, s[4:5]
	v_cndmask_b32_e64 v16, v16, v20, s[4:5]
	v_lshlrev_b32_e32 v14, 24, v14
	v_mov_b32_e32 v17, 0x3b800000
	v_lshlrev_b32_e32 v16, 20, v16
	v_and_b32_e32 v14, 0x80000000, v14
	v_lshl_add_u32 v12, v12, 23, v17
	v_or3_b32 v12, v14, v12, v16
.LBB297_560:
	s_or_b64 exec, exec, s[20:21]
	v_cmp_neq_f32_e64 s[22:23], v10, v12
                                        ; implicit-def: $vgpr14
                                        ; implicit-def: $vgpr12
.LBB297_561:
	s_andn2_saveexec_b64 s[18:19], s[18:19]
	s_cbranch_execz .LBB297_575
; %bb.562:
	s_movk_i32 s4, 0x7f
	s_waitcnt lgkmcnt(0)
	v_cmp_gt_i16_sdwa s[20:21], v12, s4 src0_sel:BYTE_0 src1_sel:DWORD
	s_mov_b64 s[4:5], 0
	s_and_saveexec_b64 s[24:25], s[20:21]
	s_xor_b64 s[20:21], exec, s[24:25]
	s_cbranch_execz .LBB297_2179
; %bb.563:
	s_movk_i32 s4, 0x80
	v_cmp_eq_u16_sdwa s[26:27], v12, s4 src0_sel:BYTE_0 src1_sel:DWORD
	s_mov_b64 s[4:5], -1
	s_and_saveexec_b64 s[24:25], s[26:27]
; %bb.564:
	s_xor_b64 s[4:5], exec, -1
; %bb.565:
	s_or_b64 exec, exec, s[24:25]
	s_and_b64 s[4:5], s[4:5], exec
	s_or_saveexec_b64 s[20:21], s[20:21]
	v_mov_b32_e32 v10, 0x7f800001
	s_xor_b64 exec, exec, s[20:21]
	s_cbranch_execnz .LBB297_2180
.LBB297_566:
	s_or_b64 exec, exec, s[20:21]
	s_and_saveexec_b64 s[20:21], s[4:5]
	s_cbranch_execz .LBB297_568
.LBB297_567:
	v_and_b32_e32 v16, 7, v12
	v_ffbh_u32_e32 v17, v16
	v_min_u32_e32 v17, 32, v17
	v_lshrrev_b16_e32 v10, 3, v12
	v_subrev_u32_e32 v20, 28, v17
	v_and_b32_e32 v10, 15, v10
	v_lshlrev_b32_e32 v20, v20, v12
	v_sub_u32_e32 v17, 29, v17
	v_and_b32_e32 v20, 7, v20
	v_cmp_eq_u32_e64 s[4:5], 0, v10
	v_cndmask_b32_e64 v10, v10, v17, s[4:5]
	v_cndmask_b32_e64 v16, v16, v20, s[4:5]
	v_lshlrev_b32_e32 v12, 24, v12
	v_mov_b32_e32 v17, 0x3b800000
	v_lshlrev_b32_e32 v16, 20, v16
	v_and_b32_e32 v12, 0x80000000, v12
	v_lshl_add_u32 v10, v10, 23, v17
	v_or3_b32 v10, v12, v10, v16
.LBB297_568:
	s_or_b64 exec, exec, s[20:21]
	s_movk_i32 s4, 0x7f
	s_waitcnt vmcnt(0)
	v_cmp_gt_i16_sdwa s[20:21], v14, s4 src0_sel:BYTE_0 src1_sel:DWORD
	s_mov_b64 s[4:5], 0
	s_and_saveexec_b64 s[24:25], s[20:21]
	s_xor_b64 s[20:21], exec, s[24:25]
	s_cbranch_execz .LBB297_2181
; %bb.569:
	s_movk_i32 s4, 0x80
	v_cmp_eq_u16_sdwa s[26:27], v14, s4 src0_sel:BYTE_0 src1_sel:DWORD
	s_mov_b64 s[4:5], -1
	s_and_saveexec_b64 s[24:25], s[26:27]
; %bb.570:
	s_xor_b64 s[4:5], exec, -1
; %bb.571:
	s_or_b64 exec, exec, s[24:25]
	s_and_b64 s[4:5], s[4:5], exec
	s_or_saveexec_b64 s[20:21], s[20:21]
	v_mov_b32_e32 v12, 0x7f800001
	s_xor_b64 exec, exec, s[20:21]
	s_cbranch_execnz .LBB297_2182
.LBB297_572:
	s_or_b64 exec, exec, s[20:21]
	s_and_saveexec_b64 s[20:21], s[4:5]
	s_cbranch_execz .LBB297_574
.LBB297_573:
	v_and_b32_e32 v16, 7, v14
	v_ffbh_u32_e32 v17, v16
	v_min_u32_e32 v17, 32, v17
	v_lshrrev_b16_e32 v12, 3, v14
	v_subrev_u32_e32 v20, 28, v17
	v_and_b32_e32 v12, 15, v12
	v_lshlrev_b32_e32 v20, v20, v14
	v_sub_u32_e32 v17, 29, v17
	v_and_b32_e32 v20, 7, v20
	v_cmp_eq_u32_e64 s[4:5], 0, v12
	v_cndmask_b32_e64 v12, v12, v17, s[4:5]
	v_cndmask_b32_e64 v16, v16, v20, s[4:5]
	v_lshlrev_b32_e32 v14, 24, v14
	v_mov_b32_e32 v17, 0x3b800000
	v_lshlrev_b32_e32 v16, 20, v16
	v_and_b32_e32 v14, 0x80000000, v14
	v_lshl_add_u32 v12, v12, 23, v17
	v_or3_b32 v12, v14, v12, v16
.LBB297_574:
	s_or_b64 exec, exec, s[20:21]
	v_cmp_eq_f32_e64 s[4:5], v10, v12
	s_andn2_b64 s[20:21], s[22:23], exec
	s_and_b64 s[4:5], s[4:5], exec
	s_or_b64 s[22:23], s[20:21], s[4:5]
.LBB297_575:
	s_or_b64 exec, exec, s[18:19]
	v_add_co_u32_e64 v16, s[4:5], v8, v18
	v_addc_co_u32_e64 v17, s[4:5], 0, v25, s[4:5]
	v_cmp_lt_i16_e64 s[4:5], 10, v3
	s_mov_b64 s[24:25], 0
	s_mov_b64 s[18:19], s[14:15]
                                        ; implicit-def: $vgpr10
	s_and_saveexec_b64 s[20:21], s[4:5]
	s_xor_b64 s[20:21], exec, s[20:21]
	s_cbranch_execz .LBB297_644
; %bb.576:
	v_cmp_lt_i16_e64 s[4:5], 25, v3
	s_mov_b64 s[18:19], 0
	s_mov_b64 s[26:27], 0
                                        ; implicit-def: $vgpr10
	s_and_saveexec_b64 s[28:29], s[4:5]
	s_xor_b64 s[28:29], exec, s[28:29]
	s_cbranch_execz .LBB297_2183
; %bb.577:
	v_cmp_lt_i16_e64 s[4:5], 28, v3
	s_mov_b64 s[30:31], 0
                                        ; implicit-def: $vgpr10
	s_and_saveexec_b64 s[24:25], s[4:5]
	s_xor_b64 s[24:25], exec, s[24:25]
	s_cbranch_execz .LBB297_611
; %bb.578:
	v_cmp_lt_i16_e64 s[4:5], 43, v3
	s_mov_b64 s[34:35], 0
	s_mov_b64 s[36:37], 0
                                        ; implicit-def: $vgpr10
	s_and_saveexec_b64 s[26:27], s[4:5]
	s_xor_b64 s[26:27], exec, s[26:27]
	s_cbranch_execz .LBB297_600
; %bb.579:
	v_cmp_lt_i16_e64 s[4:5], 45, v3
                                        ; implicit-def: $vgpr10
	s_and_saveexec_b64 s[36:37], s[4:5]
	s_xor_b64 s[36:37], exec, s[36:37]
	s_cbranch_execz .LBB297_589
; %bb.580:
	v_cmp_eq_u16_e64 s[4:5], 46, v3
	s_mov_b64 s[38:39], -1
                                        ; implicit-def: $vgpr10
	s_and_saveexec_b64 s[30:31], s[4:5]
	s_cbranch_execz .LBB297_588
; %bb.581:
	flat_load_dword v10, v[16:17]
	s_mov_b32 s4, 0x43800000
	s_waitcnt vmcnt(0) lgkmcnt(0)
	v_lshlrev_b32_e32 v12, 16, v10
	v_and_b32_e32 v14, 0x7fffffff, v12
	v_cmp_gt_u32_e64 s[4:5], s4, v14
	v_mov_b32_e32 v10, 0x80
	s_and_saveexec_b64 s[34:35], s[4:5]
	s_cbranch_execz .LBB297_587
; %bb.582:
	s_mov_b32 s4, 0x3bffffff
	v_cmp_lt_u32_e64 s[4:5], s4, v14
	s_mov_b64 s[38:39], 0
                                        ; implicit-def: $vgpr14
	s_and_saveexec_b64 s[40:41], s[4:5]
	s_xor_b64 s[4:5], exec, s[40:41]
	s_cbranch_execz .LBB297_2652
; %bb.583:
	v_bfe_u32 v10, v12, 20, 1
	s_mov_b32 s33, 0x487ffff
	v_add3_u32 v10, v12, v10, s33
	s_mov_b64 s[38:39], exec
	v_lshrrev_b32_e32 v14, 20, v10
	s_andn2_saveexec_b64 s[40:41], s[4:5]
	s_cbranch_execnz .LBB297_2653
.LBB297_584:
	s_or_b64 exec, exec, s[40:41]
	v_mov_b32_e32 v10, 0
	s_and_saveexec_b64 s[4:5], s[38:39]
.LBB297_585:
	v_lshrrev_b32_e32 v10, 24, v12
	s_movk_i32 s33, 0x80
	v_and_or_b32 v10, v10, s33, v14
.LBB297_586:
	s_or_b64 exec, exec, s[4:5]
.LBB297_587:
	s_or_b64 exec, exec, s[34:35]
	s_mov_b64 s[34:35], exec
	s_xor_b64 s[38:39], exec, -1
.LBB297_588:
	s_or_b64 exec, exec, s[30:31]
	s_and_b64 s[34:35], s[34:35], exec
	s_and_b64 s[30:31], s[38:39], exec
.LBB297_589:
	s_andn2_saveexec_b64 s[36:37], s[36:37]
	s_cbranch_execz .LBB297_599
; %bb.590:
	v_cmp_eq_u16_e64 s[4:5], 44, v3
	s_mov_b64 s[40:41], -1
	s_mov_b64 s[42:43], s[34:35]
                                        ; implicit-def: $vgpr10
	s_and_saveexec_b64 s[38:39], s[4:5]
	s_cbranch_execz .LBB297_598
; %bb.591:
	flat_load_ubyte v10, v[16:17]
	s_movk_i32 s4, 0xff
	s_waitcnt lgkmcnt(0)
	v_mov_b32_e32 v12, 0x7f800001
	s_waitcnt vmcnt(0)
	v_mov_b32_e32 v14, 0x400000
	s_mov_b32 s33, 0x43800000
	v_lshlrev_b32_e32 v18, 23, v10
	v_cmp_ne_u32_e64 s[4:5], s4, v10
	v_cndmask_b32_e64 v12, v12, v18, s[4:5]
	v_cmp_ne_u32_e64 s[4:5], 0, v10
	v_cndmask_b32_e64 v14, v14, v12, s[4:5]
	v_cmp_gt_u32_e64 s[4:5], s33, v14
	v_mov_b32_e32 v10, 0x80
	s_and_saveexec_b64 s[40:41], s[4:5]
	s_cbranch_execz .LBB297_597
; %bb.592:
	s_mov_b32 s4, 0x3bffffff
	v_cmp_lt_u32_e64 s[4:5], s4, v14
	s_mov_b64 s[42:43], 0
                                        ; implicit-def: $vgpr12
	s_and_saveexec_b64 s[44:45], s[4:5]
	s_xor_b64 s[4:5], exec, s[44:45]
	s_cbranch_execz .LBB297_2654
; %bb.593:
	v_bfe_u32 v10, v14, 20, 1
	s_mov_b32 s33, 0x487ffff
	v_add3_u32 v10, v14, v10, s33
	s_mov_b64 s[42:43], exec
	v_lshrrev_b32_e32 v12, 20, v10
                                        ; implicit-def: $vgpr14
	s_andn2_saveexec_b64 s[44:45], s[4:5]
	s_cbranch_execnz .LBB297_2655
.LBB297_594:
	s_or_b64 exec, exec, s[44:45]
	v_mov_b32_e32 v10, 0
	s_and_saveexec_b64 s[4:5], s[42:43]
.LBB297_595:
	v_mov_b32_e32 v10, v12
.LBB297_596:
	s_or_b64 exec, exec, s[4:5]
.LBB297_597:
	s_or_b64 exec, exec, s[40:41]
	s_or_b64 s[42:43], s[34:35], exec
	s_xor_b64 s[40:41], exec, -1
.LBB297_598:
	s_or_b64 exec, exec, s[38:39]
	s_andn2_b64 s[4:5], s[34:35], exec
	s_and_b64 s[34:35], s[42:43], exec
	s_or_b64 s[34:35], s[4:5], s[34:35]
	s_andn2_b64 s[4:5], s[30:31], exec
	s_and_b64 s[30:31], s[40:41], exec
	s_or_b64 s[30:31], s[4:5], s[30:31]
.LBB297_599:
	s_or_b64 exec, exec, s[36:37]
	s_and_b64 s[36:37], s[34:35], exec
	s_and_b64 s[34:35], s[30:31], exec
.LBB297_600:
	s_andn2_saveexec_b64 s[26:27], s[26:27]
	s_cbranch_execz .LBB297_610
; %bb.601:
	v_cmp_eq_u16_e64 s[4:5], 29, v3
	s_mov_b64 s[38:39], -1
	s_mov_b64 s[40:41], s[36:37]
                                        ; implicit-def: $vgpr10
	s_and_saveexec_b64 s[30:31], s[4:5]
	s_cbranch_execz .LBB297_609
; %bb.602:
	flat_load_dwordx2 v[20:21], v[16:17]
	s_mov_b32 s4, 0x43800000
	s_waitcnt vmcnt(0) lgkmcnt(0)
	v_ffbh_u32_e32 v10, v21
	v_min_u32_e32 v10, 32, v10
	v_lshlrev_b64 v[20:21], v10, v[20:21]
	v_sub_u32_e32 v10, 32, v10
	v_min_u32_e32 v12, 1, v20
	v_or_b32_e32 v12, v21, v12
	v_cvt_f32_u32_e32 v12, v12
	v_ldexp_f32 v14, v12, v10
	v_cmp_gt_u32_e64 s[4:5], s4, v14
	v_mov_b32_e32 v10, 0x80
	s_and_saveexec_b64 s[38:39], s[4:5]
	s_cbranch_execz .LBB297_608
; %bb.603:
	s_mov_b32 s4, 0x3bffffff
	v_cmp_lt_u32_e64 s[4:5], s4, v14
	s_mov_b64 s[40:41], 0
                                        ; implicit-def: $vgpr12
	s_and_saveexec_b64 s[42:43], s[4:5]
	s_xor_b64 s[4:5], exec, s[42:43]
	s_cbranch_execz .LBB297_2561
; %bb.604:
	v_bfe_u32 v10, v14, 20, 1
	s_mov_b32 s33, 0x487ffff
	v_add3_u32 v10, v14, v10, s33
	s_mov_b64 s[40:41], exec
	v_lshrrev_b32_e32 v12, 20, v10
                                        ; implicit-def: $vgpr14
	s_andn2_saveexec_b64 s[42:43], s[4:5]
	s_cbranch_execnz .LBB297_2562
.LBB297_605:
	s_or_b64 exec, exec, s[42:43]
	v_mov_b32_e32 v10, 0
	s_and_saveexec_b64 s[4:5], s[40:41]
.LBB297_606:
	v_mov_b32_e32 v10, v12
.LBB297_607:
	s_or_b64 exec, exec, s[4:5]
.LBB297_608:
	s_or_b64 exec, exec, s[38:39]
	s_or_b64 s[40:41], s[36:37], exec
	s_xor_b64 s[38:39], exec, -1
.LBB297_609:
	s_or_b64 exec, exec, s[30:31]
	s_andn2_b64 s[4:5], s[36:37], exec
	s_and_b64 s[30:31], s[40:41], exec
	s_or_b64 s[36:37], s[4:5], s[30:31]
	s_andn2_b64 s[4:5], s[34:35], exec
	s_and_b64 s[30:31], s[38:39], exec
	s_or_b64 s[34:35], s[4:5], s[30:31]
.LBB297_610:
	s_or_b64 exec, exec, s[26:27]
	s_and_b64 s[30:31], s[36:37], exec
	s_and_b64 s[26:27], s[34:35], exec
.LBB297_611:
	s_andn2_saveexec_b64 s[24:25], s[24:25]
	s_cbranch_execz .LBB297_633
; %bb.612:
	v_cmp_lt_i16_e64 s[4:5], 26, v3
                                        ; implicit-def: $vgpr10
	s_and_saveexec_b64 s[34:35], s[4:5]
	s_xor_b64 s[34:35], exec, s[34:35]
	s_cbranch_execz .LBB297_630
; %bb.613:
	v_cmp_lt_i16_e64 s[4:5], 27, v3
                                        ; implicit-def: $vgpr10
	s_and_saveexec_b64 s[36:37], s[4:5]
	s_xor_b64 s[36:37], exec, s[36:37]
	s_cbranch_execz .LBB297_621
; %bb.614:
	flat_load_dword v10, v[16:17]
	s_mov_b32 s4, 0x43800000
	s_waitcnt vmcnt(0) lgkmcnt(0)
	v_cvt_f32_u32_e32 v14, v10
	v_mov_b32_e32 v10, 0x80
	v_cmp_gt_u32_e64 s[4:5], s4, v14
	s_and_saveexec_b64 s[38:39], s[4:5]
	s_cbranch_execz .LBB297_620
; %bb.615:
	s_mov_b32 s4, 0x3bffffff
	v_cmp_lt_u32_e64 s[4:5], s4, v14
	s_mov_b64 s[40:41], 0
                                        ; implicit-def: $vgpr12
	s_and_saveexec_b64 s[42:43], s[4:5]
	s_xor_b64 s[4:5], exec, s[42:43]
	s_cbranch_execz .LBB297_2563
; %bb.616:
	v_bfe_u32 v10, v14, 20, 1
	s_mov_b32 s33, 0x487ffff
	v_add3_u32 v10, v14, v10, s33
	s_mov_b64 s[40:41], exec
	v_lshrrev_b32_e32 v12, 20, v10
                                        ; implicit-def: $vgpr14
	s_andn2_saveexec_b64 s[42:43], s[4:5]
	s_cbranch_execnz .LBB297_2564
.LBB297_617:
	s_or_b64 exec, exec, s[42:43]
	v_mov_b32_e32 v10, 0
	s_and_saveexec_b64 s[4:5], s[40:41]
.LBB297_618:
	v_mov_b32_e32 v10, v12
.LBB297_619:
	s_or_b64 exec, exec, s[4:5]
.LBB297_620:
	s_or_b64 exec, exec, s[38:39]
.LBB297_621:
	s_andn2_saveexec_b64 s[36:37], s[36:37]
	s_cbranch_execz .LBB297_629
; %bb.622:
	flat_load_ushort v10, v[16:17]
	s_mov_b32 s4, 0x43800000
	s_waitcnt vmcnt(0) lgkmcnt(0)
	v_cvt_f32_u32_e32 v14, v10
	v_mov_b32_e32 v10, 0x80
	v_cmp_gt_u32_e64 s[4:5], s4, v14
	s_and_saveexec_b64 s[38:39], s[4:5]
	s_cbranch_execz .LBB297_628
; %bb.623:
	s_mov_b32 s4, 0x3bffffff
	v_cmp_lt_u32_e64 s[4:5], s4, v14
	s_mov_b64 s[40:41], 0
                                        ; implicit-def: $vgpr12
	s_and_saveexec_b64 s[42:43], s[4:5]
	s_xor_b64 s[4:5], exec, s[42:43]
	s_cbranch_execz .LBB297_2565
; %bb.624:
	v_bfe_u32 v10, v14, 20, 1
	s_mov_b32 s33, 0x487ffff
	v_add3_u32 v10, v14, v10, s33
	s_mov_b64 s[40:41], exec
	v_lshrrev_b32_e32 v12, 20, v10
                                        ; implicit-def: $vgpr14
	s_andn2_saveexec_b64 s[42:43], s[4:5]
	s_cbranch_execnz .LBB297_2566
.LBB297_625:
	s_or_b64 exec, exec, s[42:43]
	v_mov_b32_e32 v10, 0
	s_and_saveexec_b64 s[4:5], s[40:41]
.LBB297_626:
	v_mov_b32_e32 v10, v12
.LBB297_627:
	s_or_b64 exec, exec, s[4:5]
.LBB297_628:
	s_or_b64 exec, exec, s[38:39]
.LBB297_629:
	s_or_b64 exec, exec, s[36:37]
.LBB297_630:
	s_andn2_saveexec_b64 s[4:5], s[34:35]
	s_cbranch_execz .LBB297_632
; %bb.631:
	flat_load_ubyte v10, v[16:17]
.LBB297_632:
	s_or_b64 exec, exec, s[4:5]
	s_or_b64 s[30:31], s[30:31], exec
.LBB297_633:
	s_or_b64 exec, exec, s[24:25]
	s_and_b64 s[24:25], s[30:31], exec
	s_and_b64 s[26:27], s[26:27], exec
	s_andn2_saveexec_b64 s[28:29], s[28:29]
	s_cbranch_execnz .LBB297_2184
.LBB297_634:
	s_or_b64 exec, exec, s[28:29]
	s_mov_b64 s[28:29], s[14:15]
	s_and_saveexec_b64 s[4:5], s[26:27]
	s_cbranch_execnz .LBB297_2233
.LBB297_635:
	s_or_b64 exec, exec, s[4:5]
	s_and_saveexec_b64 s[4:5], s[18:19]
	s_xor_b64 s[18:19], exec, s[4:5]
	s_cbranch_execz .LBB297_643
.LBB297_636:
	s_waitcnt vmcnt(0) lgkmcnt(0)
	flat_load_ubyte v10, v[16:17]
	s_mov_b32 s26, 0x43800000
	s_waitcnt vmcnt(0) lgkmcnt(0)
	v_cmp_ne_u16_e64 s[4:5], 0, v10
	v_cndmask_b32_e64 v14, 0, 1.0, s[4:5]
	v_cmp_gt_u32_e64 s[4:5], s26, v14
	v_mov_b32_e32 v10, 0x80
	s_and_saveexec_b64 s[26:27], s[4:5]
	s_cbranch_execz .LBB297_642
; %bb.637:
	s_mov_b32 s4, 0x3bffffff
	v_cmp_lt_u32_e64 s[4:5], s4, v14
	s_mov_b64 s[30:31], 0
                                        ; implicit-def: $vgpr12
	s_and_saveexec_b64 s[34:35], s[4:5]
	s_xor_b64 s[4:5], exec, s[34:35]
	s_cbranch_execz .LBB297_2298
; %bb.638:
	v_bfe_u32 v10, v14, 20, 1
	s_mov_b32 s33, 0x487ffff
	v_add3_u32 v10, v14, v10, s33
	s_mov_b64 s[30:31], exec
	v_lshrrev_b32_e32 v12, 20, v10
                                        ; implicit-def: $vgpr14
	s_andn2_saveexec_b64 s[34:35], s[4:5]
	s_cbranch_execnz .LBB297_2299
.LBB297_639:
	s_or_b64 exec, exec, s[34:35]
	v_mov_b32_e32 v10, 0
	s_and_saveexec_b64 s[4:5], s[30:31]
.LBB297_640:
	v_mov_b32_e32 v10, v12
.LBB297_641:
	s_or_b64 exec, exec, s[4:5]
.LBB297_642:
	s_or_b64 exec, exec, s[26:27]
	s_or_b64 s[24:25], s[24:25], exec
.LBB297_643:
	s_or_b64 exec, exec, s[18:19]
	s_andn2_b64 s[4:5], s[14:15], exec
	s_and_b64 s[18:19], s[28:29], exec
	s_or_b64 s[18:19], s[4:5], s[18:19]
	s_and_b64 s[24:25], s[24:25], exec
                                        ; implicit-def: $vgpr16_vgpr17
.LBB297_644:
	s_andn2_saveexec_b64 s[20:21], s[20:21]
	s_cbranch_execz .LBB297_752
; %bb.645:
	v_cmp_lt_i16_e64 s[4:5], 4, v3
                                        ; implicit-def: $vgpr10
	s_and_saveexec_b64 s[26:27], s[4:5]
	s_xor_b64 s[26:27], exec, s[26:27]
	s_cbranch_execz .LBB297_703
; %bb.646:
	v_cmp_lt_i16_e64 s[4:5], 7, v3
                                        ; implicit-def: $vgpr10
	s_and_saveexec_b64 s[28:29], s[4:5]
	s_xor_b64 s[28:29], exec, s[28:29]
	s_cbranch_execz .LBB297_674
; %bb.647:
	v_cmp_lt_i16_e64 s[4:5], 8, v3
                                        ; implicit-def: $vgpr10
	s_and_saveexec_b64 s[30:31], s[4:5]
	s_xor_b64 s[30:31], exec, s[30:31]
	s_cbranch_execz .LBB297_665
; %bb.648:
	v_cmp_lt_i16_e64 s[4:5], 9, v3
                                        ; implicit-def: $vgpr10
	s_and_saveexec_b64 s[34:35], s[4:5]
	s_xor_b64 s[34:35], exec, s[34:35]
	s_cbranch_execz .LBB297_656
; %bb.649:
	flat_load_dwordx2 v[16:17], v[16:17]
	s_mov_b32 s4, 0x43800000
	s_waitcnt vmcnt(0) lgkmcnt(0)
	v_mov_b32_e32 v10, 0x80
	v_cvt_f32_f64_e32 v12, v[16:17]
	v_and_b32_e32 v14, 0x7fffffff, v12
	v_cmp_gt_u32_e64 s[4:5], s4, v14
	s_and_saveexec_b64 s[36:37], s[4:5]
	s_cbranch_execz .LBB297_655
; %bb.650:
	s_mov_b32 s4, 0x3bffffff
	v_cmp_lt_u32_e64 s[4:5], s4, v14
	s_mov_b64 s[38:39], 0
                                        ; implicit-def: $vgpr14
	s_and_saveexec_b64 s[40:41], s[4:5]
	s_xor_b64 s[4:5], exec, s[40:41]
	s_cbranch_execz .LBB297_2567
; %bb.651:
	v_bfe_u32 v10, v12, 20, 1
	s_mov_b32 s33, 0x487ffff
	v_add3_u32 v10, v12, v10, s33
	s_mov_b64 s[38:39], exec
	v_lshrrev_b32_e32 v14, 20, v10
	s_andn2_saveexec_b64 s[40:41], s[4:5]
	s_cbranch_execnz .LBB297_2568
.LBB297_652:
	s_or_b64 exec, exec, s[40:41]
	v_mov_b32_e32 v10, 0
	s_and_saveexec_b64 s[4:5], s[38:39]
.LBB297_653:
	v_lshrrev_b32_e32 v10, 24, v12
	s_movk_i32 s33, 0x80
	v_and_or_b32 v10, v10, s33, v14
.LBB297_654:
	s_or_b64 exec, exec, s[4:5]
.LBB297_655:
	s_or_b64 exec, exec, s[36:37]
                                        ; implicit-def: $vgpr16_vgpr17
.LBB297_656:
	s_andn2_saveexec_b64 s[34:35], s[34:35]
	s_cbranch_execz .LBB297_664
; %bb.657:
	s_waitcnt lgkmcnt(0)
	flat_load_dword v12, v[16:17]
	s_mov_b32 s4, 0x43800000
	s_waitcnt vmcnt(0)
	v_mov_b32_e32 v10, 0x80
	s_waitcnt lgkmcnt(0)
	v_and_b32_e32 v14, 0x7fffffff, v12
	v_cmp_gt_u32_e64 s[4:5], s4, v14
	s_and_saveexec_b64 s[36:37], s[4:5]
	s_cbranch_execz .LBB297_663
; %bb.658:
	s_mov_b32 s4, 0x3bffffff
	v_cmp_lt_u32_e64 s[4:5], s4, v14
	s_mov_b64 s[38:39], 0
                                        ; implicit-def: $vgpr14
	s_and_saveexec_b64 s[40:41], s[4:5]
	s_xor_b64 s[4:5], exec, s[40:41]
	s_cbranch_execz .LBB297_2569
; %bb.659:
	v_bfe_u32 v10, v12, 20, 1
	s_mov_b32 s33, 0x487ffff
	v_add3_u32 v10, v12, v10, s33
	s_mov_b64 s[38:39], exec
	v_lshrrev_b32_e32 v14, 20, v10
	s_andn2_saveexec_b64 s[40:41], s[4:5]
	s_cbranch_execnz .LBB297_2570
.LBB297_660:
	s_or_b64 exec, exec, s[40:41]
	v_mov_b32_e32 v10, 0
	s_and_saveexec_b64 s[4:5], s[38:39]
.LBB297_661:
	v_lshrrev_b32_e32 v10, 24, v12
	s_movk_i32 s33, 0x80
	v_and_or_b32 v10, v10, s33, v14
.LBB297_662:
	s_or_b64 exec, exec, s[4:5]
.LBB297_663:
	s_or_b64 exec, exec, s[36:37]
.LBB297_664:
	s_or_b64 exec, exec, s[34:35]
                                        ; implicit-def: $vgpr16_vgpr17
.LBB297_665:
	s_andn2_saveexec_b64 s[30:31], s[30:31]
	s_cbranch_execz .LBB297_673
; %bb.666:
	s_waitcnt vmcnt(0) lgkmcnt(0)
	flat_load_dword v10, v[16:17]
	s_mov_b32 s4, 0x43800000
	s_waitcnt vmcnt(0) lgkmcnt(0)
	v_cvt_f32_f16_e32 v12, v10
	v_mov_b32_e32 v10, 0x80
	v_and_b32_e32 v14, 0x7fffffff, v12
	v_cmp_gt_u32_e64 s[4:5], s4, v14
	s_and_saveexec_b64 s[34:35], s[4:5]
	s_cbranch_execz .LBB297_672
; %bb.667:
	s_mov_b32 s4, 0x3bffffff
	v_cmp_lt_u32_e64 s[4:5], s4, v14
	s_mov_b64 s[36:37], 0
                                        ; implicit-def: $vgpr14
	s_and_saveexec_b64 s[38:39], s[4:5]
	s_xor_b64 s[4:5], exec, s[38:39]
	s_cbranch_execz .LBB297_2476
; %bb.668:
	v_bfe_u32 v10, v12, 20, 1
	s_mov_b32 s33, 0x487ffff
	v_add3_u32 v10, v12, v10, s33
	s_mov_b64 s[36:37], exec
	v_lshrrev_b32_e32 v14, 20, v10
	s_andn2_saveexec_b64 s[38:39], s[4:5]
	s_cbranch_execnz .LBB297_2477
.LBB297_669:
	s_or_b64 exec, exec, s[38:39]
	v_mov_b32_e32 v10, 0
	s_and_saveexec_b64 s[4:5], s[36:37]
.LBB297_670:
	v_lshrrev_b32_e32 v10, 24, v12
	s_movk_i32 s33, 0x80
	v_and_or_b32 v10, v10, s33, v14
.LBB297_671:
	s_or_b64 exec, exec, s[4:5]
.LBB297_672:
	s_or_b64 exec, exec, s[34:35]
.LBB297_673:
	s_or_b64 exec, exec, s[30:31]
                                        ; implicit-def: $vgpr16_vgpr17
.LBB297_674:
	s_andn2_saveexec_b64 s[28:29], s[28:29]
	s_cbranch_execz .LBB297_702
; %bb.675:
	v_cmp_lt_i16_e64 s[4:5], 5, v3
                                        ; implicit-def: $vgpr10
	s_and_saveexec_b64 s[30:31], s[4:5]
	s_xor_b64 s[30:31], exec, s[30:31]
	s_cbranch_execz .LBB297_693
; %bb.676:
	v_cmp_lt_i16_e64 s[4:5], 6, v3
                                        ; implicit-def: $vgpr10
	s_and_saveexec_b64 s[34:35], s[4:5]
	s_xor_b64 s[34:35], exec, s[34:35]
	s_cbranch_execz .LBB297_684
; %bb.677:
	flat_load_dwordx2 v[16:17], v[16:17]
	s_mov_b32 s4, 0x43800000
	s_waitcnt vmcnt(0) lgkmcnt(0)
	v_mov_b32_e32 v10, 0x80
	v_cvt_f32_f64_e32 v12, v[16:17]
	v_and_b32_e32 v14, 0x7fffffff, v12
	v_cmp_gt_u32_e64 s[4:5], s4, v14
	s_and_saveexec_b64 s[36:37], s[4:5]
	s_cbranch_execz .LBB297_683
; %bb.678:
	s_mov_b32 s4, 0x3bffffff
	v_cmp_lt_u32_e64 s[4:5], s4, v14
	s_mov_b64 s[38:39], 0
                                        ; implicit-def: $vgpr14
	s_and_saveexec_b64 s[40:41], s[4:5]
	s_xor_b64 s[4:5], exec, s[40:41]
	s_cbranch_execz .LBB297_2571
; %bb.679:
	v_bfe_u32 v10, v12, 20, 1
	s_mov_b32 s33, 0x487ffff
	v_add3_u32 v10, v12, v10, s33
	s_mov_b64 s[38:39], exec
	v_lshrrev_b32_e32 v14, 20, v10
	s_andn2_saveexec_b64 s[40:41], s[4:5]
	s_cbranch_execnz .LBB297_2572
.LBB297_680:
	s_or_b64 exec, exec, s[40:41]
	v_mov_b32_e32 v10, 0
	s_and_saveexec_b64 s[4:5], s[38:39]
.LBB297_681:
	v_lshrrev_b32_e32 v10, 24, v12
	s_movk_i32 s33, 0x80
	v_and_or_b32 v10, v10, s33, v14
.LBB297_682:
	s_or_b64 exec, exec, s[4:5]
.LBB297_683:
	s_or_b64 exec, exec, s[36:37]
                                        ; implicit-def: $vgpr16_vgpr17
.LBB297_684:
	s_andn2_saveexec_b64 s[34:35], s[34:35]
	s_cbranch_execz .LBB297_692
; %bb.685:
	s_waitcnt lgkmcnt(0)
	flat_load_dword v12, v[16:17]
	s_mov_b32 s4, 0x43800000
	s_waitcnt vmcnt(0)
	v_mov_b32_e32 v10, 0x80
	s_waitcnt lgkmcnt(0)
	v_and_b32_e32 v14, 0x7fffffff, v12
	v_cmp_gt_u32_e64 s[4:5], s4, v14
	s_and_saveexec_b64 s[36:37], s[4:5]
	s_cbranch_execz .LBB297_691
; %bb.686:
	s_mov_b32 s4, 0x3bffffff
	v_cmp_lt_u32_e64 s[4:5], s4, v14
	s_mov_b64 s[38:39], 0
                                        ; implicit-def: $vgpr14
	s_and_saveexec_b64 s[40:41], s[4:5]
	s_xor_b64 s[4:5], exec, s[40:41]
	s_cbranch_execz .LBB297_2573
; %bb.687:
	v_bfe_u32 v10, v12, 20, 1
	s_mov_b32 s33, 0x487ffff
	v_add3_u32 v10, v12, v10, s33
	s_mov_b64 s[38:39], exec
	v_lshrrev_b32_e32 v14, 20, v10
	s_andn2_saveexec_b64 s[40:41], s[4:5]
	s_cbranch_execnz .LBB297_2574
.LBB297_688:
	s_or_b64 exec, exec, s[40:41]
	v_mov_b32_e32 v10, 0
	s_and_saveexec_b64 s[4:5], s[38:39]
.LBB297_689:
	v_lshrrev_b32_e32 v10, 24, v12
	s_movk_i32 s33, 0x80
	v_and_or_b32 v10, v10, s33, v14
.LBB297_690:
	s_or_b64 exec, exec, s[4:5]
.LBB297_691:
	s_or_b64 exec, exec, s[36:37]
.LBB297_692:
	s_or_b64 exec, exec, s[34:35]
                                        ; implicit-def: $vgpr16_vgpr17
.LBB297_693:
	s_andn2_saveexec_b64 s[30:31], s[30:31]
	s_cbranch_execz .LBB297_701
; %bb.694:
	s_waitcnt vmcnt(0) lgkmcnt(0)
	flat_load_ushort v10, v[16:17]
	s_mov_b32 s4, 0x43800000
	s_waitcnt vmcnt(0) lgkmcnt(0)
	v_cvt_f32_f16_e32 v12, v10
	v_mov_b32_e32 v10, 0x80
	v_and_b32_e32 v14, 0x7fffffff, v12
	v_cmp_gt_u32_e64 s[4:5], s4, v14
	s_and_saveexec_b64 s[34:35], s[4:5]
	s_cbranch_execz .LBB297_700
; %bb.695:
	s_mov_b32 s4, 0x3bffffff
	v_cmp_lt_u32_e64 s[4:5], s4, v14
	s_mov_b64 s[36:37], 0
                                        ; implicit-def: $vgpr14
	s_and_saveexec_b64 s[38:39], s[4:5]
	s_xor_b64 s[4:5], exec, s[38:39]
	s_cbranch_execz .LBB297_2478
; %bb.696:
	v_bfe_u32 v10, v12, 20, 1
	s_mov_b32 s33, 0x487ffff
	v_add3_u32 v10, v12, v10, s33
	s_mov_b64 s[36:37], exec
	v_lshrrev_b32_e32 v14, 20, v10
	s_andn2_saveexec_b64 s[38:39], s[4:5]
	s_cbranch_execnz .LBB297_2479
.LBB297_697:
	s_or_b64 exec, exec, s[38:39]
	v_mov_b32_e32 v10, 0
	s_and_saveexec_b64 s[4:5], s[36:37]
.LBB297_698:
	v_lshrrev_b32_e32 v10, 24, v12
	s_movk_i32 s33, 0x80
	v_and_or_b32 v10, v10, s33, v14
.LBB297_699:
	s_or_b64 exec, exec, s[4:5]
.LBB297_700:
	s_or_b64 exec, exec, s[34:35]
.LBB297_701:
	s_or_b64 exec, exec, s[30:31]
.LBB297_702:
	s_or_b64 exec, exec, s[28:29]
                                        ; implicit-def: $vgpr16_vgpr17
.LBB297_703:
	s_andn2_saveexec_b64 s[26:27], s[26:27]
	s_cbranch_execz .LBB297_751
; %bb.704:
	v_cmp_lt_i16_e64 s[4:5], 1, v3
                                        ; implicit-def: $vgpr10
	s_and_saveexec_b64 s[28:29], s[4:5]
	s_xor_b64 s[28:29], exec, s[28:29]
	s_cbranch_execz .LBB297_732
; %bb.705:
	v_cmp_lt_i16_e64 s[4:5], 2, v3
                                        ; implicit-def: $vgpr10
	s_and_saveexec_b64 s[30:31], s[4:5]
	s_xor_b64 s[30:31], exec, s[30:31]
	;; [unrolled: 6-line block ×3, first 2 shown]
	s_cbranch_execz .LBB297_714
; %bb.707:
	flat_load_dwordx2 v[16:17], v[16:17]
	s_mov_b32 s4, 0x43800000
	s_waitcnt vmcnt(0) lgkmcnt(0)
	v_xor_b32_e32 v12, v16, v17
	v_ffbh_i32_e32 v10, v17
	v_ashrrev_i32_e32 v12, 31, v12
	v_add_u32_e32 v10, -1, v10
	v_add_u32_e32 v12, 32, v12
	v_min_u32_e32 v10, v10, v12
	v_lshlrev_b64 v[16:17], v10, v[16:17]
	v_sub_u32_e32 v10, 32, v10
	v_min_u32_e32 v12, 1, v16
	v_or_b32_e32 v12, v17, v12
	v_cvt_f32_i32_e32 v12, v12
	v_ldexp_f32 v12, v12, v10
	v_and_b32_e32 v14, 0x7fffffff, v12
	v_cmp_gt_u32_e64 s[4:5], s4, v14
	v_mov_b32_e32 v10, 0x80
	s_and_saveexec_b64 s[36:37], s[4:5]
	s_cbranch_execz .LBB297_713
; %bb.708:
	s_mov_b32 s4, 0x3bffffff
	v_cmp_lt_u32_e64 s[4:5], s4, v14
	s_mov_b64 s[38:39], 0
                                        ; implicit-def: $vgpr14
	s_and_saveexec_b64 s[40:41], s[4:5]
	s_xor_b64 s[4:5], exec, s[40:41]
	s_cbranch_execz .LBB297_2575
; %bb.709:
	v_bfe_u32 v10, v12, 20, 1
	s_mov_b32 s33, 0x487ffff
	v_add3_u32 v10, v12, v10, s33
	s_mov_b64 s[38:39], exec
	v_lshrrev_b32_e32 v14, 20, v10
	s_andn2_saveexec_b64 s[40:41], s[4:5]
	s_cbranch_execnz .LBB297_2576
.LBB297_710:
	s_or_b64 exec, exec, s[40:41]
	v_mov_b32_e32 v10, 0
	s_and_saveexec_b64 s[4:5], s[38:39]
.LBB297_711:
	v_lshrrev_b32_e32 v10, 24, v12
	s_movk_i32 s33, 0x80
	v_and_or_b32 v10, v10, s33, v14
.LBB297_712:
	s_or_b64 exec, exec, s[4:5]
.LBB297_713:
	s_or_b64 exec, exec, s[36:37]
                                        ; implicit-def: $vgpr16_vgpr17
.LBB297_714:
	s_andn2_saveexec_b64 s[34:35], s[34:35]
	s_cbranch_execz .LBB297_722
; %bb.715:
	s_waitcnt vmcnt(0) lgkmcnt(0)
	flat_load_dword v10, v[16:17]
	s_mov_b32 s4, 0x43800000
	s_waitcnt vmcnt(0) lgkmcnt(0)
	v_cvt_f32_i32_e32 v12, v10
	v_mov_b32_e32 v10, 0x80
	v_and_b32_e32 v14, 0x7fffffff, v12
	v_cmp_gt_u32_e64 s[4:5], s4, v14
	s_and_saveexec_b64 s[36:37], s[4:5]
	s_cbranch_execz .LBB297_721
; %bb.716:
	s_mov_b32 s4, 0x3bffffff
	v_cmp_lt_u32_e64 s[4:5], s4, v14
	s_mov_b64 s[38:39], 0
                                        ; implicit-def: $vgpr14
	s_and_saveexec_b64 s[40:41], s[4:5]
	s_xor_b64 s[4:5], exec, s[40:41]
	s_cbranch_execz .LBB297_2577
; %bb.717:
	v_bfe_u32 v10, v12, 20, 1
	s_mov_b32 s33, 0x487ffff
	v_add3_u32 v10, v12, v10, s33
	s_mov_b64 s[38:39], exec
	v_lshrrev_b32_e32 v14, 20, v10
	s_andn2_saveexec_b64 s[40:41], s[4:5]
	s_cbranch_execnz .LBB297_2578
.LBB297_718:
	s_or_b64 exec, exec, s[40:41]
	v_mov_b32_e32 v10, 0
	s_and_saveexec_b64 s[4:5], s[38:39]
.LBB297_719:
	v_lshrrev_b32_e32 v10, 24, v12
	s_movk_i32 s33, 0x80
	v_and_or_b32 v10, v10, s33, v14
.LBB297_720:
	s_or_b64 exec, exec, s[4:5]
.LBB297_721:
	s_or_b64 exec, exec, s[36:37]
.LBB297_722:
	s_or_b64 exec, exec, s[34:35]
                                        ; implicit-def: $vgpr16_vgpr17
.LBB297_723:
	s_andn2_saveexec_b64 s[30:31], s[30:31]
	s_cbranch_execz .LBB297_731
; %bb.724:
	s_waitcnt vmcnt(0) lgkmcnt(0)
	flat_load_sshort v10, v[16:17]
	s_mov_b32 s4, 0x43800000
	s_waitcnt vmcnt(0) lgkmcnt(0)
	v_cvt_f32_i32_e32 v12, v10
	v_mov_b32_e32 v10, 0x80
	v_and_b32_e32 v14, 0x7fffffff, v12
	v_cmp_gt_u32_e64 s[4:5], s4, v14
	s_and_saveexec_b64 s[34:35], s[4:5]
	s_cbranch_execz .LBB297_730
; %bb.725:
	s_mov_b32 s4, 0x3bffffff
	v_cmp_lt_u32_e64 s[4:5], s4, v14
	s_mov_b64 s[36:37], 0
                                        ; implicit-def: $vgpr14
	s_and_saveexec_b64 s[38:39], s[4:5]
	s_xor_b64 s[4:5], exec, s[38:39]
	s_cbranch_execz .LBB297_2480
; %bb.726:
	v_bfe_u32 v10, v12, 20, 1
	s_mov_b32 s33, 0x487ffff
	v_add3_u32 v10, v12, v10, s33
	s_mov_b64 s[36:37], exec
	v_lshrrev_b32_e32 v14, 20, v10
	s_andn2_saveexec_b64 s[38:39], s[4:5]
	s_cbranch_execnz .LBB297_2481
.LBB297_727:
	s_or_b64 exec, exec, s[38:39]
	v_mov_b32_e32 v10, 0
	s_and_saveexec_b64 s[4:5], s[36:37]
.LBB297_728:
	v_lshrrev_b32_e32 v10, 24, v12
	s_movk_i32 s33, 0x80
	v_and_or_b32 v10, v10, s33, v14
.LBB297_729:
	s_or_b64 exec, exec, s[4:5]
.LBB297_730:
	s_or_b64 exec, exec, s[34:35]
.LBB297_731:
	s_or_b64 exec, exec, s[30:31]
                                        ; implicit-def: $vgpr16_vgpr17
.LBB297_732:
	s_andn2_saveexec_b64 s[28:29], s[28:29]
	s_cbranch_execz .LBB297_750
; %bb.733:
	v_cmp_lt_i16_e64 s[4:5], 0, v3
                                        ; implicit-def: $vgpr10
	s_and_saveexec_b64 s[30:31], s[4:5]
	s_xor_b64 s[30:31], exec, s[30:31]
	s_cbranch_execz .LBB297_741
; %bb.734:
	s_waitcnt vmcnt(0) lgkmcnt(0)
	flat_load_sbyte v10, v[16:17]
	s_mov_b32 s4, 0x43800000
	s_waitcnt vmcnt(0) lgkmcnt(0)
	v_cvt_f32_i32_e32 v12, v10
	v_mov_b32_e32 v10, 0x80
	v_and_b32_e32 v14, 0x7fffffff, v12
	v_cmp_gt_u32_e64 s[4:5], s4, v14
	s_and_saveexec_b64 s[34:35], s[4:5]
	s_cbranch_execz .LBB297_740
; %bb.735:
	s_mov_b32 s4, 0x3bffffff
	v_cmp_lt_u32_e64 s[4:5], s4, v14
	s_mov_b64 s[36:37], 0
                                        ; implicit-def: $vgpr14
	s_and_saveexec_b64 s[38:39], s[4:5]
	s_xor_b64 s[4:5], exec, s[38:39]
	s_cbranch_execz .LBB297_2482
; %bb.736:
	v_bfe_u32 v10, v12, 20, 1
	s_mov_b32 s33, 0x487ffff
	v_add3_u32 v10, v12, v10, s33
	s_mov_b64 s[36:37], exec
	v_lshrrev_b32_e32 v14, 20, v10
	s_andn2_saveexec_b64 s[38:39], s[4:5]
	s_cbranch_execnz .LBB297_2483
.LBB297_737:
	s_or_b64 exec, exec, s[38:39]
	v_mov_b32_e32 v10, 0
	s_and_saveexec_b64 s[4:5], s[36:37]
.LBB297_738:
	v_lshrrev_b32_e32 v10, 24, v12
	s_movk_i32 s33, 0x80
	v_and_or_b32 v10, v10, s33, v14
.LBB297_739:
	s_or_b64 exec, exec, s[4:5]
.LBB297_740:
	s_or_b64 exec, exec, s[34:35]
                                        ; implicit-def: $vgpr16_vgpr17
.LBB297_741:
	s_andn2_saveexec_b64 s[30:31], s[30:31]
	s_cbranch_execz .LBB297_749
; %bb.742:
	s_waitcnt vmcnt(0) lgkmcnt(0)
	flat_load_ubyte v10, v[16:17]
	s_mov_b32 s4, 0x43800000
	s_waitcnt vmcnt(0) lgkmcnt(0)
	v_cvt_f32_ubyte0_e32 v14, v10
	v_cmp_gt_u32_e64 s[4:5], s4, v14
	v_mov_b32_e32 v10, 0x80
	s_and_saveexec_b64 s[34:35], s[4:5]
	s_cbranch_execz .LBB297_748
; %bb.743:
	s_mov_b32 s4, 0x3bffffff
	v_cmp_lt_u32_e64 s[4:5], s4, v14
	s_mov_b64 s[36:37], 0
                                        ; implicit-def: $vgpr12
	s_and_saveexec_b64 s[38:39], s[4:5]
	s_xor_b64 s[4:5], exec, s[38:39]
	s_cbranch_execz .LBB297_2484
; %bb.744:
	v_bfe_u32 v10, v14, 20, 1
	s_mov_b32 s33, 0x487ffff
	v_add3_u32 v10, v14, v10, s33
	s_mov_b64 s[36:37], exec
	v_lshrrev_b32_e32 v12, 20, v10
                                        ; implicit-def: $vgpr14
	s_andn2_saveexec_b64 s[38:39], s[4:5]
	s_cbranch_execnz .LBB297_2485
.LBB297_745:
	s_or_b64 exec, exec, s[38:39]
	v_mov_b32_e32 v10, 0
	s_and_saveexec_b64 s[4:5], s[36:37]
.LBB297_746:
	v_mov_b32_e32 v10, v12
.LBB297_747:
	s_or_b64 exec, exec, s[4:5]
.LBB297_748:
	s_or_b64 exec, exec, s[34:35]
.LBB297_749:
	s_or_b64 exec, exec, s[30:31]
.LBB297_750:
	s_or_b64 exec, exec, s[28:29]
.LBB297_751:
	s_or_b64 exec, exec, s[26:27]
	s_or_b64 s[24:25], s[24:25], exec
.LBB297_752:
	s_or_b64 exec, exec, s[20:21]
	s_mov_b64 s[4:5], 0
	s_mov_b64 s[26:27], 0
                                        ; implicit-def: $sgpr48_sgpr49
                                        ; implicit-def: $vgpr21_vgpr22
                                        ; implicit-def: $vgpr16
	s_and_saveexec_b64 s[20:21], s[24:25]
	s_cbranch_execz .LBB297_2027
; %bb.753:
	s_waitcnt vmcnt(0) lgkmcnt(0)
	v_add_co_u32_e64 v14, s[4:5], v5, v15
	v_addc_co_u32_e64 v15, s[4:5], 0, v24, s[4:5]
	v_cmp_lt_i16_e64 s[4:5], 10, v1
	s_mov_b64 s[28:29], 0
	s_mov_b64 s[24:25], s[18:19]
                                        ; implicit-def: $vgpr12
	s_and_saveexec_b64 s[26:27], s[4:5]
	s_xor_b64 s[26:27], exec, s[26:27]
	s_cbranch_execz .LBB297_822
; %bb.754:
	v_cmp_lt_i16_e64 s[4:5], 25, v1
	s_mov_b64 s[24:25], 0
	s_mov_b64 s[30:31], 0
                                        ; implicit-def: $vgpr12
	s_and_saveexec_b64 s[34:35], s[4:5]
	s_xor_b64 s[34:35], exec, s[34:35]
	s_cbranch_execz .LBB297_2236
; %bb.755:
	v_cmp_lt_i16_e64 s[4:5], 28, v1
	s_mov_b64 s[36:37], 0
                                        ; implicit-def: $vgpr12
	s_and_saveexec_b64 s[28:29], s[4:5]
	s_xor_b64 s[28:29], exec, s[28:29]
	s_cbranch_execz .LBB297_789
; %bb.756:
	v_cmp_lt_i16_e64 s[4:5], 43, v1
	s_mov_b64 s[38:39], 0
	s_mov_b64 s[40:41], 0
                                        ; implicit-def: $vgpr12
	s_and_saveexec_b64 s[30:31], s[4:5]
	s_xor_b64 s[30:31], exec, s[30:31]
	s_cbranch_execz .LBB297_778
; %bb.757:
	v_cmp_lt_i16_e64 s[4:5], 45, v1
                                        ; implicit-def: $vgpr12
	s_and_saveexec_b64 s[40:41], s[4:5]
	s_xor_b64 s[40:41], exec, s[40:41]
	s_cbranch_execz .LBB297_767
; %bb.758:
	v_cmp_eq_u16_e64 s[4:5], 46, v1
	s_mov_b64 s[42:43], -1
                                        ; implicit-def: $vgpr12
	s_and_saveexec_b64 s[36:37], s[4:5]
	s_cbranch_execz .LBB297_766
; %bb.759:
	flat_load_dword v12, v[14:15]
	s_mov_b32 s4, 0x43800000
	s_waitcnt vmcnt(0) lgkmcnt(0)
	v_lshlrev_b32_e32 v16, 16, v12
	v_and_b32_e32 v17, 0x7fffffff, v16
	v_cmp_gt_u32_e64 s[4:5], s4, v17
	v_mov_b32_e32 v12, 0x80
	s_and_saveexec_b64 s[38:39], s[4:5]
	s_cbranch_execz .LBB297_765
; %bb.760:
	s_mov_b32 s4, 0x3bffffff
	v_cmp_lt_u32_e64 s[4:5], s4, v17
	s_mov_b64 s[42:43], 0
                                        ; implicit-def: $vgpr17
	s_and_saveexec_b64 s[44:45], s[4:5]
	s_xor_b64 s[4:5], exec, s[44:45]
	s_cbranch_execz .LBB297_2747
; %bb.761:
	v_bfe_u32 v12, v16, 20, 1
	s_mov_b32 s33, 0x487ffff
	v_add3_u32 v12, v16, v12, s33
	s_mov_b64 s[42:43], exec
	v_lshrrev_b32_e32 v17, 20, v12
	s_andn2_saveexec_b64 s[44:45], s[4:5]
	s_cbranch_execnz .LBB297_2748
.LBB297_762:
	s_or_b64 exec, exec, s[44:45]
	v_mov_b32_e32 v12, 0
	s_and_saveexec_b64 s[4:5], s[42:43]
.LBB297_763:
	v_lshrrev_b32_e32 v12, 24, v16
	s_movk_i32 s33, 0x80
	v_and_or_b32 v12, v12, s33, v17
.LBB297_764:
	s_or_b64 exec, exec, s[4:5]
.LBB297_765:
	s_or_b64 exec, exec, s[38:39]
	s_mov_b64 s[38:39], exec
	s_xor_b64 s[42:43], exec, -1
.LBB297_766:
	s_or_b64 exec, exec, s[36:37]
	s_and_b64 s[38:39], s[38:39], exec
	s_and_b64 s[36:37], s[42:43], exec
.LBB297_767:
	s_andn2_saveexec_b64 s[40:41], s[40:41]
	s_cbranch_execz .LBB297_777
; %bb.768:
	v_cmp_eq_u16_e64 s[4:5], 44, v1
	s_mov_b64 s[44:45], -1
	s_mov_b64 s[46:47], s[38:39]
                                        ; implicit-def: $vgpr12
	s_and_saveexec_b64 s[42:43], s[4:5]
	s_cbranch_execz .LBB297_776
; %bb.769:
	flat_load_ubyte v12, v[14:15]
	s_movk_i32 s4, 0xff
	v_mov_b32_e32 v16, 0x7f800001
	v_mov_b32_e32 v17, 0x400000
	s_mov_b32 s33, 0x43800000
	s_waitcnt vmcnt(0) lgkmcnt(0)
	v_lshlrev_b32_e32 v18, 23, v12
	v_cmp_ne_u32_e64 s[4:5], s4, v12
	v_cndmask_b32_e64 v16, v16, v18, s[4:5]
	v_cmp_ne_u32_e64 s[4:5], 0, v12
	v_cndmask_b32_e64 v17, v17, v16, s[4:5]
	v_cmp_gt_u32_e64 s[4:5], s33, v17
	v_mov_b32_e32 v12, 0x80
	s_and_saveexec_b64 s[44:45], s[4:5]
	s_cbranch_execz .LBB297_775
; %bb.770:
	s_mov_b32 s4, 0x3bffffff
	v_cmp_lt_u32_e64 s[4:5], s4, v17
	s_mov_b64 s[46:47], 0
                                        ; implicit-def: $vgpr16
	s_and_saveexec_b64 s[48:49], s[4:5]
	s_xor_b64 s[4:5], exec, s[48:49]
	s_cbranch_execz .LBB297_2749
; %bb.771:
	v_bfe_u32 v12, v17, 20, 1
	s_mov_b32 s33, 0x487ffff
	v_add3_u32 v12, v17, v12, s33
	s_mov_b64 s[46:47], exec
	v_lshrrev_b32_e32 v16, 20, v12
                                        ; implicit-def: $vgpr17
	s_andn2_saveexec_b64 s[48:49], s[4:5]
	s_cbranch_execnz .LBB297_2750
.LBB297_772:
	s_or_b64 exec, exec, s[48:49]
	v_mov_b32_e32 v12, 0
	s_and_saveexec_b64 s[4:5], s[46:47]
.LBB297_773:
	v_mov_b32_e32 v12, v16
.LBB297_774:
	s_or_b64 exec, exec, s[4:5]
.LBB297_775:
	s_or_b64 exec, exec, s[44:45]
	s_or_b64 s[46:47], s[38:39], exec
	s_xor_b64 s[44:45], exec, -1
.LBB297_776:
	s_or_b64 exec, exec, s[42:43]
	s_andn2_b64 s[4:5], s[38:39], exec
	s_and_b64 s[38:39], s[46:47], exec
	s_or_b64 s[38:39], s[4:5], s[38:39]
	s_andn2_b64 s[4:5], s[36:37], exec
	s_and_b64 s[36:37], s[44:45], exec
	s_or_b64 s[36:37], s[4:5], s[36:37]
.LBB297_777:
	s_or_b64 exec, exec, s[40:41]
	s_and_b64 s[40:41], s[38:39], exec
	s_and_b64 s[38:39], s[36:37], exec
.LBB297_778:
	s_andn2_saveexec_b64 s[30:31], s[30:31]
	s_cbranch_execz .LBB297_788
; %bb.779:
	v_cmp_eq_u16_e64 s[4:5], 29, v1
	s_mov_b64 s[42:43], -1
	s_mov_b64 s[44:45], s[40:41]
                                        ; implicit-def: $vgpr12
	s_and_saveexec_b64 s[36:37], s[4:5]
	s_cbranch_execz .LBB297_787
; %bb.780:
	flat_load_dwordx2 v[16:17], v[14:15]
	s_mov_b32 s4, 0x43800000
	s_waitcnt vmcnt(0) lgkmcnt(0)
	v_ffbh_u32_e32 v12, v17
	v_min_u32_e32 v12, 32, v12
	v_lshlrev_b64 v[16:17], v12, v[16:17]
	v_sub_u32_e32 v12, 32, v12
	v_min_u32_e32 v16, 1, v16
	v_or_b32_e32 v16, v17, v16
	v_cvt_f32_u32_e32 v16, v16
	v_ldexp_f32 v17, v16, v12
	v_cmp_gt_u32_e64 s[4:5], s4, v17
	v_mov_b32_e32 v12, 0x80
	s_and_saveexec_b64 s[42:43], s[4:5]
	s_cbranch_execz .LBB297_786
; %bb.781:
	s_mov_b32 s4, 0x3bffffff
	v_cmp_lt_u32_e64 s[4:5], s4, v17
	s_mov_b64 s[44:45], 0
                                        ; implicit-def: $vgpr16
	s_and_saveexec_b64 s[46:47], s[4:5]
	s_xor_b64 s[4:5], exec, s[46:47]
	s_cbranch_execz .LBB297_2656
; %bb.782:
	v_bfe_u32 v12, v17, 20, 1
	s_mov_b32 s33, 0x487ffff
	v_add3_u32 v12, v17, v12, s33
	s_mov_b64 s[44:45], exec
	v_lshrrev_b32_e32 v16, 20, v12
                                        ; implicit-def: $vgpr17
	s_andn2_saveexec_b64 s[46:47], s[4:5]
	s_cbranch_execnz .LBB297_2657
.LBB297_783:
	s_or_b64 exec, exec, s[46:47]
	v_mov_b32_e32 v12, 0
	s_and_saveexec_b64 s[4:5], s[44:45]
.LBB297_784:
	v_mov_b32_e32 v12, v16
.LBB297_785:
	s_or_b64 exec, exec, s[4:5]
.LBB297_786:
	s_or_b64 exec, exec, s[42:43]
	s_or_b64 s[44:45], s[40:41], exec
	s_xor_b64 s[42:43], exec, -1
.LBB297_787:
	s_or_b64 exec, exec, s[36:37]
	s_andn2_b64 s[4:5], s[40:41], exec
	s_and_b64 s[36:37], s[44:45], exec
	s_or_b64 s[40:41], s[4:5], s[36:37]
	s_andn2_b64 s[4:5], s[38:39], exec
	s_and_b64 s[36:37], s[42:43], exec
	s_or_b64 s[38:39], s[4:5], s[36:37]
.LBB297_788:
	s_or_b64 exec, exec, s[30:31]
	s_and_b64 s[36:37], s[40:41], exec
	s_and_b64 s[30:31], s[38:39], exec
.LBB297_789:
	s_andn2_saveexec_b64 s[28:29], s[28:29]
	s_cbranch_execz .LBB297_811
; %bb.790:
	v_cmp_lt_i16_e64 s[4:5], 26, v1
                                        ; implicit-def: $vgpr12
	s_and_saveexec_b64 s[38:39], s[4:5]
	s_xor_b64 s[38:39], exec, s[38:39]
	s_cbranch_execz .LBB297_808
; %bb.791:
	v_cmp_lt_i16_e64 s[4:5], 27, v1
                                        ; implicit-def: $vgpr12
	s_and_saveexec_b64 s[40:41], s[4:5]
	s_xor_b64 s[40:41], exec, s[40:41]
	s_cbranch_execz .LBB297_799
; %bb.792:
	flat_load_dword v12, v[14:15]
	s_mov_b32 s4, 0x43800000
	s_waitcnt vmcnt(0) lgkmcnt(0)
	v_cvt_f32_u32_e32 v17, v12
	v_mov_b32_e32 v12, 0x80
	v_cmp_gt_u32_e64 s[4:5], s4, v17
	s_and_saveexec_b64 s[42:43], s[4:5]
	s_cbranch_execz .LBB297_798
; %bb.793:
	s_mov_b32 s4, 0x3bffffff
	v_cmp_lt_u32_e64 s[4:5], s4, v17
	s_mov_b64 s[44:45], 0
                                        ; implicit-def: $vgpr16
	s_and_saveexec_b64 s[46:47], s[4:5]
	s_xor_b64 s[4:5], exec, s[46:47]
	s_cbranch_execz .LBB297_2658
; %bb.794:
	v_bfe_u32 v12, v17, 20, 1
	s_mov_b32 s33, 0x487ffff
	v_add3_u32 v12, v17, v12, s33
	s_mov_b64 s[44:45], exec
	v_lshrrev_b32_e32 v16, 20, v12
                                        ; implicit-def: $vgpr17
	s_andn2_saveexec_b64 s[46:47], s[4:5]
	s_cbranch_execnz .LBB297_2659
.LBB297_795:
	s_or_b64 exec, exec, s[46:47]
	v_mov_b32_e32 v12, 0
	s_and_saveexec_b64 s[4:5], s[44:45]
.LBB297_796:
	v_mov_b32_e32 v12, v16
.LBB297_797:
	s_or_b64 exec, exec, s[4:5]
.LBB297_798:
	s_or_b64 exec, exec, s[42:43]
.LBB297_799:
	s_andn2_saveexec_b64 s[40:41], s[40:41]
	s_cbranch_execz .LBB297_807
; %bb.800:
	flat_load_ushort v12, v[14:15]
	s_mov_b32 s4, 0x43800000
	s_waitcnt vmcnt(0) lgkmcnt(0)
	v_cvt_f32_u32_e32 v17, v12
	v_mov_b32_e32 v12, 0x80
	v_cmp_gt_u32_e64 s[4:5], s4, v17
	s_and_saveexec_b64 s[42:43], s[4:5]
	s_cbranch_execz .LBB297_806
; %bb.801:
	s_mov_b32 s4, 0x3bffffff
	v_cmp_lt_u32_e64 s[4:5], s4, v17
	s_mov_b64 s[44:45], 0
                                        ; implicit-def: $vgpr16
	s_and_saveexec_b64 s[46:47], s[4:5]
	s_xor_b64 s[4:5], exec, s[46:47]
	s_cbranch_execz .LBB297_2660
; %bb.802:
	v_bfe_u32 v12, v17, 20, 1
	s_mov_b32 s33, 0x487ffff
	v_add3_u32 v12, v17, v12, s33
	s_mov_b64 s[44:45], exec
	v_lshrrev_b32_e32 v16, 20, v12
                                        ; implicit-def: $vgpr17
	s_andn2_saveexec_b64 s[46:47], s[4:5]
	s_cbranch_execnz .LBB297_2661
.LBB297_803:
	s_or_b64 exec, exec, s[46:47]
	v_mov_b32_e32 v12, 0
	s_and_saveexec_b64 s[4:5], s[44:45]
.LBB297_804:
	v_mov_b32_e32 v12, v16
.LBB297_805:
	s_or_b64 exec, exec, s[4:5]
.LBB297_806:
	s_or_b64 exec, exec, s[42:43]
.LBB297_807:
	s_or_b64 exec, exec, s[40:41]
.LBB297_808:
	s_andn2_saveexec_b64 s[4:5], s[38:39]
	s_cbranch_execz .LBB297_810
; %bb.809:
	flat_load_ubyte v12, v[14:15]
.LBB297_810:
	s_or_b64 exec, exec, s[4:5]
	s_or_b64 s[36:37], s[36:37], exec
.LBB297_811:
	s_or_b64 exec, exec, s[28:29]
	s_and_b64 s[28:29], s[36:37], exec
	s_and_b64 s[30:31], s[30:31], exec
	s_andn2_saveexec_b64 s[34:35], s[34:35]
	s_cbranch_execnz .LBB297_2237
.LBB297_812:
	s_or_b64 exec, exec, s[34:35]
	s_mov_b64 s[34:35], s[18:19]
	s_and_saveexec_b64 s[4:5], s[30:31]
	s_cbranch_execnz .LBB297_2286
.LBB297_813:
	s_or_b64 exec, exec, s[4:5]
	s_and_saveexec_b64 s[4:5], s[24:25]
	s_xor_b64 s[24:25], exec, s[4:5]
	s_cbranch_execz .LBB297_821
.LBB297_814:
	s_waitcnt vmcnt(0) lgkmcnt(0)
	flat_load_ubyte v12, v[14:15]
	s_mov_b32 s30, 0x43800000
	s_waitcnt vmcnt(0) lgkmcnt(0)
	v_cmp_ne_u16_e64 s[4:5], 0, v12
	v_cndmask_b32_e64 v15, 0, 1.0, s[4:5]
	v_cmp_gt_u32_e64 s[4:5], s30, v15
	v_mov_b32_e32 v12, 0x80
	s_and_saveexec_b64 s[30:31], s[4:5]
	s_cbranch_execz .LBB297_820
; %bb.815:
	s_mov_b32 s4, 0x3bffffff
	v_cmp_lt_u32_e64 s[4:5], s4, v15
	s_mov_b64 s[36:37], 0
                                        ; implicit-def: $vgpr14
	s_and_saveexec_b64 s[38:39], s[4:5]
	s_xor_b64 s[4:5], exec, s[38:39]
	s_cbranch_execz .LBB297_2391
; %bb.816:
	v_bfe_u32 v12, v15, 20, 1
	s_mov_b32 s33, 0x487ffff
	v_add3_u32 v12, v15, v12, s33
	s_mov_b64 s[36:37], exec
	v_lshrrev_b32_e32 v14, 20, v12
                                        ; implicit-def: $vgpr15
	s_andn2_saveexec_b64 s[38:39], s[4:5]
	s_cbranch_execnz .LBB297_2392
.LBB297_817:
	s_or_b64 exec, exec, s[38:39]
	v_mov_b32_e32 v12, 0
	s_and_saveexec_b64 s[4:5], s[36:37]
.LBB297_818:
	v_mov_b32_e32 v12, v14
.LBB297_819:
	s_or_b64 exec, exec, s[4:5]
.LBB297_820:
	s_or_b64 exec, exec, s[30:31]
	s_or_b64 s[28:29], s[28:29], exec
.LBB297_821:
	s_or_b64 exec, exec, s[24:25]
	s_andn2_b64 s[4:5], s[18:19], exec
	s_and_b64 s[24:25], s[34:35], exec
	s_or_b64 s[24:25], s[4:5], s[24:25]
	s_and_b64 s[28:29], s[28:29], exec
                                        ; implicit-def: $vgpr14_vgpr15
.LBB297_822:
	s_andn2_saveexec_b64 s[26:27], s[26:27]
	s_cbranch_execz .LBB297_930
; %bb.823:
	v_cmp_lt_i16_e64 s[4:5], 4, v1
                                        ; implicit-def: $vgpr12
	s_and_saveexec_b64 s[30:31], s[4:5]
	s_xor_b64 s[30:31], exec, s[30:31]
	s_cbranch_execz .LBB297_881
; %bb.824:
	v_cmp_lt_i16_e64 s[4:5], 7, v1
                                        ; implicit-def: $vgpr12
	s_and_saveexec_b64 s[34:35], s[4:5]
	s_xor_b64 s[34:35], exec, s[34:35]
	;; [unrolled: 6-line block ×4, first 2 shown]
	s_cbranch_execz .LBB297_834
; %bb.827:
	flat_load_dwordx2 v[14:15], v[14:15]
	s_mov_b32 s4, 0x43800000
	s_waitcnt vmcnt(0) lgkmcnt(0)
	v_mov_b32_e32 v12, 0x80
	v_cvt_f32_f64_e32 v14, v[14:15]
	v_and_b32_e32 v15, 0x7fffffff, v14
	v_cmp_gt_u32_e64 s[4:5], s4, v15
	s_and_saveexec_b64 s[40:41], s[4:5]
	s_cbranch_execz .LBB297_833
; %bb.828:
	s_mov_b32 s4, 0x3bffffff
	v_cmp_lt_u32_e64 s[4:5], s4, v15
	s_mov_b64 s[42:43], 0
                                        ; implicit-def: $vgpr15
	s_and_saveexec_b64 s[44:45], s[4:5]
	s_xor_b64 s[4:5], exec, s[44:45]
	s_cbranch_execz .LBB297_2662
; %bb.829:
	v_bfe_u32 v12, v14, 20, 1
	s_mov_b32 s33, 0x487ffff
	v_add3_u32 v12, v14, v12, s33
	s_mov_b64 s[42:43], exec
	v_lshrrev_b32_e32 v15, 20, v12
	s_andn2_saveexec_b64 s[44:45], s[4:5]
	s_cbranch_execnz .LBB297_2663
.LBB297_830:
	s_or_b64 exec, exec, s[44:45]
	v_mov_b32_e32 v12, 0
	s_and_saveexec_b64 s[4:5], s[42:43]
.LBB297_831:
	v_lshrrev_b32_e32 v12, 24, v14
	s_movk_i32 s33, 0x80
	v_and_or_b32 v12, v12, s33, v15
.LBB297_832:
	s_or_b64 exec, exec, s[4:5]
.LBB297_833:
	s_or_b64 exec, exec, s[40:41]
                                        ; implicit-def: $vgpr14_vgpr15
.LBB297_834:
	s_andn2_saveexec_b64 s[38:39], s[38:39]
	s_cbranch_execz .LBB297_842
; %bb.835:
	flat_load_dword v14, v[14:15]
	s_mov_b32 s4, 0x43800000
	s_waitcnt vmcnt(0) lgkmcnt(0)
	v_mov_b32_e32 v12, 0x80
	v_and_b32_e32 v15, 0x7fffffff, v14
	v_cmp_gt_u32_e64 s[4:5], s4, v15
	s_and_saveexec_b64 s[40:41], s[4:5]
	s_cbranch_execz .LBB297_841
; %bb.836:
	s_mov_b32 s4, 0x3bffffff
	v_cmp_lt_u32_e64 s[4:5], s4, v15
	s_mov_b64 s[42:43], 0
                                        ; implicit-def: $vgpr15
	s_and_saveexec_b64 s[44:45], s[4:5]
	s_xor_b64 s[4:5], exec, s[44:45]
	s_cbranch_execz .LBB297_2664
; %bb.837:
	v_bfe_u32 v12, v14, 20, 1
	s_mov_b32 s33, 0x487ffff
	v_add3_u32 v12, v14, v12, s33
	s_mov_b64 s[42:43], exec
	v_lshrrev_b32_e32 v15, 20, v12
	s_andn2_saveexec_b64 s[44:45], s[4:5]
	s_cbranch_execnz .LBB297_2665
.LBB297_838:
	s_or_b64 exec, exec, s[44:45]
	v_mov_b32_e32 v12, 0
	s_and_saveexec_b64 s[4:5], s[42:43]
.LBB297_839:
	v_lshrrev_b32_e32 v12, 24, v14
	s_movk_i32 s33, 0x80
	v_and_or_b32 v12, v12, s33, v15
.LBB297_840:
	s_or_b64 exec, exec, s[4:5]
.LBB297_841:
	s_or_b64 exec, exec, s[40:41]
.LBB297_842:
	s_or_b64 exec, exec, s[38:39]
                                        ; implicit-def: $vgpr14_vgpr15
.LBB297_843:
	s_andn2_saveexec_b64 s[36:37], s[36:37]
	s_cbranch_execz .LBB297_851
; %bb.844:
	s_waitcnt vmcnt(0) lgkmcnt(0)
	flat_load_dword v12, v[14:15]
	s_mov_b32 s4, 0x43800000
	s_waitcnt vmcnt(0) lgkmcnt(0)
	v_cvt_f32_f16_e32 v14, v12
	v_mov_b32_e32 v12, 0x80
	v_and_b32_e32 v15, 0x7fffffff, v14
	v_cmp_gt_u32_e64 s[4:5], s4, v15
	s_and_saveexec_b64 s[38:39], s[4:5]
	s_cbranch_execz .LBB297_850
; %bb.845:
	s_mov_b32 s4, 0x3bffffff
	v_cmp_lt_u32_e64 s[4:5], s4, v15
	s_mov_b64 s[40:41], 0
                                        ; implicit-def: $vgpr15
	s_and_saveexec_b64 s[42:43], s[4:5]
	s_xor_b64 s[4:5], exec, s[42:43]
	s_cbranch_execz .LBB297_2579
; %bb.846:
	v_bfe_u32 v12, v14, 20, 1
	s_mov_b32 s33, 0x487ffff
	v_add3_u32 v12, v14, v12, s33
	s_mov_b64 s[40:41], exec
	v_lshrrev_b32_e32 v15, 20, v12
	s_andn2_saveexec_b64 s[42:43], s[4:5]
	s_cbranch_execnz .LBB297_2580
.LBB297_847:
	s_or_b64 exec, exec, s[42:43]
	v_mov_b32_e32 v12, 0
	s_and_saveexec_b64 s[4:5], s[40:41]
.LBB297_848:
	v_lshrrev_b32_e32 v12, 24, v14
	s_movk_i32 s33, 0x80
	v_and_or_b32 v12, v12, s33, v15
.LBB297_849:
	s_or_b64 exec, exec, s[4:5]
.LBB297_850:
	s_or_b64 exec, exec, s[38:39]
.LBB297_851:
	s_or_b64 exec, exec, s[36:37]
                                        ; implicit-def: $vgpr14_vgpr15
.LBB297_852:
	s_andn2_saveexec_b64 s[34:35], s[34:35]
	s_cbranch_execz .LBB297_880
; %bb.853:
	v_cmp_lt_i16_e64 s[4:5], 5, v1
                                        ; implicit-def: $vgpr12
	s_and_saveexec_b64 s[36:37], s[4:5]
	s_xor_b64 s[36:37], exec, s[36:37]
	s_cbranch_execz .LBB297_871
; %bb.854:
	v_cmp_lt_i16_e64 s[4:5], 6, v1
                                        ; implicit-def: $vgpr12
	s_and_saveexec_b64 s[38:39], s[4:5]
	s_xor_b64 s[38:39], exec, s[38:39]
	s_cbranch_execz .LBB297_862
; %bb.855:
	flat_load_dwordx2 v[14:15], v[14:15]
	s_mov_b32 s4, 0x43800000
	s_waitcnt vmcnt(0) lgkmcnt(0)
	v_mov_b32_e32 v12, 0x80
	v_cvt_f32_f64_e32 v14, v[14:15]
	v_and_b32_e32 v15, 0x7fffffff, v14
	v_cmp_gt_u32_e64 s[4:5], s4, v15
	s_and_saveexec_b64 s[40:41], s[4:5]
	s_cbranch_execz .LBB297_861
; %bb.856:
	s_mov_b32 s4, 0x3bffffff
	v_cmp_lt_u32_e64 s[4:5], s4, v15
	s_mov_b64 s[42:43], 0
                                        ; implicit-def: $vgpr15
	s_and_saveexec_b64 s[44:45], s[4:5]
	s_xor_b64 s[4:5], exec, s[44:45]
	s_cbranch_execz .LBB297_2666
; %bb.857:
	v_bfe_u32 v12, v14, 20, 1
	s_mov_b32 s33, 0x487ffff
	v_add3_u32 v12, v14, v12, s33
	s_mov_b64 s[42:43], exec
	v_lshrrev_b32_e32 v15, 20, v12
	s_andn2_saveexec_b64 s[44:45], s[4:5]
	s_cbranch_execnz .LBB297_2667
.LBB297_858:
	s_or_b64 exec, exec, s[44:45]
	v_mov_b32_e32 v12, 0
	s_and_saveexec_b64 s[4:5], s[42:43]
.LBB297_859:
	v_lshrrev_b32_e32 v12, 24, v14
	s_movk_i32 s33, 0x80
	v_and_or_b32 v12, v12, s33, v15
.LBB297_860:
	s_or_b64 exec, exec, s[4:5]
.LBB297_861:
	s_or_b64 exec, exec, s[40:41]
                                        ; implicit-def: $vgpr14_vgpr15
.LBB297_862:
	s_andn2_saveexec_b64 s[38:39], s[38:39]
	s_cbranch_execz .LBB297_870
; %bb.863:
	flat_load_dword v14, v[14:15]
	s_mov_b32 s4, 0x43800000
	s_waitcnt vmcnt(0) lgkmcnt(0)
	v_mov_b32_e32 v12, 0x80
	v_and_b32_e32 v15, 0x7fffffff, v14
	v_cmp_gt_u32_e64 s[4:5], s4, v15
	s_and_saveexec_b64 s[40:41], s[4:5]
	s_cbranch_execz .LBB297_869
; %bb.864:
	s_mov_b32 s4, 0x3bffffff
	v_cmp_lt_u32_e64 s[4:5], s4, v15
	s_mov_b64 s[42:43], 0
                                        ; implicit-def: $vgpr15
	s_and_saveexec_b64 s[44:45], s[4:5]
	s_xor_b64 s[4:5], exec, s[44:45]
	s_cbranch_execz .LBB297_2668
; %bb.865:
	v_bfe_u32 v12, v14, 20, 1
	s_mov_b32 s33, 0x487ffff
	v_add3_u32 v12, v14, v12, s33
	s_mov_b64 s[42:43], exec
	v_lshrrev_b32_e32 v15, 20, v12
	s_andn2_saveexec_b64 s[44:45], s[4:5]
	s_cbranch_execnz .LBB297_2669
.LBB297_866:
	s_or_b64 exec, exec, s[44:45]
	v_mov_b32_e32 v12, 0
	s_and_saveexec_b64 s[4:5], s[42:43]
.LBB297_867:
	v_lshrrev_b32_e32 v12, 24, v14
	s_movk_i32 s33, 0x80
	v_and_or_b32 v12, v12, s33, v15
.LBB297_868:
	s_or_b64 exec, exec, s[4:5]
.LBB297_869:
	s_or_b64 exec, exec, s[40:41]
.LBB297_870:
	s_or_b64 exec, exec, s[38:39]
                                        ; implicit-def: $vgpr14_vgpr15
.LBB297_871:
	s_andn2_saveexec_b64 s[36:37], s[36:37]
	s_cbranch_execz .LBB297_879
; %bb.872:
	s_waitcnt vmcnt(0) lgkmcnt(0)
	flat_load_ushort v12, v[14:15]
	s_mov_b32 s4, 0x43800000
	s_waitcnt vmcnt(0) lgkmcnt(0)
	v_cvt_f32_f16_e32 v14, v12
	v_mov_b32_e32 v12, 0x80
	v_and_b32_e32 v15, 0x7fffffff, v14
	v_cmp_gt_u32_e64 s[4:5], s4, v15
	s_and_saveexec_b64 s[38:39], s[4:5]
	s_cbranch_execz .LBB297_878
; %bb.873:
	s_mov_b32 s4, 0x3bffffff
	v_cmp_lt_u32_e64 s[4:5], s4, v15
	s_mov_b64 s[40:41], 0
                                        ; implicit-def: $vgpr15
	s_and_saveexec_b64 s[42:43], s[4:5]
	s_xor_b64 s[4:5], exec, s[42:43]
	s_cbranch_execz .LBB297_2581
; %bb.874:
	v_bfe_u32 v12, v14, 20, 1
	s_mov_b32 s33, 0x487ffff
	v_add3_u32 v12, v14, v12, s33
	s_mov_b64 s[40:41], exec
	v_lshrrev_b32_e32 v15, 20, v12
	s_andn2_saveexec_b64 s[42:43], s[4:5]
	s_cbranch_execnz .LBB297_2582
.LBB297_875:
	s_or_b64 exec, exec, s[42:43]
	v_mov_b32_e32 v12, 0
	s_and_saveexec_b64 s[4:5], s[40:41]
.LBB297_876:
	v_lshrrev_b32_e32 v12, 24, v14
	s_movk_i32 s33, 0x80
	v_and_or_b32 v12, v12, s33, v15
.LBB297_877:
	s_or_b64 exec, exec, s[4:5]
.LBB297_878:
	s_or_b64 exec, exec, s[38:39]
.LBB297_879:
	s_or_b64 exec, exec, s[36:37]
.LBB297_880:
	s_or_b64 exec, exec, s[34:35]
                                        ; implicit-def: $vgpr14_vgpr15
.LBB297_881:
	s_andn2_saveexec_b64 s[30:31], s[30:31]
	s_cbranch_execz .LBB297_929
; %bb.882:
	v_cmp_lt_i16_e64 s[4:5], 1, v1
                                        ; implicit-def: $vgpr12
	s_and_saveexec_b64 s[34:35], s[4:5]
	s_xor_b64 s[34:35], exec, s[34:35]
	s_cbranch_execz .LBB297_910
; %bb.883:
	v_cmp_lt_i16_e64 s[4:5], 2, v1
                                        ; implicit-def: $vgpr12
	s_and_saveexec_b64 s[36:37], s[4:5]
	s_xor_b64 s[36:37], exec, s[36:37]
	;; [unrolled: 6-line block ×3, first 2 shown]
	s_cbranch_execz .LBB297_892
; %bb.885:
	flat_load_dwordx2 v[14:15], v[14:15]
	s_mov_b32 s4, 0x43800000
	s_waitcnt vmcnt(0) lgkmcnt(0)
	v_xor_b32_e32 v16, v14, v15
	v_ffbh_i32_e32 v12, v15
	v_ashrrev_i32_e32 v16, 31, v16
	v_add_u32_e32 v12, -1, v12
	v_add_u32_e32 v16, 32, v16
	v_min_u32_e32 v12, v12, v16
	v_lshlrev_b64 v[14:15], v12, v[14:15]
	v_sub_u32_e32 v12, 32, v12
	v_min_u32_e32 v14, 1, v14
	v_or_b32_e32 v14, v15, v14
	v_cvt_f32_i32_e32 v14, v14
	v_ldexp_f32 v14, v14, v12
	v_and_b32_e32 v15, 0x7fffffff, v14
	v_cmp_gt_u32_e64 s[4:5], s4, v15
	v_mov_b32_e32 v12, 0x80
	s_and_saveexec_b64 s[40:41], s[4:5]
	s_cbranch_execz .LBB297_891
; %bb.886:
	s_mov_b32 s4, 0x3bffffff
	v_cmp_lt_u32_e64 s[4:5], s4, v15
	s_mov_b64 s[42:43], 0
                                        ; implicit-def: $vgpr15
	s_and_saveexec_b64 s[44:45], s[4:5]
	s_xor_b64 s[4:5], exec, s[44:45]
	s_cbranch_execz .LBB297_2670
; %bb.887:
	v_bfe_u32 v12, v14, 20, 1
	s_mov_b32 s33, 0x487ffff
	v_add3_u32 v12, v14, v12, s33
	s_mov_b64 s[42:43], exec
	v_lshrrev_b32_e32 v15, 20, v12
	s_andn2_saveexec_b64 s[44:45], s[4:5]
	s_cbranch_execnz .LBB297_2671
.LBB297_888:
	s_or_b64 exec, exec, s[44:45]
	v_mov_b32_e32 v12, 0
	s_and_saveexec_b64 s[4:5], s[42:43]
.LBB297_889:
	v_lshrrev_b32_e32 v12, 24, v14
	s_movk_i32 s33, 0x80
	v_and_or_b32 v12, v12, s33, v15
.LBB297_890:
	s_or_b64 exec, exec, s[4:5]
.LBB297_891:
	s_or_b64 exec, exec, s[40:41]
                                        ; implicit-def: $vgpr14_vgpr15
.LBB297_892:
	s_andn2_saveexec_b64 s[38:39], s[38:39]
	s_cbranch_execz .LBB297_900
; %bb.893:
	s_waitcnt vmcnt(0) lgkmcnt(0)
	flat_load_dword v12, v[14:15]
	s_mov_b32 s4, 0x43800000
	s_waitcnt vmcnt(0) lgkmcnt(0)
	v_cvt_f32_i32_e32 v14, v12
	v_mov_b32_e32 v12, 0x80
	v_and_b32_e32 v15, 0x7fffffff, v14
	v_cmp_gt_u32_e64 s[4:5], s4, v15
	s_and_saveexec_b64 s[40:41], s[4:5]
	s_cbranch_execz .LBB297_899
; %bb.894:
	s_mov_b32 s4, 0x3bffffff
	v_cmp_lt_u32_e64 s[4:5], s4, v15
	s_mov_b64 s[42:43], 0
                                        ; implicit-def: $vgpr15
	s_and_saveexec_b64 s[44:45], s[4:5]
	s_xor_b64 s[4:5], exec, s[44:45]
	s_cbranch_execz .LBB297_2672
; %bb.895:
	v_bfe_u32 v12, v14, 20, 1
	s_mov_b32 s33, 0x487ffff
	v_add3_u32 v12, v14, v12, s33
	s_mov_b64 s[42:43], exec
	v_lshrrev_b32_e32 v15, 20, v12
	s_andn2_saveexec_b64 s[44:45], s[4:5]
	s_cbranch_execnz .LBB297_2673
.LBB297_896:
	s_or_b64 exec, exec, s[44:45]
	v_mov_b32_e32 v12, 0
	s_and_saveexec_b64 s[4:5], s[42:43]
.LBB297_897:
	v_lshrrev_b32_e32 v12, 24, v14
	s_movk_i32 s33, 0x80
	v_and_or_b32 v12, v12, s33, v15
.LBB297_898:
	s_or_b64 exec, exec, s[4:5]
.LBB297_899:
	s_or_b64 exec, exec, s[40:41]
.LBB297_900:
	s_or_b64 exec, exec, s[38:39]
                                        ; implicit-def: $vgpr14_vgpr15
.LBB297_901:
	s_andn2_saveexec_b64 s[36:37], s[36:37]
	s_cbranch_execz .LBB297_909
; %bb.902:
	s_waitcnt vmcnt(0) lgkmcnt(0)
	flat_load_sshort v12, v[14:15]
	s_mov_b32 s4, 0x43800000
	s_waitcnt vmcnt(0) lgkmcnt(0)
	v_cvt_f32_i32_e32 v14, v12
	v_mov_b32_e32 v12, 0x80
	v_and_b32_e32 v15, 0x7fffffff, v14
	v_cmp_gt_u32_e64 s[4:5], s4, v15
	s_and_saveexec_b64 s[38:39], s[4:5]
	s_cbranch_execz .LBB297_908
; %bb.903:
	s_mov_b32 s4, 0x3bffffff
	v_cmp_lt_u32_e64 s[4:5], s4, v15
	s_mov_b64 s[40:41], 0
                                        ; implicit-def: $vgpr15
	s_and_saveexec_b64 s[42:43], s[4:5]
	s_xor_b64 s[4:5], exec, s[42:43]
	s_cbranch_execz .LBB297_2583
; %bb.904:
	v_bfe_u32 v12, v14, 20, 1
	s_mov_b32 s33, 0x487ffff
	v_add3_u32 v12, v14, v12, s33
	s_mov_b64 s[40:41], exec
	v_lshrrev_b32_e32 v15, 20, v12
	s_andn2_saveexec_b64 s[42:43], s[4:5]
	s_cbranch_execnz .LBB297_2584
.LBB297_905:
	s_or_b64 exec, exec, s[42:43]
	v_mov_b32_e32 v12, 0
	s_and_saveexec_b64 s[4:5], s[40:41]
.LBB297_906:
	v_lshrrev_b32_e32 v12, 24, v14
	s_movk_i32 s33, 0x80
	v_and_or_b32 v12, v12, s33, v15
.LBB297_907:
	s_or_b64 exec, exec, s[4:5]
.LBB297_908:
	s_or_b64 exec, exec, s[38:39]
.LBB297_909:
	s_or_b64 exec, exec, s[36:37]
                                        ; implicit-def: $vgpr14_vgpr15
.LBB297_910:
	s_andn2_saveexec_b64 s[34:35], s[34:35]
	s_cbranch_execz .LBB297_928
; %bb.911:
	v_cmp_lt_i16_e64 s[4:5], 0, v1
                                        ; implicit-def: $vgpr12
	s_and_saveexec_b64 s[36:37], s[4:5]
	s_xor_b64 s[36:37], exec, s[36:37]
	s_cbranch_execz .LBB297_919
; %bb.912:
	s_waitcnt vmcnt(0) lgkmcnt(0)
	flat_load_sbyte v12, v[14:15]
	s_mov_b32 s4, 0x43800000
	s_waitcnt vmcnt(0) lgkmcnt(0)
	v_cvt_f32_i32_e32 v14, v12
	v_mov_b32_e32 v12, 0x80
	v_and_b32_e32 v15, 0x7fffffff, v14
	v_cmp_gt_u32_e64 s[4:5], s4, v15
	s_and_saveexec_b64 s[38:39], s[4:5]
	s_cbranch_execz .LBB297_918
; %bb.913:
	s_mov_b32 s4, 0x3bffffff
	v_cmp_lt_u32_e64 s[4:5], s4, v15
	s_mov_b64 s[40:41], 0
                                        ; implicit-def: $vgpr15
	s_and_saveexec_b64 s[42:43], s[4:5]
	s_xor_b64 s[4:5], exec, s[42:43]
	s_cbranch_execz .LBB297_2585
; %bb.914:
	v_bfe_u32 v12, v14, 20, 1
	s_mov_b32 s33, 0x487ffff
	v_add3_u32 v12, v14, v12, s33
	s_mov_b64 s[40:41], exec
	v_lshrrev_b32_e32 v15, 20, v12
	s_andn2_saveexec_b64 s[42:43], s[4:5]
	s_cbranch_execnz .LBB297_2586
.LBB297_915:
	s_or_b64 exec, exec, s[42:43]
	v_mov_b32_e32 v12, 0
	s_and_saveexec_b64 s[4:5], s[40:41]
.LBB297_916:
	v_lshrrev_b32_e32 v12, 24, v14
	s_movk_i32 s33, 0x80
	v_and_or_b32 v12, v12, s33, v15
.LBB297_917:
	s_or_b64 exec, exec, s[4:5]
.LBB297_918:
	s_or_b64 exec, exec, s[38:39]
                                        ; implicit-def: $vgpr14_vgpr15
.LBB297_919:
	s_andn2_saveexec_b64 s[36:37], s[36:37]
	s_cbranch_execz .LBB297_927
; %bb.920:
	s_waitcnt vmcnt(0) lgkmcnt(0)
	flat_load_ubyte v12, v[14:15]
	s_mov_b32 s4, 0x43800000
	s_waitcnt vmcnt(0) lgkmcnt(0)
	v_cvt_f32_ubyte0_e32 v15, v12
	v_cmp_gt_u32_e64 s[4:5], s4, v15
	v_mov_b32_e32 v12, 0x80
	s_and_saveexec_b64 s[38:39], s[4:5]
	s_cbranch_execz .LBB297_926
; %bb.921:
	s_mov_b32 s4, 0x3bffffff
	v_cmp_lt_u32_e64 s[4:5], s4, v15
	s_mov_b64 s[40:41], 0
                                        ; implicit-def: $vgpr14
	s_and_saveexec_b64 s[42:43], s[4:5]
	s_xor_b64 s[4:5], exec, s[42:43]
	s_cbranch_execz .LBB297_2587
; %bb.922:
	v_bfe_u32 v12, v15, 20, 1
	s_mov_b32 s33, 0x487ffff
	v_add3_u32 v12, v15, v12, s33
	s_mov_b64 s[40:41], exec
	v_lshrrev_b32_e32 v14, 20, v12
                                        ; implicit-def: $vgpr15
	s_andn2_saveexec_b64 s[42:43], s[4:5]
	s_cbranch_execnz .LBB297_2588
.LBB297_923:
	s_or_b64 exec, exec, s[42:43]
	v_mov_b32_e32 v12, 0
	s_and_saveexec_b64 s[4:5], s[40:41]
.LBB297_924:
	v_mov_b32_e32 v12, v14
.LBB297_925:
	s_or_b64 exec, exec, s[4:5]
.LBB297_926:
	s_or_b64 exec, exec, s[38:39]
.LBB297_927:
	s_or_b64 exec, exec, s[36:37]
.LBB297_928:
	s_or_b64 exec, exec, s[34:35]
.LBB297_929:
	s_or_b64 exec, exec, s[30:31]
	s_or_b64 s[28:29], s[28:29], exec
.LBB297_930:
	s_or_b64 exec, exec, s[26:27]
	s_mov_b64 s[4:5], 0
	s_mov_b64 s[30:31], 0
                                        ; implicit-def: $sgpr48_sgpr49
                                        ; implicit-def: $vgpr21_vgpr22
                                        ; implicit-def: $vgpr16
	s_and_saveexec_b64 s[26:27], s[28:29]
	s_cbranch_execz .LBB297_2026
; %bb.931:
                                        ; implicit-def: $sgpr30_sgpr31
	s_and_saveexec_b64 s[4:5], vcc
	s_xor_b64 s[28:29], exec, s[4:5]
	s_cbranch_execz .LBB297_945
; %bb.932:
	s_movk_i32 s4, 0x7f
	v_cmp_gt_i16_sdwa s[30:31], v10, s4 src0_sel:BYTE_0 src1_sel:DWORD
	s_mov_b64 s[4:5], 0
	s_and_saveexec_b64 s[34:35], s[30:31]
	s_xor_b64 s[30:31], exec, s[34:35]
	s_cbranch_execz .LBB297_2300
; %bb.933:
	s_movk_i32 s4, 0x80
	v_cmp_eq_u16_sdwa s[36:37], v10, s4 src0_sel:BYTE_0 src1_sel:DWORD
	s_mov_b64 s[4:5], -1
	s_and_saveexec_b64 s[34:35], s[36:37]
; %bb.934:
	s_xor_b64 s[4:5], exec, -1
; %bb.935:
	s_or_b64 exec, exec, s[34:35]
	s_and_b64 s[4:5], s[4:5], exec
	s_or_saveexec_b64 s[30:31], s[30:31]
	v_mov_b32_e32 v14, 0x7f800001
	s_xor_b64 exec, exec, s[30:31]
	s_cbranch_execnz .LBB297_2301
.LBB297_936:
	s_or_b64 exec, exec, s[30:31]
	s_and_saveexec_b64 s[30:31], s[4:5]
	s_cbranch_execz .LBB297_938
.LBB297_937:
	v_and_b32_e32 v15, 7, v10
	v_ffbh_u32_e32 v16, v15
	v_min_u32_e32 v16, 32, v16
	v_lshrrev_b16_e32 v14, 3, v10
	v_subrev_u32_e32 v17, 28, v16
	v_and_b32_e32 v14, 15, v14
	v_lshlrev_b32_e32 v17, v17, v10
	v_sub_u32_e32 v16, 29, v16
	v_and_b32_e32 v17, 7, v17
	v_cmp_eq_u32_e64 s[4:5], 0, v14
	v_cndmask_b32_e64 v14, v14, v16, s[4:5]
	v_cndmask_b32_e64 v15, v15, v17, s[4:5]
	v_lshlrev_b32_e32 v10, 24, v10
	v_mov_b32_e32 v16, 0x3b800000
	v_lshlrev_b32_e32 v15, 20, v15
	v_and_b32_e32 v10, 0x80000000, v10
	v_lshl_add_u32 v14, v14, 23, v16
	v_or3_b32 v14, v10, v14, v15
.LBB297_938:
	s_or_b64 exec, exec, s[30:31]
	s_movk_i32 s4, 0x7f
	s_waitcnt vmcnt(0) lgkmcnt(0)
	v_cmp_gt_i16_sdwa s[30:31], v12, s4 src0_sel:BYTE_0 src1_sel:DWORD
	s_mov_b64 s[4:5], 0
	s_and_saveexec_b64 s[34:35], s[30:31]
	s_xor_b64 s[30:31], exec, s[34:35]
	s_cbranch_execz .LBB297_2302
; %bb.939:
	s_movk_i32 s4, 0x80
	v_cmp_eq_u16_sdwa s[36:37], v12, s4 src0_sel:BYTE_0 src1_sel:DWORD
	s_mov_b64 s[4:5], -1
	s_and_saveexec_b64 s[34:35], s[36:37]
; %bb.940:
	s_xor_b64 s[4:5], exec, -1
; %bb.941:
	s_or_b64 exec, exec, s[34:35]
	s_and_b64 s[4:5], s[4:5], exec
	s_or_saveexec_b64 s[30:31], s[30:31]
	v_mov_b32_e32 v10, 0x7f800001
	s_xor_b64 exec, exec, s[30:31]
	s_cbranch_execnz .LBB297_2303
.LBB297_942:
	s_or_b64 exec, exec, s[30:31]
	s_and_saveexec_b64 s[30:31], s[4:5]
	s_cbranch_execz .LBB297_944
.LBB297_943:
	v_and_b32_e32 v15, 7, v12
	v_ffbh_u32_e32 v16, v15
	v_min_u32_e32 v16, 32, v16
	v_lshrrev_b16_e32 v10, 3, v12
	v_subrev_u32_e32 v17, 28, v16
	v_and_b32_e32 v10, 15, v10
	v_lshlrev_b32_e32 v17, v17, v12
	v_sub_u32_e32 v16, 29, v16
	v_and_b32_e32 v17, 7, v17
	v_cmp_eq_u32_e64 s[4:5], 0, v10
	v_cndmask_b32_e64 v10, v10, v16, s[4:5]
	v_cndmask_b32_e64 v15, v15, v17, s[4:5]
	v_lshlrev_b32_e32 v12, 24, v12
	v_mov_b32_e32 v16, 0x3b800000
	v_lshlrev_b32_e32 v15, 20, v15
	v_and_b32_e32 v12, 0x80000000, v12
	v_lshl_add_u32 v10, v10, 23, v16
	v_or3_b32 v10, v12, v10, v15
.LBB297_944:
	s_or_b64 exec, exec, s[30:31]
	v_cmp_neq_f32_e64 s[30:31], v14, v10
                                        ; implicit-def: $vgpr12
                                        ; implicit-def: $vgpr10
.LBB297_945:
	s_andn2_saveexec_b64 s[28:29], s[28:29]
	s_cbranch_execz .LBB297_959
; %bb.946:
	s_movk_i32 s4, 0x7f
	v_cmp_gt_i16_sdwa s[34:35], v10, s4 src0_sel:BYTE_0 src1_sel:DWORD
	s_mov_b64 s[4:5], 0
	s_and_saveexec_b64 s[36:37], s[34:35]
	s_xor_b64 s[34:35], exec, s[36:37]
	s_cbranch_execz .LBB297_2304
; %bb.947:
	s_movk_i32 s4, 0x80
	v_cmp_eq_u16_sdwa s[38:39], v10, s4 src0_sel:BYTE_0 src1_sel:DWORD
	s_mov_b64 s[4:5], -1
	s_and_saveexec_b64 s[36:37], s[38:39]
; %bb.948:
	s_xor_b64 s[4:5], exec, -1
; %bb.949:
	s_or_b64 exec, exec, s[36:37]
	s_and_b64 s[4:5], s[4:5], exec
	s_or_saveexec_b64 s[34:35], s[34:35]
	v_mov_b32_e32 v14, 0x7f800001
	s_xor_b64 exec, exec, s[34:35]
	s_cbranch_execnz .LBB297_2305
.LBB297_950:
	s_or_b64 exec, exec, s[34:35]
	s_and_saveexec_b64 s[34:35], s[4:5]
	s_cbranch_execz .LBB297_952
.LBB297_951:
	v_and_b32_e32 v15, 7, v10
	v_ffbh_u32_e32 v16, v15
	v_min_u32_e32 v16, 32, v16
	v_lshrrev_b16_e32 v14, 3, v10
	v_subrev_u32_e32 v17, 28, v16
	v_and_b32_e32 v14, 15, v14
	v_lshlrev_b32_e32 v17, v17, v10
	v_sub_u32_e32 v16, 29, v16
	v_and_b32_e32 v17, 7, v17
	v_cmp_eq_u32_e64 s[4:5], 0, v14
	v_cndmask_b32_e64 v14, v14, v16, s[4:5]
	v_cndmask_b32_e64 v15, v15, v17, s[4:5]
	v_lshlrev_b32_e32 v10, 24, v10
	v_mov_b32_e32 v16, 0x3b800000
	v_lshlrev_b32_e32 v15, 20, v15
	v_and_b32_e32 v10, 0x80000000, v10
	v_lshl_add_u32 v14, v14, 23, v16
	v_or3_b32 v14, v10, v14, v15
.LBB297_952:
	s_or_b64 exec, exec, s[34:35]
	s_movk_i32 s4, 0x7f
	s_waitcnt vmcnt(0) lgkmcnt(0)
	v_cmp_gt_i16_sdwa s[34:35], v12, s4 src0_sel:BYTE_0 src1_sel:DWORD
	s_mov_b64 s[4:5], 0
	s_and_saveexec_b64 s[36:37], s[34:35]
	s_xor_b64 s[34:35], exec, s[36:37]
	s_cbranch_execz .LBB297_2306
; %bb.953:
	s_movk_i32 s4, 0x80
	v_cmp_eq_u16_sdwa s[38:39], v12, s4 src0_sel:BYTE_0 src1_sel:DWORD
	s_mov_b64 s[4:5], -1
	s_and_saveexec_b64 s[36:37], s[38:39]
; %bb.954:
	s_xor_b64 s[4:5], exec, -1
; %bb.955:
	s_or_b64 exec, exec, s[36:37]
	s_and_b64 s[4:5], s[4:5], exec
	s_or_saveexec_b64 s[34:35], s[34:35]
	v_mov_b32_e32 v10, 0x7f800001
	s_xor_b64 exec, exec, s[34:35]
	s_cbranch_execnz .LBB297_2307
.LBB297_956:
	s_or_b64 exec, exec, s[34:35]
	s_and_saveexec_b64 s[34:35], s[4:5]
	s_cbranch_execz .LBB297_958
.LBB297_957:
	v_and_b32_e32 v15, 7, v12
	v_ffbh_u32_e32 v16, v15
	v_min_u32_e32 v16, 32, v16
	v_lshrrev_b16_e32 v10, 3, v12
	v_subrev_u32_e32 v17, 28, v16
	v_and_b32_e32 v10, 15, v10
	v_lshlrev_b32_e32 v17, v17, v12
	v_sub_u32_e32 v16, 29, v16
	v_and_b32_e32 v17, 7, v17
	v_cmp_eq_u32_e64 s[4:5], 0, v10
	v_cndmask_b32_e64 v10, v10, v16, s[4:5]
	v_cndmask_b32_e64 v15, v15, v17, s[4:5]
	v_lshlrev_b32_e32 v12, 24, v12
	v_mov_b32_e32 v16, 0x3b800000
	v_lshlrev_b32_e32 v15, 20, v15
	v_and_b32_e32 v12, 0x80000000, v12
	v_lshl_add_u32 v10, v10, 23, v16
	v_or3_b32 v10, v12, v10, v15
.LBB297_958:
	s_or_b64 exec, exec, s[34:35]
	v_cmp_eq_f32_e64 s[4:5], v14, v10
	s_andn2_b64 s[30:31], s[30:31], exec
	s_and_b64 s[4:5], s[4:5], exec
	s_or_b64 s[30:31], s[30:31], s[4:5]
.LBB297_959:
	s_or_b64 exec, exec, s[28:29]
	s_waitcnt vmcnt(0) lgkmcnt(0)
	v_add_co_u32_e64 v12, s[4:5], v8, v13
	v_addc_co_u32_e64 v13, s[4:5], 0, v25, s[4:5]
	v_cmp_lt_i16_e64 s[4:5], 10, v3
	s_mov_b64 s[36:37], 0
	s_mov_b64 s[28:29], s[24:25]
                                        ; implicit-def: $vgpr14
	s_and_saveexec_b64 s[34:35], s[4:5]
	s_xor_b64 s[34:35], exec, s[34:35]
	s_cbranch_execz .LBB297_1028
; %bb.960:
	v_cmp_lt_i16_e64 s[4:5], 25, v3
	s_mov_b64 s[28:29], 0
	s_mov_b64 s[38:39], 0
                                        ; implicit-def: $vgpr14
	s_and_saveexec_b64 s[40:41], s[4:5]
	s_xor_b64 s[40:41], exec, s[40:41]
	s_cbranch_execz .LBB297_2308
; %bb.961:
	v_cmp_lt_i16_e64 s[4:5], 28, v3
	s_mov_b64 s[42:43], 0
                                        ; implicit-def: $vgpr14
	s_and_saveexec_b64 s[36:37], s[4:5]
	s_xor_b64 s[36:37], exec, s[36:37]
	s_cbranch_execz .LBB297_995
; %bb.962:
	v_cmp_lt_i16_e64 s[4:5], 43, v3
	s_mov_b64 s[44:45], 0
	s_mov_b64 s[46:47], 0
                                        ; implicit-def: $vgpr14
	s_and_saveexec_b64 s[38:39], s[4:5]
	s_xor_b64 s[38:39], exec, s[38:39]
	s_cbranch_execz .LBB297_984
; %bb.963:
	v_cmp_lt_i16_e64 s[4:5], 45, v3
                                        ; implicit-def: $vgpr14
	s_and_saveexec_b64 s[46:47], s[4:5]
	s_xor_b64 s[46:47], exec, s[46:47]
	s_cbranch_execz .LBB297_973
; %bb.964:
	v_cmp_eq_u16_e64 s[4:5], 46, v3
	s_mov_b64 s[48:49], -1
                                        ; implicit-def: $vgpr14
	s_and_saveexec_b64 s[42:43], s[4:5]
	s_cbranch_execz .LBB297_972
; %bb.965:
	flat_load_dword v10, v[12:13]
	s_mov_b32 s4, 0x43800000
	v_mov_b32_e32 v14, 0x80
	s_waitcnt vmcnt(0) lgkmcnt(0)
	v_lshlrev_b32_e32 v10, 16, v10
	v_and_b32_e32 v15, 0x7fffffff, v10
	v_cmp_gt_u32_e64 s[4:5], s4, v15
	s_and_saveexec_b64 s[44:45], s[4:5]
	s_cbranch_execz .LBB297_971
; %bb.966:
	s_mov_b32 s4, 0x3bffffff
	v_cmp_lt_u32_e64 s[4:5], s4, v15
	s_mov_b64 s[48:49], 0
                                        ; implicit-def: $vgpr15
	s_and_saveexec_b64 s[50:51], s[4:5]
	s_xor_b64 s[4:5], exec, s[50:51]
	s_cbranch_execz .LBB297_2834
; %bb.967:
	v_bfe_u32 v14, v10, 20, 1
	s_mov_b32 s33, 0x487ffff
	v_add3_u32 v14, v10, v14, s33
	s_mov_b64 s[48:49], exec
	v_lshrrev_b32_e32 v15, 20, v14
	s_andn2_saveexec_b64 s[50:51], s[4:5]
	s_cbranch_execnz .LBB297_2835
.LBB297_968:
	s_or_b64 exec, exec, s[50:51]
	v_mov_b32_e32 v14, 0
	s_and_saveexec_b64 s[4:5], s[48:49]
.LBB297_969:
	v_lshrrev_b32_e32 v10, 24, v10
	s_movk_i32 s33, 0x80
	v_and_or_b32 v14, v10, s33, v15
.LBB297_970:
	s_or_b64 exec, exec, s[4:5]
.LBB297_971:
	s_or_b64 exec, exec, s[44:45]
	s_mov_b64 s[44:45], exec
	s_xor_b64 s[48:49], exec, -1
.LBB297_972:
	s_or_b64 exec, exec, s[42:43]
	s_and_b64 s[44:45], s[44:45], exec
	s_and_b64 s[42:43], s[48:49], exec
.LBB297_973:
	s_andn2_saveexec_b64 s[46:47], s[46:47]
	s_cbranch_execz .LBB297_983
; %bb.974:
	v_cmp_eq_u16_e64 s[4:5], 44, v3
	s_mov_b64 s[50:51], -1
	s_mov_b64 s[52:53], s[44:45]
                                        ; implicit-def: $vgpr14
	s_and_saveexec_b64 s[48:49], s[4:5]
	s_cbranch_execz .LBB297_982
; %bb.975:
	flat_load_ubyte v10, v[12:13]
	s_movk_i32 s4, 0xff
	v_mov_b32_e32 v14, 0x7f800001
	v_mov_b32_e32 v15, 0x400000
	s_mov_b32 s33, 0x43800000
	s_waitcnt vmcnt(0) lgkmcnt(0)
	v_lshlrev_b32_e32 v16, 23, v10
	v_cmp_ne_u32_e64 s[4:5], s4, v10
	v_cndmask_b32_e64 v14, v14, v16, s[4:5]
	v_cmp_ne_u32_e64 s[4:5], 0, v10
	v_cndmask_b32_e64 v15, v15, v14, s[4:5]
	v_cmp_gt_u32_e64 s[4:5], s33, v15
	v_mov_b32_e32 v14, 0x80
	s_and_saveexec_b64 s[50:51], s[4:5]
	s_cbranch_execz .LBB297_981
; %bb.976:
	s_mov_b32 s4, 0x3bffffff
	v_cmp_lt_u32_e64 s[4:5], s4, v15
	s_mov_b64 s[52:53], 0
                                        ; implicit-def: $vgpr10
	s_and_saveexec_b64 s[54:55], s[4:5]
	s_xor_b64 s[4:5], exec, s[54:55]
	s_cbranch_execz .LBB297_2836
; %bb.977:
	v_bfe_u32 v10, v15, 20, 1
	s_mov_b32 s33, 0x487ffff
	v_add3_u32 v10, v15, v10, s33
	s_mov_b64 s[52:53], exec
	v_lshrrev_b32_e32 v10, 20, v10
                                        ; implicit-def: $vgpr15
	s_andn2_saveexec_b64 s[54:55], s[4:5]
	s_cbranch_execnz .LBB297_2837
.LBB297_978:
	s_or_b64 exec, exec, s[54:55]
	v_mov_b32_e32 v14, 0
	s_and_saveexec_b64 s[4:5], s[52:53]
.LBB297_979:
	v_mov_b32_e32 v14, v10
.LBB297_980:
	s_or_b64 exec, exec, s[4:5]
.LBB297_981:
	s_or_b64 exec, exec, s[50:51]
	s_or_b64 s[52:53], s[44:45], exec
	s_xor_b64 s[50:51], exec, -1
.LBB297_982:
	s_or_b64 exec, exec, s[48:49]
	s_andn2_b64 s[4:5], s[44:45], exec
	s_and_b64 s[44:45], s[52:53], exec
	s_or_b64 s[44:45], s[4:5], s[44:45]
	s_andn2_b64 s[4:5], s[42:43], exec
	s_and_b64 s[42:43], s[50:51], exec
	s_or_b64 s[42:43], s[4:5], s[42:43]
.LBB297_983:
	s_or_b64 exec, exec, s[46:47]
	s_and_b64 s[46:47], s[44:45], exec
	s_and_b64 s[44:45], s[42:43], exec
.LBB297_984:
	s_andn2_saveexec_b64 s[38:39], s[38:39]
	s_cbranch_execz .LBB297_994
; %bb.985:
	v_cmp_eq_u16_e64 s[4:5], 29, v3
	s_mov_b64 s[48:49], -1
	s_mov_b64 s[50:51], s[46:47]
                                        ; implicit-def: $vgpr14
	s_and_saveexec_b64 s[42:43], s[4:5]
	s_cbranch_execz .LBB297_993
; %bb.986:
	flat_load_dwordx2 v[14:15], v[12:13]
	s_mov_b32 s4, 0x43800000
	s_waitcnt vmcnt(0) lgkmcnt(0)
	v_ffbh_u32_e32 v10, v15
	v_min_u32_e32 v10, 32, v10
	v_lshlrev_b64 v[14:15], v10, v[14:15]
	v_sub_u32_e32 v10, 32, v10
	v_min_u32_e32 v14, 1, v14
	v_or_b32_e32 v14, v15, v14
	v_cvt_f32_u32_e32 v14, v14
	v_ldexp_f32 v15, v14, v10
	v_cmp_gt_u32_e64 s[4:5], s4, v15
	v_mov_b32_e32 v14, 0x80
	s_and_saveexec_b64 s[48:49], s[4:5]
	s_cbranch_execz .LBB297_992
; %bb.987:
	s_mov_b32 s4, 0x3bffffff
	v_cmp_lt_u32_e64 s[4:5], s4, v15
	s_mov_b64 s[50:51], 0
                                        ; implicit-def: $vgpr10
	s_and_saveexec_b64 s[52:53], s[4:5]
	s_xor_b64 s[4:5], exec, s[52:53]
	s_cbranch_execz .LBB297_2751
; %bb.988:
	v_bfe_u32 v10, v15, 20, 1
	s_mov_b32 s33, 0x487ffff
	v_add3_u32 v10, v15, v10, s33
	s_mov_b64 s[50:51], exec
	v_lshrrev_b32_e32 v10, 20, v10
                                        ; implicit-def: $vgpr15
	s_andn2_saveexec_b64 s[52:53], s[4:5]
	s_cbranch_execnz .LBB297_2752
.LBB297_989:
	s_or_b64 exec, exec, s[52:53]
	v_mov_b32_e32 v14, 0
	s_and_saveexec_b64 s[4:5], s[50:51]
.LBB297_990:
	v_mov_b32_e32 v14, v10
.LBB297_991:
	s_or_b64 exec, exec, s[4:5]
.LBB297_992:
	s_or_b64 exec, exec, s[48:49]
	s_or_b64 s[50:51], s[46:47], exec
	s_xor_b64 s[48:49], exec, -1
.LBB297_993:
	s_or_b64 exec, exec, s[42:43]
	s_andn2_b64 s[4:5], s[46:47], exec
	s_and_b64 s[42:43], s[50:51], exec
	s_or_b64 s[46:47], s[4:5], s[42:43]
	s_andn2_b64 s[4:5], s[44:45], exec
	s_and_b64 s[42:43], s[48:49], exec
	s_or_b64 s[44:45], s[4:5], s[42:43]
.LBB297_994:
	s_or_b64 exec, exec, s[38:39]
	s_and_b64 s[42:43], s[46:47], exec
	s_and_b64 s[38:39], s[44:45], exec
.LBB297_995:
	s_andn2_saveexec_b64 s[36:37], s[36:37]
	s_cbranch_execz .LBB297_1017
; %bb.996:
	v_cmp_lt_i16_e64 s[4:5], 26, v3
                                        ; implicit-def: $vgpr14
	s_and_saveexec_b64 s[44:45], s[4:5]
	s_xor_b64 s[44:45], exec, s[44:45]
	s_cbranch_execz .LBB297_1014
; %bb.997:
	v_cmp_lt_i16_e64 s[4:5], 27, v3
                                        ; implicit-def: $vgpr14
	s_and_saveexec_b64 s[46:47], s[4:5]
	s_xor_b64 s[46:47], exec, s[46:47]
	s_cbranch_execz .LBB297_1005
; %bb.998:
	flat_load_dword v10, v[12:13]
	s_mov_b32 s4, 0x43800000
	v_mov_b32_e32 v14, 0x80
	s_waitcnt vmcnt(0) lgkmcnt(0)
	v_cvt_f32_u32_e32 v15, v10
	v_cmp_gt_u32_e64 s[4:5], s4, v15
	s_and_saveexec_b64 s[48:49], s[4:5]
	s_cbranch_execz .LBB297_1004
; %bb.999:
	s_mov_b32 s4, 0x3bffffff
	v_cmp_lt_u32_e64 s[4:5], s4, v15
	s_mov_b64 s[50:51], 0
                                        ; implicit-def: $vgpr10
	s_and_saveexec_b64 s[52:53], s[4:5]
	s_xor_b64 s[4:5], exec, s[52:53]
	s_cbranch_execz .LBB297_2753
; %bb.1000:
	v_bfe_u32 v10, v15, 20, 1
	s_mov_b32 s33, 0x487ffff
	v_add3_u32 v10, v15, v10, s33
	s_mov_b64 s[50:51], exec
	v_lshrrev_b32_e32 v10, 20, v10
                                        ; implicit-def: $vgpr15
	s_andn2_saveexec_b64 s[52:53], s[4:5]
	s_cbranch_execnz .LBB297_2754
.LBB297_1001:
	s_or_b64 exec, exec, s[52:53]
	v_mov_b32_e32 v14, 0
	s_and_saveexec_b64 s[4:5], s[50:51]
.LBB297_1002:
	v_mov_b32_e32 v14, v10
.LBB297_1003:
	s_or_b64 exec, exec, s[4:5]
.LBB297_1004:
	s_or_b64 exec, exec, s[48:49]
.LBB297_1005:
	s_andn2_saveexec_b64 s[46:47], s[46:47]
	s_cbranch_execz .LBB297_1013
; %bb.1006:
	flat_load_ushort v10, v[12:13]
	s_mov_b32 s4, 0x43800000
	v_mov_b32_e32 v14, 0x80
	s_waitcnt vmcnt(0) lgkmcnt(0)
	v_cvt_f32_u32_e32 v15, v10
	v_cmp_gt_u32_e64 s[4:5], s4, v15
	s_and_saveexec_b64 s[48:49], s[4:5]
	s_cbranch_execz .LBB297_1012
; %bb.1007:
	s_mov_b32 s4, 0x3bffffff
	v_cmp_lt_u32_e64 s[4:5], s4, v15
	s_mov_b64 s[50:51], 0
                                        ; implicit-def: $vgpr10
	s_and_saveexec_b64 s[52:53], s[4:5]
	s_xor_b64 s[4:5], exec, s[52:53]
	s_cbranch_execz .LBB297_2755
; %bb.1008:
	v_bfe_u32 v10, v15, 20, 1
	s_mov_b32 s33, 0x487ffff
	v_add3_u32 v10, v15, v10, s33
	s_mov_b64 s[50:51], exec
	v_lshrrev_b32_e32 v10, 20, v10
                                        ; implicit-def: $vgpr15
	s_andn2_saveexec_b64 s[52:53], s[4:5]
	s_cbranch_execnz .LBB297_2756
.LBB297_1009:
	s_or_b64 exec, exec, s[52:53]
	v_mov_b32_e32 v14, 0
	s_and_saveexec_b64 s[4:5], s[50:51]
.LBB297_1010:
	v_mov_b32_e32 v14, v10
.LBB297_1011:
	s_or_b64 exec, exec, s[4:5]
.LBB297_1012:
	s_or_b64 exec, exec, s[48:49]
.LBB297_1013:
	s_or_b64 exec, exec, s[46:47]
.LBB297_1014:
	s_andn2_saveexec_b64 s[4:5], s[44:45]
	s_cbranch_execz .LBB297_1016
; %bb.1015:
	flat_load_ubyte v14, v[12:13]
.LBB297_1016:
	s_or_b64 exec, exec, s[4:5]
	s_or_b64 s[42:43], s[42:43], exec
.LBB297_1017:
	s_or_b64 exec, exec, s[36:37]
	s_and_b64 s[36:37], s[42:43], exec
	s_and_b64 s[38:39], s[38:39], exec
	s_andn2_saveexec_b64 s[40:41], s[40:41]
	s_cbranch_execnz .LBB297_2309
.LBB297_1018:
	s_or_b64 exec, exec, s[40:41]
	s_mov_b64 s[40:41], s[24:25]
	s_and_saveexec_b64 s[4:5], s[38:39]
	s_cbranch_execnz .LBB297_2358
.LBB297_1019:
	s_or_b64 exec, exec, s[4:5]
	s_and_saveexec_b64 s[4:5], s[28:29]
	s_xor_b64 s[28:29], exec, s[4:5]
	s_cbranch_execz .LBB297_1027
.LBB297_1020:
	flat_load_ubyte v10, v[12:13]
	s_mov_b32 s33, 0x43800000
	s_waitcnt vmcnt(0) lgkmcnt(0)
	v_mov_b32_e32 v14, 0x80
	v_cmp_ne_u16_e64 s[4:5], 0, v10
	v_cndmask_b32_e64 v12, 0, 1.0, s[4:5]
	v_cmp_gt_u32_e64 s[4:5], s33, v12
	s_and_saveexec_b64 s[38:39], s[4:5]
	s_cbranch_execz .LBB297_1026
; %bb.1021:
	s_mov_b32 s4, 0x3bffffff
	v_cmp_lt_u32_e64 s[4:5], s4, v12
	s_mov_b64 s[42:43], 0
                                        ; implicit-def: $vgpr10
	s_and_saveexec_b64 s[44:45], s[4:5]
	s_xor_b64 s[4:5], exec, s[44:45]
	s_cbranch_execz .LBB297_2486
; %bb.1022:
	v_bfe_u32 v10, v12, 20, 1
	s_mov_b32 s33, 0x487ffff
	v_add3_u32 v10, v12, v10, s33
	s_mov_b64 s[42:43], exec
	v_lshrrev_b32_e32 v10, 20, v10
                                        ; implicit-def: $vgpr12
	s_andn2_saveexec_b64 s[44:45], s[4:5]
	s_cbranch_execnz .LBB297_2487
.LBB297_1023:
	s_or_b64 exec, exec, s[44:45]
	v_mov_b32_e32 v14, 0
	s_and_saveexec_b64 s[4:5], s[42:43]
.LBB297_1024:
	v_mov_b32_e32 v14, v10
.LBB297_1025:
	s_or_b64 exec, exec, s[4:5]
.LBB297_1026:
	s_or_b64 exec, exec, s[38:39]
	s_or_b64 s[36:37], s[36:37], exec
.LBB297_1027:
	s_or_b64 exec, exec, s[28:29]
	s_andn2_b64 s[4:5], s[24:25], exec
	s_and_b64 s[28:29], s[40:41], exec
	s_or_b64 s[28:29], s[4:5], s[28:29]
	s_and_b64 s[36:37], s[36:37], exec
                                        ; implicit-def: $vgpr12_vgpr13
.LBB297_1028:
	s_andn2_saveexec_b64 s[34:35], s[34:35]
	s_cbranch_execz .LBB297_1136
; %bb.1029:
	v_cmp_lt_i16_e64 s[4:5], 4, v3
                                        ; implicit-def: $vgpr14
	s_and_saveexec_b64 s[38:39], s[4:5]
	s_xor_b64 s[38:39], exec, s[38:39]
	s_cbranch_execz .LBB297_1087
; %bb.1030:
	v_cmp_lt_i16_e64 s[4:5], 7, v3
                                        ; implicit-def: $vgpr14
	s_and_saveexec_b64 s[40:41], s[4:5]
	s_xor_b64 s[40:41], exec, s[40:41]
	;; [unrolled: 6-line block ×4, first 2 shown]
	s_cbranch_execz .LBB297_1040
; %bb.1033:
	flat_load_dwordx2 v[12:13], v[12:13]
	s_mov_b32 s4, 0x43800000
	s_waitcnt vmcnt(0) lgkmcnt(0)
	v_mov_b32_e32 v14, 0x80
	v_cvt_f32_f64_e32 v10, v[12:13]
	v_and_b32_e32 v12, 0x7fffffff, v10
	v_cmp_gt_u32_e64 s[4:5], s4, v12
	s_and_saveexec_b64 s[46:47], s[4:5]
	s_cbranch_execz .LBB297_1039
; %bb.1034:
	s_mov_b32 s4, 0x3bffffff
	v_cmp_lt_u32_e64 s[4:5], s4, v12
	s_mov_b64 s[48:49], 0
                                        ; implicit-def: $vgpr12
	s_and_saveexec_b64 s[50:51], s[4:5]
	s_xor_b64 s[4:5], exec, s[50:51]
	s_cbranch_execz .LBB297_2757
; %bb.1035:
	v_bfe_u32 v12, v10, 20, 1
	s_mov_b32 s33, 0x487ffff
	v_add3_u32 v12, v10, v12, s33
	s_mov_b64 s[48:49], exec
	v_lshrrev_b32_e32 v12, 20, v12
	s_andn2_saveexec_b64 s[50:51], s[4:5]
	s_cbranch_execnz .LBB297_2758
.LBB297_1036:
	s_or_b64 exec, exec, s[50:51]
	v_mov_b32_e32 v14, 0
	s_and_saveexec_b64 s[4:5], s[48:49]
.LBB297_1037:
	v_lshrrev_b32_e32 v10, 24, v10
	s_movk_i32 s33, 0x80
	v_and_or_b32 v14, v10, s33, v12
.LBB297_1038:
	s_or_b64 exec, exec, s[4:5]
.LBB297_1039:
	s_or_b64 exec, exec, s[46:47]
                                        ; implicit-def: $vgpr12_vgpr13
.LBB297_1040:
	s_andn2_saveexec_b64 s[44:45], s[44:45]
	s_cbranch_execz .LBB297_1048
; %bb.1041:
	flat_load_dword v10, v[12:13]
	s_mov_b32 s4, 0x43800000
	s_waitcnt vmcnt(0) lgkmcnt(0)
	v_mov_b32_e32 v14, 0x80
	v_and_b32_e32 v12, 0x7fffffff, v10
	v_cmp_gt_u32_e64 s[4:5], s4, v12
	s_and_saveexec_b64 s[46:47], s[4:5]
	s_cbranch_execz .LBB297_1047
; %bb.1042:
	s_mov_b32 s4, 0x3bffffff
	v_cmp_lt_u32_e64 s[4:5], s4, v12
	s_mov_b64 s[48:49], 0
                                        ; implicit-def: $vgpr12
	s_and_saveexec_b64 s[50:51], s[4:5]
	s_xor_b64 s[4:5], exec, s[50:51]
	s_cbranch_execz .LBB297_2759
; %bb.1043:
	v_bfe_u32 v12, v10, 20, 1
	s_mov_b32 s33, 0x487ffff
	v_add3_u32 v12, v10, v12, s33
	s_mov_b64 s[48:49], exec
	v_lshrrev_b32_e32 v12, 20, v12
	s_andn2_saveexec_b64 s[50:51], s[4:5]
	s_cbranch_execnz .LBB297_2760
.LBB297_1044:
	s_or_b64 exec, exec, s[50:51]
	v_mov_b32_e32 v14, 0
	s_and_saveexec_b64 s[4:5], s[48:49]
.LBB297_1045:
	v_lshrrev_b32_e32 v10, 24, v10
	s_movk_i32 s33, 0x80
	v_and_or_b32 v14, v10, s33, v12
.LBB297_1046:
	s_or_b64 exec, exec, s[4:5]
.LBB297_1047:
	s_or_b64 exec, exec, s[46:47]
.LBB297_1048:
	s_or_b64 exec, exec, s[44:45]
                                        ; implicit-def: $vgpr12_vgpr13
.LBB297_1049:
	s_andn2_saveexec_b64 s[42:43], s[42:43]
	s_cbranch_execz .LBB297_1057
; %bb.1050:
	flat_load_dword v10, v[12:13]
	s_mov_b32 s4, 0x43800000
	s_waitcnt vmcnt(0) lgkmcnt(0)
	v_mov_b32_e32 v14, 0x80
	v_cvt_f32_f16_e32 v10, v10
	v_and_b32_e32 v12, 0x7fffffff, v10
	v_cmp_gt_u32_e64 s[4:5], s4, v12
	s_and_saveexec_b64 s[44:45], s[4:5]
	s_cbranch_execz .LBB297_1056
; %bb.1051:
	s_mov_b32 s4, 0x3bffffff
	v_cmp_lt_u32_e64 s[4:5], s4, v12
	s_mov_b64 s[46:47], 0
                                        ; implicit-def: $vgpr12
	s_and_saveexec_b64 s[48:49], s[4:5]
	s_xor_b64 s[4:5], exec, s[48:49]
	s_cbranch_execz .LBB297_2674
; %bb.1052:
	v_bfe_u32 v12, v10, 20, 1
	s_mov_b32 s33, 0x487ffff
	v_add3_u32 v12, v10, v12, s33
	s_mov_b64 s[46:47], exec
	v_lshrrev_b32_e32 v12, 20, v12
	s_andn2_saveexec_b64 s[48:49], s[4:5]
	s_cbranch_execnz .LBB297_2675
.LBB297_1053:
	s_or_b64 exec, exec, s[48:49]
	v_mov_b32_e32 v14, 0
	s_and_saveexec_b64 s[4:5], s[46:47]
.LBB297_1054:
	v_lshrrev_b32_e32 v10, 24, v10
	s_movk_i32 s33, 0x80
	v_and_or_b32 v14, v10, s33, v12
.LBB297_1055:
	s_or_b64 exec, exec, s[4:5]
.LBB297_1056:
	s_or_b64 exec, exec, s[44:45]
.LBB297_1057:
	s_or_b64 exec, exec, s[42:43]
                                        ; implicit-def: $vgpr12_vgpr13
.LBB297_1058:
	s_andn2_saveexec_b64 s[40:41], s[40:41]
	s_cbranch_execz .LBB297_1086
; %bb.1059:
	v_cmp_lt_i16_e64 s[4:5], 5, v3
                                        ; implicit-def: $vgpr14
	s_and_saveexec_b64 s[42:43], s[4:5]
	s_xor_b64 s[42:43], exec, s[42:43]
	s_cbranch_execz .LBB297_1077
; %bb.1060:
	v_cmp_lt_i16_e64 s[4:5], 6, v3
                                        ; implicit-def: $vgpr14
	s_and_saveexec_b64 s[44:45], s[4:5]
	s_xor_b64 s[44:45], exec, s[44:45]
	s_cbranch_execz .LBB297_1068
; %bb.1061:
	flat_load_dwordx2 v[12:13], v[12:13]
	s_mov_b32 s4, 0x43800000
	s_waitcnt vmcnt(0) lgkmcnt(0)
	v_mov_b32_e32 v14, 0x80
	v_cvt_f32_f64_e32 v10, v[12:13]
	v_and_b32_e32 v12, 0x7fffffff, v10
	v_cmp_gt_u32_e64 s[4:5], s4, v12
	s_and_saveexec_b64 s[46:47], s[4:5]
	s_cbranch_execz .LBB297_1067
; %bb.1062:
	s_mov_b32 s4, 0x3bffffff
	v_cmp_lt_u32_e64 s[4:5], s4, v12
	s_mov_b64 s[48:49], 0
                                        ; implicit-def: $vgpr12
	s_and_saveexec_b64 s[50:51], s[4:5]
	s_xor_b64 s[4:5], exec, s[50:51]
	s_cbranch_execz .LBB297_2761
; %bb.1063:
	v_bfe_u32 v12, v10, 20, 1
	s_mov_b32 s33, 0x487ffff
	v_add3_u32 v12, v10, v12, s33
	s_mov_b64 s[48:49], exec
	v_lshrrev_b32_e32 v12, 20, v12
	s_andn2_saveexec_b64 s[50:51], s[4:5]
	s_cbranch_execnz .LBB297_2762
.LBB297_1064:
	s_or_b64 exec, exec, s[50:51]
	v_mov_b32_e32 v14, 0
	s_and_saveexec_b64 s[4:5], s[48:49]
.LBB297_1065:
	v_lshrrev_b32_e32 v10, 24, v10
	s_movk_i32 s33, 0x80
	v_and_or_b32 v14, v10, s33, v12
.LBB297_1066:
	s_or_b64 exec, exec, s[4:5]
.LBB297_1067:
	s_or_b64 exec, exec, s[46:47]
                                        ; implicit-def: $vgpr12_vgpr13
.LBB297_1068:
	s_andn2_saveexec_b64 s[44:45], s[44:45]
	s_cbranch_execz .LBB297_1076
; %bb.1069:
	flat_load_dword v10, v[12:13]
	s_mov_b32 s4, 0x43800000
	s_waitcnt vmcnt(0) lgkmcnt(0)
	v_mov_b32_e32 v14, 0x80
	v_and_b32_e32 v12, 0x7fffffff, v10
	v_cmp_gt_u32_e64 s[4:5], s4, v12
	s_and_saveexec_b64 s[46:47], s[4:5]
	s_cbranch_execz .LBB297_1075
; %bb.1070:
	s_mov_b32 s4, 0x3bffffff
	v_cmp_lt_u32_e64 s[4:5], s4, v12
	s_mov_b64 s[48:49], 0
                                        ; implicit-def: $vgpr12
	s_and_saveexec_b64 s[50:51], s[4:5]
	s_xor_b64 s[4:5], exec, s[50:51]
	s_cbranch_execz .LBB297_2763
; %bb.1071:
	v_bfe_u32 v12, v10, 20, 1
	s_mov_b32 s33, 0x487ffff
	v_add3_u32 v12, v10, v12, s33
	s_mov_b64 s[48:49], exec
	v_lshrrev_b32_e32 v12, 20, v12
	s_andn2_saveexec_b64 s[50:51], s[4:5]
	s_cbranch_execnz .LBB297_2764
.LBB297_1072:
	s_or_b64 exec, exec, s[50:51]
	v_mov_b32_e32 v14, 0
	s_and_saveexec_b64 s[4:5], s[48:49]
.LBB297_1073:
	v_lshrrev_b32_e32 v10, 24, v10
	s_movk_i32 s33, 0x80
	v_and_or_b32 v14, v10, s33, v12
.LBB297_1074:
	s_or_b64 exec, exec, s[4:5]
.LBB297_1075:
	s_or_b64 exec, exec, s[46:47]
.LBB297_1076:
	s_or_b64 exec, exec, s[44:45]
                                        ; implicit-def: $vgpr12_vgpr13
.LBB297_1077:
	s_andn2_saveexec_b64 s[42:43], s[42:43]
	s_cbranch_execz .LBB297_1085
; %bb.1078:
	flat_load_ushort v10, v[12:13]
	s_mov_b32 s4, 0x43800000
	s_waitcnt vmcnt(0) lgkmcnt(0)
	v_mov_b32_e32 v14, 0x80
	v_cvt_f32_f16_e32 v10, v10
	v_and_b32_e32 v12, 0x7fffffff, v10
	v_cmp_gt_u32_e64 s[4:5], s4, v12
	s_and_saveexec_b64 s[44:45], s[4:5]
	s_cbranch_execz .LBB297_1084
; %bb.1079:
	s_mov_b32 s4, 0x3bffffff
	v_cmp_lt_u32_e64 s[4:5], s4, v12
	s_mov_b64 s[46:47], 0
                                        ; implicit-def: $vgpr12
	s_and_saveexec_b64 s[48:49], s[4:5]
	s_xor_b64 s[4:5], exec, s[48:49]
	s_cbranch_execz .LBB297_2676
; %bb.1080:
	v_bfe_u32 v12, v10, 20, 1
	s_mov_b32 s33, 0x487ffff
	v_add3_u32 v12, v10, v12, s33
	s_mov_b64 s[46:47], exec
	v_lshrrev_b32_e32 v12, 20, v12
	s_andn2_saveexec_b64 s[48:49], s[4:5]
	s_cbranch_execnz .LBB297_2677
.LBB297_1081:
	s_or_b64 exec, exec, s[48:49]
	v_mov_b32_e32 v14, 0
	s_and_saveexec_b64 s[4:5], s[46:47]
.LBB297_1082:
	v_lshrrev_b32_e32 v10, 24, v10
	s_movk_i32 s33, 0x80
	v_and_or_b32 v14, v10, s33, v12
.LBB297_1083:
	s_or_b64 exec, exec, s[4:5]
.LBB297_1084:
	s_or_b64 exec, exec, s[44:45]
.LBB297_1085:
	s_or_b64 exec, exec, s[42:43]
.LBB297_1086:
	s_or_b64 exec, exec, s[40:41]
                                        ; implicit-def: $vgpr12_vgpr13
.LBB297_1087:
	s_andn2_saveexec_b64 s[38:39], s[38:39]
	s_cbranch_execz .LBB297_1135
; %bb.1088:
	v_cmp_lt_i16_e64 s[4:5], 1, v3
                                        ; implicit-def: $vgpr14
	s_and_saveexec_b64 s[40:41], s[4:5]
	s_xor_b64 s[40:41], exec, s[40:41]
	s_cbranch_execz .LBB297_1116
; %bb.1089:
	v_cmp_lt_i16_e64 s[4:5], 2, v3
                                        ; implicit-def: $vgpr14
	s_and_saveexec_b64 s[42:43], s[4:5]
	s_xor_b64 s[42:43], exec, s[42:43]
	;; [unrolled: 6-line block ×3, first 2 shown]
	s_cbranch_execz .LBB297_1098
; %bb.1091:
	flat_load_dwordx2 v[12:13], v[12:13]
	s_mov_b32 s4, 0x43800000
	s_waitcnt vmcnt(0) lgkmcnt(0)
	v_xor_b32_e32 v14, v12, v13
	v_ffbh_i32_e32 v10, v13
	v_ashrrev_i32_e32 v14, 31, v14
	v_add_u32_e32 v10, -1, v10
	v_add_u32_e32 v14, 32, v14
	v_min_u32_e32 v10, v10, v14
	v_lshlrev_b64 v[12:13], v10, v[12:13]
	v_sub_u32_e32 v10, 32, v10
	v_min_u32_e32 v12, 1, v12
	v_or_b32_e32 v12, v13, v12
	v_cvt_f32_i32_e32 v12, v12
	v_mov_b32_e32 v14, 0x80
	v_ldexp_f32 v10, v12, v10
	v_and_b32_e32 v12, 0x7fffffff, v10
	v_cmp_gt_u32_e64 s[4:5], s4, v12
	s_and_saveexec_b64 s[46:47], s[4:5]
	s_cbranch_execz .LBB297_1097
; %bb.1092:
	s_mov_b32 s4, 0x3bffffff
	v_cmp_lt_u32_e64 s[4:5], s4, v12
	s_mov_b64 s[48:49], 0
                                        ; implicit-def: $vgpr12
	s_and_saveexec_b64 s[50:51], s[4:5]
	s_xor_b64 s[4:5], exec, s[50:51]
	s_cbranch_execz .LBB297_2765
; %bb.1093:
	v_bfe_u32 v12, v10, 20, 1
	s_mov_b32 s33, 0x487ffff
	v_add3_u32 v12, v10, v12, s33
	s_mov_b64 s[48:49], exec
	v_lshrrev_b32_e32 v12, 20, v12
	s_andn2_saveexec_b64 s[50:51], s[4:5]
	s_cbranch_execnz .LBB297_2766
.LBB297_1094:
	s_or_b64 exec, exec, s[50:51]
	v_mov_b32_e32 v14, 0
	s_and_saveexec_b64 s[4:5], s[48:49]
.LBB297_1095:
	v_lshrrev_b32_e32 v10, 24, v10
	s_movk_i32 s33, 0x80
	v_and_or_b32 v14, v10, s33, v12
.LBB297_1096:
	s_or_b64 exec, exec, s[4:5]
.LBB297_1097:
	s_or_b64 exec, exec, s[46:47]
                                        ; implicit-def: $vgpr12_vgpr13
.LBB297_1098:
	s_andn2_saveexec_b64 s[44:45], s[44:45]
	s_cbranch_execz .LBB297_1106
; %bb.1099:
	flat_load_dword v10, v[12:13]
	s_mov_b32 s4, 0x43800000
	s_waitcnt vmcnt(0) lgkmcnt(0)
	v_mov_b32_e32 v14, 0x80
	v_cvt_f32_i32_e32 v10, v10
	v_and_b32_e32 v12, 0x7fffffff, v10
	v_cmp_gt_u32_e64 s[4:5], s4, v12
	s_and_saveexec_b64 s[46:47], s[4:5]
	s_cbranch_execz .LBB297_1105
; %bb.1100:
	s_mov_b32 s4, 0x3bffffff
	v_cmp_lt_u32_e64 s[4:5], s4, v12
	s_mov_b64 s[48:49], 0
                                        ; implicit-def: $vgpr12
	s_and_saveexec_b64 s[50:51], s[4:5]
	s_xor_b64 s[4:5], exec, s[50:51]
	s_cbranch_execz .LBB297_2767
; %bb.1101:
	v_bfe_u32 v12, v10, 20, 1
	s_mov_b32 s33, 0x487ffff
	v_add3_u32 v12, v10, v12, s33
	s_mov_b64 s[48:49], exec
	v_lshrrev_b32_e32 v12, 20, v12
	s_andn2_saveexec_b64 s[50:51], s[4:5]
	s_cbranch_execnz .LBB297_2768
.LBB297_1102:
	s_or_b64 exec, exec, s[50:51]
	v_mov_b32_e32 v14, 0
	s_and_saveexec_b64 s[4:5], s[48:49]
.LBB297_1103:
	v_lshrrev_b32_e32 v10, 24, v10
	s_movk_i32 s33, 0x80
	v_and_or_b32 v14, v10, s33, v12
.LBB297_1104:
	s_or_b64 exec, exec, s[4:5]
.LBB297_1105:
	s_or_b64 exec, exec, s[46:47]
.LBB297_1106:
	s_or_b64 exec, exec, s[44:45]
                                        ; implicit-def: $vgpr12_vgpr13
.LBB297_1107:
	s_andn2_saveexec_b64 s[42:43], s[42:43]
	s_cbranch_execz .LBB297_1115
; %bb.1108:
	flat_load_sshort v10, v[12:13]
	s_mov_b32 s4, 0x43800000
	s_waitcnt vmcnt(0) lgkmcnt(0)
	v_mov_b32_e32 v14, 0x80
	v_cvt_f32_i32_e32 v10, v10
	v_and_b32_e32 v12, 0x7fffffff, v10
	v_cmp_gt_u32_e64 s[4:5], s4, v12
	s_and_saveexec_b64 s[44:45], s[4:5]
	s_cbranch_execz .LBB297_1114
; %bb.1109:
	s_mov_b32 s4, 0x3bffffff
	v_cmp_lt_u32_e64 s[4:5], s4, v12
	s_mov_b64 s[46:47], 0
                                        ; implicit-def: $vgpr12
	s_and_saveexec_b64 s[48:49], s[4:5]
	s_xor_b64 s[4:5], exec, s[48:49]
	s_cbranch_execz .LBB297_2678
; %bb.1110:
	v_bfe_u32 v12, v10, 20, 1
	s_mov_b32 s33, 0x487ffff
	v_add3_u32 v12, v10, v12, s33
	s_mov_b64 s[46:47], exec
	v_lshrrev_b32_e32 v12, 20, v12
	s_andn2_saveexec_b64 s[48:49], s[4:5]
	s_cbranch_execnz .LBB297_2679
.LBB297_1111:
	s_or_b64 exec, exec, s[48:49]
	v_mov_b32_e32 v14, 0
	s_and_saveexec_b64 s[4:5], s[46:47]
.LBB297_1112:
	v_lshrrev_b32_e32 v10, 24, v10
	s_movk_i32 s33, 0x80
	v_and_or_b32 v14, v10, s33, v12
.LBB297_1113:
	s_or_b64 exec, exec, s[4:5]
.LBB297_1114:
	s_or_b64 exec, exec, s[44:45]
.LBB297_1115:
	s_or_b64 exec, exec, s[42:43]
                                        ; implicit-def: $vgpr12_vgpr13
.LBB297_1116:
	s_andn2_saveexec_b64 s[40:41], s[40:41]
	s_cbranch_execz .LBB297_1134
; %bb.1117:
	v_cmp_lt_i16_e64 s[4:5], 0, v3
                                        ; implicit-def: $vgpr14
	s_and_saveexec_b64 s[42:43], s[4:5]
	s_xor_b64 s[42:43], exec, s[42:43]
	s_cbranch_execz .LBB297_1125
; %bb.1118:
	flat_load_sbyte v10, v[12:13]
	s_mov_b32 s4, 0x43800000
	s_waitcnt vmcnt(0) lgkmcnt(0)
	v_mov_b32_e32 v14, 0x80
	v_cvt_f32_i32_e32 v10, v10
	v_and_b32_e32 v12, 0x7fffffff, v10
	v_cmp_gt_u32_e64 s[4:5], s4, v12
	s_and_saveexec_b64 s[44:45], s[4:5]
	s_cbranch_execz .LBB297_1124
; %bb.1119:
	s_mov_b32 s4, 0x3bffffff
	v_cmp_lt_u32_e64 s[4:5], s4, v12
	s_mov_b64 s[46:47], 0
                                        ; implicit-def: $vgpr12
	s_and_saveexec_b64 s[48:49], s[4:5]
	s_xor_b64 s[4:5], exec, s[48:49]
	s_cbranch_execz .LBB297_2680
; %bb.1120:
	v_bfe_u32 v12, v10, 20, 1
	s_mov_b32 s33, 0x487ffff
	v_add3_u32 v12, v10, v12, s33
	s_mov_b64 s[46:47], exec
	v_lshrrev_b32_e32 v12, 20, v12
	s_andn2_saveexec_b64 s[48:49], s[4:5]
	s_cbranch_execnz .LBB297_2681
.LBB297_1121:
	s_or_b64 exec, exec, s[48:49]
	v_mov_b32_e32 v14, 0
	s_and_saveexec_b64 s[4:5], s[46:47]
.LBB297_1122:
	v_lshrrev_b32_e32 v10, 24, v10
	s_movk_i32 s33, 0x80
	v_and_or_b32 v14, v10, s33, v12
.LBB297_1123:
	s_or_b64 exec, exec, s[4:5]
.LBB297_1124:
	s_or_b64 exec, exec, s[44:45]
                                        ; implicit-def: $vgpr12_vgpr13
.LBB297_1125:
	s_andn2_saveexec_b64 s[42:43], s[42:43]
	s_cbranch_execz .LBB297_1133
; %bb.1126:
	flat_load_ubyte v10, v[12:13]
	s_mov_b32 s4, 0x43800000
	s_waitcnt vmcnt(0) lgkmcnt(0)
	v_mov_b32_e32 v14, 0x80
	v_cvt_f32_ubyte0_e32 v12, v10
	v_cmp_gt_u32_e64 s[4:5], s4, v12
	s_and_saveexec_b64 s[44:45], s[4:5]
	s_cbranch_execz .LBB297_1132
; %bb.1127:
	s_mov_b32 s4, 0x3bffffff
	v_cmp_lt_u32_e64 s[4:5], s4, v12
	s_mov_b64 s[46:47], 0
                                        ; implicit-def: $vgpr10
	s_and_saveexec_b64 s[48:49], s[4:5]
	s_xor_b64 s[4:5], exec, s[48:49]
	s_cbranch_execz .LBB297_2682
; %bb.1128:
	v_bfe_u32 v10, v12, 20, 1
	s_mov_b32 s33, 0x487ffff
	v_add3_u32 v10, v12, v10, s33
	s_mov_b64 s[46:47], exec
	v_lshrrev_b32_e32 v10, 20, v10
                                        ; implicit-def: $vgpr12
	s_andn2_saveexec_b64 s[48:49], s[4:5]
	s_cbranch_execnz .LBB297_2683
.LBB297_1129:
	s_or_b64 exec, exec, s[48:49]
	v_mov_b32_e32 v14, 0
	s_and_saveexec_b64 s[4:5], s[46:47]
.LBB297_1130:
	v_mov_b32_e32 v14, v10
.LBB297_1131:
	s_or_b64 exec, exec, s[4:5]
.LBB297_1132:
	s_or_b64 exec, exec, s[44:45]
.LBB297_1133:
	s_or_b64 exec, exec, s[42:43]
.LBB297_1134:
	s_or_b64 exec, exec, s[40:41]
.LBB297_1135:
	s_or_b64 exec, exec, s[38:39]
	s_or_b64 s[36:37], s[36:37], exec
.LBB297_1136:
	s_or_b64 exec, exec, s[34:35]
	s_mov_b64 s[4:5], 0
	s_mov_b64 s[38:39], 0
                                        ; implicit-def: $sgpr48_sgpr49
                                        ; implicit-def: $vgpr21_vgpr22
                                        ; implicit-def: $vgpr16
	s_and_saveexec_b64 s[34:35], s[36:37]
	s_cbranch_execz .LBB297_2025
; %bb.1137:
	v_add_co_u32_e64 v10, s[4:5], v5, v11
	v_addc_co_u32_e64 v11, s[4:5], 0, v24, s[4:5]
	v_cmp_lt_i16_e64 s[4:5], 10, v1
	s_mov_b64 s[40:41], 0
	s_mov_b64 s[36:37], s[28:29]
                                        ; implicit-def: $vgpr12
	s_and_saveexec_b64 s[38:39], s[4:5]
	s_xor_b64 s[38:39], exec, s[38:39]
	s_cbranch_execz .LBB297_1206
; %bb.1138:
	v_cmp_lt_i16_e64 s[4:5], 25, v1
	s_mov_b64 s[36:37], 0
	s_mov_b64 s[42:43], 0
                                        ; implicit-def: $vgpr12
	s_and_saveexec_b64 s[44:45], s[4:5]
	s_xor_b64 s[44:45], exec, s[44:45]
	s_cbranch_execz .LBB297_2393
; %bb.1139:
	v_cmp_lt_i16_e64 s[4:5], 28, v1
	s_mov_b64 s[46:47], 0
                                        ; implicit-def: $vgpr12
	s_and_saveexec_b64 s[40:41], s[4:5]
	s_xor_b64 s[40:41], exec, s[40:41]
	s_cbranch_execz .LBB297_1173
; %bb.1140:
	v_cmp_lt_i16_e64 s[4:5], 43, v1
	s_mov_b64 s[48:49], 0
	s_mov_b64 s[50:51], 0
                                        ; implicit-def: $vgpr12
	s_and_saveexec_b64 s[42:43], s[4:5]
	s_xor_b64 s[42:43], exec, s[42:43]
	s_cbranch_execz .LBB297_1162
; %bb.1141:
	v_cmp_lt_i16_e64 s[4:5], 45, v1
                                        ; implicit-def: $vgpr12
	s_and_saveexec_b64 s[50:51], s[4:5]
	s_xor_b64 s[50:51], exec, s[50:51]
	s_cbranch_execz .LBB297_1151
; %bb.1142:
	v_cmp_eq_u16_e64 s[4:5], 46, v1
	s_mov_b64 s[52:53], -1
                                        ; implicit-def: $vgpr12
	s_and_saveexec_b64 s[46:47], s[4:5]
	s_cbranch_execz .LBB297_1150
; %bb.1143:
	flat_load_dword v12, v[10:11]
	s_mov_b32 s4, 0x43800000
	s_waitcnt vmcnt(0) lgkmcnt(0)
	v_lshlrev_b32_e32 v13, 16, v12
	v_and_b32_e32 v15, 0x7fffffff, v13
	v_cmp_gt_u32_e64 s[4:5], s4, v15
	v_mov_b32_e32 v12, 0x80
	s_and_saveexec_b64 s[48:49], s[4:5]
	s_cbranch_execz .LBB297_1149
; %bb.1144:
	s_mov_b32 s4, 0x3bffffff
	v_cmp_lt_u32_e64 s[4:5], s4, v15
	s_mov_b64 s[52:53], 0
                                        ; implicit-def: $vgpr15
	s_and_saveexec_b64 s[54:55], s[4:5]
	s_xor_b64 s[4:5], exec, s[54:55]
	s_cbranch_execz .LBB297_2919
; %bb.1145:
	v_bfe_u32 v12, v13, 20, 1
	s_mov_b32 s33, 0x487ffff
	v_add3_u32 v12, v13, v12, s33
	s_mov_b64 s[52:53], exec
	v_lshrrev_b32_e32 v15, 20, v12
	s_andn2_saveexec_b64 s[54:55], s[4:5]
	s_cbranch_execnz .LBB297_2920
.LBB297_1146:
	s_or_b64 exec, exec, s[54:55]
	v_mov_b32_e32 v12, 0
	s_and_saveexec_b64 s[4:5], s[52:53]
.LBB297_1147:
	v_lshrrev_b32_e32 v12, 24, v13
	s_movk_i32 s33, 0x80
	v_and_or_b32 v12, v12, s33, v15
.LBB297_1148:
	s_or_b64 exec, exec, s[4:5]
.LBB297_1149:
	s_or_b64 exec, exec, s[48:49]
	s_mov_b64 s[48:49], exec
	s_xor_b64 s[52:53], exec, -1
.LBB297_1150:
	s_or_b64 exec, exec, s[46:47]
	s_and_b64 s[48:49], s[48:49], exec
	s_and_b64 s[46:47], s[52:53], exec
.LBB297_1151:
	s_andn2_saveexec_b64 s[50:51], s[50:51]
	s_cbranch_execz .LBB297_1161
; %bb.1152:
	v_cmp_eq_u16_e64 s[4:5], 44, v1
	s_mov_b64 s[54:55], -1
	s_mov_b64 s[56:57], s[48:49]
                                        ; implicit-def: $vgpr12
	s_and_saveexec_b64 s[52:53], s[4:5]
	s_cbranch_execz .LBB297_1160
; %bb.1153:
	flat_load_ubyte v12, v[10:11]
	s_movk_i32 s4, 0xff
	v_mov_b32_e32 v13, 0x7f800001
	v_mov_b32_e32 v15, 0x400000
	s_mov_b32 s33, 0x43800000
	s_waitcnt vmcnt(0) lgkmcnt(0)
	v_lshlrev_b32_e32 v16, 23, v12
	v_cmp_ne_u32_e64 s[4:5], s4, v12
	v_cndmask_b32_e64 v13, v13, v16, s[4:5]
	v_cmp_ne_u32_e64 s[4:5], 0, v12
	v_cndmask_b32_e64 v15, v15, v13, s[4:5]
	v_cmp_gt_u32_e64 s[4:5], s33, v15
	v_mov_b32_e32 v12, 0x80
	s_and_saveexec_b64 s[54:55], s[4:5]
	s_cbranch_execz .LBB297_1159
; %bb.1154:
	s_mov_b32 s4, 0x3bffffff
	v_cmp_lt_u32_e64 s[4:5], s4, v15
	s_mov_b64 s[56:57], 0
                                        ; implicit-def: $vgpr13
	s_and_saveexec_b64 s[58:59], s[4:5]
	s_xor_b64 s[4:5], exec, s[58:59]
	s_cbranch_execz .LBB297_2921
; %bb.1155:
	v_bfe_u32 v12, v15, 20, 1
	s_mov_b32 s33, 0x487ffff
	v_add3_u32 v12, v15, v12, s33
	s_mov_b64 s[56:57], exec
	v_lshrrev_b32_e32 v13, 20, v12
                                        ; implicit-def: $vgpr15
	s_andn2_saveexec_b64 s[58:59], s[4:5]
	s_cbranch_execnz .LBB297_2922
.LBB297_1156:
	s_or_b64 exec, exec, s[58:59]
	v_mov_b32_e32 v12, 0
	s_and_saveexec_b64 s[4:5], s[56:57]
.LBB297_1157:
	v_mov_b32_e32 v12, v13
.LBB297_1158:
	s_or_b64 exec, exec, s[4:5]
.LBB297_1159:
	s_or_b64 exec, exec, s[54:55]
	s_or_b64 s[56:57], s[48:49], exec
	s_xor_b64 s[54:55], exec, -1
.LBB297_1160:
	s_or_b64 exec, exec, s[52:53]
	s_andn2_b64 s[4:5], s[48:49], exec
	s_and_b64 s[48:49], s[56:57], exec
	s_or_b64 s[48:49], s[4:5], s[48:49]
	s_andn2_b64 s[4:5], s[46:47], exec
	s_and_b64 s[46:47], s[54:55], exec
	s_or_b64 s[46:47], s[4:5], s[46:47]
.LBB297_1161:
	s_or_b64 exec, exec, s[50:51]
	s_and_b64 s[50:51], s[48:49], exec
	s_and_b64 s[48:49], s[46:47], exec
.LBB297_1162:
	s_andn2_saveexec_b64 s[42:43], s[42:43]
	s_cbranch_execz .LBB297_1172
; %bb.1163:
	v_cmp_eq_u16_e64 s[4:5], 29, v1
	s_mov_b64 s[52:53], -1
	s_mov_b64 s[54:55], s[50:51]
                                        ; implicit-def: $vgpr12
	s_and_saveexec_b64 s[46:47], s[4:5]
	s_cbranch_execz .LBB297_1171
; %bb.1164:
	flat_load_dwordx2 v[12:13], v[10:11]
	s_mov_b32 s4, 0x43800000
	s_waitcnt vmcnt(0) lgkmcnt(0)
	v_ffbh_u32_e32 v15, v13
	v_min_u32_e32 v15, 32, v15
	v_lshlrev_b64 v[12:13], v15, v[12:13]
	v_min_u32_e32 v12, 1, v12
	v_or_b32_e32 v12, v13, v12
	v_cvt_f32_u32_e32 v12, v12
	v_sub_u32_e32 v13, 32, v15
	v_ldexp_f32 v15, v12, v13
	v_cmp_gt_u32_e64 s[4:5], s4, v15
	v_mov_b32_e32 v12, 0x80
	s_and_saveexec_b64 s[52:53], s[4:5]
	s_cbranch_execz .LBB297_1170
; %bb.1165:
	s_mov_b32 s4, 0x3bffffff
	v_cmp_lt_u32_e64 s[4:5], s4, v15
	s_mov_b64 s[54:55], 0
                                        ; implicit-def: $vgpr13
	s_and_saveexec_b64 s[56:57], s[4:5]
	s_xor_b64 s[4:5], exec, s[56:57]
	s_cbranch_execz .LBB297_2838
; %bb.1166:
	v_bfe_u32 v12, v15, 20, 1
	s_mov_b32 s33, 0x487ffff
	v_add3_u32 v12, v15, v12, s33
	s_mov_b64 s[54:55], exec
	v_lshrrev_b32_e32 v13, 20, v12
                                        ; implicit-def: $vgpr15
	s_andn2_saveexec_b64 s[56:57], s[4:5]
	s_cbranch_execnz .LBB297_2839
.LBB297_1167:
	s_or_b64 exec, exec, s[56:57]
	v_mov_b32_e32 v12, 0
	s_and_saveexec_b64 s[4:5], s[54:55]
.LBB297_1168:
	v_mov_b32_e32 v12, v13
.LBB297_1169:
	s_or_b64 exec, exec, s[4:5]
.LBB297_1170:
	s_or_b64 exec, exec, s[52:53]
	s_or_b64 s[54:55], s[50:51], exec
	s_xor_b64 s[52:53], exec, -1
.LBB297_1171:
	s_or_b64 exec, exec, s[46:47]
	s_andn2_b64 s[4:5], s[50:51], exec
	s_and_b64 s[46:47], s[54:55], exec
	s_or_b64 s[50:51], s[4:5], s[46:47]
	s_andn2_b64 s[4:5], s[48:49], exec
	s_and_b64 s[46:47], s[52:53], exec
	s_or_b64 s[48:49], s[4:5], s[46:47]
.LBB297_1172:
	s_or_b64 exec, exec, s[42:43]
	s_and_b64 s[46:47], s[50:51], exec
	s_and_b64 s[42:43], s[48:49], exec
.LBB297_1173:
	s_andn2_saveexec_b64 s[40:41], s[40:41]
	s_cbranch_execz .LBB297_1195
; %bb.1174:
	v_cmp_lt_i16_e64 s[4:5], 26, v1
                                        ; implicit-def: $vgpr12
	s_and_saveexec_b64 s[48:49], s[4:5]
	s_xor_b64 s[48:49], exec, s[48:49]
	s_cbranch_execz .LBB297_1192
; %bb.1175:
	v_cmp_lt_i16_e64 s[4:5], 27, v1
                                        ; implicit-def: $vgpr12
	s_and_saveexec_b64 s[50:51], s[4:5]
	s_xor_b64 s[50:51], exec, s[50:51]
	s_cbranch_execz .LBB297_1183
; %bb.1176:
	flat_load_dword v12, v[10:11]
	s_mov_b32 s4, 0x43800000
	s_waitcnt vmcnt(0) lgkmcnt(0)
	v_cvt_f32_u32_e32 v15, v12
	v_mov_b32_e32 v12, 0x80
	v_cmp_gt_u32_e64 s[4:5], s4, v15
	s_and_saveexec_b64 s[52:53], s[4:5]
	s_cbranch_execz .LBB297_1182
; %bb.1177:
	s_mov_b32 s4, 0x3bffffff
	v_cmp_lt_u32_e64 s[4:5], s4, v15
	s_mov_b64 s[54:55], 0
                                        ; implicit-def: $vgpr13
	s_and_saveexec_b64 s[56:57], s[4:5]
	s_xor_b64 s[4:5], exec, s[56:57]
	s_cbranch_execz .LBB297_2840
; %bb.1178:
	v_bfe_u32 v12, v15, 20, 1
	s_mov_b32 s33, 0x487ffff
	v_add3_u32 v12, v15, v12, s33
	s_mov_b64 s[54:55], exec
	v_lshrrev_b32_e32 v13, 20, v12
                                        ; implicit-def: $vgpr15
	s_andn2_saveexec_b64 s[56:57], s[4:5]
	s_cbranch_execnz .LBB297_2841
.LBB297_1179:
	s_or_b64 exec, exec, s[56:57]
	v_mov_b32_e32 v12, 0
	s_and_saveexec_b64 s[4:5], s[54:55]
.LBB297_1180:
	v_mov_b32_e32 v12, v13
.LBB297_1181:
	s_or_b64 exec, exec, s[4:5]
.LBB297_1182:
	s_or_b64 exec, exec, s[52:53]
.LBB297_1183:
	s_andn2_saveexec_b64 s[50:51], s[50:51]
	s_cbranch_execz .LBB297_1191
; %bb.1184:
	flat_load_ushort v12, v[10:11]
	s_mov_b32 s4, 0x43800000
	s_waitcnt vmcnt(0) lgkmcnt(0)
	v_cvt_f32_u32_e32 v15, v12
	v_mov_b32_e32 v12, 0x80
	v_cmp_gt_u32_e64 s[4:5], s4, v15
	s_and_saveexec_b64 s[52:53], s[4:5]
	s_cbranch_execz .LBB297_1190
; %bb.1185:
	s_mov_b32 s4, 0x3bffffff
	v_cmp_lt_u32_e64 s[4:5], s4, v15
	s_mov_b64 s[54:55], 0
                                        ; implicit-def: $vgpr13
	s_and_saveexec_b64 s[56:57], s[4:5]
	s_xor_b64 s[4:5], exec, s[56:57]
	s_cbranch_execz .LBB297_2842
; %bb.1186:
	v_bfe_u32 v12, v15, 20, 1
	s_mov_b32 s33, 0x487ffff
	v_add3_u32 v12, v15, v12, s33
	s_mov_b64 s[54:55], exec
	v_lshrrev_b32_e32 v13, 20, v12
                                        ; implicit-def: $vgpr15
	s_andn2_saveexec_b64 s[56:57], s[4:5]
	s_cbranch_execnz .LBB297_2843
.LBB297_1187:
	s_or_b64 exec, exec, s[56:57]
	v_mov_b32_e32 v12, 0
	s_and_saveexec_b64 s[4:5], s[54:55]
.LBB297_1188:
	v_mov_b32_e32 v12, v13
.LBB297_1189:
	s_or_b64 exec, exec, s[4:5]
.LBB297_1190:
	s_or_b64 exec, exec, s[52:53]
.LBB297_1191:
	s_or_b64 exec, exec, s[50:51]
.LBB297_1192:
	s_andn2_saveexec_b64 s[4:5], s[48:49]
	s_cbranch_execz .LBB297_1194
; %bb.1193:
	flat_load_ubyte v12, v[10:11]
.LBB297_1194:
	s_or_b64 exec, exec, s[4:5]
	s_or_b64 s[46:47], s[46:47], exec
.LBB297_1195:
	s_or_b64 exec, exec, s[40:41]
	s_and_b64 s[40:41], s[46:47], exec
	s_and_b64 s[42:43], s[42:43], exec
	s_andn2_saveexec_b64 s[44:45], s[44:45]
	s_cbranch_execnz .LBB297_2394
.LBB297_1196:
	s_or_b64 exec, exec, s[44:45]
	s_mov_b64 s[44:45], s[28:29]
	s_and_saveexec_b64 s[4:5], s[42:43]
	s_cbranch_execnz .LBB297_2443
.LBB297_1197:
	s_or_b64 exec, exec, s[4:5]
	s_and_saveexec_b64 s[4:5], s[36:37]
	s_xor_b64 s[36:37], exec, s[4:5]
	s_cbranch_execz .LBB297_1205
.LBB297_1198:
	flat_load_ubyte v10, v[10:11]
	s_mov_b32 s33, 0x43800000
	s_waitcnt vmcnt(0) lgkmcnt(0)
	v_mov_b32_e32 v12, 0x80
	v_cmp_ne_u16_e64 s[4:5], 0, v10
	v_cndmask_b32_e64 v11, 0, 1.0, s[4:5]
	v_cmp_gt_u32_e64 s[4:5], s33, v11
	s_and_saveexec_b64 s[42:43], s[4:5]
	s_cbranch_execz .LBB297_1204
; %bb.1199:
	s_mov_b32 s4, 0x3bffffff
	v_cmp_lt_u32_e64 s[4:5], s4, v11
	s_mov_b64 s[46:47], 0
                                        ; implicit-def: $vgpr10
	s_and_saveexec_b64 s[48:49], s[4:5]
	s_xor_b64 s[4:5], exec, s[48:49]
	s_cbranch_execz .LBB297_2589
; %bb.1200:
	v_bfe_u32 v10, v11, 20, 1
	s_mov_b32 s33, 0x487ffff
	v_add3_u32 v10, v11, v10, s33
	s_mov_b64 s[46:47], exec
	v_lshrrev_b32_e32 v10, 20, v10
                                        ; implicit-def: $vgpr11
	s_andn2_saveexec_b64 s[48:49], s[4:5]
	s_cbranch_execnz .LBB297_2590
.LBB297_1201:
	s_or_b64 exec, exec, s[48:49]
	v_mov_b32_e32 v12, 0
	s_and_saveexec_b64 s[4:5], s[46:47]
.LBB297_1202:
	v_mov_b32_e32 v12, v10
.LBB297_1203:
	s_or_b64 exec, exec, s[4:5]
.LBB297_1204:
	s_or_b64 exec, exec, s[42:43]
	s_or_b64 s[40:41], s[40:41], exec
.LBB297_1205:
	s_or_b64 exec, exec, s[36:37]
	s_andn2_b64 s[4:5], s[28:29], exec
	s_and_b64 s[36:37], s[44:45], exec
	s_or_b64 s[36:37], s[4:5], s[36:37]
	s_and_b64 s[40:41], s[40:41], exec
                                        ; implicit-def: $vgpr10_vgpr11
.LBB297_1206:
	s_andn2_saveexec_b64 s[38:39], s[38:39]
	s_cbranch_execz .LBB297_1314
; %bb.1207:
	v_cmp_lt_i16_e64 s[4:5], 4, v1
                                        ; implicit-def: $vgpr12
	s_and_saveexec_b64 s[42:43], s[4:5]
	s_xor_b64 s[42:43], exec, s[42:43]
	s_cbranch_execz .LBB297_1265
; %bb.1208:
	v_cmp_lt_i16_e64 s[4:5], 7, v1
                                        ; implicit-def: $vgpr12
	s_and_saveexec_b64 s[44:45], s[4:5]
	s_xor_b64 s[44:45], exec, s[44:45]
	;; [unrolled: 6-line block ×4, first 2 shown]
	s_cbranch_execz .LBB297_1218
; %bb.1211:
	flat_load_dwordx2 v[10:11], v[10:11]
	s_mov_b32 s4, 0x43800000
	s_waitcnt vmcnt(0) lgkmcnt(0)
	v_mov_b32_e32 v12, 0x80
	v_cvt_f32_f64_e32 v10, v[10:11]
	v_and_b32_e32 v11, 0x7fffffff, v10
	v_cmp_gt_u32_e64 s[4:5], s4, v11
	s_and_saveexec_b64 s[50:51], s[4:5]
	s_cbranch_execz .LBB297_1217
; %bb.1212:
	s_mov_b32 s4, 0x3bffffff
	v_cmp_lt_u32_e64 s[4:5], s4, v11
	s_mov_b64 s[52:53], 0
                                        ; implicit-def: $vgpr11
	s_and_saveexec_b64 s[54:55], s[4:5]
	s_xor_b64 s[4:5], exec, s[54:55]
	s_cbranch_execz .LBB297_2844
; %bb.1213:
	v_bfe_u32 v11, v10, 20, 1
	s_mov_b32 s33, 0x487ffff
	v_add3_u32 v11, v10, v11, s33
	s_mov_b64 s[52:53], exec
	v_lshrrev_b32_e32 v11, 20, v11
	s_andn2_saveexec_b64 s[54:55], s[4:5]
	s_cbranch_execnz .LBB297_2845
.LBB297_1214:
	s_or_b64 exec, exec, s[54:55]
	v_mov_b32_e32 v12, 0
	s_and_saveexec_b64 s[4:5], s[52:53]
.LBB297_1215:
	v_lshrrev_b32_e32 v10, 24, v10
	s_movk_i32 s33, 0x80
	v_and_or_b32 v12, v10, s33, v11
.LBB297_1216:
	s_or_b64 exec, exec, s[4:5]
.LBB297_1217:
	s_or_b64 exec, exec, s[50:51]
                                        ; implicit-def: $vgpr10_vgpr11
.LBB297_1218:
	s_andn2_saveexec_b64 s[48:49], s[48:49]
	s_cbranch_execz .LBB297_1226
; %bb.1219:
	flat_load_dword v10, v[10:11]
	s_mov_b32 s4, 0x43800000
	s_waitcnt vmcnt(0) lgkmcnt(0)
	v_mov_b32_e32 v12, 0x80
	v_and_b32_e32 v11, 0x7fffffff, v10
	v_cmp_gt_u32_e64 s[4:5], s4, v11
	s_and_saveexec_b64 s[50:51], s[4:5]
	s_cbranch_execz .LBB297_1225
; %bb.1220:
	s_mov_b32 s4, 0x3bffffff
	v_cmp_lt_u32_e64 s[4:5], s4, v11
	s_mov_b64 s[52:53], 0
                                        ; implicit-def: $vgpr11
	s_and_saveexec_b64 s[54:55], s[4:5]
	s_xor_b64 s[4:5], exec, s[54:55]
	s_cbranch_execz .LBB297_2846
; %bb.1221:
	v_bfe_u32 v11, v10, 20, 1
	s_mov_b32 s33, 0x487ffff
	v_add3_u32 v11, v10, v11, s33
	s_mov_b64 s[52:53], exec
	v_lshrrev_b32_e32 v11, 20, v11
	s_andn2_saveexec_b64 s[54:55], s[4:5]
	s_cbranch_execnz .LBB297_2847
.LBB297_1222:
	s_or_b64 exec, exec, s[54:55]
	v_mov_b32_e32 v12, 0
	s_and_saveexec_b64 s[4:5], s[52:53]
.LBB297_1223:
	v_lshrrev_b32_e32 v10, 24, v10
	s_movk_i32 s33, 0x80
	v_and_or_b32 v12, v10, s33, v11
.LBB297_1224:
	s_or_b64 exec, exec, s[4:5]
.LBB297_1225:
	s_or_b64 exec, exec, s[50:51]
.LBB297_1226:
	s_or_b64 exec, exec, s[48:49]
                                        ; implicit-def: $vgpr10_vgpr11
.LBB297_1227:
	s_andn2_saveexec_b64 s[46:47], s[46:47]
	s_cbranch_execz .LBB297_1235
; %bb.1228:
	flat_load_dword v10, v[10:11]
	s_mov_b32 s4, 0x43800000
	s_waitcnt vmcnt(0) lgkmcnt(0)
	v_mov_b32_e32 v12, 0x80
	v_cvt_f32_f16_e32 v10, v10
	v_and_b32_e32 v11, 0x7fffffff, v10
	v_cmp_gt_u32_e64 s[4:5], s4, v11
	s_and_saveexec_b64 s[48:49], s[4:5]
	s_cbranch_execz .LBB297_1234
; %bb.1229:
	s_mov_b32 s4, 0x3bffffff
	v_cmp_lt_u32_e64 s[4:5], s4, v11
	s_mov_b64 s[50:51], 0
                                        ; implicit-def: $vgpr11
	s_and_saveexec_b64 s[52:53], s[4:5]
	s_xor_b64 s[4:5], exec, s[52:53]
	s_cbranch_execz .LBB297_2769
; %bb.1230:
	v_bfe_u32 v11, v10, 20, 1
	s_mov_b32 s33, 0x487ffff
	v_add3_u32 v11, v10, v11, s33
	s_mov_b64 s[50:51], exec
	v_lshrrev_b32_e32 v11, 20, v11
	s_andn2_saveexec_b64 s[52:53], s[4:5]
	s_cbranch_execnz .LBB297_2770
.LBB297_1231:
	s_or_b64 exec, exec, s[52:53]
	v_mov_b32_e32 v12, 0
	s_and_saveexec_b64 s[4:5], s[50:51]
.LBB297_1232:
	v_lshrrev_b32_e32 v10, 24, v10
	s_movk_i32 s33, 0x80
	v_and_or_b32 v12, v10, s33, v11
.LBB297_1233:
	s_or_b64 exec, exec, s[4:5]
.LBB297_1234:
	s_or_b64 exec, exec, s[48:49]
.LBB297_1235:
	s_or_b64 exec, exec, s[46:47]
                                        ; implicit-def: $vgpr10_vgpr11
.LBB297_1236:
	s_andn2_saveexec_b64 s[44:45], s[44:45]
	s_cbranch_execz .LBB297_1264
; %bb.1237:
	v_cmp_lt_i16_e64 s[4:5], 5, v1
                                        ; implicit-def: $vgpr12
	s_and_saveexec_b64 s[46:47], s[4:5]
	s_xor_b64 s[46:47], exec, s[46:47]
	s_cbranch_execz .LBB297_1255
; %bb.1238:
	v_cmp_lt_i16_e64 s[4:5], 6, v1
                                        ; implicit-def: $vgpr12
	s_and_saveexec_b64 s[48:49], s[4:5]
	s_xor_b64 s[48:49], exec, s[48:49]
	s_cbranch_execz .LBB297_1246
; %bb.1239:
	flat_load_dwordx2 v[10:11], v[10:11]
	s_mov_b32 s4, 0x43800000
	s_waitcnt vmcnt(0) lgkmcnt(0)
	v_mov_b32_e32 v12, 0x80
	v_cvt_f32_f64_e32 v10, v[10:11]
	v_and_b32_e32 v11, 0x7fffffff, v10
	v_cmp_gt_u32_e64 s[4:5], s4, v11
	s_and_saveexec_b64 s[50:51], s[4:5]
	s_cbranch_execz .LBB297_1245
; %bb.1240:
	s_mov_b32 s4, 0x3bffffff
	v_cmp_lt_u32_e64 s[4:5], s4, v11
	s_mov_b64 s[52:53], 0
                                        ; implicit-def: $vgpr11
	s_and_saveexec_b64 s[54:55], s[4:5]
	s_xor_b64 s[4:5], exec, s[54:55]
	s_cbranch_execz .LBB297_2848
; %bb.1241:
	v_bfe_u32 v11, v10, 20, 1
	s_mov_b32 s33, 0x487ffff
	v_add3_u32 v11, v10, v11, s33
	s_mov_b64 s[52:53], exec
	v_lshrrev_b32_e32 v11, 20, v11
	s_andn2_saveexec_b64 s[54:55], s[4:5]
	s_cbranch_execnz .LBB297_2849
.LBB297_1242:
	s_or_b64 exec, exec, s[54:55]
	v_mov_b32_e32 v12, 0
	s_and_saveexec_b64 s[4:5], s[52:53]
.LBB297_1243:
	v_lshrrev_b32_e32 v10, 24, v10
	s_movk_i32 s33, 0x80
	v_and_or_b32 v12, v10, s33, v11
.LBB297_1244:
	s_or_b64 exec, exec, s[4:5]
.LBB297_1245:
	s_or_b64 exec, exec, s[50:51]
                                        ; implicit-def: $vgpr10_vgpr11
.LBB297_1246:
	s_andn2_saveexec_b64 s[48:49], s[48:49]
	s_cbranch_execz .LBB297_1254
; %bb.1247:
	flat_load_dword v10, v[10:11]
	s_mov_b32 s4, 0x43800000
	s_waitcnt vmcnt(0) lgkmcnt(0)
	v_mov_b32_e32 v12, 0x80
	v_and_b32_e32 v11, 0x7fffffff, v10
	v_cmp_gt_u32_e64 s[4:5], s4, v11
	s_and_saveexec_b64 s[50:51], s[4:5]
	s_cbranch_execz .LBB297_1253
; %bb.1248:
	s_mov_b32 s4, 0x3bffffff
	v_cmp_lt_u32_e64 s[4:5], s4, v11
	s_mov_b64 s[52:53], 0
                                        ; implicit-def: $vgpr11
	s_and_saveexec_b64 s[54:55], s[4:5]
	s_xor_b64 s[4:5], exec, s[54:55]
	s_cbranch_execz .LBB297_2850
; %bb.1249:
	v_bfe_u32 v11, v10, 20, 1
	s_mov_b32 s33, 0x487ffff
	v_add3_u32 v11, v10, v11, s33
	s_mov_b64 s[52:53], exec
	v_lshrrev_b32_e32 v11, 20, v11
	s_andn2_saveexec_b64 s[54:55], s[4:5]
	s_cbranch_execnz .LBB297_2851
.LBB297_1250:
	s_or_b64 exec, exec, s[54:55]
	v_mov_b32_e32 v12, 0
	s_and_saveexec_b64 s[4:5], s[52:53]
.LBB297_1251:
	v_lshrrev_b32_e32 v10, 24, v10
	s_movk_i32 s33, 0x80
	v_and_or_b32 v12, v10, s33, v11
.LBB297_1252:
	s_or_b64 exec, exec, s[4:5]
.LBB297_1253:
	s_or_b64 exec, exec, s[50:51]
.LBB297_1254:
	s_or_b64 exec, exec, s[48:49]
                                        ; implicit-def: $vgpr10_vgpr11
.LBB297_1255:
	s_andn2_saveexec_b64 s[46:47], s[46:47]
	s_cbranch_execz .LBB297_1263
; %bb.1256:
	flat_load_ushort v10, v[10:11]
	s_mov_b32 s4, 0x43800000
	s_waitcnt vmcnt(0) lgkmcnt(0)
	v_mov_b32_e32 v12, 0x80
	v_cvt_f32_f16_e32 v10, v10
	v_and_b32_e32 v11, 0x7fffffff, v10
	v_cmp_gt_u32_e64 s[4:5], s4, v11
	s_and_saveexec_b64 s[48:49], s[4:5]
	s_cbranch_execz .LBB297_1262
; %bb.1257:
	s_mov_b32 s4, 0x3bffffff
	v_cmp_lt_u32_e64 s[4:5], s4, v11
	s_mov_b64 s[50:51], 0
                                        ; implicit-def: $vgpr11
	s_and_saveexec_b64 s[52:53], s[4:5]
	s_xor_b64 s[4:5], exec, s[52:53]
	s_cbranch_execz .LBB297_2771
; %bb.1258:
	v_bfe_u32 v11, v10, 20, 1
	s_mov_b32 s33, 0x487ffff
	v_add3_u32 v11, v10, v11, s33
	s_mov_b64 s[50:51], exec
	v_lshrrev_b32_e32 v11, 20, v11
	s_andn2_saveexec_b64 s[52:53], s[4:5]
	s_cbranch_execnz .LBB297_2772
.LBB297_1259:
	s_or_b64 exec, exec, s[52:53]
	v_mov_b32_e32 v12, 0
	s_and_saveexec_b64 s[4:5], s[50:51]
.LBB297_1260:
	v_lshrrev_b32_e32 v10, 24, v10
	s_movk_i32 s33, 0x80
	v_and_or_b32 v12, v10, s33, v11
.LBB297_1261:
	s_or_b64 exec, exec, s[4:5]
.LBB297_1262:
	s_or_b64 exec, exec, s[48:49]
.LBB297_1263:
	s_or_b64 exec, exec, s[46:47]
.LBB297_1264:
	s_or_b64 exec, exec, s[44:45]
                                        ; implicit-def: $vgpr10_vgpr11
.LBB297_1265:
	s_andn2_saveexec_b64 s[42:43], s[42:43]
	s_cbranch_execz .LBB297_1313
; %bb.1266:
	v_cmp_lt_i16_e64 s[4:5], 1, v1
                                        ; implicit-def: $vgpr12
	s_and_saveexec_b64 s[44:45], s[4:5]
	s_xor_b64 s[44:45], exec, s[44:45]
	s_cbranch_execz .LBB297_1294
; %bb.1267:
	v_cmp_lt_i16_e64 s[4:5], 2, v1
                                        ; implicit-def: $vgpr12
	s_and_saveexec_b64 s[46:47], s[4:5]
	s_xor_b64 s[46:47], exec, s[46:47]
	;; [unrolled: 6-line block ×3, first 2 shown]
	s_cbranch_execz .LBB297_1276
; %bb.1269:
	flat_load_dwordx2 v[10:11], v[10:11]
	s_mov_b32 s4, 0x43800000
	s_waitcnt vmcnt(0) lgkmcnt(0)
	v_xor_b32_e32 v13, v10, v11
	v_ffbh_i32_e32 v12, v11
	v_ashrrev_i32_e32 v13, 31, v13
	v_add_u32_e32 v12, -1, v12
	v_add_u32_e32 v13, 32, v13
	v_min_u32_e32 v12, v12, v13
	v_lshlrev_b64 v[10:11], v12, v[10:11]
	v_min_u32_e32 v10, 1, v10
	v_or_b32_e32 v10, v11, v10
	v_cvt_f32_i32_e32 v10, v10
	v_sub_u32_e32 v11, 32, v12
	v_mov_b32_e32 v12, 0x80
	v_ldexp_f32 v10, v10, v11
	v_and_b32_e32 v11, 0x7fffffff, v10
	v_cmp_gt_u32_e64 s[4:5], s4, v11
	s_and_saveexec_b64 s[50:51], s[4:5]
	s_cbranch_execz .LBB297_1275
; %bb.1270:
	s_mov_b32 s4, 0x3bffffff
	v_cmp_lt_u32_e64 s[4:5], s4, v11
	s_mov_b64 s[52:53], 0
                                        ; implicit-def: $vgpr11
	s_and_saveexec_b64 s[54:55], s[4:5]
	s_xor_b64 s[4:5], exec, s[54:55]
	s_cbranch_execz .LBB297_2852
; %bb.1271:
	v_bfe_u32 v11, v10, 20, 1
	s_mov_b32 s33, 0x487ffff
	v_add3_u32 v11, v10, v11, s33
	s_mov_b64 s[52:53], exec
	v_lshrrev_b32_e32 v11, 20, v11
	s_andn2_saveexec_b64 s[54:55], s[4:5]
	s_cbranch_execnz .LBB297_2853
.LBB297_1272:
	s_or_b64 exec, exec, s[54:55]
	v_mov_b32_e32 v12, 0
	s_and_saveexec_b64 s[4:5], s[52:53]
.LBB297_1273:
	v_lshrrev_b32_e32 v10, 24, v10
	s_movk_i32 s33, 0x80
	v_and_or_b32 v12, v10, s33, v11
.LBB297_1274:
	s_or_b64 exec, exec, s[4:5]
.LBB297_1275:
	s_or_b64 exec, exec, s[50:51]
                                        ; implicit-def: $vgpr10_vgpr11
.LBB297_1276:
	s_andn2_saveexec_b64 s[48:49], s[48:49]
	s_cbranch_execz .LBB297_1284
; %bb.1277:
	flat_load_dword v10, v[10:11]
	s_mov_b32 s4, 0x43800000
	s_waitcnt vmcnt(0) lgkmcnt(0)
	v_mov_b32_e32 v12, 0x80
	v_cvt_f32_i32_e32 v10, v10
	v_and_b32_e32 v11, 0x7fffffff, v10
	v_cmp_gt_u32_e64 s[4:5], s4, v11
	s_and_saveexec_b64 s[50:51], s[4:5]
	s_cbranch_execz .LBB297_1283
; %bb.1278:
	s_mov_b32 s4, 0x3bffffff
	v_cmp_lt_u32_e64 s[4:5], s4, v11
	s_mov_b64 s[52:53], 0
                                        ; implicit-def: $vgpr11
	s_and_saveexec_b64 s[54:55], s[4:5]
	s_xor_b64 s[4:5], exec, s[54:55]
	s_cbranch_execz .LBB297_2854
; %bb.1279:
	v_bfe_u32 v11, v10, 20, 1
	s_mov_b32 s33, 0x487ffff
	v_add3_u32 v11, v10, v11, s33
	s_mov_b64 s[52:53], exec
	v_lshrrev_b32_e32 v11, 20, v11
	s_andn2_saveexec_b64 s[54:55], s[4:5]
	s_cbranch_execnz .LBB297_2855
.LBB297_1280:
	s_or_b64 exec, exec, s[54:55]
	v_mov_b32_e32 v12, 0
	s_and_saveexec_b64 s[4:5], s[52:53]
.LBB297_1281:
	v_lshrrev_b32_e32 v10, 24, v10
	s_movk_i32 s33, 0x80
	v_and_or_b32 v12, v10, s33, v11
.LBB297_1282:
	s_or_b64 exec, exec, s[4:5]
.LBB297_1283:
	s_or_b64 exec, exec, s[50:51]
.LBB297_1284:
	s_or_b64 exec, exec, s[48:49]
                                        ; implicit-def: $vgpr10_vgpr11
.LBB297_1285:
	s_andn2_saveexec_b64 s[46:47], s[46:47]
	s_cbranch_execz .LBB297_1293
; %bb.1286:
	flat_load_sshort v10, v[10:11]
	s_mov_b32 s4, 0x43800000
	s_waitcnt vmcnt(0) lgkmcnt(0)
	v_mov_b32_e32 v12, 0x80
	v_cvt_f32_i32_e32 v10, v10
	v_and_b32_e32 v11, 0x7fffffff, v10
	v_cmp_gt_u32_e64 s[4:5], s4, v11
	s_and_saveexec_b64 s[48:49], s[4:5]
	s_cbranch_execz .LBB297_1292
; %bb.1287:
	s_mov_b32 s4, 0x3bffffff
	v_cmp_lt_u32_e64 s[4:5], s4, v11
	s_mov_b64 s[50:51], 0
                                        ; implicit-def: $vgpr11
	s_and_saveexec_b64 s[52:53], s[4:5]
	s_xor_b64 s[4:5], exec, s[52:53]
	s_cbranch_execz .LBB297_2773
; %bb.1288:
	v_bfe_u32 v11, v10, 20, 1
	s_mov_b32 s33, 0x487ffff
	v_add3_u32 v11, v10, v11, s33
	s_mov_b64 s[50:51], exec
	v_lshrrev_b32_e32 v11, 20, v11
	s_andn2_saveexec_b64 s[52:53], s[4:5]
	s_cbranch_execnz .LBB297_2774
.LBB297_1289:
	s_or_b64 exec, exec, s[52:53]
	v_mov_b32_e32 v12, 0
	s_and_saveexec_b64 s[4:5], s[50:51]
.LBB297_1290:
	v_lshrrev_b32_e32 v10, 24, v10
	s_movk_i32 s33, 0x80
	v_and_or_b32 v12, v10, s33, v11
.LBB297_1291:
	s_or_b64 exec, exec, s[4:5]
.LBB297_1292:
	s_or_b64 exec, exec, s[48:49]
.LBB297_1293:
	s_or_b64 exec, exec, s[46:47]
                                        ; implicit-def: $vgpr10_vgpr11
.LBB297_1294:
	s_andn2_saveexec_b64 s[44:45], s[44:45]
	s_cbranch_execz .LBB297_1312
; %bb.1295:
	v_cmp_lt_i16_e64 s[4:5], 0, v1
                                        ; implicit-def: $vgpr12
	s_and_saveexec_b64 s[46:47], s[4:5]
	s_xor_b64 s[46:47], exec, s[46:47]
	s_cbranch_execz .LBB297_1303
; %bb.1296:
	flat_load_sbyte v10, v[10:11]
	s_mov_b32 s4, 0x43800000
	s_waitcnt vmcnt(0) lgkmcnt(0)
	v_mov_b32_e32 v12, 0x80
	v_cvt_f32_i32_e32 v10, v10
	v_and_b32_e32 v11, 0x7fffffff, v10
	v_cmp_gt_u32_e64 s[4:5], s4, v11
	s_and_saveexec_b64 s[48:49], s[4:5]
	s_cbranch_execz .LBB297_1302
; %bb.1297:
	s_mov_b32 s4, 0x3bffffff
	v_cmp_lt_u32_e64 s[4:5], s4, v11
	s_mov_b64 s[50:51], 0
                                        ; implicit-def: $vgpr11
	s_and_saveexec_b64 s[52:53], s[4:5]
	s_xor_b64 s[4:5], exec, s[52:53]
	s_cbranch_execz .LBB297_2775
; %bb.1298:
	v_bfe_u32 v11, v10, 20, 1
	s_mov_b32 s33, 0x487ffff
	v_add3_u32 v11, v10, v11, s33
	s_mov_b64 s[50:51], exec
	v_lshrrev_b32_e32 v11, 20, v11
	s_andn2_saveexec_b64 s[52:53], s[4:5]
	s_cbranch_execnz .LBB297_2776
.LBB297_1299:
	s_or_b64 exec, exec, s[52:53]
	v_mov_b32_e32 v12, 0
	s_and_saveexec_b64 s[4:5], s[50:51]
.LBB297_1300:
	v_lshrrev_b32_e32 v10, 24, v10
	s_movk_i32 s33, 0x80
	v_and_or_b32 v12, v10, s33, v11
.LBB297_1301:
	s_or_b64 exec, exec, s[4:5]
.LBB297_1302:
	s_or_b64 exec, exec, s[48:49]
                                        ; implicit-def: $vgpr10_vgpr11
.LBB297_1303:
	s_andn2_saveexec_b64 s[46:47], s[46:47]
	s_cbranch_execz .LBB297_1311
; %bb.1304:
	flat_load_ubyte v10, v[10:11]
	s_mov_b32 s4, 0x43800000
	s_waitcnt vmcnt(0) lgkmcnt(0)
	v_mov_b32_e32 v12, 0x80
	v_cvt_f32_ubyte0_e32 v11, v10
	v_cmp_gt_u32_e64 s[4:5], s4, v11
	s_and_saveexec_b64 s[48:49], s[4:5]
	s_cbranch_execz .LBB297_1310
; %bb.1305:
	s_mov_b32 s4, 0x3bffffff
	v_cmp_lt_u32_e64 s[4:5], s4, v11
	s_mov_b64 s[50:51], 0
                                        ; implicit-def: $vgpr10
	s_and_saveexec_b64 s[52:53], s[4:5]
	s_xor_b64 s[4:5], exec, s[52:53]
	s_cbranch_execz .LBB297_2777
; %bb.1306:
	v_bfe_u32 v10, v11, 20, 1
	s_mov_b32 s33, 0x487ffff
	v_add3_u32 v10, v11, v10, s33
	s_mov_b64 s[50:51], exec
	v_lshrrev_b32_e32 v10, 20, v10
                                        ; implicit-def: $vgpr11
	s_andn2_saveexec_b64 s[52:53], s[4:5]
	s_cbranch_execnz .LBB297_2778
.LBB297_1307:
	s_or_b64 exec, exec, s[52:53]
	v_mov_b32_e32 v12, 0
	s_and_saveexec_b64 s[4:5], s[50:51]
.LBB297_1308:
	v_mov_b32_e32 v12, v10
.LBB297_1309:
	s_or_b64 exec, exec, s[4:5]
.LBB297_1310:
	s_or_b64 exec, exec, s[48:49]
.LBB297_1311:
	s_or_b64 exec, exec, s[46:47]
.LBB297_1312:
	s_or_b64 exec, exec, s[44:45]
.LBB297_1313:
	s_or_b64 exec, exec, s[42:43]
	s_or_b64 s[40:41], s[40:41], exec
.LBB297_1314:
	s_or_b64 exec, exec, s[38:39]
	s_mov_b64 s[4:5], 0
	s_mov_b64 s[44:45], 0
                                        ; implicit-def: $sgpr48_sgpr49
                                        ; implicit-def: $vgpr21_vgpr22
                                        ; implicit-def: $vgpr16
	s_and_saveexec_b64 s[38:39], s[40:41]
	s_cbranch_execz .LBB297_2024
; %bb.1315:
                                        ; implicit-def: $sgpr40_sgpr41
	s_and_saveexec_b64 s[4:5], vcc
	s_xor_b64 s[42:43], exec, s[4:5]
	s_cbranch_execz .LBB297_1329
; %bb.1316:
	s_movk_i32 s4, 0x7f
	s_waitcnt vmcnt(0) lgkmcnt(0)
	v_cmp_gt_i16_sdwa s[40:41], v14, s4 src0_sel:BYTE_0 src1_sel:DWORD
	s_mov_b64 s[4:5], 0
	s_and_saveexec_b64 s[44:45], s[40:41]
	s_xor_b64 s[40:41], exec, s[44:45]
	s_cbranch_execz .LBB297_2488
; %bb.1317:
	s_movk_i32 s4, 0x80
	v_cmp_eq_u16_sdwa s[46:47], v14, s4 src0_sel:BYTE_0 src1_sel:DWORD
	s_mov_b64 s[4:5], -1
	s_and_saveexec_b64 s[44:45], s[46:47]
; %bb.1318:
	s_xor_b64 s[4:5], exec, -1
; %bb.1319:
	s_or_b64 exec, exec, s[44:45]
	s_and_b64 s[4:5], s[4:5], exec
	s_or_saveexec_b64 s[40:41], s[40:41]
	v_mov_b32_e32 v10, 0x7f800001
	s_xor_b64 exec, exec, s[40:41]
	s_cbranch_execnz .LBB297_2489
.LBB297_1320:
	s_or_b64 exec, exec, s[40:41]
	s_and_saveexec_b64 s[40:41], s[4:5]
	s_cbranch_execz .LBB297_1322
.LBB297_1321:
	v_and_b32_e32 v11, 7, v14
	v_ffbh_u32_e32 v13, v11
	v_min_u32_e32 v13, 32, v13
	v_lshrrev_b16_e32 v10, 3, v14
	v_subrev_u32_e32 v15, 28, v13
	v_and_b32_e32 v10, 15, v10
	v_lshlrev_b32_e32 v15, v15, v14
	v_sub_u32_e32 v13, 29, v13
	v_and_b32_e32 v15, 7, v15
	v_cmp_eq_u32_e64 s[4:5], 0, v10
	v_cndmask_b32_e64 v10, v10, v13, s[4:5]
	v_cndmask_b32_e64 v11, v11, v15, s[4:5]
	v_lshlrev_b32_e32 v13, 24, v14
	v_mov_b32_e32 v14, 0x3b800000
	v_lshlrev_b32_e32 v11, 20, v11
	v_and_b32_e32 v13, 0x80000000, v13
	v_lshl_add_u32 v10, v10, 23, v14
	v_or3_b32 v10, v13, v10, v11
.LBB297_1322:
	s_or_b64 exec, exec, s[40:41]
	s_movk_i32 s4, 0x7f
	v_cmp_gt_i16_sdwa s[40:41], v12, s4 src0_sel:BYTE_0 src1_sel:DWORD
	s_mov_b64 s[4:5], 0
	s_and_saveexec_b64 s[44:45], s[40:41]
	s_xor_b64 s[40:41], exec, s[44:45]
	s_cbranch_execz .LBB297_2490
; %bb.1323:
	s_movk_i32 s4, 0x80
	v_cmp_eq_u16_sdwa s[46:47], v12, s4 src0_sel:BYTE_0 src1_sel:DWORD
	s_mov_b64 s[4:5], -1
	s_and_saveexec_b64 s[44:45], s[46:47]
; %bb.1324:
	s_xor_b64 s[4:5], exec, -1
; %bb.1325:
	s_or_b64 exec, exec, s[44:45]
	s_and_b64 s[4:5], s[4:5], exec
	s_or_saveexec_b64 s[40:41], s[40:41]
	v_mov_b32_e32 v11, 0x7f800001
	s_xor_b64 exec, exec, s[40:41]
	s_cbranch_execnz .LBB297_2491
.LBB297_1326:
	s_or_b64 exec, exec, s[40:41]
	s_and_saveexec_b64 s[40:41], s[4:5]
	s_cbranch_execz .LBB297_1328
.LBB297_1327:
	v_and_b32_e32 v13, 7, v12
	v_ffbh_u32_e32 v14, v13
	v_min_u32_e32 v14, 32, v14
	v_lshrrev_b16_e32 v11, 3, v12
	v_subrev_u32_e32 v15, 28, v14
	v_and_b32_e32 v11, 15, v11
	v_lshlrev_b32_e32 v15, v15, v12
	v_sub_u32_e32 v14, 29, v14
	v_and_b32_e32 v15, 7, v15
	v_cmp_eq_u32_e64 s[4:5], 0, v11
	v_cndmask_b32_e64 v11, v11, v14, s[4:5]
	v_cndmask_b32_e64 v13, v13, v15, s[4:5]
	v_lshlrev_b32_e32 v12, 24, v12
	v_mov_b32_e32 v14, 0x3b800000
	v_lshlrev_b32_e32 v13, 20, v13
	v_and_b32_e32 v12, 0x80000000, v12
	v_lshl_add_u32 v11, v11, 23, v14
	v_or3_b32 v11, v12, v11, v13
.LBB297_1328:
	s_or_b64 exec, exec, s[40:41]
	v_cmp_neq_f32_e64 s[40:41], v10, v11
                                        ; implicit-def: $vgpr12
                                        ; implicit-def: $vgpr14
.LBB297_1329:
	s_andn2_saveexec_b64 s[42:43], s[42:43]
	s_cbranch_execz .LBB297_1343
; %bb.1330:
	s_movk_i32 s4, 0x7f
	s_waitcnt vmcnt(0) lgkmcnt(0)
	v_cmp_gt_i16_sdwa s[44:45], v14, s4 src0_sel:BYTE_0 src1_sel:DWORD
	s_mov_b64 s[4:5], 0
	s_and_saveexec_b64 s[46:47], s[44:45]
	s_xor_b64 s[44:45], exec, s[46:47]
	s_cbranch_execz .LBB297_2492
; %bb.1331:
	s_movk_i32 s4, 0x80
	v_cmp_eq_u16_sdwa s[48:49], v14, s4 src0_sel:BYTE_0 src1_sel:DWORD
	s_mov_b64 s[4:5], -1
	s_and_saveexec_b64 s[46:47], s[48:49]
; %bb.1332:
	s_xor_b64 s[4:5], exec, -1
; %bb.1333:
	s_or_b64 exec, exec, s[46:47]
	s_and_b64 s[4:5], s[4:5], exec
	s_or_saveexec_b64 s[44:45], s[44:45]
	v_mov_b32_e32 v10, 0x7f800001
	s_xor_b64 exec, exec, s[44:45]
	s_cbranch_execnz .LBB297_2493
.LBB297_1334:
	s_or_b64 exec, exec, s[44:45]
	s_and_saveexec_b64 s[44:45], s[4:5]
	s_cbranch_execz .LBB297_1336
.LBB297_1335:
	v_and_b32_e32 v11, 7, v14
	v_ffbh_u32_e32 v13, v11
	v_min_u32_e32 v13, 32, v13
	v_lshrrev_b16_e32 v10, 3, v14
	v_subrev_u32_e32 v15, 28, v13
	v_and_b32_e32 v10, 15, v10
	v_lshlrev_b32_e32 v15, v15, v14
	v_sub_u32_e32 v13, 29, v13
	v_and_b32_e32 v15, 7, v15
	v_cmp_eq_u32_e64 s[4:5], 0, v10
	v_cndmask_b32_e64 v10, v10, v13, s[4:5]
	v_cndmask_b32_e64 v11, v11, v15, s[4:5]
	v_lshlrev_b32_e32 v13, 24, v14
	v_mov_b32_e32 v14, 0x3b800000
	v_lshlrev_b32_e32 v11, 20, v11
	v_and_b32_e32 v13, 0x80000000, v13
	v_lshl_add_u32 v10, v10, 23, v14
	v_or3_b32 v10, v13, v10, v11
.LBB297_1336:
	s_or_b64 exec, exec, s[44:45]
	s_movk_i32 s4, 0x7f
	v_cmp_gt_i16_sdwa s[44:45], v12, s4 src0_sel:BYTE_0 src1_sel:DWORD
	s_mov_b64 s[4:5], 0
	s_and_saveexec_b64 s[46:47], s[44:45]
	s_xor_b64 s[44:45], exec, s[46:47]
	s_cbranch_execz .LBB297_2494
; %bb.1337:
	s_movk_i32 s4, 0x80
	v_cmp_eq_u16_sdwa s[48:49], v12, s4 src0_sel:BYTE_0 src1_sel:DWORD
	s_mov_b64 s[4:5], -1
	s_and_saveexec_b64 s[46:47], s[48:49]
; %bb.1338:
	s_xor_b64 s[4:5], exec, -1
; %bb.1339:
	s_or_b64 exec, exec, s[46:47]
	s_and_b64 s[4:5], s[4:5], exec
	s_or_saveexec_b64 s[44:45], s[44:45]
	v_mov_b32_e32 v11, 0x7f800001
	s_xor_b64 exec, exec, s[44:45]
	s_cbranch_execnz .LBB297_2495
.LBB297_1340:
	s_or_b64 exec, exec, s[44:45]
	s_and_saveexec_b64 s[44:45], s[4:5]
	s_cbranch_execz .LBB297_1342
.LBB297_1341:
	v_and_b32_e32 v13, 7, v12
	v_ffbh_u32_e32 v14, v13
	v_min_u32_e32 v14, 32, v14
	v_lshrrev_b16_e32 v11, 3, v12
	v_subrev_u32_e32 v15, 28, v14
	v_and_b32_e32 v11, 15, v11
	v_lshlrev_b32_e32 v15, v15, v12
	v_sub_u32_e32 v14, 29, v14
	v_and_b32_e32 v15, 7, v15
	v_cmp_eq_u32_e64 s[4:5], 0, v11
	v_cndmask_b32_e64 v11, v11, v14, s[4:5]
	v_cndmask_b32_e64 v13, v13, v15, s[4:5]
	v_lshlrev_b32_e32 v12, 24, v12
	v_mov_b32_e32 v14, 0x3b800000
	v_lshlrev_b32_e32 v13, 20, v13
	v_and_b32_e32 v12, 0x80000000, v12
	v_lshl_add_u32 v11, v11, 23, v14
	v_or3_b32 v11, v12, v11, v13
.LBB297_1342:
	s_or_b64 exec, exec, s[44:45]
	v_cmp_eq_f32_e64 s[4:5], v10, v11
	s_andn2_b64 s[40:41], s[40:41], exec
	s_and_b64 s[4:5], s[4:5], exec
	s_or_b64 s[40:41], s[40:41], s[4:5]
.LBB297_1343:
	s_or_b64 exec, exec, s[42:43]
	v_add_co_u32_e64 v8, s[4:5], v8, v9
	v_addc_co_u32_e64 v9, s[4:5], 0, v25, s[4:5]
	v_cmp_lt_i16_e64 s[4:5], 10, v3
	s_mov_b64 s[46:47], 0
	s_mov_b64 s[42:43], s[36:37]
                                        ; implicit-def: $vgpr10
	s_and_saveexec_b64 s[44:45], s[4:5]
	s_xor_b64 s[44:45], exec, s[44:45]
	s_cbranch_execz .LBB297_1412
; %bb.1344:
	v_cmp_lt_i16_e64 s[4:5], 25, v3
	s_mov_b64 s[42:43], 0
	s_mov_b64 s[48:49], 0
                                        ; implicit-def: $vgpr10
	s_and_saveexec_b64 s[50:51], s[4:5]
	s_xor_b64 s[50:51], exec, s[50:51]
	s_cbranch_execz .LBB297_2496
; %bb.1345:
	v_cmp_lt_i16_e64 s[4:5], 28, v3
	s_mov_b64 s[52:53], 0
                                        ; implicit-def: $vgpr10
	s_and_saveexec_b64 s[46:47], s[4:5]
	s_xor_b64 s[46:47], exec, s[46:47]
	s_cbranch_execz .LBB297_1379
; %bb.1346:
	v_cmp_lt_i16_e64 s[4:5], 43, v3
	s_mov_b64 s[54:55], 0
	s_mov_b64 s[56:57], 0
                                        ; implicit-def: $vgpr10
	s_and_saveexec_b64 s[48:49], s[4:5]
	s_xor_b64 s[48:49], exec, s[48:49]
	s_cbranch_execz .LBB297_1368
; %bb.1347:
	v_cmp_lt_i16_e64 s[4:5], 45, v3
                                        ; implicit-def: $vgpr10
	s_and_saveexec_b64 s[56:57], s[4:5]
	s_xor_b64 s[56:57], exec, s[56:57]
	s_cbranch_execz .LBB297_1357
; %bb.1348:
	v_cmp_eq_u16_e64 s[4:5], 46, v3
	s_mov_b64 s[58:59], -1
                                        ; implicit-def: $vgpr10
	s_and_saveexec_b64 s[52:53], s[4:5]
	s_cbranch_execz .LBB297_1356
; %bb.1349:
	flat_load_dword v3, v[8:9]
	s_mov_b32 s4, 0x43800000
	v_mov_b32_e32 v10, 0x80
	s_waitcnt vmcnt(0) lgkmcnt(0)
	v_lshlrev_b32_e32 v3, 16, v3
	v_and_b32_e32 v11, 0x7fffffff, v3
	v_cmp_gt_u32_e64 s[4:5], s4, v11
	s_and_saveexec_b64 s[54:55], s[4:5]
	s_cbranch_execz .LBB297_1355
; %bb.1350:
	s_mov_b32 s4, 0x3bffffff
	v_cmp_lt_u32_e64 s[4:5], s4, v11
	s_mov_b64 s[58:59], 0
                                        ; implicit-def: $vgpr11
	s_and_saveexec_b64 s[60:61], s[4:5]
	s_xor_b64 s[4:5], exec, s[60:61]
	s_cbranch_execz .LBB297_3004
; %bb.1351:
	v_bfe_u32 v10, v3, 20, 1
	s_mov_b32 s33, 0x487ffff
	v_add3_u32 v10, v3, v10, s33
	s_mov_b64 s[58:59], exec
	v_lshrrev_b32_e32 v11, 20, v10
	s_andn2_saveexec_b64 s[60:61], s[4:5]
	s_cbranch_execnz .LBB297_3005
.LBB297_1352:
	s_or_b64 exec, exec, s[60:61]
	v_mov_b32_e32 v10, 0
	s_and_saveexec_b64 s[4:5], s[58:59]
.LBB297_1353:
	v_lshrrev_b32_e32 v3, 24, v3
	s_movk_i32 s33, 0x80
	v_and_or_b32 v10, v3, s33, v11
.LBB297_1354:
	s_or_b64 exec, exec, s[4:5]
.LBB297_1355:
	s_or_b64 exec, exec, s[54:55]
	s_mov_b64 s[54:55], exec
	s_xor_b64 s[58:59], exec, -1
.LBB297_1356:
	s_or_b64 exec, exec, s[52:53]
	s_and_b64 s[54:55], s[54:55], exec
	s_and_b64 s[52:53], s[58:59], exec
                                        ; implicit-def: $vgpr3
.LBB297_1357:
	s_andn2_saveexec_b64 s[56:57], s[56:57]
	s_cbranch_execz .LBB297_1367
; %bb.1358:
	v_cmp_eq_u16_e64 s[4:5], 44, v3
	s_mov_b64 s[60:61], -1
	s_mov_b64 s[62:63], s[54:55]
                                        ; implicit-def: $vgpr10
	s_and_saveexec_b64 s[58:59], s[4:5]
	s_cbranch_execz .LBB297_1366
; %bb.1359:
	flat_load_ubyte v3, v[8:9]
	s_movk_i32 s4, 0xff
	v_mov_b32_e32 v10, 0x7f800001
	v_mov_b32_e32 v11, 0x400000
	s_mov_b32 s33, 0x43800000
	s_waitcnt vmcnt(0) lgkmcnt(0)
	v_lshlrev_b32_e32 v12, 23, v3
	v_cmp_ne_u32_e64 s[4:5], s4, v3
	v_cndmask_b32_e64 v10, v10, v12, s[4:5]
	v_cmp_ne_u32_e64 s[4:5], 0, v3
	v_cndmask_b32_e64 v11, v11, v10, s[4:5]
	v_cmp_gt_u32_e64 s[4:5], s33, v11
	v_mov_b32_e32 v10, 0x80
	s_and_saveexec_b64 s[60:61], s[4:5]
	s_cbranch_execz .LBB297_1365
; %bb.1360:
	s_mov_b32 s4, 0x3bffffff
	v_cmp_lt_u32_e64 s[4:5], s4, v11
	s_mov_b64 s[62:63], 0
                                        ; implicit-def: $vgpr3
	s_and_saveexec_b64 s[64:65], s[4:5]
	s_xor_b64 s[4:5], exec, s[64:65]
	s_cbranch_execz .LBB297_3006
; %bb.1361:
	v_bfe_u32 v3, v11, 20, 1
	s_mov_b32 s33, 0x487ffff
	v_add3_u32 v3, v11, v3, s33
	s_mov_b64 s[62:63], exec
	v_lshrrev_b32_e32 v3, 20, v3
                                        ; implicit-def: $vgpr11
	s_andn2_saveexec_b64 s[64:65], s[4:5]
	s_cbranch_execnz .LBB297_3007
.LBB297_1362:
	s_or_b64 exec, exec, s[64:65]
	v_mov_b32_e32 v10, 0
	s_and_saveexec_b64 s[4:5], s[62:63]
.LBB297_1363:
	v_mov_b32_e32 v10, v3
.LBB297_1364:
	s_or_b64 exec, exec, s[4:5]
.LBB297_1365:
	s_or_b64 exec, exec, s[60:61]
	s_or_b64 s[62:63], s[54:55], exec
	s_xor_b64 s[60:61], exec, -1
.LBB297_1366:
	s_or_b64 exec, exec, s[58:59]
	s_andn2_b64 s[4:5], s[54:55], exec
	s_and_b64 s[54:55], s[62:63], exec
	s_or_b64 s[54:55], s[4:5], s[54:55]
	s_andn2_b64 s[4:5], s[52:53], exec
	s_and_b64 s[52:53], s[60:61], exec
	s_or_b64 s[52:53], s[4:5], s[52:53]
.LBB297_1367:
	s_or_b64 exec, exec, s[56:57]
	s_and_b64 s[56:57], s[54:55], exec
	s_and_b64 s[54:55], s[52:53], exec
                                        ; implicit-def: $vgpr3
.LBB297_1368:
	s_andn2_saveexec_b64 s[48:49], s[48:49]
	s_cbranch_execz .LBB297_1378
; %bb.1369:
	v_cmp_eq_u16_e64 s[4:5], 29, v3
	s_mov_b64 s[58:59], -1
	s_mov_b64 s[60:61], s[56:57]
                                        ; implicit-def: $vgpr10
	s_and_saveexec_b64 s[52:53], s[4:5]
	s_cbranch_execz .LBB297_1377
; %bb.1370:
	flat_load_dwordx2 v[10:11], v[8:9]
	s_mov_b32 s4, 0x43800000
	s_waitcnt vmcnt(0) lgkmcnt(0)
	v_ffbh_u32_e32 v3, v11
	v_min_u32_e32 v3, 32, v3
	v_lshlrev_b64 v[10:11], v3, v[10:11]
	v_sub_u32_e32 v3, 32, v3
	v_min_u32_e32 v10, 1, v10
	v_or_b32_e32 v10, v11, v10
	v_cvt_f32_u32_e32 v10, v10
	v_ldexp_f32 v11, v10, v3
	v_cmp_gt_u32_e64 s[4:5], s4, v11
	v_mov_b32_e32 v10, 0x80
	s_and_saveexec_b64 s[58:59], s[4:5]
	s_cbranch_execz .LBB297_1376
; %bb.1371:
	s_mov_b32 s4, 0x3bffffff
	v_cmp_lt_u32_e64 s[4:5], s4, v11
	s_mov_b64 s[60:61], 0
                                        ; implicit-def: $vgpr3
	s_and_saveexec_b64 s[62:63], s[4:5]
	s_xor_b64 s[4:5], exec, s[62:63]
	s_cbranch_execz .LBB297_2923
; %bb.1372:
	v_bfe_u32 v3, v11, 20, 1
	s_mov_b32 s33, 0x487ffff
	v_add3_u32 v3, v11, v3, s33
	s_mov_b64 s[60:61], exec
	v_lshrrev_b32_e32 v3, 20, v3
                                        ; implicit-def: $vgpr11
	s_andn2_saveexec_b64 s[62:63], s[4:5]
	s_cbranch_execnz .LBB297_2924
.LBB297_1373:
	s_or_b64 exec, exec, s[62:63]
	v_mov_b32_e32 v10, 0
	s_and_saveexec_b64 s[4:5], s[60:61]
.LBB297_1374:
	v_mov_b32_e32 v10, v3
.LBB297_1375:
	s_or_b64 exec, exec, s[4:5]
.LBB297_1376:
	s_or_b64 exec, exec, s[58:59]
	s_or_b64 s[60:61], s[56:57], exec
	s_xor_b64 s[58:59], exec, -1
.LBB297_1377:
	s_or_b64 exec, exec, s[52:53]
	s_andn2_b64 s[4:5], s[56:57], exec
	s_and_b64 s[52:53], s[60:61], exec
	s_or_b64 s[56:57], s[4:5], s[52:53]
	s_andn2_b64 s[4:5], s[54:55], exec
	s_and_b64 s[52:53], s[58:59], exec
	s_or_b64 s[54:55], s[4:5], s[52:53]
.LBB297_1378:
	s_or_b64 exec, exec, s[48:49]
	s_and_b64 s[52:53], s[56:57], exec
	s_and_b64 s[48:49], s[54:55], exec
                                        ; implicit-def: $vgpr3
.LBB297_1379:
	s_andn2_saveexec_b64 s[46:47], s[46:47]
	s_cbranch_execz .LBB297_1401
; %bb.1380:
	v_cmp_lt_i16_e64 s[4:5], 26, v3
                                        ; implicit-def: $vgpr10
	s_and_saveexec_b64 s[54:55], s[4:5]
	s_xor_b64 s[54:55], exec, s[54:55]
	s_cbranch_execz .LBB297_1398
; %bb.1381:
	v_cmp_lt_i16_e64 s[4:5], 27, v3
                                        ; implicit-def: $vgpr10
	s_and_saveexec_b64 s[56:57], s[4:5]
	s_xor_b64 s[56:57], exec, s[56:57]
	s_cbranch_execz .LBB297_1389
; %bb.1382:
	flat_load_dword v3, v[8:9]
	s_mov_b32 s4, 0x43800000
	v_mov_b32_e32 v10, 0x80
	s_waitcnt vmcnt(0) lgkmcnt(0)
	v_cvt_f32_u32_e32 v11, v3
	v_cmp_gt_u32_e64 s[4:5], s4, v11
	s_and_saveexec_b64 s[58:59], s[4:5]
	s_cbranch_execz .LBB297_1388
; %bb.1383:
	s_mov_b32 s4, 0x3bffffff
	v_cmp_lt_u32_e64 s[4:5], s4, v11
	s_mov_b64 s[60:61], 0
                                        ; implicit-def: $vgpr3
	s_and_saveexec_b64 s[62:63], s[4:5]
	s_xor_b64 s[4:5], exec, s[62:63]
	s_cbranch_execz .LBB297_2925
; %bb.1384:
	v_bfe_u32 v3, v11, 20, 1
	s_mov_b32 s33, 0x487ffff
	v_add3_u32 v3, v11, v3, s33
	s_mov_b64 s[60:61], exec
	v_lshrrev_b32_e32 v3, 20, v3
                                        ; implicit-def: $vgpr11
	s_andn2_saveexec_b64 s[62:63], s[4:5]
	s_cbranch_execnz .LBB297_2926
.LBB297_1385:
	s_or_b64 exec, exec, s[62:63]
	v_mov_b32_e32 v10, 0
	s_and_saveexec_b64 s[4:5], s[60:61]
.LBB297_1386:
	v_mov_b32_e32 v10, v3
.LBB297_1387:
	s_or_b64 exec, exec, s[4:5]
.LBB297_1388:
	s_or_b64 exec, exec, s[58:59]
.LBB297_1389:
	s_andn2_saveexec_b64 s[56:57], s[56:57]
	s_cbranch_execz .LBB297_1397
; %bb.1390:
	flat_load_ushort v3, v[8:9]
	s_mov_b32 s4, 0x43800000
	v_mov_b32_e32 v10, 0x80
	s_waitcnt vmcnt(0) lgkmcnt(0)
	v_cvt_f32_u32_e32 v11, v3
	v_cmp_gt_u32_e64 s[4:5], s4, v11
	s_and_saveexec_b64 s[58:59], s[4:5]
	s_cbranch_execz .LBB297_1396
; %bb.1391:
	s_mov_b32 s4, 0x3bffffff
	v_cmp_lt_u32_e64 s[4:5], s4, v11
	s_mov_b64 s[60:61], 0
                                        ; implicit-def: $vgpr3
	s_and_saveexec_b64 s[62:63], s[4:5]
	s_xor_b64 s[4:5], exec, s[62:63]
	s_cbranch_execz .LBB297_2927
; %bb.1392:
	v_bfe_u32 v3, v11, 20, 1
	s_mov_b32 s33, 0x487ffff
	v_add3_u32 v3, v11, v3, s33
	s_mov_b64 s[60:61], exec
	v_lshrrev_b32_e32 v3, 20, v3
                                        ; implicit-def: $vgpr11
	s_andn2_saveexec_b64 s[62:63], s[4:5]
	s_cbranch_execnz .LBB297_2928
.LBB297_1393:
	s_or_b64 exec, exec, s[62:63]
	v_mov_b32_e32 v10, 0
	s_and_saveexec_b64 s[4:5], s[60:61]
.LBB297_1394:
	v_mov_b32_e32 v10, v3
.LBB297_1395:
	s_or_b64 exec, exec, s[4:5]
.LBB297_1396:
	s_or_b64 exec, exec, s[58:59]
.LBB297_1397:
	s_or_b64 exec, exec, s[56:57]
.LBB297_1398:
	s_andn2_saveexec_b64 s[4:5], s[54:55]
	s_cbranch_execz .LBB297_1400
; %bb.1399:
	flat_load_ubyte v10, v[8:9]
.LBB297_1400:
	s_or_b64 exec, exec, s[4:5]
	s_or_b64 s[52:53], s[52:53], exec
.LBB297_1401:
	s_or_b64 exec, exec, s[46:47]
	s_and_b64 s[46:47], s[52:53], exec
	s_and_b64 s[48:49], s[48:49], exec
                                        ; implicit-def: $vgpr3
	s_andn2_saveexec_b64 s[50:51], s[50:51]
	s_cbranch_execnz .LBB297_2497
.LBB297_1402:
	s_or_b64 exec, exec, s[50:51]
	s_mov_b64 s[50:51], s[36:37]
	s_and_saveexec_b64 s[4:5], s[48:49]
	s_cbranch_execnz .LBB297_2546
.LBB297_1403:
	s_or_b64 exec, exec, s[4:5]
	s_and_saveexec_b64 s[4:5], s[42:43]
	s_xor_b64 s[42:43], exec, s[4:5]
	s_cbranch_execz .LBB297_1411
.LBB297_1404:
	flat_load_ubyte v3, v[8:9]
	s_mov_b32 s33, 0x43800000
	s_waitcnt vmcnt(0) lgkmcnt(0)
	v_mov_b32_e32 v10, 0x80
	v_cmp_ne_u16_e64 s[4:5], 0, v3
	v_cndmask_b32_e64 v8, 0, 1.0, s[4:5]
	v_cmp_gt_u32_e64 s[4:5], s33, v8
	s_and_saveexec_b64 s[48:49], s[4:5]
	s_cbranch_execz .LBB297_1410
; %bb.1405:
	s_mov_b32 s4, 0x3bffffff
	v_cmp_lt_u32_e64 s[4:5], s4, v8
	s_mov_b64 s[52:53], 0
                                        ; implicit-def: $vgpr3
	s_and_saveexec_b64 s[54:55], s[4:5]
	s_xor_b64 s[4:5], exec, s[54:55]
	s_cbranch_execz .LBB297_2684
; %bb.1406:
	v_bfe_u32 v3, v8, 20, 1
	s_mov_b32 s33, 0x487ffff
	v_add3_u32 v3, v8, v3, s33
	s_mov_b64 s[52:53], exec
	v_lshrrev_b32_e32 v3, 20, v3
                                        ; implicit-def: $vgpr8
	s_andn2_saveexec_b64 s[54:55], s[4:5]
	s_cbranch_execnz .LBB297_2685
.LBB297_1407:
	s_or_b64 exec, exec, s[54:55]
	v_mov_b32_e32 v10, 0
	s_and_saveexec_b64 s[4:5], s[52:53]
.LBB297_1408:
	v_mov_b32_e32 v10, v3
.LBB297_1409:
	s_or_b64 exec, exec, s[4:5]
.LBB297_1410:
	s_or_b64 exec, exec, s[48:49]
	s_or_b64 s[46:47], s[46:47], exec
.LBB297_1411:
	s_or_b64 exec, exec, s[42:43]
	s_andn2_b64 s[4:5], s[36:37], exec
	s_and_b64 s[42:43], s[50:51], exec
	s_or_b64 s[42:43], s[4:5], s[42:43]
	s_and_b64 s[46:47], s[46:47], exec
                                        ; implicit-def: $vgpr3
                                        ; implicit-def: $vgpr8_vgpr9
.LBB297_1412:
	s_andn2_saveexec_b64 s[44:45], s[44:45]
	s_cbranch_execz .LBB297_1520
; %bb.1413:
	v_cmp_lt_i16_e64 s[4:5], 4, v3
                                        ; implicit-def: $vgpr10
	s_and_saveexec_b64 s[48:49], s[4:5]
	s_xor_b64 s[48:49], exec, s[48:49]
	s_cbranch_execz .LBB297_1471
; %bb.1414:
	v_cmp_lt_i16_e64 s[4:5], 7, v3
                                        ; implicit-def: $vgpr10
	s_and_saveexec_b64 s[50:51], s[4:5]
	s_xor_b64 s[50:51], exec, s[50:51]
	s_cbranch_execz .LBB297_1442
; %bb.1415:
	v_cmp_lt_i16_e64 s[4:5], 8, v3
                                        ; implicit-def: $vgpr10
	s_and_saveexec_b64 s[52:53], s[4:5]
	s_xor_b64 s[52:53], exec, s[52:53]
	s_cbranch_execz .LBB297_1433
; %bb.1416:
	v_cmp_lt_i16_e64 s[4:5], 9, v3
                                        ; implicit-def: $vgpr10
	s_and_saveexec_b64 s[54:55], s[4:5]
	s_xor_b64 s[54:55], exec, s[54:55]
	s_cbranch_execz .LBB297_1424
; %bb.1417:
	flat_load_dwordx2 v[8:9], v[8:9]
	s_mov_b32 s4, 0x43800000
	s_waitcnt vmcnt(0) lgkmcnt(0)
	v_mov_b32_e32 v10, 0x80
	v_cvt_f32_f64_e32 v3, v[8:9]
	v_and_b32_e32 v8, 0x7fffffff, v3
	v_cmp_gt_u32_e64 s[4:5], s4, v8
	s_and_saveexec_b64 s[56:57], s[4:5]
	s_cbranch_execz .LBB297_1423
; %bb.1418:
	s_mov_b32 s4, 0x3bffffff
	v_cmp_lt_u32_e64 s[4:5], s4, v8
	s_mov_b64 s[58:59], 0
                                        ; implicit-def: $vgpr8
	s_and_saveexec_b64 s[60:61], s[4:5]
	s_xor_b64 s[4:5], exec, s[60:61]
	s_cbranch_execz .LBB297_2929
; %bb.1419:
	v_bfe_u32 v8, v3, 20, 1
	s_mov_b32 s33, 0x487ffff
	v_add3_u32 v8, v3, v8, s33
	s_mov_b64 s[58:59], exec
	v_lshrrev_b32_e32 v8, 20, v8
	s_andn2_saveexec_b64 s[60:61], s[4:5]
	s_cbranch_execnz .LBB297_2930
.LBB297_1420:
	s_or_b64 exec, exec, s[60:61]
	v_mov_b32_e32 v10, 0
	s_and_saveexec_b64 s[4:5], s[58:59]
.LBB297_1421:
	v_lshrrev_b32_e32 v3, 24, v3
	s_movk_i32 s33, 0x80
	v_and_or_b32 v10, v3, s33, v8
.LBB297_1422:
	s_or_b64 exec, exec, s[4:5]
.LBB297_1423:
	s_or_b64 exec, exec, s[56:57]
                                        ; implicit-def: $vgpr8_vgpr9
.LBB297_1424:
	s_andn2_saveexec_b64 s[54:55], s[54:55]
	s_cbranch_execz .LBB297_1432
; %bb.1425:
	flat_load_dword v3, v[8:9]
	s_mov_b32 s4, 0x43800000
	s_waitcnt vmcnt(0) lgkmcnt(0)
	v_mov_b32_e32 v10, 0x80
	v_and_b32_e32 v8, 0x7fffffff, v3
	v_cmp_gt_u32_e64 s[4:5], s4, v8
	s_and_saveexec_b64 s[56:57], s[4:5]
	s_cbranch_execz .LBB297_1431
; %bb.1426:
	s_mov_b32 s4, 0x3bffffff
	v_cmp_lt_u32_e64 s[4:5], s4, v8
	s_mov_b64 s[58:59], 0
                                        ; implicit-def: $vgpr8
	s_and_saveexec_b64 s[60:61], s[4:5]
	s_xor_b64 s[4:5], exec, s[60:61]
	s_cbranch_execz .LBB297_2931
; %bb.1427:
	v_bfe_u32 v8, v3, 20, 1
	s_mov_b32 s33, 0x487ffff
	v_add3_u32 v8, v3, v8, s33
	s_mov_b64 s[58:59], exec
	v_lshrrev_b32_e32 v8, 20, v8
	s_andn2_saveexec_b64 s[60:61], s[4:5]
	s_cbranch_execnz .LBB297_2932
.LBB297_1428:
	s_or_b64 exec, exec, s[60:61]
	v_mov_b32_e32 v10, 0
	s_and_saveexec_b64 s[4:5], s[58:59]
.LBB297_1429:
	v_lshrrev_b32_e32 v3, 24, v3
	s_movk_i32 s33, 0x80
	v_and_or_b32 v10, v3, s33, v8
.LBB297_1430:
	s_or_b64 exec, exec, s[4:5]
.LBB297_1431:
	s_or_b64 exec, exec, s[56:57]
.LBB297_1432:
	s_or_b64 exec, exec, s[54:55]
                                        ; implicit-def: $vgpr8_vgpr9
.LBB297_1433:
	s_andn2_saveexec_b64 s[52:53], s[52:53]
	s_cbranch_execz .LBB297_1441
; %bb.1434:
	flat_load_dword v3, v[8:9]
	s_mov_b32 s4, 0x43800000
	s_waitcnt vmcnt(0) lgkmcnt(0)
	v_mov_b32_e32 v10, 0x80
	v_cvt_f32_f16_e32 v3, v3
	v_and_b32_e32 v8, 0x7fffffff, v3
	v_cmp_gt_u32_e64 s[4:5], s4, v8
	s_and_saveexec_b64 s[54:55], s[4:5]
	s_cbranch_execz .LBB297_1440
; %bb.1435:
	s_mov_b32 s4, 0x3bffffff
	v_cmp_lt_u32_e64 s[4:5], s4, v8
	s_mov_b64 s[56:57], 0
                                        ; implicit-def: $vgpr8
	s_and_saveexec_b64 s[58:59], s[4:5]
	s_xor_b64 s[4:5], exec, s[58:59]
	s_cbranch_execz .LBB297_2856
; %bb.1436:
	v_bfe_u32 v8, v3, 20, 1
	s_mov_b32 s33, 0x487ffff
	v_add3_u32 v8, v3, v8, s33
	s_mov_b64 s[56:57], exec
	v_lshrrev_b32_e32 v8, 20, v8
	s_andn2_saveexec_b64 s[58:59], s[4:5]
	s_cbranch_execnz .LBB297_2857
.LBB297_1437:
	s_or_b64 exec, exec, s[58:59]
	v_mov_b32_e32 v10, 0
	s_and_saveexec_b64 s[4:5], s[56:57]
.LBB297_1438:
	v_lshrrev_b32_e32 v3, 24, v3
	s_movk_i32 s33, 0x80
	v_and_or_b32 v10, v3, s33, v8
.LBB297_1439:
	s_or_b64 exec, exec, s[4:5]
.LBB297_1440:
	s_or_b64 exec, exec, s[54:55]
.LBB297_1441:
	s_or_b64 exec, exec, s[52:53]
                                        ; implicit-def: $vgpr3
                                        ; implicit-def: $vgpr8_vgpr9
.LBB297_1442:
	s_andn2_saveexec_b64 s[50:51], s[50:51]
	s_cbranch_execz .LBB297_1470
; %bb.1443:
	v_cmp_lt_i16_e64 s[4:5], 5, v3
                                        ; implicit-def: $vgpr10
	s_and_saveexec_b64 s[52:53], s[4:5]
	s_xor_b64 s[52:53], exec, s[52:53]
	s_cbranch_execz .LBB297_1461
; %bb.1444:
	v_cmp_lt_i16_e64 s[4:5], 6, v3
                                        ; implicit-def: $vgpr10
	s_and_saveexec_b64 s[54:55], s[4:5]
	s_xor_b64 s[54:55], exec, s[54:55]
	s_cbranch_execz .LBB297_1452
; %bb.1445:
	flat_load_dwordx2 v[8:9], v[8:9]
	s_mov_b32 s4, 0x43800000
	s_waitcnt vmcnt(0) lgkmcnt(0)
	v_mov_b32_e32 v10, 0x80
	v_cvt_f32_f64_e32 v3, v[8:9]
	v_and_b32_e32 v8, 0x7fffffff, v3
	v_cmp_gt_u32_e64 s[4:5], s4, v8
	s_and_saveexec_b64 s[56:57], s[4:5]
	s_cbranch_execz .LBB297_1451
; %bb.1446:
	s_mov_b32 s4, 0x3bffffff
	v_cmp_lt_u32_e64 s[4:5], s4, v8
	s_mov_b64 s[58:59], 0
                                        ; implicit-def: $vgpr8
	s_and_saveexec_b64 s[60:61], s[4:5]
	s_xor_b64 s[4:5], exec, s[60:61]
	s_cbranch_execz .LBB297_2933
; %bb.1447:
	v_bfe_u32 v8, v3, 20, 1
	s_mov_b32 s33, 0x487ffff
	v_add3_u32 v8, v3, v8, s33
	s_mov_b64 s[58:59], exec
	v_lshrrev_b32_e32 v8, 20, v8
	s_andn2_saveexec_b64 s[60:61], s[4:5]
	s_cbranch_execnz .LBB297_2934
.LBB297_1448:
	s_or_b64 exec, exec, s[60:61]
	v_mov_b32_e32 v10, 0
	s_and_saveexec_b64 s[4:5], s[58:59]
.LBB297_1449:
	v_lshrrev_b32_e32 v3, 24, v3
	s_movk_i32 s33, 0x80
	v_and_or_b32 v10, v3, s33, v8
.LBB297_1450:
	s_or_b64 exec, exec, s[4:5]
.LBB297_1451:
	s_or_b64 exec, exec, s[56:57]
                                        ; implicit-def: $vgpr8_vgpr9
.LBB297_1452:
	s_andn2_saveexec_b64 s[54:55], s[54:55]
	s_cbranch_execz .LBB297_1460
; %bb.1453:
	flat_load_dword v3, v[8:9]
	s_mov_b32 s4, 0x43800000
	s_waitcnt vmcnt(0) lgkmcnt(0)
	v_mov_b32_e32 v10, 0x80
	v_and_b32_e32 v8, 0x7fffffff, v3
	v_cmp_gt_u32_e64 s[4:5], s4, v8
	s_and_saveexec_b64 s[56:57], s[4:5]
	s_cbranch_execz .LBB297_1459
; %bb.1454:
	s_mov_b32 s4, 0x3bffffff
	v_cmp_lt_u32_e64 s[4:5], s4, v8
	s_mov_b64 s[58:59], 0
                                        ; implicit-def: $vgpr8
	s_and_saveexec_b64 s[60:61], s[4:5]
	s_xor_b64 s[4:5], exec, s[60:61]
	s_cbranch_execz .LBB297_2935
; %bb.1455:
	v_bfe_u32 v8, v3, 20, 1
	s_mov_b32 s33, 0x487ffff
	v_add3_u32 v8, v3, v8, s33
	s_mov_b64 s[58:59], exec
	v_lshrrev_b32_e32 v8, 20, v8
	s_andn2_saveexec_b64 s[60:61], s[4:5]
	s_cbranch_execnz .LBB297_2936
.LBB297_1456:
	s_or_b64 exec, exec, s[60:61]
	v_mov_b32_e32 v10, 0
	s_and_saveexec_b64 s[4:5], s[58:59]
.LBB297_1457:
	v_lshrrev_b32_e32 v3, 24, v3
	s_movk_i32 s33, 0x80
	v_and_or_b32 v10, v3, s33, v8
.LBB297_1458:
	s_or_b64 exec, exec, s[4:5]
.LBB297_1459:
	s_or_b64 exec, exec, s[56:57]
.LBB297_1460:
	s_or_b64 exec, exec, s[54:55]
                                        ; implicit-def: $vgpr8_vgpr9
.LBB297_1461:
	s_andn2_saveexec_b64 s[52:53], s[52:53]
	s_cbranch_execz .LBB297_1469
; %bb.1462:
	flat_load_ushort v3, v[8:9]
	s_mov_b32 s4, 0x43800000
	s_waitcnt vmcnt(0) lgkmcnt(0)
	v_mov_b32_e32 v10, 0x80
	v_cvt_f32_f16_e32 v3, v3
	v_and_b32_e32 v8, 0x7fffffff, v3
	v_cmp_gt_u32_e64 s[4:5], s4, v8
	s_and_saveexec_b64 s[54:55], s[4:5]
	s_cbranch_execz .LBB297_1468
; %bb.1463:
	s_mov_b32 s4, 0x3bffffff
	v_cmp_lt_u32_e64 s[4:5], s4, v8
	s_mov_b64 s[56:57], 0
                                        ; implicit-def: $vgpr8
	s_and_saveexec_b64 s[58:59], s[4:5]
	s_xor_b64 s[4:5], exec, s[58:59]
	s_cbranch_execz .LBB297_2858
; %bb.1464:
	v_bfe_u32 v8, v3, 20, 1
	s_mov_b32 s33, 0x487ffff
	v_add3_u32 v8, v3, v8, s33
	s_mov_b64 s[56:57], exec
	v_lshrrev_b32_e32 v8, 20, v8
	s_andn2_saveexec_b64 s[58:59], s[4:5]
	s_cbranch_execnz .LBB297_2859
.LBB297_1465:
	s_or_b64 exec, exec, s[58:59]
	v_mov_b32_e32 v10, 0
	s_and_saveexec_b64 s[4:5], s[56:57]
.LBB297_1466:
	v_lshrrev_b32_e32 v3, 24, v3
	s_movk_i32 s33, 0x80
	v_and_or_b32 v10, v3, s33, v8
.LBB297_1467:
	s_or_b64 exec, exec, s[4:5]
.LBB297_1468:
	s_or_b64 exec, exec, s[54:55]
.LBB297_1469:
	s_or_b64 exec, exec, s[52:53]
.LBB297_1470:
	s_or_b64 exec, exec, s[50:51]
                                        ; implicit-def: $vgpr3
                                        ; implicit-def: $vgpr8_vgpr9
.LBB297_1471:
	s_andn2_saveexec_b64 s[48:49], s[48:49]
	s_cbranch_execz .LBB297_1519
; %bb.1472:
	v_cmp_lt_i16_e64 s[4:5], 1, v3
                                        ; implicit-def: $vgpr10
	s_and_saveexec_b64 s[50:51], s[4:5]
	s_xor_b64 s[50:51], exec, s[50:51]
	s_cbranch_execz .LBB297_1500
; %bb.1473:
	v_cmp_lt_i16_e64 s[4:5], 2, v3
                                        ; implicit-def: $vgpr10
	s_and_saveexec_b64 s[52:53], s[4:5]
	s_xor_b64 s[52:53], exec, s[52:53]
	;; [unrolled: 6-line block ×3, first 2 shown]
	s_cbranch_execz .LBB297_1482
; %bb.1475:
	flat_load_dwordx2 v[8:9], v[8:9]
	s_mov_b32 s4, 0x43800000
	s_waitcnt vmcnt(0) lgkmcnt(0)
	v_xor_b32_e32 v10, v8, v9
	v_ffbh_i32_e32 v3, v9
	v_ashrrev_i32_e32 v10, 31, v10
	v_add_u32_e32 v3, -1, v3
	v_add_u32_e32 v10, 32, v10
	v_min_u32_e32 v3, v3, v10
	v_lshlrev_b64 v[8:9], v3, v[8:9]
	v_sub_u32_e32 v3, 32, v3
	v_min_u32_e32 v8, 1, v8
	v_or_b32_e32 v8, v9, v8
	v_cvt_f32_i32_e32 v8, v8
	v_mov_b32_e32 v10, 0x80
	v_ldexp_f32 v3, v8, v3
	v_and_b32_e32 v8, 0x7fffffff, v3
	v_cmp_gt_u32_e64 s[4:5], s4, v8
	s_and_saveexec_b64 s[56:57], s[4:5]
	s_cbranch_execz .LBB297_1481
; %bb.1476:
	s_mov_b32 s4, 0x3bffffff
	v_cmp_lt_u32_e64 s[4:5], s4, v8
	s_mov_b64 s[58:59], 0
                                        ; implicit-def: $vgpr8
	s_and_saveexec_b64 s[60:61], s[4:5]
	s_xor_b64 s[4:5], exec, s[60:61]
	s_cbranch_execz .LBB297_2937
; %bb.1477:
	v_bfe_u32 v8, v3, 20, 1
	s_mov_b32 s33, 0x487ffff
	v_add3_u32 v8, v3, v8, s33
	s_mov_b64 s[58:59], exec
	v_lshrrev_b32_e32 v8, 20, v8
	s_andn2_saveexec_b64 s[60:61], s[4:5]
	s_cbranch_execnz .LBB297_2938
.LBB297_1478:
	s_or_b64 exec, exec, s[60:61]
	v_mov_b32_e32 v10, 0
	s_and_saveexec_b64 s[4:5], s[58:59]
.LBB297_1479:
	v_lshrrev_b32_e32 v3, 24, v3
	s_movk_i32 s33, 0x80
	v_and_or_b32 v10, v3, s33, v8
.LBB297_1480:
	s_or_b64 exec, exec, s[4:5]
.LBB297_1481:
	s_or_b64 exec, exec, s[56:57]
                                        ; implicit-def: $vgpr8_vgpr9
.LBB297_1482:
	s_andn2_saveexec_b64 s[54:55], s[54:55]
	s_cbranch_execz .LBB297_1490
; %bb.1483:
	flat_load_dword v3, v[8:9]
	s_mov_b32 s4, 0x43800000
	s_waitcnt vmcnt(0) lgkmcnt(0)
	v_mov_b32_e32 v10, 0x80
	v_cvt_f32_i32_e32 v3, v3
	v_and_b32_e32 v8, 0x7fffffff, v3
	v_cmp_gt_u32_e64 s[4:5], s4, v8
	s_and_saveexec_b64 s[56:57], s[4:5]
	s_cbranch_execz .LBB297_1489
; %bb.1484:
	s_mov_b32 s4, 0x3bffffff
	v_cmp_lt_u32_e64 s[4:5], s4, v8
	s_mov_b64 s[58:59], 0
                                        ; implicit-def: $vgpr8
	s_and_saveexec_b64 s[60:61], s[4:5]
	s_xor_b64 s[4:5], exec, s[60:61]
	s_cbranch_execz .LBB297_2939
; %bb.1485:
	v_bfe_u32 v8, v3, 20, 1
	s_mov_b32 s33, 0x487ffff
	v_add3_u32 v8, v3, v8, s33
	s_mov_b64 s[58:59], exec
	v_lshrrev_b32_e32 v8, 20, v8
	s_andn2_saveexec_b64 s[60:61], s[4:5]
	s_cbranch_execnz .LBB297_2940
.LBB297_1486:
	s_or_b64 exec, exec, s[60:61]
	v_mov_b32_e32 v10, 0
	s_and_saveexec_b64 s[4:5], s[58:59]
.LBB297_1487:
	v_lshrrev_b32_e32 v3, 24, v3
	s_movk_i32 s33, 0x80
	v_and_or_b32 v10, v3, s33, v8
.LBB297_1488:
	s_or_b64 exec, exec, s[4:5]
.LBB297_1489:
	s_or_b64 exec, exec, s[56:57]
.LBB297_1490:
	s_or_b64 exec, exec, s[54:55]
                                        ; implicit-def: $vgpr8_vgpr9
.LBB297_1491:
	s_andn2_saveexec_b64 s[52:53], s[52:53]
	s_cbranch_execz .LBB297_1499
; %bb.1492:
	flat_load_sshort v3, v[8:9]
	s_mov_b32 s4, 0x43800000
	s_waitcnt vmcnt(0) lgkmcnt(0)
	v_mov_b32_e32 v10, 0x80
	v_cvt_f32_i32_e32 v3, v3
	v_and_b32_e32 v8, 0x7fffffff, v3
	v_cmp_gt_u32_e64 s[4:5], s4, v8
	s_and_saveexec_b64 s[54:55], s[4:5]
	s_cbranch_execz .LBB297_1498
; %bb.1493:
	s_mov_b32 s4, 0x3bffffff
	v_cmp_lt_u32_e64 s[4:5], s4, v8
	s_mov_b64 s[56:57], 0
                                        ; implicit-def: $vgpr8
	s_and_saveexec_b64 s[58:59], s[4:5]
	s_xor_b64 s[4:5], exec, s[58:59]
	s_cbranch_execz .LBB297_2860
; %bb.1494:
	v_bfe_u32 v8, v3, 20, 1
	s_mov_b32 s33, 0x487ffff
	v_add3_u32 v8, v3, v8, s33
	s_mov_b64 s[56:57], exec
	v_lshrrev_b32_e32 v8, 20, v8
	s_andn2_saveexec_b64 s[58:59], s[4:5]
	s_cbranch_execnz .LBB297_2861
.LBB297_1495:
	s_or_b64 exec, exec, s[58:59]
	v_mov_b32_e32 v10, 0
	s_and_saveexec_b64 s[4:5], s[56:57]
.LBB297_1496:
	v_lshrrev_b32_e32 v3, 24, v3
	s_movk_i32 s33, 0x80
	v_and_or_b32 v10, v3, s33, v8
.LBB297_1497:
	s_or_b64 exec, exec, s[4:5]
.LBB297_1498:
	s_or_b64 exec, exec, s[54:55]
.LBB297_1499:
	s_or_b64 exec, exec, s[52:53]
                                        ; implicit-def: $vgpr3
                                        ; implicit-def: $vgpr8_vgpr9
.LBB297_1500:
	s_andn2_saveexec_b64 s[50:51], s[50:51]
	s_cbranch_execz .LBB297_1518
; %bb.1501:
	v_cmp_lt_i16_e64 s[4:5], 0, v3
                                        ; implicit-def: $vgpr10
	s_and_saveexec_b64 s[52:53], s[4:5]
	s_xor_b64 s[52:53], exec, s[52:53]
	s_cbranch_execz .LBB297_1509
; %bb.1502:
	flat_load_sbyte v3, v[8:9]
	s_mov_b32 s4, 0x43800000
	s_waitcnt vmcnt(0) lgkmcnt(0)
	v_mov_b32_e32 v10, 0x80
	v_cvt_f32_i32_e32 v3, v3
	v_and_b32_e32 v8, 0x7fffffff, v3
	v_cmp_gt_u32_e64 s[4:5], s4, v8
	s_and_saveexec_b64 s[54:55], s[4:5]
	s_cbranch_execz .LBB297_1508
; %bb.1503:
	s_mov_b32 s4, 0x3bffffff
	v_cmp_lt_u32_e64 s[4:5], s4, v8
	s_mov_b64 s[56:57], 0
                                        ; implicit-def: $vgpr8
	s_and_saveexec_b64 s[58:59], s[4:5]
	s_xor_b64 s[4:5], exec, s[58:59]
	s_cbranch_execz .LBB297_2862
; %bb.1504:
	v_bfe_u32 v8, v3, 20, 1
	s_mov_b32 s33, 0x487ffff
	v_add3_u32 v8, v3, v8, s33
	s_mov_b64 s[56:57], exec
	v_lshrrev_b32_e32 v8, 20, v8
	s_andn2_saveexec_b64 s[58:59], s[4:5]
	s_cbranch_execnz .LBB297_2863
.LBB297_1505:
	s_or_b64 exec, exec, s[58:59]
	v_mov_b32_e32 v10, 0
	s_and_saveexec_b64 s[4:5], s[56:57]
.LBB297_1506:
	v_lshrrev_b32_e32 v3, 24, v3
	s_movk_i32 s33, 0x80
	v_and_or_b32 v10, v3, s33, v8
.LBB297_1507:
	s_or_b64 exec, exec, s[4:5]
.LBB297_1508:
	s_or_b64 exec, exec, s[54:55]
                                        ; implicit-def: $vgpr8_vgpr9
.LBB297_1509:
	s_andn2_saveexec_b64 s[52:53], s[52:53]
	s_cbranch_execz .LBB297_1517
; %bb.1510:
	flat_load_ubyte v3, v[8:9]
	s_mov_b32 s4, 0x43800000
	s_waitcnt vmcnt(0) lgkmcnt(0)
	v_mov_b32_e32 v10, 0x80
	v_cvt_f32_ubyte0_e32 v8, v3
	v_cmp_gt_u32_e64 s[4:5], s4, v8
	s_and_saveexec_b64 s[54:55], s[4:5]
	s_cbranch_execz .LBB297_1516
; %bb.1511:
	s_mov_b32 s4, 0x3bffffff
	v_cmp_lt_u32_e64 s[4:5], s4, v8
	s_mov_b64 s[56:57], 0
                                        ; implicit-def: $vgpr3
	s_and_saveexec_b64 s[58:59], s[4:5]
	s_xor_b64 s[4:5], exec, s[58:59]
	s_cbranch_execz .LBB297_2864
; %bb.1512:
	v_bfe_u32 v3, v8, 20, 1
	s_mov_b32 s33, 0x487ffff
	v_add3_u32 v3, v8, v3, s33
	s_mov_b64 s[56:57], exec
	v_lshrrev_b32_e32 v3, 20, v3
                                        ; implicit-def: $vgpr8
	s_andn2_saveexec_b64 s[58:59], s[4:5]
	s_cbranch_execnz .LBB297_2865
.LBB297_1513:
	s_or_b64 exec, exec, s[58:59]
	v_mov_b32_e32 v10, 0
	s_and_saveexec_b64 s[4:5], s[56:57]
.LBB297_1514:
	v_mov_b32_e32 v10, v3
.LBB297_1515:
	s_or_b64 exec, exec, s[4:5]
.LBB297_1516:
	s_or_b64 exec, exec, s[54:55]
.LBB297_1517:
	s_or_b64 exec, exec, s[52:53]
.LBB297_1518:
	s_or_b64 exec, exec, s[50:51]
.LBB297_1519:
	s_or_b64 exec, exec, s[48:49]
	s_or_b64 s[46:47], s[46:47], exec
.LBB297_1520:
	s_or_b64 exec, exec, s[44:45]
	s_mov_b64 s[4:5], 0
	s_mov_b64 s[50:51], 0
                                        ; implicit-def: $sgpr48_sgpr49
                                        ; implicit-def: $vgpr21_vgpr22
                                        ; implicit-def: $vgpr16
	s_and_saveexec_b64 s[44:45], s[46:47]
	s_cbranch_execz .LBB297_2023
; %bb.1521:
	v_add_co_u32_e64 v7, s[4:5], v5, v7
	v_addc_co_u32_e64 v8, s[4:5], 0, v24, s[4:5]
	v_cmp_lt_i16_e64 s[4:5], 10, v1
	s_mov_b64 s[52:53], 0
	s_mov_b64 s[46:47], s[42:43]
                                        ; implicit-def: $vgpr3
	s_and_saveexec_b64 s[48:49], s[4:5]
	s_xor_b64 s[48:49], exec, s[48:49]
	s_cbranch_execz .LBB297_1590
; %bb.1522:
	v_cmp_lt_i16_e64 s[4:5], 25, v1
	s_mov_b64 s[46:47], 0
                                        ; implicit-def: $vgpr3
	s_and_saveexec_b64 s[54:55], s[4:5]
	s_xor_b64 s[54:55], exec, s[54:55]
	s_cbranch_execz .LBB297_2591
; %bb.1523:
	v_cmp_lt_i16_e64 s[4:5], 28, v1
	;; [unrolled: 7-line block ×3, first 2 shown]
	s_mov_b64 s[58:59], 0
	s_mov_b64 s[60:61], 0
                                        ; implicit-def: $vgpr3
	s_and_saveexec_b64 s[52:53], s[4:5]
	s_xor_b64 s[52:53], exec, s[52:53]
	s_cbranch_execz .LBB297_1546
; %bb.1525:
	v_cmp_lt_i16_e64 s[4:5], 45, v1
                                        ; implicit-def: $vgpr3
	s_and_saveexec_b64 s[60:61], s[4:5]
	s_xor_b64 s[60:61], exec, s[60:61]
	s_cbranch_execz .LBB297_1535
; %bb.1526:
	v_cmp_eq_u16_e64 s[4:5], 46, v1
	s_mov_b64 s[62:63], -1
                                        ; implicit-def: $vgpr3
	s_and_saveexec_b64 s[56:57], s[4:5]
	s_cbranch_execz .LBB297_1534
; %bb.1527:
	flat_load_dword v1, v[7:8]
	s_mov_b32 s4, 0x43800000
	v_mov_b32_e32 v3, 0x80
	s_waitcnt vmcnt(0) lgkmcnt(0)
	v_lshlrev_b32_e32 v1, 16, v1
	v_and_b32_e32 v5, 0x7fffffff, v1
	v_cmp_gt_u32_e64 s[4:5], s4, v5
	s_and_saveexec_b64 s[58:59], s[4:5]
	s_cbranch_execz .LBB297_1533
; %bb.1528:
	s_mov_b32 s4, 0x3bffffff
	v_cmp_lt_u32_e64 s[4:5], s4, v5
	s_mov_b64 s[62:63], 0
                                        ; implicit-def: $vgpr5
	s_and_saveexec_b64 s[64:65], s[4:5]
	s_xor_b64 s[4:5], exec, s[64:65]
	s_cbranch_execz .LBB297_3034
; %bb.1529:
	v_bfe_u32 v3, v1, 20, 1
	s_mov_b32 s33, 0x487ffff
	v_add3_u32 v3, v1, v3, s33
	s_mov_b64 s[62:63], exec
	v_lshrrev_b32_e32 v5, 20, v3
	s_andn2_saveexec_b64 s[64:65], s[4:5]
	s_cbranch_execnz .LBB297_3035
.LBB297_1530:
	s_or_b64 exec, exec, s[64:65]
	v_mov_b32_e32 v3, 0
	s_and_saveexec_b64 s[4:5], s[62:63]
.LBB297_1531:
	v_lshrrev_b32_e32 v1, 24, v1
	s_movk_i32 s33, 0x80
	v_and_or_b32 v3, v1, s33, v5
.LBB297_1532:
	s_or_b64 exec, exec, s[4:5]
.LBB297_1533:
	s_or_b64 exec, exec, s[58:59]
	s_mov_b64 s[58:59], exec
	s_xor_b64 s[62:63], exec, -1
.LBB297_1534:
	s_or_b64 exec, exec, s[56:57]
	s_and_b64 s[58:59], s[58:59], exec
	s_and_b64 s[56:57], s[62:63], exec
                                        ; implicit-def: $vgpr1
.LBB297_1535:
	s_andn2_saveexec_b64 s[60:61], s[60:61]
	s_cbranch_execz .LBB297_1545
; %bb.1536:
	v_cmp_eq_u16_e64 s[4:5], 44, v1
	s_mov_b64 s[64:65], -1
	s_mov_b64 s[66:67], s[58:59]
                                        ; implicit-def: $vgpr3
	s_and_saveexec_b64 s[62:63], s[4:5]
	s_cbranch_execz .LBB297_1544
; %bb.1537:
	flat_load_ubyte v1, v[7:8]
	s_movk_i32 s4, 0xff
	v_mov_b32_e32 v3, 0x7f800001
	v_mov_b32_e32 v5, 0x400000
	s_mov_b32 s33, 0x43800000
	s_waitcnt vmcnt(0) lgkmcnt(0)
	v_lshlrev_b32_e32 v9, 23, v1
	v_cmp_ne_u32_e64 s[4:5], s4, v1
	v_cndmask_b32_e64 v3, v3, v9, s[4:5]
	v_cmp_ne_u32_e64 s[4:5], 0, v1
	v_cndmask_b32_e64 v5, v5, v3, s[4:5]
	v_cmp_gt_u32_e64 s[4:5], s33, v5
	v_mov_b32_e32 v3, 0x80
	s_and_saveexec_b64 s[64:65], s[4:5]
	s_cbranch_execz .LBB297_1543
; %bb.1538:
	s_mov_b32 s4, 0x3bffffff
	v_cmp_lt_u32_e64 s[4:5], s4, v5
	s_mov_b64 s[66:67], 0
                                        ; implicit-def: $vgpr1
	s_and_saveexec_b64 s[68:69], s[4:5]
	s_xor_b64 s[4:5], exec, s[68:69]
	s_cbranch_execz .LBB297_3036
; %bb.1539:
	v_bfe_u32 v1, v5, 20, 1
	s_mov_b32 s33, 0x487ffff
	v_add3_u32 v1, v5, v1, s33
	s_mov_b64 s[66:67], exec
	v_lshrrev_b32_e32 v1, 20, v1
                                        ; implicit-def: $vgpr5
	s_andn2_saveexec_b64 s[68:69], s[4:5]
	s_cbranch_execnz .LBB297_3037
.LBB297_1540:
	s_or_b64 exec, exec, s[68:69]
	v_mov_b32_e32 v3, 0
	s_and_saveexec_b64 s[4:5], s[66:67]
.LBB297_1541:
	v_mov_b32_e32 v3, v1
.LBB297_1542:
	s_or_b64 exec, exec, s[4:5]
.LBB297_1543:
	s_or_b64 exec, exec, s[64:65]
	s_or_b64 s[66:67], s[58:59], exec
	s_xor_b64 s[64:65], exec, -1
.LBB297_1544:
	s_or_b64 exec, exec, s[62:63]
	s_andn2_b64 s[4:5], s[58:59], exec
	s_and_b64 s[58:59], s[66:67], exec
	s_or_b64 s[58:59], s[4:5], s[58:59]
	s_andn2_b64 s[4:5], s[56:57], exec
	s_and_b64 s[56:57], s[64:65], exec
	s_or_b64 s[56:57], s[4:5], s[56:57]
.LBB297_1545:
	s_or_b64 exec, exec, s[60:61]
	s_and_b64 s[60:61], s[58:59], exec
	s_and_b64 s[58:59], s[56:57], exec
                                        ; implicit-def: $vgpr1
.LBB297_1546:
	s_andn2_saveexec_b64 s[52:53], s[52:53]
	s_cbranch_execz .LBB297_1556
; %bb.1547:
	v_cmp_eq_u16_e64 s[4:5], 29, v1
	s_mov_b64 s[62:63], -1
	s_mov_b64 s[64:65], s[60:61]
                                        ; implicit-def: $vgpr3
	s_and_saveexec_b64 s[56:57], s[4:5]
	s_cbranch_execz .LBB297_1555
; %bb.1548:
	s_waitcnt vmcnt(0) lgkmcnt(0)
	flat_load_dwordx2 v[11:12], v[7:8]
	s_mov_b32 s4, 0x43800000
	s_waitcnt vmcnt(0) lgkmcnt(0)
	v_ffbh_u32_e32 v1, v12
	v_min_u32_e32 v1, 32, v1
	v_lshlrev_b64 v[11:12], v1, v[11:12]
	v_sub_u32_e32 v1, 32, v1
	v_min_u32_e32 v3, 1, v11
	v_or_b32_e32 v3, v12, v3
	v_cvt_f32_u32_e32 v3, v3
	v_ldexp_f32 v5, v3, v1
	v_cmp_gt_u32_e64 s[4:5], s4, v5
	v_mov_b32_e32 v3, 0x80
	s_and_saveexec_b64 s[62:63], s[4:5]
	s_cbranch_execz .LBB297_1554
; %bb.1549:
	s_mov_b32 s4, 0x3bffffff
	v_cmp_lt_u32_e64 s[4:5], s4, v5
	s_mov_b64 s[64:65], 0
                                        ; implicit-def: $vgpr1
	s_and_saveexec_b64 s[66:67], s[4:5]
	s_xor_b64 s[4:5], exec, s[66:67]
	s_cbranch_execz .LBB297_3008
; %bb.1550:
	v_bfe_u32 v1, v5, 20, 1
	s_mov_b32 s33, 0x487ffff
	v_add3_u32 v1, v5, v1, s33
	s_mov_b64 s[64:65], exec
	v_lshrrev_b32_e32 v1, 20, v1
                                        ; implicit-def: $vgpr5
	s_andn2_saveexec_b64 s[66:67], s[4:5]
	s_cbranch_execnz .LBB297_3009
.LBB297_1551:
	s_or_b64 exec, exec, s[66:67]
	v_mov_b32_e32 v3, 0
	s_and_saveexec_b64 s[4:5], s[64:65]
.LBB297_1552:
	v_mov_b32_e32 v3, v1
.LBB297_1553:
	s_or_b64 exec, exec, s[4:5]
.LBB297_1554:
	s_or_b64 exec, exec, s[62:63]
	s_or_b64 s[64:65], s[60:61], exec
	s_xor_b64 s[62:63], exec, -1
.LBB297_1555:
	s_or_b64 exec, exec, s[56:57]
	s_andn2_b64 s[4:5], s[60:61], exec
	s_and_b64 s[56:57], s[64:65], exec
	s_or_b64 s[60:61], s[4:5], s[56:57]
	s_andn2_b64 s[4:5], s[58:59], exec
	s_and_b64 s[56:57], s[62:63], exec
	s_or_b64 s[58:59], s[4:5], s[56:57]
.LBB297_1556:
	s_or_b64 exec, exec, s[52:53]
	s_and_b64 s[56:57], s[60:61], exec
	s_and_b64 s[52:53], s[58:59], exec
                                        ; implicit-def: $vgpr1
.LBB297_1557:
	s_andn2_saveexec_b64 s[50:51], s[50:51]
	s_cbranch_execz .LBB297_1579
; %bb.1558:
	v_cmp_lt_i16_e64 s[4:5], 26, v1
                                        ; implicit-def: $vgpr3
	s_and_saveexec_b64 s[58:59], s[4:5]
	s_xor_b64 s[58:59], exec, s[58:59]
	s_cbranch_execz .LBB297_1576
; %bb.1559:
	v_cmp_lt_i16_e64 s[4:5], 27, v1
                                        ; implicit-def: $vgpr3
	s_and_saveexec_b64 s[60:61], s[4:5]
	s_xor_b64 s[60:61], exec, s[60:61]
	s_cbranch_execz .LBB297_1567
; %bb.1560:
	flat_load_dword v1, v[7:8]
	s_mov_b32 s4, 0x43800000
	v_mov_b32_e32 v3, 0x80
	s_waitcnt vmcnt(0) lgkmcnt(0)
	v_cvt_f32_u32_e32 v5, v1
	v_cmp_gt_u32_e64 s[4:5], s4, v5
	s_and_saveexec_b64 s[62:63], s[4:5]
	s_cbranch_execz .LBB297_1566
; %bb.1561:
	s_mov_b32 s4, 0x3bffffff
	v_cmp_lt_u32_e64 s[4:5], s4, v5
	s_mov_b64 s[64:65], 0
                                        ; implicit-def: $vgpr1
	s_and_saveexec_b64 s[66:67], s[4:5]
	s_xor_b64 s[4:5], exec, s[66:67]
	s_cbranch_execz .LBB297_3010
; %bb.1562:
	v_bfe_u32 v1, v5, 20, 1
	s_mov_b32 s33, 0x487ffff
	v_add3_u32 v1, v5, v1, s33
	s_mov_b64 s[64:65], exec
	v_lshrrev_b32_e32 v1, 20, v1
                                        ; implicit-def: $vgpr5
	s_andn2_saveexec_b64 s[66:67], s[4:5]
	s_cbranch_execnz .LBB297_3011
.LBB297_1563:
	s_or_b64 exec, exec, s[66:67]
	v_mov_b32_e32 v3, 0
	s_and_saveexec_b64 s[4:5], s[64:65]
.LBB297_1564:
	v_mov_b32_e32 v3, v1
.LBB297_1565:
	s_or_b64 exec, exec, s[4:5]
.LBB297_1566:
	s_or_b64 exec, exec, s[62:63]
.LBB297_1567:
	s_andn2_saveexec_b64 s[60:61], s[60:61]
	s_cbranch_execz .LBB297_1575
; %bb.1568:
	flat_load_ushort v1, v[7:8]
	s_mov_b32 s4, 0x43800000
	v_mov_b32_e32 v3, 0x80
	s_waitcnt vmcnt(0) lgkmcnt(0)
	v_cvt_f32_u32_e32 v5, v1
	v_cmp_gt_u32_e64 s[4:5], s4, v5
	s_and_saveexec_b64 s[62:63], s[4:5]
	s_cbranch_execz .LBB297_1574
; %bb.1569:
	s_mov_b32 s4, 0x3bffffff
	v_cmp_lt_u32_e64 s[4:5], s4, v5
	s_mov_b64 s[64:65], 0
                                        ; implicit-def: $vgpr1
	s_and_saveexec_b64 s[66:67], s[4:5]
	s_xor_b64 s[4:5], exec, s[66:67]
	s_cbranch_execz .LBB297_3012
; %bb.1570:
	v_bfe_u32 v1, v5, 20, 1
	s_mov_b32 s33, 0x487ffff
	v_add3_u32 v1, v5, v1, s33
	s_mov_b64 s[64:65], exec
	v_lshrrev_b32_e32 v1, 20, v1
                                        ; implicit-def: $vgpr5
	s_andn2_saveexec_b64 s[66:67], s[4:5]
	s_cbranch_execnz .LBB297_3013
.LBB297_1571:
	s_or_b64 exec, exec, s[66:67]
	v_mov_b32_e32 v3, 0
	s_and_saveexec_b64 s[4:5], s[64:65]
.LBB297_1572:
	v_mov_b32_e32 v3, v1
.LBB297_1573:
	s_or_b64 exec, exec, s[4:5]
.LBB297_1574:
	s_or_b64 exec, exec, s[62:63]
.LBB297_1575:
	s_or_b64 exec, exec, s[60:61]
.LBB297_1576:
	s_andn2_saveexec_b64 s[4:5], s[58:59]
	s_cbranch_execz .LBB297_1578
; %bb.1577:
	flat_load_ubyte v3, v[7:8]
.LBB297_1578:
	s_or_b64 exec, exec, s[4:5]
	s_or_b64 s[56:57], s[56:57], exec
.LBB297_1579:
	s_or_b64 exec, exec, s[50:51]
	s_and_b64 s[50:51], s[56:57], exec
	s_and_b64 s[52:53], s[52:53], exec
                                        ; implicit-def: $vgpr1
	s_andn2_saveexec_b64 s[54:55], s[54:55]
	s_cbranch_execnz .LBB297_2592
.LBB297_1580:
	s_or_b64 exec, exec, s[54:55]
	s_mov_b64 s[54:55], s[42:43]
	s_and_saveexec_b64 s[4:5], s[52:53]
	s_cbranch_execnz .LBB297_2641
.LBB297_1581:
	s_or_b64 exec, exec, s[4:5]
	s_and_saveexec_b64 s[4:5], s[46:47]
	s_xor_b64 s[46:47], exec, s[4:5]
	s_cbranch_execz .LBB297_1589
.LBB297_1582:
	flat_load_ubyte v1, v[7:8]
	s_mov_b32 s33, 0x43800000
	s_waitcnt vmcnt(0) lgkmcnt(0)
	v_mov_b32_e32 v3, 0x80
	v_cmp_ne_u16_e64 s[4:5], 0, v1
	v_cndmask_b32_e64 v5, 0, 1.0, s[4:5]
	v_cmp_gt_u32_e64 s[4:5], s33, v5
	s_and_saveexec_b64 s[52:53], s[4:5]
	s_cbranch_execz .LBB297_1588
; %bb.1583:
	s_mov_b32 s4, 0x3bffffff
	v_cmp_lt_u32_e64 s[4:5], s4, v5
	s_mov_b64 s[56:57], 0
                                        ; implicit-def: $vgpr1
	s_and_saveexec_b64 s[58:59], s[4:5]
	s_xor_b64 s[4:5], exec, s[58:59]
	s_cbranch_execz .LBB297_2779
; %bb.1584:
	v_bfe_u32 v1, v5, 20, 1
	s_mov_b32 s33, 0x487ffff
	v_add3_u32 v1, v5, v1, s33
	s_mov_b64 s[56:57], exec
	v_lshrrev_b32_e32 v1, 20, v1
                                        ; implicit-def: $vgpr5
	s_andn2_saveexec_b64 s[58:59], s[4:5]
	s_cbranch_execnz .LBB297_2780
.LBB297_1585:
	s_or_b64 exec, exec, s[58:59]
	v_mov_b32_e32 v3, 0
	s_and_saveexec_b64 s[4:5], s[56:57]
.LBB297_1586:
	v_mov_b32_e32 v3, v1
.LBB297_1587:
	s_or_b64 exec, exec, s[4:5]
.LBB297_1588:
	s_or_b64 exec, exec, s[52:53]
	s_or_b64 s[50:51], s[50:51], exec
.LBB297_1589:
	s_or_b64 exec, exec, s[46:47]
	s_andn2_b64 s[4:5], s[42:43], exec
	s_and_b64 s[46:47], s[54:55], exec
	s_or_b64 s[46:47], s[4:5], s[46:47]
	s_and_b64 s[52:53], s[50:51], exec
                                        ; implicit-def: $vgpr1
                                        ; implicit-def: $vgpr7_vgpr8
.LBB297_1590:
	s_andn2_saveexec_b64 s[48:49], s[48:49]
	s_cbranch_execz .LBB297_1698
; %bb.1591:
	v_cmp_lt_i16_e64 s[4:5], 4, v1
                                        ; implicit-def: $vgpr3
	s_and_saveexec_b64 s[50:51], s[4:5]
	s_xor_b64 s[50:51], exec, s[50:51]
	s_cbranch_execz .LBB297_1649
; %bb.1592:
	v_cmp_lt_i16_e64 s[4:5], 7, v1
                                        ; implicit-def: $vgpr3
	s_and_saveexec_b64 s[54:55], s[4:5]
	s_xor_b64 s[54:55], exec, s[54:55]
	;; [unrolled: 6-line block ×4, first 2 shown]
	s_cbranch_execz .LBB297_1602
; %bb.1595:
	flat_load_dwordx2 v[7:8], v[7:8]
	s_mov_b32 s4, 0x43800000
	s_waitcnt vmcnt(0) lgkmcnt(0)
	v_mov_b32_e32 v3, 0x80
	v_cvt_f32_f64_e32 v1, v[7:8]
	v_and_b32_e32 v5, 0x7fffffff, v1
	v_cmp_gt_u32_e64 s[4:5], s4, v5
	s_and_saveexec_b64 s[60:61], s[4:5]
	s_cbranch_execz .LBB297_1601
; %bb.1596:
	s_mov_b32 s4, 0x3bffffff
	v_cmp_lt_u32_e64 s[4:5], s4, v5
	s_mov_b64 s[62:63], 0
                                        ; implicit-def: $vgpr5
	s_and_saveexec_b64 s[64:65], s[4:5]
	s_xor_b64 s[4:5], exec, s[64:65]
	s_cbranch_execz .LBB297_3014
; %bb.1597:
	v_bfe_u32 v3, v1, 20, 1
	s_mov_b32 s33, 0x487ffff
	v_add3_u32 v3, v1, v3, s33
	s_mov_b64 s[62:63], exec
	v_lshrrev_b32_e32 v5, 20, v3
	s_andn2_saveexec_b64 s[64:65], s[4:5]
	s_cbranch_execnz .LBB297_3015
.LBB297_1598:
	s_or_b64 exec, exec, s[64:65]
	v_mov_b32_e32 v3, 0
	s_and_saveexec_b64 s[4:5], s[62:63]
.LBB297_1599:
	v_lshrrev_b32_e32 v1, 24, v1
	s_movk_i32 s33, 0x80
	v_and_or_b32 v3, v1, s33, v5
.LBB297_1600:
	s_or_b64 exec, exec, s[4:5]
.LBB297_1601:
	s_or_b64 exec, exec, s[60:61]
                                        ; implicit-def: $vgpr7_vgpr8
.LBB297_1602:
	s_andn2_saveexec_b64 s[58:59], s[58:59]
	s_cbranch_execz .LBB297_1610
; %bb.1603:
	flat_load_dword v1, v[7:8]
	s_mov_b32 s4, 0x43800000
	s_waitcnt vmcnt(0) lgkmcnt(0)
	v_mov_b32_e32 v3, 0x80
	v_and_b32_e32 v5, 0x7fffffff, v1
	v_cmp_gt_u32_e64 s[4:5], s4, v5
	s_and_saveexec_b64 s[60:61], s[4:5]
	s_cbranch_execz .LBB297_1609
; %bb.1604:
	s_mov_b32 s4, 0x3bffffff
	v_cmp_lt_u32_e64 s[4:5], s4, v5
	s_mov_b64 s[62:63], 0
                                        ; implicit-def: $vgpr5
	s_and_saveexec_b64 s[64:65], s[4:5]
	s_xor_b64 s[4:5], exec, s[64:65]
	s_cbranch_execz .LBB297_3016
; %bb.1605:
	v_bfe_u32 v3, v1, 20, 1
	s_mov_b32 s33, 0x487ffff
	v_add3_u32 v3, v1, v3, s33
	s_mov_b64 s[62:63], exec
	v_lshrrev_b32_e32 v5, 20, v3
	s_andn2_saveexec_b64 s[64:65], s[4:5]
	s_cbranch_execnz .LBB297_3017
.LBB297_1606:
	s_or_b64 exec, exec, s[64:65]
	v_mov_b32_e32 v3, 0
	s_and_saveexec_b64 s[4:5], s[62:63]
.LBB297_1607:
	v_lshrrev_b32_e32 v1, 24, v1
	s_movk_i32 s33, 0x80
	v_and_or_b32 v3, v1, s33, v5
.LBB297_1608:
	s_or_b64 exec, exec, s[4:5]
.LBB297_1609:
	s_or_b64 exec, exec, s[60:61]
.LBB297_1610:
	s_or_b64 exec, exec, s[58:59]
                                        ; implicit-def: $vgpr7_vgpr8
.LBB297_1611:
	s_andn2_saveexec_b64 s[56:57], s[56:57]
	s_cbranch_execz .LBB297_1619
; %bb.1612:
	flat_load_dword v1, v[7:8]
	s_mov_b32 s4, 0x43800000
	s_waitcnt vmcnt(0) lgkmcnt(0)
	v_mov_b32_e32 v3, 0x80
	v_cvt_f32_f16_e32 v1, v1
	v_and_b32_e32 v5, 0x7fffffff, v1
	v_cmp_gt_u32_e64 s[4:5], s4, v5
	s_and_saveexec_b64 s[58:59], s[4:5]
	s_cbranch_execz .LBB297_1618
; %bb.1613:
	s_mov_b32 s4, 0x3bffffff
	v_cmp_lt_u32_e64 s[4:5], s4, v5
	s_mov_b64 s[60:61], 0
                                        ; implicit-def: $vgpr5
	s_and_saveexec_b64 s[62:63], s[4:5]
	s_xor_b64 s[4:5], exec, s[62:63]
	s_cbranch_execz .LBB297_2941
; %bb.1614:
	v_bfe_u32 v3, v1, 20, 1
	s_mov_b32 s33, 0x487ffff
	v_add3_u32 v3, v1, v3, s33
	s_mov_b64 s[60:61], exec
	v_lshrrev_b32_e32 v5, 20, v3
	s_andn2_saveexec_b64 s[62:63], s[4:5]
	s_cbranch_execnz .LBB297_2942
.LBB297_1615:
	s_or_b64 exec, exec, s[62:63]
	v_mov_b32_e32 v3, 0
	s_and_saveexec_b64 s[4:5], s[60:61]
.LBB297_1616:
	v_lshrrev_b32_e32 v1, 24, v1
	s_movk_i32 s33, 0x80
	v_and_or_b32 v3, v1, s33, v5
.LBB297_1617:
	s_or_b64 exec, exec, s[4:5]
.LBB297_1618:
	s_or_b64 exec, exec, s[58:59]
.LBB297_1619:
	s_or_b64 exec, exec, s[56:57]
                                        ; implicit-def: $vgpr1
                                        ; implicit-def: $vgpr7_vgpr8
.LBB297_1620:
	s_andn2_saveexec_b64 s[54:55], s[54:55]
	s_cbranch_execz .LBB297_1648
; %bb.1621:
	v_cmp_lt_i16_e64 s[4:5], 5, v1
                                        ; implicit-def: $vgpr3
	s_and_saveexec_b64 s[56:57], s[4:5]
	s_xor_b64 s[56:57], exec, s[56:57]
	s_cbranch_execz .LBB297_1639
; %bb.1622:
	v_cmp_lt_i16_e64 s[4:5], 6, v1
                                        ; implicit-def: $vgpr3
	s_and_saveexec_b64 s[58:59], s[4:5]
	s_xor_b64 s[58:59], exec, s[58:59]
	s_cbranch_execz .LBB297_1630
; %bb.1623:
	flat_load_dwordx2 v[7:8], v[7:8]
	s_mov_b32 s4, 0x43800000
	s_waitcnt vmcnt(0) lgkmcnt(0)
	v_mov_b32_e32 v3, 0x80
	v_cvt_f32_f64_e32 v1, v[7:8]
	v_and_b32_e32 v5, 0x7fffffff, v1
	v_cmp_gt_u32_e64 s[4:5], s4, v5
	s_and_saveexec_b64 s[60:61], s[4:5]
	s_cbranch_execz .LBB297_1629
; %bb.1624:
	s_mov_b32 s4, 0x3bffffff
	v_cmp_lt_u32_e64 s[4:5], s4, v5
	s_mov_b64 s[62:63], 0
                                        ; implicit-def: $vgpr5
	s_and_saveexec_b64 s[64:65], s[4:5]
	s_xor_b64 s[4:5], exec, s[64:65]
	s_cbranch_execz .LBB297_3018
; %bb.1625:
	v_bfe_u32 v3, v1, 20, 1
	s_mov_b32 s33, 0x487ffff
	v_add3_u32 v3, v1, v3, s33
	s_mov_b64 s[62:63], exec
	v_lshrrev_b32_e32 v5, 20, v3
	s_andn2_saveexec_b64 s[64:65], s[4:5]
	s_cbranch_execnz .LBB297_3019
.LBB297_1626:
	s_or_b64 exec, exec, s[64:65]
	v_mov_b32_e32 v3, 0
	s_and_saveexec_b64 s[4:5], s[62:63]
.LBB297_1627:
	v_lshrrev_b32_e32 v1, 24, v1
	s_movk_i32 s33, 0x80
	v_and_or_b32 v3, v1, s33, v5
.LBB297_1628:
	s_or_b64 exec, exec, s[4:5]
.LBB297_1629:
	s_or_b64 exec, exec, s[60:61]
                                        ; implicit-def: $vgpr7_vgpr8
.LBB297_1630:
	s_andn2_saveexec_b64 s[58:59], s[58:59]
	s_cbranch_execz .LBB297_1638
; %bb.1631:
	flat_load_dword v1, v[7:8]
	s_mov_b32 s4, 0x43800000
	s_waitcnt vmcnt(0) lgkmcnt(0)
	v_mov_b32_e32 v3, 0x80
	v_and_b32_e32 v5, 0x7fffffff, v1
	v_cmp_gt_u32_e64 s[4:5], s4, v5
	s_and_saveexec_b64 s[60:61], s[4:5]
	s_cbranch_execz .LBB297_1637
; %bb.1632:
	s_mov_b32 s4, 0x3bffffff
	v_cmp_lt_u32_e64 s[4:5], s4, v5
	s_mov_b64 s[62:63], 0
                                        ; implicit-def: $vgpr5
	s_and_saveexec_b64 s[64:65], s[4:5]
	s_xor_b64 s[4:5], exec, s[64:65]
	s_cbranch_execz .LBB297_3020
; %bb.1633:
	v_bfe_u32 v3, v1, 20, 1
	s_mov_b32 s33, 0x487ffff
	v_add3_u32 v3, v1, v3, s33
	s_mov_b64 s[62:63], exec
	v_lshrrev_b32_e32 v5, 20, v3
	s_andn2_saveexec_b64 s[64:65], s[4:5]
	s_cbranch_execnz .LBB297_3021
.LBB297_1634:
	s_or_b64 exec, exec, s[64:65]
	v_mov_b32_e32 v3, 0
	s_and_saveexec_b64 s[4:5], s[62:63]
.LBB297_1635:
	v_lshrrev_b32_e32 v1, 24, v1
	s_movk_i32 s33, 0x80
	v_and_or_b32 v3, v1, s33, v5
.LBB297_1636:
	s_or_b64 exec, exec, s[4:5]
.LBB297_1637:
	s_or_b64 exec, exec, s[60:61]
.LBB297_1638:
	s_or_b64 exec, exec, s[58:59]
                                        ; implicit-def: $vgpr7_vgpr8
.LBB297_1639:
	s_andn2_saveexec_b64 s[56:57], s[56:57]
	s_cbranch_execz .LBB297_1647
; %bb.1640:
	flat_load_ushort v1, v[7:8]
	s_mov_b32 s4, 0x43800000
	s_waitcnt vmcnt(0) lgkmcnt(0)
	v_mov_b32_e32 v3, 0x80
	v_cvt_f32_f16_e32 v1, v1
	v_and_b32_e32 v5, 0x7fffffff, v1
	v_cmp_gt_u32_e64 s[4:5], s4, v5
	s_and_saveexec_b64 s[58:59], s[4:5]
	s_cbranch_execz .LBB297_1646
; %bb.1641:
	s_mov_b32 s4, 0x3bffffff
	v_cmp_lt_u32_e64 s[4:5], s4, v5
	s_mov_b64 s[60:61], 0
                                        ; implicit-def: $vgpr5
	s_and_saveexec_b64 s[62:63], s[4:5]
	s_xor_b64 s[4:5], exec, s[62:63]
	s_cbranch_execz .LBB297_2943
; %bb.1642:
	v_bfe_u32 v3, v1, 20, 1
	s_mov_b32 s33, 0x487ffff
	v_add3_u32 v3, v1, v3, s33
	s_mov_b64 s[60:61], exec
	v_lshrrev_b32_e32 v5, 20, v3
	s_andn2_saveexec_b64 s[62:63], s[4:5]
	s_cbranch_execnz .LBB297_2944
.LBB297_1643:
	s_or_b64 exec, exec, s[62:63]
	v_mov_b32_e32 v3, 0
	s_and_saveexec_b64 s[4:5], s[60:61]
.LBB297_1644:
	v_lshrrev_b32_e32 v1, 24, v1
	s_movk_i32 s33, 0x80
	v_and_or_b32 v3, v1, s33, v5
.LBB297_1645:
	s_or_b64 exec, exec, s[4:5]
.LBB297_1646:
	s_or_b64 exec, exec, s[58:59]
.LBB297_1647:
	s_or_b64 exec, exec, s[56:57]
.LBB297_1648:
	s_or_b64 exec, exec, s[54:55]
                                        ; implicit-def: $vgpr1
                                        ; implicit-def: $vgpr7_vgpr8
.LBB297_1649:
	s_andn2_saveexec_b64 s[50:51], s[50:51]
	s_cbranch_execz .LBB297_1697
; %bb.1650:
	v_cmp_lt_i16_e64 s[4:5], 1, v1
                                        ; implicit-def: $vgpr3
	s_and_saveexec_b64 s[54:55], s[4:5]
	s_xor_b64 s[54:55], exec, s[54:55]
	s_cbranch_execz .LBB297_1678
; %bb.1651:
	v_cmp_lt_i16_e64 s[4:5], 2, v1
                                        ; implicit-def: $vgpr3
	s_and_saveexec_b64 s[56:57], s[4:5]
	s_xor_b64 s[56:57], exec, s[56:57]
	;; [unrolled: 6-line block ×3, first 2 shown]
	s_cbranch_execz .LBB297_1660
; %bb.1653:
	flat_load_dwordx2 v[7:8], v[7:8]
	s_mov_b32 s4, 0x43800000
	s_waitcnt vmcnt(0) lgkmcnt(0)
	v_xor_b32_e32 v3, v7, v8
	v_ffbh_i32_e32 v1, v8
	v_ashrrev_i32_e32 v3, 31, v3
	v_add_u32_e32 v1, -1, v1
	v_add_u32_e32 v3, 32, v3
	v_min_u32_e32 v1, v1, v3
	v_lshlrev_b64 v[7:8], v1, v[7:8]
	v_sub_u32_e32 v1, 32, v1
	v_min_u32_e32 v3, 1, v7
	v_or_b32_e32 v3, v8, v3
	v_cvt_f32_i32_e32 v3, v3
	v_ldexp_f32 v1, v3, v1
	v_and_b32_e32 v5, 0x7fffffff, v1
	v_cmp_gt_u32_e64 s[4:5], s4, v5
	v_mov_b32_e32 v3, 0x80
	s_and_saveexec_b64 s[60:61], s[4:5]
	s_cbranch_execz .LBB297_1659
; %bb.1654:
	s_mov_b32 s4, 0x3bffffff
	v_cmp_lt_u32_e64 s[4:5], s4, v5
	s_mov_b64 s[62:63], 0
                                        ; implicit-def: $vgpr5
	s_and_saveexec_b64 s[64:65], s[4:5]
	s_xor_b64 s[4:5], exec, s[64:65]
	s_cbranch_execz .LBB297_3022
; %bb.1655:
	v_bfe_u32 v3, v1, 20, 1
	s_mov_b32 s33, 0x487ffff
	v_add3_u32 v3, v1, v3, s33
	s_mov_b64 s[62:63], exec
	v_lshrrev_b32_e32 v5, 20, v3
	s_andn2_saveexec_b64 s[64:65], s[4:5]
	s_cbranch_execnz .LBB297_3023
.LBB297_1656:
	s_or_b64 exec, exec, s[64:65]
	v_mov_b32_e32 v3, 0
	s_and_saveexec_b64 s[4:5], s[62:63]
.LBB297_1657:
	v_lshrrev_b32_e32 v1, 24, v1
	s_movk_i32 s33, 0x80
	v_and_or_b32 v3, v1, s33, v5
.LBB297_1658:
	s_or_b64 exec, exec, s[4:5]
.LBB297_1659:
	s_or_b64 exec, exec, s[60:61]
                                        ; implicit-def: $vgpr7_vgpr8
.LBB297_1660:
	s_andn2_saveexec_b64 s[58:59], s[58:59]
	s_cbranch_execz .LBB297_1668
; %bb.1661:
	flat_load_dword v1, v[7:8]
	s_mov_b32 s4, 0x43800000
	s_waitcnt vmcnt(0) lgkmcnt(0)
	v_mov_b32_e32 v3, 0x80
	v_cvt_f32_i32_e32 v1, v1
	v_and_b32_e32 v5, 0x7fffffff, v1
	v_cmp_gt_u32_e64 s[4:5], s4, v5
	s_and_saveexec_b64 s[60:61], s[4:5]
	s_cbranch_execz .LBB297_1667
; %bb.1662:
	s_mov_b32 s4, 0x3bffffff
	v_cmp_lt_u32_e64 s[4:5], s4, v5
	s_mov_b64 s[62:63], 0
                                        ; implicit-def: $vgpr5
	s_and_saveexec_b64 s[64:65], s[4:5]
	s_xor_b64 s[4:5], exec, s[64:65]
	s_cbranch_execz .LBB297_3024
; %bb.1663:
	v_bfe_u32 v3, v1, 20, 1
	s_mov_b32 s33, 0x487ffff
	v_add3_u32 v3, v1, v3, s33
	s_mov_b64 s[62:63], exec
	v_lshrrev_b32_e32 v5, 20, v3
	s_andn2_saveexec_b64 s[64:65], s[4:5]
	s_cbranch_execnz .LBB297_3025
.LBB297_1664:
	s_or_b64 exec, exec, s[64:65]
	v_mov_b32_e32 v3, 0
	s_and_saveexec_b64 s[4:5], s[62:63]
.LBB297_1665:
	v_lshrrev_b32_e32 v1, 24, v1
	s_movk_i32 s33, 0x80
	v_and_or_b32 v3, v1, s33, v5
.LBB297_1666:
	s_or_b64 exec, exec, s[4:5]
.LBB297_1667:
	s_or_b64 exec, exec, s[60:61]
.LBB297_1668:
	s_or_b64 exec, exec, s[58:59]
                                        ; implicit-def: $vgpr7_vgpr8
.LBB297_1669:
	s_andn2_saveexec_b64 s[56:57], s[56:57]
	s_cbranch_execz .LBB297_1677
; %bb.1670:
	flat_load_sshort v1, v[7:8]
	s_mov_b32 s4, 0x43800000
	s_waitcnt vmcnt(0) lgkmcnt(0)
	v_mov_b32_e32 v3, 0x80
	v_cvt_f32_i32_e32 v1, v1
	v_and_b32_e32 v5, 0x7fffffff, v1
	v_cmp_gt_u32_e64 s[4:5], s4, v5
	s_and_saveexec_b64 s[58:59], s[4:5]
	s_cbranch_execz .LBB297_1676
; %bb.1671:
	s_mov_b32 s4, 0x3bffffff
	v_cmp_lt_u32_e64 s[4:5], s4, v5
	s_mov_b64 s[60:61], 0
                                        ; implicit-def: $vgpr5
	s_and_saveexec_b64 s[62:63], s[4:5]
	s_xor_b64 s[4:5], exec, s[62:63]
	s_cbranch_execz .LBB297_2945
; %bb.1672:
	v_bfe_u32 v3, v1, 20, 1
	s_mov_b32 s33, 0x487ffff
	v_add3_u32 v3, v1, v3, s33
	s_mov_b64 s[60:61], exec
	v_lshrrev_b32_e32 v5, 20, v3
	s_andn2_saveexec_b64 s[62:63], s[4:5]
	s_cbranch_execnz .LBB297_2946
.LBB297_1673:
	s_or_b64 exec, exec, s[62:63]
	v_mov_b32_e32 v3, 0
	s_and_saveexec_b64 s[4:5], s[60:61]
.LBB297_1674:
	v_lshrrev_b32_e32 v1, 24, v1
	s_movk_i32 s33, 0x80
	v_and_or_b32 v3, v1, s33, v5
.LBB297_1675:
	s_or_b64 exec, exec, s[4:5]
.LBB297_1676:
	s_or_b64 exec, exec, s[58:59]
.LBB297_1677:
	s_or_b64 exec, exec, s[56:57]
                                        ; implicit-def: $vgpr1
                                        ; implicit-def: $vgpr7_vgpr8
.LBB297_1678:
	s_andn2_saveexec_b64 s[54:55], s[54:55]
	s_cbranch_execz .LBB297_1696
; %bb.1679:
	v_cmp_lt_i16_e64 s[4:5], 0, v1
                                        ; implicit-def: $vgpr3
	s_and_saveexec_b64 s[56:57], s[4:5]
	s_xor_b64 s[56:57], exec, s[56:57]
	s_cbranch_execz .LBB297_1687
; %bb.1680:
	flat_load_sbyte v1, v[7:8]
	s_mov_b32 s4, 0x43800000
	s_waitcnt vmcnt(0) lgkmcnt(0)
	v_mov_b32_e32 v3, 0x80
	v_cvt_f32_i32_e32 v1, v1
	v_and_b32_e32 v5, 0x7fffffff, v1
	v_cmp_gt_u32_e64 s[4:5], s4, v5
	s_and_saveexec_b64 s[58:59], s[4:5]
	s_cbranch_execz .LBB297_1686
; %bb.1681:
	s_mov_b32 s4, 0x3bffffff
	v_cmp_lt_u32_e64 s[4:5], s4, v5
	s_mov_b64 s[60:61], 0
                                        ; implicit-def: $vgpr5
	s_and_saveexec_b64 s[62:63], s[4:5]
	s_xor_b64 s[4:5], exec, s[62:63]
	s_cbranch_execz .LBB297_2947
; %bb.1682:
	v_bfe_u32 v3, v1, 20, 1
	s_mov_b32 s33, 0x487ffff
	v_add3_u32 v3, v1, v3, s33
	s_mov_b64 s[60:61], exec
	v_lshrrev_b32_e32 v5, 20, v3
	s_andn2_saveexec_b64 s[62:63], s[4:5]
	s_cbranch_execnz .LBB297_2948
.LBB297_1683:
	s_or_b64 exec, exec, s[62:63]
	v_mov_b32_e32 v3, 0
	s_and_saveexec_b64 s[4:5], s[60:61]
.LBB297_1684:
	v_lshrrev_b32_e32 v1, 24, v1
	s_movk_i32 s33, 0x80
	v_and_or_b32 v3, v1, s33, v5
.LBB297_1685:
	s_or_b64 exec, exec, s[4:5]
.LBB297_1686:
	s_or_b64 exec, exec, s[58:59]
                                        ; implicit-def: $vgpr7_vgpr8
.LBB297_1687:
	s_andn2_saveexec_b64 s[56:57], s[56:57]
	s_cbranch_execz .LBB297_1695
; %bb.1688:
	flat_load_ubyte v1, v[7:8]
	s_mov_b32 s4, 0x43800000
	s_waitcnt vmcnt(0) lgkmcnt(0)
	v_mov_b32_e32 v3, 0x80
	v_cvt_f32_ubyte0_e32 v5, v1
	v_cmp_gt_u32_e64 s[4:5], s4, v5
	s_and_saveexec_b64 s[58:59], s[4:5]
	s_cbranch_execz .LBB297_1694
; %bb.1689:
	s_mov_b32 s4, 0x3bffffff
	v_cmp_lt_u32_e64 s[4:5], s4, v5
	s_mov_b64 s[60:61], 0
                                        ; implicit-def: $vgpr1
	s_and_saveexec_b64 s[62:63], s[4:5]
	s_xor_b64 s[4:5], exec, s[62:63]
	s_cbranch_execz .LBB297_2949
; %bb.1690:
	v_bfe_u32 v1, v5, 20, 1
	s_mov_b32 s33, 0x487ffff
	v_add3_u32 v1, v5, v1, s33
	s_mov_b64 s[60:61], exec
	v_lshrrev_b32_e32 v1, 20, v1
                                        ; implicit-def: $vgpr5
	s_andn2_saveexec_b64 s[62:63], s[4:5]
	s_cbranch_execnz .LBB297_2950
.LBB297_1691:
	s_or_b64 exec, exec, s[62:63]
	v_mov_b32_e32 v3, 0
	s_and_saveexec_b64 s[4:5], s[60:61]
.LBB297_1692:
	v_mov_b32_e32 v3, v1
.LBB297_1693:
	s_or_b64 exec, exec, s[4:5]
.LBB297_1694:
	s_or_b64 exec, exec, s[58:59]
.LBB297_1695:
	s_or_b64 exec, exec, s[56:57]
.LBB297_1696:
	s_or_b64 exec, exec, s[54:55]
.LBB297_1697:
	s_or_b64 exec, exec, s[50:51]
	s_or_b64 s[52:53], s[52:53], exec
.LBB297_1698:
	s_or_b64 exec, exec, s[48:49]
	s_mov_b64 s[4:5], 0
	s_mov_b64 s[54:55], 0
                                        ; implicit-def: $sgpr48_sgpr49
                                        ; implicit-def: $vgpr21_vgpr22
                                        ; implicit-def: $vgpr16
	s_and_saveexec_b64 s[50:51], s[52:53]
	s_cbranch_execz .LBB297_2022
; %bb.1699:
                                        ; implicit-def: $sgpr48_sgpr49
	s_and_saveexec_b64 s[4:5], vcc
	s_xor_b64 s[4:5], exec, s[4:5]
	s_cbranch_execz .LBB297_1713
; %bb.1700:
	s_movk_i32 s33, 0x7f
	s_waitcnt vmcnt(0) lgkmcnt(0)
	v_cmp_gt_i16_sdwa s[52:53], v10, s33 src0_sel:BYTE_0 src1_sel:DWORD
	s_mov_b64 s[48:49], 0
	s_and_saveexec_b64 s[54:55], s[52:53]
	s_xor_b64 s[52:53], exec, s[54:55]
	s_cbranch_execz .LBB297_2686
; %bb.1701:
	s_movk_i32 s33, 0x80
	v_cmp_eq_u16_sdwa s[56:57], v10, s33 src0_sel:BYTE_0 src1_sel:DWORD
	s_mov_b64 s[48:49], -1
	s_and_saveexec_b64 s[54:55], s[56:57]
; %bb.1702:
	s_xor_b64 s[48:49], exec, -1
; %bb.1703:
	s_or_b64 exec, exec, s[54:55]
	s_and_b64 s[48:49], s[48:49], exec
	s_or_saveexec_b64 s[52:53], s[52:53]
	v_mov_b32_e32 v1, 0x7f800001
	s_xor_b64 exec, exec, s[52:53]
	s_cbranch_execnz .LBB297_2687
.LBB297_1704:
	s_or_b64 exec, exec, s[52:53]
	s_and_saveexec_b64 s[52:53], s[48:49]
	s_cbranch_execz .LBB297_1706
.LBB297_1705:
	v_and_b32_e32 v5, 7, v10
	v_ffbh_u32_e32 v7, v5
	v_min_u32_e32 v7, 32, v7
	v_lshrrev_b16_e32 v1, 3, v10
	v_subrev_u32_e32 v8, 28, v7
	v_and_b32_e32 v1, 15, v1
	v_lshlrev_b32_e32 v8, v8, v10
	v_sub_u32_e32 v7, 29, v7
	v_and_b32_e32 v8, 7, v8
	v_cmp_eq_u32_e32 vcc, 0, v1
	v_cndmask_b32_e32 v1, v1, v7, vcc
	v_cndmask_b32_e32 v5, v5, v8, vcc
	v_lshlrev_b32_e32 v7, 24, v10
	v_mov_b32_e32 v8, 0x3b800000
	v_lshlrev_b32_e32 v5, 20, v5
	v_and_b32_e32 v7, 0x80000000, v7
	v_lshl_add_u32 v1, v1, 23, v8
	v_or3_b32 v1, v7, v1, v5
.LBB297_1706:
	s_or_b64 exec, exec, s[52:53]
	s_movk_i32 s33, 0x7f
	v_cmp_gt_i16_sdwa s[52:53], v3, s33 src0_sel:BYTE_0 src1_sel:DWORD
	s_mov_b64 s[48:49], 0
	s_and_saveexec_b64 s[54:55], s[52:53]
	s_xor_b64 s[52:53], exec, s[54:55]
	s_cbranch_execz .LBB297_2688
; %bb.1707:
	s_movk_i32 s33, 0x80
	v_cmp_eq_u16_sdwa s[56:57], v3, s33 src0_sel:BYTE_0 src1_sel:DWORD
	s_mov_b64 s[48:49], -1
	s_and_saveexec_b64 s[54:55], s[56:57]
; %bb.1708:
	s_xor_b64 s[48:49], exec, -1
; %bb.1709:
	s_or_b64 exec, exec, s[54:55]
	s_and_b64 s[48:49], s[48:49], exec
	s_or_saveexec_b64 s[52:53], s[52:53]
	v_mov_b32_e32 v5, 0x7f800001
	s_xor_b64 exec, exec, s[52:53]
	s_cbranch_execnz .LBB297_2689
.LBB297_1710:
	s_or_b64 exec, exec, s[52:53]
	s_and_saveexec_b64 s[52:53], s[48:49]
	s_cbranch_execz .LBB297_1712
.LBB297_1711:
	v_and_b32_e32 v7, 7, v3
	v_ffbh_u32_e32 v8, v7
	v_min_u32_e32 v8, 32, v8
	v_lshrrev_b16_e32 v5, 3, v3
	v_subrev_u32_e32 v9, 28, v8
	v_and_b32_e32 v5, 15, v5
	v_lshlrev_b32_e32 v9, v9, v3
	v_sub_u32_e32 v8, 29, v8
	v_and_b32_e32 v9, 7, v9
	v_cmp_eq_u32_e32 vcc, 0, v5
	v_cndmask_b32_e32 v5, v5, v8, vcc
	v_cndmask_b32_e32 v7, v7, v9, vcc
	v_lshlrev_b32_e32 v3, 24, v3
	v_mov_b32_e32 v8, 0x3b800000
	v_lshlrev_b32_e32 v7, 20, v7
	v_and_b32_e32 v3, 0x80000000, v3
	v_lshl_add_u32 v5, v5, 23, v8
	v_or3_b32 v5, v3, v5, v7
.LBB297_1712:
	s_or_b64 exec, exec, s[52:53]
	v_cmp_neq_f32_e64 s[48:49], v1, v5
                                        ; implicit-def: $vgpr3
                                        ; implicit-def: $vgpr10
.LBB297_1713:
	s_andn2_saveexec_b64 s[4:5], s[4:5]
	s_cbranch_execz .LBB297_1727
; %bb.1714:
	s_movk_i32 s33, 0x7f
	s_waitcnt vmcnt(0) lgkmcnt(0)
	v_cmp_gt_i16_sdwa s[54:55], v10, s33 src0_sel:BYTE_0 src1_sel:DWORD
	s_mov_b64 s[52:53], 0
	s_and_saveexec_b64 s[56:57], s[54:55]
	s_xor_b64 s[54:55], exec, s[56:57]
	s_cbranch_execz .LBB297_2690
; %bb.1715:
	s_movk_i32 s33, 0x80
	v_cmp_eq_u16_sdwa s[58:59], v10, s33 src0_sel:BYTE_0 src1_sel:DWORD
	s_mov_b64 s[52:53], -1
	s_and_saveexec_b64 s[56:57], s[58:59]
; %bb.1716:
	s_xor_b64 s[52:53], exec, -1
; %bb.1717:
	s_or_b64 exec, exec, s[56:57]
	s_and_b64 s[52:53], s[52:53], exec
	s_or_saveexec_b64 s[54:55], s[54:55]
	v_mov_b32_e32 v1, 0x7f800001
	s_xor_b64 exec, exec, s[54:55]
	s_cbranch_execnz .LBB297_2691
.LBB297_1718:
	s_or_b64 exec, exec, s[54:55]
	s_and_saveexec_b64 s[54:55], s[52:53]
	s_cbranch_execz .LBB297_1720
.LBB297_1719:
	v_and_b32_e32 v5, 7, v10
	v_ffbh_u32_e32 v7, v5
	v_min_u32_e32 v7, 32, v7
	v_lshrrev_b16_e32 v1, 3, v10
	v_subrev_u32_e32 v8, 28, v7
	v_and_b32_e32 v1, 15, v1
	v_lshlrev_b32_e32 v8, v8, v10
	v_sub_u32_e32 v7, 29, v7
	v_and_b32_e32 v8, 7, v8
	v_cmp_eq_u32_e32 vcc, 0, v1
	v_cndmask_b32_e32 v1, v1, v7, vcc
	v_cndmask_b32_e32 v5, v5, v8, vcc
	v_lshlrev_b32_e32 v7, 24, v10
	v_mov_b32_e32 v8, 0x3b800000
	v_lshlrev_b32_e32 v5, 20, v5
	v_and_b32_e32 v7, 0x80000000, v7
	v_lshl_add_u32 v1, v1, 23, v8
	v_or3_b32 v1, v7, v1, v5
.LBB297_1720:
	s_or_b64 exec, exec, s[54:55]
	s_movk_i32 s33, 0x7f
	v_cmp_gt_i16_sdwa s[54:55], v3, s33 src0_sel:BYTE_0 src1_sel:DWORD
	s_mov_b64 s[52:53], 0
	s_and_saveexec_b64 s[56:57], s[54:55]
	s_xor_b64 s[54:55], exec, s[56:57]
	s_cbranch_execz .LBB297_2692
; %bb.1721:
	s_movk_i32 s33, 0x80
	v_cmp_eq_u16_sdwa s[58:59], v3, s33 src0_sel:BYTE_0 src1_sel:DWORD
	s_mov_b64 s[52:53], -1
	s_and_saveexec_b64 s[56:57], s[58:59]
; %bb.1722:
	s_xor_b64 s[52:53], exec, -1
; %bb.1723:
	s_or_b64 exec, exec, s[56:57]
	s_and_b64 s[52:53], s[52:53], exec
	s_or_saveexec_b64 s[54:55], s[54:55]
	v_mov_b32_e32 v5, 0x7f800001
	s_xor_b64 exec, exec, s[54:55]
	s_cbranch_execnz .LBB297_2693
.LBB297_1724:
	s_or_b64 exec, exec, s[54:55]
	s_and_saveexec_b64 s[54:55], s[52:53]
	s_cbranch_execz .LBB297_1726
.LBB297_1725:
	v_and_b32_e32 v7, 7, v3
	v_ffbh_u32_e32 v8, v7
	v_min_u32_e32 v8, 32, v8
	v_lshrrev_b16_e32 v5, 3, v3
	v_subrev_u32_e32 v9, 28, v8
	v_and_b32_e32 v5, 15, v5
	v_lshlrev_b32_e32 v9, v9, v3
	v_sub_u32_e32 v8, 29, v8
	v_and_b32_e32 v9, 7, v9
	v_cmp_eq_u32_e32 vcc, 0, v5
	v_cndmask_b32_e32 v5, v5, v8, vcc
	v_cndmask_b32_e32 v7, v7, v9, vcc
	v_lshlrev_b32_e32 v3, 24, v3
	v_mov_b32_e32 v8, 0x3b800000
	v_lshlrev_b32_e32 v7, 20, v7
	v_and_b32_e32 v3, 0x80000000, v3
	v_lshl_add_u32 v5, v5, 23, v8
	v_or3_b32 v5, v3, v5, v7
.LBB297_1726:
	s_or_b64 exec, exec, s[54:55]
	v_cmp_eq_f32_e32 vcc, v1, v5
	s_andn2_b64 s[48:49], s[48:49], exec
	s_and_b64 s[52:53], vcc, exec
	s_or_b64 s[48:49], s[48:49], s[52:53]
.LBB297_1727:
	s_or_b64 exec, exec, s[4:5]
	buffer_load_ubyte v1, off, s[0:3], 0 offset:436
	v_add_co_u32_e32 v5, vcc, v19, v6
	v_addc_co_u32_e32 v6, vcc, 0, v23, vcc
	s_mov_b64 s[4:5], 0
	s_mov_b64 s[52:53], s[46:47]
	s_waitcnt vmcnt(0)
	v_cmp_lt_i16_e32 vcc, 10, v1
	s_and_saveexec_b64 s[54:55], vcc
	s_xor_b64 s[54:55], exec, s[54:55]
	s_cbranch_execz .LBB297_1768
; %bb.1728:
	v_cmp_lt_i16_e32 vcc, 25, v1
	s_mov_b64 s[56:57], 0
	s_mov_b64 s[52:53], 0
	s_and_saveexec_b64 s[58:59], vcc
	s_xor_b64 s[58:59], exec, s[58:59]
	s_cbranch_execz .LBB297_2694
; %bb.1729:
	v_cmp_lt_i16_e32 vcc, 28, v1
	s_mov_b64 s[60:61], 0
	s_and_saveexec_b64 s[52:53], vcc
	s_xor_b64 s[52:53], exec, s[52:53]
	s_cbranch_execz .LBB297_1747
; %bb.1730:
	v_cmp_lt_i16_e32 vcc, 43, v1
	;; [unrolled: 6-line block ×3, first 2 shown]
	s_mov_b64 s[64:65], 0
	s_and_saveexec_b64 s[4:5], vcc
	s_xor_b64 s[4:5], exec, s[4:5]
	s_cbranch_execz .LBB297_1735
; %bb.1732:
	v_cmp_eq_u16_e32 vcc, 46, v1
	s_mov_b64 s[66:67], -1
	s_and_saveexec_b64 s[64:65], vcc
	s_cbranch_execz .LBB297_1734
; %bb.1733:
	v_cndmask_b32_e64 v1, 0, 1.0, s[22:23]
	s_waitcnt lgkmcnt(0)
	v_bfe_u32 v3, v1, 16, 1
	s_movk_i32 s33, 0x7fff
	v_add3_u32 v1, v1, v3, s33
	v_lshrrev_b32_e32 v1, 16, v1
	s_mov_b64 s[62:63], exec
	flat_store_dword v[5:6], v1
	s_xor_b64 s[66:67], exec, -1
.LBB297_1734:
	s_or_b64 exec, exec, s[64:65]
	s_and_b64 s[64:65], s[62:63], exec
	s_and_b64 s[62:63], s[66:67], exec
                                        ; implicit-def: $vgpr1
.LBB297_1735:
	s_andn2_saveexec_b64 s[66:67], s[4:5]
	s_cbranch_execz .LBB297_1741
; %bb.1736:
	v_cmp_eq_u16_e32 vcc, 44, v1
	s_mov_b64 s[4:5], -1
	s_mov_b64 s[70:71], s[64:65]
	s_and_saveexec_b64 s[68:69], vcc
	s_cbranch_execz .LBB297_1740
; %bb.1737:
	s_waitcnt lgkmcnt(0)
	v_cndmask_b32_e64 v3, 0, 1.0, s[22:23]
	v_lshrrev_b32_e32 v1, 23, v3
	s_movk_i32 s4, 0xff
	v_cmp_ne_u32_e32 vcc, s4, v1
	v_mov_b32_e32 v7, 0xff
	s_and_saveexec_b64 s[70:71], vcc
; %bb.1738:
	s_mov_b32 s4, 0x3fffff
	v_and_b32_e32 v7, 0x400000, v3
	v_and_or_b32 v3, v3, s4, v1
	v_cmp_ne_u32_e32 vcc, 0, v7
	v_cmp_ne_u32_e64 s[4:5], 0, v3
	s_and_b64 s[4:5], vcc, s[4:5]
	v_cndmask_b32_e64 v3, 0, 1, s[4:5]
	v_add_u32_e32 v7, v1, v3
; %bb.1739:
	s_or_b64 exec, exec, s[70:71]
	s_or_b64 s[70:71], s[64:65], exec
	s_xor_b64 s[4:5], exec, -1
	flat_store_byte v[5:6], v7
.LBB297_1740:
	s_or_b64 exec, exec, s[68:69]
	s_andn2_b64 s[64:65], s[64:65], exec
	s_and_b64 s[68:69], s[70:71], exec
	s_andn2_b64 s[62:63], s[62:63], exec
	s_and_b64 s[4:5], s[4:5], exec
	s_or_b64 s[64:65], s[64:65], s[68:69]
	s_or_b64 s[62:63], s[62:63], s[4:5]
.LBB297_1741:
	s_or_b64 exec, exec, s[66:67]
	s_and_b64 s[4:5], s[64:65], exec
	s_and_b64 s[62:63], s[62:63], exec
                                        ; implicit-def: $vgpr1
.LBB297_1742:
	s_andn2_saveexec_b64 s[60:61], s[60:61]
	s_cbranch_execz .LBB297_1746
; %bb.1743:
	v_cmp_eq_u16_e32 vcc, 29, v1
	s_mov_b64 s[64:65], -1
	s_mov_b64 s[68:69], s[4:5]
	s_and_saveexec_b64 s[66:67], vcc
	s_cbranch_execz .LBB297_1745
; %bb.1744:
	s_mov_b32 s33, 0
	v_cndmask_b32_e64 v7, 0, 1, s[22:23]
	v_mov_b32_e32 v8, s33
	flat_store_dwordx2 v[5:6], v[7:8]
	s_or_b64 s[68:69], s[4:5], exec
	s_xor_b64 s[64:65], exec, -1
.LBB297_1745:
	s_or_b64 exec, exec, s[66:67]
	s_andn2_b64 s[4:5], s[4:5], exec
	s_and_b64 s[66:67], s[68:69], exec
	s_andn2_b64 s[62:63], s[62:63], exec
	s_and_b64 s[64:65], s[64:65], exec
	s_or_b64 s[4:5], s[4:5], s[66:67]
	s_or_b64 s[62:63], s[62:63], s[64:65]
.LBB297_1746:
	s_or_b64 exec, exec, s[60:61]
	s_and_b64 s[4:5], s[4:5], exec
	s_and_b64 s[60:61], s[62:63], exec
                                        ; implicit-def: $vgpr1
.LBB297_1747:
	s_andn2_saveexec_b64 s[52:53], s[52:53]
	s_cbranch_execz .LBB297_1763
; %bb.1748:
	v_cmp_lt_i16_e32 vcc, 26, v1
	s_and_saveexec_b64 s[62:63], vcc
	s_xor_b64 s[62:63], exec, s[62:63]
	s_cbranch_execz .LBB297_1754
; %bb.1749:
	v_cmp_lt_i16_e32 vcc, 27, v1
	s_and_saveexec_b64 s[64:65], vcc
	s_xor_b64 s[64:65], exec, s[64:65]
	s_cbranch_execz .LBB297_1751
; %bb.1750:
	v_cndmask_b32_e64 v1, 0, 1, s[22:23]
	flat_store_dword v[5:6], v1
.LBB297_1751:
	s_andn2_saveexec_b64 s[64:65], s[64:65]
	s_cbranch_execz .LBB297_1753
; %bb.1752:
	v_cndmask_b32_e64 v1, 0, 1, s[22:23]
	flat_store_short v[5:6], v1
.LBB297_1753:
	s_or_b64 exec, exec, s[64:65]
.LBB297_1754:
	s_andn2_saveexec_b64 s[62:63], s[62:63]
	s_cbranch_execz .LBB297_1762
; %bb.1755:
	s_waitcnt lgkmcnt(0)
	v_cndmask_b32_e64 v3, 0, 1.0, s[22:23]
	s_mov_b32 s33, 0x43800000
	v_cmp_gt_u32_e32 vcc, s33, v3
	v_mov_b32_e32 v7, 0x80
	s_and_saveexec_b64 s[64:65], vcc
	s_cbranch_execz .LBB297_1761
; %bb.1756:
	s_mov_b32 s33, 0x3bffffff
	v_cmp_lt_u32_e32 vcc, s33, v3
	s_mov_b64 s[66:67], 0
                                        ; implicit-def: $vgpr1
	s_and_saveexec_b64 s[68:69], vcc
	s_xor_b64 s[68:69], exec, s[68:69]
	s_cbranch_execz .LBB297_3026
; %bb.1757:
	v_bfe_u32 v1, v3, 20, 1
	s_mov_b32 s33, 0x487ffff
	v_add3_u32 v1, v3, v1, s33
	s_mov_b64 s[66:67], exec
	v_lshrrev_b32_e32 v1, 20, v1
                                        ; implicit-def: $vgpr3
	s_andn2_saveexec_b64 s[68:69], s[68:69]
	s_cbranch_execnz .LBB297_3027
.LBB297_1758:
	s_or_b64 exec, exec, s[68:69]
	v_mov_b32_e32 v7, 0
	s_and_saveexec_b64 s[68:69], s[66:67]
.LBB297_1759:
	v_mov_b32_e32 v7, v1
.LBB297_1760:
	s_or_b64 exec, exec, s[68:69]
.LBB297_1761:
	s_or_b64 exec, exec, s[64:65]
	flat_store_byte v[5:6], v7
.LBB297_1762:
	s_or_b64 exec, exec, s[62:63]
	s_or_b64 s[4:5], s[4:5], exec
.LBB297_1763:
	s_or_b64 exec, exec, s[52:53]
	s_and_b64 s[4:5], s[4:5], exec
	s_and_b64 s[52:53], s[60:61], exec
                                        ; implicit-def: $vgpr1
	s_andn2_saveexec_b64 s[58:59], s[58:59]
	s_cbranch_execnz .LBB297_2695
.LBB297_1764:
	s_or_b64 exec, exec, s[58:59]
	s_mov_b64 s[58:59], s[46:47]
	s_and_saveexec_b64 s[60:61], s[52:53]
	s_cbranch_execnz .LBB297_2736
.LBB297_1765:
	s_or_b64 exec, exec, s[60:61]
	s_and_saveexec_b64 s[52:53], s[56:57]
	s_xor_b64 s[52:53], exec, s[52:53]
	s_cbranch_execz .LBB297_1767
.LBB297_1766:
	v_cndmask_b32_e64 v1, 0, 1, s[22:23]
	flat_store_byte v[5:6], v1
	s_or_b64 s[4:5], s[4:5], exec
.LBB297_1767:
	s_or_b64 exec, exec, s[52:53]
	s_andn2_b64 s[52:53], s[46:47], exec
	s_and_b64 s[56:57], s[58:59], exec
	s_or_b64 s[52:53], s[52:53], s[56:57]
	s_and_b64 s[4:5], s[4:5], exec
                                        ; implicit-def: $vgpr1
                                        ; implicit-def: $vgpr5_vgpr6
.LBB297_1768:
	s_andn2_saveexec_b64 s[54:55], s[54:55]
	s_cbranch_execz .LBB297_1810
; %bb.1769:
	v_cmp_lt_i16_e32 vcc, 4, v1
	s_and_saveexec_b64 s[56:57], vcc
	s_xor_b64 s[56:57], exec, s[56:57]
	s_cbranch_execz .LBB297_1791
; %bb.1770:
	v_cmp_lt_i16_e32 vcc, 7, v1
	s_and_saveexec_b64 s[58:59], vcc
	s_xor_b64 s[58:59], exec, s[58:59]
	;; [unrolled: 5-line block ×4, first 2 shown]
	s_cbranch_execz .LBB297_1774
; %bb.1773:
	v_cndmask_b32_e64 v1, 0, 1, s[22:23]
	v_cvt_f64_u32_e32 v[7:8], v1
	v_mov_b32_e32 v9, 0
	s_waitcnt lgkmcnt(0)
	v_mov_b32_e32 v10, v9
	flat_store_dwordx4 v[5:6], v[7:10]
                                        ; implicit-def: $vgpr5_vgpr6
.LBB297_1774:
	s_andn2_saveexec_b64 s[62:63], s[62:63]
	s_cbranch_execz .LBB297_1776
; %bb.1775:
	v_cndmask_b32_e64 v7, 0, 1.0, s[22:23]
	v_mov_b32_e32 v8, 0
	flat_store_dwordx2 v[5:6], v[7:8]
.LBB297_1776:
	s_or_b64 exec, exec, s[62:63]
                                        ; implicit-def: $vgpr5_vgpr6
.LBB297_1777:
	s_andn2_saveexec_b64 s[60:61], s[60:61]
	s_cbranch_execz .LBB297_1779
; %bb.1778:
	v_cndmask_b32_e64 v1, 0, 1.0, s[22:23]
	v_cvt_f16_f32_e32 v1, v1
	flat_store_dword v[5:6], v1
.LBB297_1779:
	s_or_b64 exec, exec, s[60:61]
                                        ; implicit-def: $vgpr5_vgpr6
                                        ; implicit-def: $vgpr1
.LBB297_1780:
	s_andn2_saveexec_b64 s[58:59], s[58:59]
	s_cbranch_execz .LBB297_1790
; %bb.1781:
	v_cmp_lt_i16_e32 vcc, 5, v1
	s_and_saveexec_b64 s[60:61], vcc
	s_xor_b64 s[60:61], exec, s[60:61]
	s_cbranch_execz .LBB297_1787
; %bb.1782:
	v_cmp_lt_i16_e32 vcc, 6, v1
	s_and_saveexec_b64 s[62:63], vcc
	s_xor_b64 s[62:63], exec, s[62:63]
	s_cbranch_execz .LBB297_1784
; %bb.1783:
	v_cndmask_b32_e64 v1, 0, 1, s[22:23]
	v_cvt_f64_u32_e32 v[7:8], v1
	flat_store_dwordx2 v[5:6], v[7:8]
                                        ; implicit-def: $vgpr5_vgpr6
.LBB297_1784:
	s_andn2_saveexec_b64 s[62:63], s[62:63]
	s_cbranch_execz .LBB297_1786
; %bb.1785:
	v_cndmask_b32_e64 v1, 0, 1.0, s[22:23]
	flat_store_dword v[5:6], v1
.LBB297_1786:
	s_or_b64 exec, exec, s[62:63]
                                        ; implicit-def: $vgpr5_vgpr6
.LBB297_1787:
	s_andn2_saveexec_b64 s[60:61], s[60:61]
	s_cbranch_execz .LBB297_1789
; %bb.1788:
	v_cndmask_b32_e64 v1, 0, 1.0, s[22:23]
	v_cvt_f16_f32_e32 v1, v1
	flat_store_short v[5:6], v1
.LBB297_1789:
	s_or_b64 exec, exec, s[60:61]
.LBB297_1790:
	s_or_b64 exec, exec, s[58:59]
                                        ; implicit-def: $vgpr1
                                        ; implicit-def: $vgpr5_vgpr6
.LBB297_1791:
	s_andn2_saveexec_b64 s[56:57], s[56:57]
	s_cbranch_execz .LBB297_1809
; %bb.1792:
	v_cmp_lt_i16_e32 vcc, 1, v1
	s_and_saveexec_b64 s[58:59], vcc
	s_xor_b64 s[58:59], exec, s[58:59]
	s_cbranch_execz .LBB297_1802
; %bb.1793:
	v_cmp_lt_i16_e32 vcc, 2, v1
	s_and_saveexec_b64 s[60:61], vcc
	s_xor_b64 s[60:61], exec, s[60:61]
	;; [unrolled: 5-line block ×3, first 2 shown]
	s_cbranch_execz .LBB297_1796
; %bb.1795:
	s_mov_b32 s33, 0
	v_cndmask_b32_e64 v7, 0, 1, s[22:23]
	v_mov_b32_e32 v8, s33
	flat_store_dwordx2 v[5:6], v[7:8]
                                        ; implicit-def: $vgpr5_vgpr6
.LBB297_1796:
	s_andn2_saveexec_b64 s[62:63], s[62:63]
	s_cbranch_execz .LBB297_1798
; %bb.1797:
	v_cndmask_b32_e64 v1, 0, 1, s[22:23]
	flat_store_dword v[5:6], v1
.LBB297_1798:
	s_or_b64 exec, exec, s[62:63]
                                        ; implicit-def: $vgpr5_vgpr6
.LBB297_1799:
	s_andn2_saveexec_b64 s[60:61], s[60:61]
	s_cbranch_execz .LBB297_1801
; %bb.1800:
	v_cndmask_b32_e64 v1, 0, 1, s[22:23]
	flat_store_short v[5:6], v1
.LBB297_1801:
	s_or_b64 exec, exec, s[60:61]
                                        ; implicit-def: $vgpr5_vgpr6
                                        ; implicit-def: $vgpr1
.LBB297_1802:
	s_andn2_saveexec_b64 s[58:59], s[58:59]
	s_cbranch_execz .LBB297_1808
; %bb.1803:
	v_cmp_lt_i16_e32 vcc, 0, v1
	v_cndmask_b32_e64 v1, 0, 1, s[22:23]
	s_and_saveexec_b64 s[22:23], vcc
	s_xor_b64 s[22:23], exec, s[22:23]
	s_cbranch_execz .LBB297_1805
; %bb.1804:
	flat_store_byte v[5:6], v1
                                        ; implicit-def: $vgpr5_vgpr6
                                        ; implicit-def: $vgpr1
.LBB297_1805:
	s_andn2_saveexec_b64 s[22:23], s[22:23]
	s_cbranch_execz .LBB297_1807
; %bb.1806:
	flat_store_byte v[5:6], v1
.LBB297_1807:
	s_or_b64 exec, exec, s[22:23]
.LBB297_1808:
	s_or_b64 exec, exec, s[58:59]
.LBB297_1809:
	s_or_b64 exec, exec, s[56:57]
	s_or_b64 s[4:5], s[4:5], exec
.LBB297_1810:
	s_or_b64 exec, exec, s[54:55]
	s_mov_b64 s[56:57], 0
	s_mov_b64 s[60:61], 0
                                        ; implicit-def: $vgpr21_vgpr22
                                        ; implicit-def: $vgpr16
	s_and_saveexec_b64 s[22:23], s[4:5]
	s_cbranch_execz .LBB297_2021
; %bb.1811:
	buffer_load_ubyte v1, off, s[0:3], 0 offset:436
	s_waitcnt lgkmcnt(0)
	v_add_co_u32_e32 v3, vcc, v19, v4
	v_addc_co_u32_e32 v4, vcc, 0, v23, vcc
	s_mov_b64 s[4:5], 0
	s_mov_b64 s[54:55], s[52:53]
	s_waitcnt vmcnt(0)
	v_cmp_lt_i16_e32 vcc, 10, v1
	s_and_saveexec_b64 s[56:57], vcc
	s_xor_b64 s[56:57], exec, s[56:57]
	s_cbranch_execz .LBB297_1852
; %bb.1812:
	v_cmp_lt_i16_e32 vcc, 25, v1
	s_mov_b64 s[58:59], 0
	s_mov_b64 s[54:55], 0
	s_and_saveexec_b64 s[60:61], vcc
	s_xor_b64 s[60:61], exec, s[60:61]
	s_cbranch_execz .LBB297_2781
; %bb.1813:
	v_cmp_lt_i16_e32 vcc, 28, v1
	s_mov_b64 s[62:63], 0
	s_and_saveexec_b64 s[54:55], vcc
	s_xor_b64 s[54:55], exec, s[54:55]
	s_cbranch_execz .LBB297_1831
; %bb.1814:
	v_cmp_lt_i16_e32 vcc, 43, v1
	;; [unrolled: 6-line block ×3, first 2 shown]
	s_mov_b64 s[66:67], 0
	s_and_saveexec_b64 s[4:5], vcc
	s_xor_b64 s[4:5], exec, s[4:5]
	s_cbranch_execz .LBB297_1819
; %bb.1816:
	v_cmp_eq_u16_e32 vcc, 46, v1
	s_mov_b64 s[68:69], -1
	s_and_saveexec_b64 s[66:67], vcc
	s_cbranch_execz .LBB297_1818
; %bb.1817:
	v_cndmask_b32_e64 v1, 0, 1.0, s[30:31]
	v_bfe_u32 v5, v1, 16, 1
	s_movk_i32 s33, 0x7fff
	v_add3_u32 v1, v1, v5, s33
	v_lshrrev_b32_e32 v1, 16, v1
	s_mov_b64 s[64:65], exec
	flat_store_dword v[3:4], v1
	s_xor_b64 s[68:69], exec, -1
.LBB297_1818:
	s_or_b64 exec, exec, s[66:67]
	s_and_b64 s[66:67], s[64:65], exec
	s_and_b64 s[64:65], s[68:69], exec
                                        ; implicit-def: $vgpr1
.LBB297_1819:
	s_andn2_saveexec_b64 s[68:69], s[4:5]
	s_cbranch_execz .LBB297_1825
; %bb.1820:
	v_cmp_eq_u16_e32 vcc, 44, v1
	s_mov_b64 s[4:5], -1
	s_mov_b64 s[72:73], s[66:67]
	s_and_saveexec_b64 s[70:71], vcc
	s_cbranch_execz .LBB297_1824
; %bb.1821:
	v_cndmask_b32_e64 v5, 0, 1.0, s[30:31]
	v_lshrrev_b32_e32 v1, 23, v5
	s_movk_i32 s4, 0xff
	v_cmp_ne_u32_e32 vcc, s4, v1
	v_mov_b32_e32 v6, 0xff
	s_and_saveexec_b64 s[72:73], vcc
; %bb.1822:
	s_mov_b32 s4, 0x3fffff
	v_and_b32_e32 v6, 0x400000, v5
	v_and_or_b32 v5, v5, s4, v1
	v_cmp_ne_u32_e32 vcc, 0, v6
	v_cmp_ne_u32_e64 s[4:5], 0, v5
	s_and_b64 s[4:5], vcc, s[4:5]
	v_cndmask_b32_e64 v5, 0, 1, s[4:5]
	v_add_u32_e32 v6, v1, v5
; %bb.1823:
	s_or_b64 exec, exec, s[72:73]
	s_or_b64 s[72:73], s[66:67], exec
	s_xor_b64 s[4:5], exec, -1
	flat_store_byte v[3:4], v6
.LBB297_1824:
	s_or_b64 exec, exec, s[70:71]
	s_andn2_b64 s[66:67], s[66:67], exec
	s_and_b64 s[70:71], s[72:73], exec
	s_andn2_b64 s[64:65], s[64:65], exec
	s_and_b64 s[4:5], s[4:5], exec
	s_or_b64 s[66:67], s[66:67], s[70:71]
	s_or_b64 s[64:65], s[64:65], s[4:5]
.LBB297_1825:
	s_or_b64 exec, exec, s[68:69]
	s_and_b64 s[4:5], s[66:67], exec
	s_and_b64 s[64:65], s[64:65], exec
                                        ; implicit-def: $vgpr1
.LBB297_1826:
	s_andn2_saveexec_b64 s[62:63], s[62:63]
	s_cbranch_execz .LBB297_1830
; %bb.1827:
	v_cmp_eq_u16_e32 vcc, 29, v1
	s_mov_b64 s[66:67], -1
	s_mov_b64 s[70:71], s[4:5]
	s_and_saveexec_b64 s[68:69], vcc
	s_cbranch_execz .LBB297_1829
; %bb.1828:
	s_mov_b32 s33, 0
	v_cndmask_b32_e64 v5, 0, 1, s[30:31]
	v_mov_b32_e32 v6, s33
	flat_store_dwordx2 v[3:4], v[5:6]
	s_or_b64 s[70:71], s[4:5], exec
	s_xor_b64 s[66:67], exec, -1
.LBB297_1829:
	s_or_b64 exec, exec, s[68:69]
	s_andn2_b64 s[4:5], s[4:5], exec
	s_and_b64 s[68:69], s[70:71], exec
	s_andn2_b64 s[64:65], s[64:65], exec
	s_and_b64 s[66:67], s[66:67], exec
	s_or_b64 s[4:5], s[4:5], s[68:69]
	s_or_b64 s[64:65], s[64:65], s[66:67]
.LBB297_1830:
	s_or_b64 exec, exec, s[62:63]
	s_and_b64 s[4:5], s[4:5], exec
	s_and_b64 s[62:63], s[64:65], exec
                                        ; implicit-def: $vgpr1
.LBB297_1831:
	s_andn2_saveexec_b64 s[54:55], s[54:55]
	s_cbranch_execz .LBB297_1847
; %bb.1832:
	v_cmp_lt_i16_e32 vcc, 26, v1
	s_and_saveexec_b64 s[64:65], vcc
	s_xor_b64 s[64:65], exec, s[64:65]
	s_cbranch_execz .LBB297_1838
; %bb.1833:
	v_cmp_lt_i16_e32 vcc, 27, v1
	s_and_saveexec_b64 s[66:67], vcc
	s_xor_b64 s[66:67], exec, s[66:67]
	s_cbranch_execz .LBB297_1835
; %bb.1834:
	v_cndmask_b32_e64 v1, 0, 1, s[30:31]
	flat_store_dword v[3:4], v1
.LBB297_1835:
	s_andn2_saveexec_b64 s[66:67], s[66:67]
	s_cbranch_execz .LBB297_1837
; %bb.1836:
	v_cndmask_b32_e64 v1, 0, 1, s[30:31]
	flat_store_short v[3:4], v1
.LBB297_1837:
	s_or_b64 exec, exec, s[66:67]
.LBB297_1838:
	s_andn2_saveexec_b64 s[64:65], s[64:65]
	s_cbranch_execz .LBB297_1846
; %bb.1839:
	v_cndmask_b32_e64 v5, 0, 1.0, s[30:31]
	s_mov_b32 s33, 0x43800000
	v_cmp_gt_u32_e32 vcc, s33, v5
	v_mov_b32_e32 v6, 0x80
	s_and_saveexec_b64 s[66:67], vcc
	s_cbranch_execz .LBB297_1845
; %bb.1840:
	s_mov_b32 s33, 0x3bffffff
	v_cmp_lt_u32_e32 vcc, s33, v5
	s_mov_b64 s[68:69], 0
                                        ; implicit-def: $vgpr1
	s_and_saveexec_b64 s[70:71], vcc
	s_xor_b64 s[70:71], exec, s[70:71]
	s_cbranch_execz .LBB297_3038
; %bb.1841:
	v_bfe_u32 v1, v5, 20, 1
	s_mov_b32 s33, 0x487ffff
	v_add3_u32 v1, v5, v1, s33
	s_mov_b64 s[68:69], exec
	v_lshrrev_b32_e32 v1, 20, v1
                                        ; implicit-def: $vgpr5
	s_andn2_saveexec_b64 s[70:71], s[70:71]
	s_cbranch_execnz .LBB297_3039
.LBB297_1842:
	s_or_b64 exec, exec, s[70:71]
	v_mov_b32_e32 v6, 0
	s_and_saveexec_b64 s[70:71], s[68:69]
.LBB297_1843:
	v_mov_b32_e32 v6, v1
.LBB297_1844:
	s_or_b64 exec, exec, s[70:71]
.LBB297_1845:
	s_or_b64 exec, exec, s[66:67]
	flat_store_byte v[3:4], v6
.LBB297_1846:
	s_or_b64 exec, exec, s[64:65]
	s_or_b64 s[4:5], s[4:5], exec
.LBB297_1847:
	s_or_b64 exec, exec, s[54:55]
	s_and_b64 s[4:5], s[4:5], exec
	s_and_b64 s[54:55], s[62:63], exec
                                        ; implicit-def: $vgpr1
	s_andn2_saveexec_b64 s[60:61], s[60:61]
	s_cbranch_execnz .LBB297_2782
.LBB297_1848:
	s_or_b64 exec, exec, s[60:61]
	s_mov_b64 s[60:61], s[52:53]
	s_and_saveexec_b64 s[62:63], s[54:55]
	s_cbranch_execnz .LBB297_2823
.LBB297_1849:
	s_or_b64 exec, exec, s[62:63]
	s_and_saveexec_b64 s[54:55], s[58:59]
	s_xor_b64 s[54:55], exec, s[54:55]
	s_cbranch_execz .LBB297_1851
.LBB297_1850:
	v_cndmask_b32_e64 v1, 0, 1, s[30:31]
	flat_store_byte v[3:4], v1
	s_or_b64 s[4:5], s[4:5], exec
.LBB297_1851:
	s_or_b64 exec, exec, s[54:55]
	s_andn2_b64 s[54:55], s[52:53], exec
	s_and_b64 s[58:59], s[60:61], exec
	s_or_b64 s[54:55], s[54:55], s[58:59]
	s_and_b64 s[4:5], s[4:5], exec
                                        ; implicit-def: $vgpr1
                                        ; implicit-def: $vgpr3_vgpr4
.LBB297_1852:
	s_andn2_saveexec_b64 s[56:57], s[56:57]
	s_cbranch_execz .LBB297_1894
; %bb.1853:
	v_cmp_lt_i16_e32 vcc, 4, v1
	s_and_saveexec_b64 s[58:59], vcc
	s_xor_b64 s[58:59], exec, s[58:59]
	s_cbranch_execz .LBB297_1875
; %bb.1854:
	v_cmp_lt_i16_e32 vcc, 7, v1
	s_and_saveexec_b64 s[60:61], vcc
	s_xor_b64 s[60:61], exec, s[60:61]
	;; [unrolled: 5-line block ×4, first 2 shown]
	s_cbranch_execz .LBB297_1858
; %bb.1857:
	v_cndmask_b32_e64 v1, 0, 1, s[30:31]
	v_cvt_f64_u32_e32 v[5:6], v1
	v_mov_b32_e32 v7, 0
	v_mov_b32_e32 v8, v7
	flat_store_dwordx4 v[3:4], v[5:8]
                                        ; implicit-def: $vgpr3_vgpr4
.LBB297_1858:
	s_andn2_saveexec_b64 s[64:65], s[64:65]
	s_cbranch_execz .LBB297_1860
; %bb.1859:
	v_cndmask_b32_e64 v5, 0, 1.0, s[30:31]
	v_mov_b32_e32 v6, 0
	flat_store_dwordx2 v[3:4], v[5:6]
.LBB297_1860:
	s_or_b64 exec, exec, s[64:65]
                                        ; implicit-def: $vgpr3_vgpr4
.LBB297_1861:
	s_andn2_saveexec_b64 s[62:63], s[62:63]
	s_cbranch_execz .LBB297_1863
; %bb.1862:
	v_cndmask_b32_e64 v1, 0, 1.0, s[30:31]
	v_cvt_f16_f32_e32 v1, v1
	flat_store_dword v[3:4], v1
.LBB297_1863:
	s_or_b64 exec, exec, s[62:63]
                                        ; implicit-def: $vgpr3_vgpr4
                                        ; implicit-def: $vgpr1
.LBB297_1864:
	s_andn2_saveexec_b64 s[60:61], s[60:61]
	s_cbranch_execz .LBB297_1874
; %bb.1865:
	v_cmp_lt_i16_e32 vcc, 5, v1
	s_and_saveexec_b64 s[62:63], vcc
	s_xor_b64 s[62:63], exec, s[62:63]
	s_cbranch_execz .LBB297_1871
; %bb.1866:
	v_cmp_lt_i16_e32 vcc, 6, v1
	s_and_saveexec_b64 s[64:65], vcc
	s_xor_b64 s[64:65], exec, s[64:65]
	s_cbranch_execz .LBB297_1868
; %bb.1867:
	v_cndmask_b32_e64 v1, 0, 1, s[30:31]
	v_cvt_f64_u32_e32 v[5:6], v1
	flat_store_dwordx2 v[3:4], v[5:6]
                                        ; implicit-def: $vgpr3_vgpr4
.LBB297_1868:
	s_andn2_saveexec_b64 s[64:65], s[64:65]
	s_cbranch_execz .LBB297_1870
; %bb.1869:
	v_cndmask_b32_e64 v1, 0, 1.0, s[30:31]
	flat_store_dword v[3:4], v1
.LBB297_1870:
	s_or_b64 exec, exec, s[64:65]
                                        ; implicit-def: $vgpr3_vgpr4
.LBB297_1871:
	s_andn2_saveexec_b64 s[62:63], s[62:63]
	s_cbranch_execz .LBB297_1873
; %bb.1872:
	v_cndmask_b32_e64 v1, 0, 1.0, s[30:31]
	v_cvt_f16_f32_e32 v1, v1
	flat_store_short v[3:4], v1
.LBB297_1873:
	s_or_b64 exec, exec, s[62:63]
.LBB297_1874:
	s_or_b64 exec, exec, s[60:61]
                                        ; implicit-def: $vgpr1
                                        ; implicit-def: $vgpr3_vgpr4
.LBB297_1875:
	s_andn2_saveexec_b64 s[58:59], s[58:59]
	s_cbranch_execz .LBB297_1893
; %bb.1876:
	v_cmp_lt_i16_e32 vcc, 1, v1
	s_and_saveexec_b64 s[60:61], vcc
	s_xor_b64 s[60:61], exec, s[60:61]
	s_cbranch_execz .LBB297_1886
; %bb.1877:
	v_cmp_lt_i16_e32 vcc, 2, v1
	s_and_saveexec_b64 s[62:63], vcc
	s_xor_b64 s[62:63], exec, s[62:63]
	;; [unrolled: 5-line block ×3, first 2 shown]
	s_cbranch_execz .LBB297_1880
; %bb.1879:
	s_mov_b32 s33, 0
	v_cndmask_b32_e64 v5, 0, 1, s[30:31]
	v_mov_b32_e32 v6, s33
	flat_store_dwordx2 v[3:4], v[5:6]
                                        ; implicit-def: $vgpr3_vgpr4
.LBB297_1880:
	s_andn2_saveexec_b64 s[64:65], s[64:65]
	s_cbranch_execz .LBB297_1882
; %bb.1881:
	v_cndmask_b32_e64 v1, 0, 1, s[30:31]
	flat_store_dword v[3:4], v1
.LBB297_1882:
	s_or_b64 exec, exec, s[64:65]
                                        ; implicit-def: $vgpr3_vgpr4
.LBB297_1883:
	s_andn2_saveexec_b64 s[62:63], s[62:63]
	s_cbranch_execz .LBB297_1885
; %bb.1884:
	v_cndmask_b32_e64 v1, 0, 1, s[30:31]
	flat_store_short v[3:4], v1
.LBB297_1885:
	s_or_b64 exec, exec, s[62:63]
                                        ; implicit-def: $vgpr3_vgpr4
                                        ; implicit-def: $vgpr1
.LBB297_1886:
	s_andn2_saveexec_b64 s[60:61], s[60:61]
	s_cbranch_execz .LBB297_1892
; %bb.1887:
	v_cmp_lt_i16_e32 vcc, 0, v1
	v_cndmask_b32_e64 v1, 0, 1, s[30:31]
	s_and_saveexec_b64 s[30:31], vcc
	s_xor_b64 s[30:31], exec, s[30:31]
	s_cbranch_execz .LBB297_1889
; %bb.1888:
	flat_store_byte v[3:4], v1
                                        ; implicit-def: $vgpr3_vgpr4
                                        ; implicit-def: $vgpr1
.LBB297_1889:
	s_andn2_saveexec_b64 s[30:31], s[30:31]
	s_cbranch_execz .LBB297_1891
; %bb.1890:
	flat_store_byte v[3:4], v1
.LBB297_1891:
	s_or_b64 exec, exec, s[30:31]
.LBB297_1892:
	s_or_b64 exec, exec, s[60:61]
.LBB297_1893:
	s_or_b64 exec, exec, s[58:59]
	s_or_b64 s[4:5], s[4:5], exec
.LBB297_1894:
	s_or_b64 exec, exec, s[56:57]
	s_mov_b64 s[58:59], 0
	s_mov_b64 s[60:61], 0
                                        ; implicit-def: $vgpr21_vgpr22
                                        ; implicit-def: $vgpr16
	s_and_saveexec_b64 s[30:31], s[4:5]
	s_cbranch_execz .LBB297_2020
; %bb.1895:
	buffer_load_ubyte v3, off, s[0:3], 0 offset:436
	v_add_co_u32_e32 v1, vcc, v19, v2
	v_addc_co_u32_e32 v2, vcc, 0, v23, vcc
	s_mov_b64 s[4:5], 0
	s_mov_b64 s[56:57], s[54:55]
	s_waitcnt vmcnt(0)
	v_cmp_lt_i16_e32 vcc, 10, v3
	s_and_saveexec_b64 s[58:59], vcc
	s_xor_b64 s[58:59], exec, s[58:59]
	s_cbranch_execz .LBB297_1936
; %bb.1896:
	v_cmp_lt_i16_e32 vcc, 25, v3
	s_mov_b64 s[56:57], 0
	s_and_saveexec_b64 s[62:63], vcc
	s_xor_b64 s[62:63], exec, s[62:63]
	s_cbranch_execz .LBB297_2866
; %bb.1897:
	v_cmp_lt_i16_e32 vcc, 28, v3
	s_mov_b64 s[64:65], 0
	;; [unrolled: 6-line block ×4, first 2 shown]
	s_and_saveexec_b64 s[4:5], vcc
	s_xor_b64 s[4:5], exec, s[4:5]
	s_cbranch_execz .LBB297_1903
; %bb.1900:
	v_cmp_eq_u16_e32 vcc, 46, v3
	s_mov_b64 s[70:71], -1
	s_and_saveexec_b64 s[68:69], vcc
	s_cbranch_execz .LBB297_1902
; %bb.1901:
	v_cndmask_b32_e64 v3, 0, 1.0, s[40:41]
	v_bfe_u32 v4, v3, 16, 1
	s_movk_i32 s33, 0x7fff
	v_add3_u32 v3, v3, v4, s33
	v_lshrrev_b32_e32 v3, 16, v3
	s_mov_b64 s[66:67], exec
	flat_store_dword v[1:2], v3
	s_xor_b64 s[70:71], exec, -1
.LBB297_1902:
	s_or_b64 exec, exec, s[68:69]
	s_and_b64 s[68:69], s[66:67], exec
	s_and_b64 s[66:67], s[70:71], exec
                                        ; implicit-def: $vgpr3
.LBB297_1903:
	s_andn2_saveexec_b64 s[70:71], s[4:5]
	s_cbranch_execz .LBB297_1909
; %bb.1904:
	v_cmp_eq_u16_e32 vcc, 44, v3
	s_mov_b64 s[4:5], -1
	s_mov_b64 s[74:75], s[68:69]
	s_and_saveexec_b64 s[72:73], vcc
	s_cbranch_execz .LBB297_1908
; %bb.1905:
	v_cndmask_b32_e64 v4, 0, 1.0, s[40:41]
	v_lshrrev_b32_e32 v3, 23, v4
	s_movk_i32 s4, 0xff
	v_cmp_ne_u32_e32 vcc, s4, v3
	v_mov_b32_e32 v5, 0xff
	s_and_saveexec_b64 s[74:75], vcc
; %bb.1906:
	s_mov_b32 s4, 0x3fffff
	v_and_b32_e32 v5, 0x400000, v4
	v_and_or_b32 v4, v4, s4, v3
	v_cmp_ne_u32_e32 vcc, 0, v5
	v_cmp_ne_u32_e64 s[4:5], 0, v4
	s_and_b64 s[4:5], vcc, s[4:5]
	v_cndmask_b32_e64 v4, 0, 1, s[4:5]
	v_add_u32_e32 v5, v3, v4
; %bb.1907:
	s_or_b64 exec, exec, s[74:75]
	s_or_b64 s[74:75], s[68:69], exec
	s_xor_b64 s[4:5], exec, -1
	flat_store_byte v[1:2], v5
.LBB297_1908:
	s_or_b64 exec, exec, s[72:73]
	s_andn2_b64 s[68:69], s[68:69], exec
	s_and_b64 s[72:73], s[74:75], exec
	s_andn2_b64 s[66:67], s[66:67], exec
	s_and_b64 s[4:5], s[4:5], exec
	s_or_b64 s[68:69], s[68:69], s[72:73]
	s_or_b64 s[66:67], s[66:67], s[4:5]
.LBB297_1909:
	s_or_b64 exec, exec, s[70:71]
	s_and_b64 s[4:5], s[68:69], exec
	s_and_b64 s[66:67], s[66:67], exec
                                        ; implicit-def: $vgpr3
.LBB297_1910:
	s_andn2_saveexec_b64 s[64:65], s[64:65]
	s_cbranch_execz .LBB297_1914
; %bb.1911:
	v_cmp_eq_u16_e32 vcc, 29, v3
	s_mov_b64 s[68:69], -1
	s_mov_b64 s[72:73], s[4:5]
	s_and_saveexec_b64 s[70:71], vcc
	s_cbranch_execz .LBB297_1913
; %bb.1912:
	s_mov_b32 s33, 0
	v_cndmask_b32_e64 v3, 0, 1, s[40:41]
	v_mov_b32_e32 v4, s33
	flat_store_dwordx2 v[1:2], v[3:4]
	s_or_b64 s[72:73], s[4:5], exec
	s_xor_b64 s[68:69], exec, -1
.LBB297_1913:
	s_or_b64 exec, exec, s[70:71]
	s_andn2_b64 s[4:5], s[4:5], exec
	s_and_b64 s[70:71], s[72:73], exec
	s_andn2_b64 s[66:67], s[66:67], exec
	s_and_b64 s[68:69], s[68:69], exec
	s_or_b64 s[4:5], s[4:5], s[70:71]
	s_or_b64 s[66:67], s[66:67], s[68:69]
.LBB297_1914:
	s_or_b64 exec, exec, s[64:65]
	s_and_b64 s[4:5], s[4:5], exec
	s_and_b64 s[64:65], s[66:67], exec
                                        ; implicit-def: $vgpr3
.LBB297_1915:
	s_andn2_saveexec_b64 s[56:57], s[56:57]
	s_cbranch_execz .LBB297_1931
; %bb.1916:
	v_cmp_lt_i16_e32 vcc, 26, v3
	s_and_saveexec_b64 s[66:67], vcc
	s_xor_b64 s[66:67], exec, s[66:67]
	s_cbranch_execz .LBB297_1922
; %bb.1917:
	v_cmp_lt_i16_e32 vcc, 27, v3
	s_and_saveexec_b64 s[68:69], vcc
	s_xor_b64 s[68:69], exec, s[68:69]
	s_cbranch_execz .LBB297_1919
; %bb.1918:
	v_cndmask_b32_e64 v3, 0, 1, s[40:41]
	flat_store_dword v[1:2], v3
.LBB297_1919:
	s_andn2_saveexec_b64 s[68:69], s[68:69]
	s_cbranch_execz .LBB297_1921
; %bb.1920:
	v_cndmask_b32_e64 v3, 0, 1, s[40:41]
	flat_store_short v[1:2], v3
.LBB297_1921:
	s_or_b64 exec, exec, s[68:69]
.LBB297_1922:
	s_andn2_saveexec_b64 s[66:67], s[66:67]
	s_cbranch_execz .LBB297_1930
; %bb.1923:
	v_cndmask_b32_e64 v4, 0, 1.0, s[40:41]
	s_mov_b32 s33, 0x43800000
	v_cmp_gt_u32_e32 vcc, s33, v4
	v_mov_b32_e32 v5, 0x80
	s_and_saveexec_b64 s[68:69], vcc
	s_cbranch_execz .LBB297_1929
; %bb.1924:
	s_mov_b32 s33, 0x3bffffff
	v_cmp_lt_u32_e32 vcc, s33, v4
	s_mov_b64 s[70:71], 0
                                        ; implicit-def: $vgpr3
	s_and_saveexec_b64 s[72:73], vcc
	s_xor_b64 s[72:73], exec, s[72:73]
	s_cbranch_execz .LBB297_3042
; %bb.1925:
	v_bfe_u32 v3, v4, 20, 1
	s_mov_b32 s33, 0x487ffff
	v_add3_u32 v3, v4, v3, s33
	s_mov_b64 s[70:71], exec
	v_lshrrev_b32_e32 v3, 20, v3
                                        ; implicit-def: $vgpr4
	s_andn2_saveexec_b64 s[72:73], s[72:73]
	s_cbranch_execnz .LBB297_3043
.LBB297_1926:
	s_or_b64 exec, exec, s[72:73]
	v_mov_b32_e32 v5, 0
	s_and_saveexec_b64 s[72:73], s[70:71]
.LBB297_1927:
	v_mov_b32_e32 v5, v3
.LBB297_1928:
	s_or_b64 exec, exec, s[72:73]
.LBB297_1929:
	s_or_b64 exec, exec, s[68:69]
	flat_store_byte v[1:2], v5
.LBB297_1930:
	s_or_b64 exec, exec, s[66:67]
	s_or_b64 s[4:5], s[4:5], exec
.LBB297_1931:
	s_or_b64 exec, exec, s[56:57]
	s_and_b64 s[4:5], s[4:5], exec
	s_and_b64 s[56:57], s[64:65], exec
                                        ; implicit-def: $vgpr3
	s_andn2_saveexec_b64 s[62:63], s[62:63]
	s_cbranch_execnz .LBB297_2867
.LBB297_1932:
	s_or_b64 exec, exec, s[62:63]
	s_mov_b64 s[62:63], s[54:55]
	s_and_saveexec_b64 s[64:65], s[56:57]
	s_cbranch_execnz .LBB297_2908
.LBB297_1933:
	s_or_b64 exec, exec, s[64:65]
	s_and_saveexec_b64 s[56:57], s[60:61]
	s_xor_b64 s[56:57], exec, s[56:57]
	s_cbranch_execz .LBB297_1935
.LBB297_1934:
	v_cndmask_b32_e64 v3, 0, 1, s[40:41]
	flat_store_byte v[1:2], v3
	s_or_b64 s[4:5], s[4:5], exec
.LBB297_1935:
	s_or_b64 exec, exec, s[56:57]
	s_andn2_b64 s[56:57], s[54:55], exec
	s_and_b64 s[60:61], s[62:63], exec
	s_or_b64 s[56:57], s[56:57], s[60:61]
	s_and_b64 s[4:5], s[4:5], exec
                                        ; implicit-def: $vgpr3
                                        ; implicit-def: $vgpr1_vgpr2
.LBB297_1936:
	s_andn2_saveexec_b64 s[58:59], s[58:59]
	s_cbranch_execz .LBB297_1978
; %bb.1937:
	v_cmp_lt_i16_e32 vcc, 4, v3
	s_and_saveexec_b64 s[60:61], vcc
	s_xor_b64 s[60:61], exec, s[60:61]
	s_cbranch_execz .LBB297_1959
; %bb.1938:
	v_cmp_lt_i16_e32 vcc, 7, v3
	s_and_saveexec_b64 s[62:63], vcc
	s_xor_b64 s[62:63], exec, s[62:63]
	;; [unrolled: 5-line block ×4, first 2 shown]
	s_cbranch_execz .LBB297_1942
; %bb.1941:
	v_cndmask_b32_e64 v3, 0, 1, s[40:41]
	v_cvt_f64_u32_e32 v[3:4], v3
	v_mov_b32_e32 v5, 0
	v_mov_b32_e32 v6, v5
	flat_store_dwordx4 v[1:2], v[3:6]
                                        ; implicit-def: $vgpr1_vgpr2
.LBB297_1942:
	s_andn2_saveexec_b64 s[66:67], s[66:67]
	s_cbranch_execz .LBB297_1944
; %bb.1943:
	v_cndmask_b32_e64 v3, 0, 1.0, s[40:41]
	v_mov_b32_e32 v4, 0
	flat_store_dwordx2 v[1:2], v[3:4]
.LBB297_1944:
	s_or_b64 exec, exec, s[66:67]
                                        ; implicit-def: $vgpr1_vgpr2
.LBB297_1945:
	s_andn2_saveexec_b64 s[64:65], s[64:65]
	s_cbranch_execz .LBB297_1947
; %bb.1946:
	v_cndmask_b32_e64 v3, 0, 1.0, s[40:41]
	v_cvt_f16_f32_e32 v3, v3
	flat_store_dword v[1:2], v3
.LBB297_1947:
	s_or_b64 exec, exec, s[64:65]
                                        ; implicit-def: $vgpr1_vgpr2
                                        ; implicit-def: $vgpr3
.LBB297_1948:
	s_andn2_saveexec_b64 s[62:63], s[62:63]
	s_cbranch_execz .LBB297_1958
; %bb.1949:
	v_cmp_lt_i16_e32 vcc, 5, v3
	s_and_saveexec_b64 s[64:65], vcc
	s_xor_b64 s[64:65], exec, s[64:65]
	s_cbranch_execz .LBB297_1955
; %bb.1950:
	v_cmp_lt_i16_e32 vcc, 6, v3
	s_and_saveexec_b64 s[66:67], vcc
	s_xor_b64 s[66:67], exec, s[66:67]
	s_cbranch_execz .LBB297_1952
; %bb.1951:
	v_cndmask_b32_e64 v3, 0, 1, s[40:41]
	v_cvt_f64_u32_e32 v[3:4], v3
	flat_store_dwordx2 v[1:2], v[3:4]
                                        ; implicit-def: $vgpr1_vgpr2
.LBB297_1952:
	s_andn2_saveexec_b64 s[66:67], s[66:67]
	s_cbranch_execz .LBB297_1954
; %bb.1953:
	v_cndmask_b32_e64 v3, 0, 1.0, s[40:41]
	flat_store_dword v[1:2], v3
.LBB297_1954:
	s_or_b64 exec, exec, s[66:67]
                                        ; implicit-def: $vgpr1_vgpr2
.LBB297_1955:
	s_andn2_saveexec_b64 s[64:65], s[64:65]
	s_cbranch_execz .LBB297_1957
; %bb.1956:
	v_cndmask_b32_e64 v3, 0, 1.0, s[40:41]
	v_cvt_f16_f32_e32 v3, v3
	flat_store_short v[1:2], v3
.LBB297_1957:
	s_or_b64 exec, exec, s[64:65]
.LBB297_1958:
	s_or_b64 exec, exec, s[62:63]
                                        ; implicit-def: $vgpr3
                                        ; implicit-def: $vgpr1_vgpr2
.LBB297_1959:
	s_andn2_saveexec_b64 s[60:61], s[60:61]
	s_cbranch_execz .LBB297_1977
; %bb.1960:
	v_cmp_lt_i16_e32 vcc, 1, v3
	s_and_saveexec_b64 s[62:63], vcc
	s_xor_b64 s[62:63], exec, s[62:63]
	s_cbranch_execz .LBB297_1970
; %bb.1961:
	v_cmp_lt_i16_e32 vcc, 2, v3
	s_and_saveexec_b64 s[64:65], vcc
	s_xor_b64 s[64:65], exec, s[64:65]
	;; [unrolled: 5-line block ×3, first 2 shown]
	s_cbranch_execz .LBB297_1964
; %bb.1963:
	s_mov_b32 s33, 0
	v_cndmask_b32_e64 v3, 0, 1, s[40:41]
	v_mov_b32_e32 v4, s33
	flat_store_dwordx2 v[1:2], v[3:4]
                                        ; implicit-def: $vgpr1_vgpr2
.LBB297_1964:
	s_andn2_saveexec_b64 s[66:67], s[66:67]
	s_cbranch_execz .LBB297_1966
; %bb.1965:
	v_cndmask_b32_e64 v3, 0, 1, s[40:41]
	flat_store_dword v[1:2], v3
.LBB297_1966:
	s_or_b64 exec, exec, s[66:67]
                                        ; implicit-def: $vgpr1_vgpr2
.LBB297_1967:
	s_andn2_saveexec_b64 s[64:65], s[64:65]
	s_cbranch_execz .LBB297_1969
; %bb.1968:
	v_cndmask_b32_e64 v3, 0, 1, s[40:41]
	flat_store_short v[1:2], v3
.LBB297_1969:
	s_or_b64 exec, exec, s[64:65]
                                        ; implicit-def: $vgpr1_vgpr2
                                        ; implicit-def: $vgpr3
.LBB297_1970:
	s_andn2_saveexec_b64 s[62:63], s[62:63]
	s_cbranch_execz .LBB297_1976
; %bb.1971:
	v_cmp_lt_i16_e32 vcc, 0, v3
	v_cndmask_b32_e64 v3, 0, 1, s[40:41]
	s_and_saveexec_b64 s[40:41], vcc
	s_xor_b64 s[40:41], exec, s[40:41]
	s_cbranch_execz .LBB297_1973
; %bb.1972:
	flat_store_byte v[1:2], v3
                                        ; implicit-def: $vgpr1_vgpr2
                                        ; implicit-def: $vgpr3
.LBB297_1973:
	s_andn2_saveexec_b64 s[40:41], s[40:41]
	s_cbranch_execz .LBB297_1975
; %bb.1974:
	flat_store_byte v[1:2], v3
.LBB297_1975:
	s_or_b64 exec, exec, s[40:41]
.LBB297_1976:
	s_or_b64 exec, exec, s[62:63]
.LBB297_1977:
	s_or_b64 exec, exec, s[60:61]
	s_or_b64 s[4:5], s[4:5], exec
.LBB297_1978:
	s_or_b64 exec, exec, s[58:59]
	s_mov_b64 s[58:59], 0
	s_mov_b64 s[60:61], 0
                                        ; implicit-def: $vgpr21_vgpr22
                                        ; implicit-def: $vgpr16
	s_and_saveexec_b64 s[40:41], s[4:5]
	s_cbranch_execz .LBB297_2019
; %bb.1979:
	buffer_load_ubyte v16, off, s[0:3], 0 offset:436
	v_add_co_u32_e32 v21, vcc, v19, v0
	v_addc_co_u32_e32 v22, vcc, 0, v23, vcc
	s_mov_b64 s[4:5], 0
	s_mov_b64 s[60:61], -1
	s_mov_b64 s[62:63], s[56:57]
	s_waitcnt vmcnt(0)
	v_cmp_lt_i16_e32 vcc, 10, v16
	s_and_saveexec_b64 s[58:59], vcc
	s_cbranch_execz .LBB297_2018
; %bb.1980:
	v_cmp_lt_i16_e32 vcc, 25, v16
	s_mov_b64 s[62:63], 0
	s_and_saveexec_b64 s[60:61], vcc
	s_xor_b64 s[60:61], exec, s[60:61]
	s_cbranch_execz .LBB297_2951
; %bb.1981:
	v_cmp_lt_i16_e32 vcc, 28, v16
	s_and_saveexec_b64 s[64:65], vcc
	s_xor_b64 s[64:65], exec, s[64:65]
	s_cbranch_execz .LBB297_1999
; %bb.1982:
	v_cmp_lt_i16_e32 vcc, 43, v16
	;; [unrolled: 5-line block ×3, first 2 shown]
	s_mov_b64 s[68:69], 0
	s_and_saveexec_b64 s[4:5], vcc
	s_xor_b64 s[4:5], exec, s[4:5]
	s_cbranch_execz .LBB297_1987
; %bb.1984:
	v_cmp_eq_u16_e32 vcc, 46, v16
	s_mov_b64 s[70:71], -1
	s_and_saveexec_b64 s[68:69], vcc
	s_cbranch_execz .LBB297_1986
; %bb.1985:
	v_cndmask_b32_e64 v0, 0, 1.0, s[48:49]
	v_bfe_u32 v1, v0, 16, 1
	s_movk_i32 s33, 0x7fff
	v_add3_u32 v0, v0, v1, s33
	v_lshrrev_b32_e32 v0, 16, v0
	flat_store_dword v[21:22], v0
	s_xor_b64 s[70:71], exec, -1
.LBB297_1986:
	s_or_b64 exec, exec, s[68:69]
	s_and_b64 s[68:69], s[70:71], exec
.LBB297_1987:
	s_andn2_saveexec_b64 s[70:71], s[4:5]
	s_cbranch_execz .LBB297_1993
; %bb.1988:
	v_cmp_eq_u16_e32 vcc, 44, v16
	s_mov_b64 s[4:5], -1
	s_and_saveexec_b64 s[72:73], vcc
	s_cbranch_execz .LBB297_1992
; %bb.1989:
	v_cndmask_b32_e64 v1, 0, 1.0, s[48:49]
	v_lshrrev_b32_e32 v0, 23, v1
	s_movk_i32 s4, 0xff
	v_cmp_ne_u32_e32 vcc, s4, v0
	v_mov_b32_e32 v2, 0xff
	s_and_saveexec_b64 s[74:75], vcc
; %bb.1990:
	s_mov_b32 s4, 0x3fffff
	v_and_b32_e32 v2, 0x400000, v1
	v_and_or_b32 v1, v1, s4, v0
	v_cmp_ne_u32_e32 vcc, 0, v2
	v_cmp_ne_u32_e64 s[4:5], 0, v1
	s_and_b64 s[4:5], vcc, s[4:5]
	v_cndmask_b32_e64 v1, 0, 1, s[4:5]
	v_add_u32_e32 v2, v0, v1
; %bb.1991:
	s_or_b64 exec, exec, s[74:75]
	s_xor_b64 s[4:5], exec, -1
	flat_store_byte v[21:22], v2
.LBB297_1992:
	s_or_b64 exec, exec, s[72:73]
	s_andn2_b64 s[68:69], s[68:69], exec
	s_and_b64 s[4:5], s[4:5], exec
	s_or_b64 s[68:69], s[68:69], s[4:5]
.LBB297_1993:
	s_or_b64 exec, exec, s[70:71]
	s_and_b64 s[4:5], s[68:69], exec
.LBB297_1994:
	s_andn2_saveexec_b64 s[66:67], s[66:67]
	s_cbranch_execz .LBB297_1998
; %bb.1995:
	v_cmp_eq_u16_e32 vcc, 29, v16
	s_mov_b64 s[70:71], -1
	s_and_saveexec_b64 s[68:69], vcc
	s_cbranch_execz .LBB297_1997
; %bb.1996:
	s_mov_b32 s33, 0
	v_cndmask_b32_e64 v0, 0, 1, s[48:49]
	v_mov_b32_e32 v1, s33
	flat_store_dwordx2 v[21:22], v[0:1]
	s_xor_b64 s[70:71], exec, -1
.LBB297_1997:
	s_or_b64 exec, exec, s[68:69]
	s_andn2_b64 s[4:5], s[4:5], exec
	s_and_b64 s[68:69], s[70:71], exec
	s_or_b64 s[4:5], s[4:5], s[68:69]
.LBB297_1998:
	s_or_b64 exec, exec, s[66:67]
	s_and_b64 s[4:5], s[4:5], exec
.LBB297_1999:
	s_andn2_saveexec_b64 s[64:65], s[64:65]
	s_cbranch_execz .LBB297_2015
; %bb.2000:
	v_cmp_lt_i16_e32 vcc, 26, v16
	s_and_saveexec_b64 s[66:67], vcc
	s_xor_b64 s[66:67], exec, s[66:67]
	s_cbranch_execz .LBB297_2006
; %bb.2001:
	v_cmp_lt_i16_e32 vcc, 27, v16
	v_cndmask_b32_e64 v0, 0, 1, s[48:49]
	s_and_saveexec_b64 s[68:69], vcc
	s_xor_b64 s[68:69], exec, s[68:69]
	s_cbranch_execz .LBB297_2003
; %bb.2002:
	flat_store_dword v[21:22], v0
                                        ; implicit-def: $vgpr0
.LBB297_2003:
	s_andn2_saveexec_b64 s[68:69], s[68:69]
	s_cbranch_execz .LBB297_2005
; %bb.2004:
	flat_store_short v[21:22], v0
.LBB297_2005:
	s_or_b64 exec, exec, s[68:69]
.LBB297_2006:
	s_andn2_saveexec_b64 s[66:67], s[66:67]
	s_cbranch_execz .LBB297_2014
; %bb.2007:
	v_cndmask_b32_e64 v1, 0, 1.0, s[48:49]
	s_mov_b32 s33, 0x43800000
	v_cmp_gt_u32_e32 vcc, s33, v1
	v_mov_b32_e32 v2, 0x80
	s_and_saveexec_b64 s[68:69], vcc
	s_cbranch_execz .LBB297_2013
; %bb.2008:
	s_mov_b32 s33, 0x3bffffff
	v_cmp_lt_u32_e32 vcc, s33, v1
	s_mov_b64 s[70:71], 0
                                        ; implicit-def: $vgpr0
	s_and_saveexec_b64 s[72:73], vcc
	s_xor_b64 s[72:73], exec, s[72:73]
	s_cbranch_execz .LBB297_3046
; %bb.2009:
	v_bfe_u32 v0, v1, 20, 1
	s_mov_b32 s33, 0x487ffff
	v_add3_u32 v0, v1, v0, s33
	s_mov_b64 s[70:71], exec
	v_lshrrev_b32_e32 v0, 20, v0
                                        ; implicit-def: $vgpr1
	s_andn2_saveexec_b64 s[72:73], s[72:73]
	s_cbranch_execnz .LBB297_3047
.LBB297_2010:
	s_or_b64 exec, exec, s[72:73]
	v_mov_b32_e32 v2, 0
	s_and_saveexec_b64 s[72:73], s[70:71]
.LBB297_2011:
	v_mov_b32_e32 v2, v0
.LBB297_2012:
	s_or_b64 exec, exec, s[72:73]
.LBB297_2013:
	s_or_b64 exec, exec, s[68:69]
	flat_store_byte v[21:22], v2
.LBB297_2014:
	s_or_b64 exec, exec, s[66:67]
.LBB297_2015:
	s_or_b64 exec, exec, s[64:65]
	s_and_b64 s[4:5], s[4:5], exec
	s_andn2_saveexec_b64 s[60:61], s[60:61]
	s_cbranch_execnz .LBB297_2952
.LBB297_2016:
	s_or_b64 exec, exec, s[60:61]
	s_mov_b64 s[64:65], s[56:57]
	s_and_saveexec_b64 s[60:61], s[4:5]
	s_cbranch_execnz .LBB297_2993
.LBB297_2017:
	s_or_b64 exec, exec, s[60:61]
	s_and_b64 s[4:5], s[62:63], exec
	s_andn2_b64 s[62:63], s[56:57], exec
	s_and_b64 s[64:65], s[64:65], exec
	s_xor_b64 s[60:61], exec, -1
	s_or_b64 s[62:63], s[62:63], s[64:65]
.LBB297_2018:
	s_or_b64 exec, exec, s[58:59]
	s_and_b64 s[58:59], s[4:5], exec
	s_andn2_b64 s[4:5], s[56:57], exec
	s_and_b64 s[56:57], s[62:63], exec
	s_and_b64 s[60:61], s[60:61], exec
	s_or_b64 s[56:57], s[4:5], s[56:57]
.LBB297_2019:
	s_or_b64 exec, exec, s[40:41]
	s_andn2_b64 s[4:5], s[54:55], exec
	s_and_b64 s[40:41], s[56:57], exec
	s_and_b64 s[60:61], s[60:61], exec
	;; [unrolled: 1-line block ×3, first 2 shown]
	s_or_b64 s[54:55], s[4:5], s[40:41]
.LBB297_2020:
	s_or_b64 exec, exec, s[30:31]
	s_andn2_b64 s[4:5], s[52:53], exec
	s_and_b64 s[30:31], s[54:55], exec
	s_and_b64 s[60:61], s[60:61], exec
	;; [unrolled: 1-line block ×3, first 2 shown]
	s_or_b64 s[52:53], s[4:5], s[30:31]
.LBB297_2021:
	s_or_b64 exec, exec, s[22:23]
	s_andn2_b64 s[22:23], s[46:47], exec
	s_and_b64 s[30:31], s[52:53], exec
	s_and_b64 s[54:55], s[60:61], exec
	;; [unrolled: 1-line block ×3, first 2 shown]
	s_or_b64 s[46:47], s[22:23], s[30:31]
.LBB297_2022:
	s_or_b64 exec, exec, s[50:51]
	s_andn2_b64 s[22:23], s[42:43], exec
	s_and_b64 s[30:31], s[46:47], exec
	s_and_b64 s[50:51], s[54:55], exec
	;; [unrolled: 1-line block ×3, first 2 shown]
	s_or_b64 s[42:43], s[22:23], s[30:31]
.LBB297_2023:
	s_or_b64 exec, exec, s[44:45]
	s_andn2_b64 s[22:23], s[36:37], exec
	s_and_b64 s[30:31], s[42:43], exec
	s_and_b64 s[44:45], s[50:51], exec
	;; [unrolled: 1-line block ×3, first 2 shown]
	s_or_b64 s[36:37], s[22:23], s[30:31]
.LBB297_2024:
	s_or_b64 exec, exec, s[38:39]
	s_andn2_b64 s[22:23], s[28:29], exec
	s_and_b64 s[28:29], s[36:37], exec
	s_and_b64 s[38:39], s[44:45], exec
	;; [unrolled: 1-line block ×3, first 2 shown]
	s_or_b64 s[28:29], s[22:23], s[28:29]
.LBB297_2025:
	s_or_b64 exec, exec, s[34:35]
	s_andn2_b64 s[22:23], s[24:25], exec
	s_and_b64 s[24:25], s[28:29], exec
	s_and_b64 s[30:31], s[38:39], exec
	;; [unrolled: 1-line block ×3, first 2 shown]
	s_or_b64 s[24:25], s[22:23], s[24:25]
.LBB297_2026:
	s_or_b64 exec, exec, s[26:27]
	s_andn2_b64 s[18:19], s[18:19], exec
	s_and_b64 s[22:23], s[24:25], exec
	s_and_b64 s[26:27], s[30:31], exec
	;; [unrolled: 1-line block ×3, first 2 shown]
	s_or_b64 s[18:19], s[18:19], s[22:23]
.LBB297_2027:
	s_or_b64 exec, exec, s[20:21]
	s_andn2_b64 s[14:15], s[14:15], exec
	s_and_b64 s[18:19], s[18:19], exec
	s_and_b64 s[20:21], s[26:27], exec
	;; [unrolled: 1-line block ×3, first 2 shown]
	s_or_b64 s[14:15], s[14:15], s[18:19]
.LBB297_2028:
	s_or_b64 exec, exec, s[16:17]
	s_and_b64 s[16:17], s[4:5], exec
	s_andn2_b64 s[4:5], s[10:11], exec
	s_and_b64 s[10:11], s[14:15], exec
	s_and_b64 s[18:19], s[20:21], exec
	s_or_b64 s[10:11], s[4:5], s[10:11]
.LBB297_2029:
	s_or_b64 exec, exec, s[12:13]
	s_andn2_b64 s[6:7], s[6:7], exec
	s_and_b64 s[10:11], s[10:11], exec
	s_and_b64 s[4:5], s[18:19], exec
	;; [unrolled: 1-line block ×3, first 2 shown]
	s_or_b64 s[6:7], s[6:7], s[10:11]
	s_or_b64 exec, exec, s[8:9]
	s_and_saveexec_b64 s[8:9], s[6:7]
	s_cbranch_execnz .LBB297_181
.LBB297_2030:
	s_or_b64 exec, exec, s[8:9]
	s_and_saveexec_b64 s[6:7], s[34:35]
	s_xor_b64 s[6:7], exec, s[6:7]
	s_cbranch_execz .LBB297_182
.LBB297_2031:
	v_cndmask_b32_e64 v0, 0, 1, s[48:49]
	flat_store_byte v[21:22], v0
	s_or_b64 exec, exec, s[6:7]
	s_and_saveexec_b64 s[6:7], s[4:5]
	s_cbranch_execz .LBB297_2070
.LBB297_2032:
	v_cmp_lt_i16_e32 vcc, 4, v16
	s_and_saveexec_b64 s[4:5], vcc
	s_xor_b64 s[4:5], exec, s[4:5]
	s_cbranch_execz .LBB297_2054
; %bb.2033:
	v_cmp_lt_i16_e32 vcc, 7, v16
	s_mov_b64 s[6:7], s[48:49]
	s_and_saveexec_b64 s[8:9], vcc
	s_xor_b64 s[8:9], exec, s[8:9]
	s_cbranch_execz .LBB297_2043
; %bb.2034:
	v_cmp_lt_i16_e32 vcc, 8, v16
	s_mov_b64 s[10:11], s[48:49]
	s_and_saveexec_b64 s[6:7], vcc
	s_xor_b64 s[6:7], exec, s[6:7]
	s_cbranch_execz .LBB297_2040
; %bb.2035:
	v_cmp_lt_i16_e32 vcc, 9, v16
	s_and_saveexec_b64 s[10:11], vcc
	s_xor_b64 s[10:11], exec, s[10:11]
	s_cbranch_execz .LBB297_2037
; %bb.2036:
	v_cndmask_b32_e64 v0, 0, 1, s[48:49]
	v_cvt_f64_u32_e32 v[0:1], v0
	v_mov_b32_e32 v2, 0
	s_waitcnt vmcnt(0) lgkmcnt(0)
	v_mov_b32_e32 v3, v2
	flat_store_dwordx4 v[21:22], v[0:3]
.LBB297_2037:
	s_andn2_saveexec_b64 s[10:11], s[10:11]
	s_cbranch_execz .LBB297_2039
; %bb.2038:
	v_cndmask_b32_e64 v0, 0, 1.0, s[48:49]
	v_mov_b32_e32 v1, 0
	flat_store_dwordx2 v[21:22], v[0:1]
.LBB297_2039:
	s_or_b64 exec, exec, s[10:11]
	s_andn2_b64 s[10:11], s[48:49], exec
	s_and_b64 s[12:13], s[48:49], exec
	s_or_b64 s[10:11], s[10:11], s[12:13]
.LBB297_2040:
	s_andn2_saveexec_b64 s[6:7], s[6:7]
	s_cbranch_execz .LBB297_2042
; %bb.2041:
	v_cndmask_b32_e64 v0, 0, 1.0, s[10:11]
	v_cvt_f16_f32_e32 v0, v0
	flat_store_dword v[21:22], v0
.LBB297_2042:
	s_or_b64 exec, exec, s[6:7]
	s_andn2_b64 s[6:7], s[48:49], exec
	s_and_b64 s[10:11], s[10:11], exec
	s_or_b64 s[6:7], s[6:7], s[10:11]
.LBB297_2043:
	s_andn2_saveexec_b64 s[8:9], s[8:9]
	s_cbranch_execz .LBB297_2053
; %bb.2044:
	v_cmp_lt_i16_e32 vcc, 5, v16
	s_mov_b64 s[12:13], s[6:7]
	s_and_saveexec_b64 s[10:11], vcc
	s_xor_b64 s[10:11], exec, s[10:11]
	s_cbranch_execz .LBB297_2050
; %bb.2045:
	v_cmp_lt_i16_e32 vcc, 6, v16
	s_and_saveexec_b64 s[12:13], vcc
	s_xor_b64 s[12:13], exec, s[12:13]
	s_cbranch_execz .LBB297_2047
; %bb.2046:
	v_cndmask_b32_e64 v0, 0, 1, s[6:7]
	v_cvt_f64_u32_e32 v[0:1], v0
	flat_store_dwordx2 v[21:22], v[0:1]
.LBB297_2047:
	s_andn2_saveexec_b64 s[12:13], s[12:13]
	s_cbranch_execz .LBB297_2049
; %bb.2048:
	v_cndmask_b32_e64 v0, 0, 1.0, s[6:7]
	flat_store_dword v[21:22], v0
.LBB297_2049:
	s_or_b64 exec, exec, s[12:13]
	s_andn2_b64 s[12:13], s[6:7], exec
	s_and_b64 s[14:15], s[6:7], exec
	s_or_b64 s[12:13], s[12:13], s[14:15]
.LBB297_2050:
	s_andn2_saveexec_b64 s[10:11], s[10:11]
	s_cbranch_execz .LBB297_2052
; %bb.2051:
	v_cndmask_b32_e64 v0, 0, 1.0, s[12:13]
	v_cvt_f16_f32_e32 v0, v0
	flat_store_short v[21:22], v0
.LBB297_2052:
	s_or_b64 exec, exec, s[10:11]
	s_andn2_b64 s[6:7], s[6:7], exec
	s_and_b64 s[10:11], s[12:13], exec
	s_or_b64 s[6:7], s[6:7], s[10:11]
.LBB297_2053:
	s_or_b64 exec, exec, s[8:9]
	s_andn2_b64 s[8:9], s[48:49], exec
	s_and_b64 s[6:7], s[6:7], exec
	s_or_b64 s[48:49], s[8:9], s[6:7]
.LBB297_2054:
	s_andn2_saveexec_b64 s[4:5], s[4:5]
	s_cbranch_execz .LBB297_2070
; %bb.2055:
	v_cmp_lt_i16_e32 vcc, 1, v16
	s_and_saveexec_b64 s[4:5], vcc
	s_xor_b64 s[4:5], exec, s[4:5]
	s_cbranch_execz .LBB297_2065
; %bb.2056:
	v_cmp_lt_i16_e32 vcc, 2, v16
	s_mov_b64 s[8:9], s[48:49]
	s_and_saveexec_b64 s[6:7], vcc
	s_xor_b64 s[6:7], exec, s[6:7]
	s_cbranch_execz .LBB297_2062
; %bb.2057:
	v_cmp_lt_i16_e32 vcc, 3, v16
	v_cndmask_b32_e64 v0, 0, 1, s[48:49]
	s_and_saveexec_b64 s[8:9], vcc
	s_xor_b64 s[8:9], exec, s[8:9]
	s_cbranch_execz .LBB297_2059
; %bb.2058:
	s_mov_b32 s10, 0
	v_mov_b32_e32 v1, s10
	flat_store_dwordx2 v[21:22], v[0:1]
                                        ; implicit-def: $vgpr21_vgpr22
                                        ; implicit-def: $vgpr0
.LBB297_2059:
	s_andn2_saveexec_b64 s[8:9], s[8:9]
	s_cbranch_execz .LBB297_2061
; %bb.2060:
	flat_store_dword v[21:22], v0
.LBB297_2061:
	s_or_b64 exec, exec, s[8:9]
	s_andn2_b64 s[8:9], s[48:49], exec
	s_and_b64 s[10:11], s[48:49], exec
	s_or_b64 s[8:9], s[8:9], s[10:11]
                                        ; implicit-def: $vgpr21_vgpr22
.LBB297_2062:
	s_andn2_saveexec_b64 s[6:7], s[6:7]
	s_cbranch_execz .LBB297_2064
; %bb.2063:
	v_cndmask_b32_e64 v0, 0, 1, s[8:9]
	flat_store_short v[21:22], v0
.LBB297_2064:
	s_or_b64 exec, exec, s[6:7]
	s_andn2_b64 s[6:7], s[48:49], exec
	s_and_b64 s[8:9], s[8:9], exec
	s_or_b64 s[48:49], s[6:7], s[8:9]
                                        ; implicit-def: $vgpr21_vgpr22
.LBB297_2065:
	s_andn2_saveexec_b64 s[4:5], s[4:5]
	s_cbranch_execz .LBB297_2070
; %bb.2066:
	v_cmp_lt_i16_e32 vcc, 0, v16
	v_cndmask_b32_e64 v0, 0, 1, s[48:49]
	s_and_saveexec_b64 s[4:5], vcc
	s_xor_b64 s[4:5], exec, s[4:5]
	s_cbranch_execz .LBB297_2068
; %bb.2067:
	flat_store_byte v[21:22], v0
                                        ; implicit-def: $vgpr21_vgpr22
                                        ; implicit-def: $vgpr0
.LBB297_2068:
	s_andn2_saveexec_b64 s[4:5], s[4:5]
	s_cbranch_execz .LBB297_2070
; %bb.2069:
	flat_store_byte v[21:22], v0
	s_endpgm
.LBB297_2070:
	s_endpgm
.LBB297_2071:
	s_andn2_saveexec_b64 s[16:17], s[16:17]
	s_cbranch_execz .LBB297_250
.LBB297_2072:
	v_cmp_lt_i16_e32 vcc, 22, v3
	s_mov_b64 s[18:19], s[12:13]
                                        ; implicit-def: $vgpr12
	s_and_saveexec_b64 s[10:11], vcc
	s_xor_b64 s[10:11], exec, s[10:11]
	s_cbranch_execz .LBB297_2106
; %bb.2073:
	v_cmp_lt_i16_e32 vcc, 23, v3
                                        ; implicit-def: $vgpr12
	s_and_saveexec_b64 s[18:19], vcc
	s_xor_b64 s[18:19], exec, s[18:19]
	s_cbranch_execz .LBB297_2097
; %bb.2074:
	v_cmp_lt_i16_e32 vcc, 24, v3
                                        ; implicit-def: $vgpr12
	s_and_saveexec_b64 s[20:21], vcc
	s_xor_b64 s[20:21], exec, s[20:21]
	s_cbranch_execz .LBB297_2088
; %bb.2075:
	flat_load_ubyte v5, v[16:17]
	s_movk_i32 s22, 0x7f
	s_waitcnt vmcnt(0) lgkmcnt(0)
	v_cmp_lt_i16_e32 vcc, s22, v5
	s_mov_b64 s[22:23], 0
	s_and_saveexec_b64 s[24:25], vcc
	s_xor_b64 s[24:25], exec, s[24:25]
	s_cbranch_execz .LBB297_2359
; %bb.2076:
	s_movk_i32 s22, 0x80
	v_cmp_eq_u16_e32 vcc, s22, v5
	s_mov_b64 s[22:23], -1
	s_and_saveexec_b64 s[26:27], vcc
; %bb.2077:
	s_xor_b64 s[22:23], exec, -1
; %bb.2078:
	s_or_b64 exec, exec, s[26:27]
	s_and_b64 s[22:23], s[22:23], exec
	s_or_saveexec_b64 s[24:25], s[24:25]
	v_mov_b32_e32 v1, 0x7f800001
	s_xor_b64 exec, exec, s[24:25]
	s_cbranch_execnz .LBB297_2360
.LBB297_2079:
	s_or_b64 exec, exec, s[24:25]
	s_and_saveexec_b64 s[24:25], s[22:23]
	s_cbranch_execz .LBB297_2081
.LBB297_2080:
	v_lshlrev_b32_e32 v1, 24, v5
	v_and_b32_e32 v5, 0xffff, v5
	v_and_b32_e32 v12, 3, v5
	v_ffbh_u32_e32 v21, v12
	v_min_u32_e32 v21, 32, v21
	v_subrev_u32_e32 v22, 29, v21
	v_bfe_u32 v14, v5, 2, 5
	v_lshlrev_b32_e32 v5, v22, v5
	v_sub_u32_e32 v21, 30, v21
	v_and_b32_e32 v5, 3, v5
	v_cmp_eq_u32_e32 vcc, 0, v14
	v_cndmask_b32_e32 v14, v14, v21, vcc
	v_cndmask_b32_e32 v5, v12, v5, vcc
	v_mov_b32_e32 v12, 0x37800000
	v_lshlrev_b32_e32 v5, 21, v5
	v_and_b32_e32 v1, 0x80000000, v1
	v_lshl_add_u32 v12, v14, 23, v12
	v_or3_b32 v1, v1, v12, v5
.LBB297_2081:
	s_or_b64 exec, exec, s[24:25]
	v_and_b32_e32 v5, 0x7fffffff, v1
	s_mov_b32 s22, 0x43800000
	v_cmp_gt_u32_e32 vcc, s22, v5
	v_mov_b32_e32 v12, 0x80
	s_and_saveexec_b64 s[22:23], vcc
	s_cbranch_execz .LBB297_2087
; %bb.2082:
	s_mov_b32 s24, 0x3bffffff
	v_cmp_lt_u32_e32 vcc, s24, v5
	s_mov_b64 s[24:25], 0
                                        ; implicit-def: $vgpr5
	s_and_saveexec_b64 s[26:27], vcc
	s_xor_b64 s[26:27], exec, s[26:27]
	s_cbranch_execz .LBB297_2444
; %bb.2083:
	v_bfe_u32 v5, v1, 20, 1
	s_mov_b32 s28, 0x487ffff
	v_add3_u32 v5, v1, v5, s28
	s_mov_b64 s[24:25], exec
	v_lshrrev_b32_e32 v5, 20, v5
	s_andn2_saveexec_b64 s[26:27], s[26:27]
	s_cbranch_execnz .LBB297_2445
.LBB297_2084:
	s_or_b64 exec, exec, s[26:27]
	v_mov_b32_e32 v12, 0
	s_and_saveexec_b64 s[26:27], s[24:25]
.LBB297_2085:
	v_lshrrev_b32_e32 v1, 24, v1
	s_movk_i32 s24, 0x80
	v_and_or_b32 v12, v1, s24, v5
.LBB297_2086:
	s_or_b64 exec, exec, s[26:27]
.LBB297_2087:
	s_or_b64 exec, exec, s[22:23]
.LBB297_2088:
	s_andn2_saveexec_b64 s[20:21], s[20:21]
	s_cbranch_execz .LBB297_2096
; %bb.2089:
	flat_load_ubyte v1, v[16:17]
	s_mov_b32 s22, 0x7f800000
	s_brev_b32 s23, 1
	s_mov_b32 s24, 0x43800000
	s_waitcnt vmcnt(0) lgkmcnt(0)
	v_lshlrev_b32_e32 v1, 24, v1
	v_and_b32_e32 v5, 0x7f000000, v1
	v_ffbh_u32_e32 v12, v5
	v_min_u32_e32 v12, 32, v12
	v_sub_u32_e64 v12, v12, 4 clamp
	v_lshlrev_b32_e32 v21, v12, v5
	v_lshlrev_b32_e32 v12, 23, v12
	v_lshrrev_b32_e32 v21, 4, v21
	v_add_u32_e32 v14, 0x1000000, v5
	v_sub_u32_e32 v12, v21, v12
	v_ashrrev_i32_e32 v14, 8, v14
	v_add_u32_e32 v12, 0x3c000000, v12
	v_and_or_b32 v12, v14, s22, v12
	v_cmp_ne_u32_e32 vcc, 0, v5
	v_cndmask_b32_e32 v14, 0, v12, vcc
	v_and_or_b32 v1, v1, s23, v14
	v_and_b32_e32 v5, 0x7fffffff, v1
	v_cmp_gt_u32_e32 vcc, s24, v5
	v_mov_b32_e32 v12, 0x80
	s_and_saveexec_b64 s[22:23], vcc
	s_cbranch_execz .LBB297_2095
; %bb.2090:
	s_mov_b32 s24, 0x3bffffff
	v_cmp_lt_u32_e32 vcc, s24, v5
	s_mov_b64 s[24:25], 0
                                        ; implicit-def: $vgpr5
	s_and_saveexec_b64 s[26:27], vcc
	s_xor_b64 s[26:27], exec, s[26:27]
	s_cbranch_execz .LBB297_2446
; %bb.2091:
	v_bfe_u32 v5, v14, 20, 1
	s_mov_b32 s28, 0x487ffff
	v_add3_u32 v5, v1, v5, s28
	s_mov_b64 s[24:25], exec
	v_lshrrev_b32_e32 v5, 20, v5
	s_andn2_saveexec_b64 s[26:27], s[26:27]
	s_cbranch_execnz .LBB297_2447
.LBB297_2092:
	s_or_b64 exec, exec, s[26:27]
	v_mov_b32_e32 v12, 0
	s_and_saveexec_b64 s[26:27], s[24:25]
.LBB297_2093:
	v_lshrrev_b32_e32 v1, 24, v1
	s_movk_i32 s24, 0x80
	v_and_or_b32 v12, v1, s24, v5
.LBB297_2094:
	s_or_b64 exec, exec, s[26:27]
.LBB297_2095:
	s_or_b64 exec, exec, s[22:23]
.LBB297_2096:
	s_or_b64 exec, exec, s[20:21]
.LBB297_2097:
	s_andn2_saveexec_b64 s[18:19], s[18:19]
	s_cbranch_execz .LBB297_2105
; %bb.2098:
	flat_load_ubyte v1, v[16:17]
	s_movk_i32 s20, 0x7f00
	s_brev_b32 s21, 16
	s_brev_b32 s22, 1
	s_mov_b32 s23, 0x43800000
	s_waitcnt vmcnt(0) lgkmcnt(0)
	v_lshlrev_b16_e32 v5, 8, v1
	v_lshlrev_b32_e32 v1, 25, v1
	v_lshrrev_b32_e32 v12, 4, v1
	v_and_or_b32 v14, v5, s20, 0.5
	v_or_b32_e32 v12, 0x70000000, v12
	v_add_f32_e32 v14, -0.5, v14
	v_mul_f32_e32 v12, 0x7800000, v12
	v_cmp_gt_u32_e32 vcc, s21, v1
	v_bfe_i32 v5, v5, 0, 16
	v_cndmask_b32_e32 v14, v12, v14, vcc
	v_and_or_b32 v1, v5, s22, v14
	v_and_b32_e32 v5, 0x7fffffff, v1
	v_cmp_gt_u32_e32 vcc, s23, v5
	v_mov_b32_e32 v12, 0x80
	s_and_saveexec_b64 s[20:21], vcc
	s_cbranch_execz .LBB297_2104
; %bb.2099:
	s_mov_b32 s22, 0x3bffffff
	v_cmp_lt_u32_e32 vcc, s22, v5
	s_mov_b64 s[22:23], 0
                                        ; implicit-def: $vgpr5
	s_and_saveexec_b64 s[24:25], vcc
	s_xor_b64 s[24:25], exec, s[24:25]
	s_cbranch_execz .LBB297_2361
; %bb.2100:
	v_bfe_u32 v5, v14, 20, 1
	s_mov_b32 s26, 0x487ffff
	v_add3_u32 v5, v1, v5, s26
	s_mov_b64 s[22:23], exec
	v_lshrrev_b32_e32 v5, 20, v5
	s_andn2_saveexec_b64 s[24:25], s[24:25]
	s_cbranch_execnz .LBB297_2362
.LBB297_2101:
	s_or_b64 exec, exec, s[24:25]
	v_mov_b32_e32 v12, 0
	s_and_saveexec_b64 s[24:25], s[22:23]
.LBB297_2102:
	v_lshrrev_b32_e32 v1, 24, v1
	s_movk_i32 s22, 0x80
	v_and_or_b32 v12, v1, s22, v5
.LBB297_2103:
	s_or_b64 exec, exec, s[24:25]
.LBB297_2104:
	s_or_b64 exec, exec, s[20:21]
.LBB297_2105:
	s_or_b64 exec, exec, s[18:19]
	s_or_b64 s[18:19], s[12:13], exec
.LBB297_2106:
	s_or_saveexec_b64 s[10:11], s[10:11]
	s_mov_b64 s[20:21], 0
	s_mov_b64 s[22:23], s[14:15]
	s_xor_b64 exec, exec, s[10:11]
	s_cbranch_execz .LBB297_2120
; %bb.2107:
	v_cmp_lt_i16_e32 vcc, 14, v3
	s_mov_b64 s[22:23], s[14:15]
	s_mov_b64 s[24:25], s[18:19]
                                        ; implicit-def: $vgpr12
	s_and_saveexec_b64 s[20:21], vcc
	s_xor_b64 s[20:21], exec, s[20:21]
	s_cbranch_execz .LBB297_2117
; %bb.2108:
	v_cmp_eq_u16_e32 vcc, 15, v3
	s_mov_b64 s[26:27], -1
	s_mov_b64 s[24:25], s[18:19]
                                        ; implicit-def: $vgpr12
	s_and_saveexec_b64 s[22:23], vcc
	s_cbranch_execz .LBB297_2116
; %bb.2109:
	flat_load_ushort v1, v[16:17]
	s_mov_b32 s24, 0x43800000
	s_waitcnt vmcnt(0) lgkmcnt(0)
	v_mov_b32_e32 v12, 0x80
	v_lshlrev_b32_e32 v14, 16, v1
	v_and_b32_e32 v5, 0x7fffffff, v14
	v_cmp_gt_u32_e32 vcc, s24, v5
	s_and_saveexec_b64 s[24:25], vcc
	s_cbranch_execz .LBB297_2115
; %bb.2110:
	s_mov_b32 s26, 0x3bffffff
	v_cmp_lt_u32_e32 vcc, s26, v5
	s_mov_b64 s[26:27], 0
                                        ; implicit-def: $vgpr5
	s_and_saveexec_b64 s[28:29], vcc
	s_xor_b64 s[28:29], exec, s[28:29]
	s_cbranch_execz .LBB297_2448
; %bb.2111:
	v_bfe_u32 v5, v1, 4, 1
	s_mov_b32 s30, 0x487ffff
	v_add3_u32 v5, v14, v5, s30
	s_mov_b64 s[26:27], exec
	v_lshrrev_b32_e32 v5, 20, v5
                                        ; implicit-def: $vgpr14
	s_andn2_saveexec_b64 s[28:29], s[28:29]
	s_cbranch_execnz .LBB297_2449
.LBB297_2112:
	s_or_b64 exec, exec, s[28:29]
	v_mov_b32_e32 v12, 0
	s_and_saveexec_b64 s[28:29], s[26:27]
.LBB297_2113:
	v_lshrrev_b32_e32 v1, 8, v1
	s_movk_i32 s26, 0x80
	v_and_or_b32 v12, v1, s26, v5
.LBB297_2114:
	s_or_b64 exec, exec, s[28:29]
.LBB297_2115:
	s_or_b64 exec, exec, s[24:25]
	s_or_b64 s[24:25], s[18:19], exec
	s_xor_b64 s[26:27], exec, -1
.LBB297_2116:
	s_or_b64 exec, exec, s[22:23]
	s_andn2_b64 s[22:23], s[18:19], exec
	s_and_b64 s[24:25], s[24:25], exec
	s_or_b64 s[24:25], s[22:23], s[24:25]
	s_andn2_b64 s[22:23], s[14:15], exec
	s_and_b64 s[26:27], s[26:27], exec
	s_or_b64 s[22:23], s[22:23], s[26:27]
.LBB297_2117:
	s_or_saveexec_b64 s[20:21], s[20:21]
	s_mov_b64 s[26:27], 0
	s_xor_b64 exec, exec, s[20:21]
; %bb.2118:
	v_cmp_ne_u16_e32 vcc, 11, v3
	s_andn2_b64 s[22:23], s[22:23], exec
	s_and_b64 s[28:29], vcc, exec
	s_mov_b64 s[26:27], exec
	s_or_b64 s[22:23], s[22:23], s[28:29]
; %bb.2119:
	s_or_b64 exec, exec, s[20:21]
	s_andn2_b64 s[18:19], s[18:19], exec
	s_and_b64 s[20:21], s[24:25], exec
	s_andn2_b64 s[24:25], s[14:15], exec
	s_and_b64 s[22:23], s[22:23], exec
	s_or_b64 s[18:19], s[18:19], s[20:21]
	s_and_b64 s[20:21], s[26:27], exec
	s_or_b64 s[22:23], s[24:25], s[22:23]
.LBB297_2120:
	s_or_b64 exec, exec, s[10:11]
	s_andn2_b64 s[10:11], s[12:13], exec
	s_and_b64 s[12:13], s[18:19], exec
	s_andn2_b64 s[14:15], s[14:15], exec
	s_and_b64 s[18:19], s[22:23], exec
	s_or_b64 s[12:13], s[10:11], s[12:13]
	s_and_b64 s[10:11], s[20:21], exec
	s_or_b64 s[14:15], s[14:15], s[18:19]
	s_or_b64 exec, exec, s[16:17]
	s_mov_b64 s[16:17], s[6:7]
	s_and_saveexec_b64 s[18:19], s[14:15]
	s_cbranch_execz .LBB297_251
.LBB297_2121:
	s_trap 2
	s_or_b64 s[16:17], s[6:7], exec
	s_andn2_b64 s[10:11], s[10:11], exec
	s_or_b64 exec, exec, s[18:19]
	s_and_saveexec_b64 s[14:15], s[10:11]
	s_xor_b64 s[10:11], exec, s[14:15]
	s_cbranch_execnz .LBB297_252
	s_branch .LBB297_259
.LBB297_2122:
	s_andn2_saveexec_b64 s[20:21], s[20:21]
	s_cbranch_execz .LBB297_428
.LBB297_2123:
	v_cmp_lt_i16_e32 vcc, 22, v1
	s_mov_b64 s[22:23], s[16:17]
                                        ; implicit-def: $vgpr14
	s_and_saveexec_b64 s[14:15], vcc
	s_xor_b64 s[14:15], exec, s[14:15]
	s_cbranch_execz .LBB297_2157
; %bb.2124:
	v_cmp_lt_i16_e32 vcc, 23, v1
                                        ; implicit-def: $vgpr14
	s_and_saveexec_b64 s[22:23], vcc
	s_xor_b64 s[22:23], exec, s[22:23]
	s_cbranch_execz .LBB297_2148
; %bb.2125:
	v_cmp_lt_i16_e32 vcc, 24, v1
                                        ; implicit-def: $vgpr14
	s_and_saveexec_b64 s[24:25], vcc
	s_xor_b64 s[24:25], exec, s[24:25]
	s_cbranch_execz .LBB297_2139
; %bb.2126:
	s_waitcnt vmcnt(0) lgkmcnt(0)
	flat_load_ubyte v14, v[16:17]
	s_movk_i32 s26, 0x7f
	s_waitcnt vmcnt(0) lgkmcnt(0)
	v_cmp_lt_i16_e32 vcc, s26, v14
	s_mov_b64 s[26:27], 0
	s_and_saveexec_b64 s[28:29], vcc
	s_xor_b64 s[28:29], exec, s[28:29]
	s_cbranch_execz .LBB297_2450
; %bb.2127:
	s_movk_i32 s26, 0x80
	v_cmp_eq_u16_e32 vcc, s26, v14
	s_mov_b64 s[26:27], -1
	s_and_saveexec_b64 s[30:31], vcc
; %bb.2128:
	s_xor_b64 s[26:27], exec, -1
; %bb.2129:
	s_or_b64 exec, exec, s[30:31]
	s_and_b64 s[26:27], s[26:27], exec
	s_or_saveexec_b64 s[28:29], s[28:29]
	v_mov_b32_e32 v20, 0x7f800001
	s_xor_b64 exec, exec, s[28:29]
	s_cbranch_execnz .LBB297_2451
.LBB297_2130:
	s_or_b64 exec, exec, s[28:29]
	s_and_saveexec_b64 s[28:29], s[26:27]
	s_cbranch_execz .LBB297_2132
.LBB297_2131:
	v_lshlrev_b32_e32 v20, 24, v14
	v_and_b32_e32 v14, 0xffff, v14
	v_and_b32_e32 v21, 3, v14
	v_ffbh_u32_e32 v26, v21
	v_min_u32_e32 v26, 32, v26
	v_subrev_u32_e32 v27, 29, v26
	v_bfe_u32 v22, v14, 2, 5
	v_lshlrev_b32_e32 v14, v27, v14
	v_sub_u32_e32 v26, 30, v26
	v_and_b32_e32 v14, 3, v14
	v_cmp_eq_u32_e32 vcc, 0, v22
	v_cndmask_b32_e32 v22, v22, v26, vcc
	v_cndmask_b32_e32 v14, v21, v14, vcc
	v_mov_b32_e32 v21, 0x37800000
	v_lshlrev_b32_e32 v14, 21, v14
	v_and_b32_e32 v20, 0x80000000, v20
	v_lshl_add_u32 v21, v22, 23, v21
	v_or3_b32 v20, v20, v21, v14
.LBB297_2132:
	s_or_b64 exec, exec, s[28:29]
	v_and_b32_e32 v21, 0x7fffffff, v20
	s_mov_b32 s26, 0x43800000
	v_cmp_gt_u32_e32 vcc, s26, v21
	v_mov_b32_e32 v14, 0x80
	s_and_saveexec_b64 s[26:27], vcc
	s_cbranch_execz .LBB297_2138
; %bb.2133:
	s_mov_b32 s28, 0x3bffffff
	v_cmp_lt_u32_e32 vcc, s28, v21
	s_mov_b64 s[28:29], 0
                                        ; implicit-def: $vgpr21
	s_and_saveexec_b64 s[30:31], vcc
	s_xor_b64 s[30:31], exec, s[30:31]
	s_cbranch_execz .LBB297_2547
; %bb.2134:
	v_bfe_u32 v14, v20, 20, 1
	s_mov_b32 s33, 0x487ffff
	v_add3_u32 v14, v20, v14, s33
	s_mov_b64 s[28:29], exec
	v_lshrrev_b32_e32 v21, 20, v14
	s_andn2_saveexec_b64 s[30:31], s[30:31]
	s_cbranch_execnz .LBB297_2548
.LBB297_2135:
	s_or_b64 exec, exec, s[30:31]
	v_mov_b32_e32 v14, 0
	s_and_saveexec_b64 s[30:31], s[28:29]
.LBB297_2136:
	v_lshrrev_b32_e32 v14, 24, v20
	s_movk_i32 s28, 0x80
	v_and_or_b32 v14, v14, s28, v21
.LBB297_2137:
	s_or_b64 exec, exec, s[30:31]
.LBB297_2138:
	s_or_b64 exec, exec, s[26:27]
.LBB297_2139:
	s_andn2_saveexec_b64 s[24:25], s[24:25]
	s_cbranch_execz .LBB297_2147
; %bb.2140:
	s_waitcnt vmcnt(0) lgkmcnt(0)
	flat_load_ubyte v14, v[16:17]
	s_mov_b32 s26, 0x7f800000
	s_brev_b32 s27, 1
	s_mov_b32 s28, 0x43800000
	s_waitcnt vmcnt(0) lgkmcnt(0)
	v_lshlrev_b32_e32 v14, 24, v14
	v_and_b32_e32 v20, 0x7f000000, v14
	v_ffbh_u32_e32 v21, v20
	v_min_u32_e32 v21, 32, v21
	v_sub_u32_e64 v21, v21, 4 clamp
	v_lshlrev_b32_e32 v26, v21, v20
	v_lshlrev_b32_e32 v21, 23, v21
	v_lshrrev_b32_e32 v26, 4, v26
	v_add_u32_e32 v22, 0x1000000, v20
	v_sub_u32_e32 v21, v26, v21
	v_ashrrev_i32_e32 v22, 8, v22
	v_add_u32_e32 v21, 0x3c000000, v21
	v_and_or_b32 v21, v22, s26, v21
	v_cmp_ne_u32_e32 vcc, 0, v20
	v_cndmask_b32_e32 v22, 0, v21, vcc
	v_and_or_b32 v20, v14, s27, v22
	v_and_b32_e32 v21, 0x7fffffff, v20
	v_cmp_gt_u32_e32 vcc, s28, v21
	v_mov_b32_e32 v14, 0x80
	s_and_saveexec_b64 s[26:27], vcc
	s_cbranch_execz .LBB297_2146
; %bb.2141:
	s_mov_b32 s28, 0x3bffffff
	v_cmp_lt_u32_e32 vcc, s28, v21
	s_mov_b64 s[28:29], 0
                                        ; implicit-def: $vgpr21
	s_and_saveexec_b64 s[30:31], vcc
	s_xor_b64 s[30:31], exec, s[30:31]
	s_cbranch_execz .LBB297_2549
; %bb.2142:
	v_bfe_u32 v14, v22, 20, 1
	s_mov_b32 s33, 0x487ffff
	v_add3_u32 v14, v20, v14, s33
	s_mov_b64 s[28:29], exec
	v_lshrrev_b32_e32 v21, 20, v14
	s_andn2_saveexec_b64 s[30:31], s[30:31]
	s_cbranch_execnz .LBB297_2550
.LBB297_2143:
	s_or_b64 exec, exec, s[30:31]
	v_mov_b32_e32 v14, 0
	s_and_saveexec_b64 s[30:31], s[28:29]
.LBB297_2144:
	v_lshrrev_b32_e32 v14, 24, v20
	s_movk_i32 s28, 0x80
	v_and_or_b32 v14, v14, s28, v21
.LBB297_2145:
	s_or_b64 exec, exec, s[30:31]
.LBB297_2146:
	s_or_b64 exec, exec, s[26:27]
.LBB297_2147:
	s_or_b64 exec, exec, s[24:25]
.LBB297_2148:
	s_andn2_saveexec_b64 s[22:23], s[22:23]
	s_cbranch_execz .LBB297_2156
; %bb.2149:
	s_waitcnt vmcnt(0) lgkmcnt(0)
	flat_load_ubyte v14, v[16:17]
	s_movk_i32 s24, 0x7f00
	s_brev_b32 s25, 16
	s_brev_b32 s26, 1
	s_mov_b32 s27, 0x43800000
	s_waitcnt vmcnt(0) lgkmcnt(0)
	v_lshlrev_b16_e32 v20, 8, v14
	v_lshlrev_b32_e32 v14, 25, v14
	v_lshrrev_b32_e32 v21, 4, v14
	v_and_or_b32 v22, v20, s24, 0.5
	v_or_b32_e32 v21, 0x70000000, v21
	v_add_f32_e32 v22, -0.5, v22
	v_mul_f32_e32 v21, 0x7800000, v21
	v_cmp_gt_u32_e32 vcc, s25, v14
	v_bfe_i32 v20, v20, 0, 16
	v_cndmask_b32_e32 v22, v21, v22, vcc
	v_and_or_b32 v20, v20, s26, v22
	v_and_b32_e32 v21, 0x7fffffff, v20
	v_cmp_gt_u32_e32 vcc, s27, v21
	v_mov_b32_e32 v14, 0x80
	s_and_saveexec_b64 s[24:25], vcc
	s_cbranch_execz .LBB297_2155
; %bb.2150:
	s_mov_b32 s26, 0x3bffffff
	v_cmp_lt_u32_e32 vcc, s26, v21
	s_mov_b64 s[26:27], 0
                                        ; implicit-def: $vgpr21
	s_and_saveexec_b64 s[28:29], vcc
	s_xor_b64 s[28:29], exec, s[28:29]
	s_cbranch_execz .LBB297_2452
; %bb.2151:
	v_bfe_u32 v14, v22, 20, 1
	s_mov_b32 s30, 0x487ffff
	v_add3_u32 v14, v20, v14, s30
	s_mov_b64 s[26:27], exec
	v_lshrrev_b32_e32 v21, 20, v14
	s_andn2_saveexec_b64 s[28:29], s[28:29]
	s_cbranch_execnz .LBB297_2453
.LBB297_2152:
	s_or_b64 exec, exec, s[28:29]
	v_mov_b32_e32 v14, 0
	s_and_saveexec_b64 s[28:29], s[26:27]
.LBB297_2153:
	v_lshrrev_b32_e32 v14, 24, v20
	s_movk_i32 s26, 0x80
	v_and_or_b32 v14, v14, s26, v21
.LBB297_2154:
	s_or_b64 exec, exec, s[28:29]
.LBB297_2155:
	s_or_b64 exec, exec, s[24:25]
.LBB297_2156:
	s_or_b64 exec, exec, s[22:23]
	s_or_b64 s[22:23], s[16:17], exec
.LBB297_2157:
	s_or_saveexec_b64 s[14:15], s[14:15]
	s_mov_b64 s[24:25], 0
	s_mov_b64 s[26:27], s[18:19]
	s_xor_b64 exec, exec, s[14:15]
	s_cbranch_execz .LBB297_2171
; %bb.2158:
	v_cmp_lt_i16_e32 vcc, 14, v1
	s_mov_b64 s[26:27], s[18:19]
	s_mov_b64 s[28:29], s[22:23]
                                        ; implicit-def: $vgpr14
	s_and_saveexec_b64 s[24:25], vcc
	s_xor_b64 s[24:25], exec, s[24:25]
	s_cbranch_execz .LBB297_2168
; %bb.2159:
	v_cmp_eq_u16_e32 vcc, 15, v1
	s_mov_b64 s[30:31], -1
	s_mov_b64 s[28:29], s[22:23]
                                        ; implicit-def: $vgpr14
	s_and_saveexec_b64 s[26:27], vcc
	s_cbranch_execz .LBB297_2167
; %bb.2160:
	flat_load_ushort v20, v[16:17]
	s_mov_b32 s28, 0x43800000
	s_waitcnt vmcnt(0) lgkmcnt(0)
	v_mov_b32_e32 v14, 0x80
	v_lshlrev_b32_e32 v22, 16, v20
	v_and_b32_e32 v21, 0x7fffffff, v22
	v_cmp_gt_u32_e32 vcc, s28, v21
	s_and_saveexec_b64 s[28:29], vcc
	s_cbranch_execz .LBB297_2166
; %bb.2161:
	s_mov_b32 s30, 0x3bffffff
	v_cmp_lt_u32_e32 vcc, s30, v21
	s_mov_b64 s[30:31], 0
                                        ; implicit-def: $vgpr21
	s_and_saveexec_b64 s[34:35], vcc
	s_xor_b64 s[34:35], exec, s[34:35]
	s_cbranch_execz .LBB297_2551
; %bb.2162:
	v_bfe_u32 v14, v20, 4, 1
	s_mov_b32 s33, 0x487ffff
	v_add3_u32 v14, v22, v14, s33
	s_mov_b64 s[30:31], exec
	v_lshrrev_b32_e32 v21, 20, v14
                                        ; implicit-def: $vgpr22
	s_andn2_saveexec_b64 s[34:35], s[34:35]
	s_cbranch_execnz .LBB297_2552
.LBB297_2163:
	s_or_b64 exec, exec, s[34:35]
	v_mov_b32_e32 v14, 0
	s_and_saveexec_b64 s[34:35], s[30:31]
.LBB297_2164:
	v_lshrrev_b32_e32 v14, 8, v20
	s_movk_i32 s30, 0x80
	v_and_or_b32 v14, v14, s30, v21
.LBB297_2165:
	s_or_b64 exec, exec, s[34:35]
.LBB297_2166:
	s_or_b64 exec, exec, s[28:29]
	s_or_b64 s[28:29], s[22:23], exec
	s_xor_b64 s[30:31], exec, -1
.LBB297_2167:
	s_or_b64 exec, exec, s[26:27]
	s_andn2_b64 s[26:27], s[22:23], exec
	s_and_b64 s[28:29], s[28:29], exec
	s_or_b64 s[28:29], s[26:27], s[28:29]
	s_andn2_b64 s[26:27], s[18:19], exec
	s_and_b64 s[30:31], s[30:31], exec
	s_or_b64 s[26:27], s[26:27], s[30:31]
.LBB297_2168:
	s_or_saveexec_b64 s[24:25], s[24:25]
	s_mov_b64 s[30:31], 0
	s_xor_b64 exec, exec, s[24:25]
; %bb.2169:
	v_cmp_ne_u16_e32 vcc, 11, v1
	s_andn2_b64 s[26:27], s[26:27], exec
	s_and_b64 s[34:35], vcc, exec
	s_mov_b64 s[30:31], exec
	s_or_b64 s[26:27], s[26:27], s[34:35]
; %bb.2170:
	s_or_b64 exec, exec, s[24:25]
	s_andn2_b64 s[22:23], s[22:23], exec
	s_and_b64 s[24:25], s[28:29], exec
	s_andn2_b64 s[28:29], s[18:19], exec
	s_and_b64 s[26:27], s[26:27], exec
	s_or_b64 s[22:23], s[22:23], s[24:25]
	s_and_b64 s[24:25], s[30:31], exec
	s_or_b64 s[26:27], s[28:29], s[26:27]
.LBB297_2171:
	s_or_b64 exec, exec, s[14:15]
	s_andn2_b64 s[14:15], s[16:17], exec
	s_and_b64 s[16:17], s[22:23], exec
	s_andn2_b64 s[18:19], s[18:19], exec
	s_and_b64 s[22:23], s[26:27], exec
	s_or_b64 s[16:17], s[14:15], s[16:17]
	s_and_b64 s[14:15], s[24:25], exec
	s_or_b64 s[18:19], s[18:19], s[22:23]
	s_or_b64 exec, exec, s[20:21]
	s_mov_b64 s[20:21], s[10:11]
	s_and_saveexec_b64 s[22:23], s[18:19]
	s_cbranch_execz .LBB297_429
.LBB297_2172:
	s_trap 2
	s_or_b64 s[20:21], s[10:11], exec
	s_andn2_b64 s[14:15], s[14:15], exec
	s_or_b64 exec, exec, s[22:23]
	s_and_saveexec_b64 s[18:19], s[14:15]
	s_xor_b64 s[14:15], exec, s[18:19]
	s_cbranch_execnz .LBB297_430
	s_branch .LBB297_437
.LBB297_2173:
	s_andn2_saveexec_b64 s[20:21], s[20:21]
	s_cbranch_execz .LBB297_255
.LBB297_2174:
	v_add_f32_e32 v1, 0x46000000, v5
	v_and_b32_e32 v1, 0xff, v1
	v_cmp_ne_u32_e32 vcc, 0, v1
	s_andn2_b64 s[18:19], s[18:19], exec
	s_and_b64 s[22:23], vcc, exec
	s_or_b64 s[18:19], s[18:19], s[22:23]
	s_or_b64 exec, exec, s[20:21]
	v_mov_b32_e32 v12, 0
	s_and_saveexec_b64 s[20:21], s[18:19]
	s_cbranch_execnz .LBB297_256
	s_branch .LBB297_257
.LBB297_2175:
	s_or_saveexec_b64 s[20:21], s[20:21]
	v_mov_b32_e32 v10, 0x7f800001
	s_xor_b64 exec, exec, s[20:21]
	s_cbranch_execz .LBB297_552
.LBB297_2176:
	v_mov_b32_e32 v10, 0
	v_cmp_ne_u16_sdwa s[22:23], v12, v10 src0_sel:BYTE_0 src1_sel:DWORD
	s_andn2_b64 s[4:5], s[4:5], exec
	s_and_b64 s[22:23], s[22:23], exec
	s_or_b64 s[4:5], s[4:5], s[22:23]
	s_or_b64 exec, exec, s[20:21]
	s_and_saveexec_b64 s[20:21], s[4:5]
	s_cbranch_execnz .LBB297_553
	s_branch .LBB297_554
.LBB297_2177:
	s_or_saveexec_b64 s[20:21], s[20:21]
	v_mov_b32_e32 v12, 0x7f800001
	s_xor_b64 exec, exec, s[20:21]
	s_cbranch_execz .LBB297_558
.LBB297_2178:
	v_mov_b32_e32 v12, 0
	v_cmp_ne_u16_sdwa s[22:23], v14, v12 src0_sel:BYTE_0 src1_sel:DWORD
	s_andn2_b64 s[4:5], s[4:5], exec
	s_and_b64 s[22:23], s[22:23], exec
	s_or_b64 s[4:5], s[4:5], s[22:23]
	s_or_b64 exec, exec, s[20:21]
	s_and_saveexec_b64 s[20:21], s[4:5]
	s_cbranch_execnz .LBB297_559
	s_branch .LBB297_560
.LBB297_2179:
	s_or_saveexec_b64 s[20:21], s[20:21]
	v_mov_b32_e32 v10, 0x7f800001
	s_xor_b64 exec, exec, s[20:21]
	s_cbranch_execz .LBB297_566
.LBB297_2180:
	v_mov_b32_e32 v10, 0
	v_cmp_ne_u16_sdwa s[24:25], v12, v10 src0_sel:BYTE_0 src1_sel:DWORD
	s_andn2_b64 s[4:5], s[4:5], exec
	s_and_b64 s[24:25], s[24:25], exec
	s_or_b64 s[4:5], s[4:5], s[24:25]
	s_or_b64 exec, exec, s[20:21]
	s_and_saveexec_b64 s[20:21], s[4:5]
	s_cbranch_execnz .LBB297_567
	s_branch .LBB297_568
.LBB297_2181:
	s_or_saveexec_b64 s[20:21], s[20:21]
	v_mov_b32_e32 v12, 0x7f800001
	s_xor_b64 exec, exec, s[20:21]
	s_cbranch_execz .LBB297_572
.LBB297_2182:
	v_mov_b32_e32 v12, 0
	v_cmp_ne_u16_sdwa s[24:25], v14, v12 src0_sel:BYTE_0 src1_sel:DWORD
	s_andn2_b64 s[4:5], s[4:5], exec
	s_and_b64 s[24:25], s[24:25], exec
	s_or_b64 s[4:5], s[4:5], s[24:25]
	s_or_b64 exec, exec, s[20:21]
	s_and_saveexec_b64 s[20:21], s[4:5]
	s_cbranch_execnz .LBB297_573
	s_branch .LBB297_574
.LBB297_2183:
	s_andn2_saveexec_b64 s[28:29], s[28:29]
	s_cbranch_execz .LBB297_634
.LBB297_2184:
	v_cmp_lt_i16_e64 s[4:5], 22, v3
	s_mov_b64 s[30:31], s[24:25]
                                        ; implicit-def: $vgpr10
	s_and_saveexec_b64 s[18:19], s[4:5]
	s_xor_b64 s[18:19], exec, s[18:19]
	s_cbranch_execz .LBB297_2218
; %bb.2185:
	v_cmp_lt_i16_e64 s[4:5], 23, v3
                                        ; implicit-def: $vgpr10
	s_and_saveexec_b64 s[30:31], s[4:5]
	s_xor_b64 s[30:31], exec, s[30:31]
	s_cbranch_execz .LBB297_2209
; %bb.2186:
	v_cmp_lt_i16_e64 s[4:5], 24, v3
                                        ; implicit-def: $vgpr10
	s_and_saveexec_b64 s[34:35], s[4:5]
	s_xor_b64 s[34:35], exec, s[34:35]
	s_cbranch_execz .LBB297_2200
; %bb.2187:
	s_waitcnt vmcnt(0) lgkmcnt(0)
	flat_load_ubyte v10, v[16:17]
	s_movk_i32 s4, 0x7f
	s_mov_b64 s[36:37], 0
	s_waitcnt vmcnt(0) lgkmcnt(0)
	v_cmp_lt_i16_e64 s[4:5], s4, v10
	s_and_saveexec_b64 s[38:39], s[4:5]
	s_xor_b64 s[38:39], exec, s[38:39]
	s_cbranch_execz .LBB297_2553
; %bb.2188:
	s_movk_i32 s4, 0x80
	v_cmp_eq_u16_e64 s[4:5], s4, v10
	s_mov_b64 s[36:37], -1
	s_and_saveexec_b64 s[40:41], s[4:5]
; %bb.2189:
	s_xor_b64 s[36:37], exec, -1
; %bb.2190:
	s_or_b64 exec, exec, s[40:41]
	s_and_b64 s[36:37], s[36:37], exec
	s_or_saveexec_b64 s[38:39], s[38:39]
	v_mov_b32_e32 v12, 0x7f800001
	s_xor_b64 exec, exec, s[38:39]
	s_cbranch_execnz .LBB297_2554
.LBB297_2191:
	s_or_b64 exec, exec, s[38:39]
	s_and_saveexec_b64 s[38:39], s[36:37]
	s_cbranch_execz .LBB297_2193
.LBB297_2192:
	v_lshlrev_b32_e32 v12, 24, v10
	v_and_b32_e32 v10, 0xffff, v10
	v_and_b32_e32 v14, 3, v10
	v_ffbh_u32_e32 v20, v14
	v_min_u32_e32 v20, 32, v20
	v_subrev_u32_e32 v21, 29, v20
	v_bfe_u32 v18, v10, 2, 5
	v_lshlrev_b32_e32 v10, v21, v10
	v_sub_u32_e32 v20, 30, v20
	v_and_b32_e32 v10, 3, v10
	v_cmp_eq_u32_e64 s[4:5], 0, v18
	v_cndmask_b32_e64 v18, v18, v20, s[4:5]
	v_cndmask_b32_e64 v10, v14, v10, s[4:5]
	v_mov_b32_e32 v14, 0x37800000
	v_lshlrev_b32_e32 v10, 21, v10
	v_and_b32_e32 v12, 0x80000000, v12
	v_lshl_add_u32 v14, v18, 23, v14
	v_or3_b32 v12, v12, v14, v10
.LBB297_2193:
	s_or_b64 exec, exec, s[38:39]
	v_and_b32_e32 v14, 0x7fffffff, v12
	s_mov_b32 s4, 0x43800000
	v_cmp_gt_u32_e64 s[4:5], s4, v14
	v_mov_b32_e32 v10, 0x80
	s_and_saveexec_b64 s[36:37], s[4:5]
	s_cbranch_execz .LBB297_2199
; %bb.2194:
	s_mov_b32 s4, 0x3bffffff
	v_cmp_lt_u32_e64 s[4:5], s4, v14
	s_mov_b64 s[38:39], 0
                                        ; implicit-def: $vgpr14
	s_and_saveexec_b64 s[40:41], s[4:5]
	s_xor_b64 s[4:5], exec, s[40:41]
	s_cbranch_execz .LBB297_2642
; %bb.2195:
	v_bfe_u32 v10, v12, 20, 1
	s_mov_b32 s33, 0x487ffff
	v_add3_u32 v10, v12, v10, s33
	s_mov_b64 s[38:39], exec
	v_lshrrev_b32_e32 v14, 20, v10
	s_andn2_saveexec_b64 s[40:41], s[4:5]
	s_cbranch_execnz .LBB297_2643
.LBB297_2196:
	s_or_b64 exec, exec, s[40:41]
	v_mov_b32_e32 v10, 0
	s_and_saveexec_b64 s[4:5], s[38:39]
.LBB297_2197:
	v_lshrrev_b32_e32 v10, 24, v12
	s_movk_i32 s33, 0x80
	v_and_or_b32 v10, v10, s33, v14
.LBB297_2198:
	s_or_b64 exec, exec, s[4:5]
.LBB297_2199:
	s_or_b64 exec, exec, s[36:37]
.LBB297_2200:
	s_andn2_saveexec_b64 s[34:35], s[34:35]
	s_cbranch_execz .LBB297_2208
; %bb.2201:
	s_waitcnt vmcnt(0) lgkmcnt(0)
	flat_load_ubyte v10, v[16:17]
	s_mov_b32 s4, 0x7f800000
	s_brev_b32 s33, 1
	s_mov_b32 s36, 0x43800000
	s_waitcnt vmcnt(0) lgkmcnt(0)
	v_lshlrev_b32_e32 v10, 24, v10
	v_and_b32_e32 v12, 0x7f000000, v10
	v_ffbh_u32_e32 v14, v12
	v_min_u32_e32 v14, 32, v14
	v_sub_u32_e64 v14, v14, 4 clamp
	v_lshlrev_b32_e32 v20, v14, v12
	v_lshlrev_b32_e32 v14, 23, v14
	v_lshrrev_b32_e32 v20, 4, v20
	v_add_u32_e32 v18, 0x1000000, v12
	v_sub_u32_e32 v14, v20, v14
	v_ashrrev_i32_e32 v18, 8, v18
	v_add_u32_e32 v14, 0x3c000000, v14
	v_and_or_b32 v14, v18, s4, v14
	v_cmp_ne_u32_e64 s[4:5], 0, v12
	v_cndmask_b32_e64 v18, 0, v14, s[4:5]
	v_and_or_b32 v12, v10, s33, v18
	v_and_b32_e32 v14, 0x7fffffff, v12
	v_cmp_gt_u32_e64 s[4:5], s36, v14
	v_mov_b32_e32 v10, 0x80
	s_and_saveexec_b64 s[36:37], s[4:5]
	s_cbranch_execz .LBB297_2207
; %bb.2202:
	s_mov_b32 s4, 0x3bffffff
	v_cmp_lt_u32_e64 s[4:5], s4, v14
	s_mov_b64 s[38:39], 0
                                        ; implicit-def: $vgpr14
	s_and_saveexec_b64 s[40:41], s[4:5]
	s_xor_b64 s[4:5], exec, s[40:41]
	s_cbranch_execz .LBB297_2644
; %bb.2203:
	v_bfe_u32 v10, v18, 20, 1
	s_mov_b32 s33, 0x487ffff
	v_add3_u32 v10, v12, v10, s33
	s_mov_b64 s[38:39], exec
	v_lshrrev_b32_e32 v14, 20, v10
	s_andn2_saveexec_b64 s[40:41], s[4:5]
	s_cbranch_execnz .LBB297_2645
.LBB297_2204:
	s_or_b64 exec, exec, s[40:41]
	v_mov_b32_e32 v10, 0
	s_and_saveexec_b64 s[4:5], s[38:39]
.LBB297_2205:
	v_lshrrev_b32_e32 v10, 24, v12
	s_movk_i32 s33, 0x80
	v_and_or_b32 v10, v10, s33, v14
.LBB297_2206:
	s_or_b64 exec, exec, s[4:5]
.LBB297_2207:
	s_or_b64 exec, exec, s[36:37]
.LBB297_2208:
	s_or_b64 exec, exec, s[34:35]
.LBB297_2209:
	s_andn2_saveexec_b64 s[30:31], s[30:31]
	s_cbranch_execz .LBB297_2217
; %bb.2210:
	s_waitcnt vmcnt(0) lgkmcnt(0)
	flat_load_ubyte v10, v[16:17]
	s_movk_i32 s4, 0x7f00
	s_brev_b32 s5, 16
	s_brev_b32 s33, 1
	s_mov_b32 s34, 0x43800000
	s_waitcnt vmcnt(0) lgkmcnt(0)
	v_lshlrev_b16_e32 v12, 8, v10
	v_lshlrev_b32_e32 v10, 25, v10
	v_lshrrev_b32_e32 v14, 4, v10
	v_and_or_b32 v18, v12, s4, 0.5
	v_or_b32_e32 v14, 0x70000000, v14
	v_add_f32_e32 v18, -0.5, v18
	v_mul_f32_e32 v14, 0x7800000, v14
	v_cmp_gt_u32_e64 s[4:5], s5, v10
	v_bfe_i32 v12, v12, 0, 16
	v_cndmask_b32_e64 v18, v14, v18, s[4:5]
	v_and_or_b32 v12, v12, s33, v18
	v_and_b32_e32 v14, 0x7fffffff, v12
	v_cmp_gt_u32_e64 s[4:5], s34, v14
	v_mov_b32_e32 v10, 0x80
	s_and_saveexec_b64 s[34:35], s[4:5]
	s_cbranch_execz .LBB297_2216
; %bb.2211:
	s_mov_b32 s4, 0x3bffffff
	v_cmp_lt_u32_e64 s[4:5], s4, v14
	s_mov_b64 s[36:37], 0
                                        ; implicit-def: $vgpr14
	s_and_saveexec_b64 s[38:39], s[4:5]
	s_xor_b64 s[4:5], exec, s[38:39]
	s_cbranch_execz .LBB297_2555
; %bb.2212:
	v_bfe_u32 v10, v18, 20, 1
	s_mov_b32 s33, 0x487ffff
	v_add3_u32 v10, v12, v10, s33
	s_mov_b64 s[36:37], exec
	v_lshrrev_b32_e32 v14, 20, v10
	s_andn2_saveexec_b64 s[38:39], s[4:5]
	s_cbranch_execnz .LBB297_2556
.LBB297_2213:
	s_or_b64 exec, exec, s[38:39]
	v_mov_b32_e32 v10, 0
	s_and_saveexec_b64 s[4:5], s[36:37]
.LBB297_2214:
	v_lshrrev_b32_e32 v10, 24, v12
	s_movk_i32 s33, 0x80
	v_and_or_b32 v10, v10, s33, v14
.LBB297_2215:
	s_or_b64 exec, exec, s[4:5]
.LBB297_2216:
	s_or_b64 exec, exec, s[34:35]
.LBB297_2217:
	s_or_b64 exec, exec, s[30:31]
	s_or_b64 s[30:31], s[24:25], exec
.LBB297_2218:
	s_or_saveexec_b64 s[18:19], s[18:19]
	s_mov_b64 s[4:5], 0
	s_mov_b64 s[34:35], s[26:27]
	s_xor_b64 exec, exec, s[18:19]
	s_cbranch_execz .LBB297_2232
; %bb.2219:
	v_cmp_lt_i16_e64 s[4:5], 14, v3
	s_mov_b64 s[36:37], s[26:27]
	s_mov_b64 s[38:39], s[30:31]
                                        ; implicit-def: $vgpr10
	s_and_saveexec_b64 s[34:35], s[4:5]
	s_xor_b64 s[34:35], exec, s[34:35]
	s_cbranch_execz .LBB297_2229
; %bb.2220:
	v_cmp_eq_u16_e64 s[4:5], 15, v3
	s_mov_b64 s[40:41], -1
	s_mov_b64 s[38:39], s[30:31]
                                        ; implicit-def: $vgpr10
	s_and_saveexec_b64 s[36:37], s[4:5]
	s_cbranch_execz .LBB297_2228
; %bb.2221:
	s_waitcnt lgkmcnt(0)
	flat_load_ushort v12, v[16:17]
	s_mov_b32 s4, 0x43800000
	s_waitcnt vmcnt(0)
	v_mov_b32_e32 v10, 0x80
	s_waitcnt lgkmcnt(0)
	v_lshlrev_b32_e32 v18, 16, v12
	v_and_b32_e32 v14, 0x7fffffff, v18
	v_cmp_gt_u32_e64 s[4:5], s4, v14
	s_and_saveexec_b64 s[38:39], s[4:5]
	s_cbranch_execz .LBB297_2227
; %bb.2222:
	s_mov_b32 s4, 0x3bffffff
	v_cmp_lt_u32_e64 s[4:5], s4, v14
	s_mov_b64 s[40:41], 0
                                        ; implicit-def: $vgpr14
	s_and_saveexec_b64 s[42:43], s[4:5]
	s_xor_b64 s[4:5], exec, s[42:43]
	s_cbranch_execz .LBB297_2646
; %bb.2223:
	v_bfe_u32 v10, v12, 4, 1
	s_mov_b32 s33, 0x487ffff
	v_add3_u32 v10, v18, v10, s33
	s_mov_b64 s[40:41], exec
	v_lshrrev_b32_e32 v14, 20, v10
                                        ; implicit-def: $vgpr18
	s_andn2_saveexec_b64 s[42:43], s[4:5]
	s_cbranch_execnz .LBB297_2647
.LBB297_2224:
	s_or_b64 exec, exec, s[42:43]
	v_mov_b32_e32 v10, 0
	s_and_saveexec_b64 s[4:5], s[40:41]
.LBB297_2225:
	v_lshrrev_b32_e32 v10, 8, v12
	s_movk_i32 s33, 0x80
	v_and_or_b32 v10, v10, s33, v14
.LBB297_2226:
	s_or_b64 exec, exec, s[4:5]
.LBB297_2227:
	s_or_b64 exec, exec, s[38:39]
	s_or_b64 s[38:39], s[30:31], exec
	s_xor_b64 s[40:41], exec, -1
.LBB297_2228:
	s_or_b64 exec, exec, s[36:37]
	s_andn2_b64 s[4:5], s[30:31], exec
	s_and_b64 s[36:37], s[38:39], exec
	s_or_b64 s[38:39], s[4:5], s[36:37]
	s_andn2_b64 s[4:5], s[26:27], exec
	s_and_b64 s[36:37], s[40:41], exec
	s_or_b64 s[36:37], s[4:5], s[36:37]
.LBB297_2229:
	s_or_saveexec_b64 s[34:35], s[34:35]
	s_mov_b64 s[40:41], 0
	s_xor_b64 exec, exec, s[34:35]
; %bb.2230:
	v_cmp_ne_u16_e64 s[4:5], 11, v3
	s_andn2_b64 s[36:37], s[36:37], exec
	s_and_b64 s[4:5], s[4:5], exec
	s_mov_b64 s[40:41], exec
	s_or_b64 s[36:37], s[36:37], s[4:5]
; %bb.2231:
	s_or_b64 exec, exec, s[34:35]
	s_andn2_b64 s[4:5], s[30:31], exec
	s_and_b64 s[30:31], s[38:39], exec
	s_andn2_b64 s[34:35], s[26:27], exec
	s_and_b64 s[36:37], s[36:37], exec
	s_or_b64 s[30:31], s[4:5], s[30:31]
	s_and_b64 s[4:5], s[40:41], exec
	s_or_b64 s[34:35], s[34:35], s[36:37]
.LBB297_2232:
	s_or_b64 exec, exec, s[18:19]
	s_andn2_b64 s[18:19], s[24:25], exec
	s_and_b64 s[24:25], s[30:31], exec
	s_or_b64 s[24:25], s[18:19], s[24:25]
	s_and_b64 s[18:19], s[4:5], exec
	s_andn2_b64 s[4:5], s[26:27], exec
	s_and_b64 s[26:27], s[34:35], exec
	s_or_b64 s[26:27], s[4:5], s[26:27]
	s_or_b64 exec, exec, s[28:29]
	s_mov_b64 s[28:29], s[14:15]
	s_and_saveexec_b64 s[4:5], s[26:27]
	s_cbranch_execz .LBB297_635
.LBB297_2233:
	s_trap 2
	s_or_b64 s[28:29], s[14:15], exec
	s_andn2_b64 s[18:19], s[18:19], exec
	s_or_b64 exec, exec, s[4:5]
	s_and_saveexec_b64 s[4:5], s[18:19]
	s_xor_b64 s[18:19], exec, s[4:5]
	s_cbranch_execnz .LBB297_636
	s_branch .LBB297_643
.LBB297_2234:
	s_andn2_saveexec_b64 s[24:25], s[24:25]
	s_cbranch_execz .LBB297_433
.LBB297_2235:
	v_add_f32_e32 v14, 0x46000000, v17
	v_and_b32_e32 v16, 0xff, v14
	v_cmp_ne_u32_e32 vcc, 0, v16
	s_andn2_b64 s[22:23], s[22:23], exec
	s_and_b64 s[26:27], vcc, exec
	s_or_b64 s[22:23], s[22:23], s[26:27]
	s_or_b64 exec, exec, s[24:25]
	v_mov_b32_e32 v14, 0
	s_and_saveexec_b64 s[24:25], s[22:23]
	s_cbranch_execnz .LBB297_434
	s_branch .LBB297_435
.LBB297_2236:
	s_andn2_saveexec_b64 s[34:35], s[34:35]
	s_cbranch_execz .LBB297_812
.LBB297_2237:
	v_cmp_lt_i16_e64 s[4:5], 22, v1
	s_mov_b64 s[36:37], s[28:29]
                                        ; implicit-def: $vgpr12
	s_and_saveexec_b64 s[24:25], s[4:5]
	s_xor_b64 s[24:25], exec, s[24:25]
	s_cbranch_execz .LBB297_2271
; %bb.2238:
	v_cmp_lt_i16_e64 s[4:5], 23, v1
                                        ; implicit-def: $vgpr12
	s_and_saveexec_b64 s[36:37], s[4:5]
	s_xor_b64 s[36:37], exec, s[36:37]
	s_cbranch_execz .LBB297_2262
; %bb.2239:
	v_cmp_lt_i16_e64 s[4:5], 24, v1
                                        ; implicit-def: $vgpr12
	s_and_saveexec_b64 s[38:39], s[4:5]
	s_xor_b64 s[38:39], exec, s[38:39]
	s_cbranch_execz .LBB297_2253
; %bb.2240:
	s_waitcnt vmcnt(0) lgkmcnt(0)
	flat_load_ubyte v12, v[14:15]
	s_movk_i32 s4, 0x7f
	s_mov_b64 s[40:41], 0
	s_waitcnt vmcnt(0) lgkmcnt(0)
	v_cmp_lt_i16_e64 s[4:5], s4, v12
	s_and_saveexec_b64 s[42:43], s[4:5]
	s_xor_b64 s[42:43], exec, s[42:43]
	s_cbranch_execz .LBB297_2648
; %bb.2241:
	s_movk_i32 s4, 0x80
	v_cmp_eq_u16_e64 s[4:5], s4, v12
	s_mov_b64 s[40:41], -1
	s_and_saveexec_b64 s[44:45], s[4:5]
; %bb.2242:
	s_xor_b64 s[40:41], exec, -1
; %bb.2243:
	s_or_b64 exec, exec, s[44:45]
	s_and_b64 s[40:41], s[40:41], exec
	s_or_saveexec_b64 s[42:43], s[42:43]
	v_mov_b32_e32 v16, 0x7f800001
	s_xor_b64 exec, exec, s[42:43]
	s_cbranch_execnz .LBB297_2649
.LBB297_2244:
	s_or_b64 exec, exec, s[42:43]
	s_and_saveexec_b64 s[42:43], s[40:41]
	s_cbranch_execz .LBB297_2246
.LBB297_2245:
	v_lshlrev_b32_e32 v16, 24, v12
	v_and_b32_e32 v12, 0xffff, v12
	v_and_b32_e32 v17, 3, v12
	v_ffbh_u32_e32 v20, v17
	v_min_u32_e32 v20, 32, v20
	v_subrev_u32_e32 v21, 29, v20
	v_bfe_u32 v18, v12, 2, 5
	v_lshlrev_b32_e32 v12, v21, v12
	v_sub_u32_e32 v20, 30, v20
	v_and_b32_e32 v12, 3, v12
	v_cmp_eq_u32_e64 s[4:5], 0, v18
	v_cndmask_b32_e64 v18, v18, v20, s[4:5]
	v_cndmask_b32_e64 v12, v17, v12, s[4:5]
	v_mov_b32_e32 v17, 0x37800000
	v_lshlrev_b32_e32 v12, 21, v12
	v_and_b32_e32 v16, 0x80000000, v16
	v_lshl_add_u32 v17, v18, 23, v17
	v_or3_b32 v16, v16, v17, v12
.LBB297_2246:
	s_or_b64 exec, exec, s[42:43]
	v_and_b32_e32 v17, 0x7fffffff, v16
	s_mov_b32 s4, 0x43800000
	v_cmp_gt_u32_e64 s[4:5], s4, v17
	v_mov_b32_e32 v12, 0x80
	s_and_saveexec_b64 s[40:41], s[4:5]
	s_cbranch_execz .LBB297_2252
; %bb.2247:
	s_mov_b32 s4, 0x3bffffff
	v_cmp_lt_u32_e64 s[4:5], s4, v17
	s_mov_b64 s[42:43], 0
                                        ; implicit-def: $vgpr17
	s_and_saveexec_b64 s[44:45], s[4:5]
	s_xor_b64 s[4:5], exec, s[44:45]
	s_cbranch_execz .LBB297_2737
; %bb.2248:
	v_bfe_u32 v12, v16, 20, 1
	s_mov_b32 s33, 0x487ffff
	v_add3_u32 v12, v16, v12, s33
	s_mov_b64 s[42:43], exec
	v_lshrrev_b32_e32 v17, 20, v12
	s_andn2_saveexec_b64 s[44:45], s[4:5]
	s_cbranch_execnz .LBB297_2738
.LBB297_2249:
	s_or_b64 exec, exec, s[44:45]
	v_mov_b32_e32 v12, 0
	s_and_saveexec_b64 s[4:5], s[42:43]
.LBB297_2250:
	v_lshrrev_b32_e32 v12, 24, v16
	s_movk_i32 s33, 0x80
	v_and_or_b32 v12, v12, s33, v17
.LBB297_2251:
	s_or_b64 exec, exec, s[4:5]
.LBB297_2252:
	s_or_b64 exec, exec, s[40:41]
.LBB297_2253:
	s_andn2_saveexec_b64 s[38:39], s[38:39]
	s_cbranch_execz .LBB297_2261
; %bb.2254:
	s_waitcnt vmcnt(0) lgkmcnt(0)
	flat_load_ubyte v12, v[14:15]
	s_mov_b32 s4, 0x7f800000
	s_brev_b32 s33, 1
	s_mov_b32 s40, 0x43800000
	s_waitcnt vmcnt(0) lgkmcnt(0)
	v_lshlrev_b32_e32 v12, 24, v12
	v_and_b32_e32 v16, 0x7f000000, v12
	v_ffbh_u32_e32 v17, v16
	v_min_u32_e32 v17, 32, v17
	v_sub_u32_e64 v17, v17, 4 clamp
	v_lshlrev_b32_e32 v20, v17, v16
	v_lshlrev_b32_e32 v17, 23, v17
	v_lshrrev_b32_e32 v20, 4, v20
	v_add_u32_e32 v18, 0x1000000, v16
	v_sub_u32_e32 v17, v20, v17
	v_ashrrev_i32_e32 v18, 8, v18
	v_add_u32_e32 v17, 0x3c000000, v17
	v_and_or_b32 v17, v18, s4, v17
	v_cmp_ne_u32_e64 s[4:5], 0, v16
	v_cndmask_b32_e64 v18, 0, v17, s[4:5]
	v_and_or_b32 v16, v12, s33, v18
	v_and_b32_e32 v17, 0x7fffffff, v16
	v_cmp_gt_u32_e64 s[4:5], s40, v17
	v_mov_b32_e32 v12, 0x80
	s_and_saveexec_b64 s[40:41], s[4:5]
	s_cbranch_execz .LBB297_2260
; %bb.2255:
	s_mov_b32 s4, 0x3bffffff
	v_cmp_lt_u32_e64 s[4:5], s4, v17
	s_mov_b64 s[42:43], 0
                                        ; implicit-def: $vgpr17
	s_and_saveexec_b64 s[44:45], s[4:5]
	s_xor_b64 s[4:5], exec, s[44:45]
	s_cbranch_execz .LBB297_2739
; %bb.2256:
	v_bfe_u32 v12, v18, 20, 1
	s_mov_b32 s33, 0x487ffff
	v_add3_u32 v12, v16, v12, s33
	s_mov_b64 s[42:43], exec
	v_lshrrev_b32_e32 v17, 20, v12
	s_andn2_saveexec_b64 s[44:45], s[4:5]
	s_cbranch_execnz .LBB297_2740
.LBB297_2257:
	s_or_b64 exec, exec, s[44:45]
	v_mov_b32_e32 v12, 0
	s_and_saveexec_b64 s[4:5], s[42:43]
.LBB297_2258:
	v_lshrrev_b32_e32 v12, 24, v16
	s_movk_i32 s33, 0x80
	v_and_or_b32 v12, v12, s33, v17
.LBB297_2259:
	s_or_b64 exec, exec, s[4:5]
.LBB297_2260:
	s_or_b64 exec, exec, s[40:41]
.LBB297_2261:
	s_or_b64 exec, exec, s[38:39]
.LBB297_2262:
	s_andn2_saveexec_b64 s[36:37], s[36:37]
	s_cbranch_execz .LBB297_2270
; %bb.2263:
	s_waitcnt vmcnt(0) lgkmcnt(0)
	flat_load_ubyte v12, v[14:15]
	s_movk_i32 s4, 0x7f00
	s_brev_b32 s5, 16
	s_brev_b32 s33, 1
	s_mov_b32 s38, 0x43800000
	s_waitcnt vmcnt(0) lgkmcnt(0)
	v_lshlrev_b16_e32 v16, 8, v12
	v_lshlrev_b32_e32 v12, 25, v12
	v_lshrrev_b32_e32 v17, 4, v12
	v_and_or_b32 v18, v16, s4, 0.5
	v_or_b32_e32 v17, 0x70000000, v17
	v_add_f32_e32 v18, -0.5, v18
	v_mul_f32_e32 v17, 0x7800000, v17
	v_cmp_gt_u32_e64 s[4:5], s5, v12
	v_bfe_i32 v16, v16, 0, 16
	v_cndmask_b32_e64 v18, v17, v18, s[4:5]
	v_and_or_b32 v16, v16, s33, v18
	v_and_b32_e32 v17, 0x7fffffff, v16
	v_cmp_gt_u32_e64 s[4:5], s38, v17
	v_mov_b32_e32 v12, 0x80
	s_and_saveexec_b64 s[38:39], s[4:5]
	s_cbranch_execz .LBB297_2269
; %bb.2264:
	s_mov_b32 s4, 0x3bffffff
	v_cmp_lt_u32_e64 s[4:5], s4, v17
	s_mov_b64 s[40:41], 0
                                        ; implicit-def: $vgpr17
	s_and_saveexec_b64 s[42:43], s[4:5]
	s_xor_b64 s[4:5], exec, s[42:43]
	s_cbranch_execz .LBB297_2650
; %bb.2265:
	v_bfe_u32 v12, v18, 20, 1
	s_mov_b32 s33, 0x487ffff
	v_add3_u32 v12, v16, v12, s33
	s_mov_b64 s[40:41], exec
	v_lshrrev_b32_e32 v17, 20, v12
	s_andn2_saveexec_b64 s[42:43], s[4:5]
	s_cbranch_execnz .LBB297_2651
.LBB297_2266:
	s_or_b64 exec, exec, s[42:43]
	v_mov_b32_e32 v12, 0
	s_and_saveexec_b64 s[4:5], s[40:41]
.LBB297_2267:
	v_lshrrev_b32_e32 v12, 24, v16
	s_movk_i32 s33, 0x80
	v_and_or_b32 v12, v12, s33, v17
.LBB297_2268:
	s_or_b64 exec, exec, s[4:5]
.LBB297_2269:
	s_or_b64 exec, exec, s[38:39]
.LBB297_2270:
	s_or_b64 exec, exec, s[36:37]
	s_or_b64 s[36:37], s[28:29], exec
.LBB297_2271:
	s_or_saveexec_b64 s[24:25], s[24:25]
	s_mov_b64 s[4:5], 0
	s_mov_b64 s[38:39], s[30:31]
	s_xor_b64 exec, exec, s[24:25]
	s_cbranch_execz .LBB297_2285
; %bb.2272:
	v_cmp_lt_i16_e64 s[4:5], 14, v1
	s_mov_b64 s[40:41], s[30:31]
	s_mov_b64 s[42:43], s[36:37]
                                        ; implicit-def: $vgpr12
	s_and_saveexec_b64 s[38:39], s[4:5]
	s_xor_b64 s[38:39], exec, s[38:39]
	s_cbranch_execz .LBB297_2282
; %bb.2273:
	v_cmp_eq_u16_e64 s[4:5], 15, v1
	s_mov_b64 s[44:45], -1
	s_mov_b64 s[42:43], s[36:37]
                                        ; implicit-def: $vgpr12
	s_and_saveexec_b64 s[40:41], s[4:5]
	s_cbranch_execz .LBB297_2281
; %bb.2274:
	flat_load_ushort v16, v[14:15]
	s_mov_b32 s4, 0x43800000
	s_waitcnt vmcnt(0) lgkmcnt(0)
	v_mov_b32_e32 v12, 0x80
	v_lshlrev_b32_e32 v18, 16, v16
	v_and_b32_e32 v17, 0x7fffffff, v18
	v_cmp_gt_u32_e64 s[4:5], s4, v17
	s_and_saveexec_b64 s[42:43], s[4:5]
	s_cbranch_execz .LBB297_2280
; %bb.2275:
	s_mov_b32 s4, 0x3bffffff
	v_cmp_lt_u32_e64 s[4:5], s4, v17
	s_mov_b64 s[44:45], 0
                                        ; implicit-def: $vgpr17
	s_and_saveexec_b64 s[46:47], s[4:5]
	s_xor_b64 s[4:5], exec, s[46:47]
	s_cbranch_execz .LBB297_2741
; %bb.2276:
	v_bfe_u32 v12, v16, 4, 1
	s_mov_b32 s33, 0x487ffff
	v_add3_u32 v12, v18, v12, s33
	s_mov_b64 s[44:45], exec
	v_lshrrev_b32_e32 v17, 20, v12
                                        ; implicit-def: $vgpr18
	s_andn2_saveexec_b64 s[46:47], s[4:5]
	s_cbranch_execnz .LBB297_2742
.LBB297_2277:
	s_or_b64 exec, exec, s[46:47]
	v_mov_b32_e32 v12, 0
	s_and_saveexec_b64 s[4:5], s[44:45]
.LBB297_2278:
	v_lshrrev_b32_e32 v12, 8, v16
	s_movk_i32 s33, 0x80
	v_and_or_b32 v12, v12, s33, v17
.LBB297_2279:
	s_or_b64 exec, exec, s[4:5]
.LBB297_2280:
	s_or_b64 exec, exec, s[42:43]
	s_or_b64 s[42:43], s[36:37], exec
	s_xor_b64 s[44:45], exec, -1
.LBB297_2281:
	s_or_b64 exec, exec, s[40:41]
	s_andn2_b64 s[4:5], s[36:37], exec
	s_and_b64 s[40:41], s[42:43], exec
	s_or_b64 s[42:43], s[4:5], s[40:41]
	s_andn2_b64 s[4:5], s[30:31], exec
	s_and_b64 s[40:41], s[44:45], exec
	s_or_b64 s[40:41], s[4:5], s[40:41]
.LBB297_2282:
	s_or_saveexec_b64 s[38:39], s[38:39]
	s_mov_b64 s[44:45], 0
	s_xor_b64 exec, exec, s[38:39]
; %bb.2283:
	v_cmp_ne_u16_e64 s[4:5], 11, v1
	s_andn2_b64 s[40:41], s[40:41], exec
	s_and_b64 s[4:5], s[4:5], exec
	s_mov_b64 s[44:45], exec
	s_or_b64 s[40:41], s[40:41], s[4:5]
; %bb.2284:
	s_or_b64 exec, exec, s[38:39]
	s_andn2_b64 s[4:5], s[36:37], exec
	s_and_b64 s[36:37], s[42:43], exec
	s_andn2_b64 s[38:39], s[30:31], exec
	s_and_b64 s[40:41], s[40:41], exec
	s_or_b64 s[36:37], s[4:5], s[36:37]
	s_and_b64 s[4:5], s[44:45], exec
	s_or_b64 s[38:39], s[38:39], s[40:41]
.LBB297_2285:
	s_or_b64 exec, exec, s[24:25]
	s_andn2_b64 s[24:25], s[28:29], exec
	s_and_b64 s[28:29], s[36:37], exec
	s_or_b64 s[28:29], s[24:25], s[28:29]
	s_and_b64 s[24:25], s[4:5], exec
	s_andn2_b64 s[4:5], s[30:31], exec
	s_and_b64 s[30:31], s[38:39], exec
	s_or_b64 s[30:31], s[4:5], s[30:31]
	s_or_b64 exec, exec, s[34:35]
	s_mov_b64 s[34:35], s[18:19]
	s_and_saveexec_b64 s[4:5], s[30:31]
	s_cbranch_execz .LBB297_813
.LBB297_2286:
	s_trap 2
	s_or_b64 s[34:35], s[18:19], exec
	s_andn2_b64 s[24:25], s[24:25], exec
	s_or_b64 exec, exec, s[4:5]
	s_and_saveexec_b64 s[4:5], s[24:25]
	s_xor_b64 s[24:25], exec, s[4:5]
	s_cbranch_execnz .LBB297_814
	s_branch .LBB297_821
.LBB297_2287:
	s_mov_b64 s[4:5], exec
	s_trap 2
	s_branch .LBB297_138
.LBB297_2288:
	s_andn2_saveexec_b64 s[24:25], s[24:25]
	s_cbranch_execz .LBB297_285
.LBB297_2289:
	s_mov_b32 s26, 0x46000000
	v_add_f32_e64 v5, |v1|, s26
	v_and_b32_e32 v5, 0xff, v5
	v_cmp_ne_u32_e32 vcc, 0, v5
	s_andn2_b64 s[22:23], s[22:23], exec
	s_and_b64 s[26:27], vcc, exec
	s_or_b64 s[22:23], s[22:23], s[26:27]
	s_or_b64 exec, exec, s[24:25]
	v_mov_b32_e32 v12, 0
	s_and_saveexec_b64 s[24:25], s[22:23]
	s_cbranch_execnz .LBB297_286
	s_branch .LBB297_287
.LBB297_2290:
	s_andn2_saveexec_b64 s[24:25], s[24:25]
	s_cbranch_execz .LBB297_313
.LBB297_2291:
	s_mov_b32 s26, 0x46000000
	v_add_f32_e64 v5, |v1|, s26
	v_and_b32_e32 v5, 0xff, v5
	v_cmp_ne_u32_e32 vcc, 0, v5
	s_andn2_b64 s[22:23], s[22:23], exec
	s_and_b64 s[26:27], vcc, exec
	s_or_b64 s[22:23], s[22:23], s[26:27]
	s_or_b64 exec, exec, s[24:25]
	v_mov_b32_e32 v12, 0
	s_and_saveexec_b64 s[24:25], s[22:23]
	s_cbranch_execnz .LBB297_314
	s_branch .LBB297_315
.LBB297_2292:
	s_andn2_saveexec_b64 s[24:25], s[24:25]
	s_cbranch_execz .LBB297_343
.LBB297_2293:
	s_mov_b32 s26, 0x46000000
	v_add_f32_e64 v5, |v1|, s26
	v_and_b32_e32 v5, 0xff, v5
	v_cmp_ne_u32_e32 vcc, 0, v5
	s_andn2_b64 s[22:23], s[22:23], exec
	s_and_b64 s[26:27], vcc, exec
	s_or_b64 s[22:23], s[22:23], s[26:27]
	s_or_b64 exec, exec, s[24:25]
	v_mov_b32_e32 v12, 0
	s_and_saveexec_b64 s[24:25], s[22:23]
	s_cbranch_execnz .LBB297_344
	s_branch .LBB297_345
.LBB297_2294:
	s_andn2_saveexec_b64 s[24:25], s[24:25]
	s_cbranch_execz .LBB297_353
.LBB297_2295:
	s_mov_b32 s26, 0x46000000
	v_add_f32_e64 v5, |v1|, s26
	v_and_b32_e32 v5, 0xff, v5
	v_cmp_ne_u32_e32 vcc, 0, v5
	s_andn2_b64 s[22:23], s[22:23], exec
	s_and_b64 s[26:27], vcc, exec
	s_or_b64 s[22:23], s[22:23], s[26:27]
	s_or_b64 exec, exec, s[24:25]
	v_mov_b32_e32 v12, 0
	s_and_saveexec_b64 s[24:25], s[22:23]
	s_cbranch_execnz .LBB297_354
	s_branch .LBB297_355
.LBB297_2296:
	s_andn2_saveexec_b64 s[24:25], s[24:25]
	s_cbranch_execz .LBB297_361
.LBB297_2297:
	v_add_f32_e32 v1, 0x46000000, v5
	v_and_b32_e32 v1, 0xff, v1
	v_cmp_ne_u32_e32 vcc, 0, v1
	s_andn2_b64 s[22:23], s[22:23], exec
	s_and_b64 s[26:27], vcc, exec
	s_or_b64 s[22:23], s[22:23], s[26:27]
	s_or_b64 exec, exec, s[24:25]
	v_mov_b32_e32 v12, 0
	s_and_saveexec_b64 s[24:25], s[22:23]
	s_cbranch_execnz .LBB297_362
	s_branch .LBB297_363
.LBB297_2298:
	s_andn2_saveexec_b64 s[34:35], s[4:5]
	s_cbranch_execz .LBB297_639
.LBB297_2299:
	v_add_f32_e32 v10, 0x46000000, v14
	v_and_b32_e32 v12, 0xff, v10
	v_cmp_ne_u32_e64 s[4:5], 0, v12
	s_andn2_b64 s[30:31], s[30:31], exec
	s_and_b64 s[4:5], s[4:5], exec
	s_or_b64 s[30:31], s[30:31], s[4:5]
	s_or_b64 exec, exec, s[34:35]
	v_mov_b32_e32 v10, 0
	s_and_saveexec_b64 s[4:5], s[30:31]
	s_cbranch_execnz .LBB297_640
	s_branch .LBB297_641
.LBB297_2300:
	s_or_saveexec_b64 s[30:31], s[30:31]
	v_mov_b32_e32 v14, 0x7f800001
	s_xor_b64 exec, exec, s[30:31]
	s_cbranch_execz .LBB297_936
.LBB297_2301:
	v_mov_b32_e32 v14, 0
	v_cmp_ne_u16_sdwa s[34:35], v10, v14 src0_sel:BYTE_0 src1_sel:DWORD
	s_andn2_b64 s[4:5], s[4:5], exec
	s_and_b64 s[34:35], s[34:35], exec
	s_or_b64 s[4:5], s[4:5], s[34:35]
	s_or_b64 exec, exec, s[30:31]
	s_and_saveexec_b64 s[30:31], s[4:5]
	s_cbranch_execnz .LBB297_937
	s_branch .LBB297_938
.LBB297_2302:
	s_or_saveexec_b64 s[30:31], s[30:31]
	v_mov_b32_e32 v10, 0x7f800001
	s_xor_b64 exec, exec, s[30:31]
	s_cbranch_execz .LBB297_942
.LBB297_2303:
	v_mov_b32_e32 v10, 0
	v_cmp_ne_u16_sdwa s[34:35], v12, v10 src0_sel:BYTE_0 src1_sel:DWORD
	s_andn2_b64 s[4:5], s[4:5], exec
	s_and_b64 s[34:35], s[34:35], exec
	s_or_b64 s[4:5], s[4:5], s[34:35]
	s_or_b64 exec, exec, s[30:31]
	s_and_saveexec_b64 s[30:31], s[4:5]
	s_cbranch_execnz .LBB297_943
	s_branch .LBB297_944
.LBB297_2304:
	s_or_saveexec_b64 s[34:35], s[34:35]
	v_mov_b32_e32 v14, 0x7f800001
	s_xor_b64 exec, exec, s[34:35]
	s_cbranch_execz .LBB297_950
.LBB297_2305:
	v_mov_b32_e32 v14, 0
	v_cmp_ne_u16_sdwa s[36:37], v10, v14 src0_sel:BYTE_0 src1_sel:DWORD
	s_andn2_b64 s[4:5], s[4:5], exec
	s_and_b64 s[36:37], s[36:37], exec
	s_or_b64 s[4:5], s[4:5], s[36:37]
	s_or_b64 exec, exec, s[34:35]
	s_and_saveexec_b64 s[34:35], s[4:5]
	s_cbranch_execnz .LBB297_951
	s_branch .LBB297_952
.LBB297_2306:
	s_or_saveexec_b64 s[34:35], s[34:35]
	v_mov_b32_e32 v10, 0x7f800001
	s_xor_b64 exec, exec, s[34:35]
	s_cbranch_execz .LBB297_956
.LBB297_2307:
	v_mov_b32_e32 v10, 0
	v_cmp_ne_u16_sdwa s[36:37], v12, v10 src0_sel:BYTE_0 src1_sel:DWORD
	s_andn2_b64 s[4:5], s[4:5], exec
	s_and_b64 s[36:37], s[36:37], exec
	s_or_b64 s[4:5], s[4:5], s[36:37]
	s_or_b64 exec, exec, s[34:35]
	s_and_saveexec_b64 s[34:35], s[4:5]
	s_cbranch_execnz .LBB297_957
	s_branch .LBB297_958
.LBB297_2308:
	s_andn2_saveexec_b64 s[40:41], s[40:41]
	s_cbranch_execz .LBB297_1018
.LBB297_2309:
	v_cmp_lt_i16_e64 s[4:5], 22, v3
	s_mov_b64 s[42:43], s[36:37]
                                        ; implicit-def: $vgpr14
	s_and_saveexec_b64 s[28:29], s[4:5]
	s_xor_b64 s[28:29], exec, s[28:29]
	s_cbranch_execz .LBB297_2343
; %bb.2310:
	v_cmp_lt_i16_e64 s[4:5], 23, v3
                                        ; implicit-def: $vgpr14
	s_and_saveexec_b64 s[42:43], s[4:5]
	s_xor_b64 s[42:43], exec, s[42:43]
	s_cbranch_execz .LBB297_2334
; %bb.2311:
	v_cmp_lt_i16_e64 s[4:5], 24, v3
                                        ; implicit-def: $vgpr14
	s_and_saveexec_b64 s[44:45], s[4:5]
	s_xor_b64 s[44:45], exec, s[44:45]
	s_cbranch_execz .LBB297_2325
; %bb.2312:
	s_waitcnt vmcnt(0) lgkmcnt(0)
	flat_load_ubyte v14, v[12:13]
	s_movk_i32 s4, 0x7f
	s_mov_b64 s[46:47], 0
	s_waitcnt vmcnt(0) lgkmcnt(0)
	v_cmp_lt_i16_e64 s[4:5], s4, v14
	s_and_saveexec_b64 s[48:49], s[4:5]
	s_xor_b64 s[48:49], exec, s[48:49]
	s_cbranch_execz .LBB297_2743
; %bb.2313:
	s_movk_i32 s4, 0x80
	v_cmp_eq_u16_e64 s[4:5], s4, v14
	s_mov_b64 s[46:47], -1
	s_and_saveexec_b64 s[50:51], s[4:5]
; %bb.2314:
	s_xor_b64 s[46:47], exec, -1
; %bb.2315:
	s_or_b64 exec, exec, s[50:51]
	s_and_b64 s[46:47], s[46:47], exec
	s_or_saveexec_b64 s[48:49], s[48:49]
	v_mov_b32_e32 v10, 0x7f800001
	s_xor_b64 exec, exec, s[48:49]
	s_cbranch_execnz .LBB297_2744
.LBB297_2316:
	s_or_b64 exec, exec, s[48:49]
	s_and_saveexec_b64 s[48:49], s[46:47]
	s_cbranch_execz .LBB297_2318
.LBB297_2317:
	v_lshlrev_b32_e32 v10, 24, v14
	v_and_b32_e32 v14, 0xffff, v14
	v_and_b32_e32 v15, 3, v14
	v_ffbh_u32_e32 v17, v15
	v_min_u32_e32 v17, 32, v17
	v_subrev_u32_e32 v18, 29, v17
	v_bfe_u32 v16, v14, 2, 5
	v_lshlrev_b32_e32 v14, v18, v14
	v_sub_u32_e32 v17, 30, v17
	v_and_b32_e32 v14, 3, v14
	v_cmp_eq_u32_e64 s[4:5], 0, v16
	v_cndmask_b32_e64 v16, v16, v17, s[4:5]
	v_cndmask_b32_e64 v14, v15, v14, s[4:5]
	v_mov_b32_e32 v15, 0x37800000
	v_lshlrev_b32_e32 v14, 21, v14
	v_and_b32_e32 v10, 0x80000000, v10
	v_lshl_add_u32 v15, v16, 23, v15
	v_or3_b32 v10, v10, v15, v14
.LBB297_2318:
	s_or_b64 exec, exec, s[48:49]
	v_and_b32_e32 v15, 0x7fffffff, v10
	s_mov_b32 s4, 0x43800000
	v_cmp_gt_u32_e64 s[4:5], s4, v15
	v_mov_b32_e32 v14, 0x80
	s_and_saveexec_b64 s[46:47], s[4:5]
	s_cbranch_execz .LBB297_2324
; %bb.2319:
	s_mov_b32 s4, 0x3bffffff
	v_cmp_lt_u32_e64 s[4:5], s4, v15
	s_mov_b64 s[48:49], 0
                                        ; implicit-def: $vgpr15
	s_and_saveexec_b64 s[50:51], s[4:5]
	s_xor_b64 s[4:5], exec, s[50:51]
	s_cbranch_execz .LBB297_2824
; %bb.2320:
	v_bfe_u32 v14, v10, 20, 1
	s_mov_b32 s33, 0x487ffff
	v_add3_u32 v14, v10, v14, s33
	s_mov_b64 s[48:49], exec
	v_lshrrev_b32_e32 v15, 20, v14
	s_andn2_saveexec_b64 s[50:51], s[4:5]
	s_cbranch_execnz .LBB297_2825
.LBB297_2321:
	s_or_b64 exec, exec, s[50:51]
	v_mov_b32_e32 v14, 0
	s_and_saveexec_b64 s[4:5], s[48:49]
.LBB297_2322:
	v_lshrrev_b32_e32 v10, 24, v10
	s_movk_i32 s33, 0x80
	v_and_or_b32 v14, v10, s33, v15
.LBB297_2323:
	s_or_b64 exec, exec, s[4:5]
.LBB297_2324:
	s_or_b64 exec, exec, s[46:47]
.LBB297_2325:
	s_andn2_saveexec_b64 s[44:45], s[44:45]
	s_cbranch_execz .LBB297_2333
; %bb.2326:
	flat_load_ubyte v10, v[12:13]
	s_mov_b32 s4, 0x7f800000
	s_brev_b32 s33, 1
	s_mov_b32 s46, 0x43800000
	s_waitcnt vmcnt(0) lgkmcnt(0)
	v_lshlrev_b32_e32 v10, 24, v10
	v_and_b32_e32 v14, 0x7f000000, v10
	v_ffbh_u32_e32 v15, v14
	v_min_u32_e32 v15, 32, v15
	v_sub_u32_e64 v15, v15, 4 clamp
	v_lshlrev_b32_e32 v17, v15, v14
	v_lshlrev_b32_e32 v15, 23, v15
	v_lshrrev_b32_e32 v17, 4, v17
	v_add_u32_e32 v16, 0x1000000, v14
	v_sub_u32_e32 v15, v17, v15
	v_ashrrev_i32_e32 v16, 8, v16
	v_add_u32_e32 v15, 0x3c000000, v15
	v_and_or_b32 v15, v16, s4, v15
	v_cmp_ne_u32_e64 s[4:5], 0, v14
	v_cndmask_b32_e64 v16, 0, v15, s[4:5]
	v_and_or_b32 v10, v10, s33, v16
	v_and_b32_e32 v15, 0x7fffffff, v10
	v_cmp_gt_u32_e64 s[4:5], s46, v15
	v_mov_b32_e32 v14, 0x80
	s_and_saveexec_b64 s[46:47], s[4:5]
	s_cbranch_execz .LBB297_2332
; %bb.2327:
	s_mov_b32 s4, 0x3bffffff
	v_cmp_lt_u32_e64 s[4:5], s4, v15
	s_mov_b64 s[48:49], 0
                                        ; implicit-def: $vgpr15
	s_and_saveexec_b64 s[50:51], s[4:5]
	s_xor_b64 s[4:5], exec, s[50:51]
	s_cbranch_execz .LBB297_2826
; %bb.2328:
	v_bfe_u32 v14, v16, 20, 1
	s_mov_b32 s33, 0x487ffff
	v_add3_u32 v14, v10, v14, s33
	s_mov_b64 s[48:49], exec
	v_lshrrev_b32_e32 v15, 20, v14
	s_andn2_saveexec_b64 s[50:51], s[4:5]
	s_cbranch_execnz .LBB297_2827
.LBB297_2329:
	s_or_b64 exec, exec, s[50:51]
	v_mov_b32_e32 v14, 0
	s_and_saveexec_b64 s[4:5], s[48:49]
.LBB297_2330:
	v_lshrrev_b32_e32 v10, 24, v10
	s_movk_i32 s33, 0x80
	v_and_or_b32 v14, v10, s33, v15
.LBB297_2331:
	s_or_b64 exec, exec, s[4:5]
.LBB297_2332:
	s_or_b64 exec, exec, s[46:47]
.LBB297_2333:
	s_or_b64 exec, exec, s[44:45]
.LBB297_2334:
	s_andn2_saveexec_b64 s[42:43], s[42:43]
	s_cbranch_execz .LBB297_2342
; %bb.2335:
	flat_load_ubyte v10, v[12:13]
	s_movk_i32 s4, 0x7f00
	s_brev_b32 s5, 16
	s_brev_b32 s33, 1
	s_mov_b32 s44, 0x43800000
	s_waitcnt vmcnt(0) lgkmcnt(0)
	v_lshlrev_b16_e32 v14, 8, v10
	v_lshlrev_b32_e32 v10, 25, v10
	v_lshrrev_b32_e32 v15, 4, v10
	v_and_or_b32 v16, v14, s4, 0.5
	v_or_b32_e32 v15, 0x70000000, v15
	v_add_f32_e32 v16, -0.5, v16
	v_mul_f32_e32 v15, 0x7800000, v15
	v_cmp_gt_u32_e64 s[4:5], s5, v10
	v_bfe_i32 v14, v14, 0, 16
	v_cndmask_b32_e64 v16, v15, v16, s[4:5]
	v_and_or_b32 v10, v14, s33, v16
	v_and_b32_e32 v15, 0x7fffffff, v10
	v_cmp_gt_u32_e64 s[4:5], s44, v15
	v_mov_b32_e32 v14, 0x80
	s_and_saveexec_b64 s[44:45], s[4:5]
	s_cbranch_execz .LBB297_2341
; %bb.2336:
	s_mov_b32 s4, 0x3bffffff
	v_cmp_lt_u32_e64 s[4:5], s4, v15
	s_mov_b64 s[46:47], 0
                                        ; implicit-def: $vgpr15
	s_and_saveexec_b64 s[48:49], s[4:5]
	s_xor_b64 s[4:5], exec, s[48:49]
	s_cbranch_execz .LBB297_2745
; %bb.2337:
	v_bfe_u32 v14, v16, 20, 1
	s_mov_b32 s33, 0x487ffff
	v_add3_u32 v14, v10, v14, s33
	s_mov_b64 s[46:47], exec
	v_lshrrev_b32_e32 v15, 20, v14
	s_andn2_saveexec_b64 s[48:49], s[4:5]
	s_cbranch_execnz .LBB297_2746
.LBB297_2338:
	s_or_b64 exec, exec, s[48:49]
	v_mov_b32_e32 v14, 0
	s_and_saveexec_b64 s[4:5], s[46:47]
.LBB297_2339:
	v_lshrrev_b32_e32 v10, 24, v10
	s_movk_i32 s33, 0x80
	v_and_or_b32 v14, v10, s33, v15
.LBB297_2340:
	s_or_b64 exec, exec, s[4:5]
.LBB297_2341:
	s_or_b64 exec, exec, s[44:45]
.LBB297_2342:
	s_or_b64 exec, exec, s[42:43]
	s_or_b64 s[42:43], s[36:37], exec
.LBB297_2343:
	s_or_saveexec_b64 s[28:29], s[28:29]
	s_mov_b64 s[4:5], 0
	s_mov_b64 s[44:45], s[38:39]
	s_xor_b64 exec, exec, s[28:29]
	s_cbranch_execz .LBB297_2357
; %bb.2344:
	v_cmp_lt_i16_e64 s[4:5], 14, v3
	s_mov_b64 s[46:47], s[38:39]
	s_mov_b64 s[48:49], s[42:43]
                                        ; implicit-def: $vgpr14
	s_and_saveexec_b64 s[44:45], s[4:5]
	s_xor_b64 s[44:45], exec, s[44:45]
	s_cbranch_execz .LBB297_2354
; %bb.2345:
	v_cmp_eq_u16_e64 s[4:5], 15, v3
	s_mov_b64 s[50:51], -1
	s_mov_b64 s[48:49], s[42:43]
                                        ; implicit-def: $vgpr14
	s_and_saveexec_b64 s[46:47], s[4:5]
	s_cbranch_execz .LBB297_2353
; %bb.2346:
	flat_load_ushort v10, v[12:13]
	s_mov_b32 s4, 0x43800000
	s_waitcnt vmcnt(0) lgkmcnt(0)
	v_mov_b32_e32 v14, 0x80
	v_lshlrev_b32_e32 v16, 16, v10
	v_and_b32_e32 v15, 0x7fffffff, v16
	v_cmp_gt_u32_e64 s[4:5], s4, v15
	s_and_saveexec_b64 s[48:49], s[4:5]
	s_cbranch_execz .LBB297_2352
; %bb.2347:
	s_mov_b32 s4, 0x3bffffff
	v_cmp_lt_u32_e64 s[4:5], s4, v15
	s_mov_b64 s[50:51], 0
                                        ; implicit-def: $vgpr15
	s_and_saveexec_b64 s[52:53], s[4:5]
	s_xor_b64 s[4:5], exec, s[52:53]
	s_cbranch_execz .LBB297_2828
; %bb.2348:
	v_bfe_u32 v14, v10, 4, 1
	s_mov_b32 s33, 0x487ffff
	v_add3_u32 v14, v16, v14, s33
	s_mov_b64 s[50:51], exec
	v_lshrrev_b32_e32 v15, 20, v14
                                        ; implicit-def: $vgpr16
	s_andn2_saveexec_b64 s[52:53], s[4:5]
	s_cbranch_execnz .LBB297_2829
.LBB297_2349:
	s_or_b64 exec, exec, s[52:53]
	v_mov_b32_e32 v14, 0
	s_and_saveexec_b64 s[4:5], s[50:51]
.LBB297_2350:
	v_lshrrev_b32_e32 v10, 8, v10
	s_movk_i32 s33, 0x80
	v_and_or_b32 v14, v10, s33, v15
.LBB297_2351:
	s_or_b64 exec, exec, s[4:5]
.LBB297_2352:
	s_or_b64 exec, exec, s[48:49]
	s_or_b64 s[48:49], s[42:43], exec
	s_xor_b64 s[50:51], exec, -1
.LBB297_2353:
	s_or_b64 exec, exec, s[46:47]
	s_andn2_b64 s[4:5], s[42:43], exec
	s_and_b64 s[46:47], s[48:49], exec
	s_or_b64 s[48:49], s[4:5], s[46:47]
	s_andn2_b64 s[4:5], s[38:39], exec
	s_and_b64 s[46:47], s[50:51], exec
	s_or_b64 s[46:47], s[4:5], s[46:47]
.LBB297_2354:
	s_or_saveexec_b64 s[44:45], s[44:45]
	s_mov_b64 s[50:51], 0
	s_xor_b64 exec, exec, s[44:45]
; %bb.2355:
	v_cmp_ne_u16_e64 s[4:5], 11, v3
	s_andn2_b64 s[46:47], s[46:47], exec
	s_and_b64 s[4:5], s[4:5], exec
	s_mov_b64 s[50:51], exec
	s_or_b64 s[46:47], s[46:47], s[4:5]
; %bb.2356:
	s_or_b64 exec, exec, s[44:45]
	s_andn2_b64 s[4:5], s[42:43], exec
	s_and_b64 s[42:43], s[48:49], exec
	s_andn2_b64 s[44:45], s[38:39], exec
	s_and_b64 s[46:47], s[46:47], exec
	s_or_b64 s[42:43], s[4:5], s[42:43]
	s_and_b64 s[4:5], s[50:51], exec
	s_or_b64 s[44:45], s[44:45], s[46:47]
.LBB297_2357:
	s_or_b64 exec, exec, s[28:29]
	s_andn2_b64 s[28:29], s[36:37], exec
	s_and_b64 s[36:37], s[42:43], exec
	s_or_b64 s[36:37], s[28:29], s[36:37]
	s_and_b64 s[28:29], s[4:5], exec
	s_andn2_b64 s[4:5], s[38:39], exec
	s_and_b64 s[38:39], s[44:45], exec
	s_or_b64 s[38:39], s[4:5], s[38:39]
	s_or_b64 exec, exec, s[40:41]
	s_mov_b64 s[40:41], s[24:25]
	s_and_saveexec_b64 s[4:5], s[38:39]
	s_cbranch_execz .LBB297_1019
.LBB297_2358:
	s_trap 2
	s_or_b64 s[40:41], s[24:25], exec
	s_andn2_b64 s[28:29], s[28:29], exec
	s_or_b64 exec, exec, s[4:5]
	s_and_saveexec_b64 s[4:5], s[28:29]
	s_xor_b64 s[28:29], exec, s[4:5]
	s_cbranch_execnz .LBB297_1020
	s_branch .LBB297_1027
.LBB297_2359:
	s_or_saveexec_b64 s[24:25], s[24:25]
	v_mov_b32_e32 v1, 0x7f800001
	s_xor_b64 exec, exec, s[24:25]
	s_cbranch_execz .LBB297_2079
.LBB297_2360:
	v_cmp_ne_u16_e32 vcc, 0, v5
	s_andn2_b64 s[22:23], s[22:23], exec
	s_and_b64 s[26:27], vcc, exec
	v_mov_b32_e32 v1, 0
	s_or_b64 s[22:23], s[22:23], s[26:27]
	s_or_b64 exec, exec, s[24:25]
	s_and_saveexec_b64 s[24:25], s[22:23]
	s_cbranch_execnz .LBB297_2080
	s_branch .LBB297_2081
.LBB297_2361:
	s_andn2_saveexec_b64 s[24:25], s[24:25]
	s_cbranch_execz .LBB297_2101
.LBB297_2362:
	s_mov_b32 s26, 0x46000000
	v_add_f32_e64 v5, |v1|, s26
	v_and_b32_e32 v5, 0xff, v5
	v_cmp_ne_u32_e32 vcc, 0, v5
	s_andn2_b64 s[22:23], s[22:23], exec
	s_and_b64 s[26:27], vcc, exec
	s_or_b64 s[22:23], s[22:23], s[26:27]
	s_or_b64 exec, exec, s[24:25]
	v_mov_b32_e32 v12, 0
	s_and_saveexec_b64 s[24:25], s[22:23]
	s_cbranch_execnz .LBB297_2102
	s_branch .LBB297_2103
.LBB297_2363:
	s_andn2_saveexec_b64 s[28:29], s[28:29]
	s_cbranch_execz .LBB297_221
.LBB297_2364:
	v_add_f32_e32 v1, 0x46000000, v5
	v_and_b32_e32 v1, 0xff, v1
	v_cmp_ne_u32_e32 vcc, 0, v1
	s_andn2_b64 s[26:27], s[26:27], exec
	s_and_b64 s[30:31], vcc, exec
	s_or_b64 s[26:27], s[26:27], s[30:31]
	s_or_b64 exec, exec, s[28:29]
	v_mov_b32_e32 v12, 0
	s_and_saveexec_b64 s[28:29], s[26:27]
	s_cbranch_execnz .LBB297_222
	s_branch .LBB297_223
.LBB297_2365:
	s_andn2_saveexec_b64 s[28:29], s[28:29]
	s_cbranch_execz .LBB297_233
.LBB297_2366:
	v_add_f32_e32 v1, 0x46000000, v5
	v_and_b32_e32 v1, 0xff, v1
	v_cmp_ne_u32_e32 vcc, 0, v1
	s_andn2_b64 s[26:27], s[26:27], exec
	s_and_b64 s[30:31], vcc, exec
	s_or_b64 s[26:27], s[26:27], s[30:31]
	s_or_b64 exec, exec, s[28:29]
	v_mov_b32_e32 v12, 0
	s_and_saveexec_b64 s[28:29], s[26:27]
	s_cbranch_execnz .LBB297_234
	s_branch .LBB297_235
.LBB297_2367:
	s_andn2_saveexec_b64 s[28:29], s[28:29]
	s_cbranch_execz .LBB297_241
.LBB297_2368:
	v_add_f32_e32 v1, 0x46000000, v5
	v_and_b32_e32 v1, 0xff, v1
	v_cmp_ne_u32_e32 vcc, 0, v1
	s_andn2_b64 s[26:27], s[26:27], exec
	s_and_b64 s[30:31], vcc, exec
	s_or_b64 s[26:27], s[26:27], s[30:31]
	s_or_b64 exec, exec, s[28:29]
	v_mov_b32_e32 v12, 0
	s_and_saveexec_b64 s[28:29], s[26:27]
	s_cbranch_execnz .LBB297_242
	s_branch .LBB297_243
.LBB297_2369:
	s_andn2_saveexec_b64 s[26:27], s[26:27]
	s_cbranch_execz .LBB297_268
.LBB297_2370:
	s_mov_b32 s28, 0x46000000
	v_add_f32_e64 v5, |v1|, s28
	v_and_b32_e32 v5, 0xff, v5
	v_cmp_ne_u32_e32 vcc, 0, v5
	s_andn2_b64 s[24:25], s[24:25], exec
	s_and_b64 s[28:29], vcc, exec
	s_or_b64 s[24:25], s[24:25], s[28:29]
	s_or_b64 exec, exec, s[26:27]
	v_mov_b32_e32 v12, 0
	s_and_saveexec_b64 s[26:27], s[24:25]
	s_cbranch_execnz .LBB297_269
	s_branch .LBB297_270
.LBB297_2371:
	s_andn2_saveexec_b64 s[26:27], s[26:27]
	s_cbranch_execz .LBB297_276
.LBB297_2372:
	s_mov_b32 s28, 0x46000000
	v_add_f32_e64 v5, |v1|, s28
	v_and_b32_e32 v5, 0xff, v5
	v_cmp_ne_u32_e32 vcc, 0, v5
	s_andn2_b64 s[24:25], s[24:25], exec
	s_and_b64 s[28:29], vcc, exec
	s_or_b64 s[24:25], s[24:25], s[28:29]
	s_or_b64 exec, exec, s[26:27]
	v_mov_b32_e32 v12, 0
	s_and_saveexec_b64 s[26:27], s[24:25]
	s_cbranch_execnz .LBB297_277
	s_branch .LBB297_278
.LBB297_2373:
	s_andn2_saveexec_b64 s[26:27], s[26:27]
	s_cbranch_execz .LBB297_296
.LBB297_2374:
	s_mov_b32 s28, 0x46000000
	v_add_f32_e64 v5, |v1|, s28
	v_and_b32_e32 v5, 0xff, v5
	v_cmp_ne_u32_e32 vcc, 0, v5
	s_andn2_b64 s[24:25], s[24:25], exec
	s_and_b64 s[28:29], vcc, exec
	s_or_b64 s[24:25], s[24:25], s[28:29]
	s_or_b64 exec, exec, s[26:27]
	v_mov_b32_e32 v12, 0
	s_and_saveexec_b64 s[26:27], s[24:25]
	s_cbranch_execnz .LBB297_297
	s_branch .LBB297_298
.LBB297_2375:
	s_andn2_saveexec_b64 s[26:27], s[26:27]
	s_cbranch_execz .LBB297_304
.LBB297_2376:
	s_mov_b32 s28, 0x46000000
	v_add_f32_e64 v5, |v1|, s28
	v_and_b32_e32 v5, 0xff, v5
	v_cmp_ne_u32_e32 vcc, 0, v5
	s_andn2_b64 s[24:25], s[24:25], exec
	s_and_b64 s[28:29], vcc, exec
	s_or_b64 s[24:25], s[24:25], s[28:29]
	s_or_b64 exec, exec, s[26:27]
	v_mov_b32_e32 v12, 0
	s_and_saveexec_b64 s[26:27], s[24:25]
	s_cbranch_execnz .LBB297_305
	s_branch .LBB297_306
.LBB297_2377:
	s_andn2_saveexec_b64 s[26:27], s[26:27]
	s_cbranch_execz .LBB297_326
.LBB297_2378:
	s_mov_b32 s28, 0x46000000
	v_add_f32_e64 v5, |v1|, s28
	v_and_b32_e32 v5, 0xff, v5
	v_cmp_ne_u32_e32 vcc, 0, v5
	s_andn2_b64 s[24:25], s[24:25], exec
	s_and_b64 s[28:29], vcc, exec
	s_or_b64 s[24:25], s[24:25], s[28:29]
	s_or_b64 exec, exec, s[26:27]
	v_mov_b32_e32 v12, 0
	s_and_saveexec_b64 s[26:27], s[24:25]
	s_cbranch_execnz .LBB297_327
	s_branch .LBB297_328
.LBB297_2379:
	s_andn2_saveexec_b64 s[26:27], s[26:27]
	s_cbranch_execz .LBB297_334
.LBB297_2380:
	s_mov_b32 s28, 0x46000000
	v_add_f32_e64 v5, |v1|, s28
	v_and_b32_e32 v5, 0xff, v5
	v_cmp_ne_u32_e32 vcc, 0, v5
	s_andn2_b64 s[24:25], s[24:25], exec
	s_and_b64 s[28:29], vcc, exec
	s_or_b64 s[24:25], s[24:25], s[28:29]
	s_or_b64 exec, exec, s[26:27]
	v_mov_b32_e32 v12, 0
	s_and_saveexec_b64 s[26:27], s[24:25]
	s_cbranch_execnz .LBB297_335
	s_branch .LBB297_336
.LBB297_2381:
	s_andn2_saveexec_b64 s[28:29], s[28:29]
	s_cbranch_execz .LBB297_463
.LBB297_2382:
	s_mov_b32 s30, 0x46000000
	v_add_f32_e64 v14, |v16|, s30
	v_and_b32_e32 v17, 0xff, v14
	v_cmp_ne_u32_e32 vcc, 0, v17
	s_andn2_b64 s[26:27], s[26:27], exec
	s_and_b64 s[30:31], vcc, exec
	s_or_b64 s[26:27], s[26:27], s[30:31]
	s_or_b64 exec, exec, s[28:29]
	v_mov_b32_e32 v14, 0
	s_and_saveexec_b64 s[28:29], s[26:27]
	s_cbranch_execnz .LBB297_464
	s_branch .LBB297_465
.LBB297_2383:
	s_andn2_saveexec_b64 s[28:29], s[28:29]
	s_cbranch_execz .LBB297_491
.LBB297_2384:
	s_mov_b32 s30, 0x46000000
	v_add_f32_e64 v14, |v16|, s30
	v_and_b32_e32 v17, 0xff, v14
	v_cmp_ne_u32_e32 vcc, 0, v17
	s_andn2_b64 s[26:27], s[26:27], exec
	s_and_b64 s[30:31], vcc, exec
	s_or_b64 s[26:27], s[26:27], s[30:31]
	s_or_b64 exec, exec, s[28:29]
	v_mov_b32_e32 v14, 0
	s_and_saveexec_b64 s[28:29], s[26:27]
	s_cbranch_execnz .LBB297_492
	s_branch .LBB297_493
.LBB297_2385:
	s_andn2_saveexec_b64 s[28:29], s[28:29]
	s_cbranch_execz .LBB297_521
.LBB297_2386:
	s_mov_b32 s30, 0x46000000
	v_add_f32_e64 v14, |v16|, s30
	v_and_b32_e32 v17, 0xff, v14
	v_cmp_ne_u32_e32 vcc, 0, v17
	s_andn2_b64 s[26:27], s[26:27], exec
	s_and_b64 s[30:31], vcc, exec
	s_or_b64 s[26:27], s[26:27], s[30:31]
	s_or_b64 exec, exec, s[28:29]
	v_mov_b32_e32 v14, 0
	s_and_saveexec_b64 s[28:29], s[26:27]
	s_cbranch_execnz .LBB297_522
	s_branch .LBB297_523
.LBB297_2387:
	s_andn2_saveexec_b64 s[28:29], s[28:29]
	s_cbranch_execz .LBB297_531
.LBB297_2388:
	s_mov_b32 s30, 0x46000000
	v_add_f32_e64 v14, |v16|, s30
	v_and_b32_e32 v17, 0xff, v14
	v_cmp_ne_u32_e32 vcc, 0, v17
	s_andn2_b64 s[26:27], s[26:27], exec
	s_and_b64 s[30:31], vcc, exec
	s_or_b64 s[26:27], s[26:27], s[30:31]
	s_or_b64 exec, exec, s[28:29]
	v_mov_b32_e32 v14, 0
	s_and_saveexec_b64 s[28:29], s[26:27]
	s_cbranch_execnz .LBB297_532
	s_branch .LBB297_533
.LBB297_2389:
	s_andn2_saveexec_b64 s[28:29], s[28:29]
	s_cbranch_execz .LBB297_539
.LBB297_2390:
	v_add_f32_e32 v14, 0x46000000, v17
	v_and_b32_e32 v16, 0xff, v14
	v_cmp_ne_u32_e32 vcc, 0, v16
	s_andn2_b64 s[26:27], s[26:27], exec
	s_and_b64 s[30:31], vcc, exec
	s_or_b64 s[26:27], s[26:27], s[30:31]
	s_or_b64 exec, exec, s[28:29]
	v_mov_b32_e32 v14, 0
	s_and_saveexec_b64 s[28:29], s[26:27]
	s_cbranch_execnz .LBB297_540
	s_branch .LBB297_541
.LBB297_2391:
	s_andn2_saveexec_b64 s[38:39], s[4:5]
	s_cbranch_execz .LBB297_817
.LBB297_2392:
	v_add_f32_e32 v12, 0x46000000, v15
	v_and_b32_e32 v14, 0xff, v12
	v_cmp_ne_u32_e64 s[4:5], 0, v14
	s_andn2_b64 s[36:37], s[36:37], exec
	s_and_b64 s[4:5], s[4:5], exec
	s_or_b64 s[36:37], s[36:37], s[4:5]
	s_or_b64 exec, exec, s[38:39]
	v_mov_b32_e32 v12, 0
	s_and_saveexec_b64 s[4:5], s[36:37]
	s_cbranch_execnz .LBB297_818
	s_branch .LBB297_819
.LBB297_2393:
	s_andn2_saveexec_b64 s[44:45], s[44:45]
	s_cbranch_execz .LBB297_1196
.LBB297_2394:
	v_cmp_lt_i16_e64 s[4:5], 22, v1
	s_mov_b64 s[46:47], s[40:41]
                                        ; implicit-def: $vgpr12
	s_and_saveexec_b64 s[36:37], s[4:5]
	s_xor_b64 s[36:37], exec, s[36:37]
	s_cbranch_execz .LBB297_2428
; %bb.2395:
	v_cmp_lt_i16_e64 s[4:5], 23, v1
                                        ; implicit-def: $vgpr12
	s_and_saveexec_b64 s[46:47], s[4:5]
	s_xor_b64 s[46:47], exec, s[46:47]
	s_cbranch_execz .LBB297_2419
; %bb.2396:
	v_cmp_lt_i16_e64 s[4:5], 24, v1
                                        ; implicit-def: $vgpr12
	s_and_saveexec_b64 s[48:49], s[4:5]
	s_xor_b64 s[48:49], exec, s[48:49]
	s_cbranch_execz .LBB297_2410
; %bb.2397:
	s_waitcnt vmcnt(0) lgkmcnt(0)
	flat_load_ubyte v12, v[10:11]
	s_movk_i32 s4, 0x7f
	s_mov_b64 s[50:51], 0
	s_waitcnt vmcnt(0) lgkmcnt(0)
	v_cmp_lt_i16_e64 s[4:5], s4, v12
	s_and_saveexec_b64 s[52:53], s[4:5]
	s_xor_b64 s[52:53], exec, s[52:53]
	s_cbranch_execz .LBB297_2830
; %bb.2398:
	s_movk_i32 s4, 0x80
	v_cmp_eq_u16_e64 s[4:5], s4, v12
	s_mov_b64 s[50:51], -1
	s_and_saveexec_b64 s[54:55], s[4:5]
; %bb.2399:
	s_xor_b64 s[50:51], exec, -1
; %bb.2400:
	s_or_b64 exec, exec, s[54:55]
	s_and_b64 s[50:51], s[50:51], exec
	s_or_saveexec_b64 s[52:53], s[52:53]
	v_mov_b32_e32 v13, 0x7f800001
	s_xor_b64 exec, exec, s[52:53]
	s_cbranch_execnz .LBB297_2831
.LBB297_2401:
	s_or_b64 exec, exec, s[52:53]
	s_and_saveexec_b64 s[52:53], s[50:51]
	s_cbranch_execz .LBB297_2403
.LBB297_2402:
	v_lshlrev_b32_e32 v13, 24, v12
	v_and_b32_e32 v12, 0xffff, v12
	v_and_b32_e32 v15, 3, v12
	v_ffbh_u32_e32 v17, v15
	v_min_u32_e32 v17, 32, v17
	v_subrev_u32_e32 v18, 29, v17
	v_bfe_u32 v16, v12, 2, 5
	v_lshlrev_b32_e32 v12, v18, v12
	v_sub_u32_e32 v17, 30, v17
	v_and_b32_e32 v12, 3, v12
	v_cmp_eq_u32_e64 s[4:5], 0, v16
	v_cndmask_b32_e64 v16, v16, v17, s[4:5]
	v_cndmask_b32_e64 v12, v15, v12, s[4:5]
	v_mov_b32_e32 v15, 0x37800000
	v_lshlrev_b32_e32 v12, 21, v12
	v_and_b32_e32 v13, 0x80000000, v13
	v_lshl_add_u32 v15, v16, 23, v15
	v_or3_b32 v13, v13, v15, v12
.LBB297_2403:
	s_or_b64 exec, exec, s[52:53]
	v_and_b32_e32 v15, 0x7fffffff, v13
	s_mov_b32 s4, 0x43800000
	v_cmp_gt_u32_e64 s[4:5], s4, v15
	v_mov_b32_e32 v12, 0x80
	s_and_saveexec_b64 s[50:51], s[4:5]
	s_cbranch_execz .LBB297_2409
; %bb.2404:
	s_mov_b32 s4, 0x3bffffff
	v_cmp_lt_u32_e64 s[4:5], s4, v15
	s_mov_b64 s[52:53], 0
                                        ; implicit-def: $vgpr15
	s_and_saveexec_b64 s[54:55], s[4:5]
	s_xor_b64 s[4:5], exec, s[54:55]
	s_cbranch_execz .LBB297_2909
; %bb.2405:
	v_bfe_u32 v12, v13, 20, 1
	s_mov_b32 s33, 0x487ffff
	v_add3_u32 v12, v13, v12, s33
	s_mov_b64 s[52:53], exec
	v_lshrrev_b32_e32 v15, 20, v12
	s_andn2_saveexec_b64 s[54:55], s[4:5]
	s_cbranch_execnz .LBB297_2910
.LBB297_2406:
	s_or_b64 exec, exec, s[54:55]
	v_mov_b32_e32 v12, 0
	s_and_saveexec_b64 s[4:5], s[52:53]
.LBB297_2407:
	v_lshrrev_b32_e32 v12, 24, v13
	s_movk_i32 s33, 0x80
	v_and_or_b32 v12, v12, s33, v15
.LBB297_2408:
	s_or_b64 exec, exec, s[4:5]
.LBB297_2409:
	s_or_b64 exec, exec, s[50:51]
.LBB297_2410:
	s_andn2_saveexec_b64 s[48:49], s[48:49]
	s_cbranch_execz .LBB297_2418
; %bb.2411:
	s_waitcnt vmcnt(0) lgkmcnt(0)
	flat_load_ubyte v12, v[10:11]
	s_mov_b32 s4, 0x7f800000
	s_brev_b32 s33, 1
	s_mov_b32 s50, 0x43800000
	s_waitcnt vmcnt(0) lgkmcnt(0)
	v_lshlrev_b32_e32 v12, 24, v12
	v_and_b32_e32 v13, 0x7f000000, v12
	v_ffbh_u32_e32 v15, v13
	v_min_u32_e32 v15, 32, v15
	v_sub_u32_e64 v15, v15, 4 clamp
	v_lshlrev_b32_e32 v17, v15, v13
	v_lshlrev_b32_e32 v15, 23, v15
	v_lshrrev_b32_e32 v17, 4, v17
	v_add_u32_e32 v16, 0x1000000, v13
	v_sub_u32_e32 v15, v17, v15
	v_ashrrev_i32_e32 v16, 8, v16
	v_add_u32_e32 v15, 0x3c000000, v15
	v_and_or_b32 v15, v16, s4, v15
	v_cmp_ne_u32_e64 s[4:5], 0, v13
	v_cndmask_b32_e64 v16, 0, v15, s[4:5]
	v_and_or_b32 v13, v12, s33, v16
	v_and_b32_e32 v15, 0x7fffffff, v13
	v_cmp_gt_u32_e64 s[4:5], s50, v15
	v_mov_b32_e32 v12, 0x80
	s_and_saveexec_b64 s[50:51], s[4:5]
	s_cbranch_execz .LBB297_2417
; %bb.2412:
	s_mov_b32 s4, 0x3bffffff
	v_cmp_lt_u32_e64 s[4:5], s4, v15
	s_mov_b64 s[52:53], 0
                                        ; implicit-def: $vgpr15
	s_and_saveexec_b64 s[54:55], s[4:5]
	s_xor_b64 s[4:5], exec, s[54:55]
	s_cbranch_execz .LBB297_2911
; %bb.2413:
	v_bfe_u32 v12, v16, 20, 1
	s_mov_b32 s33, 0x487ffff
	v_add3_u32 v12, v13, v12, s33
	s_mov_b64 s[52:53], exec
	v_lshrrev_b32_e32 v15, 20, v12
	s_andn2_saveexec_b64 s[54:55], s[4:5]
	s_cbranch_execnz .LBB297_2912
.LBB297_2414:
	s_or_b64 exec, exec, s[54:55]
	v_mov_b32_e32 v12, 0
	s_and_saveexec_b64 s[4:5], s[52:53]
.LBB297_2415:
	v_lshrrev_b32_e32 v12, 24, v13
	s_movk_i32 s33, 0x80
	v_and_or_b32 v12, v12, s33, v15
.LBB297_2416:
	s_or_b64 exec, exec, s[4:5]
.LBB297_2417:
	s_or_b64 exec, exec, s[50:51]
.LBB297_2418:
	s_or_b64 exec, exec, s[48:49]
.LBB297_2419:
	s_andn2_saveexec_b64 s[46:47], s[46:47]
	s_cbranch_execz .LBB297_2427
; %bb.2420:
	s_waitcnt vmcnt(0) lgkmcnt(0)
	flat_load_ubyte v12, v[10:11]
	s_movk_i32 s4, 0x7f00
	s_brev_b32 s5, 16
	s_brev_b32 s33, 1
	s_mov_b32 s48, 0x43800000
	s_waitcnt vmcnt(0) lgkmcnt(0)
	v_lshlrev_b16_e32 v13, 8, v12
	v_lshlrev_b32_e32 v12, 25, v12
	v_lshrrev_b32_e32 v15, 4, v12
	v_and_or_b32 v16, v13, s4, 0.5
	v_or_b32_e32 v15, 0x70000000, v15
	v_add_f32_e32 v16, -0.5, v16
	v_mul_f32_e32 v15, 0x7800000, v15
	v_cmp_gt_u32_e64 s[4:5], s5, v12
	v_bfe_i32 v13, v13, 0, 16
	v_cndmask_b32_e64 v16, v15, v16, s[4:5]
	v_and_or_b32 v13, v13, s33, v16
	v_and_b32_e32 v15, 0x7fffffff, v13
	v_cmp_gt_u32_e64 s[4:5], s48, v15
	v_mov_b32_e32 v12, 0x80
	s_and_saveexec_b64 s[48:49], s[4:5]
	s_cbranch_execz .LBB297_2426
; %bb.2421:
	s_mov_b32 s4, 0x3bffffff
	v_cmp_lt_u32_e64 s[4:5], s4, v15
	s_mov_b64 s[50:51], 0
                                        ; implicit-def: $vgpr15
	s_and_saveexec_b64 s[52:53], s[4:5]
	s_xor_b64 s[4:5], exec, s[52:53]
	s_cbranch_execz .LBB297_2832
; %bb.2422:
	v_bfe_u32 v12, v16, 20, 1
	s_mov_b32 s33, 0x487ffff
	v_add3_u32 v12, v13, v12, s33
	s_mov_b64 s[50:51], exec
	v_lshrrev_b32_e32 v15, 20, v12
	s_andn2_saveexec_b64 s[52:53], s[4:5]
	s_cbranch_execnz .LBB297_2833
.LBB297_2423:
	s_or_b64 exec, exec, s[52:53]
	v_mov_b32_e32 v12, 0
	s_and_saveexec_b64 s[4:5], s[50:51]
.LBB297_2424:
	v_lshrrev_b32_e32 v12, 24, v13
	s_movk_i32 s33, 0x80
	v_and_or_b32 v12, v12, s33, v15
.LBB297_2425:
	s_or_b64 exec, exec, s[4:5]
.LBB297_2426:
	s_or_b64 exec, exec, s[48:49]
.LBB297_2427:
	s_or_b64 exec, exec, s[46:47]
	s_or_b64 s[46:47], s[40:41], exec
.LBB297_2428:
	s_or_saveexec_b64 s[36:37], s[36:37]
	s_mov_b64 s[4:5], 0
	s_mov_b64 s[48:49], s[42:43]
	s_xor_b64 exec, exec, s[36:37]
	s_cbranch_execz .LBB297_2442
; %bb.2429:
	v_cmp_lt_i16_e64 s[4:5], 14, v1
	s_mov_b64 s[50:51], s[42:43]
	s_mov_b64 s[52:53], s[46:47]
                                        ; implicit-def: $vgpr12
	s_and_saveexec_b64 s[48:49], s[4:5]
	s_xor_b64 s[48:49], exec, s[48:49]
	s_cbranch_execz .LBB297_2439
; %bb.2430:
	v_cmp_eq_u16_e64 s[4:5], 15, v1
	s_mov_b64 s[54:55], -1
	s_mov_b64 s[52:53], s[46:47]
                                        ; implicit-def: $vgpr12
	s_and_saveexec_b64 s[50:51], s[4:5]
	s_cbranch_execz .LBB297_2438
; %bb.2431:
	flat_load_ushort v13, v[10:11]
	s_mov_b32 s4, 0x43800000
	s_waitcnt vmcnt(0) lgkmcnt(0)
	v_mov_b32_e32 v12, 0x80
	v_lshlrev_b32_e32 v16, 16, v13
	v_and_b32_e32 v15, 0x7fffffff, v16
	v_cmp_gt_u32_e64 s[4:5], s4, v15
	s_and_saveexec_b64 s[52:53], s[4:5]
	s_cbranch_execz .LBB297_2437
; %bb.2432:
	s_mov_b32 s4, 0x3bffffff
	v_cmp_lt_u32_e64 s[4:5], s4, v15
	s_mov_b64 s[54:55], 0
                                        ; implicit-def: $vgpr15
	s_and_saveexec_b64 s[56:57], s[4:5]
	s_xor_b64 s[4:5], exec, s[56:57]
	s_cbranch_execz .LBB297_2913
; %bb.2433:
	v_bfe_u32 v12, v13, 4, 1
	s_mov_b32 s33, 0x487ffff
	v_add3_u32 v12, v16, v12, s33
	s_mov_b64 s[54:55], exec
	v_lshrrev_b32_e32 v15, 20, v12
                                        ; implicit-def: $vgpr16
	s_andn2_saveexec_b64 s[56:57], s[4:5]
	s_cbranch_execnz .LBB297_2914
.LBB297_2434:
	s_or_b64 exec, exec, s[56:57]
	v_mov_b32_e32 v12, 0
	s_and_saveexec_b64 s[4:5], s[54:55]
.LBB297_2435:
	v_lshrrev_b32_e32 v12, 8, v13
	s_movk_i32 s33, 0x80
	v_and_or_b32 v12, v12, s33, v15
.LBB297_2436:
	s_or_b64 exec, exec, s[4:5]
.LBB297_2437:
	s_or_b64 exec, exec, s[52:53]
	s_or_b64 s[52:53], s[46:47], exec
	s_xor_b64 s[54:55], exec, -1
.LBB297_2438:
	s_or_b64 exec, exec, s[50:51]
	s_andn2_b64 s[4:5], s[46:47], exec
	s_and_b64 s[50:51], s[52:53], exec
	s_or_b64 s[52:53], s[4:5], s[50:51]
	s_andn2_b64 s[4:5], s[42:43], exec
	s_and_b64 s[50:51], s[54:55], exec
	s_or_b64 s[50:51], s[4:5], s[50:51]
.LBB297_2439:
	s_or_saveexec_b64 s[48:49], s[48:49]
	s_mov_b64 s[54:55], 0
	s_xor_b64 exec, exec, s[48:49]
; %bb.2440:
	v_cmp_ne_u16_e64 s[4:5], 11, v1
	s_andn2_b64 s[50:51], s[50:51], exec
	s_and_b64 s[4:5], s[4:5], exec
	s_mov_b64 s[54:55], exec
	s_or_b64 s[50:51], s[50:51], s[4:5]
; %bb.2441:
	s_or_b64 exec, exec, s[48:49]
	s_andn2_b64 s[4:5], s[46:47], exec
	s_and_b64 s[46:47], s[52:53], exec
	s_andn2_b64 s[48:49], s[42:43], exec
	s_and_b64 s[50:51], s[50:51], exec
	s_or_b64 s[46:47], s[4:5], s[46:47]
	s_and_b64 s[4:5], s[54:55], exec
	s_or_b64 s[48:49], s[48:49], s[50:51]
.LBB297_2442:
	s_or_b64 exec, exec, s[36:37]
	s_andn2_b64 s[36:37], s[40:41], exec
	s_and_b64 s[40:41], s[46:47], exec
	s_or_b64 s[40:41], s[36:37], s[40:41]
	s_and_b64 s[36:37], s[4:5], exec
	s_andn2_b64 s[4:5], s[42:43], exec
	s_and_b64 s[42:43], s[48:49], exec
	s_or_b64 s[42:43], s[4:5], s[42:43]
	s_or_b64 exec, exec, s[44:45]
	s_mov_b64 s[44:45], s[28:29]
	s_and_saveexec_b64 s[4:5], s[42:43]
	s_cbranch_execz .LBB297_1197
.LBB297_2443:
	s_trap 2
	s_or_b64 s[44:45], s[28:29], exec
	s_andn2_b64 s[36:37], s[36:37], exec
	s_or_b64 exec, exec, s[4:5]
	s_and_saveexec_b64 s[4:5], s[36:37]
	s_xor_b64 s[36:37], exec, s[4:5]
	s_cbranch_execnz .LBB297_1198
	s_branch .LBB297_1205
.LBB297_2444:
	s_andn2_saveexec_b64 s[26:27], s[26:27]
	s_cbranch_execz .LBB297_2084
.LBB297_2445:
	s_mov_b32 s28, 0x46000000
	v_add_f32_e64 v5, |v1|, s28
	v_and_b32_e32 v5, 0xff, v5
	v_cmp_ne_u32_e32 vcc, 0, v5
	s_andn2_b64 s[24:25], s[24:25], exec
	s_and_b64 s[28:29], vcc, exec
	s_or_b64 s[24:25], s[24:25], s[28:29]
	s_or_b64 exec, exec, s[26:27]
	v_mov_b32_e32 v12, 0
	s_and_saveexec_b64 s[26:27], s[24:25]
	s_cbranch_execnz .LBB297_2085
	s_branch .LBB297_2086
.LBB297_2446:
	s_andn2_saveexec_b64 s[26:27], s[26:27]
	s_cbranch_execz .LBB297_2092
.LBB297_2447:
	s_mov_b32 s28, 0x46000000
	v_add_f32_e64 v5, |v1|, s28
	v_and_b32_e32 v5, 0xff, v5
	v_cmp_ne_u32_e32 vcc, 0, v5
	s_andn2_b64 s[24:25], s[24:25], exec
	s_and_b64 s[28:29], vcc, exec
	s_or_b64 s[24:25], s[24:25], s[28:29]
	s_or_b64 exec, exec, s[26:27]
	v_mov_b32_e32 v12, 0
	s_and_saveexec_b64 s[26:27], s[24:25]
	s_cbranch_execnz .LBB297_2093
	s_branch .LBB297_2094
.LBB297_2448:
	s_andn2_saveexec_b64 s[28:29], s[28:29]
	s_cbranch_execz .LBB297_2112
.LBB297_2449:
	s_mov_b32 s30, 0x46000000
	v_add_f32_e64 v5, |v14|, s30
	v_and_b32_e32 v5, 0xff, v5
	v_cmp_ne_u32_e32 vcc, 0, v5
	s_andn2_b64 s[26:27], s[26:27], exec
	s_and_b64 s[30:31], vcc, exec
	s_or_b64 s[26:27], s[26:27], s[30:31]
	s_or_b64 exec, exec, s[28:29]
	v_mov_b32_e32 v12, 0
	s_and_saveexec_b64 s[28:29], s[26:27]
	s_cbranch_execnz .LBB297_2113
	s_branch .LBB297_2114
.LBB297_2450:
	s_or_saveexec_b64 s[28:29], s[28:29]
	v_mov_b32_e32 v20, 0x7f800001
	s_xor_b64 exec, exec, s[28:29]
	s_cbranch_execz .LBB297_2130
.LBB297_2451:
	v_cmp_ne_u16_e32 vcc, 0, v14
	s_andn2_b64 s[26:27], s[26:27], exec
	s_and_b64 s[30:31], vcc, exec
	v_mov_b32_e32 v20, 0
	s_or_b64 s[26:27], s[26:27], s[30:31]
	s_or_b64 exec, exec, s[28:29]
	s_and_saveexec_b64 s[28:29], s[26:27]
	s_cbranch_execnz .LBB297_2131
	s_branch .LBB297_2132
.LBB297_2452:
	s_andn2_saveexec_b64 s[28:29], s[28:29]
	s_cbranch_execz .LBB297_2152
.LBB297_2453:
	s_mov_b32 s30, 0x46000000
	v_add_f32_e64 v14, |v20|, s30
	v_and_b32_e32 v21, 0xff, v14
	v_cmp_ne_u32_e32 vcc, 0, v21
	s_andn2_b64 s[26:27], s[26:27], exec
	s_and_b64 s[30:31], vcc, exec
	s_or_b64 s[26:27], s[26:27], s[30:31]
	s_or_b64 exec, exec, s[28:29]
	v_mov_b32_e32 v14, 0
	s_and_saveexec_b64 s[28:29], s[26:27]
	s_cbranch_execnz .LBB297_2153
	s_branch .LBB297_2154
.LBB297_2454:
	s_andn2_saveexec_b64 s[26:27], s[26:27]
	s_cbranch_execz .LBB297_200
.LBB297_2455:
	s_mov_b32 s28, 0x46000000
	v_add_f32_e64 v5, |v1|, s28
	v_and_b32_e32 v5, 0xff, v5
	v_cmp_ne_u32_e32 vcc, 0, v5
	s_andn2_b64 s[24:25], s[24:25], exec
	s_and_b64 s[28:29], vcc, exec
	s_or_b64 s[24:25], s[24:25], s[28:29]
	s_or_b64 exec, exec, s[26:27]
	v_mov_b32_e32 v12, 0
	s_and_saveexec_b64 s[26:27], s[24:25]
	s_cbranch_execnz .LBB297_201
	s_branch .LBB297_202
.LBB297_2456:
	s_andn2_saveexec_b64 s[30:31], s[30:31]
	s_cbranch_execz .LBB297_210
.LBB297_2457:
	v_add_f32_e32 v1, 0x46000000, v5
	v_and_b32_e32 v1, 0xff, v1
	v_cmp_ne_u32_e32 vcc, 0, v1
	s_andn2_b64 s[28:29], s[28:29], exec
	s_and_b64 s[34:35], vcc, exec
	s_or_b64 s[28:29], s[28:29], s[34:35]
	s_or_b64 exec, exec, s[30:31]
	v_mov_b32_e32 v12, 0
	s_and_saveexec_b64 s[30:31], s[28:29]
	s_cbranch_execnz .LBB297_211
	s_branch .LBB297_212
.LBB297_2458:
	s_andn2_saveexec_b64 s[34:35], s[34:35]
	s_cbranch_execz .LBB297_399
.LBB297_2459:
	v_add_f32_e32 v14, 0x46000000, v21
	v_and_b32_e32 v20, 0xff, v14
	v_cmp_ne_u32_e32 vcc, 0, v20
	s_andn2_b64 s[30:31], s[30:31], exec
	s_and_b64 s[36:37], vcc, exec
	s_or_b64 s[30:31], s[30:31], s[36:37]
	s_or_b64 exec, exec, s[34:35]
	v_mov_b32_e32 v14, 0
	s_and_saveexec_b64 s[34:35], s[30:31]
	s_cbranch_execnz .LBB297_400
	s_branch .LBB297_401
.LBB297_2460:
	s_andn2_saveexec_b64 s[34:35], s[34:35]
	s_cbranch_execz .LBB297_411
.LBB297_2461:
	v_add_f32_e32 v14, 0x46000000, v21
	v_and_b32_e32 v20, 0xff, v14
	v_cmp_ne_u32_e32 vcc, 0, v20
	s_andn2_b64 s[30:31], s[30:31], exec
	s_and_b64 s[36:37], vcc, exec
	s_or_b64 s[30:31], s[30:31], s[36:37]
	s_or_b64 exec, exec, s[34:35]
	v_mov_b32_e32 v14, 0
	s_and_saveexec_b64 s[34:35], s[30:31]
	s_cbranch_execnz .LBB297_412
	s_branch .LBB297_413
.LBB297_2462:
	s_andn2_saveexec_b64 s[34:35], s[34:35]
	s_cbranch_execz .LBB297_419
.LBB297_2463:
	v_add_f32_e32 v14, 0x46000000, v21
	v_and_b32_e32 v20, 0xff, v14
	v_cmp_ne_u32_e32 vcc, 0, v20
	s_andn2_b64 s[30:31], s[30:31], exec
	s_and_b64 s[36:37], vcc, exec
	s_or_b64 s[30:31], s[30:31], s[36:37]
	s_or_b64 exec, exec, s[34:35]
	v_mov_b32_e32 v14, 0
	s_and_saveexec_b64 s[34:35], s[30:31]
	s_cbranch_execnz .LBB297_420
	s_branch .LBB297_421
.LBB297_2464:
	s_andn2_saveexec_b64 s[30:31], s[30:31]
	s_cbranch_execz .LBB297_446
.LBB297_2465:
	s_mov_b32 s33, 0x46000000
	v_add_f32_e64 v14, |v16|, s33
	v_and_b32_e32 v17, 0xff, v14
	v_cmp_ne_u32_e32 vcc, 0, v17
	s_andn2_b64 s[28:29], s[28:29], exec
	s_and_b64 s[34:35], vcc, exec
	s_or_b64 s[28:29], s[28:29], s[34:35]
	s_or_b64 exec, exec, s[30:31]
	v_mov_b32_e32 v14, 0
	s_and_saveexec_b64 s[30:31], s[28:29]
	s_cbranch_execnz .LBB297_447
	s_branch .LBB297_448
.LBB297_2466:
	s_andn2_saveexec_b64 s[30:31], s[30:31]
	s_cbranch_execz .LBB297_454
.LBB297_2467:
	s_mov_b32 s33, 0x46000000
	v_add_f32_e64 v14, |v16|, s33
	v_and_b32_e32 v17, 0xff, v14
	v_cmp_ne_u32_e32 vcc, 0, v17
	s_andn2_b64 s[28:29], s[28:29], exec
	s_and_b64 s[34:35], vcc, exec
	s_or_b64 s[28:29], s[28:29], s[34:35]
	s_or_b64 exec, exec, s[30:31]
	v_mov_b32_e32 v14, 0
	s_and_saveexec_b64 s[30:31], s[28:29]
	s_cbranch_execnz .LBB297_455
	s_branch .LBB297_456
.LBB297_2468:
	s_andn2_saveexec_b64 s[30:31], s[30:31]
	s_cbranch_execz .LBB297_474
.LBB297_2469:
	s_mov_b32 s33, 0x46000000
	v_add_f32_e64 v14, |v16|, s33
	v_and_b32_e32 v17, 0xff, v14
	v_cmp_ne_u32_e32 vcc, 0, v17
	s_andn2_b64 s[28:29], s[28:29], exec
	s_and_b64 s[34:35], vcc, exec
	s_or_b64 s[28:29], s[28:29], s[34:35]
	s_or_b64 exec, exec, s[30:31]
	v_mov_b32_e32 v14, 0
	s_and_saveexec_b64 s[30:31], s[28:29]
	s_cbranch_execnz .LBB297_475
	s_branch .LBB297_476
.LBB297_2470:
	s_andn2_saveexec_b64 s[30:31], s[30:31]
	s_cbranch_execz .LBB297_482
.LBB297_2471:
	s_mov_b32 s33, 0x46000000
	v_add_f32_e64 v14, |v16|, s33
	v_and_b32_e32 v17, 0xff, v14
	v_cmp_ne_u32_e32 vcc, 0, v17
	s_andn2_b64 s[28:29], s[28:29], exec
	s_and_b64 s[34:35], vcc, exec
	s_or_b64 s[28:29], s[28:29], s[34:35]
	s_or_b64 exec, exec, s[30:31]
	v_mov_b32_e32 v14, 0
	s_and_saveexec_b64 s[30:31], s[28:29]
	s_cbranch_execnz .LBB297_483
	s_branch .LBB297_484
.LBB297_2472:
	s_andn2_saveexec_b64 s[30:31], s[30:31]
	s_cbranch_execz .LBB297_504
.LBB297_2473:
	s_mov_b32 s33, 0x46000000
	v_add_f32_e64 v14, |v16|, s33
	v_and_b32_e32 v17, 0xff, v14
	v_cmp_ne_u32_e32 vcc, 0, v17
	s_andn2_b64 s[28:29], s[28:29], exec
	s_and_b64 s[34:35], vcc, exec
	s_or_b64 s[28:29], s[28:29], s[34:35]
	s_or_b64 exec, exec, s[30:31]
	v_mov_b32_e32 v14, 0
	s_and_saveexec_b64 s[30:31], s[28:29]
	s_cbranch_execnz .LBB297_505
	s_branch .LBB297_506
.LBB297_2474:
	s_andn2_saveexec_b64 s[30:31], s[30:31]
	s_cbranch_execz .LBB297_512
.LBB297_2475:
	s_mov_b32 s33, 0x46000000
	v_add_f32_e64 v14, |v16|, s33
	v_and_b32_e32 v17, 0xff, v14
	v_cmp_ne_u32_e32 vcc, 0, v17
	s_andn2_b64 s[28:29], s[28:29], exec
	s_and_b64 s[34:35], vcc, exec
	s_or_b64 s[28:29], s[28:29], s[34:35]
	s_or_b64 exec, exec, s[30:31]
	v_mov_b32_e32 v14, 0
	s_and_saveexec_b64 s[30:31], s[28:29]
	s_cbranch_execnz .LBB297_513
	s_branch .LBB297_514
.LBB297_2476:
	s_andn2_saveexec_b64 s[38:39], s[4:5]
	s_cbranch_execz .LBB297_669
.LBB297_2477:
	s_mov_b32 s4, 0x46000000
	v_add_f32_e64 v10, |v12|, s4
	v_and_b32_e32 v14, 0xff, v10
	v_cmp_ne_u32_e64 s[4:5], 0, v14
	s_andn2_b64 s[36:37], s[36:37], exec
	s_and_b64 s[4:5], s[4:5], exec
	s_or_b64 s[36:37], s[36:37], s[4:5]
	s_or_b64 exec, exec, s[38:39]
	v_mov_b32_e32 v10, 0
	s_and_saveexec_b64 s[4:5], s[36:37]
	s_cbranch_execnz .LBB297_670
	s_branch .LBB297_671
.LBB297_2478:
	s_andn2_saveexec_b64 s[38:39], s[4:5]
	s_cbranch_execz .LBB297_697
.LBB297_2479:
	s_mov_b32 s4, 0x46000000
	v_add_f32_e64 v10, |v12|, s4
	v_and_b32_e32 v14, 0xff, v10
	v_cmp_ne_u32_e64 s[4:5], 0, v14
	s_andn2_b64 s[36:37], s[36:37], exec
	s_and_b64 s[4:5], s[4:5], exec
	s_or_b64 s[36:37], s[36:37], s[4:5]
	s_or_b64 exec, exec, s[38:39]
	v_mov_b32_e32 v10, 0
	s_and_saveexec_b64 s[4:5], s[36:37]
	s_cbranch_execnz .LBB297_698
	s_branch .LBB297_699
.LBB297_2480:
	s_andn2_saveexec_b64 s[38:39], s[4:5]
	s_cbranch_execz .LBB297_727
.LBB297_2481:
	s_mov_b32 s4, 0x46000000
	v_add_f32_e64 v10, |v12|, s4
	v_and_b32_e32 v14, 0xff, v10
	v_cmp_ne_u32_e64 s[4:5], 0, v14
	s_andn2_b64 s[36:37], s[36:37], exec
	s_and_b64 s[4:5], s[4:5], exec
	s_or_b64 s[36:37], s[36:37], s[4:5]
	s_or_b64 exec, exec, s[38:39]
	v_mov_b32_e32 v10, 0
	s_and_saveexec_b64 s[4:5], s[36:37]
	s_cbranch_execnz .LBB297_728
	s_branch .LBB297_729
.LBB297_2482:
	s_andn2_saveexec_b64 s[38:39], s[4:5]
	s_cbranch_execz .LBB297_737
.LBB297_2483:
	s_mov_b32 s4, 0x46000000
	v_add_f32_e64 v10, |v12|, s4
	v_and_b32_e32 v14, 0xff, v10
	v_cmp_ne_u32_e64 s[4:5], 0, v14
	s_andn2_b64 s[36:37], s[36:37], exec
	s_and_b64 s[4:5], s[4:5], exec
	s_or_b64 s[36:37], s[36:37], s[4:5]
	s_or_b64 exec, exec, s[38:39]
	v_mov_b32_e32 v10, 0
	s_and_saveexec_b64 s[4:5], s[36:37]
	s_cbranch_execnz .LBB297_738
	s_branch .LBB297_739
.LBB297_2484:
	s_andn2_saveexec_b64 s[38:39], s[4:5]
	s_cbranch_execz .LBB297_745
.LBB297_2485:
	v_add_f32_e32 v10, 0x46000000, v14
	v_and_b32_e32 v12, 0xff, v10
	v_cmp_ne_u32_e64 s[4:5], 0, v12
	s_andn2_b64 s[36:37], s[36:37], exec
	s_and_b64 s[4:5], s[4:5], exec
	s_or_b64 s[36:37], s[36:37], s[4:5]
	s_or_b64 exec, exec, s[38:39]
	v_mov_b32_e32 v10, 0
	s_and_saveexec_b64 s[4:5], s[36:37]
	s_cbranch_execnz .LBB297_746
	s_branch .LBB297_747
.LBB297_2486:
	s_andn2_saveexec_b64 s[44:45], s[4:5]
	s_cbranch_execz .LBB297_1023
.LBB297_2487:
	v_add_f32_e32 v10, 0x46000000, v12
	v_and_b32_e32 v10, 0xff, v10
	v_cmp_ne_u32_e64 s[4:5], 0, v10
	s_andn2_b64 s[42:43], s[42:43], exec
	s_and_b64 s[4:5], s[4:5], exec
	s_or_b64 s[42:43], s[42:43], s[4:5]
	s_or_b64 exec, exec, s[44:45]
	v_mov_b32_e32 v14, 0
	s_and_saveexec_b64 s[4:5], s[42:43]
	s_cbranch_execnz .LBB297_1024
	s_branch .LBB297_1025
.LBB297_2488:
	s_or_saveexec_b64 s[40:41], s[40:41]
	v_mov_b32_e32 v10, 0x7f800001
	s_xor_b64 exec, exec, s[40:41]
	s_cbranch_execz .LBB297_1320
.LBB297_2489:
	v_mov_b32_e32 v10, 0
	v_cmp_ne_u16_sdwa s[44:45], v14, v10 src0_sel:BYTE_0 src1_sel:DWORD
	s_andn2_b64 s[4:5], s[4:5], exec
	s_and_b64 s[44:45], s[44:45], exec
	s_or_b64 s[4:5], s[4:5], s[44:45]
	s_or_b64 exec, exec, s[40:41]
	s_and_saveexec_b64 s[40:41], s[4:5]
	s_cbranch_execnz .LBB297_1321
	s_branch .LBB297_1322
.LBB297_2490:
	s_or_saveexec_b64 s[40:41], s[40:41]
	v_mov_b32_e32 v11, 0x7f800001
	s_xor_b64 exec, exec, s[40:41]
	s_cbranch_execz .LBB297_1326
.LBB297_2491:
	v_mov_b32_e32 v11, 0
	v_cmp_ne_u16_sdwa s[44:45], v12, v11 src0_sel:BYTE_0 src1_sel:DWORD
	s_andn2_b64 s[4:5], s[4:5], exec
	s_and_b64 s[44:45], s[44:45], exec
	s_or_b64 s[4:5], s[4:5], s[44:45]
	s_or_b64 exec, exec, s[40:41]
	s_and_saveexec_b64 s[40:41], s[4:5]
	s_cbranch_execnz .LBB297_1327
	s_branch .LBB297_1328
.LBB297_2492:
	s_or_saveexec_b64 s[44:45], s[44:45]
	v_mov_b32_e32 v10, 0x7f800001
	s_xor_b64 exec, exec, s[44:45]
	s_cbranch_execz .LBB297_1334
.LBB297_2493:
	v_mov_b32_e32 v10, 0
	v_cmp_ne_u16_sdwa s[46:47], v14, v10 src0_sel:BYTE_0 src1_sel:DWORD
	s_andn2_b64 s[4:5], s[4:5], exec
	s_and_b64 s[46:47], s[46:47], exec
	s_or_b64 s[4:5], s[4:5], s[46:47]
	s_or_b64 exec, exec, s[44:45]
	s_and_saveexec_b64 s[44:45], s[4:5]
	s_cbranch_execnz .LBB297_1335
	s_branch .LBB297_1336
.LBB297_2494:
	s_or_saveexec_b64 s[44:45], s[44:45]
	v_mov_b32_e32 v11, 0x7f800001
	s_xor_b64 exec, exec, s[44:45]
	s_cbranch_execz .LBB297_1340
.LBB297_2495:
	v_mov_b32_e32 v11, 0
	v_cmp_ne_u16_sdwa s[46:47], v12, v11 src0_sel:BYTE_0 src1_sel:DWORD
	s_andn2_b64 s[4:5], s[4:5], exec
	s_and_b64 s[46:47], s[46:47], exec
	s_or_b64 s[4:5], s[4:5], s[46:47]
	s_or_b64 exec, exec, s[44:45]
	s_and_saveexec_b64 s[44:45], s[4:5]
	s_cbranch_execnz .LBB297_1341
	s_branch .LBB297_1342
.LBB297_2496:
	s_andn2_saveexec_b64 s[50:51], s[50:51]
	s_cbranch_execz .LBB297_1402
.LBB297_2497:
	v_cmp_lt_i16_e64 s[4:5], 22, v3
	s_mov_b64 s[52:53], s[46:47]
                                        ; implicit-def: $vgpr10
	s_and_saveexec_b64 s[42:43], s[4:5]
	s_xor_b64 s[42:43], exec, s[42:43]
	s_cbranch_execz .LBB297_2531
; %bb.2498:
	v_cmp_lt_i16_e64 s[4:5], 23, v3
                                        ; implicit-def: $vgpr10
	s_and_saveexec_b64 s[52:53], s[4:5]
	s_xor_b64 s[52:53], exec, s[52:53]
	s_cbranch_execz .LBB297_2522
; %bb.2499:
	v_cmp_lt_i16_e64 s[4:5], 24, v3
                                        ; implicit-def: $vgpr10
	s_and_saveexec_b64 s[54:55], s[4:5]
	s_xor_b64 s[54:55], exec, s[54:55]
	s_cbranch_execz .LBB297_2513
; %bb.2500:
	s_waitcnt vmcnt(0) lgkmcnt(0)
	flat_load_ubyte v10, v[8:9]
	s_movk_i32 s4, 0x7f
	s_mov_b64 s[56:57], 0
	s_waitcnt vmcnt(0) lgkmcnt(0)
	v_cmp_lt_i16_e64 s[4:5], s4, v10
	s_and_saveexec_b64 s[58:59], s[4:5]
	s_xor_b64 s[58:59], exec, s[58:59]
	s_cbranch_execz .LBB297_2915
; %bb.2501:
	s_movk_i32 s4, 0x80
	v_cmp_eq_u16_e64 s[4:5], s4, v10
	s_mov_b64 s[56:57], -1
	s_and_saveexec_b64 s[60:61], s[4:5]
; %bb.2502:
	s_xor_b64 s[56:57], exec, -1
; %bb.2503:
	s_or_b64 exec, exec, s[60:61]
	s_and_b64 s[56:57], s[56:57], exec
	s_or_saveexec_b64 s[58:59], s[58:59]
	v_mov_b32_e32 v3, 0x7f800001
	s_xor_b64 exec, exec, s[58:59]
	s_cbranch_execnz .LBB297_2916
.LBB297_2504:
	s_or_b64 exec, exec, s[58:59]
	s_and_saveexec_b64 s[58:59], s[56:57]
	s_cbranch_execz .LBB297_2506
.LBB297_2505:
	v_lshlrev_b32_e32 v3, 24, v10
	v_and_b32_e32 v10, 0xffff, v10
	v_and_b32_e32 v11, 3, v10
	v_ffbh_u32_e32 v13, v11
	v_min_u32_e32 v13, 32, v13
	v_subrev_u32_e32 v14, 29, v13
	v_bfe_u32 v12, v10, 2, 5
	v_lshlrev_b32_e32 v10, v14, v10
	v_sub_u32_e32 v13, 30, v13
	v_and_b32_e32 v10, 3, v10
	v_cmp_eq_u32_e64 s[4:5], 0, v12
	v_cndmask_b32_e64 v12, v12, v13, s[4:5]
	v_cndmask_b32_e64 v10, v11, v10, s[4:5]
	v_mov_b32_e32 v11, 0x37800000
	v_lshlrev_b32_e32 v10, 21, v10
	v_and_b32_e32 v3, 0x80000000, v3
	v_lshl_add_u32 v11, v12, 23, v11
	v_or3_b32 v3, v3, v11, v10
.LBB297_2506:
	s_or_b64 exec, exec, s[58:59]
	v_and_b32_e32 v11, 0x7fffffff, v3
	s_mov_b32 s4, 0x43800000
	v_cmp_gt_u32_e64 s[4:5], s4, v11
	v_mov_b32_e32 v10, 0x80
	s_and_saveexec_b64 s[56:57], s[4:5]
	s_cbranch_execz .LBB297_2512
; %bb.2507:
	s_mov_b32 s4, 0x3bffffff
	v_cmp_lt_u32_e64 s[4:5], s4, v11
	s_mov_b64 s[58:59], 0
                                        ; implicit-def: $vgpr11
	s_and_saveexec_b64 s[60:61], s[4:5]
	s_xor_b64 s[4:5], exec, s[60:61]
	s_cbranch_execz .LBB297_2994
; %bb.2508:
	v_bfe_u32 v10, v3, 20, 1
	s_mov_b32 s33, 0x487ffff
	v_add3_u32 v10, v3, v10, s33
	s_mov_b64 s[58:59], exec
	v_lshrrev_b32_e32 v11, 20, v10
	s_andn2_saveexec_b64 s[60:61], s[4:5]
	s_cbranch_execnz .LBB297_2995
.LBB297_2509:
	s_or_b64 exec, exec, s[60:61]
	v_mov_b32_e32 v10, 0
	s_and_saveexec_b64 s[4:5], s[58:59]
.LBB297_2510:
	v_lshrrev_b32_e32 v3, 24, v3
	s_movk_i32 s33, 0x80
	v_and_or_b32 v10, v3, s33, v11
.LBB297_2511:
	s_or_b64 exec, exec, s[4:5]
.LBB297_2512:
	s_or_b64 exec, exec, s[56:57]
.LBB297_2513:
	s_andn2_saveexec_b64 s[54:55], s[54:55]
	s_cbranch_execz .LBB297_2521
; %bb.2514:
	flat_load_ubyte v3, v[8:9]
	s_mov_b32 s4, 0x7f800000
	s_brev_b32 s33, 1
	s_mov_b32 s56, 0x43800000
	s_waitcnt vmcnt(0) lgkmcnt(0)
	v_lshlrev_b32_e32 v3, 24, v3
	v_and_b32_e32 v10, 0x7f000000, v3
	v_ffbh_u32_e32 v11, v10
	v_min_u32_e32 v11, 32, v11
	v_sub_u32_e64 v11, v11, 4 clamp
	v_lshlrev_b32_e32 v13, v11, v10
	v_lshlrev_b32_e32 v11, 23, v11
	v_lshrrev_b32_e32 v13, 4, v13
	v_add_u32_e32 v12, 0x1000000, v10
	v_sub_u32_e32 v11, v13, v11
	v_ashrrev_i32_e32 v12, 8, v12
	v_add_u32_e32 v11, 0x3c000000, v11
	v_and_or_b32 v11, v12, s4, v11
	v_cmp_ne_u32_e64 s[4:5], 0, v10
	v_cndmask_b32_e64 v12, 0, v11, s[4:5]
	v_and_or_b32 v3, v3, s33, v12
	v_and_b32_e32 v11, 0x7fffffff, v3
	v_cmp_gt_u32_e64 s[4:5], s56, v11
	v_mov_b32_e32 v10, 0x80
	s_and_saveexec_b64 s[56:57], s[4:5]
	s_cbranch_execz .LBB297_2520
; %bb.2515:
	s_mov_b32 s4, 0x3bffffff
	v_cmp_lt_u32_e64 s[4:5], s4, v11
	s_mov_b64 s[58:59], 0
                                        ; implicit-def: $vgpr11
	s_and_saveexec_b64 s[60:61], s[4:5]
	s_xor_b64 s[4:5], exec, s[60:61]
	s_cbranch_execz .LBB297_2996
; %bb.2516:
	v_bfe_u32 v10, v12, 20, 1
	s_mov_b32 s33, 0x487ffff
	v_add3_u32 v10, v3, v10, s33
	s_mov_b64 s[58:59], exec
	v_lshrrev_b32_e32 v11, 20, v10
	s_andn2_saveexec_b64 s[60:61], s[4:5]
	s_cbranch_execnz .LBB297_2997
.LBB297_2517:
	s_or_b64 exec, exec, s[60:61]
	v_mov_b32_e32 v10, 0
	s_and_saveexec_b64 s[4:5], s[58:59]
.LBB297_2518:
	v_lshrrev_b32_e32 v3, 24, v3
	s_movk_i32 s33, 0x80
	v_and_or_b32 v10, v3, s33, v11
.LBB297_2519:
	s_or_b64 exec, exec, s[4:5]
.LBB297_2520:
	s_or_b64 exec, exec, s[56:57]
.LBB297_2521:
	s_or_b64 exec, exec, s[54:55]
.LBB297_2522:
	s_andn2_saveexec_b64 s[52:53], s[52:53]
	s_cbranch_execz .LBB297_2530
; %bb.2523:
	flat_load_ubyte v3, v[8:9]
	s_movk_i32 s4, 0x7f00
	s_brev_b32 s5, 16
	s_brev_b32 s33, 1
	s_mov_b32 s54, 0x43800000
	s_waitcnt vmcnt(0) lgkmcnt(0)
	v_lshlrev_b16_e32 v10, 8, v3
	v_lshlrev_b32_e32 v3, 25, v3
	v_lshrrev_b32_e32 v11, 4, v3
	v_and_or_b32 v12, v10, s4, 0.5
	v_or_b32_e32 v11, 0x70000000, v11
	v_add_f32_e32 v12, -0.5, v12
	v_mul_f32_e32 v11, 0x7800000, v11
	v_cmp_gt_u32_e64 s[4:5], s5, v3
	v_bfe_i32 v10, v10, 0, 16
	v_cndmask_b32_e64 v12, v11, v12, s[4:5]
	v_and_or_b32 v3, v10, s33, v12
	v_and_b32_e32 v11, 0x7fffffff, v3
	v_cmp_gt_u32_e64 s[4:5], s54, v11
	v_mov_b32_e32 v10, 0x80
	s_and_saveexec_b64 s[54:55], s[4:5]
	s_cbranch_execz .LBB297_2529
; %bb.2524:
	s_mov_b32 s4, 0x3bffffff
	v_cmp_lt_u32_e64 s[4:5], s4, v11
	s_mov_b64 s[56:57], 0
                                        ; implicit-def: $vgpr11
	s_and_saveexec_b64 s[58:59], s[4:5]
	s_xor_b64 s[4:5], exec, s[58:59]
	s_cbranch_execz .LBB297_2917
; %bb.2525:
	v_bfe_u32 v10, v12, 20, 1
	s_mov_b32 s33, 0x487ffff
	v_add3_u32 v10, v3, v10, s33
	s_mov_b64 s[56:57], exec
	v_lshrrev_b32_e32 v11, 20, v10
	s_andn2_saveexec_b64 s[58:59], s[4:5]
	s_cbranch_execnz .LBB297_2918
.LBB297_2526:
	s_or_b64 exec, exec, s[58:59]
	v_mov_b32_e32 v10, 0
	s_and_saveexec_b64 s[4:5], s[56:57]
.LBB297_2527:
	v_lshrrev_b32_e32 v3, 24, v3
	s_movk_i32 s33, 0x80
	v_and_or_b32 v10, v3, s33, v11
.LBB297_2528:
	s_or_b64 exec, exec, s[4:5]
.LBB297_2529:
	s_or_b64 exec, exec, s[54:55]
.LBB297_2530:
	s_or_b64 exec, exec, s[52:53]
	s_or_b64 s[52:53], s[46:47], exec
                                        ; implicit-def: $vgpr3
.LBB297_2531:
	s_or_saveexec_b64 s[42:43], s[42:43]
	s_mov_b64 s[4:5], 0
	s_mov_b64 s[54:55], s[48:49]
	s_xor_b64 exec, exec, s[42:43]
	s_cbranch_execz .LBB297_2545
; %bb.2532:
	v_cmp_lt_i16_e64 s[4:5], 14, v3
	s_mov_b64 s[56:57], s[48:49]
	s_mov_b64 s[58:59], s[52:53]
                                        ; implicit-def: $vgpr10
	s_and_saveexec_b64 s[54:55], s[4:5]
	s_xor_b64 s[54:55], exec, s[54:55]
	s_cbranch_execz .LBB297_2542
; %bb.2533:
	v_cmp_eq_u16_e64 s[4:5], 15, v3
	s_mov_b64 s[60:61], -1
	s_mov_b64 s[58:59], s[52:53]
                                        ; implicit-def: $vgpr10
	s_and_saveexec_b64 s[56:57], s[4:5]
	s_cbranch_execz .LBB297_2541
; %bb.2534:
	flat_load_ushort v3, v[8:9]
	s_mov_b32 s4, 0x43800000
	s_waitcnt vmcnt(0) lgkmcnt(0)
	v_mov_b32_e32 v10, 0x80
	v_lshlrev_b32_e32 v12, 16, v3
	v_and_b32_e32 v11, 0x7fffffff, v12
	v_cmp_gt_u32_e64 s[4:5], s4, v11
	s_and_saveexec_b64 s[58:59], s[4:5]
	s_cbranch_execz .LBB297_2540
; %bb.2535:
	s_mov_b32 s4, 0x3bffffff
	v_cmp_lt_u32_e64 s[4:5], s4, v11
	s_mov_b64 s[60:61], 0
                                        ; implicit-def: $vgpr11
	s_and_saveexec_b64 s[62:63], s[4:5]
	s_xor_b64 s[4:5], exec, s[62:63]
	s_cbranch_execz .LBB297_2998
; %bb.2536:
	v_bfe_u32 v10, v3, 4, 1
	s_mov_b32 s33, 0x487ffff
	v_add3_u32 v10, v12, v10, s33
	s_mov_b64 s[60:61], exec
	v_lshrrev_b32_e32 v11, 20, v10
                                        ; implicit-def: $vgpr12
	s_andn2_saveexec_b64 s[62:63], s[4:5]
	s_cbranch_execnz .LBB297_2999
.LBB297_2537:
	s_or_b64 exec, exec, s[62:63]
	v_mov_b32_e32 v10, 0
	s_and_saveexec_b64 s[4:5], s[60:61]
.LBB297_2538:
	v_lshrrev_b32_e32 v3, 8, v3
	s_movk_i32 s33, 0x80
	v_and_or_b32 v10, v3, s33, v11
.LBB297_2539:
	s_or_b64 exec, exec, s[4:5]
.LBB297_2540:
	s_or_b64 exec, exec, s[58:59]
	s_or_b64 s[58:59], s[52:53], exec
	s_xor_b64 s[60:61], exec, -1
.LBB297_2541:
	s_or_b64 exec, exec, s[56:57]
	s_andn2_b64 s[4:5], s[52:53], exec
	s_and_b64 s[56:57], s[58:59], exec
	s_or_b64 s[58:59], s[4:5], s[56:57]
	s_andn2_b64 s[4:5], s[48:49], exec
	s_and_b64 s[56:57], s[60:61], exec
	s_or_b64 s[56:57], s[4:5], s[56:57]
                                        ; implicit-def: $vgpr3
.LBB297_2542:
	s_or_saveexec_b64 s[54:55], s[54:55]
	s_mov_b64 s[60:61], 0
	s_xor_b64 exec, exec, s[54:55]
; %bb.2543:
	v_cmp_ne_u16_e64 s[4:5], 11, v3
	s_andn2_b64 s[56:57], s[56:57], exec
	s_and_b64 s[4:5], s[4:5], exec
	s_mov_b64 s[60:61], exec
	s_or_b64 s[56:57], s[56:57], s[4:5]
; %bb.2544:
	s_or_b64 exec, exec, s[54:55]
	s_andn2_b64 s[4:5], s[52:53], exec
	s_and_b64 s[52:53], s[58:59], exec
	s_andn2_b64 s[54:55], s[48:49], exec
	s_and_b64 s[56:57], s[56:57], exec
	s_or_b64 s[52:53], s[4:5], s[52:53]
	s_and_b64 s[4:5], s[60:61], exec
	s_or_b64 s[54:55], s[54:55], s[56:57]
.LBB297_2545:
	s_or_b64 exec, exec, s[42:43]
	s_andn2_b64 s[42:43], s[46:47], exec
	s_and_b64 s[46:47], s[52:53], exec
	s_or_b64 s[46:47], s[42:43], s[46:47]
	s_and_b64 s[42:43], s[4:5], exec
	s_andn2_b64 s[4:5], s[48:49], exec
	s_and_b64 s[48:49], s[54:55], exec
	s_or_b64 s[48:49], s[4:5], s[48:49]
	s_or_b64 exec, exec, s[50:51]
	s_mov_b64 s[50:51], s[36:37]
	s_and_saveexec_b64 s[4:5], s[48:49]
	s_cbranch_execz .LBB297_1403
.LBB297_2546:
	s_trap 2
	s_or_b64 s[50:51], s[36:37], exec
	s_andn2_b64 s[42:43], s[42:43], exec
	s_or_b64 exec, exec, s[4:5]
	s_and_saveexec_b64 s[4:5], s[42:43]
	s_xor_b64 s[42:43], exec, s[4:5]
	s_cbranch_execnz .LBB297_1404
	s_branch .LBB297_1411
.LBB297_2547:
	s_andn2_saveexec_b64 s[30:31], s[30:31]
	s_cbranch_execz .LBB297_2135
.LBB297_2548:
	s_mov_b32 s33, 0x46000000
	v_add_f32_e64 v14, |v20|, s33
	v_and_b32_e32 v21, 0xff, v14
	v_cmp_ne_u32_e32 vcc, 0, v21
	s_andn2_b64 s[28:29], s[28:29], exec
	s_and_b64 s[34:35], vcc, exec
	s_or_b64 s[28:29], s[28:29], s[34:35]
	s_or_b64 exec, exec, s[30:31]
	v_mov_b32_e32 v14, 0
	s_and_saveexec_b64 s[30:31], s[28:29]
	s_cbranch_execnz .LBB297_2136
	s_branch .LBB297_2137
.LBB297_2549:
	s_andn2_saveexec_b64 s[30:31], s[30:31]
	s_cbranch_execz .LBB297_2143
.LBB297_2550:
	s_mov_b32 s33, 0x46000000
	v_add_f32_e64 v14, |v20|, s33
	v_and_b32_e32 v21, 0xff, v14
	v_cmp_ne_u32_e32 vcc, 0, v21
	s_andn2_b64 s[28:29], s[28:29], exec
	s_and_b64 s[34:35], vcc, exec
	s_or_b64 s[28:29], s[28:29], s[34:35]
	s_or_b64 exec, exec, s[30:31]
	v_mov_b32_e32 v14, 0
	s_and_saveexec_b64 s[30:31], s[28:29]
	s_cbranch_execnz .LBB297_2144
	s_branch .LBB297_2145
.LBB297_2551:
	s_andn2_saveexec_b64 s[34:35], s[34:35]
	s_cbranch_execz .LBB297_2163
.LBB297_2552:
	s_mov_b32 s33, 0x46000000
	v_add_f32_e64 v14, |v22|, s33
	v_and_b32_e32 v21, 0xff, v14
	v_cmp_ne_u32_e32 vcc, 0, v21
	s_andn2_b64 s[30:31], s[30:31], exec
	s_and_b64 s[36:37], vcc, exec
	s_or_b64 s[30:31], s[30:31], s[36:37]
	s_or_b64 exec, exec, s[34:35]
	v_mov_b32_e32 v14, 0
	s_and_saveexec_b64 s[34:35], s[30:31]
	s_cbranch_execnz .LBB297_2164
	s_branch .LBB297_2165
.LBB297_2553:
	s_or_saveexec_b64 s[38:39], s[38:39]
	v_mov_b32_e32 v12, 0x7f800001
	s_xor_b64 exec, exec, s[38:39]
	s_cbranch_execz .LBB297_2191
.LBB297_2554:
	v_cmp_ne_u16_e64 s[4:5], 0, v10
	s_andn2_b64 s[36:37], s[36:37], exec
	s_and_b64 s[4:5], s[4:5], exec
	v_mov_b32_e32 v12, 0
	s_or_b64 s[36:37], s[36:37], s[4:5]
	s_or_b64 exec, exec, s[38:39]
	s_and_saveexec_b64 s[38:39], s[36:37]
	s_cbranch_execnz .LBB297_2192
	s_branch .LBB297_2193
.LBB297_2555:
	s_andn2_saveexec_b64 s[38:39], s[4:5]
	s_cbranch_execz .LBB297_2213
.LBB297_2556:
	s_mov_b32 s4, 0x46000000
	v_add_f32_e64 v10, |v12|, s4
	v_and_b32_e32 v14, 0xff, v10
	v_cmp_ne_u32_e64 s[4:5], 0, v14
	s_andn2_b64 s[36:37], s[36:37], exec
	s_and_b64 s[4:5], s[4:5], exec
	s_or_b64 s[36:37], s[36:37], s[4:5]
	s_or_b64 exec, exec, s[38:39]
	v_mov_b32_e32 v10, 0
	s_and_saveexec_b64 s[4:5], s[36:37]
	s_cbranch_execnz .LBB297_2214
	s_branch .LBB297_2215
.LBB297_2557:
	s_andn2_saveexec_b64 s[30:31], s[30:31]
	s_cbranch_execz .LBB297_378
.LBB297_2558:
	s_mov_b32 s33, 0x46000000
	v_add_f32_e64 v14, |v20|, s33
	v_and_b32_e32 v21, 0xff, v14
	v_cmp_ne_u32_e32 vcc, 0, v21
	s_andn2_b64 s[28:29], s[28:29], exec
	s_and_b64 s[34:35], vcc, exec
	s_or_b64 s[28:29], s[28:29], s[34:35]
	s_or_b64 exec, exec, s[30:31]
	v_mov_b32_e32 v14, 0
	s_and_saveexec_b64 s[30:31], s[28:29]
	s_cbranch_execnz .LBB297_379
	s_branch .LBB297_380
.LBB297_2559:
	s_andn2_saveexec_b64 s[36:37], s[36:37]
	s_cbranch_execz .LBB297_388
.LBB297_2560:
	v_add_f32_e32 v14, 0x46000000, v21
	v_and_b32_e32 v20, 0xff, v14
	v_cmp_ne_u32_e32 vcc, 0, v20
	s_andn2_b64 s[34:35], s[34:35], exec
	s_and_b64 s[38:39], vcc, exec
	s_or_b64 s[34:35], s[34:35], s[38:39]
	s_or_b64 exec, exec, s[36:37]
	v_mov_b32_e32 v14, 0
	s_and_saveexec_b64 s[36:37], s[34:35]
	s_cbranch_execnz .LBB297_389
	s_branch .LBB297_390
.LBB297_2561:
	s_andn2_saveexec_b64 s[42:43], s[4:5]
	s_cbranch_execz .LBB297_605
.LBB297_2562:
	v_add_f32_e32 v10, 0x46000000, v14
	v_and_b32_e32 v12, 0xff, v10
	v_cmp_ne_u32_e64 s[4:5], 0, v12
	s_andn2_b64 s[40:41], s[40:41], exec
	s_and_b64 s[4:5], s[4:5], exec
	s_or_b64 s[40:41], s[40:41], s[4:5]
	s_or_b64 exec, exec, s[42:43]
	v_mov_b32_e32 v10, 0
	s_and_saveexec_b64 s[4:5], s[40:41]
	s_cbranch_execnz .LBB297_606
	s_branch .LBB297_607
.LBB297_2563:
	s_andn2_saveexec_b64 s[42:43], s[4:5]
	s_cbranch_execz .LBB297_617
.LBB297_2564:
	v_add_f32_e32 v10, 0x46000000, v14
	v_and_b32_e32 v12, 0xff, v10
	v_cmp_ne_u32_e64 s[4:5], 0, v12
	s_andn2_b64 s[40:41], s[40:41], exec
	s_and_b64 s[4:5], s[4:5], exec
	s_or_b64 s[40:41], s[40:41], s[4:5]
	s_or_b64 exec, exec, s[42:43]
	v_mov_b32_e32 v10, 0
	s_and_saveexec_b64 s[4:5], s[40:41]
	s_cbranch_execnz .LBB297_618
	s_branch .LBB297_619
.LBB297_2565:
	s_andn2_saveexec_b64 s[42:43], s[4:5]
	s_cbranch_execz .LBB297_625
.LBB297_2566:
	v_add_f32_e32 v10, 0x46000000, v14
	v_and_b32_e32 v12, 0xff, v10
	v_cmp_ne_u32_e64 s[4:5], 0, v12
	s_andn2_b64 s[40:41], s[40:41], exec
	s_and_b64 s[4:5], s[4:5], exec
	s_or_b64 s[40:41], s[40:41], s[4:5]
	s_or_b64 exec, exec, s[42:43]
	v_mov_b32_e32 v10, 0
	s_and_saveexec_b64 s[4:5], s[40:41]
	s_cbranch_execnz .LBB297_626
	s_branch .LBB297_627
.LBB297_2567:
	s_andn2_saveexec_b64 s[40:41], s[4:5]
	s_cbranch_execz .LBB297_652
.LBB297_2568:
	s_mov_b32 s4, 0x46000000
	v_add_f32_e64 v10, |v12|, s4
	v_and_b32_e32 v14, 0xff, v10
	v_cmp_ne_u32_e64 s[4:5], 0, v14
	s_andn2_b64 s[38:39], s[38:39], exec
	s_and_b64 s[4:5], s[4:5], exec
	s_or_b64 s[38:39], s[38:39], s[4:5]
	s_or_b64 exec, exec, s[40:41]
	v_mov_b32_e32 v10, 0
	s_and_saveexec_b64 s[4:5], s[38:39]
	s_cbranch_execnz .LBB297_653
	s_branch .LBB297_654
.LBB297_2569:
	s_andn2_saveexec_b64 s[40:41], s[4:5]
	s_cbranch_execz .LBB297_660
.LBB297_2570:
	s_mov_b32 s4, 0x46000000
	v_add_f32_e64 v10, |v12|, s4
	v_and_b32_e32 v14, 0xff, v10
	v_cmp_ne_u32_e64 s[4:5], 0, v14
	s_andn2_b64 s[38:39], s[38:39], exec
	s_and_b64 s[4:5], s[4:5], exec
	s_or_b64 s[38:39], s[38:39], s[4:5]
	s_or_b64 exec, exec, s[40:41]
	v_mov_b32_e32 v10, 0
	s_and_saveexec_b64 s[4:5], s[38:39]
	s_cbranch_execnz .LBB297_661
	s_branch .LBB297_662
.LBB297_2571:
	s_andn2_saveexec_b64 s[40:41], s[4:5]
	s_cbranch_execz .LBB297_680
.LBB297_2572:
	s_mov_b32 s4, 0x46000000
	v_add_f32_e64 v10, |v12|, s4
	v_and_b32_e32 v14, 0xff, v10
	v_cmp_ne_u32_e64 s[4:5], 0, v14
	s_andn2_b64 s[38:39], s[38:39], exec
	s_and_b64 s[4:5], s[4:5], exec
	s_or_b64 s[38:39], s[38:39], s[4:5]
	s_or_b64 exec, exec, s[40:41]
	v_mov_b32_e32 v10, 0
	s_and_saveexec_b64 s[4:5], s[38:39]
	s_cbranch_execnz .LBB297_681
	s_branch .LBB297_682
.LBB297_2573:
	s_andn2_saveexec_b64 s[40:41], s[4:5]
	s_cbranch_execz .LBB297_688
.LBB297_2574:
	s_mov_b32 s4, 0x46000000
	v_add_f32_e64 v10, |v12|, s4
	v_and_b32_e32 v14, 0xff, v10
	v_cmp_ne_u32_e64 s[4:5], 0, v14
	s_andn2_b64 s[38:39], s[38:39], exec
	s_and_b64 s[4:5], s[4:5], exec
	s_or_b64 s[38:39], s[38:39], s[4:5]
	s_or_b64 exec, exec, s[40:41]
	v_mov_b32_e32 v10, 0
	s_and_saveexec_b64 s[4:5], s[38:39]
	s_cbranch_execnz .LBB297_689
	s_branch .LBB297_690
.LBB297_2575:
	s_andn2_saveexec_b64 s[40:41], s[4:5]
	s_cbranch_execz .LBB297_710
.LBB297_2576:
	s_mov_b32 s4, 0x46000000
	v_add_f32_e64 v10, |v12|, s4
	v_and_b32_e32 v14, 0xff, v10
	v_cmp_ne_u32_e64 s[4:5], 0, v14
	s_andn2_b64 s[38:39], s[38:39], exec
	s_and_b64 s[4:5], s[4:5], exec
	s_or_b64 s[38:39], s[38:39], s[4:5]
	s_or_b64 exec, exec, s[40:41]
	v_mov_b32_e32 v10, 0
	s_and_saveexec_b64 s[4:5], s[38:39]
	s_cbranch_execnz .LBB297_711
	s_branch .LBB297_712
.LBB297_2577:
	s_andn2_saveexec_b64 s[40:41], s[4:5]
	s_cbranch_execz .LBB297_718
.LBB297_2578:
	s_mov_b32 s4, 0x46000000
	v_add_f32_e64 v10, |v12|, s4
	v_and_b32_e32 v14, 0xff, v10
	v_cmp_ne_u32_e64 s[4:5], 0, v14
	s_andn2_b64 s[38:39], s[38:39], exec
	s_and_b64 s[4:5], s[4:5], exec
	s_or_b64 s[38:39], s[38:39], s[4:5]
	s_or_b64 exec, exec, s[40:41]
	v_mov_b32_e32 v10, 0
	s_and_saveexec_b64 s[4:5], s[38:39]
	s_cbranch_execnz .LBB297_719
	s_branch .LBB297_720
.LBB297_2579:
	s_andn2_saveexec_b64 s[42:43], s[4:5]
	s_cbranch_execz .LBB297_847
.LBB297_2580:
	s_mov_b32 s4, 0x46000000
	v_add_f32_e64 v12, |v14|, s4
	v_and_b32_e32 v15, 0xff, v12
	v_cmp_ne_u32_e64 s[4:5], 0, v15
	s_andn2_b64 s[40:41], s[40:41], exec
	s_and_b64 s[4:5], s[4:5], exec
	s_or_b64 s[40:41], s[40:41], s[4:5]
	s_or_b64 exec, exec, s[42:43]
	v_mov_b32_e32 v12, 0
	s_and_saveexec_b64 s[4:5], s[40:41]
	s_cbranch_execnz .LBB297_848
	s_branch .LBB297_849
.LBB297_2581:
	s_andn2_saveexec_b64 s[42:43], s[4:5]
	s_cbranch_execz .LBB297_875
.LBB297_2582:
	s_mov_b32 s4, 0x46000000
	v_add_f32_e64 v12, |v14|, s4
	v_and_b32_e32 v15, 0xff, v12
	v_cmp_ne_u32_e64 s[4:5], 0, v15
	s_andn2_b64 s[40:41], s[40:41], exec
	s_and_b64 s[4:5], s[4:5], exec
	s_or_b64 s[40:41], s[40:41], s[4:5]
	s_or_b64 exec, exec, s[42:43]
	v_mov_b32_e32 v12, 0
	s_and_saveexec_b64 s[4:5], s[40:41]
	s_cbranch_execnz .LBB297_876
	s_branch .LBB297_877
.LBB297_2583:
	s_andn2_saveexec_b64 s[42:43], s[4:5]
	s_cbranch_execz .LBB297_905
.LBB297_2584:
	s_mov_b32 s4, 0x46000000
	v_add_f32_e64 v12, |v14|, s4
	v_and_b32_e32 v15, 0xff, v12
	v_cmp_ne_u32_e64 s[4:5], 0, v15
	s_andn2_b64 s[40:41], s[40:41], exec
	s_and_b64 s[4:5], s[4:5], exec
	s_or_b64 s[40:41], s[40:41], s[4:5]
	s_or_b64 exec, exec, s[42:43]
	v_mov_b32_e32 v12, 0
	s_and_saveexec_b64 s[4:5], s[40:41]
	s_cbranch_execnz .LBB297_906
	s_branch .LBB297_907
.LBB297_2585:
	s_andn2_saveexec_b64 s[42:43], s[4:5]
	s_cbranch_execz .LBB297_915
.LBB297_2586:
	s_mov_b32 s4, 0x46000000
	v_add_f32_e64 v12, |v14|, s4
	v_and_b32_e32 v15, 0xff, v12
	v_cmp_ne_u32_e64 s[4:5], 0, v15
	s_andn2_b64 s[40:41], s[40:41], exec
	s_and_b64 s[4:5], s[4:5], exec
	s_or_b64 s[40:41], s[40:41], s[4:5]
	s_or_b64 exec, exec, s[42:43]
	v_mov_b32_e32 v12, 0
	s_and_saveexec_b64 s[4:5], s[40:41]
	s_cbranch_execnz .LBB297_916
	s_branch .LBB297_917
.LBB297_2587:
	s_andn2_saveexec_b64 s[42:43], s[4:5]
	s_cbranch_execz .LBB297_923
.LBB297_2588:
	v_add_f32_e32 v12, 0x46000000, v15
	v_and_b32_e32 v14, 0xff, v12
	v_cmp_ne_u32_e64 s[4:5], 0, v14
	s_andn2_b64 s[40:41], s[40:41], exec
	s_and_b64 s[4:5], s[4:5], exec
	s_or_b64 s[40:41], s[40:41], s[4:5]
	s_or_b64 exec, exec, s[42:43]
	v_mov_b32_e32 v12, 0
	s_and_saveexec_b64 s[4:5], s[40:41]
	s_cbranch_execnz .LBB297_924
	s_branch .LBB297_925
.LBB297_2589:
	s_andn2_saveexec_b64 s[48:49], s[4:5]
	s_cbranch_execz .LBB297_1201
.LBB297_2590:
	v_add_f32_e32 v10, 0x46000000, v11
	v_and_b32_e32 v10, 0xff, v10
	v_cmp_ne_u32_e64 s[4:5], 0, v10
	s_andn2_b64 s[46:47], s[46:47], exec
	s_and_b64 s[4:5], s[4:5], exec
	s_or_b64 s[46:47], s[46:47], s[4:5]
	s_or_b64 exec, exec, s[48:49]
	v_mov_b32_e32 v12, 0
	s_and_saveexec_b64 s[4:5], s[46:47]
	s_cbranch_execnz .LBB297_1202
	s_branch .LBB297_1203
.LBB297_2591:
	s_andn2_saveexec_b64 s[54:55], s[54:55]
	s_cbranch_execz .LBB297_1580
.LBB297_2592:
	v_cmp_lt_i16_e64 s[4:5], 22, v1
	s_mov_b64 s[56:57], s[50:51]
                                        ; implicit-def: $vgpr3
	s_and_saveexec_b64 s[46:47], s[4:5]
	s_xor_b64 s[46:47], exec, s[46:47]
	s_cbranch_execz .LBB297_2626
; %bb.2593:
	v_cmp_lt_i16_e64 s[4:5], 23, v1
                                        ; implicit-def: $vgpr3
	s_and_saveexec_b64 s[56:57], s[4:5]
	s_xor_b64 s[56:57], exec, s[56:57]
	s_cbranch_execz .LBB297_2617
; %bb.2594:
	v_cmp_lt_i16_e64 s[4:5], 24, v1
                                        ; implicit-def: $vgpr3
	s_and_saveexec_b64 s[58:59], s[4:5]
	s_xor_b64 s[58:59], exec, s[58:59]
	s_cbranch_execz .LBB297_2608
; %bb.2595:
	s_waitcnt vmcnt(0) lgkmcnt(0)
	flat_load_ubyte v3, v[7:8]
	s_movk_i32 s4, 0x7f
	s_mov_b64 s[60:61], 0
	s_waitcnt vmcnt(0) lgkmcnt(0)
	v_cmp_lt_i16_e64 s[4:5], s4, v3
	s_and_saveexec_b64 s[62:63], s[4:5]
	s_xor_b64 s[62:63], exec, s[62:63]
	s_cbranch_execz .LBB297_3000
; %bb.2596:
	s_movk_i32 s4, 0x80
	v_cmp_eq_u16_e64 s[4:5], s4, v3
	s_mov_b64 s[60:61], -1
	s_and_saveexec_b64 s[64:65], s[4:5]
; %bb.2597:
	s_xor_b64 s[60:61], exec, -1
; %bb.2598:
	s_or_b64 exec, exec, s[64:65]
	s_and_b64 s[60:61], s[60:61], exec
	s_or_saveexec_b64 s[62:63], s[62:63]
	v_mov_b32_e32 v1, 0x7f800001
	s_xor_b64 exec, exec, s[62:63]
	s_cbranch_execnz .LBB297_3001
.LBB297_2599:
	s_or_b64 exec, exec, s[62:63]
	s_and_saveexec_b64 s[62:63], s[60:61]
	s_cbranch_execz .LBB297_2601
.LBB297_2600:
	v_lshlrev_b32_e32 v1, 24, v3
	v_and_b32_e32 v3, 0xffff, v3
	v_and_b32_e32 v5, 3, v3
	v_ffbh_u32_e32 v11, v5
	v_min_u32_e32 v11, 32, v11
	v_subrev_u32_e32 v12, 29, v11
	v_bfe_u32 v9, v3, 2, 5
	v_lshlrev_b32_e32 v3, v12, v3
	v_sub_u32_e32 v11, 30, v11
	v_and_b32_e32 v3, 3, v3
	v_cmp_eq_u32_e64 s[4:5], 0, v9
	v_cndmask_b32_e64 v9, v9, v11, s[4:5]
	v_cndmask_b32_e64 v3, v5, v3, s[4:5]
	v_mov_b32_e32 v5, 0x37800000
	v_lshlrev_b32_e32 v3, 21, v3
	v_and_b32_e32 v1, 0x80000000, v1
	v_lshl_add_u32 v5, v9, 23, v5
	v_or3_b32 v1, v1, v5, v3
.LBB297_2601:
	s_or_b64 exec, exec, s[62:63]
	v_and_b32_e32 v5, 0x7fffffff, v1
	s_mov_b32 s4, 0x43800000
	v_cmp_gt_u32_e64 s[4:5], s4, v5
	v_mov_b32_e32 v3, 0x80
	s_and_saveexec_b64 s[60:61], s[4:5]
	s_cbranch_execz .LBB297_2607
; %bb.2602:
	s_mov_b32 s4, 0x3bffffff
	v_cmp_lt_u32_e64 s[4:5], s4, v5
	s_mov_b64 s[62:63], 0
                                        ; implicit-def: $vgpr5
	s_and_saveexec_b64 s[64:65], s[4:5]
	s_xor_b64 s[4:5], exec, s[64:65]
	s_cbranch_execz .LBB297_3028
; %bb.2603:
	v_bfe_u32 v3, v1, 20, 1
	s_mov_b32 s33, 0x487ffff
	v_add3_u32 v3, v1, v3, s33
	s_mov_b64 s[62:63], exec
	v_lshrrev_b32_e32 v5, 20, v3
	s_andn2_saveexec_b64 s[64:65], s[4:5]
	s_cbranch_execnz .LBB297_3029
.LBB297_2604:
	s_or_b64 exec, exec, s[64:65]
	v_mov_b32_e32 v3, 0
	s_and_saveexec_b64 s[4:5], s[62:63]
.LBB297_2605:
	v_lshrrev_b32_e32 v1, 24, v1
	s_movk_i32 s33, 0x80
	v_and_or_b32 v3, v1, s33, v5
.LBB297_2606:
	s_or_b64 exec, exec, s[4:5]
.LBB297_2607:
	s_or_b64 exec, exec, s[60:61]
.LBB297_2608:
	s_andn2_saveexec_b64 s[58:59], s[58:59]
	s_cbranch_execz .LBB297_2616
; %bb.2609:
	flat_load_ubyte v1, v[7:8]
	s_mov_b32 s4, 0x7f800000
	s_brev_b32 s33, 1
	s_mov_b32 s60, 0x43800000
	s_waitcnt vmcnt(0) lgkmcnt(0)
	v_lshlrev_b32_e32 v1, 24, v1
	v_and_b32_e32 v3, 0x7f000000, v1
	v_ffbh_u32_e32 v5, v3
	v_min_u32_e32 v5, 32, v5
	v_sub_u32_e64 v5, v5, 4 clamp
	v_lshlrev_b32_e32 v11, v5, v3
	v_lshlrev_b32_e32 v5, 23, v5
	v_lshrrev_b32_e32 v11, 4, v11
	v_add_u32_e32 v9, 0x1000000, v3
	v_sub_u32_e32 v5, v11, v5
	v_ashrrev_i32_e32 v9, 8, v9
	v_add_u32_e32 v5, 0x3c000000, v5
	v_and_or_b32 v5, v9, s4, v5
	v_cmp_ne_u32_e64 s[4:5], 0, v3
	v_cndmask_b32_e64 v9, 0, v5, s[4:5]
	v_and_or_b32 v1, v1, s33, v9
	v_and_b32_e32 v5, 0x7fffffff, v1
	v_cmp_gt_u32_e64 s[4:5], s60, v5
	v_mov_b32_e32 v3, 0x80
	s_and_saveexec_b64 s[60:61], s[4:5]
	s_cbranch_execz .LBB297_2615
; %bb.2610:
	s_mov_b32 s4, 0x3bffffff
	v_cmp_lt_u32_e64 s[4:5], s4, v5
	s_mov_b64 s[62:63], 0
                                        ; implicit-def: $vgpr5
	s_and_saveexec_b64 s[64:65], s[4:5]
	s_xor_b64 s[4:5], exec, s[64:65]
	s_cbranch_execz .LBB297_3030
; %bb.2611:
	v_bfe_u32 v3, v9, 20, 1
	s_mov_b32 s33, 0x487ffff
	v_add3_u32 v3, v1, v3, s33
	s_mov_b64 s[62:63], exec
	v_lshrrev_b32_e32 v5, 20, v3
	s_andn2_saveexec_b64 s[64:65], s[4:5]
	s_cbranch_execnz .LBB297_3031
.LBB297_2612:
	s_or_b64 exec, exec, s[64:65]
	v_mov_b32_e32 v3, 0
	s_and_saveexec_b64 s[4:5], s[62:63]
.LBB297_2613:
	v_lshrrev_b32_e32 v1, 24, v1
	s_movk_i32 s33, 0x80
	v_and_or_b32 v3, v1, s33, v5
.LBB297_2614:
	s_or_b64 exec, exec, s[4:5]
.LBB297_2615:
	s_or_b64 exec, exec, s[60:61]
.LBB297_2616:
	s_or_b64 exec, exec, s[58:59]
.LBB297_2617:
	s_andn2_saveexec_b64 s[56:57], s[56:57]
	s_cbranch_execz .LBB297_2625
; %bb.2618:
	flat_load_ubyte v1, v[7:8]
	s_movk_i32 s4, 0x7f00
	s_brev_b32 s5, 16
	s_brev_b32 s33, 1
	s_mov_b32 s58, 0x43800000
	s_waitcnt vmcnt(0) lgkmcnt(0)
	v_lshlrev_b16_e32 v3, 8, v1
	v_lshlrev_b32_e32 v1, 25, v1
	v_lshrrev_b32_e32 v5, 4, v1
	v_and_or_b32 v9, v3, s4, 0.5
	v_or_b32_e32 v5, 0x70000000, v5
	v_add_f32_e32 v9, -0.5, v9
	v_mul_f32_e32 v5, 0x7800000, v5
	v_cmp_gt_u32_e64 s[4:5], s5, v1
	v_bfe_i32 v3, v3, 0, 16
	v_cndmask_b32_e64 v9, v5, v9, s[4:5]
	v_and_or_b32 v1, v3, s33, v9
	v_and_b32_e32 v5, 0x7fffffff, v1
	v_cmp_gt_u32_e64 s[4:5], s58, v5
	v_mov_b32_e32 v3, 0x80
	s_and_saveexec_b64 s[58:59], s[4:5]
	s_cbranch_execz .LBB297_2624
; %bb.2619:
	s_mov_b32 s4, 0x3bffffff
	v_cmp_lt_u32_e64 s[4:5], s4, v5
	s_mov_b64 s[60:61], 0
                                        ; implicit-def: $vgpr5
	s_and_saveexec_b64 s[62:63], s[4:5]
	s_xor_b64 s[4:5], exec, s[62:63]
	s_cbranch_execz .LBB297_3002
; %bb.2620:
	v_bfe_u32 v3, v9, 20, 1
	s_mov_b32 s33, 0x487ffff
	v_add3_u32 v3, v1, v3, s33
	s_mov_b64 s[60:61], exec
	v_lshrrev_b32_e32 v5, 20, v3
	s_andn2_saveexec_b64 s[62:63], s[4:5]
	s_cbranch_execnz .LBB297_3003
.LBB297_2621:
	s_or_b64 exec, exec, s[62:63]
	v_mov_b32_e32 v3, 0
	s_and_saveexec_b64 s[4:5], s[60:61]
.LBB297_2622:
	v_lshrrev_b32_e32 v1, 24, v1
	s_movk_i32 s33, 0x80
	v_and_or_b32 v3, v1, s33, v5
.LBB297_2623:
	s_or_b64 exec, exec, s[4:5]
.LBB297_2624:
	s_or_b64 exec, exec, s[58:59]
.LBB297_2625:
	s_or_b64 exec, exec, s[56:57]
	s_or_b64 s[56:57], s[50:51], exec
                                        ; implicit-def: $vgpr1
.LBB297_2626:
	s_or_saveexec_b64 s[46:47], s[46:47]
	s_mov_b64 s[4:5], 0
	s_mov_b64 s[58:59], s[52:53]
	s_xor_b64 exec, exec, s[46:47]
	s_cbranch_execz .LBB297_2640
; %bb.2627:
	v_cmp_lt_i16_e64 s[4:5], 14, v1
	s_mov_b64 s[60:61], s[52:53]
	s_mov_b64 s[62:63], s[56:57]
                                        ; implicit-def: $vgpr3
	s_and_saveexec_b64 s[58:59], s[4:5]
	s_xor_b64 s[58:59], exec, s[58:59]
	s_cbranch_execz .LBB297_2637
; %bb.2628:
	v_cmp_eq_u16_e64 s[4:5], 15, v1
	s_mov_b64 s[64:65], -1
	s_mov_b64 s[62:63], s[56:57]
                                        ; implicit-def: $vgpr3
	s_and_saveexec_b64 s[60:61], s[4:5]
	s_cbranch_execz .LBB297_2636
; %bb.2629:
	flat_load_ushort v1, v[7:8]
	s_mov_b32 s4, 0x43800000
	s_waitcnt vmcnt(0) lgkmcnt(0)
	v_mov_b32_e32 v3, 0x80
	v_lshlrev_b32_e32 v9, 16, v1
	v_and_b32_e32 v5, 0x7fffffff, v9
	v_cmp_gt_u32_e64 s[4:5], s4, v5
	s_and_saveexec_b64 s[62:63], s[4:5]
	s_cbranch_execz .LBB297_2635
; %bb.2630:
	s_mov_b32 s4, 0x3bffffff
	v_cmp_lt_u32_e64 s[4:5], s4, v5
	s_mov_b64 s[64:65], 0
                                        ; implicit-def: $vgpr5
	s_and_saveexec_b64 s[66:67], s[4:5]
	s_xor_b64 s[4:5], exec, s[66:67]
	s_cbranch_execz .LBB297_3032
; %bb.2631:
	v_bfe_u32 v3, v1, 4, 1
	s_mov_b32 s33, 0x487ffff
	v_add3_u32 v3, v9, v3, s33
	s_mov_b64 s[64:65], exec
	v_lshrrev_b32_e32 v5, 20, v3
                                        ; implicit-def: $vgpr9
	s_andn2_saveexec_b64 s[66:67], s[4:5]
	s_cbranch_execnz .LBB297_3033
.LBB297_2632:
	s_or_b64 exec, exec, s[66:67]
	v_mov_b32_e32 v3, 0
	s_and_saveexec_b64 s[4:5], s[64:65]
.LBB297_2633:
	v_lshrrev_b32_e32 v1, 8, v1
	s_movk_i32 s33, 0x80
	v_and_or_b32 v3, v1, s33, v5
.LBB297_2634:
	s_or_b64 exec, exec, s[4:5]
.LBB297_2635:
	s_or_b64 exec, exec, s[62:63]
	s_or_b64 s[62:63], s[56:57], exec
	s_xor_b64 s[64:65], exec, -1
.LBB297_2636:
	s_or_b64 exec, exec, s[60:61]
	s_andn2_b64 s[4:5], s[56:57], exec
	s_and_b64 s[60:61], s[62:63], exec
	s_or_b64 s[62:63], s[4:5], s[60:61]
	s_andn2_b64 s[4:5], s[52:53], exec
	s_and_b64 s[60:61], s[64:65], exec
	s_or_b64 s[60:61], s[4:5], s[60:61]
                                        ; implicit-def: $vgpr1
.LBB297_2637:
	s_or_saveexec_b64 s[58:59], s[58:59]
	s_mov_b64 s[64:65], 0
	s_xor_b64 exec, exec, s[58:59]
; %bb.2638:
	v_cmp_ne_u16_e64 s[4:5], 11, v1
	s_andn2_b64 s[60:61], s[60:61], exec
	s_and_b64 s[4:5], s[4:5], exec
	s_mov_b64 s[64:65], exec
	s_or_b64 s[60:61], s[60:61], s[4:5]
; %bb.2639:
	s_or_b64 exec, exec, s[58:59]
	s_andn2_b64 s[4:5], s[56:57], exec
	s_and_b64 s[56:57], s[62:63], exec
	s_andn2_b64 s[58:59], s[52:53], exec
	s_and_b64 s[60:61], s[60:61], exec
	s_or_b64 s[56:57], s[4:5], s[56:57]
	s_and_b64 s[4:5], s[64:65], exec
	s_or_b64 s[58:59], s[58:59], s[60:61]
.LBB297_2640:
	s_or_b64 exec, exec, s[46:47]
	s_andn2_b64 s[46:47], s[50:51], exec
	s_and_b64 s[50:51], s[56:57], exec
	s_or_b64 s[50:51], s[46:47], s[50:51]
	s_and_b64 s[46:47], s[4:5], exec
	s_andn2_b64 s[4:5], s[52:53], exec
	s_and_b64 s[52:53], s[58:59], exec
	s_or_b64 s[52:53], s[4:5], s[52:53]
	s_or_b64 exec, exec, s[54:55]
	s_mov_b64 s[54:55], s[42:43]
	s_and_saveexec_b64 s[4:5], s[52:53]
	s_cbranch_execz .LBB297_1581
.LBB297_2641:
	s_trap 2
	s_or_b64 s[54:55], s[42:43], exec
	s_andn2_b64 s[46:47], s[46:47], exec
	s_or_b64 exec, exec, s[4:5]
	s_and_saveexec_b64 s[4:5], s[46:47]
	s_xor_b64 s[46:47], exec, s[4:5]
	s_cbranch_execnz .LBB297_1582
	s_branch .LBB297_1589
.LBB297_2642:
	s_andn2_saveexec_b64 s[40:41], s[4:5]
	s_cbranch_execz .LBB297_2196
.LBB297_2643:
	s_mov_b32 s4, 0x46000000
	v_add_f32_e64 v10, |v12|, s4
	v_and_b32_e32 v14, 0xff, v10
	v_cmp_ne_u32_e64 s[4:5], 0, v14
	s_andn2_b64 s[38:39], s[38:39], exec
	s_and_b64 s[4:5], s[4:5], exec
	s_or_b64 s[38:39], s[38:39], s[4:5]
	s_or_b64 exec, exec, s[40:41]
	v_mov_b32_e32 v10, 0
	s_and_saveexec_b64 s[4:5], s[38:39]
	s_cbranch_execnz .LBB297_2197
	s_branch .LBB297_2198
.LBB297_2644:
	s_andn2_saveexec_b64 s[40:41], s[4:5]
	s_cbranch_execz .LBB297_2204
.LBB297_2645:
	s_mov_b32 s4, 0x46000000
	v_add_f32_e64 v10, |v12|, s4
	v_and_b32_e32 v14, 0xff, v10
	v_cmp_ne_u32_e64 s[4:5], 0, v14
	s_andn2_b64 s[38:39], s[38:39], exec
	s_and_b64 s[4:5], s[4:5], exec
	s_or_b64 s[38:39], s[38:39], s[4:5]
	s_or_b64 exec, exec, s[40:41]
	v_mov_b32_e32 v10, 0
	s_and_saveexec_b64 s[4:5], s[38:39]
	s_cbranch_execnz .LBB297_2205
	s_branch .LBB297_2206
.LBB297_2646:
	s_andn2_saveexec_b64 s[42:43], s[4:5]
	s_cbranch_execz .LBB297_2224
.LBB297_2647:
	s_mov_b32 s4, 0x46000000
	v_add_f32_e64 v10, |v18|, s4
	v_and_b32_e32 v14, 0xff, v10
	v_cmp_ne_u32_e64 s[4:5], 0, v14
	s_andn2_b64 s[40:41], s[40:41], exec
	s_and_b64 s[4:5], s[4:5], exec
	s_or_b64 s[40:41], s[40:41], s[4:5]
	s_or_b64 exec, exec, s[42:43]
	v_mov_b32_e32 v10, 0
	s_and_saveexec_b64 s[4:5], s[40:41]
	s_cbranch_execnz .LBB297_2225
	s_branch .LBB297_2226
.LBB297_2648:
	s_or_saveexec_b64 s[42:43], s[42:43]
	v_mov_b32_e32 v16, 0x7f800001
	s_xor_b64 exec, exec, s[42:43]
	s_cbranch_execz .LBB297_2244
.LBB297_2649:
	v_cmp_ne_u16_e64 s[4:5], 0, v12
	s_andn2_b64 s[40:41], s[40:41], exec
	s_and_b64 s[4:5], s[4:5], exec
	v_mov_b32_e32 v16, 0
	s_or_b64 s[40:41], s[40:41], s[4:5]
	s_or_b64 exec, exec, s[42:43]
	s_and_saveexec_b64 s[42:43], s[40:41]
	s_cbranch_execnz .LBB297_2245
	s_branch .LBB297_2246
.LBB297_2650:
	s_andn2_saveexec_b64 s[42:43], s[4:5]
	s_cbranch_execz .LBB297_2266
.LBB297_2651:
	s_mov_b32 s4, 0x46000000
	v_add_f32_e64 v12, |v16|, s4
	v_and_b32_e32 v17, 0xff, v12
	v_cmp_ne_u32_e64 s[4:5], 0, v17
	s_andn2_b64 s[40:41], s[40:41], exec
	s_and_b64 s[4:5], s[4:5], exec
	s_or_b64 s[40:41], s[40:41], s[4:5]
	s_or_b64 exec, exec, s[42:43]
	v_mov_b32_e32 v12, 0
	s_and_saveexec_b64 s[4:5], s[40:41]
	s_cbranch_execnz .LBB297_2267
	s_branch .LBB297_2268
.LBB297_2652:
	s_andn2_saveexec_b64 s[40:41], s[4:5]
	s_cbranch_execz .LBB297_584
.LBB297_2653:
	s_mov_b32 s4, 0x46000000
	v_add_f32_e64 v10, |v12|, s4
	v_and_b32_e32 v14, 0xff, v10
	v_cmp_ne_u32_e64 s[4:5], 0, v14
	s_andn2_b64 s[38:39], s[38:39], exec
	s_and_b64 s[4:5], s[4:5], exec
	s_or_b64 s[38:39], s[38:39], s[4:5]
	s_or_b64 exec, exec, s[40:41]
	v_mov_b32_e32 v10, 0
	s_and_saveexec_b64 s[4:5], s[38:39]
	s_cbranch_execnz .LBB297_585
	s_branch .LBB297_586
.LBB297_2654:
	s_andn2_saveexec_b64 s[44:45], s[4:5]
	s_cbranch_execz .LBB297_594
.LBB297_2655:
	v_add_f32_e32 v10, 0x46000000, v14
	v_and_b32_e32 v12, 0xff, v10
	v_cmp_ne_u32_e64 s[4:5], 0, v12
	s_andn2_b64 s[42:43], s[42:43], exec
	s_and_b64 s[4:5], s[4:5], exec
	s_or_b64 s[42:43], s[42:43], s[4:5]
	s_or_b64 exec, exec, s[44:45]
	v_mov_b32_e32 v10, 0
	s_and_saveexec_b64 s[4:5], s[42:43]
	s_cbranch_execnz .LBB297_595
	s_branch .LBB297_596
.LBB297_2656:
	s_andn2_saveexec_b64 s[46:47], s[4:5]
	s_cbranch_execz .LBB297_783
.LBB297_2657:
	v_add_f32_e32 v12, 0x46000000, v17
	v_and_b32_e32 v16, 0xff, v12
	v_cmp_ne_u32_e64 s[4:5], 0, v16
	s_andn2_b64 s[44:45], s[44:45], exec
	s_and_b64 s[4:5], s[4:5], exec
	s_or_b64 s[44:45], s[44:45], s[4:5]
	s_or_b64 exec, exec, s[46:47]
	v_mov_b32_e32 v12, 0
	s_and_saveexec_b64 s[4:5], s[44:45]
	s_cbranch_execnz .LBB297_784
	s_branch .LBB297_785
.LBB297_2658:
	s_andn2_saveexec_b64 s[46:47], s[4:5]
	s_cbranch_execz .LBB297_795
.LBB297_2659:
	v_add_f32_e32 v12, 0x46000000, v17
	v_and_b32_e32 v16, 0xff, v12
	v_cmp_ne_u32_e64 s[4:5], 0, v16
	s_andn2_b64 s[44:45], s[44:45], exec
	s_and_b64 s[4:5], s[4:5], exec
	s_or_b64 s[44:45], s[44:45], s[4:5]
	s_or_b64 exec, exec, s[46:47]
	v_mov_b32_e32 v12, 0
	s_and_saveexec_b64 s[4:5], s[44:45]
	s_cbranch_execnz .LBB297_796
	s_branch .LBB297_797
.LBB297_2660:
	s_andn2_saveexec_b64 s[46:47], s[4:5]
	s_cbranch_execz .LBB297_803
.LBB297_2661:
	v_add_f32_e32 v12, 0x46000000, v17
	v_and_b32_e32 v16, 0xff, v12
	v_cmp_ne_u32_e64 s[4:5], 0, v16
	s_andn2_b64 s[44:45], s[44:45], exec
	s_and_b64 s[4:5], s[4:5], exec
	s_or_b64 s[44:45], s[44:45], s[4:5]
	s_or_b64 exec, exec, s[46:47]
	v_mov_b32_e32 v12, 0
	s_and_saveexec_b64 s[4:5], s[44:45]
	s_cbranch_execnz .LBB297_804
	s_branch .LBB297_805
.LBB297_2662:
	s_andn2_saveexec_b64 s[44:45], s[4:5]
	s_cbranch_execz .LBB297_830
.LBB297_2663:
	s_mov_b32 s4, 0x46000000
	v_add_f32_e64 v12, |v14|, s4
	v_and_b32_e32 v15, 0xff, v12
	v_cmp_ne_u32_e64 s[4:5], 0, v15
	s_andn2_b64 s[42:43], s[42:43], exec
	s_and_b64 s[4:5], s[4:5], exec
	s_or_b64 s[42:43], s[42:43], s[4:5]
	s_or_b64 exec, exec, s[44:45]
	v_mov_b32_e32 v12, 0
	s_and_saveexec_b64 s[4:5], s[42:43]
	s_cbranch_execnz .LBB297_831
	s_branch .LBB297_832
.LBB297_2664:
	s_andn2_saveexec_b64 s[44:45], s[4:5]
	s_cbranch_execz .LBB297_838
.LBB297_2665:
	s_mov_b32 s4, 0x46000000
	v_add_f32_e64 v12, |v14|, s4
	v_and_b32_e32 v15, 0xff, v12
	v_cmp_ne_u32_e64 s[4:5], 0, v15
	s_andn2_b64 s[42:43], s[42:43], exec
	s_and_b64 s[4:5], s[4:5], exec
	s_or_b64 s[42:43], s[42:43], s[4:5]
	s_or_b64 exec, exec, s[44:45]
	v_mov_b32_e32 v12, 0
	s_and_saveexec_b64 s[4:5], s[42:43]
	s_cbranch_execnz .LBB297_839
	s_branch .LBB297_840
.LBB297_2666:
	s_andn2_saveexec_b64 s[44:45], s[4:5]
	s_cbranch_execz .LBB297_858
.LBB297_2667:
	s_mov_b32 s4, 0x46000000
	v_add_f32_e64 v12, |v14|, s4
	v_and_b32_e32 v15, 0xff, v12
	v_cmp_ne_u32_e64 s[4:5], 0, v15
	s_andn2_b64 s[42:43], s[42:43], exec
	s_and_b64 s[4:5], s[4:5], exec
	s_or_b64 s[42:43], s[42:43], s[4:5]
	s_or_b64 exec, exec, s[44:45]
	v_mov_b32_e32 v12, 0
	s_and_saveexec_b64 s[4:5], s[42:43]
	s_cbranch_execnz .LBB297_859
	s_branch .LBB297_860
.LBB297_2668:
	s_andn2_saveexec_b64 s[44:45], s[4:5]
	s_cbranch_execz .LBB297_866
.LBB297_2669:
	s_mov_b32 s4, 0x46000000
	v_add_f32_e64 v12, |v14|, s4
	v_and_b32_e32 v15, 0xff, v12
	v_cmp_ne_u32_e64 s[4:5], 0, v15
	s_andn2_b64 s[42:43], s[42:43], exec
	s_and_b64 s[4:5], s[4:5], exec
	s_or_b64 s[42:43], s[42:43], s[4:5]
	s_or_b64 exec, exec, s[44:45]
	v_mov_b32_e32 v12, 0
	s_and_saveexec_b64 s[4:5], s[42:43]
	s_cbranch_execnz .LBB297_867
	s_branch .LBB297_868
.LBB297_2670:
	s_andn2_saveexec_b64 s[44:45], s[4:5]
	s_cbranch_execz .LBB297_888
.LBB297_2671:
	s_mov_b32 s4, 0x46000000
	v_add_f32_e64 v12, |v14|, s4
	v_and_b32_e32 v15, 0xff, v12
	v_cmp_ne_u32_e64 s[4:5], 0, v15
	s_andn2_b64 s[42:43], s[42:43], exec
	s_and_b64 s[4:5], s[4:5], exec
	s_or_b64 s[42:43], s[42:43], s[4:5]
	s_or_b64 exec, exec, s[44:45]
	v_mov_b32_e32 v12, 0
	s_and_saveexec_b64 s[4:5], s[42:43]
	s_cbranch_execnz .LBB297_889
	s_branch .LBB297_890
.LBB297_2672:
	s_andn2_saveexec_b64 s[44:45], s[4:5]
	s_cbranch_execz .LBB297_896
.LBB297_2673:
	s_mov_b32 s4, 0x46000000
	v_add_f32_e64 v12, |v14|, s4
	v_and_b32_e32 v15, 0xff, v12
	v_cmp_ne_u32_e64 s[4:5], 0, v15
	s_andn2_b64 s[42:43], s[42:43], exec
	s_and_b64 s[4:5], s[4:5], exec
	s_or_b64 s[42:43], s[42:43], s[4:5]
	s_or_b64 exec, exec, s[44:45]
	v_mov_b32_e32 v12, 0
	s_and_saveexec_b64 s[4:5], s[42:43]
	s_cbranch_execnz .LBB297_897
	s_branch .LBB297_898
.LBB297_2674:
	s_andn2_saveexec_b64 s[48:49], s[4:5]
	s_cbranch_execz .LBB297_1053
.LBB297_2675:
	s_mov_b32 s4, 0x46000000
	v_add_f32_e64 v12, |v10|, s4
	v_and_b32_e32 v12, 0xff, v12
	v_cmp_ne_u32_e64 s[4:5], 0, v12
	s_andn2_b64 s[46:47], s[46:47], exec
	s_and_b64 s[4:5], s[4:5], exec
	s_or_b64 s[46:47], s[46:47], s[4:5]
	s_or_b64 exec, exec, s[48:49]
	v_mov_b32_e32 v14, 0
	s_and_saveexec_b64 s[4:5], s[46:47]
	s_cbranch_execnz .LBB297_1054
	s_branch .LBB297_1055
.LBB297_2676:
	s_andn2_saveexec_b64 s[48:49], s[4:5]
	s_cbranch_execz .LBB297_1081
.LBB297_2677:
	s_mov_b32 s4, 0x46000000
	v_add_f32_e64 v12, |v10|, s4
	v_and_b32_e32 v12, 0xff, v12
	v_cmp_ne_u32_e64 s[4:5], 0, v12
	s_andn2_b64 s[46:47], s[46:47], exec
	s_and_b64 s[4:5], s[4:5], exec
	s_or_b64 s[46:47], s[46:47], s[4:5]
	s_or_b64 exec, exec, s[48:49]
	v_mov_b32_e32 v14, 0
	s_and_saveexec_b64 s[4:5], s[46:47]
	s_cbranch_execnz .LBB297_1082
	s_branch .LBB297_1083
.LBB297_2678:
	s_andn2_saveexec_b64 s[48:49], s[4:5]
	s_cbranch_execz .LBB297_1111
.LBB297_2679:
	s_mov_b32 s4, 0x46000000
	v_add_f32_e64 v12, |v10|, s4
	v_and_b32_e32 v12, 0xff, v12
	v_cmp_ne_u32_e64 s[4:5], 0, v12
	s_andn2_b64 s[46:47], s[46:47], exec
	s_and_b64 s[4:5], s[4:5], exec
	s_or_b64 s[46:47], s[46:47], s[4:5]
	s_or_b64 exec, exec, s[48:49]
	v_mov_b32_e32 v14, 0
	s_and_saveexec_b64 s[4:5], s[46:47]
	s_cbranch_execnz .LBB297_1112
	s_branch .LBB297_1113
.LBB297_2680:
	s_andn2_saveexec_b64 s[48:49], s[4:5]
	s_cbranch_execz .LBB297_1121
.LBB297_2681:
	s_mov_b32 s4, 0x46000000
	v_add_f32_e64 v12, |v10|, s4
	v_and_b32_e32 v12, 0xff, v12
	v_cmp_ne_u32_e64 s[4:5], 0, v12
	s_andn2_b64 s[46:47], s[46:47], exec
	s_and_b64 s[4:5], s[4:5], exec
	s_or_b64 s[46:47], s[46:47], s[4:5]
	s_or_b64 exec, exec, s[48:49]
	v_mov_b32_e32 v14, 0
	s_and_saveexec_b64 s[4:5], s[46:47]
	s_cbranch_execnz .LBB297_1122
	s_branch .LBB297_1123
.LBB297_2682:
	s_andn2_saveexec_b64 s[48:49], s[4:5]
	s_cbranch_execz .LBB297_1129
.LBB297_2683:
	v_add_f32_e32 v10, 0x46000000, v12
	v_and_b32_e32 v10, 0xff, v10
	v_cmp_ne_u32_e64 s[4:5], 0, v10
	s_andn2_b64 s[46:47], s[46:47], exec
	s_and_b64 s[4:5], s[4:5], exec
	s_or_b64 s[46:47], s[46:47], s[4:5]
	s_or_b64 exec, exec, s[48:49]
	v_mov_b32_e32 v14, 0
	s_and_saveexec_b64 s[4:5], s[46:47]
	s_cbranch_execnz .LBB297_1130
	s_branch .LBB297_1131
.LBB297_2684:
	s_andn2_saveexec_b64 s[54:55], s[4:5]
	s_cbranch_execz .LBB297_1407
.LBB297_2685:
	v_add_f32_e32 v3, 0x46000000, v8
	v_and_b32_e32 v3, 0xff, v3
	v_cmp_ne_u32_e64 s[4:5], 0, v3
	s_andn2_b64 s[52:53], s[52:53], exec
	s_and_b64 s[4:5], s[4:5], exec
	s_or_b64 s[52:53], s[52:53], s[4:5]
	s_or_b64 exec, exec, s[54:55]
	v_mov_b32_e32 v10, 0
	s_and_saveexec_b64 s[4:5], s[52:53]
	s_cbranch_execnz .LBB297_1408
	s_branch .LBB297_1409
.LBB297_2686:
	s_or_saveexec_b64 s[52:53], s[52:53]
	v_mov_b32_e32 v1, 0x7f800001
	s_xor_b64 exec, exec, s[52:53]
	s_cbranch_execz .LBB297_1704
.LBB297_2687:
	v_mov_b32_e32 v1, 0
	v_cmp_ne_u16_sdwa s[54:55], v10, v1 src0_sel:BYTE_0 src1_sel:DWORD
	s_andn2_b64 s[48:49], s[48:49], exec
	s_and_b64 s[54:55], s[54:55], exec
	s_or_b64 s[48:49], s[48:49], s[54:55]
	s_or_b64 exec, exec, s[52:53]
	s_and_saveexec_b64 s[52:53], s[48:49]
	s_cbranch_execnz .LBB297_1705
	s_branch .LBB297_1706
.LBB297_2688:
	s_or_saveexec_b64 s[52:53], s[52:53]
	v_mov_b32_e32 v5, 0x7f800001
	s_xor_b64 exec, exec, s[52:53]
	s_cbranch_execz .LBB297_1710
.LBB297_2689:
	v_mov_b32_e32 v5, 0
	v_cmp_ne_u16_sdwa s[54:55], v3, v5 src0_sel:BYTE_0 src1_sel:DWORD
	s_andn2_b64 s[48:49], s[48:49], exec
	s_and_b64 s[54:55], s[54:55], exec
	s_or_b64 s[48:49], s[48:49], s[54:55]
	s_or_b64 exec, exec, s[52:53]
	s_and_saveexec_b64 s[52:53], s[48:49]
	s_cbranch_execnz .LBB297_1711
	s_branch .LBB297_1712
.LBB297_2690:
	s_or_saveexec_b64 s[54:55], s[54:55]
	v_mov_b32_e32 v1, 0x7f800001
	s_xor_b64 exec, exec, s[54:55]
	s_cbranch_execz .LBB297_1718
.LBB297_2691:
	v_mov_b32_e32 v1, 0
	v_cmp_ne_u16_sdwa s[56:57], v10, v1 src0_sel:BYTE_0 src1_sel:DWORD
	s_andn2_b64 s[52:53], s[52:53], exec
	s_and_b64 s[56:57], s[56:57], exec
	s_or_b64 s[52:53], s[52:53], s[56:57]
	s_or_b64 exec, exec, s[54:55]
	s_and_saveexec_b64 s[54:55], s[52:53]
	s_cbranch_execnz .LBB297_1719
	s_branch .LBB297_1720
.LBB297_2692:
	s_or_saveexec_b64 s[54:55], s[54:55]
	v_mov_b32_e32 v5, 0x7f800001
	s_xor_b64 exec, exec, s[54:55]
	s_cbranch_execz .LBB297_1724
.LBB297_2693:
	v_mov_b32_e32 v5, 0
	v_cmp_ne_u16_sdwa s[56:57], v3, v5 src0_sel:BYTE_0 src1_sel:DWORD
	s_andn2_b64 s[52:53], s[52:53], exec
	s_and_b64 s[56:57], s[56:57], exec
	s_or_b64 s[52:53], s[52:53], s[56:57]
	s_or_b64 exec, exec, s[54:55]
	s_and_saveexec_b64 s[54:55], s[52:53]
	s_cbranch_execnz .LBB297_1725
	s_branch .LBB297_1726
.LBB297_2694:
	s_andn2_saveexec_b64 s[58:59], s[58:59]
	s_cbranch_execz .LBB297_1764
.LBB297_2695:
	v_cmp_lt_i16_e32 vcc, 22, v1
	s_mov_b64 s[60:61], s[4:5]
	s_and_saveexec_b64 s[56:57], vcc
	s_xor_b64 s[56:57], exec, s[56:57]
	s_cbranch_execz .LBB297_2727
; %bb.2696:
	v_cmp_lt_i16_e32 vcc, 23, v1
	s_and_saveexec_b64 s[60:61], vcc
	s_xor_b64 s[60:61], exec, s[60:61]
	s_cbranch_execz .LBB297_2716
; %bb.2697:
	v_cmp_lt_i16_e32 vcc, 24, v1
	s_and_saveexec_b64 s[62:63], vcc
	s_xor_b64 s[62:63], exec, s[62:63]
	s_cbranch_execz .LBB297_2705
; %bb.2698:
	s_waitcnt lgkmcnt(0)
	v_cndmask_b32_e64 v3, 0, 1.0, s[22:23]
	s_mov_b32 s33, 0x47800000
	v_cmp_gt_u32_e32 vcc, s33, v3
	v_mov_b32_e32 v7, 0x80
	s_and_saveexec_b64 s[64:65], vcc
	s_cbranch_execz .LBB297_2704
; %bb.2699:
	s_mov_b32 s33, 0x37ffffff
	v_cmp_lt_u32_e32 vcc, s33, v3
	s_mov_b64 s[66:67], 0
                                        ; implicit-def: $vgpr1
	s_and_saveexec_b64 s[68:69], vcc
	s_xor_b64 s[68:69], exec, s[68:69]
	s_cbranch_execz .LBB297_3040
; %bb.2700:
	v_bfe_u32 v1, v3, 21, 1
	s_mov_b32 s33, 0x88fffff
	v_add3_u32 v1, v3, v1, s33
	s_mov_b64 s[66:67], exec
	v_lshrrev_b32_e32 v1, 21, v1
                                        ; implicit-def: $vgpr3
	s_andn2_saveexec_b64 s[68:69], s[68:69]
	s_cbranch_execnz .LBB297_3041
.LBB297_2701:
	s_or_b64 exec, exec, s[68:69]
	v_mov_b32_e32 v7, 0
	s_and_saveexec_b64 s[68:69], s[66:67]
.LBB297_2702:
	v_mov_b32_e32 v7, v1
.LBB297_2703:
	s_or_b64 exec, exec, s[68:69]
.LBB297_2704:
	s_or_b64 exec, exec, s[64:65]
	flat_store_byte v[5:6], v7
.LBB297_2705:
	s_andn2_saveexec_b64 s[62:63], s[62:63]
	s_cbranch_execz .LBB297_2715
; %bb.2706:
	v_cndmask_b32_e64 v1, 0, 1.0, s[22:23]
	s_mov_b32 s33, 0x43f00000
	v_cmp_gt_u32_e32 vcc, s33, v1
                                        ; implicit-def: $vgpr3
	s_and_saveexec_b64 s[64:65], vcc
	s_xor_b64 s[64:65], exec, s[64:65]
	s_cbranch_execz .LBB297_2712
; %bb.2707:
	s_mov_b32 s33, 0x3c7fffff
	v_cmp_lt_u32_e32 vcc, s33, v1
                                        ; implicit-def: $vgpr3
	s_and_saveexec_b64 s[66:67], vcc
	s_xor_b64 s[66:67], exec, s[66:67]
	s_cbranch_execz .LBB297_2709
; %bb.2708:
	s_waitcnt lgkmcnt(0)
	v_bfe_u32 v3, v1, 20, 1
	s_mov_b32 s33, 0x407ffff
	v_add3_u32 v1, v1, v3, s33
	v_lshrrev_b32_e32 v3, 20, v1
	v_and_b32_e32 v1, 0xff00000, v1
	s_mov_b32 s33, 0x7f00000
	v_mov_b32_e32 v7, 0x7e
	v_cmp_ne_u32_e32 vcc, s33, v1
	v_cndmask_b32_e32 v3, v7, v3, vcc
                                        ; implicit-def: $vgpr1
.LBB297_2709:
	s_andn2_saveexec_b64 s[66:67], s[66:67]
	s_cbranch_execz .LBB297_2711
; %bb.2710:
	s_waitcnt lgkmcnt(0)
	v_add_f32_e32 v3, 0x46800000, v1
.LBB297_2711:
	s_or_b64 exec, exec, s[66:67]
                                        ; implicit-def: $vgpr1
.LBB297_2712:
	s_andn2_saveexec_b64 s[64:65], s[64:65]
	s_cbranch_execz .LBB297_2714
; %bb.2713:
	s_mov_b32 s33, 0x7f800000
	s_waitcnt lgkmcnt(0)
	v_mov_b32_e32 v3, 0x7e
	v_mov_b32_e32 v7, 0x7f
	v_cmp_lt_u32_e32 vcc, s33, v1
	v_cndmask_b32_e32 v3, v3, v7, vcc
.LBB297_2714:
	s_or_b64 exec, exec, s[64:65]
	s_waitcnt lgkmcnt(0)
	flat_store_byte v[5:6], v3
.LBB297_2715:
	s_or_b64 exec, exec, s[62:63]
.LBB297_2716:
	s_andn2_saveexec_b64 s[60:61], s[60:61]
	s_cbranch_execz .LBB297_2726
; %bb.2717:
	v_cndmask_b32_e64 v1, 0, 1.0, s[22:23]
	s_mov_b32 s33, 0x47800000
	v_cmp_gt_u32_e32 vcc, s33, v1
                                        ; implicit-def: $vgpr3
	s_and_saveexec_b64 s[62:63], vcc
	s_xor_b64 s[62:63], exec, s[62:63]
	s_cbranch_execz .LBB297_2723
; %bb.2718:
	s_mov_b32 s33, 0x387fffff
	v_cmp_lt_u32_e32 vcc, s33, v1
                                        ; implicit-def: $vgpr3
	s_and_saveexec_b64 s[64:65], vcc
	s_xor_b64 s[64:65], exec, s[64:65]
	s_cbranch_execz .LBB297_2720
; %bb.2719:
	s_waitcnt lgkmcnt(0)
	v_bfe_u32 v3, v1, 21, 1
	s_mov_b32 s33, 0x80fffff
	v_add3_u32 v1, v1, v3, s33
	v_lshrrev_b32_e32 v3, 21, v1
                                        ; implicit-def: $vgpr1
.LBB297_2720:
	s_andn2_saveexec_b64 s[64:65], s[64:65]
	s_cbranch_execz .LBB297_2722
; %bb.2721:
	s_waitcnt lgkmcnt(0)
	v_add_f32_e32 v3, 0x43000000, v1
.LBB297_2722:
	s_or_b64 exec, exec, s[64:65]
                                        ; implicit-def: $vgpr1
.LBB297_2723:
	s_andn2_saveexec_b64 s[62:63], s[62:63]
	s_cbranch_execz .LBB297_2725
; %bb.2724:
	s_mov_b32 s33, 0x7f800000
	s_waitcnt lgkmcnt(0)
	v_mov_b32_e32 v3, 0x7c
	v_mov_b32_e32 v7, 0x7f
	v_cmp_lt_u32_e32 vcc, s33, v1
	v_cndmask_b32_e32 v3, v3, v7, vcc
.LBB297_2725:
	s_or_b64 exec, exec, s[62:63]
	s_waitcnt lgkmcnt(0)
	flat_store_byte v[5:6], v3
.LBB297_2726:
	s_or_b64 exec, exec, s[60:61]
	s_or_b64 s[60:61], s[4:5], exec
                                        ; implicit-def: $vgpr1
.LBB297_2727:
	s_or_saveexec_b64 s[56:57], s[56:57]
	s_mov_b64 s[64:65], 0
	s_mov_b64 s[62:63], s[52:53]
	s_xor_b64 exec, exec, s[56:57]
	s_cbranch_execz .LBB297_2735
; %bb.2728:
	v_cmp_lt_i16_e32 vcc, 14, v1
	s_mov_b64 s[62:63], s[52:53]
	s_mov_b64 s[64:65], s[60:61]
	s_and_saveexec_b64 s[66:67], vcc
	s_xor_b64 s[66:67], exec, s[66:67]
	s_cbranch_execz .LBB297_2732
; %bb.2729:
	v_cmp_eq_u16_e32 vcc, 15, v1
	s_mov_b64 s[62:63], -1
	s_mov_b64 s[68:69], s[60:61]
	s_and_saveexec_b64 s[64:65], vcc
	s_cbranch_execz .LBB297_2731
; %bb.2730:
	v_cndmask_b32_e64 v1, 0, 1.0, s[22:23]
	s_waitcnt lgkmcnt(0)
	v_bfe_u32 v3, v1, 16, 1
	s_movk_i32 s33, 0x7fff
	v_add3_u32 v1, v1, v3, s33
	flat_store_short_d16_hi v[5:6], v1
	s_or_b64 s[68:69], s[60:61], exec
	s_xor_b64 s[62:63], exec, -1
.LBB297_2731:
	s_or_b64 exec, exec, s[64:65]
	s_andn2_b64 s[64:65], s[60:61], exec
	s_and_b64 s[68:69], s[68:69], exec
	s_or_b64 s[64:65], s[64:65], s[68:69]
	s_andn2_b64 s[68:69], s[52:53], exec
	s_and_b64 s[62:63], s[62:63], exec
	s_or_b64 s[62:63], s[68:69], s[62:63]
                                        ; implicit-def: $vgpr1
.LBB297_2732:
	s_or_saveexec_b64 s[66:67], s[66:67]
	s_mov_b64 s[68:69], 0
	s_xor_b64 exec, exec, s[66:67]
; %bb.2733:
	v_cmp_ne_u16_e32 vcc, 11, v1
	s_andn2_b64 s[62:63], s[62:63], exec
	s_and_b64 s[70:71], vcc, exec
	s_mov_b64 s[68:69], exec
	s_or_b64 s[62:63], s[62:63], s[70:71]
; %bb.2734:
	s_or_b64 exec, exec, s[66:67]
	s_andn2_b64 s[60:61], s[60:61], exec
	s_and_b64 s[64:65], s[64:65], exec
	s_andn2_b64 s[66:67], s[52:53], exec
	s_and_b64 s[62:63], s[62:63], exec
	s_or_b64 s[60:61], s[60:61], s[64:65]
	s_and_b64 s[64:65], s[68:69], exec
	s_or_b64 s[62:63], s[66:67], s[62:63]
.LBB297_2735:
	s_or_b64 exec, exec, s[56:57]
	s_andn2_b64 s[4:5], s[4:5], exec
	s_and_b64 s[56:57], s[60:61], exec
	s_andn2_b64 s[52:53], s[52:53], exec
	s_and_b64 s[60:61], s[62:63], exec
	s_or_b64 s[4:5], s[4:5], s[56:57]
	s_and_b64 s[56:57], s[64:65], exec
	s_or_b64 s[52:53], s[52:53], s[60:61]
	s_or_b64 exec, exec, s[58:59]
	s_mov_b64 s[58:59], s[46:47]
	s_and_saveexec_b64 s[60:61], s[52:53]
	s_cbranch_execz .LBB297_1765
.LBB297_2736:
	s_trap 2
	s_or_b64 s[58:59], s[46:47], exec
	s_andn2_b64 s[56:57], s[56:57], exec
	s_or_b64 exec, exec, s[60:61]
	s_and_saveexec_b64 s[52:53], s[56:57]
	s_xor_b64 s[52:53], exec, s[52:53]
	s_cbranch_execnz .LBB297_1766
	s_branch .LBB297_1767
.LBB297_2737:
	s_andn2_saveexec_b64 s[44:45], s[4:5]
	s_cbranch_execz .LBB297_2249
.LBB297_2738:
	s_mov_b32 s4, 0x46000000
	v_add_f32_e64 v12, |v16|, s4
	v_and_b32_e32 v17, 0xff, v12
	v_cmp_ne_u32_e64 s[4:5], 0, v17
	s_andn2_b64 s[42:43], s[42:43], exec
	s_and_b64 s[4:5], s[4:5], exec
	s_or_b64 s[42:43], s[42:43], s[4:5]
	s_or_b64 exec, exec, s[44:45]
	v_mov_b32_e32 v12, 0
	s_and_saveexec_b64 s[4:5], s[42:43]
	s_cbranch_execnz .LBB297_2250
	s_branch .LBB297_2251
.LBB297_2739:
	s_andn2_saveexec_b64 s[44:45], s[4:5]
	s_cbranch_execz .LBB297_2257
.LBB297_2740:
	s_mov_b32 s4, 0x46000000
	v_add_f32_e64 v12, |v16|, s4
	v_and_b32_e32 v17, 0xff, v12
	v_cmp_ne_u32_e64 s[4:5], 0, v17
	s_andn2_b64 s[42:43], s[42:43], exec
	s_and_b64 s[4:5], s[4:5], exec
	s_or_b64 s[42:43], s[42:43], s[4:5]
	s_or_b64 exec, exec, s[44:45]
	v_mov_b32_e32 v12, 0
	s_and_saveexec_b64 s[4:5], s[42:43]
	s_cbranch_execnz .LBB297_2258
	s_branch .LBB297_2259
.LBB297_2741:
	s_andn2_saveexec_b64 s[46:47], s[4:5]
	s_cbranch_execz .LBB297_2277
.LBB297_2742:
	s_mov_b32 s4, 0x46000000
	v_add_f32_e64 v12, |v18|, s4
	v_and_b32_e32 v17, 0xff, v12
	v_cmp_ne_u32_e64 s[4:5], 0, v17
	s_andn2_b64 s[44:45], s[44:45], exec
	s_and_b64 s[4:5], s[4:5], exec
	s_or_b64 s[44:45], s[44:45], s[4:5]
	s_or_b64 exec, exec, s[46:47]
	v_mov_b32_e32 v12, 0
	s_and_saveexec_b64 s[4:5], s[44:45]
	s_cbranch_execnz .LBB297_2278
	s_branch .LBB297_2279
.LBB297_2743:
	s_or_saveexec_b64 s[48:49], s[48:49]
	v_mov_b32_e32 v10, 0x7f800001
	s_xor_b64 exec, exec, s[48:49]
	s_cbranch_execz .LBB297_2316
.LBB297_2744:
	v_cmp_ne_u16_e64 s[4:5], 0, v14
	s_andn2_b64 s[46:47], s[46:47], exec
	s_and_b64 s[4:5], s[4:5], exec
	v_mov_b32_e32 v10, 0
	s_or_b64 s[46:47], s[46:47], s[4:5]
	s_or_b64 exec, exec, s[48:49]
	s_and_saveexec_b64 s[48:49], s[46:47]
	s_cbranch_execnz .LBB297_2317
	s_branch .LBB297_2318
.LBB297_2745:
	s_andn2_saveexec_b64 s[48:49], s[4:5]
	s_cbranch_execz .LBB297_2338
.LBB297_2746:
	s_mov_b32 s4, 0x46000000
	v_add_f32_e64 v14, |v10|, s4
	v_and_b32_e32 v15, 0xff, v14
	v_cmp_ne_u32_e64 s[4:5], 0, v15
	s_andn2_b64 s[46:47], s[46:47], exec
	s_and_b64 s[4:5], s[4:5], exec
	s_or_b64 s[46:47], s[46:47], s[4:5]
	s_or_b64 exec, exec, s[48:49]
	v_mov_b32_e32 v14, 0
	s_and_saveexec_b64 s[4:5], s[46:47]
	s_cbranch_execnz .LBB297_2339
	s_branch .LBB297_2340
.LBB297_2747:
	s_andn2_saveexec_b64 s[44:45], s[4:5]
	s_cbranch_execz .LBB297_762
.LBB297_2748:
	s_mov_b32 s4, 0x46000000
	v_add_f32_e64 v12, |v16|, s4
	v_and_b32_e32 v17, 0xff, v12
	v_cmp_ne_u32_e64 s[4:5], 0, v17
	s_andn2_b64 s[42:43], s[42:43], exec
	s_and_b64 s[4:5], s[4:5], exec
	s_or_b64 s[42:43], s[42:43], s[4:5]
	s_or_b64 exec, exec, s[44:45]
	v_mov_b32_e32 v12, 0
	s_and_saveexec_b64 s[4:5], s[42:43]
	s_cbranch_execnz .LBB297_763
	s_branch .LBB297_764
.LBB297_2749:
	s_andn2_saveexec_b64 s[48:49], s[4:5]
	s_cbranch_execz .LBB297_772
.LBB297_2750:
	v_add_f32_e32 v12, 0x46000000, v17
	v_and_b32_e32 v16, 0xff, v12
	v_cmp_ne_u32_e64 s[4:5], 0, v16
	s_andn2_b64 s[46:47], s[46:47], exec
	s_and_b64 s[4:5], s[4:5], exec
	s_or_b64 s[46:47], s[46:47], s[4:5]
	s_or_b64 exec, exec, s[48:49]
	v_mov_b32_e32 v12, 0
	s_and_saveexec_b64 s[4:5], s[46:47]
	s_cbranch_execnz .LBB297_773
	s_branch .LBB297_774
.LBB297_2751:
	s_andn2_saveexec_b64 s[52:53], s[4:5]
	s_cbranch_execz .LBB297_989
.LBB297_2752:
	v_add_f32_e32 v10, 0x46000000, v15
	v_and_b32_e32 v10, 0xff, v10
	v_cmp_ne_u32_e64 s[4:5], 0, v10
	s_andn2_b64 s[50:51], s[50:51], exec
	s_and_b64 s[4:5], s[4:5], exec
	s_or_b64 s[50:51], s[50:51], s[4:5]
	s_or_b64 exec, exec, s[52:53]
	v_mov_b32_e32 v14, 0
	s_and_saveexec_b64 s[4:5], s[50:51]
	s_cbranch_execnz .LBB297_990
	s_branch .LBB297_991
.LBB297_2753:
	s_andn2_saveexec_b64 s[52:53], s[4:5]
	s_cbranch_execz .LBB297_1001
.LBB297_2754:
	v_add_f32_e32 v10, 0x46000000, v15
	v_and_b32_e32 v10, 0xff, v10
	v_cmp_ne_u32_e64 s[4:5], 0, v10
	s_andn2_b64 s[50:51], s[50:51], exec
	s_and_b64 s[4:5], s[4:5], exec
	s_or_b64 s[50:51], s[50:51], s[4:5]
	s_or_b64 exec, exec, s[52:53]
	v_mov_b32_e32 v14, 0
	s_and_saveexec_b64 s[4:5], s[50:51]
	s_cbranch_execnz .LBB297_1002
	s_branch .LBB297_1003
.LBB297_2755:
	s_andn2_saveexec_b64 s[52:53], s[4:5]
	s_cbranch_execz .LBB297_1009
.LBB297_2756:
	v_add_f32_e32 v10, 0x46000000, v15
	v_and_b32_e32 v10, 0xff, v10
	v_cmp_ne_u32_e64 s[4:5], 0, v10
	s_andn2_b64 s[50:51], s[50:51], exec
	s_and_b64 s[4:5], s[4:5], exec
	s_or_b64 s[50:51], s[50:51], s[4:5]
	s_or_b64 exec, exec, s[52:53]
	v_mov_b32_e32 v14, 0
	s_and_saveexec_b64 s[4:5], s[50:51]
	s_cbranch_execnz .LBB297_1010
	s_branch .LBB297_1011
.LBB297_2757:
	s_andn2_saveexec_b64 s[50:51], s[4:5]
	s_cbranch_execz .LBB297_1036
.LBB297_2758:
	s_mov_b32 s4, 0x46000000
	v_add_f32_e64 v12, |v10|, s4
	v_and_b32_e32 v12, 0xff, v12
	v_cmp_ne_u32_e64 s[4:5], 0, v12
	s_andn2_b64 s[48:49], s[48:49], exec
	s_and_b64 s[4:5], s[4:5], exec
	s_or_b64 s[48:49], s[48:49], s[4:5]
	s_or_b64 exec, exec, s[50:51]
	v_mov_b32_e32 v14, 0
	s_and_saveexec_b64 s[4:5], s[48:49]
	s_cbranch_execnz .LBB297_1037
	s_branch .LBB297_1038
.LBB297_2759:
	s_andn2_saveexec_b64 s[50:51], s[4:5]
	s_cbranch_execz .LBB297_1044
.LBB297_2760:
	s_mov_b32 s4, 0x46000000
	v_add_f32_e64 v12, |v10|, s4
	v_and_b32_e32 v12, 0xff, v12
	v_cmp_ne_u32_e64 s[4:5], 0, v12
	s_andn2_b64 s[48:49], s[48:49], exec
	s_and_b64 s[4:5], s[4:5], exec
	s_or_b64 s[48:49], s[48:49], s[4:5]
	s_or_b64 exec, exec, s[50:51]
	v_mov_b32_e32 v14, 0
	s_and_saveexec_b64 s[4:5], s[48:49]
	s_cbranch_execnz .LBB297_1045
	s_branch .LBB297_1046
.LBB297_2761:
	s_andn2_saveexec_b64 s[50:51], s[4:5]
	s_cbranch_execz .LBB297_1064
.LBB297_2762:
	s_mov_b32 s4, 0x46000000
	v_add_f32_e64 v12, |v10|, s4
	v_and_b32_e32 v12, 0xff, v12
	v_cmp_ne_u32_e64 s[4:5], 0, v12
	s_andn2_b64 s[48:49], s[48:49], exec
	s_and_b64 s[4:5], s[4:5], exec
	s_or_b64 s[48:49], s[48:49], s[4:5]
	s_or_b64 exec, exec, s[50:51]
	v_mov_b32_e32 v14, 0
	s_and_saveexec_b64 s[4:5], s[48:49]
	s_cbranch_execnz .LBB297_1065
	s_branch .LBB297_1066
.LBB297_2763:
	s_andn2_saveexec_b64 s[50:51], s[4:5]
	s_cbranch_execz .LBB297_1072
.LBB297_2764:
	s_mov_b32 s4, 0x46000000
	v_add_f32_e64 v12, |v10|, s4
	v_and_b32_e32 v12, 0xff, v12
	v_cmp_ne_u32_e64 s[4:5], 0, v12
	s_andn2_b64 s[48:49], s[48:49], exec
	s_and_b64 s[4:5], s[4:5], exec
	s_or_b64 s[48:49], s[48:49], s[4:5]
	s_or_b64 exec, exec, s[50:51]
	v_mov_b32_e32 v14, 0
	s_and_saveexec_b64 s[4:5], s[48:49]
	s_cbranch_execnz .LBB297_1073
	s_branch .LBB297_1074
.LBB297_2765:
	s_andn2_saveexec_b64 s[50:51], s[4:5]
	s_cbranch_execz .LBB297_1094
.LBB297_2766:
	s_mov_b32 s4, 0x46000000
	v_add_f32_e64 v12, |v10|, s4
	v_and_b32_e32 v12, 0xff, v12
	v_cmp_ne_u32_e64 s[4:5], 0, v12
	s_andn2_b64 s[48:49], s[48:49], exec
	s_and_b64 s[4:5], s[4:5], exec
	s_or_b64 s[48:49], s[48:49], s[4:5]
	s_or_b64 exec, exec, s[50:51]
	v_mov_b32_e32 v14, 0
	s_and_saveexec_b64 s[4:5], s[48:49]
	s_cbranch_execnz .LBB297_1095
	s_branch .LBB297_1096
.LBB297_2767:
	s_andn2_saveexec_b64 s[50:51], s[4:5]
	s_cbranch_execz .LBB297_1102
.LBB297_2768:
	s_mov_b32 s4, 0x46000000
	v_add_f32_e64 v12, |v10|, s4
	v_and_b32_e32 v12, 0xff, v12
	v_cmp_ne_u32_e64 s[4:5], 0, v12
	s_andn2_b64 s[48:49], s[48:49], exec
	s_and_b64 s[4:5], s[4:5], exec
	s_or_b64 s[48:49], s[48:49], s[4:5]
	s_or_b64 exec, exec, s[50:51]
	v_mov_b32_e32 v14, 0
	s_and_saveexec_b64 s[4:5], s[48:49]
	s_cbranch_execnz .LBB297_1103
	s_branch .LBB297_1104
.LBB297_2769:
	s_andn2_saveexec_b64 s[52:53], s[4:5]
	s_cbranch_execz .LBB297_1231
.LBB297_2770:
	s_mov_b32 s4, 0x46000000
	v_add_f32_e64 v11, |v10|, s4
	v_and_b32_e32 v11, 0xff, v11
	v_cmp_ne_u32_e64 s[4:5], 0, v11
	s_andn2_b64 s[50:51], s[50:51], exec
	s_and_b64 s[4:5], s[4:5], exec
	s_or_b64 s[50:51], s[50:51], s[4:5]
	s_or_b64 exec, exec, s[52:53]
	v_mov_b32_e32 v12, 0
	s_and_saveexec_b64 s[4:5], s[50:51]
	s_cbranch_execnz .LBB297_1232
	s_branch .LBB297_1233
.LBB297_2771:
	s_andn2_saveexec_b64 s[52:53], s[4:5]
	s_cbranch_execz .LBB297_1259
.LBB297_2772:
	s_mov_b32 s4, 0x46000000
	v_add_f32_e64 v11, |v10|, s4
	v_and_b32_e32 v11, 0xff, v11
	v_cmp_ne_u32_e64 s[4:5], 0, v11
	s_andn2_b64 s[50:51], s[50:51], exec
	s_and_b64 s[4:5], s[4:5], exec
	s_or_b64 s[50:51], s[50:51], s[4:5]
	s_or_b64 exec, exec, s[52:53]
	v_mov_b32_e32 v12, 0
	s_and_saveexec_b64 s[4:5], s[50:51]
	s_cbranch_execnz .LBB297_1260
	s_branch .LBB297_1261
.LBB297_2773:
	s_andn2_saveexec_b64 s[52:53], s[4:5]
	s_cbranch_execz .LBB297_1289
.LBB297_2774:
	s_mov_b32 s4, 0x46000000
	v_add_f32_e64 v11, |v10|, s4
	v_and_b32_e32 v11, 0xff, v11
	v_cmp_ne_u32_e64 s[4:5], 0, v11
	s_andn2_b64 s[50:51], s[50:51], exec
	s_and_b64 s[4:5], s[4:5], exec
	s_or_b64 s[50:51], s[50:51], s[4:5]
	s_or_b64 exec, exec, s[52:53]
	v_mov_b32_e32 v12, 0
	s_and_saveexec_b64 s[4:5], s[50:51]
	s_cbranch_execnz .LBB297_1290
	s_branch .LBB297_1291
.LBB297_2775:
	s_andn2_saveexec_b64 s[52:53], s[4:5]
	s_cbranch_execz .LBB297_1299
.LBB297_2776:
	s_mov_b32 s4, 0x46000000
	v_add_f32_e64 v11, |v10|, s4
	v_and_b32_e32 v11, 0xff, v11
	v_cmp_ne_u32_e64 s[4:5], 0, v11
	s_andn2_b64 s[50:51], s[50:51], exec
	s_and_b64 s[4:5], s[4:5], exec
	s_or_b64 s[50:51], s[50:51], s[4:5]
	s_or_b64 exec, exec, s[52:53]
	v_mov_b32_e32 v12, 0
	s_and_saveexec_b64 s[4:5], s[50:51]
	s_cbranch_execnz .LBB297_1300
	s_branch .LBB297_1301
.LBB297_2777:
	s_andn2_saveexec_b64 s[52:53], s[4:5]
	s_cbranch_execz .LBB297_1307
.LBB297_2778:
	v_add_f32_e32 v10, 0x46000000, v11
	v_and_b32_e32 v10, 0xff, v10
	v_cmp_ne_u32_e64 s[4:5], 0, v10
	s_andn2_b64 s[50:51], s[50:51], exec
	s_and_b64 s[4:5], s[4:5], exec
	s_or_b64 s[50:51], s[50:51], s[4:5]
	s_or_b64 exec, exec, s[52:53]
	v_mov_b32_e32 v12, 0
	s_and_saveexec_b64 s[4:5], s[50:51]
	s_cbranch_execnz .LBB297_1308
	s_branch .LBB297_1309
.LBB297_2779:
	s_andn2_saveexec_b64 s[58:59], s[4:5]
	s_cbranch_execz .LBB297_1585
.LBB297_2780:
	v_add_f32_e32 v1, 0x46000000, v5
	v_and_b32_e32 v1, 0xff, v1
	v_cmp_ne_u32_e64 s[4:5], 0, v1
	s_andn2_b64 s[56:57], s[56:57], exec
	s_and_b64 s[4:5], s[4:5], exec
	s_or_b64 s[56:57], s[56:57], s[4:5]
	s_or_b64 exec, exec, s[58:59]
	v_mov_b32_e32 v3, 0
	s_and_saveexec_b64 s[4:5], s[56:57]
	s_cbranch_execnz .LBB297_1586
	s_branch .LBB297_1587
.LBB297_2781:
	s_andn2_saveexec_b64 s[60:61], s[60:61]
	s_cbranch_execz .LBB297_1848
.LBB297_2782:
	v_cmp_lt_i16_e32 vcc, 22, v1
	s_mov_b64 s[62:63], s[4:5]
	s_and_saveexec_b64 s[58:59], vcc
	s_xor_b64 s[58:59], exec, s[58:59]
	s_cbranch_execz .LBB297_2814
; %bb.2783:
	v_cmp_lt_i16_e32 vcc, 23, v1
	s_and_saveexec_b64 s[62:63], vcc
	s_xor_b64 s[62:63], exec, s[62:63]
	s_cbranch_execz .LBB297_2803
; %bb.2784:
	v_cmp_lt_i16_e32 vcc, 24, v1
	s_and_saveexec_b64 s[64:65], vcc
	s_xor_b64 s[64:65], exec, s[64:65]
	s_cbranch_execz .LBB297_2792
; %bb.2785:
	v_cndmask_b32_e64 v5, 0, 1.0, s[30:31]
	s_mov_b32 s33, 0x47800000
	v_cmp_gt_u32_e32 vcc, s33, v5
	v_mov_b32_e32 v6, 0x80
	s_and_saveexec_b64 s[66:67], vcc
	s_cbranch_execz .LBB297_2791
; %bb.2786:
	s_mov_b32 s33, 0x37ffffff
	v_cmp_lt_u32_e32 vcc, s33, v5
	s_mov_b64 s[68:69], 0
                                        ; implicit-def: $vgpr1
	s_and_saveexec_b64 s[70:71], vcc
	s_xor_b64 s[70:71], exec, s[70:71]
	s_cbranch_execz .LBB297_3044
; %bb.2787:
	v_bfe_u32 v1, v5, 21, 1
	s_mov_b32 s33, 0x88fffff
	v_add3_u32 v1, v5, v1, s33
	s_mov_b64 s[68:69], exec
	v_lshrrev_b32_e32 v1, 21, v1
                                        ; implicit-def: $vgpr5
	s_andn2_saveexec_b64 s[70:71], s[70:71]
	s_cbranch_execnz .LBB297_3045
.LBB297_2788:
	s_or_b64 exec, exec, s[70:71]
	v_mov_b32_e32 v6, 0
	s_and_saveexec_b64 s[70:71], s[68:69]
.LBB297_2789:
	v_mov_b32_e32 v6, v1
.LBB297_2790:
	s_or_b64 exec, exec, s[70:71]
.LBB297_2791:
	s_or_b64 exec, exec, s[66:67]
	flat_store_byte v[3:4], v6
.LBB297_2792:
	s_andn2_saveexec_b64 s[64:65], s[64:65]
	s_cbranch_execz .LBB297_2802
; %bb.2793:
	v_cndmask_b32_e64 v1, 0, 1.0, s[30:31]
	s_mov_b32 s33, 0x43f00000
	v_cmp_gt_u32_e32 vcc, s33, v1
                                        ; implicit-def: $vgpr5
	s_and_saveexec_b64 s[66:67], vcc
	s_xor_b64 s[66:67], exec, s[66:67]
	s_cbranch_execz .LBB297_2799
; %bb.2794:
	s_mov_b32 s33, 0x3c7fffff
	v_cmp_lt_u32_e32 vcc, s33, v1
                                        ; implicit-def: $vgpr5
	s_and_saveexec_b64 s[68:69], vcc
	s_xor_b64 s[68:69], exec, s[68:69]
; %bb.2795:
	v_bfe_u32 v5, v1, 20, 1
	s_mov_b32 s33, 0x407ffff
	v_add3_u32 v1, v1, v5, s33
	v_lshrrev_b32_e32 v5, 20, v1
	v_and_b32_e32 v1, 0xff00000, v1
	s_mov_b32 s33, 0x7f00000
	v_mov_b32_e32 v6, 0x7e
	v_cmp_ne_u32_e32 vcc, s33, v1
	v_cndmask_b32_e32 v5, v6, v5, vcc
                                        ; implicit-def: $vgpr1
; %bb.2796:
	s_andn2_saveexec_b64 s[68:69], s[68:69]
; %bb.2797:
	v_add_f32_e32 v5, 0x46800000, v1
; %bb.2798:
	s_or_b64 exec, exec, s[68:69]
                                        ; implicit-def: $vgpr1
.LBB297_2799:
	s_andn2_saveexec_b64 s[66:67], s[66:67]
; %bb.2800:
	s_mov_b32 s33, 0x7f800000
	v_mov_b32_e32 v5, 0x7e
	v_mov_b32_e32 v6, 0x7f
	v_cmp_lt_u32_e32 vcc, s33, v1
	v_cndmask_b32_e32 v5, v5, v6, vcc
; %bb.2801:
	s_or_b64 exec, exec, s[66:67]
	flat_store_byte v[3:4], v5
.LBB297_2802:
	s_or_b64 exec, exec, s[64:65]
.LBB297_2803:
	s_andn2_saveexec_b64 s[62:63], s[62:63]
	s_cbranch_execz .LBB297_2813
; %bb.2804:
	v_cndmask_b32_e64 v1, 0, 1.0, s[30:31]
	s_mov_b32 s33, 0x47800000
	v_cmp_gt_u32_e32 vcc, s33, v1
                                        ; implicit-def: $vgpr5
	s_and_saveexec_b64 s[64:65], vcc
	s_xor_b64 s[64:65], exec, s[64:65]
	s_cbranch_execz .LBB297_2810
; %bb.2805:
	s_mov_b32 s33, 0x387fffff
	v_cmp_lt_u32_e32 vcc, s33, v1
                                        ; implicit-def: $vgpr5
	s_and_saveexec_b64 s[66:67], vcc
	s_xor_b64 s[66:67], exec, s[66:67]
; %bb.2806:
	v_bfe_u32 v5, v1, 21, 1
	s_mov_b32 s33, 0x80fffff
	v_add3_u32 v1, v1, v5, s33
	v_lshrrev_b32_e32 v5, 21, v1
                                        ; implicit-def: $vgpr1
; %bb.2807:
	s_andn2_saveexec_b64 s[66:67], s[66:67]
; %bb.2808:
	v_add_f32_e32 v5, 0x43000000, v1
; %bb.2809:
	s_or_b64 exec, exec, s[66:67]
                                        ; implicit-def: $vgpr1
.LBB297_2810:
	s_andn2_saveexec_b64 s[64:65], s[64:65]
; %bb.2811:
	s_mov_b32 s33, 0x7f800000
	v_mov_b32_e32 v5, 0x7c
	v_mov_b32_e32 v6, 0x7f
	v_cmp_lt_u32_e32 vcc, s33, v1
	v_cndmask_b32_e32 v5, v5, v6, vcc
; %bb.2812:
	s_or_b64 exec, exec, s[64:65]
	flat_store_byte v[3:4], v5
.LBB297_2813:
	s_or_b64 exec, exec, s[62:63]
	s_or_b64 s[62:63], s[4:5], exec
                                        ; implicit-def: $vgpr1
.LBB297_2814:
	s_or_saveexec_b64 s[58:59], s[58:59]
	s_mov_b64 s[66:67], 0
	s_mov_b64 s[64:65], s[54:55]
	s_xor_b64 exec, exec, s[58:59]
	s_cbranch_execz .LBB297_2822
; %bb.2815:
	v_cmp_lt_i16_e32 vcc, 14, v1
	s_mov_b64 s[64:65], s[54:55]
	s_mov_b64 s[66:67], s[62:63]
	s_and_saveexec_b64 s[68:69], vcc
	s_xor_b64 s[68:69], exec, s[68:69]
	s_cbranch_execz .LBB297_2819
; %bb.2816:
	v_cmp_eq_u16_e32 vcc, 15, v1
	s_mov_b64 s[64:65], -1
	s_mov_b64 s[70:71], s[62:63]
	s_and_saveexec_b64 s[66:67], vcc
	s_cbranch_execz .LBB297_2818
; %bb.2817:
	v_cndmask_b32_e64 v1, 0, 1.0, s[30:31]
	v_bfe_u32 v5, v1, 16, 1
	s_movk_i32 s33, 0x7fff
	v_add3_u32 v1, v1, v5, s33
	flat_store_short_d16_hi v[3:4], v1
	s_or_b64 s[70:71], s[62:63], exec
	s_xor_b64 s[64:65], exec, -1
.LBB297_2818:
	s_or_b64 exec, exec, s[66:67]
	s_andn2_b64 s[66:67], s[62:63], exec
	s_and_b64 s[70:71], s[70:71], exec
	s_or_b64 s[66:67], s[66:67], s[70:71]
	s_andn2_b64 s[70:71], s[54:55], exec
	s_and_b64 s[64:65], s[64:65], exec
	s_or_b64 s[64:65], s[70:71], s[64:65]
                                        ; implicit-def: $vgpr1
.LBB297_2819:
	s_or_saveexec_b64 s[68:69], s[68:69]
	s_mov_b64 s[70:71], 0
	s_xor_b64 exec, exec, s[68:69]
; %bb.2820:
	v_cmp_ne_u16_e32 vcc, 11, v1
	s_andn2_b64 s[64:65], s[64:65], exec
	s_and_b64 s[72:73], vcc, exec
	s_mov_b64 s[70:71], exec
	s_or_b64 s[64:65], s[64:65], s[72:73]
; %bb.2821:
	s_or_b64 exec, exec, s[68:69]
	s_andn2_b64 s[62:63], s[62:63], exec
	s_and_b64 s[66:67], s[66:67], exec
	s_andn2_b64 s[68:69], s[54:55], exec
	s_and_b64 s[64:65], s[64:65], exec
	s_or_b64 s[62:63], s[62:63], s[66:67]
	s_and_b64 s[66:67], s[70:71], exec
	s_or_b64 s[64:65], s[68:69], s[64:65]
.LBB297_2822:
	s_or_b64 exec, exec, s[58:59]
	s_andn2_b64 s[4:5], s[4:5], exec
	s_and_b64 s[58:59], s[62:63], exec
	s_andn2_b64 s[54:55], s[54:55], exec
	s_and_b64 s[62:63], s[64:65], exec
	s_or_b64 s[4:5], s[4:5], s[58:59]
	s_and_b64 s[58:59], s[66:67], exec
	s_or_b64 s[54:55], s[54:55], s[62:63]
	s_or_b64 exec, exec, s[60:61]
	s_mov_b64 s[60:61], s[52:53]
	s_and_saveexec_b64 s[62:63], s[54:55]
	s_cbranch_execz .LBB297_1849
.LBB297_2823:
	s_trap 2
	s_or_b64 s[60:61], s[52:53], exec
	s_andn2_b64 s[58:59], s[58:59], exec
	s_or_b64 exec, exec, s[62:63]
	s_and_saveexec_b64 s[54:55], s[58:59]
	s_xor_b64 s[54:55], exec, s[54:55]
	s_cbranch_execnz .LBB297_1850
	s_branch .LBB297_1851
.LBB297_2824:
	s_andn2_saveexec_b64 s[50:51], s[4:5]
	s_cbranch_execz .LBB297_2321
.LBB297_2825:
	s_mov_b32 s4, 0x46000000
	v_add_f32_e64 v14, |v10|, s4
	v_and_b32_e32 v15, 0xff, v14
	v_cmp_ne_u32_e64 s[4:5], 0, v15
	s_andn2_b64 s[48:49], s[48:49], exec
	s_and_b64 s[4:5], s[4:5], exec
	s_or_b64 s[48:49], s[48:49], s[4:5]
	s_or_b64 exec, exec, s[50:51]
	v_mov_b32_e32 v14, 0
	s_and_saveexec_b64 s[4:5], s[48:49]
	s_cbranch_execnz .LBB297_2322
	s_branch .LBB297_2323
.LBB297_2826:
	s_andn2_saveexec_b64 s[50:51], s[4:5]
	s_cbranch_execz .LBB297_2329
.LBB297_2827:
	s_mov_b32 s4, 0x46000000
	v_add_f32_e64 v14, |v10|, s4
	v_and_b32_e32 v15, 0xff, v14
	v_cmp_ne_u32_e64 s[4:5], 0, v15
	s_andn2_b64 s[48:49], s[48:49], exec
	s_and_b64 s[4:5], s[4:5], exec
	s_or_b64 s[48:49], s[48:49], s[4:5]
	s_or_b64 exec, exec, s[50:51]
	v_mov_b32_e32 v14, 0
	s_and_saveexec_b64 s[4:5], s[48:49]
	s_cbranch_execnz .LBB297_2330
	s_branch .LBB297_2331
.LBB297_2828:
	s_andn2_saveexec_b64 s[52:53], s[4:5]
	s_cbranch_execz .LBB297_2349
.LBB297_2829:
	s_mov_b32 s4, 0x46000000
	v_add_f32_e64 v14, |v16|, s4
	v_and_b32_e32 v15, 0xff, v14
	v_cmp_ne_u32_e64 s[4:5], 0, v15
	s_andn2_b64 s[50:51], s[50:51], exec
	s_and_b64 s[4:5], s[4:5], exec
	s_or_b64 s[50:51], s[50:51], s[4:5]
	s_or_b64 exec, exec, s[52:53]
	v_mov_b32_e32 v14, 0
	s_and_saveexec_b64 s[4:5], s[50:51]
	s_cbranch_execnz .LBB297_2350
	s_branch .LBB297_2351
.LBB297_2830:
	s_or_saveexec_b64 s[52:53], s[52:53]
	v_mov_b32_e32 v13, 0x7f800001
	s_xor_b64 exec, exec, s[52:53]
	s_cbranch_execz .LBB297_2401
.LBB297_2831:
	v_cmp_ne_u16_e64 s[4:5], 0, v12
	s_andn2_b64 s[50:51], s[50:51], exec
	s_and_b64 s[4:5], s[4:5], exec
	v_mov_b32_e32 v13, 0
	s_or_b64 s[50:51], s[50:51], s[4:5]
	s_or_b64 exec, exec, s[52:53]
	s_and_saveexec_b64 s[52:53], s[50:51]
	s_cbranch_execnz .LBB297_2402
	s_branch .LBB297_2403
.LBB297_2832:
	s_andn2_saveexec_b64 s[52:53], s[4:5]
	s_cbranch_execz .LBB297_2423
.LBB297_2833:
	s_mov_b32 s4, 0x46000000
	v_add_f32_e64 v12, |v13|, s4
	v_and_b32_e32 v15, 0xff, v12
	v_cmp_ne_u32_e64 s[4:5], 0, v15
	s_andn2_b64 s[50:51], s[50:51], exec
	s_and_b64 s[4:5], s[4:5], exec
	s_or_b64 s[50:51], s[50:51], s[4:5]
	s_or_b64 exec, exec, s[52:53]
	v_mov_b32_e32 v12, 0
	s_and_saveexec_b64 s[4:5], s[50:51]
	s_cbranch_execnz .LBB297_2424
	s_branch .LBB297_2425
.LBB297_2834:
	s_andn2_saveexec_b64 s[50:51], s[4:5]
	s_cbranch_execz .LBB297_968
.LBB297_2835:
	s_mov_b32 s4, 0x46000000
	v_add_f32_e64 v14, |v10|, s4
	v_and_b32_e32 v15, 0xff, v14
	v_cmp_ne_u32_e64 s[4:5], 0, v15
	s_andn2_b64 s[48:49], s[48:49], exec
	s_and_b64 s[4:5], s[4:5], exec
	s_or_b64 s[48:49], s[48:49], s[4:5]
	s_or_b64 exec, exec, s[50:51]
	v_mov_b32_e32 v14, 0
	s_and_saveexec_b64 s[4:5], s[48:49]
	s_cbranch_execnz .LBB297_969
	s_branch .LBB297_970
.LBB297_2836:
	s_andn2_saveexec_b64 s[54:55], s[4:5]
	s_cbranch_execz .LBB297_978
.LBB297_2837:
	v_add_f32_e32 v10, 0x46000000, v15
	v_and_b32_e32 v10, 0xff, v10
	v_cmp_ne_u32_e64 s[4:5], 0, v10
	s_andn2_b64 s[52:53], s[52:53], exec
	s_and_b64 s[4:5], s[4:5], exec
	s_or_b64 s[52:53], s[52:53], s[4:5]
	s_or_b64 exec, exec, s[54:55]
	v_mov_b32_e32 v14, 0
	s_and_saveexec_b64 s[4:5], s[52:53]
	s_cbranch_execnz .LBB297_979
	s_branch .LBB297_980
.LBB297_2838:
	s_andn2_saveexec_b64 s[56:57], s[4:5]
	s_cbranch_execz .LBB297_1167
.LBB297_2839:
	v_add_f32_e32 v12, 0x46000000, v15
	v_and_b32_e32 v13, 0xff, v12
	v_cmp_ne_u32_e64 s[4:5], 0, v13
	s_andn2_b64 s[54:55], s[54:55], exec
	s_and_b64 s[4:5], s[4:5], exec
	s_or_b64 s[54:55], s[54:55], s[4:5]
	s_or_b64 exec, exec, s[56:57]
	v_mov_b32_e32 v12, 0
	s_and_saveexec_b64 s[4:5], s[54:55]
	s_cbranch_execnz .LBB297_1168
	s_branch .LBB297_1169
.LBB297_2840:
	s_andn2_saveexec_b64 s[56:57], s[4:5]
	s_cbranch_execz .LBB297_1179
.LBB297_2841:
	v_add_f32_e32 v12, 0x46000000, v15
	v_and_b32_e32 v13, 0xff, v12
	v_cmp_ne_u32_e64 s[4:5], 0, v13
	s_andn2_b64 s[54:55], s[54:55], exec
	s_and_b64 s[4:5], s[4:5], exec
	s_or_b64 s[54:55], s[54:55], s[4:5]
	s_or_b64 exec, exec, s[56:57]
	v_mov_b32_e32 v12, 0
	s_and_saveexec_b64 s[4:5], s[54:55]
	s_cbranch_execnz .LBB297_1180
	s_branch .LBB297_1181
.LBB297_2842:
	s_andn2_saveexec_b64 s[56:57], s[4:5]
	s_cbranch_execz .LBB297_1187
.LBB297_2843:
	v_add_f32_e32 v12, 0x46000000, v15
	v_and_b32_e32 v13, 0xff, v12
	v_cmp_ne_u32_e64 s[4:5], 0, v13
	s_andn2_b64 s[54:55], s[54:55], exec
	s_and_b64 s[4:5], s[4:5], exec
	s_or_b64 s[54:55], s[54:55], s[4:5]
	s_or_b64 exec, exec, s[56:57]
	v_mov_b32_e32 v12, 0
	s_and_saveexec_b64 s[4:5], s[54:55]
	s_cbranch_execnz .LBB297_1188
	s_branch .LBB297_1189
.LBB297_2844:
	s_andn2_saveexec_b64 s[54:55], s[4:5]
	s_cbranch_execz .LBB297_1214
.LBB297_2845:
	s_mov_b32 s4, 0x46000000
	v_add_f32_e64 v11, |v10|, s4
	v_and_b32_e32 v11, 0xff, v11
	v_cmp_ne_u32_e64 s[4:5], 0, v11
	s_andn2_b64 s[52:53], s[52:53], exec
	s_and_b64 s[4:5], s[4:5], exec
	s_or_b64 s[52:53], s[52:53], s[4:5]
	s_or_b64 exec, exec, s[54:55]
	v_mov_b32_e32 v12, 0
	s_and_saveexec_b64 s[4:5], s[52:53]
	s_cbranch_execnz .LBB297_1215
	s_branch .LBB297_1216
.LBB297_2846:
	s_andn2_saveexec_b64 s[54:55], s[4:5]
	s_cbranch_execz .LBB297_1222
.LBB297_2847:
	s_mov_b32 s4, 0x46000000
	v_add_f32_e64 v11, |v10|, s4
	v_and_b32_e32 v11, 0xff, v11
	v_cmp_ne_u32_e64 s[4:5], 0, v11
	s_andn2_b64 s[52:53], s[52:53], exec
	s_and_b64 s[4:5], s[4:5], exec
	s_or_b64 s[52:53], s[52:53], s[4:5]
	s_or_b64 exec, exec, s[54:55]
	v_mov_b32_e32 v12, 0
	s_and_saveexec_b64 s[4:5], s[52:53]
	s_cbranch_execnz .LBB297_1223
	s_branch .LBB297_1224
.LBB297_2848:
	s_andn2_saveexec_b64 s[54:55], s[4:5]
	s_cbranch_execz .LBB297_1242
.LBB297_2849:
	s_mov_b32 s4, 0x46000000
	v_add_f32_e64 v11, |v10|, s4
	v_and_b32_e32 v11, 0xff, v11
	v_cmp_ne_u32_e64 s[4:5], 0, v11
	s_andn2_b64 s[52:53], s[52:53], exec
	s_and_b64 s[4:5], s[4:5], exec
	s_or_b64 s[52:53], s[52:53], s[4:5]
	s_or_b64 exec, exec, s[54:55]
	v_mov_b32_e32 v12, 0
	s_and_saveexec_b64 s[4:5], s[52:53]
	s_cbranch_execnz .LBB297_1243
	s_branch .LBB297_1244
.LBB297_2850:
	s_andn2_saveexec_b64 s[54:55], s[4:5]
	s_cbranch_execz .LBB297_1250
.LBB297_2851:
	s_mov_b32 s4, 0x46000000
	v_add_f32_e64 v11, |v10|, s4
	v_and_b32_e32 v11, 0xff, v11
	v_cmp_ne_u32_e64 s[4:5], 0, v11
	s_andn2_b64 s[52:53], s[52:53], exec
	s_and_b64 s[4:5], s[4:5], exec
	s_or_b64 s[52:53], s[52:53], s[4:5]
	s_or_b64 exec, exec, s[54:55]
	v_mov_b32_e32 v12, 0
	s_and_saveexec_b64 s[4:5], s[52:53]
	s_cbranch_execnz .LBB297_1251
	s_branch .LBB297_1252
.LBB297_2852:
	s_andn2_saveexec_b64 s[54:55], s[4:5]
	s_cbranch_execz .LBB297_1272
.LBB297_2853:
	s_mov_b32 s4, 0x46000000
	v_add_f32_e64 v11, |v10|, s4
	v_and_b32_e32 v11, 0xff, v11
	v_cmp_ne_u32_e64 s[4:5], 0, v11
	s_andn2_b64 s[52:53], s[52:53], exec
	s_and_b64 s[4:5], s[4:5], exec
	s_or_b64 s[52:53], s[52:53], s[4:5]
	s_or_b64 exec, exec, s[54:55]
	v_mov_b32_e32 v12, 0
	s_and_saveexec_b64 s[4:5], s[52:53]
	s_cbranch_execnz .LBB297_1273
	s_branch .LBB297_1274
.LBB297_2854:
	s_andn2_saveexec_b64 s[54:55], s[4:5]
	s_cbranch_execz .LBB297_1280
.LBB297_2855:
	s_mov_b32 s4, 0x46000000
	v_add_f32_e64 v11, |v10|, s4
	v_and_b32_e32 v11, 0xff, v11
	v_cmp_ne_u32_e64 s[4:5], 0, v11
	s_andn2_b64 s[52:53], s[52:53], exec
	s_and_b64 s[4:5], s[4:5], exec
	s_or_b64 s[52:53], s[52:53], s[4:5]
	s_or_b64 exec, exec, s[54:55]
	v_mov_b32_e32 v12, 0
	s_and_saveexec_b64 s[4:5], s[52:53]
	s_cbranch_execnz .LBB297_1281
	s_branch .LBB297_1282
.LBB297_2856:
	s_andn2_saveexec_b64 s[58:59], s[4:5]
	s_cbranch_execz .LBB297_1437
.LBB297_2857:
	s_mov_b32 s4, 0x46000000
	v_add_f32_e64 v8, |v3|, s4
	v_and_b32_e32 v8, 0xff, v8
	v_cmp_ne_u32_e64 s[4:5], 0, v8
	s_andn2_b64 s[56:57], s[56:57], exec
	s_and_b64 s[4:5], s[4:5], exec
	s_or_b64 s[56:57], s[56:57], s[4:5]
	s_or_b64 exec, exec, s[58:59]
	v_mov_b32_e32 v10, 0
	s_and_saveexec_b64 s[4:5], s[56:57]
	s_cbranch_execnz .LBB297_1438
	s_branch .LBB297_1439
.LBB297_2858:
	s_andn2_saveexec_b64 s[58:59], s[4:5]
	s_cbranch_execz .LBB297_1465
.LBB297_2859:
	s_mov_b32 s4, 0x46000000
	v_add_f32_e64 v8, |v3|, s4
	v_and_b32_e32 v8, 0xff, v8
	v_cmp_ne_u32_e64 s[4:5], 0, v8
	s_andn2_b64 s[56:57], s[56:57], exec
	s_and_b64 s[4:5], s[4:5], exec
	s_or_b64 s[56:57], s[56:57], s[4:5]
	s_or_b64 exec, exec, s[58:59]
	v_mov_b32_e32 v10, 0
	s_and_saveexec_b64 s[4:5], s[56:57]
	s_cbranch_execnz .LBB297_1466
	s_branch .LBB297_1467
.LBB297_2860:
	s_andn2_saveexec_b64 s[58:59], s[4:5]
	s_cbranch_execz .LBB297_1495
.LBB297_2861:
	s_mov_b32 s4, 0x46000000
	v_add_f32_e64 v8, |v3|, s4
	v_and_b32_e32 v8, 0xff, v8
	v_cmp_ne_u32_e64 s[4:5], 0, v8
	s_andn2_b64 s[56:57], s[56:57], exec
	s_and_b64 s[4:5], s[4:5], exec
	s_or_b64 s[56:57], s[56:57], s[4:5]
	s_or_b64 exec, exec, s[58:59]
	v_mov_b32_e32 v10, 0
	s_and_saveexec_b64 s[4:5], s[56:57]
	s_cbranch_execnz .LBB297_1496
	s_branch .LBB297_1497
.LBB297_2862:
	s_andn2_saveexec_b64 s[58:59], s[4:5]
	s_cbranch_execz .LBB297_1505
.LBB297_2863:
	s_mov_b32 s4, 0x46000000
	v_add_f32_e64 v8, |v3|, s4
	v_and_b32_e32 v8, 0xff, v8
	v_cmp_ne_u32_e64 s[4:5], 0, v8
	s_andn2_b64 s[56:57], s[56:57], exec
	s_and_b64 s[4:5], s[4:5], exec
	s_or_b64 s[56:57], s[56:57], s[4:5]
	s_or_b64 exec, exec, s[58:59]
	v_mov_b32_e32 v10, 0
	s_and_saveexec_b64 s[4:5], s[56:57]
	s_cbranch_execnz .LBB297_1506
	s_branch .LBB297_1507
.LBB297_2864:
	s_andn2_saveexec_b64 s[58:59], s[4:5]
	s_cbranch_execz .LBB297_1513
.LBB297_2865:
	v_add_f32_e32 v3, 0x46000000, v8
	v_and_b32_e32 v3, 0xff, v3
	v_cmp_ne_u32_e64 s[4:5], 0, v3
	s_andn2_b64 s[56:57], s[56:57], exec
	s_and_b64 s[4:5], s[4:5], exec
	s_or_b64 s[56:57], s[56:57], s[4:5]
	s_or_b64 exec, exec, s[58:59]
	v_mov_b32_e32 v10, 0
	s_and_saveexec_b64 s[4:5], s[56:57]
	s_cbranch_execnz .LBB297_1514
	s_branch .LBB297_1515
.LBB297_2866:
	s_andn2_saveexec_b64 s[62:63], s[62:63]
	s_cbranch_execz .LBB297_1932
.LBB297_2867:
	v_cmp_lt_i16_e32 vcc, 22, v3
	s_mov_b64 s[64:65], s[4:5]
	s_and_saveexec_b64 s[60:61], vcc
	s_xor_b64 s[60:61], exec, s[60:61]
	s_cbranch_execz .LBB297_2899
; %bb.2868:
	v_cmp_lt_i16_e32 vcc, 23, v3
	s_and_saveexec_b64 s[64:65], vcc
	s_xor_b64 s[64:65], exec, s[64:65]
	s_cbranch_execz .LBB297_2888
; %bb.2869:
	v_cmp_lt_i16_e32 vcc, 24, v3
	s_and_saveexec_b64 s[66:67], vcc
	s_xor_b64 s[66:67], exec, s[66:67]
	s_cbranch_execz .LBB297_2877
; %bb.2870:
	v_cndmask_b32_e64 v4, 0, 1.0, s[40:41]
	s_mov_b32 s33, 0x47800000
	v_cmp_gt_u32_e32 vcc, s33, v4
	v_mov_b32_e32 v5, 0x80
	s_and_saveexec_b64 s[68:69], vcc
	s_cbranch_execz .LBB297_2876
; %bb.2871:
	s_mov_b32 s33, 0x37ffffff
	v_cmp_lt_u32_e32 vcc, s33, v4
	s_mov_b64 s[70:71], 0
                                        ; implicit-def: $vgpr3
	s_and_saveexec_b64 s[72:73], vcc
	s_xor_b64 s[72:73], exec, s[72:73]
	s_cbranch_execz .LBB297_3048
; %bb.2872:
	v_bfe_u32 v3, v4, 21, 1
	s_mov_b32 s33, 0x88fffff
	v_add3_u32 v3, v4, v3, s33
	s_mov_b64 s[70:71], exec
	v_lshrrev_b32_e32 v3, 21, v3
                                        ; implicit-def: $vgpr4
	s_andn2_saveexec_b64 s[72:73], s[72:73]
	s_cbranch_execnz .LBB297_3049
.LBB297_2873:
	s_or_b64 exec, exec, s[72:73]
	v_mov_b32_e32 v5, 0
	s_and_saveexec_b64 s[72:73], s[70:71]
.LBB297_2874:
	v_mov_b32_e32 v5, v3
.LBB297_2875:
	s_or_b64 exec, exec, s[72:73]
.LBB297_2876:
	s_or_b64 exec, exec, s[68:69]
	flat_store_byte v[1:2], v5
.LBB297_2877:
	s_andn2_saveexec_b64 s[66:67], s[66:67]
	s_cbranch_execz .LBB297_2887
; %bb.2878:
	v_cndmask_b32_e64 v3, 0, 1.0, s[40:41]
	s_mov_b32 s33, 0x43f00000
	v_cmp_gt_u32_e32 vcc, s33, v3
                                        ; implicit-def: $vgpr4
	s_and_saveexec_b64 s[68:69], vcc
	s_xor_b64 s[68:69], exec, s[68:69]
	s_cbranch_execz .LBB297_2884
; %bb.2879:
	s_mov_b32 s33, 0x3c7fffff
	v_cmp_lt_u32_e32 vcc, s33, v3
                                        ; implicit-def: $vgpr4
	s_and_saveexec_b64 s[70:71], vcc
	s_xor_b64 s[70:71], exec, s[70:71]
; %bb.2880:
	v_bfe_u32 v4, v3, 20, 1
	s_mov_b32 s33, 0x407ffff
	v_add3_u32 v3, v3, v4, s33
	v_lshrrev_b32_e32 v4, 20, v3
	v_and_b32_e32 v3, 0xff00000, v3
	s_mov_b32 s33, 0x7f00000
	v_mov_b32_e32 v5, 0x7e
	v_cmp_ne_u32_e32 vcc, s33, v3
	v_cndmask_b32_e32 v4, v5, v4, vcc
                                        ; implicit-def: $vgpr3
; %bb.2881:
	s_andn2_saveexec_b64 s[70:71], s[70:71]
; %bb.2882:
	v_add_f32_e32 v4, 0x46800000, v3
; %bb.2883:
	s_or_b64 exec, exec, s[70:71]
                                        ; implicit-def: $vgpr3
.LBB297_2884:
	s_andn2_saveexec_b64 s[68:69], s[68:69]
; %bb.2885:
	s_mov_b32 s33, 0x7f800000
	v_mov_b32_e32 v4, 0x7e
	v_mov_b32_e32 v5, 0x7f
	v_cmp_lt_u32_e32 vcc, s33, v3
	v_cndmask_b32_e32 v4, v4, v5, vcc
; %bb.2886:
	s_or_b64 exec, exec, s[68:69]
	flat_store_byte v[1:2], v4
.LBB297_2887:
	s_or_b64 exec, exec, s[66:67]
.LBB297_2888:
	s_andn2_saveexec_b64 s[64:65], s[64:65]
	s_cbranch_execz .LBB297_2898
; %bb.2889:
	v_cndmask_b32_e64 v3, 0, 1.0, s[40:41]
	s_mov_b32 s33, 0x47800000
	v_cmp_gt_u32_e32 vcc, s33, v3
                                        ; implicit-def: $vgpr4
	s_and_saveexec_b64 s[66:67], vcc
	s_xor_b64 s[66:67], exec, s[66:67]
	s_cbranch_execz .LBB297_2895
; %bb.2890:
	s_mov_b32 s33, 0x387fffff
	v_cmp_lt_u32_e32 vcc, s33, v3
                                        ; implicit-def: $vgpr4
	s_and_saveexec_b64 s[68:69], vcc
	s_xor_b64 s[68:69], exec, s[68:69]
; %bb.2891:
	v_bfe_u32 v4, v3, 21, 1
	s_mov_b32 s33, 0x80fffff
	v_add3_u32 v3, v3, v4, s33
	v_lshrrev_b32_e32 v4, 21, v3
                                        ; implicit-def: $vgpr3
; %bb.2892:
	s_andn2_saveexec_b64 s[68:69], s[68:69]
; %bb.2893:
	v_add_f32_e32 v4, 0x43000000, v3
; %bb.2894:
	s_or_b64 exec, exec, s[68:69]
                                        ; implicit-def: $vgpr3
.LBB297_2895:
	s_andn2_saveexec_b64 s[66:67], s[66:67]
; %bb.2896:
	s_mov_b32 s33, 0x7f800000
	v_mov_b32_e32 v4, 0x7c
	v_mov_b32_e32 v5, 0x7f
	v_cmp_lt_u32_e32 vcc, s33, v3
	v_cndmask_b32_e32 v4, v4, v5, vcc
; %bb.2897:
	s_or_b64 exec, exec, s[66:67]
	flat_store_byte v[1:2], v4
.LBB297_2898:
	s_or_b64 exec, exec, s[64:65]
	s_or_b64 s[64:65], s[4:5], exec
                                        ; implicit-def: $vgpr3
.LBB297_2899:
	s_or_saveexec_b64 s[60:61], s[60:61]
	s_mov_b64 s[68:69], 0
	s_mov_b64 s[66:67], s[56:57]
	s_xor_b64 exec, exec, s[60:61]
	s_cbranch_execz .LBB297_2907
; %bb.2900:
	v_cmp_lt_i16_e32 vcc, 14, v3
	s_mov_b64 s[66:67], s[56:57]
	s_mov_b64 s[68:69], s[64:65]
	s_and_saveexec_b64 s[70:71], vcc
	s_xor_b64 s[70:71], exec, s[70:71]
	s_cbranch_execz .LBB297_2904
; %bb.2901:
	v_cmp_eq_u16_e32 vcc, 15, v3
	s_mov_b64 s[66:67], -1
	s_mov_b64 s[72:73], s[64:65]
	s_and_saveexec_b64 s[68:69], vcc
	s_cbranch_execz .LBB297_2903
; %bb.2902:
	v_cndmask_b32_e64 v3, 0, 1.0, s[40:41]
	v_bfe_u32 v4, v3, 16, 1
	s_movk_i32 s33, 0x7fff
	v_add3_u32 v3, v3, v4, s33
	flat_store_short_d16_hi v[1:2], v3
	s_or_b64 s[72:73], s[64:65], exec
	s_xor_b64 s[66:67], exec, -1
.LBB297_2903:
	s_or_b64 exec, exec, s[68:69]
	s_andn2_b64 s[68:69], s[64:65], exec
	s_and_b64 s[72:73], s[72:73], exec
	s_or_b64 s[68:69], s[68:69], s[72:73]
	s_andn2_b64 s[72:73], s[56:57], exec
	s_and_b64 s[66:67], s[66:67], exec
	s_or_b64 s[66:67], s[72:73], s[66:67]
                                        ; implicit-def: $vgpr3
.LBB297_2904:
	s_or_saveexec_b64 s[70:71], s[70:71]
	s_mov_b64 s[72:73], 0
	s_xor_b64 exec, exec, s[70:71]
; %bb.2905:
	v_cmp_ne_u16_e32 vcc, 11, v3
	s_andn2_b64 s[66:67], s[66:67], exec
	s_and_b64 s[74:75], vcc, exec
	s_mov_b64 s[72:73], exec
	s_or_b64 s[66:67], s[66:67], s[74:75]
; %bb.2906:
	s_or_b64 exec, exec, s[70:71]
	s_andn2_b64 s[64:65], s[64:65], exec
	s_and_b64 s[68:69], s[68:69], exec
	s_andn2_b64 s[70:71], s[56:57], exec
	s_and_b64 s[66:67], s[66:67], exec
	s_or_b64 s[64:65], s[64:65], s[68:69]
	s_and_b64 s[68:69], s[72:73], exec
	s_or_b64 s[66:67], s[70:71], s[66:67]
.LBB297_2907:
	s_or_b64 exec, exec, s[60:61]
	s_andn2_b64 s[4:5], s[4:5], exec
	s_and_b64 s[60:61], s[64:65], exec
	s_andn2_b64 s[56:57], s[56:57], exec
	s_and_b64 s[64:65], s[66:67], exec
	s_or_b64 s[4:5], s[4:5], s[60:61]
	s_and_b64 s[60:61], s[68:69], exec
	s_or_b64 s[56:57], s[56:57], s[64:65]
	s_or_b64 exec, exec, s[62:63]
	s_mov_b64 s[62:63], s[54:55]
	s_and_saveexec_b64 s[64:65], s[56:57]
	s_cbranch_execz .LBB297_1933
.LBB297_2908:
	s_trap 2
	s_or_b64 s[62:63], s[54:55], exec
	s_andn2_b64 s[60:61], s[60:61], exec
	s_or_b64 exec, exec, s[64:65]
	s_and_saveexec_b64 s[56:57], s[60:61]
	s_xor_b64 s[56:57], exec, s[56:57]
	s_cbranch_execnz .LBB297_1934
	s_branch .LBB297_1935
.LBB297_2909:
	s_andn2_saveexec_b64 s[54:55], s[4:5]
	s_cbranch_execz .LBB297_2406
.LBB297_2910:
	s_mov_b32 s4, 0x46000000
	v_add_f32_e64 v12, |v13|, s4
	v_and_b32_e32 v15, 0xff, v12
	v_cmp_ne_u32_e64 s[4:5], 0, v15
	s_andn2_b64 s[52:53], s[52:53], exec
	s_and_b64 s[4:5], s[4:5], exec
	s_or_b64 s[52:53], s[52:53], s[4:5]
	s_or_b64 exec, exec, s[54:55]
	v_mov_b32_e32 v12, 0
	s_and_saveexec_b64 s[4:5], s[52:53]
	s_cbranch_execnz .LBB297_2407
	s_branch .LBB297_2408
.LBB297_2911:
	s_andn2_saveexec_b64 s[54:55], s[4:5]
	s_cbranch_execz .LBB297_2414
.LBB297_2912:
	s_mov_b32 s4, 0x46000000
	v_add_f32_e64 v12, |v13|, s4
	v_and_b32_e32 v15, 0xff, v12
	v_cmp_ne_u32_e64 s[4:5], 0, v15
	s_andn2_b64 s[52:53], s[52:53], exec
	s_and_b64 s[4:5], s[4:5], exec
	s_or_b64 s[52:53], s[52:53], s[4:5]
	s_or_b64 exec, exec, s[54:55]
	v_mov_b32_e32 v12, 0
	s_and_saveexec_b64 s[4:5], s[52:53]
	s_cbranch_execnz .LBB297_2415
	s_branch .LBB297_2416
.LBB297_2913:
	s_andn2_saveexec_b64 s[56:57], s[4:5]
	s_cbranch_execz .LBB297_2434
.LBB297_2914:
	s_mov_b32 s4, 0x46000000
	v_add_f32_e64 v12, |v16|, s4
	v_and_b32_e32 v15, 0xff, v12
	v_cmp_ne_u32_e64 s[4:5], 0, v15
	s_andn2_b64 s[54:55], s[54:55], exec
	s_and_b64 s[4:5], s[4:5], exec
	s_or_b64 s[54:55], s[54:55], s[4:5]
	s_or_b64 exec, exec, s[56:57]
	v_mov_b32_e32 v12, 0
	s_and_saveexec_b64 s[4:5], s[54:55]
	s_cbranch_execnz .LBB297_2435
	s_branch .LBB297_2436
.LBB297_2915:
	s_or_saveexec_b64 s[58:59], s[58:59]
	v_mov_b32_e32 v3, 0x7f800001
	s_xor_b64 exec, exec, s[58:59]
	s_cbranch_execz .LBB297_2504
.LBB297_2916:
	v_cmp_ne_u16_e64 s[4:5], 0, v10
	s_andn2_b64 s[56:57], s[56:57], exec
	s_and_b64 s[4:5], s[4:5], exec
	v_mov_b32_e32 v3, 0
	s_or_b64 s[56:57], s[56:57], s[4:5]
	s_or_b64 exec, exec, s[58:59]
	s_and_saveexec_b64 s[58:59], s[56:57]
	s_cbranch_execnz .LBB297_2505
	s_branch .LBB297_2506
.LBB297_2917:
	s_andn2_saveexec_b64 s[58:59], s[4:5]
	s_cbranch_execz .LBB297_2526
.LBB297_2918:
	s_mov_b32 s4, 0x46000000
	v_add_f32_e64 v10, |v3|, s4
	v_and_b32_e32 v11, 0xff, v10
	v_cmp_ne_u32_e64 s[4:5], 0, v11
	s_andn2_b64 s[56:57], s[56:57], exec
	s_and_b64 s[4:5], s[4:5], exec
	s_or_b64 s[56:57], s[56:57], s[4:5]
	s_or_b64 exec, exec, s[58:59]
	v_mov_b32_e32 v10, 0
	s_and_saveexec_b64 s[4:5], s[56:57]
	s_cbranch_execnz .LBB297_2527
	s_branch .LBB297_2528
.LBB297_2919:
	s_andn2_saveexec_b64 s[54:55], s[4:5]
	s_cbranch_execz .LBB297_1146
.LBB297_2920:
	s_mov_b32 s4, 0x46000000
	v_add_f32_e64 v12, |v13|, s4
	v_and_b32_e32 v15, 0xff, v12
	v_cmp_ne_u32_e64 s[4:5], 0, v15
	s_andn2_b64 s[52:53], s[52:53], exec
	s_and_b64 s[4:5], s[4:5], exec
	s_or_b64 s[52:53], s[52:53], s[4:5]
	s_or_b64 exec, exec, s[54:55]
	v_mov_b32_e32 v12, 0
	s_and_saveexec_b64 s[4:5], s[52:53]
	s_cbranch_execnz .LBB297_1147
	s_branch .LBB297_1148
.LBB297_2921:
	s_andn2_saveexec_b64 s[58:59], s[4:5]
	s_cbranch_execz .LBB297_1156
.LBB297_2922:
	v_add_f32_e32 v12, 0x46000000, v15
	v_and_b32_e32 v13, 0xff, v12
	v_cmp_ne_u32_e64 s[4:5], 0, v13
	s_andn2_b64 s[56:57], s[56:57], exec
	s_and_b64 s[4:5], s[4:5], exec
	s_or_b64 s[56:57], s[56:57], s[4:5]
	s_or_b64 exec, exec, s[58:59]
	v_mov_b32_e32 v12, 0
	s_and_saveexec_b64 s[4:5], s[56:57]
	s_cbranch_execnz .LBB297_1157
	s_branch .LBB297_1158
.LBB297_2923:
	s_andn2_saveexec_b64 s[62:63], s[4:5]
	s_cbranch_execz .LBB297_1373
.LBB297_2924:
	v_add_f32_e32 v3, 0x46000000, v11
	v_and_b32_e32 v3, 0xff, v3
	v_cmp_ne_u32_e64 s[4:5], 0, v3
	s_andn2_b64 s[60:61], s[60:61], exec
	s_and_b64 s[4:5], s[4:5], exec
	s_or_b64 s[60:61], s[60:61], s[4:5]
	s_or_b64 exec, exec, s[62:63]
	v_mov_b32_e32 v10, 0
	s_and_saveexec_b64 s[4:5], s[60:61]
	s_cbranch_execnz .LBB297_1374
	s_branch .LBB297_1375
.LBB297_2925:
	s_andn2_saveexec_b64 s[62:63], s[4:5]
	s_cbranch_execz .LBB297_1385
.LBB297_2926:
	v_add_f32_e32 v3, 0x46000000, v11
	v_and_b32_e32 v3, 0xff, v3
	v_cmp_ne_u32_e64 s[4:5], 0, v3
	s_andn2_b64 s[60:61], s[60:61], exec
	s_and_b64 s[4:5], s[4:5], exec
	s_or_b64 s[60:61], s[60:61], s[4:5]
	s_or_b64 exec, exec, s[62:63]
	v_mov_b32_e32 v10, 0
	s_and_saveexec_b64 s[4:5], s[60:61]
	s_cbranch_execnz .LBB297_1386
	s_branch .LBB297_1387
.LBB297_2927:
	s_andn2_saveexec_b64 s[62:63], s[4:5]
	s_cbranch_execz .LBB297_1393
.LBB297_2928:
	v_add_f32_e32 v3, 0x46000000, v11
	v_and_b32_e32 v3, 0xff, v3
	v_cmp_ne_u32_e64 s[4:5], 0, v3
	s_andn2_b64 s[60:61], s[60:61], exec
	s_and_b64 s[4:5], s[4:5], exec
	s_or_b64 s[60:61], s[60:61], s[4:5]
	s_or_b64 exec, exec, s[62:63]
	v_mov_b32_e32 v10, 0
	s_and_saveexec_b64 s[4:5], s[60:61]
	s_cbranch_execnz .LBB297_1394
	s_branch .LBB297_1395
.LBB297_2929:
	s_andn2_saveexec_b64 s[60:61], s[4:5]
	s_cbranch_execz .LBB297_1420
.LBB297_2930:
	s_mov_b32 s4, 0x46000000
	v_add_f32_e64 v8, |v3|, s4
	v_and_b32_e32 v8, 0xff, v8
	v_cmp_ne_u32_e64 s[4:5], 0, v8
	s_andn2_b64 s[58:59], s[58:59], exec
	s_and_b64 s[4:5], s[4:5], exec
	s_or_b64 s[58:59], s[58:59], s[4:5]
	s_or_b64 exec, exec, s[60:61]
	v_mov_b32_e32 v10, 0
	s_and_saveexec_b64 s[4:5], s[58:59]
	s_cbranch_execnz .LBB297_1421
	s_branch .LBB297_1422
.LBB297_2931:
	s_andn2_saveexec_b64 s[60:61], s[4:5]
	s_cbranch_execz .LBB297_1428
.LBB297_2932:
	s_mov_b32 s4, 0x46000000
	v_add_f32_e64 v8, |v3|, s4
	v_and_b32_e32 v8, 0xff, v8
	v_cmp_ne_u32_e64 s[4:5], 0, v8
	s_andn2_b64 s[58:59], s[58:59], exec
	s_and_b64 s[4:5], s[4:5], exec
	s_or_b64 s[58:59], s[58:59], s[4:5]
	s_or_b64 exec, exec, s[60:61]
	v_mov_b32_e32 v10, 0
	s_and_saveexec_b64 s[4:5], s[58:59]
	s_cbranch_execnz .LBB297_1429
	s_branch .LBB297_1430
.LBB297_2933:
	s_andn2_saveexec_b64 s[60:61], s[4:5]
	s_cbranch_execz .LBB297_1448
.LBB297_2934:
	s_mov_b32 s4, 0x46000000
	v_add_f32_e64 v8, |v3|, s4
	v_and_b32_e32 v8, 0xff, v8
	v_cmp_ne_u32_e64 s[4:5], 0, v8
	s_andn2_b64 s[58:59], s[58:59], exec
	s_and_b64 s[4:5], s[4:5], exec
	s_or_b64 s[58:59], s[58:59], s[4:5]
	s_or_b64 exec, exec, s[60:61]
	v_mov_b32_e32 v10, 0
	s_and_saveexec_b64 s[4:5], s[58:59]
	s_cbranch_execnz .LBB297_1449
	s_branch .LBB297_1450
.LBB297_2935:
	s_andn2_saveexec_b64 s[60:61], s[4:5]
	s_cbranch_execz .LBB297_1456
.LBB297_2936:
	s_mov_b32 s4, 0x46000000
	v_add_f32_e64 v8, |v3|, s4
	v_and_b32_e32 v8, 0xff, v8
	v_cmp_ne_u32_e64 s[4:5], 0, v8
	s_andn2_b64 s[58:59], s[58:59], exec
	s_and_b64 s[4:5], s[4:5], exec
	s_or_b64 s[58:59], s[58:59], s[4:5]
	s_or_b64 exec, exec, s[60:61]
	v_mov_b32_e32 v10, 0
	s_and_saveexec_b64 s[4:5], s[58:59]
	s_cbranch_execnz .LBB297_1457
	s_branch .LBB297_1458
.LBB297_2937:
	s_andn2_saveexec_b64 s[60:61], s[4:5]
	s_cbranch_execz .LBB297_1478
.LBB297_2938:
	s_mov_b32 s4, 0x46000000
	v_add_f32_e64 v8, |v3|, s4
	v_and_b32_e32 v8, 0xff, v8
	v_cmp_ne_u32_e64 s[4:5], 0, v8
	s_andn2_b64 s[58:59], s[58:59], exec
	s_and_b64 s[4:5], s[4:5], exec
	s_or_b64 s[58:59], s[58:59], s[4:5]
	s_or_b64 exec, exec, s[60:61]
	v_mov_b32_e32 v10, 0
	s_and_saveexec_b64 s[4:5], s[58:59]
	s_cbranch_execnz .LBB297_1479
	s_branch .LBB297_1480
.LBB297_2939:
	s_andn2_saveexec_b64 s[60:61], s[4:5]
	s_cbranch_execz .LBB297_1486
.LBB297_2940:
	s_mov_b32 s4, 0x46000000
	v_add_f32_e64 v8, |v3|, s4
	v_and_b32_e32 v8, 0xff, v8
	v_cmp_ne_u32_e64 s[4:5], 0, v8
	s_andn2_b64 s[58:59], s[58:59], exec
	s_and_b64 s[4:5], s[4:5], exec
	s_or_b64 s[58:59], s[58:59], s[4:5]
	s_or_b64 exec, exec, s[60:61]
	v_mov_b32_e32 v10, 0
	s_and_saveexec_b64 s[4:5], s[58:59]
	s_cbranch_execnz .LBB297_1487
	s_branch .LBB297_1488
.LBB297_2941:
	s_andn2_saveexec_b64 s[62:63], s[4:5]
	s_cbranch_execz .LBB297_1615
.LBB297_2942:
	s_mov_b32 s4, 0x46000000
	v_add_f32_e64 v3, |v1|, s4
	v_and_b32_e32 v5, 0xff, v3
	v_cmp_ne_u32_e64 s[4:5], 0, v5
	s_andn2_b64 s[60:61], s[60:61], exec
	s_and_b64 s[4:5], s[4:5], exec
	s_or_b64 s[60:61], s[60:61], s[4:5]
	s_or_b64 exec, exec, s[62:63]
	v_mov_b32_e32 v3, 0
	s_and_saveexec_b64 s[4:5], s[60:61]
	s_cbranch_execnz .LBB297_1616
	s_branch .LBB297_1617
.LBB297_2943:
	s_andn2_saveexec_b64 s[62:63], s[4:5]
	s_cbranch_execz .LBB297_1643
.LBB297_2944:
	s_mov_b32 s4, 0x46000000
	v_add_f32_e64 v3, |v1|, s4
	v_and_b32_e32 v5, 0xff, v3
	v_cmp_ne_u32_e64 s[4:5], 0, v5
	s_andn2_b64 s[60:61], s[60:61], exec
	s_and_b64 s[4:5], s[4:5], exec
	s_or_b64 s[60:61], s[60:61], s[4:5]
	s_or_b64 exec, exec, s[62:63]
	v_mov_b32_e32 v3, 0
	s_and_saveexec_b64 s[4:5], s[60:61]
	s_cbranch_execnz .LBB297_1644
	s_branch .LBB297_1645
.LBB297_2945:
	s_andn2_saveexec_b64 s[62:63], s[4:5]
	s_cbranch_execz .LBB297_1673
.LBB297_2946:
	s_mov_b32 s4, 0x46000000
	v_add_f32_e64 v3, |v1|, s4
	v_and_b32_e32 v5, 0xff, v3
	v_cmp_ne_u32_e64 s[4:5], 0, v5
	s_andn2_b64 s[60:61], s[60:61], exec
	s_and_b64 s[4:5], s[4:5], exec
	s_or_b64 s[60:61], s[60:61], s[4:5]
	s_or_b64 exec, exec, s[62:63]
	v_mov_b32_e32 v3, 0
	s_and_saveexec_b64 s[4:5], s[60:61]
	s_cbranch_execnz .LBB297_1674
	s_branch .LBB297_1675
.LBB297_2947:
	s_andn2_saveexec_b64 s[62:63], s[4:5]
	s_cbranch_execz .LBB297_1683
.LBB297_2948:
	s_mov_b32 s4, 0x46000000
	v_add_f32_e64 v3, |v1|, s4
	v_and_b32_e32 v5, 0xff, v3
	v_cmp_ne_u32_e64 s[4:5], 0, v5
	s_andn2_b64 s[60:61], s[60:61], exec
	s_and_b64 s[4:5], s[4:5], exec
	s_or_b64 s[60:61], s[60:61], s[4:5]
	s_or_b64 exec, exec, s[62:63]
	v_mov_b32_e32 v3, 0
	s_and_saveexec_b64 s[4:5], s[60:61]
	s_cbranch_execnz .LBB297_1684
	s_branch .LBB297_1685
.LBB297_2949:
	s_andn2_saveexec_b64 s[62:63], s[4:5]
	s_cbranch_execz .LBB297_1691
.LBB297_2950:
	v_add_f32_e32 v1, 0x46000000, v5
	v_and_b32_e32 v1, 0xff, v1
	v_cmp_ne_u32_e64 s[4:5], 0, v1
	s_andn2_b64 s[60:61], s[60:61], exec
	s_and_b64 s[4:5], s[4:5], exec
	s_or_b64 s[60:61], s[60:61], s[4:5]
	s_or_b64 exec, exec, s[62:63]
	v_mov_b32_e32 v3, 0
	s_and_saveexec_b64 s[4:5], s[60:61]
	s_cbranch_execnz .LBB297_1692
	s_branch .LBB297_1693
.LBB297_2951:
	s_andn2_saveexec_b64 s[60:61], s[60:61]
	s_cbranch_execz .LBB297_2016
.LBB297_2952:
	v_cmp_lt_i16_e32 vcc, 22, v16
	s_and_saveexec_b64 s[62:63], vcc
	s_xor_b64 s[62:63], exec, s[62:63]
	s_cbranch_execz .LBB297_2984
; %bb.2953:
	v_cmp_lt_i16_e32 vcc, 23, v16
	s_and_saveexec_b64 s[64:65], vcc
	s_xor_b64 s[64:65], exec, s[64:65]
	s_cbranch_execz .LBB297_2973
; %bb.2954:
	;; [unrolled: 5-line block ×3, first 2 shown]
	v_cndmask_b32_e64 v1, 0, 1.0, s[48:49]
	s_mov_b32 s33, 0x47800000
	v_cmp_gt_u32_e32 vcc, s33, v1
	v_mov_b32_e32 v2, 0x80
	s_and_saveexec_b64 s[68:69], vcc
	s_cbranch_execz .LBB297_2961
; %bb.2956:
	s_mov_b32 s33, 0x37ffffff
	v_cmp_lt_u32_e32 vcc, s33, v1
	s_mov_b64 s[70:71], 0
                                        ; implicit-def: $vgpr0
	s_and_saveexec_b64 s[72:73], vcc
	s_xor_b64 s[72:73], exec, s[72:73]
	s_cbranch_execz .LBB297_3050
; %bb.2957:
	v_bfe_u32 v0, v1, 21, 1
	s_mov_b32 s33, 0x88fffff
	v_add3_u32 v0, v1, v0, s33
	s_mov_b64 s[70:71], exec
	v_lshrrev_b32_e32 v0, 21, v0
                                        ; implicit-def: $vgpr1
	s_andn2_saveexec_b64 s[72:73], s[72:73]
	s_cbranch_execnz .LBB297_3051
.LBB297_2958:
	s_or_b64 exec, exec, s[72:73]
	v_mov_b32_e32 v2, 0
	s_and_saveexec_b64 s[72:73], s[70:71]
.LBB297_2959:
	v_mov_b32_e32 v2, v0
.LBB297_2960:
	s_or_b64 exec, exec, s[72:73]
.LBB297_2961:
	s_or_b64 exec, exec, s[68:69]
	flat_store_byte v[21:22], v2
.LBB297_2962:
	s_andn2_saveexec_b64 s[66:67], s[66:67]
	s_cbranch_execz .LBB297_2972
; %bb.2963:
	v_cndmask_b32_e64 v0, 0, 1.0, s[48:49]
	s_mov_b32 s33, 0x43f00000
	v_cmp_gt_u32_e32 vcc, s33, v0
                                        ; implicit-def: $vgpr1
	s_and_saveexec_b64 s[68:69], vcc
	s_xor_b64 s[68:69], exec, s[68:69]
	s_cbranch_execz .LBB297_2969
; %bb.2964:
	s_mov_b32 s33, 0x3c7fffff
	v_cmp_lt_u32_e32 vcc, s33, v0
                                        ; implicit-def: $vgpr1
	s_and_saveexec_b64 s[70:71], vcc
	s_xor_b64 s[70:71], exec, s[70:71]
; %bb.2965:
	v_bfe_u32 v1, v0, 20, 1
	s_mov_b32 s33, 0x407ffff
	v_add3_u32 v0, v0, v1, s33
	v_lshrrev_b32_e32 v1, 20, v0
	v_and_b32_e32 v0, 0xff00000, v0
	s_mov_b32 s33, 0x7f00000
	v_mov_b32_e32 v2, 0x7e
	v_cmp_ne_u32_e32 vcc, s33, v0
	v_cndmask_b32_e32 v1, v2, v1, vcc
                                        ; implicit-def: $vgpr0
; %bb.2966:
	s_andn2_saveexec_b64 s[70:71], s[70:71]
; %bb.2967:
	v_add_f32_e32 v1, 0x46800000, v0
; %bb.2968:
	s_or_b64 exec, exec, s[70:71]
                                        ; implicit-def: $vgpr0
.LBB297_2969:
	s_andn2_saveexec_b64 s[68:69], s[68:69]
; %bb.2970:
	s_mov_b32 s33, 0x7f800000
	v_mov_b32_e32 v1, 0x7e
	v_mov_b32_e32 v2, 0x7f
	v_cmp_lt_u32_e32 vcc, s33, v0
	v_cndmask_b32_e32 v1, v1, v2, vcc
; %bb.2971:
	s_or_b64 exec, exec, s[68:69]
	flat_store_byte v[21:22], v1
.LBB297_2972:
	s_or_b64 exec, exec, s[66:67]
.LBB297_2973:
	s_andn2_saveexec_b64 s[64:65], s[64:65]
	s_cbranch_execz .LBB297_2983
; %bb.2974:
	v_cndmask_b32_e64 v0, 0, 1.0, s[48:49]
	s_mov_b32 s33, 0x47800000
	v_cmp_gt_u32_e32 vcc, s33, v0
                                        ; implicit-def: $vgpr1
	s_and_saveexec_b64 s[66:67], vcc
	s_xor_b64 s[66:67], exec, s[66:67]
	s_cbranch_execz .LBB297_2980
; %bb.2975:
	s_mov_b32 s33, 0x387fffff
	v_cmp_lt_u32_e32 vcc, s33, v0
                                        ; implicit-def: $vgpr1
	s_and_saveexec_b64 s[68:69], vcc
	s_xor_b64 s[68:69], exec, s[68:69]
; %bb.2976:
	v_bfe_u32 v1, v0, 21, 1
	s_mov_b32 s33, 0x80fffff
	v_add3_u32 v0, v0, v1, s33
	v_lshrrev_b32_e32 v1, 21, v0
                                        ; implicit-def: $vgpr0
; %bb.2977:
	s_andn2_saveexec_b64 s[68:69], s[68:69]
; %bb.2978:
	v_add_f32_e32 v1, 0x43000000, v0
; %bb.2979:
	s_or_b64 exec, exec, s[68:69]
                                        ; implicit-def: $vgpr0
.LBB297_2980:
	s_andn2_saveexec_b64 s[66:67], s[66:67]
; %bb.2981:
	s_mov_b32 s33, 0x7f800000
	v_mov_b32_e32 v1, 0x7c
	v_mov_b32_e32 v2, 0x7f
	v_cmp_lt_u32_e32 vcc, s33, v0
	v_cndmask_b32_e32 v1, v1, v2, vcc
; %bb.2982:
	s_or_b64 exec, exec, s[66:67]
	flat_store_byte v[21:22], v1
.LBB297_2983:
	s_or_b64 exec, exec, s[64:65]
.LBB297_2984:
	s_or_saveexec_b64 s[62:63], s[62:63]
	s_mov_b64 s[66:67], 0
	s_mov_b64 s[64:65], s[4:5]
	s_xor_b64 exec, exec, s[62:63]
	s_cbranch_execz .LBB297_2992
; %bb.2985:
	v_cmp_lt_i16_e32 vcc, 14, v16
	s_mov_b64 s[64:65], s[4:5]
	s_and_saveexec_b64 s[66:67], vcc
	s_xor_b64 s[66:67], exec, s[66:67]
	s_cbranch_execz .LBB297_2989
; %bb.2986:
	v_cmp_eq_u16_e32 vcc, 15, v16
	s_mov_b64 s[68:69], -1
	s_and_saveexec_b64 s[64:65], vcc
	s_cbranch_execz .LBB297_2988
; %bb.2987:
	v_cndmask_b32_e64 v0, 0, 1.0, s[48:49]
	v_bfe_u32 v1, v0, 16, 1
	s_movk_i32 s33, 0x7fff
	v_add3_u32 v0, v0, v1, s33
	flat_store_short_d16_hi v[21:22], v0
	s_xor_b64 s[68:69], exec, -1
.LBB297_2988:
	s_or_b64 exec, exec, s[64:65]
	s_andn2_b64 s[64:65], s[4:5], exec
	s_and_b64 s[68:69], s[68:69], exec
	s_or_b64 s[64:65], s[64:65], s[68:69]
.LBB297_2989:
	s_or_saveexec_b64 s[66:67], s[66:67]
	s_mov_b64 s[68:69], 0
	s_xor_b64 exec, exec, s[66:67]
; %bb.2990:
	v_cmp_ne_u16_e32 vcc, 11, v16
	s_andn2_b64 s[64:65], s[64:65], exec
	s_and_b64 s[70:71], vcc, exec
	s_mov_b64 s[68:69], exec
	s_or_b64 s[64:65], s[64:65], s[70:71]
; %bb.2991:
	s_or_b64 exec, exec, s[66:67]
	s_and_b64 s[66:67], s[68:69], exec
	s_andn2_b64 s[68:69], s[4:5], exec
	s_and_b64 s[64:65], s[64:65], exec
	s_or_b64 s[64:65], s[68:69], s[64:65]
.LBB297_2992:
	s_or_b64 exec, exec, s[62:63]
	s_andn2_b64 s[4:5], s[4:5], exec
	s_and_b64 s[64:65], s[64:65], exec
	s_and_b64 s[62:63], s[66:67], exec
	s_or_b64 s[4:5], s[4:5], s[64:65]
	s_or_b64 exec, exec, s[60:61]
	s_mov_b64 s[64:65], s[56:57]
	s_and_saveexec_b64 s[60:61], s[4:5]
	s_cbranch_execz .LBB297_2017
.LBB297_2993:
	s_andn2_b64 s[62:63], s[62:63], exec
	s_or_b64 s[64:65], s[56:57], exec
	s_trap 2
	s_branch .LBB297_2017
.LBB297_2994:
	s_andn2_saveexec_b64 s[60:61], s[4:5]
	s_cbranch_execz .LBB297_2509
.LBB297_2995:
	s_mov_b32 s4, 0x46000000
	v_add_f32_e64 v10, |v3|, s4
	v_and_b32_e32 v11, 0xff, v10
	v_cmp_ne_u32_e64 s[4:5], 0, v11
	s_andn2_b64 s[58:59], s[58:59], exec
	s_and_b64 s[4:5], s[4:5], exec
	s_or_b64 s[58:59], s[58:59], s[4:5]
	s_or_b64 exec, exec, s[60:61]
	v_mov_b32_e32 v10, 0
	s_and_saveexec_b64 s[4:5], s[58:59]
	s_cbranch_execnz .LBB297_2510
	s_branch .LBB297_2511
.LBB297_2996:
	s_andn2_saveexec_b64 s[60:61], s[4:5]
	s_cbranch_execz .LBB297_2517
.LBB297_2997:
	s_mov_b32 s4, 0x46000000
	v_add_f32_e64 v10, |v3|, s4
	v_and_b32_e32 v11, 0xff, v10
	v_cmp_ne_u32_e64 s[4:5], 0, v11
	s_andn2_b64 s[58:59], s[58:59], exec
	s_and_b64 s[4:5], s[4:5], exec
	s_or_b64 s[58:59], s[58:59], s[4:5]
	s_or_b64 exec, exec, s[60:61]
	v_mov_b32_e32 v10, 0
	s_and_saveexec_b64 s[4:5], s[58:59]
	s_cbranch_execnz .LBB297_2518
	s_branch .LBB297_2519
.LBB297_2998:
	s_andn2_saveexec_b64 s[62:63], s[4:5]
	s_cbranch_execz .LBB297_2537
.LBB297_2999:
	s_mov_b32 s4, 0x46000000
	v_add_f32_e64 v10, |v12|, s4
	v_and_b32_e32 v11, 0xff, v10
	v_cmp_ne_u32_e64 s[4:5], 0, v11
	s_andn2_b64 s[60:61], s[60:61], exec
	s_and_b64 s[4:5], s[4:5], exec
	s_or_b64 s[60:61], s[60:61], s[4:5]
	s_or_b64 exec, exec, s[62:63]
	v_mov_b32_e32 v10, 0
	s_and_saveexec_b64 s[4:5], s[60:61]
	s_cbranch_execnz .LBB297_2538
	s_branch .LBB297_2539
.LBB297_3000:
	s_or_saveexec_b64 s[62:63], s[62:63]
	v_mov_b32_e32 v1, 0x7f800001
	s_xor_b64 exec, exec, s[62:63]
	s_cbranch_execz .LBB297_2599
.LBB297_3001:
	v_cmp_ne_u16_e64 s[4:5], 0, v3
	s_andn2_b64 s[60:61], s[60:61], exec
	s_and_b64 s[4:5], s[4:5], exec
	v_mov_b32_e32 v1, 0
	s_or_b64 s[60:61], s[60:61], s[4:5]
	s_or_b64 exec, exec, s[62:63]
	s_and_saveexec_b64 s[62:63], s[60:61]
	s_cbranch_execnz .LBB297_2600
	s_branch .LBB297_2601
.LBB297_3002:
	s_andn2_saveexec_b64 s[62:63], s[4:5]
	s_cbranch_execz .LBB297_2621
.LBB297_3003:
	s_mov_b32 s4, 0x46000000
	v_add_f32_e64 v3, |v1|, s4
	v_and_b32_e32 v5, 0xff, v3
	v_cmp_ne_u32_e64 s[4:5], 0, v5
	s_andn2_b64 s[60:61], s[60:61], exec
	s_and_b64 s[4:5], s[4:5], exec
	s_or_b64 s[60:61], s[60:61], s[4:5]
	s_or_b64 exec, exec, s[62:63]
	v_mov_b32_e32 v3, 0
	s_and_saveexec_b64 s[4:5], s[60:61]
	s_cbranch_execnz .LBB297_2622
	s_branch .LBB297_2623
.LBB297_3004:
	s_andn2_saveexec_b64 s[60:61], s[4:5]
	s_cbranch_execz .LBB297_1352
.LBB297_3005:
	s_mov_b32 s4, 0x46000000
	v_add_f32_e64 v10, |v3|, s4
	v_and_b32_e32 v11, 0xff, v10
	v_cmp_ne_u32_e64 s[4:5], 0, v11
	s_andn2_b64 s[58:59], s[58:59], exec
	s_and_b64 s[4:5], s[4:5], exec
	s_or_b64 s[58:59], s[58:59], s[4:5]
	s_or_b64 exec, exec, s[60:61]
	v_mov_b32_e32 v10, 0
	s_and_saveexec_b64 s[4:5], s[58:59]
	s_cbranch_execnz .LBB297_1353
	s_branch .LBB297_1354
.LBB297_3006:
	s_andn2_saveexec_b64 s[64:65], s[4:5]
	s_cbranch_execz .LBB297_1362
.LBB297_3007:
	v_add_f32_e32 v3, 0x46000000, v11
	v_and_b32_e32 v3, 0xff, v3
	v_cmp_ne_u32_e64 s[4:5], 0, v3
	s_andn2_b64 s[62:63], s[62:63], exec
	s_and_b64 s[4:5], s[4:5], exec
	s_or_b64 s[62:63], s[62:63], s[4:5]
	s_or_b64 exec, exec, s[64:65]
	v_mov_b32_e32 v10, 0
	s_and_saveexec_b64 s[4:5], s[62:63]
	s_cbranch_execnz .LBB297_1363
	s_branch .LBB297_1364
.LBB297_3008:
	s_andn2_saveexec_b64 s[66:67], s[4:5]
	s_cbranch_execz .LBB297_1551
.LBB297_3009:
	v_add_f32_e32 v1, 0x46000000, v5
	v_and_b32_e32 v1, 0xff, v1
	v_cmp_ne_u32_e64 s[4:5], 0, v1
	s_andn2_b64 s[64:65], s[64:65], exec
	s_and_b64 s[4:5], s[4:5], exec
	s_or_b64 s[64:65], s[64:65], s[4:5]
	s_or_b64 exec, exec, s[66:67]
	v_mov_b32_e32 v3, 0
	s_and_saveexec_b64 s[4:5], s[64:65]
	s_cbranch_execnz .LBB297_1552
	s_branch .LBB297_1553
.LBB297_3010:
	s_andn2_saveexec_b64 s[66:67], s[4:5]
	s_cbranch_execz .LBB297_1563
.LBB297_3011:
	v_add_f32_e32 v1, 0x46000000, v5
	v_and_b32_e32 v1, 0xff, v1
	v_cmp_ne_u32_e64 s[4:5], 0, v1
	s_andn2_b64 s[64:65], s[64:65], exec
	s_and_b64 s[4:5], s[4:5], exec
	s_or_b64 s[64:65], s[64:65], s[4:5]
	s_or_b64 exec, exec, s[66:67]
	v_mov_b32_e32 v3, 0
	s_and_saveexec_b64 s[4:5], s[64:65]
	s_cbranch_execnz .LBB297_1564
	s_branch .LBB297_1565
.LBB297_3012:
	s_andn2_saveexec_b64 s[66:67], s[4:5]
	s_cbranch_execz .LBB297_1571
.LBB297_3013:
	v_add_f32_e32 v1, 0x46000000, v5
	v_and_b32_e32 v1, 0xff, v1
	v_cmp_ne_u32_e64 s[4:5], 0, v1
	s_andn2_b64 s[64:65], s[64:65], exec
	s_and_b64 s[4:5], s[4:5], exec
	s_or_b64 s[64:65], s[64:65], s[4:5]
	s_or_b64 exec, exec, s[66:67]
	v_mov_b32_e32 v3, 0
	s_and_saveexec_b64 s[4:5], s[64:65]
	s_cbranch_execnz .LBB297_1572
	s_branch .LBB297_1573
.LBB297_3014:
	s_andn2_saveexec_b64 s[64:65], s[4:5]
	s_cbranch_execz .LBB297_1598
.LBB297_3015:
	s_mov_b32 s4, 0x46000000
	v_add_f32_e64 v3, |v1|, s4
	v_and_b32_e32 v5, 0xff, v3
	v_cmp_ne_u32_e64 s[4:5], 0, v5
	s_andn2_b64 s[62:63], s[62:63], exec
	s_and_b64 s[4:5], s[4:5], exec
	s_or_b64 s[62:63], s[62:63], s[4:5]
	s_or_b64 exec, exec, s[64:65]
	v_mov_b32_e32 v3, 0
	s_and_saveexec_b64 s[4:5], s[62:63]
	s_cbranch_execnz .LBB297_1599
	s_branch .LBB297_1600
.LBB297_3016:
	s_andn2_saveexec_b64 s[64:65], s[4:5]
	s_cbranch_execz .LBB297_1606
.LBB297_3017:
	s_mov_b32 s4, 0x46000000
	v_add_f32_e64 v3, |v1|, s4
	v_and_b32_e32 v5, 0xff, v3
	v_cmp_ne_u32_e64 s[4:5], 0, v5
	s_andn2_b64 s[62:63], s[62:63], exec
	s_and_b64 s[4:5], s[4:5], exec
	s_or_b64 s[62:63], s[62:63], s[4:5]
	s_or_b64 exec, exec, s[64:65]
	v_mov_b32_e32 v3, 0
	s_and_saveexec_b64 s[4:5], s[62:63]
	s_cbranch_execnz .LBB297_1607
	s_branch .LBB297_1608
.LBB297_3018:
	s_andn2_saveexec_b64 s[64:65], s[4:5]
	s_cbranch_execz .LBB297_1626
.LBB297_3019:
	s_mov_b32 s4, 0x46000000
	v_add_f32_e64 v3, |v1|, s4
	v_and_b32_e32 v5, 0xff, v3
	v_cmp_ne_u32_e64 s[4:5], 0, v5
	s_andn2_b64 s[62:63], s[62:63], exec
	s_and_b64 s[4:5], s[4:5], exec
	s_or_b64 s[62:63], s[62:63], s[4:5]
	s_or_b64 exec, exec, s[64:65]
	v_mov_b32_e32 v3, 0
	s_and_saveexec_b64 s[4:5], s[62:63]
	s_cbranch_execnz .LBB297_1627
	s_branch .LBB297_1628
.LBB297_3020:
	s_andn2_saveexec_b64 s[64:65], s[4:5]
	s_cbranch_execz .LBB297_1634
.LBB297_3021:
	s_mov_b32 s4, 0x46000000
	v_add_f32_e64 v3, |v1|, s4
	v_and_b32_e32 v5, 0xff, v3
	v_cmp_ne_u32_e64 s[4:5], 0, v5
	s_andn2_b64 s[62:63], s[62:63], exec
	s_and_b64 s[4:5], s[4:5], exec
	s_or_b64 s[62:63], s[62:63], s[4:5]
	s_or_b64 exec, exec, s[64:65]
	v_mov_b32_e32 v3, 0
	s_and_saveexec_b64 s[4:5], s[62:63]
	s_cbranch_execnz .LBB297_1635
	s_branch .LBB297_1636
.LBB297_3022:
	s_andn2_saveexec_b64 s[64:65], s[4:5]
	s_cbranch_execz .LBB297_1656
.LBB297_3023:
	s_mov_b32 s4, 0x46000000
	v_add_f32_e64 v3, |v1|, s4
	v_and_b32_e32 v5, 0xff, v3
	v_cmp_ne_u32_e64 s[4:5], 0, v5
	s_andn2_b64 s[62:63], s[62:63], exec
	s_and_b64 s[4:5], s[4:5], exec
	s_or_b64 s[62:63], s[62:63], s[4:5]
	s_or_b64 exec, exec, s[64:65]
	v_mov_b32_e32 v3, 0
	s_and_saveexec_b64 s[4:5], s[62:63]
	s_cbranch_execnz .LBB297_1657
	s_branch .LBB297_1658
.LBB297_3024:
	s_andn2_saveexec_b64 s[64:65], s[4:5]
	s_cbranch_execz .LBB297_1664
.LBB297_3025:
	s_mov_b32 s4, 0x46000000
	v_add_f32_e64 v3, |v1|, s4
	v_and_b32_e32 v5, 0xff, v3
	v_cmp_ne_u32_e64 s[4:5], 0, v5
	s_andn2_b64 s[62:63], s[62:63], exec
	s_and_b64 s[4:5], s[4:5], exec
	s_or_b64 s[62:63], s[62:63], s[4:5]
	s_or_b64 exec, exec, s[64:65]
	v_mov_b32_e32 v3, 0
	s_and_saveexec_b64 s[4:5], s[62:63]
	s_cbranch_execnz .LBB297_1665
	s_branch .LBB297_1666
.LBB297_3026:
	s_andn2_saveexec_b64 s[68:69], s[68:69]
	s_cbranch_execz .LBB297_1758
.LBB297_3027:
	v_add_f32_e32 v1, 0x46000000, v3
	v_and_b32_e32 v1, 0xff, v1
	v_cmp_ne_u32_e32 vcc, 0, v1
	s_andn2_b64 s[66:67], s[66:67], exec
	s_and_b64 s[70:71], vcc, exec
	s_or_b64 s[66:67], s[66:67], s[70:71]
	s_or_b64 exec, exec, s[68:69]
	v_mov_b32_e32 v7, 0
	s_and_saveexec_b64 s[68:69], s[66:67]
	s_cbranch_execnz .LBB297_1759
	s_branch .LBB297_1760
.LBB297_3028:
	s_andn2_saveexec_b64 s[64:65], s[4:5]
	s_cbranch_execz .LBB297_2604
.LBB297_3029:
	s_mov_b32 s4, 0x46000000
	v_add_f32_e64 v3, |v1|, s4
	v_and_b32_e32 v5, 0xff, v3
	v_cmp_ne_u32_e64 s[4:5], 0, v5
	s_andn2_b64 s[62:63], s[62:63], exec
	s_and_b64 s[4:5], s[4:5], exec
	s_or_b64 s[62:63], s[62:63], s[4:5]
	s_or_b64 exec, exec, s[64:65]
	v_mov_b32_e32 v3, 0
	s_and_saveexec_b64 s[4:5], s[62:63]
	s_cbranch_execnz .LBB297_2605
	s_branch .LBB297_2606
.LBB297_3030:
	s_andn2_saveexec_b64 s[64:65], s[4:5]
	s_cbranch_execz .LBB297_2612
.LBB297_3031:
	s_mov_b32 s4, 0x46000000
	v_add_f32_e64 v3, |v1|, s4
	v_and_b32_e32 v5, 0xff, v3
	v_cmp_ne_u32_e64 s[4:5], 0, v5
	s_andn2_b64 s[62:63], s[62:63], exec
	s_and_b64 s[4:5], s[4:5], exec
	s_or_b64 s[62:63], s[62:63], s[4:5]
	s_or_b64 exec, exec, s[64:65]
	v_mov_b32_e32 v3, 0
	s_and_saveexec_b64 s[4:5], s[62:63]
	s_cbranch_execnz .LBB297_2613
	s_branch .LBB297_2614
.LBB297_3032:
	s_andn2_saveexec_b64 s[66:67], s[4:5]
	s_cbranch_execz .LBB297_2632
.LBB297_3033:
	s_mov_b32 s4, 0x46000000
	v_add_f32_e64 v3, |v9|, s4
	v_and_b32_e32 v5, 0xff, v3
	v_cmp_ne_u32_e64 s[4:5], 0, v5
	s_andn2_b64 s[64:65], s[64:65], exec
	s_and_b64 s[4:5], s[4:5], exec
	s_or_b64 s[64:65], s[64:65], s[4:5]
	s_or_b64 exec, exec, s[66:67]
	v_mov_b32_e32 v3, 0
	s_and_saveexec_b64 s[4:5], s[64:65]
	s_cbranch_execnz .LBB297_2633
	s_branch .LBB297_2634
.LBB297_3034:
	s_andn2_saveexec_b64 s[64:65], s[4:5]
	s_cbranch_execz .LBB297_1530
.LBB297_3035:
	s_mov_b32 s4, 0x46000000
	v_add_f32_e64 v3, |v1|, s4
	v_and_b32_e32 v5, 0xff, v3
	v_cmp_ne_u32_e64 s[4:5], 0, v5
	s_andn2_b64 s[62:63], s[62:63], exec
	s_and_b64 s[4:5], s[4:5], exec
	s_or_b64 s[62:63], s[62:63], s[4:5]
	s_or_b64 exec, exec, s[64:65]
	v_mov_b32_e32 v3, 0
	s_and_saveexec_b64 s[4:5], s[62:63]
	s_cbranch_execnz .LBB297_1531
	s_branch .LBB297_1532
.LBB297_3036:
	s_andn2_saveexec_b64 s[68:69], s[4:5]
	s_cbranch_execz .LBB297_1540
.LBB297_3037:
	v_add_f32_e32 v1, 0x46000000, v5
	v_and_b32_e32 v1, 0xff, v1
	v_cmp_ne_u32_e64 s[4:5], 0, v1
	s_andn2_b64 s[66:67], s[66:67], exec
	s_and_b64 s[4:5], s[4:5], exec
	s_or_b64 s[66:67], s[66:67], s[4:5]
	s_or_b64 exec, exec, s[68:69]
	v_mov_b32_e32 v3, 0
	s_and_saveexec_b64 s[4:5], s[66:67]
	s_cbranch_execnz .LBB297_1541
	s_branch .LBB297_1542
.LBB297_3038:
	s_andn2_saveexec_b64 s[70:71], s[70:71]
	s_cbranch_execz .LBB297_1842
.LBB297_3039:
	v_add_f32_e32 v1, 0x46000000, v5
	v_and_b32_e32 v1, 0xff, v1
	v_cmp_ne_u32_e32 vcc, 0, v1
	s_andn2_b64 s[68:69], s[68:69], exec
	s_and_b64 s[72:73], vcc, exec
	s_or_b64 s[68:69], s[68:69], s[72:73]
	s_or_b64 exec, exec, s[70:71]
	v_mov_b32_e32 v6, 0
	s_and_saveexec_b64 s[70:71], s[68:69]
	s_cbranch_execnz .LBB297_1843
	s_branch .LBB297_1844
.LBB297_3040:
	s_andn2_saveexec_b64 s[68:69], s[68:69]
	s_cbranch_execz .LBB297_2701
.LBB297_3041:
	v_add_f32_e32 v1, 0x42800000, v3
	v_and_b32_e32 v1, 0xff, v1
	v_cmp_ne_u32_e32 vcc, 0, v1
	s_andn2_b64 s[66:67], s[66:67], exec
	s_and_b64 s[70:71], vcc, exec
	s_or_b64 s[66:67], s[66:67], s[70:71]
	s_or_b64 exec, exec, s[68:69]
	v_mov_b32_e32 v7, 0
	s_and_saveexec_b64 s[68:69], s[66:67]
	s_cbranch_execnz .LBB297_2702
	s_branch .LBB297_2703
.LBB297_3042:
	s_andn2_saveexec_b64 s[72:73], s[72:73]
	s_cbranch_execz .LBB297_1926
.LBB297_3043:
	v_add_f32_e32 v3, 0x46000000, v4
	v_and_b32_e32 v3, 0xff, v3
	v_cmp_ne_u32_e32 vcc, 0, v3
	s_andn2_b64 s[70:71], s[70:71], exec
	s_and_b64 s[74:75], vcc, exec
	s_or_b64 s[70:71], s[70:71], s[74:75]
	s_or_b64 exec, exec, s[72:73]
	v_mov_b32_e32 v5, 0
	s_and_saveexec_b64 s[72:73], s[70:71]
	s_cbranch_execnz .LBB297_1927
	s_branch .LBB297_1928
.LBB297_3044:
	s_andn2_saveexec_b64 s[70:71], s[70:71]
	s_cbranch_execz .LBB297_2788
.LBB297_3045:
	v_add_f32_e32 v1, 0x42800000, v5
	v_and_b32_e32 v1, 0xff, v1
	v_cmp_ne_u32_e32 vcc, 0, v1
	s_andn2_b64 s[68:69], s[68:69], exec
	s_and_b64 s[72:73], vcc, exec
	s_or_b64 s[68:69], s[68:69], s[72:73]
	s_or_b64 exec, exec, s[70:71]
	v_mov_b32_e32 v6, 0
	s_and_saveexec_b64 s[70:71], s[68:69]
	s_cbranch_execnz .LBB297_2789
	s_branch .LBB297_2790
.LBB297_3046:
	s_andn2_saveexec_b64 s[72:73], s[72:73]
	s_cbranch_execz .LBB297_2010
.LBB297_3047:
	v_add_f32_e32 v0, 0x46000000, v1
	v_and_b32_e32 v0, 0xff, v0
	v_cmp_ne_u32_e32 vcc, 0, v0
	s_andn2_b64 s[70:71], s[70:71], exec
	s_and_b64 s[74:75], vcc, exec
	s_or_b64 s[70:71], s[70:71], s[74:75]
	s_or_b64 exec, exec, s[72:73]
	v_mov_b32_e32 v2, 0
	s_and_saveexec_b64 s[72:73], s[70:71]
	s_cbranch_execnz .LBB297_2011
	s_branch .LBB297_2012
.LBB297_3048:
	s_andn2_saveexec_b64 s[72:73], s[72:73]
	s_cbranch_execz .LBB297_2873
.LBB297_3049:
	v_add_f32_e32 v3, 0x42800000, v4
	v_and_b32_e32 v3, 0xff, v3
	v_cmp_ne_u32_e32 vcc, 0, v3
	s_andn2_b64 s[70:71], s[70:71], exec
	s_and_b64 s[74:75], vcc, exec
	s_or_b64 s[70:71], s[70:71], s[74:75]
	s_or_b64 exec, exec, s[72:73]
	v_mov_b32_e32 v5, 0
	s_and_saveexec_b64 s[72:73], s[70:71]
	s_cbranch_execnz .LBB297_2874
	s_branch .LBB297_2875
.LBB297_3050:
	s_andn2_saveexec_b64 s[72:73], s[72:73]
	s_cbranch_execz .LBB297_2958
.LBB297_3051:
	v_add_f32_e32 v0, 0x42800000, v1
	v_and_b32_e32 v0, 0xff, v0
	v_cmp_ne_u32_e32 vcc, 0, v0
	s_andn2_b64 s[70:71], s[70:71], exec
	s_and_b64 s[74:75], vcc, exec
	s_or_b64 s[70:71], s[70:71], s[74:75]
	s_or_b64 exec, exec, s[72:73]
	v_mov_b32_e32 v2, 0
	s_and_saveexec_b64 s[72:73], s[70:71]
	s_cbranch_execnz .LBB297_2959
	s_branch .LBB297_2960
	.section	.rodata,"a",@progbits
	.p2align	6, 0x0
	.amdhsa_kernel _ZN2at6native32elementwise_kernel_manual_unrollILi128ELi4EZNS0_15gpu_kernel_implINS0_13BinaryFunctorIN3c1015Float8_e4m3fnuzES5_bNS0_12_GLOBAL__N_116CompareEqFunctorIS5_EEEEEEvRNS_18TensorIteratorBaseERKT_EUlibE0_EEviT1_
		.amdhsa_group_segment_fixed_size 0
		.amdhsa_private_segment_fixed_size 448
		.amdhsa_kernarg_size 432
		.amdhsa_user_sgpr_count 8
		.amdhsa_user_sgpr_private_segment_buffer 1
		.amdhsa_user_sgpr_dispatch_ptr 0
		.amdhsa_user_sgpr_queue_ptr 0
		.amdhsa_user_sgpr_kernarg_segment_ptr 1
		.amdhsa_user_sgpr_dispatch_id 0
		.amdhsa_user_sgpr_flat_scratch_init 1
		.amdhsa_user_sgpr_private_segment_size 0
		.amdhsa_uses_dynamic_stack 0
		.amdhsa_system_sgpr_private_segment_wavefront_offset 1
		.amdhsa_system_sgpr_workgroup_id_x 1
		.amdhsa_system_sgpr_workgroup_id_y 0
		.amdhsa_system_sgpr_workgroup_id_z 0
		.amdhsa_system_sgpr_workgroup_info 0
		.amdhsa_system_vgpr_workitem_id 0
		.amdhsa_next_free_vgpr 28
		.amdhsa_next_free_sgpr 77
		.amdhsa_reserve_vcc 1
		.amdhsa_reserve_flat_scratch 1
		.amdhsa_float_round_mode_32 0
		.amdhsa_float_round_mode_16_64 0
		.amdhsa_float_denorm_mode_32 3
		.amdhsa_float_denorm_mode_16_64 3
		.amdhsa_dx10_clamp 1
		.amdhsa_ieee_mode 1
		.amdhsa_fp16_overflow 0
		.amdhsa_exception_fp_ieee_invalid_op 0
		.amdhsa_exception_fp_denorm_src 0
		.amdhsa_exception_fp_ieee_div_zero 0
		.amdhsa_exception_fp_ieee_overflow 0
		.amdhsa_exception_fp_ieee_underflow 0
		.amdhsa_exception_fp_ieee_inexact 0
		.amdhsa_exception_int_div_zero 0
	.end_amdhsa_kernel
	.section	.text._ZN2at6native32elementwise_kernel_manual_unrollILi128ELi4EZNS0_15gpu_kernel_implINS0_13BinaryFunctorIN3c1015Float8_e4m3fnuzES5_bNS0_12_GLOBAL__N_116CompareEqFunctorIS5_EEEEEEvRNS_18TensorIteratorBaseERKT_EUlibE0_EEviT1_,"axG",@progbits,_ZN2at6native32elementwise_kernel_manual_unrollILi128ELi4EZNS0_15gpu_kernel_implINS0_13BinaryFunctorIN3c1015Float8_e4m3fnuzES5_bNS0_12_GLOBAL__N_116CompareEqFunctorIS5_EEEEEEvRNS_18TensorIteratorBaseERKT_EUlibE0_EEviT1_,comdat
.Lfunc_end297:
	.size	_ZN2at6native32elementwise_kernel_manual_unrollILi128ELi4EZNS0_15gpu_kernel_implINS0_13BinaryFunctorIN3c1015Float8_e4m3fnuzES5_bNS0_12_GLOBAL__N_116CompareEqFunctorIS5_EEEEEEvRNS_18TensorIteratorBaseERKT_EUlibE0_EEviT1_, .Lfunc_end297-_ZN2at6native32elementwise_kernel_manual_unrollILi128ELi4EZNS0_15gpu_kernel_implINS0_13BinaryFunctorIN3c1015Float8_e4m3fnuzES5_bNS0_12_GLOBAL__N_116CompareEqFunctorIS5_EEEEEEvRNS_18TensorIteratorBaseERKT_EUlibE0_EEviT1_
                                        ; -- End function
	.set _ZN2at6native32elementwise_kernel_manual_unrollILi128ELi4EZNS0_15gpu_kernel_implINS0_13BinaryFunctorIN3c1015Float8_e4m3fnuzES5_bNS0_12_GLOBAL__N_116CompareEqFunctorIS5_EEEEEEvRNS_18TensorIteratorBaseERKT_EUlibE0_EEviT1_.num_vgpr, max(28, .L_ZNK16OffsetCalculatorILi3EjLb0EE3getEj.num_vgpr, .L_ZN2at6native6invokeINS0_13BinaryFunctorIN3c1015Float8_e4m3fnuzES4_bNS0_12_GLOBAL__N_116CompareEqFunctorIS4_EEEEj15function_traitsIS8_EEENT1_11result_typeERKT_PrKPcPKT0_PKNS3_10ScalarTypeEi.num_vgpr)
	.set _ZN2at6native32elementwise_kernel_manual_unrollILi128ELi4EZNS0_15gpu_kernel_implINS0_13BinaryFunctorIN3c1015Float8_e4m3fnuzES5_bNS0_12_GLOBAL__N_116CompareEqFunctorIS5_EEEEEEvRNS_18TensorIteratorBaseERKT_EUlibE0_EEviT1_.num_agpr, max(0, .L_ZNK16OffsetCalculatorILi3EjLb0EE3getEj.num_agpr, .L_ZN2at6native6invokeINS0_13BinaryFunctorIN3c1015Float8_e4m3fnuzES4_bNS0_12_GLOBAL__N_116CompareEqFunctorIS4_EEEEj15function_traitsIS8_EEENT1_11result_typeERKT_PrKPcPKT0_PKNS3_10ScalarTypeEi.num_agpr)
	.set _ZN2at6native32elementwise_kernel_manual_unrollILi128ELi4EZNS0_15gpu_kernel_implINS0_13BinaryFunctorIN3c1015Float8_e4m3fnuzES5_bNS0_12_GLOBAL__N_116CompareEqFunctorIS5_EEEEEEvRNS_18TensorIteratorBaseERKT_EUlibE0_EEviT1_.numbered_sgpr, max(77, .L_ZNK16OffsetCalculatorILi3EjLb0EE3getEj.numbered_sgpr, .L_ZN2at6native6invokeINS0_13BinaryFunctorIN3c1015Float8_e4m3fnuzES4_bNS0_12_GLOBAL__N_116CompareEqFunctorIS4_EEEEj15function_traitsIS8_EEENT1_11result_typeERKT_PrKPcPKT0_PKNS3_10ScalarTypeEi.numbered_sgpr)
	.set _ZN2at6native32elementwise_kernel_manual_unrollILi128ELi4EZNS0_15gpu_kernel_implINS0_13BinaryFunctorIN3c1015Float8_e4m3fnuzES5_bNS0_12_GLOBAL__N_116CompareEqFunctorIS5_EEEEEEvRNS_18TensorIteratorBaseERKT_EUlibE0_EEviT1_.num_named_barrier, max(0, .L_ZNK16OffsetCalculatorILi3EjLb0EE3getEj.num_named_barrier, .L_ZN2at6native6invokeINS0_13BinaryFunctorIN3c1015Float8_e4m3fnuzES4_bNS0_12_GLOBAL__N_116CompareEqFunctorIS4_EEEEj15function_traitsIS8_EEENT1_11result_typeERKT_PrKPcPKT0_PKNS3_10ScalarTypeEi.num_named_barrier)
	.set _ZN2at6native32elementwise_kernel_manual_unrollILi128ELi4EZNS0_15gpu_kernel_implINS0_13BinaryFunctorIN3c1015Float8_e4m3fnuzES5_bNS0_12_GLOBAL__N_116CompareEqFunctorIS5_EEEEEEvRNS_18TensorIteratorBaseERKT_EUlibE0_EEviT1_.private_seg_size, 448+max(.L_ZNK16OffsetCalculatorILi3EjLb0EE3getEj.private_seg_size, .L_ZN2at6native6invokeINS0_13BinaryFunctorIN3c1015Float8_e4m3fnuzES4_bNS0_12_GLOBAL__N_116CompareEqFunctorIS4_EEEEj15function_traitsIS8_EEENT1_11result_typeERKT_PrKPcPKT0_PKNS3_10ScalarTypeEi.private_seg_size)
	.set _ZN2at6native32elementwise_kernel_manual_unrollILi128ELi4EZNS0_15gpu_kernel_implINS0_13BinaryFunctorIN3c1015Float8_e4m3fnuzES5_bNS0_12_GLOBAL__N_116CompareEqFunctorIS5_EEEEEEvRNS_18TensorIteratorBaseERKT_EUlibE0_EEviT1_.uses_vcc, or(1, .L_ZNK16OffsetCalculatorILi3EjLb0EE3getEj.uses_vcc, .L_ZN2at6native6invokeINS0_13BinaryFunctorIN3c1015Float8_e4m3fnuzES4_bNS0_12_GLOBAL__N_116CompareEqFunctorIS4_EEEEj15function_traitsIS8_EEENT1_11result_typeERKT_PrKPcPKT0_PKNS3_10ScalarTypeEi.uses_vcc)
	.set _ZN2at6native32elementwise_kernel_manual_unrollILi128ELi4EZNS0_15gpu_kernel_implINS0_13BinaryFunctorIN3c1015Float8_e4m3fnuzES5_bNS0_12_GLOBAL__N_116CompareEqFunctorIS5_EEEEEEvRNS_18TensorIteratorBaseERKT_EUlibE0_EEviT1_.uses_flat_scratch, or(1, .L_ZNK16OffsetCalculatorILi3EjLb0EE3getEj.uses_flat_scratch, .L_ZN2at6native6invokeINS0_13BinaryFunctorIN3c1015Float8_e4m3fnuzES4_bNS0_12_GLOBAL__N_116CompareEqFunctorIS4_EEEEj15function_traitsIS8_EEENT1_11result_typeERKT_PrKPcPKT0_PKNS3_10ScalarTypeEi.uses_flat_scratch)
	.set _ZN2at6native32elementwise_kernel_manual_unrollILi128ELi4EZNS0_15gpu_kernel_implINS0_13BinaryFunctorIN3c1015Float8_e4m3fnuzES5_bNS0_12_GLOBAL__N_116CompareEqFunctorIS5_EEEEEEvRNS_18TensorIteratorBaseERKT_EUlibE0_EEviT1_.has_dyn_sized_stack, or(0, .L_ZNK16OffsetCalculatorILi3EjLb0EE3getEj.has_dyn_sized_stack, .L_ZN2at6native6invokeINS0_13BinaryFunctorIN3c1015Float8_e4m3fnuzES4_bNS0_12_GLOBAL__N_116CompareEqFunctorIS4_EEEEj15function_traitsIS8_EEENT1_11result_typeERKT_PrKPcPKT0_PKNS3_10ScalarTypeEi.has_dyn_sized_stack)
	.set _ZN2at6native32elementwise_kernel_manual_unrollILi128ELi4EZNS0_15gpu_kernel_implINS0_13BinaryFunctorIN3c1015Float8_e4m3fnuzES5_bNS0_12_GLOBAL__N_116CompareEqFunctorIS5_EEEEEEvRNS_18TensorIteratorBaseERKT_EUlibE0_EEviT1_.has_recursion, or(0, .L_ZNK16OffsetCalculatorILi3EjLb0EE3getEj.has_recursion, .L_ZN2at6native6invokeINS0_13BinaryFunctorIN3c1015Float8_e4m3fnuzES4_bNS0_12_GLOBAL__N_116CompareEqFunctorIS4_EEEEj15function_traitsIS8_EEENT1_11result_typeERKT_PrKPcPKT0_PKNS3_10ScalarTypeEi.has_recursion)
	.set _ZN2at6native32elementwise_kernel_manual_unrollILi128ELi4EZNS0_15gpu_kernel_implINS0_13BinaryFunctorIN3c1015Float8_e4m3fnuzES5_bNS0_12_GLOBAL__N_116CompareEqFunctorIS5_EEEEEEvRNS_18TensorIteratorBaseERKT_EUlibE0_EEviT1_.has_indirect_call, or(0, .L_ZNK16OffsetCalculatorILi3EjLb0EE3getEj.has_indirect_call, .L_ZN2at6native6invokeINS0_13BinaryFunctorIN3c1015Float8_e4m3fnuzES4_bNS0_12_GLOBAL__N_116CompareEqFunctorIS4_EEEEj15function_traitsIS8_EEENT1_11result_typeERKT_PrKPcPKT0_PKNS3_10ScalarTypeEi.has_indirect_call)
	.section	.AMDGPU.csdata,"",@progbits
; Kernel info:
; codeLenInByte = 72776
; TotalNumSgprs: 83
; NumVgprs: 28
; ScratchSize: 448
; MemoryBound: 0
; FloatMode: 240
; IeeeMode: 1
; LDSByteSize: 0 bytes/workgroup (compile time only)
; SGPRBlocks: 10
; VGPRBlocks: 6
; NumSGPRsForWavesPerEU: 83
; NumVGPRsForWavesPerEU: 28
; Occupancy: 9
; WaveLimiterHint : 1
; COMPUTE_PGM_RSRC2:SCRATCH_EN: 1
; COMPUTE_PGM_RSRC2:USER_SGPR: 8
; COMPUTE_PGM_RSRC2:TRAP_HANDLER: 0
; COMPUTE_PGM_RSRC2:TGID_X_EN: 1
; COMPUTE_PGM_RSRC2:TGID_Y_EN: 0
; COMPUTE_PGM_RSRC2:TGID_Z_EN: 0
; COMPUTE_PGM_RSRC2:TIDIG_COMP_CNT: 0
	.text
	.p2align	2                               ; -- Begin function _ZN2at6native25elementwise_kernel_helperILb0ENS0_13AUnaryFunctorIN3c1015Float8_e4m3fnuzES4_bNS0_12_GLOBAL__N_116CompareEqFunctorIS4_EEEENS0_6memory8policies11unroll_baseILi256ESt5arrayIPcLm2EE23TrivialOffsetCalculatorILi1EjESG_NS9_15LoadWithoutCastENS9_16StoreWithoutCastELi16ELi1EEEEEvT0_T1_
	.type	_ZN2at6native25elementwise_kernel_helperILb0ENS0_13AUnaryFunctorIN3c1015Float8_e4m3fnuzES4_bNS0_12_GLOBAL__N_116CompareEqFunctorIS4_EEEENS0_6memory8policies11unroll_baseILi256ESt5arrayIPcLm2EE23TrivialOffsetCalculatorILi1EjESG_NS9_15LoadWithoutCastENS9_16StoreWithoutCastELi16ELi1EEEEEvT0_T1_,@function
_ZN2at6native25elementwise_kernel_helperILb0ENS0_13AUnaryFunctorIN3c1015Float8_e4m3fnuzES4_bNS0_12_GLOBAL__N_116CompareEqFunctorIS4_EEEENS0_6memory8policies11unroll_baseILi256ESt5arrayIPcLm2EE23TrivialOffsetCalculatorILi1EjESG_NS9_15LoadWithoutCastENS9_16StoreWithoutCastELi16ELi1EEEEEvT0_T1_: ; @_ZN2at6native25elementwise_kernel_helperILb0ENS0_13AUnaryFunctorIN3c1015Float8_e4m3fnuzES4_bNS0_12_GLOBAL__N_116CompareEqFunctorIS4_EEEENS0_6memory8policies11unroll_baseILi256ESt5arrayIPcLm2EE23TrivialOffsetCalculatorILi1EjESG_NS9_15LoadWithoutCastENS9_16StoreWithoutCastELi16ELi1EEEEEvT0_T1_
; %bb.0:
	s_waitcnt vmcnt(0) expcnt(0) lgkmcnt(0)
	v_and_b32_e32 v9, 0x3ff, v31
	s_lshl_b32 s56, s12, 12
	v_cmp_lt_i32_e32 vcc, v9, v6
	v_mov_b32_e32 v12, 0
	v_or_b32_e32 v10, s56, v9
	v_mov_b32_e32 v11, 0
	v_mov_b32_e32 v13, 0
	;; [unrolled: 1-line block ×16, first 2 shown]
	s_and_saveexec_b64 s[6:7], vcc
	s_cbranch_execz .LBB298_32
; %bb.1:
	v_add_co_u32_e64 v7, s[4:5], v4, v10
	v_addc_co_u32_e64 v8, s[4:5], 0, v5, s[4:5]
	flat_load_ubyte v27, v[7:8]
	v_add_u32_e32 v7, 0x100, v9
	v_mov_b32_e32 v26, 0
	v_cmp_lt_u32_e64 s[4:5], v7, v6
	v_mov_b32_e32 v25, 0
	v_mov_b32_e32 v24, 0
	;; [unrolled: 1-line block ×14, first 2 shown]
	s_and_saveexec_b64 s[8:9], s[4:5]
	s_cbranch_execz .LBB298_31
; %bb.2:
	v_add_u32_e32 v7, s56, v9
	v_add_co_u32_e64 v7, s[4:5], v4, v7
	v_addc_co_u32_e64 v8, s[4:5], 0, v5, s[4:5]
	flat_load_ubyte v26, v[7:8] offset:256
	v_add_u32_e32 v11, 0x200, v9
	v_mov_b32_e32 v25, 0
	v_cmp_lt_u32_e64 s[4:5], v11, v6
	v_mov_b32_e32 v24, 0
	v_mov_b32_e32 v23, 0
	;; [unrolled: 1-line block ×13, first 2 shown]
	s_and_saveexec_b64 s[10:11], s[4:5]
	s_cbranch_execz .LBB298_30
; %bb.3:
	flat_load_ubyte v25, v[7:8] offset:512
	v_add_u32_e32 v11, 0x300, v9
	v_cmp_lt_u32_e64 s[4:5], v11, v6
	v_mov_b32_e32 v24, 0
	v_mov_b32_e32 v23, 0
	;; [unrolled: 1-line block ×13, first 2 shown]
	s_and_saveexec_b64 s[12:13], s[4:5]
	s_cbranch_execz .LBB298_29
; %bb.4:
	flat_load_ubyte v24, v[7:8] offset:768
	v_or_b32_e32 v11, 0x400, v9
	v_cmp_lt_u32_e64 s[4:5], v11, v6
	v_mov_b32_e32 v23, 0
	v_mov_b32_e32 v22, 0
	;; [unrolled: 1-line block ×12, first 2 shown]
	s_and_saveexec_b64 s[14:15], s[4:5]
	s_cbranch_execz .LBB298_28
; %bb.5:
	flat_load_ubyte v23, v[7:8] offset:1024
	v_add_u32_e32 v11, 0x500, v9
	v_cmp_lt_u32_e64 s[4:5], v11, v6
	v_mov_b32_e32 v22, 0
	v_mov_b32_e32 v21, 0
	;; [unrolled: 1-line block ×11, first 2 shown]
	s_and_saveexec_b64 s[16:17], s[4:5]
	s_cbranch_execz .LBB298_27
; %bb.6:
	flat_load_ubyte v22, v[7:8] offset:1280
	v_add_u32_e32 v11, 0x600, v9
	v_cmp_lt_u32_e64 s[4:5], v11, v6
	v_mov_b32_e32 v21, 0
	v_mov_b32_e32 v20, 0
	;; [unrolled: 1-line block ×10, first 2 shown]
	s_and_saveexec_b64 s[18:19], s[4:5]
	s_cbranch_execz .LBB298_26
; %bb.7:
	flat_load_ubyte v21, v[7:8] offset:1536
	v_add_u32_e32 v11, 0x700, v9
	v_cmp_lt_u32_e64 s[4:5], v11, v6
	v_mov_b32_e32 v20, 0
	v_mov_b32_e32 v19, 0
	;; [unrolled: 1-line block ×9, first 2 shown]
	s_and_saveexec_b64 s[20:21], s[4:5]
	s_cbranch_execz .LBB298_25
; %bb.8:
	flat_load_ubyte v20, v[7:8] offset:1792
	v_or_b32_e32 v11, 0x800, v9
	v_cmp_lt_u32_e64 s[4:5], v11, v6
	v_mov_b32_e32 v19, 0
	v_mov_b32_e32 v18, 0
	v_mov_b32_e32 v17, 0
	v_mov_b32_e32 v16, 0
	v_mov_b32_e32 v15, 0
	v_mov_b32_e32 v14, 0
	v_mov_b32_e32 v13, 0
	v_mov_b32_e32 v11, 0
	s_and_saveexec_b64 s[22:23], s[4:5]
	s_cbranch_execz .LBB298_24
; %bb.9:
	flat_load_ubyte v19, v[7:8] offset:2048
	v_add_u32_e32 v11, 0x900, v9
	v_cmp_lt_u32_e64 s[4:5], v11, v6
	v_mov_b32_e32 v18, 0
	v_mov_b32_e32 v17, 0
	;; [unrolled: 1-line block ×7, first 2 shown]
	s_and_saveexec_b64 s[24:25], s[4:5]
	s_cbranch_execz .LBB298_23
; %bb.10:
	flat_load_ubyte v18, v[7:8] offset:2304
	v_add_u32_e32 v11, 0xa00, v9
	v_cmp_lt_u32_e64 s[4:5], v11, v6
	v_mov_b32_e32 v17, 0
	v_mov_b32_e32 v16, 0
	;; [unrolled: 1-line block ×6, first 2 shown]
	s_and_saveexec_b64 s[26:27], s[4:5]
	s_cbranch_execz .LBB298_22
; %bb.11:
	flat_load_ubyte v17, v[7:8] offset:2560
	v_add_u32_e32 v11, 0xb00, v9
	v_cmp_lt_u32_e64 s[4:5], v11, v6
	v_mov_b32_e32 v16, 0
	v_mov_b32_e32 v15, 0
	;; [unrolled: 1-line block ×5, first 2 shown]
	s_and_saveexec_b64 s[28:29], s[4:5]
	s_cbranch_execz .LBB298_21
; %bb.12:
	flat_load_ubyte v16, v[7:8] offset:2816
	v_or_b32_e32 v11, 0xc00, v9
	v_cmp_lt_u32_e64 s[4:5], v11, v6
	v_mov_b32_e32 v15, 0
	v_mov_b32_e32 v14, 0
	;; [unrolled: 1-line block ×4, first 2 shown]
	s_and_saveexec_b64 s[40:41], s[4:5]
	s_cbranch_execz .LBB298_20
; %bb.13:
	flat_load_ubyte v15, v[7:8] offset:3072
	v_add_u32_e32 v7, 0xd00, v9
	v_cmp_lt_u32_e64 s[4:5], v7, v6
	v_mov_b32_e32 v14, 0
	v_mov_b32_e32 v13, 0
	;; [unrolled: 1-line block ×3, first 2 shown]
	s_and_saveexec_b64 s[42:43], s[4:5]
	s_cbranch_execz .LBB298_19
; %bb.14:
	v_add_u32_e32 v7, s56, v7
	v_add_co_u32_e64 v7, s[4:5], v4, v7
	v_addc_co_u32_e64 v8, s[4:5], 0, v5, s[4:5]
	flat_load_ubyte v14, v[7:8]
	v_add_u32_e32 v7, 0xe00, v9
	v_mov_b32_e32 v13, 0
	v_cmp_lt_u32_e64 s[4:5], v7, v6
	v_mov_b32_e32 v11, 0
	s_and_saveexec_b64 s[44:45], s[4:5]
	s_cbranch_execz .LBB298_18
; %bb.15:
	v_add_u32_e32 v7, s56, v7
	v_add_co_u32_e64 v7, s[4:5], v4, v7
	v_addc_co_u32_e64 v8, s[4:5], 0, v5, s[4:5]
	flat_load_ubyte v13, v[7:8]
	v_add_u32_e32 v7, 0xf00, v9
	v_mov_b32_e32 v11, 0
	v_cmp_lt_u32_e64 s[4:5], v7, v6
	s_and_saveexec_b64 s[46:47], s[4:5]
	s_cbranch_execz .LBB298_17
; %bb.16:
	v_add_u32_e32 v7, s56, v7
	v_add_co_u32_e64 v4, s[4:5], v4, v7
	v_addc_co_u32_e64 v5, s[4:5], 0, v5, s[4:5]
	flat_load_ubyte v11, v[4:5]
.LBB298_17:
	s_or_b64 exec, exec, s[46:47]
.LBB298_18:
	s_or_b64 exec, exec, s[44:45]
.LBB298_19:
	s_or_b64 exec, exec, s[42:43]
.LBB298_20:
	s_or_b64 exec, exec, s[40:41]
.LBB298_21:
	s_or_b64 exec, exec, s[28:29]
.LBB298_22:
	s_or_b64 exec, exec, s[26:27]
.LBB298_23:
	s_or_b64 exec, exec, s[24:25]
.LBB298_24:
	s_or_b64 exec, exec, s[22:23]
.LBB298_25:
	s_or_b64 exec, exec, s[20:21]
.LBB298_26:
	s_or_b64 exec, exec, s[18:19]
.LBB298_27:
	s_or_b64 exec, exec, s[16:17]
.LBB298_28:
	s_or_b64 exec, exec, s[14:15]
.LBB298_29:
	s_or_b64 exec, exec, s[12:13]
.LBB298_30:
	s_or_b64 exec, exec, s[10:11]
.LBB298_31:
	s_or_b64 exec, exec, s[8:9]
.LBB298_32:
	s_or_b64 exec, exec, s[6:7]
	v_cmp_ne_u32_e64 s[4:5], 0, v0
	v_and_b32_e32 v0, 7, v1
	v_ffbh_u32_e32 v5, v0
	v_min_u32_e32 v5, 32, v5
	v_subrev_u32_e32 v7, 28, v5
	v_bfe_u32 v4, v1, 3, 4
	v_lshlrev_b32_e32 v7, v7, v1
	v_sub_u32_e32 v5, 29, v5
	v_and_b32_e32 v7, 7, v7
	v_cmp_eq_u32_e64 s[6:7], 0, v4
	v_cndmask_b32_e64 v4, v4, v5, s[6:7]
	v_cndmask_b32_e64 v0, v0, v7, s[6:7]
	v_lshlrev_b32_e32 v5, 24, v1
	v_mov_b32_e32 v7, 0x3b800000
	v_lshlrev_b32_e32 v0, 20, v0
	v_and_b32_e32 v5, 0x80000000, v5
	v_lshl_add_u32 v4, v4, 23, v7
	v_or3_b32 v7, v5, v4, v0
	v_mov_b32_e32 v5, v12
	v_mov_b32_e32 v4, v12
	;; [unrolled: 1-line block ×3, first 2 shown]
	s_and_saveexec_b64 s[8:9], vcc
	s_cbranch_execz .LBB298_54
; %bb.33:
                                        ; implicit-def: $sgpr10_sgpr11
	s_and_saveexec_b64 s[6:7], s[4:5]
	s_xor_b64 s[12:13], exec, s[6:7]
	s_cbranch_execz .LBB298_43
; %bb.34:
	s_movk_i32 s6, 0x7f
	v_cmp_gt_i16_sdwa s[10:11], v1, s6 src0_sel:BYTE_0 src1_sel:DWORD
	s_mov_b64 s[6:7], 0
	s_and_saveexec_b64 s[14:15], s[10:11]
	s_xor_b64 s[10:11], exec, s[14:15]
	s_cbranch_execnz .LBB298_417
; %bb.35:
	s_or_saveexec_b64 s[10:11], s[10:11]
	v_mov_b32_e32 v0, 0x7f800001
	s_xor_b64 exec, exec, s[10:11]
	s_cbranch_execnz .LBB298_420
.LBB298_36:
	s_or_b64 exec, exec, s[10:11]
	s_and_saveexec_b64 s[10:11], s[6:7]
.LBB298_37:
	v_mov_b32_e32 v0, v7
.LBB298_38:
	s_or_b64 exec, exec, s[10:11]
	s_movk_i32 s6, 0x7f
	s_waitcnt vmcnt(0) lgkmcnt(0)
	v_cmp_gt_i16_sdwa s[10:11], v27, s6 src0_sel:BYTE_0 src1_sel:DWORD
	s_mov_b64 s[6:7], 0
	s_and_saveexec_b64 s[14:15], s[10:11]
	s_xor_b64 s[10:11], exec, s[14:15]
	s_cbranch_execnz .LBB298_421
; %bb.39:
	s_or_saveexec_b64 s[10:11], s[10:11]
	v_mov_b32_e32 v4, 0x7f800001
	s_xor_b64 exec, exec, s[10:11]
	s_cbranch_execnz .LBB298_424
.LBB298_40:
	s_or_b64 exec, exec, s[10:11]
	s_and_saveexec_b64 s[10:11], s[6:7]
	s_cbranch_execz .LBB298_42
.LBB298_41:
	v_and_b32_e32 v5, 7, v27
	v_ffbh_u32_e32 v8, v5
	v_min_u32_e32 v8, 32, v8
	v_lshrrev_b16_e32 v4, 3, v27
	v_subrev_u32_e32 v12, 28, v8
	v_and_b32_e32 v4, 15, v4
	v_lshlrev_b32_e32 v12, v12, v27
	v_sub_u32_e32 v8, 29, v8
	v_and_b32_e32 v12, 7, v12
	v_cmp_eq_u32_e64 s[6:7], 0, v4
	v_cndmask_b32_e64 v4, v4, v8, s[6:7]
	v_cndmask_b32_e64 v5, v5, v12, s[6:7]
	v_lshlrev_b32_e32 v8, 24, v27
	v_mov_b32_e32 v12, 0x3b800000
	v_lshlrev_b32_e32 v5, 20, v5
	v_and_b32_e32 v8, 0x80000000, v8
	v_lshl_add_u32 v4, v4, 23, v12
	v_or3_b32 v4, v8, v4, v5
.LBB298_42:
	s_or_b64 exec, exec, s[10:11]
	v_cmp_neq_f32_e64 s[10:11], v0, v4
                                        ; implicit-def: $vgpr27
.LBB298_43:
	s_andn2_saveexec_b64 s[12:13], s[12:13]
	s_cbranch_execz .LBB298_53
; %bb.44:
	s_movk_i32 s6, 0x7f
	v_cmp_gt_i16_sdwa s[14:15], v1, s6 src0_sel:BYTE_0 src1_sel:DWORD
	s_mov_b64 s[6:7], 0
	s_and_saveexec_b64 s[16:17], s[14:15]
	s_xor_b64 s[14:15], exec, s[16:17]
	s_cbranch_execnz .LBB298_425
; %bb.45:
	s_or_saveexec_b64 s[14:15], s[14:15]
	v_mov_b32_e32 v0, 0x7f800001
	s_xor_b64 exec, exec, s[14:15]
	s_cbranch_execnz .LBB298_428
.LBB298_46:
	s_or_b64 exec, exec, s[14:15]
	s_and_saveexec_b64 s[14:15], s[6:7]
.LBB298_47:
	v_mov_b32_e32 v0, v7
.LBB298_48:
	s_or_b64 exec, exec, s[14:15]
	s_movk_i32 s6, 0x7f
	s_waitcnt vmcnt(0) lgkmcnt(0)
	v_cmp_gt_i16_sdwa s[14:15], v27, s6 src0_sel:BYTE_0 src1_sel:DWORD
	s_mov_b64 s[6:7], 0
	s_and_saveexec_b64 s[16:17], s[14:15]
	s_xor_b64 s[14:15], exec, s[16:17]
	s_cbranch_execnz .LBB298_429
; %bb.49:
	s_or_saveexec_b64 s[14:15], s[14:15]
	v_mov_b32_e32 v4, 0x7f800001
	s_xor_b64 exec, exec, s[14:15]
	s_cbranch_execnz .LBB298_432
.LBB298_50:
	s_or_b64 exec, exec, s[14:15]
	s_and_saveexec_b64 s[14:15], s[6:7]
	s_cbranch_execz .LBB298_52
.LBB298_51:
	v_and_b32_e32 v5, 7, v27
	v_ffbh_u32_e32 v8, v5
	v_min_u32_e32 v8, 32, v8
	v_lshrrev_b16_e32 v4, 3, v27
	v_subrev_u32_e32 v12, 28, v8
	v_and_b32_e32 v4, 15, v4
	v_lshlrev_b32_e32 v12, v12, v27
	v_sub_u32_e32 v8, 29, v8
	v_and_b32_e32 v12, 7, v12
	v_cmp_eq_u32_e64 s[6:7], 0, v4
	v_cndmask_b32_e64 v4, v4, v8, s[6:7]
	v_cndmask_b32_e64 v5, v5, v12, s[6:7]
	v_lshlrev_b32_e32 v8, 24, v27
	v_mov_b32_e32 v12, 0x3b800000
	v_lshlrev_b32_e32 v5, 20, v5
	v_and_b32_e32 v8, 0x80000000, v8
	v_lshl_add_u32 v4, v4, 23, v12
	v_or3_b32 v4, v8, v4, v5
.LBB298_52:
	s_or_b64 exec, exec, s[14:15]
	v_cmp_eq_f32_e64 s[6:7], v0, v4
	s_andn2_b64 s[10:11], s[10:11], exec
	s_and_b64 s[6:7], s[6:7], exec
	s_or_b64 s[10:11], s[10:11], s[6:7]
.LBB298_53:
	s_or_b64 exec, exec, s[12:13]
	v_cndmask_b32_e64 v0, 0, 1, s[10:11]
	v_mov_b32_e32 v5, 0
	v_and_b32_e32 v12, 0xffff, v0
	v_mov_b32_e32 v4, v5
	v_mov_b32_e32 v0, v5
.LBB298_54:
	s_or_b64 exec, exec, s[8:9]
	v_add_u32_e32 v8, 0x100, v9
	v_cmp_lt_i32_e64 s[6:7], v8, v6
	s_and_saveexec_b64 s[8:9], s[6:7]
	s_cbranch_execz .LBB298_76
; %bb.55:
                                        ; implicit-def: $sgpr10_sgpr11
	s_and_saveexec_b64 s[6:7], s[4:5]
	s_xor_b64 s[12:13], exec, s[6:7]
	s_cbranch_execz .LBB298_65
; %bb.56:
	s_movk_i32 s6, 0x7f
	v_cmp_gt_i16_sdwa s[10:11], v1, s6 src0_sel:BYTE_0 src1_sel:DWORD
	s_mov_b64 s[6:7], 0
	s_and_saveexec_b64 s[14:15], s[10:11]
	s_xor_b64 s[10:11], exec, s[14:15]
	s_cbranch_execnz .LBB298_433
; %bb.57:
	s_or_saveexec_b64 s[10:11], s[10:11]
	s_waitcnt vmcnt(0) lgkmcnt(0)
	v_mov_b32_e32 v27, 0x7f800001
	s_xor_b64 exec, exec, s[10:11]
	s_cbranch_execnz .LBB298_436
.LBB298_58:
	s_or_b64 exec, exec, s[10:11]
	s_and_saveexec_b64 s[10:11], s[6:7]
.LBB298_59:
	v_mov_b32_e32 v27, v7
.LBB298_60:
	s_or_b64 exec, exec, s[10:11]
	s_movk_i32 s6, 0x7f
	v_cmp_gt_i16_sdwa s[10:11], v26, s6 src0_sel:BYTE_0 src1_sel:DWORD
	s_mov_b64 s[6:7], 0
	s_and_saveexec_b64 s[14:15], s[10:11]
	s_xor_b64 s[10:11], exec, s[14:15]
	s_cbranch_execnz .LBB298_437
; %bb.61:
	s_or_saveexec_b64 s[10:11], s[10:11]
	v_mov_b32_e32 v28, 0x7f800001
	s_xor_b64 exec, exec, s[10:11]
	s_cbranch_execnz .LBB298_440
.LBB298_62:
	s_or_b64 exec, exec, s[10:11]
	s_and_saveexec_b64 s[10:11], s[6:7]
	s_cbranch_execz .LBB298_64
.LBB298_63:
	v_and_b32_e32 v29, 7, v26
	v_ffbh_u32_e32 v30, v29
	v_min_u32_e32 v30, 32, v30
	v_lshrrev_b16_e32 v28, 3, v26
	v_subrev_u32_e32 v31, 28, v30
	v_and_b32_e32 v28, 15, v28
	v_lshlrev_b32_e32 v31, v31, v26
	v_sub_u32_e32 v30, 29, v30
	v_and_b32_e32 v31, 7, v31
	v_cmp_eq_u32_e64 s[6:7], 0, v28
	v_cndmask_b32_e64 v28, v28, v30, s[6:7]
	v_cndmask_b32_e64 v29, v29, v31, s[6:7]
	v_lshlrev_b32_e32 v26, 24, v26
	v_mov_b32_e32 v30, 0x3b800000
	v_lshlrev_b32_e32 v29, 20, v29
	v_and_b32_e32 v26, 0x80000000, v26
	v_lshl_add_u32 v28, v28, 23, v30
	v_or3_b32 v28, v26, v28, v29
.LBB298_64:
	s_or_b64 exec, exec, s[10:11]
	v_cmp_neq_f32_e64 s[10:11], v27, v28
                                        ; implicit-def: $vgpr26
.LBB298_65:
	s_andn2_saveexec_b64 s[12:13], s[12:13]
	s_cbranch_execz .LBB298_75
; %bb.66:
	s_movk_i32 s6, 0x7f
	v_cmp_gt_i16_sdwa s[14:15], v1, s6 src0_sel:BYTE_0 src1_sel:DWORD
	s_mov_b64 s[6:7], 0
	s_and_saveexec_b64 s[16:17], s[14:15]
	s_xor_b64 s[14:15], exec, s[16:17]
	s_cbranch_execnz .LBB298_441
; %bb.67:
	s_or_saveexec_b64 s[14:15], s[14:15]
	s_waitcnt vmcnt(0) lgkmcnt(0)
	v_mov_b32_e32 v27, 0x7f800001
	s_xor_b64 exec, exec, s[14:15]
	s_cbranch_execnz .LBB298_444
.LBB298_68:
	s_or_b64 exec, exec, s[14:15]
	s_and_saveexec_b64 s[14:15], s[6:7]
.LBB298_69:
	v_mov_b32_e32 v27, v7
.LBB298_70:
	s_or_b64 exec, exec, s[14:15]
	s_movk_i32 s6, 0x7f
	v_cmp_gt_i16_sdwa s[14:15], v26, s6 src0_sel:BYTE_0 src1_sel:DWORD
	s_mov_b64 s[6:7], 0
	s_and_saveexec_b64 s[16:17], s[14:15]
	s_xor_b64 s[14:15], exec, s[16:17]
	s_cbranch_execnz .LBB298_445
; %bb.71:
	s_or_saveexec_b64 s[14:15], s[14:15]
	v_mov_b32_e32 v28, 0x7f800001
	s_xor_b64 exec, exec, s[14:15]
	s_cbranch_execnz .LBB298_448
.LBB298_72:
	s_or_b64 exec, exec, s[14:15]
	s_and_saveexec_b64 s[14:15], s[6:7]
	s_cbranch_execz .LBB298_74
.LBB298_73:
	v_and_b32_e32 v29, 7, v26
	v_ffbh_u32_e32 v30, v29
	v_min_u32_e32 v30, 32, v30
	v_lshrrev_b16_e32 v28, 3, v26
	v_subrev_u32_e32 v31, 28, v30
	v_and_b32_e32 v28, 15, v28
	v_lshlrev_b32_e32 v31, v31, v26
	v_sub_u32_e32 v30, 29, v30
	v_and_b32_e32 v31, 7, v31
	v_cmp_eq_u32_e64 s[6:7], 0, v28
	v_cndmask_b32_e64 v28, v28, v30, s[6:7]
	v_cndmask_b32_e64 v29, v29, v31, s[6:7]
	v_lshlrev_b32_e32 v26, 24, v26
	v_mov_b32_e32 v30, 0x3b800000
	v_lshlrev_b32_e32 v29, 20, v29
	v_and_b32_e32 v26, 0x80000000, v26
	v_lshl_add_u32 v28, v28, 23, v30
	v_or3_b32 v28, v26, v28, v29
.LBB298_74:
	s_or_b64 exec, exec, s[14:15]
	v_cmp_eq_f32_e64 s[6:7], v27, v28
	s_andn2_b64 s[10:11], s[10:11], exec
	s_and_b64 s[6:7], s[6:7], exec
	s_or_b64 s[10:11], s[10:11], s[6:7]
.LBB298_75:
	s_or_b64 exec, exec, s[12:13]
	s_waitcnt vmcnt(0) lgkmcnt(0)
	v_cndmask_b32_e64 v26, 0, 1, s[10:11]
	v_lshlrev_b16_e32 v26, 8, v26
	v_or_b32_sdwa v26, v12, v26 dst_sel:DWORD dst_unused:UNUSED_PAD src0_sel:BYTE_0 src1_sel:DWORD
	v_and_b32_e32 v26, 0xffff, v26
	s_mov_b32 s6, 0xffff0000
	v_and_or_b32 v12, v12, s6, v26
.LBB298_76:
	s_or_b64 exec, exec, s[8:9]
	s_waitcnt vmcnt(0) lgkmcnt(0)
	v_add_u32_e32 v26, 0x200, v9
	v_cmp_lt_i32_e64 s[6:7], v26, v6
	s_and_saveexec_b64 s[8:9], s[6:7]
	s_cbranch_execz .LBB298_98
; %bb.77:
                                        ; implicit-def: $sgpr10_sgpr11
	s_and_saveexec_b64 s[6:7], s[4:5]
	s_xor_b64 s[12:13], exec, s[6:7]
	s_cbranch_execz .LBB298_87
; %bb.78:
	s_movk_i32 s6, 0x7f
	v_cmp_gt_i16_sdwa s[10:11], v1, s6 src0_sel:BYTE_0 src1_sel:DWORD
	s_mov_b64 s[6:7], 0
	s_and_saveexec_b64 s[14:15], s[10:11]
	s_xor_b64 s[10:11], exec, s[14:15]
	s_cbranch_execnz .LBB298_449
; %bb.79:
	s_or_saveexec_b64 s[10:11], s[10:11]
	v_mov_b32_e32 v26, 0x7f800001
	s_xor_b64 exec, exec, s[10:11]
	s_cbranch_execnz .LBB298_452
.LBB298_80:
	s_or_b64 exec, exec, s[10:11]
	s_and_saveexec_b64 s[10:11], s[6:7]
.LBB298_81:
	v_mov_b32_e32 v26, v7
.LBB298_82:
	s_or_b64 exec, exec, s[10:11]
	s_movk_i32 s6, 0x7f
	v_cmp_gt_i16_sdwa s[10:11], v25, s6 src0_sel:BYTE_0 src1_sel:DWORD
	s_mov_b64 s[6:7], 0
	s_and_saveexec_b64 s[14:15], s[10:11]
	s_xor_b64 s[10:11], exec, s[14:15]
	s_cbranch_execnz .LBB298_453
; %bb.83:
	s_or_saveexec_b64 s[10:11], s[10:11]
	v_mov_b32_e32 v27, 0x7f800001
	s_xor_b64 exec, exec, s[10:11]
	s_cbranch_execnz .LBB298_456
.LBB298_84:
	s_or_b64 exec, exec, s[10:11]
	s_and_saveexec_b64 s[10:11], s[6:7]
	s_cbranch_execz .LBB298_86
.LBB298_85:
	v_and_b32_e32 v28, 7, v25
	v_ffbh_u32_e32 v29, v28
	v_min_u32_e32 v29, 32, v29
	v_lshrrev_b16_e32 v27, 3, v25
	v_subrev_u32_e32 v30, 28, v29
	v_and_b32_e32 v27, 15, v27
	v_lshlrev_b32_e32 v30, v30, v25
	v_sub_u32_e32 v29, 29, v29
	v_and_b32_e32 v30, 7, v30
	v_cmp_eq_u32_e64 s[6:7], 0, v27
	v_cndmask_b32_e64 v27, v27, v29, s[6:7]
	v_cndmask_b32_e64 v28, v28, v30, s[6:7]
	v_lshlrev_b32_e32 v25, 24, v25
	v_mov_b32_e32 v29, 0x3b800000
	v_lshlrev_b32_e32 v28, 20, v28
	v_and_b32_e32 v25, 0x80000000, v25
	v_lshl_add_u32 v27, v27, 23, v29
	v_or3_b32 v27, v25, v27, v28
.LBB298_86:
	s_or_b64 exec, exec, s[10:11]
	v_cmp_neq_f32_e64 s[10:11], v26, v27
                                        ; implicit-def: $vgpr25
.LBB298_87:
	s_andn2_saveexec_b64 s[12:13], s[12:13]
	s_cbranch_execz .LBB298_97
; %bb.88:
	s_movk_i32 s6, 0x7f
	v_cmp_gt_i16_sdwa s[14:15], v1, s6 src0_sel:BYTE_0 src1_sel:DWORD
	s_mov_b64 s[6:7], 0
	s_and_saveexec_b64 s[16:17], s[14:15]
	s_xor_b64 s[14:15], exec, s[16:17]
	s_cbranch_execnz .LBB298_457
; %bb.89:
	s_or_saveexec_b64 s[14:15], s[14:15]
	v_mov_b32_e32 v26, 0x7f800001
	s_xor_b64 exec, exec, s[14:15]
	s_cbranch_execnz .LBB298_460
.LBB298_90:
	s_or_b64 exec, exec, s[14:15]
	s_and_saveexec_b64 s[14:15], s[6:7]
.LBB298_91:
	v_mov_b32_e32 v26, v7
.LBB298_92:
	s_or_b64 exec, exec, s[14:15]
	s_movk_i32 s6, 0x7f
	v_cmp_gt_i16_sdwa s[14:15], v25, s6 src0_sel:BYTE_0 src1_sel:DWORD
	s_mov_b64 s[6:7], 0
	s_and_saveexec_b64 s[16:17], s[14:15]
	s_xor_b64 s[14:15], exec, s[16:17]
	s_cbranch_execnz .LBB298_461
; %bb.93:
	s_or_saveexec_b64 s[14:15], s[14:15]
	v_mov_b32_e32 v27, 0x7f800001
	s_xor_b64 exec, exec, s[14:15]
	s_cbranch_execnz .LBB298_464
.LBB298_94:
	s_or_b64 exec, exec, s[14:15]
	s_and_saveexec_b64 s[14:15], s[6:7]
	s_cbranch_execz .LBB298_96
.LBB298_95:
	v_and_b32_e32 v28, 7, v25
	v_ffbh_u32_e32 v29, v28
	v_min_u32_e32 v29, 32, v29
	v_lshrrev_b16_e32 v27, 3, v25
	v_subrev_u32_e32 v30, 28, v29
	v_and_b32_e32 v27, 15, v27
	v_lshlrev_b32_e32 v30, v30, v25
	v_sub_u32_e32 v29, 29, v29
	v_and_b32_e32 v30, 7, v30
	v_cmp_eq_u32_e64 s[6:7], 0, v27
	v_cndmask_b32_e64 v27, v27, v29, s[6:7]
	v_cndmask_b32_e64 v28, v28, v30, s[6:7]
	v_lshlrev_b32_e32 v25, 24, v25
	v_mov_b32_e32 v29, 0x3b800000
	v_lshlrev_b32_e32 v28, 20, v28
	v_and_b32_e32 v25, 0x80000000, v25
	v_lshl_add_u32 v27, v27, 23, v29
	v_or3_b32 v27, v25, v27, v28
.LBB298_96:
	s_or_b64 exec, exec, s[14:15]
	v_cmp_eq_f32_e64 s[6:7], v26, v27
	s_andn2_b64 s[10:11], s[10:11], exec
	s_and_b64 s[6:7], s[6:7], exec
	s_or_b64 s[10:11], s[10:11], s[6:7]
.LBB298_97:
	s_or_b64 exec, exec, s[12:13]
	s_movk_i32 s6, 0xff00
	v_and_b32_sdwa v25, v12, s6 dst_sel:DWORD dst_unused:UNUSED_PAD src0_sel:WORD_1 src1_sel:DWORD
	v_cndmask_b32_e64 v26, 0, 1, s[10:11]
	v_or_b32_sdwa v25, v26, v25 dst_sel:WORD_1 dst_unused:UNUSED_PAD src0_sel:DWORD src1_sel:DWORD
	s_mov_b32 s6, 0xffff
	v_and_or_b32 v12, v12, s6, v25
.LBB298_98:
	s_or_b64 exec, exec, s[8:9]
	v_add_u32_e32 v25, 0x300, v9
	v_cmp_lt_i32_e64 s[6:7], v25, v6
	s_and_saveexec_b64 s[8:9], s[6:7]
	s_cbranch_execz .LBB298_120
; %bb.99:
                                        ; implicit-def: $sgpr10_sgpr11
	s_and_saveexec_b64 s[6:7], s[4:5]
	s_xor_b64 s[12:13], exec, s[6:7]
	s_cbranch_execz .LBB298_109
; %bb.100:
	s_movk_i32 s6, 0x7f
	v_cmp_gt_i16_sdwa s[10:11], v1, s6 src0_sel:BYTE_0 src1_sel:DWORD
	s_mov_b64 s[6:7], 0
	s_and_saveexec_b64 s[14:15], s[10:11]
	s_xor_b64 s[10:11], exec, s[14:15]
	s_cbranch_execnz .LBB298_465
; %bb.101:
	s_or_saveexec_b64 s[10:11], s[10:11]
	v_mov_b32_e32 v25, 0x7f800001
	s_xor_b64 exec, exec, s[10:11]
	s_cbranch_execnz .LBB298_468
.LBB298_102:
	s_or_b64 exec, exec, s[10:11]
	s_and_saveexec_b64 s[10:11], s[6:7]
.LBB298_103:
	v_mov_b32_e32 v25, v7
.LBB298_104:
	s_or_b64 exec, exec, s[10:11]
	s_movk_i32 s6, 0x7f
	v_cmp_gt_i16_sdwa s[10:11], v24, s6 src0_sel:BYTE_0 src1_sel:DWORD
	s_mov_b64 s[6:7], 0
	s_and_saveexec_b64 s[14:15], s[10:11]
	s_xor_b64 s[10:11], exec, s[14:15]
	s_cbranch_execnz .LBB298_469
; %bb.105:
	s_or_saveexec_b64 s[10:11], s[10:11]
	v_mov_b32_e32 v26, 0x7f800001
	s_xor_b64 exec, exec, s[10:11]
	s_cbranch_execnz .LBB298_472
.LBB298_106:
	s_or_b64 exec, exec, s[10:11]
	s_and_saveexec_b64 s[10:11], s[6:7]
	s_cbranch_execz .LBB298_108
.LBB298_107:
	v_and_b32_e32 v27, 7, v24
	v_ffbh_u32_e32 v28, v27
	v_min_u32_e32 v28, 32, v28
	v_lshrrev_b16_e32 v26, 3, v24
	v_subrev_u32_e32 v29, 28, v28
	v_and_b32_e32 v26, 15, v26
	v_lshlrev_b32_e32 v29, v29, v24
	v_sub_u32_e32 v28, 29, v28
	v_and_b32_e32 v29, 7, v29
	v_cmp_eq_u32_e64 s[6:7], 0, v26
	v_cndmask_b32_e64 v26, v26, v28, s[6:7]
	v_cndmask_b32_e64 v27, v27, v29, s[6:7]
	v_lshlrev_b32_e32 v24, 24, v24
	v_mov_b32_e32 v28, 0x3b800000
	v_lshlrev_b32_e32 v27, 20, v27
	v_and_b32_e32 v24, 0x80000000, v24
	v_lshl_add_u32 v26, v26, 23, v28
	v_or3_b32 v26, v24, v26, v27
.LBB298_108:
	s_or_b64 exec, exec, s[10:11]
	v_cmp_neq_f32_e64 s[10:11], v25, v26
                                        ; implicit-def: $vgpr24
.LBB298_109:
	s_andn2_saveexec_b64 s[12:13], s[12:13]
	s_cbranch_execz .LBB298_119
; %bb.110:
	s_movk_i32 s6, 0x7f
	v_cmp_gt_i16_sdwa s[14:15], v1, s6 src0_sel:BYTE_0 src1_sel:DWORD
	s_mov_b64 s[6:7], 0
	s_and_saveexec_b64 s[16:17], s[14:15]
	s_xor_b64 s[14:15], exec, s[16:17]
	s_cbranch_execnz .LBB298_473
; %bb.111:
	s_or_saveexec_b64 s[14:15], s[14:15]
	v_mov_b32_e32 v25, 0x7f800001
	s_xor_b64 exec, exec, s[14:15]
	s_cbranch_execnz .LBB298_476
.LBB298_112:
	s_or_b64 exec, exec, s[14:15]
	s_and_saveexec_b64 s[14:15], s[6:7]
.LBB298_113:
	v_mov_b32_e32 v25, v7
.LBB298_114:
	s_or_b64 exec, exec, s[14:15]
	s_movk_i32 s6, 0x7f
	v_cmp_gt_i16_sdwa s[14:15], v24, s6 src0_sel:BYTE_0 src1_sel:DWORD
	s_mov_b64 s[6:7], 0
	s_and_saveexec_b64 s[16:17], s[14:15]
	s_xor_b64 s[14:15], exec, s[16:17]
	s_cbranch_execnz .LBB298_477
; %bb.115:
	s_or_saveexec_b64 s[14:15], s[14:15]
	v_mov_b32_e32 v26, 0x7f800001
	s_xor_b64 exec, exec, s[14:15]
	s_cbranch_execnz .LBB298_480
.LBB298_116:
	s_or_b64 exec, exec, s[14:15]
	s_and_saveexec_b64 s[14:15], s[6:7]
	s_cbranch_execz .LBB298_118
.LBB298_117:
	v_and_b32_e32 v27, 7, v24
	v_ffbh_u32_e32 v28, v27
	v_min_u32_e32 v28, 32, v28
	v_lshrrev_b16_e32 v26, 3, v24
	v_subrev_u32_e32 v29, 28, v28
	v_and_b32_e32 v26, 15, v26
	v_lshlrev_b32_e32 v29, v29, v24
	v_sub_u32_e32 v28, 29, v28
	v_and_b32_e32 v29, 7, v29
	v_cmp_eq_u32_e64 s[6:7], 0, v26
	v_cndmask_b32_e64 v26, v26, v28, s[6:7]
	v_cndmask_b32_e64 v27, v27, v29, s[6:7]
	v_lshlrev_b32_e32 v24, 24, v24
	v_mov_b32_e32 v28, 0x3b800000
	v_lshlrev_b32_e32 v27, 20, v27
	v_and_b32_e32 v24, 0x80000000, v24
	v_lshl_add_u32 v26, v26, 23, v28
	v_or3_b32 v26, v24, v26, v27
.LBB298_118:
	s_or_b64 exec, exec, s[14:15]
	v_cmp_eq_f32_e64 s[6:7], v25, v26
	s_andn2_b64 s[10:11], s[10:11], exec
	s_and_b64 s[6:7], s[6:7], exec
	s_or_b64 s[10:11], s[10:11], s[6:7]
.LBB298_119:
	s_or_b64 exec, exec, s[12:13]
	s_movk_i32 s6, 0xff
	v_cndmask_b32_e64 v25, 0, 1, s[10:11]
	v_and_b32_sdwa v24, v12, s6 dst_sel:DWORD dst_unused:UNUSED_PAD src0_sel:WORD_1 src1_sel:DWORD
	v_lshlrev_b16_e32 v25, 8, v25
	v_or_b32_sdwa v24, v24, v25 dst_sel:WORD_1 dst_unused:UNUSED_PAD src0_sel:DWORD src1_sel:DWORD
	s_mov_b32 s6, 0xffff
	v_and_or_b32 v12, v12, s6, v24
.LBB298_120:
	s_or_b64 exec, exec, s[8:9]
	v_or_b32_e32 v24, 0x400, v9
	v_cmp_lt_i32_e64 s[6:7], v24, v6
	s_and_saveexec_b64 s[8:9], s[6:7]
	s_cbranch_execz .LBB298_142
; %bb.121:
                                        ; implicit-def: $sgpr10_sgpr11
	s_and_saveexec_b64 s[6:7], s[4:5]
	s_xor_b64 s[12:13], exec, s[6:7]
	s_cbranch_execz .LBB298_131
; %bb.122:
	s_movk_i32 s6, 0x7f
	v_cmp_gt_i16_sdwa s[10:11], v1, s6 src0_sel:BYTE_0 src1_sel:DWORD
	s_mov_b64 s[6:7], 0
	s_and_saveexec_b64 s[14:15], s[10:11]
	s_xor_b64 s[10:11], exec, s[14:15]
	s_cbranch_execnz .LBB298_481
; %bb.123:
	s_or_saveexec_b64 s[10:11], s[10:11]
	v_mov_b32_e32 v24, 0x7f800001
	s_xor_b64 exec, exec, s[10:11]
	s_cbranch_execnz .LBB298_484
.LBB298_124:
	s_or_b64 exec, exec, s[10:11]
	s_and_saveexec_b64 s[10:11], s[6:7]
.LBB298_125:
	v_mov_b32_e32 v24, v7
.LBB298_126:
	s_or_b64 exec, exec, s[10:11]
	s_movk_i32 s6, 0x7f
	v_cmp_gt_i16_sdwa s[10:11], v23, s6 src0_sel:BYTE_0 src1_sel:DWORD
	s_mov_b64 s[6:7], 0
	s_and_saveexec_b64 s[14:15], s[10:11]
	s_xor_b64 s[10:11], exec, s[14:15]
	s_cbranch_execnz .LBB298_485
; %bb.127:
	s_or_saveexec_b64 s[10:11], s[10:11]
	v_mov_b32_e32 v25, 0x7f800001
	s_xor_b64 exec, exec, s[10:11]
	s_cbranch_execnz .LBB298_488
.LBB298_128:
	s_or_b64 exec, exec, s[10:11]
	s_and_saveexec_b64 s[10:11], s[6:7]
	s_cbranch_execz .LBB298_130
.LBB298_129:
	v_and_b32_e32 v26, 7, v23
	v_ffbh_u32_e32 v27, v26
	v_min_u32_e32 v27, 32, v27
	v_lshrrev_b16_e32 v25, 3, v23
	v_subrev_u32_e32 v28, 28, v27
	v_and_b32_e32 v25, 15, v25
	v_lshlrev_b32_e32 v28, v28, v23
	v_sub_u32_e32 v27, 29, v27
	v_and_b32_e32 v28, 7, v28
	v_cmp_eq_u32_e64 s[6:7], 0, v25
	v_cndmask_b32_e64 v25, v25, v27, s[6:7]
	v_cndmask_b32_e64 v26, v26, v28, s[6:7]
	v_lshlrev_b32_e32 v23, 24, v23
	v_mov_b32_e32 v27, 0x3b800000
	v_lshlrev_b32_e32 v26, 20, v26
	v_and_b32_e32 v23, 0x80000000, v23
	v_lshl_add_u32 v25, v25, 23, v27
	v_or3_b32 v25, v23, v25, v26
.LBB298_130:
	s_or_b64 exec, exec, s[10:11]
	v_cmp_neq_f32_e64 s[10:11], v24, v25
                                        ; implicit-def: $vgpr23
.LBB298_131:
	s_andn2_saveexec_b64 s[12:13], s[12:13]
	s_cbranch_execz .LBB298_141
; %bb.132:
	s_movk_i32 s6, 0x7f
	v_cmp_gt_i16_sdwa s[14:15], v1, s6 src0_sel:BYTE_0 src1_sel:DWORD
	s_mov_b64 s[6:7], 0
	s_and_saveexec_b64 s[16:17], s[14:15]
	s_xor_b64 s[14:15], exec, s[16:17]
	s_cbranch_execnz .LBB298_489
; %bb.133:
	s_or_saveexec_b64 s[14:15], s[14:15]
	v_mov_b32_e32 v24, 0x7f800001
	s_xor_b64 exec, exec, s[14:15]
	s_cbranch_execnz .LBB298_492
.LBB298_134:
	s_or_b64 exec, exec, s[14:15]
	s_and_saveexec_b64 s[14:15], s[6:7]
.LBB298_135:
	v_mov_b32_e32 v24, v7
.LBB298_136:
	s_or_b64 exec, exec, s[14:15]
	s_movk_i32 s6, 0x7f
	v_cmp_gt_i16_sdwa s[14:15], v23, s6 src0_sel:BYTE_0 src1_sel:DWORD
	s_mov_b64 s[6:7], 0
	s_and_saveexec_b64 s[16:17], s[14:15]
	s_xor_b64 s[14:15], exec, s[16:17]
	s_cbranch_execnz .LBB298_493
; %bb.137:
	s_or_saveexec_b64 s[14:15], s[14:15]
	v_mov_b32_e32 v25, 0x7f800001
	s_xor_b64 exec, exec, s[14:15]
	s_cbranch_execnz .LBB298_496
.LBB298_138:
	s_or_b64 exec, exec, s[14:15]
	s_and_saveexec_b64 s[14:15], s[6:7]
	s_cbranch_execz .LBB298_140
.LBB298_139:
	v_and_b32_e32 v26, 7, v23
	v_ffbh_u32_e32 v27, v26
	v_min_u32_e32 v27, 32, v27
	v_lshrrev_b16_e32 v25, 3, v23
	v_subrev_u32_e32 v28, 28, v27
	v_and_b32_e32 v25, 15, v25
	v_lshlrev_b32_e32 v28, v28, v23
	v_sub_u32_e32 v27, 29, v27
	v_and_b32_e32 v28, 7, v28
	v_cmp_eq_u32_e64 s[6:7], 0, v25
	v_cndmask_b32_e64 v25, v25, v27, s[6:7]
	v_cndmask_b32_e64 v26, v26, v28, s[6:7]
	v_lshlrev_b32_e32 v23, 24, v23
	v_mov_b32_e32 v27, 0x3b800000
	v_lshlrev_b32_e32 v26, 20, v26
	v_and_b32_e32 v23, 0x80000000, v23
	v_lshl_add_u32 v25, v25, 23, v27
	v_or3_b32 v25, v23, v25, v26
.LBB298_140:
	s_or_b64 exec, exec, s[14:15]
	v_cmp_eq_f32_e64 s[6:7], v24, v25
	s_andn2_b64 s[10:11], s[10:11], exec
	s_and_b64 s[6:7], s[6:7], exec
	s_or_b64 s[10:11], s[10:11], s[6:7]
.LBB298_141:
	s_or_b64 exec, exec, s[12:13]
	v_and_b32_e32 v23, 0xffffff00, v5
	v_cndmask_b32_e64 v24, 0, 1, s[10:11]
	v_or_b32_e32 v23, v24, v23
	v_and_b32_e32 v23, 0xffff, v23
	s_mov_b32 s6, 0xffff0000
	v_and_or_b32 v5, v5, s6, v23
.LBB298_142:
	s_or_b64 exec, exec, s[8:9]
	v_add_u32_e32 v23, 0x500, v9
	v_cmp_lt_i32_e64 s[6:7], v23, v6
	s_and_saveexec_b64 s[8:9], s[6:7]
	s_cbranch_execz .LBB298_164
; %bb.143:
                                        ; implicit-def: $sgpr10_sgpr11
	s_and_saveexec_b64 s[6:7], s[4:5]
	s_xor_b64 s[12:13], exec, s[6:7]
	s_cbranch_execz .LBB298_153
; %bb.144:
	s_movk_i32 s6, 0x7f
	v_cmp_gt_i16_sdwa s[10:11], v1, s6 src0_sel:BYTE_0 src1_sel:DWORD
	s_mov_b64 s[6:7], 0
	s_and_saveexec_b64 s[14:15], s[10:11]
	s_xor_b64 s[10:11], exec, s[14:15]
	s_cbranch_execnz .LBB298_497
; %bb.145:
	s_or_saveexec_b64 s[10:11], s[10:11]
	v_mov_b32_e32 v23, 0x7f800001
	s_xor_b64 exec, exec, s[10:11]
	s_cbranch_execnz .LBB298_500
.LBB298_146:
	s_or_b64 exec, exec, s[10:11]
	s_and_saveexec_b64 s[10:11], s[6:7]
.LBB298_147:
	v_mov_b32_e32 v23, v7
.LBB298_148:
	s_or_b64 exec, exec, s[10:11]
	s_movk_i32 s6, 0x7f
	v_cmp_gt_i16_sdwa s[10:11], v22, s6 src0_sel:BYTE_0 src1_sel:DWORD
	s_mov_b64 s[6:7], 0
	s_and_saveexec_b64 s[14:15], s[10:11]
	s_xor_b64 s[10:11], exec, s[14:15]
	s_cbranch_execnz .LBB298_501
; %bb.149:
	s_or_saveexec_b64 s[10:11], s[10:11]
	v_mov_b32_e32 v24, 0x7f800001
	s_xor_b64 exec, exec, s[10:11]
	s_cbranch_execnz .LBB298_504
.LBB298_150:
	s_or_b64 exec, exec, s[10:11]
	s_and_saveexec_b64 s[10:11], s[6:7]
	s_cbranch_execz .LBB298_152
.LBB298_151:
	v_and_b32_e32 v25, 7, v22
	v_ffbh_u32_e32 v26, v25
	v_min_u32_e32 v26, 32, v26
	v_lshrrev_b16_e32 v24, 3, v22
	v_subrev_u32_e32 v27, 28, v26
	v_and_b32_e32 v24, 15, v24
	v_lshlrev_b32_e32 v27, v27, v22
	v_sub_u32_e32 v26, 29, v26
	v_and_b32_e32 v27, 7, v27
	v_cmp_eq_u32_e64 s[6:7], 0, v24
	v_cndmask_b32_e64 v24, v24, v26, s[6:7]
	v_cndmask_b32_e64 v25, v25, v27, s[6:7]
	v_lshlrev_b32_e32 v22, 24, v22
	v_mov_b32_e32 v26, 0x3b800000
	v_lshlrev_b32_e32 v25, 20, v25
	v_and_b32_e32 v22, 0x80000000, v22
	v_lshl_add_u32 v24, v24, 23, v26
	v_or3_b32 v24, v22, v24, v25
.LBB298_152:
	s_or_b64 exec, exec, s[10:11]
	v_cmp_neq_f32_e64 s[10:11], v23, v24
                                        ; implicit-def: $vgpr22
.LBB298_153:
	s_andn2_saveexec_b64 s[12:13], s[12:13]
	s_cbranch_execz .LBB298_163
; %bb.154:
	s_movk_i32 s6, 0x7f
	v_cmp_gt_i16_sdwa s[14:15], v1, s6 src0_sel:BYTE_0 src1_sel:DWORD
	s_mov_b64 s[6:7], 0
	s_and_saveexec_b64 s[16:17], s[14:15]
	s_xor_b64 s[14:15], exec, s[16:17]
	s_cbranch_execnz .LBB298_505
; %bb.155:
	s_or_saveexec_b64 s[14:15], s[14:15]
	v_mov_b32_e32 v23, 0x7f800001
	s_xor_b64 exec, exec, s[14:15]
	s_cbranch_execnz .LBB298_508
.LBB298_156:
	s_or_b64 exec, exec, s[14:15]
	s_and_saveexec_b64 s[14:15], s[6:7]
.LBB298_157:
	v_mov_b32_e32 v23, v7
.LBB298_158:
	s_or_b64 exec, exec, s[14:15]
	s_movk_i32 s6, 0x7f
	v_cmp_gt_i16_sdwa s[14:15], v22, s6 src0_sel:BYTE_0 src1_sel:DWORD
	s_mov_b64 s[6:7], 0
	s_and_saveexec_b64 s[16:17], s[14:15]
	s_xor_b64 s[14:15], exec, s[16:17]
	s_cbranch_execnz .LBB298_509
; %bb.159:
	s_or_saveexec_b64 s[14:15], s[14:15]
	v_mov_b32_e32 v24, 0x7f800001
	s_xor_b64 exec, exec, s[14:15]
	s_cbranch_execnz .LBB298_512
.LBB298_160:
	s_or_b64 exec, exec, s[14:15]
	s_and_saveexec_b64 s[14:15], s[6:7]
	s_cbranch_execz .LBB298_162
.LBB298_161:
	v_and_b32_e32 v25, 7, v22
	v_ffbh_u32_e32 v26, v25
	v_min_u32_e32 v26, 32, v26
	v_lshrrev_b16_e32 v24, 3, v22
	v_subrev_u32_e32 v27, 28, v26
	v_and_b32_e32 v24, 15, v24
	v_lshlrev_b32_e32 v27, v27, v22
	v_sub_u32_e32 v26, 29, v26
	v_and_b32_e32 v27, 7, v27
	v_cmp_eq_u32_e64 s[6:7], 0, v24
	v_cndmask_b32_e64 v24, v24, v26, s[6:7]
	v_cndmask_b32_e64 v25, v25, v27, s[6:7]
	v_lshlrev_b32_e32 v22, 24, v22
	v_mov_b32_e32 v26, 0x3b800000
	v_lshlrev_b32_e32 v25, 20, v25
	v_and_b32_e32 v22, 0x80000000, v22
	v_lshl_add_u32 v24, v24, 23, v26
	v_or3_b32 v24, v22, v24, v25
.LBB298_162:
	s_or_b64 exec, exec, s[14:15]
	v_cmp_eq_f32_e64 s[6:7], v23, v24
	s_andn2_b64 s[10:11], s[10:11], exec
	s_and_b64 s[6:7], s[6:7], exec
	s_or_b64 s[10:11], s[10:11], s[6:7]
.LBB298_163:
	s_or_b64 exec, exec, s[12:13]
	v_cndmask_b32_e64 v22, 0, 1, s[10:11]
	v_lshlrev_b16_e32 v22, 8, v22
	v_or_b32_sdwa v22, v5, v22 dst_sel:DWORD dst_unused:UNUSED_PAD src0_sel:BYTE_0 src1_sel:DWORD
	v_and_b32_e32 v22, 0xffff, v22
	s_mov_b32 s6, 0xffff0000
	v_and_or_b32 v5, v5, s6, v22
.LBB298_164:
	s_or_b64 exec, exec, s[8:9]
	v_add_u32_e32 v22, 0x600, v9
	v_cmp_lt_i32_e64 s[6:7], v22, v6
	s_and_saveexec_b64 s[8:9], s[6:7]
	s_cbranch_execz .LBB298_186
; %bb.165:
                                        ; implicit-def: $sgpr10_sgpr11
	s_and_saveexec_b64 s[6:7], s[4:5]
	s_xor_b64 s[12:13], exec, s[6:7]
	s_cbranch_execz .LBB298_175
; %bb.166:
	s_movk_i32 s6, 0x7f
	v_cmp_gt_i16_sdwa s[10:11], v1, s6 src0_sel:BYTE_0 src1_sel:DWORD
	s_mov_b64 s[6:7], 0
	s_and_saveexec_b64 s[14:15], s[10:11]
	s_xor_b64 s[10:11], exec, s[14:15]
	s_cbranch_execnz .LBB298_513
; %bb.167:
	s_or_saveexec_b64 s[10:11], s[10:11]
	v_mov_b32_e32 v22, 0x7f800001
	s_xor_b64 exec, exec, s[10:11]
	s_cbranch_execnz .LBB298_516
.LBB298_168:
	s_or_b64 exec, exec, s[10:11]
	s_and_saveexec_b64 s[10:11], s[6:7]
.LBB298_169:
	v_mov_b32_e32 v22, v7
.LBB298_170:
	s_or_b64 exec, exec, s[10:11]
	s_movk_i32 s6, 0x7f
	v_cmp_gt_i16_sdwa s[10:11], v21, s6 src0_sel:BYTE_0 src1_sel:DWORD
	s_mov_b64 s[6:7], 0
	s_and_saveexec_b64 s[14:15], s[10:11]
	s_xor_b64 s[10:11], exec, s[14:15]
	s_cbranch_execnz .LBB298_517
; %bb.171:
	s_or_saveexec_b64 s[10:11], s[10:11]
	v_mov_b32_e32 v23, 0x7f800001
	s_xor_b64 exec, exec, s[10:11]
	s_cbranch_execnz .LBB298_520
.LBB298_172:
	s_or_b64 exec, exec, s[10:11]
	s_and_saveexec_b64 s[10:11], s[6:7]
	s_cbranch_execz .LBB298_174
.LBB298_173:
	v_and_b32_e32 v24, 7, v21
	v_ffbh_u32_e32 v25, v24
	v_min_u32_e32 v25, 32, v25
	v_lshrrev_b16_e32 v23, 3, v21
	v_subrev_u32_e32 v26, 28, v25
	v_and_b32_e32 v23, 15, v23
	v_lshlrev_b32_e32 v26, v26, v21
	v_sub_u32_e32 v25, 29, v25
	v_and_b32_e32 v26, 7, v26
	v_cmp_eq_u32_e64 s[6:7], 0, v23
	v_cndmask_b32_e64 v23, v23, v25, s[6:7]
	v_cndmask_b32_e64 v24, v24, v26, s[6:7]
	v_lshlrev_b32_e32 v21, 24, v21
	v_mov_b32_e32 v25, 0x3b800000
	v_lshlrev_b32_e32 v24, 20, v24
	v_and_b32_e32 v21, 0x80000000, v21
	v_lshl_add_u32 v23, v23, 23, v25
	v_or3_b32 v23, v21, v23, v24
.LBB298_174:
	s_or_b64 exec, exec, s[10:11]
	v_cmp_neq_f32_e64 s[10:11], v22, v23
                                        ; implicit-def: $vgpr21
.LBB298_175:
	s_andn2_saveexec_b64 s[12:13], s[12:13]
	s_cbranch_execz .LBB298_185
; %bb.176:
	s_movk_i32 s6, 0x7f
	v_cmp_gt_i16_sdwa s[14:15], v1, s6 src0_sel:BYTE_0 src1_sel:DWORD
	s_mov_b64 s[6:7], 0
	s_and_saveexec_b64 s[16:17], s[14:15]
	s_xor_b64 s[14:15], exec, s[16:17]
	s_cbranch_execnz .LBB298_521
; %bb.177:
	s_or_saveexec_b64 s[14:15], s[14:15]
	v_mov_b32_e32 v22, 0x7f800001
	s_xor_b64 exec, exec, s[14:15]
	s_cbranch_execnz .LBB298_524
.LBB298_178:
	s_or_b64 exec, exec, s[14:15]
	s_and_saveexec_b64 s[14:15], s[6:7]
.LBB298_179:
	v_mov_b32_e32 v22, v7
.LBB298_180:
	s_or_b64 exec, exec, s[14:15]
	s_movk_i32 s6, 0x7f
	v_cmp_gt_i16_sdwa s[14:15], v21, s6 src0_sel:BYTE_0 src1_sel:DWORD
	s_mov_b64 s[6:7], 0
	s_and_saveexec_b64 s[16:17], s[14:15]
	s_xor_b64 s[14:15], exec, s[16:17]
	s_cbranch_execnz .LBB298_525
; %bb.181:
	s_or_saveexec_b64 s[14:15], s[14:15]
	v_mov_b32_e32 v23, 0x7f800001
	s_xor_b64 exec, exec, s[14:15]
	s_cbranch_execnz .LBB298_528
.LBB298_182:
	s_or_b64 exec, exec, s[14:15]
	s_and_saveexec_b64 s[14:15], s[6:7]
	s_cbranch_execz .LBB298_184
.LBB298_183:
	v_and_b32_e32 v24, 7, v21
	v_ffbh_u32_e32 v25, v24
	v_min_u32_e32 v25, 32, v25
	v_lshrrev_b16_e32 v23, 3, v21
	v_subrev_u32_e32 v26, 28, v25
	v_and_b32_e32 v23, 15, v23
	v_lshlrev_b32_e32 v26, v26, v21
	v_sub_u32_e32 v25, 29, v25
	v_and_b32_e32 v26, 7, v26
	v_cmp_eq_u32_e64 s[6:7], 0, v23
	v_cndmask_b32_e64 v23, v23, v25, s[6:7]
	v_cndmask_b32_e64 v24, v24, v26, s[6:7]
	v_lshlrev_b32_e32 v21, 24, v21
	v_mov_b32_e32 v25, 0x3b800000
	v_lshlrev_b32_e32 v24, 20, v24
	v_and_b32_e32 v21, 0x80000000, v21
	v_lshl_add_u32 v23, v23, 23, v25
	v_or3_b32 v23, v21, v23, v24
.LBB298_184:
	s_or_b64 exec, exec, s[14:15]
	v_cmp_eq_f32_e64 s[6:7], v22, v23
	s_andn2_b64 s[10:11], s[10:11], exec
	s_and_b64 s[6:7], s[6:7], exec
	s_or_b64 s[10:11], s[10:11], s[6:7]
.LBB298_185:
	s_or_b64 exec, exec, s[12:13]
	s_movk_i32 s6, 0xff00
	v_and_b32_sdwa v21, v5, s6 dst_sel:DWORD dst_unused:UNUSED_PAD src0_sel:WORD_1 src1_sel:DWORD
	v_cndmask_b32_e64 v22, 0, 1, s[10:11]
	v_or_b32_sdwa v21, v22, v21 dst_sel:WORD_1 dst_unused:UNUSED_PAD src0_sel:DWORD src1_sel:DWORD
	s_mov_b32 s6, 0xffff
	v_and_or_b32 v5, v5, s6, v21
.LBB298_186:
	s_or_b64 exec, exec, s[8:9]
	v_add_u32_e32 v21, 0x700, v9
	v_cmp_lt_i32_e64 s[6:7], v21, v6
	s_and_saveexec_b64 s[8:9], s[6:7]
	s_cbranch_execz .LBB298_208
; %bb.187:
                                        ; implicit-def: $sgpr10_sgpr11
	s_and_saveexec_b64 s[6:7], s[4:5]
	s_xor_b64 s[12:13], exec, s[6:7]
	s_cbranch_execz .LBB298_197
; %bb.188:
	s_movk_i32 s6, 0x7f
	v_cmp_gt_i16_sdwa s[10:11], v1, s6 src0_sel:BYTE_0 src1_sel:DWORD
	s_mov_b64 s[6:7], 0
	s_and_saveexec_b64 s[14:15], s[10:11]
	s_xor_b64 s[10:11], exec, s[14:15]
	s_cbranch_execnz .LBB298_529
; %bb.189:
	s_or_saveexec_b64 s[10:11], s[10:11]
	v_mov_b32_e32 v21, 0x7f800001
	s_xor_b64 exec, exec, s[10:11]
	s_cbranch_execnz .LBB298_532
.LBB298_190:
	s_or_b64 exec, exec, s[10:11]
	s_and_saveexec_b64 s[10:11], s[6:7]
.LBB298_191:
	v_mov_b32_e32 v21, v7
.LBB298_192:
	s_or_b64 exec, exec, s[10:11]
	s_movk_i32 s6, 0x7f
	v_cmp_gt_i16_sdwa s[10:11], v20, s6 src0_sel:BYTE_0 src1_sel:DWORD
	s_mov_b64 s[6:7], 0
	s_and_saveexec_b64 s[14:15], s[10:11]
	s_xor_b64 s[10:11], exec, s[14:15]
	s_cbranch_execnz .LBB298_533
; %bb.193:
	s_or_saveexec_b64 s[10:11], s[10:11]
	v_mov_b32_e32 v22, 0x7f800001
	s_xor_b64 exec, exec, s[10:11]
	s_cbranch_execnz .LBB298_536
.LBB298_194:
	s_or_b64 exec, exec, s[10:11]
	s_and_saveexec_b64 s[10:11], s[6:7]
	s_cbranch_execz .LBB298_196
.LBB298_195:
	v_and_b32_e32 v23, 7, v20
	v_ffbh_u32_e32 v24, v23
	v_min_u32_e32 v24, 32, v24
	v_lshrrev_b16_e32 v22, 3, v20
	v_subrev_u32_e32 v25, 28, v24
	v_and_b32_e32 v22, 15, v22
	v_lshlrev_b32_e32 v25, v25, v20
	v_sub_u32_e32 v24, 29, v24
	v_and_b32_e32 v25, 7, v25
	v_cmp_eq_u32_e64 s[6:7], 0, v22
	v_cndmask_b32_e64 v22, v22, v24, s[6:7]
	v_cndmask_b32_e64 v23, v23, v25, s[6:7]
	v_lshlrev_b32_e32 v20, 24, v20
	v_mov_b32_e32 v24, 0x3b800000
	v_lshlrev_b32_e32 v23, 20, v23
	v_and_b32_e32 v20, 0x80000000, v20
	v_lshl_add_u32 v22, v22, 23, v24
	v_or3_b32 v22, v20, v22, v23
.LBB298_196:
	s_or_b64 exec, exec, s[10:11]
	v_cmp_neq_f32_e64 s[10:11], v21, v22
                                        ; implicit-def: $vgpr20
.LBB298_197:
	s_andn2_saveexec_b64 s[12:13], s[12:13]
	s_cbranch_execz .LBB298_207
; %bb.198:
	s_movk_i32 s6, 0x7f
	v_cmp_gt_i16_sdwa s[14:15], v1, s6 src0_sel:BYTE_0 src1_sel:DWORD
	s_mov_b64 s[6:7], 0
	s_and_saveexec_b64 s[16:17], s[14:15]
	s_xor_b64 s[14:15], exec, s[16:17]
	s_cbranch_execnz .LBB298_537
; %bb.199:
	s_or_saveexec_b64 s[14:15], s[14:15]
	v_mov_b32_e32 v21, 0x7f800001
	s_xor_b64 exec, exec, s[14:15]
	s_cbranch_execnz .LBB298_540
.LBB298_200:
	s_or_b64 exec, exec, s[14:15]
	s_and_saveexec_b64 s[14:15], s[6:7]
.LBB298_201:
	v_mov_b32_e32 v21, v7
.LBB298_202:
	s_or_b64 exec, exec, s[14:15]
	s_movk_i32 s6, 0x7f
	v_cmp_gt_i16_sdwa s[14:15], v20, s6 src0_sel:BYTE_0 src1_sel:DWORD
	s_mov_b64 s[6:7], 0
	s_and_saveexec_b64 s[16:17], s[14:15]
	s_xor_b64 s[14:15], exec, s[16:17]
	s_cbranch_execnz .LBB298_541
; %bb.203:
	s_or_saveexec_b64 s[14:15], s[14:15]
	v_mov_b32_e32 v22, 0x7f800001
	s_xor_b64 exec, exec, s[14:15]
	s_cbranch_execnz .LBB298_544
.LBB298_204:
	s_or_b64 exec, exec, s[14:15]
	s_and_saveexec_b64 s[14:15], s[6:7]
	s_cbranch_execz .LBB298_206
.LBB298_205:
	v_and_b32_e32 v23, 7, v20
	v_ffbh_u32_e32 v24, v23
	v_min_u32_e32 v24, 32, v24
	v_lshrrev_b16_e32 v22, 3, v20
	v_subrev_u32_e32 v25, 28, v24
	v_and_b32_e32 v22, 15, v22
	v_lshlrev_b32_e32 v25, v25, v20
	v_sub_u32_e32 v24, 29, v24
	v_and_b32_e32 v25, 7, v25
	v_cmp_eq_u32_e64 s[6:7], 0, v22
	v_cndmask_b32_e64 v22, v22, v24, s[6:7]
	v_cndmask_b32_e64 v23, v23, v25, s[6:7]
	v_lshlrev_b32_e32 v20, 24, v20
	v_mov_b32_e32 v24, 0x3b800000
	v_lshlrev_b32_e32 v23, 20, v23
	v_and_b32_e32 v20, 0x80000000, v20
	v_lshl_add_u32 v22, v22, 23, v24
	v_or3_b32 v22, v20, v22, v23
.LBB298_206:
	s_or_b64 exec, exec, s[14:15]
	v_cmp_eq_f32_e64 s[6:7], v21, v22
	s_andn2_b64 s[10:11], s[10:11], exec
	s_and_b64 s[6:7], s[6:7], exec
	s_or_b64 s[10:11], s[10:11], s[6:7]
.LBB298_207:
	s_or_b64 exec, exec, s[12:13]
	s_movk_i32 s6, 0xff
	v_cndmask_b32_e64 v21, 0, 1, s[10:11]
	v_and_b32_sdwa v20, v5, s6 dst_sel:DWORD dst_unused:UNUSED_PAD src0_sel:WORD_1 src1_sel:DWORD
	v_lshlrev_b16_e32 v21, 8, v21
	v_or_b32_sdwa v20, v20, v21 dst_sel:WORD_1 dst_unused:UNUSED_PAD src0_sel:DWORD src1_sel:DWORD
	s_mov_b32 s6, 0xffff
	v_and_or_b32 v5, v5, s6, v20
.LBB298_208:
	s_or_b64 exec, exec, s[8:9]
	v_or_b32_e32 v20, 0x800, v9
	v_cmp_lt_i32_e64 s[6:7], v20, v6
	s_and_saveexec_b64 s[8:9], s[6:7]
	s_cbranch_execz .LBB298_230
; %bb.209:
                                        ; implicit-def: $sgpr10_sgpr11
	s_and_saveexec_b64 s[6:7], s[4:5]
	s_xor_b64 s[12:13], exec, s[6:7]
	s_cbranch_execz .LBB298_219
; %bb.210:
	s_movk_i32 s6, 0x7f
	v_cmp_gt_i16_sdwa s[10:11], v1, s6 src0_sel:BYTE_0 src1_sel:DWORD
	s_mov_b64 s[6:7], 0
	s_and_saveexec_b64 s[14:15], s[10:11]
	s_xor_b64 s[10:11], exec, s[14:15]
	s_cbranch_execnz .LBB298_545
; %bb.211:
	s_or_saveexec_b64 s[10:11], s[10:11]
	v_mov_b32_e32 v20, 0x7f800001
	s_xor_b64 exec, exec, s[10:11]
	s_cbranch_execnz .LBB298_548
.LBB298_212:
	s_or_b64 exec, exec, s[10:11]
	s_and_saveexec_b64 s[10:11], s[6:7]
.LBB298_213:
	v_mov_b32_e32 v20, v7
.LBB298_214:
	s_or_b64 exec, exec, s[10:11]
	s_movk_i32 s6, 0x7f
	v_cmp_gt_i16_sdwa s[10:11], v19, s6 src0_sel:BYTE_0 src1_sel:DWORD
	s_mov_b64 s[6:7], 0
	s_and_saveexec_b64 s[14:15], s[10:11]
	s_xor_b64 s[10:11], exec, s[14:15]
	s_cbranch_execnz .LBB298_549
; %bb.215:
	s_or_saveexec_b64 s[10:11], s[10:11]
	v_mov_b32_e32 v21, 0x7f800001
	s_xor_b64 exec, exec, s[10:11]
	s_cbranch_execnz .LBB298_552
.LBB298_216:
	s_or_b64 exec, exec, s[10:11]
	s_and_saveexec_b64 s[10:11], s[6:7]
	s_cbranch_execz .LBB298_218
.LBB298_217:
	v_and_b32_e32 v22, 7, v19
	v_ffbh_u32_e32 v23, v22
	v_min_u32_e32 v23, 32, v23
	v_lshrrev_b16_e32 v21, 3, v19
	v_subrev_u32_e32 v24, 28, v23
	v_and_b32_e32 v21, 15, v21
	v_lshlrev_b32_e32 v24, v24, v19
	v_sub_u32_e32 v23, 29, v23
	v_and_b32_e32 v24, 7, v24
	v_cmp_eq_u32_e64 s[6:7], 0, v21
	v_cndmask_b32_e64 v21, v21, v23, s[6:7]
	v_cndmask_b32_e64 v22, v22, v24, s[6:7]
	v_lshlrev_b32_e32 v19, 24, v19
	v_mov_b32_e32 v23, 0x3b800000
	v_lshlrev_b32_e32 v22, 20, v22
	v_and_b32_e32 v19, 0x80000000, v19
	v_lshl_add_u32 v21, v21, 23, v23
	v_or3_b32 v21, v19, v21, v22
.LBB298_218:
	s_or_b64 exec, exec, s[10:11]
	v_cmp_neq_f32_e64 s[10:11], v20, v21
                                        ; implicit-def: $vgpr19
.LBB298_219:
	s_andn2_saveexec_b64 s[12:13], s[12:13]
	s_cbranch_execz .LBB298_229
; %bb.220:
	s_movk_i32 s6, 0x7f
	v_cmp_gt_i16_sdwa s[14:15], v1, s6 src0_sel:BYTE_0 src1_sel:DWORD
	s_mov_b64 s[6:7], 0
	s_and_saveexec_b64 s[16:17], s[14:15]
	s_xor_b64 s[14:15], exec, s[16:17]
	s_cbranch_execnz .LBB298_553
; %bb.221:
	s_or_saveexec_b64 s[14:15], s[14:15]
	v_mov_b32_e32 v20, 0x7f800001
	s_xor_b64 exec, exec, s[14:15]
	s_cbranch_execnz .LBB298_556
.LBB298_222:
	s_or_b64 exec, exec, s[14:15]
	s_and_saveexec_b64 s[14:15], s[6:7]
.LBB298_223:
	v_mov_b32_e32 v20, v7
.LBB298_224:
	s_or_b64 exec, exec, s[14:15]
	s_movk_i32 s6, 0x7f
	v_cmp_gt_i16_sdwa s[14:15], v19, s6 src0_sel:BYTE_0 src1_sel:DWORD
	s_mov_b64 s[6:7], 0
	s_and_saveexec_b64 s[16:17], s[14:15]
	s_xor_b64 s[14:15], exec, s[16:17]
	s_cbranch_execnz .LBB298_557
; %bb.225:
	s_or_saveexec_b64 s[14:15], s[14:15]
	v_mov_b32_e32 v21, 0x7f800001
	s_xor_b64 exec, exec, s[14:15]
	s_cbranch_execnz .LBB298_560
.LBB298_226:
	s_or_b64 exec, exec, s[14:15]
	s_and_saveexec_b64 s[14:15], s[6:7]
	s_cbranch_execz .LBB298_228
.LBB298_227:
	v_and_b32_e32 v22, 7, v19
	v_ffbh_u32_e32 v23, v22
	v_min_u32_e32 v23, 32, v23
	v_lshrrev_b16_e32 v21, 3, v19
	v_subrev_u32_e32 v24, 28, v23
	v_and_b32_e32 v21, 15, v21
	v_lshlrev_b32_e32 v24, v24, v19
	v_sub_u32_e32 v23, 29, v23
	v_and_b32_e32 v24, 7, v24
	v_cmp_eq_u32_e64 s[6:7], 0, v21
	v_cndmask_b32_e64 v21, v21, v23, s[6:7]
	v_cndmask_b32_e64 v22, v22, v24, s[6:7]
	v_lshlrev_b32_e32 v19, 24, v19
	v_mov_b32_e32 v23, 0x3b800000
	v_lshlrev_b32_e32 v22, 20, v22
	v_and_b32_e32 v19, 0x80000000, v19
	v_lshl_add_u32 v21, v21, 23, v23
	v_or3_b32 v21, v19, v21, v22
.LBB298_228:
	s_or_b64 exec, exec, s[14:15]
	v_cmp_eq_f32_e64 s[6:7], v20, v21
	s_andn2_b64 s[10:11], s[10:11], exec
	s_and_b64 s[6:7], s[6:7], exec
	s_or_b64 s[10:11], s[10:11], s[6:7]
.LBB298_229:
	s_or_b64 exec, exec, s[12:13]
	v_and_b32_e32 v19, 0xffffff00, v4
	v_cndmask_b32_e64 v20, 0, 1, s[10:11]
	v_or_b32_e32 v19, v20, v19
	v_and_b32_e32 v19, 0xffff, v19
	s_mov_b32 s6, 0xffff0000
	v_and_or_b32 v4, v4, s6, v19
.LBB298_230:
	s_or_b64 exec, exec, s[8:9]
	v_add_u32_e32 v19, 0x900, v9
	v_cmp_lt_i32_e64 s[6:7], v19, v6
	s_and_saveexec_b64 s[8:9], s[6:7]
	s_cbranch_execz .LBB298_252
; %bb.231:
                                        ; implicit-def: $sgpr10_sgpr11
	s_and_saveexec_b64 s[6:7], s[4:5]
	s_xor_b64 s[12:13], exec, s[6:7]
	s_cbranch_execz .LBB298_241
; %bb.232:
	s_movk_i32 s6, 0x7f
	v_cmp_gt_i16_sdwa s[10:11], v1, s6 src0_sel:BYTE_0 src1_sel:DWORD
	s_mov_b64 s[6:7], 0
	s_and_saveexec_b64 s[14:15], s[10:11]
	s_xor_b64 s[10:11], exec, s[14:15]
	s_cbranch_execnz .LBB298_561
; %bb.233:
	s_or_saveexec_b64 s[10:11], s[10:11]
	v_mov_b32_e32 v19, 0x7f800001
	s_xor_b64 exec, exec, s[10:11]
	s_cbranch_execnz .LBB298_564
.LBB298_234:
	s_or_b64 exec, exec, s[10:11]
	s_and_saveexec_b64 s[10:11], s[6:7]
.LBB298_235:
	v_mov_b32_e32 v19, v7
.LBB298_236:
	s_or_b64 exec, exec, s[10:11]
	s_movk_i32 s6, 0x7f
	v_cmp_gt_i16_sdwa s[10:11], v18, s6 src0_sel:BYTE_0 src1_sel:DWORD
	s_mov_b64 s[6:7], 0
	s_and_saveexec_b64 s[14:15], s[10:11]
	s_xor_b64 s[10:11], exec, s[14:15]
	s_cbranch_execnz .LBB298_565
; %bb.237:
	s_or_saveexec_b64 s[10:11], s[10:11]
	v_mov_b32_e32 v20, 0x7f800001
	s_xor_b64 exec, exec, s[10:11]
	s_cbranch_execnz .LBB298_568
.LBB298_238:
	s_or_b64 exec, exec, s[10:11]
	s_and_saveexec_b64 s[10:11], s[6:7]
	s_cbranch_execz .LBB298_240
.LBB298_239:
	v_and_b32_e32 v21, 7, v18
	v_ffbh_u32_e32 v22, v21
	v_min_u32_e32 v22, 32, v22
	v_lshrrev_b16_e32 v20, 3, v18
	v_subrev_u32_e32 v23, 28, v22
	v_and_b32_e32 v20, 15, v20
	v_lshlrev_b32_e32 v23, v23, v18
	v_sub_u32_e32 v22, 29, v22
	v_and_b32_e32 v23, 7, v23
	v_cmp_eq_u32_e64 s[6:7], 0, v20
	v_cndmask_b32_e64 v20, v20, v22, s[6:7]
	v_cndmask_b32_e64 v21, v21, v23, s[6:7]
	v_lshlrev_b32_e32 v18, 24, v18
	v_mov_b32_e32 v22, 0x3b800000
	v_lshlrev_b32_e32 v21, 20, v21
	v_and_b32_e32 v18, 0x80000000, v18
	v_lshl_add_u32 v20, v20, 23, v22
	v_or3_b32 v20, v18, v20, v21
.LBB298_240:
	s_or_b64 exec, exec, s[10:11]
	v_cmp_neq_f32_e64 s[10:11], v19, v20
                                        ; implicit-def: $vgpr18
.LBB298_241:
	s_andn2_saveexec_b64 s[12:13], s[12:13]
	s_cbranch_execz .LBB298_251
; %bb.242:
	s_movk_i32 s6, 0x7f
	v_cmp_gt_i16_sdwa s[14:15], v1, s6 src0_sel:BYTE_0 src1_sel:DWORD
	s_mov_b64 s[6:7], 0
	s_and_saveexec_b64 s[16:17], s[14:15]
	s_xor_b64 s[14:15], exec, s[16:17]
	s_cbranch_execnz .LBB298_569
; %bb.243:
	s_or_saveexec_b64 s[14:15], s[14:15]
	v_mov_b32_e32 v19, 0x7f800001
	s_xor_b64 exec, exec, s[14:15]
	s_cbranch_execnz .LBB298_572
.LBB298_244:
	s_or_b64 exec, exec, s[14:15]
	s_and_saveexec_b64 s[14:15], s[6:7]
.LBB298_245:
	v_mov_b32_e32 v19, v7
.LBB298_246:
	s_or_b64 exec, exec, s[14:15]
	s_movk_i32 s6, 0x7f
	v_cmp_gt_i16_sdwa s[14:15], v18, s6 src0_sel:BYTE_0 src1_sel:DWORD
	s_mov_b64 s[6:7], 0
	s_and_saveexec_b64 s[16:17], s[14:15]
	s_xor_b64 s[14:15], exec, s[16:17]
	s_cbranch_execnz .LBB298_573
; %bb.247:
	s_or_saveexec_b64 s[14:15], s[14:15]
	v_mov_b32_e32 v20, 0x7f800001
	s_xor_b64 exec, exec, s[14:15]
	s_cbranch_execnz .LBB298_576
.LBB298_248:
	s_or_b64 exec, exec, s[14:15]
	s_and_saveexec_b64 s[14:15], s[6:7]
	s_cbranch_execz .LBB298_250
.LBB298_249:
	v_and_b32_e32 v21, 7, v18
	v_ffbh_u32_e32 v22, v21
	v_min_u32_e32 v22, 32, v22
	v_lshrrev_b16_e32 v20, 3, v18
	v_subrev_u32_e32 v23, 28, v22
	v_and_b32_e32 v20, 15, v20
	v_lshlrev_b32_e32 v23, v23, v18
	v_sub_u32_e32 v22, 29, v22
	v_and_b32_e32 v23, 7, v23
	v_cmp_eq_u32_e64 s[6:7], 0, v20
	v_cndmask_b32_e64 v20, v20, v22, s[6:7]
	v_cndmask_b32_e64 v21, v21, v23, s[6:7]
	v_lshlrev_b32_e32 v18, 24, v18
	v_mov_b32_e32 v22, 0x3b800000
	v_lshlrev_b32_e32 v21, 20, v21
	v_and_b32_e32 v18, 0x80000000, v18
	v_lshl_add_u32 v20, v20, 23, v22
	v_or3_b32 v20, v18, v20, v21
.LBB298_250:
	s_or_b64 exec, exec, s[14:15]
	v_cmp_eq_f32_e64 s[6:7], v19, v20
	s_andn2_b64 s[10:11], s[10:11], exec
	s_and_b64 s[6:7], s[6:7], exec
	s_or_b64 s[10:11], s[10:11], s[6:7]
.LBB298_251:
	s_or_b64 exec, exec, s[12:13]
	v_cndmask_b32_e64 v18, 0, 1, s[10:11]
	v_lshlrev_b16_e32 v18, 8, v18
	v_or_b32_sdwa v18, v4, v18 dst_sel:DWORD dst_unused:UNUSED_PAD src0_sel:BYTE_0 src1_sel:DWORD
	v_and_b32_e32 v18, 0xffff, v18
	s_mov_b32 s6, 0xffff0000
	v_and_or_b32 v4, v4, s6, v18
.LBB298_252:
	s_or_b64 exec, exec, s[8:9]
	v_add_u32_e32 v18, 0xa00, v9
	v_cmp_lt_i32_e64 s[6:7], v18, v6
	s_and_saveexec_b64 s[8:9], s[6:7]
	s_cbranch_execz .LBB298_274
; %bb.253:
                                        ; implicit-def: $sgpr10_sgpr11
	s_and_saveexec_b64 s[6:7], s[4:5]
	s_xor_b64 s[12:13], exec, s[6:7]
	s_cbranch_execz .LBB298_263
; %bb.254:
	s_movk_i32 s6, 0x7f
	v_cmp_gt_i16_sdwa s[10:11], v1, s6 src0_sel:BYTE_0 src1_sel:DWORD
	s_mov_b64 s[6:7], 0
	s_and_saveexec_b64 s[14:15], s[10:11]
	s_xor_b64 s[10:11], exec, s[14:15]
	s_cbranch_execnz .LBB298_577
; %bb.255:
	s_or_saveexec_b64 s[10:11], s[10:11]
	v_mov_b32_e32 v18, 0x7f800001
	s_xor_b64 exec, exec, s[10:11]
	s_cbranch_execnz .LBB298_580
.LBB298_256:
	s_or_b64 exec, exec, s[10:11]
	s_and_saveexec_b64 s[10:11], s[6:7]
.LBB298_257:
	v_mov_b32_e32 v18, v7
.LBB298_258:
	s_or_b64 exec, exec, s[10:11]
	s_movk_i32 s6, 0x7f
	v_cmp_gt_i16_sdwa s[10:11], v17, s6 src0_sel:BYTE_0 src1_sel:DWORD
	s_mov_b64 s[6:7], 0
	s_and_saveexec_b64 s[14:15], s[10:11]
	s_xor_b64 s[10:11], exec, s[14:15]
	s_cbranch_execnz .LBB298_581
; %bb.259:
	s_or_saveexec_b64 s[10:11], s[10:11]
	v_mov_b32_e32 v19, 0x7f800001
	s_xor_b64 exec, exec, s[10:11]
	s_cbranch_execnz .LBB298_584
.LBB298_260:
	s_or_b64 exec, exec, s[10:11]
	s_and_saveexec_b64 s[10:11], s[6:7]
	s_cbranch_execz .LBB298_262
.LBB298_261:
	v_and_b32_e32 v20, 7, v17
	v_ffbh_u32_e32 v21, v20
	v_min_u32_e32 v21, 32, v21
	v_lshrrev_b16_e32 v19, 3, v17
	v_subrev_u32_e32 v22, 28, v21
	v_and_b32_e32 v19, 15, v19
	v_lshlrev_b32_e32 v22, v22, v17
	v_sub_u32_e32 v21, 29, v21
	v_and_b32_e32 v22, 7, v22
	v_cmp_eq_u32_e64 s[6:7], 0, v19
	v_cndmask_b32_e64 v19, v19, v21, s[6:7]
	v_cndmask_b32_e64 v20, v20, v22, s[6:7]
	v_lshlrev_b32_e32 v17, 24, v17
	v_mov_b32_e32 v21, 0x3b800000
	v_lshlrev_b32_e32 v20, 20, v20
	v_and_b32_e32 v17, 0x80000000, v17
	v_lshl_add_u32 v19, v19, 23, v21
	v_or3_b32 v19, v17, v19, v20
.LBB298_262:
	s_or_b64 exec, exec, s[10:11]
	v_cmp_neq_f32_e64 s[10:11], v18, v19
                                        ; implicit-def: $vgpr17
.LBB298_263:
	s_andn2_saveexec_b64 s[12:13], s[12:13]
	s_cbranch_execz .LBB298_273
; %bb.264:
	s_movk_i32 s6, 0x7f
	v_cmp_gt_i16_sdwa s[14:15], v1, s6 src0_sel:BYTE_0 src1_sel:DWORD
	s_mov_b64 s[6:7], 0
	s_and_saveexec_b64 s[16:17], s[14:15]
	s_xor_b64 s[14:15], exec, s[16:17]
	s_cbranch_execnz .LBB298_585
; %bb.265:
	s_or_saveexec_b64 s[14:15], s[14:15]
	v_mov_b32_e32 v18, 0x7f800001
	s_xor_b64 exec, exec, s[14:15]
	s_cbranch_execnz .LBB298_588
.LBB298_266:
	s_or_b64 exec, exec, s[14:15]
	s_and_saveexec_b64 s[14:15], s[6:7]
.LBB298_267:
	v_mov_b32_e32 v18, v7
.LBB298_268:
	s_or_b64 exec, exec, s[14:15]
	s_movk_i32 s6, 0x7f
	v_cmp_gt_i16_sdwa s[14:15], v17, s6 src0_sel:BYTE_0 src1_sel:DWORD
	s_mov_b64 s[6:7], 0
	s_and_saveexec_b64 s[16:17], s[14:15]
	s_xor_b64 s[14:15], exec, s[16:17]
	s_cbranch_execnz .LBB298_589
; %bb.269:
	s_or_saveexec_b64 s[14:15], s[14:15]
	v_mov_b32_e32 v19, 0x7f800001
	s_xor_b64 exec, exec, s[14:15]
	s_cbranch_execnz .LBB298_592
.LBB298_270:
	s_or_b64 exec, exec, s[14:15]
	s_and_saveexec_b64 s[14:15], s[6:7]
	s_cbranch_execz .LBB298_272
.LBB298_271:
	v_and_b32_e32 v20, 7, v17
	v_ffbh_u32_e32 v21, v20
	v_min_u32_e32 v21, 32, v21
	v_lshrrev_b16_e32 v19, 3, v17
	v_subrev_u32_e32 v22, 28, v21
	v_and_b32_e32 v19, 15, v19
	v_lshlrev_b32_e32 v22, v22, v17
	v_sub_u32_e32 v21, 29, v21
	v_and_b32_e32 v22, 7, v22
	v_cmp_eq_u32_e64 s[6:7], 0, v19
	v_cndmask_b32_e64 v19, v19, v21, s[6:7]
	v_cndmask_b32_e64 v20, v20, v22, s[6:7]
	v_lshlrev_b32_e32 v17, 24, v17
	v_mov_b32_e32 v21, 0x3b800000
	v_lshlrev_b32_e32 v20, 20, v20
	v_and_b32_e32 v17, 0x80000000, v17
	v_lshl_add_u32 v19, v19, 23, v21
	v_or3_b32 v19, v17, v19, v20
.LBB298_272:
	s_or_b64 exec, exec, s[14:15]
	v_cmp_eq_f32_e64 s[6:7], v18, v19
	s_andn2_b64 s[10:11], s[10:11], exec
	s_and_b64 s[6:7], s[6:7], exec
	s_or_b64 s[10:11], s[10:11], s[6:7]
.LBB298_273:
	s_or_b64 exec, exec, s[12:13]
	s_movk_i32 s6, 0xff00
	v_and_b32_sdwa v17, v4, s6 dst_sel:DWORD dst_unused:UNUSED_PAD src0_sel:WORD_1 src1_sel:DWORD
	v_cndmask_b32_e64 v18, 0, 1, s[10:11]
	v_or_b32_sdwa v17, v18, v17 dst_sel:WORD_1 dst_unused:UNUSED_PAD src0_sel:DWORD src1_sel:DWORD
	s_mov_b32 s6, 0xffff
	v_and_or_b32 v4, v4, s6, v17
.LBB298_274:
	s_or_b64 exec, exec, s[8:9]
	v_add_u32_e32 v17, 0xb00, v9
	v_cmp_lt_i32_e64 s[6:7], v17, v6
	s_and_saveexec_b64 s[8:9], s[6:7]
	s_cbranch_execz .LBB298_296
; %bb.275:
                                        ; implicit-def: $sgpr10_sgpr11
	s_and_saveexec_b64 s[6:7], s[4:5]
	s_xor_b64 s[12:13], exec, s[6:7]
	s_cbranch_execz .LBB298_285
; %bb.276:
	s_movk_i32 s6, 0x7f
	v_cmp_gt_i16_sdwa s[10:11], v1, s6 src0_sel:BYTE_0 src1_sel:DWORD
	s_mov_b64 s[6:7], 0
	s_and_saveexec_b64 s[14:15], s[10:11]
	s_xor_b64 s[10:11], exec, s[14:15]
	s_cbranch_execnz .LBB298_593
; %bb.277:
	s_or_saveexec_b64 s[10:11], s[10:11]
	v_mov_b32_e32 v17, 0x7f800001
	s_xor_b64 exec, exec, s[10:11]
	s_cbranch_execnz .LBB298_596
.LBB298_278:
	s_or_b64 exec, exec, s[10:11]
	s_and_saveexec_b64 s[10:11], s[6:7]
.LBB298_279:
	v_mov_b32_e32 v17, v7
.LBB298_280:
	s_or_b64 exec, exec, s[10:11]
	s_movk_i32 s6, 0x7f
	v_cmp_gt_i16_sdwa s[10:11], v16, s6 src0_sel:BYTE_0 src1_sel:DWORD
	s_mov_b64 s[6:7], 0
	s_and_saveexec_b64 s[14:15], s[10:11]
	s_xor_b64 s[10:11], exec, s[14:15]
	s_cbranch_execnz .LBB298_597
; %bb.281:
	s_or_saveexec_b64 s[10:11], s[10:11]
	v_mov_b32_e32 v18, 0x7f800001
	s_xor_b64 exec, exec, s[10:11]
	s_cbranch_execnz .LBB298_600
.LBB298_282:
	s_or_b64 exec, exec, s[10:11]
	s_and_saveexec_b64 s[10:11], s[6:7]
	s_cbranch_execz .LBB298_284
.LBB298_283:
	v_and_b32_e32 v19, 7, v16
	v_ffbh_u32_e32 v20, v19
	v_min_u32_e32 v20, 32, v20
	v_lshrrev_b16_e32 v18, 3, v16
	v_subrev_u32_e32 v21, 28, v20
	v_and_b32_e32 v18, 15, v18
	v_lshlrev_b32_e32 v21, v21, v16
	v_sub_u32_e32 v20, 29, v20
	v_and_b32_e32 v21, 7, v21
	v_cmp_eq_u32_e64 s[6:7], 0, v18
	v_cndmask_b32_e64 v18, v18, v20, s[6:7]
	v_cndmask_b32_e64 v19, v19, v21, s[6:7]
	v_lshlrev_b32_e32 v16, 24, v16
	v_mov_b32_e32 v20, 0x3b800000
	v_lshlrev_b32_e32 v19, 20, v19
	v_and_b32_e32 v16, 0x80000000, v16
	v_lshl_add_u32 v18, v18, 23, v20
	v_or3_b32 v18, v16, v18, v19
.LBB298_284:
	s_or_b64 exec, exec, s[10:11]
	v_cmp_neq_f32_e64 s[10:11], v17, v18
                                        ; implicit-def: $vgpr16
.LBB298_285:
	s_andn2_saveexec_b64 s[12:13], s[12:13]
	s_cbranch_execz .LBB298_295
; %bb.286:
	s_movk_i32 s6, 0x7f
	v_cmp_gt_i16_sdwa s[14:15], v1, s6 src0_sel:BYTE_0 src1_sel:DWORD
	s_mov_b64 s[6:7], 0
	s_and_saveexec_b64 s[16:17], s[14:15]
	s_xor_b64 s[14:15], exec, s[16:17]
	s_cbranch_execnz .LBB298_601
; %bb.287:
	s_or_saveexec_b64 s[14:15], s[14:15]
	v_mov_b32_e32 v17, 0x7f800001
	s_xor_b64 exec, exec, s[14:15]
	s_cbranch_execnz .LBB298_604
.LBB298_288:
	s_or_b64 exec, exec, s[14:15]
	s_and_saveexec_b64 s[14:15], s[6:7]
.LBB298_289:
	v_mov_b32_e32 v17, v7
.LBB298_290:
	s_or_b64 exec, exec, s[14:15]
	s_movk_i32 s6, 0x7f
	v_cmp_gt_i16_sdwa s[14:15], v16, s6 src0_sel:BYTE_0 src1_sel:DWORD
	s_mov_b64 s[6:7], 0
	s_and_saveexec_b64 s[16:17], s[14:15]
	s_xor_b64 s[14:15], exec, s[16:17]
	s_cbranch_execnz .LBB298_605
; %bb.291:
	s_or_saveexec_b64 s[14:15], s[14:15]
	v_mov_b32_e32 v18, 0x7f800001
	s_xor_b64 exec, exec, s[14:15]
	s_cbranch_execnz .LBB298_608
.LBB298_292:
	s_or_b64 exec, exec, s[14:15]
	s_and_saveexec_b64 s[14:15], s[6:7]
	s_cbranch_execz .LBB298_294
.LBB298_293:
	v_and_b32_e32 v19, 7, v16
	v_ffbh_u32_e32 v20, v19
	v_min_u32_e32 v20, 32, v20
	v_lshrrev_b16_e32 v18, 3, v16
	v_subrev_u32_e32 v21, 28, v20
	v_and_b32_e32 v18, 15, v18
	v_lshlrev_b32_e32 v21, v21, v16
	v_sub_u32_e32 v20, 29, v20
	v_and_b32_e32 v21, 7, v21
	v_cmp_eq_u32_e64 s[6:7], 0, v18
	v_cndmask_b32_e64 v18, v18, v20, s[6:7]
	v_cndmask_b32_e64 v19, v19, v21, s[6:7]
	v_lshlrev_b32_e32 v16, 24, v16
	v_mov_b32_e32 v20, 0x3b800000
	v_lshlrev_b32_e32 v19, 20, v19
	v_and_b32_e32 v16, 0x80000000, v16
	v_lshl_add_u32 v18, v18, 23, v20
	v_or3_b32 v18, v16, v18, v19
.LBB298_294:
	s_or_b64 exec, exec, s[14:15]
	v_cmp_eq_f32_e64 s[6:7], v17, v18
	s_andn2_b64 s[10:11], s[10:11], exec
	s_and_b64 s[6:7], s[6:7], exec
	s_or_b64 s[10:11], s[10:11], s[6:7]
.LBB298_295:
	s_or_b64 exec, exec, s[12:13]
	s_movk_i32 s6, 0xff
	v_cndmask_b32_e64 v17, 0, 1, s[10:11]
	v_and_b32_sdwa v16, v4, s6 dst_sel:DWORD dst_unused:UNUSED_PAD src0_sel:WORD_1 src1_sel:DWORD
	v_lshlrev_b16_e32 v17, 8, v17
	v_or_b32_sdwa v16, v16, v17 dst_sel:WORD_1 dst_unused:UNUSED_PAD src0_sel:DWORD src1_sel:DWORD
	s_mov_b32 s6, 0xffff
	v_and_or_b32 v4, v4, s6, v16
.LBB298_296:
	s_or_b64 exec, exec, s[8:9]
	v_or_b32_e32 v16, 0xc00, v9
	v_cmp_lt_i32_e64 s[6:7], v16, v6
	s_and_saveexec_b64 s[8:9], s[6:7]
	s_cbranch_execz .LBB298_318
; %bb.297:
                                        ; implicit-def: $sgpr10_sgpr11
	s_and_saveexec_b64 s[6:7], s[4:5]
	s_xor_b64 s[12:13], exec, s[6:7]
	s_cbranch_execz .LBB298_307
; %bb.298:
	s_movk_i32 s6, 0x7f
	v_cmp_gt_i16_sdwa s[10:11], v1, s6 src0_sel:BYTE_0 src1_sel:DWORD
	s_mov_b64 s[6:7], 0
	s_and_saveexec_b64 s[14:15], s[10:11]
	s_xor_b64 s[10:11], exec, s[14:15]
	s_cbranch_execnz .LBB298_609
; %bb.299:
	s_or_saveexec_b64 s[10:11], s[10:11]
	v_mov_b32_e32 v16, 0x7f800001
	s_xor_b64 exec, exec, s[10:11]
	s_cbranch_execnz .LBB298_612
.LBB298_300:
	s_or_b64 exec, exec, s[10:11]
	s_and_saveexec_b64 s[10:11], s[6:7]
.LBB298_301:
	v_mov_b32_e32 v16, v7
.LBB298_302:
	s_or_b64 exec, exec, s[10:11]
	s_movk_i32 s6, 0x7f
	v_cmp_gt_i16_sdwa s[10:11], v15, s6 src0_sel:BYTE_0 src1_sel:DWORD
	s_mov_b64 s[6:7], 0
	s_and_saveexec_b64 s[14:15], s[10:11]
	s_xor_b64 s[10:11], exec, s[14:15]
	s_cbranch_execnz .LBB298_613
; %bb.303:
	s_or_saveexec_b64 s[10:11], s[10:11]
	v_mov_b32_e32 v17, 0x7f800001
	s_xor_b64 exec, exec, s[10:11]
	s_cbranch_execnz .LBB298_616
.LBB298_304:
	s_or_b64 exec, exec, s[10:11]
	s_and_saveexec_b64 s[10:11], s[6:7]
	s_cbranch_execz .LBB298_306
.LBB298_305:
	v_and_b32_e32 v18, 7, v15
	v_ffbh_u32_e32 v19, v18
	v_min_u32_e32 v19, 32, v19
	v_lshrrev_b16_e32 v17, 3, v15
	v_subrev_u32_e32 v20, 28, v19
	v_and_b32_e32 v17, 15, v17
	v_lshlrev_b32_e32 v20, v20, v15
	v_sub_u32_e32 v19, 29, v19
	v_and_b32_e32 v20, 7, v20
	v_cmp_eq_u32_e64 s[6:7], 0, v17
	v_cndmask_b32_e64 v17, v17, v19, s[6:7]
	v_cndmask_b32_e64 v18, v18, v20, s[6:7]
	v_lshlrev_b32_e32 v15, 24, v15
	v_mov_b32_e32 v19, 0x3b800000
	v_lshlrev_b32_e32 v18, 20, v18
	v_and_b32_e32 v15, 0x80000000, v15
	v_lshl_add_u32 v17, v17, 23, v19
	v_or3_b32 v17, v15, v17, v18
.LBB298_306:
	s_or_b64 exec, exec, s[10:11]
	v_cmp_neq_f32_e64 s[10:11], v16, v17
                                        ; implicit-def: $vgpr15
.LBB298_307:
	s_andn2_saveexec_b64 s[12:13], s[12:13]
	s_cbranch_execz .LBB298_317
; %bb.308:
	s_movk_i32 s6, 0x7f
	v_cmp_gt_i16_sdwa s[14:15], v1, s6 src0_sel:BYTE_0 src1_sel:DWORD
	s_mov_b64 s[6:7], 0
	s_and_saveexec_b64 s[16:17], s[14:15]
	s_xor_b64 s[14:15], exec, s[16:17]
	s_cbranch_execnz .LBB298_617
; %bb.309:
	s_or_saveexec_b64 s[14:15], s[14:15]
	v_mov_b32_e32 v16, 0x7f800001
	s_xor_b64 exec, exec, s[14:15]
	s_cbranch_execnz .LBB298_620
.LBB298_310:
	s_or_b64 exec, exec, s[14:15]
	s_and_saveexec_b64 s[14:15], s[6:7]
.LBB298_311:
	v_mov_b32_e32 v16, v7
.LBB298_312:
	s_or_b64 exec, exec, s[14:15]
	s_movk_i32 s6, 0x7f
	v_cmp_gt_i16_sdwa s[14:15], v15, s6 src0_sel:BYTE_0 src1_sel:DWORD
	s_mov_b64 s[6:7], 0
	s_and_saveexec_b64 s[16:17], s[14:15]
	s_xor_b64 s[14:15], exec, s[16:17]
	s_cbranch_execnz .LBB298_621
; %bb.313:
	s_or_saveexec_b64 s[14:15], s[14:15]
	v_mov_b32_e32 v17, 0x7f800001
	s_xor_b64 exec, exec, s[14:15]
	s_cbranch_execnz .LBB298_624
.LBB298_314:
	s_or_b64 exec, exec, s[14:15]
	s_and_saveexec_b64 s[14:15], s[6:7]
	s_cbranch_execz .LBB298_316
.LBB298_315:
	v_and_b32_e32 v18, 7, v15
	v_ffbh_u32_e32 v19, v18
	v_min_u32_e32 v19, 32, v19
	v_lshrrev_b16_e32 v17, 3, v15
	v_subrev_u32_e32 v20, 28, v19
	v_and_b32_e32 v17, 15, v17
	v_lshlrev_b32_e32 v20, v20, v15
	v_sub_u32_e32 v19, 29, v19
	v_and_b32_e32 v20, 7, v20
	v_cmp_eq_u32_e64 s[6:7], 0, v17
	v_cndmask_b32_e64 v17, v17, v19, s[6:7]
	v_cndmask_b32_e64 v18, v18, v20, s[6:7]
	v_lshlrev_b32_e32 v15, 24, v15
	v_mov_b32_e32 v19, 0x3b800000
	v_lshlrev_b32_e32 v18, 20, v18
	v_and_b32_e32 v15, 0x80000000, v15
	v_lshl_add_u32 v17, v17, 23, v19
	v_or3_b32 v17, v15, v17, v18
.LBB298_316:
	s_or_b64 exec, exec, s[14:15]
	v_cmp_eq_f32_e64 s[6:7], v16, v17
	s_andn2_b64 s[10:11], s[10:11], exec
	s_and_b64 s[6:7], s[6:7], exec
	s_or_b64 s[10:11], s[10:11], s[6:7]
.LBB298_317:
	s_or_b64 exec, exec, s[12:13]
	v_and_b32_e32 v15, 0xffffff00, v0
	v_cndmask_b32_e64 v16, 0, 1, s[10:11]
	v_or_b32_e32 v15, v16, v15
	v_and_b32_e32 v15, 0xffff, v15
	s_mov_b32 s6, 0xffff0000
	v_and_or_b32 v0, v0, s6, v15
.LBB298_318:
	s_or_b64 exec, exec, s[8:9]
	v_add_u32_e32 v15, 0xd00, v9
	v_cmp_lt_i32_e64 s[6:7], v15, v6
	s_and_saveexec_b64 s[8:9], s[6:7]
	s_cbranch_execz .LBB298_340
; %bb.319:
                                        ; implicit-def: $sgpr10_sgpr11
	s_and_saveexec_b64 s[6:7], s[4:5]
	s_xor_b64 s[12:13], exec, s[6:7]
	s_cbranch_execz .LBB298_329
; %bb.320:
	s_movk_i32 s6, 0x7f
	v_cmp_gt_i16_sdwa s[10:11], v1, s6 src0_sel:BYTE_0 src1_sel:DWORD
	s_mov_b64 s[6:7], 0
	s_and_saveexec_b64 s[14:15], s[10:11]
	s_xor_b64 s[10:11], exec, s[14:15]
	s_cbranch_execnz .LBB298_625
; %bb.321:
	s_or_saveexec_b64 s[10:11], s[10:11]
	v_mov_b32_e32 v15, 0x7f800001
	s_xor_b64 exec, exec, s[10:11]
	s_cbranch_execnz .LBB298_628
.LBB298_322:
	s_or_b64 exec, exec, s[10:11]
	s_and_saveexec_b64 s[10:11], s[6:7]
.LBB298_323:
	v_mov_b32_e32 v15, v7
.LBB298_324:
	s_or_b64 exec, exec, s[10:11]
	s_movk_i32 s6, 0x7f
	v_cmp_gt_i16_sdwa s[10:11], v14, s6 src0_sel:BYTE_0 src1_sel:DWORD
	s_mov_b64 s[6:7], 0
	s_and_saveexec_b64 s[14:15], s[10:11]
	s_xor_b64 s[10:11], exec, s[14:15]
	s_cbranch_execnz .LBB298_629
; %bb.325:
	s_or_saveexec_b64 s[10:11], s[10:11]
	v_mov_b32_e32 v16, 0x7f800001
	s_xor_b64 exec, exec, s[10:11]
	s_cbranch_execnz .LBB298_632
.LBB298_326:
	s_or_b64 exec, exec, s[10:11]
	s_and_saveexec_b64 s[10:11], s[6:7]
	s_cbranch_execz .LBB298_328
.LBB298_327:
	v_and_b32_e32 v17, 7, v14
	v_ffbh_u32_e32 v18, v17
	v_min_u32_e32 v18, 32, v18
	v_lshrrev_b16_e32 v16, 3, v14
	v_subrev_u32_e32 v19, 28, v18
	v_and_b32_e32 v16, 15, v16
	v_lshlrev_b32_e32 v19, v19, v14
	v_sub_u32_e32 v18, 29, v18
	v_and_b32_e32 v19, 7, v19
	v_cmp_eq_u32_e64 s[6:7], 0, v16
	v_cndmask_b32_e64 v16, v16, v18, s[6:7]
	v_cndmask_b32_e64 v17, v17, v19, s[6:7]
	v_lshlrev_b32_e32 v14, 24, v14
	v_mov_b32_e32 v18, 0x3b800000
	v_lshlrev_b32_e32 v17, 20, v17
	v_and_b32_e32 v14, 0x80000000, v14
	v_lshl_add_u32 v16, v16, 23, v18
	v_or3_b32 v16, v14, v16, v17
.LBB298_328:
	s_or_b64 exec, exec, s[10:11]
	v_cmp_neq_f32_e64 s[10:11], v15, v16
                                        ; implicit-def: $vgpr14
.LBB298_329:
	s_andn2_saveexec_b64 s[12:13], s[12:13]
	s_cbranch_execz .LBB298_339
; %bb.330:
	s_movk_i32 s6, 0x7f
	v_cmp_gt_i16_sdwa s[14:15], v1, s6 src0_sel:BYTE_0 src1_sel:DWORD
	s_mov_b64 s[6:7], 0
	s_and_saveexec_b64 s[16:17], s[14:15]
	s_xor_b64 s[14:15], exec, s[16:17]
	s_cbranch_execnz .LBB298_633
; %bb.331:
	s_or_saveexec_b64 s[14:15], s[14:15]
	v_mov_b32_e32 v15, 0x7f800001
	s_xor_b64 exec, exec, s[14:15]
	s_cbranch_execnz .LBB298_636
.LBB298_332:
	s_or_b64 exec, exec, s[14:15]
	s_and_saveexec_b64 s[14:15], s[6:7]
.LBB298_333:
	v_mov_b32_e32 v15, v7
.LBB298_334:
	s_or_b64 exec, exec, s[14:15]
	s_movk_i32 s6, 0x7f
	v_cmp_gt_i16_sdwa s[14:15], v14, s6 src0_sel:BYTE_0 src1_sel:DWORD
	s_mov_b64 s[6:7], 0
	s_and_saveexec_b64 s[16:17], s[14:15]
	s_xor_b64 s[14:15], exec, s[16:17]
	s_cbranch_execnz .LBB298_637
; %bb.335:
	s_or_saveexec_b64 s[14:15], s[14:15]
	v_mov_b32_e32 v16, 0x7f800001
	s_xor_b64 exec, exec, s[14:15]
	s_cbranch_execnz .LBB298_640
.LBB298_336:
	s_or_b64 exec, exec, s[14:15]
	s_and_saveexec_b64 s[14:15], s[6:7]
	s_cbranch_execz .LBB298_338
.LBB298_337:
	v_and_b32_e32 v17, 7, v14
	v_ffbh_u32_e32 v18, v17
	v_min_u32_e32 v18, 32, v18
	v_lshrrev_b16_e32 v16, 3, v14
	v_subrev_u32_e32 v19, 28, v18
	v_and_b32_e32 v16, 15, v16
	v_lshlrev_b32_e32 v19, v19, v14
	v_sub_u32_e32 v18, 29, v18
	v_and_b32_e32 v19, 7, v19
	v_cmp_eq_u32_e64 s[6:7], 0, v16
	v_cndmask_b32_e64 v16, v16, v18, s[6:7]
	v_cndmask_b32_e64 v17, v17, v19, s[6:7]
	v_lshlrev_b32_e32 v14, 24, v14
	v_mov_b32_e32 v18, 0x3b800000
	v_lshlrev_b32_e32 v17, 20, v17
	v_and_b32_e32 v14, 0x80000000, v14
	v_lshl_add_u32 v16, v16, 23, v18
	v_or3_b32 v16, v14, v16, v17
.LBB298_338:
	s_or_b64 exec, exec, s[14:15]
	v_cmp_eq_f32_e64 s[6:7], v15, v16
	s_andn2_b64 s[10:11], s[10:11], exec
	s_and_b64 s[6:7], s[6:7], exec
	s_or_b64 s[10:11], s[10:11], s[6:7]
.LBB298_339:
	s_or_b64 exec, exec, s[12:13]
	v_cndmask_b32_e64 v14, 0, 1, s[10:11]
	v_lshlrev_b16_e32 v14, 8, v14
	v_or_b32_sdwa v14, v0, v14 dst_sel:DWORD dst_unused:UNUSED_PAD src0_sel:BYTE_0 src1_sel:DWORD
	v_and_b32_e32 v14, 0xffff, v14
	s_mov_b32 s6, 0xffff0000
	v_and_or_b32 v0, v0, s6, v14
.LBB298_340:
	s_or_b64 exec, exec, s[8:9]
	v_add_u32_e32 v14, 0xe00, v9
	v_cmp_lt_i32_e64 s[6:7], v14, v6
	s_and_saveexec_b64 s[8:9], s[6:7]
	s_cbranch_execz .LBB298_362
; %bb.341:
                                        ; implicit-def: $sgpr10_sgpr11
	s_and_saveexec_b64 s[6:7], s[4:5]
	s_xor_b64 s[12:13], exec, s[6:7]
	s_cbranch_execz .LBB298_351
; %bb.342:
	s_movk_i32 s6, 0x7f
	v_cmp_gt_i16_sdwa s[10:11], v1, s6 src0_sel:BYTE_0 src1_sel:DWORD
	s_mov_b64 s[6:7], 0
	s_and_saveexec_b64 s[14:15], s[10:11]
	s_xor_b64 s[10:11], exec, s[14:15]
	s_cbranch_execnz .LBB298_641
; %bb.343:
	s_or_saveexec_b64 s[10:11], s[10:11]
	v_mov_b32_e32 v14, 0x7f800001
	s_xor_b64 exec, exec, s[10:11]
	s_cbranch_execnz .LBB298_644
.LBB298_344:
	s_or_b64 exec, exec, s[10:11]
	s_and_saveexec_b64 s[10:11], s[6:7]
.LBB298_345:
	v_mov_b32_e32 v14, v7
.LBB298_346:
	s_or_b64 exec, exec, s[10:11]
	s_movk_i32 s6, 0x7f
	v_cmp_gt_i16_sdwa s[10:11], v13, s6 src0_sel:BYTE_0 src1_sel:DWORD
	s_mov_b64 s[6:7], 0
	s_and_saveexec_b64 s[14:15], s[10:11]
	s_xor_b64 s[10:11], exec, s[14:15]
	s_cbranch_execnz .LBB298_645
; %bb.347:
	s_or_saveexec_b64 s[10:11], s[10:11]
	v_mov_b32_e32 v15, 0x7f800001
	s_xor_b64 exec, exec, s[10:11]
	s_cbranch_execnz .LBB298_648
.LBB298_348:
	s_or_b64 exec, exec, s[10:11]
	s_and_saveexec_b64 s[10:11], s[6:7]
	s_cbranch_execz .LBB298_350
.LBB298_349:
	v_and_b32_e32 v16, 7, v13
	v_ffbh_u32_e32 v17, v16
	v_min_u32_e32 v17, 32, v17
	v_lshrrev_b16_e32 v15, 3, v13
	v_subrev_u32_e32 v18, 28, v17
	v_and_b32_e32 v15, 15, v15
	v_lshlrev_b32_e32 v18, v18, v13
	v_sub_u32_e32 v17, 29, v17
	v_and_b32_e32 v18, 7, v18
	v_cmp_eq_u32_e64 s[6:7], 0, v15
	v_cndmask_b32_e64 v15, v15, v17, s[6:7]
	v_cndmask_b32_e64 v16, v16, v18, s[6:7]
	v_lshlrev_b32_e32 v13, 24, v13
	v_mov_b32_e32 v17, 0x3b800000
	v_lshlrev_b32_e32 v16, 20, v16
	v_and_b32_e32 v13, 0x80000000, v13
	v_lshl_add_u32 v15, v15, 23, v17
	v_or3_b32 v15, v13, v15, v16
.LBB298_350:
	s_or_b64 exec, exec, s[10:11]
	v_cmp_neq_f32_e64 s[10:11], v14, v15
                                        ; implicit-def: $vgpr13
.LBB298_351:
	s_andn2_saveexec_b64 s[12:13], s[12:13]
	s_cbranch_execz .LBB298_361
; %bb.352:
	s_movk_i32 s6, 0x7f
	v_cmp_gt_i16_sdwa s[14:15], v1, s6 src0_sel:BYTE_0 src1_sel:DWORD
	s_mov_b64 s[6:7], 0
	s_and_saveexec_b64 s[16:17], s[14:15]
	s_xor_b64 s[14:15], exec, s[16:17]
	s_cbranch_execnz .LBB298_649
; %bb.353:
	s_or_saveexec_b64 s[14:15], s[14:15]
	v_mov_b32_e32 v14, 0x7f800001
	s_xor_b64 exec, exec, s[14:15]
	s_cbranch_execnz .LBB298_652
.LBB298_354:
	s_or_b64 exec, exec, s[14:15]
	s_and_saveexec_b64 s[14:15], s[6:7]
.LBB298_355:
	v_mov_b32_e32 v14, v7
.LBB298_356:
	s_or_b64 exec, exec, s[14:15]
	s_movk_i32 s6, 0x7f
	v_cmp_gt_i16_sdwa s[14:15], v13, s6 src0_sel:BYTE_0 src1_sel:DWORD
	s_mov_b64 s[6:7], 0
	s_and_saveexec_b64 s[16:17], s[14:15]
	s_xor_b64 s[14:15], exec, s[16:17]
	s_cbranch_execnz .LBB298_653
; %bb.357:
	s_or_saveexec_b64 s[14:15], s[14:15]
	v_mov_b32_e32 v15, 0x7f800001
	s_xor_b64 exec, exec, s[14:15]
	s_cbranch_execnz .LBB298_656
.LBB298_358:
	s_or_b64 exec, exec, s[14:15]
	s_and_saveexec_b64 s[14:15], s[6:7]
	s_cbranch_execz .LBB298_360
.LBB298_359:
	v_and_b32_e32 v16, 7, v13
	v_ffbh_u32_e32 v17, v16
	v_min_u32_e32 v17, 32, v17
	v_lshrrev_b16_e32 v15, 3, v13
	v_subrev_u32_e32 v18, 28, v17
	v_and_b32_e32 v15, 15, v15
	v_lshlrev_b32_e32 v18, v18, v13
	v_sub_u32_e32 v17, 29, v17
	v_and_b32_e32 v18, 7, v18
	v_cmp_eq_u32_e64 s[6:7], 0, v15
	v_cndmask_b32_e64 v15, v15, v17, s[6:7]
	v_cndmask_b32_e64 v16, v16, v18, s[6:7]
	v_lshlrev_b32_e32 v13, 24, v13
	v_mov_b32_e32 v17, 0x3b800000
	v_lshlrev_b32_e32 v16, 20, v16
	v_and_b32_e32 v13, 0x80000000, v13
	v_lshl_add_u32 v15, v15, 23, v17
	v_or3_b32 v15, v13, v15, v16
.LBB298_360:
	s_or_b64 exec, exec, s[14:15]
	v_cmp_eq_f32_e64 s[6:7], v14, v15
	s_andn2_b64 s[10:11], s[10:11], exec
	s_and_b64 s[6:7], s[6:7], exec
	s_or_b64 s[10:11], s[10:11], s[6:7]
.LBB298_361:
	s_or_b64 exec, exec, s[12:13]
	s_movk_i32 s6, 0xff00
	v_and_b32_sdwa v13, v0, s6 dst_sel:DWORD dst_unused:UNUSED_PAD src0_sel:WORD_1 src1_sel:DWORD
	v_cndmask_b32_e64 v14, 0, 1, s[10:11]
	v_or_b32_sdwa v13, v14, v13 dst_sel:WORD_1 dst_unused:UNUSED_PAD src0_sel:DWORD src1_sel:DWORD
	s_mov_b32 s6, 0xffff
	v_and_or_b32 v0, v0, s6, v13
.LBB298_362:
	s_or_b64 exec, exec, s[8:9]
	v_add_u32_e32 v13, 0xf00, v9
	v_cmp_lt_i32_e64 s[6:7], v13, v6
	s_and_saveexec_b64 s[8:9], s[6:7]
	s_cbranch_execnz .LBB298_380
; %bb.363:
	s_or_b64 exec, exec, s[8:9]
	s_and_saveexec_b64 s[4:5], vcc
	s_xor_b64 s[4:5], exec, s[4:5]
	s_cbranch_execnz .LBB298_401
.LBB298_364:
	s_or_b64 exec, exec, s[4:5]
	v_cmp_lt_i32_e32 vcc, v9, v6
	s_and_saveexec_b64 s[4:5], vcc
	s_cbranch_execnz .LBB298_402
.LBB298_365:
	s_or_b64 exec, exec, s[4:5]
	v_cmp_lt_i32_e32 vcc, v9, v6
	s_and_saveexec_b64 s[4:5], vcc
	s_cbranch_execnz .LBB298_403
.LBB298_366:
	s_or_b64 exec, exec, s[4:5]
	v_cmp_lt_i32_e32 vcc, v9, v6
	s_and_saveexec_b64 s[4:5], vcc
	s_cbranch_execnz .LBB298_404
.LBB298_367:
	s_or_b64 exec, exec, s[4:5]
	v_cmp_lt_i32_e32 vcc, v9, v6
	s_and_saveexec_b64 s[4:5], vcc
	s_cbranch_execnz .LBB298_405
.LBB298_368:
	s_or_b64 exec, exec, s[4:5]
	v_cmp_lt_i32_e32 vcc, v9, v6
	s_and_saveexec_b64 s[4:5], vcc
	s_cbranch_execnz .LBB298_406
.LBB298_369:
	s_or_b64 exec, exec, s[4:5]
	v_cmp_lt_i32_e32 vcc, v9, v6
	s_and_saveexec_b64 s[4:5], vcc
	s_cbranch_execnz .LBB298_407
.LBB298_370:
	s_or_b64 exec, exec, s[4:5]
	v_cmp_lt_i32_e32 vcc, v9, v6
	s_and_saveexec_b64 s[4:5], vcc
	s_cbranch_execnz .LBB298_408
.LBB298_371:
	s_or_b64 exec, exec, s[4:5]
	v_cmp_lt_i32_e32 vcc, v9, v6
	s_and_saveexec_b64 s[4:5], vcc
	s_cbranch_execnz .LBB298_409
.LBB298_372:
	s_or_b64 exec, exec, s[4:5]
	v_cmp_lt_i32_e32 vcc, v9, v6
	s_and_saveexec_b64 s[4:5], vcc
	s_cbranch_execnz .LBB298_410
.LBB298_373:
	s_or_b64 exec, exec, s[4:5]
	v_cmp_lt_i32_e32 vcc, v9, v6
	s_and_saveexec_b64 s[4:5], vcc
	s_cbranch_execnz .LBB298_411
.LBB298_374:
	s_or_b64 exec, exec, s[4:5]
	v_cmp_lt_i32_e32 vcc, v9, v6
	s_and_saveexec_b64 s[4:5], vcc
	s_cbranch_execnz .LBB298_412
.LBB298_375:
	s_or_b64 exec, exec, s[4:5]
	v_cmp_lt_i32_e32 vcc, v9, v6
	s_and_saveexec_b64 s[4:5], vcc
	s_cbranch_execnz .LBB298_413
.LBB298_376:
	s_or_b64 exec, exec, s[4:5]
	v_cmp_lt_i32_e32 vcc, v9, v6
	s_and_saveexec_b64 s[4:5], vcc
	s_cbranch_execnz .LBB298_414
.LBB298_377:
	s_or_b64 exec, exec, s[4:5]
	v_cmp_lt_i32_e32 vcc, v9, v6
	s_and_saveexec_b64 s[4:5], vcc
	s_cbranch_execnz .LBB298_415
.LBB298_378:
	s_or_b64 exec, exec, s[4:5]
	v_cmp_lt_i32_e32 vcc, v9, v6
	s_and_saveexec_b64 s[4:5], vcc
	s_cbranch_execnz .LBB298_416
.LBB298_379:
	s_or_b64 exec, exec, s[4:5]
	s_waitcnt vmcnt(0) lgkmcnt(0)
	s_setpc_b64 s[30:31]
.LBB298_380:
                                        ; implicit-def: $sgpr6_sgpr7
	s_and_saveexec_b64 s[10:11], s[4:5]
	s_xor_b64 s[10:11], exec, s[10:11]
	s_cbranch_execz .LBB298_390
; %bb.381:
	s_movk_i32 s4, 0x7f
	v_cmp_gt_i16_sdwa s[6:7], v1, s4 src0_sel:BYTE_0 src1_sel:DWORD
	s_mov_b64 s[4:5], 0
	s_and_saveexec_b64 s[12:13], s[6:7]
	s_xor_b64 s[6:7], exec, s[12:13]
	s_cbranch_execnz .LBB298_657
; %bb.382:
	s_or_saveexec_b64 s[6:7], s[6:7]
	v_mov_b32_e32 v13, 0x7f800001
	s_xor_b64 exec, exec, s[6:7]
	s_cbranch_execnz .LBB298_660
.LBB298_383:
	s_or_b64 exec, exec, s[6:7]
	s_and_saveexec_b64 s[6:7], s[4:5]
.LBB298_384:
	v_mov_b32_e32 v13, v7
.LBB298_385:
	s_or_b64 exec, exec, s[6:7]
	s_movk_i32 s4, 0x7f
	v_cmp_gt_i16_sdwa s[6:7], v11, s4 src0_sel:BYTE_0 src1_sel:DWORD
	s_mov_b64 s[4:5], 0
	s_and_saveexec_b64 s[12:13], s[6:7]
	s_xor_b64 s[6:7], exec, s[12:13]
	s_cbranch_execnz .LBB298_661
; %bb.386:
	s_or_saveexec_b64 s[6:7], s[6:7]
	v_mov_b32_e32 v1, 0x7f800001
	s_xor_b64 exec, exec, s[6:7]
	s_cbranch_execnz .LBB298_664
.LBB298_387:
	s_or_b64 exec, exec, s[6:7]
	s_and_saveexec_b64 s[6:7], s[4:5]
	s_cbranch_execz .LBB298_389
.LBB298_388:
	v_and_b32_e32 v7, 7, v11
	v_ffbh_u32_e32 v14, v7
	v_min_u32_e32 v14, 32, v14
	v_lshrrev_b16_e32 v1, 3, v11
	v_subrev_u32_e32 v15, 28, v14
	v_and_b32_e32 v1, 15, v1
	v_lshlrev_b32_e32 v15, v15, v11
	v_sub_u32_e32 v14, 29, v14
	v_and_b32_e32 v15, 7, v15
	v_cmp_eq_u32_e64 s[4:5], 0, v1
	v_cndmask_b32_e64 v1, v1, v14, s[4:5]
	v_cndmask_b32_e64 v7, v7, v15, s[4:5]
	v_lshlrev_b32_e32 v11, 24, v11
	v_mov_b32_e32 v14, 0x3b800000
	v_lshlrev_b32_e32 v7, 20, v7
	v_and_b32_e32 v11, 0x80000000, v11
	v_lshl_add_u32 v1, v1, 23, v14
	v_or3_b32 v1, v11, v1, v7
.LBB298_389:
	s_or_b64 exec, exec, s[6:7]
	v_cmp_neq_f32_e64 s[6:7], v13, v1
                                        ; implicit-def: $vgpr11
                                        ; implicit-def: $vgpr7
                                        ; implicit-def: $vgpr1
.LBB298_390:
	s_andn2_saveexec_b64 s[10:11], s[10:11]
	s_cbranch_execz .LBB298_400
; %bb.391:
	s_movk_i32 s4, 0x7f
	v_cmp_gt_i16_sdwa s[12:13], v1, s4 src0_sel:BYTE_0 src1_sel:DWORD
	s_mov_b64 s[4:5], 0
	s_and_saveexec_b64 s[14:15], s[12:13]
	s_xor_b64 s[12:13], exec, s[14:15]
	s_cbranch_execnz .LBB298_665
; %bb.392:
	s_or_saveexec_b64 s[12:13], s[12:13]
	v_mov_b32_e32 v13, 0x7f800001
	s_xor_b64 exec, exec, s[12:13]
	s_cbranch_execnz .LBB298_668
.LBB298_393:
	s_or_b64 exec, exec, s[12:13]
	s_and_saveexec_b64 s[12:13], s[4:5]
.LBB298_394:
	v_mov_b32_e32 v13, v7
.LBB298_395:
	s_or_b64 exec, exec, s[12:13]
	s_movk_i32 s4, 0x7f
	v_cmp_gt_i16_sdwa s[12:13], v11, s4 src0_sel:BYTE_0 src1_sel:DWORD
	s_mov_b64 s[4:5], 0
	s_and_saveexec_b64 s[14:15], s[12:13]
	s_xor_b64 s[12:13], exec, s[14:15]
	s_cbranch_execnz .LBB298_669
; %bb.396:
	s_or_saveexec_b64 s[12:13], s[12:13]
	v_mov_b32_e32 v1, 0x7f800001
	s_xor_b64 exec, exec, s[12:13]
	s_cbranch_execnz .LBB298_672
.LBB298_397:
	s_or_b64 exec, exec, s[12:13]
	s_and_saveexec_b64 s[12:13], s[4:5]
	s_cbranch_execz .LBB298_399
.LBB298_398:
	v_and_b32_e32 v7, 7, v11
	v_ffbh_u32_e32 v14, v7
	v_min_u32_e32 v14, 32, v14
	v_lshrrev_b16_e32 v1, 3, v11
	v_subrev_u32_e32 v15, 28, v14
	v_and_b32_e32 v1, 15, v1
	v_lshlrev_b32_e32 v15, v15, v11
	v_sub_u32_e32 v14, 29, v14
	v_and_b32_e32 v15, 7, v15
	v_cmp_eq_u32_e64 s[4:5], 0, v1
	v_cndmask_b32_e64 v1, v1, v14, s[4:5]
	v_cndmask_b32_e64 v7, v7, v15, s[4:5]
	v_lshlrev_b32_e32 v11, 24, v11
	v_mov_b32_e32 v14, 0x3b800000
	v_lshlrev_b32_e32 v7, 20, v7
	v_and_b32_e32 v11, 0x80000000, v11
	v_lshl_add_u32 v1, v1, 23, v14
	v_or3_b32 v1, v11, v1, v7
.LBB298_399:
	s_or_b64 exec, exec, s[12:13]
	v_cmp_eq_f32_e64 s[4:5], v13, v1
	s_andn2_b64 s[6:7], s[6:7], exec
	s_and_b64 s[4:5], s[4:5], exec
	s_or_b64 s[6:7], s[6:7], s[4:5]
.LBB298_400:
	s_or_b64 exec, exec, s[10:11]
	s_movk_i32 s4, 0xff
	v_cndmask_b32_e64 v7, 0, 1, s[6:7]
	v_and_b32_sdwa v1, v0, s4 dst_sel:DWORD dst_unused:UNUSED_PAD src0_sel:WORD_1 src1_sel:DWORD
	v_lshlrev_b16_e32 v7, 8, v7
	v_or_b32_sdwa v1, v1, v7 dst_sel:WORD_1 dst_unused:UNUSED_PAD src0_sel:DWORD src1_sel:DWORD
	s_mov_b32 s4, 0xffff
	v_and_or_b32 v0, v0, s4, v1
	s_or_b64 exec, exec, s[8:9]
	s_and_saveexec_b64 s[4:5], vcc
	s_xor_b64 s[4:5], exec, s[4:5]
	s_cbranch_execz .LBB298_364
.LBB298_401:
	v_add_co_u32_e32 v9, vcc, v2, v10
	v_addc_co_u32_e32 v10, vcc, 0, v3, vcc
	flat_store_byte v[9:10], v12
	v_mov_b32_e32 v9, v8
	s_or_b64 exec, exec, s[4:5]
	v_cmp_lt_i32_e32 vcc, v9, v6
	s_and_saveexec_b64 s[4:5], vcc
	s_cbranch_execz .LBB298_365
.LBB298_402:
	v_add_u32_e32 v7, s56, v9
	v_add_co_u32_e32 v7, vcc, v2, v7
	v_lshrrev_b32_e32 v1, 8, v12
	v_addc_co_u32_e32 v8, vcc, 0, v3, vcc
	v_add_u32_e32 v9, 0x100, v9
	flat_store_byte v[7:8], v1
	s_or_b64 exec, exec, s[4:5]
	v_cmp_lt_i32_e32 vcc, v9, v6
	s_and_saveexec_b64 s[4:5], vcc
	s_cbranch_execz .LBB298_366
.LBB298_403:
	v_add_u32_e32 v1, s56, v9
	v_add_co_u32_e32 v7, vcc, v2, v1
	v_addc_co_u32_e32 v8, vcc, 0, v3, vcc
	v_add_u32_e32 v9, 0x100, v9
	flat_store_byte_d16_hi v[7:8], v12
	s_or_b64 exec, exec, s[4:5]
	v_cmp_lt_i32_e32 vcc, v9, v6
	s_and_saveexec_b64 s[4:5], vcc
	s_cbranch_execz .LBB298_367
.LBB298_404:
	v_add_u32_e32 v7, s56, v9
	v_add_co_u32_e32 v7, vcc, v2, v7
	v_lshrrev_b32_e32 v1, 24, v12
	v_addc_co_u32_e32 v8, vcc, 0, v3, vcc
	v_add_u32_e32 v9, 0x100, v9
	flat_store_byte v[7:8], v1
	s_or_b64 exec, exec, s[4:5]
	v_cmp_lt_i32_e32 vcc, v9, v6
	s_and_saveexec_b64 s[4:5], vcc
	s_cbranch_execz .LBB298_368
.LBB298_405:
	v_add_u32_e32 v1, s56, v9
	v_add_co_u32_e32 v7, vcc, v2, v1
	v_addc_co_u32_e32 v8, vcc, 0, v3, vcc
	v_add_u32_e32 v9, 0x100, v9
	flat_store_byte v[7:8], v5
	s_or_b64 exec, exec, s[4:5]
	v_cmp_lt_i32_e32 vcc, v9, v6
	s_and_saveexec_b64 s[4:5], vcc
	s_cbranch_execz .LBB298_369
.LBB298_406:
	v_add_u32_e32 v7, s56, v9
	v_add_co_u32_e32 v7, vcc, v2, v7
	v_lshrrev_b32_e32 v1, 8, v5
	v_addc_co_u32_e32 v8, vcc, 0, v3, vcc
	v_add_u32_e32 v9, 0x100, v9
	flat_store_byte v[7:8], v1
	s_or_b64 exec, exec, s[4:5]
	v_cmp_lt_i32_e32 vcc, v9, v6
	s_and_saveexec_b64 s[4:5], vcc
	s_cbranch_execz .LBB298_370
.LBB298_407:
	v_add_u32_e32 v1, s56, v9
	v_add_co_u32_e32 v7, vcc, v2, v1
	v_addc_co_u32_e32 v8, vcc, 0, v3, vcc
	v_add_u32_e32 v9, 0x100, v9
	flat_store_byte_d16_hi v[7:8], v5
	s_or_b64 exec, exec, s[4:5]
	v_cmp_lt_i32_e32 vcc, v9, v6
	s_and_saveexec_b64 s[4:5], vcc
	s_cbranch_execz .LBB298_371
.LBB298_408:
	v_lshrrev_b32_e32 v1, 24, v5
	v_add_u32_e32 v5, s56, v9
	v_add_co_u32_e32 v7, vcc, v2, v5
	v_addc_co_u32_e32 v8, vcc, 0, v3, vcc
	v_add_u32_e32 v9, 0x100, v9
	flat_store_byte v[7:8], v1
	s_or_b64 exec, exec, s[4:5]
	v_cmp_lt_i32_e32 vcc, v9, v6
	s_and_saveexec_b64 s[4:5], vcc
	s_cbranch_execz .LBB298_372
.LBB298_409:
	v_add_u32_e32 v1, s56, v9
	v_add_co_u32_e32 v7, vcc, v2, v1
	v_addc_co_u32_e32 v8, vcc, 0, v3, vcc
	v_add_u32_e32 v9, 0x100, v9
	flat_store_byte v[7:8], v4
	s_or_b64 exec, exec, s[4:5]
	v_cmp_lt_i32_e32 vcc, v9, v6
	s_and_saveexec_b64 s[4:5], vcc
	s_cbranch_execz .LBB298_373
.LBB298_410:
	v_add_u32_e32 v5, s56, v9
	v_add_co_u32_e32 v7, vcc, v2, v5
	v_lshrrev_b32_e32 v1, 8, v4
	v_addc_co_u32_e32 v8, vcc, 0, v3, vcc
	v_add_u32_e32 v9, 0x100, v9
	flat_store_byte v[7:8], v1
	s_or_b64 exec, exec, s[4:5]
	v_cmp_lt_i32_e32 vcc, v9, v6
	s_and_saveexec_b64 s[4:5], vcc
	s_cbranch_execz .LBB298_374
.LBB298_411:
	v_add_u32_e32 v1, s56, v9
	v_add_co_u32_e32 v7, vcc, v2, v1
	v_addc_co_u32_e32 v8, vcc, 0, v3, vcc
	v_add_u32_e32 v9, 0x100, v9
	flat_store_byte_d16_hi v[7:8], v4
	s_or_b64 exec, exec, s[4:5]
	v_cmp_lt_i32_e32 vcc, v9, v6
	s_and_saveexec_b64 s[4:5], vcc
	s_cbranch_execz .LBB298_375
.LBB298_412:
	v_lshrrev_b32_e32 v1, 24, v4
	v_add_u32_e32 v4, s56, v9
	v_add_co_u32_e32 v4, vcc, v2, v4
	v_addc_co_u32_e32 v5, vcc, 0, v3, vcc
	v_add_u32_e32 v9, 0x100, v9
	flat_store_byte v[4:5], v1
	s_or_b64 exec, exec, s[4:5]
	v_cmp_lt_i32_e32 vcc, v9, v6
	s_and_saveexec_b64 s[4:5], vcc
	s_cbranch_execz .LBB298_376
.LBB298_413:
	v_add_u32_e32 v1, s56, v9
	v_add_co_u32_e32 v4, vcc, v2, v1
	v_addc_co_u32_e32 v5, vcc, 0, v3, vcc
	v_add_u32_e32 v9, 0x100, v9
	flat_store_byte v[4:5], v0
	s_or_b64 exec, exec, s[4:5]
	v_cmp_lt_i32_e32 vcc, v9, v6
	s_and_saveexec_b64 s[4:5], vcc
	s_cbranch_execz .LBB298_377
.LBB298_414:
	v_add_u32_e32 v4, s56, v9
	v_add_co_u32_e32 v4, vcc, v2, v4
	v_lshrrev_b32_e32 v1, 8, v0
	v_addc_co_u32_e32 v5, vcc, 0, v3, vcc
	v_add_u32_e32 v9, 0x100, v9
	flat_store_byte v[4:5], v1
	s_or_b64 exec, exec, s[4:5]
	v_cmp_lt_i32_e32 vcc, v9, v6
	s_and_saveexec_b64 s[4:5], vcc
	s_cbranch_execz .LBB298_378
.LBB298_415:
	v_add_u32_e32 v1, s56, v9
	v_add_co_u32_e32 v4, vcc, v2, v1
	v_addc_co_u32_e32 v5, vcc, 0, v3, vcc
	v_add_u32_e32 v9, 0x100, v9
	flat_store_byte_d16_hi v[4:5], v0
	s_or_b64 exec, exec, s[4:5]
	v_cmp_lt_i32_e32 vcc, v9, v6
	s_and_saveexec_b64 s[4:5], vcc
	s_cbranch_execz .LBB298_379
.LBB298_416:
	v_lshrrev_b32_e32 v4, 24, v0
	v_add_u32_e32 v0, s56, v9
	v_add_co_u32_e32 v0, vcc, v2, v0
	v_addc_co_u32_e32 v1, vcc, 0, v3, vcc
	flat_store_byte v[0:1], v4
	s_or_b64 exec, exec, s[4:5]
	s_waitcnt vmcnt(0) lgkmcnt(0)
	s_setpc_b64 s[30:31]
.LBB298_417:
	s_movk_i32 s6, 0x80
	v_cmp_eq_u16_sdwa s[16:17], v1, s6 src0_sel:BYTE_0 src1_sel:DWORD
	s_mov_b64 s[6:7], -1
	s_and_saveexec_b64 s[14:15], s[16:17]
; %bb.418:
	s_xor_b64 s[6:7], exec, -1
; %bb.419:
	s_or_b64 exec, exec, s[14:15]
	s_and_b64 s[6:7], s[6:7], exec
	s_or_saveexec_b64 s[10:11], s[10:11]
	v_mov_b32_e32 v0, 0x7f800001
	s_xor_b64 exec, exec, s[10:11]
	s_cbranch_execz .LBB298_36
.LBB298_420:
	v_mov_b32_e32 v0, 0
	v_cmp_ne_u16_sdwa s[14:15], v1, v0 src0_sel:BYTE_0 src1_sel:DWORD
	s_andn2_b64 s[6:7], s[6:7], exec
	s_and_b64 s[14:15], s[14:15], exec
	s_or_b64 s[6:7], s[6:7], s[14:15]
	s_or_b64 exec, exec, s[10:11]
	s_and_saveexec_b64 s[10:11], s[6:7]
	s_cbranch_execnz .LBB298_37
	s_branch .LBB298_38
.LBB298_421:
	s_movk_i32 s6, 0x80
	v_cmp_eq_u16_sdwa s[16:17], v27, s6 src0_sel:BYTE_0 src1_sel:DWORD
	s_mov_b64 s[6:7], -1
	s_and_saveexec_b64 s[14:15], s[16:17]
; %bb.422:
	s_xor_b64 s[6:7], exec, -1
; %bb.423:
	s_or_b64 exec, exec, s[14:15]
	s_and_b64 s[6:7], s[6:7], exec
	s_or_saveexec_b64 s[10:11], s[10:11]
	v_mov_b32_e32 v4, 0x7f800001
	s_xor_b64 exec, exec, s[10:11]
	s_cbranch_execz .LBB298_40
.LBB298_424:
	v_mov_b32_e32 v4, 0
	v_cmp_ne_u16_sdwa s[14:15], v27, v4 src0_sel:BYTE_0 src1_sel:DWORD
	s_andn2_b64 s[6:7], s[6:7], exec
	s_and_b64 s[14:15], s[14:15], exec
	s_or_b64 s[6:7], s[6:7], s[14:15]
	s_or_b64 exec, exec, s[10:11]
	s_and_saveexec_b64 s[10:11], s[6:7]
	s_cbranch_execnz .LBB298_41
	s_branch .LBB298_42
.LBB298_425:
	s_movk_i32 s6, 0x80
	v_cmp_eq_u16_sdwa s[18:19], v1, s6 src0_sel:BYTE_0 src1_sel:DWORD
	s_mov_b64 s[6:7], -1
	s_and_saveexec_b64 s[16:17], s[18:19]
; %bb.426:
	s_xor_b64 s[6:7], exec, -1
; %bb.427:
	s_or_b64 exec, exec, s[16:17]
	s_and_b64 s[6:7], s[6:7], exec
	s_or_saveexec_b64 s[14:15], s[14:15]
	v_mov_b32_e32 v0, 0x7f800001
	s_xor_b64 exec, exec, s[14:15]
	s_cbranch_execz .LBB298_46
.LBB298_428:
	v_mov_b32_e32 v0, 0
	v_cmp_ne_u16_sdwa s[16:17], v1, v0 src0_sel:BYTE_0 src1_sel:DWORD
	s_andn2_b64 s[6:7], s[6:7], exec
	s_and_b64 s[16:17], s[16:17], exec
	s_or_b64 s[6:7], s[6:7], s[16:17]
	s_or_b64 exec, exec, s[14:15]
	s_and_saveexec_b64 s[14:15], s[6:7]
	s_cbranch_execnz .LBB298_47
	s_branch .LBB298_48
.LBB298_429:
	s_movk_i32 s6, 0x80
	v_cmp_eq_u16_sdwa s[18:19], v27, s6 src0_sel:BYTE_0 src1_sel:DWORD
	s_mov_b64 s[6:7], -1
	s_and_saveexec_b64 s[16:17], s[18:19]
; %bb.430:
	s_xor_b64 s[6:7], exec, -1
; %bb.431:
	s_or_b64 exec, exec, s[16:17]
	s_and_b64 s[6:7], s[6:7], exec
	s_or_saveexec_b64 s[14:15], s[14:15]
	v_mov_b32_e32 v4, 0x7f800001
	s_xor_b64 exec, exec, s[14:15]
	s_cbranch_execz .LBB298_50
.LBB298_432:
	v_mov_b32_e32 v4, 0
	v_cmp_ne_u16_sdwa s[16:17], v27, v4 src0_sel:BYTE_0 src1_sel:DWORD
	s_andn2_b64 s[6:7], s[6:7], exec
	s_and_b64 s[16:17], s[16:17], exec
	s_or_b64 s[6:7], s[6:7], s[16:17]
	s_or_b64 exec, exec, s[14:15]
	s_and_saveexec_b64 s[14:15], s[6:7]
	s_cbranch_execnz .LBB298_51
	s_branch .LBB298_52
.LBB298_433:
	s_movk_i32 s6, 0x80
	v_cmp_eq_u16_sdwa s[16:17], v1, s6 src0_sel:BYTE_0 src1_sel:DWORD
	s_mov_b64 s[6:7], -1
	s_and_saveexec_b64 s[14:15], s[16:17]
; %bb.434:
	s_xor_b64 s[6:7], exec, -1
; %bb.435:
	s_or_b64 exec, exec, s[14:15]
	s_and_b64 s[6:7], s[6:7], exec
	s_or_saveexec_b64 s[10:11], s[10:11]
	s_waitcnt vmcnt(0) lgkmcnt(0)
	v_mov_b32_e32 v27, 0x7f800001
	s_xor_b64 exec, exec, s[10:11]
	s_cbranch_execz .LBB298_58
.LBB298_436:
	v_mov_b32_e32 v27, 0
	v_cmp_ne_u16_sdwa s[14:15], v1, v27 src0_sel:BYTE_0 src1_sel:DWORD
	s_andn2_b64 s[6:7], s[6:7], exec
	s_and_b64 s[14:15], s[14:15], exec
	s_or_b64 s[6:7], s[6:7], s[14:15]
	s_or_b64 exec, exec, s[10:11]
	s_and_saveexec_b64 s[10:11], s[6:7]
	s_cbranch_execnz .LBB298_59
	s_branch .LBB298_60
.LBB298_437:
	s_movk_i32 s6, 0x80
	v_cmp_eq_u16_sdwa s[16:17], v26, s6 src0_sel:BYTE_0 src1_sel:DWORD
	s_mov_b64 s[6:7], -1
	s_and_saveexec_b64 s[14:15], s[16:17]
; %bb.438:
	s_xor_b64 s[6:7], exec, -1
; %bb.439:
	s_or_b64 exec, exec, s[14:15]
	s_and_b64 s[6:7], s[6:7], exec
	s_or_saveexec_b64 s[10:11], s[10:11]
	v_mov_b32_e32 v28, 0x7f800001
	s_xor_b64 exec, exec, s[10:11]
	s_cbranch_execz .LBB298_62
.LBB298_440:
	v_mov_b32_e32 v28, 0
	v_cmp_ne_u16_sdwa s[14:15], v26, v28 src0_sel:BYTE_0 src1_sel:DWORD
	s_andn2_b64 s[6:7], s[6:7], exec
	s_and_b64 s[14:15], s[14:15], exec
	s_or_b64 s[6:7], s[6:7], s[14:15]
	s_or_b64 exec, exec, s[10:11]
	s_and_saveexec_b64 s[10:11], s[6:7]
	s_cbranch_execnz .LBB298_63
	s_branch .LBB298_64
.LBB298_441:
	s_movk_i32 s6, 0x80
	v_cmp_eq_u16_sdwa s[18:19], v1, s6 src0_sel:BYTE_0 src1_sel:DWORD
	s_mov_b64 s[6:7], -1
	s_and_saveexec_b64 s[16:17], s[18:19]
; %bb.442:
	s_xor_b64 s[6:7], exec, -1
; %bb.443:
	s_or_b64 exec, exec, s[16:17]
	s_and_b64 s[6:7], s[6:7], exec
	s_or_saveexec_b64 s[14:15], s[14:15]
	s_waitcnt vmcnt(0) lgkmcnt(0)
	v_mov_b32_e32 v27, 0x7f800001
	s_xor_b64 exec, exec, s[14:15]
	s_cbranch_execz .LBB298_68
.LBB298_444:
	v_mov_b32_e32 v27, 0
	v_cmp_ne_u16_sdwa s[16:17], v1, v27 src0_sel:BYTE_0 src1_sel:DWORD
	s_andn2_b64 s[6:7], s[6:7], exec
	s_and_b64 s[16:17], s[16:17], exec
	s_or_b64 s[6:7], s[6:7], s[16:17]
	s_or_b64 exec, exec, s[14:15]
	s_and_saveexec_b64 s[14:15], s[6:7]
	s_cbranch_execnz .LBB298_69
	s_branch .LBB298_70
.LBB298_445:
	s_movk_i32 s6, 0x80
	v_cmp_eq_u16_sdwa s[18:19], v26, s6 src0_sel:BYTE_0 src1_sel:DWORD
	s_mov_b64 s[6:7], -1
	s_and_saveexec_b64 s[16:17], s[18:19]
; %bb.446:
	s_xor_b64 s[6:7], exec, -1
; %bb.447:
	s_or_b64 exec, exec, s[16:17]
	s_and_b64 s[6:7], s[6:7], exec
	s_or_saveexec_b64 s[14:15], s[14:15]
	v_mov_b32_e32 v28, 0x7f800001
	s_xor_b64 exec, exec, s[14:15]
	s_cbranch_execz .LBB298_72
.LBB298_448:
	v_mov_b32_e32 v28, 0
	v_cmp_ne_u16_sdwa s[16:17], v26, v28 src0_sel:BYTE_0 src1_sel:DWORD
	s_andn2_b64 s[6:7], s[6:7], exec
	s_and_b64 s[16:17], s[16:17], exec
	s_or_b64 s[6:7], s[6:7], s[16:17]
	s_or_b64 exec, exec, s[14:15]
	s_and_saveexec_b64 s[14:15], s[6:7]
	s_cbranch_execnz .LBB298_73
	s_branch .LBB298_74
.LBB298_449:
	s_movk_i32 s6, 0x80
	v_cmp_eq_u16_sdwa s[16:17], v1, s6 src0_sel:BYTE_0 src1_sel:DWORD
	s_mov_b64 s[6:7], -1
	s_and_saveexec_b64 s[14:15], s[16:17]
; %bb.450:
	s_xor_b64 s[6:7], exec, -1
; %bb.451:
	s_or_b64 exec, exec, s[14:15]
	s_and_b64 s[6:7], s[6:7], exec
	s_or_saveexec_b64 s[10:11], s[10:11]
	v_mov_b32_e32 v26, 0x7f800001
	s_xor_b64 exec, exec, s[10:11]
	s_cbranch_execz .LBB298_80
.LBB298_452:
	v_mov_b32_e32 v26, 0
	v_cmp_ne_u16_sdwa s[14:15], v1, v26 src0_sel:BYTE_0 src1_sel:DWORD
	s_andn2_b64 s[6:7], s[6:7], exec
	s_and_b64 s[14:15], s[14:15], exec
	s_or_b64 s[6:7], s[6:7], s[14:15]
	s_or_b64 exec, exec, s[10:11]
	s_and_saveexec_b64 s[10:11], s[6:7]
	s_cbranch_execnz .LBB298_81
	s_branch .LBB298_82
.LBB298_453:
	s_movk_i32 s6, 0x80
	v_cmp_eq_u16_sdwa s[16:17], v25, s6 src0_sel:BYTE_0 src1_sel:DWORD
	s_mov_b64 s[6:7], -1
	s_and_saveexec_b64 s[14:15], s[16:17]
; %bb.454:
	s_xor_b64 s[6:7], exec, -1
; %bb.455:
	s_or_b64 exec, exec, s[14:15]
	s_and_b64 s[6:7], s[6:7], exec
	s_or_saveexec_b64 s[10:11], s[10:11]
	v_mov_b32_e32 v27, 0x7f800001
	s_xor_b64 exec, exec, s[10:11]
	s_cbranch_execz .LBB298_84
.LBB298_456:
	v_mov_b32_e32 v27, 0
	v_cmp_ne_u16_sdwa s[14:15], v25, v27 src0_sel:BYTE_0 src1_sel:DWORD
	s_andn2_b64 s[6:7], s[6:7], exec
	s_and_b64 s[14:15], s[14:15], exec
	s_or_b64 s[6:7], s[6:7], s[14:15]
	s_or_b64 exec, exec, s[10:11]
	s_and_saveexec_b64 s[10:11], s[6:7]
	s_cbranch_execnz .LBB298_85
	s_branch .LBB298_86
.LBB298_457:
	s_movk_i32 s6, 0x80
	v_cmp_eq_u16_sdwa s[18:19], v1, s6 src0_sel:BYTE_0 src1_sel:DWORD
	s_mov_b64 s[6:7], -1
	s_and_saveexec_b64 s[16:17], s[18:19]
; %bb.458:
	s_xor_b64 s[6:7], exec, -1
; %bb.459:
	s_or_b64 exec, exec, s[16:17]
	s_and_b64 s[6:7], s[6:7], exec
	s_or_saveexec_b64 s[14:15], s[14:15]
	v_mov_b32_e32 v26, 0x7f800001
	s_xor_b64 exec, exec, s[14:15]
	s_cbranch_execz .LBB298_90
.LBB298_460:
	v_mov_b32_e32 v26, 0
	v_cmp_ne_u16_sdwa s[16:17], v1, v26 src0_sel:BYTE_0 src1_sel:DWORD
	s_andn2_b64 s[6:7], s[6:7], exec
	s_and_b64 s[16:17], s[16:17], exec
	s_or_b64 s[6:7], s[6:7], s[16:17]
	s_or_b64 exec, exec, s[14:15]
	s_and_saveexec_b64 s[14:15], s[6:7]
	s_cbranch_execnz .LBB298_91
	s_branch .LBB298_92
.LBB298_461:
	s_movk_i32 s6, 0x80
	v_cmp_eq_u16_sdwa s[18:19], v25, s6 src0_sel:BYTE_0 src1_sel:DWORD
	s_mov_b64 s[6:7], -1
	s_and_saveexec_b64 s[16:17], s[18:19]
; %bb.462:
	s_xor_b64 s[6:7], exec, -1
; %bb.463:
	s_or_b64 exec, exec, s[16:17]
	s_and_b64 s[6:7], s[6:7], exec
	s_or_saveexec_b64 s[14:15], s[14:15]
	v_mov_b32_e32 v27, 0x7f800001
	s_xor_b64 exec, exec, s[14:15]
	s_cbranch_execz .LBB298_94
.LBB298_464:
	v_mov_b32_e32 v27, 0
	v_cmp_ne_u16_sdwa s[16:17], v25, v27 src0_sel:BYTE_0 src1_sel:DWORD
	s_andn2_b64 s[6:7], s[6:7], exec
	s_and_b64 s[16:17], s[16:17], exec
	s_or_b64 s[6:7], s[6:7], s[16:17]
	s_or_b64 exec, exec, s[14:15]
	s_and_saveexec_b64 s[14:15], s[6:7]
	s_cbranch_execnz .LBB298_95
	s_branch .LBB298_96
.LBB298_465:
	s_movk_i32 s6, 0x80
	v_cmp_eq_u16_sdwa s[16:17], v1, s6 src0_sel:BYTE_0 src1_sel:DWORD
	s_mov_b64 s[6:7], -1
	s_and_saveexec_b64 s[14:15], s[16:17]
; %bb.466:
	s_xor_b64 s[6:7], exec, -1
; %bb.467:
	s_or_b64 exec, exec, s[14:15]
	s_and_b64 s[6:7], s[6:7], exec
	s_or_saveexec_b64 s[10:11], s[10:11]
	v_mov_b32_e32 v25, 0x7f800001
	s_xor_b64 exec, exec, s[10:11]
	s_cbranch_execz .LBB298_102
.LBB298_468:
	v_mov_b32_e32 v25, 0
	v_cmp_ne_u16_sdwa s[14:15], v1, v25 src0_sel:BYTE_0 src1_sel:DWORD
	s_andn2_b64 s[6:7], s[6:7], exec
	s_and_b64 s[14:15], s[14:15], exec
	s_or_b64 s[6:7], s[6:7], s[14:15]
	s_or_b64 exec, exec, s[10:11]
	s_and_saveexec_b64 s[10:11], s[6:7]
	s_cbranch_execnz .LBB298_103
	s_branch .LBB298_104
.LBB298_469:
	s_movk_i32 s6, 0x80
	v_cmp_eq_u16_sdwa s[16:17], v24, s6 src0_sel:BYTE_0 src1_sel:DWORD
	s_mov_b64 s[6:7], -1
	s_and_saveexec_b64 s[14:15], s[16:17]
; %bb.470:
	s_xor_b64 s[6:7], exec, -1
; %bb.471:
	s_or_b64 exec, exec, s[14:15]
	s_and_b64 s[6:7], s[6:7], exec
	s_or_saveexec_b64 s[10:11], s[10:11]
	v_mov_b32_e32 v26, 0x7f800001
	s_xor_b64 exec, exec, s[10:11]
	s_cbranch_execz .LBB298_106
.LBB298_472:
	v_mov_b32_e32 v26, 0
	v_cmp_ne_u16_sdwa s[14:15], v24, v26 src0_sel:BYTE_0 src1_sel:DWORD
	s_andn2_b64 s[6:7], s[6:7], exec
	s_and_b64 s[14:15], s[14:15], exec
	s_or_b64 s[6:7], s[6:7], s[14:15]
	s_or_b64 exec, exec, s[10:11]
	s_and_saveexec_b64 s[10:11], s[6:7]
	s_cbranch_execnz .LBB298_107
	s_branch .LBB298_108
.LBB298_473:
	s_movk_i32 s6, 0x80
	v_cmp_eq_u16_sdwa s[18:19], v1, s6 src0_sel:BYTE_0 src1_sel:DWORD
	s_mov_b64 s[6:7], -1
	s_and_saveexec_b64 s[16:17], s[18:19]
; %bb.474:
	s_xor_b64 s[6:7], exec, -1
; %bb.475:
	s_or_b64 exec, exec, s[16:17]
	s_and_b64 s[6:7], s[6:7], exec
	s_or_saveexec_b64 s[14:15], s[14:15]
	v_mov_b32_e32 v25, 0x7f800001
	s_xor_b64 exec, exec, s[14:15]
	s_cbranch_execz .LBB298_112
.LBB298_476:
	v_mov_b32_e32 v25, 0
	v_cmp_ne_u16_sdwa s[16:17], v1, v25 src0_sel:BYTE_0 src1_sel:DWORD
	s_andn2_b64 s[6:7], s[6:7], exec
	s_and_b64 s[16:17], s[16:17], exec
	s_or_b64 s[6:7], s[6:7], s[16:17]
	s_or_b64 exec, exec, s[14:15]
	s_and_saveexec_b64 s[14:15], s[6:7]
	s_cbranch_execnz .LBB298_113
	s_branch .LBB298_114
.LBB298_477:
	s_movk_i32 s6, 0x80
	v_cmp_eq_u16_sdwa s[18:19], v24, s6 src0_sel:BYTE_0 src1_sel:DWORD
	s_mov_b64 s[6:7], -1
	s_and_saveexec_b64 s[16:17], s[18:19]
; %bb.478:
	s_xor_b64 s[6:7], exec, -1
; %bb.479:
	s_or_b64 exec, exec, s[16:17]
	s_and_b64 s[6:7], s[6:7], exec
	s_or_saveexec_b64 s[14:15], s[14:15]
	v_mov_b32_e32 v26, 0x7f800001
	s_xor_b64 exec, exec, s[14:15]
	s_cbranch_execz .LBB298_116
.LBB298_480:
	v_mov_b32_e32 v26, 0
	v_cmp_ne_u16_sdwa s[16:17], v24, v26 src0_sel:BYTE_0 src1_sel:DWORD
	s_andn2_b64 s[6:7], s[6:7], exec
	s_and_b64 s[16:17], s[16:17], exec
	s_or_b64 s[6:7], s[6:7], s[16:17]
	s_or_b64 exec, exec, s[14:15]
	s_and_saveexec_b64 s[14:15], s[6:7]
	s_cbranch_execnz .LBB298_117
	s_branch .LBB298_118
.LBB298_481:
	s_movk_i32 s6, 0x80
	v_cmp_eq_u16_sdwa s[16:17], v1, s6 src0_sel:BYTE_0 src1_sel:DWORD
	s_mov_b64 s[6:7], -1
	s_and_saveexec_b64 s[14:15], s[16:17]
; %bb.482:
	s_xor_b64 s[6:7], exec, -1
; %bb.483:
	s_or_b64 exec, exec, s[14:15]
	s_and_b64 s[6:7], s[6:7], exec
	s_or_saveexec_b64 s[10:11], s[10:11]
	v_mov_b32_e32 v24, 0x7f800001
	s_xor_b64 exec, exec, s[10:11]
	s_cbranch_execz .LBB298_124
.LBB298_484:
	v_mov_b32_e32 v24, 0
	v_cmp_ne_u16_sdwa s[14:15], v1, v24 src0_sel:BYTE_0 src1_sel:DWORD
	s_andn2_b64 s[6:7], s[6:7], exec
	s_and_b64 s[14:15], s[14:15], exec
	s_or_b64 s[6:7], s[6:7], s[14:15]
	s_or_b64 exec, exec, s[10:11]
	s_and_saveexec_b64 s[10:11], s[6:7]
	s_cbranch_execnz .LBB298_125
	s_branch .LBB298_126
.LBB298_485:
	s_movk_i32 s6, 0x80
	v_cmp_eq_u16_sdwa s[16:17], v23, s6 src0_sel:BYTE_0 src1_sel:DWORD
	s_mov_b64 s[6:7], -1
	s_and_saveexec_b64 s[14:15], s[16:17]
; %bb.486:
	s_xor_b64 s[6:7], exec, -1
; %bb.487:
	s_or_b64 exec, exec, s[14:15]
	s_and_b64 s[6:7], s[6:7], exec
	s_or_saveexec_b64 s[10:11], s[10:11]
	v_mov_b32_e32 v25, 0x7f800001
	s_xor_b64 exec, exec, s[10:11]
	s_cbranch_execz .LBB298_128
.LBB298_488:
	v_mov_b32_e32 v25, 0
	v_cmp_ne_u16_sdwa s[14:15], v23, v25 src0_sel:BYTE_0 src1_sel:DWORD
	s_andn2_b64 s[6:7], s[6:7], exec
	s_and_b64 s[14:15], s[14:15], exec
	s_or_b64 s[6:7], s[6:7], s[14:15]
	s_or_b64 exec, exec, s[10:11]
	s_and_saveexec_b64 s[10:11], s[6:7]
	s_cbranch_execnz .LBB298_129
	s_branch .LBB298_130
.LBB298_489:
	s_movk_i32 s6, 0x80
	v_cmp_eq_u16_sdwa s[18:19], v1, s6 src0_sel:BYTE_0 src1_sel:DWORD
	s_mov_b64 s[6:7], -1
	s_and_saveexec_b64 s[16:17], s[18:19]
; %bb.490:
	s_xor_b64 s[6:7], exec, -1
; %bb.491:
	s_or_b64 exec, exec, s[16:17]
	s_and_b64 s[6:7], s[6:7], exec
	s_or_saveexec_b64 s[14:15], s[14:15]
	v_mov_b32_e32 v24, 0x7f800001
	s_xor_b64 exec, exec, s[14:15]
	s_cbranch_execz .LBB298_134
.LBB298_492:
	v_mov_b32_e32 v24, 0
	v_cmp_ne_u16_sdwa s[16:17], v1, v24 src0_sel:BYTE_0 src1_sel:DWORD
	s_andn2_b64 s[6:7], s[6:7], exec
	s_and_b64 s[16:17], s[16:17], exec
	s_or_b64 s[6:7], s[6:7], s[16:17]
	s_or_b64 exec, exec, s[14:15]
	s_and_saveexec_b64 s[14:15], s[6:7]
	s_cbranch_execnz .LBB298_135
	s_branch .LBB298_136
.LBB298_493:
	s_movk_i32 s6, 0x80
	v_cmp_eq_u16_sdwa s[18:19], v23, s6 src0_sel:BYTE_0 src1_sel:DWORD
	s_mov_b64 s[6:7], -1
	s_and_saveexec_b64 s[16:17], s[18:19]
; %bb.494:
	s_xor_b64 s[6:7], exec, -1
; %bb.495:
	s_or_b64 exec, exec, s[16:17]
	s_and_b64 s[6:7], s[6:7], exec
	s_or_saveexec_b64 s[14:15], s[14:15]
	v_mov_b32_e32 v25, 0x7f800001
	s_xor_b64 exec, exec, s[14:15]
	s_cbranch_execz .LBB298_138
.LBB298_496:
	v_mov_b32_e32 v25, 0
	v_cmp_ne_u16_sdwa s[16:17], v23, v25 src0_sel:BYTE_0 src1_sel:DWORD
	s_andn2_b64 s[6:7], s[6:7], exec
	s_and_b64 s[16:17], s[16:17], exec
	s_or_b64 s[6:7], s[6:7], s[16:17]
	s_or_b64 exec, exec, s[14:15]
	s_and_saveexec_b64 s[14:15], s[6:7]
	s_cbranch_execnz .LBB298_139
	s_branch .LBB298_140
.LBB298_497:
	s_movk_i32 s6, 0x80
	v_cmp_eq_u16_sdwa s[16:17], v1, s6 src0_sel:BYTE_0 src1_sel:DWORD
	s_mov_b64 s[6:7], -1
	s_and_saveexec_b64 s[14:15], s[16:17]
; %bb.498:
	s_xor_b64 s[6:7], exec, -1
; %bb.499:
	s_or_b64 exec, exec, s[14:15]
	s_and_b64 s[6:7], s[6:7], exec
	s_or_saveexec_b64 s[10:11], s[10:11]
	v_mov_b32_e32 v23, 0x7f800001
	s_xor_b64 exec, exec, s[10:11]
	s_cbranch_execz .LBB298_146
.LBB298_500:
	v_mov_b32_e32 v23, 0
	v_cmp_ne_u16_sdwa s[14:15], v1, v23 src0_sel:BYTE_0 src1_sel:DWORD
	s_andn2_b64 s[6:7], s[6:7], exec
	s_and_b64 s[14:15], s[14:15], exec
	s_or_b64 s[6:7], s[6:7], s[14:15]
	s_or_b64 exec, exec, s[10:11]
	s_and_saveexec_b64 s[10:11], s[6:7]
	s_cbranch_execnz .LBB298_147
	s_branch .LBB298_148
.LBB298_501:
	s_movk_i32 s6, 0x80
	v_cmp_eq_u16_sdwa s[16:17], v22, s6 src0_sel:BYTE_0 src1_sel:DWORD
	s_mov_b64 s[6:7], -1
	s_and_saveexec_b64 s[14:15], s[16:17]
; %bb.502:
	s_xor_b64 s[6:7], exec, -1
; %bb.503:
	s_or_b64 exec, exec, s[14:15]
	s_and_b64 s[6:7], s[6:7], exec
	s_or_saveexec_b64 s[10:11], s[10:11]
	v_mov_b32_e32 v24, 0x7f800001
	s_xor_b64 exec, exec, s[10:11]
	s_cbranch_execz .LBB298_150
.LBB298_504:
	v_mov_b32_e32 v24, 0
	v_cmp_ne_u16_sdwa s[14:15], v22, v24 src0_sel:BYTE_0 src1_sel:DWORD
	s_andn2_b64 s[6:7], s[6:7], exec
	s_and_b64 s[14:15], s[14:15], exec
	s_or_b64 s[6:7], s[6:7], s[14:15]
	s_or_b64 exec, exec, s[10:11]
	s_and_saveexec_b64 s[10:11], s[6:7]
	s_cbranch_execnz .LBB298_151
	s_branch .LBB298_152
.LBB298_505:
	s_movk_i32 s6, 0x80
	v_cmp_eq_u16_sdwa s[18:19], v1, s6 src0_sel:BYTE_0 src1_sel:DWORD
	s_mov_b64 s[6:7], -1
	s_and_saveexec_b64 s[16:17], s[18:19]
; %bb.506:
	s_xor_b64 s[6:7], exec, -1
; %bb.507:
	s_or_b64 exec, exec, s[16:17]
	s_and_b64 s[6:7], s[6:7], exec
	s_or_saveexec_b64 s[14:15], s[14:15]
	v_mov_b32_e32 v23, 0x7f800001
	s_xor_b64 exec, exec, s[14:15]
	s_cbranch_execz .LBB298_156
.LBB298_508:
	v_mov_b32_e32 v23, 0
	v_cmp_ne_u16_sdwa s[16:17], v1, v23 src0_sel:BYTE_0 src1_sel:DWORD
	s_andn2_b64 s[6:7], s[6:7], exec
	s_and_b64 s[16:17], s[16:17], exec
	s_or_b64 s[6:7], s[6:7], s[16:17]
	s_or_b64 exec, exec, s[14:15]
	s_and_saveexec_b64 s[14:15], s[6:7]
	s_cbranch_execnz .LBB298_157
	s_branch .LBB298_158
.LBB298_509:
	s_movk_i32 s6, 0x80
	v_cmp_eq_u16_sdwa s[18:19], v22, s6 src0_sel:BYTE_0 src1_sel:DWORD
	s_mov_b64 s[6:7], -1
	s_and_saveexec_b64 s[16:17], s[18:19]
; %bb.510:
	s_xor_b64 s[6:7], exec, -1
; %bb.511:
	s_or_b64 exec, exec, s[16:17]
	s_and_b64 s[6:7], s[6:7], exec
	s_or_saveexec_b64 s[14:15], s[14:15]
	v_mov_b32_e32 v24, 0x7f800001
	s_xor_b64 exec, exec, s[14:15]
	s_cbranch_execz .LBB298_160
.LBB298_512:
	v_mov_b32_e32 v24, 0
	v_cmp_ne_u16_sdwa s[16:17], v22, v24 src0_sel:BYTE_0 src1_sel:DWORD
	s_andn2_b64 s[6:7], s[6:7], exec
	s_and_b64 s[16:17], s[16:17], exec
	s_or_b64 s[6:7], s[6:7], s[16:17]
	s_or_b64 exec, exec, s[14:15]
	s_and_saveexec_b64 s[14:15], s[6:7]
	s_cbranch_execnz .LBB298_161
	s_branch .LBB298_162
.LBB298_513:
	s_movk_i32 s6, 0x80
	v_cmp_eq_u16_sdwa s[16:17], v1, s6 src0_sel:BYTE_0 src1_sel:DWORD
	s_mov_b64 s[6:7], -1
	s_and_saveexec_b64 s[14:15], s[16:17]
; %bb.514:
	s_xor_b64 s[6:7], exec, -1
; %bb.515:
	s_or_b64 exec, exec, s[14:15]
	s_and_b64 s[6:7], s[6:7], exec
	s_or_saveexec_b64 s[10:11], s[10:11]
	v_mov_b32_e32 v22, 0x7f800001
	s_xor_b64 exec, exec, s[10:11]
	s_cbranch_execz .LBB298_168
.LBB298_516:
	v_mov_b32_e32 v22, 0
	v_cmp_ne_u16_sdwa s[14:15], v1, v22 src0_sel:BYTE_0 src1_sel:DWORD
	s_andn2_b64 s[6:7], s[6:7], exec
	s_and_b64 s[14:15], s[14:15], exec
	s_or_b64 s[6:7], s[6:7], s[14:15]
	s_or_b64 exec, exec, s[10:11]
	s_and_saveexec_b64 s[10:11], s[6:7]
	s_cbranch_execnz .LBB298_169
	s_branch .LBB298_170
.LBB298_517:
	s_movk_i32 s6, 0x80
	v_cmp_eq_u16_sdwa s[16:17], v21, s6 src0_sel:BYTE_0 src1_sel:DWORD
	s_mov_b64 s[6:7], -1
	s_and_saveexec_b64 s[14:15], s[16:17]
; %bb.518:
	s_xor_b64 s[6:7], exec, -1
; %bb.519:
	s_or_b64 exec, exec, s[14:15]
	s_and_b64 s[6:7], s[6:7], exec
	s_or_saveexec_b64 s[10:11], s[10:11]
	v_mov_b32_e32 v23, 0x7f800001
	s_xor_b64 exec, exec, s[10:11]
	s_cbranch_execz .LBB298_172
.LBB298_520:
	v_mov_b32_e32 v23, 0
	v_cmp_ne_u16_sdwa s[14:15], v21, v23 src0_sel:BYTE_0 src1_sel:DWORD
	s_andn2_b64 s[6:7], s[6:7], exec
	s_and_b64 s[14:15], s[14:15], exec
	s_or_b64 s[6:7], s[6:7], s[14:15]
	s_or_b64 exec, exec, s[10:11]
	s_and_saveexec_b64 s[10:11], s[6:7]
	s_cbranch_execnz .LBB298_173
	s_branch .LBB298_174
.LBB298_521:
	s_movk_i32 s6, 0x80
	v_cmp_eq_u16_sdwa s[18:19], v1, s6 src0_sel:BYTE_0 src1_sel:DWORD
	s_mov_b64 s[6:7], -1
	s_and_saveexec_b64 s[16:17], s[18:19]
; %bb.522:
	s_xor_b64 s[6:7], exec, -1
; %bb.523:
	s_or_b64 exec, exec, s[16:17]
	s_and_b64 s[6:7], s[6:7], exec
	s_or_saveexec_b64 s[14:15], s[14:15]
	v_mov_b32_e32 v22, 0x7f800001
	s_xor_b64 exec, exec, s[14:15]
	s_cbranch_execz .LBB298_178
.LBB298_524:
	v_mov_b32_e32 v22, 0
	v_cmp_ne_u16_sdwa s[16:17], v1, v22 src0_sel:BYTE_0 src1_sel:DWORD
	s_andn2_b64 s[6:7], s[6:7], exec
	s_and_b64 s[16:17], s[16:17], exec
	s_or_b64 s[6:7], s[6:7], s[16:17]
	s_or_b64 exec, exec, s[14:15]
	s_and_saveexec_b64 s[14:15], s[6:7]
	s_cbranch_execnz .LBB298_179
	s_branch .LBB298_180
.LBB298_525:
	s_movk_i32 s6, 0x80
	v_cmp_eq_u16_sdwa s[18:19], v21, s6 src0_sel:BYTE_0 src1_sel:DWORD
	s_mov_b64 s[6:7], -1
	s_and_saveexec_b64 s[16:17], s[18:19]
; %bb.526:
	s_xor_b64 s[6:7], exec, -1
; %bb.527:
	s_or_b64 exec, exec, s[16:17]
	s_and_b64 s[6:7], s[6:7], exec
	s_or_saveexec_b64 s[14:15], s[14:15]
	v_mov_b32_e32 v23, 0x7f800001
	s_xor_b64 exec, exec, s[14:15]
	s_cbranch_execz .LBB298_182
.LBB298_528:
	v_mov_b32_e32 v23, 0
	v_cmp_ne_u16_sdwa s[16:17], v21, v23 src0_sel:BYTE_0 src1_sel:DWORD
	s_andn2_b64 s[6:7], s[6:7], exec
	s_and_b64 s[16:17], s[16:17], exec
	s_or_b64 s[6:7], s[6:7], s[16:17]
	s_or_b64 exec, exec, s[14:15]
	s_and_saveexec_b64 s[14:15], s[6:7]
	s_cbranch_execnz .LBB298_183
	s_branch .LBB298_184
.LBB298_529:
	s_movk_i32 s6, 0x80
	v_cmp_eq_u16_sdwa s[16:17], v1, s6 src0_sel:BYTE_0 src1_sel:DWORD
	s_mov_b64 s[6:7], -1
	s_and_saveexec_b64 s[14:15], s[16:17]
; %bb.530:
	s_xor_b64 s[6:7], exec, -1
; %bb.531:
	s_or_b64 exec, exec, s[14:15]
	s_and_b64 s[6:7], s[6:7], exec
	s_or_saveexec_b64 s[10:11], s[10:11]
	v_mov_b32_e32 v21, 0x7f800001
	s_xor_b64 exec, exec, s[10:11]
	s_cbranch_execz .LBB298_190
.LBB298_532:
	v_mov_b32_e32 v21, 0
	v_cmp_ne_u16_sdwa s[14:15], v1, v21 src0_sel:BYTE_0 src1_sel:DWORD
	s_andn2_b64 s[6:7], s[6:7], exec
	s_and_b64 s[14:15], s[14:15], exec
	s_or_b64 s[6:7], s[6:7], s[14:15]
	s_or_b64 exec, exec, s[10:11]
	s_and_saveexec_b64 s[10:11], s[6:7]
	s_cbranch_execnz .LBB298_191
	s_branch .LBB298_192
.LBB298_533:
	s_movk_i32 s6, 0x80
	v_cmp_eq_u16_sdwa s[16:17], v20, s6 src0_sel:BYTE_0 src1_sel:DWORD
	s_mov_b64 s[6:7], -1
	s_and_saveexec_b64 s[14:15], s[16:17]
; %bb.534:
	s_xor_b64 s[6:7], exec, -1
; %bb.535:
	s_or_b64 exec, exec, s[14:15]
	s_and_b64 s[6:7], s[6:7], exec
	s_or_saveexec_b64 s[10:11], s[10:11]
	v_mov_b32_e32 v22, 0x7f800001
	s_xor_b64 exec, exec, s[10:11]
	s_cbranch_execz .LBB298_194
.LBB298_536:
	v_mov_b32_e32 v22, 0
	v_cmp_ne_u16_sdwa s[14:15], v20, v22 src0_sel:BYTE_0 src1_sel:DWORD
	s_andn2_b64 s[6:7], s[6:7], exec
	s_and_b64 s[14:15], s[14:15], exec
	s_or_b64 s[6:7], s[6:7], s[14:15]
	s_or_b64 exec, exec, s[10:11]
	s_and_saveexec_b64 s[10:11], s[6:7]
	s_cbranch_execnz .LBB298_195
	s_branch .LBB298_196
.LBB298_537:
	s_movk_i32 s6, 0x80
	v_cmp_eq_u16_sdwa s[18:19], v1, s6 src0_sel:BYTE_0 src1_sel:DWORD
	s_mov_b64 s[6:7], -1
	s_and_saveexec_b64 s[16:17], s[18:19]
; %bb.538:
	s_xor_b64 s[6:7], exec, -1
; %bb.539:
	s_or_b64 exec, exec, s[16:17]
	s_and_b64 s[6:7], s[6:7], exec
	s_or_saveexec_b64 s[14:15], s[14:15]
	v_mov_b32_e32 v21, 0x7f800001
	s_xor_b64 exec, exec, s[14:15]
	s_cbranch_execz .LBB298_200
.LBB298_540:
	v_mov_b32_e32 v21, 0
	v_cmp_ne_u16_sdwa s[16:17], v1, v21 src0_sel:BYTE_0 src1_sel:DWORD
	s_andn2_b64 s[6:7], s[6:7], exec
	s_and_b64 s[16:17], s[16:17], exec
	s_or_b64 s[6:7], s[6:7], s[16:17]
	s_or_b64 exec, exec, s[14:15]
	s_and_saveexec_b64 s[14:15], s[6:7]
	s_cbranch_execnz .LBB298_201
	s_branch .LBB298_202
.LBB298_541:
	s_movk_i32 s6, 0x80
	v_cmp_eq_u16_sdwa s[18:19], v20, s6 src0_sel:BYTE_0 src1_sel:DWORD
	s_mov_b64 s[6:7], -1
	s_and_saveexec_b64 s[16:17], s[18:19]
; %bb.542:
	s_xor_b64 s[6:7], exec, -1
; %bb.543:
	s_or_b64 exec, exec, s[16:17]
	s_and_b64 s[6:7], s[6:7], exec
	s_or_saveexec_b64 s[14:15], s[14:15]
	v_mov_b32_e32 v22, 0x7f800001
	s_xor_b64 exec, exec, s[14:15]
	s_cbranch_execz .LBB298_204
.LBB298_544:
	v_mov_b32_e32 v22, 0
	v_cmp_ne_u16_sdwa s[16:17], v20, v22 src0_sel:BYTE_0 src1_sel:DWORD
	s_andn2_b64 s[6:7], s[6:7], exec
	s_and_b64 s[16:17], s[16:17], exec
	s_or_b64 s[6:7], s[6:7], s[16:17]
	s_or_b64 exec, exec, s[14:15]
	s_and_saveexec_b64 s[14:15], s[6:7]
	s_cbranch_execnz .LBB298_205
	s_branch .LBB298_206
.LBB298_545:
	s_movk_i32 s6, 0x80
	v_cmp_eq_u16_sdwa s[16:17], v1, s6 src0_sel:BYTE_0 src1_sel:DWORD
	s_mov_b64 s[6:7], -1
	s_and_saveexec_b64 s[14:15], s[16:17]
; %bb.546:
	s_xor_b64 s[6:7], exec, -1
; %bb.547:
	s_or_b64 exec, exec, s[14:15]
	s_and_b64 s[6:7], s[6:7], exec
	s_or_saveexec_b64 s[10:11], s[10:11]
	v_mov_b32_e32 v20, 0x7f800001
	s_xor_b64 exec, exec, s[10:11]
	s_cbranch_execz .LBB298_212
.LBB298_548:
	v_mov_b32_e32 v20, 0
	v_cmp_ne_u16_sdwa s[14:15], v1, v20 src0_sel:BYTE_0 src1_sel:DWORD
	s_andn2_b64 s[6:7], s[6:7], exec
	s_and_b64 s[14:15], s[14:15], exec
	s_or_b64 s[6:7], s[6:7], s[14:15]
	s_or_b64 exec, exec, s[10:11]
	s_and_saveexec_b64 s[10:11], s[6:7]
	s_cbranch_execnz .LBB298_213
	s_branch .LBB298_214
.LBB298_549:
	s_movk_i32 s6, 0x80
	v_cmp_eq_u16_sdwa s[16:17], v19, s6 src0_sel:BYTE_0 src1_sel:DWORD
	s_mov_b64 s[6:7], -1
	s_and_saveexec_b64 s[14:15], s[16:17]
; %bb.550:
	s_xor_b64 s[6:7], exec, -1
; %bb.551:
	s_or_b64 exec, exec, s[14:15]
	s_and_b64 s[6:7], s[6:7], exec
	s_or_saveexec_b64 s[10:11], s[10:11]
	v_mov_b32_e32 v21, 0x7f800001
	s_xor_b64 exec, exec, s[10:11]
	s_cbranch_execz .LBB298_216
.LBB298_552:
	v_mov_b32_e32 v21, 0
	v_cmp_ne_u16_sdwa s[14:15], v19, v21 src0_sel:BYTE_0 src1_sel:DWORD
	s_andn2_b64 s[6:7], s[6:7], exec
	s_and_b64 s[14:15], s[14:15], exec
	s_or_b64 s[6:7], s[6:7], s[14:15]
	s_or_b64 exec, exec, s[10:11]
	s_and_saveexec_b64 s[10:11], s[6:7]
	s_cbranch_execnz .LBB298_217
	s_branch .LBB298_218
.LBB298_553:
	s_movk_i32 s6, 0x80
	v_cmp_eq_u16_sdwa s[18:19], v1, s6 src0_sel:BYTE_0 src1_sel:DWORD
	s_mov_b64 s[6:7], -1
	s_and_saveexec_b64 s[16:17], s[18:19]
; %bb.554:
	s_xor_b64 s[6:7], exec, -1
; %bb.555:
	s_or_b64 exec, exec, s[16:17]
	s_and_b64 s[6:7], s[6:7], exec
	s_or_saveexec_b64 s[14:15], s[14:15]
	v_mov_b32_e32 v20, 0x7f800001
	s_xor_b64 exec, exec, s[14:15]
	s_cbranch_execz .LBB298_222
.LBB298_556:
	v_mov_b32_e32 v20, 0
	v_cmp_ne_u16_sdwa s[16:17], v1, v20 src0_sel:BYTE_0 src1_sel:DWORD
	s_andn2_b64 s[6:7], s[6:7], exec
	s_and_b64 s[16:17], s[16:17], exec
	s_or_b64 s[6:7], s[6:7], s[16:17]
	s_or_b64 exec, exec, s[14:15]
	s_and_saveexec_b64 s[14:15], s[6:7]
	s_cbranch_execnz .LBB298_223
	s_branch .LBB298_224
.LBB298_557:
	s_movk_i32 s6, 0x80
	v_cmp_eq_u16_sdwa s[18:19], v19, s6 src0_sel:BYTE_0 src1_sel:DWORD
	s_mov_b64 s[6:7], -1
	s_and_saveexec_b64 s[16:17], s[18:19]
; %bb.558:
	s_xor_b64 s[6:7], exec, -1
; %bb.559:
	s_or_b64 exec, exec, s[16:17]
	s_and_b64 s[6:7], s[6:7], exec
	s_or_saveexec_b64 s[14:15], s[14:15]
	v_mov_b32_e32 v21, 0x7f800001
	s_xor_b64 exec, exec, s[14:15]
	s_cbranch_execz .LBB298_226
.LBB298_560:
	v_mov_b32_e32 v21, 0
	v_cmp_ne_u16_sdwa s[16:17], v19, v21 src0_sel:BYTE_0 src1_sel:DWORD
	s_andn2_b64 s[6:7], s[6:7], exec
	s_and_b64 s[16:17], s[16:17], exec
	s_or_b64 s[6:7], s[6:7], s[16:17]
	s_or_b64 exec, exec, s[14:15]
	s_and_saveexec_b64 s[14:15], s[6:7]
	s_cbranch_execnz .LBB298_227
	s_branch .LBB298_228
.LBB298_561:
	s_movk_i32 s6, 0x80
	v_cmp_eq_u16_sdwa s[16:17], v1, s6 src0_sel:BYTE_0 src1_sel:DWORD
	s_mov_b64 s[6:7], -1
	s_and_saveexec_b64 s[14:15], s[16:17]
; %bb.562:
	s_xor_b64 s[6:7], exec, -1
; %bb.563:
	s_or_b64 exec, exec, s[14:15]
	s_and_b64 s[6:7], s[6:7], exec
	s_or_saveexec_b64 s[10:11], s[10:11]
	v_mov_b32_e32 v19, 0x7f800001
	s_xor_b64 exec, exec, s[10:11]
	s_cbranch_execz .LBB298_234
.LBB298_564:
	v_mov_b32_e32 v19, 0
	v_cmp_ne_u16_sdwa s[14:15], v1, v19 src0_sel:BYTE_0 src1_sel:DWORD
	s_andn2_b64 s[6:7], s[6:7], exec
	s_and_b64 s[14:15], s[14:15], exec
	s_or_b64 s[6:7], s[6:7], s[14:15]
	s_or_b64 exec, exec, s[10:11]
	s_and_saveexec_b64 s[10:11], s[6:7]
	s_cbranch_execnz .LBB298_235
	s_branch .LBB298_236
.LBB298_565:
	s_movk_i32 s6, 0x80
	v_cmp_eq_u16_sdwa s[16:17], v18, s6 src0_sel:BYTE_0 src1_sel:DWORD
	s_mov_b64 s[6:7], -1
	s_and_saveexec_b64 s[14:15], s[16:17]
; %bb.566:
	s_xor_b64 s[6:7], exec, -1
; %bb.567:
	s_or_b64 exec, exec, s[14:15]
	s_and_b64 s[6:7], s[6:7], exec
	s_or_saveexec_b64 s[10:11], s[10:11]
	v_mov_b32_e32 v20, 0x7f800001
	s_xor_b64 exec, exec, s[10:11]
	s_cbranch_execz .LBB298_238
.LBB298_568:
	v_mov_b32_e32 v20, 0
	v_cmp_ne_u16_sdwa s[14:15], v18, v20 src0_sel:BYTE_0 src1_sel:DWORD
	s_andn2_b64 s[6:7], s[6:7], exec
	s_and_b64 s[14:15], s[14:15], exec
	s_or_b64 s[6:7], s[6:7], s[14:15]
	s_or_b64 exec, exec, s[10:11]
	s_and_saveexec_b64 s[10:11], s[6:7]
	s_cbranch_execnz .LBB298_239
	s_branch .LBB298_240
.LBB298_569:
	s_movk_i32 s6, 0x80
	v_cmp_eq_u16_sdwa s[18:19], v1, s6 src0_sel:BYTE_0 src1_sel:DWORD
	s_mov_b64 s[6:7], -1
	s_and_saveexec_b64 s[16:17], s[18:19]
; %bb.570:
	s_xor_b64 s[6:7], exec, -1
; %bb.571:
	s_or_b64 exec, exec, s[16:17]
	s_and_b64 s[6:7], s[6:7], exec
	s_or_saveexec_b64 s[14:15], s[14:15]
	v_mov_b32_e32 v19, 0x7f800001
	s_xor_b64 exec, exec, s[14:15]
	s_cbranch_execz .LBB298_244
.LBB298_572:
	v_mov_b32_e32 v19, 0
	v_cmp_ne_u16_sdwa s[16:17], v1, v19 src0_sel:BYTE_0 src1_sel:DWORD
	s_andn2_b64 s[6:7], s[6:7], exec
	s_and_b64 s[16:17], s[16:17], exec
	s_or_b64 s[6:7], s[6:7], s[16:17]
	s_or_b64 exec, exec, s[14:15]
	s_and_saveexec_b64 s[14:15], s[6:7]
	s_cbranch_execnz .LBB298_245
	s_branch .LBB298_246
.LBB298_573:
	s_movk_i32 s6, 0x80
	v_cmp_eq_u16_sdwa s[18:19], v18, s6 src0_sel:BYTE_0 src1_sel:DWORD
	s_mov_b64 s[6:7], -1
	s_and_saveexec_b64 s[16:17], s[18:19]
; %bb.574:
	s_xor_b64 s[6:7], exec, -1
; %bb.575:
	s_or_b64 exec, exec, s[16:17]
	s_and_b64 s[6:7], s[6:7], exec
	s_or_saveexec_b64 s[14:15], s[14:15]
	v_mov_b32_e32 v20, 0x7f800001
	s_xor_b64 exec, exec, s[14:15]
	s_cbranch_execz .LBB298_248
.LBB298_576:
	v_mov_b32_e32 v20, 0
	v_cmp_ne_u16_sdwa s[16:17], v18, v20 src0_sel:BYTE_0 src1_sel:DWORD
	s_andn2_b64 s[6:7], s[6:7], exec
	s_and_b64 s[16:17], s[16:17], exec
	s_or_b64 s[6:7], s[6:7], s[16:17]
	s_or_b64 exec, exec, s[14:15]
	s_and_saveexec_b64 s[14:15], s[6:7]
	s_cbranch_execnz .LBB298_249
	s_branch .LBB298_250
.LBB298_577:
	s_movk_i32 s6, 0x80
	v_cmp_eq_u16_sdwa s[16:17], v1, s6 src0_sel:BYTE_0 src1_sel:DWORD
	s_mov_b64 s[6:7], -1
	s_and_saveexec_b64 s[14:15], s[16:17]
; %bb.578:
	s_xor_b64 s[6:7], exec, -1
; %bb.579:
	s_or_b64 exec, exec, s[14:15]
	s_and_b64 s[6:7], s[6:7], exec
	s_or_saveexec_b64 s[10:11], s[10:11]
	v_mov_b32_e32 v18, 0x7f800001
	s_xor_b64 exec, exec, s[10:11]
	s_cbranch_execz .LBB298_256
.LBB298_580:
	v_mov_b32_e32 v18, 0
	v_cmp_ne_u16_sdwa s[14:15], v1, v18 src0_sel:BYTE_0 src1_sel:DWORD
	s_andn2_b64 s[6:7], s[6:7], exec
	s_and_b64 s[14:15], s[14:15], exec
	s_or_b64 s[6:7], s[6:7], s[14:15]
	s_or_b64 exec, exec, s[10:11]
	s_and_saveexec_b64 s[10:11], s[6:7]
	s_cbranch_execnz .LBB298_257
	s_branch .LBB298_258
.LBB298_581:
	s_movk_i32 s6, 0x80
	v_cmp_eq_u16_sdwa s[16:17], v17, s6 src0_sel:BYTE_0 src1_sel:DWORD
	s_mov_b64 s[6:7], -1
	s_and_saveexec_b64 s[14:15], s[16:17]
; %bb.582:
	s_xor_b64 s[6:7], exec, -1
; %bb.583:
	s_or_b64 exec, exec, s[14:15]
	s_and_b64 s[6:7], s[6:7], exec
	s_or_saveexec_b64 s[10:11], s[10:11]
	v_mov_b32_e32 v19, 0x7f800001
	s_xor_b64 exec, exec, s[10:11]
	s_cbranch_execz .LBB298_260
.LBB298_584:
	v_mov_b32_e32 v19, 0
	v_cmp_ne_u16_sdwa s[14:15], v17, v19 src0_sel:BYTE_0 src1_sel:DWORD
	s_andn2_b64 s[6:7], s[6:7], exec
	s_and_b64 s[14:15], s[14:15], exec
	s_or_b64 s[6:7], s[6:7], s[14:15]
	s_or_b64 exec, exec, s[10:11]
	s_and_saveexec_b64 s[10:11], s[6:7]
	s_cbranch_execnz .LBB298_261
	s_branch .LBB298_262
.LBB298_585:
	s_movk_i32 s6, 0x80
	v_cmp_eq_u16_sdwa s[18:19], v1, s6 src0_sel:BYTE_0 src1_sel:DWORD
	s_mov_b64 s[6:7], -1
	s_and_saveexec_b64 s[16:17], s[18:19]
; %bb.586:
	s_xor_b64 s[6:7], exec, -1
; %bb.587:
	s_or_b64 exec, exec, s[16:17]
	s_and_b64 s[6:7], s[6:7], exec
	s_or_saveexec_b64 s[14:15], s[14:15]
	v_mov_b32_e32 v18, 0x7f800001
	s_xor_b64 exec, exec, s[14:15]
	s_cbranch_execz .LBB298_266
.LBB298_588:
	v_mov_b32_e32 v18, 0
	v_cmp_ne_u16_sdwa s[16:17], v1, v18 src0_sel:BYTE_0 src1_sel:DWORD
	s_andn2_b64 s[6:7], s[6:7], exec
	s_and_b64 s[16:17], s[16:17], exec
	s_or_b64 s[6:7], s[6:7], s[16:17]
	s_or_b64 exec, exec, s[14:15]
	s_and_saveexec_b64 s[14:15], s[6:7]
	s_cbranch_execnz .LBB298_267
	s_branch .LBB298_268
.LBB298_589:
	s_movk_i32 s6, 0x80
	v_cmp_eq_u16_sdwa s[18:19], v17, s6 src0_sel:BYTE_0 src1_sel:DWORD
	s_mov_b64 s[6:7], -1
	s_and_saveexec_b64 s[16:17], s[18:19]
; %bb.590:
	s_xor_b64 s[6:7], exec, -1
; %bb.591:
	s_or_b64 exec, exec, s[16:17]
	s_and_b64 s[6:7], s[6:7], exec
	s_or_saveexec_b64 s[14:15], s[14:15]
	v_mov_b32_e32 v19, 0x7f800001
	s_xor_b64 exec, exec, s[14:15]
	s_cbranch_execz .LBB298_270
.LBB298_592:
	v_mov_b32_e32 v19, 0
	v_cmp_ne_u16_sdwa s[16:17], v17, v19 src0_sel:BYTE_0 src1_sel:DWORD
	s_andn2_b64 s[6:7], s[6:7], exec
	s_and_b64 s[16:17], s[16:17], exec
	s_or_b64 s[6:7], s[6:7], s[16:17]
	s_or_b64 exec, exec, s[14:15]
	s_and_saveexec_b64 s[14:15], s[6:7]
	s_cbranch_execnz .LBB298_271
	s_branch .LBB298_272
.LBB298_593:
	s_movk_i32 s6, 0x80
	v_cmp_eq_u16_sdwa s[16:17], v1, s6 src0_sel:BYTE_0 src1_sel:DWORD
	s_mov_b64 s[6:7], -1
	s_and_saveexec_b64 s[14:15], s[16:17]
; %bb.594:
	s_xor_b64 s[6:7], exec, -1
; %bb.595:
	s_or_b64 exec, exec, s[14:15]
	s_and_b64 s[6:7], s[6:7], exec
	s_or_saveexec_b64 s[10:11], s[10:11]
	v_mov_b32_e32 v17, 0x7f800001
	s_xor_b64 exec, exec, s[10:11]
	s_cbranch_execz .LBB298_278
.LBB298_596:
	v_mov_b32_e32 v17, 0
	v_cmp_ne_u16_sdwa s[14:15], v1, v17 src0_sel:BYTE_0 src1_sel:DWORD
	s_andn2_b64 s[6:7], s[6:7], exec
	s_and_b64 s[14:15], s[14:15], exec
	s_or_b64 s[6:7], s[6:7], s[14:15]
	s_or_b64 exec, exec, s[10:11]
	s_and_saveexec_b64 s[10:11], s[6:7]
	s_cbranch_execnz .LBB298_279
	s_branch .LBB298_280
.LBB298_597:
	s_movk_i32 s6, 0x80
	v_cmp_eq_u16_sdwa s[16:17], v16, s6 src0_sel:BYTE_0 src1_sel:DWORD
	s_mov_b64 s[6:7], -1
	s_and_saveexec_b64 s[14:15], s[16:17]
; %bb.598:
	s_xor_b64 s[6:7], exec, -1
; %bb.599:
	s_or_b64 exec, exec, s[14:15]
	s_and_b64 s[6:7], s[6:7], exec
	s_or_saveexec_b64 s[10:11], s[10:11]
	v_mov_b32_e32 v18, 0x7f800001
	s_xor_b64 exec, exec, s[10:11]
	s_cbranch_execz .LBB298_282
.LBB298_600:
	v_mov_b32_e32 v18, 0
	v_cmp_ne_u16_sdwa s[14:15], v16, v18 src0_sel:BYTE_0 src1_sel:DWORD
	s_andn2_b64 s[6:7], s[6:7], exec
	s_and_b64 s[14:15], s[14:15], exec
	s_or_b64 s[6:7], s[6:7], s[14:15]
	s_or_b64 exec, exec, s[10:11]
	s_and_saveexec_b64 s[10:11], s[6:7]
	s_cbranch_execnz .LBB298_283
	s_branch .LBB298_284
.LBB298_601:
	s_movk_i32 s6, 0x80
	v_cmp_eq_u16_sdwa s[18:19], v1, s6 src0_sel:BYTE_0 src1_sel:DWORD
	s_mov_b64 s[6:7], -1
	s_and_saveexec_b64 s[16:17], s[18:19]
; %bb.602:
	s_xor_b64 s[6:7], exec, -1
; %bb.603:
	s_or_b64 exec, exec, s[16:17]
	s_and_b64 s[6:7], s[6:7], exec
	s_or_saveexec_b64 s[14:15], s[14:15]
	v_mov_b32_e32 v17, 0x7f800001
	s_xor_b64 exec, exec, s[14:15]
	s_cbranch_execz .LBB298_288
.LBB298_604:
	v_mov_b32_e32 v17, 0
	v_cmp_ne_u16_sdwa s[16:17], v1, v17 src0_sel:BYTE_0 src1_sel:DWORD
	s_andn2_b64 s[6:7], s[6:7], exec
	s_and_b64 s[16:17], s[16:17], exec
	s_or_b64 s[6:7], s[6:7], s[16:17]
	s_or_b64 exec, exec, s[14:15]
	s_and_saveexec_b64 s[14:15], s[6:7]
	s_cbranch_execnz .LBB298_289
	s_branch .LBB298_290
.LBB298_605:
	s_movk_i32 s6, 0x80
	v_cmp_eq_u16_sdwa s[18:19], v16, s6 src0_sel:BYTE_0 src1_sel:DWORD
	s_mov_b64 s[6:7], -1
	s_and_saveexec_b64 s[16:17], s[18:19]
; %bb.606:
	s_xor_b64 s[6:7], exec, -1
; %bb.607:
	s_or_b64 exec, exec, s[16:17]
	s_and_b64 s[6:7], s[6:7], exec
	s_or_saveexec_b64 s[14:15], s[14:15]
	v_mov_b32_e32 v18, 0x7f800001
	s_xor_b64 exec, exec, s[14:15]
	s_cbranch_execz .LBB298_292
.LBB298_608:
	v_mov_b32_e32 v18, 0
	v_cmp_ne_u16_sdwa s[16:17], v16, v18 src0_sel:BYTE_0 src1_sel:DWORD
	s_andn2_b64 s[6:7], s[6:7], exec
	s_and_b64 s[16:17], s[16:17], exec
	s_or_b64 s[6:7], s[6:7], s[16:17]
	s_or_b64 exec, exec, s[14:15]
	s_and_saveexec_b64 s[14:15], s[6:7]
	s_cbranch_execnz .LBB298_293
	s_branch .LBB298_294
.LBB298_609:
	s_movk_i32 s6, 0x80
	v_cmp_eq_u16_sdwa s[16:17], v1, s6 src0_sel:BYTE_0 src1_sel:DWORD
	s_mov_b64 s[6:7], -1
	s_and_saveexec_b64 s[14:15], s[16:17]
; %bb.610:
	s_xor_b64 s[6:7], exec, -1
; %bb.611:
	s_or_b64 exec, exec, s[14:15]
	s_and_b64 s[6:7], s[6:7], exec
	s_or_saveexec_b64 s[10:11], s[10:11]
	v_mov_b32_e32 v16, 0x7f800001
	s_xor_b64 exec, exec, s[10:11]
	s_cbranch_execz .LBB298_300
.LBB298_612:
	v_mov_b32_e32 v16, 0
	v_cmp_ne_u16_sdwa s[14:15], v1, v16 src0_sel:BYTE_0 src1_sel:DWORD
	s_andn2_b64 s[6:7], s[6:7], exec
	s_and_b64 s[14:15], s[14:15], exec
	s_or_b64 s[6:7], s[6:7], s[14:15]
	s_or_b64 exec, exec, s[10:11]
	s_and_saveexec_b64 s[10:11], s[6:7]
	s_cbranch_execnz .LBB298_301
	s_branch .LBB298_302
.LBB298_613:
	s_movk_i32 s6, 0x80
	v_cmp_eq_u16_sdwa s[16:17], v15, s6 src0_sel:BYTE_0 src1_sel:DWORD
	s_mov_b64 s[6:7], -1
	s_and_saveexec_b64 s[14:15], s[16:17]
; %bb.614:
	s_xor_b64 s[6:7], exec, -1
; %bb.615:
	s_or_b64 exec, exec, s[14:15]
	s_and_b64 s[6:7], s[6:7], exec
	s_or_saveexec_b64 s[10:11], s[10:11]
	v_mov_b32_e32 v17, 0x7f800001
	s_xor_b64 exec, exec, s[10:11]
	s_cbranch_execz .LBB298_304
.LBB298_616:
	v_mov_b32_e32 v17, 0
	v_cmp_ne_u16_sdwa s[14:15], v15, v17 src0_sel:BYTE_0 src1_sel:DWORD
	s_andn2_b64 s[6:7], s[6:7], exec
	s_and_b64 s[14:15], s[14:15], exec
	s_or_b64 s[6:7], s[6:7], s[14:15]
	s_or_b64 exec, exec, s[10:11]
	s_and_saveexec_b64 s[10:11], s[6:7]
	s_cbranch_execnz .LBB298_305
	s_branch .LBB298_306
.LBB298_617:
	s_movk_i32 s6, 0x80
	v_cmp_eq_u16_sdwa s[18:19], v1, s6 src0_sel:BYTE_0 src1_sel:DWORD
	s_mov_b64 s[6:7], -1
	s_and_saveexec_b64 s[16:17], s[18:19]
; %bb.618:
	s_xor_b64 s[6:7], exec, -1
; %bb.619:
	s_or_b64 exec, exec, s[16:17]
	s_and_b64 s[6:7], s[6:7], exec
	s_or_saveexec_b64 s[14:15], s[14:15]
	v_mov_b32_e32 v16, 0x7f800001
	s_xor_b64 exec, exec, s[14:15]
	s_cbranch_execz .LBB298_310
.LBB298_620:
	v_mov_b32_e32 v16, 0
	v_cmp_ne_u16_sdwa s[16:17], v1, v16 src0_sel:BYTE_0 src1_sel:DWORD
	s_andn2_b64 s[6:7], s[6:7], exec
	s_and_b64 s[16:17], s[16:17], exec
	s_or_b64 s[6:7], s[6:7], s[16:17]
	s_or_b64 exec, exec, s[14:15]
	s_and_saveexec_b64 s[14:15], s[6:7]
	s_cbranch_execnz .LBB298_311
	s_branch .LBB298_312
.LBB298_621:
	s_movk_i32 s6, 0x80
	v_cmp_eq_u16_sdwa s[18:19], v15, s6 src0_sel:BYTE_0 src1_sel:DWORD
	s_mov_b64 s[6:7], -1
	s_and_saveexec_b64 s[16:17], s[18:19]
; %bb.622:
	s_xor_b64 s[6:7], exec, -1
; %bb.623:
	s_or_b64 exec, exec, s[16:17]
	s_and_b64 s[6:7], s[6:7], exec
	s_or_saveexec_b64 s[14:15], s[14:15]
	v_mov_b32_e32 v17, 0x7f800001
	s_xor_b64 exec, exec, s[14:15]
	s_cbranch_execz .LBB298_314
.LBB298_624:
	v_mov_b32_e32 v17, 0
	v_cmp_ne_u16_sdwa s[16:17], v15, v17 src0_sel:BYTE_0 src1_sel:DWORD
	s_andn2_b64 s[6:7], s[6:7], exec
	s_and_b64 s[16:17], s[16:17], exec
	s_or_b64 s[6:7], s[6:7], s[16:17]
	s_or_b64 exec, exec, s[14:15]
	s_and_saveexec_b64 s[14:15], s[6:7]
	s_cbranch_execnz .LBB298_315
	s_branch .LBB298_316
.LBB298_625:
	s_movk_i32 s6, 0x80
	v_cmp_eq_u16_sdwa s[16:17], v1, s6 src0_sel:BYTE_0 src1_sel:DWORD
	s_mov_b64 s[6:7], -1
	s_and_saveexec_b64 s[14:15], s[16:17]
; %bb.626:
	s_xor_b64 s[6:7], exec, -1
; %bb.627:
	s_or_b64 exec, exec, s[14:15]
	s_and_b64 s[6:7], s[6:7], exec
	s_or_saveexec_b64 s[10:11], s[10:11]
	v_mov_b32_e32 v15, 0x7f800001
	s_xor_b64 exec, exec, s[10:11]
	s_cbranch_execz .LBB298_322
.LBB298_628:
	v_mov_b32_e32 v15, 0
	v_cmp_ne_u16_sdwa s[14:15], v1, v15 src0_sel:BYTE_0 src1_sel:DWORD
	s_andn2_b64 s[6:7], s[6:7], exec
	s_and_b64 s[14:15], s[14:15], exec
	s_or_b64 s[6:7], s[6:7], s[14:15]
	s_or_b64 exec, exec, s[10:11]
	s_and_saveexec_b64 s[10:11], s[6:7]
	s_cbranch_execnz .LBB298_323
	s_branch .LBB298_324
.LBB298_629:
	s_movk_i32 s6, 0x80
	v_cmp_eq_u16_sdwa s[16:17], v14, s6 src0_sel:BYTE_0 src1_sel:DWORD
	s_mov_b64 s[6:7], -1
	s_and_saveexec_b64 s[14:15], s[16:17]
; %bb.630:
	s_xor_b64 s[6:7], exec, -1
; %bb.631:
	s_or_b64 exec, exec, s[14:15]
	s_and_b64 s[6:7], s[6:7], exec
	s_or_saveexec_b64 s[10:11], s[10:11]
	v_mov_b32_e32 v16, 0x7f800001
	s_xor_b64 exec, exec, s[10:11]
	s_cbranch_execz .LBB298_326
.LBB298_632:
	v_mov_b32_e32 v16, 0
	v_cmp_ne_u16_sdwa s[14:15], v14, v16 src0_sel:BYTE_0 src1_sel:DWORD
	s_andn2_b64 s[6:7], s[6:7], exec
	s_and_b64 s[14:15], s[14:15], exec
	s_or_b64 s[6:7], s[6:7], s[14:15]
	s_or_b64 exec, exec, s[10:11]
	s_and_saveexec_b64 s[10:11], s[6:7]
	s_cbranch_execnz .LBB298_327
	s_branch .LBB298_328
.LBB298_633:
	s_movk_i32 s6, 0x80
	v_cmp_eq_u16_sdwa s[18:19], v1, s6 src0_sel:BYTE_0 src1_sel:DWORD
	s_mov_b64 s[6:7], -1
	s_and_saveexec_b64 s[16:17], s[18:19]
; %bb.634:
	s_xor_b64 s[6:7], exec, -1
; %bb.635:
	s_or_b64 exec, exec, s[16:17]
	s_and_b64 s[6:7], s[6:7], exec
	s_or_saveexec_b64 s[14:15], s[14:15]
	v_mov_b32_e32 v15, 0x7f800001
	s_xor_b64 exec, exec, s[14:15]
	s_cbranch_execz .LBB298_332
.LBB298_636:
	v_mov_b32_e32 v15, 0
	v_cmp_ne_u16_sdwa s[16:17], v1, v15 src0_sel:BYTE_0 src1_sel:DWORD
	s_andn2_b64 s[6:7], s[6:7], exec
	s_and_b64 s[16:17], s[16:17], exec
	s_or_b64 s[6:7], s[6:7], s[16:17]
	s_or_b64 exec, exec, s[14:15]
	s_and_saveexec_b64 s[14:15], s[6:7]
	s_cbranch_execnz .LBB298_333
	s_branch .LBB298_334
.LBB298_637:
	s_movk_i32 s6, 0x80
	v_cmp_eq_u16_sdwa s[18:19], v14, s6 src0_sel:BYTE_0 src1_sel:DWORD
	s_mov_b64 s[6:7], -1
	s_and_saveexec_b64 s[16:17], s[18:19]
; %bb.638:
	s_xor_b64 s[6:7], exec, -1
; %bb.639:
	s_or_b64 exec, exec, s[16:17]
	s_and_b64 s[6:7], s[6:7], exec
	s_or_saveexec_b64 s[14:15], s[14:15]
	v_mov_b32_e32 v16, 0x7f800001
	s_xor_b64 exec, exec, s[14:15]
	s_cbranch_execz .LBB298_336
.LBB298_640:
	v_mov_b32_e32 v16, 0
	v_cmp_ne_u16_sdwa s[16:17], v14, v16 src0_sel:BYTE_0 src1_sel:DWORD
	s_andn2_b64 s[6:7], s[6:7], exec
	s_and_b64 s[16:17], s[16:17], exec
	s_or_b64 s[6:7], s[6:7], s[16:17]
	s_or_b64 exec, exec, s[14:15]
	s_and_saveexec_b64 s[14:15], s[6:7]
	s_cbranch_execnz .LBB298_337
	s_branch .LBB298_338
.LBB298_641:
	s_movk_i32 s6, 0x80
	v_cmp_eq_u16_sdwa s[16:17], v1, s6 src0_sel:BYTE_0 src1_sel:DWORD
	s_mov_b64 s[6:7], -1
	s_and_saveexec_b64 s[14:15], s[16:17]
; %bb.642:
	s_xor_b64 s[6:7], exec, -1
; %bb.643:
	s_or_b64 exec, exec, s[14:15]
	s_and_b64 s[6:7], s[6:7], exec
	s_or_saveexec_b64 s[10:11], s[10:11]
	v_mov_b32_e32 v14, 0x7f800001
	s_xor_b64 exec, exec, s[10:11]
	s_cbranch_execz .LBB298_344
.LBB298_644:
	v_mov_b32_e32 v14, 0
	v_cmp_ne_u16_sdwa s[14:15], v1, v14 src0_sel:BYTE_0 src1_sel:DWORD
	s_andn2_b64 s[6:7], s[6:7], exec
	s_and_b64 s[14:15], s[14:15], exec
	s_or_b64 s[6:7], s[6:7], s[14:15]
	s_or_b64 exec, exec, s[10:11]
	s_and_saveexec_b64 s[10:11], s[6:7]
	s_cbranch_execnz .LBB298_345
	s_branch .LBB298_346
.LBB298_645:
	s_movk_i32 s6, 0x80
	v_cmp_eq_u16_sdwa s[16:17], v13, s6 src0_sel:BYTE_0 src1_sel:DWORD
	s_mov_b64 s[6:7], -1
	s_and_saveexec_b64 s[14:15], s[16:17]
; %bb.646:
	s_xor_b64 s[6:7], exec, -1
; %bb.647:
	s_or_b64 exec, exec, s[14:15]
	s_and_b64 s[6:7], s[6:7], exec
	s_or_saveexec_b64 s[10:11], s[10:11]
	v_mov_b32_e32 v15, 0x7f800001
	s_xor_b64 exec, exec, s[10:11]
	s_cbranch_execz .LBB298_348
.LBB298_648:
	v_mov_b32_e32 v15, 0
	v_cmp_ne_u16_sdwa s[14:15], v13, v15 src0_sel:BYTE_0 src1_sel:DWORD
	s_andn2_b64 s[6:7], s[6:7], exec
	s_and_b64 s[14:15], s[14:15], exec
	s_or_b64 s[6:7], s[6:7], s[14:15]
	s_or_b64 exec, exec, s[10:11]
	s_and_saveexec_b64 s[10:11], s[6:7]
	s_cbranch_execnz .LBB298_349
	s_branch .LBB298_350
.LBB298_649:
	s_movk_i32 s6, 0x80
	v_cmp_eq_u16_sdwa s[18:19], v1, s6 src0_sel:BYTE_0 src1_sel:DWORD
	s_mov_b64 s[6:7], -1
	s_and_saveexec_b64 s[16:17], s[18:19]
; %bb.650:
	s_xor_b64 s[6:7], exec, -1
; %bb.651:
	s_or_b64 exec, exec, s[16:17]
	s_and_b64 s[6:7], s[6:7], exec
	s_or_saveexec_b64 s[14:15], s[14:15]
	v_mov_b32_e32 v14, 0x7f800001
	s_xor_b64 exec, exec, s[14:15]
	s_cbranch_execz .LBB298_354
.LBB298_652:
	v_mov_b32_e32 v14, 0
	v_cmp_ne_u16_sdwa s[16:17], v1, v14 src0_sel:BYTE_0 src1_sel:DWORD
	s_andn2_b64 s[6:7], s[6:7], exec
	s_and_b64 s[16:17], s[16:17], exec
	s_or_b64 s[6:7], s[6:7], s[16:17]
	s_or_b64 exec, exec, s[14:15]
	s_and_saveexec_b64 s[14:15], s[6:7]
	s_cbranch_execnz .LBB298_355
	s_branch .LBB298_356
.LBB298_653:
	s_movk_i32 s6, 0x80
	v_cmp_eq_u16_sdwa s[18:19], v13, s6 src0_sel:BYTE_0 src1_sel:DWORD
	s_mov_b64 s[6:7], -1
	s_and_saveexec_b64 s[16:17], s[18:19]
; %bb.654:
	s_xor_b64 s[6:7], exec, -1
; %bb.655:
	s_or_b64 exec, exec, s[16:17]
	s_and_b64 s[6:7], s[6:7], exec
	s_or_saveexec_b64 s[14:15], s[14:15]
	v_mov_b32_e32 v15, 0x7f800001
	s_xor_b64 exec, exec, s[14:15]
	s_cbranch_execz .LBB298_358
.LBB298_656:
	v_mov_b32_e32 v15, 0
	v_cmp_ne_u16_sdwa s[16:17], v13, v15 src0_sel:BYTE_0 src1_sel:DWORD
	s_andn2_b64 s[6:7], s[6:7], exec
	s_and_b64 s[16:17], s[16:17], exec
	s_or_b64 s[6:7], s[6:7], s[16:17]
	s_or_b64 exec, exec, s[14:15]
	s_and_saveexec_b64 s[14:15], s[6:7]
	s_cbranch_execnz .LBB298_359
	s_branch .LBB298_360
.LBB298_657:
	s_movk_i32 s4, 0x80
	v_cmp_eq_u16_sdwa s[14:15], v1, s4 src0_sel:BYTE_0 src1_sel:DWORD
	s_mov_b64 s[4:5], -1
	s_and_saveexec_b64 s[12:13], s[14:15]
; %bb.658:
	s_xor_b64 s[4:5], exec, -1
; %bb.659:
	s_or_b64 exec, exec, s[12:13]
	s_and_b64 s[4:5], s[4:5], exec
                                        ; implicit-def: $vgpr1
	s_or_saveexec_b64 s[6:7], s[6:7]
	v_mov_b32_e32 v13, 0x7f800001
	s_xor_b64 exec, exec, s[6:7]
	s_cbranch_execz .LBB298_383
.LBB298_660:
	v_mov_b32_e32 v13, 0
	v_cmp_ne_u16_sdwa s[12:13], v1, v13 src0_sel:BYTE_0 src1_sel:DWORD
	s_andn2_b64 s[4:5], s[4:5], exec
	s_and_b64 s[12:13], s[12:13], exec
	s_or_b64 s[4:5], s[4:5], s[12:13]
	s_or_b64 exec, exec, s[6:7]
	s_and_saveexec_b64 s[6:7], s[4:5]
	s_cbranch_execnz .LBB298_384
	s_branch .LBB298_385
.LBB298_661:
	s_movk_i32 s4, 0x80
	v_cmp_eq_u16_sdwa s[14:15], v11, s4 src0_sel:BYTE_0 src1_sel:DWORD
	s_mov_b64 s[4:5], -1
	s_and_saveexec_b64 s[12:13], s[14:15]
; %bb.662:
	s_xor_b64 s[4:5], exec, -1
; %bb.663:
	s_or_b64 exec, exec, s[12:13]
	s_and_b64 s[4:5], s[4:5], exec
	s_or_saveexec_b64 s[6:7], s[6:7]
	v_mov_b32_e32 v1, 0x7f800001
	s_xor_b64 exec, exec, s[6:7]
	s_cbranch_execz .LBB298_387
.LBB298_664:
	v_mov_b32_e32 v1, 0
	v_cmp_ne_u16_sdwa s[12:13], v11, v1 src0_sel:BYTE_0 src1_sel:DWORD
	s_andn2_b64 s[4:5], s[4:5], exec
	s_and_b64 s[12:13], s[12:13], exec
	s_or_b64 s[4:5], s[4:5], s[12:13]
	s_or_b64 exec, exec, s[6:7]
	s_and_saveexec_b64 s[6:7], s[4:5]
	s_cbranch_execnz .LBB298_388
	s_branch .LBB298_389
.LBB298_665:
	s_movk_i32 s4, 0x80
	v_cmp_eq_u16_sdwa s[16:17], v1, s4 src0_sel:BYTE_0 src1_sel:DWORD
	s_mov_b64 s[4:5], -1
	s_and_saveexec_b64 s[14:15], s[16:17]
; %bb.666:
	s_xor_b64 s[4:5], exec, -1
; %bb.667:
	s_or_b64 exec, exec, s[14:15]
	s_and_b64 s[4:5], s[4:5], exec
                                        ; implicit-def: $vgpr1
	s_or_saveexec_b64 s[12:13], s[12:13]
	v_mov_b32_e32 v13, 0x7f800001
	s_xor_b64 exec, exec, s[12:13]
	s_cbranch_execz .LBB298_393
.LBB298_668:
	v_mov_b32_e32 v13, 0
	v_cmp_ne_u16_sdwa s[14:15], v1, v13 src0_sel:BYTE_0 src1_sel:DWORD
	s_andn2_b64 s[4:5], s[4:5], exec
	s_and_b64 s[14:15], s[14:15], exec
	s_or_b64 s[4:5], s[4:5], s[14:15]
	s_or_b64 exec, exec, s[12:13]
	s_and_saveexec_b64 s[12:13], s[4:5]
	s_cbranch_execnz .LBB298_394
	s_branch .LBB298_395
.LBB298_669:
	s_movk_i32 s4, 0x80
	v_cmp_eq_u16_sdwa s[16:17], v11, s4 src0_sel:BYTE_0 src1_sel:DWORD
	s_mov_b64 s[4:5], -1
	s_and_saveexec_b64 s[14:15], s[16:17]
; %bb.670:
	s_xor_b64 s[4:5], exec, -1
; %bb.671:
	s_or_b64 exec, exec, s[14:15]
	s_and_b64 s[4:5], s[4:5], exec
	s_or_saveexec_b64 s[12:13], s[12:13]
	v_mov_b32_e32 v1, 0x7f800001
	s_xor_b64 exec, exec, s[12:13]
	s_cbranch_execz .LBB298_397
.LBB298_672:
	v_mov_b32_e32 v1, 0
	v_cmp_ne_u16_sdwa s[14:15], v11, v1 src0_sel:BYTE_0 src1_sel:DWORD
	s_andn2_b64 s[4:5], s[4:5], exec
	s_and_b64 s[14:15], s[14:15], exec
	s_or_b64 s[4:5], s[4:5], s[14:15]
	s_or_b64 exec, exec, s[12:13]
	s_and_saveexec_b64 s[12:13], s[4:5]
	s_cbranch_execnz .LBB298_398
	s_branch .LBB298_399
.Lfunc_end298:
	.size	_ZN2at6native25elementwise_kernel_helperILb0ENS0_13AUnaryFunctorIN3c1015Float8_e4m3fnuzES4_bNS0_12_GLOBAL__N_116CompareEqFunctorIS4_EEEENS0_6memory8policies11unroll_baseILi256ESt5arrayIPcLm2EE23TrivialOffsetCalculatorILi1EjESG_NS9_15LoadWithoutCastENS9_16StoreWithoutCastELi16ELi1EEEEEvT0_T1_, .Lfunc_end298-_ZN2at6native25elementwise_kernel_helperILb0ENS0_13AUnaryFunctorIN3c1015Float8_e4m3fnuzES4_bNS0_12_GLOBAL__N_116CompareEqFunctorIS4_EEEENS0_6memory8policies11unroll_baseILi256ESt5arrayIPcLm2EE23TrivialOffsetCalculatorILi1EjESG_NS9_15LoadWithoutCastENS9_16StoreWithoutCastELi16ELi1EEEEEvT0_T1_
                                        ; -- End function
	.set .L_ZN2at6native25elementwise_kernel_helperILb0ENS0_13AUnaryFunctorIN3c1015Float8_e4m3fnuzES4_bNS0_12_GLOBAL__N_116CompareEqFunctorIS4_EEEENS0_6memory8policies11unroll_baseILi256ESt5arrayIPcLm2EE23TrivialOffsetCalculatorILi1EjESG_NS9_15LoadWithoutCastENS9_16StoreWithoutCastELi16ELi1EEEEEvT0_T1_.num_vgpr, 32
	.set .L_ZN2at6native25elementwise_kernel_helperILb0ENS0_13AUnaryFunctorIN3c1015Float8_e4m3fnuzES4_bNS0_12_GLOBAL__N_116CompareEqFunctorIS4_EEEENS0_6memory8policies11unroll_baseILi256ESt5arrayIPcLm2EE23TrivialOffsetCalculatorILi1EjESG_NS9_15LoadWithoutCastENS9_16StoreWithoutCastELi16ELi1EEEEEvT0_T1_.num_agpr, 0
	.set .L_ZN2at6native25elementwise_kernel_helperILb0ENS0_13AUnaryFunctorIN3c1015Float8_e4m3fnuzES4_bNS0_12_GLOBAL__N_116CompareEqFunctorIS4_EEEENS0_6memory8policies11unroll_baseILi256ESt5arrayIPcLm2EE23TrivialOffsetCalculatorILi1EjESG_NS9_15LoadWithoutCastENS9_16StoreWithoutCastELi16ELi1EEEEEvT0_T1_.numbered_sgpr, 57
	.set .L_ZN2at6native25elementwise_kernel_helperILb0ENS0_13AUnaryFunctorIN3c1015Float8_e4m3fnuzES4_bNS0_12_GLOBAL__N_116CompareEqFunctorIS4_EEEENS0_6memory8policies11unroll_baseILi256ESt5arrayIPcLm2EE23TrivialOffsetCalculatorILi1EjESG_NS9_15LoadWithoutCastENS9_16StoreWithoutCastELi16ELi1EEEEEvT0_T1_.num_named_barrier, 0
	.set .L_ZN2at6native25elementwise_kernel_helperILb0ENS0_13AUnaryFunctorIN3c1015Float8_e4m3fnuzES4_bNS0_12_GLOBAL__N_116CompareEqFunctorIS4_EEEENS0_6memory8policies11unroll_baseILi256ESt5arrayIPcLm2EE23TrivialOffsetCalculatorILi1EjESG_NS9_15LoadWithoutCastENS9_16StoreWithoutCastELi16ELi1EEEEEvT0_T1_.private_seg_size, 0
	.set .L_ZN2at6native25elementwise_kernel_helperILb0ENS0_13AUnaryFunctorIN3c1015Float8_e4m3fnuzES4_bNS0_12_GLOBAL__N_116CompareEqFunctorIS4_EEEENS0_6memory8policies11unroll_baseILi256ESt5arrayIPcLm2EE23TrivialOffsetCalculatorILi1EjESG_NS9_15LoadWithoutCastENS9_16StoreWithoutCastELi16ELi1EEEEEvT0_T1_.uses_vcc, 1
	.set .L_ZN2at6native25elementwise_kernel_helperILb0ENS0_13AUnaryFunctorIN3c1015Float8_e4m3fnuzES4_bNS0_12_GLOBAL__N_116CompareEqFunctorIS4_EEEENS0_6memory8policies11unroll_baseILi256ESt5arrayIPcLm2EE23TrivialOffsetCalculatorILi1EjESG_NS9_15LoadWithoutCastENS9_16StoreWithoutCastELi16ELi1EEEEEvT0_T1_.uses_flat_scratch, 0
	.set .L_ZN2at6native25elementwise_kernel_helperILb0ENS0_13AUnaryFunctorIN3c1015Float8_e4m3fnuzES4_bNS0_12_GLOBAL__N_116CompareEqFunctorIS4_EEEENS0_6memory8policies11unroll_baseILi256ESt5arrayIPcLm2EE23TrivialOffsetCalculatorILi1EjESG_NS9_15LoadWithoutCastENS9_16StoreWithoutCastELi16ELi1EEEEEvT0_T1_.has_dyn_sized_stack, 0
	.set .L_ZN2at6native25elementwise_kernel_helperILb0ENS0_13AUnaryFunctorIN3c1015Float8_e4m3fnuzES4_bNS0_12_GLOBAL__N_116CompareEqFunctorIS4_EEEENS0_6memory8policies11unroll_baseILi256ESt5arrayIPcLm2EE23TrivialOffsetCalculatorILi1EjESG_NS9_15LoadWithoutCastENS9_16StoreWithoutCastELi16ELi1EEEEEvT0_T1_.has_recursion, 0
	.set .L_ZN2at6native25elementwise_kernel_helperILb0ENS0_13AUnaryFunctorIN3c1015Float8_e4m3fnuzES4_bNS0_12_GLOBAL__N_116CompareEqFunctorIS4_EEEENS0_6memory8policies11unroll_baseILi256ESt5arrayIPcLm2EE23TrivialOffsetCalculatorILi1EjESG_NS9_15LoadWithoutCastENS9_16StoreWithoutCastELi16ELi1EEEEEvT0_T1_.has_indirect_call, 0
	.section	.AMDGPU.csdata,"",@progbits
; Function info:
; codeLenInByte = 17528
; TotalNumSgprs: 61
; NumVgprs: 32
; ScratchSize: 0
; MemoryBound: 0
	.section	.text._ZN2at6native29vectorized_elementwise_kernelILi16ENS0_13AUnaryFunctorIN3c1015Float8_e4m3fnuzES4_bNS0_12_GLOBAL__N_116CompareEqFunctorIS4_EEEESt5arrayIPcLm2EEEEviT0_T1_,"axG",@progbits,_ZN2at6native29vectorized_elementwise_kernelILi16ENS0_13AUnaryFunctorIN3c1015Float8_e4m3fnuzES4_bNS0_12_GLOBAL__N_116CompareEqFunctorIS4_EEEESt5arrayIPcLm2EEEEviT0_T1_,comdat
	.globl	_ZN2at6native29vectorized_elementwise_kernelILi16ENS0_13AUnaryFunctorIN3c1015Float8_e4m3fnuzES4_bNS0_12_GLOBAL__N_116CompareEqFunctorIS4_EEEESt5arrayIPcLm2EEEEviT0_T1_ ; -- Begin function _ZN2at6native29vectorized_elementwise_kernelILi16ENS0_13AUnaryFunctorIN3c1015Float8_e4m3fnuzES4_bNS0_12_GLOBAL__N_116CompareEqFunctorIS4_EEEESt5arrayIPcLm2EEEEviT0_T1_
	.p2align	8
	.type	_ZN2at6native29vectorized_elementwise_kernelILi16ENS0_13AUnaryFunctorIN3c1015Float8_e4m3fnuzES4_bNS0_12_GLOBAL__N_116CompareEqFunctorIS4_EEEESt5arrayIPcLm2EEEEviT0_T1_,@function
_ZN2at6native29vectorized_elementwise_kernelILi16ENS0_13AUnaryFunctorIN3c1015Float8_e4m3fnuzES4_bNS0_12_GLOBAL__N_116CompareEqFunctorIS4_EEEESt5arrayIPcLm2EEEEviT0_T1_: ; @_ZN2at6native29vectorized_elementwise_kernelILi16ENS0_13AUnaryFunctorIN3c1015Float8_e4m3fnuzES4_bNS0_12_GLOBAL__N_116CompareEqFunctorIS4_EEEESt5arrayIPcLm2EEEEviT0_T1_
; %bb.0:
	s_load_dwordx8 s[12:19], s[4:5], 0x0
	s_add_u32 s0, s0, s7
	s_addc_u32 s1, s1, 0
	s_waitcnt lgkmcnt(0)
	s_lshl_b32 s15, s6, 12
	s_mov_b64 s[4:5], -1
	s_sub_i32 s7, s12, s15
	s_cmpk_gt_i32 s7, 0xfff
	s_mov_b32 s32, 0
	s_cbranch_scc1 .LBB299_3
; %bb.1:
	s_and_b64 vcc, exec, s[4:5]
	s_cbranch_vccnz .LBB299_576
.LBB299_2:
	s_endpgm
.LBB299_3:
	s_ashr_i32 s12, s15, 31
	s_add_u32 s4, s18, s15
	s_addc_u32 s5, s19, s12
	v_lshlrev_b32_e32 v5, 4, v0
	global_load_dwordx4 v[1:4], v5, s[4:5]
	s_cmp_lg_u32 s13, 0
	s_cselect_b64 s[10:11], -1, 0
	s_and_b32 s4, s14, 7
	s_flbit_i32_b32 s8, s4
	s_min_u32 s8, s8, 32
	s_sub_i32 s9, s8, 28
	s_lshl_b32 s9, s14, s9
	s_bfe_u32 s5, s14, 0x40003
	s_sub_i32 s8, 29, s8
	s_and_b32 s9, s9, 7
	s_cmp_eq_u32 s5, 0
	s_cselect_b32 s5, s8, s5
	s_cselect_b32 s4, s9, s4
	s_lshl_b32 s8, s14, 24
	s_lshl_b32 s5, s5, 23
	s_and_b32 s8, s8, 0x80000000
	s_add_i32 s5, s5, 0x3b800000
	s_lshl_b32 s4, s4, 20
	s_or_b32 s5, s8, s5
	s_or_b32 s33, s5, s4
	s_and_b64 vcc, exec, s[10:11]
	s_cbranch_vccz .LBB299_8
; %bb.4:
	s_and_b32 s20, s14, 0xff
	s_cmpk_lt_i32 s20, 0x80
	s_cbranch_scc1 .LBB299_9
; %bb.5:
	s_and_b32 s4, 0xffff, s20
	s_cmpk_eq_i32 s4, 0x80
	s_mov_b64 s[4:5], -1
	s_cbranch_scc0 .LBB299_7
; %bb.6:
	s_mov_b64 s[4:5], 0
.LBB299_7:
	s_mov_b32 s22, 0x7f800001
	s_branch .LBB299_11
.LBB299_8:
                                        ; implicit-def: $sgpr8_sgpr9
	s_cbranch_execnz .LBB299_18
	s_branch .LBB299_35
.LBB299_9:
	s_mov_b64 s[4:5], 0
	s_mov_b32 s22, 0x7f800001
	s_cbranch_execz .LBB299_11
; %bb.10:
	s_and_b32 s4, 0xffff, s20
	s_cmp_lg_u32 s4, 0
	s_mov_b32 s22, 0
	s_cselect_b64 s[4:5], -1, 0
.LBB299_11:
	s_andn2_b64 vcc, exec, s[4:5]
	s_cbranch_vccnz .LBB299_13
; %bb.12:
	s_mov_b32 s22, s33
.LBB299_13:
	s_movk_i32 s4, 0x7f
	s_waitcnt vmcnt(0)
	v_cmp_gt_i16_sdwa s[8:9], v1, s4 src0_sel:BYTE_0 src1_sel:DWORD
	s_mov_b64 s[4:5], 0
	s_and_saveexec_b64 s[20:21], s[8:9]
	s_xor_b64 s[8:9], exec, s[20:21]
	s_cbranch_execnz .LBB299_22
; %bb.14:
	s_or_saveexec_b64 s[8:9], s[8:9]
	v_mov_b32_e32 v6, 0x7f800001
	s_xor_b64 exec, exec, s[8:9]
	s_cbranch_execnz .LBB299_25
.LBB299_15:
	s_or_b64 exec, exec, s[8:9]
	s_and_saveexec_b64 s[8:9], s[4:5]
	s_cbranch_execz .LBB299_17
.LBB299_16:
	v_and_b32_e32 v8, 7, v1
	v_ffbh_u32_e32 v9, v8
	v_min_u32_e32 v9, 32, v9
	v_lshrrev_b16_e32 v7, 3, v1
	v_subrev_u32_e32 v10, 28, v9
	v_and_b32_e32 v7, 15, v7
	v_lshlrev_b32_e32 v10, v10, v1
	v_sub_u32_e32 v9, 29, v9
	v_and_b32_e32 v10, 7, v10
	v_cmp_eq_u32_e32 vcc, 0, v7
	v_lshlrev_b32_e32 v6, 24, v1
	v_cndmask_b32_e32 v7, v7, v9, vcc
	v_cndmask_b32_e32 v8, v8, v10, vcc
	v_mov_b32_e32 v9, 0x3b800000
	v_lshlrev_b32_e32 v8, 20, v8
	v_and_b32_e32 v6, 0x80000000, v6
	v_lshl_add_u32 v7, v7, 23, v9
	v_or3_b32 v6, v6, v7, v8
.LBB299_17:
	s_or_b64 exec, exec, s[8:9]
	v_cmp_neq_f32_e64 s[8:9], s22, v6
	s_branch .LBB299_35
.LBB299_18:
	s_and_b32 s20, s14, 0xff
	s_cmpk_lt_i32 s20, 0x80
	s_cbranch_scc1 .LBB299_26
; %bb.19:
	s_and_b32 s4, 0xffff, s20
	s_cmpk_eq_i32 s4, 0x80
	s_mov_b64 s[4:5], -1
	s_cbranch_scc0 .LBB299_21
; %bb.20:
	s_mov_b64 s[4:5], 0
.LBB299_21:
	s_mov_b32 s22, 0x7f800001
	s_branch .LBB299_28
.LBB299_22:
	s_movk_i32 s4, 0x80
	v_cmp_eq_u16_sdwa s[24:25], v1, s4 src0_sel:BYTE_0 src1_sel:DWORD
	s_mov_b64 s[4:5], -1
	s_and_saveexec_b64 s[20:21], s[24:25]
; %bb.23:
	s_xor_b64 s[4:5], exec, -1
; %bb.24:
	s_or_b64 exec, exec, s[20:21]
	s_and_b64 s[4:5], s[4:5], exec
	s_or_saveexec_b64 s[8:9], s[8:9]
	v_mov_b32_e32 v6, 0x7f800001
	s_xor_b64 exec, exec, s[8:9]
	s_cbranch_execz .LBB299_15
.LBB299_25:
	v_mov_b32_e32 v6, 0
	v_cmp_ne_u16_sdwa s[20:21], v1, v6 src0_sel:BYTE_0 src1_sel:DWORD
	s_andn2_b64 s[4:5], s[4:5], exec
	s_and_b64 s[20:21], s[20:21], exec
	s_or_b64 s[4:5], s[4:5], s[20:21]
	s_or_b64 exec, exec, s[8:9]
	s_and_saveexec_b64 s[8:9], s[4:5]
	s_cbranch_execnz .LBB299_16
	s_branch .LBB299_17
.LBB299_26:
	s_mov_b64 s[4:5], 0
	s_mov_b32 s22, 0x7f800001
	s_cbranch_execz .LBB299_28
; %bb.27:
	s_and_b32 s4, 0xffff, s20
	s_cmp_lg_u32 s4, 0
	s_mov_b32 s22, 0
	s_cselect_b64 s[4:5], -1, 0
.LBB299_28:
	s_andn2_b64 vcc, exec, s[4:5]
	s_cbranch_vccnz .LBB299_30
; %bb.29:
	s_mov_b32 s22, s33
.LBB299_30:
	s_movk_i32 s4, 0x7f
	s_waitcnt vmcnt(0)
	v_cmp_gt_i16_sdwa s[8:9], v1, s4 src0_sel:BYTE_0 src1_sel:DWORD
	s_mov_b64 s[4:5], 0
	s_and_saveexec_b64 s[20:21], s[8:9]
	s_xor_b64 s[8:9], exec, s[20:21]
	s_cbranch_execnz .LBB299_310
; %bb.31:
	s_or_saveexec_b64 s[8:9], s[8:9]
	v_mov_b32_e32 v6, 0x7f800001
	s_xor_b64 exec, exec, s[8:9]
	s_cbranch_execnz .LBB299_313
.LBB299_32:
	s_or_b64 exec, exec, s[8:9]
	s_and_saveexec_b64 s[8:9], s[4:5]
	s_cbranch_execz .LBB299_34
.LBB299_33:
	v_and_b32_e32 v8, 7, v1
	v_ffbh_u32_e32 v9, v8
	v_min_u32_e32 v9, 32, v9
	v_lshrrev_b16_e32 v7, 3, v1
	v_subrev_u32_e32 v10, 28, v9
	v_and_b32_e32 v7, 15, v7
	v_lshlrev_b32_e32 v10, v10, v1
	v_sub_u32_e32 v9, 29, v9
	v_and_b32_e32 v10, 7, v10
	v_cmp_eq_u32_e32 vcc, 0, v7
	v_lshlrev_b32_e32 v6, 24, v1
	v_cndmask_b32_e32 v7, v7, v9, vcc
	v_cndmask_b32_e32 v8, v8, v10, vcc
	v_mov_b32_e32 v9, 0x3b800000
	v_lshlrev_b32_e32 v8, 20, v8
	v_and_b32_e32 v6, 0x80000000, v6
	v_lshl_add_u32 v7, v7, 23, v9
	v_or3_b32 v6, v6, v7, v8
.LBB299_34:
	s_or_b64 exec, exec, s[8:9]
	v_cmp_eq_f32_e64 s[8:9], s22, v6
.LBB299_35:
	v_cndmask_b32_e64 v10, 0, 1, s[10:11]
	s_waitcnt vmcnt(0)
	v_lshrrev_b32_e32 v6, 8, v4
	v_lshrrev_b32_e32 v7, 8, v3
	;; [unrolled: 1-line block ×4, first 2 shown]
	v_cmp_ne_u32_e64 s[4:5], 1, v10
	s_andn2_b64 vcc, exec, s[10:11]
	s_cbranch_vccnz .LBB299_40
; %bb.36:
	s_and_b32 s22, s14, 0xff
	s_cmpk_lt_i32 s22, 0x80
	s_cbranch_scc1 .LBB299_46
; %bb.37:
	s_and_b32 s10, 0xffff, s22
	s_cmpk_eq_i32 s10, 0x80
	s_mov_b64 s[10:11], -1
	s_cbranch_scc0 .LBB299_39
; %bb.38:
	s_mov_b64 s[10:11], 0
.LBB299_39:
	s_mov_b32 s24, 0x7f800001
	s_branch .LBB299_48
.LBB299_40:
                                        ; implicit-def: $sgpr10_sgpr11
	s_cbranch_execnz .LBB299_55
.LBB299_41:
	s_and_b64 vcc, exec, s[4:5]
	s_cbranch_vccnz .LBB299_323
.LBB299_42:
	s_and_b32 s24, s14, 0xff
	s_cmpk_lt_i32 s24, 0x80
	s_cbranch_scc1 .LBB299_59
; %bb.43:
	s_and_b32 s20, 0xffff, s24
	s_cmpk_eq_i32 s20, 0x80
	s_mov_b64 s[20:21], -1
	s_cbranch_scc0 .LBB299_45
; %bb.44:
	s_mov_b64 s[20:21], 0
.LBB299_45:
	s_mov_b32 s26, 0x7f800001
	s_branch .LBB299_61
.LBB299_46:
	s_mov_b64 s[10:11], 0
	s_mov_b32 s24, 0x7f800001
	s_cbranch_execz .LBB299_48
; %bb.47:
	s_and_b32 s10, 0xffff, s22
	s_cmp_lg_u32 s10, 0
	s_mov_b32 s24, 0
	s_cselect_b64 s[10:11], -1, 0
.LBB299_48:
	s_andn2_b64 vcc, exec, s[10:11]
	s_cbranch_vccnz .LBB299_50
; %bb.49:
	s_mov_b32 s24, s33
.LBB299_50:
	s_movk_i32 s10, 0x7f
	v_cmp_gt_i16_sdwa s[20:21], v9, s10 src0_sel:BYTE_0 src1_sel:DWORD
	s_mov_b64 s[10:11], 0
	s_and_saveexec_b64 s[22:23], s[20:21]
	s_xor_b64 s[20:21], exec, s[22:23]
	s_cbranch_execnz .LBB299_73
; %bb.51:
	s_or_saveexec_b64 s[20:21], s[20:21]
	v_mov_b32_e32 v10, 0x7f800001
	s_xor_b64 exec, exec, s[20:21]
	s_cbranch_execnz .LBB299_76
.LBB299_52:
	s_or_b64 exec, exec, s[20:21]
	s_and_saveexec_b64 s[20:21], s[10:11]
	s_cbranch_execz .LBB299_54
.LBB299_53:
	v_and_b32_e32 v12, 7, v9
	v_ffbh_u32_e32 v13, v12
	v_min_u32_e32 v13, 32, v13
	v_lshrrev_b16_e32 v11, 3, v9
	v_subrev_u32_e32 v14, 28, v13
	v_and_b32_e32 v11, 15, v11
	v_lshlrev_b32_e32 v14, v14, v9
	v_sub_u32_e32 v13, 29, v13
	v_and_b32_e32 v14, 7, v14
	v_cmp_eq_u32_e32 vcc, 0, v11
	v_lshlrev_b32_e32 v10, 24, v9
	v_cndmask_b32_e32 v11, v11, v13, vcc
	v_cndmask_b32_e32 v12, v12, v14, vcc
	v_mov_b32_e32 v13, 0x3b800000
	v_lshlrev_b32_e32 v12, 20, v12
	v_and_b32_e32 v10, 0x80000000, v10
	v_lshl_add_u32 v11, v11, 23, v13
	v_or3_b32 v10, v10, v11, v12
.LBB299_54:
	s_or_b64 exec, exec, s[20:21]
	v_cmp_neq_f32_e64 s[10:11], s24, v10
	s_branch .LBB299_41
.LBB299_55:
	s_and_b32 s22, s14, 0xff
	s_cmpk_lt_i32 s22, 0x80
	s_cbranch_scc1 .LBB299_314
; %bb.56:
	s_and_b32 s10, 0xffff, s22
	s_cmpk_eq_i32 s10, 0x80
	s_mov_b64 s[10:11], -1
	s_cbranch_scc0 .LBB299_58
; %bb.57:
	s_mov_b64 s[10:11], 0
.LBB299_58:
	s_mov_b32 s24, 0x7f800001
	s_branch .LBB299_316
.LBB299_59:
	s_mov_b64 s[20:21], 0
	s_mov_b32 s26, 0x7f800001
	s_cbranch_execz .LBB299_61
; %bb.60:
	s_and_b32 s20, 0xffff, s24
	s_cmp_lg_u32 s20, 0
	s_mov_b32 s26, 0
	s_cselect_b64 s[20:21], -1, 0
.LBB299_61:
	s_andn2_b64 vcc, exec, s[20:21]
	s_cbranch_vccnz .LBB299_63
; %bb.62:
	s_mov_b32 s26, s33
.LBB299_63:
	s_movk_i32 s20, 0xff
	v_and_b32_sdwa v9, v1, s20 dst_sel:DWORD dst_unused:UNUSED_PAD src0_sel:WORD_1 src1_sel:DWORD
	s_movk_i32 s20, 0x7f
	v_cmp_lt_i16_e32 vcc, s20, v9
	s_mov_b64 s[20:21], 0
	s_and_saveexec_b64 s[22:23], vcc
	s_xor_b64 s[22:23], exec, s[22:23]
	s_cbranch_execnz .LBB299_77
; %bb.64:
	s_or_saveexec_b64 s[22:23], s[22:23]
	v_mov_b32_e32 v10, 0x7f800001
	s_xor_b64 exec, exec, s[22:23]
	s_cbranch_execnz .LBB299_80
.LBB299_65:
	s_or_b64 exec, exec, s[22:23]
	s_and_saveexec_b64 s[22:23], s[20:21]
	s_cbranch_execz .LBB299_67
.LBB299_66:
	v_mov_b32_e32 v11, 7
	v_and_b32_sdwa v11, v1, v11 dst_sel:DWORD dst_unused:UNUSED_PAD src0_sel:WORD_1 src1_sel:DWORD
	v_ffbh_u32_e32 v12, v11
	v_mov_b32_e32 v10, 3
	v_min_u32_e32 v12, 32, v12
	v_lshrrev_b16_sdwa v10, v10, v1 dst_sel:DWORD dst_unused:UNUSED_PAD src0_sel:DWORD src1_sel:WORD_1
	v_subrev_u32_e32 v13, 28, v12
	v_and_b32_e32 v10, 15, v10
	v_lshlrev_b32_sdwa v13, v13, v1 dst_sel:DWORD dst_unused:UNUSED_PAD src0_sel:DWORD src1_sel:WORD_1
	v_mov_b32_e32 v9, 24
	v_sub_u32_e32 v12, 29, v12
	v_and_b32_e32 v13, 7, v13
	v_cmp_eq_u32_e32 vcc, 0, v10
	v_lshlrev_b32_sdwa v9, v9, v1 dst_sel:DWORD dst_unused:UNUSED_PAD src0_sel:DWORD src1_sel:WORD_1
	v_cndmask_b32_e32 v10, v10, v12, vcc
	v_cndmask_b32_e32 v11, v11, v13, vcc
	v_mov_b32_e32 v12, 0x3b800000
	v_lshlrev_b32_e32 v11, 20, v11
	v_and_b32_e32 v9, 0x80000000, v9
	v_lshl_add_u32 v10, v10, 23, v12
	v_or3_b32 v10, v9, v10, v11
.LBB299_67:
	s_or_b64 exec, exec, s[22:23]
	v_cmp_neq_f32_e64 s[20:21], s26, v10
.LBB299_68:
	s_and_b64 vcc, exec, s[4:5]
	s_cbranch_vccnz .LBB299_341
.LBB299_69:
	s_and_b32 s26, s14, 0xff
	s_cmpk_lt_i32 s26, 0x80
	s_cbranch_scc1 .LBB299_81
; %bb.70:
	s_and_b32 s22, 0xffff, s26
	s_cmpk_eq_i32 s22, 0x80
	s_mov_b64 s[22:23], -1
	s_cbranch_scc0 .LBB299_72
; %bb.71:
	s_mov_b64 s[22:23], 0
.LBB299_72:
	s_mov_b32 s28, 0x7f800001
	s_branch .LBB299_83
.LBB299_73:
	s_movk_i32 s10, 0x80
	v_cmp_eq_u16_sdwa s[26:27], v9, s10 src0_sel:BYTE_0 src1_sel:DWORD
	s_mov_b64 s[10:11], -1
	s_and_saveexec_b64 s[22:23], s[26:27]
; %bb.74:
	s_xor_b64 s[10:11], exec, -1
; %bb.75:
	s_or_b64 exec, exec, s[22:23]
	s_and_b64 s[10:11], s[10:11], exec
	s_or_saveexec_b64 s[20:21], s[20:21]
	v_mov_b32_e32 v10, 0x7f800001
	s_xor_b64 exec, exec, s[20:21]
	s_cbranch_execz .LBB299_52
.LBB299_76:
	v_mov_b32_e32 v10, 0
	v_cmp_ne_u16_sdwa s[22:23], v9, v10 src0_sel:BYTE_0 src1_sel:DWORD
	s_andn2_b64 s[10:11], s[10:11], exec
	s_and_b64 s[22:23], s[22:23], exec
	s_or_b64 s[10:11], s[10:11], s[22:23]
	s_or_b64 exec, exec, s[20:21]
	s_and_saveexec_b64 s[20:21], s[10:11]
	s_cbranch_execnz .LBB299_53
	s_branch .LBB299_54
.LBB299_77:
	s_movk_i32 s20, 0x80
	v_cmp_eq_u16_e32 vcc, s20, v9
	s_mov_b64 s[20:21], -1
	s_and_saveexec_b64 s[24:25], vcc
; %bb.78:
	s_xor_b64 s[20:21], exec, -1
; %bb.79:
	s_or_b64 exec, exec, s[24:25]
	s_and_b64 s[20:21], s[20:21], exec
                                        ; implicit-def: $vgpr9
	s_or_saveexec_b64 s[22:23], s[22:23]
	v_mov_b32_e32 v10, 0x7f800001
	s_xor_b64 exec, exec, s[22:23]
	s_cbranch_execz .LBB299_65
.LBB299_80:
	v_cmp_ne_u16_e32 vcc, 0, v9
	s_andn2_b64 s[20:21], s[20:21], exec
	s_and_b64 s[24:25], vcc, exec
	v_mov_b32_e32 v10, 0
	s_or_b64 s[20:21], s[20:21], s[24:25]
	s_or_b64 exec, exec, s[22:23]
	s_and_saveexec_b64 s[22:23], s[20:21]
	s_cbranch_execnz .LBB299_66
	s_branch .LBB299_67
.LBB299_81:
	s_mov_b64 s[22:23], 0
	s_mov_b32 s28, 0x7f800001
	s_cbranch_execz .LBB299_83
; %bb.82:
	s_and_b32 s22, 0xffff, s26
	s_cmp_lg_u32 s22, 0
	s_mov_b32 s28, 0
	s_cselect_b64 s[22:23], -1, 0
.LBB299_83:
	s_andn2_b64 vcc, exec, s[22:23]
	s_cbranch_vccnz .LBB299_85
; %bb.84:
	s_mov_b32 s28, s33
.LBB299_85:
	s_movk_i32 s22, 0x7f
	v_cmp_gt_i16_sdwa s[24:25], v1, s22 src0_sel:BYTE_3 src1_sel:DWORD
	s_mov_b64 s[22:23], 0
	s_and_saveexec_b64 s[26:27], s[24:25]
	s_xor_b64 s[24:25], exec, s[26:27]
	s_cbranch_execnz .LBB299_95
; %bb.86:
	s_or_saveexec_b64 s[24:25], s[24:25]
	v_mov_b32_e32 v9, 0x7f800001
	s_xor_b64 exec, exec, s[24:25]
	s_cbranch_execnz .LBB299_98
.LBB299_87:
	s_or_b64 exec, exec, s[24:25]
	s_and_saveexec_b64 s[24:25], s[22:23]
	s_cbranch_execz .LBB299_89
.LBB299_88:
	s_mov_b32 s22, 0xffff
	v_and_b32_sdwa v10, s22, v1 dst_sel:DWORD dst_unused:UNUSED_PAD src0_sel:DWORD src1_sel:BYTE_3
	v_and_b32_e32 v11, 7, v10
	v_ffbh_u32_e32 v13, v11
	v_min_u32_e32 v13, 32, v13
	v_subrev_u32_e32 v14, 28, v13
	v_bfe_u32 v12, v10, 3, 4
	v_lshlrev_b32_e32 v10, v14, v10
	v_mov_b32_e32 v9, 24
	v_sub_u32_e32 v13, 29, v13
	v_and_b32_e32 v10, 7, v10
	v_cmp_eq_u32_e32 vcc, 0, v12
	v_lshlrev_b32_sdwa v9, v9, v1 dst_sel:DWORD dst_unused:UNUSED_PAD src0_sel:DWORD src1_sel:BYTE_3
	v_cndmask_b32_e32 v12, v12, v13, vcc
	v_cndmask_b32_e32 v10, v11, v10, vcc
	v_mov_b32_e32 v11, 0x3b800000
	v_lshlrev_b32_e32 v10, 20, v10
	v_and_b32_e32 v9, 0x80000000, v9
	v_lshl_add_u32 v11, v12, 23, v11
	v_or3_b32 v9, v9, v11, v10
.LBB299_89:
	s_or_b64 exec, exec, s[24:25]
	v_cmp_neq_f32_e64 s[22:23], s28, v9
.LBB299_90:
	s_and_b64 vcc, exec, s[4:5]
	s_cbranch_vccnz .LBB299_359
.LBB299_91:
	s_and_b32 s28, s14, 0xff
	s_cmpk_lt_i32 s28, 0x80
	s_cbranch_scc1 .LBB299_99
; %bb.92:
	s_and_b32 s24, 0xffff, s28
	s_cmpk_eq_i32 s24, 0x80
	s_mov_b64 s[24:25], -1
	s_cbranch_scc0 .LBB299_94
; %bb.93:
	s_mov_b64 s[24:25], 0
.LBB299_94:
	s_mov_b32 s30, 0x7f800001
	s_branch .LBB299_101
.LBB299_95:
	s_movk_i32 s22, 0x80
	v_cmp_eq_u16_sdwa s[30:31], v1, s22 src0_sel:BYTE_3 src1_sel:DWORD
	s_mov_b64 s[22:23], -1
	s_and_saveexec_b64 s[26:27], s[30:31]
; %bb.96:
	s_xor_b64 s[22:23], exec, -1
; %bb.97:
	s_or_b64 exec, exec, s[26:27]
	s_and_b64 s[22:23], s[22:23], exec
	s_or_saveexec_b64 s[24:25], s[24:25]
	v_mov_b32_e32 v9, 0x7f800001
	s_xor_b64 exec, exec, s[24:25]
	s_cbranch_execz .LBB299_87
.LBB299_98:
	v_mov_b32_e32 v9, 0
	v_cmp_ne_u16_sdwa s[26:27], v1, v9 src0_sel:BYTE_3 src1_sel:DWORD
	s_andn2_b64 s[22:23], s[22:23], exec
	s_and_b64 s[26:27], s[26:27], exec
	s_or_b64 s[22:23], s[22:23], s[26:27]
	s_or_b64 exec, exec, s[24:25]
	s_and_saveexec_b64 s[24:25], s[22:23]
	s_cbranch_execnz .LBB299_88
	s_branch .LBB299_89
.LBB299_99:
	s_mov_b64 s[24:25], 0
	s_mov_b32 s30, 0x7f800001
	s_cbranch_execz .LBB299_101
; %bb.100:
	s_and_b32 s24, 0xffff, s28
	s_cmp_lg_u32 s24, 0
	s_mov_b32 s30, 0
	s_cselect_b64 s[24:25], -1, 0
.LBB299_101:
	s_andn2_b64 vcc, exec, s[24:25]
	s_cbranch_vccnz .LBB299_103
; %bb.102:
	s_mov_b32 s30, s33
.LBB299_103:
	s_movk_i32 s24, 0x7f
	v_cmp_gt_i16_sdwa s[26:27], v2, s24 src0_sel:BYTE_0 src1_sel:DWORD
	s_mov_b64 s[24:25], 0
	s_and_saveexec_b64 s[28:29], s[26:27]
	s_xor_b64 s[26:27], exec, s[28:29]
	s_cbranch_execnz .LBB299_113
; %bb.104:
	s_or_saveexec_b64 s[26:27], s[26:27]
	v_mov_b32_e32 v1, 0x7f800001
	s_xor_b64 exec, exec, s[26:27]
	s_cbranch_execnz .LBB299_116
.LBB299_105:
	s_or_b64 exec, exec, s[26:27]
	s_and_saveexec_b64 s[26:27], s[24:25]
	s_cbranch_execz .LBB299_107
.LBB299_106:
	v_and_b32_e32 v10, 7, v2
	v_ffbh_u32_e32 v11, v10
	v_min_u32_e32 v11, 32, v11
	v_lshrrev_b16_e32 v9, 3, v2
	v_subrev_u32_e32 v12, 28, v11
	v_and_b32_e32 v9, 15, v9
	v_lshlrev_b32_e32 v12, v12, v2
	v_sub_u32_e32 v11, 29, v11
	v_and_b32_e32 v12, 7, v12
	v_cmp_eq_u32_e32 vcc, 0, v9
	v_lshlrev_b32_e32 v1, 24, v2
	v_cndmask_b32_e32 v9, v9, v11, vcc
	v_cndmask_b32_e32 v10, v10, v12, vcc
	v_mov_b32_e32 v11, 0x3b800000
	v_lshlrev_b32_e32 v10, 20, v10
	v_and_b32_e32 v1, 0x80000000, v1
	v_lshl_add_u32 v9, v9, 23, v11
	v_or3_b32 v1, v1, v9, v10
.LBB299_107:
	s_or_b64 exec, exec, s[26:27]
	v_cmp_neq_f32_e64 s[24:25], s30, v1
.LBB299_108:
	s_and_b64 vcc, exec, s[4:5]
	s_cbranch_vccnz .LBB299_377
.LBB299_109:
	s_and_b32 s30, s14, 0xff
	s_cmpk_lt_i32 s30, 0x80
	s_cbranch_scc1 .LBB299_117
; %bb.110:
	s_and_b32 s26, 0xffff, s30
	s_cmpk_eq_i32 s26, 0x80
	s_mov_b64 s[26:27], -1
	s_cbranch_scc0 .LBB299_112
; %bb.111:
	s_mov_b64 s[26:27], 0
.LBB299_112:
	s_mov_b32 s34, 0x7f800001
	s_branch .LBB299_119
.LBB299_113:
	s_movk_i32 s24, 0x80
	v_cmp_eq_u16_sdwa s[34:35], v2, s24 src0_sel:BYTE_0 src1_sel:DWORD
	s_mov_b64 s[24:25], -1
	s_and_saveexec_b64 s[28:29], s[34:35]
; %bb.114:
	s_xor_b64 s[24:25], exec, -1
; %bb.115:
	s_or_b64 exec, exec, s[28:29]
	s_and_b64 s[24:25], s[24:25], exec
	s_or_saveexec_b64 s[26:27], s[26:27]
	v_mov_b32_e32 v1, 0x7f800001
	s_xor_b64 exec, exec, s[26:27]
	s_cbranch_execz .LBB299_105
.LBB299_116:
	v_mov_b32_e32 v1, 0
	v_cmp_ne_u16_sdwa s[28:29], v2, v1 src0_sel:BYTE_0 src1_sel:DWORD
	s_andn2_b64 s[24:25], s[24:25], exec
	s_and_b64 s[28:29], s[28:29], exec
	s_or_b64 s[24:25], s[24:25], s[28:29]
	s_or_b64 exec, exec, s[26:27]
	s_and_saveexec_b64 s[26:27], s[24:25]
	s_cbranch_execnz .LBB299_106
	s_branch .LBB299_107
.LBB299_117:
	s_mov_b64 s[26:27], 0
	s_mov_b32 s34, 0x7f800001
	s_cbranch_execz .LBB299_119
; %bb.118:
	s_and_b32 s26, 0xffff, s30
	s_cmp_lg_u32 s26, 0
	s_mov_b32 s34, 0
	s_cselect_b64 s[26:27], -1, 0
.LBB299_119:
	s_andn2_b64 vcc, exec, s[26:27]
	s_cbranch_vccnz .LBB299_121
; %bb.120:
	s_mov_b32 s34, s33
.LBB299_121:
	s_movk_i32 s26, 0x7f
	v_cmp_gt_i16_sdwa s[28:29], v8, s26 src0_sel:BYTE_0 src1_sel:DWORD
	s_mov_b64 s[26:27], 0
	s_and_saveexec_b64 s[30:31], s[28:29]
	s_xor_b64 s[28:29], exec, s[30:31]
	s_cbranch_execnz .LBB299_131
; %bb.122:
	s_or_saveexec_b64 s[28:29], s[28:29]
	v_mov_b32_e32 v1, 0x7f800001
	s_xor_b64 exec, exec, s[28:29]
	s_cbranch_execnz .LBB299_134
.LBB299_123:
	s_or_b64 exec, exec, s[28:29]
	s_and_saveexec_b64 s[28:29], s[26:27]
	s_cbranch_execz .LBB299_125
.LBB299_124:
	v_and_b32_e32 v10, 7, v8
	v_ffbh_u32_e32 v11, v10
	v_min_u32_e32 v11, 32, v11
	v_lshrrev_b16_e32 v9, 3, v8
	v_subrev_u32_e32 v12, 28, v11
	v_and_b32_e32 v9, 15, v9
	v_lshlrev_b32_e32 v12, v12, v8
	v_sub_u32_e32 v11, 29, v11
	v_and_b32_e32 v12, 7, v12
	v_cmp_eq_u32_e32 vcc, 0, v9
	v_lshlrev_b32_e32 v1, 24, v8
	v_cndmask_b32_e32 v9, v9, v11, vcc
	v_cndmask_b32_e32 v10, v10, v12, vcc
	v_mov_b32_e32 v11, 0x3b800000
	v_lshlrev_b32_e32 v10, 20, v10
	v_and_b32_e32 v1, 0x80000000, v1
	v_lshl_add_u32 v9, v9, 23, v11
	v_or3_b32 v1, v1, v9, v10
.LBB299_125:
	s_or_b64 exec, exec, s[28:29]
	v_cmp_neq_f32_e64 s[26:27], s34, v1
.LBB299_126:
	s_and_b64 vcc, exec, s[4:5]
	s_cbranch_vccnz .LBB299_395
.LBB299_127:
	s_and_b32 s34, s14, 0xff
	s_cmpk_lt_i32 s34, 0x80
	s_cbranch_scc1 .LBB299_135
; %bb.128:
	s_and_b32 s28, 0xffff, s34
	s_cmpk_eq_i32 s28, 0x80
	s_mov_b64 s[28:29], -1
	s_cbranch_scc0 .LBB299_130
; %bb.129:
	s_mov_b64 s[28:29], 0
.LBB299_130:
	s_mov_b32 s36, 0x7f800001
	s_branch .LBB299_137
.LBB299_131:
	s_movk_i32 s26, 0x80
	v_cmp_eq_u16_sdwa s[36:37], v8, s26 src0_sel:BYTE_0 src1_sel:DWORD
	s_mov_b64 s[26:27], -1
	s_and_saveexec_b64 s[30:31], s[36:37]
; %bb.132:
	s_xor_b64 s[26:27], exec, -1
; %bb.133:
	s_or_b64 exec, exec, s[30:31]
	s_and_b64 s[26:27], s[26:27], exec
	s_or_saveexec_b64 s[28:29], s[28:29]
	v_mov_b32_e32 v1, 0x7f800001
	s_xor_b64 exec, exec, s[28:29]
	s_cbranch_execz .LBB299_123
.LBB299_134:
	v_mov_b32_e32 v1, 0
	v_cmp_ne_u16_sdwa s[30:31], v8, v1 src0_sel:BYTE_0 src1_sel:DWORD
	s_andn2_b64 s[26:27], s[26:27], exec
	s_and_b64 s[30:31], s[30:31], exec
	s_or_b64 s[26:27], s[26:27], s[30:31]
	s_or_b64 exec, exec, s[28:29]
	s_and_saveexec_b64 s[28:29], s[26:27]
	s_cbranch_execnz .LBB299_124
	s_branch .LBB299_125
.LBB299_135:
	s_mov_b64 s[28:29], 0
	s_mov_b32 s36, 0x7f800001
	s_cbranch_execz .LBB299_137
; %bb.136:
	s_and_b32 s28, 0xffff, s34
	s_cmp_lg_u32 s28, 0
	s_mov_b32 s36, 0
	s_cselect_b64 s[28:29], -1, 0
.LBB299_137:
	s_andn2_b64 vcc, exec, s[28:29]
	s_cbranch_vccnz .LBB299_139
; %bb.138:
	s_mov_b32 s36, s33
.LBB299_139:
	s_movk_i32 s28, 0xff
	v_and_b32_sdwa v1, v2, s28 dst_sel:DWORD dst_unused:UNUSED_PAD src0_sel:WORD_1 src1_sel:DWORD
	s_movk_i32 s28, 0x7f
	v_cmp_lt_i16_e32 vcc, s28, v1
	s_mov_b64 s[28:29], 0
	s_and_saveexec_b64 s[30:31], vcc
	s_xor_b64 s[30:31], exec, s[30:31]
	s_cbranch_execnz .LBB299_149
; %bb.140:
	s_or_saveexec_b64 s[30:31], s[30:31]
	v_mov_b32_e32 v8, 0x7f800001
	s_xor_b64 exec, exec, s[30:31]
	s_cbranch_execnz .LBB299_152
.LBB299_141:
	s_or_b64 exec, exec, s[30:31]
	s_and_saveexec_b64 s[30:31], s[28:29]
	s_cbranch_execz .LBB299_143
.LBB299_142:
	v_mov_b32_e32 v9, 7
	v_and_b32_sdwa v9, v2, v9 dst_sel:DWORD dst_unused:UNUSED_PAD src0_sel:WORD_1 src1_sel:DWORD
	v_ffbh_u32_e32 v10, v9
	v_mov_b32_e32 v8, 3
	v_min_u32_e32 v10, 32, v10
	v_lshrrev_b16_sdwa v8, v8, v2 dst_sel:DWORD dst_unused:UNUSED_PAD src0_sel:DWORD src1_sel:WORD_1
	v_subrev_u32_e32 v11, 28, v10
	v_and_b32_e32 v8, 15, v8
	v_lshlrev_b32_sdwa v11, v11, v2 dst_sel:DWORD dst_unused:UNUSED_PAD src0_sel:DWORD src1_sel:WORD_1
	v_mov_b32_e32 v1, 24
	v_sub_u32_e32 v10, 29, v10
	v_and_b32_e32 v11, 7, v11
	v_cmp_eq_u32_e32 vcc, 0, v8
	v_lshlrev_b32_sdwa v1, v1, v2 dst_sel:DWORD dst_unused:UNUSED_PAD src0_sel:DWORD src1_sel:WORD_1
	v_cndmask_b32_e32 v8, v8, v10, vcc
	v_cndmask_b32_e32 v9, v9, v11, vcc
	v_mov_b32_e32 v10, 0x3b800000
	v_lshlrev_b32_e32 v9, 20, v9
	v_and_b32_e32 v1, 0x80000000, v1
	v_lshl_add_u32 v8, v8, 23, v10
	v_or3_b32 v8, v1, v8, v9
.LBB299_143:
	s_or_b64 exec, exec, s[30:31]
	v_cmp_neq_f32_e64 s[28:29], s36, v8
.LBB299_144:
	s_and_b64 vcc, exec, s[4:5]
	s_cbranch_vccnz .LBB299_413
.LBB299_145:
	s_and_b32 s36, s14, 0xff
	s_cmpk_lt_i32 s36, 0x80
	s_cbranch_scc1 .LBB299_153
; %bb.146:
	s_and_b32 s30, 0xffff, s36
	s_cmpk_eq_i32 s30, 0x80
	s_mov_b64 s[30:31], -1
	s_cbranch_scc0 .LBB299_148
; %bb.147:
	s_mov_b64 s[30:31], 0
.LBB299_148:
	s_mov_b32 s38, 0x7f800001
	s_branch .LBB299_155
.LBB299_149:
	s_movk_i32 s28, 0x80
	v_cmp_eq_u16_e32 vcc, s28, v1
	s_mov_b64 s[28:29], -1
	s_and_saveexec_b64 s[34:35], vcc
; %bb.150:
	s_xor_b64 s[28:29], exec, -1
; %bb.151:
	s_or_b64 exec, exec, s[34:35]
	s_and_b64 s[28:29], s[28:29], exec
                                        ; implicit-def: $vgpr1
	s_or_saveexec_b64 s[30:31], s[30:31]
	v_mov_b32_e32 v8, 0x7f800001
	s_xor_b64 exec, exec, s[30:31]
	s_cbranch_execz .LBB299_141
.LBB299_152:
	v_cmp_ne_u16_e32 vcc, 0, v1
	s_andn2_b64 s[28:29], s[28:29], exec
	s_and_b64 s[34:35], vcc, exec
	v_mov_b32_e32 v8, 0
	s_or_b64 s[28:29], s[28:29], s[34:35]
	s_or_b64 exec, exec, s[30:31]
	s_and_saveexec_b64 s[30:31], s[28:29]
	s_cbranch_execnz .LBB299_142
	s_branch .LBB299_143
.LBB299_153:
	s_mov_b64 s[30:31], 0
	s_mov_b32 s38, 0x7f800001
	s_cbranch_execz .LBB299_155
; %bb.154:
	s_and_b32 s30, 0xffff, s36
	s_cmp_lg_u32 s30, 0
	s_mov_b32 s38, 0
	s_cselect_b64 s[30:31], -1, 0
.LBB299_155:
	s_andn2_b64 vcc, exec, s[30:31]
	s_cbranch_vccnz .LBB299_157
; %bb.156:
	s_mov_b32 s38, s33
.LBB299_157:
	s_movk_i32 s30, 0x7f
	v_cmp_gt_i16_sdwa s[34:35], v2, s30 src0_sel:BYTE_3 src1_sel:DWORD
	s_mov_b64 s[30:31], 0
	s_and_saveexec_b64 s[36:37], s[34:35]
	s_xor_b64 s[34:35], exec, s[36:37]
	s_cbranch_execnz .LBB299_167
; %bb.158:
	s_or_saveexec_b64 s[34:35], s[34:35]
	v_mov_b32_e32 v1, 0x7f800001
	s_xor_b64 exec, exec, s[34:35]
	s_cbranch_execnz .LBB299_170
.LBB299_159:
	s_or_b64 exec, exec, s[34:35]
	s_and_saveexec_b64 s[34:35], s[30:31]
	s_cbranch_execz .LBB299_161
.LBB299_160:
	s_mov_b32 s30, 0xffff
	v_and_b32_sdwa v8, s30, v2 dst_sel:DWORD dst_unused:UNUSED_PAD src0_sel:DWORD src1_sel:BYTE_3
	v_and_b32_e32 v9, 7, v8
	v_ffbh_u32_e32 v11, v9
	v_min_u32_e32 v11, 32, v11
	v_subrev_u32_e32 v12, 28, v11
	v_bfe_u32 v10, v8, 3, 4
	v_lshlrev_b32_e32 v8, v12, v8
	v_mov_b32_e32 v1, 24
	v_sub_u32_e32 v11, 29, v11
	v_and_b32_e32 v8, 7, v8
	v_cmp_eq_u32_e32 vcc, 0, v10
	v_lshlrev_b32_sdwa v1, v1, v2 dst_sel:DWORD dst_unused:UNUSED_PAD src0_sel:DWORD src1_sel:BYTE_3
	v_cndmask_b32_e32 v10, v10, v11, vcc
	v_cndmask_b32_e32 v8, v9, v8, vcc
	v_mov_b32_e32 v9, 0x3b800000
	v_lshlrev_b32_e32 v8, 20, v8
	v_and_b32_e32 v1, 0x80000000, v1
	v_lshl_add_u32 v9, v10, 23, v9
	v_or3_b32 v1, v1, v9, v8
.LBB299_161:
	s_or_b64 exec, exec, s[34:35]
	v_cmp_neq_f32_e64 s[30:31], s38, v1
.LBB299_162:
	s_and_b64 vcc, exec, s[4:5]
	s_cbranch_vccnz .LBB299_431
.LBB299_163:
	s_and_b32 s38, s14, 0xff
	s_cmpk_lt_i32 s38, 0x80
	s_cbranch_scc1 .LBB299_171
; %bb.164:
	s_and_b32 s34, 0xffff, s38
	s_cmpk_eq_i32 s34, 0x80
	s_mov_b64 s[34:35], -1
	s_cbranch_scc0 .LBB299_166
; %bb.165:
	s_mov_b64 s[34:35], 0
.LBB299_166:
	s_mov_b32 s40, 0x7f800001
	s_branch .LBB299_173
.LBB299_167:
	s_movk_i32 s30, 0x80
	v_cmp_eq_u16_sdwa s[40:41], v2, s30 src0_sel:BYTE_3 src1_sel:DWORD
	s_mov_b64 s[30:31], -1
	s_and_saveexec_b64 s[36:37], s[40:41]
; %bb.168:
	s_xor_b64 s[30:31], exec, -1
; %bb.169:
	s_or_b64 exec, exec, s[36:37]
	s_and_b64 s[30:31], s[30:31], exec
	s_or_saveexec_b64 s[34:35], s[34:35]
	v_mov_b32_e32 v1, 0x7f800001
	s_xor_b64 exec, exec, s[34:35]
	s_cbranch_execz .LBB299_159
.LBB299_170:
	v_mov_b32_e32 v1, 0
	v_cmp_ne_u16_sdwa s[36:37], v2, v1 src0_sel:BYTE_3 src1_sel:DWORD
	s_andn2_b64 s[30:31], s[30:31], exec
	s_and_b64 s[36:37], s[36:37], exec
	s_or_b64 s[30:31], s[30:31], s[36:37]
	s_or_b64 exec, exec, s[34:35]
	s_and_saveexec_b64 s[34:35], s[30:31]
	s_cbranch_execnz .LBB299_160
	s_branch .LBB299_161
.LBB299_171:
	s_mov_b64 s[34:35], 0
	s_mov_b32 s40, 0x7f800001
	s_cbranch_execz .LBB299_173
; %bb.172:
	s_and_b32 s34, 0xffff, s38
	s_cmp_lg_u32 s34, 0
	s_mov_b32 s40, 0
	s_cselect_b64 s[34:35], -1, 0
.LBB299_173:
	s_andn2_b64 vcc, exec, s[34:35]
	s_cbranch_vccnz .LBB299_175
; %bb.174:
	s_mov_b32 s40, s33
.LBB299_175:
	s_movk_i32 s34, 0x7f
	v_cmp_gt_i16_sdwa s[36:37], v3, s34 src0_sel:BYTE_0 src1_sel:DWORD
	s_mov_b64 s[34:35], 0
	s_and_saveexec_b64 s[38:39], s[36:37]
	s_xor_b64 s[36:37], exec, s[38:39]
	s_cbranch_execnz .LBB299_185
; %bb.176:
	s_or_saveexec_b64 s[36:37], s[36:37]
	v_mov_b32_e32 v1, 0x7f800001
	s_xor_b64 exec, exec, s[36:37]
	s_cbranch_execnz .LBB299_188
.LBB299_177:
	s_or_b64 exec, exec, s[36:37]
	s_and_saveexec_b64 s[36:37], s[34:35]
	s_cbranch_execz .LBB299_179
.LBB299_178:
	v_and_b32_e32 v8, 7, v3
	v_ffbh_u32_e32 v9, v8
	v_min_u32_e32 v9, 32, v9
	v_lshrrev_b16_e32 v2, 3, v3
	v_subrev_u32_e32 v10, 28, v9
	v_and_b32_e32 v2, 15, v2
	v_lshlrev_b32_e32 v10, v10, v3
	v_sub_u32_e32 v9, 29, v9
	v_and_b32_e32 v10, 7, v10
	v_cmp_eq_u32_e32 vcc, 0, v2
	v_lshlrev_b32_e32 v1, 24, v3
	v_cndmask_b32_e32 v2, v2, v9, vcc
	v_cndmask_b32_e32 v8, v8, v10, vcc
	v_mov_b32_e32 v9, 0x3b800000
	v_lshlrev_b32_e32 v8, 20, v8
	v_and_b32_e32 v1, 0x80000000, v1
	v_lshl_add_u32 v2, v2, 23, v9
	v_or3_b32 v1, v1, v2, v8
.LBB299_179:
	s_or_b64 exec, exec, s[36:37]
	v_cmp_neq_f32_e64 s[34:35], s40, v1
.LBB299_180:
	s_and_b64 vcc, exec, s[4:5]
	s_cbranch_vccnz .LBB299_449
.LBB299_181:
	s_and_b32 s40, s14, 0xff
	s_cmpk_lt_i32 s40, 0x80
	s_cbranch_scc1 .LBB299_189
; %bb.182:
	s_and_b32 s36, 0xffff, s40
	s_cmpk_eq_i32 s36, 0x80
	s_mov_b64 s[36:37], -1
	s_cbranch_scc0 .LBB299_184
; %bb.183:
	s_mov_b64 s[36:37], 0
.LBB299_184:
	s_mov_b32 s42, 0x7f800001
	s_branch .LBB299_191
.LBB299_185:
	s_movk_i32 s34, 0x80
	v_cmp_eq_u16_sdwa s[42:43], v3, s34 src0_sel:BYTE_0 src1_sel:DWORD
	s_mov_b64 s[34:35], -1
	s_and_saveexec_b64 s[38:39], s[42:43]
; %bb.186:
	s_xor_b64 s[34:35], exec, -1
; %bb.187:
	s_or_b64 exec, exec, s[38:39]
	s_and_b64 s[34:35], s[34:35], exec
	s_or_saveexec_b64 s[36:37], s[36:37]
	v_mov_b32_e32 v1, 0x7f800001
	s_xor_b64 exec, exec, s[36:37]
	s_cbranch_execz .LBB299_177
.LBB299_188:
	v_mov_b32_e32 v1, 0
	v_cmp_ne_u16_sdwa s[38:39], v3, v1 src0_sel:BYTE_0 src1_sel:DWORD
	s_andn2_b64 s[34:35], s[34:35], exec
	s_and_b64 s[38:39], s[38:39], exec
	s_or_b64 s[34:35], s[34:35], s[38:39]
	s_or_b64 exec, exec, s[36:37]
	s_and_saveexec_b64 s[36:37], s[34:35]
	s_cbranch_execnz .LBB299_178
	s_branch .LBB299_179
.LBB299_189:
	s_mov_b64 s[36:37], 0
	s_mov_b32 s42, 0x7f800001
	s_cbranch_execz .LBB299_191
; %bb.190:
	s_and_b32 s36, 0xffff, s40
	s_cmp_lg_u32 s36, 0
	s_mov_b32 s42, 0
	s_cselect_b64 s[36:37], -1, 0
.LBB299_191:
	s_andn2_b64 vcc, exec, s[36:37]
	s_cbranch_vccnz .LBB299_193
; %bb.192:
	s_mov_b32 s42, s33
.LBB299_193:
	s_movk_i32 s36, 0x7f
	v_cmp_gt_i16_sdwa s[38:39], v7, s36 src0_sel:BYTE_0 src1_sel:DWORD
	s_mov_b64 s[36:37], 0
	s_and_saveexec_b64 s[40:41], s[38:39]
	s_xor_b64 s[38:39], exec, s[40:41]
	s_cbranch_execnz .LBB299_203
; %bb.194:
	s_or_saveexec_b64 s[38:39], s[38:39]
	v_mov_b32_e32 v1, 0x7f800001
	s_xor_b64 exec, exec, s[38:39]
	s_cbranch_execnz .LBB299_206
.LBB299_195:
	s_or_b64 exec, exec, s[38:39]
	s_and_saveexec_b64 s[38:39], s[36:37]
	s_cbranch_execz .LBB299_197
.LBB299_196:
	v_and_b32_e32 v8, 7, v7
	v_ffbh_u32_e32 v9, v8
	v_min_u32_e32 v9, 32, v9
	v_lshrrev_b16_e32 v2, 3, v7
	v_subrev_u32_e32 v10, 28, v9
	v_and_b32_e32 v2, 15, v2
	v_lshlrev_b32_e32 v10, v10, v7
	v_sub_u32_e32 v9, 29, v9
	v_and_b32_e32 v10, 7, v10
	v_cmp_eq_u32_e32 vcc, 0, v2
	v_lshlrev_b32_e32 v1, 24, v7
	v_cndmask_b32_e32 v2, v2, v9, vcc
	v_cndmask_b32_e32 v8, v8, v10, vcc
	v_mov_b32_e32 v9, 0x3b800000
	v_lshlrev_b32_e32 v8, 20, v8
	v_and_b32_e32 v1, 0x80000000, v1
	v_lshl_add_u32 v2, v2, 23, v9
	v_or3_b32 v1, v1, v2, v8
.LBB299_197:
	s_or_b64 exec, exec, s[38:39]
	v_cmp_neq_f32_e64 s[36:37], s42, v1
.LBB299_198:
	s_and_b64 vcc, exec, s[4:5]
	s_cbranch_vccnz .LBB299_467
.LBB299_199:
	s_and_b32 s42, s14, 0xff
	s_cmpk_lt_i32 s42, 0x80
	s_cbranch_scc1 .LBB299_207
; %bb.200:
	s_and_b32 s38, 0xffff, s42
	s_cmpk_eq_i32 s38, 0x80
	s_mov_b64 s[38:39], -1
	s_cbranch_scc0 .LBB299_202
; %bb.201:
	s_mov_b64 s[38:39], 0
.LBB299_202:
	s_mov_b32 s44, 0x7f800001
	s_branch .LBB299_209
.LBB299_203:
	s_movk_i32 s36, 0x80
	v_cmp_eq_u16_sdwa s[44:45], v7, s36 src0_sel:BYTE_0 src1_sel:DWORD
	s_mov_b64 s[36:37], -1
	s_and_saveexec_b64 s[40:41], s[44:45]
; %bb.204:
	s_xor_b64 s[36:37], exec, -1
; %bb.205:
	s_or_b64 exec, exec, s[40:41]
	s_and_b64 s[36:37], s[36:37], exec
	s_or_saveexec_b64 s[38:39], s[38:39]
	v_mov_b32_e32 v1, 0x7f800001
	s_xor_b64 exec, exec, s[38:39]
	s_cbranch_execz .LBB299_195
.LBB299_206:
	v_mov_b32_e32 v1, 0
	v_cmp_ne_u16_sdwa s[40:41], v7, v1 src0_sel:BYTE_0 src1_sel:DWORD
	s_andn2_b64 s[36:37], s[36:37], exec
	s_and_b64 s[40:41], s[40:41], exec
	s_or_b64 s[36:37], s[36:37], s[40:41]
	s_or_b64 exec, exec, s[38:39]
	s_and_saveexec_b64 s[38:39], s[36:37]
	s_cbranch_execnz .LBB299_196
	s_branch .LBB299_197
.LBB299_207:
	s_mov_b64 s[38:39], 0
	s_mov_b32 s44, 0x7f800001
	s_cbranch_execz .LBB299_209
; %bb.208:
	s_and_b32 s38, 0xffff, s42
	s_cmp_lg_u32 s38, 0
	s_mov_b32 s44, 0
	s_cselect_b64 s[38:39], -1, 0
.LBB299_209:
	s_andn2_b64 vcc, exec, s[38:39]
	s_cbranch_vccnz .LBB299_211
; %bb.210:
	s_mov_b32 s44, s33
.LBB299_211:
	s_movk_i32 s38, 0xff
	v_and_b32_sdwa v1, v3, s38 dst_sel:DWORD dst_unused:UNUSED_PAD src0_sel:WORD_1 src1_sel:DWORD
	s_movk_i32 s38, 0x7f
	v_cmp_lt_i16_e32 vcc, s38, v1
	s_mov_b64 s[38:39], 0
	s_and_saveexec_b64 s[40:41], vcc
	s_xor_b64 s[40:41], exec, s[40:41]
	s_cbranch_execnz .LBB299_221
; %bb.212:
	s_or_saveexec_b64 s[40:41], s[40:41]
	v_mov_b32_e32 v2, 0x7f800001
	s_xor_b64 exec, exec, s[40:41]
	s_cbranch_execnz .LBB299_224
.LBB299_213:
	s_or_b64 exec, exec, s[40:41]
	s_and_saveexec_b64 s[40:41], s[38:39]
	s_cbranch_execz .LBB299_215
.LBB299_214:
	v_mov_b32_e32 v7, 7
	v_and_b32_sdwa v7, v3, v7 dst_sel:DWORD dst_unused:UNUSED_PAD src0_sel:WORD_1 src1_sel:DWORD
	v_ffbh_u32_e32 v8, v7
	v_mov_b32_e32 v2, 3
	v_min_u32_e32 v8, 32, v8
	v_lshrrev_b16_sdwa v2, v2, v3 dst_sel:DWORD dst_unused:UNUSED_PAD src0_sel:DWORD src1_sel:WORD_1
	v_subrev_u32_e32 v9, 28, v8
	v_and_b32_e32 v2, 15, v2
	v_lshlrev_b32_sdwa v9, v9, v3 dst_sel:DWORD dst_unused:UNUSED_PAD src0_sel:DWORD src1_sel:WORD_1
	v_mov_b32_e32 v1, 24
	v_sub_u32_e32 v8, 29, v8
	v_and_b32_e32 v9, 7, v9
	v_cmp_eq_u32_e32 vcc, 0, v2
	v_lshlrev_b32_sdwa v1, v1, v3 dst_sel:DWORD dst_unused:UNUSED_PAD src0_sel:DWORD src1_sel:WORD_1
	v_cndmask_b32_e32 v2, v2, v8, vcc
	v_cndmask_b32_e32 v7, v7, v9, vcc
	v_mov_b32_e32 v8, 0x3b800000
	v_lshlrev_b32_e32 v7, 20, v7
	v_and_b32_e32 v1, 0x80000000, v1
	v_lshl_add_u32 v2, v2, 23, v8
	v_or3_b32 v2, v1, v2, v7
.LBB299_215:
	s_or_b64 exec, exec, s[40:41]
	v_cmp_neq_f32_e64 s[38:39], s44, v2
.LBB299_216:
	s_and_b64 vcc, exec, s[4:5]
	s_cbranch_vccnz .LBB299_485
.LBB299_217:
	s_and_b32 s44, s14, 0xff
	s_cmpk_lt_i32 s44, 0x80
	s_cbranch_scc1 .LBB299_225
; %bb.218:
	s_and_b32 s40, 0xffff, s44
	s_cmpk_eq_i32 s40, 0x80
	s_mov_b64 s[40:41], -1
	s_cbranch_scc0 .LBB299_220
; %bb.219:
	s_mov_b64 s[40:41], 0
.LBB299_220:
	s_mov_b32 s46, 0x7f800001
	s_branch .LBB299_227
.LBB299_221:
	s_movk_i32 s38, 0x80
	v_cmp_eq_u16_e32 vcc, s38, v1
	s_mov_b64 s[38:39], -1
	s_and_saveexec_b64 s[42:43], vcc
; %bb.222:
	s_xor_b64 s[38:39], exec, -1
; %bb.223:
	s_or_b64 exec, exec, s[42:43]
	s_and_b64 s[38:39], s[38:39], exec
                                        ; implicit-def: $vgpr1
	s_or_saveexec_b64 s[40:41], s[40:41]
	v_mov_b32_e32 v2, 0x7f800001
	s_xor_b64 exec, exec, s[40:41]
	s_cbranch_execz .LBB299_213
.LBB299_224:
	v_cmp_ne_u16_e32 vcc, 0, v1
	s_andn2_b64 s[38:39], s[38:39], exec
	s_and_b64 s[42:43], vcc, exec
	v_mov_b32_e32 v2, 0
	s_or_b64 s[38:39], s[38:39], s[42:43]
	s_or_b64 exec, exec, s[40:41]
	s_and_saveexec_b64 s[40:41], s[38:39]
	s_cbranch_execnz .LBB299_214
	s_branch .LBB299_215
.LBB299_225:
	s_mov_b64 s[40:41], 0
	s_mov_b32 s46, 0x7f800001
	s_cbranch_execz .LBB299_227
; %bb.226:
	s_and_b32 s40, 0xffff, s44
	s_cmp_lg_u32 s40, 0
	s_mov_b32 s46, 0
	s_cselect_b64 s[40:41], -1, 0
.LBB299_227:
	s_andn2_b64 vcc, exec, s[40:41]
	s_cbranch_vccnz .LBB299_229
; %bb.228:
	s_mov_b32 s46, s33
.LBB299_229:
	s_movk_i32 s40, 0x7f
	v_cmp_gt_i16_sdwa s[42:43], v3, s40 src0_sel:BYTE_3 src1_sel:DWORD
	s_mov_b64 s[40:41], 0
	s_and_saveexec_b64 s[44:45], s[42:43]
	s_xor_b64 s[42:43], exec, s[44:45]
	s_cbranch_execnz .LBB299_239
; %bb.230:
	s_or_saveexec_b64 s[42:43], s[42:43]
	v_mov_b32_e32 v1, 0x7f800001
	s_xor_b64 exec, exec, s[42:43]
	s_cbranch_execnz .LBB299_242
.LBB299_231:
	s_or_b64 exec, exec, s[42:43]
	s_and_saveexec_b64 s[42:43], s[40:41]
	s_cbranch_execz .LBB299_233
.LBB299_232:
	s_mov_b32 s40, 0xffff
	v_and_b32_sdwa v2, s40, v3 dst_sel:DWORD dst_unused:UNUSED_PAD src0_sel:DWORD src1_sel:BYTE_3
	v_and_b32_e32 v7, 7, v2
	v_ffbh_u32_e32 v9, v7
	v_min_u32_e32 v9, 32, v9
	v_subrev_u32_e32 v10, 28, v9
	v_bfe_u32 v8, v2, 3, 4
	v_lshlrev_b32_e32 v2, v10, v2
	v_mov_b32_e32 v1, 24
	v_sub_u32_e32 v9, 29, v9
	v_and_b32_e32 v2, 7, v2
	v_cmp_eq_u32_e32 vcc, 0, v8
	v_lshlrev_b32_sdwa v1, v1, v3 dst_sel:DWORD dst_unused:UNUSED_PAD src0_sel:DWORD src1_sel:BYTE_3
	v_cndmask_b32_e32 v8, v8, v9, vcc
	v_cndmask_b32_e32 v2, v7, v2, vcc
	v_mov_b32_e32 v7, 0x3b800000
	v_lshlrev_b32_e32 v2, 20, v2
	v_and_b32_e32 v1, 0x80000000, v1
	v_lshl_add_u32 v7, v8, 23, v7
	v_or3_b32 v1, v1, v7, v2
.LBB299_233:
	s_or_b64 exec, exec, s[42:43]
	v_cmp_neq_f32_e64 s[40:41], s46, v1
.LBB299_234:
	s_and_b64 vcc, exec, s[4:5]
	s_cbranch_vccnz .LBB299_503
.LBB299_235:
	s_and_b32 s46, s14, 0xff
	s_cmpk_lt_i32 s46, 0x80
	s_cbranch_scc1 .LBB299_243
; %bb.236:
	s_and_b32 s42, 0xffff, s46
	s_cmpk_eq_i32 s42, 0x80
	s_mov_b64 s[42:43], -1
	s_cbranch_scc0 .LBB299_238
; %bb.237:
	s_mov_b64 s[42:43], 0
.LBB299_238:
	s_mov_b32 s48, 0x7f800001
	s_branch .LBB299_245
.LBB299_239:
	s_movk_i32 s40, 0x80
	v_cmp_eq_u16_sdwa s[48:49], v3, s40 src0_sel:BYTE_3 src1_sel:DWORD
	s_mov_b64 s[40:41], -1
	s_and_saveexec_b64 s[44:45], s[48:49]
; %bb.240:
	s_xor_b64 s[40:41], exec, -1
; %bb.241:
	s_or_b64 exec, exec, s[44:45]
	s_and_b64 s[40:41], s[40:41], exec
	s_or_saveexec_b64 s[42:43], s[42:43]
	v_mov_b32_e32 v1, 0x7f800001
	s_xor_b64 exec, exec, s[42:43]
	s_cbranch_execz .LBB299_231
.LBB299_242:
	v_mov_b32_e32 v1, 0
	v_cmp_ne_u16_sdwa s[44:45], v3, v1 src0_sel:BYTE_3 src1_sel:DWORD
	s_andn2_b64 s[40:41], s[40:41], exec
	s_and_b64 s[44:45], s[44:45], exec
	s_or_b64 s[40:41], s[40:41], s[44:45]
	s_or_b64 exec, exec, s[42:43]
	s_and_saveexec_b64 s[42:43], s[40:41]
	s_cbranch_execnz .LBB299_232
	s_branch .LBB299_233
.LBB299_243:
	s_mov_b64 s[42:43], 0
	s_mov_b32 s48, 0x7f800001
	s_cbranch_execz .LBB299_245
; %bb.244:
	s_and_b32 s42, 0xffff, s46
	s_cmp_lg_u32 s42, 0
	s_mov_b32 s48, 0
	s_cselect_b64 s[42:43], -1, 0
.LBB299_245:
	s_andn2_b64 vcc, exec, s[42:43]
	s_cbranch_vccnz .LBB299_247
; %bb.246:
	s_mov_b32 s48, s33
.LBB299_247:
	s_movk_i32 s42, 0x7f
	v_cmp_gt_i16_sdwa s[44:45], v4, s42 src0_sel:BYTE_0 src1_sel:DWORD
	s_mov_b64 s[42:43], 0
	s_and_saveexec_b64 s[46:47], s[44:45]
	s_xor_b64 s[44:45], exec, s[46:47]
	s_cbranch_execnz .LBB299_257
; %bb.248:
	s_or_saveexec_b64 s[44:45], s[44:45]
	v_mov_b32_e32 v1, 0x7f800001
	s_xor_b64 exec, exec, s[44:45]
	s_cbranch_execnz .LBB299_260
.LBB299_249:
	s_or_b64 exec, exec, s[44:45]
	s_and_saveexec_b64 s[44:45], s[42:43]
	s_cbranch_execz .LBB299_251
.LBB299_250:
	v_and_b32_e32 v3, 7, v4
	v_ffbh_u32_e32 v7, v3
	v_min_u32_e32 v7, 32, v7
	v_lshrrev_b16_e32 v2, 3, v4
	v_subrev_u32_e32 v8, 28, v7
	v_and_b32_e32 v2, 15, v2
	v_lshlrev_b32_e32 v8, v8, v4
	v_sub_u32_e32 v7, 29, v7
	v_and_b32_e32 v8, 7, v8
	v_cmp_eq_u32_e32 vcc, 0, v2
	v_lshlrev_b32_e32 v1, 24, v4
	v_cndmask_b32_e32 v2, v2, v7, vcc
	v_cndmask_b32_e32 v3, v3, v8, vcc
	v_mov_b32_e32 v7, 0x3b800000
	v_lshlrev_b32_e32 v3, 20, v3
	v_and_b32_e32 v1, 0x80000000, v1
	v_lshl_add_u32 v2, v2, 23, v7
	v_or3_b32 v1, v1, v2, v3
.LBB299_251:
	s_or_b64 exec, exec, s[44:45]
	v_cmp_neq_f32_e64 s[42:43], s48, v1
.LBB299_252:
	s_and_b64 vcc, exec, s[4:5]
	s_cbranch_vccnz .LBB299_521
.LBB299_253:
	s_and_b32 s48, s14, 0xff
	s_cmpk_lt_i32 s48, 0x80
	s_cbranch_scc1 .LBB299_261
; %bb.254:
	s_and_b32 s44, 0xffff, s48
	s_cmpk_eq_i32 s44, 0x80
	s_mov_b64 s[44:45], -1
	s_cbranch_scc0 .LBB299_256
; %bb.255:
	s_mov_b64 s[44:45], 0
.LBB299_256:
	s_mov_b32 s50, 0x7f800001
	s_branch .LBB299_263
.LBB299_257:
	s_movk_i32 s42, 0x80
	v_cmp_eq_u16_sdwa s[50:51], v4, s42 src0_sel:BYTE_0 src1_sel:DWORD
	s_mov_b64 s[42:43], -1
	s_and_saveexec_b64 s[46:47], s[50:51]
; %bb.258:
	s_xor_b64 s[42:43], exec, -1
; %bb.259:
	s_or_b64 exec, exec, s[46:47]
	s_and_b64 s[42:43], s[42:43], exec
	s_or_saveexec_b64 s[44:45], s[44:45]
	v_mov_b32_e32 v1, 0x7f800001
	s_xor_b64 exec, exec, s[44:45]
	s_cbranch_execz .LBB299_249
.LBB299_260:
	v_mov_b32_e32 v1, 0
	v_cmp_ne_u16_sdwa s[46:47], v4, v1 src0_sel:BYTE_0 src1_sel:DWORD
	s_andn2_b64 s[42:43], s[42:43], exec
	s_and_b64 s[46:47], s[46:47], exec
	s_or_b64 s[42:43], s[42:43], s[46:47]
	s_or_b64 exec, exec, s[44:45]
	s_and_saveexec_b64 s[44:45], s[42:43]
	s_cbranch_execnz .LBB299_250
	s_branch .LBB299_251
.LBB299_261:
	s_mov_b64 s[44:45], 0
	s_mov_b32 s50, 0x7f800001
	s_cbranch_execz .LBB299_263
; %bb.262:
	s_and_b32 s44, 0xffff, s48
	s_cmp_lg_u32 s44, 0
	s_mov_b32 s50, 0
	s_cselect_b64 s[44:45], -1, 0
.LBB299_263:
	s_andn2_b64 vcc, exec, s[44:45]
	s_cbranch_vccnz .LBB299_265
; %bb.264:
	s_mov_b32 s50, s33
.LBB299_265:
	s_movk_i32 s44, 0x7f
	v_cmp_gt_i16_sdwa s[46:47], v6, s44 src0_sel:BYTE_0 src1_sel:DWORD
	s_mov_b64 s[44:45], 0
	s_and_saveexec_b64 s[48:49], s[46:47]
	s_xor_b64 s[46:47], exec, s[48:49]
	s_cbranch_execnz .LBB299_275
; %bb.266:
	s_or_saveexec_b64 s[46:47], s[46:47]
	v_mov_b32_e32 v1, 0x7f800001
	s_xor_b64 exec, exec, s[46:47]
	s_cbranch_execnz .LBB299_278
.LBB299_267:
	s_or_b64 exec, exec, s[46:47]
	s_and_saveexec_b64 s[46:47], s[44:45]
	s_cbranch_execz .LBB299_269
.LBB299_268:
	v_and_b32_e32 v3, 7, v6
	v_ffbh_u32_e32 v7, v3
	v_min_u32_e32 v7, 32, v7
	v_lshrrev_b16_e32 v2, 3, v6
	v_subrev_u32_e32 v8, 28, v7
	v_and_b32_e32 v2, 15, v2
	v_lshlrev_b32_e32 v8, v8, v6
	v_sub_u32_e32 v7, 29, v7
	v_and_b32_e32 v8, 7, v8
	v_cmp_eq_u32_e32 vcc, 0, v2
	v_lshlrev_b32_e32 v1, 24, v6
	v_cndmask_b32_e32 v2, v2, v7, vcc
	v_cndmask_b32_e32 v3, v3, v8, vcc
	v_mov_b32_e32 v7, 0x3b800000
	v_lshlrev_b32_e32 v3, 20, v3
	v_and_b32_e32 v1, 0x80000000, v1
	v_lshl_add_u32 v2, v2, 23, v7
	v_or3_b32 v1, v1, v2, v3
.LBB299_269:
	s_or_b64 exec, exec, s[46:47]
	v_cmp_neq_f32_e64 s[44:45], s50, v1
.LBB299_270:
	s_and_b64 vcc, exec, s[4:5]
	s_cbranch_vccnz .LBB299_539
.LBB299_271:
	s_and_b32 s50, s14, 0xff
	s_cmpk_lt_i32 s50, 0x80
	s_cbranch_scc1 .LBB299_279
; %bb.272:
	s_and_b32 s46, 0xffff, s50
	s_cmpk_eq_i32 s46, 0x80
	s_mov_b64 s[46:47], -1
	s_cbranch_scc0 .LBB299_274
; %bb.273:
	s_mov_b64 s[46:47], 0
.LBB299_274:
	s_mov_b32 s52, 0x7f800001
	s_branch .LBB299_281
.LBB299_275:
	s_movk_i32 s44, 0x80
	v_cmp_eq_u16_sdwa s[52:53], v6, s44 src0_sel:BYTE_0 src1_sel:DWORD
	s_mov_b64 s[44:45], -1
	s_and_saveexec_b64 s[48:49], s[52:53]
; %bb.276:
	s_xor_b64 s[44:45], exec, -1
; %bb.277:
	s_or_b64 exec, exec, s[48:49]
	s_and_b64 s[44:45], s[44:45], exec
	s_or_saveexec_b64 s[46:47], s[46:47]
	v_mov_b32_e32 v1, 0x7f800001
	s_xor_b64 exec, exec, s[46:47]
	s_cbranch_execz .LBB299_267
.LBB299_278:
	v_mov_b32_e32 v1, 0
	v_cmp_ne_u16_sdwa s[48:49], v6, v1 src0_sel:BYTE_0 src1_sel:DWORD
	s_andn2_b64 s[44:45], s[44:45], exec
	s_and_b64 s[48:49], s[48:49], exec
	s_or_b64 s[44:45], s[44:45], s[48:49]
	s_or_b64 exec, exec, s[46:47]
	s_and_saveexec_b64 s[46:47], s[44:45]
	s_cbranch_execnz .LBB299_268
	s_branch .LBB299_269
.LBB299_279:
	s_mov_b64 s[46:47], 0
	s_mov_b32 s52, 0x7f800001
	s_cbranch_execz .LBB299_281
; %bb.280:
	s_and_b32 s46, 0xffff, s50
	s_cmp_lg_u32 s46, 0
	s_mov_b32 s52, 0
	s_cselect_b64 s[46:47], -1, 0
.LBB299_281:
	s_andn2_b64 vcc, exec, s[46:47]
	s_cbranch_vccnz .LBB299_283
; %bb.282:
	s_mov_b32 s52, s33
.LBB299_283:
	s_movk_i32 s46, 0xff
	v_and_b32_sdwa v1, v4, s46 dst_sel:DWORD dst_unused:UNUSED_PAD src0_sel:WORD_1 src1_sel:DWORD
	s_movk_i32 s46, 0x7f
	v_cmp_lt_i16_e32 vcc, s46, v1
	s_mov_b64 s[46:47], 0
	s_and_saveexec_b64 s[48:49], vcc
	s_xor_b64 s[48:49], exec, s[48:49]
	s_cbranch_execnz .LBB299_293
; %bb.284:
	s_or_saveexec_b64 s[48:49], s[48:49]
	v_mov_b32_e32 v2, 0x7f800001
	s_xor_b64 exec, exec, s[48:49]
	s_cbranch_execnz .LBB299_296
.LBB299_285:
	s_or_b64 exec, exec, s[48:49]
	s_and_saveexec_b64 s[48:49], s[46:47]
	s_cbranch_execz .LBB299_287
.LBB299_286:
	v_mov_b32_e32 v3, 7
	v_and_b32_sdwa v3, v4, v3 dst_sel:DWORD dst_unused:UNUSED_PAD src0_sel:WORD_1 src1_sel:DWORD
	v_ffbh_u32_e32 v6, v3
	v_mov_b32_e32 v2, 3
	v_min_u32_e32 v6, 32, v6
	v_lshrrev_b16_sdwa v2, v2, v4 dst_sel:DWORD dst_unused:UNUSED_PAD src0_sel:DWORD src1_sel:WORD_1
	v_subrev_u32_e32 v7, 28, v6
	v_and_b32_e32 v2, 15, v2
	v_lshlrev_b32_sdwa v7, v7, v4 dst_sel:DWORD dst_unused:UNUSED_PAD src0_sel:DWORD src1_sel:WORD_1
	v_mov_b32_e32 v1, 24
	v_sub_u32_e32 v6, 29, v6
	v_and_b32_e32 v7, 7, v7
	v_cmp_eq_u32_e32 vcc, 0, v2
	v_lshlrev_b32_sdwa v1, v1, v4 dst_sel:DWORD dst_unused:UNUSED_PAD src0_sel:DWORD src1_sel:WORD_1
	v_cndmask_b32_e32 v2, v2, v6, vcc
	v_cndmask_b32_e32 v3, v3, v7, vcc
	v_mov_b32_e32 v6, 0x3b800000
	v_lshlrev_b32_e32 v3, 20, v3
	v_and_b32_e32 v1, 0x80000000, v1
	v_lshl_add_u32 v2, v2, 23, v6
	v_or3_b32 v2, v1, v2, v3
.LBB299_287:
	s_or_b64 exec, exec, s[48:49]
	v_cmp_neq_f32_e64 s[46:47], s52, v2
.LBB299_288:
	s_and_b64 vcc, exec, s[4:5]
	s_cbranch_vccnz .LBB299_557
.LBB299_289:
	s_and_b32 s50, s14, 0xff
	s_cmpk_lt_i32 s50, 0x80
	s_cbranch_scc1 .LBB299_297
; %bb.290:
	s_and_b32 s4, 0xffff, s50
	s_cmpk_eq_i32 s4, 0x80
	s_mov_b64 s[4:5], -1
	s_cbranch_scc0 .LBB299_292
; %bb.291:
	s_mov_b64 s[4:5], 0
.LBB299_292:
	s_mov_b32 s52, 0x7f800001
	s_branch .LBB299_299
.LBB299_293:
	s_movk_i32 s46, 0x80
	v_cmp_eq_u16_e32 vcc, s46, v1
	s_mov_b64 s[46:47], -1
	s_and_saveexec_b64 s[50:51], vcc
; %bb.294:
	s_xor_b64 s[46:47], exec, -1
; %bb.295:
	s_or_b64 exec, exec, s[50:51]
	s_and_b64 s[46:47], s[46:47], exec
                                        ; implicit-def: $vgpr1
	s_or_saveexec_b64 s[48:49], s[48:49]
	v_mov_b32_e32 v2, 0x7f800001
	s_xor_b64 exec, exec, s[48:49]
	s_cbranch_execz .LBB299_285
.LBB299_296:
	v_cmp_ne_u16_e32 vcc, 0, v1
	s_andn2_b64 s[46:47], s[46:47], exec
	s_and_b64 s[50:51], vcc, exec
	v_mov_b32_e32 v2, 0
	s_or_b64 s[46:47], s[46:47], s[50:51]
	s_or_b64 exec, exec, s[48:49]
	s_and_saveexec_b64 s[48:49], s[46:47]
	s_cbranch_execnz .LBB299_286
	s_branch .LBB299_287
.LBB299_297:
	s_mov_b64 s[4:5], 0
	s_mov_b32 s52, 0x7f800001
	s_cbranch_execz .LBB299_299
; %bb.298:
	s_and_b32 s4, 0xffff, s50
	s_cmp_lg_u32 s4, 0
	s_mov_b32 s52, 0
	s_cselect_b64 s[4:5], -1, 0
.LBB299_299:
	s_andn2_b64 vcc, exec, s[4:5]
	s_cbranch_vccnz .LBB299_301
; %bb.300:
	s_mov_b32 s52, s33
.LBB299_301:
	s_movk_i32 s4, 0x7f
	v_cmp_gt_i16_sdwa s[48:49], v4, s4 src0_sel:BYTE_3 src1_sel:DWORD
	s_mov_b64 s[4:5], 0
	s_and_saveexec_b64 s[50:51], s[48:49]
	s_xor_b64 s[48:49], exec, s[50:51]
	s_cbranch_execnz .LBB299_306
; %bb.302:
	s_or_saveexec_b64 s[48:49], s[48:49]
	v_mov_b32_e32 v1, 0x7f800001
	s_xor_b64 exec, exec, s[48:49]
	s_cbranch_execnz .LBB299_309
.LBB299_303:
	s_or_b64 exec, exec, s[48:49]
	s_and_saveexec_b64 s[48:49], s[4:5]
	s_cbranch_execz .LBB299_305
.LBB299_304:
	s_mov_b32 s4, 0xffff
	v_and_b32_sdwa v2, s4, v4 dst_sel:DWORD dst_unused:UNUSED_PAD src0_sel:DWORD src1_sel:BYTE_3
	v_and_b32_e32 v3, 7, v2
	v_ffbh_u32_e32 v7, v3
	v_min_u32_e32 v7, 32, v7
	v_subrev_u32_e32 v8, 28, v7
	v_bfe_u32 v6, v2, 3, 4
	v_lshlrev_b32_e32 v2, v8, v2
	v_mov_b32_e32 v1, 24
	v_sub_u32_e32 v7, 29, v7
	v_and_b32_e32 v2, 7, v2
	v_cmp_eq_u32_e32 vcc, 0, v6
	v_lshlrev_b32_sdwa v1, v1, v4 dst_sel:DWORD dst_unused:UNUSED_PAD src0_sel:DWORD src1_sel:BYTE_3
	v_cndmask_b32_e32 v6, v6, v7, vcc
	v_cndmask_b32_e32 v2, v3, v2, vcc
	v_mov_b32_e32 v3, 0x3b800000
	v_lshlrev_b32_e32 v2, 20, v2
	v_and_b32_e32 v1, 0x80000000, v1
	v_lshl_add_u32 v3, v6, 23, v3
	v_or3_b32 v1, v1, v3, v2
.LBB299_305:
	s_or_b64 exec, exec, s[48:49]
	v_cmp_neq_f32_e64 s[4:5], s52, v1
	s_branch .LBB299_575
.LBB299_306:
	s_movk_i32 s4, 0x80
	v_cmp_eq_u16_sdwa s[54:55], v4, s4 src0_sel:BYTE_3 src1_sel:DWORD
	s_mov_b64 s[4:5], -1
	s_and_saveexec_b64 s[50:51], s[54:55]
; %bb.307:
	s_xor_b64 s[4:5], exec, -1
; %bb.308:
	s_or_b64 exec, exec, s[50:51]
	s_and_b64 s[4:5], s[4:5], exec
	s_or_saveexec_b64 s[48:49], s[48:49]
	v_mov_b32_e32 v1, 0x7f800001
	s_xor_b64 exec, exec, s[48:49]
	s_cbranch_execz .LBB299_303
.LBB299_309:
	v_mov_b32_e32 v1, 0
	v_cmp_ne_u16_sdwa s[50:51], v4, v1 src0_sel:BYTE_3 src1_sel:DWORD
	s_andn2_b64 s[4:5], s[4:5], exec
	s_and_b64 s[50:51], s[50:51], exec
	s_or_b64 s[4:5], s[4:5], s[50:51]
	s_or_b64 exec, exec, s[48:49]
	s_and_saveexec_b64 s[48:49], s[4:5]
	s_cbranch_execnz .LBB299_304
	s_branch .LBB299_305
.LBB299_310:
	s_movk_i32 s4, 0x80
	v_cmp_eq_u16_sdwa s[24:25], v1, s4 src0_sel:BYTE_0 src1_sel:DWORD
	s_mov_b64 s[4:5], -1
	s_and_saveexec_b64 s[20:21], s[24:25]
; %bb.311:
	s_xor_b64 s[4:5], exec, -1
; %bb.312:
	s_or_b64 exec, exec, s[20:21]
	s_and_b64 s[4:5], s[4:5], exec
	s_or_saveexec_b64 s[8:9], s[8:9]
	v_mov_b32_e32 v6, 0x7f800001
	s_xor_b64 exec, exec, s[8:9]
	s_cbranch_execz .LBB299_32
.LBB299_313:
	v_mov_b32_e32 v6, 0
	v_cmp_ne_u16_sdwa s[20:21], v1, v6 src0_sel:BYTE_0 src1_sel:DWORD
	s_andn2_b64 s[4:5], s[4:5], exec
	s_and_b64 s[20:21], s[20:21], exec
	s_or_b64 s[4:5], s[4:5], s[20:21]
	s_or_b64 exec, exec, s[8:9]
	s_and_saveexec_b64 s[8:9], s[4:5]
	s_cbranch_execnz .LBB299_33
	s_branch .LBB299_34
.LBB299_314:
	s_mov_b64 s[10:11], 0
	s_mov_b32 s24, 0x7f800001
	s_cbranch_execz .LBB299_316
; %bb.315:
	s_and_b32 s10, 0xffff, s22
	s_cmp_lg_u32 s10, 0
	s_mov_b32 s24, 0
	s_cselect_b64 s[10:11], -1, 0
.LBB299_316:
	s_andn2_b64 vcc, exec, s[10:11]
	s_cbranch_vccnz .LBB299_318
; %bb.317:
	s_mov_b32 s24, s33
.LBB299_318:
	s_movk_i32 s10, 0x7f
	v_cmp_gt_i16_sdwa s[20:21], v9, s10 src0_sel:BYTE_0 src1_sel:DWORD
	s_mov_b64 s[10:11], 0
	s_and_saveexec_b64 s[22:23], s[20:21]
	s_xor_b64 s[20:21], exec, s[22:23]
	s_cbranch_execnz .LBB299_328
; %bb.319:
	s_or_saveexec_b64 s[20:21], s[20:21]
	v_mov_b32_e32 v10, 0x7f800001
	s_xor_b64 exec, exec, s[20:21]
	s_cbranch_execnz .LBB299_331
.LBB299_320:
	s_or_b64 exec, exec, s[20:21]
	s_and_saveexec_b64 s[20:21], s[10:11]
	s_cbranch_execz .LBB299_322
.LBB299_321:
	v_and_b32_e32 v12, 7, v9
	v_ffbh_u32_e32 v13, v12
	v_min_u32_e32 v13, 32, v13
	v_lshrrev_b16_e32 v11, 3, v9
	v_subrev_u32_e32 v14, 28, v13
	v_lshlrev_b32_e32 v10, 24, v9
	v_and_b32_e32 v11, 15, v11
	v_lshlrev_b32_e32 v9, v14, v9
	v_sub_u32_e32 v13, 29, v13
	v_and_b32_e32 v9, 7, v9
	v_cmp_eq_u32_e32 vcc, 0, v11
	v_cndmask_b32_e32 v11, v11, v13, vcc
	v_cndmask_b32_e32 v9, v12, v9, vcc
	v_mov_b32_e32 v12, 0x3b800000
	v_lshlrev_b32_e32 v9, 20, v9
	v_and_b32_e32 v10, 0x80000000, v10
	v_lshl_add_u32 v11, v11, 23, v12
	v_or3_b32 v10, v10, v11, v9
.LBB299_322:
	s_or_b64 exec, exec, s[20:21]
	v_cmp_eq_f32_e64 s[10:11], s24, v10
	s_and_b64 vcc, exec, s[4:5]
	s_cbranch_vccz .LBB299_42
.LBB299_323:
                                        ; implicit-def: $sgpr20_sgpr21
	s_cbranch_execz .LBB299_68
; %bb.324:
	s_and_b32 s24, s14, 0xff
	s_cmpk_lt_i32 s24, 0x80
	s_cbranch_scc1 .LBB299_332
; %bb.325:
	s_and_b32 s20, 0xffff, s24
	s_cmpk_eq_i32 s20, 0x80
	s_mov_b64 s[20:21], -1
	s_cbranch_scc0 .LBB299_327
; %bb.326:
	s_mov_b64 s[20:21], 0
.LBB299_327:
	s_mov_b32 s26, 0x7f800001
	s_branch .LBB299_334
.LBB299_328:
	s_movk_i32 s10, 0x80
	v_cmp_eq_u16_sdwa s[26:27], v9, s10 src0_sel:BYTE_0 src1_sel:DWORD
	s_mov_b64 s[10:11], -1
	s_and_saveexec_b64 s[22:23], s[26:27]
; %bb.329:
	s_xor_b64 s[10:11], exec, -1
; %bb.330:
	s_or_b64 exec, exec, s[22:23]
	s_and_b64 s[10:11], s[10:11], exec
	s_or_saveexec_b64 s[20:21], s[20:21]
	v_mov_b32_e32 v10, 0x7f800001
	s_xor_b64 exec, exec, s[20:21]
	s_cbranch_execz .LBB299_320
.LBB299_331:
	v_mov_b32_e32 v10, 0
	v_cmp_ne_u16_sdwa s[22:23], v9, v10 src0_sel:BYTE_0 src1_sel:DWORD
	s_andn2_b64 s[10:11], s[10:11], exec
	s_and_b64 s[22:23], s[22:23], exec
	s_or_b64 s[10:11], s[10:11], s[22:23]
	s_or_b64 exec, exec, s[20:21]
	s_and_saveexec_b64 s[20:21], s[10:11]
	s_cbranch_execnz .LBB299_321
	s_branch .LBB299_322
.LBB299_332:
	s_mov_b64 s[20:21], 0
	s_mov_b32 s26, 0x7f800001
	s_cbranch_execz .LBB299_334
; %bb.333:
	s_and_b32 s20, 0xffff, s24
	s_cmp_lg_u32 s20, 0
	s_mov_b32 s26, 0
	s_cselect_b64 s[20:21], -1, 0
.LBB299_334:
	s_andn2_b64 vcc, exec, s[20:21]
	s_cbranch_vccnz .LBB299_336
; %bb.335:
	s_mov_b32 s26, s33
.LBB299_336:
	s_movk_i32 s20, 0xff
	v_and_b32_sdwa v9, v1, s20 dst_sel:DWORD dst_unused:UNUSED_PAD src0_sel:WORD_1 src1_sel:DWORD
	s_movk_i32 s20, 0x7f
	v_cmp_lt_i16_e32 vcc, s20, v9
	s_mov_b64 s[20:21], 0
	s_and_saveexec_b64 s[22:23], vcc
	s_xor_b64 s[22:23], exec, s[22:23]
	s_cbranch_execnz .LBB299_346
; %bb.337:
	s_or_saveexec_b64 s[22:23], s[22:23]
	v_mov_b32_e32 v10, 0x7f800001
	s_xor_b64 exec, exec, s[22:23]
	s_cbranch_execnz .LBB299_349
.LBB299_338:
	s_or_b64 exec, exec, s[22:23]
	s_and_saveexec_b64 s[22:23], s[20:21]
	s_cbranch_execz .LBB299_340
.LBB299_339:
	v_mov_b32_e32 v11, 7
	v_and_b32_sdwa v11, v1, v11 dst_sel:DWORD dst_unused:UNUSED_PAD src0_sel:WORD_1 src1_sel:DWORD
	v_ffbh_u32_e32 v12, v11
	v_mov_b32_e32 v10, 3
	v_min_u32_e32 v12, 32, v12
	v_lshrrev_b16_sdwa v10, v10, v1 dst_sel:DWORD dst_unused:UNUSED_PAD src0_sel:DWORD src1_sel:WORD_1
	v_subrev_u32_e32 v13, 28, v12
	v_and_b32_e32 v10, 15, v10
	v_lshlrev_b32_sdwa v13, v13, v1 dst_sel:DWORD dst_unused:UNUSED_PAD src0_sel:DWORD src1_sel:WORD_1
	v_mov_b32_e32 v9, 24
	v_sub_u32_e32 v12, 29, v12
	v_and_b32_e32 v13, 7, v13
	v_cmp_eq_u32_e32 vcc, 0, v10
	v_lshlrev_b32_sdwa v9, v9, v1 dst_sel:DWORD dst_unused:UNUSED_PAD src0_sel:DWORD src1_sel:WORD_1
	v_cndmask_b32_e32 v10, v10, v12, vcc
	v_cndmask_b32_e32 v11, v11, v13, vcc
	v_mov_b32_e32 v12, 0x3b800000
	v_lshlrev_b32_e32 v11, 20, v11
	v_and_b32_e32 v9, 0x80000000, v9
	v_lshl_add_u32 v10, v10, 23, v12
	v_or3_b32 v10, v9, v10, v11
.LBB299_340:
	s_or_b64 exec, exec, s[22:23]
	v_cmp_eq_f32_e64 s[20:21], s26, v10
	s_and_b64 vcc, exec, s[4:5]
	s_cbranch_vccz .LBB299_69
.LBB299_341:
                                        ; implicit-def: $sgpr22_sgpr23
	s_cbranch_execz .LBB299_90
; %bb.342:
	s_and_b32 s26, s14, 0xff
	s_cmpk_lt_i32 s26, 0x80
	s_cbranch_scc1 .LBB299_350
; %bb.343:
	s_and_b32 s22, 0xffff, s26
	s_cmpk_eq_i32 s22, 0x80
	s_mov_b64 s[22:23], -1
	s_cbranch_scc0 .LBB299_345
; %bb.344:
	s_mov_b64 s[22:23], 0
.LBB299_345:
	s_mov_b32 s28, 0x7f800001
	s_branch .LBB299_352
.LBB299_346:
	s_movk_i32 s20, 0x80
	v_cmp_eq_u16_e32 vcc, s20, v9
	s_mov_b64 s[20:21], -1
	s_and_saveexec_b64 s[24:25], vcc
; %bb.347:
	s_xor_b64 s[20:21], exec, -1
; %bb.348:
	s_or_b64 exec, exec, s[24:25]
	s_and_b64 s[20:21], s[20:21], exec
                                        ; implicit-def: $vgpr9
	s_or_saveexec_b64 s[22:23], s[22:23]
	v_mov_b32_e32 v10, 0x7f800001
	s_xor_b64 exec, exec, s[22:23]
	s_cbranch_execz .LBB299_338
.LBB299_349:
	v_cmp_ne_u16_e32 vcc, 0, v9
	s_andn2_b64 s[20:21], s[20:21], exec
	s_and_b64 s[24:25], vcc, exec
	v_mov_b32_e32 v10, 0
	s_or_b64 s[20:21], s[20:21], s[24:25]
	s_or_b64 exec, exec, s[22:23]
	s_and_saveexec_b64 s[22:23], s[20:21]
	s_cbranch_execnz .LBB299_339
	s_branch .LBB299_340
.LBB299_350:
	s_mov_b64 s[22:23], 0
	s_mov_b32 s28, 0x7f800001
	s_cbranch_execz .LBB299_352
; %bb.351:
	s_and_b32 s22, 0xffff, s26
	s_cmp_lg_u32 s22, 0
	s_mov_b32 s28, 0
	s_cselect_b64 s[22:23], -1, 0
.LBB299_352:
	s_andn2_b64 vcc, exec, s[22:23]
	s_cbranch_vccnz .LBB299_354
; %bb.353:
	s_mov_b32 s28, s33
.LBB299_354:
	s_movk_i32 s22, 0x7f
	v_cmp_gt_i16_sdwa s[24:25], v1, s22 src0_sel:BYTE_3 src1_sel:DWORD
	s_mov_b64 s[22:23], 0
	s_and_saveexec_b64 s[26:27], s[24:25]
	s_xor_b64 s[24:25], exec, s[26:27]
	s_cbranch_execnz .LBB299_364
; %bb.355:
	s_or_saveexec_b64 s[24:25], s[24:25]
	v_mov_b32_e32 v9, 0x7f800001
	s_xor_b64 exec, exec, s[24:25]
	s_cbranch_execnz .LBB299_367
.LBB299_356:
	s_or_b64 exec, exec, s[24:25]
	s_and_saveexec_b64 s[24:25], s[22:23]
	s_cbranch_execz .LBB299_358
.LBB299_357:
	v_mov_b32_e32 v9, 24
	s_mov_b32 s22, 0xffff
	v_lshlrev_b32_sdwa v9, v9, v1 dst_sel:DWORD dst_unused:UNUSED_PAD src0_sel:DWORD src1_sel:BYTE_3
	v_and_b32_sdwa v1, s22, v1 dst_sel:DWORD dst_unused:UNUSED_PAD src0_sel:DWORD src1_sel:BYTE_3
	v_and_b32_e32 v10, 7, v1
	v_ffbh_u32_e32 v12, v10
	v_min_u32_e32 v12, 32, v12
	v_subrev_u32_e32 v13, 28, v12
	v_bfe_u32 v11, v1, 3, 4
	v_lshlrev_b32_e32 v1, v13, v1
	v_sub_u32_e32 v12, 29, v12
	v_and_b32_e32 v1, 7, v1
	v_cmp_eq_u32_e32 vcc, 0, v11
	v_cndmask_b32_e32 v11, v11, v12, vcc
	v_cndmask_b32_e32 v1, v10, v1, vcc
	v_mov_b32_e32 v10, 0x3b800000
	v_lshlrev_b32_e32 v1, 20, v1
	v_and_b32_e32 v9, 0x80000000, v9
	v_lshl_add_u32 v10, v11, 23, v10
	v_or3_b32 v9, v9, v10, v1
.LBB299_358:
	s_or_b64 exec, exec, s[24:25]
	v_cmp_eq_f32_e64 s[22:23], s28, v9
	s_and_b64 vcc, exec, s[4:5]
	s_cbranch_vccz .LBB299_91
.LBB299_359:
                                        ; implicit-def: $sgpr24_sgpr25
	s_cbranch_execz .LBB299_108
; %bb.360:
	s_and_b32 s28, s14, 0xff
	s_cmpk_lt_i32 s28, 0x80
	s_cbranch_scc1 .LBB299_368
; %bb.361:
	s_and_b32 s24, 0xffff, s28
	s_cmpk_eq_i32 s24, 0x80
	s_mov_b64 s[24:25], -1
	s_cbranch_scc0 .LBB299_363
; %bb.362:
	s_mov_b64 s[24:25], 0
.LBB299_363:
	s_mov_b32 s30, 0x7f800001
	s_branch .LBB299_370
.LBB299_364:
	s_movk_i32 s22, 0x80
	v_cmp_eq_u16_sdwa s[30:31], v1, s22 src0_sel:BYTE_3 src1_sel:DWORD
	s_mov_b64 s[22:23], -1
	s_and_saveexec_b64 s[26:27], s[30:31]
; %bb.365:
	s_xor_b64 s[22:23], exec, -1
; %bb.366:
	s_or_b64 exec, exec, s[26:27]
	s_and_b64 s[22:23], s[22:23], exec
	s_or_saveexec_b64 s[24:25], s[24:25]
	v_mov_b32_e32 v9, 0x7f800001
	s_xor_b64 exec, exec, s[24:25]
	s_cbranch_execz .LBB299_356
.LBB299_367:
	v_mov_b32_e32 v9, 0
	v_cmp_ne_u16_sdwa s[26:27], v1, v9 src0_sel:BYTE_3 src1_sel:DWORD
	s_andn2_b64 s[22:23], s[22:23], exec
	s_and_b64 s[26:27], s[26:27], exec
	s_or_b64 s[22:23], s[22:23], s[26:27]
	s_or_b64 exec, exec, s[24:25]
	s_and_saveexec_b64 s[24:25], s[22:23]
	s_cbranch_execnz .LBB299_357
	s_branch .LBB299_358
.LBB299_368:
	s_mov_b64 s[24:25], 0
	s_mov_b32 s30, 0x7f800001
	s_cbranch_execz .LBB299_370
; %bb.369:
	s_and_b32 s24, 0xffff, s28
	s_cmp_lg_u32 s24, 0
	s_mov_b32 s30, 0
	s_cselect_b64 s[24:25], -1, 0
.LBB299_370:
	s_andn2_b64 vcc, exec, s[24:25]
	s_cbranch_vccnz .LBB299_372
; %bb.371:
	s_mov_b32 s30, s33
.LBB299_372:
	s_movk_i32 s24, 0x7f
	v_cmp_gt_i16_sdwa s[26:27], v2, s24 src0_sel:BYTE_0 src1_sel:DWORD
	s_mov_b64 s[24:25], 0
	s_and_saveexec_b64 s[28:29], s[26:27]
	s_xor_b64 s[26:27], exec, s[28:29]
	s_cbranch_execnz .LBB299_382
; %bb.373:
	s_or_saveexec_b64 s[26:27], s[26:27]
	v_mov_b32_e32 v1, 0x7f800001
	s_xor_b64 exec, exec, s[26:27]
	s_cbranch_execnz .LBB299_385
.LBB299_374:
	s_or_b64 exec, exec, s[26:27]
	s_and_saveexec_b64 s[26:27], s[24:25]
	s_cbranch_execz .LBB299_376
.LBB299_375:
	v_and_b32_e32 v10, 7, v2
	v_ffbh_u32_e32 v11, v10
	v_min_u32_e32 v11, 32, v11
	v_lshrrev_b16_e32 v9, 3, v2
	v_subrev_u32_e32 v12, 28, v11
	v_and_b32_e32 v9, 15, v9
	v_lshlrev_b32_e32 v12, v12, v2
	v_sub_u32_e32 v11, 29, v11
	v_and_b32_e32 v12, 7, v12
	v_cmp_eq_u32_e32 vcc, 0, v9
	v_lshlrev_b32_e32 v1, 24, v2
	v_cndmask_b32_e32 v9, v9, v11, vcc
	v_cndmask_b32_e32 v10, v10, v12, vcc
	v_mov_b32_e32 v11, 0x3b800000
	v_lshlrev_b32_e32 v10, 20, v10
	v_and_b32_e32 v1, 0x80000000, v1
	v_lshl_add_u32 v9, v9, 23, v11
	v_or3_b32 v1, v1, v9, v10
.LBB299_376:
	s_or_b64 exec, exec, s[26:27]
	v_cmp_eq_f32_e64 s[24:25], s30, v1
	s_and_b64 vcc, exec, s[4:5]
	s_cbranch_vccz .LBB299_109
.LBB299_377:
                                        ; implicit-def: $sgpr26_sgpr27
	s_cbranch_execz .LBB299_126
; %bb.378:
	s_and_b32 s30, s14, 0xff
	s_cmpk_lt_i32 s30, 0x80
	s_cbranch_scc1 .LBB299_386
; %bb.379:
	s_and_b32 s26, 0xffff, s30
	s_cmpk_eq_i32 s26, 0x80
	s_mov_b64 s[26:27], -1
	s_cbranch_scc0 .LBB299_381
; %bb.380:
	s_mov_b64 s[26:27], 0
.LBB299_381:
	s_mov_b32 s34, 0x7f800001
	s_branch .LBB299_388
.LBB299_382:
	s_movk_i32 s24, 0x80
	v_cmp_eq_u16_sdwa s[34:35], v2, s24 src0_sel:BYTE_0 src1_sel:DWORD
	s_mov_b64 s[24:25], -1
	s_and_saveexec_b64 s[28:29], s[34:35]
; %bb.383:
	s_xor_b64 s[24:25], exec, -1
; %bb.384:
	s_or_b64 exec, exec, s[28:29]
	s_and_b64 s[24:25], s[24:25], exec
	s_or_saveexec_b64 s[26:27], s[26:27]
	v_mov_b32_e32 v1, 0x7f800001
	s_xor_b64 exec, exec, s[26:27]
	s_cbranch_execz .LBB299_374
.LBB299_385:
	v_mov_b32_e32 v1, 0
	v_cmp_ne_u16_sdwa s[28:29], v2, v1 src0_sel:BYTE_0 src1_sel:DWORD
	s_andn2_b64 s[24:25], s[24:25], exec
	s_and_b64 s[28:29], s[28:29], exec
	s_or_b64 s[24:25], s[24:25], s[28:29]
	s_or_b64 exec, exec, s[26:27]
	s_and_saveexec_b64 s[26:27], s[24:25]
	s_cbranch_execnz .LBB299_375
	s_branch .LBB299_376
.LBB299_386:
	s_mov_b64 s[26:27], 0
	s_mov_b32 s34, 0x7f800001
	s_cbranch_execz .LBB299_388
; %bb.387:
	s_and_b32 s26, 0xffff, s30
	s_cmp_lg_u32 s26, 0
	s_mov_b32 s34, 0
	s_cselect_b64 s[26:27], -1, 0
.LBB299_388:
	s_andn2_b64 vcc, exec, s[26:27]
	s_cbranch_vccnz .LBB299_390
; %bb.389:
	s_mov_b32 s34, s33
.LBB299_390:
	s_movk_i32 s26, 0x7f
	v_cmp_gt_i16_sdwa s[28:29], v8, s26 src0_sel:BYTE_0 src1_sel:DWORD
	s_mov_b64 s[26:27], 0
	s_and_saveexec_b64 s[30:31], s[28:29]
	s_xor_b64 s[28:29], exec, s[30:31]
	s_cbranch_execnz .LBB299_400
; %bb.391:
	s_or_saveexec_b64 s[28:29], s[28:29]
	v_mov_b32_e32 v1, 0x7f800001
	s_xor_b64 exec, exec, s[28:29]
	s_cbranch_execnz .LBB299_403
.LBB299_392:
	s_or_b64 exec, exec, s[28:29]
	s_and_saveexec_b64 s[28:29], s[26:27]
	s_cbranch_execz .LBB299_394
.LBB299_393:
	v_and_b32_e32 v10, 7, v8
	v_ffbh_u32_e32 v11, v10
	v_min_u32_e32 v11, 32, v11
	v_lshrrev_b16_e32 v9, 3, v8
	v_subrev_u32_e32 v12, 28, v11
	v_lshlrev_b32_e32 v1, 24, v8
	v_and_b32_e32 v9, 15, v9
	v_lshlrev_b32_e32 v8, v12, v8
	v_sub_u32_e32 v11, 29, v11
	v_and_b32_e32 v8, 7, v8
	v_cmp_eq_u32_e32 vcc, 0, v9
	v_cndmask_b32_e32 v9, v9, v11, vcc
	v_cndmask_b32_e32 v8, v10, v8, vcc
	v_mov_b32_e32 v10, 0x3b800000
	v_lshlrev_b32_e32 v8, 20, v8
	v_and_b32_e32 v1, 0x80000000, v1
	v_lshl_add_u32 v9, v9, 23, v10
	v_or3_b32 v1, v1, v9, v8
.LBB299_394:
	s_or_b64 exec, exec, s[28:29]
	v_cmp_eq_f32_e64 s[26:27], s34, v1
	s_and_b64 vcc, exec, s[4:5]
	s_cbranch_vccz .LBB299_127
.LBB299_395:
                                        ; implicit-def: $sgpr28_sgpr29
	s_cbranch_execz .LBB299_144
; %bb.396:
	s_and_b32 s34, s14, 0xff
	s_cmpk_lt_i32 s34, 0x80
	s_cbranch_scc1 .LBB299_404
; %bb.397:
	s_and_b32 s28, 0xffff, s34
	s_cmpk_eq_i32 s28, 0x80
	s_mov_b64 s[28:29], -1
	s_cbranch_scc0 .LBB299_399
; %bb.398:
	s_mov_b64 s[28:29], 0
.LBB299_399:
	s_mov_b32 s36, 0x7f800001
	s_branch .LBB299_406
.LBB299_400:
	s_movk_i32 s26, 0x80
	v_cmp_eq_u16_sdwa s[36:37], v8, s26 src0_sel:BYTE_0 src1_sel:DWORD
	s_mov_b64 s[26:27], -1
	s_and_saveexec_b64 s[30:31], s[36:37]
; %bb.401:
	s_xor_b64 s[26:27], exec, -1
; %bb.402:
	s_or_b64 exec, exec, s[30:31]
	s_and_b64 s[26:27], s[26:27], exec
	s_or_saveexec_b64 s[28:29], s[28:29]
	v_mov_b32_e32 v1, 0x7f800001
	s_xor_b64 exec, exec, s[28:29]
	s_cbranch_execz .LBB299_392
.LBB299_403:
	v_mov_b32_e32 v1, 0
	v_cmp_ne_u16_sdwa s[30:31], v8, v1 src0_sel:BYTE_0 src1_sel:DWORD
	s_andn2_b64 s[26:27], s[26:27], exec
	s_and_b64 s[30:31], s[30:31], exec
	s_or_b64 s[26:27], s[26:27], s[30:31]
	s_or_b64 exec, exec, s[28:29]
	s_and_saveexec_b64 s[28:29], s[26:27]
	s_cbranch_execnz .LBB299_393
	s_branch .LBB299_394
.LBB299_404:
	s_mov_b64 s[28:29], 0
	s_mov_b32 s36, 0x7f800001
	s_cbranch_execz .LBB299_406
; %bb.405:
	s_and_b32 s28, 0xffff, s34
	s_cmp_lg_u32 s28, 0
	s_mov_b32 s36, 0
	s_cselect_b64 s[28:29], -1, 0
.LBB299_406:
	s_andn2_b64 vcc, exec, s[28:29]
	s_cbranch_vccnz .LBB299_408
; %bb.407:
	s_mov_b32 s36, s33
.LBB299_408:
	s_movk_i32 s28, 0xff
	v_and_b32_sdwa v1, v2, s28 dst_sel:DWORD dst_unused:UNUSED_PAD src0_sel:WORD_1 src1_sel:DWORD
	s_movk_i32 s28, 0x7f
	v_cmp_lt_i16_e32 vcc, s28, v1
	s_mov_b64 s[28:29], 0
	s_and_saveexec_b64 s[30:31], vcc
	s_xor_b64 s[30:31], exec, s[30:31]
	s_cbranch_execnz .LBB299_418
; %bb.409:
	s_or_saveexec_b64 s[30:31], s[30:31]
	v_mov_b32_e32 v8, 0x7f800001
	s_xor_b64 exec, exec, s[30:31]
	s_cbranch_execnz .LBB299_421
.LBB299_410:
	s_or_b64 exec, exec, s[30:31]
	s_and_saveexec_b64 s[30:31], s[28:29]
	s_cbranch_execz .LBB299_412
.LBB299_411:
	v_mov_b32_e32 v9, 7
	v_and_b32_sdwa v9, v2, v9 dst_sel:DWORD dst_unused:UNUSED_PAD src0_sel:WORD_1 src1_sel:DWORD
	v_ffbh_u32_e32 v10, v9
	v_mov_b32_e32 v8, 3
	v_min_u32_e32 v10, 32, v10
	v_lshrrev_b16_sdwa v8, v8, v2 dst_sel:DWORD dst_unused:UNUSED_PAD src0_sel:DWORD src1_sel:WORD_1
	v_subrev_u32_e32 v11, 28, v10
	v_and_b32_e32 v8, 15, v8
	v_lshlrev_b32_sdwa v11, v11, v2 dst_sel:DWORD dst_unused:UNUSED_PAD src0_sel:DWORD src1_sel:WORD_1
	v_mov_b32_e32 v1, 24
	v_sub_u32_e32 v10, 29, v10
	v_and_b32_e32 v11, 7, v11
	v_cmp_eq_u32_e32 vcc, 0, v8
	v_lshlrev_b32_sdwa v1, v1, v2 dst_sel:DWORD dst_unused:UNUSED_PAD src0_sel:DWORD src1_sel:WORD_1
	v_cndmask_b32_e32 v8, v8, v10, vcc
	v_cndmask_b32_e32 v9, v9, v11, vcc
	v_mov_b32_e32 v10, 0x3b800000
	v_lshlrev_b32_e32 v9, 20, v9
	v_and_b32_e32 v1, 0x80000000, v1
	v_lshl_add_u32 v8, v8, 23, v10
	v_or3_b32 v8, v1, v8, v9
.LBB299_412:
	s_or_b64 exec, exec, s[30:31]
	v_cmp_eq_f32_e64 s[28:29], s36, v8
	s_and_b64 vcc, exec, s[4:5]
	s_cbranch_vccz .LBB299_145
.LBB299_413:
                                        ; implicit-def: $sgpr30_sgpr31
	s_cbranch_execz .LBB299_162
; %bb.414:
	s_and_b32 s36, s14, 0xff
	s_cmpk_lt_i32 s36, 0x80
	s_cbranch_scc1 .LBB299_422
; %bb.415:
	s_and_b32 s30, 0xffff, s36
	s_cmpk_eq_i32 s30, 0x80
	s_mov_b64 s[30:31], -1
	s_cbranch_scc0 .LBB299_417
; %bb.416:
	s_mov_b64 s[30:31], 0
.LBB299_417:
	s_mov_b32 s38, 0x7f800001
	s_branch .LBB299_424
.LBB299_418:
	s_movk_i32 s28, 0x80
	v_cmp_eq_u16_e32 vcc, s28, v1
	s_mov_b64 s[28:29], -1
	s_and_saveexec_b64 s[34:35], vcc
; %bb.419:
	s_xor_b64 s[28:29], exec, -1
; %bb.420:
	s_or_b64 exec, exec, s[34:35]
	s_and_b64 s[28:29], s[28:29], exec
                                        ; implicit-def: $vgpr1
	s_or_saveexec_b64 s[30:31], s[30:31]
	v_mov_b32_e32 v8, 0x7f800001
	s_xor_b64 exec, exec, s[30:31]
	s_cbranch_execz .LBB299_410
.LBB299_421:
	v_cmp_ne_u16_e32 vcc, 0, v1
	s_andn2_b64 s[28:29], s[28:29], exec
	s_and_b64 s[34:35], vcc, exec
	v_mov_b32_e32 v8, 0
	s_or_b64 s[28:29], s[28:29], s[34:35]
	s_or_b64 exec, exec, s[30:31]
	s_and_saveexec_b64 s[30:31], s[28:29]
	s_cbranch_execnz .LBB299_411
	s_branch .LBB299_412
.LBB299_422:
	s_mov_b64 s[30:31], 0
	s_mov_b32 s38, 0x7f800001
	s_cbranch_execz .LBB299_424
; %bb.423:
	s_and_b32 s30, 0xffff, s36
	s_cmp_lg_u32 s30, 0
	s_mov_b32 s38, 0
	s_cselect_b64 s[30:31], -1, 0
.LBB299_424:
	s_andn2_b64 vcc, exec, s[30:31]
	s_cbranch_vccnz .LBB299_426
; %bb.425:
	s_mov_b32 s38, s33
.LBB299_426:
	s_movk_i32 s30, 0x7f
	v_cmp_gt_i16_sdwa s[34:35], v2, s30 src0_sel:BYTE_3 src1_sel:DWORD
	s_mov_b64 s[30:31], 0
	s_and_saveexec_b64 s[36:37], s[34:35]
	s_xor_b64 s[34:35], exec, s[36:37]
	s_cbranch_execnz .LBB299_436
; %bb.427:
	s_or_saveexec_b64 s[34:35], s[34:35]
	v_mov_b32_e32 v1, 0x7f800001
	s_xor_b64 exec, exec, s[34:35]
	s_cbranch_execnz .LBB299_439
.LBB299_428:
	s_or_b64 exec, exec, s[34:35]
	s_and_saveexec_b64 s[34:35], s[30:31]
	s_cbranch_execz .LBB299_430
.LBB299_429:
	v_mov_b32_e32 v1, 24
	s_mov_b32 s30, 0xffff
	v_lshlrev_b32_sdwa v1, v1, v2 dst_sel:DWORD dst_unused:UNUSED_PAD src0_sel:DWORD src1_sel:BYTE_3
	v_and_b32_sdwa v2, s30, v2 dst_sel:DWORD dst_unused:UNUSED_PAD src0_sel:DWORD src1_sel:BYTE_3
	v_and_b32_e32 v8, 7, v2
	v_ffbh_u32_e32 v10, v8
	v_min_u32_e32 v10, 32, v10
	v_subrev_u32_e32 v11, 28, v10
	v_bfe_u32 v9, v2, 3, 4
	v_lshlrev_b32_e32 v2, v11, v2
	v_sub_u32_e32 v10, 29, v10
	v_and_b32_e32 v2, 7, v2
	v_cmp_eq_u32_e32 vcc, 0, v9
	v_cndmask_b32_e32 v9, v9, v10, vcc
	v_cndmask_b32_e32 v2, v8, v2, vcc
	v_mov_b32_e32 v8, 0x3b800000
	v_lshlrev_b32_e32 v2, 20, v2
	v_and_b32_e32 v1, 0x80000000, v1
	v_lshl_add_u32 v8, v9, 23, v8
	v_or3_b32 v1, v1, v8, v2
.LBB299_430:
	s_or_b64 exec, exec, s[34:35]
	v_cmp_eq_f32_e64 s[30:31], s38, v1
	s_and_b64 vcc, exec, s[4:5]
	s_cbranch_vccz .LBB299_163
.LBB299_431:
                                        ; implicit-def: $sgpr34_sgpr35
	s_cbranch_execz .LBB299_180
; %bb.432:
	s_and_b32 s38, s14, 0xff
	s_cmpk_lt_i32 s38, 0x80
	s_cbranch_scc1 .LBB299_440
; %bb.433:
	s_and_b32 s34, 0xffff, s38
	s_cmpk_eq_i32 s34, 0x80
	s_mov_b64 s[34:35], -1
	s_cbranch_scc0 .LBB299_435
; %bb.434:
	s_mov_b64 s[34:35], 0
.LBB299_435:
	s_mov_b32 s40, 0x7f800001
	s_branch .LBB299_442
.LBB299_436:
	s_movk_i32 s30, 0x80
	v_cmp_eq_u16_sdwa s[40:41], v2, s30 src0_sel:BYTE_3 src1_sel:DWORD
	s_mov_b64 s[30:31], -1
	s_and_saveexec_b64 s[36:37], s[40:41]
; %bb.437:
	s_xor_b64 s[30:31], exec, -1
; %bb.438:
	s_or_b64 exec, exec, s[36:37]
	s_and_b64 s[30:31], s[30:31], exec
	s_or_saveexec_b64 s[34:35], s[34:35]
	v_mov_b32_e32 v1, 0x7f800001
	s_xor_b64 exec, exec, s[34:35]
	s_cbranch_execz .LBB299_428
.LBB299_439:
	v_mov_b32_e32 v1, 0
	v_cmp_ne_u16_sdwa s[36:37], v2, v1 src0_sel:BYTE_3 src1_sel:DWORD
	s_andn2_b64 s[30:31], s[30:31], exec
	s_and_b64 s[36:37], s[36:37], exec
	s_or_b64 s[30:31], s[30:31], s[36:37]
	s_or_b64 exec, exec, s[34:35]
	s_and_saveexec_b64 s[34:35], s[30:31]
	s_cbranch_execnz .LBB299_429
	s_branch .LBB299_430
.LBB299_440:
	s_mov_b64 s[34:35], 0
	s_mov_b32 s40, 0x7f800001
	s_cbranch_execz .LBB299_442
; %bb.441:
	s_and_b32 s34, 0xffff, s38
	s_cmp_lg_u32 s34, 0
	s_mov_b32 s40, 0
	s_cselect_b64 s[34:35], -1, 0
.LBB299_442:
	s_andn2_b64 vcc, exec, s[34:35]
	s_cbranch_vccnz .LBB299_444
; %bb.443:
	s_mov_b32 s40, s33
.LBB299_444:
	s_movk_i32 s34, 0x7f
	v_cmp_gt_i16_sdwa s[36:37], v3, s34 src0_sel:BYTE_0 src1_sel:DWORD
	s_mov_b64 s[34:35], 0
	s_and_saveexec_b64 s[38:39], s[36:37]
	s_xor_b64 s[36:37], exec, s[38:39]
	s_cbranch_execnz .LBB299_454
; %bb.445:
	s_or_saveexec_b64 s[36:37], s[36:37]
	v_mov_b32_e32 v1, 0x7f800001
	s_xor_b64 exec, exec, s[36:37]
	s_cbranch_execnz .LBB299_457
.LBB299_446:
	s_or_b64 exec, exec, s[36:37]
	s_and_saveexec_b64 s[36:37], s[34:35]
	s_cbranch_execz .LBB299_448
.LBB299_447:
	v_and_b32_e32 v8, 7, v3
	v_ffbh_u32_e32 v9, v8
	v_min_u32_e32 v9, 32, v9
	v_lshrrev_b16_e32 v2, 3, v3
	v_subrev_u32_e32 v10, 28, v9
	v_and_b32_e32 v2, 15, v2
	v_lshlrev_b32_e32 v10, v10, v3
	v_sub_u32_e32 v9, 29, v9
	v_and_b32_e32 v10, 7, v10
	v_cmp_eq_u32_e32 vcc, 0, v2
	v_lshlrev_b32_e32 v1, 24, v3
	v_cndmask_b32_e32 v2, v2, v9, vcc
	v_cndmask_b32_e32 v8, v8, v10, vcc
	v_mov_b32_e32 v9, 0x3b800000
	v_lshlrev_b32_e32 v8, 20, v8
	v_and_b32_e32 v1, 0x80000000, v1
	v_lshl_add_u32 v2, v2, 23, v9
	v_or3_b32 v1, v1, v2, v8
.LBB299_448:
	s_or_b64 exec, exec, s[36:37]
	v_cmp_eq_f32_e64 s[34:35], s40, v1
	s_and_b64 vcc, exec, s[4:5]
	s_cbranch_vccz .LBB299_181
.LBB299_449:
                                        ; implicit-def: $sgpr36_sgpr37
	s_cbranch_execz .LBB299_198
; %bb.450:
	s_and_b32 s40, s14, 0xff
	s_cmpk_lt_i32 s40, 0x80
	s_cbranch_scc1 .LBB299_458
; %bb.451:
	s_and_b32 s36, 0xffff, s40
	s_cmpk_eq_i32 s36, 0x80
	s_mov_b64 s[36:37], -1
	s_cbranch_scc0 .LBB299_453
; %bb.452:
	s_mov_b64 s[36:37], 0
.LBB299_453:
	s_mov_b32 s42, 0x7f800001
	s_branch .LBB299_460
.LBB299_454:
	s_movk_i32 s34, 0x80
	v_cmp_eq_u16_sdwa s[42:43], v3, s34 src0_sel:BYTE_0 src1_sel:DWORD
	s_mov_b64 s[34:35], -1
	s_and_saveexec_b64 s[38:39], s[42:43]
; %bb.455:
	s_xor_b64 s[34:35], exec, -1
; %bb.456:
	s_or_b64 exec, exec, s[38:39]
	s_and_b64 s[34:35], s[34:35], exec
	s_or_saveexec_b64 s[36:37], s[36:37]
	v_mov_b32_e32 v1, 0x7f800001
	s_xor_b64 exec, exec, s[36:37]
	s_cbranch_execz .LBB299_446
.LBB299_457:
	v_mov_b32_e32 v1, 0
	v_cmp_ne_u16_sdwa s[38:39], v3, v1 src0_sel:BYTE_0 src1_sel:DWORD
	s_andn2_b64 s[34:35], s[34:35], exec
	s_and_b64 s[38:39], s[38:39], exec
	s_or_b64 s[34:35], s[34:35], s[38:39]
	s_or_b64 exec, exec, s[36:37]
	s_and_saveexec_b64 s[36:37], s[34:35]
	s_cbranch_execnz .LBB299_447
	s_branch .LBB299_448
.LBB299_458:
	s_mov_b64 s[36:37], 0
	s_mov_b32 s42, 0x7f800001
	s_cbranch_execz .LBB299_460
; %bb.459:
	s_and_b32 s36, 0xffff, s40
	s_cmp_lg_u32 s36, 0
	s_mov_b32 s42, 0
	s_cselect_b64 s[36:37], -1, 0
.LBB299_460:
	s_andn2_b64 vcc, exec, s[36:37]
	s_cbranch_vccnz .LBB299_462
; %bb.461:
	s_mov_b32 s42, s33
.LBB299_462:
	s_movk_i32 s36, 0x7f
	v_cmp_gt_i16_sdwa s[38:39], v7, s36 src0_sel:BYTE_0 src1_sel:DWORD
	s_mov_b64 s[36:37], 0
	s_and_saveexec_b64 s[40:41], s[38:39]
	s_xor_b64 s[38:39], exec, s[40:41]
	s_cbranch_execnz .LBB299_472
; %bb.463:
	s_or_saveexec_b64 s[38:39], s[38:39]
	v_mov_b32_e32 v1, 0x7f800001
	s_xor_b64 exec, exec, s[38:39]
	s_cbranch_execnz .LBB299_475
.LBB299_464:
	s_or_b64 exec, exec, s[38:39]
	s_and_saveexec_b64 s[38:39], s[36:37]
	s_cbranch_execz .LBB299_466
.LBB299_465:
	v_and_b32_e32 v8, 7, v7
	v_ffbh_u32_e32 v9, v8
	v_min_u32_e32 v9, 32, v9
	v_lshrrev_b16_e32 v2, 3, v7
	v_subrev_u32_e32 v10, 28, v9
	v_lshlrev_b32_e32 v1, 24, v7
	v_and_b32_e32 v2, 15, v2
	v_lshlrev_b32_e32 v7, v10, v7
	v_sub_u32_e32 v9, 29, v9
	v_and_b32_e32 v7, 7, v7
	v_cmp_eq_u32_e32 vcc, 0, v2
	v_cndmask_b32_e32 v2, v2, v9, vcc
	v_cndmask_b32_e32 v7, v8, v7, vcc
	v_mov_b32_e32 v8, 0x3b800000
	v_lshlrev_b32_e32 v7, 20, v7
	v_and_b32_e32 v1, 0x80000000, v1
	v_lshl_add_u32 v2, v2, 23, v8
	v_or3_b32 v1, v1, v2, v7
.LBB299_466:
	s_or_b64 exec, exec, s[38:39]
	v_cmp_eq_f32_e64 s[36:37], s42, v1
	s_and_b64 vcc, exec, s[4:5]
	s_cbranch_vccz .LBB299_199
.LBB299_467:
                                        ; implicit-def: $sgpr38_sgpr39
	s_cbranch_execz .LBB299_216
; %bb.468:
	s_and_b32 s42, s14, 0xff
	s_cmpk_lt_i32 s42, 0x80
	s_cbranch_scc1 .LBB299_476
; %bb.469:
	s_and_b32 s38, 0xffff, s42
	s_cmpk_eq_i32 s38, 0x80
	s_mov_b64 s[38:39], -1
	s_cbranch_scc0 .LBB299_471
; %bb.470:
	s_mov_b64 s[38:39], 0
.LBB299_471:
	s_mov_b32 s44, 0x7f800001
	s_branch .LBB299_478
.LBB299_472:
	s_movk_i32 s36, 0x80
	v_cmp_eq_u16_sdwa s[44:45], v7, s36 src0_sel:BYTE_0 src1_sel:DWORD
	s_mov_b64 s[36:37], -1
	s_and_saveexec_b64 s[40:41], s[44:45]
; %bb.473:
	s_xor_b64 s[36:37], exec, -1
; %bb.474:
	s_or_b64 exec, exec, s[40:41]
	s_and_b64 s[36:37], s[36:37], exec
	s_or_saveexec_b64 s[38:39], s[38:39]
	v_mov_b32_e32 v1, 0x7f800001
	s_xor_b64 exec, exec, s[38:39]
	s_cbranch_execz .LBB299_464
.LBB299_475:
	v_mov_b32_e32 v1, 0
	v_cmp_ne_u16_sdwa s[40:41], v7, v1 src0_sel:BYTE_0 src1_sel:DWORD
	s_andn2_b64 s[36:37], s[36:37], exec
	s_and_b64 s[40:41], s[40:41], exec
	s_or_b64 s[36:37], s[36:37], s[40:41]
	s_or_b64 exec, exec, s[38:39]
	s_and_saveexec_b64 s[38:39], s[36:37]
	s_cbranch_execnz .LBB299_465
	s_branch .LBB299_466
.LBB299_476:
	s_mov_b64 s[38:39], 0
	s_mov_b32 s44, 0x7f800001
	s_cbranch_execz .LBB299_478
; %bb.477:
	s_and_b32 s38, 0xffff, s42
	s_cmp_lg_u32 s38, 0
	s_mov_b32 s44, 0
	s_cselect_b64 s[38:39], -1, 0
.LBB299_478:
	s_andn2_b64 vcc, exec, s[38:39]
	s_cbranch_vccnz .LBB299_480
; %bb.479:
	s_mov_b32 s44, s33
.LBB299_480:
	s_movk_i32 s38, 0xff
	v_and_b32_sdwa v1, v3, s38 dst_sel:DWORD dst_unused:UNUSED_PAD src0_sel:WORD_1 src1_sel:DWORD
	s_movk_i32 s38, 0x7f
	v_cmp_lt_i16_e32 vcc, s38, v1
	s_mov_b64 s[38:39], 0
	s_and_saveexec_b64 s[40:41], vcc
	s_xor_b64 s[40:41], exec, s[40:41]
	s_cbranch_execnz .LBB299_490
; %bb.481:
	s_or_saveexec_b64 s[40:41], s[40:41]
	v_mov_b32_e32 v2, 0x7f800001
	s_xor_b64 exec, exec, s[40:41]
	s_cbranch_execnz .LBB299_493
.LBB299_482:
	s_or_b64 exec, exec, s[40:41]
	s_and_saveexec_b64 s[40:41], s[38:39]
	s_cbranch_execz .LBB299_484
.LBB299_483:
	v_mov_b32_e32 v7, 7
	v_and_b32_sdwa v7, v3, v7 dst_sel:DWORD dst_unused:UNUSED_PAD src0_sel:WORD_1 src1_sel:DWORD
	v_ffbh_u32_e32 v8, v7
	v_mov_b32_e32 v2, 3
	v_min_u32_e32 v8, 32, v8
	v_lshrrev_b16_sdwa v2, v2, v3 dst_sel:DWORD dst_unused:UNUSED_PAD src0_sel:DWORD src1_sel:WORD_1
	v_subrev_u32_e32 v9, 28, v8
	v_and_b32_e32 v2, 15, v2
	v_lshlrev_b32_sdwa v9, v9, v3 dst_sel:DWORD dst_unused:UNUSED_PAD src0_sel:DWORD src1_sel:WORD_1
	v_mov_b32_e32 v1, 24
	v_sub_u32_e32 v8, 29, v8
	v_and_b32_e32 v9, 7, v9
	v_cmp_eq_u32_e32 vcc, 0, v2
	v_lshlrev_b32_sdwa v1, v1, v3 dst_sel:DWORD dst_unused:UNUSED_PAD src0_sel:DWORD src1_sel:WORD_1
	v_cndmask_b32_e32 v2, v2, v8, vcc
	v_cndmask_b32_e32 v7, v7, v9, vcc
	v_mov_b32_e32 v8, 0x3b800000
	v_lshlrev_b32_e32 v7, 20, v7
	v_and_b32_e32 v1, 0x80000000, v1
	v_lshl_add_u32 v2, v2, 23, v8
	v_or3_b32 v2, v1, v2, v7
.LBB299_484:
	s_or_b64 exec, exec, s[40:41]
	v_cmp_eq_f32_e64 s[38:39], s44, v2
	s_and_b64 vcc, exec, s[4:5]
	s_cbranch_vccz .LBB299_217
.LBB299_485:
                                        ; implicit-def: $sgpr40_sgpr41
	s_cbranch_execz .LBB299_234
; %bb.486:
	s_and_b32 s44, s14, 0xff
	s_cmpk_lt_i32 s44, 0x80
	s_cbranch_scc1 .LBB299_494
; %bb.487:
	s_and_b32 s40, 0xffff, s44
	s_cmpk_eq_i32 s40, 0x80
	s_mov_b64 s[40:41], -1
	s_cbranch_scc0 .LBB299_489
; %bb.488:
	s_mov_b64 s[40:41], 0
.LBB299_489:
	s_mov_b32 s46, 0x7f800001
	s_branch .LBB299_496
.LBB299_490:
	s_movk_i32 s38, 0x80
	v_cmp_eq_u16_e32 vcc, s38, v1
	s_mov_b64 s[38:39], -1
	s_and_saveexec_b64 s[42:43], vcc
; %bb.491:
	s_xor_b64 s[38:39], exec, -1
; %bb.492:
	s_or_b64 exec, exec, s[42:43]
	s_and_b64 s[38:39], s[38:39], exec
                                        ; implicit-def: $vgpr1
	s_or_saveexec_b64 s[40:41], s[40:41]
	v_mov_b32_e32 v2, 0x7f800001
	s_xor_b64 exec, exec, s[40:41]
	s_cbranch_execz .LBB299_482
.LBB299_493:
	v_cmp_ne_u16_e32 vcc, 0, v1
	s_andn2_b64 s[38:39], s[38:39], exec
	s_and_b64 s[42:43], vcc, exec
	v_mov_b32_e32 v2, 0
	s_or_b64 s[38:39], s[38:39], s[42:43]
	s_or_b64 exec, exec, s[40:41]
	s_and_saveexec_b64 s[40:41], s[38:39]
	s_cbranch_execnz .LBB299_483
	s_branch .LBB299_484
.LBB299_494:
	s_mov_b64 s[40:41], 0
	s_mov_b32 s46, 0x7f800001
	s_cbranch_execz .LBB299_496
; %bb.495:
	s_and_b32 s40, 0xffff, s44
	s_cmp_lg_u32 s40, 0
	s_mov_b32 s46, 0
	s_cselect_b64 s[40:41], -1, 0
.LBB299_496:
	s_andn2_b64 vcc, exec, s[40:41]
	s_cbranch_vccnz .LBB299_498
; %bb.497:
	s_mov_b32 s46, s33
.LBB299_498:
	s_movk_i32 s40, 0x7f
	v_cmp_gt_i16_sdwa s[42:43], v3, s40 src0_sel:BYTE_3 src1_sel:DWORD
	s_mov_b64 s[40:41], 0
	s_and_saveexec_b64 s[44:45], s[42:43]
	s_xor_b64 s[42:43], exec, s[44:45]
	s_cbranch_execnz .LBB299_508
; %bb.499:
	s_or_saveexec_b64 s[42:43], s[42:43]
	v_mov_b32_e32 v1, 0x7f800001
	s_xor_b64 exec, exec, s[42:43]
	s_cbranch_execnz .LBB299_511
.LBB299_500:
	s_or_b64 exec, exec, s[42:43]
	s_and_saveexec_b64 s[42:43], s[40:41]
	s_cbranch_execz .LBB299_502
.LBB299_501:
	s_mov_b32 s40, 0xffff
	v_mov_b32_e32 v1, 24
	v_and_b32_sdwa v2, s40, v3 dst_sel:DWORD dst_unused:UNUSED_PAD src0_sel:DWORD src1_sel:BYTE_3
	v_lshlrev_b32_sdwa v1, v1, v3 dst_sel:DWORD dst_unused:UNUSED_PAD src0_sel:DWORD src1_sel:BYTE_3
	v_and_b32_e32 v3, 7, v2
	v_ffbh_u32_e32 v8, v3
	v_min_u32_e32 v8, 32, v8
	v_subrev_u32_e32 v9, 28, v8
	v_bfe_u32 v7, v2, 3, 4
	v_lshlrev_b32_e32 v2, v9, v2
	v_sub_u32_e32 v8, 29, v8
	v_and_b32_e32 v2, 7, v2
	v_cmp_eq_u32_e32 vcc, 0, v7
	v_cndmask_b32_e32 v7, v7, v8, vcc
	v_cndmask_b32_e32 v2, v3, v2, vcc
	v_mov_b32_e32 v3, 0x3b800000
	v_lshlrev_b32_e32 v2, 20, v2
	v_and_b32_e32 v1, 0x80000000, v1
	v_lshl_add_u32 v3, v7, 23, v3
	v_or3_b32 v1, v1, v3, v2
.LBB299_502:
	s_or_b64 exec, exec, s[42:43]
	v_cmp_eq_f32_e64 s[40:41], s46, v1
	s_and_b64 vcc, exec, s[4:5]
	s_cbranch_vccz .LBB299_235
.LBB299_503:
                                        ; implicit-def: $sgpr42_sgpr43
	s_cbranch_execz .LBB299_252
; %bb.504:
	s_and_b32 s46, s14, 0xff
	s_cmpk_lt_i32 s46, 0x80
	s_cbranch_scc1 .LBB299_512
; %bb.505:
	s_and_b32 s42, 0xffff, s46
	s_cmpk_eq_i32 s42, 0x80
	s_mov_b64 s[42:43], -1
	s_cbranch_scc0 .LBB299_507
; %bb.506:
	s_mov_b64 s[42:43], 0
.LBB299_507:
	s_mov_b32 s48, 0x7f800001
	s_branch .LBB299_514
.LBB299_508:
	s_movk_i32 s40, 0x80
	v_cmp_eq_u16_sdwa s[48:49], v3, s40 src0_sel:BYTE_3 src1_sel:DWORD
	s_mov_b64 s[40:41], -1
	s_and_saveexec_b64 s[44:45], s[48:49]
; %bb.509:
	s_xor_b64 s[40:41], exec, -1
; %bb.510:
	s_or_b64 exec, exec, s[44:45]
	s_and_b64 s[40:41], s[40:41], exec
	s_or_saveexec_b64 s[42:43], s[42:43]
	v_mov_b32_e32 v1, 0x7f800001
	s_xor_b64 exec, exec, s[42:43]
	s_cbranch_execz .LBB299_500
.LBB299_511:
	v_mov_b32_e32 v1, 0
	v_cmp_ne_u16_sdwa s[44:45], v3, v1 src0_sel:BYTE_3 src1_sel:DWORD
	s_andn2_b64 s[40:41], s[40:41], exec
	s_and_b64 s[44:45], s[44:45], exec
	s_or_b64 s[40:41], s[40:41], s[44:45]
	s_or_b64 exec, exec, s[42:43]
	s_and_saveexec_b64 s[42:43], s[40:41]
	s_cbranch_execnz .LBB299_501
	s_branch .LBB299_502
.LBB299_512:
	s_mov_b64 s[42:43], 0
	s_mov_b32 s48, 0x7f800001
	s_cbranch_execz .LBB299_514
; %bb.513:
	s_and_b32 s42, 0xffff, s46
	s_cmp_lg_u32 s42, 0
	s_mov_b32 s48, 0
	s_cselect_b64 s[42:43], -1, 0
.LBB299_514:
	s_andn2_b64 vcc, exec, s[42:43]
	s_cbranch_vccnz .LBB299_516
; %bb.515:
	s_mov_b32 s48, s33
.LBB299_516:
	s_movk_i32 s42, 0x7f
	v_cmp_gt_i16_sdwa s[44:45], v4, s42 src0_sel:BYTE_0 src1_sel:DWORD
	s_mov_b64 s[42:43], 0
	s_and_saveexec_b64 s[46:47], s[44:45]
	s_xor_b64 s[44:45], exec, s[46:47]
	s_cbranch_execnz .LBB299_526
; %bb.517:
	s_or_saveexec_b64 s[44:45], s[44:45]
	v_mov_b32_e32 v1, 0x7f800001
	s_xor_b64 exec, exec, s[44:45]
	s_cbranch_execnz .LBB299_529
.LBB299_518:
	s_or_b64 exec, exec, s[44:45]
	s_and_saveexec_b64 s[44:45], s[42:43]
	s_cbranch_execz .LBB299_520
.LBB299_519:
	v_and_b32_e32 v3, 7, v4
	v_ffbh_u32_e32 v7, v3
	v_min_u32_e32 v7, 32, v7
	v_lshrrev_b16_e32 v2, 3, v4
	v_subrev_u32_e32 v8, 28, v7
	v_and_b32_e32 v2, 15, v2
	v_lshlrev_b32_e32 v8, v8, v4
	v_sub_u32_e32 v7, 29, v7
	v_and_b32_e32 v8, 7, v8
	v_cmp_eq_u32_e32 vcc, 0, v2
	v_lshlrev_b32_e32 v1, 24, v4
	v_cndmask_b32_e32 v2, v2, v7, vcc
	v_cndmask_b32_e32 v3, v3, v8, vcc
	v_mov_b32_e32 v7, 0x3b800000
	v_lshlrev_b32_e32 v3, 20, v3
	v_and_b32_e32 v1, 0x80000000, v1
	v_lshl_add_u32 v2, v2, 23, v7
	v_or3_b32 v1, v1, v2, v3
.LBB299_520:
	s_or_b64 exec, exec, s[44:45]
	v_cmp_eq_f32_e64 s[42:43], s48, v1
	s_and_b64 vcc, exec, s[4:5]
	s_cbranch_vccz .LBB299_253
.LBB299_521:
                                        ; implicit-def: $sgpr44_sgpr45
	s_cbranch_execz .LBB299_270
; %bb.522:
	s_and_b32 s48, s14, 0xff
	s_cmpk_lt_i32 s48, 0x80
	s_cbranch_scc1 .LBB299_530
; %bb.523:
	s_and_b32 s44, 0xffff, s48
	s_cmpk_eq_i32 s44, 0x80
	s_mov_b64 s[44:45], -1
	s_cbranch_scc0 .LBB299_525
; %bb.524:
	s_mov_b64 s[44:45], 0
.LBB299_525:
	s_mov_b32 s50, 0x7f800001
	s_branch .LBB299_532
.LBB299_526:
	s_movk_i32 s42, 0x80
	v_cmp_eq_u16_sdwa s[50:51], v4, s42 src0_sel:BYTE_0 src1_sel:DWORD
	s_mov_b64 s[42:43], -1
	s_and_saveexec_b64 s[46:47], s[50:51]
; %bb.527:
	s_xor_b64 s[42:43], exec, -1
; %bb.528:
	s_or_b64 exec, exec, s[46:47]
	s_and_b64 s[42:43], s[42:43], exec
	s_or_saveexec_b64 s[44:45], s[44:45]
	v_mov_b32_e32 v1, 0x7f800001
	s_xor_b64 exec, exec, s[44:45]
	s_cbranch_execz .LBB299_518
.LBB299_529:
	v_mov_b32_e32 v1, 0
	v_cmp_ne_u16_sdwa s[46:47], v4, v1 src0_sel:BYTE_0 src1_sel:DWORD
	s_andn2_b64 s[42:43], s[42:43], exec
	s_and_b64 s[46:47], s[46:47], exec
	s_or_b64 s[42:43], s[42:43], s[46:47]
	s_or_b64 exec, exec, s[44:45]
	s_and_saveexec_b64 s[44:45], s[42:43]
	s_cbranch_execnz .LBB299_519
	s_branch .LBB299_520
.LBB299_530:
	s_mov_b64 s[44:45], 0
	s_mov_b32 s50, 0x7f800001
	s_cbranch_execz .LBB299_532
; %bb.531:
	s_and_b32 s44, 0xffff, s48
	s_cmp_lg_u32 s44, 0
	s_mov_b32 s50, 0
	s_cselect_b64 s[44:45], -1, 0
.LBB299_532:
	s_andn2_b64 vcc, exec, s[44:45]
	s_cbranch_vccnz .LBB299_534
; %bb.533:
	s_mov_b32 s50, s33
.LBB299_534:
	s_movk_i32 s44, 0x7f
	v_cmp_gt_i16_sdwa s[46:47], v6, s44 src0_sel:BYTE_0 src1_sel:DWORD
	s_mov_b64 s[44:45], 0
	s_and_saveexec_b64 s[48:49], s[46:47]
	s_xor_b64 s[46:47], exec, s[48:49]
	s_cbranch_execnz .LBB299_544
; %bb.535:
	s_or_saveexec_b64 s[46:47], s[46:47]
	v_mov_b32_e32 v1, 0x7f800001
	s_xor_b64 exec, exec, s[46:47]
	s_cbranch_execnz .LBB299_547
.LBB299_536:
	s_or_b64 exec, exec, s[46:47]
	s_and_saveexec_b64 s[46:47], s[44:45]
	s_cbranch_execz .LBB299_538
.LBB299_537:
	v_and_b32_e32 v3, 7, v6
	v_ffbh_u32_e32 v7, v3
	v_min_u32_e32 v7, 32, v7
	v_lshrrev_b16_e32 v2, 3, v6
	v_subrev_u32_e32 v8, 28, v7
	v_lshlrev_b32_e32 v1, 24, v6
	v_and_b32_e32 v2, 15, v2
	v_lshlrev_b32_e32 v6, v8, v6
	v_sub_u32_e32 v7, 29, v7
	v_and_b32_e32 v6, 7, v6
	v_cmp_eq_u32_e32 vcc, 0, v2
	v_cndmask_b32_e32 v2, v2, v7, vcc
	v_cndmask_b32_e32 v3, v3, v6, vcc
	v_mov_b32_e32 v6, 0x3b800000
	v_lshlrev_b32_e32 v3, 20, v3
	v_and_b32_e32 v1, 0x80000000, v1
	v_lshl_add_u32 v2, v2, 23, v6
	v_or3_b32 v1, v1, v2, v3
.LBB299_538:
	s_or_b64 exec, exec, s[46:47]
	v_cmp_eq_f32_e64 s[44:45], s50, v1
	s_and_b64 vcc, exec, s[4:5]
	s_cbranch_vccz .LBB299_271
.LBB299_539:
                                        ; implicit-def: $sgpr46_sgpr47
	s_cbranch_execz .LBB299_288
; %bb.540:
	s_and_b32 s50, s14, 0xff
	s_cmpk_lt_i32 s50, 0x80
	s_cbranch_scc1 .LBB299_548
; %bb.541:
	s_and_b32 s46, 0xffff, s50
	s_cmpk_eq_i32 s46, 0x80
	s_mov_b64 s[46:47], -1
	s_cbranch_scc0 .LBB299_543
; %bb.542:
	s_mov_b64 s[46:47], 0
.LBB299_543:
	s_mov_b32 s52, 0x7f800001
	s_branch .LBB299_550
.LBB299_544:
	s_movk_i32 s44, 0x80
	v_cmp_eq_u16_sdwa s[52:53], v6, s44 src0_sel:BYTE_0 src1_sel:DWORD
	s_mov_b64 s[44:45], -1
	s_and_saveexec_b64 s[48:49], s[52:53]
; %bb.545:
	s_xor_b64 s[44:45], exec, -1
; %bb.546:
	s_or_b64 exec, exec, s[48:49]
	s_and_b64 s[44:45], s[44:45], exec
	s_or_saveexec_b64 s[46:47], s[46:47]
	v_mov_b32_e32 v1, 0x7f800001
	s_xor_b64 exec, exec, s[46:47]
	s_cbranch_execz .LBB299_536
.LBB299_547:
	v_mov_b32_e32 v1, 0
	v_cmp_ne_u16_sdwa s[48:49], v6, v1 src0_sel:BYTE_0 src1_sel:DWORD
	s_andn2_b64 s[44:45], s[44:45], exec
	s_and_b64 s[48:49], s[48:49], exec
	s_or_b64 s[44:45], s[44:45], s[48:49]
	s_or_b64 exec, exec, s[46:47]
	s_and_saveexec_b64 s[46:47], s[44:45]
	s_cbranch_execnz .LBB299_537
	s_branch .LBB299_538
.LBB299_548:
	s_mov_b64 s[46:47], 0
	s_mov_b32 s52, 0x7f800001
	s_cbranch_execz .LBB299_550
; %bb.549:
	s_and_b32 s46, 0xffff, s50
	s_cmp_lg_u32 s46, 0
	s_mov_b32 s52, 0
	s_cselect_b64 s[46:47], -1, 0
.LBB299_550:
	s_andn2_b64 vcc, exec, s[46:47]
	s_cbranch_vccnz .LBB299_552
; %bb.551:
	s_mov_b32 s52, s33
.LBB299_552:
	s_movk_i32 s46, 0xff
	v_and_b32_sdwa v1, v4, s46 dst_sel:DWORD dst_unused:UNUSED_PAD src0_sel:WORD_1 src1_sel:DWORD
	s_movk_i32 s46, 0x7f
	v_cmp_lt_i16_e32 vcc, s46, v1
	s_mov_b64 s[46:47], 0
	s_and_saveexec_b64 s[48:49], vcc
	s_xor_b64 s[48:49], exec, s[48:49]
	s_cbranch_execnz .LBB299_562
; %bb.553:
	s_or_saveexec_b64 s[48:49], s[48:49]
	v_mov_b32_e32 v2, 0x7f800001
	s_xor_b64 exec, exec, s[48:49]
	s_cbranch_execnz .LBB299_565
.LBB299_554:
	s_or_b64 exec, exec, s[48:49]
	s_and_saveexec_b64 s[48:49], s[46:47]
	s_cbranch_execz .LBB299_556
.LBB299_555:
	v_mov_b32_e32 v3, 7
	v_and_b32_sdwa v3, v4, v3 dst_sel:DWORD dst_unused:UNUSED_PAD src0_sel:WORD_1 src1_sel:DWORD
	v_ffbh_u32_e32 v6, v3
	v_mov_b32_e32 v2, 3
	v_min_u32_e32 v6, 32, v6
	v_lshrrev_b16_sdwa v2, v2, v4 dst_sel:DWORD dst_unused:UNUSED_PAD src0_sel:DWORD src1_sel:WORD_1
	v_subrev_u32_e32 v7, 28, v6
	v_and_b32_e32 v2, 15, v2
	v_lshlrev_b32_sdwa v7, v7, v4 dst_sel:DWORD dst_unused:UNUSED_PAD src0_sel:DWORD src1_sel:WORD_1
	v_mov_b32_e32 v1, 24
	v_sub_u32_e32 v6, 29, v6
	v_and_b32_e32 v7, 7, v7
	v_cmp_eq_u32_e32 vcc, 0, v2
	v_lshlrev_b32_sdwa v1, v1, v4 dst_sel:DWORD dst_unused:UNUSED_PAD src0_sel:DWORD src1_sel:WORD_1
	v_cndmask_b32_e32 v2, v2, v6, vcc
	v_cndmask_b32_e32 v3, v3, v7, vcc
	v_mov_b32_e32 v6, 0x3b800000
	v_lshlrev_b32_e32 v3, 20, v3
	v_and_b32_e32 v1, 0x80000000, v1
	v_lshl_add_u32 v2, v2, 23, v6
	v_or3_b32 v2, v1, v2, v3
.LBB299_556:
	s_or_b64 exec, exec, s[48:49]
	v_cmp_eq_f32_e64 s[46:47], s52, v2
	s_and_b64 vcc, exec, s[4:5]
	s_cbranch_vccz .LBB299_289
.LBB299_557:
                                        ; implicit-def: $sgpr4_sgpr5
	s_cbranch_execz .LBB299_575
; %bb.558:
	s_and_b32 s50, s14, 0xff
	s_cmpk_lt_i32 s50, 0x80
	s_cbranch_scc1 .LBB299_566
; %bb.559:
	s_and_b32 s4, 0xffff, s50
	s_cmpk_eq_i32 s4, 0x80
	s_mov_b64 s[4:5], -1
	s_cbranch_scc0 .LBB299_561
; %bb.560:
	s_mov_b64 s[4:5], 0
.LBB299_561:
	s_mov_b32 s52, 0x7f800001
	s_branch .LBB299_568
.LBB299_562:
	s_movk_i32 s46, 0x80
	v_cmp_eq_u16_e32 vcc, s46, v1
	s_mov_b64 s[46:47], -1
	s_and_saveexec_b64 s[50:51], vcc
; %bb.563:
	s_xor_b64 s[46:47], exec, -1
; %bb.564:
	s_or_b64 exec, exec, s[50:51]
	s_and_b64 s[46:47], s[46:47], exec
                                        ; implicit-def: $vgpr1
	s_or_saveexec_b64 s[48:49], s[48:49]
	v_mov_b32_e32 v2, 0x7f800001
	s_xor_b64 exec, exec, s[48:49]
	s_cbranch_execz .LBB299_554
.LBB299_565:
	v_cmp_ne_u16_e32 vcc, 0, v1
	s_andn2_b64 s[46:47], s[46:47], exec
	s_and_b64 s[50:51], vcc, exec
	v_mov_b32_e32 v2, 0
	s_or_b64 s[46:47], s[46:47], s[50:51]
	s_or_b64 exec, exec, s[48:49]
	s_and_saveexec_b64 s[48:49], s[46:47]
	s_cbranch_execnz .LBB299_555
	s_branch .LBB299_556
.LBB299_566:
	s_mov_b64 s[4:5], 0
	s_mov_b32 s52, 0x7f800001
	s_cbranch_execz .LBB299_568
; %bb.567:
	s_and_b32 s4, 0xffff, s50
	s_cmp_lg_u32 s4, 0
	s_mov_b32 s52, 0
	s_cselect_b64 s[4:5], -1, 0
.LBB299_568:
	s_andn2_b64 vcc, exec, s[4:5]
	s_cbranch_vccnz .LBB299_570
; %bb.569:
	s_mov_b32 s52, s33
.LBB299_570:
	s_movk_i32 s4, 0x7f
	v_cmp_gt_i16_sdwa s[48:49], v4, s4 src0_sel:BYTE_3 src1_sel:DWORD
	s_mov_b64 s[4:5], 0
	s_and_saveexec_b64 s[50:51], s[48:49]
	s_xor_b64 s[48:49], exec, s[50:51]
	s_cbranch_execnz .LBB299_577
; %bb.571:
	s_or_saveexec_b64 s[48:49], s[48:49]
	v_mov_b32_e32 v1, 0x7f800001
	s_xor_b64 exec, exec, s[48:49]
	s_cbranch_execnz .LBB299_580
.LBB299_572:
	s_or_b64 exec, exec, s[48:49]
	s_and_saveexec_b64 s[48:49], s[4:5]
	s_cbranch_execz .LBB299_574
.LBB299_573:
	s_mov_b32 s4, 0xffff
	v_and_b32_sdwa v2, s4, v4 dst_sel:DWORD dst_unused:UNUSED_PAD src0_sel:DWORD src1_sel:BYTE_3
	v_and_b32_e32 v3, 7, v2
	v_ffbh_u32_e32 v6, v3
	v_min_u32_e32 v6, 32, v6
	v_mov_b32_e32 v1, 24
	v_subrev_u32_e32 v7, 28, v6
	v_lshlrev_b32_sdwa v1, v1, v4 dst_sel:DWORD dst_unused:UNUSED_PAD src0_sel:DWORD src1_sel:BYTE_3
	v_bfe_u32 v4, v2, 3, 4
	v_lshlrev_b32_e32 v2, v7, v2
	v_sub_u32_e32 v6, 29, v6
	v_and_b32_e32 v2, 7, v2
	v_cmp_eq_u32_e32 vcc, 0, v4
	v_cndmask_b32_e32 v4, v4, v6, vcc
	v_cndmask_b32_e32 v2, v3, v2, vcc
	v_mov_b32_e32 v3, 0x3b800000
	v_lshlrev_b32_e32 v2, 20, v2
	v_and_b32_e32 v1, 0x80000000, v1
	v_lshl_add_u32 v3, v4, 23, v3
	v_or3_b32 v1, v1, v3, v2
.LBB299_574:
	s_or_b64 exec, exec, s[48:49]
	v_cmp_eq_f32_e64 s[4:5], s52, v1
.LBB299_575:
	v_cndmask_b32_e64 v1, 0, 1, s[10:11]
	v_lshlrev_b16_e32 v1, 8, v1
	v_cndmask_b32_e64 v2, 0, 1, s[8:9]
	v_or_b32_e32 v1, v2, v1
	v_cndmask_b32_e64 v2, 0, 1, s[22:23]
	v_lshlrev_b16_e32 v2, 8, v2
	v_cndmask_b32_e64 v3, 0, 1, s[20:21]
	v_or_b32_sdwa v2, v3, v2 dst_sel:WORD_1 dst_unused:UNUSED_PAD src0_sel:DWORD src1_sel:DWORD
	v_or_b32_sdwa v1, v1, v2 dst_sel:DWORD dst_unused:UNUSED_PAD src0_sel:WORD_0 src1_sel:DWORD
	v_cndmask_b32_e64 v2, 0, 1, s[26:27]
	v_lshlrev_b16_e32 v2, 8, v2
	v_cndmask_b32_e64 v3, 0, 1, s[24:25]
	v_or_b32_e32 v2, v3, v2
	v_cndmask_b32_e64 v3, 0, 1, s[30:31]
	v_lshlrev_b16_e32 v3, 8, v3
	v_cndmask_b32_e64 v4, 0, 1, s[28:29]
	v_or_b32_sdwa v3, v4, v3 dst_sel:WORD_1 dst_unused:UNUSED_PAD src0_sel:DWORD src1_sel:DWORD
	v_or_b32_sdwa v2, v2, v3 dst_sel:DWORD dst_unused:UNUSED_PAD src0_sel:WORD_0 src1_sel:DWORD
	;; [unrolled: 9-line block ×3, first 2 shown]
	v_cndmask_b32_e64 v4, 0, 1, s[44:45]
	v_lshlrev_b16_e32 v4, 8, v4
	v_cndmask_b32_e64 v6, 0, 1, s[42:43]
	v_or_b32_e32 v4, v6, v4
	v_cndmask_b32_e64 v6, 0, 1, s[4:5]
	v_lshlrev_b16_e32 v6, 8, v6
	v_cndmask_b32_e64 v7, 0, 1, s[46:47]
	s_add_u32 s48, s16, s15
	v_or_b32_sdwa v6, v7, v6 dst_sel:WORD_1 dst_unused:UNUSED_PAD src0_sel:DWORD src1_sel:DWORD
	s_addc_u32 s49, s17, s12
	v_or_b32_sdwa v4, v4, v6 dst_sel:DWORD dst_unused:UNUSED_PAD src0_sel:WORD_0 src1_sel:DWORD
	global_store_dwordx4 v5, v[1:4], s[48:49]
	s_branch .LBB299_2
.LBB299_576:
	s_getpc_b64 s[4:5]
	s_add_u32 s4, s4, _ZN2at6native25elementwise_kernel_helperILb0ENS0_13AUnaryFunctorIN3c1015Float8_e4m3fnuzES4_bNS0_12_GLOBAL__N_116CompareEqFunctorIS4_EEEENS0_6memory8policies11unroll_baseILi256ESt5arrayIPcLm2EE23TrivialOffsetCalculatorILi1EjESG_NS9_15LoadWithoutCastENS9_16StoreWithoutCastELi16ELi1EEEEEvT0_T1_@rel32@lo+4
	s_addc_u32 s5, s5, _ZN2at6native25elementwise_kernel_helperILb0ENS0_13AUnaryFunctorIN3c1015Float8_e4m3fnuzES4_bNS0_12_GLOBAL__N_116CompareEqFunctorIS4_EEEENS0_6memory8policies11unroll_baseILi256ESt5arrayIPcLm2EE23TrivialOffsetCalculatorILi1EjESG_NS9_15LoadWithoutCastENS9_16StoreWithoutCastELi16ELi1EEEEEvT0_T1_@rel32@hi+12
	s_mov_b32 s12, s6
	v_mov_b32_e32 v31, v0
	v_mov_b32_e32 v0, s13
	;; [unrolled: 1-line block ×8, first 2 shown]
	s_swappc_b64 s[30:31], s[4:5]
	s_endpgm
.LBB299_577:
	s_movk_i32 s4, 0x80
	v_cmp_eq_u16_sdwa s[54:55], v4, s4 src0_sel:BYTE_3 src1_sel:DWORD
	s_mov_b64 s[4:5], -1
	s_and_saveexec_b64 s[50:51], s[54:55]
; %bb.578:
	s_xor_b64 s[4:5], exec, -1
; %bb.579:
	s_or_b64 exec, exec, s[50:51]
	s_and_b64 s[4:5], s[4:5], exec
	s_or_saveexec_b64 s[48:49], s[48:49]
	v_mov_b32_e32 v1, 0x7f800001
	s_xor_b64 exec, exec, s[48:49]
	s_cbranch_execz .LBB299_572
.LBB299_580:
	v_mov_b32_e32 v1, 0
	v_cmp_ne_u16_sdwa s[50:51], v4, v1 src0_sel:BYTE_3 src1_sel:DWORD
	s_andn2_b64 s[4:5], s[4:5], exec
	s_and_b64 s[50:51], s[50:51], exec
	s_or_b64 s[4:5], s[4:5], s[50:51]
	s_or_b64 exec, exec, s[48:49]
	s_and_saveexec_b64 s[48:49], s[4:5]
	s_cbranch_execnz .LBB299_573
	s_branch .LBB299_574
	.section	.rodata,"a",@progbits
	.p2align	6, 0x0
	.amdhsa_kernel _ZN2at6native29vectorized_elementwise_kernelILi16ENS0_13AUnaryFunctorIN3c1015Float8_e4m3fnuzES4_bNS0_12_GLOBAL__N_116CompareEqFunctorIS4_EEEESt5arrayIPcLm2EEEEviT0_T1_
		.amdhsa_group_segment_fixed_size 0
		.amdhsa_private_segment_fixed_size 0
		.amdhsa_kernarg_size 32
		.amdhsa_user_sgpr_count 6
		.amdhsa_user_sgpr_private_segment_buffer 1
		.amdhsa_user_sgpr_dispatch_ptr 0
		.amdhsa_user_sgpr_queue_ptr 0
		.amdhsa_user_sgpr_kernarg_segment_ptr 1
		.amdhsa_user_sgpr_dispatch_id 0
		.amdhsa_user_sgpr_flat_scratch_init 0
		.amdhsa_user_sgpr_private_segment_size 0
		.amdhsa_uses_dynamic_stack 0
		.amdhsa_system_sgpr_private_segment_wavefront_offset 0
		.amdhsa_system_sgpr_workgroup_id_x 1
		.amdhsa_system_sgpr_workgroup_id_y 0
		.amdhsa_system_sgpr_workgroup_id_z 0
		.amdhsa_system_sgpr_workgroup_info 0
		.amdhsa_system_vgpr_workitem_id 0
		.amdhsa_next_free_vgpr 32
		.amdhsa_next_free_sgpr 57
		.amdhsa_reserve_vcc 1
		.amdhsa_reserve_flat_scratch 0
		.amdhsa_float_round_mode_32 0
		.amdhsa_float_round_mode_16_64 0
		.amdhsa_float_denorm_mode_32 3
		.amdhsa_float_denorm_mode_16_64 3
		.amdhsa_dx10_clamp 1
		.amdhsa_ieee_mode 1
		.amdhsa_fp16_overflow 0
		.amdhsa_exception_fp_ieee_invalid_op 0
		.amdhsa_exception_fp_denorm_src 0
		.amdhsa_exception_fp_ieee_div_zero 0
		.amdhsa_exception_fp_ieee_overflow 0
		.amdhsa_exception_fp_ieee_underflow 0
		.amdhsa_exception_fp_ieee_inexact 0
		.amdhsa_exception_int_div_zero 0
	.end_amdhsa_kernel
	.section	.text._ZN2at6native29vectorized_elementwise_kernelILi16ENS0_13AUnaryFunctorIN3c1015Float8_e4m3fnuzES4_bNS0_12_GLOBAL__N_116CompareEqFunctorIS4_EEEESt5arrayIPcLm2EEEEviT0_T1_,"axG",@progbits,_ZN2at6native29vectorized_elementwise_kernelILi16ENS0_13AUnaryFunctorIN3c1015Float8_e4m3fnuzES4_bNS0_12_GLOBAL__N_116CompareEqFunctorIS4_EEEESt5arrayIPcLm2EEEEviT0_T1_,comdat
.Lfunc_end299:
	.size	_ZN2at6native29vectorized_elementwise_kernelILi16ENS0_13AUnaryFunctorIN3c1015Float8_e4m3fnuzES4_bNS0_12_GLOBAL__N_116CompareEqFunctorIS4_EEEESt5arrayIPcLm2EEEEviT0_T1_, .Lfunc_end299-_ZN2at6native29vectorized_elementwise_kernelILi16ENS0_13AUnaryFunctorIN3c1015Float8_e4m3fnuzES4_bNS0_12_GLOBAL__N_116CompareEqFunctorIS4_EEEESt5arrayIPcLm2EEEEviT0_T1_
                                        ; -- End function
	.set _ZN2at6native29vectorized_elementwise_kernelILi16ENS0_13AUnaryFunctorIN3c1015Float8_e4m3fnuzES4_bNS0_12_GLOBAL__N_116CompareEqFunctorIS4_EEEESt5arrayIPcLm2EEEEviT0_T1_.num_vgpr, max(32, .L_ZN2at6native25elementwise_kernel_helperILb0ENS0_13AUnaryFunctorIN3c1015Float8_e4m3fnuzES4_bNS0_12_GLOBAL__N_116CompareEqFunctorIS4_EEEENS0_6memory8policies11unroll_baseILi256ESt5arrayIPcLm2EE23TrivialOffsetCalculatorILi1EjESG_NS9_15LoadWithoutCastENS9_16StoreWithoutCastELi16ELi1EEEEEvT0_T1_.num_vgpr)
	.set _ZN2at6native29vectorized_elementwise_kernelILi16ENS0_13AUnaryFunctorIN3c1015Float8_e4m3fnuzES4_bNS0_12_GLOBAL__N_116CompareEqFunctorIS4_EEEESt5arrayIPcLm2EEEEviT0_T1_.num_agpr, max(0, .L_ZN2at6native25elementwise_kernel_helperILb0ENS0_13AUnaryFunctorIN3c1015Float8_e4m3fnuzES4_bNS0_12_GLOBAL__N_116CompareEqFunctorIS4_EEEENS0_6memory8policies11unroll_baseILi256ESt5arrayIPcLm2EE23TrivialOffsetCalculatorILi1EjESG_NS9_15LoadWithoutCastENS9_16StoreWithoutCastELi16ELi1EEEEEvT0_T1_.num_agpr)
	.set _ZN2at6native29vectorized_elementwise_kernelILi16ENS0_13AUnaryFunctorIN3c1015Float8_e4m3fnuzES4_bNS0_12_GLOBAL__N_116CompareEqFunctorIS4_EEEESt5arrayIPcLm2EEEEviT0_T1_.numbered_sgpr, max(56, .L_ZN2at6native25elementwise_kernel_helperILb0ENS0_13AUnaryFunctorIN3c1015Float8_e4m3fnuzES4_bNS0_12_GLOBAL__N_116CompareEqFunctorIS4_EEEENS0_6memory8policies11unroll_baseILi256ESt5arrayIPcLm2EE23TrivialOffsetCalculatorILi1EjESG_NS9_15LoadWithoutCastENS9_16StoreWithoutCastELi16ELi1EEEEEvT0_T1_.numbered_sgpr)
	.set _ZN2at6native29vectorized_elementwise_kernelILi16ENS0_13AUnaryFunctorIN3c1015Float8_e4m3fnuzES4_bNS0_12_GLOBAL__N_116CompareEqFunctorIS4_EEEESt5arrayIPcLm2EEEEviT0_T1_.num_named_barrier, max(0, .L_ZN2at6native25elementwise_kernel_helperILb0ENS0_13AUnaryFunctorIN3c1015Float8_e4m3fnuzES4_bNS0_12_GLOBAL__N_116CompareEqFunctorIS4_EEEENS0_6memory8policies11unroll_baseILi256ESt5arrayIPcLm2EE23TrivialOffsetCalculatorILi1EjESG_NS9_15LoadWithoutCastENS9_16StoreWithoutCastELi16ELi1EEEEEvT0_T1_.num_named_barrier)
	.set _ZN2at6native29vectorized_elementwise_kernelILi16ENS0_13AUnaryFunctorIN3c1015Float8_e4m3fnuzES4_bNS0_12_GLOBAL__N_116CompareEqFunctorIS4_EEEESt5arrayIPcLm2EEEEviT0_T1_.private_seg_size, 0+max(.L_ZN2at6native25elementwise_kernel_helperILb0ENS0_13AUnaryFunctorIN3c1015Float8_e4m3fnuzES4_bNS0_12_GLOBAL__N_116CompareEqFunctorIS4_EEEENS0_6memory8policies11unroll_baseILi256ESt5arrayIPcLm2EE23TrivialOffsetCalculatorILi1EjESG_NS9_15LoadWithoutCastENS9_16StoreWithoutCastELi16ELi1EEEEEvT0_T1_.private_seg_size)
	.set _ZN2at6native29vectorized_elementwise_kernelILi16ENS0_13AUnaryFunctorIN3c1015Float8_e4m3fnuzES4_bNS0_12_GLOBAL__N_116CompareEqFunctorIS4_EEEESt5arrayIPcLm2EEEEviT0_T1_.uses_vcc, or(1, .L_ZN2at6native25elementwise_kernel_helperILb0ENS0_13AUnaryFunctorIN3c1015Float8_e4m3fnuzES4_bNS0_12_GLOBAL__N_116CompareEqFunctorIS4_EEEENS0_6memory8policies11unroll_baseILi256ESt5arrayIPcLm2EE23TrivialOffsetCalculatorILi1EjESG_NS9_15LoadWithoutCastENS9_16StoreWithoutCastELi16ELi1EEEEEvT0_T1_.uses_vcc)
	.set _ZN2at6native29vectorized_elementwise_kernelILi16ENS0_13AUnaryFunctorIN3c1015Float8_e4m3fnuzES4_bNS0_12_GLOBAL__N_116CompareEqFunctorIS4_EEEESt5arrayIPcLm2EEEEviT0_T1_.uses_flat_scratch, or(0, .L_ZN2at6native25elementwise_kernel_helperILb0ENS0_13AUnaryFunctorIN3c1015Float8_e4m3fnuzES4_bNS0_12_GLOBAL__N_116CompareEqFunctorIS4_EEEENS0_6memory8policies11unroll_baseILi256ESt5arrayIPcLm2EE23TrivialOffsetCalculatorILi1EjESG_NS9_15LoadWithoutCastENS9_16StoreWithoutCastELi16ELi1EEEEEvT0_T1_.uses_flat_scratch)
	.set _ZN2at6native29vectorized_elementwise_kernelILi16ENS0_13AUnaryFunctorIN3c1015Float8_e4m3fnuzES4_bNS0_12_GLOBAL__N_116CompareEqFunctorIS4_EEEESt5arrayIPcLm2EEEEviT0_T1_.has_dyn_sized_stack, or(0, .L_ZN2at6native25elementwise_kernel_helperILb0ENS0_13AUnaryFunctorIN3c1015Float8_e4m3fnuzES4_bNS0_12_GLOBAL__N_116CompareEqFunctorIS4_EEEENS0_6memory8policies11unroll_baseILi256ESt5arrayIPcLm2EE23TrivialOffsetCalculatorILi1EjESG_NS9_15LoadWithoutCastENS9_16StoreWithoutCastELi16ELi1EEEEEvT0_T1_.has_dyn_sized_stack)
	.set _ZN2at6native29vectorized_elementwise_kernelILi16ENS0_13AUnaryFunctorIN3c1015Float8_e4m3fnuzES4_bNS0_12_GLOBAL__N_116CompareEqFunctorIS4_EEEESt5arrayIPcLm2EEEEviT0_T1_.has_recursion, or(0, .L_ZN2at6native25elementwise_kernel_helperILb0ENS0_13AUnaryFunctorIN3c1015Float8_e4m3fnuzES4_bNS0_12_GLOBAL__N_116CompareEqFunctorIS4_EEEENS0_6memory8policies11unroll_baseILi256ESt5arrayIPcLm2EE23TrivialOffsetCalculatorILi1EjESG_NS9_15LoadWithoutCastENS9_16StoreWithoutCastELi16ELi1EEEEEvT0_T1_.has_recursion)
	.set _ZN2at6native29vectorized_elementwise_kernelILi16ENS0_13AUnaryFunctorIN3c1015Float8_e4m3fnuzES4_bNS0_12_GLOBAL__N_116CompareEqFunctorIS4_EEEESt5arrayIPcLm2EEEEviT0_T1_.has_indirect_call, or(0, .L_ZN2at6native25elementwise_kernel_helperILb0ENS0_13AUnaryFunctorIN3c1015Float8_e4m3fnuzES4_bNS0_12_GLOBAL__N_116CompareEqFunctorIS4_EEEENS0_6memory8policies11unroll_baseILi256ESt5arrayIPcLm2EE23TrivialOffsetCalculatorILi1EjESG_NS9_15LoadWithoutCastENS9_16StoreWithoutCastELi16ELi1EEEEEvT0_T1_.has_indirect_call)
	.section	.AMDGPU.csdata,"",@progbits
; Kernel info:
; codeLenInByte = 12540
; TotalNumSgprs: 61
; NumVgprs: 32
; ScratchSize: 0
; MemoryBound: 0
; FloatMode: 240
; IeeeMode: 1
; LDSByteSize: 0 bytes/workgroup (compile time only)
; SGPRBlocks: 7
; VGPRBlocks: 7
; NumSGPRsForWavesPerEU: 61
; NumVGPRsForWavesPerEU: 32
; Occupancy: 8
; WaveLimiterHint : 0
; COMPUTE_PGM_RSRC2:SCRATCH_EN: 0
; COMPUTE_PGM_RSRC2:USER_SGPR: 6
; COMPUTE_PGM_RSRC2:TRAP_HANDLER: 0
; COMPUTE_PGM_RSRC2:TGID_X_EN: 1
; COMPUTE_PGM_RSRC2:TGID_Y_EN: 0
; COMPUTE_PGM_RSRC2:TGID_Z_EN: 0
; COMPUTE_PGM_RSRC2:TIDIG_COMP_CNT: 0
	.section	.text._ZN2at6native29vectorized_elementwise_kernelILi8ENS0_13AUnaryFunctorIN3c1015Float8_e4m3fnuzES4_bNS0_12_GLOBAL__N_116CompareEqFunctorIS4_EEEESt5arrayIPcLm2EEEEviT0_T1_,"axG",@progbits,_ZN2at6native29vectorized_elementwise_kernelILi8ENS0_13AUnaryFunctorIN3c1015Float8_e4m3fnuzES4_bNS0_12_GLOBAL__N_116CompareEqFunctorIS4_EEEESt5arrayIPcLm2EEEEviT0_T1_,comdat
	.globl	_ZN2at6native29vectorized_elementwise_kernelILi8ENS0_13AUnaryFunctorIN3c1015Float8_e4m3fnuzES4_bNS0_12_GLOBAL__N_116CompareEqFunctorIS4_EEEESt5arrayIPcLm2EEEEviT0_T1_ ; -- Begin function _ZN2at6native29vectorized_elementwise_kernelILi8ENS0_13AUnaryFunctorIN3c1015Float8_e4m3fnuzES4_bNS0_12_GLOBAL__N_116CompareEqFunctorIS4_EEEESt5arrayIPcLm2EEEEviT0_T1_
	.p2align	8
	.type	_ZN2at6native29vectorized_elementwise_kernelILi8ENS0_13AUnaryFunctorIN3c1015Float8_e4m3fnuzES4_bNS0_12_GLOBAL__N_116CompareEqFunctorIS4_EEEESt5arrayIPcLm2EEEEviT0_T1_,@function
_ZN2at6native29vectorized_elementwise_kernelILi8ENS0_13AUnaryFunctorIN3c1015Float8_e4m3fnuzES4_bNS0_12_GLOBAL__N_116CompareEqFunctorIS4_EEEESt5arrayIPcLm2EEEEviT0_T1_: ; @_ZN2at6native29vectorized_elementwise_kernelILi8ENS0_13AUnaryFunctorIN3c1015Float8_e4m3fnuzES4_bNS0_12_GLOBAL__N_116CompareEqFunctorIS4_EEEESt5arrayIPcLm2EEEEviT0_T1_
; %bb.0:
	s_load_dwordx8 s[12:19], s[4:5], 0x0
	s_add_u32 s0, s0, s7
	s_addc_u32 s1, s1, 0
	s_waitcnt lgkmcnt(0)
	s_lshl_b32 s15, s6, 12
	s_mov_b64 s[4:5], -1
	s_sub_i32 s7, s12, s15
	s_cmpk_gt_i32 s7, 0xfff
	s_mov_b32 s32, 0
	s_cbranch_scc1 .LBB300_3
; %bb.1:
	s_and_b64 vcc, exec, s[4:5]
	s_cbranch_vccnz .LBB300_576
.LBB300_2:
	s_endpgm
.LBB300_3:
	s_ashr_i32 s12, s15, 31
	s_add_u32 s4, s18, s15
	s_addc_u32 s5, s19, s12
	v_lshlrev_b32_e32 v5, 3, v0
	global_load_dwordx2 v[3:4], v5, s[4:5]
	global_load_dwordx2 v[1:2], v5, s[4:5] offset:2048
	s_cmp_lg_u32 s13, 0
	s_cselect_b64 s[10:11], -1, 0
	s_and_b32 s4, s14, 7
	s_flbit_i32_b32 s8, s4
	s_min_u32 s8, s8, 32
	s_sub_i32 s9, s8, 28
	s_lshl_b32 s9, s14, s9
	s_bfe_u32 s5, s14, 0x40003
	s_sub_i32 s8, 29, s8
	s_and_b32 s9, s9, 7
	s_cmp_eq_u32 s5, 0
	s_cselect_b32 s5, s8, s5
	s_cselect_b32 s4, s9, s4
	s_lshl_b32 s8, s14, 24
	s_lshl_b32 s5, s5, 23
	s_and_b32 s8, s8, 0x80000000
	s_add_i32 s5, s5, 0x3b800000
	s_lshl_b32 s4, s4, 20
	s_or_b32 s5, s8, s5
	s_or_b32 s33, s5, s4
	s_and_b64 vcc, exec, s[10:11]
	s_cbranch_vccz .LBB300_8
; %bb.4:
	s_and_b32 s20, s14, 0xff
	s_cmpk_lt_i32 s20, 0x80
	s_cbranch_scc1 .LBB300_9
; %bb.5:
	s_and_b32 s4, 0xffff, s20
	s_cmpk_eq_i32 s4, 0x80
	s_mov_b64 s[4:5], -1
	s_cbranch_scc0 .LBB300_7
; %bb.6:
	s_mov_b64 s[4:5], 0
.LBB300_7:
	s_mov_b32 s22, 0x7f800001
	s_branch .LBB300_11
.LBB300_8:
                                        ; implicit-def: $sgpr8_sgpr9
	s_cbranch_execnz .LBB300_18
	s_branch .LBB300_35
.LBB300_9:
	s_mov_b64 s[4:5], 0
	s_mov_b32 s22, 0x7f800001
	s_cbranch_execz .LBB300_11
; %bb.10:
	s_and_b32 s4, 0xffff, s20
	s_cmp_lg_u32 s4, 0
	s_mov_b32 s22, 0
	s_cselect_b64 s[4:5], -1, 0
.LBB300_11:
	s_andn2_b64 vcc, exec, s[4:5]
	s_cbranch_vccnz .LBB300_13
; %bb.12:
	s_mov_b32 s22, s33
.LBB300_13:
	s_movk_i32 s4, 0x7f
	s_waitcnt vmcnt(1)
	v_cmp_gt_i16_sdwa s[8:9], v3, s4 src0_sel:BYTE_0 src1_sel:DWORD
	s_mov_b64 s[4:5], 0
	s_and_saveexec_b64 s[20:21], s[8:9]
	s_xor_b64 s[8:9], exec, s[20:21]
	s_cbranch_execnz .LBB300_22
; %bb.14:
	s_or_saveexec_b64 s[8:9], s[8:9]
	v_mov_b32_e32 v6, 0x7f800001
	s_xor_b64 exec, exec, s[8:9]
	s_cbranch_execnz .LBB300_25
.LBB300_15:
	s_or_b64 exec, exec, s[8:9]
	s_and_saveexec_b64 s[8:9], s[4:5]
	s_cbranch_execz .LBB300_17
.LBB300_16:
	v_and_b32_e32 v6, 7, v3
	v_ffbh_u32_e32 v8, v6
	v_min_u32_e32 v8, 32, v8
	v_subrev_u32_e32 v9, 28, v8
	v_bfe_u32 v7, v3, 3, 4
	v_lshlrev_b32_e32 v9, v9, v3
	v_sub_u32_e32 v8, 29, v8
	v_and_b32_e32 v9, 7, v9
	v_cmp_eq_u32_e32 vcc, 0, v7
	v_cndmask_b32_e32 v7, v7, v8, vcc
	v_cndmask_b32_e32 v6, v6, v9, vcc
	v_lshlrev_b32_e32 v8, 24, v3
	v_mov_b32_e32 v9, 0x3b800000
	v_lshlrev_b32_e32 v6, 20, v6
	v_and_b32_e32 v8, 0x80000000, v8
	v_lshl_add_u32 v7, v7, 23, v9
	v_or3_b32 v6, v8, v7, v6
.LBB300_17:
	s_or_b64 exec, exec, s[8:9]
	v_cmp_neq_f32_e64 s[8:9], s22, v6
	s_branch .LBB300_35
.LBB300_18:
	s_and_b32 s20, s14, 0xff
	s_cmpk_lt_i32 s20, 0x80
	s_cbranch_scc1 .LBB300_26
; %bb.19:
	s_and_b32 s4, 0xffff, s20
	s_cmpk_eq_i32 s4, 0x80
	s_mov_b64 s[4:5], -1
	s_cbranch_scc0 .LBB300_21
; %bb.20:
	s_mov_b64 s[4:5], 0
.LBB300_21:
	s_mov_b32 s22, 0x7f800001
	s_branch .LBB300_28
.LBB300_22:
	s_movk_i32 s4, 0x80
	v_cmp_eq_u16_sdwa s[24:25], v3, s4 src0_sel:BYTE_0 src1_sel:DWORD
	s_mov_b64 s[4:5], -1
	s_and_saveexec_b64 s[20:21], s[24:25]
; %bb.23:
	s_xor_b64 s[4:5], exec, -1
; %bb.24:
	s_or_b64 exec, exec, s[20:21]
	s_and_b64 s[4:5], s[4:5], exec
	s_or_saveexec_b64 s[8:9], s[8:9]
	v_mov_b32_e32 v6, 0x7f800001
	s_xor_b64 exec, exec, s[8:9]
	s_cbranch_execz .LBB300_15
.LBB300_25:
	v_mov_b32_e32 v6, 0
	v_cmp_ne_u16_sdwa s[20:21], v3, v6 src0_sel:BYTE_0 src1_sel:DWORD
	s_andn2_b64 s[4:5], s[4:5], exec
	s_and_b64 s[20:21], s[20:21], exec
	s_or_b64 s[4:5], s[4:5], s[20:21]
	s_or_b64 exec, exec, s[8:9]
	s_and_saveexec_b64 s[8:9], s[4:5]
	s_cbranch_execnz .LBB300_16
	s_branch .LBB300_17
.LBB300_26:
	s_mov_b64 s[4:5], 0
	s_mov_b32 s22, 0x7f800001
	s_cbranch_execz .LBB300_28
; %bb.27:
	s_and_b32 s4, 0xffff, s20
	s_cmp_lg_u32 s4, 0
	s_mov_b32 s22, 0
	s_cselect_b64 s[4:5], -1, 0
.LBB300_28:
	s_andn2_b64 vcc, exec, s[4:5]
	s_cbranch_vccnz .LBB300_30
; %bb.29:
	s_mov_b32 s22, s33
.LBB300_30:
	s_movk_i32 s4, 0x7f
	s_waitcnt vmcnt(1)
	v_cmp_gt_i16_sdwa s[8:9], v3, s4 src0_sel:BYTE_0 src1_sel:DWORD
	s_mov_b64 s[4:5], 0
	s_and_saveexec_b64 s[20:21], s[8:9]
	s_xor_b64 s[8:9], exec, s[20:21]
	s_cbranch_execnz .LBB300_310
; %bb.31:
	s_or_saveexec_b64 s[8:9], s[8:9]
	v_mov_b32_e32 v6, 0x7f800001
	s_xor_b64 exec, exec, s[8:9]
	s_cbranch_execnz .LBB300_313
.LBB300_32:
	s_or_b64 exec, exec, s[8:9]
	s_and_saveexec_b64 s[8:9], s[4:5]
	s_cbranch_execz .LBB300_34
.LBB300_33:
	v_and_b32_e32 v6, 7, v3
	v_ffbh_u32_e32 v8, v6
	v_min_u32_e32 v8, 32, v8
	v_subrev_u32_e32 v9, 28, v8
	v_bfe_u32 v7, v3, 3, 4
	v_lshlrev_b32_e32 v9, v9, v3
	v_sub_u32_e32 v8, 29, v8
	v_and_b32_e32 v9, 7, v9
	v_cmp_eq_u32_e32 vcc, 0, v7
	v_cndmask_b32_e32 v7, v7, v8, vcc
	v_cndmask_b32_e32 v6, v6, v9, vcc
	v_lshlrev_b32_e32 v8, 24, v3
	v_mov_b32_e32 v9, 0x3b800000
	v_lshlrev_b32_e32 v6, 20, v6
	v_and_b32_e32 v8, 0x80000000, v8
	v_lshl_add_u32 v7, v7, 23, v9
	v_or3_b32 v6, v8, v7, v6
.LBB300_34:
	s_or_b64 exec, exec, s[8:9]
	v_cmp_eq_f32_e64 s[8:9], s22, v6
.LBB300_35:
	v_cndmask_b32_e64 v6, 0, 1, s[10:11]
	v_cmp_ne_u32_e64 s[4:5], 1, v6
	s_andn2_b64 vcc, exec, s[10:11]
	s_waitcnt vmcnt(1)
	v_lshrrev_b32_e32 v6, 8, v3
	s_cbranch_vccnz .LBB300_40
; %bb.36:
	s_and_b32 s22, s14, 0xff
	s_cmpk_lt_i32 s22, 0x80
	s_cbranch_scc1 .LBB300_46
; %bb.37:
	s_and_b32 s10, 0xffff, s22
	s_cmpk_eq_i32 s10, 0x80
	s_mov_b64 s[10:11], -1
	s_cbranch_scc0 .LBB300_39
; %bb.38:
	s_mov_b64 s[10:11], 0
.LBB300_39:
	s_mov_b32 s24, 0x7f800001
	s_branch .LBB300_48
.LBB300_40:
                                        ; implicit-def: $sgpr10_sgpr11
	s_cbranch_execnz .LBB300_55
.LBB300_41:
	s_and_b64 vcc, exec, s[4:5]
	s_cbranch_vccnz .LBB300_323
.LBB300_42:
	s_and_b32 s24, s14, 0xff
	s_cmpk_lt_i32 s24, 0x80
	s_cbranch_scc1 .LBB300_59
; %bb.43:
	s_and_b32 s20, 0xffff, s24
	s_cmpk_eq_i32 s20, 0x80
	s_mov_b64 s[20:21], -1
	s_cbranch_scc0 .LBB300_45
; %bb.44:
	s_mov_b64 s[20:21], 0
.LBB300_45:
	s_mov_b32 s26, 0x7f800001
	s_branch .LBB300_61
.LBB300_46:
	s_mov_b64 s[10:11], 0
	s_mov_b32 s24, 0x7f800001
	s_cbranch_execz .LBB300_48
; %bb.47:
	s_and_b32 s10, 0xffff, s22
	s_cmp_lg_u32 s10, 0
	s_mov_b32 s24, 0
	s_cselect_b64 s[10:11], -1, 0
.LBB300_48:
	s_andn2_b64 vcc, exec, s[10:11]
	s_cbranch_vccnz .LBB300_50
; %bb.49:
	s_mov_b32 s24, s33
.LBB300_50:
	s_movk_i32 s10, 0x7f
	v_cmp_gt_i16_sdwa s[20:21], v6, s10 src0_sel:BYTE_0 src1_sel:DWORD
	s_mov_b64 s[10:11], 0
	s_and_saveexec_b64 s[22:23], s[20:21]
	s_xor_b64 s[20:21], exec, s[22:23]
	s_cbranch_execnz .LBB300_73
; %bb.51:
	s_or_saveexec_b64 s[20:21], s[20:21]
	v_mov_b32_e32 v7, 0x7f800001
	s_xor_b64 exec, exec, s[20:21]
	s_cbranch_execnz .LBB300_76
.LBB300_52:
	s_or_b64 exec, exec, s[20:21]
	s_and_saveexec_b64 s[20:21], s[10:11]
	s_cbranch_execz .LBB300_54
.LBB300_53:
	v_bfe_u32 v7, v3, 8, 3
	v_ffbh_u32_e32 v9, v7
	v_min_u32_e32 v9, 32, v9
	v_subrev_u32_e32 v10, 28, v9
	v_bfe_u32 v8, v3, 11, 4
	v_lshlrev_b32_e32 v10, v10, v6
	v_sub_u32_e32 v9, 29, v9
	v_and_b32_e32 v10, 7, v10
	v_cmp_eq_u32_e32 vcc, 0, v8
	v_cndmask_b32_e32 v8, v8, v9, vcc
	v_cndmask_b32_e32 v7, v7, v10, vcc
	v_lshlrev_b32_e32 v9, 24, v6
	v_mov_b32_e32 v10, 0x3b800000
	v_lshlrev_b32_e32 v7, 20, v7
	v_and_b32_e32 v9, 0x80000000, v9
	v_lshl_add_u32 v8, v8, 23, v10
	v_or3_b32 v7, v9, v8, v7
.LBB300_54:
	s_or_b64 exec, exec, s[20:21]
	v_cmp_neq_f32_e64 s[10:11], s24, v7
	s_branch .LBB300_41
.LBB300_55:
	s_and_b32 s22, s14, 0xff
	s_cmpk_lt_i32 s22, 0x80
	s_cbranch_scc1 .LBB300_314
; %bb.56:
	s_and_b32 s10, 0xffff, s22
	s_cmpk_eq_i32 s10, 0x80
	s_mov_b64 s[10:11], -1
	s_cbranch_scc0 .LBB300_58
; %bb.57:
	s_mov_b64 s[10:11], 0
.LBB300_58:
	s_mov_b32 s24, 0x7f800001
	s_branch .LBB300_316
.LBB300_59:
	s_mov_b64 s[20:21], 0
	s_mov_b32 s26, 0x7f800001
	s_cbranch_execz .LBB300_61
; %bb.60:
	s_and_b32 s20, 0xffff, s24
	s_cmp_lg_u32 s20, 0
	s_mov_b32 s26, 0
	s_cselect_b64 s[20:21], -1, 0
.LBB300_61:
	s_andn2_b64 vcc, exec, s[20:21]
	s_cbranch_vccnz .LBB300_63
; %bb.62:
	s_mov_b32 s26, s33
.LBB300_63:
	s_movk_i32 s20, 0xff
	v_and_b32_sdwa v6, v3, s20 dst_sel:DWORD dst_unused:UNUSED_PAD src0_sel:WORD_1 src1_sel:DWORD
	s_movk_i32 s20, 0x7f
	v_cmp_lt_i16_e32 vcc, s20, v6
	s_mov_b64 s[20:21], 0
	s_and_saveexec_b64 s[22:23], vcc
	s_xor_b64 s[22:23], exec, s[22:23]
	s_cbranch_execnz .LBB300_77
; %bb.64:
	s_or_saveexec_b64 s[22:23], s[22:23]
	v_mov_b32_e32 v7, 0x7f800001
	s_xor_b64 exec, exec, s[22:23]
	s_cbranch_execnz .LBB300_80
.LBB300_65:
	s_or_b64 exec, exec, s[22:23]
	s_and_saveexec_b64 s[22:23], s[20:21]
	s_cbranch_execz .LBB300_67
.LBB300_66:
	v_bfe_u32 v6, v3, 16, 3
	v_ffbh_u32_e32 v8, v6
	v_min_u32_e32 v8, 32, v8
	v_bfe_u32 v7, v3, 19, 4
	v_subrev_u32_e32 v9, 28, v8
	v_lshlrev_b32_sdwa v9, v9, v3 dst_sel:DWORD dst_unused:UNUSED_PAD src0_sel:DWORD src1_sel:WORD_1
	v_sub_u32_e32 v8, 29, v8
	v_cmp_eq_u32_e32 vcc, 0, v7
	v_and_b32_e32 v9, 7, v9
	v_cndmask_b32_e32 v7, v7, v8, vcc
	v_mov_b32_e32 v8, 24
	v_cndmask_b32_e32 v6, v6, v9, vcc
	v_lshlrev_b32_sdwa v8, v8, v3 dst_sel:DWORD dst_unused:UNUSED_PAD src0_sel:DWORD src1_sel:WORD_1
	v_mov_b32_e32 v9, 0x3b800000
	v_lshlrev_b32_e32 v6, 20, v6
	v_and_b32_e32 v8, 0x80000000, v8
	v_lshl_add_u32 v7, v7, 23, v9
	v_or3_b32 v7, v8, v7, v6
.LBB300_67:
	s_or_b64 exec, exec, s[22:23]
	v_cmp_neq_f32_e64 s[20:21], s26, v7
.LBB300_68:
	s_and_b64 vcc, exec, s[4:5]
	s_cbranch_vccnz .LBB300_341
.LBB300_69:
	s_and_b32 s26, s14, 0xff
	s_cmpk_lt_i32 s26, 0x80
	s_cbranch_scc1 .LBB300_81
; %bb.70:
	s_and_b32 s22, 0xffff, s26
	s_cmpk_eq_i32 s22, 0x80
	s_mov_b64 s[22:23], -1
	s_cbranch_scc0 .LBB300_72
; %bb.71:
	s_mov_b64 s[22:23], 0
.LBB300_72:
	s_mov_b32 s28, 0x7f800001
	s_branch .LBB300_83
.LBB300_73:
	s_movk_i32 s10, 0x80
	v_cmp_eq_u16_sdwa s[26:27], v6, s10 src0_sel:BYTE_0 src1_sel:DWORD
	s_mov_b64 s[10:11], -1
	s_and_saveexec_b64 s[22:23], s[26:27]
; %bb.74:
	s_xor_b64 s[10:11], exec, -1
; %bb.75:
	s_or_b64 exec, exec, s[22:23]
	s_and_b64 s[10:11], s[10:11], exec
	s_or_saveexec_b64 s[20:21], s[20:21]
	v_mov_b32_e32 v7, 0x7f800001
	s_xor_b64 exec, exec, s[20:21]
	s_cbranch_execz .LBB300_52
.LBB300_76:
	v_mov_b32_e32 v7, 0
	v_cmp_ne_u16_sdwa s[22:23], v6, v7 src0_sel:BYTE_0 src1_sel:DWORD
	s_andn2_b64 s[10:11], s[10:11], exec
	s_and_b64 s[22:23], s[22:23], exec
	s_or_b64 s[10:11], s[10:11], s[22:23]
	s_or_b64 exec, exec, s[20:21]
	s_and_saveexec_b64 s[20:21], s[10:11]
	s_cbranch_execnz .LBB300_53
	s_branch .LBB300_54
.LBB300_77:
	s_movk_i32 s20, 0x80
	v_cmp_eq_u16_e32 vcc, s20, v6
	s_mov_b64 s[20:21], -1
	s_and_saveexec_b64 s[24:25], vcc
; %bb.78:
	s_xor_b64 s[20:21], exec, -1
; %bb.79:
	s_or_b64 exec, exec, s[24:25]
	s_and_b64 s[20:21], s[20:21], exec
                                        ; implicit-def: $vgpr6
	s_or_saveexec_b64 s[22:23], s[22:23]
	v_mov_b32_e32 v7, 0x7f800001
	s_xor_b64 exec, exec, s[22:23]
	s_cbranch_execz .LBB300_65
.LBB300_80:
	v_cmp_ne_u16_e32 vcc, 0, v6
	s_andn2_b64 s[20:21], s[20:21], exec
	s_and_b64 s[24:25], vcc, exec
	v_mov_b32_e32 v7, 0
	s_or_b64 s[20:21], s[20:21], s[24:25]
	s_or_b64 exec, exec, s[22:23]
	s_and_saveexec_b64 s[22:23], s[20:21]
	s_cbranch_execnz .LBB300_66
	s_branch .LBB300_67
.LBB300_81:
	s_mov_b64 s[22:23], 0
	s_mov_b32 s28, 0x7f800001
	s_cbranch_execz .LBB300_83
; %bb.82:
	s_and_b32 s22, 0xffff, s26
	s_cmp_lg_u32 s22, 0
	s_mov_b32 s28, 0
	s_cselect_b64 s[22:23], -1, 0
.LBB300_83:
	s_andn2_b64 vcc, exec, s[22:23]
	s_cbranch_vccnz .LBB300_85
; %bb.84:
	s_mov_b32 s28, s33
.LBB300_85:
	s_movk_i32 s22, 0x7f
	v_cmp_gt_i16_sdwa s[24:25], v3, s22 src0_sel:BYTE_3 src1_sel:DWORD
	s_mov_b64 s[22:23], 0
	s_and_saveexec_b64 s[26:27], s[24:25]
	s_xor_b64 s[24:25], exec, s[26:27]
	s_cbranch_execnz .LBB300_95
; %bb.86:
	s_or_saveexec_b64 s[24:25], s[24:25]
	v_mov_b32_e32 v6, 0x7f800001
	s_xor_b64 exec, exec, s[24:25]
	s_cbranch_execnz .LBB300_98
.LBB300_87:
	s_or_b64 exec, exec, s[24:25]
	s_and_saveexec_b64 s[24:25], s[22:23]
	s_cbranch_execz .LBB300_89
.LBB300_88:
	v_bfe_u32 v6, v3, 24, 3
	v_ffbh_u32_e32 v8, v6
	v_min_u32_e32 v8, 32, v8
	v_subrev_u32_e32 v9, 28, v8
	v_bfe_u32 v7, v3, 27, 4
	v_lshlrev_b32_sdwa v9, v9, v3 dst_sel:DWORD dst_unused:UNUSED_PAD src0_sel:DWORD src1_sel:BYTE_3
	v_sub_u32_e32 v8, 29, v8
	v_and_b32_e32 v9, 7, v9
	v_cmp_eq_u32_e32 vcc, 0, v7
	v_cndmask_b32_e32 v7, v7, v8, vcc
	v_cndmask_b32_e32 v6, v6, v9, vcc
	v_mov_b32_e32 v9, 0x3b800000
	v_lshlrev_b32_e32 v6, 20, v6
	v_and_b32_e32 v8, 0x80000000, v3
	v_lshl_add_u32 v7, v7, 23, v9
	v_or3_b32 v6, v8, v7, v6
.LBB300_89:
	s_or_b64 exec, exec, s[24:25]
	v_cmp_neq_f32_e64 s[22:23], s28, v6
.LBB300_90:
	s_and_b64 vcc, exec, s[4:5]
	s_cbranch_vccnz .LBB300_359
.LBB300_91:
	s_and_b32 s28, s14, 0xff
	s_cmpk_lt_i32 s28, 0x80
	s_cbranch_scc1 .LBB300_99
; %bb.92:
	s_and_b32 s24, 0xffff, s28
	s_cmpk_eq_i32 s24, 0x80
	s_mov_b64 s[24:25], -1
	s_cbranch_scc0 .LBB300_94
; %bb.93:
	s_mov_b64 s[24:25], 0
.LBB300_94:
	s_mov_b32 s30, 0x7f800001
	s_branch .LBB300_101
.LBB300_95:
	s_movk_i32 s22, 0x80
	v_cmp_eq_u16_sdwa s[30:31], v3, s22 src0_sel:BYTE_3 src1_sel:DWORD
	s_mov_b64 s[22:23], -1
	s_and_saveexec_b64 s[26:27], s[30:31]
; %bb.96:
	s_xor_b64 s[22:23], exec, -1
; %bb.97:
	s_or_b64 exec, exec, s[26:27]
	s_and_b64 s[22:23], s[22:23], exec
	s_or_saveexec_b64 s[24:25], s[24:25]
	v_mov_b32_e32 v6, 0x7f800001
	s_xor_b64 exec, exec, s[24:25]
	s_cbranch_execz .LBB300_87
.LBB300_98:
	v_mov_b32_e32 v6, 0
	v_cmp_ne_u16_sdwa s[26:27], v3, v6 src0_sel:BYTE_3 src1_sel:DWORD
	s_andn2_b64 s[22:23], s[22:23], exec
	s_and_b64 s[26:27], s[26:27], exec
	s_or_b64 s[22:23], s[22:23], s[26:27]
	s_or_b64 exec, exec, s[24:25]
	s_and_saveexec_b64 s[24:25], s[22:23]
	s_cbranch_execnz .LBB300_88
	s_branch .LBB300_89
.LBB300_99:
	s_mov_b64 s[24:25], 0
	s_mov_b32 s30, 0x7f800001
	s_cbranch_execz .LBB300_101
; %bb.100:
	s_and_b32 s24, 0xffff, s28
	s_cmp_lg_u32 s24, 0
	s_mov_b32 s30, 0
	s_cselect_b64 s[24:25], -1, 0
.LBB300_101:
	s_andn2_b64 vcc, exec, s[24:25]
	s_cbranch_vccnz .LBB300_103
; %bb.102:
	s_mov_b32 s30, s33
.LBB300_103:
	s_movk_i32 s24, 0x7f
	v_cmp_gt_i16_sdwa s[26:27], v4, s24 src0_sel:BYTE_0 src1_sel:DWORD
	s_mov_b64 s[24:25], 0
	s_and_saveexec_b64 s[28:29], s[26:27]
	s_xor_b64 s[26:27], exec, s[28:29]
	s_cbranch_execnz .LBB300_113
; %bb.104:
	s_or_saveexec_b64 s[26:27], s[26:27]
	v_mov_b32_e32 v3, 0x7f800001
	s_xor_b64 exec, exec, s[26:27]
	s_cbranch_execnz .LBB300_116
.LBB300_105:
	s_or_b64 exec, exec, s[26:27]
	s_and_saveexec_b64 s[26:27], s[24:25]
	s_cbranch_execz .LBB300_107
.LBB300_106:
	v_and_b32_e32 v3, 7, v4
	v_ffbh_u32_e32 v7, v3
	v_min_u32_e32 v7, 32, v7
	v_subrev_u32_e32 v8, 28, v7
	v_bfe_u32 v6, v4, 3, 4
	v_lshlrev_b32_e32 v8, v8, v4
	v_sub_u32_e32 v7, 29, v7
	v_and_b32_e32 v8, 7, v8
	v_cmp_eq_u32_e32 vcc, 0, v6
	v_cndmask_b32_e32 v6, v6, v7, vcc
	v_cndmask_b32_e32 v3, v3, v8, vcc
	v_lshlrev_b32_e32 v7, 24, v4
	v_mov_b32_e32 v8, 0x3b800000
	v_lshlrev_b32_e32 v3, 20, v3
	v_and_b32_e32 v7, 0x80000000, v7
	v_lshl_add_u32 v6, v6, 23, v8
	v_or3_b32 v3, v7, v6, v3
.LBB300_107:
	s_or_b64 exec, exec, s[26:27]
	v_cmp_neq_f32_e64 s[24:25], s30, v3
.LBB300_108:
	s_and_b64 vcc, exec, s[4:5]
	v_lshrrev_b32_e32 v3, 8, v4
	s_cbranch_vccnz .LBB300_377
.LBB300_109:
	s_and_b32 s30, s14, 0xff
	s_cmpk_lt_i32 s30, 0x80
	s_cbranch_scc1 .LBB300_117
; %bb.110:
	s_and_b32 s26, 0xffff, s30
	s_cmpk_eq_i32 s26, 0x80
	s_mov_b64 s[26:27], -1
	s_cbranch_scc0 .LBB300_112
; %bb.111:
	s_mov_b64 s[26:27], 0
.LBB300_112:
	s_mov_b32 s34, 0x7f800001
	s_branch .LBB300_119
.LBB300_113:
	s_movk_i32 s24, 0x80
	v_cmp_eq_u16_sdwa s[34:35], v4, s24 src0_sel:BYTE_0 src1_sel:DWORD
	s_mov_b64 s[24:25], -1
	s_and_saveexec_b64 s[28:29], s[34:35]
; %bb.114:
	s_xor_b64 s[24:25], exec, -1
; %bb.115:
	s_or_b64 exec, exec, s[28:29]
	s_and_b64 s[24:25], s[24:25], exec
	s_or_saveexec_b64 s[26:27], s[26:27]
	v_mov_b32_e32 v3, 0x7f800001
	s_xor_b64 exec, exec, s[26:27]
	s_cbranch_execz .LBB300_105
.LBB300_116:
	v_mov_b32_e32 v3, 0
	v_cmp_ne_u16_sdwa s[28:29], v4, v3 src0_sel:BYTE_0 src1_sel:DWORD
	s_andn2_b64 s[24:25], s[24:25], exec
	s_and_b64 s[28:29], s[28:29], exec
	s_or_b64 s[24:25], s[24:25], s[28:29]
	s_or_b64 exec, exec, s[26:27]
	s_and_saveexec_b64 s[26:27], s[24:25]
	s_cbranch_execnz .LBB300_106
	s_branch .LBB300_107
.LBB300_117:
	s_mov_b64 s[26:27], 0
	s_mov_b32 s34, 0x7f800001
	s_cbranch_execz .LBB300_119
; %bb.118:
	s_and_b32 s26, 0xffff, s30
	s_cmp_lg_u32 s26, 0
	s_mov_b32 s34, 0
	s_cselect_b64 s[26:27], -1, 0
.LBB300_119:
	s_andn2_b64 vcc, exec, s[26:27]
	s_cbranch_vccnz .LBB300_121
; %bb.120:
	s_mov_b32 s34, s33
.LBB300_121:
	s_movk_i32 s26, 0x7f
	v_cmp_gt_i16_sdwa s[28:29], v3, s26 src0_sel:BYTE_0 src1_sel:DWORD
	s_mov_b64 s[26:27], 0
	s_and_saveexec_b64 s[30:31], s[28:29]
	s_xor_b64 s[28:29], exec, s[30:31]
	s_cbranch_execnz .LBB300_131
; %bb.122:
	s_or_saveexec_b64 s[28:29], s[28:29]
	v_mov_b32_e32 v6, 0x7f800001
	s_xor_b64 exec, exec, s[28:29]
	s_cbranch_execnz .LBB300_134
.LBB300_123:
	s_or_b64 exec, exec, s[28:29]
	s_and_saveexec_b64 s[28:29], s[26:27]
	s_cbranch_execz .LBB300_125
.LBB300_124:
	v_bfe_u32 v6, v4, 8, 3
	v_ffbh_u32_e32 v8, v6
	v_min_u32_e32 v8, 32, v8
	v_subrev_u32_e32 v9, 28, v8
	v_bfe_u32 v7, v4, 11, 4
	v_lshlrev_b32_e32 v9, v9, v3
	v_sub_u32_e32 v8, 29, v8
	v_and_b32_e32 v9, 7, v9
	v_cmp_eq_u32_e32 vcc, 0, v7
	v_cndmask_b32_e32 v7, v7, v8, vcc
	v_cndmask_b32_e32 v6, v6, v9, vcc
	v_lshlrev_b32_e32 v8, 24, v3
	v_mov_b32_e32 v9, 0x3b800000
	v_lshlrev_b32_e32 v6, 20, v6
	v_and_b32_e32 v8, 0x80000000, v8
	v_lshl_add_u32 v7, v7, 23, v9
	v_or3_b32 v6, v8, v7, v6
.LBB300_125:
	s_or_b64 exec, exec, s[28:29]
	v_cmp_neq_f32_e64 s[26:27], s34, v6
.LBB300_126:
	s_and_b64 vcc, exec, s[4:5]
	s_cbranch_vccnz .LBB300_395
.LBB300_127:
	s_and_b32 s34, s14, 0xff
	s_cmpk_lt_i32 s34, 0x80
	s_cbranch_scc1 .LBB300_135
; %bb.128:
	s_and_b32 s28, 0xffff, s34
	s_cmpk_eq_i32 s28, 0x80
	s_mov_b64 s[28:29], -1
	s_cbranch_scc0 .LBB300_130
; %bb.129:
	s_mov_b64 s[28:29], 0
.LBB300_130:
	s_mov_b32 s36, 0x7f800001
	s_branch .LBB300_137
.LBB300_131:
	s_movk_i32 s26, 0x80
	v_cmp_eq_u16_sdwa s[36:37], v3, s26 src0_sel:BYTE_0 src1_sel:DWORD
	s_mov_b64 s[26:27], -1
	s_and_saveexec_b64 s[30:31], s[36:37]
; %bb.132:
	s_xor_b64 s[26:27], exec, -1
; %bb.133:
	s_or_b64 exec, exec, s[30:31]
	s_and_b64 s[26:27], s[26:27], exec
	s_or_saveexec_b64 s[28:29], s[28:29]
	v_mov_b32_e32 v6, 0x7f800001
	s_xor_b64 exec, exec, s[28:29]
	s_cbranch_execz .LBB300_123
.LBB300_134:
	v_mov_b32_e32 v6, 0
	v_cmp_ne_u16_sdwa s[30:31], v3, v6 src0_sel:BYTE_0 src1_sel:DWORD
	s_andn2_b64 s[26:27], s[26:27], exec
	s_and_b64 s[30:31], s[30:31], exec
	s_or_b64 s[26:27], s[26:27], s[30:31]
	s_or_b64 exec, exec, s[28:29]
	s_and_saveexec_b64 s[28:29], s[26:27]
	s_cbranch_execnz .LBB300_124
	s_branch .LBB300_125
.LBB300_135:
	s_mov_b64 s[28:29], 0
	s_mov_b32 s36, 0x7f800001
	s_cbranch_execz .LBB300_137
; %bb.136:
	s_and_b32 s28, 0xffff, s34
	s_cmp_lg_u32 s28, 0
	s_mov_b32 s36, 0
	s_cselect_b64 s[28:29], -1, 0
.LBB300_137:
	s_andn2_b64 vcc, exec, s[28:29]
	s_cbranch_vccnz .LBB300_139
; %bb.138:
	s_mov_b32 s36, s33
.LBB300_139:
	s_movk_i32 s28, 0xff
	v_and_b32_sdwa v3, v4, s28 dst_sel:DWORD dst_unused:UNUSED_PAD src0_sel:WORD_1 src1_sel:DWORD
	s_movk_i32 s28, 0x7f
	v_cmp_lt_i16_e32 vcc, s28, v3
	s_mov_b64 s[28:29], 0
	s_and_saveexec_b64 s[30:31], vcc
	s_xor_b64 s[30:31], exec, s[30:31]
	s_cbranch_execnz .LBB300_149
; %bb.140:
	s_or_saveexec_b64 s[30:31], s[30:31]
	v_mov_b32_e32 v6, 0x7f800001
	s_xor_b64 exec, exec, s[30:31]
	s_cbranch_execnz .LBB300_152
.LBB300_141:
	s_or_b64 exec, exec, s[30:31]
	s_and_saveexec_b64 s[30:31], s[28:29]
	s_cbranch_execz .LBB300_143
.LBB300_142:
	v_bfe_u32 v3, v4, 16, 3
	v_ffbh_u32_e32 v7, v3
	v_min_u32_e32 v7, 32, v7
	v_bfe_u32 v6, v4, 19, 4
	v_subrev_u32_e32 v8, 28, v7
	v_lshlrev_b32_sdwa v8, v8, v4 dst_sel:DWORD dst_unused:UNUSED_PAD src0_sel:DWORD src1_sel:WORD_1
	v_sub_u32_e32 v7, 29, v7
	v_cmp_eq_u32_e32 vcc, 0, v6
	v_and_b32_e32 v8, 7, v8
	v_cndmask_b32_e32 v6, v6, v7, vcc
	v_mov_b32_e32 v7, 24
	v_cndmask_b32_e32 v3, v3, v8, vcc
	v_lshlrev_b32_sdwa v7, v7, v4 dst_sel:DWORD dst_unused:UNUSED_PAD src0_sel:DWORD src1_sel:WORD_1
	v_mov_b32_e32 v8, 0x3b800000
	v_lshlrev_b32_e32 v3, 20, v3
	v_and_b32_e32 v7, 0x80000000, v7
	v_lshl_add_u32 v6, v6, 23, v8
	v_or3_b32 v6, v7, v6, v3
.LBB300_143:
	s_or_b64 exec, exec, s[30:31]
	v_cmp_neq_f32_e64 s[28:29], s36, v6
.LBB300_144:
	s_and_b64 vcc, exec, s[4:5]
	s_cbranch_vccnz .LBB300_413
.LBB300_145:
	s_and_b32 s36, s14, 0xff
	s_cmpk_lt_i32 s36, 0x80
	s_cbranch_scc1 .LBB300_153
; %bb.146:
	s_and_b32 s30, 0xffff, s36
	s_cmpk_eq_i32 s30, 0x80
	s_mov_b64 s[30:31], -1
	s_cbranch_scc0 .LBB300_148
; %bb.147:
	s_mov_b64 s[30:31], 0
.LBB300_148:
	s_mov_b32 s38, 0x7f800001
	s_branch .LBB300_155
.LBB300_149:
	s_movk_i32 s28, 0x80
	v_cmp_eq_u16_e32 vcc, s28, v3
	s_mov_b64 s[28:29], -1
	s_and_saveexec_b64 s[34:35], vcc
; %bb.150:
	s_xor_b64 s[28:29], exec, -1
; %bb.151:
	s_or_b64 exec, exec, s[34:35]
	s_and_b64 s[28:29], s[28:29], exec
                                        ; implicit-def: $vgpr3
	s_or_saveexec_b64 s[30:31], s[30:31]
	v_mov_b32_e32 v6, 0x7f800001
	s_xor_b64 exec, exec, s[30:31]
	s_cbranch_execz .LBB300_141
.LBB300_152:
	v_cmp_ne_u16_e32 vcc, 0, v3
	s_andn2_b64 s[28:29], s[28:29], exec
	s_and_b64 s[34:35], vcc, exec
	v_mov_b32_e32 v6, 0
	s_or_b64 s[28:29], s[28:29], s[34:35]
	s_or_b64 exec, exec, s[30:31]
	s_and_saveexec_b64 s[30:31], s[28:29]
	s_cbranch_execnz .LBB300_142
	s_branch .LBB300_143
.LBB300_153:
	s_mov_b64 s[30:31], 0
	s_mov_b32 s38, 0x7f800001
	s_cbranch_execz .LBB300_155
; %bb.154:
	s_and_b32 s30, 0xffff, s36
	s_cmp_lg_u32 s30, 0
	s_mov_b32 s38, 0
	s_cselect_b64 s[30:31], -1, 0
.LBB300_155:
	s_andn2_b64 vcc, exec, s[30:31]
	s_cbranch_vccnz .LBB300_157
; %bb.156:
	s_mov_b32 s38, s33
.LBB300_157:
	s_movk_i32 s30, 0x7f
	v_cmp_gt_i16_sdwa s[34:35], v4, s30 src0_sel:BYTE_3 src1_sel:DWORD
	s_mov_b64 s[30:31], 0
	s_and_saveexec_b64 s[36:37], s[34:35]
	s_xor_b64 s[34:35], exec, s[36:37]
	s_cbranch_execnz .LBB300_167
; %bb.158:
	s_or_saveexec_b64 s[34:35], s[34:35]
	v_mov_b32_e32 v3, 0x7f800001
	s_xor_b64 exec, exec, s[34:35]
	s_cbranch_execnz .LBB300_170
.LBB300_159:
	s_or_b64 exec, exec, s[34:35]
	s_and_saveexec_b64 s[34:35], s[30:31]
	s_cbranch_execz .LBB300_161
.LBB300_160:
	v_bfe_u32 v3, v4, 24, 3
	v_ffbh_u32_e32 v7, v3
	v_min_u32_e32 v7, 32, v7
	v_subrev_u32_e32 v8, 28, v7
	v_bfe_u32 v6, v4, 27, 4
	v_lshlrev_b32_sdwa v8, v8, v4 dst_sel:DWORD dst_unused:UNUSED_PAD src0_sel:DWORD src1_sel:BYTE_3
	v_sub_u32_e32 v7, 29, v7
	v_and_b32_e32 v8, 7, v8
	v_cmp_eq_u32_e32 vcc, 0, v6
	v_cndmask_b32_e32 v6, v6, v7, vcc
	v_cndmask_b32_e32 v3, v3, v8, vcc
	v_mov_b32_e32 v8, 0x3b800000
	v_lshlrev_b32_e32 v3, 20, v3
	v_and_b32_e32 v7, 0x80000000, v4
	v_lshl_add_u32 v6, v6, 23, v8
	v_or3_b32 v3, v7, v6, v3
.LBB300_161:
	s_or_b64 exec, exec, s[34:35]
	v_cmp_neq_f32_e64 s[30:31], s38, v3
.LBB300_162:
	s_and_b64 vcc, exec, s[4:5]
	s_cbranch_vccnz .LBB300_431
.LBB300_163:
	s_and_b32 s38, s14, 0xff
	s_cmpk_lt_i32 s38, 0x80
	s_cbranch_scc1 .LBB300_171
; %bb.164:
	s_and_b32 s34, 0xffff, s38
	s_cmpk_eq_i32 s34, 0x80
	s_mov_b64 s[34:35], -1
	s_cbranch_scc0 .LBB300_166
; %bb.165:
	s_mov_b64 s[34:35], 0
.LBB300_166:
	s_mov_b32 s40, 0x7f800001
	s_branch .LBB300_173
.LBB300_167:
	s_movk_i32 s30, 0x80
	v_cmp_eq_u16_sdwa s[40:41], v4, s30 src0_sel:BYTE_3 src1_sel:DWORD
	s_mov_b64 s[30:31], -1
	s_and_saveexec_b64 s[36:37], s[40:41]
; %bb.168:
	s_xor_b64 s[30:31], exec, -1
; %bb.169:
	s_or_b64 exec, exec, s[36:37]
	s_and_b64 s[30:31], s[30:31], exec
	s_or_saveexec_b64 s[34:35], s[34:35]
	v_mov_b32_e32 v3, 0x7f800001
	s_xor_b64 exec, exec, s[34:35]
	s_cbranch_execz .LBB300_159
.LBB300_170:
	v_mov_b32_e32 v3, 0
	v_cmp_ne_u16_sdwa s[36:37], v4, v3 src0_sel:BYTE_3 src1_sel:DWORD
	s_andn2_b64 s[30:31], s[30:31], exec
	s_and_b64 s[36:37], s[36:37], exec
	s_or_b64 s[30:31], s[30:31], s[36:37]
	s_or_b64 exec, exec, s[34:35]
	s_and_saveexec_b64 s[34:35], s[30:31]
	s_cbranch_execnz .LBB300_160
	s_branch .LBB300_161
.LBB300_171:
	s_mov_b64 s[34:35], 0
	s_mov_b32 s40, 0x7f800001
	s_cbranch_execz .LBB300_173
; %bb.172:
	s_and_b32 s34, 0xffff, s38
	s_cmp_lg_u32 s34, 0
	s_mov_b32 s40, 0
	s_cselect_b64 s[34:35], -1, 0
.LBB300_173:
	s_andn2_b64 vcc, exec, s[34:35]
	s_cbranch_vccnz .LBB300_175
; %bb.174:
	s_mov_b32 s40, s33
.LBB300_175:
	s_movk_i32 s34, 0x7f
	s_waitcnt vmcnt(0)
	v_cmp_gt_i16_sdwa s[36:37], v1, s34 src0_sel:BYTE_0 src1_sel:DWORD
	s_mov_b64 s[34:35], 0
	s_and_saveexec_b64 s[38:39], s[36:37]
	s_xor_b64 s[36:37], exec, s[38:39]
	s_cbranch_execnz .LBB300_185
; %bb.176:
	s_or_saveexec_b64 s[36:37], s[36:37]
	v_mov_b32_e32 v3, 0x7f800001
	s_xor_b64 exec, exec, s[36:37]
	s_cbranch_execnz .LBB300_188
.LBB300_177:
	s_or_b64 exec, exec, s[36:37]
	s_and_saveexec_b64 s[36:37], s[34:35]
	s_cbranch_execz .LBB300_179
.LBB300_178:
	v_and_b32_e32 v3, 7, v1
	v_ffbh_u32_e32 v6, v3
	v_min_u32_e32 v6, 32, v6
	v_subrev_u32_e32 v7, 28, v6
	v_bfe_u32 v4, v1, 3, 4
	v_lshlrev_b32_e32 v7, v7, v1
	v_sub_u32_e32 v6, 29, v6
	v_and_b32_e32 v7, 7, v7
	v_cmp_eq_u32_e32 vcc, 0, v4
	v_cndmask_b32_e32 v4, v4, v6, vcc
	v_cndmask_b32_e32 v3, v3, v7, vcc
	v_lshlrev_b32_e32 v6, 24, v1
	v_mov_b32_e32 v7, 0x3b800000
	v_lshlrev_b32_e32 v3, 20, v3
	v_and_b32_e32 v6, 0x80000000, v6
	v_lshl_add_u32 v4, v4, 23, v7
	v_or3_b32 v3, v6, v4, v3
.LBB300_179:
	s_or_b64 exec, exec, s[36:37]
	v_cmp_neq_f32_e64 s[34:35], s40, v3
.LBB300_180:
	s_and_b64 vcc, exec, s[4:5]
	s_waitcnt vmcnt(0)
	v_lshrrev_b32_e32 v3, 8, v1
	s_cbranch_vccnz .LBB300_449
.LBB300_181:
	s_and_b32 s40, s14, 0xff
	s_cmpk_lt_i32 s40, 0x80
	s_cbranch_scc1 .LBB300_189
; %bb.182:
	s_and_b32 s36, 0xffff, s40
	s_cmpk_eq_i32 s36, 0x80
	s_mov_b64 s[36:37], -1
	s_cbranch_scc0 .LBB300_184
; %bb.183:
	s_mov_b64 s[36:37], 0
.LBB300_184:
	s_mov_b32 s42, 0x7f800001
	s_branch .LBB300_191
.LBB300_185:
	s_movk_i32 s34, 0x80
	v_cmp_eq_u16_sdwa s[42:43], v1, s34 src0_sel:BYTE_0 src1_sel:DWORD
	s_mov_b64 s[34:35], -1
	s_and_saveexec_b64 s[38:39], s[42:43]
; %bb.186:
	s_xor_b64 s[34:35], exec, -1
; %bb.187:
	s_or_b64 exec, exec, s[38:39]
	s_and_b64 s[34:35], s[34:35], exec
	s_or_saveexec_b64 s[36:37], s[36:37]
	v_mov_b32_e32 v3, 0x7f800001
	s_xor_b64 exec, exec, s[36:37]
	s_cbranch_execz .LBB300_177
.LBB300_188:
	v_mov_b32_e32 v3, 0
	v_cmp_ne_u16_sdwa s[38:39], v1, v3 src0_sel:BYTE_0 src1_sel:DWORD
	s_andn2_b64 s[34:35], s[34:35], exec
	s_and_b64 s[38:39], s[38:39], exec
	s_or_b64 s[34:35], s[34:35], s[38:39]
	s_or_b64 exec, exec, s[36:37]
	s_and_saveexec_b64 s[36:37], s[34:35]
	s_cbranch_execnz .LBB300_178
	s_branch .LBB300_179
.LBB300_189:
	s_mov_b64 s[36:37], 0
	s_mov_b32 s42, 0x7f800001
	s_cbranch_execz .LBB300_191
; %bb.190:
	s_and_b32 s36, 0xffff, s40
	s_cmp_lg_u32 s36, 0
	s_mov_b32 s42, 0
	s_cselect_b64 s[36:37], -1, 0
.LBB300_191:
	s_andn2_b64 vcc, exec, s[36:37]
	s_cbranch_vccnz .LBB300_193
; %bb.192:
	s_mov_b32 s42, s33
.LBB300_193:
	s_movk_i32 s36, 0x7f
	v_cmp_gt_i16_sdwa s[38:39], v3, s36 src0_sel:BYTE_0 src1_sel:DWORD
	s_mov_b64 s[36:37], 0
	s_and_saveexec_b64 s[40:41], s[38:39]
	s_xor_b64 s[38:39], exec, s[40:41]
	s_cbranch_execnz .LBB300_203
; %bb.194:
	s_or_saveexec_b64 s[38:39], s[38:39]
	v_mov_b32_e32 v4, 0x7f800001
	s_xor_b64 exec, exec, s[38:39]
	s_cbranch_execnz .LBB300_206
.LBB300_195:
	s_or_b64 exec, exec, s[38:39]
	s_and_saveexec_b64 s[38:39], s[36:37]
	s_cbranch_execz .LBB300_197
.LBB300_196:
	v_bfe_u32 v4, v1, 8, 3
	v_ffbh_u32_e32 v7, v4
	v_min_u32_e32 v7, 32, v7
	v_subrev_u32_e32 v8, 28, v7
	v_bfe_u32 v6, v1, 11, 4
	v_lshlrev_b32_e32 v8, v8, v3
	v_sub_u32_e32 v7, 29, v7
	v_and_b32_e32 v8, 7, v8
	v_cmp_eq_u32_e32 vcc, 0, v6
	v_cndmask_b32_e32 v6, v6, v7, vcc
	v_cndmask_b32_e32 v4, v4, v8, vcc
	v_lshlrev_b32_e32 v7, 24, v3
	v_mov_b32_e32 v8, 0x3b800000
	v_lshlrev_b32_e32 v4, 20, v4
	v_and_b32_e32 v7, 0x80000000, v7
	v_lshl_add_u32 v6, v6, 23, v8
	v_or3_b32 v4, v7, v6, v4
.LBB300_197:
	s_or_b64 exec, exec, s[38:39]
	v_cmp_neq_f32_e64 s[36:37], s42, v4
.LBB300_198:
	s_and_b64 vcc, exec, s[4:5]
	s_cbranch_vccnz .LBB300_467
.LBB300_199:
	s_and_b32 s42, s14, 0xff
	s_cmpk_lt_i32 s42, 0x80
	s_cbranch_scc1 .LBB300_207
; %bb.200:
	s_and_b32 s38, 0xffff, s42
	s_cmpk_eq_i32 s38, 0x80
	s_mov_b64 s[38:39], -1
	s_cbranch_scc0 .LBB300_202
; %bb.201:
	s_mov_b64 s[38:39], 0
.LBB300_202:
	s_mov_b32 s44, 0x7f800001
	s_branch .LBB300_209
.LBB300_203:
	s_movk_i32 s36, 0x80
	v_cmp_eq_u16_sdwa s[44:45], v3, s36 src0_sel:BYTE_0 src1_sel:DWORD
	s_mov_b64 s[36:37], -1
	s_and_saveexec_b64 s[40:41], s[44:45]
; %bb.204:
	s_xor_b64 s[36:37], exec, -1
; %bb.205:
	s_or_b64 exec, exec, s[40:41]
	s_and_b64 s[36:37], s[36:37], exec
	s_or_saveexec_b64 s[38:39], s[38:39]
	v_mov_b32_e32 v4, 0x7f800001
	s_xor_b64 exec, exec, s[38:39]
	s_cbranch_execz .LBB300_195
.LBB300_206:
	v_mov_b32_e32 v4, 0
	v_cmp_ne_u16_sdwa s[40:41], v3, v4 src0_sel:BYTE_0 src1_sel:DWORD
	s_andn2_b64 s[36:37], s[36:37], exec
	s_and_b64 s[40:41], s[40:41], exec
	s_or_b64 s[36:37], s[36:37], s[40:41]
	s_or_b64 exec, exec, s[38:39]
	s_and_saveexec_b64 s[38:39], s[36:37]
	s_cbranch_execnz .LBB300_196
	s_branch .LBB300_197
.LBB300_207:
	s_mov_b64 s[38:39], 0
	s_mov_b32 s44, 0x7f800001
	s_cbranch_execz .LBB300_209
; %bb.208:
	s_and_b32 s38, 0xffff, s42
	s_cmp_lg_u32 s38, 0
	s_mov_b32 s44, 0
	s_cselect_b64 s[38:39], -1, 0
.LBB300_209:
	s_andn2_b64 vcc, exec, s[38:39]
	s_cbranch_vccnz .LBB300_211
; %bb.210:
	s_mov_b32 s44, s33
.LBB300_211:
	s_movk_i32 s38, 0xff
	v_and_b32_sdwa v3, v1, s38 dst_sel:DWORD dst_unused:UNUSED_PAD src0_sel:WORD_1 src1_sel:DWORD
	s_movk_i32 s38, 0x7f
	v_cmp_lt_i16_e32 vcc, s38, v3
	s_mov_b64 s[38:39], 0
	s_and_saveexec_b64 s[40:41], vcc
	s_xor_b64 s[40:41], exec, s[40:41]
	s_cbranch_execnz .LBB300_221
; %bb.212:
	s_or_saveexec_b64 s[40:41], s[40:41]
	v_mov_b32_e32 v4, 0x7f800001
	s_xor_b64 exec, exec, s[40:41]
	s_cbranch_execnz .LBB300_224
.LBB300_213:
	s_or_b64 exec, exec, s[40:41]
	s_and_saveexec_b64 s[40:41], s[38:39]
	s_cbranch_execz .LBB300_215
.LBB300_214:
	v_bfe_u32 v3, v1, 16, 3
	v_ffbh_u32_e32 v6, v3
	v_min_u32_e32 v6, 32, v6
	v_bfe_u32 v4, v1, 19, 4
	v_subrev_u32_e32 v7, 28, v6
	v_lshlrev_b32_sdwa v7, v7, v1 dst_sel:DWORD dst_unused:UNUSED_PAD src0_sel:DWORD src1_sel:WORD_1
	v_sub_u32_e32 v6, 29, v6
	v_cmp_eq_u32_e32 vcc, 0, v4
	v_and_b32_e32 v7, 7, v7
	v_cndmask_b32_e32 v4, v4, v6, vcc
	v_mov_b32_e32 v6, 24
	v_cndmask_b32_e32 v3, v3, v7, vcc
	v_lshlrev_b32_sdwa v6, v6, v1 dst_sel:DWORD dst_unused:UNUSED_PAD src0_sel:DWORD src1_sel:WORD_1
	v_mov_b32_e32 v7, 0x3b800000
	v_lshlrev_b32_e32 v3, 20, v3
	v_and_b32_e32 v6, 0x80000000, v6
	v_lshl_add_u32 v4, v4, 23, v7
	v_or3_b32 v4, v6, v4, v3
.LBB300_215:
	s_or_b64 exec, exec, s[40:41]
	v_cmp_neq_f32_e64 s[38:39], s44, v4
.LBB300_216:
	s_and_b64 vcc, exec, s[4:5]
	s_cbranch_vccnz .LBB300_485
.LBB300_217:
	s_and_b32 s44, s14, 0xff
	s_cmpk_lt_i32 s44, 0x80
	s_cbranch_scc1 .LBB300_225
; %bb.218:
	s_and_b32 s40, 0xffff, s44
	s_cmpk_eq_i32 s40, 0x80
	s_mov_b64 s[40:41], -1
	s_cbranch_scc0 .LBB300_220
; %bb.219:
	s_mov_b64 s[40:41], 0
.LBB300_220:
	s_mov_b32 s46, 0x7f800001
	s_branch .LBB300_227
.LBB300_221:
	s_movk_i32 s38, 0x80
	v_cmp_eq_u16_e32 vcc, s38, v3
	s_mov_b64 s[38:39], -1
	s_and_saveexec_b64 s[42:43], vcc
; %bb.222:
	s_xor_b64 s[38:39], exec, -1
; %bb.223:
	s_or_b64 exec, exec, s[42:43]
	s_and_b64 s[38:39], s[38:39], exec
                                        ; implicit-def: $vgpr3
	s_or_saveexec_b64 s[40:41], s[40:41]
	v_mov_b32_e32 v4, 0x7f800001
	s_xor_b64 exec, exec, s[40:41]
	s_cbranch_execz .LBB300_213
.LBB300_224:
	v_cmp_ne_u16_e32 vcc, 0, v3
	s_andn2_b64 s[38:39], s[38:39], exec
	s_and_b64 s[42:43], vcc, exec
	v_mov_b32_e32 v4, 0
	s_or_b64 s[38:39], s[38:39], s[42:43]
	s_or_b64 exec, exec, s[40:41]
	s_and_saveexec_b64 s[40:41], s[38:39]
	s_cbranch_execnz .LBB300_214
	s_branch .LBB300_215
.LBB300_225:
	s_mov_b64 s[40:41], 0
	s_mov_b32 s46, 0x7f800001
	s_cbranch_execz .LBB300_227
; %bb.226:
	s_and_b32 s40, 0xffff, s44
	s_cmp_lg_u32 s40, 0
	s_mov_b32 s46, 0
	s_cselect_b64 s[40:41], -1, 0
.LBB300_227:
	s_andn2_b64 vcc, exec, s[40:41]
	s_cbranch_vccnz .LBB300_229
; %bb.228:
	s_mov_b32 s46, s33
.LBB300_229:
	s_movk_i32 s40, 0x7f
	v_cmp_gt_i16_sdwa s[42:43], v1, s40 src0_sel:BYTE_3 src1_sel:DWORD
	s_mov_b64 s[40:41], 0
	s_and_saveexec_b64 s[44:45], s[42:43]
	s_xor_b64 s[42:43], exec, s[44:45]
	s_cbranch_execnz .LBB300_239
; %bb.230:
	s_or_saveexec_b64 s[42:43], s[42:43]
	v_mov_b32_e32 v3, 0x7f800001
	s_xor_b64 exec, exec, s[42:43]
	s_cbranch_execnz .LBB300_242
.LBB300_231:
	s_or_b64 exec, exec, s[42:43]
	s_and_saveexec_b64 s[42:43], s[40:41]
	s_cbranch_execz .LBB300_233
.LBB300_232:
	v_bfe_u32 v3, v1, 24, 3
	v_ffbh_u32_e32 v6, v3
	v_min_u32_e32 v6, 32, v6
	v_subrev_u32_e32 v7, 28, v6
	v_bfe_u32 v4, v1, 27, 4
	v_lshlrev_b32_sdwa v7, v7, v1 dst_sel:DWORD dst_unused:UNUSED_PAD src0_sel:DWORD src1_sel:BYTE_3
	v_sub_u32_e32 v6, 29, v6
	v_and_b32_e32 v7, 7, v7
	v_cmp_eq_u32_e32 vcc, 0, v4
	v_cndmask_b32_e32 v4, v4, v6, vcc
	v_cndmask_b32_e32 v3, v3, v7, vcc
	v_mov_b32_e32 v7, 0x3b800000
	v_lshlrev_b32_e32 v3, 20, v3
	v_and_b32_e32 v6, 0x80000000, v1
	v_lshl_add_u32 v4, v4, 23, v7
	v_or3_b32 v3, v6, v4, v3
.LBB300_233:
	s_or_b64 exec, exec, s[42:43]
	v_cmp_neq_f32_e64 s[40:41], s46, v3
.LBB300_234:
	s_and_b64 vcc, exec, s[4:5]
	s_cbranch_vccnz .LBB300_503
.LBB300_235:
	s_and_b32 s46, s14, 0xff
	s_cmpk_lt_i32 s46, 0x80
	s_cbranch_scc1 .LBB300_243
; %bb.236:
	s_and_b32 s42, 0xffff, s46
	s_cmpk_eq_i32 s42, 0x80
	s_mov_b64 s[42:43], -1
	s_cbranch_scc0 .LBB300_238
; %bb.237:
	s_mov_b64 s[42:43], 0
.LBB300_238:
	s_mov_b32 s48, 0x7f800001
	s_branch .LBB300_245
.LBB300_239:
	s_movk_i32 s40, 0x80
	v_cmp_eq_u16_sdwa s[48:49], v1, s40 src0_sel:BYTE_3 src1_sel:DWORD
	s_mov_b64 s[40:41], -1
	s_and_saveexec_b64 s[44:45], s[48:49]
; %bb.240:
	s_xor_b64 s[40:41], exec, -1
; %bb.241:
	s_or_b64 exec, exec, s[44:45]
	s_and_b64 s[40:41], s[40:41], exec
	s_or_saveexec_b64 s[42:43], s[42:43]
	v_mov_b32_e32 v3, 0x7f800001
	s_xor_b64 exec, exec, s[42:43]
	s_cbranch_execz .LBB300_231
.LBB300_242:
	v_mov_b32_e32 v3, 0
	v_cmp_ne_u16_sdwa s[44:45], v1, v3 src0_sel:BYTE_3 src1_sel:DWORD
	s_andn2_b64 s[40:41], s[40:41], exec
	s_and_b64 s[44:45], s[44:45], exec
	s_or_b64 s[40:41], s[40:41], s[44:45]
	s_or_b64 exec, exec, s[42:43]
	s_and_saveexec_b64 s[42:43], s[40:41]
	s_cbranch_execnz .LBB300_232
	s_branch .LBB300_233
.LBB300_243:
	s_mov_b64 s[42:43], 0
	s_mov_b32 s48, 0x7f800001
	s_cbranch_execz .LBB300_245
; %bb.244:
	s_and_b32 s42, 0xffff, s46
	s_cmp_lg_u32 s42, 0
	s_mov_b32 s48, 0
	s_cselect_b64 s[42:43], -1, 0
.LBB300_245:
	s_andn2_b64 vcc, exec, s[42:43]
	s_cbranch_vccnz .LBB300_247
; %bb.246:
	s_mov_b32 s48, s33
.LBB300_247:
	s_movk_i32 s42, 0x7f
	v_cmp_gt_i16_sdwa s[44:45], v2, s42 src0_sel:BYTE_0 src1_sel:DWORD
	s_mov_b64 s[42:43], 0
	s_and_saveexec_b64 s[46:47], s[44:45]
	s_xor_b64 s[44:45], exec, s[46:47]
	s_cbranch_execnz .LBB300_257
; %bb.248:
	s_or_saveexec_b64 s[44:45], s[44:45]
	v_mov_b32_e32 v1, 0x7f800001
	s_xor_b64 exec, exec, s[44:45]
	s_cbranch_execnz .LBB300_260
.LBB300_249:
	s_or_b64 exec, exec, s[44:45]
	s_and_saveexec_b64 s[44:45], s[42:43]
	s_cbranch_execz .LBB300_251
.LBB300_250:
	v_and_b32_e32 v1, 7, v2
	v_ffbh_u32_e32 v4, v1
	v_min_u32_e32 v4, 32, v4
	v_subrev_u32_e32 v6, 28, v4
	v_bfe_u32 v3, v2, 3, 4
	v_lshlrev_b32_e32 v6, v6, v2
	v_sub_u32_e32 v4, 29, v4
	v_and_b32_e32 v6, 7, v6
	v_cmp_eq_u32_e32 vcc, 0, v3
	v_cndmask_b32_e32 v3, v3, v4, vcc
	v_cndmask_b32_e32 v1, v1, v6, vcc
	v_lshlrev_b32_e32 v4, 24, v2
	v_mov_b32_e32 v6, 0x3b800000
	v_lshlrev_b32_e32 v1, 20, v1
	v_and_b32_e32 v4, 0x80000000, v4
	v_lshl_add_u32 v3, v3, 23, v6
	v_or3_b32 v1, v4, v3, v1
.LBB300_251:
	s_or_b64 exec, exec, s[44:45]
	v_cmp_neq_f32_e64 s[42:43], s48, v1
.LBB300_252:
	s_and_b64 vcc, exec, s[4:5]
	v_lshrrev_b32_e32 v1, 8, v2
	s_cbranch_vccnz .LBB300_521
.LBB300_253:
	s_and_b32 s48, s14, 0xff
	s_cmpk_lt_i32 s48, 0x80
	s_cbranch_scc1 .LBB300_261
; %bb.254:
	s_and_b32 s44, 0xffff, s48
	s_cmpk_eq_i32 s44, 0x80
	s_mov_b64 s[44:45], -1
	s_cbranch_scc0 .LBB300_256
; %bb.255:
	s_mov_b64 s[44:45], 0
.LBB300_256:
	s_mov_b32 s50, 0x7f800001
	s_branch .LBB300_263
.LBB300_257:
	s_movk_i32 s42, 0x80
	v_cmp_eq_u16_sdwa s[50:51], v2, s42 src0_sel:BYTE_0 src1_sel:DWORD
	s_mov_b64 s[42:43], -1
	s_and_saveexec_b64 s[46:47], s[50:51]
; %bb.258:
	s_xor_b64 s[42:43], exec, -1
; %bb.259:
	s_or_b64 exec, exec, s[46:47]
	s_and_b64 s[42:43], s[42:43], exec
	s_or_saveexec_b64 s[44:45], s[44:45]
	v_mov_b32_e32 v1, 0x7f800001
	s_xor_b64 exec, exec, s[44:45]
	s_cbranch_execz .LBB300_249
.LBB300_260:
	v_mov_b32_e32 v1, 0
	v_cmp_ne_u16_sdwa s[46:47], v2, v1 src0_sel:BYTE_0 src1_sel:DWORD
	s_andn2_b64 s[42:43], s[42:43], exec
	s_and_b64 s[46:47], s[46:47], exec
	s_or_b64 s[42:43], s[42:43], s[46:47]
	s_or_b64 exec, exec, s[44:45]
	s_and_saveexec_b64 s[44:45], s[42:43]
	s_cbranch_execnz .LBB300_250
	s_branch .LBB300_251
.LBB300_261:
	s_mov_b64 s[44:45], 0
	s_mov_b32 s50, 0x7f800001
	s_cbranch_execz .LBB300_263
; %bb.262:
	s_and_b32 s44, 0xffff, s48
	s_cmp_lg_u32 s44, 0
	s_mov_b32 s50, 0
	s_cselect_b64 s[44:45], -1, 0
.LBB300_263:
	s_andn2_b64 vcc, exec, s[44:45]
	s_cbranch_vccnz .LBB300_265
; %bb.264:
	s_mov_b32 s50, s33
.LBB300_265:
	s_movk_i32 s44, 0x7f
	v_cmp_gt_i16_sdwa s[46:47], v1, s44 src0_sel:BYTE_0 src1_sel:DWORD
	s_mov_b64 s[44:45], 0
	s_and_saveexec_b64 s[48:49], s[46:47]
	s_xor_b64 s[46:47], exec, s[48:49]
	s_cbranch_execnz .LBB300_275
; %bb.266:
	s_or_saveexec_b64 s[46:47], s[46:47]
	v_mov_b32_e32 v3, 0x7f800001
	s_xor_b64 exec, exec, s[46:47]
	s_cbranch_execnz .LBB300_278
.LBB300_267:
	s_or_b64 exec, exec, s[46:47]
	s_and_saveexec_b64 s[46:47], s[44:45]
	s_cbranch_execz .LBB300_269
.LBB300_268:
	v_bfe_u32 v3, v2, 8, 3
	v_ffbh_u32_e32 v6, v3
	v_min_u32_e32 v6, 32, v6
	v_subrev_u32_e32 v7, 28, v6
	v_bfe_u32 v4, v2, 11, 4
	v_lshlrev_b32_e32 v7, v7, v1
	v_sub_u32_e32 v6, 29, v6
	v_and_b32_e32 v7, 7, v7
	v_cmp_eq_u32_e32 vcc, 0, v4
	v_cndmask_b32_e32 v4, v4, v6, vcc
	v_cndmask_b32_e32 v3, v3, v7, vcc
	v_lshlrev_b32_e32 v6, 24, v1
	v_mov_b32_e32 v7, 0x3b800000
	v_lshlrev_b32_e32 v3, 20, v3
	v_and_b32_e32 v6, 0x80000000, v6
	v_lshl_add_u32 v4, v4, 23, v7
	v_or3_b32 v3, v6, v4, v3
.LBB300_269:
	s_or_b64 exec, exec, s[46:47]
	v_cmp_neq_f32_e64 s[44:45], s50, v3
.LBB300_270:
	s_and_b64 vcc, exec, s[4:5]
	s_cbranch_vccnz .LBB300_539
.LBB300_271:
	s_and_b32 s50, s14, 0xff
	s_cmpk_lt_i32 s50, 0x80
	s_cbranch_scc1 .LBB300_279
; %bb.272:
	s_and_b32 s46, 0xffff, s50
	s_cmpk_eq_i32 s46, 0x80
	s_mov_b64 s[46:47], -1
	s_cbranch_scc0 .LBB300_274
; %bb.273:
	s_mov_b64 s[46:47], 0
.LBB300_274:
	s_mov_b32 s52, 0x7f800001
	s_branch .LBB300_281
.LBB300_275:
	s_movk_i32 s44, 0x80
	v_cmp_eq_u16_sdwa s[52:53], v1, s44 src0_sel:BYTE_0 src1_sel:DWORD
	s_mov_b64 s[44:45], -1
	s_and_saveexec_b64 s[48:49], s[52:53]
; %bb.276:
	s_xor_b64 s[44:45], exec, -1
; %bb.277:
	s_or_b64 exec, exec, s[48:49]
	s_and_b64 s[44:45], s[44:45], exec
	s_or_saveexec_b64 s[46:47], s[46:47]
	v_mov_b32_e32 v3, 0x7f800001
	s_xor_b64 exec, exec, s[46:47]
	s_cbranch_execz .LBB300_267
.LBB300_278:
	v_mov_b32_e32 v3, 0
	v_cmp_ne_u16_sdwa s[48:49], v1, v3 src0_sel:BYTE_0 src1_sel:DWORD
	s_andn2_b64 s[44:45], s[44:45], exec
	s_and_b64 s[48:49], s[48:49], exec
	s_or_b64 s[44:45], s[44:45], s[48:49]
	s_or_b64 exec, exec, s[46:47]
	s_and_saveexec_b64 s[46:47], s[44:45]
	s_cbranch_execnz .LBB300_268
	s_branch .LBB300_269
.LBB300_279:
	s_mov_b64 s[46:47], 0
	s_mov_b32 s52, 0x7f800001
	s_cbranch_execz .LBB300_281
; %bb.280:
	s_and_b32 s46, 0xffff, s50
	s_cmp_lg_u32 s46, 0
	s_mov_b32 s52, 0
	s_cselect_b64 s[46:47], -1, 0
.LBB300_281:
	s_andn2_b64 vcc, exec, s[46:47]
	s_cbranch_vccnz .LBB300_283
; %bb.282:
	s_mov_b32 s52, s33
.LBB300_283:
	s_movk_i32 s46, 0xff
	v_and_b32_sdwa v1, v2, s46 dst_sel:DWORD dst_unused:UNUSED_PAD src0_sel:WORD_1 src1_sel:DWORD
	s_movk_i32 s46, 0x7f
	v_cmp_lt_i16_e32 vcc, s46, v1
	s_mov_b64 s[46:47], 0
	s_and_saveexec_b64 s[48:49], vcc
	s_xor_b64 s[48:49], exec, s[48:49]
	s_cbranch_execnz .LBB300_293
; %bb.284:
	s_or_saveexec_b64 s[48:49], s[48:49]
	v_mov_b32_e32 v3, 0x7f800001
	s_xor_b64 exec, exec, s[48:49]
	s_cbranch_execnz .LBB300_296
.LBB300_285:
	s_or_b64 exec, exec, s[48:49]
	s_and_saveexec_b64 s[48:49], s[46:47]
	s_cbranch_execz .LBB300_287
.LBB300_286:
	v_bfe_u32 v1, v2, 16, 3
	v_ffbh_u32_e32 v4, v1
	v_min_u32_e32 v4, 32, v4
	v_bfe_u32 v3, v2, 19, 4
	v_subrev_u32_e32 v6, 28, v4
	v_lshlrev_b32_sdwa v6, v6, v2 dst_sel:DWORD dst_unused:UNUSED_PAD src0_sel:DWORD src1_sel:WORD_1
	v_sub_u32_e32 v4, 29, v4
	v_cmp_eq_u32_e32 vcc, 0, v3
	v_and_b32_e32 v6, 7, v6
	v_cndmask_b32_e32 v3, v3, v4, vcc
	v_mov_b32_e32 v4, 24
	v_cndmask_b32_e32 v1, v1, v6, vcc
	v_lshlrev_b32_sdwa v4, v4, v2 dst_sel:DWORD dst_unused:UNUSED_PAD src0_sel:DWORD src1_sel:WORD_1
	v_mov_b32_e32 v6, 0x3b800000
	v_lshlrev_b32_e32 v1, 20, v1
	v_and_b32_e32 v4, 0x80000000, v4
	v_lshl_add_u32 v3, v3, 23, v6
	v_or3_b32 v3, v4, v3, v1
.LBB300_287:
	s_or_b64 exec, exec, s[48:49]
	v_cmp_neq_f32_e64 s[46:47], s52, v3
.LBB300_288:
	s_and_b64 vcc, exec, s[4:5]
	s_cbranch_vccnz .LBB300_557
.LBB300_289:
	s_and_b32 s50, s14, 0xff
	s_cmpk_lt_i32 s50, 0x80
	s_cbranch_scc1 .LBB300_297
; %bb.290:
	s_and_b32 s4, 0xffff, s50
	s_cmpk_eq_i32 s4, 0x80
	s_mov_b64 s[4:5], -1
	s_cbranch_scc0 .LBB300_292
; %bb.291:
	s_mov_b64 s[4:5], 0
.LBB300_292:
	s_mov_b32 s52, 0x7f800001
	s_branch .LBB300_299
.LBB300_293:
	s_movk_i32 s46, 0x80
	v_cmp_eq_u16_e32 vcc, s46, v1
	s_mov_b64 s[46:47], -1
	s_and_saveexec_b64 s[50:51], vcc
; %bb.294:
	s_xor_b64 s[46:47], exec, -1
; %bb.295:
	s_or_b64 exec, exec, s[50:51]
	s_and_b64 s[46:47], s[46:47], exec
                                        ; implicit-def: $vgpr1
	s_or_saveexec_b64 s[48:49], s[48:49]
	v_mov_b32_e32 v3, 0x7f800001
	s_xor_b64 exec, exec, s[48:49]
	s_cbranch_execz .LBB300_285
.LBB300_296:
	v_cmp_ne_u16_e32 vcc, 0, v1
	s_andn2_b64 s[46:47], s[46:47], exec
	s_and_b64 s[50:51], vcc, exec
	v_mov_b32_e32 v3, 0
	s_or_b64 s[46:47], s[46:47], s[50:51]
	s_or_b64 exec, exec, s[48:49]
	s_and_saveexec_b64 s[48:49], s[46:47]
	s_cbranch_execnz .LBB300_286
	s_branch .LBB300_287
.LBB300_297:
	s_mov_b64 s[4:5], 0
	s_mov_b32 s52, 0x7f800001
	s_cbranch_execz .LBB300_299
; %bb.298:
	s_and_b32 s4, 0xffff, s50
	s_cmp_lg_u32 s4, 0
	s_mov_b32 s52, 0
	s_cselect_b64 s[4:5], -1, 0
.LBB300_299:
	s_andn2_b64 vcc, exec, s[4:5]
	s_cbranch_vccnz .LBB300_301
; %bb.300:
	s_mov_b32 s52, s33
.LBB300_301:
	s_movk_i32 s4, 0x7f
	v_cmp_gt_i16_sdwa s[48:49], v2, s4 src0_sel:BYTE_3 src1_sel:DWORD
	s_mov_b64 s[4:5], 0
	s_and_saveexec_b64 s[50:51], s[48:49]
	s_xor_b64 s[48:49], exec, s[50:51]
	s_cbranch_execnz .LBB300_306
; %bb.302:
	s_or_saveexec_b64 s[48:49], s[48:49]
	v_mov_b32_e32 v1, 0x7f800001
	s_xor_b64 exec, exec, s[48:49]
	s_cbranch_execnz .LBB300_309
.LBB300_303:
	s_or_b64 exec, exec, s[48:49]
	s_and_saveexec_b64 s[48:49], s[4:5]
	s_cbranch_execz .LBB300_305
.LBB300_304:
	v_bfe_u32 v1, v2, 24, 3
	v_ffbh_u32_e32 v4, v1
	v_min_u32_e32 v4, 32, v4
	v_subrev_u32_e32 v6, 28, v4
	v_bfe_u32 v3, v2, 27, 4
	v_lshlrev_b32_sdwa v6, v6, v2 dst_sel:DWORD dst_unused:UNUSED_PAD src0_sel:DWORD src1_sel:BYTE_3
	v_sub_u32_e32 v4, 29, v4
	v_and_b32_e32 v6, 7, v6
	v_cmp_eq_u32_e32 vcc, 0, v3
	v_cndmask_b32_e32 v3, v3, v4, vcc
	v_cndmask_b32_e32 v1, v1, v6, vcc
	v_mov_b32_e32 v6, 0x3b800000
	v_lshlrev_b32_e32 v1, 20, v1
	v_and_b32_e32 v4, 0x80000000, v2
	v_lshl_add_u32 v3, v3, 23, v6
	v_or3_b32 v1, v4, v3, v1
.LBB300_305:
	s_or_b64 exec, exec, s[48:49]
	v_cmp_neq_f32_e64 s[4:5], s52, v1
	s_branch .LBB300_575
.LBB300_306:
	s_movk_i32 s4, 0x80
	v_cmp_eq_u16_sdwa s[54:55], v2, s4 src0_sel:BYTE_3 src1_sel:DWORD
	s_mov_b64 s[4:5], -1
	s_and_saveexec_b64 s[50:51], s[54:55]
; %bb.307:
	s_xor_b64 s[4:5], exec, -1
; %bb.308:
	s_or_b64 exec, exec, s[50:51]
	s_and_b64 s[4:5], s[4:5], exec
	s_or_saveexec_b64 s[48:49], s[48:49]
	v_mov_b32_e32 v1, 0x7f800001
	s_xor_b64 exec, exec, s[48:49]
	s_cbranch_execz .LBB300_303
.LBB300_309:
	v_mov_b32_e32 v1, 0
	v_cmp_ne_u16_sdwa s[50:51], v2, v1 src0_sel:BYTE_3 src1_sel:DWORD
	s_andn2_b64 s[4:5], s[4:5], exec
	s_and_b64 s[50:51], s[50:51], exec
	s_or_b64 s[4:5], s[4:5], s[50:51]
	s_or_b64 exec, exec, s[48:49]
	s_and_saveexec_b64 s[48:49], s[4:5]
	s_cbranch_execnz .LBB300_304
	s_branch .LBB300_305
.LBB300_310:
	s_movk_i32 s4, 0x80
	v_cmp_eq_u16_sdwa s[24:25], v3, s4 src0_sel:BYTE_0 src1_sel:DWORD
	s_mov_b64 s[4:5], -1
	s_and_saveexec_b64 s[20:21], s[24:25]
; %bb.311:
	s_xor_b64 s[4:5], exec, -1
; %bb.312:
	s_or_b64 exec, exec, s[20:21]
	s_and_b64 s[4:5], s[4:5], exec
	s_or_saveexec_b64 s[8:9], s[8:9]
	v_mov_b32_e32 v6, 0x7f800001
	s_xor_b64 exec, exec, s[8:9]
	s_cbranch_execz .LBB300_32
.LBB300_313:
	v_mov_b32_e32 v6, 0
	v_cmp_ne_u16_sdwa s[20:21], v3, v6 src0_sel:BYTE_0 src1_sel:DWORD
	s_andn2_b64 s[4:5], s[4:5], exec
	s_and_b64 s[20:21], s[20:21], exec
	s_or_b64 s[4:5], s[4:5], s[20:21]
	s_or_b64 exec, exec, s[8:9]
	s_and_saveexec_b64 s[8:9], s[4:5]
	s_cbranch_execnz .LBB300_33
	s_branch .LBB300_34
.LBB300_314:
	s_mov_b64 s[10:11], 0
	s_mov_b32 s24, 0x7f800001
	s_cbranch_execz .LBB300_316
; %bb.315:
	s_and_b32 s10, 0xffff, s22
	s_cmp_lg_u32 s10, 0
	s_mov_b32 s24, 0
	s_cselect_b64 s[10:11], -1, 0
.LBB300_316:
	s_andn2_b64 vcc, exec, s[10:11]
	s_cbranch_vccnz .LBB300_318
; %bb.317:
	s_mov_b32 s24, s33
.LBB300_318:
	s_movk_i32 s10, 0x7f
	v_cmp_gt_i16_sdwa s[20:21], v6, s10 src0_sel:BYTE_0 src1_sel:DWORD
	s_mov_b64 s[10:11], 0
	s_and_saveexec_b64 s[22:23], s[20:21]
	s_xor_b64 s[20:21], exec, s[22:23]
	s_cbranch_execnz .LBB300_328
; %bb.319:
	s_or_saveexec_b64 s[20:21], s[20:21]
	v_mov_b32_e32 v7, 0x7f800001
	s_xor_b64 exec, exec, s[20:21]
	s_cbranch_execnz .LBB300_331
.LBB300_320:
	s_or_b64 exec, exec, s[20:21]
	s_and_saveexec_b64 s[20:21], s[10:11]
	s_cbranch_execz .LBB300_322
.LBB300_321:
	v_bfe_u32 v7, v3, 8, 3
	v_ffbh_u32_e32 v9, v7
	v_min_u32_e32 v9, 32, v9
	v_subrev_u32_e32 v10, 28, v9
	v_bfe_u32 v8, v3, 11, 4
	v_lshlrev_b32_e32 v10, v10, v6
	v_sub_u32_e32 v9, 29, v9
	v_and_b32_e32 v10, 7, v10
	v_cmp_eq_u32_e32 vcc, 0, v8
	v_cndmask_b32_e32 v8, v8, v9, vcc
	v_cndmask_b32_e32 v7, v7, v10, vcc
	v_lshlrev_b32_e32 v6, 24, v6
	v_mov_b32_e32 v9, 0x3b800000
	v_lshlrev_b32_e32 v7, 20, v7
	v_and_b32_e32 v6, 0x80000000, v6
	v_lshl_add_u32 v8, v8, 23, v9
	v_or3_b32 v7, v6, v8, v7
.LBB300_322:
	s_or_b64 exec, exec, s[20:21]
	v_cmp_eq_f32_e64 s[10:11], s24, v7
	s_and_b64 vcc, exec, s[4:5]
	s_cbranch_vccz .LBB300_42
.LBB300_323:
                                        ; implicit-def: $sgpr20_sgpr21
	s_cbranch_execz .LBB300_68
; %bb.324:
	s_and_b32 s24, s14, 0xff
	s_cmpk_lt_i32 s24, 0x80
	s_cbranch_scc1 .LBB300_332
; %bb.325:
	s_and_b32 s20, 0xffff, s24
	s_cmpk_eq_i32 s20, 0x80
	s_mov_b64 s[20:21], -1
	s_cbranch_scc0 .LBB300_327
; %bb.326:
	s_mov_b64 s[20:21], 0
.LBB300_327:
	s_mov_b32 s26, 0x7f800001
	s_branch .LBB300_334
.LBB300_328:
	s_movk_i32 s10, 0x80
	v_cmp_eq_u16_sdwa s[26:27], v6, s10 src0_sel:BYTE_0 src1_sel:DWORD
	s_mov_b64 s[10:11], -1
	s_and_saveexec_b64 s[22:23], s[26:27]
; %bb.329:
	s_xor_b64 s[10:11], exec, -1
; %bb.330:
	s_or_b64 exec, exec, s[22:23]
	s_and_b64 s[10:11], s[10:11], exec
	s_or_saveexec_b64 s[20:21], s[20:21]
	v_mov_b32_e32 v7, 0x7f800001
	s_xor_b64 exec, exec, s[20:21]
	s_cbranch_execz .LBB300_320
.LBB300_331:
	v_mov_b32_e32 v7, 0
	v_cmp_ne_u16_sdwa s[22:23], v6, v7 src0_sel:BYTE_0 src1_sel:DWORD
	s_andn2_b64 s[10:11], s[10:11], exec
	s_and_b64 s[22:23], s[22:23], exec
	s_or_b64 s[10:11], s[10:11], s[22:23]
	s_or_b64 exec, exec, s[20:21]
	s_and_saveexec_b64 s[20:21], s[10:11]
	s_cbranch_execnz .LBB300_321
	s_branch .LBB300_322
.LBB300_332:
	s_mov_b64 s[20:21], 0
	s_mov_b32 s26, 0x7f800001
	s_cbranch_execz .LBB300_334
; %bb.333:
	s_and_b32 s20, 0xffff, s24
	s_cmp_lg_u32 s20, 0
	s_mov_b32 s26, 0
	s_cselect_b64 s[20:21], -1, 0
.LBB300_334:
	s_andn2_b64 vcc, exec, s[20:21]
	s_cbranch_vccnz .LBB300_336
; %bb.335:
	s_mov_b32 s26, s33
.LBB300_336:
	s_movk_i32 s20, 0xff
	v_and_b32_sdwa v6, v3, s20 dst_sel:DWORD dst_unused:UNUSED_PAD src0_sel:WORD_1 src1_sel:DWORD
	s_movk_i32 s20, 0x7f
	v_cmp_lt_i16_e32 vcc, s20, v6
	s_mov_b64 s[20:21], 0
	s_and_saveexec_b64 s[22:23], vcc
	s_xor_b64 s[22:23], exec, s[22:23]
	s_cbranch_execnz .LBB300_346
; %bb.337:
	s_or_saveexec_b64 s[22:23], s[22:23]
	v_mov_b32_e32 v7, 0x7f800001
	s_xor_b64 exec, exec, s[22:23]
	s_cbranch_execnz .LBB300_349
.LBB300_338:
	s_or_b64 exec, exec, s[22:23]
	s_and_saveexec_b64 s[22:23], s[20:21]
	s_cbranch_execz .LBB300_340
.LBB300_339:
	v_bfe_u32 v6, v3, 16, 3
	v_ffbh_u32_e32 v8, v6
	v_min_u32_e32 v8, 32, v8
	v_bfe_u32 v7, v3, 19, 4
	v_subrev_u32_e32 v9, 28, v8
	v_lshlrev_b32_sdwa v9, v9, v3 dst_sel:DWORD dst_unused:UNUSED_PAD src0_sel:DWORD src1_sel:WORD_1
	v_sub_u32_e32 v8, 29, v8
	v_cmp_eq_u32_e32 vcc, 0, v7
	v_and_b32_e32 v9, 7, v9
	v_cndmask_b32_e32 v7, v7, v8, vcc
	v_mov_b32_e32 v8, 24
	v_cndmask_b32_e32 v6, v6, v9, vcc
	v_lshlrev_b32_sdwa v8, v8, v3 dst_sel:DWORD dst_unused:UNUSED_PAD src0_sel:DWORD src1_sel:WORD_1
	v_mov_b32_e32 v9, 0x3b800000
	v_lshlrev_b32_e32 v6, 20, v6
	v_and_b32_e32 v8, 0x80000000, v8
	v_lshl_add_u32 v7, v7, 23, v9
	v_or3_b32 v7, v8, v7, v6
.LBB300_340:
	s_or_b64 exec, exec, s[22:23]
	v_cmp_eq_f32_e64 s[20:21], s26, v7
	s_and_b64 vcc, exec, s[4:5]
	s_cbranch_vccz .LBB300_69
.LBB300_341:
                                        ; implicit-def: $sgpr22_sgpr23
	s_cbranch_execz .LBB300_90
; %bb.342:
	s_and_b32 s26, s14, 0xff
	s_cmpk_lt_i32 s26, 0x80
	s_cbranch_scc1 .LBB300_350
; %bb.343:
	s_and_b32 s22, 0xffff, s26
	s_cmpk_eq_i32 s22, 0x80
	s_mov_b64 s[22:23], -1
	s_cbranch_scc0 .LBB300_345
; %bb.344:
	s_mov_b64 s[22:23], 0
.LBB300_345:
	s_mov_b32 s28, 0x7f800001
	s_branch .LBB300_352
.LBB300_346:
	s_movk_i32 s20, 0x80
	v_cmp_eq_u16_e32 vcc, s20, v6
	s_mov_b64 s[20:21], -1
	s_and_saveexec_b64 s[24:25], vcc
; %bb.347:
	s_xor_b64 s[20:21], exec, -1
; %bb.348:
	s_or_b64 exec, exec, s[24:25]
	s_and_b64 s[20:21], s[20:21], exec
                                        ; implicit-def: $vgpr6
	s_or_saveexec_b64 s[22:23], s[22:23]
	v_mov_b32_e32 v7, 0x7f800001
	s_xor_b64 exec, exec, s[22:23]
	s_cbranch_execz .LBB300_338
.LBB300_349:
	v_cmp_ne_u16_e32 vcc, 0, v6
	s_andn2_b64 s[20:21], s[20:21], exec
	s_and_b64 s[24:25], vcc, exec
	v_mov_b32_e32 v7, 0
	s_or_b64 s[20:21], s[20:21], s[24:25]
	s_or_b64 exec, exec, s[22:23]
	s_and_saveexec_b64 s[22:23], s[20:21]
	s_cbranch_execnz .LBB300_339
	s_branch .LBB300_340
.LBB300_350:
	s_mov_b64 s[22:23], 0
	s_mov_b32 s28, 0x7f800001
	s_cbranch_execz .LBB300_352
; %bb.351:
	s_and_b32 s22, 0xffff, s26
	s_cmp_lg_u32 s22, 0
	s_mov_b32 s28, 0
	s_cselect_b64 s[22:23], -1, 0
.LBB300_352:
	s_andn2_b64 vcc, exec, s[22:23]
	s_cbranch_vccnz .LBB300_354
; %bb.353:
	s_mov_b32 s28, s33
.LBB300_354:
	s_movk_i32 s22, 0x7f
	v_cmp_gt_i16_sdwa s[24:25], v3, s22 src0_sel:BYTE_3 src1_sel:DWORD
	s_mov_b64 s[22:23], 0
	s_and_saveexec_b64 s[26:27], s[24:25]
	s_xor_b64 s[24:25], exec, s[26:27]
	s_cbranch_execnz .LBB300_364
; %bb.355:
	s_or_saveexec_b64 s[24:25], s[24:25]
	v_mov_b32_e32 v6, 0x7f800001
	s_xor_b64 exec, exec, s[24:25]
	s_cbranch_execnz .LBB300_367
.LBB300_356:
	s_or_b64 exec, exec, s[24:25]
	s_and_saveexec_b64 s[24:25], s[22:23]
	s_cbranch_execz .LBB300_358
.LBB300_357:
	v_bfe_u32 v6, v3, 24, 3
	v_ffbh_u32_e32 v8, v6
	v_min_u32_e32 v8, 32, v8
	v_subrev_u32_e32 v9, 28, v8
	v_bfe_u32 v7, v3, 27, 4
	v_lshlrev_b32_sdwa v9, v9, v3 dst_sel:DWORD dst_unused:UNUSED_PAD src0_sel:DWORD src1_sel:BYTE_3
	v_sub_u32_e32 v8, 29, v8
	v_and_b32_e32 v9, 7, v9
	v_cmp_eq_u32_e32 vcc, 0, v7
	v_cndmask_b32_e32 v7, v7, v8, vcc
	v_cndmask_b32_e32 v6, v6, v9, vcc
	v_mov_b32_e32 v8, 0x3b800000
	v_lshlrev_b32_e32 v6, 20, v6
	v_and_b32_e32 v3, 0x80000000, v3
	v_lshl_add_u32 v7, v7, 23, v8
	v_or3_b32 v6, v3, v7, v6
.LBB300_358:
	s_or_b64 exec, exec, s[24:25]
	v_cmp_eq_f32_e64 s[22:23], s28, v6
	s_and_b64 vcc, exec, s[4:5]
	s_cbranch_vccz .LBB300_91
.LBB300_359:
                                        ; implicit-def: $sgpr24_sgpr25
	s_cbranch_execz .LBB300_108
; %bb.360:
	s_and_b32 s28, s14, 0xff
	s_cmpk_lt_i32 s28, 0x80
	s_cbranch_scc1 .LBB300_368
; %bb.361:
	s_and_b32 s24, 0xffff, s28
	s_cmpk_eq_i32 s24, 0x80
	s_mov_b64 s[24:25], -1
	s_cbranch_scc0 .LBB300_363
; %bb.362:
	s_mov_b64 s[24:25], 0
.LBB300_363:
	s_mov_b32 s30, 0x7f800001
	s_branch .LBB300_370
.LBB300_364:
	s_movk_i32 s22, 0x80
	v_cmp_eq_u16_sdwa s[30:31], v3, s22 src0_sel:BYTE_3 src1_sel:DWORD
	s_mov_b64 s[22:23], -1
	s_and_saveexec_b64 s[26:27], s[30:31]
; %bb.365:
	s_xor_b64 s[22:23], exec, -1
; %bb.366:
	s_or_b64 exec, exec, s[26:27]
	s_and_b64 s[22:23], s[22:23], exec
	s_or_saveexec_b64 s[24:25], s[24:25]
	v_mov_b32_e32 v6, 0x7f800001
	s_xor_b64 exec, exec, s[24:25]
	s_cbranch_execz .LBB300_356
.LBB300_367:
	v_mov_b32_e32 v6, 0
	v_cmp_ne_u16_sdwa s[26:27], v3, v6 src0_sel:BYTE_3 src1_sel:DWORD
	s_andn2_b64 s[22:23], s[22:23], exec
	s_and_b64 s[26:27], s[26:27], exec
	s_or_b64 s[22:23], s[22:23], s[26:27]
	s_or_b64 exec, exec, s[24:25]
	s_and_saveexec_b64 s[24:25], s[22:23]
	s_cbranch_execnz .LBB300_357
	s_branch .LBB300_358
.LBB300_368:
	s_mov_b64 s[24:25], 0
	s_mov_b32 s30, 0x7f800001
	s_cbranch_execz .LBB300_370
; %bb.369:
	s_and_b32 s24, 0xffff, s28
	s_cmp_lg_u32 s24, 0
	s_mov_b32 s30, 0
	s_cselect_b64 s[24:25], -1, 0
.LBB300_370:
	s_andn2_b64 vcc, exec, s[24:25]
	s_cbranch_vccnz .LBB300_372
; %bb.371:
	s_mov_b32 s30, s33
.LBB300_372:
	s_movk_i32 s24, 0x7f
	v_cmp_gt_i16_sdwa s[26:27], v4, s24 src0_sel:BYTE_0 src1_sel:DWORD
	s_mov_b64 s[24:25], 0
	s_and_saveexec_b64 s[28:29], s[26:27]
	s_xor_b64 s[26:27], exec, s[28:29]
	s_cbranch_execnz .LBB300_382
; %bb.373:
	s_or_saveexec_b64 s[26:27], s[26:27]
	v_mov_b32_e32 v3, 0x7f800001
	s_xor_b64 exec, exec, s[26:27]
	s_cbranch_execnz .LBB300_385
.LBB300_374:
	s_or_b64 exec, exec, s[26:27]
	s_and_saveexec_b64 s[26:27], s[24:25]
	s_cbranch_execz .LBB300_376
.LBB300_375:
	v_and_b32_e32 v3, 7, v4
	v_ffbh_u32_e32 v7, v3
	v_min_u32_e32 v7, 32, v7
	v_subrev_u32_e32 v8, 28, v7
	v_bfe_u32 v6, v4, 3, 4
	v_lshlrev_b32_e32 v8, v8, v4
	v_sub_u32_e32 v7, 29, v7
	v_and_b32_e32 v8, 7, v8
	v_cmp_eq_u32_e32 vcc, 0, v6
	v_cndmask_b32_e32 v6, v6, v7, vcc
	v_cndmask_b32_e32 v3, v3, v8, vcc
	v_lshlrev_b32_e32 v7, 24, v4
	v_mov_b32_e32 v8, 0x3b800000
	v_lshlrev_b32_e32 v3, 20, v3
	v_and_b32_e32 v7, 0x80000000, v7
	v_lshl_add_u32 v6, v6, 23, v8
	v_or3_b32 v3, v7, v6, v3
.LBB300_376:
	s_or_b64 exec, exec, s[26:27]
	v_cmp_eq_f32_e64 s[24:25], s30, v3
	s_and_b64 vcc, exec, s[4:5]
	v_lshrrev_b32_e32 v3, 8, v4
	s_cbranch_vccz .LBB300_109
.LBB300_377:
                                        ; implicit-def: $sgpr26_sgpr27
	s_cbranch_execz .LBB300_126
; %bb.378:
	s_and_b32 s30, s14, 0xff
	s_cmpk_lt_i32 s30, 0x80
	s_cbranch_scc1 .LBB300_386
; %bb.379:
	s_and_b32 s26, 0xffff, s30
	s_cmpk_eq_i32 s26, 0x80
	s_mov_b64 s[26:27], -1
	s_cbranch_scc0 .LBB300_381
; %bb.380:
	s_mov_b64 s[26:27], 0
.LBB300_381:
	s_mov_b32 s34, 0x7f800001
	s_branch .LBB300_388
.LBB300_382:
	s_movk_i32 s24, 0x80
	v_cmp_eq_u16_sdwa s[34:35], v4, s24 src0_sel:BYTE_0 src1_sel:DWORD
	s_mov_b64 s[24:25], -1
	s_and_saveexec_b64 s[28:29], s[34:35]
; %bb.383:
	s_xor_b64 s[24:25], exec, -1
; %bb.384:
	s_or_b64 exec, exec, s[28:29]
	s_and_b64 s[24:25], s[24:25], exec
	s_or_saveexec_b64 s[26:27], s[26:27]
	v_mov_b32_e32 v3, 0x7f800001
	s_xor_b64 exec, exec, s[26:27]
	s_cbranch_execz .LBB300_374
.LBB300_385:
	v_mov_b32_e32 v3, 0
	v_cmp_ne_u16_sdwa s[28:29], v4, v3 src0_sel:BYTE_0 src1_sel:DWORD
	s_andn2_b64 s[24:25], s[24:25], exec
	s_and_b64 s[28:29], s[28:29], exec
	s_or_b64 s[24:25], s[24:25], s[28:29]
	s_or_b64 exec, exec, s[26:27]
	s_and_saveexec_b64 s[26:27], s[24:25]
	s_cbranch_execnz .LBB300_375
	s_branch .LBB300_376
.LBB300_386:
	s_mov_b64 s[26:27], 0
	s_mov_b32 s34, 0x7f800001
	s_cbranch_execz .LBB300_388
; %bb.387:
	s_and_b32 s26, 0xffff, s30
	s_cmp_lg_u32 s26, 0
	s_mov_b32 s34, 0
	s_cselect_b64 s[26:27], -1, 0
.LBB300_388:
	s_andn2_b64 vcc, exec, s[26:27]
	s_cbranch_vccnz .LBB300_390
; %bb.389:
	s_mov_b32 s34, s33
.LBB300_390:
	s_movk_i32 s26, 0x7f
	v_cmp_gt_i16_sdwa s[28:29], v3, s26 src0_sel:BYTE_0 src1_sel:DWORD
	s_mov_b64 s[26:27], 0
	s_and_saveexec_b64 s[30:31], s[28:29]
	s_xor_b64 s[28:29], exec, s[30:31]
	s_cbranch_execnz .LBB300_400
; %bb.391:
	s_or_saveexec_b64 s[28:29], s[28:29]
	v_mov_b32_e32 v6, 0x7f800001
	s_xor_b64 exec, exec, s[28:29]
	s_cbranch_execnz .LBB300_403
.LBB300_392:
	s_or_b64 exec, exec, s[28:29]
	s_and_saveexec_b64 s[28:29], s[26:27]
	s_cbranch_execz .LBB300_394
.LBB300_393:
	v_bfe_u32 v6, v4, 8, 3
	v_ffbh_u32_e32 v8, v6
	v_min_u32_e32 v8, 32, v8
	v_subrev_u32_e32 v9, 28, v8
	v_bfe_u32 v7, v4, 11, 4
	v_lshlrev_b32_e32 v9, v9, v3
	v_sub_u32_e32 v8, 29, v8
	v_and_b32_e32 v9, 7, v9
	v_cmp_eq_u32_e32 vcc, 0, v7
	v_cndmask_b32_e32 v7, v7, v8, vcc
	v_cndmask_b32_e32 v6, v6, v9, vcc
	v_lshlrev_b32_e32 v3, 24, v3
	v_mov_b32_e32 v8, 0x3b800000
	v_lshlrev_b32_e32 v6, 20, v6
	v_and_b32_e32 v3, 0x80000000, v3
	v_lshl_add_u32 v7, v7, 23, v8
	v_or3_b32 v6, v3, v7, v6
.LBB300_394:
	s_or_b64 exec, exec, s[28:29]
	v_cmp_eq_f32_e64 s[26:27], s34, v6
	s_and_b64 vcc, exec, s[4:5]
	s_cbranch_vccz .LBB300_127
.LBB300_395:
                                        ; implicit-def: $sgpr28_sgpr29
	s_cbranch_execz .LBB300_144
; %bb.396:
	s_and_b32 s34, s14, 0xff
	s_cmpk_lt_i32 s34, 0x80
	s_cbranch_scc1 .LBB300_404
; %bb.397:
	s_and_b32 s28, 0xffff, s34
	s_cmpk_eq_i32 s28, 0x80
	s_mov_b64 s[28:29], -1
	s_cbranch_scc0 .LBB300_399
; %bb.398:
	s_mov_b64 s[28:29], 0
.LBB300_399:
	s_mov_b32 s36, 0x7f800001
	s_branch .LBB300_406
.LBB300_400:
	s_movk_i32 s26, 0x80
	v_cmp_eq_u16_sdwa s[36:37], v3, s26 src0_sel:BYTE_0 src1_sel:DWORD
	s_mov_b64 s[26:27], -1
	s_and_saveexec_b64 s[30:31], s[36:37]
; %bb.401:
	s_xor_b64 s[26:27], exec, -1
; %bb.402:
	s_or_b64 exec, exec, s[30:31]
	s_and_b64 s[26:27], s[26:27], exec
	s_or_saveexec_b64 s[28:29], s[28:29]
	v_mov_b32_e32 v6, 0x7f800001
	s_xor_b64 exec, exec, s[28:29]
	s_cbranch_execz .LBB300_392
.LBB300_403:
	v_mov_b32_e32 v6, 0
	v_cmp_ne_u16_sdwa s[30:31], v3, v6 src0_sel:BYTE_0 src1_sel:DWORD
	s_andn2_b64 s[26:27], s[26:27], exec
	s_and_b64 s[30:31], s[30:31], exec
	s_or_b64 s[26:27], s[26:27], s[30:31]
	s_or_b64 exec, exec, s[28:29]
	s_and_saveexec_b64 s[28:29], s[26:27]
	s_cbranch_execnz .LBB300_393
	s_branch .LBB300_394
.LBB300_404:
	s_mov_b64 s[28:29], 0
	s_mov_b32 s36, 0x7f800001
	s_cbranch_execz .LBB300_406
; %bb.405:
	s_and_b32 s28, 0xffff, s34
	s_cmp_lg_u32 s28, 0
	s_mov_b32 s36, 0
	s_cselect_b64 s[28:29], -1, 0
.LBB300_406:
	s_andn2_b64 vcc, exec, s[28:29]
	s_cbranch_vccnz .LBB300_408
; %bb.407:
	s_mov_b32 s36, s33
.LBB300_408:
	s_movk_i32 s28, 0xff
	v_and_b32_sdwa v3, v4, s28 dst_sel:DWORD dst_unused:UNUSED_PAD src0_sel:WORD_1 src1_sel:DWORD
	s_movk_i32 s28, 0x7f
	v_cmp_lt_i16_e32 vcc, s28, v3
	s_mov_b64 s[28:29], 0
	s_and_saveexec_b64 s[30:31], vcc
	s_xor_b64 s[30:31], exec, s[30:31]
	s_cbranch_execnz .LBB300_418
; %bb.409:
	s_or_saveexec_b64 s[30:31], s[30:31]
	v_mov_b32_e32 v6, 0x7f800001
	s_xor_b64 exec, exec, s[30:31]
	s_cbranch_execnz .LBB300_421
.LBB300_410:
	s_or_b64 exec, exec, s[30:31]
	s_and_saveexec_b64 s[30:31], s[28:29]
	s_cbranch_execz .LBB300_412
.LBB300_411:
	v_bfe_u32 v3, v4, 16, 3
	v_ffbh_u32_e32 v7, v3
	v_min_u32_e32 v7, 32, v7
	v_bfe_u32 v6, v4, 19, 4
	v_subrev_u32_e32 v8, 28, v7
	v_lshlrev_b32_sdwa v8, v8, v4 dst_sel:DWORD dst_unused:UNUSED_PAD src0_sel:DWORD src1_sel:WORD_1
	v_sub_u32_e32 v7, 29, v7
	v_cmp_eq_u32_e32 vcc, 0, v6
	v_and_b32_e32 v8, 7, v8
	v_cndmask_b32_e32 v6, v6, v7, vcc
	v_mov_b32_e32 v7, 24
	v_cndmask_b32_e32 v3, v3, v8, vcc
	v_lshlrev_b32_sdwa v7, v7, v4 dst_sel:DWORD dst_unused:UNUSED_PAD src0_sel:DWORD src1_sel:WORD_1
	v_mov_b32_e32 v8, 0x3b800000
	v_lshlrev_b32_e32 v3, 20, v3
	v_and_b32_e32 v7, 0x80000000, v7
	v_lshl_add_u32 v6, v6, 23, v8
	v_or3_b32 v6, v7, v6, v3
.LBB300_412:
	s_or_b64 exec, exec, s[30:31]
	v_cmp_eq_f32_e64 s[28:29], s36, v6
	s_and_b64 vcc, exec, s[4:5]
	s_cbranch_vccz .LBB300_145
.LBB300_413:
                                        ; implicit-def: $sgpr30_sgpr31
	s_cbranch_execz .LBB300_162
; %bb.414:
	s_and_b32 s36, s14, 0xff
	s_cmpk_lt_i32 s36, 0x80
	s_cbranch_scc1 .LBB300_422
; %bb.415:
	s_and_b32 s30, 0xffff, s36
	s_cmpk_eq_i32 s30, 0x80
	s_mov_b64 s[30:31], -1
	s_cbranch_scc0 .LBB300_417
; %bb.416:
	s_mov_b64 s[30:31], 0
.LBB300_417:
	s_mov_b32 s38, 0x7f800001
	s_branch .LBB300_424
.LBB300_418:
	s_movk_i32 s28, 0x80
	v_cmp_eq_u16_e32 vcc, s28, v3
	s_mov_b64 s[28:29], -1
	s_and_saveexec_b64 s[34:35], vcc
; %bb.419:
	s_xor_b64 s[28:29], exec, -1
; %bb.420:
	s_or_b64 exec, exec, s[34:35]
	s_and_b64 s[28:29], s[28:29], exec
                                        ; implicit-def: $vgpr3
	s_or_saveexec_b64 s[30:31], s[30:31]
	v_mov_b32_e32 v6, 0x7f800001
	s_xor_b64 exec, exec, s[30:31]
	s_cbranch_execz .LBB300_410
.LBB300_421:
	v_cmp_ne_u16_e32 vcc, 0, v3
	s_andn2_b64 s[28:29], s[28:29], exec
	s_and_b64 s[34:35], vcc, exec
	v_mov_b32_e32 v6, 0
	s_or_b64 s[28:29], s[28:29], s[34:35]
	s_or_b64 exec, exec, s[30:31]
	s_and_saveexec_b64 s[30:31], s[28:29]
	s_cbranch_execnz .LBB300_411
	s_branch .LBB300_412
.LBB300_422:
	s_mov_b64 s[30:31], 0
	s_mov_b32 s38, 0x7f800001
	s_cbranch_execz .LBB300_424
; %bb.423:
	s_and_b32 s30, 0xffff, s36
	s_cmp_lg_u32 s30, 0
	s_mov_b32 s38, 0
	s_cselect_b64 s[30:31], -1, 0
.LBB300_424:
	s_andn2_b64 vcc, exec, s[30:31]
	s_cbranch_vccnz .LBB300_426
; %bb.425:
	s_mov_b32 s38, s33
.LBB300_426:
	s_movk_i32 s30, 0x7f
	v_cmp_gt_i16_sdwa s[34:35], v4, s30 src0_sel:BYTE_3 src1_sel:DWORD
	s_mov_b64 s[30:31], 0
	s_and_saveexec_b64 s[36:37], s[34:35]
	s_xor_b64 s[34:35], exec, s[36:37]
	s_cbranch_execnz .LBB300_436
; %bb.427:
	s_or_saveexec_b64 s[34:35], s[34:35]
	v_mov_b32_e32 v3, 0x7f800001
	s_xor_b64 exec, exec, s[34:35]
	s_cbranch_execnz .LBB300_439
.LBB300_428:
	s_or_b64 exec, exec, s[34:35]
	s_and_saveexec_b64 s[34:35], s[30:31]
	s_cbranch_execz .LBB300_430
.LBB300_429:
	v_bfe_u32 v3, v4, 24, 3
	v_ffbh_u32_e32 v7, v3
	v_min_u32_e32 v7, 32, v7
	v_subrev_u32_e32 v8, 28, v7
	v_bfe_u32 v6, v4, 27, 4
	v_lshlrev_b32_sdwa v8, v8, v4 dst_sel:DWORD dst_unused:UNUSED_PAD src0_sel:DWORD src1_sel:BYTE_3
	v_sub_u32_e32 v7, 29, v7
	v_and_b32_e32 v8, 7, v8
	v_cmp_eq_u32_e32 vcc, 0, v6
	v_cndmask_b32_e32 v6, v6, v7, vcc
	v_cndmask_b32_e32 v3, v3, v8, vcc
	v_mov_b32_e32 v7, 0x3b800000
	v_lshlrev_b32_e32 v3, 20, v3
	v_and_b32_e32 v4, 0x80000000, v4
	v_lshl_add_u32 v6, v6, 23, v7
	v_or3_b32 v3, v4, v6, v3
.LBB300_430:
	s_or_b64 exec, exec, s[34:35]
	v_cmp_eq_f32_e64 s[30:31], s38, v3
	s_and_b64 vcc, exec, s[4:5]
	s_cbranch_vccz .LBB300_163
.LBB300_431:
                                        ; implicit-def: $sgpr34_sgpr35
	s_cbranch_execz .LBB300_180
; %bb.432:
	s_and_b32 s38, s14, 0xff
	s_cmpk_lt_i32 s38, 0x80
	s_cbranch_scc1 .LBB300_440
; %bb.433:
	s_and_b32 s34, 0xffff, s38
	s_cmpk_eq_i32 s34, 0x80
	s_mov_b64 s[34:35], -1
	s_cbranch_scc0 .LBB300_435
; %bb.434:
	s_mov_b64 s[34:35], 0
.LBB300_435:
	s_mov_b32 s40, 0x7f800001
	s_branch .LBB300_442
.LBB300_436:
	s_movk_i32 s30, 0x80
	v_cmp_eq_u16_sdwa s[40:41], v4, s30 src0_sel:BYTE_3 src1_sel:DWORD
	s_mov_b64 s[30:31], -1
	s_and_saveexec_b64 s[36:37], s[40:41]
; %bb.437:
	s_xor_b64 s[30:31], exec, -1
; %bb.438:
	s_or_b64 exec, exec, s[36:37]
	s_and_b64 s[30:31], s[30:31], exec
	s_or_saveexec_b64 s[34:35], s[34:35]
	v_mov_b32_e32 v3, 0x7f800001
	s_xor_b64 exec, exec, s[34:35]
	s_cbranch_execz .LBB300_428
.LBB300_439:
	v_mov_b32_e32 v3, 0
	v_cmp_ne_u16_sdwa s[36:37], v4, v3 src0_sel:BYTE_3 src1_sel:DWORD
	s_andn2_b64 s[30:31], s[30:31], exec
	s_and_b64 s[36:37], s[36:37], exec
	s_or_b64 s[30:31], s[30:31], s[36:37]
	s_or_b64 exec, exec, s[34:35]
	s_and_saveexec_b64 s[34:35], s[30:31]
	s_cbranch_execnz .LBB300_429
	s_branch .LBB300_430
.LBB300_440:
	s_mov_b64 s[34:35], 0
	s_mov_b32 s40, 0x7f800001
	s_cbranch_execz .LBB300_442
; %bb.441:
	s_and_b32 s34, 0xffff, s38
	s_cmp_lg_u32 s34, 0
	s_mov_b32 s40, 0
	s_cselect_b64 s[34:35], -1, 0
.LBB300_442:
	s_andn2_b64 vcc, exec, s[34:35]
	s_cbranch_vccnz .LBB300_444
; %bb.443:
	s_mov_b32 s40, s33
.LBB300_444:
	s_movk_i32 s34, 0x7f
	s_waitcnt vmcnt(0)
	v_cmp_gt_i16_sdwa s[36:37], v1, s34 src0_sel:BYTE_0 src1_sel:DWORD
	s_mov_b64 s[34:35], 0
	s_and_saveexec_b64 s[38:39], s[36:37]
	s_xor_b64 s[36:37], exec, s[38:39]
	s_cbranch_execnz .LBB300_454
; %bb.445:
	s_or_saveexec_b64 s[36:37], s[36:37]
	v_mov_b32_e32 v3, 0x7f800001
	s_xor_b64 exec, exec, s[36:37]
	s_cbranch_execnz .LBB300_457
.LBB300_446:
	s_or_b64 exec, exec, s[36:37]
	s_and_saveexec_b64 s[36:37], s[34:35]
	s_cbranch_execz .LBB300_448
.LBB300_447:
	v_and_b32_e32 v3, 7, v1
	v_ffbh_u32_e32 v6, v3
	v_min_u32_e32 v6, 32, v6
	v_subrev_u32_e32 v7, 28, v6
	v_bfe_u32 v4, v1, 3, 4
	v_lshlrev_b32_e32 v7, v7, v1
	v_sub_u32_e32 v6, 29, v6
	v_and_b32_e32 v7, 7, v7
	v_cmp_eq_u32_e32 vcc, 0, v4
	v_cndmask_b32_e32 v4, v4, v6, vcc
	v_cndmask_b32_e32 v3, v3, v7, vcc
	v_lshlrev_b32_e32 v6, 24, v1
	v_mov_b32_e32 v7, 0x3b800000
	v_lshlrev_b32_e32 v3, 20, v3
	v_and_b32_e32 v6, 0x80000000, v6
	v_lshl_add_u32 v4, v4, 23, v7
	v_or3_b32 v3, v6, v4, v3
.LBB300_448:
	s_or_b64 exec, exec, s[36:37]
	v_cmp_eq_f32_e64 s[34:35], s40, v3
	s_and_b64 vcc, exec, s[4:5]
	v_lshrrev_b32_e32 v3, 8, v1
	s_cbranch_vccz .LBB300_181
.LBB300_449:
                                        ; implicit-def: $sgpr36_sgpr37
	s_cbranch_execz .LBB300_198
; %bb.450:
	s_and_b32 s40, s14, 0xff
	s_cmpk_lt_i32 s40, 0x80
	s_cbranch_scc1 .LBB300_458
; %bb.451:
	s_and_b32 s36, 0xffff, s40
	s_cmpk_eq_i32 s36, 0x80
	s_mov_b64 s[36:37], -1
	s_cbranch_scc0 .LBB300_453
; %bb.452:
	s_mov_b64 s[36:37], 0
.LBB300_453:
	s_mov_b32 s42, 0x7f800001
	s_branch .LBB300_460
.LBB300_454:
	s_movk_i32 s34, 0x80
	v_cmp_eq_u16_sdwa s[42:43], v1, s34 src0_sel:BYTE_0 src1_sel:DWORD
	s_mov_b64 s[34:35], -1
	s_and_saveexec_b64 s[38:39], s[42:43]
; %bb.455:
	s_xor_b64 s[34:35], exec, -1
; %bb.456:
	s_or_b64 exec, exec, s[38:39]
	s_and_b64 s[34:35], s[34:35], exec
	s_or_saveexec_b64 s[36:37], s[36:37]
	v_mov_b32_e32 v3, 0x7f800001
	s_xor_b64 exec, exec, s[36:37]
	s_cbranch_execz .LBB300_446
.LBB300_457:
	v_mov_b32_e32 v3, 0
	v_cmp_ne_u16_sdwa s[38:39], v1, v3 src0_sel:BYTE_0 src1_sel:DWORD
	s_andn2_b64 s[34:35], s[34:35], exec
	s_and_b64 s[38:39], s[38:39], exec
	s_or_b64 s[34:35], s[34:35], s[38:39]
	s_or_b64 exec, exec, s[36:37]
	s_and_saveexec_b64 s[36:37], s[34:35]
	s_cbranch_execnz .LBB300_447
	s_branch .LBB300_448
.LBB300_458:
	s_mov_b64 s[36:37], 0
	s_mov_b32 s42, 0x7f800001
	s_cbranch_execz .LBB300_460
; %bb.459:
	s_and_b32 s36, 0xffff, s40
	s_cmp_lg_u32 s36, 0
	s_mov_b32 s42, 0
	s_cselect_b64 s[36:37], -1, 0
.LBB300_460:
	s_andn2_b64 vcc, exec, s[36:37]
	s_cbranch_vccnz .LBB300_462
; %bb.461:
	s_mov_b32 s42, s33
.LBB300_462:
	s_movk_i32 s36, 0x7f
	v_cmp_gt_i16_sdwa s[38:39], v3, s36 src0_sel:BYTE_0 src1_sel:DWORD
	s_mov_b64 s[36:37], 0
	s_and_saveexec_b64 s[40:41], s[38:39]
	s_xor_b64 s[38:39], exec, s[40:41]
	s_cbranch_execnz .LBB300_472
; %bb.463:
	s_or_saveexec_b64 s[38:39], s[38:39]
	v_mov_b32_e32 v4, 0x7f800001
	s_xor_b64 exec, exec, s[38:39]
	s_cbranch_execnz .LBB300_475
.LBB300_464:
	s_or_b64 exec, exec, s[38:39]
	s_and_saveexec_b64 s[38:39], s[36:37]
	s_cbranch_execz .LBB300_466
.LBB300_465:
	v_bfe_u32 v4, v1, 8, 3
	v_ffbh_u32_e32 v7, v4
	v_min_u32_e32 v7, 32, v7
	v_subrev_u32_e32 v8, 28, v7
	v_bfe_u32 v6, v1, 11, 4
	v_lshlrev_b32_e32 v8, v8, v3
	v_sub_u32_e32 v7, 29, v7
	v_and_b32_e32 v8, 7, v8
	v_cmp_eq_u32_e32 vcc, 0, v6
	v_cndmask_b32_e32 v6, v6, v7, vcc
	v_cndmask_b32_e32 v4, v4, v8, vcc
	v_lshlrev_b32_e32 v3, 24, v3
	v_mov_b32_e32 v7, 0x3b800000
	v_lshlrev_b32_e32 v4, 20, v4
	v_and_b32_e32 v3, 0x80000000, v3
	v_lshl_add_u32 v6, v6, 23, v7
	v_or3_b32 v4, v3, v6, v4
.LBB300_466:
	s_or_b64 exec, exec, s[38:39]
	v_cmp_eq_f32_e64 s[36:37], s42, v4
	s_and_b64 vcc, exec, s[4:5]
	s_cbranch_vccz .LBB300_199
.LBB300_467:
                                        ; implicit-def: $sgpr38_sgpr39
	s_cbranch_execz .LBB300_216
; %bb.468:
	s_and_b32 s42, s14, 0xff
	s_cmpk_lt_i32 s42, 0x80
	s_cbranch_scc1 .LBB300_476
; %bb.469:
	s_and_b32 s38, 0xffff, s42
	s_cmpk_eq_i32 s38, 0x80
	s_mov_b64 s[38:39], -1
	s_cbranch_scc0 .LBB300_471
; %bb.470:
	s_mov_b64 s[38:39], 0
.LBB300_471:
	s_mov_b32 s44, 0x7f800001
	s_branch .LBB300_478
.LBB300_472:
	s_movk_i32 s36, 0x80
	v_cmp_eq_u16_sdwa s[44:45], v3, s36 src0_sel:BYTE_0 src1_sel:DWORD
	s_mov_b64 s[36:37], -1
	s_and_saveexec_b64 s[40:41], s[44:45]
; %bb.473:
	s_xor_b64 s[36:37], exec, -1
; %bb.474:
	s_or_b64 exec, exec, s[40:41]
	s_and_b64 s[36:37], s[36:37], exec
	s_or_saveexec_b64 s[38:39], s[38:39]
	v_mov_b32_e32 v4, 0x7f800001
	s_xor_b64 exec, exec, s[38:39]
	s_cbranch_execz .LBB300_464
.LBB300_475:
	v_mov_b32_e32 v4, 0
	v_cmp_ne_u16_sdwa s[40:41], v3, v4 src0_sel:BYTE_0 src1_sel:DWORD
	s_andn2_b64 s[36:37], s[36:37], exec
	s_and_b64 s[40:41], s[40:41], exec
	s_or_b64 s[36:37], s[36:37], s[40:41]
	s_or_b64 exec, exec, s[38:39]
	s_and_saveexec_b64 s[38:39], s[36:37]
	s_cbranch_execnz .LBB300_465
	s_branch .LBB300_466
.LBB300_476:
	s_mov_b64 s[38:39], 0
	s_mov_b32 s44, 0x7f800001
	s_cbranch_execz .LBB300_478
; %bb.477:
	s_and_b32 s38, 0xffff, s42
	s_cmp_lg_u32 s38, 0
	s_mov_b32 s44, 0
	s_cselect_b64 s[38:39], -1, 0
.LBB300_478:
	s_andn2_b64 vcc, exec, s[38:39]
	s_cbranch_vccnz .LBB300_480
; %bb.479:
	s_mov_b32 s44, s33
.LBB300_480:
	s_movk_i32 s38, 0xff
	v_and_b32_sdwa v3, v1, s38 dst_sel:DWORD dst_unused:UNUSED_PAD src0_sel:WORD_1 src1_sel:DWORD
	s_movk_i32 s38, 0x7f
	v_cmp_lt_i16_e32 vcc, s38, v3
	s_mov_b64 s[38:39], 0
	s_and_saveexec_b64 s[40:41], vcc
	s_xor_b64 s[40:41], exec, s[40:41]
	s_cbranch_execnz .LBB300_490
; %bb.481:
	s_or_saveexec_b64 s[40:41], s[40:41]
	v_mov_b32_e32 v4, 0x7f800001
	s_xor_b64 exec, exec, s[40:41]
	s_cbranch_execnz .LBB300_493
.LBB300_482:
	s_or_b64 exec, exec, s[40:41]
	s_and_saveexec_b64 s[40:41], s[38:39]
	s_cbranch_execz .LBB300_484
.LBB300_483:
	v_bfe_u32 v3, v1, 16, 3
	v_ffbh_u32_e32 v6, v3
	v_min_u32_e32 v6, 32, v6
	v_bfe_u32 v4, v1, 19, 4
	v_subrev_u32_e32 v7, 28, v6
	v_lshlrev_b32_sdwa v7, v7, v1 dst_sel:DWORD dst_unused:UNUSED_PAD src0_sel:DWORD src1_sel:WORD_1
	v_sub_u32_e32 v6, 29, v6
	v_cmp_eq_u32_e32 vcc, 0, v4
	v_and_b32_e32 v7, 7, v7
	v_cndmask_b32_e32 v4, v4, v6, vcc
	v_mov_b32_e32 v6, 24
	v_cndmask_b32_e32 v3, v3, v7, vcc
	v_lshlrev_b32_sdwa v6, v6, v1 dst_sel:DWORD dst_unused:UNUSED_PAD src0_sel:DWORD src1_sel:WORD_1
	v_mov_b32_e32 v7, 0x3b800000
	v_lshlrev_b32_e32 v3, 20, v3
	v_and_b32_e32 v6, 0x80000000, v6
	v_lshl_add_u32 v4, v4, 23, v7
	v_or3_b32 v4, v6, v4, v3
.LBB300_484:
	s_or_b64 exec, exec, s[40:41]
	v_cmp_eq_f32_e64 s[38:39], s44, v4
	s_and_b64 vcc, exec, s[4:5]
	s_cbranch_vccz .LBB300_217
.LBB300_485:
                                        ; implicit-def: $sgpr40_sgpr41
	s_cbranch_execz .LBB300_234
; %bb.486:
	s_and_b32 s44, s14, 0xff
	s_cmpk_lt_i32 s44, 0x80
	s_cbranch_scc1 .LBB300_494
; %bb.487:
	s_and_b32 s40, 0xffff, s44
	s_cmpk_eq_i32 s40, 0x80
	s_mov_b64 s[40:41], -1
	s_cbranch_scc0 .LBB300_489
; %bb.488:
	s_mov_b64 s[40:41], 0
.LBB300_489:
	s_mov_b32 s46, 0x7f800001
	s_branch .LBB300_496
.LBB300_490:
	s_movk_i32 s38, 0x80
	v_cmp_eq_u16_e32 vcc, s38, v3
	s_mov_b64 s[38:39], -1
	s_and_saveexec_b64 s[42:43], vcc
; %bb.491:
	s_xor_b64 s[38:39], exec, -1
; %bb.492:
	s_or_b64 exec, exec, s[42:43]
	s_and_b64 s[38:39], s[38:39], exec
                                        ; implicit-def: $vgpr3
	s_or_saveexec_b64 s[40:41], s[40:41]
	v_mov_b32_e32 v4, 0x7f800001
	s_xor_b64 exec, exec, s[40:41]
	s_cbranch_execz .LBB300_482
.LBB300_493:
	v_cmp_ne_u16_e32 vcc, 0, v3
	s_andn2_b64 s[38:39], s[38:39], exec
	s_and_b64 s[42:43], vcc, exec
	v_mov_b32_e32 v4, 0
	s_or_b64 s[38:39], s[38:39], s[42:43]
	s_or_b64 exec, exec, s[40:41]
	s_and_saveexec_b64 s[40:41], s[38:39]
	s_cbranch_execnz .LBB300_483
	s_branch .LBB300_484
.LBB300_494:
	s_mov_b64 s[40:41], 0
	s_mov_b32 s46, 0x7f800001
	s_cbranch_execz .LBB300_496
; %bb.495:
	s_and_b32 s40, 0xffff, s44
	s_cmp_lg_u32 s40, 0
	s_mov_b32 s46, 0
	s_cselect_b64 s[40:41], -1, 0
.LBB300_496:
	s_andn2_b64 vcc, exec, s[40:41]
	s_cbranch_vccnz .LBB300_498
; %bb.497:
	s_mov_b32 s46, s33
.LBB300_498:
	s_movk_i32 s40, 0x7f
	v_cmp_gt_i16_sdwa s[42:43], v1, s40 src0_sel:BYTE_3 src1_sel:DWORD
	s_mov_b64 s[40:41], 0
	s_and_saveexec_b64 s[44:45], s[42:43]
	s_xor_b64 s[42:43], exec, s[44:45]
	s_cbranch_execnz .LBB300_508
; %bb.499:
	s_or_saveexec_b64 s[42:43], s[42:43]
	v_mov_b32_e32 v3, 0x7f800001
	s_xor_b64 exec, exec, s[42:43]
	s_cbranch_execnz .LBB300_511
.LBB300_500:
	s_or_b64 exec, exec, s[42:43]
	s_and_saveexec_b64 s[42:43], s[40:41]
	s_cbranch_execz .LBB300_502
.LBB300_501:
	v_bfe_u32 v3, v1, 24, 3
	v_ffbh_u32_e32 v6, v3
	v_min_u32_e32 v6, 32, v6
	v_subrev_u32_e32 v7, 28, v6
	v_bfe_u32 v4, v1, 27, 4
	v_lshlrev_b32_sdwa v7, v7, v1 dst_sel:DWORD dst_unused:UNUSED_PAD src0_sel:DWORD src1_sel:BYTE_3
	v_sub_u32_e32 v6, 29, v6
	v_and_b32_e32 v7, 7, v7
	v_cmp_eq_u32_e32 vcc, 0, v4
	v_cndmask_b32_e32 v4, v4, v6, vcc
	v_cndmask_b32_e32 v3, v3, v7, vcc
	v_mov_b32_e32 v6, 0x3b800000
	v_lshlrev_b32_e32 v3, 20, v3
	v_and_b32_e32 v1, 0x80000000, v1
	v_lshl_add_u32 v4, v4, 23, v6
	v_or3_b32 v3, v1, v4, v3
.LBB300_502:
	s_or_b64 exec, exec, s[42:43]
	v_cmp_eq_f32_e64 s[40:41], s46, v3
	s_and_b64 vcc, exec, s[4:5]
	s_cbranch_vccz .LBB300_235
.LBB300_503:
                                        ; implicit-def: $sgpr42_sgpr43
	s_cbranch_execz .LBB300_252
; %bb.504:
	s_and_b32 s46, s14, 0xff
	s_cmpk_lt_i32 s46, 0x80
	s_cbranch_scc1 .LBB300_512
; %bb.505:
	s_and_b32 s42, 0xffff, s46
	s_cmpk_eq_i32 s42, 0x80
	s_mov_b64 s[42:43], -1
	s_cbranch_scc0 .LBB300_507
; %bb.506:
	s_mov_b64 s[42:43], 0
.LBB300_507:
	s_mov_b32 s48, 0x7f800001
	s_branch .LBB300_514
.LBB300_508:
	s_movk_i32 s40, 0x80
	v_cmp_eq_u16_sdwa s[48:49], v1, s40 src0_sel:BYTE_3 src1_sel:DWORD
	s_mov_b64 s[40:41], -1
	s_and_saveexec_b64 s[44:45], s[48:49]
; %bb.509:
	s_xor_b64 s[40:41], exec, -1
; %bb.510:
	s_or_b64 exec, exec, s[44:45]
	s_and_b64 s[40:41], s[40:41], exec
	s_or_saveexec_b64 s[42:43], s[42:43]
	v_mov_b32_e32 v3, 0x7f800001
	s_xor_b64 exec, exec, s[42:43]
	s_cbranch_execz .LBB300_500
.LBB300_511:
	v_mov_b32_e32 v3, 0
	v_cmp_ne_u16_sdwa s[44:45], v1, v3 src0_sel:BYTE_3 src1_sel:DWORD
	s_andn2_b64 s[40:41], s[40:41], exec
	s_and_b64 s[44:45], s[44:45], exec
	s_or_b64 s[40:41], s[40:41], s[44:45]
	s_or_b64 exec, exec, s[42:43]
	s_and_saveexec_b64 s[42:43], s[40:41]
	s_cbranch_execnz .LBB300_501
	s_branch .LBB300_502
.LBB300_512:
	s_mov_b64 s[42:43], 0
	s_mov_b32 s48, 0x7f800001
	s_cbranch_execz .LBB300_514
; %bb.513:
	s_and_b32 s42, 0xffff, s46
	s_cmp_lg_u32 s42, 0
	s_mov_b32 s48, 0
	s_cselect_b64 s[42:43], -1, 0
.LBB300_514:
	s_andn2_b64 vcc, exec, s[42:43]
	s_cbranch_vccnz .LBB300_516
; %bb.515:
	s_mov_b32 s48, s33
.LBB300_516:
	s_movk_i32 s42, 0x7f
	v_cmp_gt_i16_sdwa s[44:45], v2, s42 src0_sel:BYTE_0 src1_sel:DWORD
	s_mov_b64 s[42:43], 0
	s_and_saveexec_b64 s[46:47], s[44:45]
	s_xor_b64 s[44:45], exec, s[46:47]
	s_cbranch_execnz .LBB300_526
; %bb.517:
	s_or_saveexec_b64 s[44:45], s[44:45]
	v_mov_b32_e32 v1, 0x7f800001
	s_xor_b64 exec, exec, s[44:45]
	s_cbranch_execnz .LBB300_529
.LBB300_518:
	s_or_b64 exec, exec, s[44:45]
	s_and_saveexec_b64 s[44:45], s[42:43]
	s_cbranch_execz .LBB300_520
.LBB300_519:
	v_and_b32_e32 v1, 7, v2
	v_ffbh_u32_e32 v4, v1
	v_min_u32_e32 v4, 32, v4
	v_subrev_u32_e32 v6, 28, v4
	v_bfe_u32 v3, v2, 3, 4
	v_lshlrev_b32_e32 v6, v6, v2
	v_sub_u32_e32 v4, 29, v4
	v_and_b32_e32 v6, 7, v6
	v_cmp_eq_u32_e32 vcc, 0, v3
	v_cndmask_b32_e32 v3, v3, v4, vcc
	v_cndmask_b32_e32 v1, v1, v6, vcc
	v_lshlrev_b32_e32 v4, 24, v2
	v_mov_b32_e32 v6, 0x3b800000
	v_lshlrev_b32_e32 v1, 20, v1
	v_and_b32_e32 v4, 0x80000000, v4
	v_lshl_add_u32 v3, v3, 23, v6
	v_or3_b32 v1, v4, v3, v1
.LBB300_520:
	s_or_b64 exec, exec, s[44:45]
	v_cmp_eq_f32_e64 s[42:43], s48, v1
	s_and_b64 vcc, exec, s[4:5]
	v_lshrrev_b32_e32 v1, 8, v2
	s_cbranch_vccz .LBB300_253
.LBB300_521:
                                        ; implicit-def: $sgpr44_sgpr45
	s_cbranch_execz .LBB300_270
; %bb.522:
	s_and_b32 s48, s14, 0xff
	s_cmpk_lt_i32 s48, 0x80
	s_cbranch_scc1 .LBB300_530
; %bb.523:
	s_and_b32 s44, 0xffff, s48
	s_cmpk_eq_i32 s44, 0x80
	s_mov_b64 s[44:45], -1
	s_cbranch_scc0 .LBB300_525
; %bb.524:
	s_mov_b64 s[44:45], 0
.LBB300_525:
	s_mov_b32 s50, 0x7f800001
	s_branch .LBB300_532
.LBB300_526:
	s_movk_i32 s42, 0x80
	v_cmp_eq_u16_sdwa s[50:51], v2, s42 src0_sel:BYTE_0 src1_sel:DWORD
	s_mov_b64 s[42:43], -1
	s_and_saveexec_b64 s[46:47], s[50:51]
; %bb.527:
	s_xor_b64 s[42:43], exec, -1
; %bb.528:
	s_or_b64 exec, exec, s[46:47]
	s_and_b64 s[42:43], s[42:43], exec
	s_or_saveexec_b64 s[44:45], s[44:45]
	v_mov_b32_e32 v1, 0x7f800001
	s_xor_b64 exec, exec, s[44:45]
	s_cbranch_execz .LBB300_518
.LBB300_529:
	v_mov_b32_e32 v1, 0
	v_cmp_ne_u16_sdwa s[46:47], v2, v1 src0_sel:BYTE_0 src1_sel:DWORD
	s_andn2_b64 s[42:43], s[42:43], exec
	s_and_b64 s[46:47], s[46:47], exec
	s_or_b64 s[42:43], s[42:43], s[46:47]
	s_or_b64 exec, exec, s[44:45]
	s_and_saveexec_b64 s[44:45], s[42:43]
	s_cbranch_execnz .LBB300_519
	s_branch .LBB300_520
.LBB300_530:
	s_mov_b64 s[44:45], 0
	s_mov_b32 s50, 0x7f800001
	s_cbranch_execz .LBB300_532
; %bb.531:
	s_and_b32 s44, 0xffff, s48
	s_cmp_lg_u32 s44, 0
	s_mov_b32 s50, 0
	s_cselect_b64 s[44:45], -1, 0
.LBB300_532:
	s_andn2_b64 vcc, exec, s[44:45]
	s_cbranch_vccnz .LBB300_534
; %bb.533:
	s_mov_b32 s50, s33
.LBB300_534:
	s_movk_i32 s44, 0x7f
	v_cmp_gt_i16_sdwa s[46:47], v1, s44 src0_sel:BYTE_0 src1_sel:DWORD
	s_mov_b64 s[44:45], 0
	s_and_saveexec_b64 s[48:49], s[46:47]
	s_xor_b64 s[46:47], exec, s[48:49]
	s_cbranch_execnz .LBB300_544
; %bb.535:
	s_or_saveexec_b64 s[46:47], s[46:47]
	v_mov_b32_e32 v3, 0x7f800001
	s_xor_b64 exec, exec, s[46:47]
	s_cbranch_execnz .LBB300_547
.LBB300_536:
	s_or_b64 exec, exec, s[46:47]
	s_and_saveexec_b64 s[46:47], s[44:45]
	s_cbranch_execz .LBB300_538
.LBB300_537:
	v_bfe_u32 v3, v2, 8, 3
	v_ffbh_u32_e32 v6, v3
	v_min_u32_e32 v6, 32, v6
	v_subrev_u32_e32 v7, 28, v6
	v_bfe_u32 v4, v2, 11, 4
	v_lshlrev_b32_e32 v7, v7, v1
	v_sub_u32_e32 v6, 29, v6
	v_and_b32_e32 v7, 7, v7
	v_cmp_eq_u32_e32 vcc, 0, v4
	v_cndmask_b32_e32 v4, v4, v6, vcc
	v_cndmask_b32_e32 v3, v3, v7, vcc
	v_lshlrev_b32_e32 v1, 24, v1
	v_mov_b32_e32 v6, 0x3b800000
	v_lshlrev_b32_e32 v3, 20, v3
	v_and_b32_e32 v1, 0x80000000, v1
	v_lshl_add_u32 v4, v4, 23, v6
	v_or3_b32 v3, v1, v4, v3
.LBB300_538:
	s_or_b64 exec, exec, s[46:47]
	v_cmp_eq_f32_e64 s[44:45], s50, v3
	s_and_b64 vcc, exec, s[4:5]
	s_cbranch_vccz .LBB300_271
.LBB300_539:
                                        ; implicit-def: $sgpr46_sgpr47
	s_cbranch_execz .LBB300_288
; %bb.540:
	s_and_b32 s50, s14, 0xff
	s_cmpk_lt_i32 s50, 0x80
	s_cbranch_scc1 .LBB300_548
; %bb.541:
	s_and_b32 s46, 0xffff, s50
	s_cmpk_eq_i32 s46, 0x80
	s_mov_b64 s[46:47], -1
	s_cbranch_scc0 .LBB300_543
; %bb.542:
	s_mov_b64 s[46:47], 0
.LBB300_543:
	s_mov_b32 s52, 0x7f800001
	s_branch .LBB300_550
.LBB300_544:
	s_movk_i32 s44, 0x80
	v_cmp_eq_u16_sdwa s[52:53], v1, s44 src0_sel:BYTE_0 src1_sel:DWORD
	s_mov_b64 s[44:45], -1
	s_and_saveexec_b64 s[48:49], s[52:53]
; %bb.545:
	s_xor_b64 s[44:45], exec, -1
; %bb.546:
	s_or_b64 exec, exec, s[48:49]
	s_and_b64 s[44:45], s[44:45], exec
	s_or_saveexec_b64 s[46:47], s[46:47]
	v_mov_b32_e32 v3, 0x7f800001
	s_xor_b64 exec, exec, s[46:47]
	s_cbranch_execz .LBB300_536
.LBB300_547:
	v_mov_b32_e32 v3, 0
	v_cmp_ne_u16_sdwa s[48:49], v1, v3 src0_sel:BYTE_0 src1_sel:DWORD
	s_andn2_b64 s[44:45], s[44:45], exec
	s_and_b64 s[48:49], s[48:49], exec
	s_or_b64 s[44:45], s[44:45], s[48:49]
	s_or_b64 exec, exec, s[46:47]
	s_and_saveexec_b64 s[46:47], s[44:45]
	s_cbranch_execnz .LBB300_537
	s_branch .LBB300_538
.LBB300_548:
	s_mov_b64 s[46:47], 0
	s_mov_b32 s52, 0x7f800001
	s_cbranch_execz .LBB300_550
; %bb.549:
	s_and_b32 s46, 0xffff, s50
	s_cmp_lg_u32 s46, 0
	s_mov_b32 s52, 0
	s_cselect_b64 s[46:47], -1, 0
.LBB300_550:
	s_andn2_b64 vcc, exec, s[46:47]
	s_cbranch_vccnz .LBB300_552
; %bb.551:
	s_mov_b32 s52, s33
.LBB300_552:
	s_movk_i32 s46, 0xff
	v_and_b32_sdwa v1, v2, s46 dst_sel:DWORD dst_unused:UNUSED_PAD src0_sel:WORD_1 src1_sel:DWORD
	s_movk_i32 s46, 0x7f
	v_cmp_lt_i16_e32 vcc, s46, v1
	s_mov_b64 s[46:47], 0
	s_and_saveexec_b64 s[48:49], vcc
	s_xor_b64 s[48:49], exec, s[48:49]
	s_cbranch_execnz .LBB300_562
; %bb.553:
	s_or_saveexec_b64 s[48:49], s[48:49]
	v_mov_b32_e32 v3, 0x7f800001
	s_xor_b64 exec, exec, s[48:49]
	s_cbranch_execnz .LBB300_565
.LBB300_554:
	s_or_b64 exec, exec, s[48:49]
	s_and_saveexec_b64 s[48:49], s[46:47]
	s_cbranch_execz .LBB300_556
.LBB300_555:
	v_bfe_u32 v1, v2, 16, 3
	v_ffbh_u32_e32 v4, v1
	v_min_u32_e32 v4, 32, v4
	v_bfe_u32 v3, v2, 19, 4
	v_subrev_u32_e32 v6, 28, v4
	v_lshlrev_b32_sdwa v6, v6, v2 dst_sel:DWORD dst_unused:UNUSED_PAD src0_sel:DWORD src1_sel:WORD_1
	v_sub_u32_e32 v4, 29, v4
	v_cmp_eq_u32_e32 vcc, 0, v3
	v_and_b32_e32 v6, 7, v6
	v_cndmask_b32_e32 v3, v3, v4, vcc
	v_mov_b32_e32 v4, 24
	v_cndmask_b32_e32 v1, v1, v6, vcc
	v_lshlrev_b32_sdwa v4, v4, v2 dst_sel:DWORD dst_unused:UNUSED_PAD src0_sel:DWORD src1_sel:WORD_1
	v_mov_b32_e32 v6, 0x3b800000
	v_lshlrev_b32_e32 v1, 20, v1
	v_and_b32_e32 v4, 0x80000000, v4
	v_lshl_add_u32 v3, v3, 23, v6
	v_or3_b32 v3, v4, v3, v1
.LBB300_556:
	s_or_b64 exec, exec, s[48:49]
	v_cmp_eq_f32_e64 s[46:47], s52, v3
	s_and_b64 vcc, exec, s[4:5]
	s_cbranch_vccz .LBB300_289
.LBB300_557:
                                        ; implicit-def: $sgpr4_sgpr5
	s_cbranch_execz .LBB300_575
; %bb.558:
	s_and_b32 s50, s14, 0xff
	s_cmpk_lt_i32 s50, 0x80
	s_cbranch_scc1 .LBB300_566
; %bb.559:
	s_and_b32 s4, 0xffff, s50
	s_cmpk_eq_i32 s4, 0x80
	s_mov_b64 s[4:5], -1
	s_cbranch_scc0 .LBB300_561
; %bb.560:
	s_mov_b64 s[4:5], 0
.LBB300_561:
	s_mov_b32 s52, 0x7f800001
	s_branch .LBB300_568
.LBB300_562:
	s_movk_i32 s46, 0x80
	v_cmp_eq_u16_e32 vcc, s46, v1
	s_mov_b64 s[46:47], -1
	s_and_saveexec_b64 s[50:51], vcc
; %bb.563:
	s_xor_b64 s[46:47], exec, -1
; %bb.564:
	s_or_b64 exec, exec, s[50:51]
	s_and_b64 s[46:47], s[46:47], exec
                                        ; implicit-def: $vgpr1
	s_or_saveexec_b64 s[48:49], s[48:49]
	v_mov_b32_e32 v3, 0x7f800001
	s_xor_b64 exec, exec, s[48:49]
	s_cbranch_execz .LBB300_554
.LBB300_565:
	v_cmp_ne_u16_e32 vcc, 0, v1
	s_andn2_b64 s[46:47], s[46:47], exec
	s_and_b64 s[50:51], vcc, exec
	v_mov_b32_e32 v3, 0
	s_or_b64 s[46:47], s[46:47], s[50:51]
	s_or_b64 exec, exec, s[48:49]
	s_and_saveexec_b64 s[48:49], s[46:47]
	s_cbranch_execnz .LBB300_555
	s_branch .LBB300_556
.LBB300_566:
	s_mov_b64 s[4:5], 0
	s_mov_b32 s52, 0x7f800001
	s_cbranch_execz .LBB300_568
; %bb.567:
	s_and_b32 s4, 0xffff, s50
	s_cmp_lg_u32 s4, 0
	s_mov_b32 s52, 0
	s_cselect_b64 s[4:5], -1, 0
.LBB300_568:
	s_andn2_b64 vcc, exec, s[4:5]
	s_cbranch_vccnz .LBB300_570
; %bb.569:
	s_mov_b32 s52, s33
.LBB300_570:
	s_movk_i32 s4, 0x7f
	v_cmp_gt_i16_sdwa s[48:49], v2, s4 src0_sel:BYTE_3 src1_sel:DWORD
	s_mov_b64 s[4:5], 0
	s_and_saveexec_b64 s[50:51], s[48:49]
	s_xor_b64 s[48:49], exec, s[50:51]
	s_cbranch_execnz .LBB300_577
; %bb.571:
	s_or_saveexec_b64 s[48:49], s[48:49]
	v_mov_b32_e32 v1, 0x7f800001
	s_xor_b64 exec, exec, s[48:49]
	s_cbranch_execnz .LBB300_580
.LBB300_572:
	s_or_b64 exec, exec, s[48:49]
	s_and_saveexec_b64 s[48:49], s[4:5]
	s_cbranch_execz .LBB300_574
.LBB300_573:
	v_bfe_u32 v1, v2, 24, 3
	v_ffbh_u32_e32 v4, v1
	v_min_u32_e32 v4, 32, v4
	v_subrev_u32_e32 v6, 28, v4
	v_bfe_u32 v3, v2, 27, 4
	v_lshlrev_b32_sdwa v6, v6, v2 dst_sel:DWORD dst_unused:UNUSED_PAD src0_sel:DWORD src1_sel:BYTE_3
	v_sub_u32_e32 v4, 29, v4
	v_and_b32_e32 v6, 7, v6
	v_cmp_eq_u32_e32 vcc, 0, v3
	v_cndmask_b32_e32 v3, v3, v4, vcc
	v_cndmask_b32_e32 v1, v1, v6, vcc
	v_mov_b32_e32 v4, 0x3b800000
	v_lshlrev_b32_e32 v1, 20, v1
	v_and_b32_e32 v2, 0x80000000, v2
	v_lshl_add_u32 v3, v3, 23, v4
	v_or3_b32 v1, v2, v3, v1
.LBB300_574:
	s_or_b64 exec, exec, s[48:49]
	v_cmp_eq_f32_e64 s[4:5], s52, v1
.LBB300_575:
	v_cndmask_b32_e64 v1, 0, 1, s[10:11]
	v_lshlrev_b16_e32 v1, 8, v1
	v_cndmask_b32_e64 v2, 0, 1, s[8:9]
	v_or_b32_e32 v1, v2, v1
	v_cndmask_b32_e64 v2, 0, 1, s[22:23]
	v_lshlrev_b16_e32 v2, 8, v2
	v_cndmask_b32_e64 v3, 0, 1, s[20:21]
	v_or_b32_sdwa v2, v3, v2 dst_sel:WORD_1 dst_unused:UNUSED_PAD src0_sel:DWORD src1_sel:DWORD
	v_or_b32_sdwa v1, v1, v2 dst_sel:DWORD dst_unused:UNUSED_PAD src0_sel:WORD_0 src1_sel:DWORD
	v_cndmask_b32_e64 v2, 0, 1, s[26:27]
	v_lshlrev_b16_e32 v2, 8, v2
	v_cndmask_b32_e64 v3, 0, 1, s[24:25]
	v_or_b32_e32 v2, v3, v2
	v_cndmask_b32_e64 v3, 0, 1, s[30:31]
	v_lshlrev_b16_e32 v3, 8, v3
	v_cndmask_b32_e64 v4, 0, 1, s[28:29]
	v_or_b32_sdwa v3, v4, v3 dst_sel:WORD_1 dst_unused:UNUSED_PAD src0_sel:DWORD src1_sel:DWORD
	v_or_b32_sdwa v2, v2, v3 dst_sel:DWORD dst_unused:UNUSED_PAD src0_sel:WORD_0 src1_sel:DWORD
	;; [unrolled: 9-line block ×3, first 2 shown]
	v_cndmask_b32_e64 v4, 0, 1, s[44:45]
	v_lshlrev_b16_e32 v4, 8, v4
	v_cndmask_b32_e64 v6, 0, 1, s[42:43]
	v_or_b32_e32 v4, v6, v4
	v_cndmask_b32_e64 v6, 0, 1, s[4:5]
	v_lshlrev_b16_e32 v6, 8, v6
	v_cndmask_b32_e64 v7, 0, 1, s[46:47]
	s_add_u32 s4, s16, s15
	v_or_b32_sdwa v6, v7, v6 dst_sel:WORD_1 dst_unused:UNUSED_PAD src0_sel:DWORD src1_sel:DWORD
	s_addc_u32 s5, s17, s12
	v_or_b32_sdwa v4, v4, v6 dst_sel:DWORD dst_unused:UNUSED_PAD src0_sel:WORD_0 src1_sel:DWORD
	global_store_dwordx2 v5, v[1:2], s[4:5]
	global_store_dwordx2 v5, v[3:4], s[4:5] offset:2048
	s_branch .LBB300_2
.LBB300_576:
	s_getpc_b64 s[4:5]
	s_add_u32 s4, s4, _ZN2at6native25elementwise_kernel_helperILb0ENS0_13AUnaryFunctorIN3c1015Float8_e4m3fnuzES4_bNS0_12_GLOBAL__N_116CompareEqFunctorIS4_EEEENS0_6memory8policies11unroll_baseILi256ESt5arrayIPcLm2EE23TrivialOffsetCalculatorILi1EjESG_NS9_15LoadWithoutCastENS9_16StoreWithoutCastELi16ELi1EEEEEvT0_T1_@rel32@lo+4
	s_addc_u32 s5, s5, _ZN2at6native25elementwise_kernel_helperILb0ENS0_13AUnaryFunctorIN3c1015Float8_e4m3fnuzES4_bNS0_12_GLOBAL__N_116CompareEqFunctorIS4_EEEENS0_6memory8policies11unroll_baseILi256ESt5arrayIPcLm2EE23TrivialOffsetCalculatorILi1EjESG_NS9_15LoadWithoutCastENS9_16StoreWithoutCastELi16ELi1EEEEEvT0_T1_@rel32@hi+12
	s_mov_b32 s12, s6
	v_mov_b32_e32 v31, v0
	v_mov_b32_e32 v0, s13
	;; [unrolled: 1-line block ×8, first 2 shown]
	s_swappc_b64 s[30:31], s[4:5]
	s_endpgm
.LBB300_577:
	s_movk_i32 s4, 0x80
	v_cmp_eq_u16_sdwa s[54:55], v2, s4 src0_sel:BYTE_3 src1_sel:DWORD
	s_mov_b64 s[4:5], -1
	s_and_saveexec_b64 s[50:51], s[54:55]
; %bb.578:
	s_xor_b64 s[4:5], exec, -1
; %bb.579:
	s_or_b64 exec, exec, s[50:51]
	s_and_b64 s[4:5], s[4:5], exec
	s_or_saveexec_b64 s[48:49], s[48:49]
	v_mov_b32_e32 v1, 0x7f800001
	s_xor_b64 exec, exec, s[48:49]
	s_cbranch_execz .LBB300_572
.LBB300_580:
	v_mov_b32_e32 v1, 0
	v_cmp_ne_u16_sdwa s[50:51], v2, v1 src0_sel:BYTE_3 src1_sel:DWORD
	s_andn2_b64 s[4:5], s[4:5], exec
	s_and_b64 s[50:51], s[50:51], exec
	s_or_b64 s[4:5], s[4:5], s[50:51]
	s_or_b64 exec, exec, s[48:49]
	s_and_saveexec_b64 s[48:49], s[4:5]
	s_cbranch_execnz .LBB300_573
	s_branch .LBB300_574
	.section	.rodata,"a",@progbits
	.p2align	6, 0x0
	.amdhsa_kernel _ZN2at6native29vectorized_elementwise_kernelILi8ENS0_13AUnaryFunctorIN3c1015Float8_e4m3fnuzES4_bNS0_12_GLOBAL__N_116CompareEqFunctorIS4_EEEESt5arrayIPcLm2EEEEviT0_T1_
		.amdhsa_group_segment_fixed_size 0
		.amdhsa_private_segment_fixed_size 0
		.amdhsa_kernarg_size 32
		.amdhsa_user_sgpr_count 6
		.amdhsa_user_sgpr_private_segment_buffer 1
		.amdhsa_user_sgpr_dispatch_ptr 0
		.amdhsa_user_sgpr_queue_ptr 0
		.amdhsa_user_sgpr_kernarg_segment_ptr 1
		.amdhsa_user_sgpr_dispatch_id 0
		.amdhsa_user_sgpr_flat_scratch_init 0
		.amdhsa_user_sgpr_private_segment_size 0
		.amdhsa_uses_dynamic_stack 0
		.amdhsa_system_sgpr_private_segment_wavefront_offset 0
		.amdhsa_system_sgpr_workgroup_id_x 1
		.amdhsa_system_sgpr_workgroup_id_y 0
		.amdhsa_system_sgpr_workgroup_id_z 0
		.amdhsa_system_sgpr_workgroup_info 0
		.amdhsa_system_vgpr_workitem_id 0
		.amdhsa_next_free_vgpr 32
		.amdhsa_next_free_sgpr 57
		.amdhsa_reserve_vcc 1
		.amdhsa_reserve_flat_scratch 0
		.amdhsa_float_round_mode_32 0
		.amdhsa_float_round_mode_16_64 0
		.amdhsa_float_denorm_mode_32 3
		.amdhsa_float_denorm_mode_16_64 3
		.amdhsa_dx10_clamp 1
		.amdhsa_ieee_mode 1
		.amdhsa_fp16_overflow 0
		.amdhsa_exception_fp_ieee_invalid_op 0
		.amdhsa_exception_fp_denorm_src 0
		.amdhsa_exception_fp_ieee_div_zero 0
		.amdhsa_exception_fp_ieee_overflow 0
		.amdhsa_exception_fp_ieee_underflow 0
		.amdhsa_exception_fp_ieee_inexact 0
		.amdhsa_exception_int_div_zero 0
	.end_amdhsa_kernel
	.section	.text._ZN2at6native29vectorized_elementwise_kernelILi8ENS0_13AUnaryFunctorIN3c1015Float8_e4m3fnuzES4_bNS0_12_GLOBAL__N_116CompareEqFunctorIS4_EEEESt5arrayIPcLm2EEEEviT0_T1_,"axG",@progbits,_ZN2at6native29vectorized_elementwise_kernelILi8ENS0_13AUnaryFunctorIN3c1015Float8_e4m3fnuzES4_bNS0_12_GLOBAL__N_116CompareEqFunctorIS4_EEEESt5arrayIPcLm2EEEEviT0_T1_,comdat
.Lfunc_end300:
	.size	_ZN2at6native29vectorized_elementwise_kernelILi8ENS0_13AUnaryFunctorIN3c1015Float8_e4m3fnuzES4_bNS0_12_GLOBAL__N_116CompareEqFunctorIS4_EEEESt5arrayIPcLm2EEEEviT0_T1_, .Lfunc_end300-_ZN2at6native29vectorized_elementwise_kernelILi8ENS0_13AUnaryFunctorIN3c1015Float8_e4m3fnuzES4_bNS0_12_GLOBAL__N_116CompareEqFunctorIS4_EEEESt5arrayIPcLm2EEEEviT0_T1_
                                        ; -- End function
	.set _ZN2at6native29vectorized_elementwise_kernelILi8ENS0_13AUnaryFunctorIN3c1015Float8_e4m3fnuzES4_bNS0_12_GLOBAL__N_116CompareEqFunctorIS4_EEEESt5arrayIPcLm2EEEEviT0_T1_.num_vgpr, max(32, .L_ZN2at6native25elementwise_kernel_helperILb0ENS0_13AUnaryFunctorIN3c1015Float8_e4m3fnuzES4_bNS0_12_GLOBAL__N_116CompareEqFunctorIS4_EEEENS0_6memory8policies11unroll_baseILi256ESt5arrayIPcLm2EE23TrivialOffsetCalculatorILi1EjESG_NS9_15LoadWithoutCastENS9_16StoreWithoutCastELi16ELi1EEEEEvT0_T1_.num_vgpr)
	.set _ZN2at6native29vectorized_elementwise_kernelILi8ENS0_13AUnaryFunctorIN3c1015Float8_e4m3fnuzES4_bNS0_12_GLOBAL__N_116CompareEqFunctorIS4_EEEESt5arrayIPcLm2EEEEviT0_T1_.num_agpr, max(0, .L_ZN2at6native25elementwise_kernel_helperILb0ENS0_13AUnaryFunctorIN3c1015Float8_e4m3fnuzES4_bNS0_12_GLOBAL__N_116CompareEqFunctorIS4_EEEENS0_6memory8policies11unroll_baseILi256ESt5arrayIPcLm2EE23TrivialOffsetCalculatorILi1EjESG_NS9_15LoadWithoutCastENS9_16StoreWithoutCastELi16ELi1EEEEEvT0_T1_.num_agpr)
	.set _ZN2at6native29vectorized_elementwise_kernelILi8ENS0_13AUnaryFunctorIN3c1015Float8_e4m3fnuzES4_bNS0_12_GLOBAL__N_116CompareEqFunctorIS4_EEEESt5arrayIPcLm2EEEEviT0_T1_.numbered_sgpr, max(56, .L_ZN2at6native25elementwise_kernel_helperILb0ENS0_13AUnaryFunctorIN3c1015Float8_e4m3fnuzES4_bNS0_12_GLOBAL__N_116CompareEqFunctorIS4_EEEENS0_6memory8policies11unroll_baseILi256ESt5arrayIPcLm2EE23TrivialOffsetCalculatorILi1EjESG_NS9_15LoadWithoutCastENS9_16StoreWithoutCastELi16ELi1EEEEEvT0_T1_.numbered_sgpr)
	.set _ZN2at6native29vectorized_elementwise_kernelILi8ENS0_13AUnaryFunctorIN3c1015Float8_e4m3fnuzES4_bNS0_12_GLOBAL__N_116CompareEqFunctorIS4_EEEESt5arrayIPcLm2EEEEviT0_T1_.num_named_barrier, max(0, .L_ZN2at6native25elementwise_kernel_helperILb0ENS0_13AUnaryFunctorIN3c1015Float8_e4m3fnuzES4_bNS0_12_GLOBAL__N_116CompareEqFunctorIS4_EEEENS0_6memory8policies11unroll_baseILi256ESt5arrayIPcLm2EE23TrivialOffsetCalculatorILi1EjESG_NS9_15LoadWithoutCastENS9_16StoreWithoutCastELi16ELi1EEEEEvT0_T1_.num_named_barrier)
	.set _ZN2at6native29vectorized_elementwise_kernelILi8ENS0_13AUnaryFunctorIN3c1015Float8_e4m3fnuzES4_bNS0_12_GLOBAL__N_116CompareEqFunctorIS4_EEEESt5arrayIPcLm2EEEEviT0_T1_.private_seg_size, 0+max(.L_ZN2at6native25elementwise_kernel_helperILb0ENS0_13AUnaryFunctorIN3c1015Float8_e4m3fnuzES4_bNS0_12_GLOBAL__N_116CompareEqFunctorIS4_EEEENS0_6memory8policies11unroll_baseILi256ESt5arrayIPcLm2EE23TrivialOffsetCalculatorILi1EjESG_NS9_15LoadWithoutCastENS9_16StoreWithoutCastELi16ELi1EEEEEvT0_T1_.private_seg_size)
	.set _ZN2at6native29vectorized_elementwise_kernelILi8ENS0_13AUnaryFunctorIN3c1015Float8_e4m3fnuzES4_bNS0_12_GLOBAL__N_116CompareEqFunctorIS4_EEEESt5arrayIPcLm2EEEEviT0_T1_.uses_vcc, or(1, .L_ZN2at6native25elementwise_kernel_helperILb0ENS0_13AUnaryFunctorIN3c1015Float8_e4m3fnuzES4_bNS0_12_GLOBAL__N_116CompareEqFunctorIS4_EEEENS0_6memory8policies11unroll_baseILi256ESt5arrayIPcLm2EE23TrivialOffsetCalculatorILi1EjESG_NS9_15LoadWithoutCastENS9_16StoreWithoutCastELi16ELi1EEEEEvT0_T1_.uses_vcc)
	.set _ZN2at6native29vectorized_elementwise_kernelILi8ENS0_13AUnaryFunctorIN3c1015Float8_e4m3fnuzES4_bNS0_12_GLOBAL__N_116CompareEqFunctorIS4_EEEESt5arrayIPcLm2EEEEviT0_T1_.uses_flat_scratch, or(0, .L_ZN2at6native25elementwise_kernel_helperILb0ENS0_13AUnaryFunctorIN3c1015Float8_e4m3fnuzES4_bNS0_12_GLOBAL__N_116CompareEqFunctorIS4_EEEENS0_6memory8policies11unroll_baseILi256ESt5arrayIPcLm2EE23TrivialOffsetCalculatorILi1EjESG_NS9_15LoadWithoutCastENS9_16StoreWithoutCastELi16ELi1EEEEEvT0_T1_.uses_flat_scratch)
	.set _ZN2at6native29vectorized_elementwise_kernelILi8ENS0_13AUnaryFunctorIN3c1015Float8_e4m3fnuzES4_bNS0_12_GLOBAL__N_116CompareEqFunctorIS4_EEEESt5arrayIPcLm2EEEEviT0_T1_.has_dyn_sized_stack, or(0, .L_ZN2at6native25elementwise_kernel_helperILb0ENS0_13AUnaryFunctorIN3c1015Float8_e4m3fnuzES4_bNS0_12_GLOBAL__N_116CompareEqFunctorIS4_EEEENS0_6memory8policies11unroll_baseILi256ESt5arrayIPcLm2EE23TrivialOffsetCalculatorILi1EjESG_NS9_15LoadWithoutCastENS9_16StoreWithoutCastELi16ELi1EEEEEvT0_T1_.has_dyn_sized_stack)
	.set _ZN2at6native29vectorized_elementwise_kernelILi8ENS0_13AUnaryFunctorIN3c1015Float8_e4m3fnuzES4_bNS0_12_GLOBAL__N_116CompareEqFunctorIS4_EEEESt5arrayIPcLm2EEEEviT0_T1_.has_recursion, or(0, .L_ZN2at6native25elementwise_kernel_helperILb0ENS0_13AUnaryFunctorIN3c1015Float8_e4m3fnuzES4_bNS0_12_GLOBAL__N_116CompareEqFunctorIS4_EEEENS0_6memory8policies11unroll_baseILi256ESt5arrayIPcLm2EE23TrivialOffsetCalculatorILi1EjESG_NS9_15LoadWithoutCastENS9_16StoreWithoutCastELi16ELi1EEEEEvT0_T1_.has_recursion)
	.set _ZN2at6native29vectorized_elementwise_kernelILi8ENS0_13AUnaryFunctorIN3c1015Float8_e4m3fnuzES4_bNS0_12_GLOBAL__N_116CompareEqFunctorIS4_EEEESt5arrayIPcLm2EEEEviT0_T1_.has_indirect_call, or(0, .L_ZN2at6native25elementwise_kernel_helperILb0ENS0_13AUnaryFunctorIN3c1015Float8_e4m3fnuzES4_bNS0_12_GLOBAL__N_116CompareEqFunctorIS4_EEEENS0_6memory8policies11unroll_baseILi256ESt5arrayIPcLm2EE23TrivialOffsetCalculatorILi1EjESG_NS9_15LoadWithoutCastENS9_16StoreWithoutCastELi16ELi1EEEEEvT0_T1_.has_indirect_call)
	.section	.AMDGPU.csdata,"",@progbits
; Kernel info:
; codeLenInByte = 12356
; TotalNumSgprs: 61
; NumVgprs: 32
; ScratchSize: 0
; MemoryBound: 0
; FloatMode: 240
; IeeeMode: 1
; LDSByteSize: 0 bytes/workgroup (compile time only)
; SGPRBlocks: 7
; VGPRBlocks: 7
; NumSGPRsForWavesPerEU: 61
; NumVGPRsForWavesPerEU: 32
; Occupancy: 8
; WaveLimiterHint : 1
; COMPUTE_PGM_RSRC2:SCRATCH_EN: 0
; COMPUTE_PGM_RSRC2:USER_SGPR: 6
; COMPUTE_PGM_RSRC2:TRAP_HANDLER: 0
; COMPUTE_PGM_RSRC2:TGID_X_EN: 1
; COMPUTE_PGM_RSRC2:TGID_Y_EN: 0
; COMPUTE_PGM_RSRC2:TGID_Z_EN: 0
; COMPUTE_PGM_RSRC2:TIDIG_COMP_CNT: 0
	.section	.text._ZN2at6native29vectorized_elementwise_kernelILi4ENS0_13AUnaryFunctorIN3c1015Float8_e4m3fnuzES4_bNS0_12_GLOBAL__N_116CompareEqFunctorIS4_EEEESt5arrayIPcLm2EEEEviT0_T1_,"axG",@progbits,_ZN2at6native29vectorized_elementwise_kernelILi4ENS0_13AUnaryFunctorIN3c1015Float8_e4m3fnuzES4_bNS0_12_GLOBAL__N_116CompareEqFunctorIS4_EEEESt5arrayIPcLm2EEEEviT0_T1_,comdat
	.globl	_ZN2at6native29vectorized_elementwise_kernelILi4ENS0_13AUnaryFunctorIN3c1015Float8_e4m3fnuzES4_bNS0_12_GLOBAL__N_116CompareEqFunctorIS4_EEEESt5arrayIPcLm2EEEEviT0_T1_ ; -- Begin function _ZN2at6native29vectorized_elementwise_kernelILi4ENS0_13AUnaryFunctorIN3c1015Float8_e4m3fnuzES4_bNS0_12_GLOBAL__N_116CompareEqFunctorIS4_EEEESt5arrayIPcLm2EEEEviT0_T1_
	.p2align	8
	.type	_ZN2at6native29vectorized_elementwise_kernelILi4ENS0_13AUnaryFunctorIN3c1015Float8_e4m3fnuzES4_bNS0_12_GLOBAL__N_116CompareEqFunctorIS4_EEEESt5arrayIPcLm2EEEEviT0_T1_,@function
_ZN2at6native29vectorized_elementwise_kernelILi4ENS0_13AUnaryFunctorIN3c1015Float8_e4m3fnuzES4_bNS0_12_GLOBAL__N_116CompareEqFunctorIS4_EEEESt5arrayIPcLm2EEEEviT0_T1_: ; @_ZN2at6native29vectorized_elementwise_kernelILi4ENS0_13AUnaryFunctorIN3c1015Float8_e4m3fnuzES4_bNS0_12_GLOBAL__N_116CompareEqFunctorIS4_EEEESt5arrayIPcLm2EEEEviT0_T1_
; %bb.0:
	s_load_dwordx8 s[12:19], s[4:5], 0x0
	s_add_u32 s0, s0, s7
	s_addc_u32 s1, s1, 0
	s_waitcnt lgkmcnt(0)
	s_lshl_b32 s15, s6, 12
	s_mov_b64 s[4:5], -1
	s_sub_i32 s7, s12, s15
	s_cmpk_gt_i32 s7, 0xfff
	s_mov_b32 s32, 0
	s_cbranch_scc1 .LBB301_3
; %bb.1:
	s_and_b64 vcc, exec, s[4:5]
	s_cbranch_vccnz .LBB301_576
.LBB301_2:
	s_endpgm
.LBB301_3:
	s_ashr_i32 s12, s15, 31
	s_add_u32 s4, s18, s15
	s_addc_u32 s5, s19, s12
	v_lshlrev_b32_e32 v1, 2, v0
	global_load_dword v5, v1, s[4:5]
	global_load_dword v4, v1, s[4:5] offset:1024
	global_load_dword v3, v1, s[4:5] offset:2048
	;; [unrolled: 1-line block ×3, first 2 shown]
	s_cmp_lg_u32 s13, 0
	s_cselect_b64 s[10:11], -1, 0
	s_and_b32 s4, s14, 7
	s_flbit_i32_b32 s8, s4
	s_min_u32 s8, s8, 32
	s_sub_i32 s9, s8, 28
	s_lshl_b32 s9, s14, s9
	s_bfe_u32 s5, s14, 0x40003
	s_sub_i32 s8, 29, s8
	s_and_b32 s9, s9, 7
	s_cmp_eq_u32 s5, 0
	s_cselect_b32 s5, s8, s5
	s_cselect_b32 s4, s9, s4
	s_lshl_b32 s8, s14, 24
	s_lshl_b32 s5, s5, 23
	s_and_b32 s8, s8, 0x80000000
	s_add_i32 s5, s5, 0x3b800000
	s_lshl_b32 s4, s4, 20
	s_or_b32 s5, s8, s5
	s_or_b32 s33, s5, s4
	s_and_b64 vcc, exec, s[10:11]
	s_cbranch_vccz .LBB301_8
; %bb.4:
	s_and_b32 s20, s14, 0xff
	s_cmpk_lt_i32 s20, 0x80
	s_cbranch_scc1 .LBB301_9
; %bb.5:
	s_and_b32 s4, 0xffff, s20
	s_cmpk_eq_i32 s4, 0x80
	s_mov_b64 s[4:5], -1
	s_cbranch_scc0 .LBB301_7
; %bb.6:
	s_mov_b64 s[4:5], 0
.LBB301_7:
	s_mov_b32 s22, 0x7f800001
	s_branch .LBB301_11
.LBB301_8:
                                        ; implicit-def: $sgpr8_sgpr9
	s_cbranch_execnz .LBB301_18
	s_branch .LBB301_35
.LBB301_9:
	s_mov_b64 s[4:5], 0
	s_mov_b32 s22, 0x7f800001
	s_cbranch_execz .LBB301_11
; %bb.10:
	s_and_b32 s4, 0xffff, s20
	s_cmp_lg_u32 s4, 0
	s_mov_b32 s22, 0
	s_cselect_b64 s[4:5], -1, 0
.LBB301_11:
	s_andn2_b64 vcc, exec, s[4:5]
	s_cbranch_vccnz .LBB301_13
; %bb.12:
	s_mov_b32 s22, s33
.LBB301_13:
	s_movk_i32 s4, 0x7f
	s_waitcnt vmcnt(3)
	v_cmp_gt_i16_sdwa s[8:9], v5, s4 src0_sel:BYTE_0 src1_sel:DWORD
	s_mov_b64 s[4:5], 0
	s_and_saveexec_b64 s[20:21], s[8:9]
	s_xor_b64 s[8:9], exec, s[20:21]
	s_cbranch_execnz .LBB301_22
; %bb.14:
	s_or_saveexec_b64 s[8:9], s[8:9]
	v_mov_b32_e32 v6, 0x7f800001
	s_xor_b64 exec, exec, s[8:9]
	s_cbranch_execnz .LBB301_25
.LBB301_15:
	s_or_b64 exec, exec, s[8:9]
	s_and_saveexec_b64 s[8:9], s[4:5]
	s_cbranch_execz .LBB301_17
.LBB301_16:
	v_and_b32_e32 v6, 7, v5
	v_ffbh_u32_e32 v8, v6
	v_min_u32_e32 v8, 32, v8
	v_subrev_u32_e32 v9, 28, v8
	v_bfe_u32 v7, v5, 3, 4
	v_lshlrev_b32_e32 v9, v9, v5
	v_sub_u32_e32 v8, 29, v8
	v_and_b32_e32 v9, 7, v9
	v_cmp_eq_u32_e32 vcc, 0, v7
	v_cndmask_b32_e32 v7, v7, v8, vcc
	v_cndmask_b32_e32 v6, v6, v9, vcc
	v_lshlrev_b32_e32 v8, 24, v5
	v_mov_b32_e32 v9, 0x3b800000
	v_lshlrev_b32_e32 v6, 20, v6
	v_and_b32_e32 v8, 0x80000000, v8
	v_lshl_add_u32 v7, v7, 23, v9
	v_or3_b32 v6, v8, v7, v6
.LBB301_17:
	s_or_b64 exec, exec, s[8:9]
	v_cmp_neq_f32_e64 s[8:9], s22, v6
	s_branch .LBB301_35
.LBB301_18:
	s_and_b32 s20, s14, 0xff
	s_cmpk_lt_i32 s20, 0x80
	s_cbranch_scc1 .LBB301_26
; %bb.19:
	s_and_b32 s4, 0xffff, s20
	s_cmpk_eq_i32 s4, 0x80
	s_mov_b64 s[4:5], -1
	s_cbranch_scc0 .LBB301_21
; %bb.20:
	s_mov_b64 s[4:5], 0
.LBB301_21:
	s_mov_b32 s22, 0x7f800001
	s_branch .LBB301_28
.LBB301_22:
	s_movk_i32 s4, 0x80
	v_cmp_eq_u16_sdwa s[24:25], v5, s4 src0_sel:BYTE_0 src1_sel:DWORD
	s_mov_b64 s[4:5], -1
	s_and_saveexec_b64 s[20:21], s[24:25]
; %bb.23:
	s_xor_b64 s[4:5], exec, -1
; %bb.24:
	s_or_b64 exec, exec, s[20:21]
	s_and_b64 s[4:5], s[4:5], exec
	s_or_saveexec_b64 s[8:9], s[8:9]
	v_mov_b32_e32 v6, 0x7f800001
	s_xor_b64 exec, exec, s[8:9]
	s_cbranch_execz .LBB301_15
.LBB301_25:
	v_mov_b32_e32 v6, 0
	v_cmp_ne_u16_sdwa s[20:21], v5, v6 src0_sel:BYTE_0 src1_sel:DWORD
	s_andn2_b64 s[4:5], s[4:5], exec
	s_and_b64 s[20:21], s[20:21], exec
	s_or_b64 s[4:5], s[4:5], s[20:21]
	s_or_b64 exec, exec, s[8:9]
	s_and_saveexec_b64 s[8:9], s[4:5]
	s_cbranch_execnz .LBB301_16
	s_branch .LBB301_17
.LBB301_26:
	s_mov_b64 s[4:5], 0
	s_mov_b32 s22, 0x7f800001
	s_cbranch_execz .LBB301_28
; %bb.27:
	s_and_b32 s4, 0xffff, s20
	s_cmp_lg_u32 s4, 0
	s_mov_b32 s22, 0
	s_cselect_b64 s[4:5], -1, 0
.LBB301_28:
	s_andn2_b64 vcc, exec, s[4:5]
	s_cbranch_vccnz .LBB301_30
; %bb.29:
	s_mov_b32 s22, s33
.LBB301_30:
	s_movk_i32 s4, 0x7f
	s_waitcnt vmcnt(3)
	v_cmp_gt_i16_sdwa s[8:9], v5, s4 src0_sel:BYTE_0 src1_sel:DWORD
	s_mov_b64 s[4:5], 0
	s_and_saveexec_b64 s[20:21], s[8:9]
	s_xor_b64 s[8:9], exec, s[20:21]
	s_cbranch_execnz .LBB301_310
; %bb.31:
	s_or_saveexec_b64 s[8:9], s[8:9]
	v_mov_b32_e32 v6, 0x7f800001
	s_xor_b64 exec, exec, s[8:9]
	s_cbranch_execnz .LBB301_313
.LBB301_32:
	s_or_b64 exec, exec, s[8:9]
	s_and_saveexec_b64 s[8:9], s[4:5]
	s_cbranch_execz .LBB301_34
.LBB301_33:
	v_and_b32_e32 v6, 7, v5
	v_ffbh_u32_e32 v8, v6
	v_min_u32_e32 v8, 32, v8
	v_subrev_u32_e32 v9, 28, v8
	v_bfe_u32 v7, v5, 3, 4
	v_lshlrev_b32_e32 v9, v9, v5
	v_sub_u32_e32 v8, 29, v8
	v_and_b32_e32 v9, 7, v9
	v_cmp_eq_u32_e32 vcc, 0, v7
	v_cndmask_b32_e32 v7, v7, v8, vcc
	v_cndmask_b32_e32 v6, v6, v9, vcc
	v_lshlrev_b32_e32 v8, 24, v5
	v_mov_b32_e32 v9, 0x3b800000
	v_lshlrev_b32_e32 v6, 20, v6
	v_and_b32_e32 v8, 0x80000000, v8
	v_lshl_add_u32 v7, v7, 23, v9
	v_or3_b32 v6, v8, v7, v6
.LBB301_34:
	s_or_b64 exec, exec, s[8:9]
	v_cmp_eq_f32_e64 s[8:9], s22, v6
.LBB301_35:
	v_cndmask_b32_e64 v6, 0, 1, s[10:11]
	v_cmp_ne_u32_e64 s[4:5], 1, v6
	s_andn2_b64 vcc, exec, s[10:11]
	s_waitcnt vmcnt(3)
	v_lshrrev_b32_e32 v6, 8, v5
	s_cbranch_vccnz .LBB301_40
; %bb.36:
	s_and_b32 s22, s14, 0xff
	s_cmpk_lt_i32 s22, 0x80
	s_cbranch_scc1 .LBB301_46
; %bb.37:
	s_and_b32 s10, 0xffff, s22
	s_cmpk_eq_i32 s10, 0x80
	s_mov_b64 s[10:11], -1
	s_cbranch_scc0 .LBB301_39
; %bb.38:
	s_mov_b64 s[10:11], 0
.LBB301_39:
	s_mov_b32 s24, 0x7f800001
	s_branch .LBB301_48
.LBB301_40:
                                        ; implicit-def: $sgpr10_sgpr11
	s_cbranch_execnz .LBB301_55
.LBB301_41:
	s_and_b64 vcc, exec, s[4:5]
	s_cbranch_vccnz .LBB301_323
.LBB301_42:
	s_and_b32 s24, s14, 0xff
	s_cmpk_lt_i32 s24, 0x80
	s_cbranch_scc1 .LBB301_59
; %bb.43:
	s_and_b32 s20, 0xffff, s24
	s_cmpk_eq_i32 s20, 0x80
	s_mov_b64 s[20:21], -1
	s_cbranch_scc0 .LBB301_45
; %bb.44:
	s_mov_b64 s[20:21], 0
.LBB301_45:
	s_mov_b32 s26, 0x7f800001
	s_branch .LBB301_61
.LBB301_46:
	s_mov_b64 s[10:11], 0
	s_mov_b32 s24, 0x7f800001
	s_cbranch_execz .LBB301_48
; %bb.47:
	s_and_b32 s10, 0xffff, s22
	s_cmp_lg_u32 s10, 0
	s_mov_b32 s24, 0
	s_cselect_b64 s[10:11], -1, 0
.LBB301_48:
	s_andn2_b64 vcc, exec, s[10:11]
	s_cbranch_vccnz .LBB301_50
; %bb.49:
	s_mov_b32 s24, s33
.LBB301_50:
	s_movk_i32 s10, 0x7f
	v_cmp_gt_i16_sdwa s[20:21], v6, s10 src0_sel:BYTE_0 src1_sel:DWORD
	s_mov_b64 s[10:11], 0
	s_and_saveexec_b64 s[22:23], s[20:21]
	s_xor_b64 s[20:21], exec, s[22:23]
	s_cbranch_execnz .LBB301_73
; %bb.51:
	s_or_saveexec_b64 s[20:21], s[20:21]
	v_mov_b32_e32 v7, 0x7f800001
	s_xor_b64 exec, exec, s[20:21]
	s_cbranch_execnz .LBB301_76
.LBB301_52:
	s_or_b64 exec, exec, s[20:21]
	s_and_saveexec_b64 s[20:21], s[10:11]
	s_cbranch_execz .LBB301_54
.LBB301_53:
	v_bfe_u32 v7, v5, 8, 3
	v_ffbh_u32_e32 v9, v7
	v_min_u32_e32 v9, 32, v9
	v_subrev_u32_e32 v10, 28, v9
	v_bfe_u32 v8, v5, 11, 4
	v_lshlrev_b32_e32 v10, v10, v6
	v_sub_u32_e32 v9, 29, v9
	v_and_b32_e32 v10, 7, v10
	v_cmp_eq_u32_e32 vcc, 0, v8
	v_cndmask_b32_e32 v8, v8, v9, vcc
	v_cndmask_b32_e32 v7, v7, v10, vcc
	v_lshlrev_b32_e32 v9, 24, v6
	v_mov_b32_e32 v10, 0x3b800000
	v_lshlrev_b32_e32 v7, 20, v7
	v_and_b32_e32 v9, 0x80000000, v9
	v_lshl_add_u32 v8, v8, 23, v10
	v_or3_b32 v7, v9, v8, v7
.LBB301_54:
	s_or_b64 exec, exec, s[20:21]
	v_cmp_neq_f32_e64 s[10:11], s24, v7
	s_branch .LBB301_41
.LBB301_55:
	s_and_b32 s22, s14, 0xff
	s_cmpk_lt_i32 s22, 0x80
	s_cbranch_scc1 .LBB301_314
; %bb.56:
	s_and_b32 s10, 0xffff, s22
	s_cmpk_eq_i32 s10, 0x80
	s_mov_b64 s[10:11], -1
	s_cbranch_scc0 .LBB301_58
; %bb.57:
	s_mov_b64 s[10:11], 0
.LBB301_58:
	s_mov_b32 s24, 0x7f800001
	s_branch .LBB301_316
.LBB301_59:
	s_mov_b64 s[20:21], 0
	s_mov_b32 s26, 0x7f800001
	s_cbranch_execz .LBB301_61
; %bb.60:
	s_and_b32 s20, 0xffff, s24
	s_cmp_lg_u32 s20, 0
	s_mov_b32 s26, 0
	s_cselect_b64 s[20:21], -1, 0
.LBB301_61:
	s_andn2_b64 vcc, exec, s[20:21]
	s_cbranch_vccnz .LBB301_63
; %bb.62:
	s_mov_b32 s26, s33
.LBB301_63:
	s_movk_i32 s20, 0xff
	v_and_b32_sdwa v6, v5, s20 dst_sel:DWORD dst_unused:UNUSED_PAD src0_sel:WORD_1 src1_sel:DWORD
	s_movk_i32 s20, 0x7f
	v_cmp_lt_i16_e32 vcc, s20, v6
	s_mov_b64 s[20:21], 0
	s_and_saveexec_b64 s[22:23], vcc
	s_xor_b64 s[22:23], exec, s[22:23]
	s_cbranch_execnz .LBB301_77
; %bb.64:
	s_or_saveexec_b64 s[22:23], s[22:23]
	v_mov_b32_e32 v7, 0x7f800001
	s_xor_b64 exec, exec, s[22:23]
	s_cbranch_execnz .LBB301_80
.LBB301_65:
	s_or_b64 exec, exec, s[22:23]
	s_and_saveexec_b64 s[22:23], s[20:21]
	s_cbranch_execz .LBB301_67
.LBB301_66:
	v_bfe_u32 v6, v5, 16, 3
	v_ffbh_u32_e32 v8, v6
	v_min_u32_e32 v8, 32, v8
	v_bfe_u32 v7, v5, 19, 4
	v_subrev_u32_e32 v9, 28, v8
	v_lshlrev_b32_sdwa v9, v9, v5 dst_sel:DWORD dst_unused:UNUSED_PAD src0_sel:DWORD src1_sel:WORD_1
	v_sub_u32_e32 v8, 29, v8
	v_cmp_eq_u32_e32 vcc, 0, v7
	v_and_b32_e32 v9, 7, v9
	v_cndmask_b32_e32 v7, v7, v8, vcc
	v_mov_b32_e32 v8, 24
	v_cndmask_b32_e32 v6, v6, v9, vcc
	v_lshlrev_b32_sdwa v8, v8, v5 dst_sel:DWORD dst_unused:UNUSED_PAD src0_sel:DWORD src1_sel:WORD_1
	v_mov_b32_e32 v9, 0x3b800000
	v_lshlrev_b32_e32 v6, 20, v6
	v_and_b32_e32 v8, 0x80000000, v8
	v_lshl_add_u32 v7, v7, 23, v9
	v_or3_b32 v7, v8, v7, v6
.LBB301_67:
	s_or_b64 exec, exec, s[22:23]
	v_cmp_neq_f32_e64 s[20:21], s26, v7
.LBB301_68:
	s_and_b64 vcc, exec, s[4:5]
	s_cbranch_vccnz .LBB301_341
.LBB301_69:
	s_and_b32 s26, s14, 0xff
	s_cmpk_lt_i32 s26, 0x80
	s_cbranch_scc1 .LBB301_81
; %bb.70:
	s_and_b32 s22, 0xffff, s26
	s_cmpk_eq_i32 s22, 0x80
	s_mov_b64 s[22:23], -1
	s_cbranch_scc0 .LBB301_72
; %bb.71:
	s_mov_b64 s[22:23], 0
.LBB301_72:
	s_mov_b32 s28, 0x7f800001
	s_branch .LBB301_83
.LBB301_73:
	s_movk_i32 s10, 0x80
	v_cmp_eq_u16_sdwa s[26:27], v6, s10 src0_sel:BYTE_0 src1_sel:DWORD
	s_mov_b64 s[10:11], -1
	s_and_saveexec_b64 s[22:23], s[26:27]
; %bb.74:
	s_xor_b64 s[10:11], exec, -1
; %bb.75:
	s_or_b64 exec, exec, s[22:23]
	s_and_b64 s[10:11], s[10:11], exec
	s_or_saveexec_b64 s[20:21], s[20:21]
	v_mov_b32_e32 v7, 0x7f800001
	s_xor_b64 exec, exec, s[20:21]
	s_cbranch_execz .LBB301_52
.LBB301_76:
	v_mov_b32_e32 v7, 0
	v_cmp_ne_u16_sdwa s[22:23], v6, v7 src0_sel:BYTE_0 src1_sel:DWORD
	s_andn2_b64 s[10:11], s[10:11], exec
	s_and_b64 s[22:23], s[22:23], exec
	s_or_b64 s[10:11], s[10:11], s[22:23]
	s_or_b64 exec, exec, s[20:21]
	s_and_saveexec_b64 s[20:21], s[10:11]
	s_cbranch_execnz .LBB301_53
	s_branch .LBB301_54
.LBB301_77:
	s_movk_i32 s20, 0x80
	v_cmp_eq_u16_e32 vcc, s20, v6
	s_mov_b64 s[20:21], -1
	s_and_saveexec_b64 s[24:25], vcc
; %bb.78:
	s_xor_b64 s[20:21], exec, -1
; %bb.79:
	s_or_b64 exec, exec, s[24:25]
	s_and_b64 s[20:21], s[20:21], exec
                                        ; implicit-def: $vgpr6
	s_or_saveexec_b64 s[22:23], s[22:23]
	v_mov_b32_e32 v7, 0x7f800001
	s_xor_b64 exec, exec, s[22:23]
	s_cbranch_execz .LBB301_65
.LBB301_80:
	v_cmp_ne_u16_e32 vcc, 0, v6
	s_andn2_b64 s[20:21], s[20:21], exec
	s_and_b64 s[24:25], vcc, exec
	v_mov_b32_e32 v7, 0
	s_or_b64 s[20:21], s[20:21], s[24:25]
	s_or_b64 exec, exec, s[22:23]
	s_and_saveexec_b64 s[22:23], s[20:21]
	s_cbranch_execnz .LBB301_66
	s_branch .LBB301_67
.LBB301_81:
	s_mov_b64 s[22:23], 0
	s_mov_b32 s28, 0x7f800001
	s_cbranch_execz .LBB301_83
; %bb.82:
	s_and_b32 s22, 0xffff, s26
	s_cmp_lg_u32 s22, 0
	s_mov_b32 s28, 0
	s_cselect_b64 s[22:23], -1, 0
.LBB301_83:
	s_andn2_b64 vcc, exec, s[22:23]
	s_cbranch_vccnz .LBB301_85
; %bb.84:
	s_mov_b32 s28, s33
.LBB301_85:
	s_movk_i32 s22, 0x7f
	v_cmp_gt_i16_sdwa s[24:25], v5, s22 src0_sel:BYTE_3 src1_sel:DWORD
	s_mov_b64 s[22:23], 0
	s_and_saveexec_b64 s[26:27], s[24:25]
	s_xor_b64 s[24:25], exec, s[26:27]
	s_cbranch_execnz .LBB301_95
; %bb.86:
	s_or_saveexec_b64 s[24:25], s[24:25]
	v_mov_b32_e32 v6, 0x7f800001
	s_xor_b64 exec, exec, s[24:25]
	s_cbranch_execnz .LBB301_98
.LBB301_87:
	s_or_b64 exec, exec, s[24:25]
	s_and_saveexec_b64 s[24:25], s[22:23]
	s_cbranch_execz .LBB301_89
.LBB301_88:
	v_bfe_u32 v6, v5, 24, 3
	v_ffbh_u32_e32 v8, v6
	v_min_u32_e32 v8, 32, v8
	v_subrev_u32_e32 v9, 28, v8
	v_bfe_u32 v7, v5, 27, 4
	v_lshlrev_b32_sdwa v9, v9, v5 dst_sel:DWORD dst_unused:UNUSED_PAD src0_sel:DWORD src1_sel:BYTE_3
	v_sub_u32_e32 v8, 29, v8
	v_and_b32_e32 v9, 7, v9
	v_cmp_eq_u32_e32 vcc, 0, v7
	v_cndmask_b32_e32 v7, v7, v8, vcc
	v_cndmask_b32_e32 v6, v6, v9, vcc
	v_mov_b32_e32 v9, 0x3b800000
	v_lshlrev_b32_e32 v6, 20, v6
	v_and_b32_e32 v8, 0x80000000, v5
	v_lshl_add_u32 v7, v7, 23, v9
	v_or3_b32 v6, v8, v7, v6
.LBB301_89:
	s_or_b64 exec, exec, s[24:25]
	v_cmp_neq_f32_e64 s[22:23], s28, v6
.LBB301_90:
	s_and_b64 vcc, exec, s[4:5]
	s_cbranch_vccnz .LBB301_359
.LBB301_91:
	s_and_b32 s28, s14, 0xff
	s_cmpk_lt_i32 s28, 0x80
	s_cbranch_scc1 .LBB301_99
; %bb.92:
	s_and_b32 s24, 0xffff, s28
	s_cmpk_eq_i32 s24, 0x80
	s_mov_b64 s[24:25], -1
	s_cbranch_scc0 .LBB301_94
; %bb.93:
	s_mov_b64 s[24:25], 0
.LBB301_94:
	s_mov_b32 s30, 0x7f800001
	s_branch .LBB301_101
.LBB301_95:
	s_movk_i32 s22, 0x80
	v_cmp_eq_u16_sdwa s[30:31], v5, s22 src0_sel:BYTE_3 src1_sel:DWORD
	s_mov_b64 s[22:23], -1
	s_and_saveexec_b64 s[26:27], s[30:31]
; %bb.96:
	s_xor_b64 s[22:23], exec, -1
; %bb.97:
	s_or_b64 exec, exec, s[26:27]
	s_and_b64 s[22:23], s[22:23], exec
	s_or_saveexec_b64 s[24:25], s[24:25]
	v_mov_b32_e32 v6, 0x7f800001
	s_xor_b64 exec, exec, s[24:25]
	s_cbranch_execz .LBB301_87
.LBB301_98:
	v_mov_b32_e32 v6, 0
	v_cmp_ne_u16_sdwa s[26:27], v5, v6 src0_sel:BYTE_3 src1_sel:DWORD
	s_andn2_b64 s[22:23], s[22:23], exec
	s_and_b64 s[26:27], s[26:27], exec
	s_or_b64 s[22:23], s[22:23], s[26:27]
	s_or_b64 exec, exec, s[24:25]
	s_and_saveexec_b64 s[24:25], s[22:23]
	s_cbranch_execnz .LBB301_88
	s_branch .LBB301_89
.LBB301_99:
	s_mov_b64 s[24:25], 0
	s_mov_b32 s30, 0x7f800001
	s_cbranch_execz .LBB301_101
; %bb.100:
	s_and_b32 s24, 0xffff, s28
	s_cmp_lg_u32 s24, 0
	s_mov_b32 s30, 0
	s_cselect_b64 s[24:25], -1, 0
.LBB301_101:
	s_andn2_b64 vcc, exec, s[24:25]
	s_cbranch_vccnz .LBB301_103
; %bb.102:
	s_mov_b32 s30, s33
.LBB301_103:
	s_movk_i32 s24, 0x7f
	s_waitcnt vmcnt(2)
	v_cmp_gt_i16_sdwa s[26:27], v4, s24 src0_sel:BYTE_0 src1_sel:DWORD
	s_mov_b64 s[24:25], 0
	s_and_saveexec_b64 s[28:29], s[26:27]
	s_xor_b64 s[26:27], exec, s[28:29]
	s_cbranch_execnz .LBB301_113
; %bb.104:
	s_or_saveexec_b64 s[26:27], s[26:27]
	v_mov_b32_e32 v5, 0x7f800001
	s_xor_b64 exec, exec, s[26:27]
	s_cbranch_execnz .LBB301_116
.LBB301_105:
	s_or_b64 exec, exec, s[26:27]
	s_and_saveexec_b64 s[26:27], s[24:25]
	s_cbranch_execz .LBB301_107
.LBB301_106:
	v_and_b32_e32 v5, 7, v4
	v_ffbh_u32_e32 v7, v5
	v_min_u32_e32 v7, 32, v7
	v_subrev_u32_e32 v8, 28, v7
	v_bfe_u32 v6, v4, 3, 4
	v_lshlrev_b32_e32 v8, v8, v4
	v_sub_u32_e32 v7, 29, v7
	v_and_b32_e32 v8, 7, v8
	v_cmp_eq_u32_e32 vcc, 0, v6
	v_cndmask_b32_e32 v6, v6, v7, vcc
	v_cndmask_b32_e32 v5, v5, v8, vcc
	v_lshlrev_b32_e32 v7, 24, v4
	v_mov_b32_e32 v8, 0x3b800000
	v_lshlrev_b32_e32 v5, 20, v5
	v_and_b32_e32 v7, 0x80000000, v7
	v_lshl_add_u32 v6, v6, 23, v8
	v_or3_b32 v5, v7, v6, v5
.LBB301_107:
	s_or_b64 exec, exec, s[26:27]
	v_cmp_neq_f32_e64 s[24:25], s30, v5
.LBB301_108:
	s_and_b64 vcc, exec, s[4:5]
	s_waitcnt vmcnt(2)
	v_lshrrev_b32_e32 v5, 8, v4
	s_cbranch_vccnz .LBB301_377
.LBB301_109:
	s_and_b32 s30, s14, 0xff
	s_cmpk_lt_i32 s30, 0x80
	s_cbranch_scc1 .LBB301_117
; %bb.110:
	s_and_b32 s26, 0xffff, s30
	s_cmpk_eq_i32 s26, 0x80
	s_mov_b64 s[26:27], -1
	s_cbranch_scc0 .LBB301_112
; %bb.111:
	s_mov_b64 s[26:27], 0
.LBB301_112:
	s_mov_b32 s34, 0x7f800001
	s_branch .LBB301_119
.LBB301_113:
	s_movk_i32 s24, 0x80
	v_cmp_eq_u16_sdwa s[34:35], v4, s24 src0_sel:BYTE_0 src1_sel:DWORD
	s_mov_b64 s[24:25], -1
	s_and_saveexec_b64 s[28:29], s[34:35]
; %bb.114:
	s_xor_b64 s[24:25], exec, -1
; %bb.115:
	s_or_b64 exec, exec, s[28:29]
	s_and_b64 s[24:25], s[24:25], exec
	s_or_saveexec_b64 s[26:27], s[26:27]
	v_mov_b32_e32 v5, 0x7f800001
	s_xor_b64 exec, exec, s[26:27]
	s_cbranch_execz .LBB301_105
.LBB301_116:
	v_mov_b32_e32 v5, 0
	v_cmp_ne_u16_sdwa s[28:29], v4, v5 src0_sel:BYTE_0 src1_sel:DWORD
	s_andn2_b64 s[24:25], s[24:25], exec
	s_and_b64 s[28:29], s[28:29], exec
	s_or_b64 s[24:25], s[24:25], s[28:29]
	s_or_b64 exec, exec, s[26:27]
	s_and_saveexec_b64 s[26:27], s[24:25]
	s_cbranch_execnz .LBB301_106
	s_branch .LBB301_107
.LBB301_117:
	s_mov_b64 s[26:27], 0
	s_mov_b32 s34, 0x7f800001
	s_cbranch_execz .LBB301_119
; %bb.118:
	s_and_b32 s26, 0xffff, s30
	s_cmp_lg_u32 s26, 0
	s_mov_b32 s34, 0
	s_cselect_b64 s[26:27], -1, 0
.LBB301_119:
	s_andn2_b64 vcc, exec, s[26:27]
	s_cbranch_vccnz .LBB301_121
; %bb.120:
	s_mov_b32 s34, s33
.LBB301_121:
	s_movk_i32 s26, 0x7f
	v_cmp_gt_i16_sdwa s[28:29], v5, s26 src0_sel:BYTE_0 src1_sel:DWORD
	s_mov_b64 s[26:27], 0
	s_and_saveexec_b64 s[30:31], s[28:29]
	s_xor_b64 s[28:29], exec, s[30:31]
	s_cbranch_execnz .LBB301_131
; %bb.122:
	s_or_saveexec_b64 s[28:29], s[28:29]
	v_mov_b32_e32 v6, 0x7f800001
	s_xor_b64 exec, exec, s[28:29]
	s_cbranch_execnz .LBB301_134
.LBB301_123:
	s_or_b64 exec, exec, s[28:29]
	s_and_saveexec_b64 s[28:29], s[26:27]
	s_cbranch_execz .LBB301_125
.LBB301_124:
	v_bfe_u32 v6, v4, 8, 3
	v_ffbh_u32_e32 v8, v6
	v_min_u32_e32 v8, 32, v8
	v_subrev_u32_e32 v9, 28, v8
	v_bfe_u32 v7, v4, 11, 4
	v_lshlrev_b32_e32 v9, v9, v5
	v_sub_u32_e32 v8, 29, v8
	v_and_b32_e32 v9, 7, v9
	v_cmp_eq_u32_e32 vcc, 0, v7
	v_cndmask_b32_e32 v7, v7, v8, vcc
	v_cndmask_b32_e32 v6, v6, v9, vcc
	v_lshlrev_b32_e32 v8, 24, v5
	v_mov_b32_e32 v9, 0x3b800000
	v_lshlrev_b32_e32 v6, 20, v6
	v_and_b32_e32 v8, 0x80000000, v8
	v_lshl_add_u32 v7, v7, 23, v9
	v_or3_b32 v6, v8, v7, v6
.LBB301_125:
	s_or_b64 exec, exec, s[28:29]
	v_cmp_neq_f32_e64 s[26:27], s34, v6
.LBB301_126:
	s_and_b64 vcc, exec, s[4:5]
	s_cbranch_vccnz .LBB301_395
.LBB301_127:
	s_and_b32 s34, s14, 0xff
	s_cmpk_lt_i32 s34, 0x80
	s_cbranch_scc1 .LBB301_135
; %bb.128:
	s_and_b32 s28, 0xffff, s34
	s_cmpk_eq_i32 s28, 0x80
	s_mov_b64 s[28:29], -1
	s_cbranch_scc0 .LBB301_130
; %bb.129:
	s_mov_b64 s[28:29], 0
.LBB301_130:
	s_mov_b32 s36, 0x7f800001
	s_branch .LBB301_137
.LBB301_131:
	s_movk_i32 s26, 0x80
	v_cmp_eq_u16_sdwa s[36:37], v5, s26 src0_sel:BYTE_0 src1_sel:DWORD
	s_mov_b64 s[26:27], -1
	s_and_saveexec_b64 s[30:31], s[36:37]
; %bb.132:
	s_xor_b64 s[26:27], exec, -1
; %bb.133:
	s_or_b64 exec, exec, s[30:31]
	s_and_b64 s[26:27], s[26:27], exec
	s_or_saveexec_b64 s[28:29], s[28:29]
	v_mov_b32_e32 v6, 0x7f800001
	s_xor_b64 exec, exec, s[28:29]
	s_cbranch_execz .LBB301_123
.LBB301_134:
	v_mov_b32_e32 v6, 0
	v_cmp_ne_u16_sdwa s[30:31], v5, v6 src0_sel:BYTE_0 src1_sel:DWORD
	s_andn2_b64 s[26:27], s[26:27], exec
	s_and_b64 s[30:31], s[30:31], exec
	s_or_b64 s[26:27], s[26:27], s[30:31]
	s_or_b64 exec, exec, s[28:29]
	s_and_saveexec_b64 s[28:29], s[26:27]
	s_cbranch_execnz .LBB301_124
	s_branch .LBB301_125
.LBB301_135:
	s_mov_b64 s[28:29], 0
	s_mov_b32 s36, 0x7f800001
	s_cbranch_execz .LBB301_137
; %bb.136:
	s_and_b32 s28, 0xffff, s34
	s_cmp_lg_u32 s28, 0
	s_mov_b32 s36, 0
	s_cselect_b64 s[28:29], -1, 0
.LBB301_137:
	s_andn2_b64 vcc, exec, s[28:29]
	s_cbranch_vccnz .LBB301_139
; %bb.138:
	s_mov_b32 s36, s33
.LBB301_139:
	s_movk_i32 s28, 0xff
	v_and_b32_sdwa v5, v4, s28 dst_sel:DWORD dst_unused:UNUSED_PAD src0_sel:WORD_1 src1_sel:DWORD
	s_movk_i32 s28, 0x7f
	v_cmp_lt_i16_e32 vcc, s28, v5
	s_mov_b64 s[28:29], 0
	s_and_saveexec_b64 s[30:31], vcc
	s_xor_b64 s[30:31], exec, s[30:31]
	s_cbranch_execnz .LBB301_149
; %bb.140:
	s_or_saveexec_b64 s[30:31], s[30:31]
	v_mov_b32_e32 v6, 0x7f800001
	s_xor_b64 exec, exec, s[30:31]
	s_cbranch_execnz .LBB301_152
.LBB301_141:
	s_or_b64 exec, exec, s[30:31]
	s_and_saveexec_b64 s[30:31], s[28:29]
	s_cbranch_execz .LBB301_143
.LBB301_142:
	v_bfe_u32 v5, v4, 16, 3
	v_ffbh_u32_e32 v7, v5
	v_min_u32_e32 v7, 32, v7
	v_bfe_u32 v6, v4, 19, 4
	v_subrev_u32_e32 v8, 28, v7
	v_lshlrev_b32_sdwa v8, v8, v4 dst_sel:DWORD dst_unused:UNUSED_PAD src0_sel:DWORD src1_sel:WORD_1
	v_sub_u32_e32 v7, 29, v7
	v_cmp_eq_u32_e32 vcc, 0, v6
	v_and_b32_e32 v8, 7, v8
	v_cndmask_b32_e32 v6, v6, v7, vcc
	v_mov_b32_e32 v7, 24
	v_cndmask_b32_e32 v5, v5, v8, vcc
	v_lshlrev_b32_sdwa v7, v7, v4 dst_sel:DWORD dst_unused:UNUSED_PAD src0_sel:DWORD src1_sel:WORD_1
	v_mov_b32_e32 v8, 0x3b800000
	v_lshlrev_b32_e32 v5, 20, v5
	v_and_b32_e32 v7, 0x80000000, v7
	v_lshl_add_u32 v6, v6, 23, v8
	v_or3_b32 v6, v7, v6, v5
.LBB301_143:
	s_or_b64 exec, exec, s[30:31]
	v_cmp_neq_f32_e64 s[28:29], s36, v6
.LBB301_144:
	s_and_b64 vcc, exec, s[4:5]
	s_cbranch_vccnz .LBB301_413
.LBB301_145:
	s_and_b32 s36, s14, 0xff
	s_cmpk_lt_i32 s36, 0x80
	s_cbranch_scc1 .LBB301_153
; %bb.146:
	s_and_b32 s30, 0xffff, s36
	s_cmpk_eq_i32 s30, 0x80
	s_mov_b64 s[30:31], -1
	s_cbranch_scc0 .LBB301_148
; %bb.147:
	s_mov_b64 s[30:31], 0
.LBB301_148:
	s_mov_b32 s38, 0x7f800001
	s_branch .LBB301_155
.LBB301_149:
	s_movk_i32 s28, 0x80
	v_cmp_eq_u16_e32 vcc, s28, v5
	s_mov_b64 s[28:29], -1
	s_and_saveexec_b64 s[34:35], vcc
; %bb.150:
	s_xor_b64 s[28:29], exec, -1
; %bb.151:
	s_or_b64 exec, exec, s[34:35]
	s_and_b64 s[28:29], s[28:29], exec
                                        ; implicit-def: $vgpr5
	s_or_saveexec_b64 s[30:31], s[30:31]
	v_mov_b32_e32 v6, 0x7f800001
	s_xor_b64 exec, exec, s[30:31]
	s_cbranch_execz .LBB301_141
.LBB301_152:
	v_cmp_ne_u16_e32 vcc, 0, v5
	s_andn2_b64 s[28:29], s[28:29], exec
	s_and_b64 s[34:35], vcc, exec
	v_mov_b32_e32 v6, 0
	s_or_b64 s[28:29], s[28:29], s[34:35]
	s_or_b64 exec, exec, s[30:31]
	s_and_saveexec_b64 s[30:31], s[28:29]
	s_cbranch_execnz .LBB301_142
	s_branch .LBB301_143
.LBB301_153:
	s_mov_b64 s[30:31], 0
	s_mov_b32 s38, 0x7f800001
	s_cbranch_execz .LBB301_155
; %bb.154:
	s_and_b32 s30, 0xffff, s36
	s_cmp_lg_u32 s30, 0
	s_mov_b32 s38, 0
	s_cselect_b64 s[30:31], -1, 0
.LBB301_155:
	s_andn2_b64 vcc, exec, s[30:31]
	s_cbranch_vccnz .LBB301_157
; %bb.156:
	s_mov_b32 s38, s33
.LBB301_157:
	s_movk_i32 s30, 0x7f
	v_cmp_gt_i16_sdwa s[34:35], v4, s30 src0_sel:BYTE_3 src1_sel:DWORD
	s_mov_b64 s[30:31], 0
	s_and_saveexec_b64 s[36:37], s[34:35]
	s_xor_b64 s[34:35], exec, s[36:37]
	s_cbranch_execnz .LBB301_167
; %bb.158:
	s_or_saveexec_b64 s[34:35], s[34:35]
	v_mov_b32_e32 v5, 0x7f800001
	s_xor_b64 exec, exec, s[34:35]
	s_cbranch_execnz .LBB301_170
.LBB301_159:
	s_or_b64 exec, exec, s[34:35]
	s_and_saveexec_b64 s[34:35], s[30:31]
	s_cbranch_execz .LBB301_161
.LBB301_160:
	v_bfe_u32 v5, v4, 24, 3
	v_ffbh_u32_e32 v7, v5
	v_min_u32_e32 v7, 32, v7
	v_subrev_u32_e32 v8, 28, v7
	v_bfe_u32 v6, v4, 27, 4
	v_lshlrev_b32_sdwa v8, v8, v4 dst_sel:DWORD dst_unused:UNUSED_PAD src0_sel:DWORD src1_sel:BYTE_3
	v_sub_u32_e32 v7, 29, v7
	v_and_b32_e32 v8, 7, v8
	v_cmp_eq_u32_e32 vcc, 0, v6
	v_cndmask_b32_e32 v6, v6, v7, vcc
	v_cndmask_b32_e32 v5, v5, v8, vcc
	v_mov_b32_e32 v8, 0x3b800000
	v_lshlrev_b32_e32 v5, 20, v5
	v_and_b32_e32 v7, 0x80000000, v4
	v_lshl_add_u32 v6, v6, 23, v8
	v_or3_b32 v5, v7, v6, v5
.LBB301_161:
	s_or_b64 exec, exec, s[34:35]
	v_cmp_neq_f32_e64 s[30:31], s38, v5
.LBB301_162:
	s_and_b64 vcc, exec, s[4:5]
	s_cbranch_vccnz .LBB301_431
.LBB301_163:
	s_and_b32 s38, s14, 0xff
	s_cmpk_lt_i32 s38, 0x80
	s_cbranch_scc1 .LBB301_171
; %bb.164:
	s_and_b32 s34, 0xffff, s38
	s_cmpk_eq_i32 s34, 0x80
	s_mov_b64 s[34:35], -1
	s_cbranch_scc0 .LBB301_166
; %bb.165:
	s_mov_b64 s[34:35], 0
.LBB301_166:
	s_mov_b32 s40, 0x7f800001
	s_branch .LBB301_173
.LBB301_167:
	s_movk_i32 s30, 0x80
	v_cmp_eq_u16_sdwa s[40:41], v4, s30 src0_sel:BYTE_3 src1_sel:DWORD
	s_mov_b64 s[30:31], -1
	s_and_saveexec_b64 s[36:37], s[40:41]
; %bb.168:
	s_xor_b64 s[30:31], exec, -1
; %bb.169:
	s_or_b64 exec, exec, s[36:37]
	s_and_b64 s[30:31], s[30:31], exec
	s_or_saveexec_b64 s[34:35], s[34:35]
	v_mov_b32_e32 v5, 0x7f800001
	s_xor_b64 exec, exec, s[34:35]
	s_cbranch_execz .LBB301_159
.LBB301_170:
	v_mov_b32_e32 v5, 0
	v_cmp_ne_u16_sdwa s[36:37], v4, v5 src0_sel:BYTE_3 src1_sel:DWORD
	s_andn2_b64 s[30:31], s[30:31], exec
	s_and_b64 s[36:37], s[36:37], exec
	s_or_b64 s[30:31], s[30:31], s[36:37]
	s_or_b64 exec, exec, s[34:35]
	s_and_saveexec_b64 s[34:35], s[30:31]
	s_cbranch_execnz .LBB301_160
	s_branch .LBB301_161
.LBB301_171:
	s_mov_b64 s[34:35], 0
	s_mov_b32 s40, 0x7f800001
	s_cbranch_execz .LBB301_173
; %bb.172:
	s_and_b32 s34, 0xffff, s38
	s_cmp_lg_u32 s34, 0
	s_mov_b32 s40, 0
	s_cselect_b64 s[34:35], -1, 0
.LBB301_173:
	s_andn2_b64 vcc, exec, s[34:35]
	s_cbranch_vccnz .LBB301_175
; %bb.174:
	s_mov_b32 s40, s33
.LBB301_175:
	s_movk_i32 s34, 0x7f
	s_waitcnt vmcnt(1)
	v_cmp_gt_i16_sdwa s[36:37], v3, s34 src0_sel:BYTE_0 src1_sel:DWORD
	s_mov_b64 s[34:35], 0
	s_and_saveexec_b64 s[38:39], s[36:37]
	s_xor_b64 s[36:37], exec, s[38:39]
	s_cbranch_execnz .LBB301_185
; %bb.176:
	s_or_saveexec_b64 s[36:37], s[36:37]
	v_mov_b32_e32 v4, 0x7f800001
	s_xor_b64 exec, exec, s[36:37]
	s_cbranch_execnz .LBB301_188
.LBB301_177:
	s_or_b64 exec, exec, s[36:37]
	s_and_saveexec_b64 s[36:37], s[34:35]
	s_cbranch_execz .LBB301_179
.LBB301_178:
	v_and_b32_e32 v4, 7, v3
	v_ffbh_u32_e32 v6, v4
	v_min_u32_e32 v6, 32, v6
	v_subrev_u32_e32 v7, 28, v6
	v_bfe_u32 v5, v3, 3, 4
	v_lshlrev_b32_e32 v7, v7, v3
	v_sub_u32_e32 v6, 29, v6
	v_and_b32_e32 v7, 7, v7
	v_cmp_eq_u32_e32 vcc, 0, v5
	v_cndmask_b32_e32 v5, v5, v6, vcc
	v_cndmask_b32_e32 v4, v4, v7, vcc
	v_lshlrev_b32_e32 v6, 24, v3
	v_mov_b32_e32 v7, 0x3b800000
	v_lshlrev_b32_e32 v4, 20, v4
	v_and_b32_e32 v6, 0x80000000, v6
	v_lshl_add_u32 v5, v5, 23, v7
	v_or3_b32 v4, v6, v5, v4
.LBB301_179:
	s_or_b64 exec, exec, s[36:37]
	v_cmp_neq_f32_e64 s[34:35], s40, v4
.LBB301_180:
	s_and_b64 vcc, exec, s[4:5]
	s_waitcnt vmcnt(1)
	v_lshrrev_b32_e32 v4, 8, v3
	s_cbranch_vccnz .LBB301_449
.LBB301_181:
	s_and_b32 s40, s14, 0xff
	s_cmpk_lt_i32 s40, 0x80
	s_cbranch_scc1 .LBB301_189
; %bb.182:
	s_and_b32 s36, 0xffff, s40
	s_cmpk_eq_i32 s36, 0x80
	s_mov_b64 s[36:37], -1
	s_cbranch_scc0 .LBB301_184
; %bb.183:
	s_mov_b64 s[36:37], 0
.LBB301_184:
	s_mov_b32 s42, 0x7f800001
	s_branch .LBB301_191
.LBB301_185:
	s_movk_i32 s34, 0x80
	v_cmp_eq_u16_sdwa s[42:43], v3, s34 src0_sel:BYTE_0 src1_sel:DWORD
	s_mov_b64 s[34:35], -1
	s_and_saveexec_b64 s[38:39], s[42:43]
; %bb.186:
	s_xor_b64 s[34:35], exec, -1
; %bb.187:
	s_or_b64 exec, exec, s[38:39]
	s_and_b64 s[34:35], s[34:35], exec
	s_or_saveexec_b64 s[36:37], s[36:37]
	v_mov_b32_e32 v4, 0x7f800001
	s_xor_b64 exec, exec, s[36:37]
	s_cbranch_execz .LBB301_177
.LBB301_188:
	v_mov_b32_e32 v4, 0
	v_cmp_ne_u16_sdwa s[38:39], v3, v4 src0_sel:BYTE_0 src1_sel:DWORD
	s_andn2_b64 s[34:35], s[34:35], exec
	s_and_b64 s[38:39], s[38:39], exec
	s_or_b64 s[34:35], s[34:35], s[38:39]
	s_or_b64 exec, exec, s[36:37]
	s_and_saveexec_b64 s[36:37], s[34:35]
	s_cbranch_execnz .LBB301_178
	s_branch .LBB301_179
.LBB301_189:
	s_mov_b64 s[36:37], 0
	s_mov_b32 s42, 0x7f800001
	s_cbranch_execz .LBB301_191
; %bb.190:
	s_and_b32 s36, 0xffff, s40
	s_cmp_lg_u32 s36, 0
	s_mov_b32 s42, 0
	s_cselect_b64 s[36:37], -1, 0
.LBB301_191:
	s_andn2_b64 vcc, exec, s[36:37]
	s_cbranch_vccnz .LBB301_193
; %bb.192:
	s_mov_b32 s42, s33
.LBB301_193:
	s_movk_i32 s36, 0x7f
	v_cmp_gt_i16_sdwa s[38:39], v4, s36 src0_sel:BYTE_0 src1_sel:DWORD
	s_mov_b64 s[36:37], 0
	s_and_saveexec_b64 s[40:41], s[38:39]
	s_xor_b64 s[38:39], exec, s[40:41]
	s_cbranch_execnz .LBB301_203
; %bb.194:
	s_or_saveexec_b64 s[38:39], s[38:39]
	v_mov_b32_e32 v5, 0x7f800001
	s_xor_b64 exec, exec, s[38:39]
	s_cbranch_execnz .LBB301_206
.LBB301_195:
	s_or_b64 exec, exec, s[38:39]
	s_and_saveexec_b64 s[38:39], s[36:37]
	s_cbranch_execz .LBB301_197
.LBB301_196:
	v_bfe_u32 v5, v3, 8, 3
	v_ffbh_u32_e32 v7, v5
	v_min_u32_e32 v7, 32, v7
	v_subrev_u32_e32 v8, 28, v7
	v_bfe_u32 v6, v3, 11, 4
	v_lshlrev_b32_e32 v8, v8, v4
	v_sub_u32_e32 v7, 29, v7
	v_and_b32_e32 v8, 7, v8
	v_cmp_eq_u32_e32 vcc, 0, v6
	v_cndmask_b32_e32 v6, v6, v7, vcc
	v_cndmask_b32_e32 v5, v5, v8, vcc
	v_lshlrev_b32_e32 v7, 24, v4
	v_mov_b32_e32 v8, 0x3b800000
	v_lshlrev_b32_e32 v5, 20, v5
	v_and_b32_e32 v7, 0x80000000, v7
	v_lshl_add_u32 v6, v6, 23, v8
	v_or3_b32 v5, v7, v6, v5
.LBB301_197:
	s_or_b64 exec, exec, s[38:39]
	v_cmp_neq_f32_e64 s[36:37], s42, v5
.LBB301_198:
	s_and_b64 vcc, exec, s[4:5]
	s_cbranch_vccnz .LBB301_467
.LBB301_199:
	s_and_b32 s42, s14, 0xff
	s_cmpk_lt_i32 s42, 0x80
	s_cbranch_scc1 .LBB301_207
; %bb.200:
	s_and_b32 s38, 0xffff, s42
	s_cmpk_eq_i32 s38, 0x80
	s_mov_b64 s[38:39], -1
	s_cbranch_scc0 .LBB301_202
; %bb.201:
	s_mov_b64 s[38:39], 0
.LBB301_202:
	s_mov_b32 s44, 0x7f800001
	s_branch .LBB301_209
.LBB301_203:
	s_movk_i32 s36, 0x80
	v_cmp_eq_u16_sdwa s[44:45], v4, s36 src0_sel:BYTE_0 src1_sel:DWORD
	s_mov_b64 s[36:37], -1
	s_and_saveexec_b64 s[40:41], s[44:45]
; %bb.204:
	s_xor_b64 s[36:37], exec, -1
; %bb.205:
	s_or_b64 exec, exec, s[40:41]
	s_and_b64 s[36:37], s[36:37], exec
	s_or_saveexec_b64 s[38:39], s[38:39]
	v_mov_b32_e32 v5, 0x7f800001
	s_xor_b64 exec, exec, s[38:39]
	s_cbranch_execz .LBB301_195
.LBB301_206:
	v_mov_b32_e32 v5, 0
	v_cmp_ne_u16_sdwa s[40:41], v4, v5 src0_sel:BYTE_0 src1_sel:DWORD
	s_andn2_b64 s[36:37], s[36:37], exec
	s_and_b64 s[40:41], s[40:41], exec
	s_or_b64 s[36:37], s[36:37], s[40:41]
	s_or_b64 exec, exec, s[38:39]
	s_and_saveexec_b64 s[38:39], s[36:37]
	s_cbranch_execnz .LBB301_196
	s_branch .LBB301_197
.LBB301_207:
	s_mov_b64 s[38:39], 0
	s_mov_b32 s44, 0x7f800001
	s_cbranch_execz .LBB301_209
; %bb.208:
	s_and_b32 s38, 0xffff, s42
	s_cmp_lg_u32 s38, 0
	s_mov_b32 s44, 0
	s_cselect_b64 s[38:39], -1, 0
.LBB301_209:
	s_andn2_b64 vcc, exec, s[38:39]
	s_cbranch_vccnz .LBB301_211
; %bb.210:
	s_mov_b32 s44, s33
.LBB301_211:
	s_movk_i32 s38, 0xff
	v_and_b32_sdwa v4, v3, s38 dst_sel:DWORD dst_unused:UNUSED_PAD src0_sel:WORD_1 src1_sel:DWORD
	s_movk_i32 s38, 0x7f
	v_cmp_lt_i16_e32 vcc, s38, v4
	s_mov_b64 s[38:39], 0
	s_and_saveexec_b64 s[40:41], vcc
	s_xor_b64 s[40:41], exec, s[40:41]
	s_cbranch_execnz .LBB301_221
; %bb.212:
	s_or_saveexec_b64 s[40:41], s[40:41]
	v_mov_b32_e32 v5, 0x7f800001
	s_xor_b64 exec, exec, s[40:41]
	s_cbranch_execnz .LBB301_224
.LBB301_213:
	s_or_b64 exec, exec, s[40:41]
	s_and_saveexec_b64 s[40:41], s[38:39]
	s_cbranch_execz .LBB301_215
.LBB301_214:
	v_bfe_u32 v4, v3, 16, 3
	v_ffbh_u32_e32 v6, v4
	v_min_u32_e32 v6, 32, v6
	v_bfe_u32 v5, v3, 19, 4
	v_subrev_u32_e32 v7, 28, v6
	v_lshlrev_b32_sdwa v7, v7, v3 dst_sel:DWORD dst_unused:UNUSED_PAD src0_sel:DWORD src1_sel:WORD_1
	v_sub_u32_e32 v6, 29, v6
	v_cmp_eq_u32_e32 vcc, 0, v5
	v_and_b32_e32 v7, 7, v7
	v_cndmask_b32_e32 v5, v5, v6, vcc
	v_mov_b32_e32 v6, 24
	v_cndmask_b32_e32 v4, v4, v7, vcc
	v_lshlrev_b32_sdwa v6, v6, v3 dst_sel:DWORD dst_unused:UNUSED_PAD src0_sel:DWORD src1_sel:WORD_1
	v_mov_b32_e32 v7, 0x3b800000
	v_lshlrev_b32_e32 v4, 20, v4
	v_and_b32_e32 v6, 0x80000000, v6
	v_lshl_add_u32 v5, v5, 23, v7
	v_or3_b32 v5, v6, v5, v4
.LBB301_215:
	s_or_b64 exec, exec, s[40:41]
	v_cmp_neq_f32_e64 s[38:39], s44, v5
.LBB301_216:
	s_and_b64 vcc, exec, s[4:5]
	s_cbranch_vccnz .LBB301_485
.LBB301_217:
	s_and_b32 s44, s14, 0xff
	s_cmpk_lt_i32 s44, 0x80
	s_cbranch_scc1 .LBB301_225
; %bb.218:
	s_and_b32 s40, 0xffff, s44
	s_cmpk_eq_i32 s40, 0x80
	s_mov_b64 s[40:41], -1
	s_cbranch_scc0 .LBB301_220
; %bb.219:
	s_mov_b64 s[40:41], 0
.LBB301_220:
	s_mov_b32 s46, 0x7f800001
	s_branch .LBB301_227
.LBB301_221:
	s_movk_i32 s38, 0x80
	v_cmp_eq_u16_e32 vcc, s38, v4
	s_mov_b64 s[38:39], -1
	s_and_saveexec_b64 s[42:43], vcc
; %bb.222:
	s_xor_b64 s[38:39], exec, -1
; %bb.223:
	s_or_b64 exec, exec, s[42:43]
	s_and_b64 s[38:39], s[38:39], exec
                                        ; implicit-def: $vgpr4
	s_or_saveexec_b64 s[40:41], s[40:41]
	v_mov_b32_e32 v5, 0x7f800001
	s_xor_b64 exec, exec, s[40:41]
	s_cbranch_execz .LBB301_213
.LBB301_224:
	v_cmp_ne_u16_e32 vcc, 0, v4
	s_andn2_b64 s[38:39], s[38:39], exec
	s_and_b64 s[42:43], vcc, exec
	v_mov_b32_e32 v5, 0
	s_or_b64 s[38:39], s[38:39], s[42:43]
	s_or_b64 exec, exec, s[40:41]
	s_and_saveexec_b64 s[40:41], s[38:39]
	s_cbranch_execnz .LBB301_214
	s_branch .LBB301_215
.LBB301_225:
	s_mov_b64 s[40:41], 0
	s_mov_b32 s46, 0x7f800001
	s_cbranch_execz .LBB301_227
; %bb.226:
	s_and_b32 s40, 0xffff, s44
	s_cmp_lg_u32 s40, 0
	s_mov_b32 s46, 0
	s_cselect_b64 s[40:41], -1, 0
.LBB301_227:
	s_andn2_b64 vcc, exec, s[40:41]
	s_cbranch_vccnz .LBB301_229
; %bb.228:
	s_mov_b32 s46, s33
.LBB301_229:
	s_movk_i32 s40, 0x7f
	v_cmp_gt_i16_sdwa s[42:43], v3, s40 src0_sel:BYTE_3 src1_sel:DWORD
	s_mov_b64 s[40:41], 0
	s_and_saveexec_b64 s[44:45], s[42:43]
	s_xor_b64 s[42:43], exec, s[44:45]
	s_cbranch_execnz .LBB301_239
; %bb.230:
	s_or_saveexec_b64 s[42:43], s[42:43]
	v_mov_b32_e32 v4, 0x7f800001
	s_xor_b64 exec, exec, s[42:43]
	s_cbranch_execnz .LBB301_242
.LBB301_231:
	s_or_b64 exec, exec, s[42:43]
	s_and_saveexec_b64 s[42:43], s[40:41]
	s_cbranch_execz .LBB301_233
.LBB301_232:
	v_bfe_u32 v4, v3, 24, 3
	v_ffbh_u32_e32 v6, v4
	v_min_u32_e32 v6, 32, v6
	v_subrev_u32_e32 v7, 28, v6
	v_bfe_u32 v5, v3, 27, 4
	v_lshlrev_b32_sdwa v7, v7, v3 dst_sel:DWORD dst_unused:UNUSED_PAD src0_sel:DWORD src1_sel:BYTE_3
	v_sub_u32_e32 v6, 29, v6
	v_and_b32_e32 v7, 7, v7
	v_cmp_eq_u32_e32 vcc, 0, v5
	v_cndmask_b32_e32 v5, v5, v6, vcc
	v_cndmask_b32_e32 v4, v4, v7, vcc
	v_mov_b32_e32 v7, 0x3b800000
	v_lshlrev_b32_e32 v4, 20, v4
	v_and_b32_e32 v6, 0x80000000, v3
	v_lshl_add_u32 v5, v5, 23, v7
	v_or3_b32 v4, v6, v5, v4
.LBB301_233:
	s_or_b64 exec, exec, s[42:43]
	v_cmp_neq_f32_e64 s[40:41], s46, v4
.LBB301_234:
	s_and_b64 vcc, exec, s[4:5]
	s_cbranch_vccnz .LBB301_503
.LBB301_235:
	s_and_b32 s46, s14, 0xff
	s_cmpk_lt_i32 s46, 0x80
	s_cbranch_scc1 .LBB301_243
; %bb.236:
	s_and_b32 s42, 0xffff, s46
	s_cmpk_eq_i32 s42, 0x80
	s_mov_b64 s[42:43], -1
	s_cbranch_scc0 .LBB301_238
; %bb.237:
	s_mov_b64 s[42:43], 0
.LBB301_238:
	s_mov_b32 s48, 0x7f800001
	s_branch .LBB301_245
.LBB301_239:
	s_movk_i32 s40, 0x80
	v_cmp_eq_u16_sdwa s[48:49], v3, s40 src0_sel:BYTE_3 src1_sel:DWORD
	s_mov_b64 s[40:41], -1
	s_and_saveexec_b64 s[44:45], s[48:49]
; %bb.240:
	s_xor_b64 s[40:41], exec, -1
; %bb.241:
	s_or_b64 exec, exec, s[44:45]
	s_and_b64 s[40:41], s[40:41], exec
	s_or_saveexec_b64 s[42:43], s[42:43]
	v_mov_b32_e32 v4, 0x7f800001
	s_xor_b64 exec, exec, s[42:43]
	s_cbranch_execz .LBB301_231
.LBB301_242:
	v_mov_b32_e32 v4, 0
	v_cmp_ne_u16_sdwa s[44:45], v3, v4 src0_sel:BYTE_3 src1_sel:DWORD
	s_andn2_b64 s[40:41], s[40:41], exec
	s_and_b64 s[44:45], s[44:45], exec
	s_or_b64 s[40:41], s[40:41], s[44:45]
	s_or_b64 exec, exec, s[42:43]
	s_and_saveexec_b64 s[42:43], s[40:41]
	s_cbranch_execnz .LBB301_232
	s_branch .LBB301_233
.LBB301_243:
	s_mov_b64 s[42:43], 0
	s_mov_b32 s48, 0x7f800001
	s_cbranch_execz .LBB301_245
; %bb.244:
	s_and_b32 s42, 0xffff, s46
	s_cmp_lg_u32 s42, 0
	s_mov_b32 s48, 0
	s_cselect_b64 s[42:43], -1, 0
.LBB301_245:
	s_andn2_b64 vcc, exec, s[42:43]
	s_cbranch_vccnz .LBB301_247
; %bb.246:
	s_mov_b32 s48, s33
.LBB301_247:
	s_movk_i32 s42, 0x7f
	s_waitcnt vmcnt(0)
	v_cmp_gt_i16_sdwa s[44:45], v2, s42 src0_sel:BYTE_0 src1_sel:DWORD
	s_mov_b64 s[42:43], 0
	s_and_saveexec_b64 s[46:47], s[44:45]
	s_xor_b64 s[44:45], exec, s[46:47]
	s_cbranch_execnz .LBB301_257
; %bb.248:
	s_or_saveexec_b64 s[44:45], s[44:45]
	v_mov_b32_e32 v3, 0x7f800001
	s_xor_b64 exec, exec, s[44:45]
	s_cbranch_execnz .LBB301_260
.LBB301_249:
	s_or_b64 exec, exec, s[44:45]
	s_and_saveexec_b64 s[44:45], s[42:43]
	s_cbranch_execz .LBB301_251
.LBB301_250:
	v_and_b32_e32 v3, 7, v2
	v_ffbh_u32_e32 v5, v3
	v_min_u32_e32 v5, 32, v5
	v_subrev_u32_e32 v6, 28, v5
	v_bfe_u32 v4, v2, 3, 4
	v_lshlrev_b32_e32 v6, v6, v2
	v_sub_u32_e32 v5, 29, v5
	v_and_b32_e32 v6, 7, v6
	v_cmp_eq_u32_e32 vcc, 0, v4
	v_cndmask_b32_e32 v4, v4, v5, vcc
	v_cndmask_b32_e32 v3, v3, v6, vcc
	v_lshlrev_b32_e32 v5, 24, v2
	v_mov_b32_e32 v6, 0x3b800000
	v_lshlrev_b32_e32 v3, 20, v3
	v_and_b32_e32 v5, 0x80000000, v5
	v_lshl_add_u32 v4, v4, 23, v6
	v_or3_b32 v3, v5, v4, v3
.LBB301_251:
	s_or_b64 exec, exec, s[44:45]
	v_cmp_neq_f32_e64 s[42:43], s48, v3
.LBB301_252:
	s_and_b64 vcc, exec, s[4:5]
	s_waitcnt vmcnt(0)
	v_lshrrev_b32_e32 v3, 8, v2
	s_cbranch_vccnz .LBB301_521
.LBB301_253:
	s_and_b32 s48, s14, 0xff
	s_cmpk_lt_i32 s48, 0x80
	s_cbranch_scc1 .LBB301_261
; %bb.254:
	s_and_b32 s44, 0xffff, s48
	s_cmpk_eq_i32 s44, 0x80
	s_mov_b64 s[44:45], -1
	s_cbranch_scc0 .LBB301_256
; %bb.255:
	s_mov_b64 s[44:45], 0
.LBB301_256:
	s_mov_b32 s50, 0x7f800001
	s_branch .LBB301_263
.LBB301_257:
	s_movk_i32 s42, 0x80
	v_cmp_eq_u16_sdwa s[50:51], v2, s42 src0_sel:BYTE_0 src1_sel:DWORD
	s_mov_b64 s[42:43], -1
	s_and_saveexec_b64 s[46:47], s[50:51]
; %bb.258:
	s_xor_b64 s[42:43], exec, -1
; %bb.259:
	s_or_b64 exec, exec, s[46:47]
	s_and_b64 s[42:43], s[42:43], exec
	s_or_saveexec_b64 s[44:45], s[44:45]
	v_mov_b32_e32 v3, 0x7f800001
	s_xor_b64 exec, exec, s[44:45]
	s_cbranch_execz .LBB301_249
.LBB301_260:
	v_mov_b32_e32 v3, 0
	v_cmp_ne_u16_sdwa s[46:47], v2, v3 src0_sel:BYTE_0 src1_sel:DWORD
	s_andn2_b64 s[42:43], s[42:43], exec
	s_and_b64 s[46:47], s[46:47], exec
	s_or_b64 s[42:43], s[42:43], s[46:47]
	s_or_b64 exec, exec, s[44:45]
	s_and_saveexec_b64 s[44:45], s[42:43]
	s_cbranch_execnz .LBB301_250
	s_branch .LBB301_251
.LBB301_261:
	s_mov_b64 s[44:45], 0
	s_mov_b32 s50, 0x7f800001
	s_cbranch_execz .LBB301_263
; %bb.262:
	s_and_b32 s44, 0xffff, s48
	s_cmp_lg_u32 s44, 0
	s_mov_b32 s50, 0
	s_cselect_b64 s[44:45], -1, 0
.LBB301_263:
	s_andn2_b64 vcc, exec, s[44:45]
	s_cbranch_vccnz .LBB301_265
; %bb.264:
	s_mov_b32 s50, s33
.LBB301_265:
	s_movk_i32 s44, 0x7f
	v_cmp_gt_i16_sdwa s[46:47], v3, s44 src0_sel:BYTE_0 src1_sel:DWORD
	s_mov_b64 s[44:45], 0
	s_and_saveexec_b64 s[48:49], s[46:47]
	s_xor_b64 s[46:47], exec, s[48:49]
	s_cbranch_execnz .LBB301_275
; %bb.266:
	s_or_saveexec_b64 s[46:47], s[46:47]
	v_mov_b32_e32 v4, 0x7f800001
	s_xor_b64 exec, exec, s[46:47]
	s_cbranch_execnz .LBB301_278
.LBB301_267:
	s_or_b64 exec, exec, s[46:47]
	s_and_saveexec_b64 s[46:47], s[44:45]
	s_cbranch_execz .LBB301_269
.LBB301_268:
	v_bfe_u32 v4, v2, 8, 3
	v_ffbh_u32_e32 v6, v4
	v_min_u32_e32 v6, 32, v6
	v_subrev_u32_e32 v7, 28, v6
	v_bfe_u32 v5, v2, 11, 4
	v_lshlrev_b32_e32 v7, v7, v3
	v_sub_u32_e32 v6, 29, v6
	v_and_b32_e32 v7, 7, v7
	v_cmp_eq_u32_e32 vcc, 0, v5
	v_cndmask_b32_e32 v5, v5, v6, vcc
	v_cndmask_b32_e32 v4, v4, v7, vcc
	v_lshlrev_b32_e32 v6, 24, v3
	v_mov_b32_e32 v7, 0x3b800000
	v_lshlrev_b32_e32 v4, 20, v4
	v_and_b32_e32 v6, 0x80000000, v6
	v_lshl_add_u32 v5, v5, 23, v7
	v_or3_b32 v4, v6, v5, v4
.LBB301_269:
	s_or_b64 exec, exec, s[46:47]
	v_cmp_neq_f32_e64 s[44:45], s50, v4
.LBB301_270:
	s_and_b64 vcc, exec, s[4:5]
	s_cbranch_vccnz .LBB301_539
.LBB301_271:
	s_and_b32 s50, s14, 0xff
	s_cmpk_lt_i32 s50, 0x80
	s_cbranch_scc1 .LBB301_279
; %bb.272:
	s_and_b32 s46, 0xffff, s50
	s_cmpk_eq_i32 s46, 0x80
	s_mov_b64 s[46:47], -1
	s_cbranch_scc0 .LBB301_274
; %bb.273:
	s_mov_b64 s[46:47], 0
.LBB301_274:
	s_mov_b32 s52, 0x7f800001
	s_branch .LBB301_281
.LBB301_275:
	s_movk_i32 s44, 0x80
	v_cmp_eq_u16_sdwa s[52:53], v3, s44 src0_sel:BYTE_0 src1_sel:DWORD
	s_mov_b64 s[44:45], -1
	s_and_saveexec_b64 s[48:49], s[52:53]
; %bb.276:
	s_xor_b64 s[44:45], exec, -1
; %bb.277:
	s_or_b64 exec, exec, s[48:49]
	s_and_b64 s[44:45], s[44:45], exec
	s_or_saveexec_b64 s[46:47], s[46:47]
	v_mov_b32_e32 v4, 0x7f800001
	s_xor_b64 exec, exec, s[46:47]
	s_cbranch_execz .LBB301_267
.LBB301_278:
	v_mov_b32_e32 v4, 0
	v_cmp_ne_u16_sdwa s[48:49], v3, v4 src0_sel:BYTE_0 src1_sel:DWORD
	s_andn2_b64 s[44:45], s[44:45], exec
	s_and_b64 s[48:49], s[48:49], exec
	s_or_b64 s[44:45], s[44:45], s[48:49]
	s_or_b64 exec, exec, s[46:47]
	s_and_saveexec_b64 s[46:47], s[44:45]
	s_cbranch_execnz .LBB301_268
	s_branch .LBB301_269
.LBB301_279:
	s_mov_b64 s[46:47], 0
	s_mov_b32 s52, 0x7f800001
	s_cbranch_execz .LBB301_281
; %bb.280:
	s_and_b32 s46, 0xffff, s50
	s_cmp_lg_u32 s46, 0
	s_mov_b32 s52, 0
	s_cselect_b64 s[46:47], -1, 0
.LBB301_281:
	s_andn2_b64 vcc, exec, s[46:47]
	s_cbranch_vccnz .LBB301_283
; %bb.282:
	s_mov_b32 s52, s33
.LBB301_283:
	s_movk_i32 s46, 0xff
	v_and_b32_sdwa v3, v2, s46 dst_sel:DWORD dst_unused:UNUSED_PAD src0_sel:WORD_1 src1_sel:DWORD
	s_movk_i32 s46, 0x7f
	v_cmp_lt_i16_e32 vcc, s46, v3
	s_mov_b64 s[46:47], 0
	s_and_saveexec_b64 s[48:49], vcc
	s_xor_b64 s[48:49], exec, s[48:49]
	s_cbranch_execnz .LBB301_293
; %bb.284:
	s_or_saveexec_b64 s[48:49], s[48:49]
	v_mov_b32_e32 v4, 0x7f800001
	s_xor_b64 exec, exec, s[48:49]
	s_cbranch_execnz .LBB301_296
.LBB301_285:
	s_or_b64 exec, exec, s[48:49]
	s_and_saveexec_b64 s[48:49], s[46:47]
	s_cbranch_execz .LBB301_287
.LBB301_286:
	v_bfe_u32 v3, v2, 16, 3
	v_ffbh_u32_e32 v5, v3
	v_min_u32_e32 v5, 32, v5
	v_bfe_u32 v4, v2, 19, 4
	v_subrev_u32_e32 v6, 28, v5
	v_lshlrev_b32_sdwa v6, v6, v2 dst_sel:DWORD dst_unused:UNUSED_PAD src0_sel:DWORD src1_sel:WORD_1
	v_sub_u32_e32 v5, 29, v5
	v_cmp_eq_u32_e32 vcc, 0, v4
	v_and_b32_e32 v6, 7, v6
	v_cndmask_b32_e32 v4, v4, v5, vcc
	v_mov_b32_e32 v5, 24
	v_cndmask_b32_e32 v3, v3, v6, vcc
	v_lshlrev_b32_sdwa v5, v5, v2 dst_sel:DWORD dst_unused:UNUSED_PAD src0_sel:DWORD src1_sel:WORD_1
	v_mov_b32_e32 v6, 0x3b800000
	v_lshlrev_b32_e32 v3, 20, v3
	v_and_b32_e32 v5, 0x80000000, v5
	v_lshl_add_u32 v4, v4, 23, v6
	v_or3_b32 v4, v5, v4, v3
.LBB301_287:
	s_or_b64 exec, exec, s[48:49]
	v_cmp_neq_f32_e64 s[46:47], s52, v4
.LBB301_288:
	s_and_b64 vcc, exec, s[4:5]
	s_cbranch_vccnz .LBB301_557
.LBB301_289:
	s_and_b32 s50, s14, 0xff
	s_cmpk_lt_i32 s50, 0x80
	s_cbranch_scc1 .LBB301_297
; %bb.290:
	s_and_b32 s4, 0xffff, s50
	s_cmpk_eq_i32 s4, 0x80
	s_mov_b64 s[4:5], -1
	s_cbranch_scc0 .LBB301_292
; %bb.291:
	s_mov_b64 s[4:5], 0
.LBB301_292:
	s_mov_b32 s52, 0x7f800001
	s_branch .LBB301_299
.LBB301_293:
	s_movk_i32 s46, 0x80
	v_cmp_eq_u16_e32 vcc, s46, v3
	s_mov_b64 s[46:47], -1
	s_and_saveexec_b64 s[50:51], vcc
; %bb.294:
	s_xor_b64 s[46:47], exec, -1
; %bb.295:
	s_or_b64 exec, exec, s[50:51]
	s_and_b64 s[46:47], s[46:47], exec
                                        ; implicit-def: $vgpr3
	s_or_saveexec_b64 s[48:49], s[48:49]
	v_mov_b32_e32 v4, 0x7f800001
	s_xor_b64 exec, exec, s[48:49]
	s_cbranch_execz .LBB301_285
.LBB301_296:
	v_cmp_ne_u16_e32 vcc, 0, v3
	s_andn2_b64 s[46:47], s[46:47], exec
	s_and_b64 s[50:51], vcc, exec
	v_mov_b32_e32 v4, 0
	s_or_b64 s[46:47], s[46:47], s[50:51]
	s_or_b64 exec, exec, s[48:49]
	s_and_saveexec_b64 s[48:49], s[46:47]
	s_cbranch_execnz .LBB301_286
	s_branch .LBB301_287
.LBB301_297:
	s_mov_b64 s[4:5], 0
	s_mov_b32 s52, 0x7f800001
	s_cbranch_execz .LBB301_299
; %bb.298:
	s_and_b32 s4, 0xffff, s50
	s_cmp_lg_u32 s4, 0
	s_mov_b32 s52, 0
	s_cselect_b64 s[4:5], -1, 0
.LBB301_299:
	s_andn2_b64 vcc, exec, s[4:5]
	s_cbranch_vccnz .LBB301_301
; %bb.300:
	s_mov_b32 s52, s33
.LBB301_301:
	s_movk_i32 s4, 0x7f
	v_cmp_gt_i16_sdwa s[48:49], v2, s4 src0_sel:BYTE_3 src1_sel:DWORD
	s_mov_b64 s[4:5], 0
	s_and_saveexec_b64 s[50:51], s[48:49]
	s_xor_b64 s[48:49], exec, s[50:51]
	s_cbranch_execnz .LBB301_306
; %bb.302:
	s_or_saveexec_b64 s[48:49], s[48:49]
	v_mov_b32_e32 v3, 0x7f800001
	s_xor_b64 exec, exec, s[48:49]
	s_cbranch_execnz .LBB301_309
.LBB301_303:
	s_or_b64 exec, exec, s[48:49]
	s_and_saveexec_b64 s[48:49], s[4:5]
	s_cbranch_execz .LBB301_305
.LBB301_304:
	v_bfe_u32 v3, v2, 24, 3
	v_ffbh_u32_e32 v5, v3
	v_min_u32_e32 v5, 32, v5
	v_subrev_u32_e32 v6, 28, v5
	v_bfe_u32 v4, v2, 27, 4
	v_lshlrev_b32_sdwa v6, v6, v2 dst_sel:DWORD dst_unused:UNUSED_PAD src0_sel:DWORD src1_sel:BYTE_3
	v_sub_u32_e32 v5, 29, v5
	v_and_b32_e32 v6, 7, v6
	v_cmp_eq_u32_e32 vcc, 0, v4
	v_cndmask_b32_e32 v4, v4, v5, vcc
	v_cndmask_b32_e32 v3, v3, v6, vcc
	v_mov_b32_e32 v6, 0x3b800000
	v_lshlrev_b32_e32 v3, 20, v3
	v_and_b32_e32 v5, 0x80000000, v2
	v_lshl_add_u32 v4, v4, 23, v6
	v_or3_b32 v3, v5, v4, v3
.LBB301_305:
	s_or_b64 exec, exec, s[48:49]
	v_cmp_neq_f32_e64 s[4:5], s52, v3
	s_branch .LBB301_575
.LBB301_306:
	s_movk_i32 s4, 0x80
	v_cmp_eq_u16_sdwa s[54:55], v2, s4 src0_sel:BYTE_3 src1_sel:DWORD
	s_mov_b64 s[4:5], -1
	s_and_saveexec_b64 s[50:51], s[54:55]
; %bb.307:
	s_xor_b64 s[4:5], exec, -1
; %bb.308:
	s_or_b64 exec, exec, s[50:51]
	s_and_b64 s[4:5], s[4:5], exec
	s_or_saveexec_b64 s[48:49], s[48:49]
	v_mov_b32_e32 v3, 0x7f800001
	s_xor_b64 exec, exec, s[48:49]
	s_cbranch_execz .LBB301_303
.LBB301_309:
	v_mov_b32_e32 v3, 0
	v_cmp_ne_u16_sdwa s[50:51], v2, v3 src0_sel:BYTE_3 src1_sel:DWORD
	s_andn2_b64 s[4:5], s[4:5], exec
	s_and_b64 s[50:51], s[50:51], exec
	s_or_b64 s[4:5], s[4:5], s[50:51]
	s_or_b64 exec, exec, s[48:49]
	s_and_saveexec_b64 s[48:49], s[4:5]
	s_cbranch_execnz .LBB301_304
	s_branch .LBB301_305
.LBB301_310:
	s_movk_i32 s4, 0x80
	v_cmp_eq_u16_sdwa s[24:25], v5, s4 src0_sel:BYTE_0 src1_sel:DWORD
	s_mov_b64 s[4:5], -1
	s_and_saveexec_b64 s[20:21], s[24:25]
; %bb.311:
	s_xor_b64 s[4:5], exec, -1
; %bb.312:
	s_or_b64 exec, exec, s[20:21]
	s_and_b64 s[4:5], s[4:5], exec
	s_or_saveexec_b64 s[8:9], s[8:9]
	v_mov_b32_e32 v6, 0x7f800001
	s_xor_b64 exec, exec, s[8:9]
	s_cbranch_execz .LBB301_32
.LBB301_313:
	v_mov_b32_e32 v6, 0
	v_cmp_ne_u16_sdwa s[20:21], v5, v6 src0_sel:BYTE_0 src1_sel:DWORD
	s_andn2_b64 s[4:5], s[4:5], exec
	s_and_b64 s[20:21], s[20:21], exec
	s_or_b64 s[4:5], s[4:5], s[20:21]
	s_or_b64 exec, exec, s[8:9]
	s_and_saveexec_b64 s[8:9], s[4:5]
	s_cbranch_execnz .LBB301_33
	s_branch .LBB301_34
.LBB301_314:
	s_mov_b64 s[10:11], 0
	s_mov_b32 s24, 0x7f800001
	s_cbranch_execz .LBB301_316
; %bb.315:
	s_and_b32 s10, 0xffff, s22
	s_cmp_lg_u32 s10, 0
	s_mov_b32 s24, 0
	s_cselect_b64 s[10:11], -1, 0
.LBB301_316:
	s_andn2_b64 vcc, exec, s[10:11]
	s_cbranch_vccnz .LBB301_318
; %bb.317:
	s_mov_b32 s24, s33
.LBB301_318:
	s_movk_i32 s10, 0x7f
	v_cmp_gt_i16_sdwa s[20:21], v6, s10 src0_sel:BYTE_0 src1_sel:DWORD
	s_mov_b64 s[10:11], 0
	s_and_saveexec_b64 s[22:23], s[20:21]
	s_xor_b64 s[20:21], exec, s[22:23]
	s_cbranch_execnz .LBB301_328
; %bb.319:
	s_or_saveexec_b64 s[20:21], s[20:21]
	v_mov_b32_e32 v7, 0x7f800001
	s_xor_b64 exec, exec, s[20:21]
	s_cbranch_execnz .LBB301_331
.LBB301_320:
	s_or_b64 exec, exec, s[20:21]
	s_and_saveexec_b64 s[20:21], s[10:11]
	s_cbranch_execz .LBB301_322
.LBB301_321:
	v_bfe_u32 v7, v5, 8, 3
	v_ffbh_u32_e32 v9, v7
	v_min_u32_e32 v9, 32, v9
	v_subrev_u32_e32 v10, 28, v9
	v_bfe_u32 v8, v5, 11, 4
	v_lshlrev_b32_e32 v10, v10, v6
	v_sub_u32_e32 v9, 29, v9
	v_and_b32_e32 v10, 7, v10
	v_cmp_eq_u32_e32 vcc, 0, v8
	v_cndmask_b32_e32 v8, v8, v9, vcc
	v_cndmask_b32_e32 v7, v7, v10, vcc
	v_lshlrev_b32_e32 v6, 24, v6
	v_mov_b32_e32 v9, 0x3b800000
	v_lshlrev_b32_e32 v7, 20, v7
	v_and_b32_e32 v6, 0x80000000, v6
	v_lshl_add_u32 v8, v8, 23, v9
	v_or3_b32 v7, v6, v8, v7
.LBB301_322:
	s_or_b64 exec, exec, s[20:21]
	v_cmp_eq_f32_e64 s[10:11], s24, v7
	s_and_b64 vcc, exec, s[4:5]
	s_cbranch_vccz .LBB301_42
.LBB301_323:
                                        ; implicit-def: $sgpr20_sgpr21
	s_cbranch_execz .LBB301_68
; %bb.324:
	s_and_b32 s24, s14, 0xff
	s_cmpk_lt_i32 s24, 0x80
	s_cbranch_scc1 .LBB301_332
; %bb.325:
	s_and_b32 s20, 0xffff, s24
	s_cmpk_eq_i32 s20, 0x80
	s_mov_b64 s[20:21], -1
	s_cbranch_scc0 .LBB301_327
; %bb.326:
	s_mov_b64 s[20:21], 0
.LBB301_327:
	s_mov_b32 s26, 0x7f800001
	s_branch .LBB301_334
.LBB301_328:
	s_movk_i32 s10, 0x80
	v_cmp_eq_u16_sdwa s[26:27], v6, s10 src0_sel:BYTE_0 src1_sel:DWORD
	s_mov_b64 s[10:11], -1
	s_and_saveexec_b64 s[22:23], s[26:27]
; %bb.329:
	s_xor_b64 s[10:11], exec, -1
; %bb.330:
	s_or_b64 exec, exec, s[22:23]
	s_and_b64 s[10:11], s[10:11], exec
	s_or_saveexec_b64 s[20:21], s[20:21]
	v_mov_b32_e32 v7, 0x7f800001
	s_xor_b64 exec, exec, s[20:21]
	s_cbranch_execz .LBB301_320
.LBB301_331:
	v_mov_b32_e32 v7, 0
	v_cmp_ne_u16_sdwa s[22:23], v6, v7 src0_sel:BYTE_0 src1_sel:DWORD
	s_andn2_b64 s[10:11], s[10:11], exec
	s_and_b64 s[22:23], s[22:23], exec
	s_or_b64 s[10:11], s[10:11], s[22:23]
	s_or_b64 exec, exec, s[20:21]
	s_and_saveexec_b64 s[20:21], s[10:11]
	s_cbranch_execnz .LBB301_321
	s_branch .LBB301_322
.LBB301_332:
	s_mov_b64 s[20:21], 0
	s_mov_b32 s26, 0x7f800001
	s_cbranch_execz .LBB301_334
; %bb.333:
	s_and_b32 s20, 0xffff, s24
	s_cmp_lg_u32 s20, 0
	s_mov_b32 s26, 0
	s_cselect_b64 s[20:21], -1, 0
.LBB301_334:
	s_andn2_b64 vcc, exec, s[20:21]
	s_cbranch_vccnz .LBB301_336
; %bb.335:
	s_mov_b32 s26, s33
.LBB301_336:
	s_movk_i32 s20, 0xff
	v_and_b32_sdwa v6, v5, s20 dst_sel:DWORD dst_unused:UNUSED_PAD src0_sel:WORD_1 src1_sel:DWORD
	s_movk_i32 s20, 0x7f
	v_cmp_lt_i16_e32 vcc, s20, v6
	s_mov_b64 s[20:21], 0
	s_and_saveexec_b64 s[22:23], vcc
	s_xor_b64 s[22:23], exec, s[22:23]
	s_cbranch_execnz .LBB301_346
; %bb.337:
	s_or_saveexec_b64 s[22:23], s[22:23]
	v_mov_b32_e32 v7, 0x7f800001
	s_xor_b64 exec, exec, s[22:23]
	s_cbranch_execnz .LBB301_349
.LBB301_338:
	s_or_b64 exec, exec, s[22:23]
	s_and_saveexec_b64 s[22:23], s[20:21]
	s_cbranch_execz .LBB301_340
.LBB301_339:
	v_bfe_u32 v6, v5, 16, 3
	v_ffbh_u32_e32 v8, v6
	v_min_u32_e32 v8, 32, v8
	v_bfe_u32 v7, v5, 19, 4
	v_subrev_u32_e32 v9, 28, v8
	v_lshlrev_b32_sdwa v9, v9, v5 dst_sel:DWORD dst_unused:UNUSED_PAD src0_sel:DWORD src1_sel:WORD_1
	v_sub_u32_e32 v8, 29, v8
	v_cmp_eq_u32_e32 vcc, 0, v7
	v_and_b32_e32 v9, 7, v9
	v_cndmask_b32_e32 v7, v7, v8, vcc
	v_mov_b32_e32 v8, 24
	v_cndmask_b32_e32 v6, v6, v9, vcc
	v_lshlrev_b32_sdwa v8, v8, v5 dst_sel:DWORD dst_unused:UNUSED_PAD src0_sel:DWORD src1_sel:WORD_1
	v_mov_b32_e32 v9, 0x3b800000
	v_lshlrev_b32_e32 v6, 20, v6
	v_and_b32_e32 v8, 0x80000000, v8
	v_lshl_add_u32 v7, v7, 23, v9
	v_or3_b32 v7, v8, v7, v6
.LBB301_340:
	s_or_b64 exec, exec, s[22:23]
	v_cmp_eq_f32_e64 s[20:21], s26, v7
	s_and_b64 vcc, exec, s[4:5]
	s_cbranch_vccz .LBB301_69
.LBB301_341:
                                        ; implicit-def: $sgpr22_sgpr23
	s_cbranch_execz .LBB301_90
; %bb.342:
	s_and_b32 s26, s14, 0xff
	s_cmpk_lt_i32 s26, 0x80
	s_cbranch_scc1 .LBB301_350
; %bb.343:
	s_and_b32 s22, 0xffff, s26
	s_cmpk_eq_i32 s22, 0x80
	s_mov_b64 s[22:23], -1
	s_cbranch_scc0 .LBB301_345
; %bb.344:
	s_mov_b64 s[22:23], 0
.LBB301_345:
	s_mov_b32 s28, 0x7f800001
	s_branch .LBB301_352
.LBB301_346:
	s_movk_i32 s20, 0x80
	v_cmp_eq_u16_e32 vcc, s20, v6
	s_mov_b64 s[20:21], -1
	s_and_saveexec_b64 s[24:25], vcc
; %bb.347:
	s_xor_b64 s[20:21], exec, -1
; %bb.348:
	s_or_b64 exec, exec, s[24:25]
	s_and_b64 s[20:21], s[20:21], exec
                                        ; implicit-def: $vgpr6
	s_or_saveexec_b64 s[22:23], s[22:23]
	v_mov_b32_e32 v7, 0x7f800001
	s_xor_b64 exec, exec, s[22:23]
	s_cbranch_execz .LBB301_338
.LBB301_349:
	v_cmp_ne_u16_e32 vcc, 0, v6
	s_andn2_b64 s[20:21], s[20:21], exec
	s_and_b64 s[24:25], vcc, exec
	v_mov_b32_e32 v7, 0
	s_or_b64 s[20:21], s[20:21], s[24:25]
	s_or_b64 exec, exec, s[22:23]
	s_and_saveexec_b64 s[22:23], s[20:21]
	s_cbranch_execnz .LBB301_339
	s_branch .LBB301_340
.LBB301_350:
	s_mov_b64 s[22:23], 0
	s_mov_b32 s28, 0x7f800001
	s_cbranch_execz .LBB301_352
; %bb.351:
	s_and_b32 s22, 0xffff, s26
	s_cmp_lg_u32 s22, 0
	s_mov_b32 s28, 0
	s_cselect_b64 s[22:23], -1, 0
.LBB301_352:
	s_andn2_b64 vcc, exec, s[22:23]
	s_cbranch_vccnz .LBB301_354
; %bb.353:
	s_mov_b32 s28, s33
.LBB301_354:
	s_movk_i32 s22, 0x7f
	v_cmp_gt_i16_sdwa s[24:25], v5, s22 src0_sel:BYTE_3 src1_sel:DWORD
	s_mov_b64 s[22:23], 0
	s_and_saveexec_b64 s[26:27], s[24:25]
	s_xor_b64 s[24:25], exec, s[26:27]
	s_cbranch_execnz .LBB301_364
; %bb.355:
	s_or_saveexec_b64 s[24:25], s[24:25]
	v_mov_b32_e32 v6, 0x7f800001
	s_xor_b64 exec, exec, s[24:25]
	s_cbranch_execnz .LBB301_367
.LBB301_356:
	s_or_b64 exec, exec, s[24:25]
	s_and_saveexec_b64 s[24:25], s[22:23]
	s_cbranch_execz .LBB301_358
.LBB301_357:
	v_bfe_u32 v6, v5, 24, 3
	v_ffbh_u32_e32 v8, v6
	v_min_u32_e32 v8, 32, v8
	v_subrev_u32_e32 v9, 28, v8
	v_bfe_u32 v7, v5, 27, 4
	v_lshlrev_b32_sdwa v9, v9, v5 dst_sel:DWORD dst_unused:UNUSED_PAD src0_sel:DWORD src1_sel:BYTE_3
	v_sub_u32_e32 v8, 29, v8
	v_and_b32_e32 v9, 7, v9
	v_cmp_eq_u32_e32 vcc, 0, v7
	v_cndmask_b32_e32 v7, v7, v8, vcc
	v_cndmask_b32_e32 v6, v6, v9, vcc
	v_mov_b32_e32 v8, 0x3b800000
	v_lshlrev_b32_e32 v6, 20, v6
	v_and_b32_e32 v5, 0x80000000, v5
	v_lshl_add_u32 v7, v7, 23, v8
	v_or3_b32 v6, v5, v7, v6
.LBB301_358:
	s_or_b64 exec, exec, s[24:25]
	v_cmp_eq_f32_e64 s[22:23], s28, v6
	s_and_b64 vcc, exec, s[4:5]
	s_cbranch_vccz .LBB301_91
.LBB301_359:
                                        ; implicit-def: $sgpr24_sgpr25
	s_cbranch_execz .LBB301_108
; %bb.360:
	s_and_b32 s28, s14, 0xff
	s_cmpk_lt_i32 s28, 0x80
	s_cbranch_scc1 .LBB301_368
; %bb.361:
	s_and_b32 s24, 0xffff, s28
	s_cmpk_eq_i32 s24, 0x80
	s_mov_b64 s[24:25], -1
	s_cbranch_scc0 .LBB301_363
; %bb.362:
	s_mov_b64 s[24:25], 0
.LBB301_363:
	s_mov_b32 s30, 0x7f800001
	s_branch .LBB301_370
.LBB301_364:
	s_movk_i32 s22, 0x80
	v_cmp_eq_u16_sdwa s[30:31], v5, s22 src0_sel:BYTE_3 src1_sel:DWORD
	s_mov_b64 s[22:23], -1
	s_and_saveexec_b64 s[26:27], s[30:31]
; %bb.365:
	s_xor_b64 s[22:23], exec, -1
; %bb.366:
	s_or_b64 exec, exec, s[26:27]
	s_and_b64 s[22:23], s[22:23], exec
	s_or_saveexec_b64 s[24:25], s[24:25]
	v_mov_b32_e32 v6, 0x7f800001
	s_xor_b64 exec, exec, s[24:25]
	s_cbranch_execz .LBB301_356
.LBB301_367:
	v_mov_b32_e32 v6, 0
	v_cmp_ne_u16_sdwa s[26:27], v5, v6 src0_sel:BYTE_3 src1_sel:DWORD
	s_andn2_b64 s[22:23], s[22:23], exec
	s_and_b64 s[26:27], s[26:27], exec
	s_or_b64 s[22:23], s[22:23], s[26:27]
	s_or_b64 exec, exec, s[24:25]
	s_and_saveexec_b64 s[24:25], s[22:23]
	s_cbranch_execnz .LBB301_357
	s_branch .LBB301_358
.LBB301_368:
	s_mov_b64 s[24:25], 0
	s_mov_b32 s30, 0x7f800001
	s_cbranch_execz .LBB301_370
; %bb.369:
	s_and_b32 s24, 0xffff, s28
	s_cmp_lg_u32 s24, 0
	s_mov_b32 s30, 0
	s_cselect_b64 s[24:25], -1, 0
.LBB301_370:
	s_andn2_b64 vcc, exec, s[24:25]
	s_cbranch_vccnz .LBB301_372
; %bb.371:
	s_mov_b32 s30, s33
.LBB301_372:
	s_movk_i32 s24, 0x7f
	s_waitcnt vmcnt(2)
	v_cmp_gt_i16_sdwa s[26:27], v4, s24 src0_sel:BYTE_0 src1_sel:DWORD
	s_mov_b64 s[24:25], 0
	s_and_saveexec_b64 s[28:29], s[26:27]
	s_xor_b64 s[26:27], exec, s[28:29]
	s_cbranch_execnz .LBB301_382
; %bb.373:
	s_or_saveexec_b64 s[26:27], s[26:27]
	v_mov_b32_e32 v5, 0x7f800001
	s_xor_b64 exec, exec, s[26:27]
	s_cbranch_execnz .LBB301_385
.LBB301_374:
	s_or_b64 exec, exec, s[26:27]
	s_and_saveexec_b64 s[26:27], s[24:25]
	s_cbranch_execz .LBB301_376
.LBB301_375:
	v_and_b32_e32 v5, 7, v4
	v_ffbh_u32_e32 v7, v5
	v_min_u32_e32 v7, 32, v7
	v_subrev_u32_e32 v8, 28, v7
	v_bfe_u32 v6, v4, 3, 4
	v_lshlrev_b32_e32 v8, v8, v4
	v_sub_u32_e32 v7, 29, v7
	v_and_b32_e32 v8, 7, v8
	v_cmp_eq_u32_e32 vcc, 0, v6
	v_cndmask_b32_e32 v6, v6, v7, vcc
	v_cndmask_b32_e32 v5, v5, v8, vcc
	v_lshlrev_b32_e32 v7, 24, v4
	v_mov_b32_e32 v8, 0x3b800000
	v_lshlrev_b32_e32 v5, 20, v5
	v_and_b32_e32 v7, 0x80000000, v7
	v_lshl_add_u32 v6, v6, 23, v8
	v_or3_b32 v5, v7, v6, v5
.LBB301_376:
	s_or_b64 exec, exec, s[26:27]
	v_cmp_eq_f32_e64 s[24:25], s30, v5
	s_and_b64 vcc, exec, s[4:5]
	v_lshrrev_b32_e32 v5, 8, v4
	s_cbranch_vccz .LBB301_109
.LBB301_377:
                                        ; implicit-def: $sgpr26_sgpr27
	s_cbranch_execz .LBB301_126
; %bb.378:
	s_and_b32 s30, s14, 0xff
	s_cmpk_lt_i32 s30, 0x80
	s_cbranch_scc1 .LBB301_386
; %bb.379:
	s_and_b32 s26, 0xffff, s30
	s_cmpk_eq_i32 s26, 0x80
	s_mov_b64 s[26:27], -1
	s_cbranch_scc0 .LBB301_381
; %bb.380:
	s_mov_b64 s[26:27], 0
.LBB301_381:
	s_mov_b32 s34, 0x7f800001
	s_branch .LBB301_388
.LBB301_382:
	s_movk_i32 s24, 0x80
	v_cmp_eq_u16_sdwa s[34:35], v4, s24 src0_sel:BYTE_0 src1_sel:DWORD
	s_mov_b64 s[24:25], -1
	s_and_saveexec_b64 s[28:29], s[34:35]
; %bb.383:
	s_xor_b64 s[24:25], exec, -1
; %bb.384:
	s_or_b64 exec, exec, s[28:29]
	s_and_b64 s[24:25], s[24:25], exec
	s_or_saveexec_b64 s[26:27], s[26:27]
	v_mov_b32_e32 v5, 0x7f800001
	s_xor_b64 exec, exec, s[26:27]
	s_cbranch_execz .LBB301_374
.LBB301_385:
	v_mov_b32_e32 v5, 0
	v_cmp_ne_u16_sdwa s[28:29], v4, v5 src0_sel:BYTE_0 src1_sel:DWORD
	s_andn2_b64 s[24:25], s[24:25], exec
	s_and_b64 s[28:29], s[28:29], exec
	s_or_b64 s[24:25], s[24:25], s[28:29]
	s_or_b64 exec, exec, s[26:27]
	s_and_saveexec_b64 s[26:27], s[24:25]
	s_cbranch_execnz .LBB301_375
	s_branch .LBB301_376
.LBB301_386:
	s_mov_b64 s[26:27], 0
	s_mov_b32 s34, 0x7f800001
	s_cbranch_execz .LBB301_388
; %bb.387:
	s_and_b32 s26, 0xffff, s30
	s_cmp_lg_u32 s26, 0
	s_mov_b32 s34, 0
	s_cselect_b64 s[26:27], -1, 0
.LBB301_388:
	s_andn2_b64 vcc, exec, s[26:27]
	s_cbranch_vccnz .LBB301_390
; %bb.389:
	s_mov_b32 s34, s33
.LBB301_390:
	s_movk_i32 s26, 0x7f
	v_cmp_gt_i16_sdwa s[28:29], v5, s26 src0_sel:BYTE_0 src1_sel:DWORD
	s_mov_b64 s[26:27], 0
	s_and_saveexec_b64 s[30:31], s[28:29]
	s_xor_b64 s[28:29], exec, s[30:31]
	s_cbranch_execnz .LBB301_400
; %bb.391:
	s_or_saveexec_b64 s[28:29], s[28:29]
	v_mov_b32_e32 v6, 0x7f800001
	s_xor_b64 exec, exec, s[28:29]
	s_cbranch_execnz .LBB301_403
.LBB301_392:
	s_or_b64 exec, exec, s[28:29]
	s_and_saveexec_b64 s[28:29], s[26:27]
	s_cbranch_execz .LBB301_394
.LBB301_393:
	v_bfe_u32 v6, v4, 8, 3
	v_ffbh_u32_e32 v8, v6
	v_min_u32_e32 v8, 32, v8
	v_subrev_u32_e32 v9, 28, v8
	v_bfe_u32 v7, v4, 11, 4
	v_lshlrev_b32_e32 v9, v9, v5
	v_sub_u32_e32 v8, 29, v8
	v_and_b32_e32 v9, 7, v9
	v_cmp_eq_u32_e32 vcc, 0, v7
	v_cndmask_b32_e32 v7, v7, v8, vcc
	v_cndmask_b32_e32 v6, v6, v9, vcc
	v_lshlrev_b32_e32 v5, 24, v5
	v_mov_b32_e32 v8, 0x3b800000
	v_lshlrev_b32_e32 v6, 20, v6
	v_and_b32_e32 v5, 0x80000000, v5
	v_lshl_add_u32 v7, v7, 23, v8
	v_or3_b32 v6, v5, v7, v6
.LBB301_394:
	s_or_b64 exec, exec, s[28:29]
	v_cmp_eq_f32_e64 s[26:27], s34, v6
	s_and_b64 vcc, exec, s[4:5]
	s_cbranch_vccz .LBB301_127
.LBB301_395:
                                        ; implicit-def: $sgpr28_sgpr29
	s_cbranch_execz .LBB301_144
; %bb.396:
	s_and_b32 s34, s14, 0xff
	s_cmpk_lt_i32 s34, 0x80
	s_cbranch_scc1 .LBB301_404
; %bb.397:
	s_and_b32 s28, 0xffff, s34
	s_cmpk_eq_i32 s28, 0x80
	s_mov_b64 s[28:29], -1
	s_cbranch_scc0 .LBB301_399
; %bb.398:
	s_mov_b64 s[28:29], 0
.LBB301_399:
	s_mov_b32 s36, 0x7f800001
	s_branch .LBB301_406
.LBB301_400:
	s_movk_i32 s26, 0x80
	v_cmp_eq_u16_sdwa s[36:37], v5, s26 src0_sel:BYTE_0 src1_sel:DWORD
	s_mov_b64 s[26:27], -1
	s_and_saveexec_b64 s[30:31], s[36:37]
; %bb.401:
	s_xor_b64 s[26:27], exec, -1
; %bb.402:
	s_or_b64 exec, exec, s[30:31]
	s_and_b64 s[26:27], s[26:27], exec
	s_or_saveexec_b64 s[28:29], s[28:29]
	v_mov_b32_e32 v6, 0x7f800001
	s_xor_b64 exec, exec, s[28:29]
	s_cbranch_execz .LBB301_392
.LBB301_403:
	v_mov_b32_e32 v6, 0
	v_cmp_ne_u16_sdwa s[30:31], v5, v6 src0_sel:BYTE_0 src1_sel:DWORD
	s_andn2_b64 s[26:27], s[26:27], exec
	s_and_b64 s[30:31], s[30:31], exec
	s_or_b64 s[26:27], s[26:27], s[30:31]
	s_or_b64 exec, exec, s[28:29]
	s_and_saveexec_b64 s[28:29], s[26:27]
	s_cbranch_execnz .LBB301_393
	s_branch .LBB301_394
.LBB301_404:
	s_mov_b64 s[28:29], 0
	s_mov_b32 s36, 0x7f800001
	s_cbranch_execz .LBB301_406
; %bb.405:
	s_and_b32 s28, 0xffff, s34
	s_cmp_lg_u32 s28, 0
	s_mov_b32 s36, 0
	s_cselect_b64 s[28:29], -1, 0
.LBB301_406:
	s_andn2_b64 vcc, exec, s[28:29]
	s_cbranch_vccnz .LBB301_408
; %bb.407:
	s_mov_b32 s36, s33
.LBB301_408:
	s_movk_i32 s28, 0xff
	v_and_b32_sdwa v5, v4, s28 dst_sel:DWORD dst_unused:UNUSED_PAD src0_sel:WORD_1 src1_sel:DWORD
	s_movk_i32 s28, 0x7f
	v_cmp_lt_i16_e32 vcc, s28, v5
	s_mov_b64 s[28:29], 0
	s_and_saveexec_b64 s[30:31], vcc
	s_xor_b64 s[30:31], exec, s[30:31]
	s_cbranch_execnz .LBB301_418
; %bb.409:
	s_or_saveexec_b64 s[30:31], s[30:31]
	v_mov_b32_e32 v6, 0x7f800001
	s_xor_b64 exec, exec, s[30:31]
	s_cbranch_execnz .LBB301_421
.LBB301_410:
	s_or_b64 exec, exec, s[30:31]
	s_and_saveexec_b64 s[30:31], s[28:29]
	s_cbranch_execz .LBB301_412
.LBB301_411:
	v_bfe_u32 v5, v4, 16, 3
	v_ffbh_u32_e32 v7, v5
	v_min_u32_e32 v7, 32, v7
	v_bfe_u32 v6, v4, 19, 4
	v_subrev_u32_e32 v8, 28, v7
	v_lshlrev_b32_sdwa v8, v8, v4 dst_sel:DWORD dst_unused:UNUSED_PAD src0_sel:DWORD src1_sel:WORD_1
	v_sub_u32_e32 v7, 29, v7
	v_cmp_eq_u32_e32 vcc, 0, v6
	v_and_b32_e32 v8, 7, v8
	v_cndmask_b32_e32 v6, v6, v7, vcc
	v_mov_b32_e32 v7, 24
	v_cndmask_b32_e32 v5, v5, v8, vcc
	v_lshlrev_b32_sdwa v7, v7, v4 dst_sel:DWORD dst_unused:UNUSED_PAD src0_sel:DWORD src1_sel:WORD_1
	v_mov_b32_e32 v8, 0x3b800000
	v_lshlrev_b32_e32 v5, 20, v5
	v_and_b32_e32 v7, 0x80000000, v7
	v_lshl_add_u32 v6, v6, 23, v8
	v_or3_b32 v6, v7, v6, v5
.LBB301_412:
	s_or_b64 exec, exec, s[30:31]
	v_cmp_eq_f32_e64 s[28:29], s36, v6
	s_and_b64 vcc, exec, s[4:5]
	s_cbranch_vccz .LBB301_145
.LBB301_413:
                                        ; implicit-def: $sgpr30_sgpr31
	s_cbranch_execz .LBB301_162
; %bb.414:
	s_and_b32 s36, s14, 0xff
	s_cmpk_lt_i32 s36, 0x80
	s_cbranch_scc1 .LBB301_422
; %bb.415:
	s_and_b32 s30, 0xffff, s36
	s_cmpk_eq_i32 s30, 0x80
	s_mov_b64 s[30:31], -1
	s_cbranch_scc0 .LBB301_417
; %bb.416:
	s_mov_b64 s[30:31], 0
.LBB301_417:
	s_mov_b32 s38, 0x7f800001
	s_branch .LBB301_424
.LBB301_418:
	s_movk_i32 s28, 0x80
	v_cmp_eq_u16_e32 vcc, s28, v5
	s_mov_b64 s[28:29], -1
	s_and_saveexec_b64 s[34:35], vcc
; %bb.419:
	s_xor_b64 s[28:29], exec, -1
; %bb.420:
	s_or_b64 exec, exec, s[34:35]
	s_and_b64 s[28:29], s[28:29], exec
                                        ; implicit-def: $vgpr5
	s_or_saveexec_b64 s[30:31], s[30:31]
	v_mov_b32_e32 v6, 0x7f800001
	s_xor_b64 exec, exec, s[30:31]
	s_cbranch_execz .LBB301_410
.LBB301_421:
	v_cmp_ne_u16_e32 vcc, 0, v5
	s_andn2_b64 s[28:29], s[28:29], exec
	s_and_b64 s[34:35], vcc, exec
	v_mov_b32_e32 v6, 0
	s_or_b64 s[28:29], s[28:29], s[34:35]
	s_or_b64 exec, exec, s[30:31]
	s_and_saveexec_b64 s[30:31], s[28:29]
	s_cbranch_execnz .LBB301_411
	s_branch .LBB301_412
.LBB301_422:
	s_mov_b64 s[30:31], 0
	s_mov_b32 s38, 0x7f800001
	s_cbranch_execz .LBB301_424
; %bb.423:
	s_and_b32 s30, 0xffff, s36
	s_cmp_lg_u32 s30, 0
	s_mov_b32 s38, 0
	s_cselect_b64 s[30:31], -1, 0
.LBB301_424:
	s_andn2_b64 vcc, exec, s[30:31]
	s_cbranch_vccnz .LBB301_426
; %bb.425:
	s_mov_b32 s38, s33
.LBB301_426:
	s_movk_i32 s30, 0x7f
	v_cmp_gt_i16_sdwa s[34:35], v4, s30 src0_sel:BYTE_3 src1_sel:DWORD
	s_mov_b64 s[30:31], 0
	s_and_saveexec_b64 s[36:37], s[34:35]
	s_xor_b64 s[34:35], exec, s[36:37]
	s_cbranch_execnz .LBB301_436
; %bb.427:
	s_or_saveexec_b64 s[34:35], s[34:35]
	v_mov_b32_e32 v5, 0x7f800001
	s_xor_b64 exec, exec, s[34:35]
	s_cbranch_execnz .LBB301_439
.LBB301_428:
	s_or_b64 exec, exec, s[34:35]
	s_and_saveexec_b64 s[34:35], s[30:31]
	s_cbranch_execz .LBB301_430
.LBB301_429:
	v_bfe_u32 v5, v4, 24, 3
	v_ffbh_u32_e32 v7, v5
	v_min_u32_e32 v7, 32, v7
	v_subrev_u32_e32 v8, 28, v7
	v_bfe_u32 v6, v4, 27, 4
	v_lshlrev_b32_sdwa v8, v8, v4 dst_sel:DWORD dst_unused:UNUSED_PAD src0_sel:DWORD src1_sel:BYTE_3
	v_sub_u32_e32 v7, 29, v7
	v_and_b32_e32 v8, 7, v8
	v_cmp_eq_u32_e32 vcc, 0, v6
	v_cndmask_b32_e32 v6, v6, v7, vcc
	v_cndmask_b32_e32 v5, v5, v8, vcc
	v_mov_b32_e32 v7, 0x3b800000
	v_lshlrev_b32_e32 v5, 20, v5
	v_and_b32_e32 v4, 0x80000000, v4
	v_lshl_add_u32 v6, v6, 23, v7
	v_or3_b32 v5, v4, v6, v5
.LBB301_430:
	s_or_b64 exec, exec, s[34:35]
	v_cmp_eq_f32_e64 s[30:31], s38, v5
	s_and_b64 vcc, exec, s[4:5]
	s_cbranch_vccz .LBB301_163
.LBB301_431:
                                        ; implicit-def: $sgpr34_sgpr35
	s_cbranch_execz .LBB301_180
; %bb.432:
	s_and_b32 s38, s14, 0xff
	s_cmpk_lt_i32 s38, 0x80
	s_cbranch_scc1 .LBB301_440
; %bb.433:
	s_and_b32 s34, 0xffff, s38
	s_cmpk_eq_i32 s34, 0x80
	s_mov_b64 s[34:35], -1
	s_cbranch_scc0 .LBB301_435
; %bb.434:
	s_mov_b64 s[34:35], 0
.LBB301_435:
	s_mov_b32 s40, 0x7f800001
	s_branch .LBB301_442
.LBB301_436:
	s_movk_i32 s30, 0x80
	v_cmp_eq_u16_sdwa s[40:41], v4, s30 src0_sel:BYTE_3 src1_sel:DWORD
	s_mov_b64 s[30:31], -1
	s_and_saveexec_b64 s[36:37], s[40:41]
; %bb.437:
	s_xor_b64 s[30:31], exec, -1
; %bb.438:
	s_or_b64 exec, exec, s[36:37]
	s_and_b64 s[30:31], s[30:31], exec
	s_or_saveexec_b64 s[34:35], s[34:35]
	v_mov_b32_e32 v5, 0x7f800001
	s_xor_b64 exec, exec, s[34:35]
	s_cbranch_execz .LBB301_428
.LBB301_439:
	v_mov_b32_e32 v5, 0
	v_cmp_ne_u16_sdwa s[36:37], v4, v5 src0_sel:BYTE_3 src1_sel:DWORD
	s_andn2_b64 s[30:31], s[30:31], exec
	s_and_b64 s[36:37], s[36:37], exec
	s_or_b64 s[30:31], s[30:31], s[36:37]
	s_or_b64 exec, exec, s[34:35]
	s_and_saveexec_b64 s[34:35], s[30:31]
	s_cbranch_execnz .LBB301_429
	s_branch .LBB301_430
.LBB301_440:
	s_mov_b64 s[34:35], 0
	s_mov_b32 s40, 0x7f800001
	s_cbranch_execz .LBB301_442
; %bb.441:
	s_and_b32 s34, 0xffff, s38
	s_cmp_lg_u32 s34, 0
	s_mov_b32 s40, 0
	s_cselect_b64 s[34:35], -1, 0
.LBB301_442:
	s_andn2_b64 vcc, exec, s[34:35]
	s_cbranch_vccnz .LBB301_444
; %bb.443:
	s_mov_b32 s40, s33
.LBB301_444:
	s_movk_i32 s34, 0x7f
	s_waitcnt vmcnt(1)
	v_cmp_gt_i16_sdwa s[36:37], v3, s34 src0_sel:BYTE_0 src1_sel:DWORD
	s_mov_b64 s[34:35], 0
	s_and_saveexec_b64 s[38:39], s[36:37]
	s_xor_b64 s[36:37], exec, s[38:39]
	s_cbranch_execnz .LBB301_454
; %bb.445:
	s_or_saveexec_b64 s[36:37], s[36:37]
	v_mov_b32_e32 v4, 0x7f800001
	s_xor_b64 exec, exec, s[36:37]
	s_cbranch_execnz .LBB301_457
.LBB301_446:
	s_or_b64 exec, exec, s[36:37]
	s_and_saveexec_b64 s[36:37], s[34:35]
	s_cbranch_execz .LBB301_448
.LBB301_447:
	v_and_b32_e32 v4, 7, v3
	v_ffbh_u32_e32 v6, v4
	v_min_u32_e32 v6, 32, v6
	v_subrev_u32_e32 v7, 28, v6
	v_bfe_u32 v5, v3, 3, 4
	v_lshlrev_b32_e32 v7, v7, v3
	v_sub_u32_e32 v6, 29, v6
	v_and_b32_e32 v7, 7, v7
	v_cmp_eq_u32_e32 vcc, 0, v5
	v_cndmask_b32_e32 v5, v5, v6, vcc
	v_cndmask_b32_e32 v4, v4, v7, vcc
	v_lshlrev_b32_e32 v6, 24, v3
	v_mov_b32_e32 v7, 0x3b800000
	v_lshlrev_b32_e32 v4, 20, v4
	v_and_b32_e32 v6, 0x80000000, v6
	v_lshl_add_u32 v5, v5, 23, v7
	v_or3_b32 v4, v6, v5, v4
.LBB301_448:
	s_or_b64 exec, exec, s[36:37]
	v_cmp_eq_f32_e64 s[34:35], s40, v4
	s_and_b64 vcc, exec, s[4:5]
	v_lshrrev_b32_e32 v4, 8, v3
	s_cbranch_vccz .LBB301_181
.LBB301_449:
                                        ; implicit-def: $sgpr36_sgpr37
	s_cbranch_execz .LBB301_198
; %bb.450:
	s_and_b32 s40, s14, 0xff
	s_cmpk_lt_i32 s40, 0x80
	s_cbranch_scc1 .LBB301_458
; %bb.451:
	s_and_b32 s36, 0xffff, s40
	s_cmpk_eq_i32 s36, 0x80
	s_mov_b64 s[36:37], -1
	s_cbranch_scc0 .LBB301_453
; %bb.452:
	s_mov_b64 s[36:37], 0
.LBB301_453:
	s_mov_b32 s42, 0x7f800001
	s_branch .LBB301_460
.LBB301_454:
	s_movk_i32 s34, 0x80
	v_cmp_eq_u16_sdwa s[42:43], v3, s34 src0_sel:BYTE_0 src1_sel:DWORD
	s_mov_b64 s[34:35], -1
	s_and_saveexec_b64 s[38:39], s[42:43]
; %bb.455:
	s_xor_b64 s[34:35], exec, -1
; %bb.456:
	s_or_b64 exec, exec, s[38:39]
	s_and_b64 s[34:35], s[34:35], exec
	s_or_saveexec_b64 s[36:37], s[36:37]
	v_mov_b32_e32 v4, 0x7f800001
	s_xor_b64 exec, exec, s[36:37]
	s_cbranch_execz .LBB301_446
.LBB301_457:
	v_mov_b32_e32 v4, 0
	v_cmp_ne_u16_sdwa s[38:39], v3, v4 src0_sel:BYTE_0 src1_sel:DWORD
	s_andn2_b64 s[34:35], s[34:35], exec
	s_and_b64 s[38:39], s[38:39], exec
	s_or_b64 s[34:35], s[34:35], s[38:39]
	s_or_b64 exec, exec, s[36:37]
	s_and_saveexec_b64 s[36:37], s[34:35]
	s_cbranch_execnz .LBB301_447
	s_branch .LBB301_448
.LBB301_458:
	s_mov_b64 s[36:37], 0
	s_mov_b32 s42, 0x7f800001
	s_cbranch_execz .LBB301_460
; %bb.459:
	s_and_b32 s36, 0xffff, s40
	s_cmp_lg_u32 s36, 0
	s_mov_b32 s42, 0
	s_cselect_b64 s[36:37], -1, 0
.LBB301_460:
	s_andn2_b64 vcc, exec, s[36:37]
	s_cbranch_vccnz .LBB301_462
; %bb.461:
	s_mov_b32 s42, s33
.LBB301_462:
	s_movk_i32 s36, 0x7f
	v_cmp_gt_i16_sdwa s[38:39], v4, s36 src0_sel:BYTE_0 src1_sel:DWORD
	s_mov_b64 s[36:37], 0
	s_and_saveexec_b64 s[40:41], s[38:39]
	s_xor_b64 s[38:39], exec, s[40:41]
	s_cbranch_execnz .LBB301_472
; %bb.463:
	s_or_saveexec_b64 s[38:39], s[38:39]
	v_mov_b32_e32 v5, 0x7f800001
	s_xor_b64 exec, exec, s[38:39]
	s_cbranch_execnz .LBB301_475
.LBB301_464:
	s_or_b64 exec, exec, s[38:39]
	s_and_saveexec_b64 s[38:39], s[36:37]
	s_cbranch_execz .LBB301_466
.LBB301_465:
	v_bfe_u32 v5, v3, 8, 3
	v_ffbh_u32_e32 v7, v5
	v_min_u32_e32 v7, 32, v7
	v_subrev_u32_e32 v8, 28, v7
	v_bfe_u32 v6, v3, 11, 4
	v_lshlrev_b32_e32 v8, v8, v4
	v_sub_u32_e32 v7, 29, v7
	v_and_b32_e32 v8, 7, v8
	v_cmp_eq_u32_e32 vcc, 0, v6
	v_cndmask_b32_e32 v6, v6, v7, vcc
	v_cndmask_b32_e32 v5, v5, v8, vcc
	v_lshlrev_b32_e32 v4, 24, v4
	v_mov_b32_e32 v7, 0x3b800000
	v_lshlrev_b32_e32 v5, 20, v5
	v_and_b32_e32 v4, 0x80000000, v4
	v_lshl_add_u32 v6, v6, 23, v7
	v_or3_b32 v5, v4, v6, v5
.LBB301_466:
	s_or_b64 exec, exec, s[38:39]
	v_cmp_eq_f32_e64 s[36:37], s42, v5
	s_and_b64 vcc, exec, s[4:5]
	s_cbranch_vccz .LBB301_199
.LBB301_467:
                                        ; implicit-def: $sgpr38_sgpr39
	s_cbranch_execz .LBB301_216
; %bb.468:
	s_and_b32 s42, s14, 0xff
	s_cmpk_lt_i32 s42, 0x80
	s_cbranch_scc1 .LBB301_476
; %bb.469:
	s_and_b32 s38, 0xffff, s42
	s_cmpk_eq_i32 s38, 0x80
	s_mov_b64 s[38:39], -1
	s_cbranch_scc0 .LBB301_471
; %bb.470:
	s_mov_b64 s[38:39], 0
.LBB301_471:
	s_mov_b32 s44, 0x7f800001
	s_branch .LBB301_478
.LBB301_472:
	s_movk_i32 s36, 0x80
	v_cmp_eq_u16_sdwa s[44:45], v4, s36 src0_sel:BYTE_0 src1_sel:DWORD
	s_mov_b64 s[36:37], -1
	s_and_saveexec_b64 s[40:41], s[44:45]
; %bb.473:
	s_xor_b64 s[36:37], exec, -1
; %bb.474:
	s_or_b64 exec, exec, s[40:41]
	s_and_b64 s[36:37], s[36:37], exec
	s_or_saveexec_b64 s[38:39], s[38:39]
	v_mov_b32_e32 v5, 0x7f800001
	s_xor_b64 exec, exec, s[38:39]
	s_cbranch_execz .LBB301_464
.LBB301_475:
	v_mov_b32_e32 v5, 0
	v_cmp_ne_u16_sdwa s[40:41], v4, v5 src0_sel:BYTE_0 src1_sel:DWORD
	s_andn2_b64 s[36:37], s[36:37], exec
	s_and_b64 s[40:41], s[40:41], exec
	s_or_b64 s[36:37], s[36:37], s[40:41]
	s_or_b64 exec, exec, s[38:39]
	s_and_saveexec_b64 s[38:39], s[36:37]
	s_cbranch_execnz .LBB301_465
	s_branch .LBB301_466
.LBB301_476:
	s_mov_b64 s[38:39], 0
	s_mov_b32 s44, 0x7f800001
	s_cbranch_execz .LBB301_478
; %bb.477:
	s_and_b32 s38, 0xffff, s42
	s_cmp_lg_u32 s38, 0
	s_mov_b32 s44, 0
	s_cselect_b64 s[38:39], -1, 0
.LBB301_478:
	s_andn2_b64 vcc, exec, s[38:39]
	s_cbranch_vccnz .LBB301_480
; %bb.479:
	s_mov_b32 s44, s33
.LBB301_480:
	s_movk_i32 s38, 0xff
	v_and_b32_sdwa v4, v3, s38 dst_sel:DWORD dst_unused:UNUSED_PAD src0_sel:WORD_1 src1_sel:DWORD
	s_movk_i32 s38, 0x7f
	v_cmp_lt_i16_e32 vcc, s38, v4
	s_mov_b64 s[38:39], 0
	s_and_saveexec_b64 s[40:41], vcc
	s_xor_b64 s[40:41], exec, s[40:41]
	s_cbranch_execnz .LBB301_490
; %bb.481:
	s_or_saveexec_b64 s[40:41], s[40:41]
	v_mov_b32_e32 v5, 0x7f800001
	s_xor_b64 exec, exec, s[40:41]
	s_cbranch_execnz .LBB301_493
.LBB301_482:
	s_or_b64 exec, exec, s[40:41]
	s_and_saveexec_b64 s[40:41], s[38:39]
	s_cbranch_execz .LBB301_484
.LBB301_483:
	v_bfe_u32 v4, v3, 16, 3
	v_ffbh_u32_e32 v6, v4
	v_min_u32_e32 v6, 32, v6
	v_bfe_u32 v5, v3, 19, 4
	v_subrev_u32_e32 v7, 28, v6
	v_lshlrev_b32_sdwa v7, v7, v3 dst_sel:DWORD dst_unused:UNUSED_PAD src0_sel:DWORD src1_sel:WORD_1
	v_sub_u32_e32 v6, 29, v6
	v_cmp_eq_u32_e32 vcc, 0, v5
	v_and_b32_e32 v7, 7, v7
	v_cndmask_b32_e32 v5, v5, v6, vcc
	v_mov_b32_e32 v6, 24
	v_cndmask_b32_e32 v4, v4, v7, vcc
	v_lshlrev_b32_sdwa v6, v6, v3 dst_sel:DWORD dst_unused:UNUSED_PAD src0_sel:DWORD src1_sel:WORD_1
	v_mov_b32_e32 v7, 0x3b800000
	v_lshlrev_b32_e32 v4, 20, v4
	v_and_b32_e32 v6, 0x80000000, v6
	v_lshl_add_u32 v5, v5, 23, v7
	v_or3_b32 v5, v6, v5, v4
.LBB301_484:
	s_or_b64 exec, exec, s[40:41]
	v_cmp_eq_f32_e64 s[38:39], s44, v5
	s_and_b64 vcc, exec, s[4:5]
	s_cbranch_vccz .LBB301_217
.LBB301_485:
                                        ; implicit-def: $sgpr40_sgpr41
	s_cbranch_execz .LBB301_234
; %bb.486:
	s_and_b32 s44, s14, 0xff
	s_cmpk_lt_i32 s44, 0x80
	s_cbranch_scc1 .LBB301_494
; %bb.487:
	s_and_b32 s40, 0xffff, s44
	s_cmpk_eq_i32 s40, 0x80
	s_mov_b64 s[40:41], -1
	s_cbranch_scc0 .LBB301_489
; %bb.488:
	s_mov_b64 s[40:41], 0
.LBB301_489:
	s_mov_b32 s46, 0x7f800001
	s_branch .LBB301_496
.LBB301_490:
	s_movk_i32 s38, 0x80
	v_cmp_eq_u16_e32 vcc, s38, v4
	s_mov_b64 s[38:39], -1
	s_and_saveexec_b64 s[42:43], vcc
; %bb.491:
	s_xor_b64 s[38:39], exec, -1
; %bb.492:
	s_or_b64 exec, exec, s[42:43]
	s_and_b64 s[38:39], s[38:39], exec
                                        ; implicit-def: $vgpr4
	s_or_saveexec_b64 s[40:41], s[40:41]
	v_mov_b32_e32 v5, 0x7f800001
	s_xor_b64 exec, exec, s[40:41]
	s_cbranch_execz .LBB301_482
.LBB301_493:
	v_cmp_ne_u16_e32 vcc, 0, v4
	s_andn2_b64 s[38:39], s[38:39], exec
	s_and_b64 s[42:43], vcc, exec
	v_mov_b32_e32 v5, 0
	s_or_b64 s[38:39], s[38:39], s[42:43]
	s_or_b64 exec, exec, s[40:41]
	s_and_saveexec_b64 s[40:41], s[38:39]
	s_cbranch_execnz .LBB301_483
	s_branch .LBB301_484
.LBB301_494:
	s_mov_b64 s[40:41], 0
	s_mov_b32 s46, 0x7f800001
	s_cbranch_execz .LBB301_496
; %bb.495:
	s_and_b32 s40, 0xffff, s44
	s_cmp_lg_u32 s40, 0
	s_mov_b32 s46, 0
	s_cselect_b64 s[40:41], -1, 0
.LBB301_496:
	s_andn2_b64 vcc, exec, s[40:41]
	s_cbranch_vccnz .LBB301_498
; %bb.497:
	s_mov_b32 s46, s33
.LBB301_498:
	s_movk_i32 s40, 0x7f
	v_cmp_gt_i16_sdwa s[42:43], v3, s40 src0_sel:BYTE_3 src1_sel:DWORD
	s_mov_b64 s[40:41], 0
	s_and_saveexec_b64 s[44:45], s[42:43]
	s_xor_b64 s[42:43], exec, s[44:45]
	s_cbranch_execnz .LBB301_508
; %bb.499:
	s_or_saveexec_b64 s[42:43], s[42:43]
	v_mov_b32_e32 v4, 0x7f800001
	s_xor_b64 exec, exec, s[42:43]
	s_cbranch_execnz .LBB301_511
.LBB301_500:
	s_or_b64 exec, exec, s[42:43]
	s_and_saveexec_b64 s[42:43], s[40:41]
	s_cbranch_execz .LBB301_502
.LBB301_501:
	v_bfe_u32 v4, v3, 24, 3
	v_ffbh_u32_e32 v6, v4
	v_min_u32_e32 v6, 32, v6
	v_subrev_u32_e32 v7, 28, v6
	v_bfe_u32 v5, v3, 27, 4
	v_lshlrev_b32_sdwa v7, v7, v3 dst_sel:DWORD dst_unused:UNUSED_PAD src0_sel:DWORD src1_sel:BYTE_3
	v_sub_u32_e32 v6, 29, v6
	v_and_b32_e32 v7, 7, v7
	v_cmp_eq_u32_e32 vcc, 0, v5
	v_cndmask_b32_e32 v5, v5, v6, vcc
	v_cndmask_b32_e32 v4, v4, v7, vcc
	v_mov_b32_e32 v6, 0x3b800000
	v_lshlrev_b32_e32 v4, 20, v4
	v_and_b32_e32 v3, 0x80000000, v3
	v_lshl_add_u32 v5, v5, 23, v6
	v_or3_b32 v4, v3, v5, v4
.LBB301_502:
	s_or_b64 exec, exec, s[42:43]
	v_cmp_eq_f32_e64 s[40:41], s46, v4
	s_and_b64 vcc, exec, s[4:5]
	s_cbranch_vccz .LBB301_235
.LBB301_503:
                                        ; implicit-def: $sgpr42_sgpr43
	s_cbranch_execz .LBB301_252
; %bb.504:
	s_and_b32 s46, s14, 0xff
	s_cmpk_lt_i32 s46, 0x80
	s_cbranch_scc1 .LBB301_512
; %bb.505:
	s_and_b32 s42, 0xffff, s46
	s_cmpk_eq_i32 s42, 0x80
	s_mov_b64 s[42:43], -1
	s_cbranch_scc0 .LBB301_507
; %bb.506:
	s_mov_b64 s[42:43], 0
.LBB301_507:
	s_mov_b32 s48, 0x7f800001
	s_branch .LBB301_514
.LBB301_508:
	s_movk_i32 s40, 0x80
	v_cmp_eq_u16_sdwa s[48:49], v3, s40 src0_sel:BYTE_3 src1_sel:DWORD
	s_mov_b64 s[40:41], -1
	s_and_saveexec_b64 s[44:45], s[48:49]
; %bb.509:
	s_xor_b64 s[40:41], exec, -1
; %bb.510:
	s_or_b64 exec, exec, s[44:45]
	s_and_b64 s[40:41], s[40:41], exec
	s_or_saveexec_b64 s[42:43], s[42:43]
	v_mov_b32_e32 v4, 0x7f800001
	s_xor_b64 exec, exec, s[42:43]
	s_cbranch_execz .LBB301_500
.LBB301_511:
	v_mov_b32_e32 v4, 0
	v_cmp_ne_u16_sdwa s[44:45], v3, v4 src0_sel:BYTE_3 src1_sel:DWORD
	s_andn2_b64 s[40:41], s[40:41], exec
	s_and_b64 s[44:45], s[44:45], exec
	s_or_b64 s[40:41], s[40:41], s[44:45]
	s_or_b64 exec, exec, s[42:43]
	s_and_saveexec_b64 s[42:43], s[40:41]
	s_cbranch_execnz .LBB301_501
	s_branch .LBB301_502
.LBB301_512:
	s_mov_b64 s[42:43], 0
	s_mov_b32 s48, 0x7f800001
	s_cbranch_execz .LBB301_514
; %bb.513:
	s_and_b32 s42, 0xffff, s46
	s_cmp_lg_u32 s42, 0
	s_mov_b32 s48, 0
	s_cselect_b64 s[42:43], -1, 0
.LBB301_514:
	s_andn2_b64 vcc, exec, s[42:43]
	s_cbranch_vccnz .LBB301_516
; %bb.515:
	s_mov_b32 s48, s33
.LBB301_516:
	s_movk_i32 s42, 0x7f
	s_waitcnt vmcnt(0)
	v_cmp_gt_i16_sdwa s[44:45], v2, s42 src0_sel:BYTE_0 src1_sel:DWORD
	s_mov_b64 s[42:43], 0
	s_and_saveexec_b64 s[46:47], s[44:45]
	s_xor_b64 s[44:45], exec, s[46:47]
	s_cbranch_execnz .LBB301_526
; %bb.517:
	s_or_saveexec_b64 s[44:45], s[44:45]
	v_mov_b32_e32 v3, 0x7f800001
	s_xor_b64 exec, exec, s[44:45]
	s_cbranch_execnz .LBB301_529
.LBB301_518:
	s_or_b64 exec, exec, s[44:45]
	s_and_saveexec_b64 s[44:45], s[42:43]
	s_cbranch_execz .LBB301_520
.LBB301_519:
	v_and_b32_e32 v3, 7, v2
	v_ffbh_u32_e32 v5, v3
	v_min_u32_e32 v5, 32, v5
	v_subrev_u32_e32 v6, 28, v5
	v_bfe_u32 v4, v2, 3, 4
	v_lshlrev_b32_e32 v6, v6, v2
	v_sub_u32_e32 v5, 29, v5
	v_and_b32_e32 v6, 7, v6
	v_cmp_eq_u32_e32 vcc, 0, v4
	v_cndmask_b32_e32 v4, v4, v5, vcc
	v_cndmask_b32_e32 v3, v3, v6, vcc
	v_lshlrev_b32_e32 v5, 24, v2
	v_mov_b32_e32 v6, 0x3b800000
	v_lshlrev_b32_e32 v3, 20, v3
	v_and_b32_e32 v5, 0x80000000, v5
	v_lshl_add_u32 v4, v4, 23, v6
	v_or3_b32 v3, v5, v4, v3
.LBB301_520:
	s_or_b64 exec, exec, s[44:45]
	v_cmp_eq_f32_e64 s[42:43], s48, v3
	s_and_b64 vcc, exec, s[4:5]
	v_lshrrev_b32_e32 v3, 8, v2
	s_cbranch_vccz .LBB301_253
.LBB301_521:
                                        ; implicit-def: $sgpr44_sgpr45
	s_cbranch_execz .LBB301_270
; %bb.522:
	s_and_b32 s48, s14, 0xff
	s_cmpk_lt_i32 s48, 0x80
	s_cbranch_scc1 .LBB301_530
; %bb.523:
	s_and_b32 s44, 0xffff, s48
	s_cmpk_eq_i32 s44, 0x80
	s_mov_b64 s[44:45], -1
	s_cbranch_scc0 .LBB301_525
; %bb.524:
	s_mov_b64 s[44:45], 0
.LBB301_525:
	s_mov_b32 s50, 0x7f800001
	s_branch .LBB301_532
.LBB301_526:
	s_movk_i32 s42, 0x80
	v_cmp_eq_u16_sdwa s[50:51], v2, s42 src0_sel:BYTE_0 src1_sel:DWORD
	s_mov_b64 s[42:43], -1
	s_and_saveexec_b64 s[46:47], s[50:51]
; %bb.527:
	s_xor_b64 s[42:43], exec, -1
; %bb.528:
	s_or_b64 exec, exec, s[46:47]
	s_and_b64 s[42:43], s[42:43], exec
	s_or_saveexec_b64 s[44:45], s[44:45]
	v_mov_b32_e32 v3, 0x7f800001
	s_xor_b64 exec, exec, s[44:45]
	s_cbranch_execz .LBB301_518
.LBB301_529:
	v_mov_b32_e32 v3, 0
	v_cmp_ne_u16_sdwa s[46:47], v2, v3 src0_sel:BYTE_0 src1_sel:DWORD
	s_andn2_b64 s[42:43], s[42:43], exec
	s_and_b64 s[46:47], s[46:47], exec
	s_or_b64 s[42:43], s[42:43], s[46:47]
	s_or_b64 exec, exec, s[44:45]
	s_and_saveexec_b64 s[44:45], s[42:43]
	s_cbranch_execnz .LBB301_519
	s_branch .LBB301_520
.LBB301_530:
	s_mov_b64 s[44:45], 0
	s_mov_b32 s50, 0x7f800001
	s_cbranch_execz .LBB301_532
; %bb.531:
	s_and_b32 s44, 0xffff, s48
	s_cmp_lg_u32 s44, 0
	s_mov_b32 s50, 0
	s_cselect_b64 s[44:45], -1, 0
.LBB301_532:
	s_andn2_b64 vcc, exec, s[44:45]
	s_cbranch_vccnz .LBB301_534
; %bb.533:
	s_mov_b32 s50, s33
.LBB301_534:
	s_movk_i32 s44, 0x7f
	v_cmp_gt_i16_sdwa s[46:47], v3, s44 src0_sel:BYTE_0 src1_sel:DWORD
	s_mov_b64 s[44:45], 0
	s_and_saveexec_b64 s[48:49], s[46:47]
	s_xor_b64 s[46:47], exec, s[48:49]
	s_cbranch_execnz .LBB301_544
; %bb.535:
	s_or_saveexec_b64 s[46:47], s[46:47]
	v_mov_b32_e32 v4, 0x7f800001
	s_xor_b64 exec, exec, s[46:47]
	s_cbranch_execnz .LBB301_547
.LBB301_536:
	s_or_b64 exec, exec, s[46:47]
	s_and_saveexec_b64 s[46:47], s[44:45]
	s_cbranch_execz .LBB301_538
.LBB301_537:
	v_bfe_u32 v4, v2, 8, 3
	v_ffbh_u32_e32 v6, v4
	v_min_u32_e32 v6, 32, v6
	v_subrev_u32_e32 v7, 28, v6
	v_bfe_u32 v5, v2, 11, 4
	v_lshlrev_b32_e32 v7, v7, v3
	v_sub_u32_e32 v6, 29, v6
	v_and_b32_e32 v7, 7, v7
	v_cmp_eq_u32_e32 vcc, 0, v5
	v_cndmask_b32_e32 v5, v5, v6, vcc
	v_cndmask_b32_e32 v4, v4, v7, vcc
	v_lshlrev_b32_e32 v3, 24, v3
	v_mov_b32_e32 v6, 0x3b800000
	v_lshlrev_b32_e32 v4, 20, v4
	v_and_b32_e32 v3, 0x80000000, v3
	v_lshl_add_u32 v5, v5, 23, v6
	v_or3_b32 v4, v3, v5, v4
.LBB301_538:
	s_or_b64 exec, exec, s[46:47]
	v_cmp_eq_f32_e64 s[44:45], s50, v4
	s_and_b64 vcc, exec, s[4:5]
	s_cbranch_vccz .LBB301_271
.LBB301_539:
                                        ; implicit-def: $sgpr46_sgpr47
	s_cbranch_execz .LBB301_288
; %bb.540:
	s_and_b32 s50, s14, 0xff
	s_cmpk_lt_i32 s50, 0x80
	s_cbranch_scc1 .LBB301_548
; %bb.541:
	s_and_b32 s46, 0xffff, s50
	s_cmpk_eq_i32 s46, 0x80
	s_mov_b64 s[46:47], -1
	s_cbranch_scc0 .LBB301_543
; %bb.542:
	s_mov_b64 s[46:47], 0
.LBB301_543:
	s_mov_b32 s52, 0x7f800001
	s_branch .LBB301_550
.LBB301_544:
	s_movk_i32 s44, 0x80
	v_cmp_eq_u16_sdwa s[52:53], v3, s44 src0_sel:BYTE_0 src1_sel:DWORD
	s_mov_b64 s[44:45], -1
	s_and_saveexec_b64 s[48:49], s[52:53]
; %bb.545:
	s_xor_b64 s[44:45], exec, -1
; %bb.546:
	s_or_b64 exec, exec, s[48:49]
	s_and_b64 s[44:45], s[44:45], exec
	s_or_saveexec_b64 s[46:47], s[46:47]
	v_mov_b32_e32 v4, 0x7f800001
	s_xor_b64 exec, exec, s[46:47]
	s_cbranch_execz .LBB301_536
.LBB301_547:
	v_mov_b32_e32 v4, 0
	v_cmp_ne_u16_sdwa s[48:49], v3, v4 src0_sel:BYTE_0 src1_sel:DWORD
	s_andn2_b64 s[44:45], s[44:45], exec
	s_and_b64 s[48:49], s[48:49], exec
	s_or_b64 s[44:45], s[44:45], s[48:49]
	s_or_b64 exec, exec, s[46:47]
	s_and_saveexec_b64 s[46:47], s[44:45]
	s_cbranch_execnz .LBB301_537
	s_branch .LBB301_538
.LBB301_548:
	s_mov_b64 s[46:47], 0
	s_mov_b32 s52, 0x7f800001
	s_cbranch_execz .LBB301_550
; %bb.549:
	s_and_b32 s46, 0xffff, s50
	s_cmp_lg_u32 s46, 0
	s_mov_b32 s52, 0
	s_cselect_b64 s[46:47], -1, 0
.LBB301_550:
	s_andn2_b64 vcc, exec, s[46:47]
	s_cbranch_vccnz .LBB301_552
; %bb.551:
	s_mov_b32 s52, s33
.LBB301_552:
	s_movk_i32 s46, 0xff
	v_and_b32_sdwa v3, v2, s46 dst_sel:DWORD dst_unused:UNUSED_PAD src0_sel:WORD_1 src1_sel:DWORD
	s_movk_i32 s46, 0x7f
	v_cmp_lt_i16_e32 vcc, s46, v3
	s_mov_b64 s[46:47], 0
	s_and_saveexec_b64 s[48:49], vcc
	s_xor_b64 s[48:49], exec, s[48:49]
	s_cbranch_execnz .LBB301_562
; %bb.553:
	s_or_saveexec_b64 s[48:49], s[48:49]
	v_mov_b32_e32 v4, 0x7f800001
	s_xor_b64 exec, exec, s[48:49]
	s_cbranch_execnz .LBB301_565
.LBB301_554:
	s_or_b64 exec, exec, s[48:49]
	s_and_saveexec_b64 s[48:49], s[46:47]
	s_cbranch_execz .LBB301_556
.LBB301_555:
	v_bfe_u32 v3, v2, 16, 3
	v_ffbh_u32_e32 v5, v3
	v_min_u32_e32 v5, 32, v5
	v_bfe_u32 v4, v2, 19, 4
	v_subrev_u32_e32 v6, 28, v5
	v_lshlrev_b32_sdwa v6, v6, v2 dst_sel:DWORD dst_unused:UNUSED_PAD src0_sel:DWORD src1_sel:WORD_1
	v_sub_u32_e32 v5, 29, v5
	v_cmp_eq_u32_e32 vcc, 0, v4
	v_and_b32_e32 v6, 7, v6
	v_cndmask_b32_e32 v4, v4, v5, vcc
	v_mov_b32_e32 v5, 24
	v_cndmask_b32_e32 v3, v3, v6, vcc
	v_lshlrev_b32_sdwa v5, v5, v2 dst_sel:DWORD dst_unused:UNUSED_PAD src0_sel:DWORD src1_sel:WORD_1
	v_mov_b32_e32 v6, 0x3b800000
	v_lshlrev_b32_e32 v3, 20, v3
	v_and_b32_e32 v5, 0x80000000, v5
	v_lshl_add_u32 v4, v4, 23, v6
	v_or3_b32 v4, v5, v4, v3
.LBB301_556:
	s_or_b64 exec, exec, s[48:49]
	v_cmp_eq_f32_e64 s[46:47], s52, v4
	s_and_b64 vcc, exec, s[4:5]
	s_cbranch_vccz .LBB301_289
.LBB301_557:
                                        ; implicit-def: $sgpr4_sgpr5
	s_cbranch_execz .LBB301_575
; %bb.558:
	s_and_b32 s50, s14, 0xff
	s_cmpk_lt_i32 s50, 0x80
	s_cbranch_scc1 .LBB301_566
; %bb.559:
	s_and_b32 s4, 0xffff, s50
	s_cmpk_eq_i32 s4, 0x80
	s_mov_b64 s[4:5], -1
	s_cbranch_scc0 .LBB301_561
; %bb.560:
	s_mov_b64 s[4:5], 0
.LBB301_561:
	s_mov_b32 s52, 0x7f800001
	s_branch .LBB301_568
.LBB301_562:
	s_movk_i32 s46, 0x80
	v_cmp_eq_u16_e32 vcc, s46, v3
	s_mov_b64 s[46:47], -1
	s_and_saveexec_b64 s[50:51], vcc
; %bb.563:
	s_xor_b64 s[46:47], exec, -1
; %bb.564:
	s_or_b64 exec, exec, s[50:51]
	s_and_b64 s[46:47], s[46:47], exec
                                        ; implicit-def: $vgpr3
	s_or_saveexec_b64 s[48:49], s[48:49]
	v_mov_b32_e32 v4, 0x7f800001
	s_xor_b64 exec, exec, s[48:49]
	s_cbranch_execz .LBB301_554
.LBB301_565:
	v_cmp_ne_u16_e32 vcc, 0, v3
	s_andn2_b64 s[46:47], s[46:47], exec
	s_and_b64 s[50:51], vcc, exec
	v_mov_b32_e32 v4, 0
	s_or_b64 s[46:47], s[46:47], s[50:51]
	s_or_b64 exec, exec, s[48:49]
	s_and_saveexec_b64 s[48:49], s[46:47]
	s_cbranch_execnz .LBB301_555
	s_branch .LBB301_556
.LBB301_566:
	s_mov_b64 s[4:5], 0
	s_mov_b32 s52, 0x7f800001
	s_cbranch_execz .LBB301_568
; %bb.567:
	s_and_b32 s4, 0xffff, s50
	s_cmp_lg_u32 s4, 0
	s_mov_b32 s52, 0
	s_cselect_b64 s[4:5], -1, 0
.LBB301_568:
	s_andn2_b64 vcc, exec, s[4:5]
	s_cbranch_vccnz .LBB301_570
; %bb.569:
	s_mov_b32 s52, s33
.LBB301_570:
	s_movk_i32 s4, 0x7f
	v_cmp_gt_i16_sdwa s[48:49], v2, s4 src0_sel:BYTE_3 src1_sel:DWORD
	s_mov_b64 s[4:5], 0
	s_and_saveexec_b64 s[50:51], s[48:49]
	s_xor_b64 s[48:49], exec, s[50:51]
	s_cbranch_execnz .LBB301_577
; %bb.571:
	s_or_saveexec_b64 s[48:49], s[48:49]
	v_mov_b32_e32 v3, 0x7f800001
	s_xor_b64 exec, exec, s[48:49]
	s_cbranch_execnz .LBB301_580
.LBB301_572:
	s_or_b64 exec, exec, s[48:49]
	s_and_saveexec_b64 s[48:49], s[4:5]
	s_cbranch_execz .LBB301_574
.LBB301_573:
	v_bfe_u32 v3, v2, 24, 3
	v_ffbh_u32_e32 v5, v3
	v_min_u32_e32 v5, 32, v5
	v_subrev_u32_e32 v6, 28, v5
	v_bfe_u32 v4, v2, 27, 4
	v_lshlrev_b32_sdwa v6, v6, v2 dst_sel:DWORD dst_unused:UNUSED_PAD src0_sel:DWORD src1_sel:BYTE_3
	v_sub_u32_e32 v5, 29, v5
	v_and_b32_e32 v6, 7, v6
	v_cmp_eq_u32_e32 vcc, 0, v4
	v_cndmask_b32_e32 v4, v4, v5, vcc
	v_cndmask_b32_e32 v3, v3, v6, vcc
	v_mov_b32_e32 v5, 0x3b800000
	v_lshlrev_b32_e32 v3, 20, v3
	v_and_b32_e32 v2, 0x80000000, v2
	v_lshl_add_u32 v4, v4, 23, v5
	v_or3_b32 v3, v2, v4, v3
.LBB301_574:
	s_or_b64 exec, exec, s[48:49]
	v_cmp_eq_f32_e64 s[4:5], s52, v3
.LBB301_575:
	v_cndmask_b32_e64 v2, 0, 1, s[10:11]
	v_lshlrev_b16_e32 v2, 8, v2
	v_cndmask_b32_e64 v3, 0, 1, s[8:9]
	v_or_b32_e32 v2, v3, v2
	v_cndmask_b32_e64 v3, 0, 1, s[22:23]
	v_lshlrev_b16_e32 v3, 8, v3
	v_cndmask_b32_e64 v4, 0, 1, s[20:21]
	v_or_b32_sdwa v3, v4, v3 dst_sel:WORD_1 dst_unused:UNUSED_PAD src0_sel:DWORD src1_sel:DWORD
	v_or_b32_sdwa v2, v2, v3 dst_sel:DWORD dst_unused:UNUSED_PAD src0_sel:WORD_0 src1_sel:DWORD
	v_cndmask_b32_e64 v3, 0, 1, s[26:27]
	v_lshlrev_b16_e32 v3, 8, v3
	v_cndmask_b32_e64 v4, 0, 1, s[24:25]
	v_or_b32_e32 v3, v4, v3
	v_cndmask_b32_e64 v4, 0, 1, s[30:31]
	v_lshlrev_b16_e32 v4, 8, v4
	v_cndmask_b32_e64 v5, 0, 1, s[28:29]
	v_or_b32_sdwa v4, v5, v4 dst_sel:WORD_1 dst_unused:UNUSED_PAD src0_sel:DWORD src1_sel:DWORD
	v_or_b32_sdwa v3, v3, v4 dst_sel:DWORD dst_unused:UNUSED_PAD src0_sel:WORD_0 src1_sel:DWORD
	v_cndmask_b32_e64 v4, 0, 1, s[36:37]
	v_lshlrev_b16_e32 v4, 8, v4
	v_cndmask_b32_e64 v5, 0, 1, s[34:35]
	v_or_b32_e32 v4, v5, v4
	v_cndmask_b32_e64 v5, 0, 1, s[40:41]
	v_lshlrev_b16_e32 v5, 8, v5
	v_cndmask_b32_e64 v6, 0, 1, s[38:39]
	v_or_b32_sdwa v5, v6, v5 dst_sel:WORD_1 dst_unused:UNUSED_PAD src0_sel:DWORD src1_sel:DWORD
	v_or_b32_sdwa v4, v4, v5 dst_sel:DWORD dst_unused:UNUSED_PAD src0_sel:WORD_0 src1_sel:DWORD
	v_cndmask_b32_e64 v5, 0, 1, s[44:45]
	v_lshlrev_b16_e32 v5, 8, v5
	v_cndmask_b32_e64 v6, 0, 1, s[42:43]
	v_or_b32_e32 v5, v6, v5
	v_cndmask_b32_e64 v6, 0, 1, s[4:5]
	v_lshlrev_b16_e32 v6, 8, v6
	v_cndmask_b32_e64 v7, 0, 1, s[46:47]
	s_add_u32 s4, s16, s15
	v_or_b32_sdwa v6, v7, v6 dst_sel:WORD_1 dst_unused:UNUSED_PAD src0_sel:DWORD src1_sel:DWORD
	s_addc_u32 s5, s17, s12
	v_or_b32_sdwa v5, v5, v6 dst_sel:DWORD dst_unused:UNUSED_PAD src0_sel:WORD_0 src1_sel:DWORD
	global_store_dword v1, v2, s[4:5]
	global_store_dword v1, v3, s[4:5] offset:1024
	global_store_dword v1, v4, s[4:5] offset:2048
	;; [unrolled: 1-line block ×3, first 2 shown]
	s_branch .LBB301_2
.LBB301_576:
	s_getpc_b64 s[4:5]
	s_add_u32 s4, s4, _ZN2at6native25elementwise_kernel_helperILb0ENS0_13AUnaryFunctorIN3c1015Float8_e4m3fnuzES4_bNS0_12_GLOBAL__N_116CompareEqFunctorIS4_EEEENS0_6memory8policies11unroll_baseILi256ESt5arrayIPcLm2EE23TrivialOffsetCalculatorILi1EjESG_NS9_15LoadWithoutCastENS9_16StoreWithoutCastELi16ELi1EEEEEvT0_T1_@rel32@lo+4
	s_addc_u32 s5, s5, _ZN2at6native25elementwise_kernel_helperILb0ENS0_13AUnaryFunctorIN3c1015Float8_e4m3fnuzES4_bNS0_12_GLOBAL__N_116CompareEqFunctorIS4_EEEENS0_6memory8policies11unroll_baseILi256ESt5arrayIPcLm2EE23TrivialOffsetCalculatorILi1EjESG_NS9_15LoadWithoutCastENS9_16StoreWithoutCastELi16ELi1EEEEEvT0_T1_@rel32@hi+12
	s_mov_b32 s12, s6
	v_mov_b32_e32 v31, v0
	v_mov_b32_e32 v0, s13
	;; [unrolled: 1-line block ×8, first 2 shown]
	s_swappc_b64 s[30:31], s[4:5]
	s_endpgm
.LBB301_577:
	s_movk_i32 s4, 0x80
	v_cmp_eq_u16_sdwa s[54:55], v2, s4 src0_sel:BYTE_3 src1_sel:DWORD
	s_mov_b64 s[4:5], -1
	s_and_saveexec_b64 s[50:51], s[54:55]
; %bb.578:
	s_xor_b64 s[4:5], exec, -1
; %bb.579:
	s_or_b64 exec, exec, s[50:51]
	s_and_b64 s[4:5], s[4:5], exec
	s_or_saveexec_b64 s[48:49], s[48:49]
	v_mov_b32_e32 v3, 0x7f800001
	s_xor_b64 exec, exec, s[48:49]
	s_cbranch_execz .LBB301_572
.LBB301_580:
	v_mov_b32_e32 v3, 0
	v_cmp_ne_u16_sdwa s[50:51], v2, v3 src0_sel:BYTE_3 src1_sel:DWORD
	s_andn2_b64 s[4:5], s[4:5], exec
	s_and_b64 s[50:51], s[50:51], exec
	s_or_b64 s[4:5], s[4:5], s[50:51]
	s_or_b64 exec, exec, s[48:49]
	s_and_saveexec_b64 s[48:49], s[4:5]
	s_cbranch_execnz .LBB301_573
	s_branch .LBB301_574
	.section	.rodata,"a",@progbits
	.p2align	6, 0x0
	.amdhsa_kernel _ZN2at6native29vectorized_elementwise_kernelILi4ENS0_13AUnaryFunctorIN3c1015Float8_e4m3fnuzES4_bNS0_12_GLOBAL__N_116CompareEqFunctorIS4_EEEESt5arrayIPcLm2EEEEviT0_T1_
		.amdhsa_group_segment_fixed_size 0
		.amdhsa_private_segment_fixed_size 0
		.amdhsa_kernarg_size 32
		.amdhsa_user_sgpr_count 6
		.amdhsa_user_sgpr_private_segment_buffer 1
		.amdhsa_user_sgpr_dispatch_ptr 0
		.amdhsa_user_sgpr_queue_ptr 0
		.amdhsa_user_sgpr_kernarg_segment_ptr 1
		.amdhsa_user_sgpr_dispatch_id 0
		.amdhsa_user_sgpr_flat_scratch_init 0
		.amdhsa_user_sgpr_private_segment_size 0
		.amdhsa_uses_dynamic_stack 0
		.amdhsa_system_sgpr_private_segment_wavefront_offset 0
		.amdhsa_system_sgpr_workgroup_id_x 1
		.amdhsa_system_sgpr_workgroup_id_y 0
		.amdhsa_system_sgpr_workgroup_id_z 0
		.amdhsa_system_sgpr_workgroup_info 0
		.amdhsa_system_vgpr_workitem_id 0
		.amdhsa_next_free_vgpr 32
		.amdhsa_next_free_sgpr 57
		.amdhsa_reserve_vcc 1
		.amdhsa_reserve_flat_scratch 0
		.amdhsa_float_round_mode_32 0
		.amdhsa_float_round_mode_16_64 0
		.amdhsa_float_denorm_mode_32 3
		.amdhsa_float_denorm_mode_16_64 3
		.amdhsa_dx10_clamp 1
		.amdhsa_ieee_mode 1
		.amdhsa_fp16_overflow 0
		.amdhsa_exception_fp_ieee_invalid_op 0
		.amdhsa_exception_fp_denorm_src 0
		.amdhsa_exception_fp_ieee_div_zero 0
		.amdhsa_exception_fp_ieee_overflow 0
		.amdhsa_exception_fp_ieee_underflow 0
		.amdhsa_exception_fp_ieee_inexact 0
		.amdhsa_exception_int_div_zero 0
	.end_amdhsa_kernel
	.section	.text._ZN2at6native29vectorized_elementwise_kernelILi4ENS0_13AUnaryFunctorIN3c1015Float8_e4m3fnuzES4_bNS0_12_GLOBAL__N_116CompareEqFunctorIS4_EEEESt5arrayIPcLm2EEEEviT0_T1_,"axG",@progbits,_ZN2at6native29vectorized_elementwise_kernelILi4ENS0_13AUnaryFunctorIN3c1015Float8_e4m3fnuzES4_bNS0_12_GLOBAL__N_116CompareEqFunctorIS4_EEEESt5arrayIPcLm2EEEEviT0_T1_,comdat
.Lfunc_end301:
	.size	_ZN2at6native29vectorized_elementwise_kernelILi4ENS0_13AUnaryFunctorIN3c1015Float8_e4m3fnuzES4_bNS0_12_GLOBAL__N_116CompareEqFunctorIS4_EEEESt5arrayIPcLm2EEEEviT0_T1_, .Lfunc_end301-_ZN2at6native29vectorized_elementwise_kernelILi4ENS0_13AUnaryFunctorIN3c1015Float8_e4m3fnuzES4_bNS0_12_GLOBAL__N_116CompareEqFunctorIS4_EEEESt5arrayIPcLm2EEEEviT0_T1_
                                        ; -- End function
	.set _ZN2at6native29vectorized_elementwise_kernelILi4ENS0_13AUnaryFunctorIN3c1015Float8_e4m3fnuzES4_bNS0_12_GLOBAL__N_116CompareEqFunctorIS4_EEEESt5arrayIPcLm2EEEEviT0_T1_.num_vgpr, max(32, .L_ZN2at6native25elementwise_kernel_helperILb0ENS0_13AUnaryFunctorIN3c1015Float8_e4m3fnuzES4_bNS0_12_GLOBAL__N_116CompareEqFunctorIS4_EEEENS0_6memory8policies11unroll_baseILi256ESt5arrayIPcLm2EE23TrivialOffsetCalculatorILi1EjESG_NS9_15LoadWithoutCastENS9_16StoreWithoutCastELi16ELi1EEEEEvT0_T1_.num_vgpr)
	.set _ZN2at6native29vectorized_elementwise_kernelILi4ENS0_13AUnaryFunctorIN3c1015Float8_e4m3fnuzES4_bNS0_12_GLOBAL__N_116CompareEqFunctorIS4_EEEESt5arrayIPcLm2EEEEviT0_T1_.num_agpr, max(0, .L_ZN2at6native25elementwise_kernel_helperILb0ENS0_13AUnaryFunctorIN3c1015Float8_e4m3fnuzES4_bNS0_12_GLOBAL__N_116CompareEqFunctorIS4_EEEENS0_6memory8policies11unroll_baseILi256ESt5arrayIPcLm2EE23TrivialOffsetCalculatorILi1EjESG_NS9_15LoadWithoutCastENS9_16StoreWithoutCastELi16ELi1EEEEEvT0_T1_.num_agpr)
	.set _ZN2at6native29vectorized_elementwise_kernelILi4ENS0_13AUnaryFunctorIN3c1015Float8_e4m3fnuzES4_bNS0_12_GLOBAL__N_116CompareEqFunctorIS4_EEEESt5arrayIPcLm2EEEEviT0_T1_.numbered_sgpr, max(56, .L_ZN2at6native25elementwise_kernel_helperILb0ENS0_13AUnaryFunctorIN3c1015Float8_e4m3fnuzES4_bNS0_12_GLOBAL__N_116CompareEqFunctorIS4_EEEENS0_6memory8policies11unroll_baseILi256ESt5arrayIPcLm2EE23TrivialOffsetCalculatorILi1EjESG_NS9_15LoadWithoutCastENS9_16StoreWithoutCastELi16ELi1EEEEEvT0_T1_.numbered_sgpr)
	.set _ZN2at6native29vectorized_elementwise_kernelILi4ENS0_13AUnaryFunctorIN3c1015Float8_e4m3fnuzES4_bNS0_12_GLOBAL__N_116CompareEqFunctorIS4_EEEESt5arrayIPcLm2EEEEviT0_T1_.num_named_barrier, max(0, .L_ZN2at6native25elementwise_kernel_helperILb0ENS0_13AUnaryFunctorIN3c1015Float8_e4m3fnuzES4_bNS0_12_GLOBAL__N_116CompareEqFunctorIS4_EEEENS0_6memory8policies11unroll_baseILi256ESt5arrayIPcLm2EE23TrivialOffsetCalculatorILi1EjESG_NS9_15LoadWithoutCastENS9_16StoreWithoutCastELi16ELi1EEEEEvT0_T1_.num_named_barrier)
	.set _ZN2at6native29vectorized_elementwise_kernelILi4ENS0_13AUnaryFunctorIN3c1015Float8_e4m3fnuzES4_bNS0_12_GLOBAL__N_116CompareEqFunctorIS4_EEEESt5arrayIPcLm2EEEEviT0_T1_.private_seg_size, 0+max(.L_ZN2at6native25elementwise_kernel_helperILb0ENS0_13AUnaryFunctorIN3c1015Float8_e4m3fnuzES4_bNS0_12_GLOBAL__N_116CompareEqFunctorIS4_EEEENS0_6memory8policies11unroll_baseILi256ESt5arrayIPcLm2EE23TrivialOffsetCalculatorILi1EjESG_NS9_15LoadWithoutCastENS9_16StoreWithoutCastELi16ELi1EEEEEvT0_T1_.private_seg_size)
	.set _ZN2at6native29vectorized_elementwise_kernelILi4ENS0_13AUnaryFunctorIN3c1015Float8_e4m3fnuzES4_bNS0_12_GLOBAL__N_116CompareEqFunctorIS4_EEEESt5arrayIPcLm2EEEEviT0_T1_.uses_vcc, or(1, .L_ZN2at6native25elementwise_kernel_helperILb0ENS0_13AUnaryFunctorIN3c1015Float8_e4m3fnuzES4_bNS0_12_GLOBAL__N_116CompareEqFunctorIS4_EEEENS0_6memory8policies11unroll_baseILi256ESt5arrayIPcLm2EE23TrivialOffsetCalculatorILi1EjESG_NS9_15LoadWithoutCastENS9_16StoreWithoutCastELi16ELi1EEEEEvT0_T1_.uses_vcc)
	.set _ZN2at6native29vectorized_elementwise_kernelILi4ENS0_13AUnaryFunctorIN3c1015Float8_e4m3fnuzES4_bNS0_12_GLOBAL__N_116CompareEqFunctorIS4_EEEESt5arrayIPcLm2EEEEviT0_T1_.uses_flat_scratch, or(0, .L_ZN2at6native25elementwise_kernel_helperILb0ENS0_13AUnaryFunctorIN3c1015Float8_e4m3fnuzES4_bNS0_12_GLOBAL__N_116CompareEqFunctorIS4_EEEENS0_6memory8policies11unroll_baseILi256ESt5arrayIPcLm2EE23TrivialOffsetCalculatorILi1EjESG_NS9_15LoadWithoutCastENS9_16StoreWithoutCastELi16ELi1EEEEEvT0_T1_.uses_flat_scratch)
	.set _ZN2at6native29vectorized_elementwise_kernelILi4ENS0_13AUnaryFunctorIN3c1015Float8_e4m3fnuzES4_bNS0_12_GLOBAL__N_116CompareEqFunctorIS4_EEEESt5arrayIPcLm2EEEEviT0_T1_.has_dyn_sized_stack, or(0, .L_ZN2at6native25elementwise_kernel_helperILb0ENS0_13AUnaryFunctorIN3c1015Float8_e4m3fnuzES4_bNS0_12_GLOBAL__N_116CompareEqFunctorIS4_EEEENS0_6memory8policies11unroll_baseILi256ESt5arrayIPcLm2EE23TrivialOffsetCalculatorILi1EjESG_NS9_15LoadWithoutCastENS9_16StoreWithoutCastELi16ELi1EEEEEvT0_T1_.has_dyn_sized_stack)
	.set _ZN2at6native29vectorized_elementwise_kernelILi4ENS0_13AUnaryFunctorIN3c1015Float8_e4m3fnuzES4_bNS0_12_GLOBAL__N_116CompareEqFunctorIS4_EEEESt5arrayIPcLm2EEEEviT0_T1_.has_recursion, or(0, .L_ZN2at6native25elementwise_kernel_helperILb0ENS0_13AUnaryFunctorIN3c1015Float8_e4m3fnuzES4_bNS0_12_GLOBAL__N_116CompareEqFunctorIS4_EEEENS0_6memory8policies11unroll_baseILi256ESt5arrayIPcLm2EE23TrivialOffsetCalculatorILi1EjESG_NS9_15LoadWithoutCastENS9_16StoreWithoutCastELi16ELi1EEEEEvT0_T1_.has_recursion)
	.set _ZN2at6native29vectorized_elementwise_kernelILi4ENS0_13AUnaryFunctorIN3c1015Float8_e4m3fnuzES4_bNS0_12_GLOBAL__N_116CompareEqFunctorIS4_EEEESt5arrayIPcLm2EEEEviT0_T1_.has_indirect_call, or(0, .L_ZN2at6native25elementwise_kernel_helperILb0ENS0_13AUnaryFunctorIN3c1015Float8_e4m3fnuzES4_bNS0_12_GLOBAL__N_116CompareEqFunctorIS4_EEEENS0_6memory8policies11unroll_baseILi256ESt5arrayIPcLm2EE23TrivialOffsetCalculatorILi1EjESG_NS9_15LoadWithoutCastENS9_16StoreWithoutCastELi16ELi1EEEEEvT0_T1_.has_indirect_call)
	.section	.AMDGPU.csdata,"",@progbits
; Kernel info:
; codeLenInByte = 12412
; TotalNumSgprs: 61
; NumVgprs: 32
; ScratchSize: 0
; MemoryBound: 0
; FloatMode: 240
; IeeeMode: 1
; LDSByteSize: 0 bytes/workgroup (compile time only)
; SGPRBlocks: 7
; VGPRBlocks: 7
; NumSGPRsForWavesPerEU: 61
; NumVGPRsForWavesPerEU: 32
; Occupancy: 8
; WaveLimiterHint : 1
; COMPUTE_PGM_RSRC2:SCRATCH_EN: 0
; COMPUTE_PGM_RSRC2:USER_SGPR: 6
; COMPUTE_PGM_RSRC2:TRAP_HANDLER: 0
; COMPUTE_PGM_RSRC2:TGID_X_EN: 1
; COMPUTE_PGM_RSRC2:TGID_Y_EN: 0
; COMPUTE_PGM_RSRC2:TGID_Z_EN: 0
; COMPUTE_PGM_RSRC2:TIDIG_COMP_CNT: 0
	.section	.text._ZN2at6native29vectorized_elementwise_kernelILi2ENS0_13AUnaryFunctorIN3c1015Float8_e4m3fnuzES4_bNS0_12_GLOBAL__N_116CompareEqFunctorIS4_EEEESt5arrayIPcLm2EEEEviT0_T1_,"axG",@progbits,_ZN2at6native29vectorized_elementwise_kernelILi2ENS0_13AUnaryFunctorIN3c1015Float8_e4m3fnuzES4_bNS0_12_GLOBAL__N_116CompareEqFunctorIS4_EEEESt5arrayIPcLm2EEEEviT0_T1_,comdat
	.globl	_ZN2at6native29vectorized_elementwise_kernelILi2ENS0_13AUnaryFunctorIN3c1015Float8_e4m3fnuzES4_bNS0_12_GLOBAL__N_116CompareEqFunctorIS4_EEEESt5arrayIPcLm2EEEEviT0_T1_ ; -- Begin function _ZN2at6native29vectorized_elementwise_kernelILi2ENS0_13AUnaryFunctorIN3c1015Float8_e4m3fnuzES4_bNS0_12_GLOBAL__N_116CompareEqFunctorIS4_EEEESt5arrayIPcLm2EEEEviT0_T1_
	.p2align	8
	.type	_ZN2at6native29vectorized_elementwise_kernelILi2ENS0_13AUnaryFunctorIN3c1015Float8_e4m3fnuzES4_bNS0_12_GLOBAL__N_116CompareEqFunctorIS4_EEEESt5arrayIPcLm2EEEEviT0_T1_,@function
_ZN2at6native29vectorized_elementwise_kernelILi2ENS0_13AUnaryFunctorIN3c1015Float8_e4m3fnuzES4_bNS0_12_GLOBAL__N_116CompareEqFunctorIS4_EEEESt5arrayIPcLm2EEEEviT0_T1_: ; @_ZN2at6native29vectorized_elementwise_kernelILi2ENS0_13AUnaryFunctorIN3c1015Float8_e4m3fnuzES4_bNS0_12_GLOBAL__N_116CompareEqFunctorIS4_EEEESt5arrayIPcLm2EEEEviT0_T1_
; %bb.0:
	s_load_dwordx8 s[12:19], s[4:5], 0x0
	s_add_u32 s0, s0, s7
	s_addc_u32 s1, s1, 0
	s_waitcnt lgkmcnt(0)
	s_lshl_b32 s15, s6, 12
	s_mov_b64 s[4:5], -1
	s_sub_i32 s7, s12, s15
	s_cmpk_gt_i32 s7, 0xfff
	s_mov_b32 s32, 0
	s_cbranch_scc1 .LBB302_3
; %bb.1:
	s_and_b64 vcc, exec, s[4:5]
	s_cbranch_vccnz .LBB302_576
.LBB302_2:
	s_endpgm
.LBB302_3:
	s_ashr_i32 s12, s15, 31
	s_add_u32 s4, s18, s15
	s_addc_u32 s5, s19, s12
	v_lshlrev_b32_e32 v1, 1, v0
	global_load_ushort v9, v1, s[4:5]
	global_load_ushort v8, v1, s[4:5] offset:512
	global_load_ushort v7, v1, s[4:5] offset:1024
	;; [unrolled: 1-line block ×7, first 2 shown]
	s_cmp_lg_u32 s13, 0
	s_cselect_b64 s[10:11], -1, 0
	s_and_b32 s4, s14, 7
	s_flbit_i32_b32 s8, s4
	s_min_u32 s8, s8, 32
	s_sub_i32 s9, s8, 28
	s_lshl_b32 s9, s14, s9
	s_bfe_u32 s5, s14, 0x40003
	s_sub_i32 s8, 29, s8
	s_and_b32 s9, s9, 7
	s_cmp_eq_u32 s5, 0
	s_cselect_b32 s5, s8, s5
	s_cselect_b32 s4, s9, s4
	s_lshl_b32 s8, s14, 24
	s_lshl_b32 s5, s5, 23
	s_and_b32 s8, s8, 0x80000000
	s_add_i32 s5, s5, 0x3b800000
	s_lshl_b32 s4, s4, 20
	s_or_b32 s5, s8, s5
	s_or_b32 s33, s5, s4
	s_and_b64 vcc, exec, s[10:11]
	s_cbranch_vccz .LBB302_8
; %bb.4:
	s_and_b32 s20, s14, 0xff
	s_cmpk_lt_i32 s20, 0x80
	s_cbranch_scc1 .LBB302_9
; %bb.5:
	s_and_b32 s4, 0xffff, s20
	s_cmpk_eq_i32 s4, 0x80
	s_mov_b64 s[4:5], -1
	s_cbranch_scc0 .LBB302_7
; %bb.6:
	s_mov_b64 s[4:5], 0
.LBB302_7:
	s_mov_b32 s22, 0x7f800001
	s_branch .LBB302_11
.LBB302_8:
                                        ; implicit-def: $sgpr8_sgpr9
	s_cbranch_execnz .LBB302_18
	s_branch .LBB302_35
.LBB302_9:
	s_mov_b64 s[4:5], 0
	s_mov_b32 s22, 0x7f800001
	s_cbranch_execz .LBB302_11
; %bb.10:
	s_and_b32 s4, 0xffff, s20
	s_cmp_lg_u32 s4, 0
	s_mov_b32 s22, 0
	s_cselect_b64 s[4:5], -1, 0
.LBB302_11:
	s_andn2_b64 vcc, exec, s[4:5]
	s_cbranch_vccnz .LBB302_13
; %bb.12:
	s_mov_b32 s22, s33
.LBB302_13:
	s_movk_i32 s4, 0x7f
	s_waitcnt vmcnt(7)
	v_cmp_gt_i16_sdwa s[8:9], v9, s4 src0_sel:BYTE_0 src1_sel:DWORD
	s_mov_b64 s[4:5], 0
	s_and_saveexec_b64 s[20:21], s[8:9]
	s_xor_b64 s[8:9], exec, s[20:21]
	s_cbranch_execnz .LBB302_22
; %bb.14:
	s_or_saveexec_b64 s[8:9], s[8:9]
	v_mov_b32_e32 v10, 0x7f800001
	s_xor_b64 exec, exec, s[8:9]
	s_cbranch_execnz .LBB302_25
.LBB302_15:
	s_or_b64 exec, exec, s[8:9]
	s_and_saveexec_b64 s[8:9], s[4:5]
	s_cbranch_execz .LBB302_17
.LBB302_16:
	s_mov_b32 s4, 0xffff
	v_and_b32_sdwa v10, s4, v9 dst_sel:DWORD dst_unused:UNUSED_PAD src0_sel:DWORD src1_sel:BYTE_0
	v_and_b32_e32 v11, 7, v10
	v_ffbh_u32_e32 v13, v11
	v_min_u32_e32 v13, 32, v13
	v_subrev_u32_e32 v14, 28, v13
	v_bfe_u32 v12, v10, 3, 4
	v_lshlrev_b32_e32 v10, v14, v10
	v_sub_u32_e32 v13, 29, v13
	v_and_b32_e32 v10, 7, v10
	v_cmp_eq_u32_e32 vcc, 0, v12
	v_cndmask_b32_e32 v12, v12, v13, vcc
	v_cndmask_b32_e32 v10, v11, v10, vcc
	v_lshlrev_b32_e32 v11, 24, v9
	v_mov_b32_e32 v13, 0x3b800000
	v_lshlrev_b32_e32 v10, 20, v10
	v_and_b32_e32 v11, 0x80000000, v11
	v_lshl_add_u32 v12, v12, 23, v13
	v_or3_b32 v10, v11, v12, v10
.LBB302_17:
	s_or_b64 exec, exec, s[8:9]
	v_cmp_neq_f32_e64 s[8:9], s22, v10
	s_branch .LBB302_35
.LBB302_18:
	s_and_b32 s20, s14, 0xff
	s_cmpk_lt_i32 s20, 0x80
	s_cbranch_scc1 .LBB302_26
; %bb.19:
	s_and_b32 s4, 0xffff, s20
	s_cmpk_eq_i32 s4, 0x80
	s_mov_b64 s[4:5], -1
	s_cbranch_scc0 .LBB302_21
; %bb.20:
	s_mov_b64 s[4:5], 0
.LBB302_21:
	s_mov_b32 s22, 0x7f800001
	s_branch .LBB302_28
.LBB302_22:
	s_movk_i32 s4, 0x80
	v_cmp_eq_u16_sdwa s[24:25], v9, s4 src0_sel:BYTE_0 src1_sel:DWORD
	s_mov_b64 s[4:5], -1
	s_and_saveexec_b64 s[20:21], s[24:25]
; %bb.23:
	s_xor_b64 s[4:5], exec, -1
; %bb.24:
	s_or_b64 exec, exec, s[20:21]
	s_and_b64 s[4:5], s[4:5], exec
	s_or_saveexec_b64 s[8:9], s[8:9]
	v_mov_b32_e32 v10, 0x7f800001
	s_xor_b64 exec, exec, s[8:9]
	s_cbranch_execz .LBB302_15
.LBB302_25:
	v_mov_b32_e32 v10, 0
	v_cmp_ne_u16_sdwa s[20:21], v9, v10 src0_sel:BYTE_0 src1_sel:DWORD
	s_andn2_b64 s[4:5], s[4:5], exec
	s_and_b64 s[20:21], s[20:21], exec
	s_or_b64 s[4:5], s[4:5], s[20:21]
	s_or_b64 exec, exec, s[8:9]
	s_and_saveexec_b64 s[8:9], s[4:5]
	s_cbranch_execnz .LBB302_16
	s_branch .LBB302_17
.LBB302_26:
	s_mov_b64 s[4:5], 0
	s_mov_b32 s22, 0x7f800001
	s_cbranch_execz .LBB302_28
; %bb.27:
	s_and_b32 s4, 0xffff, s20
	s_cmp_lg_u32 s4, 0
	s_mov_b32 s22, 0
	s_cselect_b64 s[4:5], -1, 0
.LBB302_28:
	s_andn2_b64 vcc, exec, s[4:5]
	s_cbranch_vccnz .LBB302_30
; %bb.29:
	s_mov_b32 s22, s33
.LBB302_30:
	s_movk_i32 s4, 0x7f
	s_waitcnt vmcnt(7)
	v_cmp_gt_i16_sdwa s[8:9], v9, s4 src0_sel:BYTE_0 src1_sel:DWORD
	s_mov_b64 s[4:5], 0
	s_and_saveexec_b64 s[20:21], s[8:9]
	s_xor_b64 s[8:9], exec, s[20:21]
	s_cbranch_execnz .LBB302_310
; %bb.31:
	s_or_saveexec_b64 s[8:9], s[8:9]
	v_mov_b32_e32 v10, 0x7f800001
	s_xor_b64 exec, exec, s[8:9]
	s_cbranch_execnz .LBB302_313
.LBB302_32:
	s_or_b64 exec, exec, s[8:9]
	s_and_saveexec_b64 s[8:9], s[4:5]
	s_cbranch_execz .LBB302_34
.LBB302_33:
	s_mov_b32 s4, 0xffff
	v_and_b32_sdwa v10, s4, v9 dst_sel:DWORD dst_unused:UNUSED_PAD src0_sel:DWORD src1_sel:BYTE_0
	v_and_b32_e32 v11, 7, v10
	v_ffbh_u32_e32 v13, v11
	v_min_u32_e32 v13, 32, v13
	v_subrev_u32_e32 v14, 28, v13
	v_bfe_u32 v12, v10, 3, 4
	v_lshlrev_b32_e32 v10, v14, v10
	v_sub_u32_e32 v13, 29, v13
	v_and_b32_e32 v10, 7, v10
	v_cmp_eq_u32_e32 vcc, 0, v12
	v_cndmask_b32_e32 v12, v12, v13, vcc
	v_cndmask_b32_e32 v10, v11, v10, vcc
	v_lshlrev_b32_e32 v11, 24, v9
	v_mov_b32_e32 v13, 0x3b800000
	v_lshlrev_b32_e32 v10, 20, v10
	v_and_b32_e32 v11, 0x80000000, v11
	v_lshl_add_u32 v12, v12, 23, v13
	v_or3_b32 v10, v11, v12, v10
.LBB302_34:
	s_or_b64 exec, exec, s[8:9]
	v_cmp_eq_f32_e64 s[8:9], s22, v10
.LBB302_35:
	v_cndmask_b32_e64 v10, 0, 1, s[10:11]
	v_cmp_ne_u32_e64 s[4:5], 1, v10
	s_andn2_b64 vcc, exec, s[10:11]
	s_waitcnt vmcnt(7)
	v_lshrrev_b16_e32 v10, 8, v9
	s_cbranch_vccnz .LBB302_40
; %bb.36:
	s_and_b32 s22, s14, 0xff
	s_cmpk_lt_i32 s22, 0x80
	s_cbranch_scc1 .LBB302_46
; %bb.37:
	s_and_b32 s10, 0xffff, s22
	s_cmpk_eq_i32 s10, 0x80
	s_mov_b64 s[10:11], -1
	s_cbranch_scc0 .LBB302_39
; %bb.38:
	s_mov_b64 s[10:11], 0
.LBB302_39:
	s_mov_b32 s24, 0x7f800001
	s_branch .LBB302_48
.LBB302_40:
                                        ; implicit-def: $sgpr10_sgpr11
	s_cbranch_execnz .LBB302_55
.LBB302_41:
	s_and_b64 vcc, exec, s[4:5]
	s_cbranch_vccnz .LBB302_323
.LBB302_42:
	s_and_b32 s24, s14, 0xff
	s_cmpk_lt_i32 s24, 0x80
	s_cbranch_scc1 .LBB302_59
; %bb.43:
	s_and_b32 s20, 0xffff, s24
	s_cmpk_eq_i32 s20, 0x80
	s_mov_b64 s[20:21], -1
	s_cbranch_scc0 .LBB302_45
; %bb.44:
	s_mov_b64 s[20:21], 0
.LBB302_45:
	s_mov_b32 s26, 0x7f800001
	s_branch .LBB302_61
.LBB302_46:
	s_mov_b64 s[10:11], 0
	s_mov_b32 s24, 0x7f800001
	s_cbranch_execz .LBB302_48
; %bb.47:
	s_and_b32 s10, 0xffff, s22
	s_cmp_lg_u32 s10, 0
	s_mov_b32 s24, 0
	s_cselect_b64 s[10:11], -1, 0
.LBB302_48:
	s_andn2_b64 vcc, exec, s[10:11]
	s_cbranch_vccnz .LBB302_50
; %bb.49:
	s_mov_b32 s24, s33
.LBB302_50:
	s_movk_i32 s10, 0x7f
	v_cmp_gt_i16_sdwa s[20:21], v9, s10 src0_sel:BYTE_1 src1_sel:DWORD
	s_mov_b64 s[10:11], 0
	s_and_saveexec_b64 s[22:23], s[20:21]
	s_xor_b64 s[20:21], exec, s[22:23]
	s_cbranch_execnz .LBB302_73
; %bb.51:
	s_or_saveexec_b64 s[20:21], s[20:21]
	v_mov_b32_e32 v11, 0x7f800001
	s_xor_b64 exec, exec, s[20:21]
	s_cbranch_execnz .LBB302_76
.LBB302_52:
	s_or_b64 exec, exec, s[20:21]
	s_and_saveexec_b64 s[20:21], s[10:11]
	s_cbranch_execz .LBB302_54
.LBB302_53:
	v_and_b32_e32 v11, 7, v10
	v_ffbh_u32_e32 v13, v11
	v_min_u32_e32 v13, 32, v13
	v_subrev_u32_e32 v14, 28, v13
	v_bfe_u32 v12, v10, 3, 4
	v_lshlrev_b32_e32 v14, v14, v10
	v_sub_u32_e32 v13, 29, v13
	v_and_b32_e32 v14, 7, v14
	v_cmp_eq_u32_e32 vcc, 0, v12
	v_cndmask_b32_e32 v12, v12, v13, vcc
	v_cndmask_b32_e32 v11, v11, v14, vcc
	v_lshlrev_b32_e32 v13, 16, v9
	v_mov_b32_e32 v14, 0x3b800000
	v_lshlrev_b32_e32 v11, 20, v11
	v_and_b32_e32 v13, 0x80000000, v13
	v_lshl_add_u32 v12, v12, 23, v14
	v_or3_b32 v11, v13, v12, v11
.LBB302_54:
	s_or_b64 exec, exec, s[20:21]
	v_cmp_neq_f32_e64 s[10:11], s24, v11
	s_branch .LBB302_41
.LBB302_55:
	s_and_b32 s22, s14, 0xff
	s_cmpk_lt_i32 s22, 0x80
	s_cbranch_scc1 .LBB302_314
; %bb.56:
	s_and_b32 s10, 0xffff, s22
	s_cmpk_eq_i32 s10, 0x80
	s_mov_b64 s[10:11], -1
	s_cbranch_scc0 .LBB302_58
; %bb.57:
	s_mov_b64 s[10:11], 0
.LBB302_58:
	s_mov_b32 s24, 0x7f800001
	s_branch .LBB302_316
.LBB302_59:
	s_mov_b64 s[20:21], 0
	s_mov_b32 s26, 0x7f800001
	s_cbranch_execz .LBB302_61
; %bb.60:
	s_and_b32 s20, 0xffff, s24
	s_cmp_lg_u32 s20, 0
	s_mov_b32 s26, 0
	s_cselect_b64 s[20:21], -1, 0
.LBB302_61:
	s_andn2_b64 vcc, exec, s[20:21]
	s_cbranch_vccnz .LBB302_63
; %bb.62:
	s_mov_b32 s26, s33
.LBB302_63:
	s_movk_i32 s20, 0x7f
	s_waitcnt vmcnt(6)
	v_cmp_gt_i16_sdwa s[22:23], v8, s20 src0_sel:BYTE_0 src1_sel:DWORD
	s_mov_b64 s[20:21], 0
	s_and_saveexec_b64 s[24:25], s[22:23]
	s_xor_b64 s[22:23], exec, s[24:25]
	s_cbranch_execnz .LBB302_77
; %bb.64:
	s_or_saveexec_b64 s[22:23], s[22:23]
	v_mov_b32_e32 v9, 0x7f800001
	s_xor_b64 exec, exec, s[22:23]
	s_cbranch_execnz .LBB302_80
.LBB302_65:
	s_or_b64 exec, exec, s[22:23]
	s_and_saveexec_b64 s[22:23], s[20:21]
	s_cbranch_execz .LBB302_67
.LBB302_66:
	s_mov_b32 s20, 0xffff
	v_and_b32_sdwa v9, s20, v8 dst_sel:DWORD dst_unused:UNUSED_PAD src0_sel:DWORD src1_sel:BYTE_0
	v_and_b32_e32 v10, 7, v9
	v_ffbh_u32_e32 v12, v10
	v_min_u32_e32 v12, 32, v12
	v_subrev_u32_e32 v13, 28, v12
	v_bfe_u32 v11, v9, 3, 4
	v_lshlrev_b32_e32 v9, v13, v9
	v_sub_u32_e32 v12, 29, v12
	v_and_b32_e32 v9, 7, v9
	v_cmp_eq_u32_e32 vcc, 0, v11
	v_cndmask_b32_e32 v11, v11, v12, vcc
	v_cndmask_b32_e32 v9, v10, v9, vcc
	v_lshlrev_b32_e32 v10, 24, v8
	v_mov_b32_e32 v12, 0x3b800000
	v_lshlrev_b32_e32 v9, 20, v9
	v_and_b32_e32 v10, 0x80000000, v10
	v_lshl_add_u32 v11, v11, 23, v12
	v_or3_b32 v9, v10, v11, v9
.LBB302_67:
	s_or_b64 exec, exec, s[22:23]
	v_cmp_neq_f32_e64 s[20:21], s26, v9
.LBB302_68:
	s_and_b64 vcc, exec, s[4:5]
	s_waitcnt vmcnt(6)
	v_lshrrev_b16_e32 v9, 8, v8
	s_cbranch_vccnz .LBB302_341
.LBB302_69:
	s_and_b32 s26, s14, 0xff
	s_cmpk_lt_i32 s26, 0x80
	s_cbranch_scc1 .LBB302_81
; %bb.70:
	s_and_b32 s22, 0xffff, s26
	s_cmpk_eq_i32 s22, 0x80
	s_mov_b64 s[22:23], -1
	s_cbranch_scc0 .LBB302_72
; %bb.71:
	s_mov_b64 s[22:23], 0
.LBB302_72:
	s_mov_b32 s28, 0x7f800001
	s_branch .LBB302_83
.LBB302_73:
	s_movk_i32 s10, 0x80
	v_cmp_eq_u16_sdwa s[26:27], v9, s10 src0_sel:BYTE_1 src1_sel:DWORD
	s_mov_b64 s[10:11], -1
	s_and_saveexec_b64 s[22:23], s[26:27]
; %bb.74:
	s_xor_b64 s[10:11], exec, -1
; %bb.75:
	s_or_b64 exec, exec, s[22:23]
	s_and_b64 s[10:11], s[10:11], exec
	s_or_saveexec_b64 s[20:21], s[20:21]
	v_mov_b32_e32 v11, 0x7f800001
	s_xor_b64 exec, exec, s[20:21]
	s_cbranch_execz .LBB302_52
.LBB302_76:
	v_mov_b32_e32 v11, 0
	v_cmp_ne_u16_sdwa s[22:23], v9, v11 src0_sel:BYTE_1 src1_sel:DWORD
	s_andn2_b64 s[10:11], s[10:11], exec
	s_and_b64 s[22:23], s[22:23], exec
	s_or_b64 s[10:11], s[10:11], s[22:23]
	s_or_b64 exec, exec, s[20:21]
	s_and_saveexec_b64 s[20:21], s[10:11]
	s_cbranch_execnz .LBB302_53
	s_branch .LBB302_54
.LBB302_77:
	s_movk_i32 s20, 0x80
	v_cmp_eq_u16_sdwa s[28:29], v8, s20 src0_sel:BYTE_0 src1_sel:DWORD
	s_mov_b64 s[20:21], -1
	s_and_saveexec_b64 s[24:25], s[28:29]
; %bb.78:
	s_xor_b64 s[20:21], exec, -1
; %bb.79:
	s_or_b64 exec, exec, s[24:25]
	s_and_b64 s[20:21], s[20:21], exec
	s_or_saveexec_b64 s[22:23], s[22:23]
	v_mov_b32_e32 v9, 0x7f800001
	s_xor_b64 exec, exec, s[22:23]
	s_cbranch_execz .LBB302_65
.LBB302_80:
	v_mov_b32_e32 v9, 0
	v_cmp_ne_u16_sdwa s[24:25], v8, v9 src0_sel:BYTE_0 src1_sel:DWORD
	s_andn2_b64 s[20:21], s[20:21], exec
	s_and_b64 s[24:25], s[24:25], exec
	s_or_b64 s[20:21], s[20:21], s[24:25]
	s_or_b64 exec, exec, s[22:23]
	s_and_saveexec_b64 s[22:23], s[20:21]
	s_cbranch_execnz .LBB302_66
	s_branch .LBB302_67
.LBB302_81:
	s_mov_b64 s[22:23], 0
	s_mov_b32 s28, 0x7f800001
	s_cbranch_execz .LBB302_83
; %bb.82:
	s_and_b32 s22, 0xffff, s26
	s_cmp_lg_u32 s22, 0
	s_mov_b32 s28, 0
	s_cselect_b64 s[22:23], -1, 0
.LBB302_83:
	s_andn2_b64 vcc, exec, s[22:23]
	s_cbranch_vccnz .LBB302_85
; %bb.84:
	s_mov_b32 s28, s33
.LBB302_85:
	s_movk_i32 s22, 0x7f
	v_cmp_gt_i16_sdwa s[24:25], v8, s22 src0_sel:BYTE_1 src1_sel:DWORD
	s_mov_b64 s[22:23], 0
	s_and_saveexec_b64 s[26:27], s[24:25]
	s_xor_b64 s[24:25], exec, s[26:27]
	s_cbranch_execnz .LBB302_95
; %bb.86:
	s_or_saveexec_b64 s[24:25], s[24:25]
	v_mov_b32_e32 v10, 0x7f800001
	s_xor_b64 exec, exec, s[24:25]
	s_cbranch_execnz .LBB302_98
.LBB302_87:
	s_or_b64 exec, exec, s[24:25]
	s_and_saveexec_b64 s[24:25], s[22:23]
	s_cbranch_execz .LBB302_89
.LBB302_88:
	v_and_b32_e32 v10, 7, v9
	v_ffbh_u32_e32 v12, v10
	v_min_u32_e32 v12, 32, v12
	v_subrev_u32_e32 v13, 28, v12
	v_bfe_u32 v11, v9, 3, 4
	v_lshlrev_b32_e32 v13, v13, v9
	v_sub_u32_e32 v12, 29, v12
	v_and_b32_e32 v13, 7, v13
	v_cmp_eq_u32_e32 vcc, 0, v11
	v_cndmask_b32_e32 v11, v11, v12, vcc
	v_cndmask_b32_e32 v10, v10, v13, vcc
	v_lshlrev_b32_e32 v12, 16, v8
	v_mov_b32_e32 v13, 0x3b800000
	v_lshlrev_b32_e32 v10, 20, v10
	v_and_b32_e32 v12, 0x80000000, v12
	v_lshl_add_u32 v11, v11, 23, v13
	v_or3_b32 v10, v12, v11, v10
.LBB302_89:
	s_or_b64 exec, exec, s[24:25]
	v_cmp_neq_f32_e64 s[22:23], s28, v10
.LBB302_90:
	s_and_b64 vcc, exec, s[4:5]
	s_cbranch_vccnz .LBB302_359
.LBB302_91:
	s_and_b32 s28, s14, 0xff
	s_cmpk_lt_i32 s28, 0x80
	s_cbranch_scc1 .LBB302_99
; %bb.92:
	s_and_b32 s24, 0xffff, s28
	s_cmpk_eq_i32 s24, 0x80
	s_mov_b64 s[24:25], -1
	s_cbranch_scc0 .LBB302_94
; %bb.93:
	s_mov_b64 s[24:25], 0
.LBB302_94:
	s_mov_b32 s30, 0x7f800001
	s_branch .LBB302_101
.LBB302_95:
	s_movk_i32 s22, 0x80
	v_cmp_eq_u16_sdwa s[30:31], v8, s22 src0_sel:BYTE_1 src1_sel:DWORD
	s_mov_b64 s[22:23], -1
	s_and_saveexec_b64 s[26:27], s[30:31]
; %bb.96:
	s_xor_b64 s[22:23], exec, -1
; %bb.97:
	s_or_b64 exec, exec, s[26:27]
	s_and_b64 s[22:23], s[22:23], exec
	s_or_saveexec_b64 s[24:25], s[24:25]
	v_mov_b32_e32 v10, 0x7f800001
	s_xor_b64 exec, exec, s[24:25]
	s_cbranch_execz .LBB302_87
.LBB302_98:
	v_mov_b32_e32 v10, 0
	v_cmp_ne_u16_sdwa s[26:27], v8, v10 src0_sel:BYTE_1 src1_sel:DWORD
	s_andn2_b64 s[22:23], s[22:23], exec
	s_and_b64 s[26:27], s[26:27], exec
	s_or_b64 s[22:23], s[22:23], s[26:27]
	s_or_b64 exec, exec, s[24:25]
	s_and_saveexec_b64 s[24:25], s[22:23]
	s_cbranch_execnz .LBB302_88
	s_branch .LBB302_89
.LBB302_99:
	s_mov_b64 s[24:25], 0
	s_mov_b32 s30, 0x7f800001
	s_cbranch_execz .LBB302_101
; %bb.100:
	s_and_b32 s24, 0xffff, s28
	s_cmp_lg_u32 s24, 0
	s_mov_b32 s30, 0
	s_cselect_b64 s[24:25], -1, 0
.LBB302_101:
	s_andn2_b64 vcc, exec, s[24:25]
	s_cbranch_vccnz .LBB302_103
; %bb.102:
	s_mov_b32 s30, s33
.LBB302_103:
	s_movk_i32 s24, 0x7f
	s_waitcnt vmcnt(5)
	v_cmp_gt_i16_sdwa s[26:27], v7, s24 src0_sel:BYTE_0 src1_sel:DWORD
	s_mov_b64 s[24:25], 0
	s_and_saveexec_b64 s[28:29], s[26:27]
	s_xor_b64 s[26:27], exec, s[28:29]
	s_cbranch_execnz .LBB302_113
; %bb.104:
	s_or_saveexec_b64 s[26:27], s[26:27]
	v_mov_b32_e32 v8, 0x7f800001
	s_xor_b64 exec, exec, s[26:27]
	s_cbranch_execnz .LBB302_116
.LBB302_105:
	s_or_b64 exec, exec, s[26:27]
	s_and_saveexec_b64 s[26:27], s[24:25]
	s_cbranch_execz .LBB302_107
.LBB302_106:
	s_mov_b32 s24, 0xffff
	v_and_b32_sdwa v8, s24, v7 dst_sel:DWORD dst_unused:UNUSED_PAD src0_sel:DWORD src1_sel:BYTE_0
	v_and_b32_e32 v9, 7, v8
	v_ffbh_u32_e32 v11, v9
	v_min_u32_e32 v11, 32, v11
	v_subrev_u32_e32 v12, 28, v11
	v_bfe_u32 v10, v8, 3, 4
	v_lshlrev_b32_e32 v8, v12, v8
	v_sub_u32_e32 v11, 29, v11
	v_and_b32_e32 v8, 7, v8
	v_cmp_eq_u32_e32 vcc, 0, v10
	v_cndmask_b32_e32 v10, v10, v11, vcc
	v_cndmask_b32_e32 v8, v9, v8, vcc
	v_lshlrev_b32_e32 v9, 24, v7
	v_mov_b32_e32 v11, 0x3b800000
	v_lshlrev_b32_e32 v8, 20, v8
	v_and_b32_e32 v9, 0x80000000, v9
	v_lshl_add_u32 v10, v10, 23, v11
	v_or3_b32 v8, v9, v10, v8
.LBB302_107:
	s_or_b64 exec, exec, s[26:27]
	v_cmp_neq_f32_e64 s[24:25], s30, v8
.LBB302_108:
	s_and_b64 vcc, exec, s[4:5]
	s_waitcnt vmcnt(5)
	v_lshrrev_b16_e32 v8, 8, v7
	s_cbranch_vccnz .LBB302_377
.LBB302_109:
	s_and_b32 s30, s14, 0xff
	s_cmpk_lt_i32 s30, 0x80
	s_cbranch_scc1 .LBB302_117
; %bb.110:
	s_and_b32 s26, 0xffff, s30
	s_cmpk_eq_i32 s26, 0x80
	s_mov_b64 s[26:27], -1
	s_cbranch_scc0 .LBB302_112
; %bb.111:
	s_mov_b64 s[26:27], 0
.LBB302_112:
	s_mov_b32 s34, 0x7f800001
	s_branch .LBB302_119
.LBB302_113:
	s_movk_i32 s24, 0x80
	v_cmp_eq_u16_sdwa s[34:35], v7, s24 src0_sel:BYTE_0 src1_sel:DWORD
	s_mov_b64 s[24:25], -1
	s_and_saveexec_b64 s[28:29], s[34:35]
; %bb.114:
	s_xor_b64 s[24:25], exec, -1
; %bb.115:
	s_or_b64 exec, exec, s[28:29]
	s_and_b64 s[24:25], s[24:25], exec
	s_or_saveexec_b64 s[26:27], s[26:27]
	v_mov_b32_e32 v8, 0x7f800001
	s_xor_b64 exec, exec, s[26:27]
	s_cbranch_execz .LBB302_105
.LBB302_116:
	v_mov_b32_e32 v8, 0
	v_cmp_ne_u16_sdwa s[28:29], v7, v8 src0_sel:BYTE_0 src1_sel:DWORD
	s_andn2_b64 s[24:25], s[24:25], exec
	s_and_b64 s[28:29], s[28:29], exec
	s_or_b64 s[24:25], s[24:25], s[28:29]
	s_or_b64 exec, exec, s[26:27]
	s_and_saveexec_b64 s[26:27], s[24:25]
	s_cbranch_execnz .LBB302_106
	s_branch .LBB302_107
.LBB302_117:
	s_mov_b64 s[26:27], 0
	s_mov_b32 s34, 0x7f800001
	s_cbranch_execz .LBB302_119
; %bb.118:
	s_and_b32 s26, 0xffff, s30
	s_cmp_lg_u32 s26, 0
	s_mov_b32 s34, 0
	s_cselect_b64 s[26:27], -1, 0
.LBB302_119:
	s_andn2_b64 vcc, exec, s[26:27]
	s_cbranch_vccnz .LBB302_121
; %bb.120:
	s_mov_b32 s34, s33
.LBB302_121:
	s_movk_i32 s26, 0x7f
	v_cmp_gt_i16_sdwa s[28:29], v7, s26 src0_sel:BYTE_1 src1_sel:DWORD
	s_mov_b64 s[26:27], 0
	s_and_saveexec_b64 s[30:31], s[28:29]
	s_xor_b64 s[28:29], exec, s[30:31]
	s_cbranch_execnz .LBB302_131
; %bb.122:
	s_or_saveexec_b64 s[28:29], s[28:29]
	v_mov_b32_e32 v9, 0x7f800001
	s_xor_b64 exec, exec, s[28:29]
	s_cbranch_execnz .LBB302_134
.LBB302_123:
	s_or_b64 exec, exec, s[28:29]
	s_and_saveexec_b64 s[28:29], s[26:27]
	s_cbranch_execz .LBB302_125
.LBB302_124:
	v_and_b32_e32 v9, 7, v8
	v_ffbh_u32_e32 v11, v9
	v_min_u32_e32 v11, 32, v11
	v_subrev_u32_e32 v12, 28, v11
	v_bfe_u32 v10, v8, 3, 4
	v_lshlrev_b32_e32 v12, v12, v8
	v_sub_u32_e32 v11, 29, v11
	v_and_b32_e32 v12, 7, v12
	v_cmp_eq_u32_e32 vcc, 0, v10
	v_cndmask_b32_e32 v10, v10, v11, vcc
	v_cndmask_b32_e32 v9, v9, v12, vcc
	v_lshlrev_b32_e32 v11, 16, v7
	v_mov_b32_e32 v12, 0x3b800000
	v_lshlrev_b32_e32 v9, 20, v9
	v_and_b32_e32 v11, 0x80000000, v11
	v_lshl_add_u32 v10, v10, 23, v12
	v_or3_b32 v9, v11, v10, v9
.LBB302_125:
	s_or_b64 exec, exec, s[28:29]
	v_cmp_neq_f32_e64 s[26:27], s34, v9
.LBB302_126:
	s_and_b64 vcc, exec, s[4:5]
	s_cbranch_vccnz .LBB302_395
.LBB302_127:
	s_and_b32 s34, s14, 0xff
	s_cmpk_lt_i32 s34, 0x80
	s_cbranch_scc1 .LBB302_135
; %bb.128:
	s_and_b32 s28, 0xffff, s34
	s_cmpk_eq_i32 s28, 0x80
	s_mov_b64 s[28:29], -1
	s_cbranch_scc0 .LBB302_130
; %bb.129:
	s_mov_b64 s[28:29], 0
.LBB302_130:
	s_mov_b32 s36, 0x7f800001
	s_branch .LBB302_137
.LBB302_131:
	s_movk_i32 s26, 0x80
	v_cmp_eq_u16_sdwa s[36:37], v7, s26 src0_sel:BYTE_1 src1_sel:DWORD
	s_mov_b64 s[26:27], -1
	s_and_saveexec_b64 s[30:31], s[36:37]
; %bb.132:
	s_xor_b64 s[26:27], exec, -1
; %bb.133:
	s_or_b64 exec, exec, s[30:31]
	s_and_b64 s[26:27], s[26:27], exec
	s_or_saveexec_b64 s[28:29], s[28:29]
	v_mov_b32_e32 v9, 0x7f800001
	s_xor_b64 exec, exec, s[28:29]
	s_cbranch_execz .LBB302_123
.LBB302_134:
	v_mov_b32_e32 v9, 0
	v_cmp_ne_u16_sdwa s[30:31], v7, v9 src0_sel:BYTE_1 src1_sel:DWORD
	s_andn2_b64 s[26:27], s[26:27], exec
	s_and_b64 s[30:31], s[30:31], exec
	s_or_b64 s[26:27], s[26:27], s[30:31]
	s_or_b64 exec, exec, s[28:29]
	s_and_saveexec_b64 s[28:29], s[26:27]
	s_cbranch_execnz .LBB302_124
	s_branch .LBB302_125
.LBB302_135:
	s_mov_b64 s[28:29], 0
	s_mov_b32 s36, 0x7f800001
	s_cbranch_execz .LBB302_137
; %bb.136:
	s_and_b32 s28, 0xffff, s34
	s_cmp_lg_u32 s28, 0
	s_mov_b32 s36, 0
	s_cselect_b64 s[28:29], -1, 0
.LBB302_137:
	s_andn2_b64 vcc, exec, s[28:29]
	s_cbranch_vccnz .LBB302_139
; %bb.138:
	s_mov_b32 s36, s33
.LBB302_139:
	s_movk_i32 s28, 0x7f
	s_waitcnt vmcnt(4)
	v_cmp_gt_i16_sdwa s[30:31], v6, s28 src0_sel:BYTE_0 src1_sel:DWORD
	s_mov_b64 s[28:29], 0
	s_and_saveexec_b64 s[34:35], s[30:31]
	s_xor_b64 s[30:31], exec, s[34:35]
	s_cbranch_execnz .LBB302_149
; %bb.140:
	s_or_saveexec_b64 s[30:31], s[30:31]
	v_mov_b32_e32 v7, 0x7f800001
	s_xor_b64 exec, exec, s[30:31]
	s_cbranch_execnz .LBB302_152
.LBB302_141:
	s_or_b64 exec, exec, s[30:31]
	s_and_saveexec_b64 s[30:31], s[28:29]
	s_cbranch_execz .LBB302_143
.LBB302_142:
	s_mov_b32 s28, 0xffff
	v_and_b32_sdwa v7, s28, v6 dst_sel:DWORD dst_unused:UNUSED_PAD src0_sel:DWORD src1_sel:BYTE_0
	v_and_b32_e32 v8, 7, v7
	v_ffbh_u32_e32 v10, v8
	v_min_u32_e32 v10, 32, v10
	v_subrev_u32_e32 v11, 28, v10
	v_bfe_u32 v9, v7, 3, 4
	v_lshlrev_b32_e32 v7, v11, v7
	v_sub_u32_e32 v10, 29, v10
	v_and_b32_e32 v7, 7, v7
	v_cmp_eq_u32_e32 vcc, 0, v9
	v_cndmask_b32_e32 v9, v9, v10, vcc
	v_cndmask_b32_e32 v7, v8, v7, vcc
	v_lshlrev_b32_e32 v8, 24, v6
	v_mov_b32_e32 v10, 0x3b800000
	v_lshlrev_b32_e32 v7, 20, v7
	v_and_b32_e32 v8, 0x80000000, v8
	v_lshl_add_u32 v9, v9, 23, v10
	v_or3_b32 v7, v8, v9, v7
.LBB302_143:
	s_or_b64 exec, exec, s[30:31]
	v_cmp_neq_f32_e64 s[28:29], s36, v7
.LBB302_144:
	s_and_b64 vcc, exec, s[4:5]
	s_waitcnt vmcnt(4)
	v_lshrrev_b16_e32 v7, 8, v6
	s_cbranch_vccnz .LBB302_413
.LBB302_145:
	s_and_b32 s36, s14, 0xff
	s_cmpk_lt_i32 s36, 0x80
	s_cbranch_scc1 .LBB302_153
; %bb.146:
	s_and_b32 s30, 0xffff, s36
	s_cmpk_eq_i32 s30, 0x80
	s_mov_b64 s[30:31], -1
	s_cbranch_scc0 .LBB302_148
; %bb.147:
	s_mov_b64 s[30:31], 0
.LBB302_148:
	s_mov_b32 s38, 0x7f800001
	s_branch .LBB302_155
.LBB302_149:
	s_movk_i32 s28, 0x80
	v_cmp_eq_u16_sdwa s[38:39], v6, s28 src0_sel:BYTE_0 src1_sel:DWORD
	s_mov_b64 s[28:29], -1
	s_and_saveexec_b64 s[34:35], s[38:39]
; %bb.150:
	s_xor_b64 s[28:29], exec, -1
; %bb.151:
	s_or_b64 exec, exec, s[34:35]
	s_and_b64 s[28:29], s[28:29], exec
	s_or_saveexec_b64 s[30:31], s[30:31]
	v_mov_b32_e32 v7, 0x7f800001
	s_xor_b64 exec, exec, s[30:31]
	s_cbranch_execz .LBB302_141
.LBB302_152:
	v_mov_b32_e32 v7, 0
	v_cmp_ne_u16_sdwa s[34:35], v6, v7 src0_sel:BYTE_0 src1_sel:DWORD
	s_andn2_b64 s[28:29], s[28:29], exec
	s_and_b64 s[34:35], s[34:35], exec
	s_or_b64 s[28:29], s[28:29], s[34:35]
	s_or_b64 exec, exec, s[30:31]
	s_and_saveexec_b64 s[30:31], s[28:29]
	s_cbranch_execnz .LBB302_142
	s_branch .LBB302_143
.LBB302_153:
	s_mov_b64 s[30:31], 0
	s_mov_b32 s38, 0x7f800001
	s_cbranch_execz .LBB302_155
; %bb.154:
	s_and_b32 s30, 0xffff, s36
	s_cmp_lg_u32 s30, 0
	s_mov_b32 s38, 0
	s_cselect_b64 s[30:31], -1, 0
.LBB302_155:
	s_andn2_b64 vcc, exec, s[30:31]
	s_cbranch_vccnz .LBB302_157
; %bb.156:
	s_mov_b32 s38, s33
.LBB302_157:
	s_movk_i32 s30, 0x7f
	v_cmp_gt_i16_sdwa s[34:35], v6, s30 src0_sel:BYTE_1 src1_sel:DWORD
	s_mov_b64 s[30:31], 0
	s_and_saveexec_b64 s[36:37], s[34:35]
	s_xor_b64 s[34:35], exec, s[36:37]
	s_cbranch_execnz .LBB302_167
; %bb.158:
	s_or_saveexec_b64 s[34:35], s[34:35]
	v_mov_b32_e32 v8, 0x7f800001
	s_xor_b64 exec, exec, s[34:35]
	s_cbranch_execnz .LBB302_170
.LBB302_159:
	s_or_b64 exec, exec, s[34:35]
	s_and_saveexec_b64 s[34:35], s[30:31]
	s_cbranch_execz .LBB302_161
.LBB302_160:
	v_and_b32_e32 v8, 7, v7
	v_ffbh_u32_e32 v10, v8
	v_min_u32_e32 v10, 32, v10
	v_subrev_u32_e32 v11, 28, v10
	v_bfe_u32 v9, v7, 3, 4
	v_lshlrev_b32_e32 v11, v11, v7
	v_sub_u32_e32 v10, 29, v10
	v_and_b32_e32 v11, 7, v11
	v_cmp_eq_u32_e32 vcc, 0, v9
	v_cndmask_b32_e32 v9, v9, v10, vcc
	v_cndmask_b32_e32 v8, v8, v11, vcc
	v_lshlrev_b32_e32 v10, 16, v6
	v_mov_b32_e32 v11, 0x3b800000
	v_lshlrev_b32_e32 v8, 20, v8
	v_and_b32_e32 v10, 0x80000000, v10
	v_lshl_add_u32 v9, v9, 23, v11
	v_or3_b32 v8, v10, v9, v8
.LBB302_161:
	s_or_b64 exec, exec, s[34:35]
	v_cmp_neq_f32_e64 s[30:31], s38, v8
.LBB302_162:
	s_and_b64 vcc, exec, s[4:5]
	s_cbranch_vccnz .LBB302_431
.LBB302_163:
	s_and_b32 s38, s14, 0xff
	s_cmpk_lt_i32 s38, 0x80
	s_cbranch_scc1 .LBB302_171
; %bb.164:
	s_and_b32 s34, 0xffff, s38
	s_cmpk_eq_i32 s34, 0x80
	s_mov_b64 s[34:35], -1
	s_cbranch_scc0 .LBB302_166
; %bb.165:
	s_mov_b64 s[34:35], 0
.LBB302_166:
	s_mov_b32 s40, 0x7f800001
	s_branch .LBB302_173
.LBB302_167:
	s_movk_i32 s30, 0x80
	v_cmp_eq_u16_sdwa s[40:41], v6, s30 src0_sel:BYTE_1 src1_sel:DWORD
	s_mov_b64 s[30:31], -1
	s_and_saveexec_b64 s[36:37], s[40:41]
; %bb.168:
	s_xor_b64 s[30:31], exec, -1
; %bb.169:
	s_or_b64 exec, exec, s[36:37]
	s_and_b64 s[30:31], s[30:31], exec
	s_or_saveexec_b64 s[34:35], s[34:35]
	v_mov_b32_e32 v8, 0x7f800001
	s_xor_b64 exec, exec, s[34:35]
	s_cbranch_execz .LBB302_159
.LBB302_170:
	v_mov_b32_e32 v8, 0
	v_cmp_ne_u16_sdwa s[36:37], v6, v8 src0_sel:BYTE_1 src1_sel:DWORD
	s_andn2_b64 s[30:31], s[30:31], exec
	s_and_b64 s[36:37], s[36:37], exec
	s_or_b64 s[30:31], s[30:31], s[36:37]
	s_or_b64 exec, exec, s[34:35]
	s_and_saveexec_b64 s[34:35], s[30:31]
	s_cbranch_execnz .LBB302_160
	s_branch .LBB302_161
.LBB302_171:
	s_mov_b64 s[34:35], 0
	s_mov_b32 s40, 0x7f800001
	s_cbranch_execz .LBB302_173
; %bb.172:
	s_and_b32 s34, 0xffff, s38
	s_cmp_lg_u32 s34, 0
	s_mov_b32 s40, 0
	s_cselect_b64 s[34:35], -1, 0
.LBB302_173:
	s_andn2_b64 vcc, exec, s[34:35]
	s_cbranch_vccnz .LBB302_175
; %bb.174:
	s_mov_b32 s40, s33
.LBB302_175:
	s_movk_i32 s34, 0x7f
	s_waitcnt vmcnt(3)
	v_cmp_gt_i16_sdwa s[36:37], v5, s34 src0_sel:BYTE_0 src1_sel:DWORD
	s_mov_b64 s[34:35], 0
	s_and_saveexec_b64 s[38:39], s[36:37]
	s_xor_b64 s[36:37], exec, s[38:39]
	s_cbranch_execnz .LBB302_185
; %bb.176:
	s_or_saveexec_b64 s[36:37], s[36:37]
	v_mov_b32_e32 v6, 0x7f800001
	s_xor_b64 exec, exec, s[36:37]
	s_cbranch_execnz .LBB302_188
.LBB302_177:
	s_or_b64 exec, exec, s[36:37]
	s_and_saveexec_b64 s[36:37], s[34:35]
	s_cbranch_execz .LBB302_179
.LBB302_178:
	s_mov_b32 s34, 0xffff
	v_and_b32_sdwa v6, s34, v5 dst_sel:DWORD dst_unused:UNUSED_PAD src0_sel:DWORD src1_sel:BYTE_0
	v_and_b32_e32 v7, 7, v6
	v_ffbh_u32_e32 v9, v7
	v_min_u32_e32 v9, 32, v9
	v_subrev_u32_e32 v10, 28, v9
	v_bfe_u32 v8, v6, 3, 4
	v_lshlrev_b32_e32 v6, v10, v6
	v_sub_u32_e32 v9, 29, v9
	v_and_b32_e32 v6, 7, v6
	v_cmp_eq_u32_e32 vcc, 0, v8
	v_cndmask_b32_e32 v8, v8, v9, vcc
	v_cndmask_b32_e32 v6, v7, v6, vcc
	v_lshlrev_b32_e32 v7, 24, v5
	v_mov_b32_e32 v9, 0x3b800000
	v_lshlrev_b32_e32 v6, 20, v6
	v_and_b32_e32 v7, 0x80000000, v7
	v_lshl_add_u32 v8, v8, 23, v9
	v_or3_b32 v6, v7, v8, v6
.LBB302_179:
	s_or_b64 exec, exec, s[36:37]
	v_cmp_neq_f32_e64 s[34:35], s40, v6
.LBB302_180:
	s_and_b64 vcc, exec, s[4:5]
	s_waitcnt vmcnt(3)
	v_lshrrev_b16_e32 v6, 8, v5
	s_cbranch_vccnz .LBB302_449
.LBB302_181:
	s_and_b32 s40, s14, 0xff
	s_cmpk_lt_i32 s40, 0x80
	s_cbranch_scc1 .LBB302_189
; %bb.182:
	s_and_b32 s36, 0xffff, s40
	s_cmpk_eq_i32 s36, 0x80
	s_mov_b64 s[36:37], -1
	s_cbranch_scc0 .LBB302_184
; %bb.183:
	s_mov_b64 s[36:37], 0
.LBB302_184:
	s_mov_b32 s42, 0x7f800001
	s_branch .LBB302_191
.LBB302_185:
	s_movk_i32 s34, 0x80
	v_cmp_eq_u16_sdwa s[42:43], v5, s34 src0_sel:BYTE_0 src1_sel:DWORD
	s_mov_b64 s[34:35], -1
	s_and_saveexec_b64 s[38:39], s[42:43]
; %bb.186:
	s_xor_b64 s[34:35], exec, -1
; %bb.187:
	s_or_b64 exec, exec, s[38:39]
	s_and_b64 s[34:35], s[34:35], exec
	s_or_saveexec_b64 s[36:37], s[36:37]
	v_mov_b32_e32 v6, 0x7f800001
	s_xor_b64 exec, exec, s[36:37]
	s_cbranch_execz .LBB302_177
.LBB302_188:
	v_mov_b32_e32 v6, 0
	v_cmp_ne_u16_sdwa s[38:39], v5, v6 src0_sel:BYTE_0 src1_sel:DWORD
	s_andn2_b64 s[34:35], s[34:35], exec
	s_and_b64 s[38:39], s[38:39], exec
	s_or_b64 s[34:35], s[34:35], s[38:39]
	s_or_b64 exec, exec, s[36:37]
	s_and_saveexec_b64 s[36:37], s[34:35]
	s_cbranch_execnz .LBB302_178
	s_branch .LBB302_179
.LBB302_189:
	s_mov_b64 s[36:37], 0
	s_mov_b32 s42, 0x7f800001
	s_cbranch_execz .LBB302_191
; %bb.190:
	s_and_b32 s36, 0xffff, s40
	s_cmp_lg_u32 s36, 0
	s_mov_b32 s42, 0
	s_cselect_b64 s[36:37], -1, 0
.LBB302_191:
	s_andn2_b64 vcc, exec, s[36:37]
	s_cbranch_vccnz .LBB302_193
; %bb.192:
	s_mov_b32 s42, s33
.LBB302_193:
	s_movk_i32 s36, 0x7f
	v_cmp_gt_i16_sdwa s[38:39], v5, s36 src0_sel:BYTE_1 src1_sel:DWORD
	s_mov_b64 s[36:37], 0
	s_and_saveexec_b64 s[40:41], s[38:39]
	s_xor_b64 s[38:39], exec, s[40:41]
	s_cbranch_execnz .LBB302_203
; %bb.194:
	s_or_saveexec_b64 s[38:39], s[38:39]
	v_mov_b32_e32 v7, 0x7f800001
	s_xor_b64 exec, exec, s[38:39]
	s_cbranch_execnz .LBB302_206
.LBB302_195:
	s_or_b64 exec, exec, s[38:39]
	s_and_saveexec_b64 s[38:39], s[36:37]
	s_cbranch_execz .LBB302_197
.LBB302_196:
	v_and_b32_e32 v7, 7, v6
	v_ffbh_u32_e32 v9, v7
	v_min_u32_e32 v9, 32, v9
	v_subrev_u32_e32 v10, 28, v9
	v_bfe_u32 v8, v6, 3, 4
	v_lshlrev_b32_e32 v10, v10, v6
	v_sub_u32_e32 v9, 29, v9
	v_and_b32_e32 v10, 7, v10
	v_cmp_eq_u32_e32 vcc, 0, v8
	v_cndmask_b32_e32 v8, v8, v9, vcc
	v_cndmask_b32_e32 v7, v7, v10, vcc
	v_lshlrev_b32_e32 v9, 16, v5
	v_mov_b32_e32 v10, 0x3b800000
	v_lshlrev_b32_e32 v7, 20, v7
	v_and_b32_e32 v9, 0x80000000, v9
	v_lshl_add_u32 v8, v8, 23, v10
	v_or3_b32 v7, v9, v8, v7
.LBB302_197:
	s_or_b64 exec, exec, s[38:39]
	v_cmp_neq_f32_e64 s[36:37], s42, v7
.LBB302_198:
	s_and_b64 vcc, exec, s[4:5]
	s_cbranch_vccnz .LBB302_467
.LBB302_199:
	s_and_b32 s42, s14, 0xff
	s_cmpk_lt_i32 s42, 0x80
	s_cbranch_scc1 .LBB302_207
; %bb.200:
	s_and_b32 s38, 0xffff, s42
	s_cmpk_eq_i32 s38, 0x80
	s_mov_b64 s[38:39], -1
	s_cbranch_scc0 .LBB302_202
; %bb.201:
	s_mov_b64 s[38:39], 0
.LBB302_202:
	s_mov_b32 s44, 0x7f800001
	s_branch .LBB302_209
.LBB302_203:
	s_movk_i32 s36, 0x80
	v_cmp_eq_u16_sdwa s[44:45], v5, s36 src0_sel:BYTE_1 src1_sel:DWORD
	s_mov_b64 s[36:37], -1
	s_and_saveexec_b64 s[40:41], s[44:45]
; %bb.204:
	s_xor_b64 s[36:37], exec, -1
; %bb.205:
	s_or_b64 exec, exec, s[40:41]
	s_and_b64 s[36:37], s[36:37], exec
	s_or_saveexec_b64 s[38:39], s[38:39]
	v_mov_b32_e32 v7, 0x7f800001
	s_xor_b64 exec, exec, s[38:39]
	s_cbranch_execz .LBB302_195
.LBB302_206:
	v_mov_b32_e32 v7, 0
	v_cmp_ne_u16_sdwa s[40:41], v5, v7 src0_sel:BYTE_1 src1_sel:DWORD
	s_andn2_b64 s[36:37], s[36:37], exec
	s_and_b64 s[40:41], s[40:41], exec
	s_or_b64 s[36:37], s[36:37], s[40:41]
	s_or_b64 exec, exec, s[38:39]
	s_and_saveexec_b64 s[38:39], s[36:37]
	s_cbranch_execnz .LBB302_196
	s_branch .LBB302_197
.LBB302_207:
	s_mov_b64 s[38:39], 0
	s_mov_b32 s44, 0x7f800001
	s_cbranch_execz .LBB302_209
; %bb.208:
	s_and_b32 s38, 0xffff, s42
	s_cmp_lg_u32 s38, 0
	s_mov_b32 s44, 0
	s_cselect_b64 s[38:39], -1, 0
.LBB302_209:
	s_andn2_b64 vcc, exec, s[38:39]
	s_cbranch_vccnz .LBB302_211
; %bb.210:
	s_mov_b32 s44, s33
.LBB302_211:
	s_movk_i32 s38, 0x7f
	s_waitcnt vmcnt(2)
	v_cmp_gt_i16_sdwa s[40:41], v4, s38 src0_sel:BYTE_0 src1_sel:DWORD
	s_mov_b64 s[38:39], 0
	s_and_saveexec_b64 s[42:43], s[40:41]
	s_xor_b64 s[40:41], exec, s[42:43]
	s_cbranch_execnz .LBB302_221
; %bb.212:
	s_or_saveexec_b64 s[40:41], s[40:41]
	v_mov_b32_e32 v5, 0x7f800001
	s_xor_b64 exec, exec, s[40:41]
	s_cbranch_execnz .LBB302_224
.LBB302_213:
	s_or_b64 exec, exec, s[40:41]
	s_and_saveexec_b64 s[40:41], s[38:39]
	s_cbranch_execz .LBB302_215
.LBB302_214:
	s_mov_b32 s38, 0xffff
	v_and_b32_sdwa v5, s38, v4 dst_sel:DWORD dst_unused:UNUSED_PAD src0_sel:DWORD src1_sel:BYTE_0
	v_and_b32_e32 v6, 7, v5
	v_ffbh_u32_e32 v8, v6
	v_min_u32_e32 v8, 32, v8
	v_subrev_u32_e32 v9, 28, v8
	v_bfe_u32 v7, v5, 3, 4
	v_lshlrev_b32_e32 v5, v9, v5
	v_sub_u32_e32 v8, 29, v8
	v_and_b32_e32 v5, 7, v5
	v_cmp_eq_u32_e32 vcc, 0, v7
	v_cndmask_b32_e32 v7, v7, v8, vcc
	v_cndmask_b32_e32 v5, v6, v5, vcc
	v_lshlrev_b32_e32 v6, 24, v4
	v_mov_b32_e32 v8, 0x3b800000
	v_lshlrev_b32_e32 v5, 20, v5
	v_and_b32_e32 v6, 0x80000000, v6
	v_lshl_add_u32 v7, v7, 23, v8
	v_or3_b32 v5, v6, v7, v5
.LBB302_215:
	s_or_b64 exec, exec, s[40:41]
	v_cmp_neq_f32_e64 s[38:39], s44, v5
.LBB302_216:
	s_and_b64 vcc, exec, s[4:5]
	s_waitcnt vmcnt(2)
	v_lshrrev_b16_e32 v5, 8, v4
	s_cbranch_vccnz .LBB302_485
.LBB302_217:
	s_and_b32 s44, s14, 0xff
	s_cmpk_lt_i32 s44, 0x80
	s_cbranch_scc1 .LBB302_225
; %bb.218:
	s_and_b32 s40, 0xffff, s44
	s_cmpk_eq_i32 s40, 0x80
	s_mov_b64 s[40:41], -1
	s_cbranch_scc0 .LBB302_220
; %bb.219:
	s_mov_b64 s[40:41], 0
.LBB302_220:
	s_mov_b32 s46, 0x7f800001
	s_branch .LBB302_227
.LBB302_221:
	s_movk_i32 s38, 0x80
	v_cmp_eq_u16_sdwa s[46:47], v4, s38 src0_sel:BYTE_0 src1_sel:DWORD
	s_mov_b64 s[38:39], -1
	s_and_saveexec_b64 s[42:43], s[46:47]
; %bb.222:
	s_xor_b64 s[38:39], exec, -1
; %bb.223:
	s_or_b64 exec, exec, s[42:43]
	s_and_b64 s[38:39], s[38:39], exec
	s_or_saveexec_b64 s[40:41], s[40:41]
	v_mov_b32_e32 v5, 0x7f800001
	s_xor_b64 exec, exec, s[40:41]
	s_cbranch_execz .LBB302_213
.LBB302_224:
	v_mov_b32_e32 v5, 0
	v_cmp_ne_u16_sdwa s[42:43], v4, v5 src0_sel:BYTE_0 src1_sel:DWORD
	s_andn2_b64 s[38:39], s[38:39], exec
	s_and_b64 s[42:43], s[42:43], exec
	s_or_b64 s[38:39], s[38:39], s[42:43]
	s_or_b64 exec, exec, s[40:41]
	s_and_saveexec_b64 s[40:41], s[38:39]
	s_cbranch_execnz .LBB302_214
	s_branch .LBB302_215
.LBB302_225:
	s_mov_b64 s[40:41], 0
	s_mov_b32 s46, 0x7f800001
	s_cbranch_execz .LBB302_227
; %bb.226:
	s_and_b32 s40, 0xffff, s44
	s_cmp_lg_u32 s40, 0
	s_mov_b32 s46, 0
	s_cselect_b64 s[40:41], -1, 0
.LBB302_227:
	s_andn2_b64 vcc, exec, s[40:41]
	s_cbranch_vccnz .LBB302_229
; %bb.228:
	s_mov_b32 s46, s33
.LBB302_229:
	s_movk_i32 s40, 0x7f
	v_cmp_gt_i16_sdwa s[42:43], v4, s40 src0_sel:BYTE_1 src1_sel:DWORD
	s_mov_b64 s[40:41], 0
	s_and_saveexec_b64 s[44:45], s[42:43]
	s_xor_b64 s[42:43], exec, s[44:45]
	s_cbranch_execnz .LBB302_239
; %bb.230:
	s_or_saveexec_b64 s[42:43], s[42:43]
	v_mov_b32_e32 v6, 0x7f800001
	s_xor_b64 exec, exec, s[42:43]
	s_cbranch_execnz .LBB302_242
.LBB302_231:
	s_or_b64 exec, exec, s[42:43]
	s_and_saveexec_b64 s[42:43], s[40:41]
	s_cbranch_execz .LBB302_233
.LBB302_232:
	v_and_b32_e32 v6, 7, v5
	v_ffbh_u32_e32 v8, v6
	v_min_u32_e32 v8, 32, v8
	v_subrev_u32_e32 v9, 28, v8
	v_bfe_u32 v7, v5, 3, 4
	v_lshlrev_b32_e32 v9, v9, v5
	v_sub_u32_e32 v8, 29, v8
	v_and_b32_e32 v9, 7, v9
	v_cmp_eq_u32_e32 vcc, 0, v7
	v_cndmask_b32_e32 v7, v7, v8, vcc
	v_cndmask_b32_e32 v6, v6, v9, vcc
	v_lshlrev_b32_e32 v8, 16, v4
	v_mov_b32_e32 v9, 0x3b800000
	v_lshlrev_b32_e32 v6, 20, v6
	v_and_b32_e32 v8, 0x80000000, v8
	v_lshl_add_u32 v7, v7, 23, v9
	v_or3_b32 v6, v8, v7, v6
.LBB302_233:
	s_or_b64 exec, exec, s[42:43]
	v_cmp_neq_f32_e64 s[40:41], s46, v6
.LBB302_234:
	s_and_b64 vcc, exec, s[4:5]
	s_cbranch_vccnz .LBB302_503
.LBB302_235:
	s_and_b32 s46, s14, 0xff
	s_cmpk_lt_i32 s46, 0x80
	s_cbranch_scc1 .LBB302_243
; %bb.236:
	s_and_b32 s42, 0xffff, s46
	s_cmpk_eq_i32 s42, 0x80
	s_mov_b64 s[42:43], -1
	s_cbranch_scc0 .LBB302_238
; %bb.237:
	s_mov_b64 s[42:43], 0
.LBB302_238:
	s_mov_b32 s48, 0x7f800001
	s_branch .LBB302_245
.LBB302_239:
	s_movk_i32 s40, 0x80
	v_cmp_eq_u16_sdwa s[48:49], v4, s40 src0_sel:BYTE_1 src1_sel:DWORD
	s_mov_b64 s[40:41], -1
	s_and_saveexec_b64 s[44:45], s[48:49]
; %bb.240:
	s_xor_b64 s[40:41], exec, -1
; %bb.241:
	s_or_b64 exec, exec, s[44:45]
	s_and_b64 s[40:41], s[40:41], exec
	s_or_saveexec_b64 s[42:43], s[42:43]
	v_mov_b32_e32 v6, 0x7f800001
	s_xor_b64 exec, exec, s[42:43]
	s_cbranch_execz .LBB302_231
.LBB302_242:
	v_mov_b32_e32 v6, 0
	v_cmp_ne_u16_sdwa s[44:45], v4, v6 src0_sel:BYTE_1 src1_sel:DWORD
	s_andn2_b64 s[40:41], s[40:41], exec
	s_and_b64 s[44:45], s[44:45], exec
	s_or_b64 s[40:41], s[40:41], s[44:45]
	s_or_b64 exec, exec, s[42:43]
	s_and_saveexec_b64 s[42:43], s[40:41]
	s_cbranch_execnz .LBB302_232
	s_branch .LBB302_233
.LBB302_243:
	s_mov_b64 s[42:43], 0
	s_mov_b32 s48, 0x7f800001
	s_cbranch_execz .LBB302_245
; %bb.244:
	s_and_b32 s42, 0xffff, s46
	s_cmp_lg_u32 s42, 0
	s_mov_b32 s48, 0
	s_cselect_b64 s[42:43], -1, 0
.LBB302_245:
	s_andn2_b64 vcc, exec, s[42:43]
	s_cbranch_vccnz .LBB302_247
; %bb.246:
	s_mov_b32 s48, s33
.LBB302_247:
	s_movk_i32 s42, 0x7f
	s_waitcnt vmcnt(1)
	v_cmp_gt_i16_sdwa s[44:45], v3, s42 src0_sel:BYTE_0 src1_sel:DWORD
	s_mov_b64 s[42:43], 0
	s_and_saveexec_b64 s[46:47], s[44:45]
	s_xor_b64 s[44:45], exec, s[46:47]
	s_cbranch_execnz .LBB302_257
; %bb.248:
	s_or_saveexec_b64 s[44:45], s[44:45]
	v_mov_b32_e32 v4, 0x7f800001
	s_xor_b64 exec, exec, s[44:45]
	s_cbranch_execnz .LBB302_260
.LBB302_249:
	s_or_b64 exec, exec, s[44:45]
	s_and_saveexec_b64 s[44:45], s[42:43]
	s_cbranch_execz .LBB302_251
.LBB302_250:
	s_mov_b32 s42, 0xffff
	v_and_b32_sdwa v4, s42, v3 dst_sel:DWORD dst_unused:UNUSED_PAD src0_sel:DWORD src1_sel:BYTE_0
	v_and_b32_e32 v5, 7, v4
	v_ffbh_u32_e32 v7, v5
	v_min_u32_e32 v7, 32, v7
	v_subrev_u32_e32 v8, 28, v7
	v_bfe_u32 v6, v4, 3, 4
	v_lshlrev_b32_e32 v4, v8, v4
	v_sub_u32_e32 v7, 29, v7
	v_and_b32_e32 v4, 7, v4
	v_cmp_eq_u32_e32 vcc, 0, v6
	v_cndmask_b32_e32 v6, v6, v7, vcc
	v_cndmask_b32_e32 v4, v5, v4, vcc
	v_lshlrev_b32_e32 v5, 24, v3
	v_mov_b32_e32 v7, 0x3b800000
	v_lshlrev_b32_e32 v4, 20, v4
	v_and_b32_e32 v5, 0x80000000, v5
	v_lshl_add_u32 v6, v6, 23, v7
	v_or3_b32 v4, v5, v6, v4
.LBB302_251:
	s_or_b64 exec, exec, s[44:45]
	v_cmp_neq_f32_e64 s[42:43], s48, v4
.LBB302_252:
	s_and_b64 vcc, exec, s[4:5]
	s_waitcnt vmcnt(1)
	v_lshrrev_b16_e32 v4, 8, v3
	s_cbranch_vccnz .LBB302_521
.LBB302_253:
	s_and_b32 s48, s14, 0xff
	s_cmpk_lt_i32 s48, 0x80
	s_cbranch_scc1 .LBB302_261
; %bb.254:
	s_and_b32 s44, 0xffff, s48
	s_cmpk_eq_i32 s44, 0x80
	s_mov_b64 s[44:45], -1
	s_cbranch_scc0 .LBB302_256
; %bb.255:
	s_mov_b64 s[44:45], 0
.LBB302_256:
	s_mov_b32 s50, 0x7f800001
	s_branch .LBB302_263
.LBB302_257:
	s_movk_i32 s42, 0x80
	v_cmp_eq_u16_sdwa s[50:51], v3, s42 src0_sel:BYTE_0 src1_sel:DWORD
	s_mov_b64 s[42:43], -1
	s_and_saveexec_b64 s[46:47], s[50:51]
; %bb.258:
	s_xor_b64 s[42:43], exec, -1
; %bb.259:
	s_or_b64 exec, exec, s[46:47]
	s_and_b64 s[42:43], s[42:43], exec
	s_or_saveexec_b64 s[44:45], s[44:45]
	v_mov_b32_e32 v4, 0x7f800001
	s_xor_b64 exec, exec, s[44:45]
	s_cbranch_execz .LBB302_249
.LBB302_260:
	v_mov_b32_e32 v4, 0
	v_cmp_ne_u16_sdwa s[46:47], v3, v4 src0_sel:BYTE_0 src1_sel:DWORD
	s_andn2_b64 s[42:43], s[42:43], exec
	s_and_b64 s[46:47], s[46:47], exec
	s_or_b64 s[42:43], s[42:43], s[46:47]
	s_or_b64 exec, exec, s[44:45]
	s_and_saveexec_b64 s[44:45], s[42:43]
	s_cbranch_execnz .LBB302_250
	s_branch .LBB302_251
.LBB302_261:
	s_mov_b64 s[44:45], 0
	s_mov_b32 s50, 0x7f800001
	s_cbranch_execz .LBB302_263
; %bb.262:
	s_and_b32 s44, 0xffff, s48
	s_cmp_lg_u32 s44, 0
	s_mov_b32 s50, 0
	s_cselect_b64 s[44:45], -1, 0
.LBB302_263:
	s_andn2_b64 vcc, exec, s[44:45]
	s_cbranch_vccnz .LBB302_265
; %bb.264:
	s_mov_b32 s50, s33
.LBB302_265:
	s_movk_i32 s44, 0x7f
	v_cmp_gt_i16_sdwa s[46:47], v3, s44 src0_sel:BYTE_1 src1_sel:DWORD
	s_mov_b64 s[44:45], 0
	s_and_saveexec_b64 s[48:49], s[46:47]
	s_xor_b64 s[46:47], exec, s[48:49]
	s_cbranch_execnz .LBB302_275
; %bb.266:
	s_or_saveexec_b64 s[46:47], s[46:47]
	v_mov_b32_e32 v5, 0x7f800001
	s_xor_b64 exec, exec, s[46:47]
	s_cbranch_execnz .LBB302_278
.LBB302_267:
	s_or_b64 exec, exec, s[46:47]
	s_and_saveexec_b64 s[46:47], s[44:45]
	s_cbranch_execz .LBB302_269
.LBB302_268:
	v_and_b32_e32 v5, 7, v4
	v_ffbh_u32_e32 v7, v5
	v_min_u32_e32 v7, 32, v7
	v_subrev_u32_e32 v8, 28, v7
	v_bfe_u32 v6, v4, 3, 4
	v_lshlrev_b32_e32 v8, v8, v4
	v_sub_u32_e32 v7, 29, v7
	v_and_b32_e32 v8, 7, v8
	v_cmp_eq_u32_e32 vcc, 0, v6
	v_cndmask_b32_e32 v6, v6, v7, vcc
	v_cndmask_b32_e32 v5, v5, v8, vcc
	v_lshlrev_b32_e32 v7, 16, v3
	v_mov_b32_e32 v8, 0x3b800000
	v_lshlrev_b32_e32 v5, 20, v5
	v_and_b32_e32 v7, 0x80000000, v7
	v_lshl_add_u32 v6, v6, 23, v8
	v_or3_b32 v5, v7, v6, v5
.LBB302_269:
	s_or_b64 exec, exec, s[46:47]
	v_cmp_neq_f32_e64 s[44:45], s50, v5
.LBB302_270:
	s_and_b64 vcc, exec, s[4:5]
	s_cbranch_vccnz .LBB302_539
.LBB302_271:
	s_and_b32 s50, s14, 0xff
	s_cmpk_lt_i32 s50, 0x80
	s_cbranch_scc1 .LBB302_279
; %bb.272:
	s_and_b32 s46, 0xffff, s50
	s_cmpk_eq_i32 s46, 0x80
	s_mov_b64 s[46:47], -1
	s_cbranch_scc0 .LBB302_274
; %bb.273:
	s_mov_b64 s[46:47], 0
.LBB302_274:
	s_mov_b32 s52, 0x7f800001
	s_branch .LBB302_281
.LBB302_275:
	s_movk_i32 s44, 0x80
	v_cmp_eq_u16_sdwa s[52:53], v3, s44 src0_sel:BYTE_1 src1_sel:DWORD
	s_mov_b64 s[44:45], -1
	s_and_saveexec_b64 s[48:49], s[52:53]
; %bb.276:
	s_xor_b64 s[44:45], exec, -1
; %bb.277:
	s_or_b64 exec, exec, s[48:49]
	s_and_b64 s[44:45], s[44:45], exec
	s_or_saveexec_b64 s[46:47], s[46:47]
	v_mov_b32_e32 v5, 0x7f800001
	s_xor_b64 exec, exec, s[46:47]
	s_cbranch_execz .LBB302_267
.LBB302_278:
	v_mov_b32_e32 v5, 0
	v_cmp_ne_u16_sdwa s[48:49], v3, v5 src0_sel:BYTE_1 src1_sel:DWORD
	s_andn2_b64 s[44:45], s[44:45], exec
	s_and_b64 s[48:49], s[48:49], exec
	s_or_b64 s[44:45], s[44:45], s[48:49]
	s_or_b64 exec, exec, s[46:47]
	s_and_saveexec_b64 s[46:47], s[44:45]
	s_cbranch_execnz .LBB302_268
	s_branch .LBB302_269
.LBB302_279:
	s_mov_b64 s[46:47], 0
	s_mov_b32 s52, 0x7f800001
	s_cbranch_execz .LBB302_281
; %bb.280:
	s_and_b32 s46, 0xffff, s50
	s_cmp_lg_u32 s46, 0
	s_mov_b32 s52, 0
	s_cselect_b64 s[46:47], -1, 0
.LBB302_281:
	s_andn2_b64 vcc, exec, s[46:47]
	s_cbranch_vccnz .LBB302_283
; %bb.282:
	s_mov_b32 s52, s33
.LBB302_283:
	s_movk_i32 s46, 0x7f
	s_waitcnt vmcnt(0)
	v_cmp_gt_i16_sdwa s[48:49], v2, s46 src0_sel:BYTE_0 src1_sel:DWORD
	s_mov_b64 s[46:47], 0
	s_and_saveexec_b64 s[50:51], s[48:49]
	s_xor_b64 s[48:49], exec, s[50:51]
	s_cbranch_execnz .LBB302_293
; %bb.284:
	s_or_saveexec_b64 s[48:49], s[48:49]
	v_mov_b32_e32 v3, 0x7f800001
	s_xor_b64 exec, exec, s[48:49]
	s_cbranch_execnz .LBB302_296
.LBB302_285:
	s_or_b64 exec, exec, s[48:49]
	s_and_saveexec_b64 s[48:49], s[46:47]
	s_cbranch_execz .LBB302_287
.LBB302_286:
	s_mov_b32 s46, 0xffff
	v_and_b32_sdwa v3, s46, v2 dst_sel:DWORD dst_unused:UNUSED_PAD src0_sel:DWORD src1_sel:BYTE_0
	v_and_b32_e32 v4, 7, v3
	v_ffbh_u32_e32 v6, v4
	v_min_u32_e32 v6, 32, v6
	v_subrev_u32_e32 v7, 28, v6
	v_bfe_u32 v5, v3, 3, 4
	v_lshlrev_b32_e32 v3, v7, v3
	v_sub_u32_e32 v6, 29, v6
	v_and_b32_e32 v3, 7, v3
	v_cmp_eq_u32_e32 vcc, 0, v5
	v_cndmask_b32_e32 v5, v5, v6, vcc
	v_cndmask_b32_e32 v3, v4, v3, vcc
	v_lshlrev_b32_e32 v4, 24, v2
	v_mov_b32_e32 v6, 0x3b800000
	v_lshlrev_b32_e32 v3, 20, v3
	v_and_b32_e32 v4, 0x80000000, v4
	v_lshl_add_u32 v5, v5, 23, v6
	v_or3_b32 v3, v4, v5, v3
.LBB302_287:
	s_or_b64 exec, exec, s[48:49]
	v_cmp_neq_f32_e64 s[46:47], s52, v3
.LBB302_288:
	s_and_b64 vcc, exec, s[4:5]
	s_waitcnt vmcnt(0)
	v_lshrrev_b16_e32 v3, 8, v2
	s_cbranch_vccnz .LBB302_557
.LBB302_289:
	s_and_b32 s50, s14, 0xff
	s_cmpk_lt_i32 s50, 0x80
	s_cbranch_scc1 .LBB302_297
; %bb.290:
	s_and_b32 s4, 0xffff, s50
	s_cmpk_eq_i32 s4, 0x80
	s_mov_b64 s[4:5], -1
	s_cbranch_scc0 .LBB302_292
; %bb.291:
	s_mov_b64 s[4:5], 0
.LBB302_292:
	s_mov_b32 s52, 0x7f800001
	s_branch .LBB302_299
.LBB302_293:
	s_movk_i32 s46, 0x80
	v_cmp_eq_u16_sdwa s[54:55], v2, s46 src0_sel:BYTE_0 src1_sel:DWORD
	s_mov_b64 s[46:47], -1
	s_and_saveexec_b64 s[50:51], s[54:55]
; %bb.294:
	s_xor_b64 s[46:47], exec, -1
; %bb.295:
	s_or_b64 exec, exec, s[50:51]
	s_and_b64 s[46:47], s[46:47], exec
	s_or_saveexec_b64 s[48:49], s[48:49]
	v_mov_b32_e32 v3, 0x7f800001
	s_xor_b64 exec, exec, s[48:49]
	s_cbranch_execz .LBB302_285
.LBB302_296:
	v_mov_b32_e32 v3, 0
	v_cmp_ne_u16_sdwa s[50:51], v2, v3 src0_sel:BYTE_0 src1_sel:DWORD
	s_andn2_b64 s[46:47], s[46:47], exec
	s_and_b64 s[50:51], s[50:51], exec
	s_or_b64 s[46:47], s[46:47], s[50:51]
	s_or_b64 exec, exec, s[48:49]
	s_and_saveexec_b64 s[48:49], s[46:47]
	s_cbranch_execnz .LBB302_286
	s_branch .LBB302_287
.LBB302_297:
	s_mov_b64 s[4:5], 0
	s_mov_b32 s52, 0x7f800001
	s_cbranch_execz .LBB302_299
; %bb.298:
	s_and_b32 s4, 0xffff, s50
	s_cmp_lg_u32 s4, 0
	s_mov_b32 s52, 0
	s_cselect_b64 s[4:5], -1, 0
.LBB302_299:
	s_andn2_b64 vcc, exec, s[4:5]
	s_cbranch_vccnz .LBB302_301
; %bb.300:
	s_mov_b32 s52, s33
.LBB302_301:
	s_movk_i32 s4, 0x7f
	v_cmp_gt_i16_sdwa s[48:49], v2, s4 src0_sel:BYTE_1 src1_sel:DWORD
	s_mov_b64 s[4:5], 0
	s_and_saveexec_b64 s[50:51], s[48:49]
	s_xor_b64 s[48:49], exec, s[50:51]
	s_cbranch_execnz .LBB302_306
; %bb.302:
	s_or_saveexec_b64 s[48:49], s[48:49]
	v_mov_b32_e32 v4, 0x7f800001
	s_xor_b64 exec, exec, s[48:49]
	s_cbranch_execnz .LBB302_309
.LBB302_303:
	s_or_b64 exec, exec, s[48:49]
	s_and_saveexec_b64 s[48:49], s[4:5]
	s_cbranch_execz .LBB302_305
.LBB302_304:
	v_and_b32_e32 v4, 7, v3
	v_ffbh_u32_e32 v6, v4
	v_min_u32_e32 v6, 32, v6
	v_subrev_u32_e32 v7, 28, v6
	v_bfe_u32 v5, v3, 3, 4
	v_lshlrev_b32_e32 v7, v7, v3
	v_sub_u32_e32 v6, 29, v6
	v_and_b32_e32 v7, 7, v7
	v_cmp_eq_u32_e32 vcc, 0, v5
	v_cndmask_b32_e32 v5, v5, v6, vcc
	v_cndmask_b32_e32 v4, v4, v7, vcc
	v_lshlrev_b32_e32 v6, 16, v2
	v_mov_b32_e32 v7, 0x3b800000
	v_lshlrev_b32_e32 v4, 20, v4
	v_and_b32_e32 v6, 0x80000000, v6
	v_lshl_add_u32 v5, v5, 23, v7
	v_or3_b32 v4, v6, v5, v4
.LBB302_305:
	s_or_b64 exec, exec, s[48:49]
	v_cmp_neq_f32_e64 s[4:5], s52, v4
	s_branch .LBB302_575
.LBB302_306:
	s_movk_i32 s4, 0x80
	v_cmp_eq_u16_sdwa s[54:55], v2, s4 src0_sel:BYTE_1 src1_sel:DWORD
	s_mov_b64 s[4:5], -1
	s_and_saveexec_b64 s[50:51], s[54:55]
; %bb.307:
	s_xor_b64 s[4:5], exec, -1
; %bb.308:
	s_or_b64 exec, exec, s[50:51]
	s_and_b64 s[4:5], s[4:5], exec
	s_or_saveexec_b64 s[48:49], s[48:49]
	v_mov_b32_e32 v4, 0x7f800001
	s_xor_b64 exec, exec, s[48:49]
	s_cbranch_execz .LBB302_303
.LBB302_309:
	v_mov_b32_e32 v4, 0
	v_cmp_ne_u16_sdwa s[50:51], v2, v4 src0_sel:BYTE_1 src1_sel:DWORD
	s_andn2_b64 s[4:5], s[4:5], exec
	s_and_b64 s[50:51], s[50:51], exec
	s_or_b64 s[4:5], s[4:5], s[50:51]
	s_or_b64 exec, exec, s[48:49]
	s_and_saveexec_b64 s[48:49], s[4:5]
	s_cbranch_execnz .LBB302_304
	s_branch .LBB302_305
.LBB302_310:
	s_movk_i32 s4, 0x80
	v_cmp_eq_u16_sdwa s[24:25], v9, s4 src0_sel:BYTE_0 src1_sel:DWORD
	s_mov_b64 s[4:5], -1
	s_and_saveexec_b64 s[20:21], s[24:25]
; %bb.311:
	s_xor_b64 s[4:5], exec, -1
; %bb.312:
	s_or_b64 exec, exec, s[20:21]
	s_and_b64 s[4:5], s[4:5], exec
	s_or_saveexec_b64 s[8:9], s[8:9]
	v_mov_b32_e32 v10, 0x7f800001
	s_xor_b64 exec, exec, s[8:9]
	s_cbranch_execz .LBB302_32
.LBB302_313:
	v_mov_b32_e32 v10, 0
	v_cmp_ne_u16_sdwa s[20:21], v9, v10 src0_sel:BYTE_0 src1_sel:DWORD
	s_andn2_b64 s[4:5], s[4:5], exec
	s_and_b64 s[20:21], s[20:21], exec
	s_or_b64 s[4:5], s[4:5], s[20:21]
	s_or_b64 exec, exec, s[8:9]
	s_and_saveexec_b64 s[8:9], s[4:5]
	s_cbranch_execnz .LBB302_33
	s_branch .LBB302_34
.LBB302_314:
	s_mov_b64 s[10:11], 0
	s_mov_b32 s24, 0x7f800001
	s_cbranch_execz .LBB302_316
; %bb.315:
	s_and_b32 s10, 0xffff, s22
	s_cmp_lg_u32 s10, 0
	s_mov_b32 s24, 0
	s_cselect_b64 s[10:11], -1, 0
.LBB302_316:
	s_andn2_b64 vcc, exec, s[10:11]
	s_cbranch_vccnz .LBB302_318
; %bb.317:
	s_mov_b32 s24, s33
.LBB302_318:
	s_movk_i32 s10, 0x7f
	v_cmp_gt_i16_sdwa s[20:21], v9, s10 src0_sel:BYTE_1 src1_sel:DWORD
	s_mov_b64 s[10:11], 0
	s_and_saveexec_b64 s[22:23], s[20:21]
	s_xor_b64 s[20:21], exec, s[22:23]
	s_cbranch_execnz .LBB302_328
; %bb.319:
	s_or_saveexec_b64 s[20:21], s[20:21]
	v_mov_b32_e32 v11, 0x7f800001
	s_xor_b64 exec, exec, s[20:21]
	s_cbranch_execnz .LBB302_331
.LBB302_320:
	s_or_b64 exec, exec, s[20:21]
	s_and_saveexec_b64 s[20:21], s[10:11]
	s_cbranch_execz .LBB302_322
.LBB302_321:
	v_and_b32_e32 v11, 7, v10
	v_ffbh_u32_e32 v13, v11
	v_min_u32_e32 v13, 32, v13
	v_subrev_u32_e32 v14, 28, v13
	v_bfe_u32 v12, v10, 3, 4
	v_lshlrev_b32_e32 v10, v14, v10
	v_sub_u32_e32 v13, 29, v13
	v_and_b32_e32 v10, 7, v10
	v_cmp_eq_u32_e32 vcc, 0, v12
	v_cndmask_b32_e32 v12, v12, v13, vcc
	v_cndmask_b32_e32 v10, v11, v10, vcc
	v_lshlrev_b32_e32 v9, 16, v9
	v_mov_b32_e32 v11, 0x3b800000
	v_lshlrev_b32_e32 v10, 20, v10
	v_and_b32_e32 v9, 0x80000000, v9
	v_lshl_add_u32 v11, v12, 23, v11
	v_or3_b32 v11, v9, v11, v10
.LBB302_322:
	s_or_b64 exec, exec, s[20:21]
	v_cmp_eq_f32_e64 s[10:11], s24, v11
	s_and_b64 vcc, exec, s[4:5]
	s_cbranch_vccz .LBB302_42
.LBB302_323:
                                        ; implicit-def: $sgpr20_sgpr21
	s_cbranch_execz .LBB302_68
; %bb.324:
	s_and_b32 s24, s14, 0xff
	s_cmpk_lt_i32 s24, 0x80
	s_cbranch_scc1 .LBB302_332
; %bb.325:
	s_and_b32 s20, 0xffff, s24
	s_cmpk_eq_i32 s20, 0x80
	s_mov_b64 s[20:21], -1
	s_cbranch_scc0 .LBB302_327
; %bb.326:
	s_mov_b64 s[20:21], 0
.LBB302_327:
	s_mov_b32 s26, 0x7f800001
	s_branch .LBB302_334
.LBB302_328:
	s_movk_i32 s10, 0x80
	v_cmp_eq_u16_sdwa s[26:27], v9, s10 src0_sel:BYTE_1 src1_sel:DWORD
	s_mov_b64 s[10:11], -1
	s_and_saveexec_b64 s[22:23], s[26:27]
; %bb.329:
	s_xor_b64 s[10:11], exec, -1
; %bb.330:
	s_or_b64 exec, exec, s[22:23]
	s_and_b64 s[10:11], s[10:11], exec
	s_or_saveexec_b64 s[20:21], s[20:21]
	v_mov_b32_e32 v11, 0x7f800001
	s_xor_b64 exec, exec, s[20:21]
	s_cbranch_execz .LBB302_320
.LBB302_331:
	v_mov_b32_e32 v11, 0
	v_cmp_ne_u16_sdwa s[22:23], v9, v11 src0_sel:BYTE_1 src1_sel:DWORD
	s_andn2_b64 s[10:11], s[10:11], exec
	s_and_b64 s[22:23], s[22:23], exec
	s_or_b64 s[10:11], s[10:11], s[22:23]
	s_or_b64 exec, exec, s[20:21]
	s_and_saveexec_b64 s[20:21], s[10:11]
	s_cbranch_execnz .LBB302_321
	s_branch .LBB302_322
.LBB302_332:
	s_mov_b64 s[20:21], 0
	s_mov_b32 s26, 0x7f800001
	s_cbranch_execz .LBB302_334
; %bb.333:
	s_and_b32 s20, 0xffff, s24
	s_cmp_lg_u32 s20, 0
	s_mov_b32 s26, 0
	s_cselect_b64 s[20:21], -1, 0
.LBB302_334:
	s_andn2_b64 vcc, exec, s[20:21]
	s_cbranch_vccnz .LBB302_336
; %bb.335:
	s_mov_b32 s26, s33
.LBB302_336:
	s_movk_i32 s20, 0x7f
	s_waitcnt vmcnt(6)
	v_cmp_gt_i16_sdwa s[22:23], v8, s20 src0_sel:BYTE_0 src1_sel:DWORD
	s_mov_b64 s[20:21], 0
	s_and_saveexec_b64 s[24:25], s[22:23]
	s_xor_b64 s[22:23], exec, s[24:25]
	s_cbranch_execnz .LBB302_346
; %bb.337:
	s_or_saveexec_b64 s[22:23], s[22:23]
	v_mov_b32_e32 v9, 0x7f800001
	s_xor_b64 exec, exec, s[22:23]
	s_cbranch_execnz .LBB302_349
.LBB302_338:
	s_or_b64 exec, exec, s[22:23]
	s_and_saveexec_b64 s[22:23], s[20:21]
	s_cbranch_execz .LBB302_340
.LBB302_339:
	s_mov_b32 s20, 0xffff
	v_and_b32_sdwa v9, s20, v8 dst_sel:DWORD dst_unused:UNUSED_PAD src0_sel:DWORD src1_sel:BYTE_0
	v_and_b32_e32 v10, 7, v9
	v_ffbh_u32_e32 v12, v10
	v_min_u32_e32 v12, 32, v12
	v_subrev_u32_e32 v13, 28, v12
	v_bfe_u32 v11, v9, 3, 4
	v_lshlrev_b32_e32 v9, v13, v9
	v_sub_u32_e32 v12, 29, v12
	v_and_b32_e32 v9, 7, v9
	v_cmp_eq_u32_e32 vcc, 0, v11
	v_cndmask_b32_e32 v11, v11, v12, vcc
	v_cndmask_b32_e32 v9, v10, v9, vcc
	v_lshlrev_b32_e32 v10, 24, v8
	v_mov_b32_e32 v12, 0x3b800000
	v_lshlrev_b32_e32 v9, 20, v9
	v_and_b32_e32 v10, 0x80000000, v10
	v_lshl_add_u32 v11, v11, 23, v12
	v_or3_b32 v9, v10, v11, v9
.LBB302_340:
	s_or_b64 exec, exec, s[22:23]
	v_cmp_eq_f32_e64 s[20:21], s26, v9
	s_and_b64 vcc, exec, s[4:5]
	v_lshrrev_b16_e32 v9, 8, v8
	s_cbranch_vccz .LBB302_69
.LBB302_341:
                                        ; implicit-def: $sgpr22_sgpr23
	s_cbranch_execz .LBB302_90
; %bb.342:
	s_and_b32 s26, s14, 0xff
	s_cmpk_lt_i32 s26, 0x80
	s_cbranch_scc1 .LBB302_350
; %bb.343:
	s_and_b32 s22, 0xffff, s26
	s_cmpk_eq_i32 s22, 0x80
	s_mov_b64 s[22:23], -1
	s_cbranch_scc0 .LBB302_345
; %bb.344:
	s_mov_b64 s[22:23], 0
.LBB302_345:
	s_mov_b32 s28, 0x7f800001
	s_branch .LBB302_352
.LBB302_346:
	s_movk_i32 s20, 0x80
	v_cmp_eq_u16_sdwa s[28:29], v8, s20 src0_sel:BYTE_0 src1_sel:DWORD
	s_mov_b64 s[20:21], -1
	s_and_saveexec_b64 s[24:25], s[28:29]
; %bb.347:
	s_xor_b64 s[20:21], exec, -1
; %bb.348:
	s_or_b64 exec, exec, s[24:25]
	s_and_b64 s[20:21], s[20:21], exec
	s_or_saveexec_b64 s[22:23], s[22:23]
	v_mov_b32_e32 v9, 0x7f800001
	s_xor_b64 exec, exec, s[22:23]
	s_cbranch_execz .LBB302_338
.LBB302_349:
	v_mov_b32_e32 v9, 0
	v_cmp_ne_u16_sdwa s[24:25], v8, v9 src0_sel:BYTE_0 src1_sel:DWORD
	s_andn2_b64 s[20:21], s[20:21], exec
	s_and_b64 s[24:25], s[24:25], exec
	s_or_b64 s[20:21], s[20:21], s[24:25]
	s_or_b64 exec, exec, s[22:23]
	s_and_saveexec_b64 s[22:23], s[20:21]
	s_cbranch_execnz .LBB302_339
	s_branch .LBB302_340
.LBB302_350:
	s_mov_b64 s[22:23], 0
	s_mov_b32 s28, 0x7f800001
	s_cbranch_execz .LBB302_352
; %bb.351:
	s_and_b32 s22, 0xffff, s26
	s_cmp_lg_u32 s22, 0
	s_mov_b32 s28, 0
	s_cselect_b64 s[22:23], -1, 0
.LBB302_352:
	s_andn2_b64 vcc, exec, s[22:23]
	s_cbranch_vccnz .LBB302_354
; %bb.353:
	s_mov_b32 s28, s33
.LBB302_354:
	s_movk_i32 s22, 0x7f
	v_cmp_gt_i16_sdwa s[24:25], v8, s22 src0_sel:BYTE_1 src1_sel:DWORD
	s_mov_b64 s[22:23], 0
	s_and_saveexec_b64 s[26:27], s[24:25]
	s_xor_b64 s[24:25], exec, s[26:27]
	s_cbranch_execnz .LBB302_364
; %bb.355:
	s_or_saveexec_b64 s[24:25], s[24:25]
	v_mov_b32_e32 v10, 0x7f800001
	s_xor_b64 exec, exec, s[24:25]
	s_cbranch_execnz .LBB302_367
.LBB302_356:
	s_or_b64 exec, exec, s[24:25]
	s_and_saveexec_b64 s[24:25], s[22:23]
	s_cbranch_execz .LBB302_358
.LBB302_357:
	v_and_b32_e32 v10, 7, v9
	v_ffbh_u32_e32 v12, v10
	v_min_u32_e32 v12, 32, v12
	v_subrev_u32_e32 v13, 28, v12
	v_bfe_u32 v11, v9, 3, 4
	v_lshlrev_b32_e32 v9, v13, v9
	v_sub_u32_e32 v12, 29, v12
	v_and_b32_e32 v9, 7, v9
	v_cmp_eq_u32_e32 vcc, 0, v11
	v_cndmask_b32_e32 v11, v11, v12, vcc
	v_cndmask_b32_e32 v9, v10, v9, vcc
	v_lshlrev_b32_e32 v8, 16, v8
	v_mov_b32_e32 v10, 0x3b800000
	v_lshlrev_b32_e32 v9, 20, v9
	v_and_b32_e32 v8, 0x80000000, v8
	v_lshl_add_u32 v10, v11, 23, v10
	v_or3_b32 v10, v8, v10, v9
.LBB302_358:
	s_or_b64 exec, exec, s[24:25]
	v_cmp_eq_f32_e64 s[22:23], s28, v10
	s_and_b64 vcc, exec, s[4:5]
	s_cbranch_vccz .LBB302_91
.LBB302_359:
                                        ; implicit-def: $sgpr24_sgpr25
	s_cbranch_execz .LBB302_108
; %bb.360:
	s_and_b32 s28, s14, 0xff
	s_cmpk_lt_i32 s28, 0x80
	s_cbranch_scc1 .LBB302_368
; %bb.361:
	s_and_b32 s24, 0xffff, s28
	s_cmpk_eq_i32 s24, 0x80
	s_mov_b64 s[24:25], -1
	s_cbranch_scc0 .LBB302_363
; %bb.362:
	s_mov_b64 s[24:25], 0
.LBB302_363:
	s_mov_b32 s30, 0x7f800001
	s_branch .LBB302_370
.LBB302_364:
	s_movk_i32 s22, 0x80
	v_cmp_eq_u16_sdwa s[30:31], v8, s22 src0_sel:BYTE_1 src1_sel:DWORD
	s_mov_b64 s[22:23], -1
	s_and_saveexec_b64 s[26:27], s[30:31]
; %bb.365:
	s_xor_b64 s[22:23], exec, -1
; %bb.366:
	s_or_b64 exec, exec, s[26:27]
	s_and_b64 s[22:23], s[22:23], exec
	s_or_saveexec_b64 s[24:25], s[24:25]
	v_mov_b32_e32 v10, 0x7f800001
	s_xor_b64 exec, exec, s[24:25]
	s_cbranch_execz .LBB302_356
.LBB302_367:
	v_mov_b32_e32 v10, 0
	v_cmp_ne_u16_sdwa s[26:27], v8, v10 src0_sel:BYTE_1 src1_sel:DWORD
	s_andn2_b64 s[22:23], s[22:23], exec
	s_and_b64 s[26:27], s[26:27], exec
	s_or_b64 s[22:23], s[22:23], s[26:27]
	s_or_b64 exec, exec, s[24:25]
	s_and_saveexec_b64 s[24:25], s[22:23]
	s_cbranch_execnz .LBB302_357
	s_branch .LBB302_358
.LBB302_368:
	s_mov_b64 s[24:25], 0
	s_mov_b32 s30, 0x7f800001
	s_cbranch_execz .LBB302_370
; %bb.369:
	s_and_b32 s24, 0xffff, s28
	s_cmp_lg_u32 s24, 0
	s_mov_b32 s30, 0
	s_cselect_b64 s[24:25], -1, 0
.LBB302_370:
	s_andn2_b64 vcc, exec, s[24:25]
	s_cbranch_vccnz .LBB302_372
; %bb.371:
	s_mov_b32 s30, s33
.LBB302_372:
	s_movk_i32 s24, 0x7f
	s_waitcnt vmcnt(5)
	v_cmp_gt_i16_sdwa s[26:27], v7, s24 src0_sel:BYTE_0 src1_sel:DWORD
	s_mov_b64 s[24:25], 0
	s_and_saveexec_b64 s[28:29], s[26:27]
	s_xor_b64 s[26:27], exec, s[28:29]
	s_cbranch_execnz .LBB302_382
; %bb.373:
	s_or_saveexec_b64 s[26:27], s[26:27]
	v_mov_b32_e32 v8, 0x7f800001
	s_xor_b64 exec, exec, s[26:27]
	s_cbranch_execnz .LBB302_385
.LBB302_374:
	s_or_b64 exec, exec, s[26:27]
	s_and_saveexec_b64 s[26:27], s[24:25]
	s_cbranch_execz .LBB302_376
.LBB302_375:
	s_mov_b32 s24, 0xffff
	v_and_b32_sdwa v8, s24, v7 dst_sel:DWORD dst_unused:UNUSED_PAD src0_sel:DWORD src1_sel:BYTE_0
	v_and_b32_e32 v9, 7, v8
	v_ffbh_u32_e32 v11, v9
	v_min_u32_e32 v11, 32, v11
	v_subrev_u32_e32 v12, 28, v11
	v_bfe_u32 v10, v8, 3, 4
	v_lshlrev_b32_e32 v8, v12, v8
	v_sub_u32_e32 v11, 29, v11
	v_and_b32_e32 v8, 7, v8
	v_cmp_eq_u32_e32 vcc, 0, v10
	v_cndmask_b32_e32 v10, v10, v11, vcc
	v_cndmask_b32_e32 v8, v9, v8, vcc
	v_lshlrev_b32_e32 v9, 24, v7
	v_mov_b32_e32 v11, 0x3b800000
	v_lshlrev_b32_e32 v8, 20, v8
	v_and_b32_e32 v9, 0x80000000, v9
	v_lshl_add_u32 v10, v10, 23, v11
	v_or3_b32 v8, v9, v10, v8
.LBB302_376:
	s_or_b64 exec, exec, s[26:27]
	v_cmp_eq_f32_e64 s[24:25], s30, v8
	s_and_b64 vcc, exec, s[4:5]
	v_lshrrev_b16_e32 v8, 8, v7
	s_cbranch_vccz .LBB302_109
.LBB302_377:
                                        ; implicit-def: $sgpr26_sgpr27
	s_cbranch_execz .LBB302_126
; %bb.378:
	s_and_b32 s30, s14, 0xff
	s_cmpk_lt_i32 s30, 0x80
	s_cbranch_scc1 .LBB302_386
; %bb.379:
	s_and_b32 s26, 0xffff, s30
	s_cmpk_eq_i32 s26, 0x80
	s_mov_b64 s[26:27], -1
	s_cbranch_scc0 .LBB302_381
; %bb.380:
	s_mov_b64 s[26:27], 0
.LBB302_381:
	s_mov_b32 s34, 0x7f800001
	s_branch .LBB302_388
.LBB302_382:
	s_movk_i32 s24, 0x80
	v_cmp_eq_u16_sdwa s[34:35], v7, s24 src0_sel:BYTE_0 src1_sel:DWORD
	s_mov_b64 s[24:25], -1
	s_and_saveexec_b64 s[28:29], s[34:35]
; %bb.383:
	s_xor_b64 s[24:25], exec, -1
; %bb.384:
	s_or_b64 exec, exec, s[28:29]
	s_and_b64 s[24:25], s[24:25], exec
	s_or_saveexec_b64 s[26:27], s[26:27]
	v_mov_b32_e32 v8, 0x7f800001
	s_xor_b64 exec, exec, s[26:27]
	s_cbranch_execz .LBB302_374
.LBB302_385:
	v_mov_b32_e32 v8, 0
	v_cmp_ne_u16_sdwa s[28:29], v7, v8 src0_sel:BYTE_0 src1_sel:DWORD
	s_andn2_b64 s[24:25], s[24:25], exec
	s_and_b64 s[28:29], s[28:29], exec
	s_or_b64 s[24:25], s[24:25], s[28:29]
	s_or_b64 exec, exec, s[26:27]
	s_and_saveexec_b64 s[26:27], s[24:25]
	s_cbranch_execnz .LBB302_375
	s_branch .LBB302_376
.LBB302_386:
	s_mov_b64 s[26:27], 0
	s_mov_b32 s34, 0x7f800001
	s_cbranch_execz .LBB302_388
; %bb.387:
	s_and_b32 s26, 0xffff, s30
	s_cmp_lg_u32 s26, 0
	s_mov_b32 s34, 0
	s_cselect_b64 s[26:27], -1, 0
.LBB302_388:
	s_andn2_b64 vcc, exec, s[26:27]
	s_cbranch_vccnz .LBB302_390
; %bb.389:
	s_mov_b32 s34, s33
.LBB302_390:
	s_movk_i32 s26, 0x7f
	v_cmp_gt_i16_sdwa s[28:29], v7, s26 src0_sel:BYTE_1 src1_sel:DWORD
	s_mov_b64 s[26:27], 0
	s_and_saveexec_b64 s[30:31], s[28:29]
	s_xor_b64 s[28:29], exec, s[30:31]
	s_cbranch_execnz .LBB302_400
; %bb.391:
	s_or_saveexec_b64 s[28:29], s[28:29]
	v_mov_b32_e32 v9, 0x7f800001
	s_xor_b64 exec, exec, s[28:29]
	s_cbranch_execnz .LBB302_403
.LBB302_392:
	s_or_b64 exec, exec, s[28:29]
	s_and_saveexec_b64 s[28:29], s[26:27]
	s_cbranch_execz .LBB302_394
.LBB302_393:
	v_and_b32_e32 v9, 7, v8
	v_ffbh_u32_e32 v11, v9
	v_min_u32_e32 v11, 32, v11
	v_subrev_u32_e32 v12, 28, v11
	v_bfe_u32 v10, v8, 3, 4
	v_lshlrev_b32_e32 v8, v12, v8
	v_sub_u32_e32 v11, 29, v11
	v_and_b32_e32 v8, 7, v8
	v_cmp_eq_u32_e32 vcc, 0, v10
	v_cndmask_b32_e32 v10, v10, v11, vcc
	v_cndmask_b32_e32 v8, v9, v8, vcc
	v_lshlrev_b32_e32 v7, 16, v7
	v_mov_b32_e32 v9, 0x3b800000
	v_lshlrev_b32_e32 v8, 20, v8
	v_and_b32_e32 v7, 0x80000000, v7
	v_lshl_add_u32 v9, v10, 23, v9
	v_or3_b32 v9, v7, v9, v8
.LBB302_394:
	s_or_b64 exec, exec, s[28:29]
	v_cmp_eq_f32_e64 s[26:27], s34, v9
	s_and_b64 vcc, exec, s[4:5]
	s_cbranch_vccz .LBB302_127
.LBB302_395:
                                        ; implicit-def: $sgpr28_sgpr29
	s_cbranch_execz .LBB302_144
; %bb.396:
	s_and_b32 s34, s14, 0xff
	s_cmpk_lt_i32 s34, 0x80
	s_cbranch_scc1 .LBB302_404
; %bb.397:
	s_and_b32 s28, 0xffff, s34
	s_cmpk_eq_i32 s28, 0x80
	s_mov_b64 s[28:29], -1
	s_cbranch_scc0 .LBB302_399
; %bb.398:
	s_mov_b64 s[28:29], 0
.LBB302_399:
	s_mov_b32 s36, 0x7f800001
	s_branch .LBB302_406
.LBB302_400:
	s_movk_i32 s26, 0x80
	v_cmp_eq_u16_sdwa s[36:37], v7, s26 src0_sel:BYTE_1 src1_sel:DWORD
	s_mov_b64 s[26:27], -1
	s_and_saveexec_b64 s[30:31], s[36:37]
; %bb.401:
	s_xor_b64 s[26:27], exec, -1
; %bb.402:
	s_or_b64 exec, exec, s[30:31]
	s_and_b64 s[26:27], s[26:27], exec
	s_or_saveexec_b64 s[28:29], s[28:29]
	v_mov_b32_e32 v9, 0x7f800001
	s_xor_b64 exec, exec, s[28:29]
	s_cbranch_execz .LBB302_392
.LBB302_403:
	v_mov_b32_e32 v9, 0
	v_cmp_ne_u16_sdwa s[30:31], v7, v9 src0_sel:BYTE_1 src1_sel:DWORD
	s_andn2_b64 s[26:27], s[26:27], exec
	s_and_b64 s[30:31], s[30:31], exec
	s_or_b64 s[26:27], s[26:27], s[30:31]
	s_or_b64 exec, exec, s[28:29]
	s_and_saveexec_b64 s[28:29], s[26:27]
	s_cbranch_execnz .LBB302_393
	s_branch .LBB302_394
.LBB302_404:
	s_mov_b64 s[28:29], 0
	s_mov_b32 s36, 0x7f800001
	s_cbranch_execz .LBB302_406
; %bb.405:
	s_and_b32 s28, 0xffff, s34
	s_cmp_lg_u32 s28, 0
	s_mov_b32 s36, 0
	s_cselect_b64 s[28:29], -1, 0
.LBB302_406:
	s_andn2_b64 vcc, exec, s[28:29]
	s_cbranch_vccnz .LBB302_408
; %bb.407:
	s_mov_b32 s36, s33
.LBB302_408:
	s_movk_i32 s28, 0x7f
	s_waitcnt vmcnt(4)
	v_cmp_gt_i16_sdwa s[30:31], v6, s28 src0_sel:BYTE_0 src1_sel:DWORD
	s_mov_b64 s[28:29], 0
	s_and_saveexec_b64 s[34:35], s[30:31]
	s_xor_b64 s[30:31], exec, s[34:35]
	s_cbranch_execnz .LBB302_418
; %bb.409:
	s_or_saveexec_b64 s[30:31], s[30:31]
	v_mov_b32_e32 v7, 0x7f800001
	s_xor_b64 exec, exec, s[30:31]
	s_cbranch_execnz .LBB302_421
.LBB302_410:
	s_or_b64 exec, exec, s[30:31]
	s_and_saveexec_b64 s[30:31], s[28:29]
	s_cbranch_execz .LBB302_412
.LBB302_411:
	s_mov_b32 s28, 0xffff
	v_and_b32_sdwa v7, s28, v6 dst_sel:DWORD dst_unused:UNUSED_PAD src0_sel:DWORD src1_sel:BYTE_0
	v_and_b32_e32 v8, 7, v7
	v_ffbh_u32_e32 v10, v8
	v_min_u32_e32 v10, 32, v10
	v_subrev_u32_e32 v11, 28, v10
	v_bfe_u32 v9, v7, 3, 4
	v_lshlrev_b32_e32 v7, v11, v7
	v_sub_u32_e32 v10, 29, v10
	v_and_b32_e32 v7, 7, v7
	v_cmp_eq_u32_e32 vcc, 0, v9
	v_cndmask_b32_e32 v9, v9, v10, vcc
	v_cndmask_b32_e32 v7, v8, v7, vcc
	v_lshlrev_b32_e32 v8, 24, v6
	v_mov_b32_e32 v10, 0x3b800000
	v_lshlrev_b32_e32 v7, 20, v7
	v_and_b32_e32 v8, 0x80000000, v8
	v_lshl_add_u32 v9, v9, 23, v10
	v_or3_b32 v7, v8, v9, v7
.LBB302_412:
	s_or_b64 exec, exec, s[30:31]
	v_cmp_eq_f32_e64 s[28:29], s36, v7
	s_and_b64 vcc, exec, s[4:5]
	v_lshrrev_b16_e32 v7, 8, v6
	s_cbranch_vccz .LBB302_145
.LBB302_413:
                                        ; implicit-def: $sgpr30_sgpr31
	s_cbranch_execz .LBB302_162
; %bb.414:
	s_and_b32 s36, s14, 0xff
	s_cmpk_lt_i32 s36, 0x80
	s_cbranch_scc1 .LBB302_422
; %bb.415:
	s_and_b32 s30, 0xffff, s36
	s_cmpk_eq_i32 s30, 0x80
	s_mov_b64 s[30:31], -1
	s_cbranch_scc0 .LBB302_417
; %bb.416:
	s_mov_b64 s[30:31], 0
.LBB302_417:
	s_mov_b32 s38, 0x7f800001
	s_branch .LBB302_424
.LBB302_418:
	s_movk_i32 s28, 0x80
	v_cmp_eq_u16_sdwa s[38:39], v6, s28 src0_sel:BYTE_0 src1_sel:DWORD
	s_mov_b64 s[28:29], -1
	s_and_saveexec_b64 s[34:35], s[38:39]
; %bb.419:
	s_xor_b64 s[28:29], exec, -1
; %bb.420:
	s_or_b64 exec, exec, s[34:35]
	s_and_b64 s[28:29], s[28:29], exec
	s_or_saveexec_b64 s[30:31], s[30:31]
	v_mov_b32_e32 v7, 0x7f800001
	s_xor_b64 exec, exec, s[30:31]
	s_cbranch_execz .LBB302_410
.LBB302_421:
	v_mov_b32_e32 v7, 0
	v_cmp_ne_u16_sdwa s[34:35], v6, v7 src0_sel:BYTE_0 src1_sel:DWORD
	s_andn2_b64 s[28:29], s[28:29], exec
	s_and_b64 s[34:35], s[34:35], exec
	s_or_b64 s[28:29], s[28:29], s[34:35]
	s_or_b64 exec, exec, s[30:31]
	s_and_saveexec_b64 s[30:31], s[28:29]
	s_cbranch_execnz .LBB302_411
	s_branch .LBB302_412
.LBB302_422:
	s_mov_b64 s[30:31], 0
	s_mov_b32 s38, 0x7f800001
	s_cbranch_execz .LBB302_424
; %bb.423:
	s_and_b32 s30, 0xffff, s36
	s_cmp_lg_u32 s30, 0
	s_mov_b32 s38, 0
	s_cselect_b64 s[30:31], -1, 0
.LBB302_424:
	s_andn2_b64 vcc, exec, s[30:31]
	s_cbranch_vccnz .LBB302_426
; %bb.425:
	s_mov_b32 s38, s33
.LBB302_426:
	s_movk_i32 s30, 0x7f
	v_cmp_gt_i16_sdwa s[34:35], v6, s30 src0_sel:BYTE_1 src1_sel:DWORD
	s_mov_b64 s[30:31], 0
	s_and_saveexec_b64 s[36:37], s[34:35]
	s_xor_b64 s[34:35], exec, s[36:37]
	s_cbranch_execnz .LBB302_436
; %bb.427:
	s_or_saveexec_b64 s[34:35], s[34:35]
	v_mov_b32_e32 v8, 0x7f800001
	s_xor_b64 exec, exec, s[34:35]
	s_cbranch_execnz .LBB302_439
.LBB302_428:
	s_or_b64 exec, exec, s[34:35]
	s_and_saveexec_b64 s[34:35], s[30:31]
	s_cbranch_execz .LBB302_430
.LBB302_429:
	v_and_b32_e32 v8, 7, v7
	v_ffbh_u32_e32 v10, v8
	v_min_u32_e32 v10, 32, v10
	v_subrev_u32_e32 v11, 28, v10
	v_bfe_u32 v9, v7, 3, 4
	v_lshlrev_b32_e32 v7, v11, v7
	v_sub_u32_e32 v10, 29, v10
	v_and_b32_e32 v7, 7, v7
	v_cmp_eq_u32_e32 vcc, 0, v9
	v_cndmask_b32_e32 v9, v9, v10, vcc
	v_cndmask_b32_e32 v7, v8, v7, vcc
	v_lshlrev_b32_e32 v6, 16, v6
	v_mov_b32_e32 v8, 0x3b800000
	v_lshlrev_b32_e32 v7, 20, v7
	v_and_b32_e32 v6, 0x80000000, v6
	v_lshl_add_u32 v8, v9, 23, v8
	v_or3_b32 v8, v6, v8, v7
.LBB302_430:
	s_or_b64 exec, exec, s[34:35]
	v_cmp_eq_f32_e64 s[30:31], s38, v8
	s_and_b64 vcc, exec, s[4:5]
	s_cbranch_vccz .LBB302_163
.LBB302_431:
                                        ; implicit-def: $sgpr34_sgpr35
	s_cbranch_execz .LBB302_180
; %bb.432:
	s_and_b32 s38, s14, 0xff
	s_cmpk_lt_i32 s38, 0x80
	s_cbranch_scc1 .LBB302_440
; %bb.433:
	s_and_b32 s34, 0xffff, s38
	s_cmpk_eq_i32 s34, 0x80
	s_mov_b64 s[34:35], -1
	s_cbranch_scc0 .LBB302_435
; %bb.434:
	s_mov_b64 s[34:35], 0
.LBB302_435:
	s_mov_b32 s40, 0x7f800001
	s_branch .LBB302_442
.LBB302_436:
	s_movk_i32 s30, 0x80
	v_cmp_eq_u16_sdwa s[40:41], v6, s30 src0_sel:BYTE_1 src1_sel:DWORD
	s_mov_b64 s[30:31], -1
	s_and_saveexec_b64 s[36:37], s[40:41]
; %bb.437:
	s_xor_b64 s[30:31], exec, -1
; %bb.438:
	s_or_b64 exec, exec, s[36:37]
	s_and_b64 s[30:31], s[30:31], exec
	s_or_saveexec_b64 s[34:35], s[34:35]
	v_mov_b32_e32 v8, 0x7f800001
	s_xor_b64 exec, exec, s[34:35]
	s_cbranch_execz .LBB302_428
.LBB302_439:
	v_mov_b32_e32 v8, 0
	v_cmp_ne_u16_sdwa s[36:37], v6, v8 src0_sel:BYTE_1 src1_sel:DWORD
	s_andn2_b64 s[30:31], s[30:31], exec
	s_and_b64 s[36:37], s[36:37], exec
	s_or_b64 s[30:31], s[30:31], s[36:37]
	s_or_b64 exec, exec, s[34:35]
	s_and_saveexec_b64 s[34:35], s[30:31]
	s_cbranch_execnz .LBB302_429
	s_branch .LBB302_430
.LBB302_440:
	s_mov_b64 s[34:35], 0
	s_mov_b32 s40, 0x7f800001
	s_cbranch_execz .LBB302_442
; %bb.441:
	s_and_b32 s34, 0xffff, s38
	s_cmp_lg_u32 s34, 0
	s_mov_b32 s40, 0
	s_cselect_b64 s[34:35], -1, 0
.LBB302_442:
	s_andn2_b64 vcc, exec, s[34:35]
	s_cbranch_vccnz .LBB302_444
; %bb.443:
	s_mov_b32 s40, s33
.LBB302_444:
	s_movk_i32 s34, 0x7f
	s_waitcnt vmcnt(3)
	v_cmp_gt_i16_sdwa s[36:37], v5, s34 src0_sel:BYTE_0 src1_sel:DWORD
	s_mov_b64 s[34:35], 0
	s_and_saveexec_b64 s[38:39], s[36:37]
	s_xor_b64 s[36:37], exec, s[38:39]
	s_cbranch_execnz .LBB302_454
; %bb.445:
	s_or_saveexec_b64 s[36:37], s[36:37]
	v_mov_b32_e32 v6, 0x7f800001
	s_xor_b64 exec, exec, s[36:37]
	s_cbranch_execnz .LBB302_457
.LBB302_446:
	s_or_b64 exec, exec, s[36:37]
	s_and_saveexec_b64 s[36:37], s[34:35]
	s_cbranch_execz .LBB302_448
.LBB302_447:
	s_mov_b32 s34, 0xffff
	v_and_b32_sdwa v6, s34, v5 dst_sel:DWORD dst_unused:UNUSED_PAD src0_sel:DWORD src1_sel:BYTE_0
	v_and_b32_e32 v7, 7, v6
	v_ffbh_u32_e32 v9, v7
	v_min_u32_e32 v9, 32, v9
	v_subrev_u32_e32 v10, 28, v9
	v_bfe_u32 v8, v6, 3, 4
	v_lshlrev_b32_e32 v6, v10, v6
	v_sub_u32_e32 v9, 29, v9
	v_and_b32_e32 v6, 7, v6
	v_cmp_eq_u32_e32 vcc, 0, v8
	v_cndmask_b32_e32 v8, v8, v9, vcc
	v_cndmask_b32_e32 v6, v7, v6, vcc
	v_lshlrev_b32_e32 v7, 24, v5
	v_mov_b32_e32 v9, 0x3b800000
	v_lshlrev_b32_e32 v6, 20, v6
	v_and_b32_e32 v7, 0x80000000, v7
	v_lshl_add_u32 v8, v8, 23, v9
	v_or3_b32 v6, v7, v8, v6
.LBB302_448:
	s_or_b64 exec, exec, s[36:37]
	v_cmp_eq_f32_e64 s[34:35], s40, v6
	s_and_b64 vcc, exec, s[4:5]
	v_lshrrev_b16_e32 v6, 8, v5
	s_cbranch_vccz .LBB302_181
.LBB302_449:
                                        ; implicit-def: $sgpr36_sgpr37
	s_cbranch_execz .LBB302_198
; %bb.450:
	s_and_b32 s40, s14, 0xff
	s_cmpk_lt_i32 s40, 0x80
	s_cbranch_scc1 .LBB302_458
; %bb.451:
	s_and_b32 s36, 0xffff, s40
	s_cmpk_eq_i32 s36, 0x80
	s_mov_b64 s[36:37], -1
	s_cbranch_scc0 .LBB302_453
; %bb.452:
	s_mov_b64 s[36:37], 0
.LBB302_453:
	s_mov_b32 s42, 0x7f800001
	s_branch .LBB302_460
.LBB302_454:
	s_movk_i32 s34, 0x80
	v_cmp_eq_u16_sdwa s[42:43], v5, s34 src0_sel:BYTE_0 src1_sel:DWORD
	s_mov_b64 s[34:35], -1
	s_and_saveexec_b64 s[38:39], s[42:43]
; %bb.455:
	s_xor_b64 s[34:35], exec, -1
; %bb.456:
	s_or_b64 exec, exec, s[38:39]
	s_and_b64 s[34:35], s[34:35], exec
	s_or_saveexec_b64 s[36:37], s[36:37]
	v_mov_b32_e32 v6, 0x7f800001
	s_xor_b64 exec, exec, s[36:37]
	s_cbranch_execz .LBB302_446
.LBB302_457:
	v_mov_b32_e32 v6, 0
	v_cmp_ne_u16_sdwa s[38:39], v5, v6 src0_sel:BYTE_0 src1_sel:DWORD
	s_andn2_b64 s[34:35], s[34:35], exec
	s_and_b64 s[38:39], s[38:39], exec
	s_or_b64 s[34:35], s[34:35], s[38:39]
	s_or_b64 exec, exec, s[36:37]
	s_and_saveexec_b64 s[36:37], s[34:35]
	s_cbranch_execnz .LBB302_447
	s_branch .LBB302_448
.LBB302_458:
	s_mov_b64 s[36:37], 0
	s_mov_b32 s42, 0x7f800001
	s_cbranch_execz .LBB302_460
; %bb.459:
	s_and_b32 s36, 0xffff, s40
	s_cmp_lg_u32 s36, 0
	s_mov_b32 s42, 0
	s_cselect_b64 s[36:37], -1, 0
.LBB302_460:
	s_andn2_b64 vcc, exec, s[36:37]
	s_cbranch_vccnz .LBB302_462
; %bb.461:
	s_mov_b32 s42, s33
.LBB302_462:
	s_movk_i32 s36, 0x7f
	v_cmp_gt_i16_sdwa s[38:39], v5, s36 src0_sel:BYTE_1 src1_sel:DWORD
	s_mov_b64 s[36:37], 0
	s_and_saveexec_b64 s[40:41], s[38:39]
	s_xor_b64 s[38:39], exec, s[40:41]
	s_cbranch_execnz .LBB302_472
; %bb.463:
	s_or_saveexec_b64 s[38:39], s[38:39]
	v_mov_b32_e32 v7, 0x7f800001
	s_xor_b64 exec, exec, s[38:39]
	s_cbranch_execnz .LBB302_475
.LBB302_464:
	s_or_b64 exec, exec, s[38:39]
	s_and_saveexec_b64 s[38:39], s[36:37]
	s_cbranch_execz .LBB302_466
.LBB302_465:
	v_and_b32_e32 v7, 7, v6
	v_ffbh_u32_e32 v9, v7
	v_min_u32_e32 v9, 32, v9
	v_subrev_u32_e32 v10, 28, v9
	v_bfe_u32 v8, v6, 3, 4
	v_lshlrev_b32_e32 v6, v10, v6
	v_sub_u32_e32 v9, 29, v9
	v_and_b32_e32 v6, 7, v6
	v_cmp_eq_u32_e32 vcc, 0, v8
	v_cndmask_b32_e32 v8, v8, v9, vcc
	v_cndmask_b32_e32 v6, v7, v6, vcc
	v_lshlrev_b32_e32 v5, 16, v5
	v_mov_b32_e32 v7, 0x3b800000
	v_lshlrev_b32_e32 v6, 20, v6
	v_and_b32_e32 v5, 0x80000000, v5
	v_lshl_add_u32 v7, v8, 23, v7
	v_or3_b32 v7, v5, v7, v6
.LBB302_466:
	s_or_b64 exec, exec, s[38:39]
	v_cmp_eq_f32_e64 s[36:37], s42, v7
	s_and_b64 vcc, exec, s[4:5]
	s_cbranch_vccz .LBB302_199
.LBB302_467:
                                        ; implicit-def: $sgpr38_sgpr39
	s_cbranch_execz .LBB302_216
; %bb.468:
	s_and_b32 s42, s14, 0xff
	s_cmpk_lt_i32 s42, 0x80
	s_cbranch_scc1 .LBB302_476
; %bb.469:
	s_and_b32 s38, 0xffff, s42
	s_cmpk_eq_i32 s38, 0x80
	s_mov_b64 s[38:39], -1
	s_cbranch_scc0 .LBB302_471
; %bb.470:
	s_mov_b64 s[38:39], 0
.LBB302_471:
	s_mov_b32 s44, 0x7f800001
	s_branch .LBB302_478
.LBB302_472:
	s_movk_i32 s36, 0x80
	v_cmp_eq_u16_sdwa s[44:45], v5, s36 src0_sel:BYTE_1 src1_sel:DWORD
	s_mov_b64 s[36:37], -1
	s_and_saveexec_b64 s[40:41], s[44:45]
; %bb.473:
	s_xor_b64 s[36:37], exec, -1
; %bb.474:
	s_or_b64 exec, exec, s[40:41]
	s_and_b64 s[36:37], s[36:37], exec
	s_or_saveexec_b64 s[38:39], s[38:39]
	v_mov_b32_e32 v7, 0x7f800001
	s_xor_b64 exec, exec, s[38:39]
	s_cbranch_execz .LBB302_464
.LBB302_475:
	v_mov_b32_e32 v7, 0
	v_cmp_ne_u16_sdwa s[40:41], v5, v7 src0_sel:BYTE_1 src1_sel:DWORD
	s_andn2_b64 s[36:37], s[36:37], exec
	s_and_b64 s[40:41], s[40:41], exec
	s_or_b64 s[36:37], s[36:37], s[40:41]
	s_or_b64 exec, exec, s[38:39]
	s_and_saveexec_b64 s[38:39], s[36:37]
	s_cbranch_execnz .LBB302_465
	s_branch .LBB302_466
.LBB302_476:
	s_mov_b64 s[38:39], 0
	s_mov_b32 s44, 0x7f800001
	s_cbranch_execz .LBB302_478
; %bb.477:
	s_and_b32 s38, 0xffff, s42
	s_cmp_lg_u32 s38, 0
	s_mov_b32 s44, 0
	s_cselect_b64 s[38:39], -1, 0
.LBB302_478:
	s_andn2_b64 vcc, exec, s[38:39]
	s_cbranch_vccnz .LBB302_480
; %bb.479:
	s_mov_b32 s44, s33
.LBB302_480:
	s_movk_i32 s38, 0x7f
	s_waitcnt vmcnt(2)
	v_cmp_gt_i16_sdwa s[40:41], v4, s38 src0_sel:BYTE_0 src1_sel:DWORD
	s_mov_b64 s[38:39], 0
	s_and_saveexec_b64 s[42:43], s[40:41]
	s_xor_b64 s[40:41], exec, s[42:43]
	s_cbranch_execnz .LBB302_490
; %bb.481:
	s_or_saveexec_b64 s[40:41], s[40:41]
	v_mov_b32_e32 v5, 0x7f800001
	s_xor_b64 exec, exec, s[40:41]
	s_cbranch_execnz .LBB302_493
.LBB302_482:
	s_or_b64 exec, exec, s[40:41]
	s_and_saveexec_b64 s[40:41], s[38:39]
	s_cbranch_execz .LBB302_484
.LBB302_483:
	s_mov_b32 s38, 0xffff
	v_and_b32_sdwa v5, s38, v4 dst_sel:DWORD dst_unused:UNUSED_PAD src0_sel:DWORD src1_sel:BYTE_0
	v_and_b32_e32 v6, 7, v5
	v_ffbh_u32_e32 v8, v6
	v_min_u32_e32 v8, 32, v8
	v_subrev_u32_e32 v9, 28, v8
	v_bfe_u32 v7, v5, 3, 4
	v_lshlrev_b32_e32 v5, v9, v5
	v_sub_u32_e32 v8, 29, v8
	v_and_b32_e32 v5, 7, v5
	v_cmp_eq_u32_e32 vcc, 0, v7
	v_cndmask_b32_e32 v7, v7, v8, vcc
	v_cndmask_b32_e32 v5, v6, v5, vcc
	v_lshlrev_b32_e32 v6, 24, v4
	v_mov_b32_e32 v8, 0x3b800000
	v_lshlrev_b32_e32 v5, 20, v5
	v_and_b32_e32 v6, 0x80000000, v6
	v_lshl_add_u32 v7, v7, 23, v8
	v_or3_b32 v5, v6, v7, v5
.LBB302_484:
	s_or_b64 exec, exec, s[40:41]
	v_cmp_eq_f32_e64 s[38:39], s44, v5
	s_and_b64 vcc, exec, s[4:5]
	v_lshrrev_b16_e32 v5, 8, v4
	s_cbranch_vccz .LBB302_217
.LBB302_485:
                                        ; implicit-def: $sgpr40_sgpr41
	s_cbranch_execz .LBB302_234
; %bb.486:
	s_and_b32 s44, s14, 0xff
	s_cmpk_lt_i32 s44, 0x80
	s_cbranch_scc1 .LBB302_494
; %bb.487:
	s_and_b32 s40, 0xffff, s44
	s_cmpk_eq_i32 s40, 0x80
	s_mov_b64 s[40:41], -1
	s_cbranch_scc0 .LBB302_489
; %bb.488:
	s_mov_b64 s[40:41], 0
.LBB302_489:
	s_mov_b32 s46, 0x7f800001
	s_branch .LBB302_496
.LBB302_490:
	s_movk_i32 s38, 0x80
	v_cmp_eq_u16_sdwa s[46:47], v4, s38 src0_sel:BYTE_0 src1_sel:DWORD
	s_mov_b64 s[38:39], -1
	s_and_saveexec_b64 s[42:43], s[46:47]
; %bb.491:
	s_xor_b64 s[38:39], exec, -1
; %bb.492:
	s_or_b64 exec, exec, s[42:43]
	s_and_b64 s[38:39], s[38:39], exec
	s_or_saveexec_b64 s[40:41], s[40:41]
	v_mov_b32_e32 v5, 0x7f800001
	s_xor_b64 exec, exec, s[40:41]
	s_cbranch_execz .LBB302_482
.LBB302_493:
	v_mov_b32_e32 v5, 0
	v_cmp_ne_u16_sdwa s[42:43], v4, v5 src0_sel:BYTE_0 src1_sel:DWORD
	s_andn2_b64 s[38:39], s[38:39], exec
	s_and_b64 s[42:43], s[42:43], exec
	s_or_b64 s[38:39], s[38:39], s[42:43]
	s_or_b64 exec, exec, s[40:41]
	s_and_saveexec_b64 s[40:41], s[38:39]
	s_cbranch_execnz .LBB302_483
	s_branch .LBB302_484
.LBB302_494:
	s_mov_b64 s[40:41], 0
	s_mov_b32 s46, 0x7f800001
	s_cbranch_execz .LBB302_496
; %bb.495:
	s_and_b32 s40, 0xffff, s44
	s_cmp_lg_u32 s40, 0
	s_mov_b32 s46, 0
	s_cselect_b64 s[40:41], -1, 0
.LBB302_496:
	s_andn2_b64 vcc, exec, s[40:41]
	s_cbranch_vccnz .LBB302_498
; %bb.497:
	s_mov_b32 s46, s33
.LBB302_498:
	s_movk_i32 s40, 0x7f
	v_cmp_gt_i16_sdwa s[42:43], v4, s40 src0_sel:BYTE_1 src1_sel:DWORD
	s_mov_b64 s[40:41], 0
	s_and_saveexec_b64 s[44:45], s[42:43]
	s_xor_b64 s[42:43], exec, s[44:45]
	s_cbranch_execnz .LBB302_508
; %bb.499:
	s_or_saveexec_b64 s[42:43], s[42:43]
	v_mov_b32_e32 v6, 0x7f800001
	s_xor_b64 exec, exec, s[42:43]
	s_cbranch_execnz .LBB302_511
.LBB302_500:
	s_or_b64 exec, exec, s[42:43]
	s_and_saveexec_b64 s[42:43], s[40:41]
	s_cbranch_execz .LBB302_502
.LBB302_501:
	v_and_b32_e32 v6, 7, v5
	v_ffbh_u32_e32 v8, v6
	v_min_u32_e32 v8, 32, v8
	v_subrev_u32_e32 v9, 28, v8
	v_bfe_u32 v7, v5, 3, 4
	v_lshlrev_b32_e32 v5, v9, v5
	v_sub_u32_e32 v8, 29, v8
	v_and_b32_e32 v5, 7, v5
	v_cmp_eq_u32_e32 vcc, 0, v7
	v_cndmask_b32_e32 v7, v7, v8, vcc
	v_cndmask_b32_e32 v5, v6, v5, vcc
	v_lshlrev_b32_e32 v4, 16, v4
	v_mov_b32_e32 v6, 0x3b800000
	v_lshlrev_b32_e32 v5, 20, v5
	v_and_b32_e32 v4, 0x80000000, v4
	v_lshl_add_u32 v6, v7, 23, v6
	v_or3_b32 v6, v4, v6, v5
.LBB302_502:
	s_or_b64 exec, exec, s[42:43]
	v_cmp_eq_f32_e64 s[40:41], s46, v6
	s_and_b64 vcc, exec, s[4:5]
	s_cbranch_vccz .LBB302_235
.LBB302_503:
                                        ; implicit-def: $sgpr42_sgpr43
	s_cbranch_execz .LBB302_252
; %bb.504:
	s_and_b32 s46, s14, 0xff
	s_cmpk_lt_i32 s46, 0x80
	s_cbranch_scc1 .LBB302_512
; %bb.505:
	s_and_b32 s42, 0xffff, s46
	s_cmpk_eq_i32 s42, 0x80
	s_mov_b64 s[42:43], -1
	s_cbranch_scc0 .LBB302_507
; %bb.506:
	s_mov_b64 s[42:43], 0
.LBB302_507:
	s_mov_b32 s48, 0x7f800001
	s_branch .LBB302_514
.LBB302_508:
	s_movk_i32 s40, 0x80
	v_cmp_eq_u16_sdwa s[48:49], v4, s40 src0_sel:BYTE_1 src1_sel:DWORD
	s_mov_b64 s[40:41], -1
	s_and_saveexec_b64 s[44:45], s[48:49]
; %bb.509:
	s_xor_b64 s[40:41], exec, -1
; %bb.510:
	s_or_b64 exec, exec, s[44:45]
	s_and_b64 s[40:41], s[40:41], exec
	s_or_saveexec_b64 s[42:43], s[42:43]
	v_mov_b32_e32 v6, 0x7f800001
	s_xor_b64 exec, exec, s[42:43]
	s_cbranch_execz .LBB302_500
.LBB302_511:
	v_mov_b32_e32 v6, 0
	v_cmp_ne_u16_sdwa s[44:45], v4, v6 src0_sel:BYTE_1 src1_sel:DWORD
	s_andn2_b64 s[40:41], s[40:41], exec
	s_and_b64 s[44:45], s[44:45], exec
	s_or_b64 s[40:41], s[40:41], s[44:45]
	s_or_b64 exec, exec, s[42:43]
	s_and_saveexec_b64 s[42:43], s[40:41]
	s_cbranch_execnz .LBB302_501
	s_branch .LBB302_502
.LBB302_512:
	s_mov_b64 s[42:43], 0
	s_mov_b32 s48, 0x7f800001
	s_cbranch_execz .LBB302_514
; %bb.513:
	s_and_b32 s42, 0xffff, s46
	s_cmp_lg_u32 s42, 0
	s_mov_b32 s48, 0
	s_cselect_b64 s[42:43], -1, 0
.LBB302_514:
	s_andn2_b64 vcc, exec, s[42:43]
	s_cbranch_vccnz .LBB302_516
; %bb.515:
	s_mov_b32 s48, s33
.LBB302_516:
	s_movk_i32 s42, 0x7f
	s_waitcnt vmcnt(1)
	v_cmp_gt_i16_sdwa s[44:45], v3, s42 src0_sel:BYTE_0 src1_sel:DWORD
	s_mov_b64 s[42:43], 0
	s_and_saveexec_b64 s[46:47], s[44:45]
	s_xor_b64 s[44:45], exec, s[46:47]
	s_cbranch_execnz .LBB302_526
; %bb.517:
	s_or_saveexec_b64 s[44:45], s[44:45]
	v_mov_b32_e32 v4, 0x7f800001
	s_xor_b64 exec, exec, s[44:45]
	s_cbranch_execnz .LBB302_529
.LBB302_518:
	s_or_b64 exec, exec, s[44:45]
	s_and_saveexec_b64 s[44:45], s[42:43]
	s_cbranch_execz .LBB302_520
.LBB302_519:
	s_mov_b32 s42, 0xffff
	v_and_b32_sdwa v4, s42, v3 dst_sel:DWORD dst_unused:UNUSED_PAD src0_sel:DWORD src1_sel:BYTE_0
	v_and_b32_e32 v5, 7, v4
	v_ffbh_u32_e32 v7, v5
	v_min_u32_e32 v7, 32, v7
	v_subrev_u32_e32 v8, 28, v7
	v_bfe_u32 v6, v4, 3, 4
	v_lshlrev_b32_e32 v4, v8, v4
	v_sub_u32_e32 v7, 29, v7
	v_and_b32_e32 v4, 7, v4
	v_cmp_eq_u32_e32 vcc, 0, v6
	v_cndmask_b32_e32 v6, v6, v7, vcc
	v_cndmask_b32_e32 v4, v5, v4, vcc
	v_lshlrev_b32_e32 v5, 24, v3
	v_mov_b32_e32 v7, 0x3b800000
	v_lshlrev_b32_e32 v4, 20, v4
	v_and_b32_e32 v5, 0x80000000, v5
	v_lshl_add_u32 v6, v6, 23, v7
	v_or3_b32 v4, v5, v6, v4
.LBB302_520:
	s_or_b64 exec, exec, s[44:45]
	v_cmp_eq_f32_e64 s[42:43], s48, v4
	s_and_b64 vcc, exec, s[4:5]
	v_lshrrev_b16_e32 v4, 8, v3
	s_cbranch_vccz .LBB302_253
.LBB302_521:
                                        ; implicit-def: $sgpr44_sgpr45
	s_cbranch_execz .LBB302_270
; %bb.522:
	s_and_b32 s48, s14, 0xff
	s_cmpk_lt_i32 s48, 0x80
	s_cbranch_scc1 .LBB302_530
; %bb.523:
	s_and_b32 s44, 0xffff, s48
	s_cmpk_eq_i32 s44, 0x80
	s_mov_b64 s[44:45], -1
	s_cbranch_scc0 .LBB302_525
; %bb.524:
	s_mov_b64 s[44:45], 0
.LBB302_525:
	s_mov_b32 s50, 0x7f800001
	s_branch .LBB302_532
.LBB302_526:
	s_movk_i32 s42, 0x80
	v_cmp_eq_u16_sdwa s[50:51], v3, s42 src0_sel:BYTE_0 src1_sel:DWORD
	s_mov_b64 s[42:43], -1
	s_and_saveexec_b64 s[46:47], s[50:51]
; %bb.527:
	s_xor_b64 s[42:43], exec, -1
; %bb.528:
	s_or_b64 exec, exec, s[46:47]
	s_and_b64 s[42:43], s[42:43], exec
	s_or_saveexec_b64 s[44:45], s[44:45]
	v_mov_b32_e32 v4, 0x7f800001
	s_xor_b64 exec, exec, s[44:45]
	s_cbranch_execz .LBB302_518
.LBB302_529:
	v_mov_b32_e32 v4, 0
	v_cmp_ne_u16_sdwa s[46:47], v3, v4 src0_sel:BYTE_0 src1_sel:DWORD
	s_andn2_b64 s[42:43], s[42:43], exec
	s_and_b64 s[46:47], s[46:47], exec
	s_or_b64 s[42:43], s[42:43], s[46:47]
	s_or_b64 exec, exec, s[44:45]
	s_and_saveexec_b64 s[44:45], s[42:43]
	s_cbranch_execnz .LBB302_519
	s_branch .LBB302_520
.LBB302_530:
	s_mov_b64 s[44:45], 0
	s_mov_b32 s50, 0x7f800001
	s_cbranch_execz .LBB302_532
; %bb.531:
	s_and_b32 s44, 0xffff, s48
	s_cmp_lg_u32 s44, 0
	s_mov_b32 s50, 0
	s_cselect_b64 s[44:45], -1, 0
.LBB302_532:
	s_andn2_b64 vcc, exec, s[44:45]
	s_cbranch_vccnz .LBB302_534
; %bb.533:
	s_mov_b32 s50, s33
.LBB302_534:
	s_movk_i32 s44, 0x7f
	v_cmp_gt_i16_sdwa s[46:47], v3, s44 src0_sel:BYTE_1 src1_sel:DWORD
	s_mov_b64 s[44:45], 0
	s_and_saveexec_b64 s[48:49], s[46:47]
	s_xor_b64 s[46:47], exec, s[48:49]
	s_cbranch_execnz .LBB302_544
; %bb.535:
	s_or_saveexec_b64 s[46:47], s[46:47]
	v_mov_b32_e32 v5, 0x7f800001
	s_xor_b64 exec, exec, s[46:47]
	s_cbranch_execnz .LBB302_547
.LBB302_536:
	s_or_b64 exec, exec, s[46:47]
	s_and_saveexec_b64 s[46:47], s[44:45]
	s_cbranch_execz .LBB302_538
.LBB302_537:
	v_and_b32_e32 v5, 7, v4
	v_ffbh_u32_e32 v7, v5
	v_min_u32_e32 v7, 32, v7
	v_subrev_u32_e32 v8, 28, v7
	v_bfe_u32 v6, v4, 3, 4
	v_lshlrev_b32_e32 v4, v8, v4
	v_sub_u32_e32 v7, 29, v7
	v_and_b32_e32 v4, 7, v4
	v_cmp_eq_u32_e32 vcc, 0, v6
	v_cndmask_b32_e32 v6, v6, v7, vcc
	v_cndmask_b32_e32 v4, v5, v4, vcc
	v_lshlrev_b32_e32 v3, 16, v3
	v_mov_b32_e32 v5, 0x3b800000
	v_lshlrev_b32_e32 v4, 20, v4
	v_and_b32_e32 v3, 0x80000000, v3
	v_lshl_add_u32 v5, v6, 23, v5
	v_or3_b32 v5, v3, v5, v4
.LBB302_538:
	s_or_b64 exec, exec, s[46:47]
	v_cmp_eq_f32_e64 s[44:45], s50, v5
	s_and_b64 vcc, exec, s[4:5]
	s_cbranch_vccz .LBB302_271
.LBB302_539:
                                        ; implicit-def: $sgpr46_sgpr47
	s_cbranch_execz .LBB302_288
; %bb.540:
	s_and_b32 s50, s14, 0xff
	s_cmpk_lt_i32 s50, 0x80
	s_cbranch_scc1 .LBB302_548
; %bb.541:
	s_and_b32 s46, 0xffff, s50
	s_cmpk_eq_i32 s46, 0x80
	s_mov_b64 s[46:47], -1
	s_cbranch_scc0 .LBB302_543
; %bb.542:
	s_mov_b64 s[46:47], 0
.LBB302_543:
	s_mov_b32 s52, 0x7f800001
	s_branch .LBB302_550
.LBB302_544:
	s_movk_i32 s44, 0x80
	v_cmp_eq_u16_sdwa s[52:53], v3, s44 src0_sel:BYTE_1 src1_sel:DWORD
	s_mov_b64 s[44:45], -1
	s_and_saveexec_b64 s[48:49], s[52:53]
; %bb.545:
	s_xor_b64 s[44:45], exec, -1
; %bb.546:
	s_or_b64 exec, exec, s[48:49]
	s_and_b64 s[44:45], s[44:45], exec
	s_or_saveexec_b64 s[46:47], s[46:47]
	v_mov_b32_e32 v5, 0x7f800001
	s_xor_b64 exec, exec, s[46:47]
	s_cbranch_execz .LBB302_536
.LBB302_547:
	v_mov_b32_e32 v5, 0
	v_cmp_ne_u16_sdwa s[48:49], v3, v5 src0_sel:BYTE_1 src1_sel:DWORD
	s_andn2_b64 s[44:45], s[44:45], exec
	s_and_b64 s[48:49], s[48:49], exec
	s_or_b64 s[44:45], s[44:45], s[48:49]
	s_or_b64 exec, exec, s[46:47]
	s_and_saveexec_b64 s[46:47], s[44:45]
	s_cbranch_execnz .LBB302_537
	s_branch .LBB302_538
.LBB302_548:
	s_mov_b64 s[46:47], 0
	s_mov_b32 s52, 0x7f800001
	s_cbranch_execz .LBB302_550
; %bb.549:
	s_and_b32 s46, 0xffff, s50
	s_cmp_lg_u32 s46, 0
	s_mov_b32 s52, 0
	s_cselect_b64 s[46:47], -1, 0
.LBB302_550:
	s_andn2_b64 vcc, exec, s[46:47]
	s_cbranch_vccnz .LBB302_552
; %bb.551:
	s_mov_b32 s52, s33
.LBB302_552:
	s_movk_i32 s46, 0x7f
	s_waitcnt vmcnt(0)
	v_cmp_gt_i16_sdwa s[48:49], v2, s46 src0_sel:BYTE_0 src1_sel:DWORD
	s_mov_b64 s[46:47], 0
	s_and_saveexec_b64 s[50:51], s[48:49]
	s_xor_b64 s[48:49], exec, s[50:51]
	s_cbranch_execnz .LBB302_562
; %bb.553:
	s_or_saveexec_b64 s[48:49], s[48:49]
	v_mov_b32_e32 v3, 0x7f800001
	s_xor_b64 exec, exec, s[48:49]
	s_cbranch_execnz .LBB302_565
.LBB302_554:
	s_or_b64 exec, exec, s[48:49]
	s_and_saveexec_b64 s[48:49], s[46:47]
	s_cbranch_execz .LBB302_556
.LBB302_555:
	s_mov_b32 s46, 0xffff
	v_and_b32_sdwa v3, s46, v2 dst_sel:DWORD dst_unused:UNUSED_PAD src0_sel:DWORD src1_sel:BYTE_0
	v_and_b32_e32 v4, 7, v3
	v_ffbh_u32_e32 v6, v4
	v_min_u32_e32 v6, 32, v6
	v_subrev_u32_e32 v7, 28, v6
	v_bfe_u32 v5, v3, 3, 4
	v_lshlrev_b32_e32 v3, v7, v3
	v_sub_u32_e32 v6, 29, v6
	v_and_b32_e32 v3, 7, v3
	v_cmp_eq_u32_e32 vcc, 0, v5
	v_cndmask_b32_e32 v5, v5, v6, vcc
	v_cndmask_b32_e32 v3, v4, v3, vcc
	v_lshlrev_b32_e32 v4, 24, v2
	v_mov_b32_e32 v6, 0x3b800000
	v_lshlrev_b32_e32 v3, 20, v3
	v_and_b32_e32 v4, 0x80000000, v4
	v_lshl_add_u32 v5, v5, 23, v6
	v_or3_b32 v3, v4, v5, v3
.LBB302_556:
	s_or_b64 exec, exec, s[48:49]
	v_cmp_eq_f32_e64 s[46:47], s52, v3
	s_and_b64 vcc, exec, s[4:5]
	v_lshrrev_b16_e32 v3, 8, v2
	s_cbranch_vccz .LBB302_289
.LBB302_557:
                                        ; implicit-def: $sgpr4_sgpr5
	s_cbranch_execz .LBB302_575
; %bb.558:
	s_and_b32 s50, s14, 0xff
	s_cmpk_lt_i32 s50, 0x80
	s_cbranch_scc1 .LBB302_566
; %bb.559:
	s_and_b32 s4, 0xffff, s50
	s_cmpk_eq_i32 s4, 0x80
	s_mov_b64 s[4:5], -1
	s_cbranch_scc0 .LBB302_561
; %bb.560:
	s_mov_b64 s[4:5], 0
.LBB302_561:
	s_mov_b32 s52, 0x7f800001
	s_branch .LBB302_568
.LBB302_562:
	s_movk_i32 s46, 0x80
	v_cmp_eq_u16_sdwa s[54:55], v2, s46 src0_sel:BYTE_0 src1_sel:DWORD
	s_mov_b64 s[46:47], -1
	s_and_saveexec_b64 s[50:51], s[54:55]
; %bb.563:
	s_xor_b64 s[46:47], exec, -1
; %bb.564:
	s_or_b64 exec, exec, s[50:51]
	s_and_b64 s[46:47], s[46:47], exec
	s_or_saveexec_b64 s[48:49], s[48:49]
	v_mov_b32_e32 v3, 0x7f800001
	s_xor_b64 exec, exec, s[48:49]
	s_cbranch_execz .LBB302_554
.LBB302_565:
	v_mov_b32_e32 v3, 0
	v_cmp_ne_u16_sdwa s[50:51], v2, v3 src0_sel:BYTE_0 src1_sel:DWORD
	s_andn2_b64 s[46:47], s[46:47], exec
	s_and_b64 s[50:51], s[50:51], exec
	s_or_b64 s[46:47], s[46:47], s[50:51]
	s_or_b64 exec, exec, s[48:49]
	s_and_saveexec_b64 s[48:49], s[46:47]
	s_cbranch_execnz .LBB302_555
	s_branch .LBB302_556
.LBB302_566:
	s_mov_b64 s[4:5], 0
	s_mov_b32 s52, 0x7f800001
	s_cbranch_execz .LBB302_568
; %bb.567:
	s_and_b32 s4, 0xffff, s50
	s_cmp_lg_u32 s4, 0
	s_mov_b32 s52, 0
	s_cselect_b64 s[4:5], -1, 0
.LBB302_568:
	s_andn2_b64 vcc, exec, s[4:5]
	s_cbranch_vccnz .LBB302_570
; %bb.569:
	s_mov_b32 s52, s33
.LBB302_570:
	s_movk_i32 s4, 0x7f
	v_cmp_gt_i16_sdwa s[48:49], v2, s4 src0_sel:BYTE_1 src1_sel:DWORD
	s_mov_b64 s[4:5], 0
	s_and_saveexec_b64 s[50:51], s[48:49]
	s_xor_b64 s[48:49], exec, s[50:51]
	s_cbranch_execnz .LBB302_577
; %bb.571:
	s_or_saveexec_b64 s[48:49], s[48:49]
	v_mov_b32_e32 v4, 0x7f800001
	s_xor_b64 exec, exec, s[48:49]
	s_cbranch_execnz .LBB302_580
.LBB302_572:
	s_or_b64 exec, exec, s[48:49]
	s_and_saveexec_b64 s[48:49], s[4:5]
	s_cbranch_execz .LBB302_574
.LBB302_573:
	v_and_b32_e32 v4, 7, v3
	v_ffbh_u32_e32 v6, v4
	v_min_u32_e32 v6, 32, v6
	v_subrev_u32_e32 v7, 28, v6
	v_bfe_u32 v5, v3, 3, 4
	v_lshlrev_b32_e32 v3, v7, v3
	v_sub_u32_e32 v6, 29, v6
	v_and_b32_e32 v3, 7, v3
	v_cmp_eq_u32_e32 vcc, 0, v5
	v_cndmask_b32_e32 v5, v5, v6, vcc
	v_cndmask_b32_e32 v3, v4, v3, vcc
	v_lshlrev_b32_e32 v2, 16, v2
	v_mov_b32_e32 v4, 0x3b800000
	v_lshlrev_b32_e32 v3, 20, v3
	v_and_b32_e32 v2, 0x80000000, v2
	v_lshl_add_u32 v4, v5, 23, v4
	v_or3_b32 v4, v2, v4, v3
.LBB302_574:
	s_or_b64 exec, exec, s[48:49]
	v_cmp_eq_f32_e64 s[4:5], s52, v4
.LBB302_575:
	v_cndmask_b32_e64 v2, 0, 1, s[22:23]
	v_lshlrev_b16_e32 v2, 8, v2
	v_cndmask_b32_e64 v3, 0, 1, s[20:21]
	v_or_b32_e32 v2, v3, v2
	v_cndmask_b32_e64 v3, 0, 1, s[10:11]
	v_lshlrev_b16_e32 v3, 8, v3
	v_cndmask_b32_e64 v4, 0, 1, s[8:9]
	v_or_b32_e32 v3, v4, v3
	;; [unrolled: 4-line block ×7, first 2 shown]
	v_cndmask_b32_e64 v9, 0, 1, s[44:45]
	s_add_u32 s4, s16, s15
	v_lshlrev_b16_e32 v9, 8, v9
	v_cndmask_b32_e64 v10, 0, 1, s[42:43]
	s_addc_u32 s5, s17, s12
	v_or_b32_e32 v9, v10, v9
	global_store_short v1, v3, s[4:5]
	global_store_short v1, v2, s[4:5] offset:512
	global_store_short v1, v5, s[4:5] offset:1024
	;; [unrolled: 1-line block ×7, first 2 shown]
	s_branch .LBB302_2
.LBB302_576:
	s_getpc_b64 s[4:5]
	s_add_u32 s4, s4, _ZN2at6native25elementwise_kernel_helperILb0ENS0_13AUnaryFunctorIN3c1015Float8_e4m3fnuzES4_bNS0_12_GLOBAL__N_116CompareEqFunctorIS4_EEEENS0_6memory8policies11unroll_baseILi256ESt5arrayIPcLm2EE23TrivialOffsetCalculatorILi1EjESG_NS9_15LoadWithoutCastENS9_16StoreWithoutCastELi16ELi1EEEEEvT0_T1_@rel32@lo+4
	s_addc_u32 s5, s5, _ZN2at6native25elementwise_kernel_helperILb0ENS0_13AUnaryFunctorIN3c1015Float8_e4m3fnuzES4_bNS0_12_GLOBAL__N_116CompareEqFunctorIS4_EEEENS0_6memory8policies11unroll_baseILi256ESt5arrayIPcLm2EE23TrivialOffsetCalculatorILi1EjESG_NS9_15LoadWithoutCastENS9_16StoreWithoutCastELi16ELi1EEEEEvT0_T1_@rel32@hi+12
	s_mov_b32 s12, s6
	v_mov_b32_e32 v31, v0
	v_mov_b32_e32 v0, s13
	;; [unrolled: 1-line block ×8, first 2 shown]
	s_swappc_b64 s[30:31], s[4:5]
	s_endpgm
.LBB302_577:
	s_movk_i32 s4, 0x80
	v_cmp_eq_u16_sdwa s[54:55], v2, s4 src0_sel:BYTE_1 src1_sel:DWORD
	s_mov_b64 s[4:5], -1
	s_and_saveexec_b64 s[50:51], s[54:55]
; %bb.578:
	s_xor_b64 s[4:5], exec, -1
; %bb.579:
	s_or_b64 exec, exec, s[50:51]
	s_and_b64 s[4:5], s[4:5], exec
	s_or_saveexec_b64 s[48:49], s[48:49]
	v_mov_b32_e32 v4, 0x7f800001
	s_xor_b64 exec, exec, s[48:49]
	s_cbranch_execz .LBB302_572
.LBB302_580:
	v_mov_b32_e32 v4, 0
	v_cmp_ne_u16_sdwa s[50:51], v2, v4 src0_sel:BYTE_1 src1_sel:DWORD
	s_andn2_b64 s[4:5], s[4:5], exec
	s_and_b64 s[50:51], s[50:51], exec
	s_or_b64 s[4:5], s[4:5], s[50:51]
	s_or_b64 exec, exec, s[48:49]
	s_and_saveexec_b64 s[48:49], s[4:5]
	s_cbranch_execnz .LBB302_573
	s_branch .LBB302_574
	.section	.rodata,"a",@progbits
	.p2align	6, 0x0
	.amdhsa_kernel _ZN2at6native29vectorized_elementwise_kernelILi2ENS0_13AUnaryFunctorIN3c1015Float8_e4m3fnuzES4_bNS0_12_GLOBAL__N_116CompareEqFunctorIS4_EEEESt5arrayIPcLm2EEEEviT0_T1_
		.amdhsa_group_segment_fixed_size 0
		.amdhsa_private_segment_fixed_size 0
		.amdhsa_kernarg_size 32
		.amdhsa_user_sgpr_count 6
		.amdhsa_user_sgpr_private_segment_buffer 1
		.amdhsa_user_sgpr_dispatch_ptr 0
		.amdhsa_user_sgpr_queue_ptr 0
		.amdhsa_user_sgpr_kernarg_segment_ptr 1
		.amdhsa_user_sgpr_dispatch_id 0
		.amdhsa_user_sgpr_flat_scratch_init 0
		.amdhsa_user_sgpr_private_segment_size 0
		.amdhsa_uses_dynamic_stack 0
		.amdhsa_system_sgpr_private_segment_wavefront_offset 0
		.amdhsa_system_sgpr_workgroup_id_x 1
		.amdhsa_system_sgpr_workgroup_id_y 0
		.amdhsa_system_sgpr_workgroup_id_z 0
		.amdhsa_system_sgpr_workgroup_info 0
		.amdhsa_system_vgpr_workitem_id 0
		.amdhsa_next_free_vgpr 32
		.amdhsa_next_free_sgpr 57
		.amdhsa_reserve_vcc 1
		.amdhsa_reserve_flat_scratch 0
		.amdhsa_float_round_mode_32 0
		.amdhsa_float_round_mode_16_64 0
		.amdhsa_float_denorm_mode_32 3
		.amdhsa_float_denorm_mode_16_64 3
		.amdhsa_dx10_clamp 1
		.amdhsa_ieee_mode 1
		.amdhsa_fp16_overflow 0
		.amdhsa_exception_fp_ieee_invalid_op 0
		.amdhsa_exception_fp_denorm_src 0
		.amdhsa_exception_fp_ieee_div_zero 0
		.amdhsa_exception_fp_ieee_overflow 0
		.amdhsa_exception_fp_ieee_underflow 0
		.amdhsa_exception_fp_ieee_inexact 0
		.amdhsa_exception_int_div_zero 0
	.end_amdhsa_kernel
	.section	.text._ZN2at6native29vectorized_elementwise_kernelILi2ENS0_13AUnaryFunctorIN3c1015Float8_e4m3fnuzES4_bNS0_12_GLOBAL__N_116CompareEqFunctorIS4_EEEESt5arrayIPcLm2EEEEviT0_T1_,"axG",@progbits,_ZN2at6native29vectorized_elementwise_kernelILi2ENS0_13AUnaryFunctorIN3c1015Float8_e4m3fnuzES4_bNS0_12_GLOBAL__N_116CompareEqFunctorIS4_EEEESt5arrayIPcLm2EEEEviT0_T1_,comdat
.Lfunc_end302:
	.size	_ZN2at6native29vectorized_elementwise_kernelILi2ENS0_13AUnaryFunctorIN3c1015Float8_e4m3fnuzES4_bNS0_12_GLOBAL__N_116CompareEqFunctorIS4_EEEESt5arrayIPcLm2EEEEviT0_T1_, .Lfunc_end302-_ZN2at6native29vectorized_elementwise_kernelILi2ENS0_13AUnaryFunctorIN3c1015Float8_e4m3fnuzES4_bNS0_12_GLOBAL__N_116CompareEqFunctorIS4_EEEESt5arrayIPcLm2EEEEviT0_T1_
                                        ; -- End function
	.set _ZN2at6native29vectorized_elementwise_kernelILi2ENS0_13AUnaryFunctorIN3c1015Float8_e4m3fnuzES4_bNS0_12_GLOBAL__N_116CompareEqFunctorIS4_EEEESt5arrayIPcLm2EEEEviT0_T1_.num_vgpr, max(32, .L_ZN2at6native25elementwise_kernel_helperILb0ENS0_13AUnaryFunctorIN3c1015Float8_e4m3fnuzES4_bNS0_12_GLOBAL__N_116CompareEqFunctorIS4_EEEENS0_6memory8policies11unroll_baseILi256ESt5arrayIPcLm2EE23TrivialOffsetCalculatorILi1EjESG_NS9_15LoadWithoutCastENS9_16StoreWithoutCastELi16ELi1EEEEEvT0_T1_.num_vgpr)
	.set _ZN2at6native29vectorized_elementwise_kernelILi2ENS0_13AUnaryFunctorIN3c1015Float8_e4m3fnuzES4_bNS0_12_GLOBAL__N_116CompareEqFunctorIS4_EEEESt5arrayIPcLm2EEEEviT0_T1_.num_agpr, max(0, .L_ZN2at6native25elementwise_kernel_helperILb0ENS0_13AUnaryFunctorIN3c1015Float8_e4m3fnuzES4_bNS0_12_GLOBAL__N_116CompareEqFunctorIS4_EEEENS0_6memory8policies11unroll_baseILi256ESt5arrayIPcLm2EE23TrivialOffsetCalculatorILi1EjESG_NS9_15LoadWithoutCastENS9_16StoreWithoutCastELi16ELi1EEEEEvT0_T1_.num_agpr)
	.set _ZN2at6native29vectorized_elementwise_kernelILi2ENS0_13AUnaryFunctorIN3c1015Float8_e4m3fnuzES4_bNS0_12_GLOBAL__N_116CompareEqFunctorIS4_EEEESt5arrayIPcLm2EEEEviT0_T1_.numbered_sgpr, max(56, .L_ZN2at6native25elementwise_kernel_helperILb0ENS0_13AUnaryFunctorIN3c1015Float8_e4m3fnuzES4_bNS0_12_GLOBAL__N_116CompareEqFunctorIS4_EEEENS0_6memory8policies11unroll_baseILi256ESt5arrayIPcLm2EE23TrivialOffsetCalculatorILi1EjESG_NS9_15LoadWithoutCastENS9_16StoreWithoutCastELi16ELi1EEEEEvT0_T1_.numbered_sgpr)
	.set _ZN2at6native29vectorized_elementwise_kernelILi2ENS0_13AUnaryFunctorIN3c1015Float8_e4m3fnuzES4_bNS0_12_GLOBAL__N_116CompareEqFunctorIS4_EEEESt5arrayIPcLm2EEEEviT0_T1_.num_named_barrier, max(0, .L_ZN2at6native25elementwise_kernel_helperILb0ENS0_13AUnaryFunctorIN3c1015Float8_e4m3fnuzES4_bNS0_12_GLOBAL__N_116CompareEqFunctorIS4_EEEENS0_6memory8policies11unroll_baseILi256ESt5arrayIPcLm2EE23TrivialOffsetCalculatorILi1EjESG_NS9_15LoadWithoutCastENS9_16StoreWithoutCastELi16ELi1EEEEEvT0_T1_.num_named_barrier)
	.set _ZN2at6native29vectorized_elementwise_kernelILi2ENS0_13AUnaryFunctorIN3c1015Float8_e4m3fnuzES4_bNS0_12_GLOBAL__N_116CompareEqFunctorIS4_EEEESt5arrayIPcLm2EEEEviT0_T1_.private_seg_size, 0+max(.L_ZN2at6native25elementwise_kernel_helperILb0ENS0_13AUnaryFunctorIN3c1015Float8_e4m3fnuzES4_bNS0_12_GLOBAL__N_116CompareEqFunctorIS4_EEEENS0_6memory8policies11unroll_baseILi256ESt5arrayIPcLm2EE23TrivialOffsetCalculatorILi1EjESG_NS9_15LoadWithoutCastENS9_16StoreWithoutCastELi16ELi1EEEEEvT0_T1_.private_seg_size)
	.set _ZN2at6native29vectorized_elementwise_kernelILi2ENS0_13AUnaryFunctorIN3c1015Float8_e4m3fnuzES4_bNS0_12_GLOBAL__N_116CompareEqFunctorIS4_EEEESt5arrayIPcLm2EEEEviT0_T1_.uses_vcc, or(1, .L_ZN2at6native25elementwise_kernel_helperILb0ENS0_13AUnaryFunctorIN3c1015Float8_e4m3fnuzES4_bNS0_12_GLOBAL__N_116CompareEqFunctorIS4_EEEENS0_6memory8policies11unroll_baseILi256ESt5arrayIPcLm2EE23TrivialOffsetCalculatorILi1EjESG_NS9_15LoadWithoutCastENS9_16StoreWithoutCastELi16ELi1EEEEEvT0_T1_.uses_vcc)
	.set _ZN2at6native29vectorized_elementwise_kernelILi2ENS0_13AUnaryFunctorIN3c1015Float8_e4m3fnuzES4_bNS0_12_GLOBAL__N_116CompareEqFunctorIS4_EEEESt5arrayIPcLm2EEEEviT0_T1_.uses_flat_scratch, or(0, .L_ZN2at6native25elementwise_kernel_helperILb0ENS0_13AUnaryFunctorIN3c1015Float8_e4m3fnuzES4_bNS0_12_GLOBAL__N_116CompareEqFunctorIS4_EEEENS0_6memory8policies11unroll_baseILi256ESt5arrayIPcLm2EE23TrivialOffsetCalculatorILi1EjESG_NS9_15LoadWithoutCastENS9_16StoreWithoutCastELi16ELi1EEEEEvT0_T1_.uses_flat_scratch)
	.set _ZN2at6native29vectorized_elementwise_kernelILi2ENS0_13AUnaryFunctorIN3c1015Float8_e4m3fnuzES4_bNS0_12_GLOBAL__N_116CompareEqFunctorIS4_EEEESt5arrayIPcLm2EEEEviT0_T1_.has_dyn_sized_stack, or(0, .L_ZN2at6native25elementwise_kernel_helperILb0ENS0_13AUnaryFunctorIN3c1015Float8_e4m3fnuzES4_bNS0_12_GLOBAL__N_116CompareEqFunctorIS4_EEEENS0_6memory8policies11unroll_baseILi256ESt5arrayIPcLm2EE23TrivialOffsetCalculatorILi1EjESG_NS9_15LoadWithoutCastENS9_16StoreWithoutCastELi16ELi1EEEEEvT0_T1_.has_dyn_sized_stack)
	.set _ZN2at6native29vectorized_elementwise_kernelILi2ENS0_13AUnaryFunctorIN3c1015Float8_e4m3fnuzES4_bNS0_12_GLOBAL__N_116CompareEqFunctorIS4_EEEESt5arrayIPcLm2EEEEviT0_T1_.has_recursion, or(0, .L_ZN2at6native25elementwise_kernel_helperILb0ENS0_13AUnaryFunctorIN3c1015Float8_e4m3fnuzES4_bNS0_12_GLOBAL__N_116CompareEqFunctorIS4_EEEENS0_6memory8policies11unroll_baseILi256ESt5arrayIPcLm2EE23TrivialOffsetCalculatorILi1EjESG_NS9_15LoadWithoutCastENS9_16StoreWithoutCastELi16ELi1EEEEEvT0_T1_.has_recursion)
	.set _ZN2at6native29vectorized_elementwise_kernelILi2ENS0_13AUnaryFunctorIN3c1015Float8_e4m3fnuzES4_bNS0_12_GLOBAL__N_116CompareEqFunctorIS4_EEEESt5arrayIPcLm2EEEEviT0_T1_.has_indirect_call, or(0, .L_ZN2at6native25elementwise_kernel_helperILb0ENS0_13AUnaryFunctorIN3c1015Float8_e4m3fnuzES4_bNS0_12_GLOBAL__N_116CompareEqFunctorIS4_EEEENS0_6memory8policies11unroll_baseILi256ESt5arrayIPcLm2EE23TrivialOffsetCalculatorILi1EjESG_NS9_15LoadWithoutCastENS9_16StoreWithoutCastELi16ELi1EEEEEvT0_T1_.has_indirect_call)
	.section	.AMDGPU.csdata,"",@progbits
; Kernel info:
; codeLenInByte = 12572
; TotalNumSgprs: 61
; NumVgprs: 32
; ScratchSize: 0
; MemoryBound: 0
; FloatMode: 240
; IeeeMode: 1
; LDSByteSize: 0 bytes/workgroup (compile time only)
; SGPRBlocks: 7
; VGPRBlocks: 7
; NumSGPRsForWavesPerEU: 61
; NumVGPRsForWavesPerEU: 32
; Occupancy: 8
; WaveLimiterHint : 1
; COMPUTE_PGM_RSRC2:SCRATCH_EN: 0
; COMPUTE_PGM_RSRC2:USER_SGPR: 6
; COMPUTE_PGM_RSRC2:TRAP_HANDLER: 0
; COMPUTE_PGM_RSRC2:TGID_X_EN: 1
; COMPUTE_PGM_RSRC2:TGID_Y_EN: 0
; COMPUTE_PGM_RSRC2:TGID_Z_EN: 0
; COMPUTE_PGM_RSRC2:TIDIG_COMP_CNT: 0
	.section	.text._ZN2at6native27unrolled_elementwise_kernelINS0_13AUnaryFunctorIN3c1015Float8_e4m3fnuzES4_bNS0_12_GLOBAL__N_116CompareEqFunctorIS4_EEEESt5arrayIPcLm2EELi4E23TrivialOffsetCalculatorILi1EjESD_NS0_6memory15LoadWithoutCastENSE_16StoreWithoutCastEEEviT_T0_T2_T3_T4_T5_,"axG",@progbits,_ZN2at6native27unrolled_elementwise_kernelINS0_13AUnaryFunctorIN3c1015Float8_e4m3fnuzES4_bNS0_12_GLOBAL__N_116CompareEqFunctorIS4_EEEESt5arrayIPcLm2EELi4E23TrivialOffsetCalculatorILi1EjESD_NS0_6memory15LoadWithoutCastENSE_16StoreWithoutCastEEEviT_T0_T2_T3_T4_T5_,comdat
	.globl	_ZN2at6native27unrolled_elementwise_kernelINS0_13AUnaryFunctorIN3c1015Float8_e4m3fnuzES4_bNS0_12_GLOBAL__N_116CompareEqFunctorIS4_EEEESt5arrayIPcLm2EELi4E23TrivialOffsetCalculatorILi1EjESD_NS0_6memory15LoadWithoutCastENSE_16StoreWithoutCastEEEviT_T0_T2_T3_T4_T5_ ; -- Begin function _ZN2at6native27unrolled_elementwise_kernelINS0_13AUnaryFunctorIN3c1015Float8_e4m3fnuzES4_bNS0_12_GLOBAL__N_116CompareEqFunctorIS4_EEEESt5arrayIPcLm2EELi4E23TrivialOffsetCalculatorILi1EjESD_NS0_6memory15LoadWithoutCastENSE_16StoreWithoutCastEEEviT_T0_T2_T3_T4_T5_
	.p2align	8
	.type	_ZN2at6native27unrolled_elementwise_kernelINS0_13AUnaryFunctorIN3c1015Float8_e4m3fnuzES4_bNS0_12_GLOBAL__N_116CompareEqFunctorIS4_EEEESt5arrayIPcLm2EELi4E23TrivialOffsetCalculatorILi1EjESD_NS0_6memory15LoadWithoutCastENSE_16StoreWithoutCastEEEviT_T0_T2_T3_T4_T5_,@function
_ZN2at6native27unrolled_elementwise_kernelINS0_13AUnaryFunctorIN3c1015Float8_e4m3fnuzES4_bNS0_12_GLOBAL__N_116CompareEqFunctorIS4_EEEESt5arrayIPcLm2EELi4E23TrivialOffsetCalculatorILi1EjESD_NS0_6memory15LoadWithoutCastENSE_16StoreWithoutCastEEEviT_T0_T2_T3_T4_T5_: ; @_ZN2at6native27unrolled_elementwise_kernelINS0_13AUnaryFunctorIN3c1015Float8_e4m3fnuzES4_bNS0_12_GLOBAL__N_116CompareEqFunctorIS4_EEEESt5arrayIPcLm2EELi4E23TrivialOffsetCalculatorILi1EjESD_NS0_6memory15LoadWithoutCastENSE_16StoreWithoutCastEEEviT_T0_T2_T3_T4_T5_
; %bb.0:
	s_load_dwordx8 s[8:15], s[4:5], 0x0
	s_waitcnt lgkmcnt(0)
	s_lshl_b32 s11, s6, 10
	v_mov_b32_e32 v3, 0
	v_or_b32_e32 v1, s11, v0
	v_mov_b32_e32 v2, 0
	s_sub_i32 s18, s8, s11
	v_cmp_gt_i32_e64 s[0:1], s18, v0
	v_mov_b32_e32 v4, 0
	v_mov_b32_e32 v6, 0
	v_mov_b32_e32 v5, 0
	s_and_saveexec_b64 s[2:3], s[0:1]
	s_cbranch_execz .LBB303_8
; %bb.1:
	global_load_ubyte v5, v1, s[14:15]
	v_or_b32_e32 v7, 0x100, v0
	v_cmp_gt_u32_e32 vcc, s18, v7
	v_mov_b32_e32 v6, 0
	v_mov_b32_e32 v4, 0
	;; [unrolled: 1-line block ×3, first 2 shown]
	s_and_saveexec_b64 s[4:5], vcc
	s_cbranch_execz .LBB303_7
; %bb.2:
	v_add_u32_e32 v2, s11, v7
	global_load_ubyte v6, v2, s[14:15]
	v_or_b32_e32 v7, 0x200, v0
	v_cmp_gt_u32_e32 vcc, s18, v7
	v_mov_b32_e32 v4, 0
	v_mov_b32_e32 v2, 0
	s_and_saveexec_b64 s[6:7], vcc
	s_cbranch_execz .LBB303_6
; %bb.3:
	v_add_u32_e32 v2, s11, v7
	global_load_ubyte v4, v2, s[14:15]
	v_or_b32_e32 v7, 0x300, v0
	v_cmp_gt_u32_e32 vcc, s18, v7
	v_mov_b32_e32 v2, 0
	s_and_saveexec_b64 s[16:17], vcc
	s_cbranch_execz .LBB303_5
; %bb.4:
	v_add_u32_e32 v2, s11, v7
	global_load_ubyte v2, v2, s[14:15]
.LBB303_5:
	s_or_b64 exec, exec, s[16:17]
.LBB303_6:
	s_or_b64 exec, exec, s[6:7]
.LBB303_7:
	s_or_b64 exec, exec, s[4:5]
.LBB303_8:
	s_or_b64 exec, exec, s[2:3]
	s_cmp_lg_u32 s9, 0
	s_cselect_b64 s[2:3], -1, 0
	s_and_b32 s4, s10, 7
	s_flbit_i32_b32 s6, s4
	s_min_u32 s6, s6, 32
	s_sub_i32 s7, s6, 28
	s_lshl_b32 s7, s10, s7
	s_bfe_u32 s5, s10, 0x40003
	s_sub_i32 s6, 29, s6
	s_and_b32 s7, s7, 7
	s_cmp_eq_u32 s5, 0
	s_cselect_b32 s5, s6, s5
	s_cselect_b32 s4, s7, s4
	s_lshl_b32 s6, s10, 24
	s_lshl_b32 s5, s5, 23
	s_and_b32 s6, s6, 0x80000000
	s_add_i32 s5, s5, 0x3b800000
	s_lshl_b32 s4, s4, 20
	s_or_b32 s5, s6, s5
	s_or_b32 s16, s5, s4
	s_and_saveexec_b64 s[4:5], s[0:1]
	s_cbranch_execz .LBB303_42
; %bb.9:
	s_and_b64 vcc, exec, s[2:3]
	s_cbranch_vccz .LBB303_14
; %bb.10:
	s_and_b32 s14, s10, 0xff
	s_cmpk_lt_i32 s14, 0x80
	s_cbranch_scc1 .LBB303_15
; %bb.11:
	s_and_b32 s6, 0xffff, s14
	s_cmpk_eq_i32 s6, 0x80
	s_mov_b64 s[6:7], -1
	s_cbranch_scc0 .LBB303_13
; %bb.12:
	s_mov_b64 s[6:7], 0
.LBB303_13:
	s_mov_b32 s17, 0x7f800001
	s_branch .LBB303_17
.LBB303_14:
                                        ; implicit-def: $sgpr6_sgpr7
	s_cbranch_execnz .LBB303_24
	s_branch .LBB303_41
.LBB303_15:
	s_mov_b64 s[6:7], 0
	s_mov_b32 s17, 0x7f800001
	s_cbranch_execz .LBB303_17
; %bb.16:
	s_and_b32 s6, 0xffff, s14
	s_cmp_lg_u32 s6, 0
	s_mov_b32 s17, 0
	s_cselect_b64 s[6:7], -1, 0
.LBB303_17:
	s_andn2_b64 vcc, exec, s[6:7]
	s_cbranch_vccnz .LBB303_19
; %bb.18:
	s_mov_b32 s17, s16
.LBB303_19:
	s_movk_i32 s6, 0x7f
	s_waitcnt vmcnt(0)
	v_cmp_gt_i16_sdwa s[8:9], v5, s6 src0_sel:BYTE_0 src1_sel:DWORD
	s_mov_b64 s[6:7], 0
	s_and_saveexec_b64 s[14:15], s[8:9]
	s_xor_b64 s[8:9], exec, s[14:15]
	s_cbranch_execnz .LBB303_28
; %bb.20:
	s_or_saveexec_b64 s[8:9], s[8:9]
	v_mov_b32_e32 v3, 0x7f800001
	s_xor_b64 exec, exec, s[8:9]
	s_cbranch_execnz .LBB303_31
.LBB303_21:
	s_or_b64 exec, exec, s[8:9]
	s_and_saveexec_b64 s[8:9], s[6:7]
	s_cbranch_execz .LBB303_23
.LBB303_22:
	v_and_b32_e32 v7, 7, v5
	v_ffbh_u32_e32 v8, v7
	v_min_u32_e32 v8, 32, v8
	v_lshrrev_b16_e32 v3, 3, v5
	v_subrev_u32_e32 v9, 28, v8
	v_and_b32_e32 v3, 15, v3
	v_lshlrev_b32_e32 v9, v9, v5
	v_sub_u32_e32 v8, 29, v8
	v_and_b32_e32 v9, 7, v9
	v_cmp_eq_u32_e32 vcc, 0, v3
	v_cndmask_b32_e32 v3, v3, v8, vcc
	v_cndmask_b32_e32 v7, v7, v9, vcc
	v_lshlrev_b32_e32 v8, 24, v5
	v_mov_b32_e32 v9, 0x3b800000
	v_lshlrev_b32_e32 v7, 20, v7
	v_and_b32_e32 v8, 0x80000000, v8
	v_lshl_add_u32 v3, v3, 23, v9
	v_or3_b32 v3, v8, v3, v7
.LBB303_23:
	s_or_b64 exec, exec, s[8:9]
	v_cmp_neq_f32_e64 s[6:7], s17, v3
	s_branch .LBB303_41
.LBB303_24:
	s_and_b32 s14, s10, 0xff
	s_cmpk_lt_i32 s14, 0x80
	s_cbranch_scc1 .LBB303_32
; %bb.25:
	s_and_b32 s6, 0xffff, s14
	s_cmpk_eq_i32 s6, 0x80
	s_mov_b64 s[6:7], -1
	s_cbranch_scc0 .LBB303_27
; %bb.26:
	s_mov_b64 s[6:7], 0
.LBB303_27:
	s_mov_b32 s17, 0x7f800001
	s_branch .LBB303_34
.LBB303_28:
	s_movk_i32 s6, 0x80
	v_cmp_eq_u16_sdwa s[20:21], v5, s6 src0_sel:BYTE_0 src1_sel:DWORD
	s_mov_b64 s[6:7], -1
	s_and_saveexec_b64 s[14:15], s[20:21]
; %bb.29:
	s_xor_b64 s[6:7], exec, -1
; %bb.30:
	s_or_b64 exec, exec, s[14:15]
	s_and_b64 s[6:7], s[6:7], exec
	s_or_saveexec_b64 s[8:9], s[8:9]
	v_mov_b32_e32 v3, 0x7f800001
	s_xor_b64 exec, exec, s[8:9]
	s_cbranch_execz .LBB303_21
.LBB303_31:
	v_mov_b32_e32 v3, 0
	v_cmp_ne_u16_sdwa s[14:15], v5, v3 src0_sel:BYTE_0 src1_sel:DWORD
	s_andn2_b64 s[6:7], s[6:7], exec
	s_and_b64 s[14:15], s[14:15], exec
	s_or_b64 s[6:7], s[6:7], s[14:15]
	s_or_b64 exec, exec, s[8:9]
	s_and_saveexec_b64 s[8:9], s[6:7]
	s_cbranch_execnz .LBB303_22
	s_branch .LBB303_23
.LBB303_32:
	s_mov_b64 s[6:7], 0
	s_mov_b32 s17, 0x7f800001
	s_cbranch_execz .LBB303_34
; %bb.33:
	s_and_b32 s6, 0xffff, s14
	s_cmp_lg_u32 s6, 0
	s_mov_b32 s17, 0
	s_cselect_b64 s[6:7], -1, 0
.LBB303_34:
	s_andn2_b64 vcc, exec, s[6:7]
	s_cbranch_vccnz .LBB303_36
; %bb.35:
	s_mov_b32 s17, s16
.LBB303_36:
	s_movk_i32 s6, 0x7f
	s_waitcnt vmcnt(0)
	v_cmp_gt_i16_sdwa s[8:9], v5, s6 src0_sel:BYTE_0 src1_sel:DWORD
	s_mov_b64 s[6:7], 0
	s_and_saveexec_b64 s[14:15], s[8:9]
	s_xor_b64 s[8:9], exec, s[14:15]
	s_cbranch_execnz .LBB303_66
; %bb.37:
	s_or_saveexec_b64 s[8:9], s[8:9]
	v_mov_b32_e32 v3, 0x7f800001
	s_xor_b64 exec, exec, s[8:9]
	s_cbranch_execnz .LBB303_69
.LBB303_38:
	s_or_b64 exec, exec, s[8:9]
	s_and_saveexec_b64 s[8:9], s[6:7]
	s_cbranch_execz .LBB303_40
.LBB303_39:
	v_and_b32_e32 v7, 7, v5
	v_ffbh_u32_e32 v8, v7
	v_min_u32_e32 v8, 32, v8
	v_lshrrev_b16_e32 v3, 3, v5
	v_subrev_u32_e32 v9, 28, v8
	v_and_b32_e32 v3, 15, v3
	v_lshlrev_b32_e32 v9, v9, v5
	v_sub_u32_e32 v8, 29, v8
	v_and_b32_e32 v9, 7, v9
	v_cmp_eq_u32_e32 vcc, 0, v3
	v_cndmask_b32_e32 v3, v3, v8, vcc
	v_cndmask_b32_e32 v7, v7, v9, vcc
	v_lshlrev_b32_e32 v5, 24, v5
	v_mov_b32_e32 v8, 0x3b800000
	v_lshlrev_b32_e32 v7, 20, v7
	v_and_b32_e32 v5, 0x80000000, v5
	v_lshl_add_u32 v3, v3, 23, v8
	v_or3_b32 v3, v5, v3, v7
.LBB303_40:
	s_or_b64 exec, exec, s[8:9]
	v_cmp_eq_f32_e64 s[6:7], s17, v3
.LBB303_41:
	v_cndmask_b32_e64 v3, 0, 1, s[6:7]
.LBB303_42:
	s_or_b64 exec, exec, s[4:5]
	s_waitcnt vmcnt(0)
	v_or_b32_e32 v5, 0x100, v0
	v_cndmask_b32_e64 v7, 0, 1, s[2:3]
	v_cmp_gt_i32_e32 vcc, s18, v5
	v_cmp_ne_u32_e64 s[2:3], 1, v7
	s_and_saveexec_b64 s[4:5], vcc
	s_cbranch_execz .LBB303_80
; %bb.43:
	s_and_b64 vcc, exec, s[2:3]
	s_cbranch_vccnz .LBB303_48
; %bb.44:
	s_and_b32 s14, s10, 0xff
	s_cmpk_lt_i32 s14, 0x80
	s_cbranch_scc1 .LBB303_49
; %bb.45:
	s_and_b32 s6, 0xffff, s14
	s_cmpk_eq_i32 s6, 0x80
	s_mov_b64 s[6:7], -1
	s_cbranch_scc0 .LBB303_47
; %bb.46:
	s_mov_b64 s[6:7], 0
.LBB303_47:
	s_mov_b32 s17, 0x7f800001
	s_branch .LBB303_51
.LBB303_48:
                                        ; implicit-def: $sgpr6_sgpr7
	s_cbranch_execnz .LBB303_58
	s_branch .LBB303_79
.LBB303_49:
	s_mov_b64 s[6:7], 0
	s_mov_b32 s17, 0x7f800001
	s_cbranch_execz .LBB303_51
; %bb.50:
	s_and_b32 s6, 0xffff, s14
	s_cmp_lg_u32 s6, 0
	s_mov_b32 s17, 0
	s_cselect_b64 s[6:7], -1, 0
.LBB303_51:
	s_andn2_b64 vcc, exec, s[6:7]
	s_cbranch_vccnz .LBB303_53
; %bb.52:
	s_mov_b32 s17, s16
.LBB303_53:
	s_movk_i32 s6, 0x7f
	v_cmp_gt_i16_sdwa s[8:9], v6, s6 src0_sel:BYTE_0 src1_sel:DWORD
	s_mov_b64 s[6:7], 0
	s_and_saveexec_b64 s[14:15], s[8:9]
	s_xor_b64 s[8:9], exec, s[14:15]
	s_cbranch_execnz .LBB303_62
; %bb.54:
	s_or_saveexec_b64 s[8:9], s[8:9]
	v_mov_b32_e32 v7, 0x7f800001
	s_xor_b64 exec, exec, s[8:9]
	s_cbranch_execnz .LBB303_65
.LBB303_55:
	s_or_b64 exec, exec, s[8:9]
	s_and_saveexec_b64 s[8:9], s[6:7]
	s_cbranch_execz .LBB303_57
.LBB303_56:
	v_and_b32_e32 v8, 7, v6
	v_ffbh_u32_e32 v9, v8
	v_min_u32_e32 v9, 32, v9
	v_lshrrev_b16_e32 v7, 3, v6
	v_subrev_u32_e32 v10, 28, v9
	v_and_b32_e32 v7, 15, v7
	v_lshlrev_b32_e32 v10, v10, v6
	v_sub_u32_e32 v9, 29, v9
	v_and_b32_e32 v10, 7, v10
	v_cmp_eq_u32_e32 vcc, 0, v7
	v_cndmask_b32_e32 v7, v7, v9, vcc
	v_cndmask_b32_e32 v8, v8, v10, vcc
	v_lshlrev_b32_e32 v9, 24, v6
	v_mov_b32_e32 v10, 0x3b800000
	v_lshlrev_b32_e32 v8, 20, v8
	v_and_b32_e32 v9, 0x80000000, v9
	v_lshl_add_u32 v7, v7, 23, v10
	v_or3_b32 v7, v9, v7, v8
.LBB303_57:
	s_or_b64 exec, exec, s[8:9]
	v_cmp_neq_f32_e64 s[6:7], s17, v7
	s_branch .LBB303_79
.LBB303_58:
	s_and_b32 s14, s10, 0xff
	s_cmpk_lt_i32 s14, 0x80
	s_cbranch_scc1 .LBB303_70
; %bb.59:
	s_and_b32 s6, 0xffff, s14
	s_cmpk_eq_i32 s6, 0x80
	s_mov_b64 s[6:7], -1
	s_cbranch_scc0 .LBB303_61
; %bb.60:
	s_mov_b64 s[6:7], 0
.LBB303_61:
	s_mov_b32 s17, 0x7f800001
	s_branch .LBB303_72
.LBB303_62:
	s_movk_i32 s6, 0x80
	v_cmp_eq_u16_sdwa s[20:21], v6, s6 src0_sel:BYTE_0 src1_sel:DWORD
	s_mov_b64 s[6:7], -1
	s_and_saveexec_b64 s[14:15], s[20:21]
; %bb.63:
	s_xor_b64 s[6:7], exec, -1
; %bb.64:
	s_or_b64 exec, exec, s[14:15]
	s_and_b64 s[6:7], s[6:7], exec
	s_or_saveexec_b64 s[8:9], s[8:9]
	v_mov_b32_e32 v7, 0x7f800001
	s_xor_b64 exec, exec, s[8:9]
	s_cbranch_execz .LBB303_55
.LBB303_65:
	v_mov_b32_e32 v7, 0
	v_cmp_ne_u16_sdwa s[14:15], v6, v7 src0_sel:BYTE_0 src1_sel:DWORD
	s_andn2_b64 s[6:7], s[6:7], exec
	s_and_b64 s[14:15], s[14:15], exec
	s_or_b64 s[6:7], s[6:7], s[14:15]
	s_or_b64 exec, exec, s[8:9]
	s_and_saveexec_b64 s[8:9], s[6:7]
	s_cbranch_execnz .LBB303_56
	s_branch .LBB303_57
.LBB303_66:
	s_movk_i32 s6, 0x80
	v_cmp_eq_u16_sdwa s[20:21], v5, s6 src0_sel:BYTE_0 src1_sel:DWORD
	s_mov_b64 s[6:7], -1
	s_and_saveexec_b64 s[14:15], s[20:21]
; %bb.67:
	s_xor_b64 s[6:7], exec, -1
; %bb.68:
	s_or_b64 exec, exec, s[14:15]
	s_and_b64 s[6:7], s[6:7], exec
	s_or_saveexec_b64 s[8:9], s[8:9]
	v_mov_b32_e32 v3, 0x7f800001
	s_xor_b64 exec, exec, s[8:9]
	s_cbranch_execz .LBB303_38
.LBB303_69:
	v_mov_b32_e32 v3, 0
	v_cmp_ne_u16_sdwa s[14:15], v5, v3 src0_sel:BYTE_0 src1_sel:DWORD
	s_andn2_b64 s[6:7], s[6:7], exec
	s_and_b64 s[14:15], s[14:15], exec
	s_or_b64 s[6:7], s[6:7], s[14:15]
	s_or_b64 exec, exec, s[8:9]
	s_and_saveexec_b64 s[8:9], s[6:7]
	s_cbranch_execnz .LBB303_39
	s_branch .LBB303_40
.LBB303_70:
	s_mov_b64 s[6:7], 0
	s_mov_b32 s17, 0x7f800001
	s_cbranch_execz .LBB303_72
; %bb.71:
	s_and_b32 s6, 0xffff, s14
	s_cmp_lg_u32 s6, 0
	s_mov_b32 s17, 0
	s_cselect_b64 s[6:7], -1, 0
.LBB303_72:
	s_andn2_b64 vcc, exec, s[6:7]
	s_cbranch_vccnz .LBB303_74
; %bb.73:
	s_mov_b32 s17, s16
.LBB303_74:
	s_movk_i32 s6, 0x7f
	v_cmp_gt_i16_sdwa s[8:9], v6, s6 src0_sel:BYTE_0 src1_sel:DWORD
	s_mov_b64 s[6:7], 0
	s_and_saveexec_b64 s[14:15], s[8:9]
	s_xor_b64 s[8:9], exec, s[14:15]
	s_cbranch_execnz .LBB303_104
; %bb.75:
	s_or_saveexec_b64 s[8:9], s[8:9]
	v_mov_b32_e32 v7, 0x7f800001
	s_xor_b64 exec, exec, s[8:9]
	s_cbranch_execnz .LBB303_107
.LBB303_76:
	s_or_b64 exec, exec, s[8:9]
	s_and_saveexec_b64 s[8:9], s[6:7]
	s_cbranch_execz .LBB303_78
.LBB303_77:
	v_and_b32_e32 v8, 7, v6
	v_ffbh_u32_e32 v9, v8
	v_min_u32_e32 v9, 32, v9
	v_lshrrev_b16_e32 v7, 3, v6
	v_subrev_u32_e32 v10, 28, v9
	v_and_b32_e32 v7, 15, v7
	v_lshlrev_b32_e32 v10, v10, v6
	v_sub_u32_e32 v9, 29, v9
	v_and_b32_e32 v10, 7, v10
	v_cmp_eq_u32_e32 vcc, 0, v7
	v_cndmask_b32_e32 v7, v7, v9, vcc
	v_cndmask_b32_e32 v8, v8, v10, vcc
	v_lshlrev_b32_e32 v6, 24, v6
	v_mov_b32_e32 v9, 0x3b800000
	v_lshlrev_b32_e32 v8, 20, v8
	v_and_b32_e32 v6, 0x80000000, v6
	v_lshl_add_u32 v7, v7, 23, v9
	v_or3_b32 v7, v6, v7, v8
.LBB303_78:
	s_or_b64 exec, exec, s[8:9]
	v_cmp_eq_f32_e64 s[6:7], s17, v7
.LBB303_79:
	v_cndmask_b32_e64 v6, 0, 1, s[6:7]
	v_lshlrev_b16_e32 v6, 8, v6
	v_or_b32_e32 v3, v3, v6
	v_and_b32_e32 v3, 0xffff, v3
.LBB303_80:
	s_or_b64 exec, exec, s[4:5]
	v_or_b32_e32 v6, 0x200, v0
	v_cmp_gt_i32_e32 vcc, s18, v6
	s_and_saveexec_b64 s[4:5], vcc
	s_cbranch_execz .LBB303_118
; %bb.81:
	s_and_b64 vcc, exec, s[2:3]
	s_cbranch_vccnz .LBB303_86
; %bb.82:
	s_and_b32 s14, s10, 0xff
	s_cmpk_lt_i32 s14, 0x80
	s_cbranch_scc1 .LBB303_87
; %bb.83:
	s_and_b32 s6, 0xffff, s14
	s_cmpk_eq_i32 s6, 0x80
	s_mov_b64 s[6:7], -1
	s_cbranch_scc0 .LBB303_85
; %bb.84:
	s_mov_b64 s[6:7], 0
.LBB303_85:
	s_mov_b32 s17, 0x7f800001
	s_branch .LBB303_89
.LBB303_86:
                                        ; implicit-def: $sgpr6_sgpr7
	s_cbranch_execnz .LBB303_96
	s_branch .LBB303_117
.LBB303_87:
	s_mov_b64 s[6:7], 0
	s_mov_b32 s17, 0x7f800001
	s_cbranch_execz .LBB303_89
; %bb.88:
	s_and_b32 s6, 0xffff, s14
	s_cmp_lg_u32 s6, 0
	s_mov_b32 s17, 0
	s_cselect_b64 s[6:7], -1, 0
.LBB303_89:
	s_andn2_b64 vcc, exec, s[6:7]
	s_cbranch_vccnz .LBB303_91
; %bb.90:
	s_mov_b32 s17, s16
.LBB303_91:
	s_movk_i32 s6, 0x7f
	v_cmp_gt_i16_sdwa s[8:9], v4, s6 src0_sel:BYTE_0 src1_sel:DWORD
	s_mov_b64 s[6:7], 0
	s_and_saveexec_b64 s[14:15], s[8:9]
	s_xor_b64 s[8:9], exec, s[14:15]
	s_cbranch_execnz .LBB303_100
; %bb.92:
	s_or_saveexec_b64 s[8:9], s[8:9]
	v_mov_b32_e32 v6, 0x7f800001
	s_xor_b64 exec, exec, s[8:9]
	s_cbranch_execnz .LBB303_103
.LBB303_93:
	s_or_b64 exec, exec, s[8:9]
	s_and_saveexec_b64 s[8:9], s[6:7]
	s_cbranch_execz .LBB303_95
.LBB303_94:
	v_and_b32_e32 v7, 7, v4
	v_ffbh_u32_e32 v8, v7
	v_min_u32_e32 v8, 32, v8
	v_lshrrev_b16_e32 v6, 3, v4
	v_subrev_u32_e32 v9, 28, v8
	v_and_b32_e32 v6, 15, v6
	v_lshlrev_b32_e32 v9, v9, v4
	v_sub_u32_e32 v8, 29, v8
	v_and_b32_e32 v9, 7, v9
	v_cmp_eq_u32_e32 vcc, 0, v6
	v_cndmask_b32_e32 v6, v6, v8, vcc
	v_cndmask_b32_e32 v7, v7, v9, vcc
	v_lshlrev_b32_e32 v8, 24, v4
	v_mov_b32_e32 v9, 0x3b800000
	v_lshlrev_b32_e32 v7, 20, v7
	v_and_b32_e32 v8, 0x80000000, v8
	v_lshl_add_u32 v6, v6, 23, v9
	v_or3_b32 v6, v8, v6, v7
.LBB303_95:
	s_or_b64 exec, exec, s[8:9]
	v_cmp_neq_f32_e64 s[6:7], s17, v6
	s_branch .LBB303_117
.LBB303_96:
	s_and_b32 s14, s10, 0xff
	s_cmpk_lt_i32 s14, 0x80
	s_cbranch_scc1 .LBB303_108
; %bb.97:
	s_and_b32 s6, 0xffff, s14
	s_cmpk_eq_i32 s6, 0x80
	s_mov_b64 s[6:7], -1
	s_cbranch_scc0 .LBB303_99
; %bb.98:
	s_mov_b64 s[6:7], 0
.LBB303_99:
	s_mov_b32 s17, 0x7f800001
	s_branch .LBB303_110
.LBB303_100:
	s_movk_i32 s6, 0x80
	v_cmp_eq_u16_sdwa s[20:21], v4, s6 src0_sel:BYTE_0 src1_sel:DWORD
	s_mov_b64 s[6:7], -1
	s_and_saveexec_b64 s[14:15], s[20:21]
; %bb.101:
	s_xor_b64 s[6:7], exec, -1
; %bb.102:
	s_or_b64 exec, exec, s[14:15]
	s_and_b64 s[6:7], s[6:7], exec
	s_or_saveexec_b64 s[8:9], s[8:9]
	v_mov_b32_e32 v6, 0x7f800001
	s_xor_b64 exec, exec, s[8:9]
	s_cbranch_execz .LBB303_93
.LBB303_103:
	v_mov_b32_e32 v6, 0
	v_cmp_ne_u16_sdwa s[14:15], v4, v6 src0_sel:BYTE_0 src1_sel:DWORD
	s_andn2_b64 s[6:7], s[6:7], exec
	s_and_b64 s[14:15], s[14:15], exec
	s_or_b64 s[6:7], s[6:7], s[14:15]
	s_or_b64 exec, exec, s[8:9]
	s_and_saveexec_b64 s[8:9], s[6:7]
	s_cbranch_execnz .LBB303_94
	s_branch .LBB303_95
.LBB303_104:
	s_movk_i32 s6, 0x80
	v_cmp_eq_u16_sdwa s[20:21], v6, s6 src0_sel:BYTE_0 src1_sel:DWORD
	s_mov_b64 s[6:7], -1
	s_and_saveexec_b64 s[14:15], s[20:21]
; %bb.105:
	s_xor_b64 s[6:7], exec, -1
; %bb.106:
	s_or_b64 exec, exec, s[14:15]
	s_and_b64 s[6:7], s[6:7], exec
	s_or_saveexec_b64 s[8:9], s[8:9]
	v_mov_b32_e32 v7, 0x7f800001
	s_xor_b64 exec, exec, s[8:9]
	s_cbranch_execz .LBB303_76
.LBB303_107:
	v_mov_b32_e32 v7, 0
	v_cmp_ne_u16_sdwa s[14:15], v6, v7 src0_sel:BYTE_0 src1_sel:DWORD
	s_andn2_b64 s[6:7], s[6:7], exec
	s_and_b64 s[14:15], s[14:15], exec
	s_or_b64 s[6:7], s[6:7], s[14:15]
	s_or_b64 exec, exec, s[8:9]
	s_and_saveexec_b64 s[8:9], s[6:7]
	s_cbranch_execnz .LBB303_77
	s_branch .LBB303_78
.LBB303_108:
	s_mov_b64 s[6:7], 0
	s_mov_b32 s17, 0x7f800001
	s_cbranch_execz .LBB303_110
; %bb.109:
	s_and_b32 s6, 0xffff, s14
	s_cmp_lg_u32 s6, 0
	s_mov_b32 s17, 0
	s_cselect_b64 s[6:7], -1, 0
.LBB303_110:
	s_andn2_b64 vcc, exec, s[6:7]
	s_cbranch_vccnz .LBB303_112
; %bb.111:
	s_mov_b32 s17, s16
.LBB303_112:
	s_movk_i32 s6, 0x7f
	v_cmp_gt_i16_sdwa s[8:9], v4, s6 src0_sel:BYTE_0 src1_sel:DWORD
	s_mov_b64 s[6:7], 0
	s_and_saveexec_b64 s[14:15], s[8:9]
	s_xor_b64 s[8:9], exec, s[14:15]
	s_cbranch_execnz .LBB303_142
; %bb.113:
	s_or_saveexec_b64 s[8:9], s[8:9]
	v_mov_b32_e32 v6, 0x7f800001
	s_xor_b64 exec, exec, s[8:9]
	s_cbranch_execnz .LBB303_145
.LBB303_114:
	s_or_b64 exec, exec, s[8:9]
	s_and_saveexec_b64 s[8:9], s[6:7]
	s_cbranch_execz .LBB303_116
.LBB303_115:
	v_and_b32_e32 v7, 7, v4
	v_ffbh_u32_e32 v8, v7
	v_min_u32_e32 v8, 32, v8
	v_lshrrev_b16_e32 v6, 3, v4
	v_subrev_u32_e32 v9, 28, v8
	v_and_b32_e32 v6, 15, v6
	v_lshlrev_b32_e32 v9, v9, v4
	v_sub_u32_e32 v8, 29, v8
	v_and_b32_e32 v9, 7, v9
	v_cmp_eq_u32_e32 vcc, 0, v6
	v_cndmask_b32_e32 v6, v6, v8, vcc
	v_cndmask_b32_e32 v7, v7, v9, vcc
	v_lshlrev_b32_e32 v4, 24, v4
	v_mov_b32_e32 v8, 0x3b800000
	v_lshlrev_b32_e32 v7, 20, v7
	v_and_b32_e32 v4, 0x80000000, v4
	v_lshl_add_u32 v6, v6, 23, v8
	v_or3_b32 v6, v4, v6, v7
.LBB303_116:
	s_or_b64 exec, exec, s[8:9]
	v_cmp_eq_f32_e64 s[6:7], s17, v6
.LBB303_117:
	v_cndmask_b32_e64 v4, 0, 1, s[6:7]
	v_lshl_or_b32 v3, v4, 16, v3
.LBB303_118:
	s_or_b64 exec, exec, s[4:5]
	v_or_b32_e32 v4, 0x300, v0
	v_cmp_gt_i32_e32 vcc, s18, v4
	s_and_saveexec_b64 s[4:5], vcc
	s_cbranch_execz .LBB303_156
; %bb.119:
	s_and_b64 vcc, exec, s[2:3]
	s_cbranch_vccnz .LBB303_124
; %bb.120:
	s_and_b32 s8, s10, 0xff
	s_cmpk_lt_i32 s8, 0x80
	s_cbranch_scc1 .LBB303_125
; %bb.121:
	s_and_b32 s2, 0xffff, s8
	s_cmpk_eq_i32 s2, 0x80
	s_mov_b64 s[2:3], -1
	s_cbranch_scc0 .LBB303_123
; %bb.122:
	s_mov_b64 s[2:3], 0
.LBB303_123:
	s_mov_b32 s14, 0x7f800001
	s_branch .LBB303_127
.LBB303_124:
                                        ; implicit-def: $sgpr2_sgpr3
	s_cbranch_execnz .LBB303_134
	s_branch .LBB303_155
.LBB303_125:
	s_mov_b64 s[2:3], 0
	s_mov_b32 s14, 0x7f800001
	s_cbranch_execz .LBB303_127
; %bb.126:
	s_and_b32 s2, 0xffff, s8
	s_cmp_lg_u32 s2, 0
	s_mov_b32 s14, 0
	s_cselect_b64 s[2:3], -1, 0
.LBB303_127:
	s_andn2_b64 vcc, exec, s[2:3]
	s_cbranch_vccnz .LBB303_129
; %bb.128:
	s_mov_b32 s14, s16
.LBB303_129:
	s_movk_i32 s2, 0x7f
	v_cmp_gt_i16_sdwa s[6:7], v2, s2 src0_sel:BYTE_0 src1_sel:DWORD
	s_mov_b64 s[2:3], 0
	s_and_saveexec_b64 s[8:9], s[6:7]
	s_xor_b64 s[6:7], exec, s[8:9]
	s_cbranch_execnz .LBB303_138
; %bb.130:
	s_or_saveexec_b64 s[6:7], s[6:7]
	v_mov_b32_e32 v4, 0x7f800001
	s_xor_b64 exec, exec, s[6:7]
	s_cbranch_execnz .LBB303_141
.LBB303_131:
	s_or_b64 exec, exec, s[6:7]
	s_and_saveexec_b64 s[6:7], s[2:3]
	s_cbranch_execz .LBB303_133
.LBB303_132:
	v_and_b32_e32 v6, 7, v2
	v_ffbh_u32_e32 v7, v6
	v_min_u32_e32 v7, 32, v7
	v_lshrrev_b16_e32 v4, 3, v2
	v_subrev_u32_e32 v8, 28, v7
	v_and_b32_e32 v4, 15, v4
	v_lshlrev_b32_e32 v8, v8, v2
	v_sub_u32_e32 v7, 29, v7
	v_and_b32_e32 v8, 7, v8
	v_cmp_eq_u32_e32 vcc, 0, v4
	v_cndmask_b32_e32 v4, v4, v7, vcc
	v_cndmask_b32_e32 v6, v6, v8, vcc
	v_lshlrev_b32_e32 v7, 24, v2
	v_mov_b32_e32 v8, 0x3b800000
	v_lshlrev_b32_e32 v6, 20, v6
	v_and_b32_e32 v7, 0x80000000, v7
	v_lshl_add_u32 v4, v4, 23, v8
	v_or3_b32 v4, v7, v4, v6
.LBB303_133:
	s_or_b64 exec, exec, s[6:7]
	v_cmp_neq_f32_e64 s[2:3], s14, v4
	s_branch .LBB303_155
.LBB303_134:
	s_and_b32 s8, s10, 0xff
	s_cmpk_lt_i32 s8, 0x80
	s_cbranch_scc1 .LBB303_146
; %bb.135:
	s_and_b32 s2, 0xffff, s8
	s_cmpk_eq_i32 s2, 0x80
	s_mov_b64 s[2:3], -1
	s_cbranch_scc0 .LBB303_137
; %bb.136:
	s_mov_b64 s[2:3], 0
.LBB303_137:
	s_mov_b32 s10, 0x7f800001
	s_branch .LBB303_148
.LBB303_138:
	s_movk_i32 s2, 0x80
	v_cmp_eq_u16_sdwa s[20:21], v2, s2 src0_sel:BYTE_0 src1_sel:DWORD
	s_mov_b64 s[2:3], -1
	s_and_saveexec_b64 s[8:9], s[20:21]
; %bb.139:
	s_xor_b64 s[2:3], exec, -1
; %bb.140:
	s_or_b64 exec, exec, s[8:9]
	s_and_b64 s[2:3], s[2:3], exec
	s_or_saveexec_b64 s[6:7], s[6:7]
	v_mov_b32_e32 v4, 0x7f800001
	s_xor_b64 exec, exec, s[6:7]
	s_cbranch_execz .LBB303_131
.LBB303_141:
	v_mov_b32_e32 v4, 0
	v_cmp_ne_u16_sdwa s[8:9], v2, v4 src0_sel:BYTE_0 src1_sel:DWORD
	s_andn2_b64 s[2:3], s[2:3], exec
	s_and_b64 s[8:9], s[8:9], exec
	s_or_b64 s[2:3], s[2:3], s[8:9]
	s_or_b64 exec, exec, s[6:7]
	s_and_saveexec_b64 s[6:7], s[2:3]
	s_cbranch_execnz .LBB303_132
	s_branch .LBB303_133
.LBB303_142:
	s_movk_i32 s6, 0x80
	v_cmp_eq_u16_sdwa s[20:21], v4, s6 src0_sel:BYTE_0 src1_sel:DWORD
	s_mov_b64 s[6:7], -1
	s_and_saveexec_b64 s[14:15], s[20:21]
; %bb.143:
	s_xor_b64 s[6:7], exec, -1
; %bb.144:
	s_or_b64 exec, exec, s[14:15]
	s_and_b64 s[6:7], s[6:7], exec
	s_or_saveexec_b64 s[8:9], s[8:9]
	v_mov_b32_e32 v6, 0x7f800001
	s_xor_b64 exec, exec, s[8:9]
	s_cbranch_execz .LBB303_114
.LBB303_145:
	v_mov_b32_e32 v6, 0
	v_cmp_ne_u16_sdwa s[14:15], v4, v6 src0_sel:BYTE_0 src1_sel:DWORD
	s_andn2_b64 s[6:7], s[6:7], exec
	s_and_b64 s[14:15], s[14:15], exec
	s_or_b64 s[6:7], s[6:7], s[14:15]
	s_or_b64 exec, exec, s[8:9]
	s_and_saveexec_b64 s[8:9], s[6:7]
	s_cbranch_execnz .LBB303_115
	s_branch .LBB303_116
.LBB303_146:
	s_mov_b64 s[2:3], 0
	s_mov_b32 s10, 0x7f800001
	s_cbranch_execz .LBB303_148
; %bb.147:
	s_and_b32 s2, 0xffff, s8
	s_cmp_lg_u32 s2, 0
	s_mov_b32 s10, 0
	s_cselect_b64 s[2:3], -1, 0
.LBB303_148:
	s_andn2_b64 vcc, exec, s[2:3]
	s_cbranch_vccnz .LBB303_150
; %bb.149:
	s_mov_b32 s10, s16
.LBB303_150:
	s_movk_i32 s2, 0x7f
	v_cmp_gt_i16_sdwa s[6:7], v2, s2 src0_sel:BYTE_0 src1_sel:DWORD
	s_mov_b64 s[2:3], 0
	s_and_saveexec_b64 s[8:9], s[6:7]
	s_xor_b64 s[6:7], exec, s[8:9]
	s_cbranch_execnz .LBB303_165
; %bb.151:
	s_or_saveexec_b64 s[6:7], s[6:7]
	v_mov_b32_e32 v4, 0x7f800001
	s_xor_b64 exec, exec, s[6:7]
	s_cbranch_execnz .LBB303_168
.LBB303_152:
	s_or_b64 exec, exec, s[6:7]
	s_and_saveexec_b64 s[6:7], s[2:3]
	s_cbranch_execz .LBB303_154
.LBB303_153:
	v_and_b32_e32 v6, 7, v2
	v_ffbh_u32_e32 v7, v6
	v_min_u32_e32 v7, 32, v7
	v_lshrrev_b16_e32 v4, 3, v2
	v_subrev_u32_e32 v8, 28, v7
	v_and_b32_e32 v4, 15, v4
	v_lshlrev_b32_e32 v8, v8, v2
	v_sub_u32_e32 v7, 29, v7
	v_and_b32_e32 v8, 7, v8
	v_cmp_eq_u32_e32 vcc, 0, v4
	v_cndmask_b32_e32 v4, v4, v7, vcc
	v_cndmask_b32_e32 v6, v6, v8, vcc
	v_lshlrev_b32_e32 v2, 24, v2
	v_mov_b32_e32 v7, 0x3b800000
	v_lshlrev_b32_e32 v6, 20, v6
	v_and_b32_e32 v2, 0x80000000, v2
	v_lshl_add_u32 v4, v4, 23, v7
	v_or3_b32 v4, v2, v4, v6
.LBB303_154:
	s_or_b64 exec, exec, s[6:7]
	v_cmp_eq_f32_e64 s[2:3], s10, v4
.LBB303_155:
	v_cndmask_b32_e64 v2, 0, 1, s[2:3]
	v_lshlrev_b16_e32 v2, 8, v2
	v_or_b32_sdwa v2, v3, v2 dst_sel:WORD_1 dst_unused:UNUSED_PAD src0_sel:WORD_1 src1_sel:DWORD
	s_mov_b32 s2, 0xffff
	v_and_or_b32 v3, v3, s2, v2
.LBB303_156:
	s_or_b64 exec, exec, s[4:5]
	s_and_saveexec_b64 s[2:3], s[0:1]
	s_xor_b64 s[0:1], exec, s[2:3]
	s_cbranch_execz .LBB303_158
; %bb.157:
	v_mov_b32_e32 v0, v5
	global_store_byte v1, v3, s[12:13]
.LBB303_158:
	s_or_b64 exec, exec, s[0:1]
	v_cmp_gt_i32_e32 vcc, s18, v0
	s_and_saveexec_b64 s[0:1], vcc
	s_cbranch_execnz .LBB303_162
; %bb.159:
	s_or_b64 exec, exec, s[0:1]
	v_cmp_gt_i32_e32 vcc, s18, v0
	s_and_saveexec_b64 s[0:1], vcc
	s_cbranch_execnz .LBB303_163
.LBB303_160:
	s_or_b64 exec, exec, s[0:1]
	v_cmp_gt_i32_e32 vcc, s18, v0
	s_and_saveexec_b64 s[0:1], vcc
	s_cbranch_execnz .LBB303_164
.LBB303_161:
	s_endpgm
.LBB303_162:
	v_add_u32_e32 v1, 0x100, v0
	v_add_u32_e32 v0, s11, v0
	v_lshrrev_b32_e32 v2, 8, v3
	global_store_byte v0, v2, s[12:13]
	v_mov_b32_e32 v0, v1
	s_or_b64 exec, exec, s[0:1]
	v_cmp_gt_i32_e32 vcc, s18, v0
	s_and_saveexec_b64 s[0:1], vcc
	s_cbranch_execz .LBB303_160
.LBB303_163:
	v_add_u32_e32 v1, 0x100, v0
	v_add_u32_e32 v0, s11, v0
	global_store_byte_d16_hi v0, v3, s[12:13]
	v_mov_b32_e32 v0, v1
	s_or_b64 exec, exec, s[0:1]
	v_cmp_gt_i32_e32 vcc, s18, v0
	s_and_saveexec_b64 s[0:1], vcc
	s_cbranch_execz .LBB303_161
.LBB303_164:
	v_add_u32_e32 v0, s11, v0
	v_lshrrev_b32_e32 v1, 24, v3
	global_store_byte v0, v1, s[12:13]
	s_endpgm
.LBB303_165:
	s_movk_i32 s2, 0x80
	v_cmp_eq_u16_sdwa s[14:15], v2, s2 src0_sel:BYTE_0 src1_sel:DWORD
	s_mov_b64 s[2:3], -1
	s_and_saveexec_b64 s[8:9], s[14:15]
; %bb.166:
	s_xor_b64 s[2:3], exec, -1
; %bb.167:
	s_or_b64 exec, exec, s[8:9]
	s_and_b64 s[2:3], s[2:3], exec
	s_or_saveexec_b64 s[6:7], s[6:7]
	v_mov_b32_e32 v4, 0x7f800001
	s_xor_b64 exec, exec, s[6:7]
	s_cbranch_execz .LBB303_152
.LBB303_168:
	v_mov_b32_e32 v4, 0
	v_cmp_ne_u16_sdwa s[8:9], v2, v4 src0_sel:BYTE_0 src1_sel:DWORD
	s_andn2_b64 s[2:3], s[2:3], exec
	s_and_b64 s[8:9], s[8:9], exec
	s_or_b64 s[2:3], s[2:3], s[8:9]
	s_or_b64 exec, exec, s[6:7]
	s_and_saveexec_b64 s[6:7], s[2:3]
	s_cbranch_execnz .LBB303_153
	s_branch .LBB303_154
	.section	.rodata,"a",@progbits
	.p2align	6, 0x0
	.amdhsa_kernel _ZN2at6native27unrolled_elementwise_kernelINS0_13AUnaryFunctorIN3c1015Float8_e4m3fnuzES4_bNS0_12_GLOBAL__N_116CompareEqFunctorIS4_EEEESt5arrayIPcLm2EELi4E23TrivialOffsetCalculatorILi1EjESD_NS0_6memory15LoadWithoutCastENSE_16StoreWithoutCastEEEviT_T0_T2_T3_T4_T5_
		.amdhsa_group_segment_fixed_size 0
		.amdhsa_private_segment_fixed_size 0
		.amdhsa_kernarg_size 36
		.amdhsa_user_sgpr_count 6
		.amdhsa_user_sgpr_private_segment_buffer 1
		.amdhsa_user_sgpr_dispatch_ptr 0
		.amdhsa_user_sgpr_queue_ptr 0
		.amdhsa_user_sgpr_kernarg_segment_ptr 1
		.amdhsa_user_sgpr_dispatch_id 0
		.amdhsa_user_sgpr_flat_scratch_init 0
		.amdhsa_user_sgpr_private_segment_size 0
		.amdhsa_uses_dynamic_stack 0
		.amdhsa_system_sgpr_private_segment_wavefront_offset 0
		.amdhsa_system_sgpr_workgroup_id_x 1
		.amdhsa_system_sgpr_workgroup_id_y 0
		.amdhsa_system_sgpr_workgroup_id_z 0
		.amdhsa_system_sgpr_workgroup_info 0
		.amdhsa_system_vgpr_workitem_id 0
		.amdhsa_next_free_vgpr 11
		.amdhsa_next_free_sgpr 22
		.amdhsa_reserve_vcc 1
		.amdhsa_reserve_flat_scratch 0
		.amdhsa_float_round_mode_32 0
		.amdhsa_float_round_mode_16_64 0
		.amdhsa_float_denorm_mode_32 3
		.amdhsa_float_denorm_mode_16_64 3
		.amdhsa_dx10_clamp 1
		.amdhsa_ieee_mode 1
		.amdhsa_fp16_overflow 0
		.amdhsa_exception_fp_ieee_invalid_op 0
		.amdhsa_exception_fp_denorm_src 0
		.amdhsa_exception_fp_ieee_div_zero 0
		.amdhsa_exception_fp_ieee_overflow 0
		.amdhsa_exception_fp_ieee_underflow 0
		.amdhsa_exception_fp_ieee_inexact 0
		.amdhsa_exception_int_div_zero 0
	.end_amdhsa_kernel
	.section	.text._ZN2at6native27unrolled_elementwise_kernelINS0_13AUnaryFunctorIN3c1015Float8_e4m3fnuzES4_bNS0_12_GLOBAL__N_116CompareEqFunctorIS4_EEEESt5arrayIPcLm2EELi4E23TrivialOffsetCalculatorILi1EjESD_NS0_6memory15LoadWithoutCastENSE_16StoreWithoutCastEEEviT_T0_T2_T3_T4_T5_,"axG",@progbits,_ZN2at6native27unrolled_elementwise_kernelINS0_13AUnaryFunctorIN3c1015Float8_e4m3fnuzES4_bNS0_12_GLOBAL__N_116CompareEqFunctorIS4_EEEESt5arrayIPcLm2EELi4E23TrivialOffsetCalculatorILi1EjESD_NS0_6memory15LoadWithoutCastENSE_16StoreWithoutCastEEEviT_T0_T2_T3_T4_T5_,comdat
.Lfunc_end303:
	.size	_ZN2at6native27unrolled_elementwise_kernelINS0_13AUnaryFunctorIN3c1015Float8_e4m3fnuzES4_bNS0_12_GLOBAL__N_116CompareEqFunctorIS4_EEEESt5arrayIPcLm2EELi4E23TrivialOffsetCalculatorILi1EjESD_NS0_6memory15LoadWithoutCastENSE_16StoreWithoutCastEEEviT_T0_T2_T3_T4_T5_, .Lfunc_end303-_ZN2at6native27unrolled_elementwise_kernelINS0_13AUnaryFunctorIN3c1015Float8_e4m3fnuzES4_bNS0_12_GLOBAL__N_116CompareEqFunctorIS4_EEEESt5arrayIPcLm2EELi4E23TrivialOffsetCalculatorILi1EjESD_NS0_6memory15LoadWithoutCastENSE_16StoreWithoutCastEEEviT_T0_T2_T3_T4_T5_
                                        ; -- End function
	.set _ZN2at6native27unrolled_elementwise_kernelINS0_13AUnaryFunctorIN3c1015Float8_e4m3fnuzES4_bNS0_12_GLOBAL__N_116CompareEqFunctorIS4_EEEESt5arrayIPcLm2EELi4E23TrivialOffsetCalculatorILi1EjESD_NS0_6memory15LoadWithoutCastENSE_16StoreWithoutCastEEEviT_T0_T2_T3_T4_T5_.num_vgpr, 11
	.set _ZN2at6native27unrolled_elementwise_kernelINS0_13AUnaryFunctorIN3c1015Float8_e4m3fnuzES4_bNS0_12_GLOBAL__N_116CompareEqFunctorIS4_EEEESt5arrayIPcLm2EELi4E23TrivialOffsetCalculatorILi1EjESD_NS0_6memory15LoadWithoutCastENSE_16StoreWithoutCastEEEviT_T0_T2_T3_T4_T5_.num_agpr, 0
	.set _ZN2at6native27unrolled_elementwise_kernelINS0_13AUnaryFunctorIN3c1015Float8_e4m3fnuzES4_bNS0_12_GLOBAL__N_116CompareEqFunctorIS4_EEEESt5arrayIPcLm2EELi4E23TrivialOffsetCalculatorILi1EjESD_NS0_6memory15LoadWithoutCastENSE_16StoreWithoutCastEEEviT_T0_T2_T3_T4_T5_.numbered_sgpr, 22
	.set _ZN2at6native27unrolled_elementwise_kernelINS0_13AUnaryFunctorIN3c1015Float8_e4m3fnuzES4_bNS0_12_GLOBAL__N_116CompareEqFunctorIS4_EEEESt5arrayIPcLm2EELi4E23TrivialOffsetCalculatorILi1EjESD_NS0_6memory15LoadWithoutCastENSE_16StoreWithoutCastEEEviT_T0_T2_T3_T4_T5_.num_named_barrier, 0
	.set _ZN2at6native27unrolled_elementwise_kernelINS0_13AUnaryFunctorIN3c1015Float8_e4m3fnuzES4_bNS0_12_GLOBAL__N_116CompareEqFunctorIS4_EEEESt5arrayIPcLm2EELi4E23TrivialOffsetCalculatorILi1EjESD_NS0_6memory15LoadWithoutCastENSE_16StoreWithoutCastEEEviT_T0_T2_T3_T4_T5_.private_seg_size, 0
	.set _ZN2at6native27unrolled_elementwise_kernelINS0_13AUnaryFunctorIN3c1015Float8_e4m3fnuzES4_bNS0_12_GLOBAL__N_116CompareEqFunctorIS4_EEEESt5arrayIPcLm2EELi4E23TrivialOffsetCalculatorILi1EjESD_NS0_6memory15LoadWithoutCastENSE_16StoreWithoutCastEEEviT_T0_T2_T3_T4_T5_.uses_vcc, 1
	.set _ZN2at6native27unrolled_elementwise_kernelINS0_13AUnaryFunctorIN3c1015Float8_e4m3fnuzES4_bNS0_12_GLOBAL__N_116CompareEqFunctorIS4_EEEESt5arrayIPcLm2EELi4E23TrivialOffsetCalculatorILi1EjESD_NS0_6memory15LoadWithoutCastENSE_16StoreWithoutCastEEEviT_T0_T2_T3_T4_T5_.uses_flat_scratch, 0
	.set _ZN2at6native27unrolled_elementwise_kernelINS0_13AUnaryFunctorIN3c1015Float8_e4m3fnuzES4_bNS0_12_GLOBAL__N_116CompareEqFunctorIS4_EEEESt5arrayIPcLm2EELi4E23TrivialOffsetCalculatorILi1EjESD_NS0_6memory15LoadWithoutCastENSE_16StoreWithoutCastEEEviT_T0_T2_T3_T4_T5_.has_dyn_sized_stack, 0
	.set _ZN2at6native27unrolled_elementwise_kernelINS0_13AUnaryFunctorIN3c1015Float8_e4m3fnuzES4_bNS0_12_GLOBAL__N_116CompareEqFunctorIS4_EEEESt5arrayIPcLm2EELi4E23TrivialOffsetCalculatorILi1EjESD_NS0_6memory15LoadWithoutCastENSE_16StoreWithoutCastEEEviT_T0_T2_T3_T4_T5_.has_recursion, 0
	.set _ZN2at6native27unrolled_elementwise_kernelINS0_13AUnaryFunctorIN3c1015Float8_e4m3fnuzES4_bNS0_12_GLOBAL__N_116CompareEqFunctorIS4_EEEESt5arrayIPcLm2EELi4E23TrivialOffsetCalculatorILi1EjESD_NS0_6memory15LoadWithoutCastENSE_16StoreWithoutCastEEEviT_T0_T2_T3_T4_T5_.has_indirect_call, 0
	.section	.AMDGPU.csdata,"",@progbits
; Kernel info:
; codeLenInByte = 3568
; TotalNumSgprs: 26
; NumVgprs: 11
; ScratchSize: 0
; MemoryBound: 0
; FloatMode: 240
; IeeeMode: 1
; LDSByteSize: 0 bytes/workgroup (compile time only)
; SGPRBlocks: 3
; VGPRBlocks: 2
; NumSGPRsForWavesPerEU: 26
; NumVGPRsForWavesPerEU: 11
; Occupancy: 10
; WaveLimiterHint : 0
; COMPUTE_PGM_RSRC2:SCRATCH_EN: 0
; COMPUTE_PGM_RSRC2:USER_SGPR: 6
; COMPUTE_PGM_RSRC2:TRAP_HANDLER: 0
; COMPUTE_PGM_RSRC2:TGID_X_EN: 1
; COMPUTE_PGM_RSRC2:TGID_Y_EN: 0
; COMPUTE_PGM_RSRC2:TGID_Z_EN: 0
; COMPUTE_PGM_RSRC2:TIDIG_COMP_CNT: 0
	.section	.text._ZN2at6native32elementwise_kernel_manual_unrollILi128ELi8EZNS0_22gpu_kernel_impl_nocastINS0_13AUnaryFunctorIN3c1015Float8_e4m3fnuzES5_bNS0_12_GLOBAL__N_116CompareEqFunctorIS5_EEEEEEvRNS_18TensorIteratorBaseERKT_EUlibE_EEviT1_,"axG",@progbits,_ZN2at6native32elementwise_kernel_manual_unrollILi128ELi8EZNS0_22gpu_kernel_impl_nocastINS0_13AUnaryFunctorIN3c1015Float8_e4m3fnuzES5_bNS0_12_GLOBAL__N_116CompareEqFunctorIS5_EEEEEEvRNS_18TensorIteratorBaseERKT_EUlibE_EEviT1_,comdat
	.globl	_ZN2at6native32elementwise_kernel_manual_unrollILi128ELi8EZNS0_22gpu_kernel_impl_nocastINS0_13AUnaryFunctorIN3c1015Float8_e4m3fnuzES5_bNS0_12_GLOBAL__N_116CompareEqFunctorIS5_EEEEEEvRNS_18TensorIteratorBaseERKT_EUlibE_EEviT1_ ; -- Begin function _ZN2at6native32elementwise_kernel_manual_unrollILi128ELi8EZNS0_22gpu_kernel_impl_nocastINS0_13AUnaryFunctorIN3c1015Float8_e4m3fnuzES5_bNS0_12_GLOBAL__N_116CompareEqFunctorIS5_EEEEEEvRNS_18TensorIteratorBaseERKT_EUlibE_EEviT1_
	.p2align	8
	.type	_ZN2at6native32elementwise_kernel_manual_unrollILi128ELi8EZNS0_22gpu_kernel_impl_nocastINS0_13AUnaryFunctorIN3c1015Float8_e4m3fnuzES5_bNS0_12_GLOBAL__N_116CompareEqFunctorIS5_EEEEEEvRNS_18TensorIteratorBaseERKT_EUlibE_EEviT1_,@function
_ZN2at6native32elementwise_kernel_manual_unrollILi128ELi8EZNS0_22gpu_kernel_impl_nocastINS0_13AUnaryFunctorIN3c1015Float8_e4m3fnuzES5_bNS0_12_GLOBAL__N_116CompareEqFunctorIS5_EEEEEEvRNS_18TensorIteratorBaseERKT_EUlibE_EEviT1_: ; @_ZN2at6native32elementwise_kernel_manual_unrollILi128ELi8EZNS0_22gpu_kernel_impl_nocastINS0_13AUnaryFunctorIN3c1015Float8_e4m3fnuzES5_bNS0_12_GLOBAL__N_116CompareEqFunctorIS5_EEEEEEvRNS_18TensorIteratorBaseERKT_EUlibE_EEviT1_
; %bb.0:
	s_load_dword s59, s[4:5], 0x0
	s_load_dword s33, s[4:5], 0x8
	s_add_u32 s34, s4, 8
	s_addc_u32 s35, s5, 0
	v_lshl_or_b32 v7, s6, 10, v0
	v_or_b32_e32 v25, 0x380, v7
	s_waitcnt lgkmcnt(0)
	s_add_i32 s58, s33, -1
	s_cmp_gt_u32 s58, 1
	v_cmp_le_i32_e32 vcc, s59, v25
	s_cselect_b64 s[36:37], -1, 0
	s_and_saveexec_b64 s[0:1], vcc
	s_xor_b64 s[38:39], exec, s[0:1]
	s_cbranch_execz .LBB304_414
; %bb.1:
	s_load_dwordx4 s[20:23], s[34:35], 0x4
	s_load_dwordx2 s[44:45], s[34:35], 0x14
	s_load_dwordx2 s[40:41], s[34:35], 0x158
	s_cmp_lg_u32 s33, 0
	s_cselect_b64 s[50:51], -1, 0
	s_add_u32 s48, s34, 0xc4
	s_addc_u32 s49, s35, 0
	s_min_u32 s60, s58, 15
	s_cmp_gt_u32 s33, 1
	s_cselect_b64 s[46:47], -1, 0
	s_waitcnt lgkmcnt(0)
	s_cmp_lg_u32 s40, 0
	s_cselect_b64 s[42:43], -1, 0
	s_and_b32 s0, s41, 7
	s_flbit_i32_b32 s2, s0
	s_min_u32 s2, s2, 32
	s_sub_i32 s3, s2, 28
	s_lshl_b32 s3, s41, s3
	s_bfe_u32 s1, s41, 0x40003
	s_sub_i32 s2, 29, s2
	s_and_b32 s3, s3, 7
	s_cmp_eq_u32 s1, 0
	s_load_dwordx4 s[24:27], s[34:35], 0xc4
	s_load_dwordx4 s[16:19], s[34:35], 0x148
	s_cselect_b32 s1, s2, s1
	s_cselect_b32 s0, s3, s0
	s_lshl_b32 s2, s41, 24
	s_lshl_b32 s1, s1, 23
	s_and_b32 s2, s2, 0x80000000
	s_add_i32 s1, s1, 0x3b800000
	s_lshl_b32 s0, s0, 20
	s_or_b32 s1, s2, s1
	s_or_b32 s40, s1, s0
	v_cmp_gt_i32_e32 vcc, s59, v7
	s_and_saveexec_b64 s[52:53], vcc
	s_cbranch_execnz .LBB304_9
; %bb.2:
	s_or_b64 exec, exec, s[52:53]
	v_cmp_gt_i32_e32 vcc, s59, v7
	s_and_saveexec_b64 s[52:53], vcc
	s_cbranch_execnz .LBB304_56
.LBB304_3:
	s_or_b64 exec, exec, s[52:53]
	v_cmp_gt_i32_e32 vcc, s59, v7
	s_and_saveexec_b64 s[52:53], vcc
	s_cbranch_execnz .LBB304_107
.LBB304_4:
	s_or_b64 exec, exec, s[52:53]
	v_cmp_gt_i32_e32 vcc, s59, v7
	s_and_saveexec_b64 s[52:53], vcc
	s_cbranch_execnz .LBB304_158
.LBB304_5:
	s_or_b64 exec, exec, s[52:53]
	v_cmp_gt_i32_e32 vcc, s59, v7
	s_and_saveexec_b64 s[52:53], vcc
	s_cbranch_execnz .LBB304_209
.LBB304_6:
	s_or_b64 exec, exec, s[52:53]
	v_cmp_gt_i32_e32 vcc, s59, v7
	s_and_saveexec_b64 s[52:53], vcc
	s_cbranch_execnz .LBB304_260
.LBB304_7:
	s_or_b64 exec, exec, s[52:53]
	v_cmp_gt_i32_e32 vcc, s59, v7
	s_and_saveexec_b64 s[52:53], vcc
	s_cbranch_execnz .LBB304_311
.LBB304_8:
	s_or_b64 exec, exec, s[52:53]
	v_cmp_gt_i32_e32 vcc, s59, v7
	s_and_saveexec_b64 s[52:53], vcc
	s_cbranch_execnz .LBB304_362
	s_branch .LBB304_413
.LBB304_9:
	s_andn2_b64 vcc, exec, s[36:37]
	s_cbranch_vccnz .LBB304_14
; %bb.10:
	s_andn2_b64 vcc, exec, s[50:51]
	s_cbranch_vccnz .LBB304_15
; %bb.11:
	s_add_i32 s62, s60, 1
	s_cmp_eq_u32 s58, 2
	s_cbranch_scc1 .LBB304_16
; %bb.12:
	s_and_b32 s61, s62, 28
	v_mov_b32_e32 v2, 0
	s_mov_b32 s63, 0
	s_mov_b64 s[54:55], s[34:35]
	s_mov_b64 s[56:57], s[48:49]
	v_mov_b32_e32 v0, 0
	v_mov_b32_e32 v1, v7
.LBB304_13:                             ; =>This Inner Loop Header: Depth=1
	s_load_dwordx8 s[8:15], s[54:55], 0x4
	s_load_dwordx4 s[28:31], s[54:55], 0x24
	s_load_dwordx8 s[0:7], s[56:57], 0x0
	s_add_u32 s54, s54, 48
	s_addc_u32 s55, s55, 0
	s_waitcnt lgkmcnt(0)
	v_mul_hi_u32 v3, s9, v1
	s_add_i32 s63, s63, 4
	s_add_u32 s56, s56, 32
	s_addc_u32 s57, s57, 0
	v_add_u32_e32 v3, v1, v3
	v_lshrrev_b32_e32 v3, s10, v3
	v_mul_lo_u32 v4, v3, s8
	v_mul_hi_u32 v5, s12, v3
	s_cmp_lg_u32 s61, s63
	v_sub_u32_e32 v1, v1, v4
	v_add_u32_e32 v4, v3, v5
	v_mul_lo_u32 v5, v1, s0
	v_mul_lo_u32 v6, v1, s1
	v_lshrrev_b32_e32 v1, s13, v4
	v_mul_lo_u32 v4, v1, s11
	v_mul_hi_u32 v8, s15, v1
	v_sub_u32_e32 v3, v3, v4
	v_add_u32_e32 v4, v1, v8
	v_lshrrev_b32_e32 v4, s28, v4
	v_mul_hi_u32 v9, s30, v4
	v_mul_lo_u32 v10, v4, s14
	v_mul_lo_u32 v8, v3, s2
	;; [unrolled: 1-line block ×3, first 2 shown]
	v_sub_u32_e32 v10, v1, v10
	v_add_u32_e32 v1, v4, v9
	v_lshrrev_b32_e32 v1, s31, v1
	v_mul_lo_u32 v9, v1, s29
	v_mul_lo_u32 v11, v10, s4
	;; [unrolled: 1-line block ×3, first 2 shown]
	v_add3_u32 v0, v5, v0, v8
	v_sub_u32_e32 v4, v4, v9
	v_mul_lo_u32 v9, v4, s6
	v_mul_lo_u32 v4, v4, s7
	v_add3_u32 v2, v6, v2, v3
	v_add3_u32 v0, v11, v0, v9
	;; [unrolled: 1-line block ×3, first 2 shown]
	s_cbranch_scc1 .LBB304_13
	s_branch .LBB304_17
.LBB304_14:
                                        ; implicit-def: $vgpr0
                                        ; implicit-def: $vgpr2
	s_branch .LBB304_21
.LBB304_15:
	v_mov_b32_e32 v0, 0
	v_mov_b32_e32 v2, 0
	s_branch .LBB304_20
.LBB304_16:
	s_mov_b32 s61, 0
	v_mov_b32_e32 v0, 0
	v_mov_b32_e32 v2, 0
	;; [unrolled: 1-line block ×3, first 2 shown]
.LBB304_17:
	s_and_b32 s4, s62, 3
	s_cmp_eq_u32 s4, 0
	s_cbranch_scc1 .LBB304_20
; %bb.18:
	s_lshl_b32 s0, s61, 3
	s_add_u32 s0, s34, s0
	s_addc_u32 s1, s35, 0
	s_add_u32 s0, s0, 0xc4
	s_addc_u32 s1, s1, 0
	s_mul_i32 s2, s61, 12
	s_add_u32 s2, s34, s2
	s_addc_u32 s3, s35, 0
.LBB304_19:                             ; =>This Inner Loop Header: Depth=1
	s_load_dwordx2 s[6:7], s[2:3], 0x4
	s_load_dword s5, s[2:3], 0xc
	s_load_dwordx2 s[8:9], s[0:1], 0x0
	s_add_u32 s2, s2, 12
	s_addc_u32 s3, s3, 0
	s_waitcnt lgkmcnt(0)
	v_mul_hi_u32 v3, s7, v1
	s_add_u32 s0, s0, 8
	s_addc_u32 s1, s1, 0
	s_add_i32 s4, s4, -1
	v_add_u32_e32 v3, v1, v3
	v_lshrrev_b32_e32 v4, s5, v3
	v_mul_lo_u32 v3, v4, s6
	s_cmp_lg_u32 s4, 0
	v_sub_u32_e32 v3, v1, v3
	v_mad_u64_u32 v[0:1], s[6:7], v3, s8, v[0:1]
	v_mad_u64_u32 v[2:3], s[6:7], v3, s9, v[2:3]
	v_mov_b32_e32 v1, v4
	s_cbranch_scc1 .LBB304_19
.LBB304_20:
	s_cbranch_execnz .LBB304_23
.LBB304_21:
	v_mul_hi_u32 v0, s21, v7
	s_andn2_b64 vcc, exec, s[46:47]
	v_add_u32_e32 v0, v7, v0
	v_lshrrev_b32_e32 v1, s22, v0
	v_mul_lo_u32 v0, v1, s20
	v_sub_u32_e32 v2, v7, v0
	s_waitcnt lgkmcnt(0)
	v_mul_lo_u32 v0, v2, s24
	v_mul_lo_u32 v2, v2, s25
	s_cbranch_vccnz .LBB304_23
; %bb.22:
	v_mul_hi_u32 v3, s44, v1
	v_add_u32_e32 v3, v1, v3
	v_lshrrev_b32_e32 v3, s45, v3
	v_mul_lo_u32 v3, v3, s23
	v_sub_u32_e32 v3, v1, v3
	v_mad_u64_u32 v[0:1], s[0:1], v3, s26, v[0:1]
	v_mad_u64_u32 v[2:3], s[0:1], v3, s27, v[2:3]
.LBB304_23:
	s_waitcnt lgkmcnt(0)
	global_load_ubyte v1, v2, s[18:19]
	s_and_b64 vcc, exec, s[42:43]
	s_cbranch_vccz .LBB304_28
; %bb.24:
	s_and_b32 s4, s41, 0xff
	s_cmpk_lt_i32 s4, 0x80
	s_cbranch_scc1 .LBB304_29
; %bb.25:
	s_and_b32 s0, 0xffff, s4
	s_cmpk_eq_i32 s0, 0x80
	s_mov_b64 s[0:1], -1
	s_cbranch_scc0 .LBB304_27
; %bb.26:
	s_mov_b64 s[0:1], 0
.LBB304_27:
	s_mov_b32 s6, 0x7f800001
	s_branch .LBB304_31
.LBB304_28:
                                        ; implicit-def: $sgpr0_sgpr1
	s_cbranch_execnz .LBB304_38
	s_branch .LBB304_55
.LBB304_29:
	s_mov_b64 s[0:1], 0
	s_mov_b32 s6, 0x7f800001
	s_cbranch_execz .LBB304_31
; %bb.30:
	s_and_b32 s0, 0xffff, s4
	s_cmp_lg_u32 s0, 0
	s_mov_b32 s6, 0
	s_cselect_b64 s[0:1], -1, 0
.LBB304_31:
	s_andn2_b64 vcc, exec, s[0:1]
	s_cbranch_vccnz .LBB304_33
; %bb.32:
	s_mov_b32 s6, s40
.LBB304_33:
	s_movk_i32 s0, 0x7f
	s_waitcnt vmcnt(0)
	v_cmp_gt_i16_sdwa s[2:3], v1, s0 src0_sel:BYTE_0 src1_sel:DWORD
	s_mov_b64 s[0:1], 0
	s_and_saveexec_b64 s[4:5], s[2:3]
	s_xor_b64 s[2:3], exec, s[4:5]
	s_cbranch_execnz .LBB304_42
; %bb.34:
	s_or_saveexec_b64 s[2:3], s[2:3]
	v_mov_b32_e32 v2, 0x7f800001
	s_xor_b64 exec, exec, s[2:3]
	s_cbranch_execnz .LBB304_45
.LBB304_35:
	s_or_b64 exec, exec, s[2:3]
	s_and_saveexec_b64 s[2:3], s[0:1]
	s_cbranch_execz .LBB304_37
.LBB304_36:
	v_and_b32_e32 v4, 7, v1
	v_ffbh_u32_e32 v5, v4
	v_min_u32_e32 v5, 32, v5
	v_lshrrev_b16_e32 v3, 3, v1
	v_subrev_u32_e32 v6, 28, v5
	v_and_b32_e32 v3, 15, v3
	v_lshlrev_b32_e32 v6, v6, v1
	v_sub_u32_e32 v5, 29, v5
	v_and_b32_e32 v6, 7, v6
	v_cmp_eq_u32_e32 vcc, 0, v3
	v_lshlrev_b32_e32 v2, 24, v1
	v_cndmask_b32_e32 v3, v3, v5, vcc
	v_cndmask_b32_e32 v4, v4, v6, vcc
	v_mov_b32_e32 v5, 0x3b800000
	v_lshlrev_b32_e32 v4, 20, v4
	v_and_b32_e32 v2, 0x80000000, v2
	v_lshl_add_u32 v3, v3, 23, v5
	v_or3_b32 v2, v2, v3, v4
.LBB304_37:
	s_or_b64 exec, exec, s[2:3]
	v_cmp_neq_f32_e64 s[0:1], s6, v2
	s_branch .LBB304_55
.LBB304_38:
	s_and_b32 s4, s41, 0xff
	s_cmpk_lt_i32 s4, 0x80
	s_cbranch_scc1 .LBB304_46
; %bb.39:
	s_and_b32 s0, 0xffff, s4
	s_cmpk_eq_i32 s0, 0x80
	s_mov_b64 s[0:1], -1
	s_cbranch_scc0 .LBB304_41
; %bb.40:
	s_mov_b64 s[0:1], 0
.LBB304_41:
	s_mov_b32 s6, 0x7f800001
	s_branch .LBB304_48
.LBB304_42:
	s_movk_i32 s0, 0x80
	v_cmp_eq_u16_sdwa s[8:9], v1, s0 src0_sel:BYTE_0 src1_sel:DWORD
	s_mov_b64 s[0:1], -1
	s_and_saveexec_b64 s[4:5], s[8:9]
; %bb.43:
	s_xor_b64 s[0:1], exec, -1
; %bb.44:
	s_or_b64 exec, exec, s[4:5]
	s_and_b64 s[0:1], s[0:1], exec
	s_or_saveexec_b64 s[2:3], s[2:3]
	v_mov_b32_e32 v2, 0x7f800001
	s_xor_b64 exec, exec, s[2:3]
	s_cbranch_execz .LBB304_35
.LBB304_45:
	v_mov_b32_e32 v2, 0
	v_cmp_ne_u16_sdwa s[4:5], v1, v2 src0_sel:BYTE_0 src1_sel:DWORD
	s_andn2_b64 s[0:1], s[0:1], exec
	s_and_b64 s[4:5], s[4:5], exec
	s_or_b64 s[0:1], s[0:1], s[4:5]
	s_or_b64 exec, exec, s[2:3]
	s_and_saveexec_b64 s[2:3], s[0:1]
	s_cbranch_execnz .LBB304_36
	s_branch .LBB304_37
.LBB304_46:
	s_mov_b64 s[0:1], 0
	s_mov_b32 s6, 0x7f800001
	s_cbranch_execz .LBB304_48
; %bb.47:
	s_and_b32 s0, 0xffff, s4
	s_cmp_lg_u32 s0, 0
	s_mov_b32 s6, 0
	s_cselect_b64 s[0:1], -1, 0
.LBB304_48:
	s_andn2_b64 vcc, exec, s[0:1]
	s_cbranch_vccnz .LBB304_50
; %bb.49:
	s_mov_b32 s6, s40
.LBB304_50:
	s_movk_i32 s0, 0x7f
	s_waitcnt vmcnt(0)
	v_cmp_gt_i16_sdwa s[2:3], v1, s0 src0_sel:BYTE_0 src1_sel:DWORD
	s_mov_b64 s[0:1], 0
	s_and_saveexec_b64 s[4:5], s[2:3]
	s_xor_b64 s[2:3], exec, s[4:5]
	s_cbranch_execnz .LBB304_62
; %bb.51:
	s_or_saveexec_b64 s[2:3], s[2:3]
	v_mov_b32_e32 v2, 0x7f800001
	s_xor_b64 exec, exec, s[2:3]
	s_cbranch_execnz .LBB304_65
.LBB304_52:
	s_or_b64 exec, exec, s[2:3]
	s_and_saveexec_b64 s[2:3], s[0:1]
	s_cbranch_execz .LBB304_54
.LBB304_53:
	v_and_b32_e32 v4, 7, v1
	v_ffbh_u32_e32 v5, v4
	v_min_u32_e32 v5, 32, v5
	v_lshrrev_b16_e32 v3, 3, v1
	v_subrev_u32_e32 v6, 28, v5
	v_lshlrev_b32_e32 v2, 24, v1
	v_and_b32_e32 v3, 15, v3
	v_lshlrev_b32_e32 v1, v6, v1
	v_sub_u32_e32 v5, 29, v5
	v_and_b32_e32 v1, 7, v1
	v_cmp_eq_u32_e32 vcc, 0, v3
	v_cndmask_b32_e32 v3, v3, v5, vcc
	v_cndmask_b32_e32 v1, v4, v1, vcc
	v_mov_b32_e32 v4, 0x3b800000
	v_lshlrev_b32_e32 v1, 20, v1
	v_and_b32_e32 v2, 0x80000000, v2
	v_lshl_add_u32 v3, v3, 23, v4
	v_or3_b32 v2, v2, v3, v1
.LBB304_54:
	s_or_b64 exec, exec, s[2:3]
	v_cmp_eq_f32_e64 s[0:1], s6, v2
.LBB304_55:
	s_waitcnt vmcnt(0)
	v_cndmask_b32_e64 v1, 0, 1, s[0:1]
	v_add_u32_e32 v7, 0x80, v7
	global_store_byte v0, v1, s[16:17]
	s_or_b64 exec, exec, s[52:53]
	v_cmp_gt_i32_e32 vcc, s59, v7
	s_and_saveexec_b64 s[52:53], vcc
	s_cbranch_execz .LBB304_3
.LBB304_56:
	s_andn2_b64 vcc, exec, s[36:37]
	s_cbranch_vccnz .LBB304_61
; %bb.57:
	s_andn2_b64 vcc, exec, s[50:51]
	s_cbranch_vccnz .LBB304_66
; %bb.58:
	s_add_i32 s62, s60, 1
	s_cmp_eq_u32 s58, 2
	s_cbranch_scc1 .LBB304_67
; %bb.59:
	s_and_b32 s61, s62, 28
	v_mov_b32_e32 v2, 0
	s_mov_b32 s63, 0
	s_mov_b64 s[54:55], s[34:35]
	s_mov_b64 s[56:57], s[48:49]
	v_mov_b32_e32 v0, 0
	v_mov_b32_e32 v1, v7
.LBB304_60:                             ; =>This Inner Loop Header: Depth=1
	s_load_dwordx8 s[8:15], s[54:55], 0x4
	s_load_dwordx4 s[28:31], s[54:55], 0x24
	s_load_dwordx8 s[0:7], s[56:57], 0x0
	s_add_u32 s54, s54, 48
	s_addc_u32 s55, s55, 0
	s_waitcnt lgkmcnt(0)
	v_mul_hi_u32 v3, s9, v1
	s_add_i32 s63, s63, 4
	s_add_u32 s56, s56, 32
	s_addc_u32 s57, s57, 0
	v_add_u32_e32 v3, v1, v3
	v_lshrrev_b32_e32 v3, s10, v3
	v_mul_lo_u32 v4, v3, s8
	v_mul_hi_u32 v5, s12, v3
	s_cmp_eq_u32 s61, s63
	v_sub_u32_e32 v1, v1, v4
	v_add_u32_e32 v4, v3, v5
	v_mul_lo_u32 v5, v1, s0
	v_mul_lo_u32 v6, v1, s1
	v_lshrrev_b32_e32 v1, s13, v4
	v_mul_lo_u32 v4, v1, s11
	v_mul_hi_u32 v8, s15, v1
	v_sub_u32_e32 v3, v3, v4
	v_add_u32_e32 v4, v1, v8
	v_lshrrev_b32_e32 v4, s28, v4
	v_mul_hi_u32 v9, s30, v4
	v_mul_lo_u32 v10, v4, s14
	v_mul_lo_u32 v8, v3, s2
	;; [unrolled: 1-line block ×3, first 2 shown]
	v_sub_u32_e32 v10, v1, v10
	v_add_u32_e32 v1, v4, v9
	v_lshrrev_b32_e32 v1, s31, v1
	v_mul_lo_u32 v9, v1, s29
	v_mul_lo_u32 v11, v10, s4
	;; [unrolled: 1-line block ×3, first 2 shown]
	v_add3_u32 v0, v5, v0, v8
	v_sub_u32_e32 v4, v4, v9
	v_mul_lo_u32 v9, v4, s6
	v_mul_lo_u32 v4, v4, s7
	v_add3_u32 v2, v6, v2, v3
	v_add3_u32 v0, v11, v0, v9
	;; [unrolled: 1-line block ×3, first 2 shown]
	s_cbranch_scc0 .LBB304_60
	s_branch .LBB304_68
.LBB304_61:
                                        ; implicit-def: $vgpr0
                                        ; implicit-def: $vgpr2
	s_branch .LBB304_72
.LBB304_62:
	s_movk_i32 s0, 0x80
	v_cmp_eq_u16_sdwa s[8:9], v1, s0 src0_sel:BYTE_0 src1_sel:DWORD
	s_mov_b64 s[0:1], -1
	s_and_saveexec_b64 s[4:5], s[8:9]
; %bb.63:
	s_xor_b64 s[0:1], exec, -1
; %bb.64:
	s_or_b64 exec, exec, s[4:5]
	s_and_b64 s[0:1], s[0:1], exec
	s_or_saveexec_b64 s[2:3], s[2:3]
	v_mov_b32_e32 v2, 0x7f800001
	s_xor_b64 exec, exec, s[2:3]
	s_cbranch_execz .LBB304_52
.LBB304_65:
	v_mov_b32_e32 v2, 0
	v_cmp_ne_u16_sdwa s[4:5], v1, v2 src0_sel:BYTE_0 src1_sel:DWORD
	s_andn2_b64 s[0:1], s[0:1], exec
	s_and_b64 s[4:5], s[4:5], exec
	s_or_b64 s[0:1], s[0:1], s[4:5]
	s_or_b64 exec, exec, s[2:3]
	s_and_saveexec_b64 s[2:3], s[0:1]
	s_cbranch_execnz .LBB304_53
	s_branch .LBB304_54
.LBB304_66:
	v_mov_b32_e32 v0, 0
	v_mov_b32_e32 v2, 0
	s_branch .LBB304_71
.LBB304_67:
	s_mov_b32 s61, 0
	v_mov_b32_e32 v0, 0
	v_mov_b32_e32 v2, 0
	;; [unrolled: 1-line block ×3, first 2 shown]
.LBB304_68:
	s_and_b32 s4, s62, 3
	s_cmp_eq_u32 s4, 0
	s_cbranch_scc1 .LBB304_71
; %bb.69:
	s_lshl_b32 s0, s61, 3
	s_add_u32 s0, s34, s0
	s_addc_u32 s1, s35, 0
	s_add_u32 s0, s0, 0xc4
	s_addc_u32 s1, s1, 0
	s_mul_i32 s2, s61, 12
	s_add_u32 s2, s34, s2
	s_addc_u32 s3, s35, 0
.LBB304_70:                             ; =>This Inner Loop Header: Depth=1
	s_load_dwordx2 s[6:7], s[2:3], 0x4
	s_load_dword s5, s[2:3], 0xc
	s_load_dwordx2 s[8:9], s[0:1], 0x0
	s_add_u32 s2, s2, 12
	s_addc_u32 s3, s3, 0
	s_waitcnt lgkmcnt(0)
	v_mul_hi_u32 v3, s7, v1
	s_add_u32 s0, s0, 8
	s_addc_u32 s1, s1, 0
	s_add_i32 s4, s4, -1
	v_add_u32_e32 v3, v1, v3
	v_lshrrev_b32_e32 v4, s5, v3
	v_mul_lo_u32 v3, v4, s6
	s_cmp_lg_u32 s4, 0
	v_sub_u32_e32 v3, v1, v3
	v_mad_u64_u32 v[0:1], s[6:7], v3, s8, v[0:1]
	v_mad_u64_u32 v[2:3], s[6:7], v3, s9, v[2:3]
	v_mov_b32_e32 v1, v4
	s_cbranch_scc1 .LBB304_70
.LBB304_71:
	s_cbranch_execnz .LBB304_74
.LBB304_72:
	v_mul_hi_u32 v0, s21, v7
	s_andn2_b64 vcc, exec, s[46:47]
	v_add_u32_e32 v0, v7, v0
	v_lshrrev_b32_e32 v1, s22, v0
	v_mul_lo_u32 v0, v1, s20
	v_sub_u32_e32 v2, v7, v0
	s_waitcnt lgkmcnt(0)
	v_mul_lo_u32 v0, v2, s24
	v_mul_lo_u32 v2, v2, s25
	s_cbranch_vccnz .LBB304_74
; %bb.73:
	v_mul_hi_u32 v3, s44, v1
	v_add_u32_e32 v3, v1, v3
	v_lshrrev_b32_e32 v3, s45, v3
	v_mul_lo_u32 v3, v3, s23
	v_sub_u32_e32 v3, v1, v3
	v_mad_u64_u32 v[0:1], s[0:1], v3, s26, v[0:1]
	v_mad_u64_u32 v[2:3], s[0:1], v3, s27, v[2:3]
.LBB304_74:
	s_waitcnt lgkmcnt(0)
	global_load_ubyte v1, v2, s[18:19]
	s_andn2_b64 vcc, exec, s[42:43]
	s_cbranch_vccnz .LBB304_79
; %bb.75:
	s_and_b32 s4, s41, 0xff
	s_cmpk_lt_i32 s4, 0x80
	s_cbranch_scc1 .LBB304_80
; %bb.76:
	s_and_b32 s0, 0xffff, s4
	s_cmpk_eq_i32 s0, 0x80
	s_mov_b64 s[0:1], -1
	s_cbranch_scc0 .LBB304_78
; %bb.77:
	s_mov_b64 s[0:1], 0
.LBB304_78:
	s_mov_b32 s6, 0x7f800001
	s_branch .LBB304_82
.LBB304_79:
                                        ; implicit-def: $sgpr0_sgpr1
	s_cbranch_execnz .LBB304_89
	s_branch .LBB304_106
.LBB304_80:
	s_mov_b64 s[0:1], 0
	s_mov_b32 s6, 0x7f800001
	s_cbranch_execz .LBB304_82
; %bb.81:
	s_and_b32 s0, 0xffff, s4
	s_cmp_lg_u32 s0, 0
	s_mov_b32 s6, 0
	s_cselect_b64 s[0:1], -1, 0
.LBB304_82:
	s_andn2_b64 vcc, exec, s[0:1]
	s_cbranch_vccnz .LBB304_84
; %bb.83:
	s_mov_b32 s6, s40
.LBB304_84:
	s_movk_i32 s0, 0x7f
	s_waitcnt vmcnt(0)
	v_cmp_gt_i16_sdwa s[2:3], v1, s0 src0_sel:BYTE_0 src1_sel:DWORD
	s_mov_b64 s[0:1], 0
	s_and_saveexec_b64 s[4:5], s[2:3]
	s_xor_b64 s[2:3], exec, s[4:5]
	s_cbranch_execnz .LBB304_93
; %bb.85:
	s_or_saveexec_b64 s[2:3], s[2:3]
	v_mov_b32_e32 v2, 0x7f800001
	s_xor_b64 exec, exec, s[2:3]
	s_cbranch_execnz .LBB304_96
.LBB304_86:
	s_or_b64 exec, exec, s[2:3]
	s_and_saveexec_b64 s[2:3], s[0:1]
	s_cbranch_execz .LBB304_88
.LBB304_87:
	v_and_b32_e32 v4, 7, v1
	v_ffbh_u32_e32 v5, v4
	v_min_u32_e32 v5, 32, v5
	v_lshrrev_b16_e32 v3, 3, v1
	v_subrev_u32_e32 v6, 28, v5
	v_and_b32_e32 v3, 15, v3
	v_lshlrev_b32_e32 v6, v6, v1
	v_sub_u32_e32 v5, 29, v5
	v_and_b32_e32 v6, 7, v6
	v_cmp_eq_u32_e32 vcc, 0, v3
	v_lshlrev_b32_e32 v2, 24, v1
	v_cndmask_b32_e32 v3, v3, v5, vcc
	v_cndmask_b32_e32 v4, v4, v6, vcc
	v_mov_b32_e32 v5, 0x3b800000
	v_lshlrev_b32_e32 v4, 20, v4
	v_and_b32_e32 v2, 0x80000000, v2
	v_lshl_add_u32 v3, v3, 23, v5
	v_or3_b32 v2, v2, v3, v4
.LBB304_88:
	s_or_b64 exec, exec, s[2:3]
	v_cmp_neq_f32_e64 s[0:1], s6, v2
	s_branch .LBB304_106
.LBB304_89:
	s_and_b32 s4, s41, 0xff
	s_cmpk_lt_i32 s4, 0x80
	s_cbranch_scc1 .LBB304_97
; %bb.90:
	s_and_b32 s0, 0xffff, s4
	s_cmpk_eq_i32 s0, 0x80
	s_mov_b64 s[0:1], -1
	s_cbranch_scc0 .LBB304_92
; %bb.91:
	s_mov_b64 s[0:1], 0
.LBB304_92:
	s_mov_b32 s6, 0x7f800001
	s_branch .LBB304_99
.LBB304_93:
	s_movk_i32 s0, 0x80
	v_cmp_eq_u16_sdwa s[8:9], v1, s0 src0_sel:BYTE_0 src1_sel:DWORD
	s_mov_b64 s[0:1], -1
	s_and_saveexec_b64 s[4:5], s[8:9]
; %bb.94:
	s_xor_b64 s[0:1], exec, -1
; %bb.95:
	s_or_b64 exec, exec, s[4:5]
	s_and_b64 s[0:1], s[0:1], exec
	s_or_saveexec_b64 s[2:3], s[2:3]
	v_mov_b32_e32 v2, 0x7f800001
	s_xor_b64 exec, exec, s[2:3]
	s_cbranch_execz .LBB304_86
.LBB304_96:
	v_mov_b32_e32 v2, 0
	v_cmp_ne_u16_sdwa s[4:5], v1, v2 src0_sel:BYTE_0 src1_sel:DWORD
	s_andn2_b64 s[0:1], s[0:1], exec
	s_and_b64 s[4:5], s[4:5], exec
	s_or_b64 s[0:1], s[0:1], s[4:5]
	s_or_b64 exec, exec, s[2:3]
	s_and_saveexec_b64 s[2:3], s[0:1]
	s_cbranch_execnz .LBB304_87
	s_branch .LBB304_88
.LBB304_97:
	s_mov_b64 s[0:1], 0
	s_mov_b32 s6, 0x7f800001
	s_cbranch_execz .LBB304_99
; %bb.98:
	s_and_b32 s0, 0xffff, s4
	s_cmp_lg_u32 s0, 0
	s_mov_b32 s6, 0
	s_cselect_b64 s[0:1], -1, 0
.LBB304_99:
	s_andn2_b64 vcc, exec, s[0:1]
	s_cbranch_vccnz .LBB304_101
; %bb.100:
	s_mov_b32 s6, s40
.LBB304_101:
	s_movk_i32 s0, 0x7f
	s_waitcnt vmcnt(0)
	v_cmp_gt_i16_sdwa s[2:3], v1, s0 src0_sel:BYTE_0 src1_sel:DWORD
	s_mov_b64 s[0:1], 0
	s_and_saveexec_b64 s[4:5], s[2:3]
	s_xor_b64 s[2:3], exec, s[4:5]
	s_cbranch_execnz .LBB304_113
; %bb.102:
	s_or_saveexec_b64 s[2:3], s[2:3]
	v_mov_b32_e32 v2, 0x7f800001
	s_xor_b64 exec, exec, s[2:3]
	s_cbranch_execnz .LBB304_116
.LBB304_103:
	s_or_b64 exec, exec, s[2:3]
	s_and_saveexec_b64 s[2:3], s[0:1]
	s_cbranch_execz .LBB304_105
.LBB304_104:
	v_and_b32_e32 v4, 7, v1
	v_ffbh_u32_e32 v5, v4
	v_min_u32_e32 v5, 32, v5
	v_lshrrev_b16_e32 v3, 3, v1
	v_subrev_u32_e32 v6, 28, v5
	v_lshlrev_b32_e32 v2, 24, v1
	v_and_b32_e32 v3, 15, v3
	v_lshlrev_b32_e32 v1, v6, v1
	v_sub_u32_e32 v5, 29, v5
	v_and_b32_e32 v1, 7, v1
	v_cmp_eq_u32_e32 vcc, 0, v3
	v_cndmask_b32_e32 v3, v3, v5, vcc
	v_cndmask_b32_e32 v1, v4, v1, vcc
	v_mov_b32_e32 v4, 0x3b800000
	v_lshlrev_b32_e32 v1, 20, v1
	v_and_b32_e32 v2, 0x80000000, v2
	v_lshl_add_u32 v3, v3, 23, v4
	v_or3_b32 v2, v2, v3, v1
.LBB304_105:
	s_or_b64 exec, exec, s[2:3]
	v_cmp_eq_f32_e64 s[0:1], s6, v2
.LBB304_106:
	s_waitcnt vmcnt(0)
	v_cndmask_b32_e64 v1, 0, 1, s[0:1]
	v_add_u32_e32 v7, 0x80, v7
	global_store_byte v0, v1, s[16:17]
	s_or_b64 exec, exec, s[52:53]
	v_cmp_gt_i32_e32 vcc, s59, v7
	s_and_saveexec_b64 s[52:53], vcc
	s_cbranch_execz .LBB304_4
.LBB304_107:
	s_andn2_b64 vcc, exec, s[36:37]
	s_cbranch_vccnz .LBB304_112
; %bb.108:
	s_andn2_b64 vcc, exec, s[50:51]
	s_cbranch_vccnz .LBB304_117
; %bb.109:
	s_add_i32 s62, s60, 1
	s_cmp_eq_u32 s58, 2
	s_cbranch_scc1 .LBB304_118
; %bb.110:
	s_and_b32 s61, s62, 28
	v_mov_b32_e32 v2, 0
	s_mov_b32 s63, 0
	s_mov_b64 s[54:55], s[34:35]
	s_mov_b64 s[56:57], s[48:49]
	v_mov_b32_e32 v0, 0
	v_mov_b32_e32 v1, v7
.LBB304_111:                            ; =>This Inner Loop Header: Depth=1
	s_load_dwordx8 s[8:15], s[54:55], 0x4
	s_load_dwordx4 s[28:31], s[54:55], 0x24
	s_load_dwordx8 s[0:7], s[56:57], 0x0
	s_add_u32 s54, s54, 48
	s_addc_u32 s55, s55, 0
	s_waitcnt lgkmcnt(0)
	v_mul_hi_u32 v3, s9, v1
	s_add_i32 s63, s63, 4
	s_add_u32 s56, s56, 32
	s_addc_u32 s57, s57, 0
	v_add_u32_e32 v3, v1, v3
	v_lshrrev_b32_e32 v3, s10, v3
	v_mul_lo_u32 v4, v3, s8
	v_mul_hi_u32 v5, s12, v3
	s_cmp_eq_u32 s61, s63
	v_sub_u32_e32 v1, v1, v4
	v_add_u32_e32 v4, v3, v5
	v_mul_lo_u32 v5, v1, s0
	v_mul_lo_u32 v6, v1, s1
	v_lshrrev_b32_e32 v1, s13, v4
	v_mul_lo_u32 v4, v1, s11
	v_mul_hi_u32 v8, s15, v1
	v_sub_u32_e32 v3, v3, v4
	v_add_u32_e32 v4, v1, v8
	v_lshrrev_b32_e32 v4, s28, v4
	v_mul_hi_u32 v9, s30, v4
	v_mul_lo_u32 v10, v4, s14
	v_mul_lo_u32 v8, v3, s2
	;; [unrolled: 1-line block ×3, first 2 shown]
	v_sub_u32_e32 v10, v1, v10
	v_add_u32_e32 v1, v4, v9
	v_lshrrev_b32_e32 v1, s31, v1
	v_mul_lo_u32 v9, v1, s29
	v_mul_lo_u32 v11, v10, s4
	;; [unrolled: 1-line block ×3, first 2 shown]
	v_add3_u32 v0, v5, v0, v8
	v_sub_u32_e32 v4, v4, v9
	v_mul_lo_u32 v9, v4, s6
	v_mul_lo_u32 v4, v4, s7
	v_add3_u32 v2, v6, v2, v3
	v_add3_u32 v0, v11, v0, v9
	;; [unrolled: 1-line block ×3, first 2 shown]
	s_cbranch_scc0 .LBB304_111
	s_branch .LBB304_119
.LBB304_112:
                                        ; implicit-def: $vgpr0
                                        ; implicit-def: $vgpr2
	s_branch .LBB304_123
.LBB304_113:
	s_movk_i32 s0, 0x80
	v_cmp_eq_u16_sdwa s[8:9], v1, s0 src0_sel:BYTE_0 src1_sel:DWORD
	s_mov_b64 s[0:1], -1
	s_and_saveexec_b64 s[4:5], s[8:9]
; %bb.114:
	s_xor_b64 s[0:1], exec, -1
; %bb.115:
	s_or_b64 exec, exec, s[4:5]
	s_and_b64 s[0:1], s[0:1], exec
	s_or_saveexec_b64 s[2:3], s[2:3]
	v_mov_b32_e32 v2, 0x7f800001
	s_xor_b64 exec, exec, s[2:3]
	s_cbranch_execz .LBB304_103
.LBB304_116:
	v_mov_b32_e32 v2, 0
	v_cmp_ne_u16_sdwa s[4:5], v1, v2 src0_sel:BYTE_0 src1_sel:DWORD
	s_andn2_b64 s[0:1], s[0:1], exec
	s_and_b64 s[4:5], s[4:5], exec
	s_or_b64 s[0:1], s[0:1], s[4:5]
	s_or_b64 exec, exec, s[2:3]
	s_and_saveexec_b64 s[2:3], s[0:1]
	s_cbranch_execnz .LBB304_104
	s_branch .LBB304_105
.LBB304_117:
	v_mov_b32_e32 v0, 0
	v_mov_b32_e32 v2, 0
	s_branch .LBB304_122
.LBB304_118:
	s_mov_b32 s61, 0
	v_mov_b32_e32 v0, 0
	v_mov_b32_e32 v2, 0
	;; [unrolled: 1-line block ×3, first 2 shown]
.LBB304_119:
	s_and_b32 s4, s62, 3
	s_cmp_eq_u32 s4, 0
	s_cbranch_scc1 .LBB304_122
; %bb.120:
	s_lshl_b32 s0, s61, 3
	s_add_u32 s0, s34, s0
	s_addc_u32 s1, s35, 0
	s_add_u32 s0, s0, 0xc4
	s_addc_u32 s1, s1, 0
	s_mul_i32 s2, s61, 12
	s_add_u32 s2, s34, s2
	s_addc_u32 s3, s35, 0
.LBB304_121:                            ; =>This Inner Loop Header: Depth=1
	s_load_dwordx2 s[6:7], s[2:3], 0x4
	s_load_dword s5, s[2:3], 0xc
	s_load_dwordx2 s[8:9], s[0:1], 0x0
	s_add_u32 s2, s2, 12
	s_addc_u32 s3, s3, 0
	s_waitcnt lgkmcnt(0)
	v_mul_hi_u32 v3, s7, v1
	s_add_u32 s0, s0, 8
	s_addc_u32 s1, s1, 0
	s_add_i32 s4, s4, -1
	v_add_u32_e32 v3, v1, v3
	v_lshrrev_b32_e32 v4, s5, v3
	v_mul_lo_u32 v3, v4, s6
	s_cmp_lg_u32 s4, 0
	v_sub_u32_e32 v3, v1, v3
	v_mad_u64_u32 v[0:1], s[6:7], v3, s8, v[0:1]
	v_mad_u64_u32 v[2:3], s[6:7], v3, s9, v[2:3]
	v_mov_b32_e32 v1, v4
	s_cbranch_scc1 .LBB304_121
.LBB304_122:
	s_cbranch_execnz .LBB304_125
.LBB304_123:
	v_mul_hi_u32 v0, s21, v7
	s_andn2_b64 vcc, exec, s[46:47]
	v_add_u32_e32 v0, v7, v0
	v_lshrrev_b32_e32 v1, s22, v0
	v_mul_lo_u32 v0, v1, s20
	v_sub_u32_e32 v2, v7, v0
	s_waitcnt lgkmcnt(0)
	v_mul_lo_u32 v0, v2, s24
	v_mul_lo_u32 v2, v2, s25
	s_cbranch_vccnz .LBB304_125
; %bb.124:
	v_mul_hi_u32 v3, s44, v1
	v_add_u32_e32 v3, v1, v3
	v_lshrrev_b32_e32 v3, s45, v3
	v_mul_lo_u32 v3, v3, s23
	v_sub_u32_e32 v3, v1, v3
	v_mad_u64_u32 v[0:1], s[0:1], v3, s26, v[0:1]
	v_mad_u64_u32 v[2:3], s[0:1], v3, s27, v[2:3]
.LBB304_125:
	s_waitcnt lgkmcnt(0)
	global_load_ubyte v1, v2, s[18:19]
	s_andn2_b64 vcc, exec, s[42:43]
	s_cbranch_vccnz .LBB304_130
; %bb.126:
	s_and_b32 s4, s41, 0xff
	s_cmpk_lt_i32 s4, 0x80
	s_cbranch_scc1 .LBB304_131
; %bb.127:
	s_and_b32 s0, 0xffff, s4
	s_cmpk_eq_i32 s0, 0x80
	s_mov_b64 s[0:1], -1
	s_cbranch_scc0 .LBB304_129
; %bb.128:
	s_mov_b64 s[0:1], 0
.LBB304_129:
	s_mov_b32 s6, 0x7f800001
	s_branch .LBB304_133
.LBB304_130:
                                        ; implicit-def: $sgpr0_sgpr1
	s_cbranch_execnz .LBB304_140
	s_branch .LBB304_157
.LBB304_131:
	s_mov_b64 s[0:1], 0
	s_mov_b32 s6, 0x7f800001
	s_cbranch_execz .LBB304_133
; %bb.132:
	s_and_b32 s0, 0xffff, s4
	s_cmp_lg_u32 s0, 0
	s_mov_b32 s6, 0
	s_cselect_b64 s[0:1], -1, 0
.LBB304_133:
	s_andn2_b64 vcc, exec, s[0:1]
	s_cbranch_vccnz .LBB304_135
; %bb.134:
	s_mov_b32 s6, s40
.LBB304_135:
	s_movk_i32 s0, 0x7f
	s_waitcnt vmcnt(0)
	v_cmp_gt_i16_sdwa s[2:3], v1, s0 src0_sel:BYTE_0 src1_sel:DWORD
	s_mov_b64 s[0:1], 0
	s_and_saveexec_b64 s[4:5], s[2:3]
	s_xor_b64 s[2:3], exec, s[4:5]
	s_cbranch_execnz .LBB304_144
; %bb.136:
	s_or_saveexec_b64 s[2:3], s[2:3]
	v_mov_b32_e32 v2, 0x7f800001
	s_xor_b64 exec, exec, s[2:3]
	s_cbranch_execnz .LBB304_147
.LBB304_137:
	s_or_b64 exec, exec, s[2:3]
	s_and_saveexec_b64 s[2:3], s[0:1]
	s_cbranch_execz .LBB304_139
.LBB304_138:
	v_and_b32_e32 v4, 7, v1
	v_ffbh_u32_e32 v5, v4
	v_min_u32_e32 v5, 32, v5
	v_lshrrev_b16_e32 v3, 3, v1
	v_subrev_u32_e32 v6, 28, v5
	v_and_b32_e32 v3, 15, v3
	v_lshlrev_b32_e32 v6, v6, v1
	v_sub_u32_e32 v5, 29, v5
	v_and_b32_e32 v6, 7, v6
	v_cmp_eq_u32_e32 vcc, 0, v3
	v_lshlrev_b32_e32 v2, 24, v1
	v_cndmask_b32_e32 v3, v3, v5, vcc
	v_cndmask_b32_e32 v4, v4, v6, vcc
	v_mov_b32_e32 v5, 0x3b800000
	v_lshlrev_b32_e32 v4, 20, v4
	v_and_b32_e32 v2, 0x80000000, v2
	v_lshl_add_u32 v3, v3, 23, v5
	v_or3_b32 v2, v2, v3, v4
.LBB304_139:
	s_or_b64 exec, exec, s[2:3]
	v_cmp_neq_f32_e64 s[0:1], s6, v2
	s_branch .LBB304_157
.LBB304_140:
	s_and_b32 s4, s41, 0xff
	s_cmpk_lt_i32 s4, 0x80
	s_cbranch_scc1 .LBB304_148
; %bb.141:
	s_and_b32 s0, 0xffff, s4
	s_cmpk_eq_i32 s0, 0x80
	s_mov_b64 s[0:1], -1
	s_cbranch_scc0 .LBB304_143
; %bb.142:
	s_mov_b64 s[0:1], 0
.LBB304_143:
	s_mov_b32 s6, 0x7f800001
	s_branch .LBB304_150
.LBB304_144:
	s_movk_i32 s0, 0x80
	v_cmp_eq_u16_sdwa s[8:9], v1, s0 src0_sel:BYTE_0 src1_sel:DWORD
	s_mov_b64 s[0:1], -1
	s_and_saveexec_b64 s[4:5], s[8:9]
; %bb.145:
	s_xor_b64 s[0:1], exec, -1
; %bb.146:
	s_or_b64 exec, exec, s[4:5]
	s_and_b64 s[0:1], s[0:1], exec
	s_or_saveexec_b64 s[2:3], s[2:3]
	v_mov_b32_e32 v2, 0x7f800001
	s_xor_b64 exec, exec, s[2:3]
	s_cbranch_execz .LBB304_137
.LBB304_147:
	v_mov_b32_e32 v2, 0
	v_cmp_ne_u16_sdwa s[4:5], v1, v2 src0_sel:BYTE_0 src1_sel:DWORD
	s_andn2_b64 s[0:1], s[0:1], exec
	s_and_b64 s[4:5], s[4:5], exec
	s_or_b64 s[0:1], s[0:1], s[4:5]
	s_or_b64 exec, exec, s[2:3]
	s_and_saveexec_b64 s[2:3], s[0:1]
	s_cbranch_execnz .LBB304_138
	s_branch .LBB304_139
.LBB304_148:
	s_mov_b64 s[0:1], 0
	s_mov_b32 s6, 0x7f800001
	s_cbranch_execz .LBB304_150
; %bb.149:
	s_and_b32 s0, 0xffff, s4
	s_cmp_lg_u32 s0, 0
	s_mov_b32 s6, 0
	s_cselect_b64 s[0:1], -1, 0
.LBB304_150:
	s_andn2_b64 vcc, exec, s[0:1]
	s_cbranch_vccnz .LBB304_152
; %bb.151:
	s_mov_b32 s6, s40
.LBB304_152:
	s_movk_i32 s0, 0x7f
	s_waitcnt vmcnt(0)
	v_cmp_gt_i16_sdwa s[2:3], v1, s0 src0_sel:BYTE_0 src1_sel:DWORD
	s_mov_b64 s[0:1], 0
	s_and_saveexec_b64 s[4:5], s[2:3]
	s_xor_b64 s[2:3], exec, s[4:5]
	s_cbranch_execnz .LBB304_164
; %bb.153:
	s_or_saveexec_b64 s[2:3], s[2:3]
	v_mov_b32_e32 v2, 0x7f800001
	s_xor_b64 exec, exec, s[2:3]
	s_cbranch_execnz .LBB304_167
.LBB304_154:
	s_or_b64 exec, exec, s[2:3]
	s_and_saveexec_b64 s[2:3], s[0:1]
	s_cbranch_execz .LBB304_156
.LBB304_155:
	v_and_b32_e32 v4, 7, v1
	v_ffbh_u32_e32 v5, v4
	v_min_u32_e32 v5, 32, v5
	v_lshrrev_b16_e32 v3, 3, v1
	v_subrev_u32_e32 v6, 28, v5
	v_lshlrev_b32_e32 v2, 24, v1
	v_and_b32_e32 v3, 15, v3
	v_lshlrev_b32_e32 v1, v6, v1
	v_sub_u32_e32 v5, 29, v5
	v_and_b32_e32 v1, 7, v1
	v_cmp_eq_u32_e32 vcc, 0, v3
	v_cndmask_b32_e32 v3, v3, v5, vcc
	v_cndmask_b32_e32 v1, v4, v1, vcc
	v_mov_b32_e32 v4, 0x3b800000
	v_lshlrev_b32_e32 v1, 20, v1
	v_and_b32_e32 v2, 0x80000000, v2
	v_lshl_add_u32 v3, v3, 23, v4
	v_or3_b32 v2, v2, v3, v1
.LBB304_156:
	s_or_b64 exec, exec, s[2:3]
	v_cmp_eq_f32_e64 s[0:1], s6, v2
.LBB304_157:
	s_waitcnt vmcnt(0)
	v_cndmask_b32_e64 v1, 0, 1, s[0:1]
	v_add_u32_e32 v7, 0x80, v7
	global_store_byte v0, v1, s[16:17]
	s_or_b64 exec, exec, s[52:53]
	v_cmp_gt_i32_e32 vcc, s59, v7
	s_and_saveexec_b64 s[52:53], vcc
	s_cbranch_execz .LBB304_5
.LBB304_158:
	s_andn2_b64 vcc, exec, s[36:37]
	s_cbranch_vccnz .LBB304_163
; %bb.159:
	s_andn2_b64 vcc, exec, s[50:51]
	s_cbranch_vccnz .LBB304_168
; %bb.160:
	s_add_i32 s62, s60, 1
	s_cmp_eq_u32 s58, 2
	s_cbranch_scc1 .LBB304_169
; %bb.161:
	s_and_b32 s61, s62, 28
	v_mov_b32_e32 v2, 0
	s_mov_b32 s63, 0
	s_mov_b64 s[54:55], s[34:35]
	s_mov_b64 s[56:57], s[48:49]
	v_mov_b32_e32 v0, 0
	v_mov_b32_e32 v1, v7
.LBB304_162:                            ; =>This Inner Loop Header: Depth=1
	s_load_dwordx8 s[8:15], s[54:55], 0x4
	s_load_dwordx4 s[28:31], s[54:55], 0x24
	s_load_dwordx8 s[0:7], s[56:57], 0x0
	s_add_u32 s54, s54, 48
	s_addc_u32 s55, s55, 0
	s_waitcnt lgkmcnt(0)
	v_mul_hi_u32 v3, s9, v1
	s_add_i32 s63, s63, 4
	s_add_u32 s56, s56, 32
	s_addc_u32 s57, s57, 0
	v_add_u32_e32 v3, v1, v3
	v_lshrrev_b32_e32 v3, s10, v3
	v_mul_lo_u32 v4, v3, s8
	v_mul_hi_u32 v5, s12, v3
	s_cmp_eq_u32 s61, s63
	v_sub_u32_e32 v1, v1, v4
	v_add_u32_e32 v4, v3, v5
	v_mul_lo_u32 v5, v1, s0
	v_mul_lo_u32 v6, v1, s1
	v_lshrrev_b32_e32 v1, s13, v4
	v_mul_lo_u32 v4, v1, s11
	v_mul_hi_u32 v8, s15, v1
	v_sub_u32_e32 v3, v3, v4
	v_add_u32_e32 v4, v1, v8
	v_lshrrev_b32_e32 v4, s28, v4
	v_mul_hi_u32 v9, s30, v4
	v_mul_lo_u32 v10, v4, s14
	v_mul_lo_u32 v8, v3, s2
	;; [unrolled: 1-line block ×3, first 2 shown]
	v_sub_u32_e32 v10, v1, v10
	v_add_u32_e32 v1, v4, v9
	v_lshrrev_b32_e32 v1, s31, v1
	v_mul_lo_u32 v9, v1, s29
	v_mul_lo_u32 v11, v10, s4
	;; [unrolled: 1-line block ×3, first 2 shown]
	v_add3_u32 v0, v5, v0, v8
	v_sub_u32_e32 v4, v4, v9
	v_mul_lo_u32 v9, v4, s6
	v_mul_lo_u32 v4, v4, s7
	v_add3_u32 v2, v6, v2, v3
	v_add3_u32 v0, v11, v0, v9
	;; [unrolled: 1-line block ×3, first 2 shown]
	s_cbranch_scc0 .LBB304_162
	s_branch .LBB304_170
.LBB304_163:
                                        ; implicit-def: $vgpr0
                                        ; implicit-def: $vgpr2
	s_branch .LBB304_174
.LBB304_164:
	s_movk_i32 s0, 0x80
	v_cmp_eq_u16_sdwa s[8:9], v1, s0 src0_sel:BYTE_0 src1_sel:DWORD
	s_mov_b64 s[0:1], -1
	s_and_saveexec_b64 s[4:5], s[8:9]
; %bb.165:
	s_xor_b64 s[0:1], exec, -1
; %bb.166:
	s_or_b64 exec, exec, s[4:5]
	s_and_b64 s[0:1], s[0:1], exec
	s_or_saveexec_b64 s[2:3], s[2:3]
	v_mov_b32_e32 v2, 0x7f800001
	s_xor_b64 exec, exec, s[2:3]
	s_cbranch_execz .LBB304_154
.LBB304_167:
	v_mov_b32_e32 v2, 0
	v_cmp_ne_u16_sdwa s[4:5], v1, v2 src0_sel:BYTE_0 src1_sel:DWORD
	s_andn2_b64 s[0:1], s[0:1], exec
	s_and_b64 s[4:5], s[4:5], exec
	s_or_b64 s[0:1], s[0:1], s[4:5]
	s_or_b64 exec, exec, s[2:3]
	s_and_saveexec_b64 s[2:3], s[0:1]
	s_cbranch_execnz .LBB304_155
	s_branch .LBB304_156
.LBB304_168:
	v_mov_b32_e32 v0, 0
	v_mov_b32_e32 v2, 0
	s_branch .LBB304_173
.LBB304_169:
	s_mov_b32 s61, 0
	v_mov_b32_e32 v0, 0
	v_mov_b32_e32 v2, 0
	;; [unrolled: 1-line block ×3, first 2 shown]
.LBB304_170:
	s_and_b32 s4, s62, 3
	s_cmp_eq_u32 s4, 0
	s_cbranch_scc1 .LBB304_173
; %bb.171:
	s_lshl_b32 s0, s61, 3
	s_add_u32 s0, s34, s0
	s_addc_u32 s1, s35, 0
	s_add_u32 s0, s0, 0xc4
	s_addc_u32 s1, s1, 0
	s_mul_i32 s2, s61, 12
	s_add_u32 s2, s34, s2
	s_addc_u32 s3, s35, 0
.LBB304_172:                            ; =>This Inner Loop Header: Depth=1
	s_load_dwordx2 s[6:7], s[2:3], 0x4
	s_load_dword s5, s[2:3], 0xc
	s_load_dwordx2 s[8:9], s[0:1], 0x0
	s_add_u32 s2, s2, 12
	s_addc_u32 s3, s3, 0
	s_waitcnt lgkmcnt(0)
	v_mul_hi_u32 v3, s7, v1
	s_add_u32 s0, s0, 8
	s_addc_u32 s1, s1, 0
	s_add_i32 s4, s4, -1
	v_add_u32_e32 v3, v1, v3
	v_lshrrev_b32_e32 v4, s5, v3
	v_mul_lo_u32 v3, v4, s6
	s_cmp_lg_u32 s4, 0
	v_sub_u32_e32 v3, v1, v3
	v_mad_u64_u32 v[0:1], s[6:7], v3, s8, v[0:1]
	v_mad_u64_u32 v[2:3], s[6:7], v3, s9, v[2:3]
	v_mov_b32_e32 v1, v4
	s_cbranch_scc1 .LBB304_172
.LBB304_173:
	s_cbranch_execnz .LBB304_176
.LBB304_174:
	v_mul_hi_u32 v0, s21, v7
	s_andn2_b64 vcc, exec, s[46:47]
	v_add_u32_e32 v0, v7, v0
	v_lshrrev_b32_e32 v1, s22, v0
	v_mul_lo_u32 v0, v1, s20
	v_sub_u32_e32 v2, v7, v0
	s_waitcnt lgkmcnt(0)
	v_mul_lo_u32 v0, v2, s24
	v_mul_lo_u32 v2, v2, s25
	s_cbranch_vccnz .LBB304_176
; %bb.175:
	v_mul_hi_u32 v3, s44, v1
	v_add_u32_e32 v3, v1, v3
	v_lshrrev_b32_e32 v3, s45, v3
	v_mul_lo_u32 v3, v3, s23
	v_sub_u32_e32 v3, v1, v3
	v_mad_u64_u32 v[0:1], s[0:1], v3, s26, v[0:1]
	v_mad_u64_u32 v[2:3], s[0:1], v3, s27, v[2:3]
.LBB304_176:
	s_waitcnt lgkmcnt(0)
	global_load_ubyte v1, v2, s[18:19]
	s_andn2_b64 vcc, exec, s[42:43]
	s_cbranch_vccnz .LBB304_181
; %bb.177:
	s_and_b32 s4, s41, 0xff
	s_cmpk_lt_i32 s4, 0x80
	s_cbranch_scc1 .LBB304_182
; %bb.178:
	s_and_b32 s0, 0xffff, s4
	s_cmpk_eq_i32 s0, 0x80
	s_mov_b64 s[0:1], -1
	s_cbranch_scc0 .LBB304_180
; %bb.179:
	s_mov_b64 s[0:1], 0
.LBB304_180:
	s_mov_b32 s6, 0x7f800001
	s_branch .LBB304_184
.LBB304_181:
                                        ; implicit-def: $sgpr0_sgpr1
	s_cbranch_execnz .LBB304_191
	s_branch .LBB304_208
.LBB304_182:
	s_mov_b64 s[0:1], 0
	s_mov_b32 s6, 0x7f800001
	s_cbranch_execz .LBB304_184
; %bb.183:
	s_and_b32 s0, 0xffff, s4
	s_cmp_lg_u32 s0, 0
	s_mov_b32 s6, 0
	s_cselect_b64 s[0:1], -1, 0
.LBB304_184:
	s_andn2_b64 vcc, exec, s[0:1]
	s_cbranch_vccnz .LBB304_186
; %bb.185:
	s_mov_b32 s6, s40
.LBB304_186:
	s_movk_i32 s0, 0x7f
	s_waitcnt vmcnt(0)
	v_cmp_gt_i16_sdwa s[2:3], v1, s0 src0_sel:BYTE_0 src1_sel:DWORD
	s_mov_b64 s[0:1], 0
	s_and_saveexec_b64 s[4:5], s[2:3]
	s_xor_b64 s[2:3], exec, s[4:5]
	s_cbranch_execnz .LBB304_195
; %bb.187:
	s_or_saveexec_b64 s[2:3], s[2:3]
	v_mov_b32_e32 v2, 0x7f800001
	s_xor_b64 exec, exec, s[2:3]
	s_cbranch_execnz .LBB304_198
.LBB304_188:
	s_or_b64 exec, exec, s[2:3]
	s_and_saveexec_b64 s[2:3], s[0:1]
	s_cbranch_execz .LBB304_190
.LBB304_189:
	v_and_b32_e32 v4, 7, v1
	v_ffbh_u32_e32 v5, v4
	v_min_u32_e32 v5, 32, v5
	v_lshrrev_b16_e32 v3, 3, v1
	v_subrev_u32_e32 v6, 28, v5
	v_and_b32_e32 v3, 15, v3
	v_lshlrev_b32_e32 v6, v6, v1
	v_sub_u32_e32 v5, 29, v5
	v_and_b32_e32 v6, 7, v6
	v_cmp_eq_u32_e32 vcc, 0, v3
	v_lshlrev_b32_e32 v2, 24, v1
	v_cndmask_b32_e32 v3, v3, v5, vcc
	v_cndmask_b32_e32 v4, v4, v6, vcc
	v_mov_b32_e32 v5, 0x3b800000
	v_lshlrev_b32_e32 v4, 20, v4
	v_and_b32_e32 v2, 0x80000000, v2
	v_lshl_add_u32 v3, v3, 23, v5
	v_or3_b32 v2, v2, v3, v4
.LBB304_190:
	s_or_b64 exec, exec, s[2:3]
	v_cmp_neq_f32_e64 s[0:1], s6, v2
	s_branch .LBB304_208
.LBB304_191:
	s_and_b32 s4, s41, 0xff
	s_cmpk_lt_i32 s4, 0x80
	s_cbranch_scc1 .LBB304_199
; %bb.192:
	s_and_b32 s0, 0xffff, s4
	s_cmpk_eq_i32 s0, 0x80
	s_mov_b64 s[0:1], -1
	s_cbranch_scc0 .LBB304_194
; %bb.193:
	s_mov_b64 s[0:1], 0
.LBB304_194:
	s_mov_b32 s6, 0x7f800001
	s_branch .LBB304_201
.LBB304_195:
	s_movk_i32 s0, 0x80
	v_cmp_eq_u16_sdwa s[8:9], v1, s0 src0_sel:BYTE_0 src1_sel:DWORD
	s_mov_b64 s[0:1], -1
	s_and_saveexec_b64 s[4:5], s[8:9]
; %bb.196:
	s_xor_b64 s[0:1], exec, -1
; %bb.197:
	s_or_b64 exec, exec, s[4:5]
	s_and_b64 s[0:1], s[0:1], exec
	s_or_saveexec_b64 s[2:3], s[2:3]
	v_mov_b32_e32 v2, 0x7f800001
	s_xor_b64 exec, exec, s[2:3]
	s_cbranch_execz .LBB304_188
.LBB304_198:
	v_mov_b32_e32 v2, 0
	v_cmp_ne_u16_sdwa s[4:5], v1, v2 src0_sel:BYTE_0 src1_sel:DWORD
	s_andn2_b64 s[0:1], s[0:1], exec
	s_and_b64 s[4:5], s[4:5], exec
	s_or_b64 s[0:1], s[0:1], s[4:5]
	s_or_b64 exec, exec, s[2:3]
	s_and_saveexec_b64 s[2:3], s[0:1]
	s_cbranch_execnz .LBB304_189
	s_branch .LBB304_190
.LBB304_199:
	s_mov_b64 s[0:1], 0
	s_mov_b32 s6, 0x7f800001
	s_cbranch_execz .LBB304_201
; %bb.200:
	s_and_b32 s0, 0xffff, s4
	s_cmp_lg_u32 s0, 0
	s_mov_b32 s6, 0
	s_cselect_b64 s[0:1], -1, 0
.LBB304_201:
	s_andn2_b64 vcc, exec, s[0:1]
	s_cbranch_vccnz .LBB304_203
; %bb.202:
	s_mov_b32 s6, s40
.LBB304_203:
	s_movk_i32 s0, 0x7f
	s_waitcnt vmcnt(0)
	v_cmp_gt_i16_sdwa s[2:3], v1, s0 src0_sel:BYTE_0 src1_sel:DWORD
	s_mov_b64 s[0:1], 0
	s_and_saveexec_b64 s[4:5], s[2:3]
	s_xor_b64 s[2:3], exec, s[4:5]
	s_cbranch_execnz .LBB304_215
; %bb.204:
	s_or_saveexec_b64 s[2:3], s[2:3]
	v_mov_b32_e32 v2, 0x7f800001
	s_xor_b64 exec, exec, s[2:3]
	s_cbranch_execnz .LBB304_218
.LBB304_205:
	s_or_b64 exec, exec, s[2:3]
	s_and_saveexec_b64 s[2:3], s[0:1]
	s_cbranch_execz .LBB304_207
.LBB304_206:
	v_and_b32_e32 v4, 7, v1
	v_ffbh_u32_e32 v5, v4
	v_min_u32_e32 v5, 32, v5
	v_lshrrev_b16_e32 v3, 3, v1
	v_subrev_u32_e32 v6, 28, v5
	v_lshlrev_b32_e32 v2, 24, v1
	v_and_b32_e32 v3, 15, v3
	v_lshlrev_b32_e32 v1, v6, v1
	v_sub_u32_e32 v5, 29, v5
	v_and_b32_e32 v1, 7, v1
	v_cmp_eq_u32_e32 vcc, 0, v3
	v_cndmask_b32_e32 v3, v3, v5, vcc
	v_cndmask_b32_e32 v1, v4, v1, vcc
	v_mov_b32_e32 v4, 0x3b800000
	v_lshlrev_b32_e32 v1, 20, v1
	v_and_b32_e32 v2, 0x80000000, v2
	v_lshl_add_u32 v3, v3, 23, v4
	v_or3_b32 v2, v2, v3, v1
.LBB304_207:
	s_or_b64 exec, exec, s[2:3]
	v_cmp_eq_f32_e64 s[0:1], s6, v2
.LBB304_208:
	s_waitcnt vmcnt(0)
	v_cndmask_b32_e64 v1, 0, 1, s[0:1]
	v_add_u32_e32 v7, 0x80, v7
	global_store_byte v0, v1, s[16:17]
	s_or_b64 exec, exec, s[52:53]
	v_cmp_gt_i32_e32 vcc, s59, v7
	s_and_saveexec_b64 s[52:53], vcc
	s_cbranch_execz .LBB304_6
.LBB304_209:
	s_andn2_b64 vcc, exec, s[36:37]
	s_cbranch_vccnz .LBB304_214
; %bb.210:
	s_andn2_b64 vcc, exec, s[50:51]
	s_cbranch_vccnz .LBB304_219
; %bb.211:
	s_add_i32 s62, s60, 1
	s_cmp_eq_u32 s58, 2
	s_cbranch_scc1 .LBB304_220
; %bb.212:
	s_and_b32 s61, s62, 28
	v_mov_b32_e32 v2, 0
	s_mov_b32 s63, 0
	s_mov_b64 s[54:55], s[34:35]
	s_mov_b64 s[56:57], s[48:49]
	v_mov_b32_e32 v0, 0
	v_mov_b32_e32 v1, v7
.LBB304_213:                            ; =>This Inner Loop Header: Depth=1
	s_load_dwordx8 s[8:15], s[54:55], 0x4
	s_load_dwordx4 s[28:31], s[54:55], 0x24
	s_load_dwordx8 s[0:7], s[56:57], 0x0
	s_add_u32 s54, s54, 48
	s_addc_u32 s55, s55, 0
	s_waitcnt lgkmcnt(0)
	v_mul_hi_u32 v3, s9, v1
	s_add_i32 s63, s63, 4
	s_add_u32 s56, s56, 32
	s_addc_u32 s57, s57, 0
	v_add_u32_e32 v3, v1, v3
	v_lshrrev_b32_e32 v3, s10, v3
	v_mul_lo_u32 v4, v3, s8
	v_mul_hi_u32 v5, s12, v3
	s_cmp_eq_u32 s61, s63
	v_sub_u32_e32 v1, v1, v4
	v_add_u32_e32 v4, v3, v5
	v_mul_lo_u32 v5, v1, s0
	v_mul_lo_u32 v6, v1, s1
	v_lshrrev_b32_e32 v1, s13, v4
	v_mul_lo_u32 v4, v1, s11
	v_mul_hi_u32 v8, s15, v1
	v_sub_u32_e32 v3, v3, v4
	v_add_u32_e32 v4, v1, v8
	v_lshrrev_b32_e32 v4, s28, v4
	v_mul_hi_u32 v9, s30, v4
	v_mul_lo_u32 v10, v4, s14
	v_mul_lo_u32 v8, v3, s2
	;; [unrolled: 1-line block ×3, first 2 shown]
	v_sub_u32_e32 v10, v1, v10
	v_add_u32_e32 v1, v4, v9
	v_lshrrev_b32_e32 v1, s31, v1
	v_mul_lo_u32 v9, v1, s29
	v_mul_lo_u32 v11, v10, s4
	;; [unrolled: 1-line block ×3, first 2 shown]
	v_add3_u32 v0, v5, v0, v8
	v_sub_u32_e32 v4, v4, v9
	v_mul_lo_u32 v9, v4, s6
	v_mul_lo_u32 v4, v4, s7
	v_add3_u32 v2, v6, v2, v3
	v_add3_u32 v0, v11, v0, v9
	;; [unrolled: 1-line block ×3, first 2 shown]
	s_cbranch_scc0 .LBB304_213
	s_branch .LBB304_221
.LBB304_214:
                                        ; implicit-def: $vgpr0
                                        ; implicit-def: $vgpr2
	s_branch .LBB304_225
.LBB304_215:
	s_movk_i32 s0, 0x80
	v_cmp_eq_u16_sdwa s[8:9], v1, s0 src0_sel:BYTE_0 src1_sel:DWORD
	s_mov_b64 s[0:1], -1
	s_and_saveexec_b64 s[4:5], s[8:9]
; %bb.216:
	s_xor_b64 s[0:1], exec, -1
; %bb.217:
	s_or_b64 exec, exec, s[4:5]
	s_and_b64 s[0:1], s[0:1], exec
	s_or_saveexec_b64 s[2:3], s[2:3]
	v_mov_b32_e32 v2, 0x7f800001
	s_xor_b64 exec, exec, s[2:3]
	s_cbranch_execz .LBB304_205
.LBB304_218:
	v_mov_b32_e32 v2, 0
	v_cmp_ne_u16_sdwa s[4:5], v1, v2 src0_sel:BYTE_0 src1_sel:DWORD
	s_andn2_b64 s[0:1], s[0:1], exec
	s_and_b64 s[4:5], s[4:5], exec
	s_or_b64 s[0:1], s[0:1], s[4:5]
	s_or_b64 exec, exec, s[2:3]
	s_and_saveexec_b64 s[2:3], s[0:1]
	s_cbranch_execnz .LBB304_206
	s_branch .LBB304_207
.LBB304_219:
	v_mov_b32_e32 v0, 0
	v_mov_b32_e32 v2, 0
	s_branch .LBB304_224
.LBB304_220:
	s_mov_b32 s61, 0
	v_mov_b32_e32 v0, 0
	v_mov_b32_e32 v2, 0
	;; [unrolled: 1-line block ×3, first 2 shown]
.LBB304_221:
	s_and_b32 s4, s62, 3
	s_cmp_eq_u32 s4, 0
	s_cbranch_scc1 .LBB304_224
; %bb.222:
	s_lshl_b32 s0, s61, 3
	s_add_u32 s0, s34, s0
	s_addc_u32 s1, s35, 0
	s_add_u32 s0, s0, 0xc4
	s_addc_u32 s1, s1, 0
	s_mul_i32 s2, s61, 12
	s_add_u32 s2, s34, s2
	s_addc_u32 s3, s35, 0
.LBB304_223:                            ; =>This Inner Loop Header: Depth=1
	s_load_dwordx2 s[6:7], s[2:3], 0x4
	s_load_dword s5, s[2:3], 0xc
	s_load_dwordx2 s[8:9], s[0:1], 0x0
	s_add_u32 s2, s2, 12
	s_addc_u32 s3, s3, 0
	s_waitcnt lgkmcnt(0)
	v_mul_hi_u32 v3, s7, v1
	s_add_u32 s0, s0, 8
	s_addc_u32 s1, s1, 0
	s_add_i32 s4, s4, -1
	v_add_u32_e32 v3, v1, v3
	v_lshrrev_b32_e32 v4, s5, v3
	v_mul_lo_u32 v3, v4, s6
	s_cmp_lg_u32 s4, 0
	v_sub_u32_e32 v3, v1, v3
	v_mad_u64_u32 v[0:1], s[6:7], v3, s8, v[0:1]
	v_mad_u64_u32 v[2:3], s[6:7], v3, s9, v[2:3]
	v_mov_b32_e32 v1, v4
	s_cbranch_scc1 .LBB304_223
.LBB304_224:
	s_cbranch_execnz .LBB304_227
.LBB304_225:
	v_mul_hi_u32 v0, s21, v7
	s_andn2_b64 vcc, exec, s[46:47]
	v_add_u32_e32 v0, v7, v0
	v_lshrrev_b32_e32 v1, s22, v0
	v_mul_lo_u32 v0, v1, s20
	v_sub_u32_e32 v2, v7, v0
	s_waitcnt lgkmcnt(0)
	v_mul_lo_u32 v0, v2, s24
	v_mul_lo_u32 v2, v2, s25
	s_cbranch_vccnz .LBB304_227
; %bb.226:
	v_mul_hi_u32 v3, s44, v1
	v_add_u32_e32 v3, v1, v3
	v_lshrrev_b32_e32 v3, s45, v3
	v_mul_lo_u32 v3, v3, s23
	v_sub_u32_e32 v3, v1, v3
	v_mad_u64_u32 v[0:1], s[0:1], v3, s26, v[0:1]
	v_mad_u64_u32 v[2:3], s[0:1], v3, s27, v[2:3]
.LBB304_227:
	s_waitcnt lgkmcnt(0)
	global_load_ubyte v1, v2, s[18:19]
	s_andn2_b64 vcc, exec, s[42:43]
	s_cbranch_vccnz .LBB304_232
; %bb.228:
	s_and_b32 s4, s41, 0xff
	s_cmpk_lt_i32 s4, 0x80
	s_cbranch_scc1 .LBB304_233
; %bb.229:
	s_and_b32 s0, 0xffff, s4
	s_cmpk_eq_i32 s0, 0x80
	s_mov_b64 s[0:1], -1
	s_cbranch_scc0 .LBB304_231
; %bb.230:
	s_mov_b64 s[0:1], 0
.LBB304_231:
	s_mov_b32 s6, 0x7f800001
	s_branch .LBB304_235
.LBB304_232:
                                        ; implicit-def: $sgpr0_sgpr1
	s_cbranch_execnz .LBB304_242
	s_branch .LBB304_259
.LBB304_233:
	s_mov_b64 s[0:1], 0
	s_mov_b32 s6, 0x7f800001
	s_cbranch_execz .LBB304_235
; %bb.234:
	s_and_b32 s0, 0xffff, s4
	s_cmp_lg_u32 s0, 0
	s_mov_b32 s6, 0
	s_cselect_b64 s[0:1], -1, 0
.LBB304_235:
	s_andn2_b64 vcc, exec, s[0:1]
	s_cbranch_vccnz .LBB304_237
; %bb.236:
	s_mov_b32 s6, s40
.LBB304_237:
	s_movk_i32 s0, 0x7f
	s_waitcnt vmcnt(0)
	v_cmp_gt_i16_sdwa s[2:3], v1, s0 src0_sel:BYTE_0 src1_sel:DWORD
	s_mov_b64 s[0:1], 0
	s_and_saveexec_b64 s[4:5], s[2:3]
	s_xor_b64 s[2:3], exec, s[4:5]
	s_cbranch_execnz .LBB304_246
; %bb.238:
	s_or_saveexec_b64 s[2:3], s[2:3]
	v_mov_b32_e32 v2, 0x7f800001
	s_xor_b64 exec, exec, s[2:3]
	s_cbranch_execnz .LBB304_249
.LBB304_239:
	s_or_b64 exec, exec, s[2:3]
	s_and_saveexec_b64 s[2:3], s[0:1]
	s_cbranch_execz .LBB304_241
.LBB304_240:
	v_and_b32_e32 v4, 7, v1
	v_ffbh_u32_e32 v5, v4
	v_min_u32_e32 v5, 32, v5
	v_lshrrev_b16_e32 v3, 3, v1
	v_subrev_u32_e32 v6, 28, v5
	v_and_b32_e32 v3, 15, v3
	v_lshlrev_b32_e32 v6, v6, v1
	v_sub_u32_e32 v5, 29, v5
	v_and_b32_e32 v6, 7, v6
	v_cmp_eq_u32_e32 vcc, 0, v3
	v_lshlrev_b32_e32 v2, 24, v1
	v_cndmask_b32_e32 v3, v3, v5, vcc
	v_cndmask_b32_e32 v4, v4, v6, vcc
	v_mov_b32_e32 v5, 0x3b800000
	v_lshlrev_b32_e32 v4, 20, v4
	v_and_b32_e32 v2, 0x80000000, v2
	v_lshl_add_u32 v3, v3, 23, v5
	v_or3_b32 v2, v2, v3, v4
.LBB304_241:
	s_or_b64 exec, exec, s[2:3]
	v_cmp_neq_f32_e64 s[0:1], s6, v2
	s_branch .LBB304_259
.LBB304_242:
	s_and_b32 s4, s41, 0xff
	s_cmpk_lt_i32 s4, 0x80
	s_cbranch_scc1 .LBB304_250
; %bb.243:
	s_and_b32 s0, 0xffff, s4
	s_cmpk_eq_i32 s0, 0x80
	s_mov_b64 s[0:1], -1
	s_cbranch_scc0 .LBB304_245
; %bb.244:
	s_mov_b64 s[0:1], 0
.LBB304_245:
	s_mov_b32 s6, 0x7f800001
	s_branch .LBB304_252
.LBB304_246:
	s_movk_i32 s0, 0x80
	v_cmp_eq_u16_sdwa s[8:9], v1, s0 src0_sel:BYTE_0 src1_sel:DWORD
	s_mov_b64 s[0:1], -1
	s_and_saveexec_b64 s[4:5], s[8:9]
; %bb.247:
	s_xor_b64 s[0:1], exec, -1
; %bb.248:
	s_or_b64 exec, exec, s[4:5]
	s_and_b64 s[0:1], s[0:1], exec
	s_or_saveexec_b64 s[2:3], s[2:3]
	v_mov_b32_e32 v2, 0x7f800001
	s_xor_b64 exec, exec, s[2:3]
	s_cbranch_execz .LBB304_239
.LBB304_249:
	v_mov_b32_e32 v2, 0
	v_cmp_ne_u16_sdwa s[4:5], v1, v2 src0_sel:BYTE_0 src1_sel:DWORD
	s_andn2_b64 s[0:1], s[0:1], exec
	s_and_b64 s[4:5], s[4:5], exec
	s_or_b64 s[0:1], s[0:1], s[4:5]
	s_or_b64 exec, exec, s[2:3]
	s_and_saveexec_b64 s[2:3], s[0:1]
	s_cbranch_execnz .LBB304_240
	s_branch .LBB304_241
.LBB304_250:
	s_mov_b64 s[0:1], 0
	s_mov_b32 s6, 0x7f800001
	s_cbranch_execz .LBB304_252
; %bb.251:
	s_and_b32 s0, 0xffff, s4
	s_cmp_lg_u32 s0, 0
	s_mov_b32 s6, 0
	s_cselect_b64 s[0:1], -1, 0
.LBB304_252:
	s_andn2_b64 vcc, exec, s[0:1]
	s_cbranch_vccnz .LBB304_254
; %bb.253:
	s_mov_b32 s6, s40
.LBB304_254:
	s_movk_i32 s0, 0x7f
	s_waitcnt vmcnt(0)
	v_cmp_gt_i16_sdwa s[2:3], v1, s0 src0_sel:BYTE_0 src1_sel:DWORD
	s_mov_b64 s[0:1], 0
	s_and_saveexec_b64 s[4:5], s[2:3]
	s_xor_b64 s[2:3], exec, s[4:5]
	s_cbranch_execnz .LBB304_266
; %bb.255:
	s_or_saveexec_b64 s[2:3], s[2:3]
	v_mov_b32_e32 v2, 0x7f800001
	s_xor_b64 exec, exec, s[2:3]
	s_cbranch_execnz .LBB304_269
.LBB304_256:
	s_or_b64 exec, exec, s[2:3]
	s_and_saveexec_b64 s[2:3], s[0:1]
	s_cbranch_execz .LBB304_258
.LBB304_257:
	v_and_b32_e32 v4, 7, v1
	v_ffbh_u32_e32 v5, v4
	v_min_u32_e32 v5, 32, v5
	v_lshrrev_b16_e32 v3, 3, v1
	v_subrev_u32_e32 v6, 28, v5
	v_lshlrev_b32_e32 v2, 24, v1
	v_and_b32_e32 v3, 15, v3
	v_lshlrev_b32_e32 v1, v6, v1
	v_sub_u32_e32 v5, 29, v5
	v_and_b32_e32 v1, 7, v1
	v_cmp_eq_u32_e32 vcc, 0, v3
	v_cndmask_b32_e32 v3, v3, v5, vcc
	v_cndmask_b32_e32 v1, v4, v1, vcc
	v_mov_b32_e32 v4, 0x3b800000
	v_lshlrev_b32_e32 v1, 20, v1
	v_and_b32_e32 v2, 0x80000000, v2
	v_lshl_add_u32 v3, v3, 23, v4
	v_or3_b32 v2, v2, v3, v1
.LBB304_258:
	s_or_b64 exec, exec, s[2:3]
	v_cmp_eq_f32_e64 s[0:1], s6, v2
.LBB304_259:
	s_waitcnt vmcnt(0)
	v_cndmask_b32_e64 v1, 0, 1, s[0:1]
	v_add_u32_e32 v7, 0x80, v7
	global_store_byte v0, v1, s[16:17]
	s_or_b64 exec, exec, s[52:53]
	v_cmp_gt_i32_e32 vcc, s59, v7
	s_and_saveexec_b64 s[52:53], vcc
	s_cbranch_execz .LBB304_7
.LBB304_260:
	s_andn2_b64 vcc, exec, s[36:37]
	s_cbranch_vccnz .LBB304_265
; %bb.261:
	s_andn2_b64 vcc, exec, s[50:51]
	s_cbranch_vccnz .LBB304_270
; %bb.262:
	s_add_i32 s62, s60, 1
	s_cmp_eq_u32 s58, 2
	s_cbranch_scc1 .LBB304_271
; %bb.263:
	s_and_b32 s61, s62, 28
	v_mov_b32_e32 v2, 0
	s_mov_b32 s63, 0
	s_mov_b64 s[54:55], s[34:35]
	s_mov_b64 s[56:57], s[48:49]
	v_mov_b32_e32 v0, 0
	v_mov_b32_e32 v1, v7
.LBB304_264:                            ; =>This Inner Loop Header: Depth=1
	s_load_dwordx8 s[8:15], s[54:55], 0x4
	s_load_dwordx4 s[28:31], s[54:55], 0x24
	s_load_dwordx8 s[0:7], s[56:57], 0x0
	s_add_u32 s54, s54, 48
	s_addc_u32 s55, s55, 0
	s_waitcnt lgkmcnt(0)
	v_mul_hi_u32 v3, s9, v1
	s_add_i32 s63, s63, 4
	s_add_u32 s56, s56, 32
	s_addc_u32 s57, s57, 0
	v_add_u32_e32 v3, v1, v3
	v_lshrrev_b32_e32 v3, s10, v3
	v_mul_lo_u32 v4, v3, s8
	v_mul_hi_u32 v5, s12, v3
	s_cmp_eq_u32 s61, s63
	v_sub_u32_e32 v1, v1, v4
	v_add_u32_e32 v4, v3, v5
	v_mul_lo_u32 v5, v1, s0
	v_mul_lo_u32 v6, v1, s1
	v_lshrrev_b32_e32 v1, s13, v4
	v_mul_lo_u32 v4, v1, s11
	v_mul_hi_u32 v8, s15, v1
	v_sub_u32_e32 v3, v3, v4
	v_add_u32_e32 v4, v1, v8
	v_lshrrev_b32_e32 v4, s28, v4
	v_mul_hi_u32 v9, s30, v4
	v_mul_lo_u32 v10, v4, s14
	v_mul_lo_u32 v8, v3, s2
	;; [unrolled: 1-line block ×3, first 2 shown]
	v_sub_u32_e32 v10, v1, v10
	v_add_u32_e32 v1, v4, v9
	v_lshrrev_b32_e32 v1, s31, v1
	v_mul_lo_u32 v9, v1, s29
	v_mul_lo_u32 v11, v10, s4
	;; [unrolled: 1-line block ×3, first 2 shown]
	v_add3_u32 v0, v5, v0, v8
	v_sub_u32_e32 v4, v4, v9
	v_mul_lo_u32 v9, v4, s6
	v_mul_lo_u32 v4, v4, s7
	v_add3_u32 v2, v6, v2, v3
	v_add3_u32 v0, v11, v0, v9
	;; [unrolled: 1-line block ×3, first 2 shown]
	s_cbranch_scc0 .LBB304_264
	s_branch .LBB304_272
.LBB304_265:
                                        ; implicit-def: $vgpr0
                                        ; implicit-def: $vgpr2
	s_branch .LBB304_276
.LBB304_266:
	s_movk_i32 s0, 0x80
	v_cmp_eq_u16_sdwa s[8:9], v1, s0 src0_sel:BYTE_0 src1_sel:DWORD
	s_mov_b64 s[0:1], -1
	s_and_saveexec_b64 s[4:5], s[8:9]
; %bb.267:
	s_xor_b64 s[0:1], exec, -1
; %bb.268:
	s_or_b64 exec, exec, s[4:5]
	s_and_b64 s[0:1], s[0:1], exec
	s_or_saveexec_b64 s[2:3], s[2:3]
	v_mov_b32_e32 v2, 0x7f800001
	s_xor_b64 exec, exec, s[2:3]
	s_cbranch_execz .LBB304_256
.LBB304_269:
	v_mov_b32_e32 v2, 0
	v_cmp_ne_u16_sdwa s[4:5], v1, v2 src0_sel:BYTE_0 src1_sel:DWORD
	s_andn2_b64 s[0:1], s[0:1], exec
	s_and_b64 s[4:5], s[4:5], exec
	s_or_b64 s[0:1], s[0:1], s[4:5]
	s_or_b64 exec, exec, s[2:3]
	s_and_saveexec_b64 s[2:3], s[0:1]
	s_cbranch_execnz .LBB304_257
	s_branch .LBB304_258
.LBB304_270:
	v_mov_b32_e32 v0, 0
	v_mov_b32_e32 v2, 0
	s_branch .LBB304_275
.LBB304_271:
	s_mov_b32 s61, 0
	v_mov_b32_e32 v0, 0
	v_mov_b32_e32 v2, 0
	;; [unrolled: 1-line block ×3, first 2 shown]
.LBB304_272:
	s_and_b32 s4, s62, 3
	s_cmp_eq_u32 s4, 0
	s_cbranch_scc1 .LBB304_275
; %bb.273:
	s_lshl_b32 s0, s61, 3
	s_add_u32 s0, s34, s0
	s_addc_u32 s1, s35, 0
	s_add_u32 s0, s0, 0xc4
	s_addc_u32 s1, s1, 0
	s_mul_i32 s2, s61, 12
	s_add_u32 s2, s34, s2
	s_addc_u32 s3, s35, 0
.LBB304_274:                            ; =>This Inner Loop Header: Depth=1
	s_load_dwordx2 s[6:7], s[2:3], 0x4
	s_load_dword s5, s[2:3], 0xc
	s_load_dwordx2 s[8:9], s[0:1], 0x0
	s_add_u32 s2, s2, 12
	s_addc_u32 s3, s3, 0
	s_waitcnt lgkmcnt(0)
	v_mul_hi_u32 v3, s7, v1
	s_add_u32 s0, s0, 8
	s_addc_u32 s1, s1, 0
	s_add_i32 s4, s4, -1
	v_add_u32_e32 v3, v1, v3
	v_lshrrev_b32_e32 v4, s5, v3
	v_mul_lo_u32 v3, v4, s6
	s_cmp_lg_u32 s4, 0
	v_sub_u32_e32 v3, v1, v3
	v_mad_u64_u32 v[0:1], s[6:7], v3, s8, v[0:1]
	v_mad_u64_u32 v[2:3], s[6:7], v3, s9, v[2:3]
	v_mov_b32_e32 v1, v4
	s_cbranch_scc1 .LBB304_274
.LBB304_275:
	s_cbranch_execnz .LBB304_278
.LBB304_276:
	v_mul_hi_u32 v0, s21, v7
	s_andn2_b64 vcc, exec, s[46:47]
	v_add_u32_e32 v0, v7, v0
	v_lshrrev_b32_e32 v1, s22, v0
	v_mul_lo_u32 v0, v1, s20
	v_sub_u32_e32 v2, v7, v0
	s_waitcnt lgkmcnt(0)
	v_mul_lo_u32 v0, v2, s24
	v_mul_lo_u32 v2, v2, s25
	s_cbranch_vccnz .LBB304_278
; %bb.277:
	v_mul_hi_u32 v3, s44, v1
	v_add_u32_e32 v3, v1, v3
	v_lshrrev_b32_e32 v3, s45, v3
	v_mul_lo_u32 v3, v3, s23
	v_sub_u32_e32 v3, v1, v3
	v_mad_u64_u32 v[0:1], s[0:1], v3, s26, v[0:1]
	v_mad_u64_u32 v[2:3], s[0:1], v3, s27, v[2:3]
.LBB304_278:
	s_waitcnt lgkmcnt(0)
	global_load_ubyte v1, v2, s[18:19]
	s_andn2_b64 vcc, exec, s[42:43]
	s_cbranch_vccnz .LBB304_283
; %bb.279:
	s_and_b32 s4, s41, 0xff
	s_cmpk_lt_i32 s4, 0x80
	s_cbranch_scc1 .LBB304_284
; %bb.280:
	s_and_b32 s0, 0xffff, s4
	s_cmpk_eq_i32 s0, 0x80
	s_mov_b64 s[0:1], -1
	s_cbranch_scc0 .LBB304_282
; %bb.281:
	s_mov_b64 s[0:1], 0
.LBB304_282:
	s_mov_b32 s6, 0x7f800001
	s_branch .LBB304_286
.LBB304_283:
                                        ; implicit-def: $sgpr0_sgpr1
	s_cbranch_execnz .LBB304_293
	s_branch .LBB304_310
.LBB304_284:
	s_mov_b64 s[0:1], 0
	s_mov_b32 s6, 0x7f800001
	s_cbranch_execz .LBB304_286
; %bb.285:
	s_and_b32 s0, 0xffff, s4
	s_cmp_lg_u32 s0, 0
	s_mov_b32 s6, 0
	s_cselect_b64 s[0:1], -1, 0
.LBB304_286:
	s_andn2_b64 vcc, exec, s[0:1]
	s_cbranch_vccnz .LBB304_288
; %bb.287:
	s_mov_b32 s6, s40
.LBB304_288:
	s_movk_i32 s0, 0x7f
	s_waitcnt vmcnt(0)
	v_cmp_gt_i16_sdwa s[2:3], v1, s0 src0_sel:BYTE_0 src1_sel:DWORD
	s_mov_b64 s[0:1], 0
	s_and_saveexec_b64 s[4:5], s[2:3]
	s_xor_b64 s[2:3], exec, s[4:5]
	s_cbranch_execnz .LBB304_297
; %bb.289:
	s_or_saveexec_b64 s[2:3], s[2:3]
	v_mov_b32_e32 v2, 0x7f800001
	s_xor_b64 exec, exec, s[2:3]
	s_cbranch_execnz .LBB304_300
.LBB304_290:
	s_or_b64 exec, exec, s[2:3]
	s_and_saveexec_b64 s[2:3], s[0:1]
	s_cbranch_execz .LBB304_292
.LBB304_291:
	v_and_b32_e32 v4, 7, v1
	v_ffbh_u32_e32 v5, v4
	v_min_u32_e32 v5, 32, v5
	v_lshrrev_b16_e32 v3, 3, v1
	v_subrev_u32_e32 v6, 28, v5
	v_and_b32_e32 v3, 15, v3
	v_lshlrev_b32_e32 v6, v6, v1
	v_sub_u32_e32 v5, 29, v5
	v_and_b32_e32 v6, 7, v6
	v_cmp_eq_u32_e32 vcc, 0, v3
	v_lshlrev_b32_e32 v2, 24, v1
	v_cndmask_b32_e32 v3, v3, v5, vcc
	v_cndmask_b32_e32 v4, v4, v6, vcc
	v_mov_b32_e32 v5, 0x3b800000
	v_lshlrev_b32_e32 v4, 20, v4
	v_and_b32_e32 v2, 0x80000000, v2
	v_lshl_add_u32 v3, v3, 23, v5
	v_or3_b32 v2, v2, v3, v4
.LBB304_292:
	s_or_b64 exec, exec, s[2:3]
	v_cmp_neq_f32_e64 s[0:1], s6, v2
	s_branch .LBB304_310
.LBB304_293:
	s_and_b32 s4, s41, 0xff
	s_cmpk_lt_i32 s4, 0x80
	s_cbranch_scc1 .LBB304_301
; %bb.294:
	s_and_b32 s0, 0xffff, s4
	s_cmpk_eq_i32 s0, 0x80
	s_mov_b64 s[0:1], -1
	s_cbranch_scc0 .LBB304_296
; %bb.295:
	s_mov_b64 s[0:1], 0
.LBB304_296:
	s_mov_b32 s6, 0x7f800001
	s_branch .LBB304_303
.LBB304_297:
	s_movk_i32 s0, 0x80
	v_cmp_eq_u16_sdwa s[8:9], v1, s0 src0_sel:BYTE_0 src1_sel:DWORD
	s_mov_b64 s[0:1], -1
	s_and_saveexec_b64 s[4:5], s[8:9]
; %bb.298:
	s_xor_b64 s[0:1], exec, -1
; %bb.299:
	s_or_b64 exec, exec, s[4:5]
	s_and_b64 s[0:1], s[0:1], exec
	s_or_saveexec_b64 s[2:3], s[2:3]
	v_mov_b32_e32 v2, 0x7f800001
	s_xor_b64 exec, exec, s[2:3]
	s_cbranch_execz .LBB304_290
.LBB304_300:
	v_mov_b32_e32 v2, 0
	v_cmp_ne_u16_sdwa s[4:5], v1, v2 src0_sel:BYTE_0 src1_sel:DWORD
	s_andn2_b64 s[0:1], s[0:1], exec
	s_and_b64 s[4:5], s[4:5], exec
	s_or_b64 s[0:1], s[0:1], s[4:5]
	s_or_b64 exec, exec, s[2:3]
	s_and_saveexec_b64 s[2:3], s[0:1]
	s_cbranch_execnz .LBB304_291
	s_branch .LBB304_292
.LBB304_301:
	s_mov_b64 s[0:1], 0
	s_mov_b32 s6, 0x7f800001
	s_cbranch_execz .LBB304_303
; %bb.302:
	s_and_b32 s0, 0xffff, s4
	s_cmp_lg_u32 s0, 0
	s_mov_b32 s6, 0
	s_cselect_b64 s[0:1], -1, 0
.LBB304_303:
	s_andn2_b64 vcc, exec, s[0:1]
	s_cbranch_vccnz .LBB304_305
; %bb.304:
	s_mov_b32 s6, s40
.LBB304_305:
	s_movk_i32 s0, 0x7f
	s_waitcnt vmcnt(0)
	v_cmp_gt_i16_sdwa s[2:3], v1, s0 src0_sel:BYTE_0 src1_sel:DWORD
	s_mov_b64 s[0:1], 0
	s_and_saveexec_b64 s[4:5], s[2:3]
	s_xor_b64 s[2:3], exec, s[4:5]
	s_cbranch_execnz .LBB304_317
; %bb.306:
	s_or_saveexec_b64 s[2:3], s[2:3]
	v_mov_b32_e32 v2, 0x7f800001
	s_xor_b64 exec, exec, s[2:3]
	s_cbranch_execnz .LBB304_320
.LBB304_307:
	s_or_b64 exec, exec, s[2:3]
	s_and_saveexec_b64 s[2:3], s[0:1]
	s_cbranch_execz .LBB304_309
.LBB304_308:
	v_and_b32_e32 v4, 7, v1
	v_ffbh_u32_e32 v5, v4
	v_min_u32_e32 v5, 32, v5
	v_lshrrev_b16_e32 v3, 3, v1
	v_subrev_u32_e32 v6, 28, v5
	v_lshlrev_b32_e32 v2, 24, v1
	v_and_b32_e32 v3, 15, v3
	v_lshlrev_b32_e32 v1, v6, v1
	v_sub_u32_e32 v5, 29, v5
	v_and_b32_e32 v1, 7, v1
	v_cmp_eq_u32_e32 vcc, 0, v3
	v_cndmask_b32_e32 v3, v3, v5, vcc
	v_cndmask_b32_e32 v1, v4, v1, vcc
	v_mov_b32_e32 v4, 0x3b800000
	v_lshlrev_b32_e32 v1, 20, v1
	v_and_b32_e32 v2, 0x80000000, v2
	v_lshl_add_u32 v3, v3, 23, v4
	v_or3_b32 v2, v2, v3, v1
.LBB304_309:
	s_or_b64 exec, exec, s[2:3]
	v_cmp_eq_f32_e64 s[0:1], s6, v2
.LBB304_310:
	s_waitcnt vmcnt(0)
	v_cndmask_b32_e64 v1, 0, 1, s[0:1]
	v_add_u32_e32 v7, 0x80, v7
	global_store_byte v0, v1, s[16:17]
	s_or_b64 exec, exec, s[52:53]
	v_cmp_gt_i32_e32 vcc, s59, v7
	s_and_saveexec_b64 s[52:53], vcc
	s_cbranch_execz .LBB304_8
.LBB304_311:
	s_andn2_b64 vcc, exec, s[36:37]
	s_cbranch_vccnz .LBB304_316
; %bb.312:
	s_andn2_b64 vcc, exec, s[50:51]
	s_cbranch_vccnz .LBB304_321
; %bb.313:
	s_add_i32 s62, s60, 1
	s_cmp_eq_u32 s58, 2
	s_cbranch_scc1 .LBB304_322
; %bb.314:
	s_and_b32 s61, s62, 28
	v_mov_b32_e32 v2, 0
	s_mov_b32 s63, 0
	s_mov_b64 s[54:55], s[34:35]
	s_mov_b64 s[56:57], s[48:49]
	v_mov_b32_e32 v0, 0
	v_mov_b32_e32 v1, v7
.LBB304_315:                            ; =>This Inner Loop Header: Depth=1
	s_load_dwordx8 s[8:15], s[54:55], 0x4
	s_load_dwordx4 s[28:31], s[54:55], 0x24
	s_load_dwordx8 s[0:7], s[56:57], 0x0
	s_add_u32 s54, s54, 48
	s_addc_u32 s55, s55, 0
	s_waitcnt lgkmcnt(0)
	v_mul_hi_u32 v3, s9, v1
	s_add_i32 s63, s63, 4
	s_add_u32 s56, s56, 32
	s_addc_u32 s57, s57, 0
	v_add_u32_e32 v3, v1, v3
	v_lshrrev_b32_e32 v3, s10, v3
	v_mul_lo_u32 v4, v3, s8
	v_mul_hi_u32 v5, s12, v3
	s_cmp_eq_u32 s61, s63
	v_sub_u32_e32 v1, v1, v4
	v_add_u32_e32 v4, v3, v5
	v_mul_lo_u32 v5, v1, s0
	v_mul_lo_u32 v6, v1, s1
	v_lshrrev_b32_e32 v1, s13, v4
	v_mul_lo_u32 v4, v1, s11
	v_mul_hi_u32 v8, s15, v1
	v_sub_u32_e32 v3, v3, v4
	v_add_u32_e32 v4, v1, v8
	v_lshrrev_b32_e32 v4, s28, v4
	v_mul_hi_u32 v9, s30, v4
	v_mul_lo_u32 v10, v4, s14
	v_mul_lo_u32 v8, v3, s2
	;; [unrolled: 1-line block ×3, first 2 shown]
	v_sub_u32_e32 v10, v1, v10
	v_add_u32_e32 v1, v4, v9
	v_lshrrev_b32_e32 v1, s31, v1
	v_mul_lo_u32 v9, v1, s29
	v_mul_lo_u32 v11, v10, s4
	;; [unrolled: 1-line block ×3, first 2 shown]
	v_add3_u32 v0, v5, v0, v8
	v_sub_u32_e32 v4, v4, v9
	v_mul_lo_u32 v9, v4, s6
	v_mul_lo_u32 v4, v4, s7
	v_add3_u32 v2, v6, v2, v3
	v_add3_u32 v0, v11, v0, v9
	;; [unrolled: 1-line block ×3, first 2 shown]
	s_cbranch_scc0 .LBB304_315
	s_branch .LBB304_323
.LBB304_316:
                                        ; implicit-def: $vgpr0
                                        ; implicit-def: $vgpr2
	s_branch .LBB304_327
.LBB304_317:
	s_movk_i32 s0, 0x80
	v_cmp_eq_u16_sdwa s[8:9], v1, s0 src0_sel:BYTE_0 src1_sel:DWORD
	s_mov_b64 s[0:1], -1
	s_and_saveexec_b64 s[4:5], s[8:9]
; %bb.318:
	s_xor_b64 s[0:1], exec, -1
; %bb.319:
	s_or_b64 exec, exec, s[4:5]
	s_and_b64 s[0:1], s[0:1], exec
	s_or_saveexec_b64 s[2:3], s[2:3]
	v_mov_b32_e32 v2, 0x7f800001
	s_xor_b64 exec, exec, s[2:3]
	s_cbranch_execz .LBB304_307
.LBB304_320:
	v_mov_b32_e32 v2, 0
	v_cmp_ne_u16_sdwa s[4:5], v1, v2 src0_sel:BYTE_0 src1_sel:DWORD
	s_andn2_b64 s[0:1], s[0:1], exec
	s_and_b64 s[4:5], s[4:5], exec
	s_or_b64 s[0:1], s[0:1], s[4:5]
	s_or_b64 exec, exec, s[2:3]
	s_and_saveexec_b64 s[2:3], s[0:1]
	s_cbranch_execnz .LBB304_308
	s_branch .LBB304_309
.LBB304_321:
	v_mov_b32_e32 v0, 0
	v_mov_b32_e32 v2, 0
	s_branch .LBB304_326
.LBB304_322:
	s_mov_b32 s61, 0
	v_mov_b32_e32 v0, 0
	v_mov_b32_e32 v2, 0
	;; [unrolled: 1-line block ×3, first 2 shown]
.LBB304_323:
	s_and_b32 s4, s62, 3
	s_cmp_eq_u32 s4, 0
	s_cbranch_scc1 .LBB304_326
; %bb.324:
	s_lshl_b32 s0, s61, 3
	s_add_u32 s0, s34, s0
	s_addc_u32 s1, s35, 0
	s_add_u32 s0, s0, 0xc4
	s_addc_u32 s1, s1, 0
	s_mul_i32 s2, s61, 12
	s_add_u32 s2, s34, s2
	s_addc_u32 s3, s35, 0
.LBB304_325:                            ; =>This Inner Loop Header: Depth=1
	s_load_dwordx2 s[6:7], s[2:3], 0x4
	s_load_dword s5, s[2:3], 0xc
	s_load_dwordx2 s[8:9], s[0:1], 0x0
	s_add_u32 s2, s2, 12
	s_addc_u32 s3, s3, 0
	s_waitcnt lgkmcnt(0)
	v_mul_hi_u32 v3, s7, v1
	s_add_u32 s0, s0, 8
	s_addc_u32 s1, s1, 0
	s_add_i32 s4, s4, -1
	v_add_u32_e32 v3, v1, v3
	v_lshrrev_b32_e32 v4, s5, v3
	v_mul_lo_u32 v3, v4, s6
	s_cmp_lg_u32 s4, 0
	v_sub_u32_e32 v3, v1, v3
	v_mad_u64_u32 v[0:1], s[6:7], v3, s8, v[0:1]
	v_mad_u64_u32 v[2:3], s[6:7], v3, s9, v[2:3]
	v_mov_b32_e32 v1, v4
	s_cbranch_scc1 .LBB304_325
.LBB304_326:
	s_cbranch_execnz .LBB304_329
.LBB304_327:
	v_mul_hi_u32 v0, s21, v7
	s_andn2_b64 vcc, exec, s[46:47]
	v_add_u32_e32 v0, v7, v0
	v_lshrrev_b32_e32 v1, s22, v0
	v_mul_lo_u32 v0, v1, s20
	v_sub_u32_e32 v2, v7, v0
	s_waitcnt lgkmcnt(0)
	v_mul_lo_u32 v0, v2, s24
	v_mul_lo_u32 v2, v2, s25
	s_cbranch_vccnz .LBB304_329
; %bb.328:
	v_mul_hi_u32 v3, s44, v1
	v_add_u32_e32 v3, v1, v3
	v_lshrrev_b32_e32 v3, s45, v3
	v_mul_lo_u32 v3, v3, s23
	v_sub_u32_e32 v3, v1, v3
	v_mad_u64_u32 v[0:1], s[0:1], v3, s26, v[0:1]
	v_mad_u64_u32 v[2:3], s[0:1], v3, s27, v[2:3]
.LBB304_329:
	s_waitcnt lgkmcnt(0)
	global_load_ubyte v1, v2, s[18:19]
	s_andn2_b64 vcc, exec, s[42:43]
	s_cbranch_vccnz .LBB304_334
; %bb.330:
	s_and_b32 s4, s41, 0xff
	s_cmpk_lt_i32 s4, 0x80
	s_cbranch_scc1 .LBB304_335
; %bb.331:
	s_and_b32 s0, 0xffff, s4
	s_cmpk_eq_i32 s0, 0x80
	s_mov_b64 s[0:1], -1
	s_cbranch_scc0 .LBB304_333
; %bb.332:
	s_mov_b64 s[0:1], 0
.LBB304_333:
	s_mov_b32 s6, 0x7f800001
	s_branch .LBB304_337
.LBB304_334:
                                        ; implicit-def: $sgpr0_sgpr1
	s_cbranch_execnz .LBB304_344
	s_branch .LBB304_361
.LBB304_335:
	s_mov_b64 s[0:1], 0
	s_mov_b32 s6, 0x7f800001
	s_cbranch_execz .LBB304_337
; %bb.336:
	s_and_b32 s0, 0xffff, s4
	s_cmp_lg_u32 s0, 0
	s_mov_b32 s6, 0
	s_cselect_b64 s[0:1], -1, 0
.LBB304_337:
	s_andn2_b64 vcc, exec, s[0:1]
	s_cbranch_vccnz .LBB304_339
; %bb.338:
	s_mov_b32 s6, s40
.LBB304_339:
	s_movk_i32 s0, 0x7f
	s_waitcnt vmcnt(0)
	v_cmp_gt_i16_sdwa s[2:3], v1, s0 src0_sel:BYTE_0 src1_sel:DWORD
	s_mov_b64 s[0:1], 0
	s_and_saveexec_b64 s[4:5], s[2:3]
	s_xor_b64 s[2:3], exec, s[4:5]
	s_cbranch_execnz .LBB304_348
; %bb.340:
	s_or_saveexec_b64 s[2:3], s[2:3]
	v_mov_b32_e32 v2, 0x7f800001
	s_xor_b64 exec, exec, s[2:3]
	s_cbranch_execnz .LBB304_351
.LBB304_341:
	s_or_b64 exec, exec, s[2:3]
	s_and_saveexec_b64 s[2:3], s[0:1]
	s_cbranch_execz .LBB304_343
.LBB304_342:
	v_and_b32_e32 v4, 7, v1
	v_ffbh_u32_e32 v5, v4
	v_min_u32_e32 v5, 32, v5
	v_lshrrev_b16_e32 v3, 3, v1
	v_subrev_u32_e32 v6, 28, v5
	v_and_b32_e32 v3, 15, v3
	v_lshlrev_b32_e32 v6, v6, v1
	v_sub_u32_e32 v5, 29, v5
	v_and_b32_e32 v6, 7, v6
	v_cmp_eq_u32_e32 vcc, 0, v3
	v_lshlrev_b32_e32 v2, 24, v1
	v_cndmask_b32_e32 v3, v3, v5, vcc
	v_cndmask_b32_e32 v4, v4, v6, vcc
	v_mov_b32_e32 v5, 0x3b800000
	v_lshlrev_b32_e32 v4, 20, v4
	v_and_b32_e32 v2, 0x80000000, v2
	v_lshl_add_u32 v3, v3, 23, v5
	v_or3_b32 v2, v2, v3, v4
.LBB304_343:
	s_or_b64 exec, exec, s[2:3]
	v_cmp_neq_f32_e64 s[0:1], s6, v2
	s_branch .LBB304_361
.LBB304_344:
	s_and_b32 s4, s41, 0xff
	s_cmpk_lt_i32 s4, 0x80
	s_cbranch_scc1 .LBB304_352
; %bb.345:
	s_and_b32 s0, 0xffff, s4
	s_cmpk_eq_i32 s0, 0x80
	s_mov_b64 s[0:1], -1
	s_cbranch_scc0 .LBB304_347
; %bb.346:
	s_mov_b64 s[0:1], 0
.LBB304_347:
	s_mov_b32 s6, 0x7f800001
	s_branch .LBB304_354
.LBB304_348:
	s_movk_i32 s0, 0x80
	v_cmp_eq_u16_sdwa s[8:9], v1, s0 src0_sel:BYTE_0 src1_sel:DWORD
	s_mov_b64 s[0:1], -1
	s_and_saveexec_b64 s[4:5], s[8:9]
; %bb.349:
	s_xor_b64 s[0:1], exec, -1
; %bb.350:
	s_or_b64 exec, exec, s[4:5]
	s_and_b64 s[0:1], s[0:1], exec
	s_or_saveexec_b64 s[2:3], s[2:3]
	v_mov_b32_e32 v2, 0x7f800001
	s_xor_b64 exec, exec, s[2:3]
	s_cbranch_execz .LBB304_341
.LBB304_351:
	v_mov_b32_e32 v2, 0
	v_cmp_ne_u16_sdwa s[4:5], v1, v2 src0_sel:BYTE_0 src1_sel:DWORD
	s_andn2_b64 s[0:1], s[0:1], exec
	s_and_b64 s[4:5], s[4:5], exec
	s_or_b64 s[0:1], s[0:1], s[4:5]
	s_or_b64 exec, exec, s[2:3]
	s_and_saveexec_b64 s[2:3], s[0:1]
	s_cbranch_execnz .LBB304_342
	s_branch .LBB304_343
.LBB304_352:
	s_mov_b64 s[0:1], 0
	s_mov_b32 s6, 0x7f800001
	s_cbranch_execz .LBB304_354
; %bb.353:
	s_and_b32 s0, 0xffff, s4
	s_cmp_lg_u32 s0, 0
	s_mov_b32 s6, 0
	s_cselect_b64 s[0:1], -1, 0
.LBB304_354:
	s_andn2_b64 vcc, exec, s[0:1]
	s_cbranch_vccnz .LBB304_356
; %bb.355:
	s_mov_b32 s6, s40
.LBB304_356:
	s_movk_i32 s0, 0x7f
	s_waitcnt vmcnt(0)
	v_cmp_gt_i16_sdwa s[2:3], v1, s0 src0_sel:BYTE_0 src1_sel:DWORD
	s_mov_b64 s[0:1], 0
	s_and_saveexec_b64 s[4:5], s[2:3]
	s_xor_b64 s[2:3], exec, s[4:5]
	s_cbranch_execnz .LBB304_368
; %bb.357:
	s_or_saveexec_b64 s[2:3], s[2:3]
	v_mov_b32_e32 v2, 0x7f800001
	s_xor_b64 exec, exec, s[2:3]
	s_cbranch_execnz .LBB304_371
.LBB304_358:
	s_or_b64 exec, exec, s[2:3]
	s_and_saveexec_b64 s[2:3], s[0:1]
	s_cbranch_execz .LBB304_360
.LBB304_359:
	v_and_b32_e32 v4, 7, v1
	v_ffbh_u32_e32 v5, v4
	v_min_u32_e32 v5, 32, v5
	v_lshrrev_b16_e32 v3, 3, v1
	v_subrev_u32_e32 v6, 28, v5
	v_lshlrev_b32_e32 v2, 24, v1
	v_and_b32_e32 v3, 15, v3
	v_lshlrev_b32_e32 v1, v6, v1
	v_sub_u32_e32 v5, 29, v5
	v_and_b32_e32 v1, 7, v1
	v_cmp_eq_u32_e32 vcc, 0, v3
	v_cndmask_b32_e32 v3, v3, v5, vcc
	v_cndmask_b32_e32 v1, v4, v1, vcc
	v_mov_b32_e32 v4, 0x3b800000
	v_lshlrev_b32_e32 v1, 20, v1
	v_and_b32_e32 v2, 0x80000000, v2
	v_lshl_add_u32 v3, v3, 23, v4
	v_or3_b32 v2, v2, v3, v1
.LBB304_360:
	s_or_b64 exec, exec, s[2:3]
	v_cmp_eq_f32_e64 s[0:1], s6, v2
.LBB304_361:
	s_waitcnt vmcnt(0)
	v_cndmask_b32_e64 v1, 0, 1, s[0:1]
	v_add_u32_e32 v7, 0x80, v7
	global_store_byte v0, v1, s[16:17]
	s_or_b64 exec, exec, s[52:53]
	v_cmp_gt_i32_e32 vcc, s59, v7
	s_and_saveexec_b64 s[52:53], vcc
	s_cbranch_execz .LBB304_413
.LBB304_362:
	s_andn2_b64 vcc, exec, s[36:37]
	s_cbranch_vccnz .LBB304_367
; %bb.363:
	s_andn2_b64 vcc, exec, s[50:51]
	s_cbranch_vccnz .LBB304_372
; %bb.364:
	s_add_i32 s60, s60, 1
	s_cmp_eq_u32 s58, 2
	s_cbranch_scc1 .LBB304_373
; %bb.365:
	s_and_b32 s54, s60, 28
	v_mov_b32_e32 v2, 0
	s_mov_b32 s55, 0
	s_mov_b64 s[50:51], s[34:35]
	v_mov_b32_e32 v0, 0
	v_mov_b32_e32 v1, v7
.LBB304_366:                            ; =>This Inner Loop Header: Depth=1
	s_load_dwordx8 s[8:15], s[50:51], 0x4
	s_load_dwordx4 s[28:31], s[50:51], 0x24
	s_load_dwordx8 s[0:7], s[48:49], 0x0
	s_add_u32 s50, s50, 48
	s_addc_u32 s51, s51, 0
	s_waitcnt lgkmcnt(0)
	v_mul_hi_u32 v3, s9, v1
	s_add_i32 s55, s55, 4
	s_add_u32 s48, s48, 32
	s_addc_u32 s49, s49, 0
	v_add_u32_e32 v3, v1, v3
	v_lshrrev_b32_e32 v3, s10, v3
	v_mul_lo_u32 v4, v3, s8
	v_mul_hi_u32 v5, s12, v3
	s_cmp_eq_u32 s54, s55
	v_sub_u32_e32 v1, v1, v4
	v_add_u32_e32 v4, v3, v5
	v_mul_lo_u32 v5, v1, s0
	v_mul_lo_u32 v6, v1, s1
	v_lshrrev_b32_e32 v1, s13, v4
	v_mul_lo_u32 v4, v1, s11
	v_mul_hi_u32 v8, s15, v1
	v_sub_u32_e32 v3, v3, v4
	v_add_u32_e32 v4, v1, v8
	v_lshrrev_b32_e32 v4, s28, v4
	v_mul_hi_u32 v9, s30, v4
	v_mul_lo_u32 v10, v4, s14
	v_mul_lo_u32 v8, v3, s2
	;; [unrolled: 1-line block ×3, first 2 shown]
	v_sub_u32_e32 v10, v1, v10
	v_add_u32_e32 v1, v4, v9
	v_lshrrev_b32_e32 v1, s31, v1
	v_mul_lo_u32 v9, v1, s29
	v_mul_lo_u32 v11, v10, s4
	;; [unrolled: 1-line block ×3, first 2 shown]
	v_add3_u32 v0, v5, v0, v8
	v_sub_u32_e32 v4, v4, v9
	v_mul_lo_u32 v9, v4, s6
	v_mul_lo_u32 v4, v4, s7
	v_add3_u32 v2, v6, v2, v3
	v_add3_u32 v0, v11, v0, v9
	v_add3_u32 v2, v10, v2, v4
	s_cbranch_scc0 .LBB304_366
	s_branch .LBB304_374
.LBB304_367:
                                        ; implicit-def: $vgpr0
                                        ; implicit-def: $vgpr2
	s_branch .LBB304_378
.LBB304_368:
	s_movk_i32 s0, 0x80
	v_cmp_eq_u16_sdwa s[8:9], v1, s0 src0_sel:BYTE_0 src1_sel:DWORD
	s_mov_b64 s[0:1], -1
	s_and_saveexec_b64 s[4:5], s[8:9]
; %bb.369:
	s_xor_b64 s[0:1], exec, -1
; %bb.370:
	s_or_b64 exec, exec, s[4:5]
	s_and_b64 s[0:1], s[0:1], exec
	s_or_saveexec_b64 s[2:3], s[2:3]
	v_mov_b32_e32 v2, 0x7f800001
	s_xor_b64 exec, exec, s[2:3]
	s_cbranch_execz .LBB304_358
.LBB304_371:
	v_mov_b32_e32 v2, 0
	v_cmp_ne_u16_sdwa s[4:5], v1, v2 src0_sel:BYTE_0 src1_sel:DWORD
	s_andn2_b64 s[0:1], s[0:1], exec
	s_and_b64 s[4:5], s[4:5], exec
	s_or_b64 s[0:1], s[0:1], s[4:5]
	s_or_b64 exec, exec, s[2:3]
	s_and_saveexec_b64 s[2:3], s[0:1]
	s_cbranch_execnz .LBB304_359
	s_branch .LBB304_360
.LBB304_372:
	v_mov_b32_e32 v0, 0
	v_mov_b32_e32 v2, 0
	s_branch .LBB304_377
.LBB304_373:
	s_mov_b32 s54, 0
	v_mov_b32_e32 v0, 0
	v_mov_b32_e32 v2, 0
	;; [unrolled: 1-line block ×3, first 2 shown]
.LBB304_374:
	s_and_b32 s4, s60, 3
	s_cmp_eq_u32 s4, 0
	s_cbranch_scc1 .LBB304_377
; %bb.375:
	s_lshl_b32 s0, s54, 3
	s_add_u32 s0, s34, s0
	s_addc_u32 s1, s35, 0
	s_add_u32 s0, s0, 0xc4
	s_addc_u32 s1, s1, 0
	s_mul_i32 s2, s54, 12
	s_add_u32 s2, s34, s2
	s_addc_u32 s3, s35, 0
.LBB304_376:                            ; =>This Inner Loop Header: Depth=1
	s_load_dwordx2 s[6:7], s[2:3], 0x4
	s_load_dword s5, s[2:3], 0xc
	s_load_dwordx2 s[8:9], s[0:1], 0x0
	s_add_u32 s2, s2, 12
	s_addc_u32 s3, s3, 0
	s_waitcnt lgkmcnt(0)
	v_mul_hi_u32 v3, s7, v1
	s_add_u32 s0, s0, 8
	s_addc_u32 s1, s1, 0
	s_add_i32 s4, s4, -1
	v_add_u32_e32 v3, v1, v3
	v_lshrrev_b32_e32 v4, s5, v3
	v_mul_lo_u32 v3, v4, s6
	s_cmp_lg_u32 s4, 0
	v_sub_u32_e32 v3, v1, v3
	v_mad_u64_u32 v[0:1], s[6:7], v3, s8, v[0:1]
	v_mad_u64_u32 v[2:3], s[6:7], v3, s9, v[2:3]
	v_mov_b32_e32 v1, v4
	s_cbranch_scc1 .LBB304_376
.LBB304_377:
	s_cbranch_execnz .LBB304_380
.LBB304_378:
	v_mul_hi_u32 v0, s21, v7
	s_andn2_b64 vcc, exec, s[46:47]
	v_add_u32_e32 v0, v7, v0
	v_lshrrev_b32_e32 v1, s22, v0
	v_mul_lo_u32 v0, v1, s20
	v_sub_u32_e32 v2, v7, v0
	s_waitcnt lgkmcnt(0)
	v_mul_lo_u32 v0, v2, s24
	v_mul_lo_u32 v2, v2, s25
	s_cbranch_vccnz .LBB304_380
; %bb.379:
	v_mul_hi_u32 v3, s44, v1
	v_add_u32_e32 v3, v1, v3
	v_lshrrev_b32_e32 v3, s45, v3
	v_mul_lo_u32 v3, v3, s23
	v_sub_u32_e32 v3, v1, v3
	v_mad_u64_u32 v[0:1], s[0:1], v3, s26, v[0:1]
	v_mad_u64_u32 v[2:3], s[0:1], v3, s27, v[2:3]
.LBB304_380:
	s_waitcnt lgkmcnt(0)
	global_load_ubyte v1, v2, s[18:19]
	s_andn2_b64 vcc, exec, s[42:43]
	s_cbranch_vccnz .LBB304_385
; %bb.381:
	s_and_b32 s4, s41, 0xff
	s_cmpk_lt_i32 s4, 0x80
	s_cbranch_scc1 .LBB304_386
; %bb.382:
	s_and_b32 s0, 0xffff, s4
	s_cmpk_eq_i32 s0, 0x80
	s_mov_b64 s[0:1], -1
	s_cbranch_scc0 .LBB304_384
; %bb.383:
	s_mov_b64 s[0:1], 0
.LBB304_384:
	s_mov_b32 s6, 0x7f800001
	s_branch .LBB304_388
.LBB304_385:
                                        ; implicit-def: $sgpr0_sgpr1
	s_cbranch_execnz .LBB304_395
	s_branch .LBB304_412
.LBB304_386:
	s_mov_b64 s[0:1], 0
	s_mov_b32 s6, 0x7f800001
	s_cbranch_execz .LBB304_388
; %bb.387:
	s_and_b32 s0, 0xffff, s4
	s_cmp_lg_u32 s0, 0
	s_mov_b32 s6, 0
	s_cselect_b64 s[0:1], -1, 0
.LBB304_388:
	s_andn2_b64 vcc, exec, s[0:1]
	s_cbranch_vccnz .LBB304_390
; %bb.389:
	s_mov_b32 s6, s40
.LBB304_390:
	s_movk_i32 s0, 0x7f
	s_waitcnt vmcnt(0)
	v_cmp_gt_i16_sdwa s[2:3], v1, s0 src0_sel:BYTE_0 src1_sel:DWORD
	s_mov_b64 s[0:1], 0
	s_and_saveexec_b64 s[4:5], s[2:3]
	s_xor_b64 s[2:3], exec, s[4:5]
	s_cbranch_execnz .LBB304_399
; %bb.391:
	s_or_saveexec_b64 s[2:3], s[2:3]
	v_mov_b32_e32 v2, 0x7f800001
	s_xor_b64 exec, exec, s[2:3]
	s_cbranch_execnz .LBB304_402
.LBB304_392:
	s_or_b64 exec, exec, s[2:3]
	s_and_saveexec_b64 s[2:3], s[0:1]
	s_cbranch_execz .LBB304_394
.LBB304_393:
	v_and_b32_e32 v4, 7, v1
	v_ffbh_u32_e32 v5, v4
	v_min_u32_e32 v5, 32, v5
	v_lshrrev_b16_e32 v3, 3, v1
	v_subrev_u32_e32 v6, 28, v5
	v_and_b32_e32 v3, 15, v3
	v_lshlrev_b32_e32 v6, v6, v1
	v_sub_u32_e32 v5, 29, v5
	v_and_b32_e32 v6, 7, v6
	v_cmp_eq_u32_e32 vcc, 0, v3
	v_lshlrev_b32_e32 v2, 24, v1
	v_cndmask_b32_e32 v3, v3, v5, vcc
	v_cndmask_b32_e32 v4, v4, v6, vcc
	v_mov_b32_e32 v5, 0x3b800000
	v_lshlrev_b32_e32 v4, 20, v4
	v_and_b32_e32 v2, 0x80000000, v2
	v_lshl_add_u32 v3, v3, 23, v5
	v_or3_b32 v2, v2, v3, v4
.LBB304_394:
	s_or_b64 exec, exec, s[2:3]
	v_cmp_neq_f32_e64 s[0:1], s6, v2
	s_branch .LBB304_412
.LBB304_395:
	s_and_b32 s4, s41, 0xff
	s_cmpk_lt_i32 s4, 0x80
	s_cbranch_scc1 .LBB304_403
; %bb.396:
	s_and_b32 s0, 0xffff, s4
	s_cmpk_eq_i32 s0, 0x80
	s_mov_b64 s[0:1], -1
	s_cbranch_scc0 .LBB304_398
; %bb.397:
	s_mov_b64 s[0:1], 0
.LBB304_398:
	s_mov_b32 s6, 0x7f800001
	s_branch .LBB304_405
.LBB304_399:
	s_movk_i32 s0, 0x80
	v_cmp_eq_u16_sdwa s[8:9], v1, s0 src0_sel:BYTE_0 src1_sel:DWORD
	s_mov_b64 s[0:1], -1
	s_and_saveexec_b64 s[4:5], s[8:9]
; %bb.400:
	s_xor_b64 s[0:1], exec, -1
; %bb.401:
	s_or_b64 exec, exec, s[4:5]
	s_and_b64 s[0:1], s[0:1], exec
	s_or_saveexec_b64 s[2:3], s[2:3]
	v_mov_b32_e32 v2, 0x7f800001
	s_xor_b64 exec, exec, s[2:3]
	s_cbranch_execz .LBB304_392
.LBB304_402:
	v_mov_b32_e32 v2, 0
	v_cmp_ne_u16_sdwa s[4:5], v1, v2 src0_sel:BYTE_0 src1_sel:DWORD
	s_andn2_b64 s[0:1], s[0:1], exec
	s_and_b64 s[4:5], s[4:5], exec
	s_or_b64 s[0:1], s[0:1], s[4:5]
	s_or_b64 exec, exec, s[2:3]
	s_and_saveexec_b64 s[2:3], s[0:1]
	s_cbranch_execnz .LBB304_393
	s_branch .LBB304_394
.LBB304_403:
	s_mov_b64 s[0:1], 0
	s_mov_b32 s6, 0x7f800001
	s_cbranch_execz .LBB304_405
; %bb.404:
	s_and_b32 s0, 0xffff, s4
	s_cmp_lg_u32 s0, 0
	s_mov_b32 s6, 0
	s_cselect_b64 s[0:1], -1, 0
.LBB304_405:
	s_andn2_b64 vcc, exec, s[0:1]
	s_cbranch_vccnz .LBB304_407
; %bb.406:
	s_mov_b32 s6, s40
.LBB304_407:
	s_movk_i32 s0, 0x7f
	s_waitcnt vmcnt(0)
	v_cmp_gt_i16_sdwa s[2:3], v1, s0 src0_sel:BYTE_0 src1_sel:DWORD
	s_mov_b64 s[0:1], 0
	s_and_saveexec_b64 s[4:5], s[2:3]
	s_xor_b64 s[2:3], exec, s[4:5]
	s_cbranch_execnz .LBB304_817
; %bb.408:
	s_or_saveexec_b64 s[2:3], s[2:3]
	v_mov_b32_e32 v2, 0x7f800001
	s_xor_b64 exec, exec, s[2:3]
	s_cbranch_execnz .LBB304_820
.LBB304_409:
	s_or_b64 exec, exec, s[2:3]
	s_and_saveexec_b64 s[2:3], s[0:1]
	s_cbranch_execz .LBB304_411
.LBB304_410:
	v_and_b32_e32 v4, 7, v1
	v_ffbh_u32_e32 v5, v4
	v_min_u32_e32 v5, 32, v5
	v_lshrrev_b16_e32 v3, 3, v1
	v_subrev_u32_e32 v6, 28, v5
	v_lshlrev_b32_e32 v2, 24, v1
	v_and_b32_e32 v3, 15, v3
	v_lshlrev_b32_e32 v1, v6, v1
	v_sub_u32_e32 v5, 29, v5
	v_and_b32_e32 v1, 7, v1
	v_cmp_eq_u32_e32 vcc, 0, v3
	v_cndmask_b32_e32 v3, v3, v5, vcc
	v_cndmask_b32_e32 v1, v4, v1, vcc
	v_mov_b32_e32 v4, 0x3b800000
	v_lshlrev_b32_e32 v1, 20, v1
	v_and_b32_e32 v2, 0x80000000, v2
	v_lshl_add_u32 v3, v3, 23, v4
	v_or3_b32 v2, v2, v3, v1
.LBB304_411:
	s_or_b64 exec, exec, s[2:3]
	v_cmp_eq_f32_e64 s[0:1], s6, v2
.LBB304_412:
	s_waitcnt vmcnt(0)
	v_cndmask_b32_e64 v1, 0, 1, s[0:1]
	global_store_byte v0, v1, s[16:17]
.LBB304_413:
	s_or_b64 exec, exec, s[52:53]
                                        ; implicit-def: $vgpr25
                                        ; implicit-def: $vgpr7
.LBB304_414:
	s_andn2_saveexec_b64 s[0:1], s[38:39]
	s_cbranch_execz .LBB304_421
; %bb.415:
	v_cndmask_b32_e64 v0, 0, 1, s[36:37]
	v_cmp_ne_u32_e64 s[0:1], 1, v0
	s_andn2_b64 vcc, exec, s[36:37]
	s_cbranch_vccnz .LBB304_422
; %bb.416:
	s_cmp_lg_u32 s33, 0
	s_waitcnt lgkmcnt(0)
	s_mov_b32 s26, 0
	s_cbranch_scc0 .LBB304_423
; %bb.417:
	s_min_u32 s27, s58, 15
	s_add_i32 s27, s27, 1
	s_cmp_eq_u32 s58, 2
	s_cbranch_scc1 .LBB304_424
; %bb.418:
	s_and_b32 s26, s27, 28
	s_add_u32 s2, s34, 0xc4
	s_addc_u32 s3, s35, 0
	v_mov_b32_e32 v23, 0
	s_mov_b32 s28, 0
	s_mov_b64 s[24:25], s[34:35]
	v_mov_b32_e32 v0, 0
	v_mov_b32_e32 v1, v7
.LBB304_419:                            ; =>This Inner Loop Header: Depth=1
	s_load_dwordx8 s[12:19], s[24:25], 0x4
	s_load_dwordx4 s[20:23], s[24:25], 0x24
	s_load_dwordx8 s[4:11], s[2:3], 0x0
	s_add_u32 s24, s24, 48
	s_addc_u32 s25, s25, 0
	s_waitcnt lgkmcnt(0)
	v_mul_hi_u32 v2, s13, v1
	s_add_i32 s28, s28, 4
	s_add_u32 s2, s2, 32
	s_addc_u32 s3, s3, 0
	v_add_u32_e32 v2, v1, v2
	v_lshrrev_b32_e32 v2, s14, v2
	v_mul_lo_u32 v3, v2, s12
	v_mul_hi_u32 v4, s16, v2
	s_cmp_lg_u32 s26, s28
	v_sub_u32_e32 v1, v1, v3
	v_add_u32_e32 v3, v2, v4
	v_mul_lo_u32 v4, v1, s4
	v_mul_lo_u32 v5, v1, s5
	v_lshrrev_b32_e32 v1, s17, v3
	v_mul_lo_u32 v3, v1, s15
	v_mul_hi_u32 v6, s19, v1
	v_sub_u32_e32 v2, v2, v3
	v_add_u32_e32 v3, v1, v6
	v_lshrrev_b32_e32 v3, s20, v3
	v_mul_hi_u32 v8, s22, v3
	v_mul_lo_u32 v9, v3, s18
	v_mul_lo_u32 v6, v2, s6
	;; [unrolled: 1-line block ×3, first 2 shown]
	v_sub_u32_e32 v9, v1, v9
	v_add_u32_e32 v1, v3, v8
	v_lshrrev_b32_e32 v1, s23, v1
	v_mul_lo_u32 v8, v1, s21
	v_mul_lo_u32 v10, v9, s8
	;; [unrolled: 1-line block ×3, first 2 shown]
	v_add3_u32 v0, v4, v0, v6
	v_sub_u32_e32 v3, v3, v8
	v_mul_lo_u32 v8, v3, s10
	v_mul_lo_u32 v3, v3, s11
	v_add3_u32 v2, v5, v23, v2
	v_add3_u32 v0, v10, v0, v8
	;; [unrolled: 1-line block ×3, first 2 shown]
	s_cbranch_scc1 .LBB304_419
; %bb.420:
	s_and_b32 s6, s27, 3
	s_cmp_eq_u32 s6, 0
	s_cbranch_scc0 .LBB304_425
	s_branch .LBB304_427
.LBB304_421:
	s_endpgm
.LBB304_422:
                                        ; implicit-def: $vgpr0
                                        ; implicit-def: $vgpr23
	s_branch .LBB304_428
.LBB304_423:
	v_mov_b32_e32 v0, 0
	v_mov_b32_e32 v23, 0
	s_branch .LBB304_427
.LBB304_424:
	v_mov_b32_e32 v0, 0
	v_mov_b32_e32 v23, 0
	;; [unrolled: 1-line block ×3, first 2 shown]
	s_and_b32 s6, s27, 3
	s_cmp_eq_u32 s6, 0
	s_cbranch_scc1 .LBB304_427
.LBB304_425:
	s_lshl_b32 s2, s26, 3
	s_add_u32 s2, s34, s2
	s_addc_u32 s3, s35, 0
	s_add_u32 s2, s2, 0xc4
	s_addc_u32 s3, s3, 0
	s_mul_i32 s4, s26, 12
	s_add_u32 s4, s34, s4
	s_addc_u32 s5, s35, 0
.LBB304_426:                            ; =>This Inner Loop Header: Depth=1
	s_load_dwordx2 s[8:9], s[4:5], 0x4
	s_load_dword s7, s[4:5], 0xc
	s_load_dwordx2 s[10:11], s[2:3], 0x0
	s_add_u32 s4, s4, 12
	s_addc_u32 s5, s5, 0
	s_waitcnt lgkmcnt(0)
	v_mul_hi_u32 v2, s9, v1
	s_add_u32 s2, s2, 8
	s_addc_u32 s3, s3, 0
	s_add_i32 s6, s6, -1
	v_add_u32_e32 v2, v1, v2
	v_lshrrev_b32_e32 v2, s7, v2
	v_mul_lo_u32 v3, v2, s8
	s_cmp_lg_u32 s6, 0
	v_sub_u32_e32 v3, v1, v3
	v_mad_u64_u32 v[0:1], s[8:9], v3, s10, v[0:1]
	v_mad_u64_u32 v[23:24], s[8:9], v3, s11, v[23:24]
	v_mov_b32_e32 v1, v2
	s_cbranch_scc1 .LBB304_426
.LBB304_427:
	s_cbranch_execnz .LBB304_430
.LBB304_428:
	s_load_dwordx4 s[4:7], s[34:35], 0x4
	s_load_dwordx2 s[2:3], s[34:35], 0xc4
	s_cmp_lt_u32 s33, 2
	s_waitcnt lgkmcnt(0)
	v_mul_hi_u32 v0, s5, v7
	v_add_u32_e32 v0, v7, v0
	v_lshrrev_b32_e32 v1, s6, v0
	v_mul_lo_u32 v0, v1, s4
	v_sub_u32_e32 v2, v7, v0
	v_mul_lo_u32 v0, v2, s2
	v_mul_lo_u32 v23, v2, s3
	s_cbranch_scc1 .LBB304_430
; %bb.429:
	s_load_dwordx4 s[4:7], s[34:35], 0x10
	s_load_dwordx2 s[2:3], s[34:35], 0xcc
	s_waitcnt lgkmcnt(0)
	v_mul_hi_u32 v2, s5, v1
	v_add_u32_e32 v2, v1, v2
	v_lshrrev_b32_e32 v2, s6, v2
	v_mul_lo_u32 v2, v2, s4
	v_sub_u32_e32 v2, v1, v2
	v_mad_u64_u32 v[0:1], s[4:5], v2, s2, v[0:1]
	v_mad_u64_u32 v[23:24], s[2:3], v2, s3, v[23:24]
.LBB304_430:
	s_and_b64 vcc, exec, s[0:1]
	v_add_u32_e32 v3, 0x80, v7
	s_cbranch_vccnz .LBB304_436
; %bb.431:
	s_cmp_lg_u32 s33, 0
	s_waitcnt lgkmcnt(0)
	s_mov_b32 s26, 0
	s_cbranch_scc0 .LBB304_437
; %bb.432:
	s_min_u32 s27, s58, 15
	s_add_i32 s27, s27, 1
	s_cmp_eq_u32 s58, 2
	s_cbranch_scc1 .LBB304_438
; %bb.433:
	s_and_b32 s26, s27, 28
	s_add_u32 s2, s34, 0xc4
	s_addc_u32 s3, s35, 0
	v_mov_b32_e32 v21, 0
	s_mov_b32 s28, 0
	s_mov_b64 s[24:25], s[34:35]
	v_mov_b32_e32 v1, 0
	v_mov_b32_e32 v2, v3
.LBB304_434:                            ; =>This Inner Loop Header: Depth=1
	s_load_dwordx8 s[12:19], s[24:25], 0x4
	s_load_dwordx4 s[20:23], s[24:25], 0x24
	s_load_dwordx8 s[4:11], s[2:3], 0x0
	s_add_u32 s24, s24, 48
	s_addc_u32 s25, s25, 0
	s_waitcnt lgkmcnt(0)
	v_mul_hi_u32 v4, s13, v2
	s_add_i32 s28, s28, 4
	s_add_u32 s2, s2, 32
	s_addc_u32 s3, s3, 0
	v_add_u32_e32 v4, v2, v4
	v_lshrrev_b32_e32 v4, s14, v4
	v_mul_lo_u32 v5, v4, s12
	v_mul_hi_u32 v6, s16, v4
	s_cmp_lg_u32 s26, s28
	v_sub_u32_e32 v2, v2, v5
	v_add_u32_e32 v5, v4, v6
	v_mul_lo_u32 v6, v2, s4
	v_mul_lo_u32 v8, v2, s5
	v_lshrrev_b32_e32 v2, s17, v5
	v_mul_lo_u32 v5, v2, s15
	v_mul_hi_u32 v9, s19, v2
	v_sub_u32_e32 v4, v4, v5
	v_add_u32_e32 v5, v2, v9
	v_lshrrev_b32_e32 v5, s20, v5
	v_mul_hi_u32 v10, s22, v5
	v_mul_lo_u32 v11, v5, s18
	v_mul_lo_u32 v9, v4, s6
	;; [unrolled: 1-line block ×3, first 2 shown]
	v_sub_u32_e32 v11, v2, v11
	v_add_u32_e32 v2, v5, v10
	v_lshrrev_b32_e32 v2, s23, v2
	v_mul_lo_u32 v10, v2, s21
	v_mul_lo_u32 v12, v11, s8
	;; [unrolled: 1-line block ×3, first 2 shown]
	v_add3_u32 v1, v6, v1, v9
	v_sub_u32_e32 v5, v5, v10
	v_mul_lo_u32 v10, v5, s10
	v_mul_lo_u32 v5, v5, s11
	v_add3_u32 v4, v8, v21, v4
	v_add3_u32 v1, v12, v1, v10
	;; [unrolled: 1-line block ×3, first 2 shown]
	s_cbranch_scc1 .LBB304_434
; %bb.435:
	s_and_b32 s6, s27, 3
	s_cmp_eq_u32 s6, 0
	s_cbranch_scc0 .LBB304_439
	s_branch .LBB304_441
.LBB304_436:
                                        ; implicit-def: $vgpr1
                                        ; implicit-def: $vgpr21
	s_branch .LBB304_442
.LBB304_437:
	v_mov_b32_e32 v1, 0
	v_mov_b32_e32 v21, 0
	s_branch .LBB304_441
.LBB304_438:
	v_mov_b32_e32 v1, 0
	v_mov_b32_e32 v21, 0
	;; [unrolled: 1-line block ×3, first 2 shown]
	s_and_b32 s6, s27, 3
	s_cmp_eq_u32 s6, 0
	s_cbranch_scc1 .LBB304_441
.LBB304_439:
	s_lshl_b32 s2, s26, 3
	s_add_u32 s2, s34, s2
	s_addc_u32 s3, s35, 0
	s_add_u32 s2, s2, 0xc4
	s_addc_u32 s3, s3, 0
	s_mul_i32 s4, s26, 12
	s_add_u32 s4, s34, s4
	s_addc_u32 s5, s35, 0
.LBB304_440:                            ; =>This Inner Loop Header: Depth=1
	s_load_dwordx2 s[8:9], s[4:5], 0x4
	s_load_dword s7, s[4:5], 0xc
	s_load_dwordx2 s[10:11], s[2:3], 0x0
	s_add_u32 s4, s4, 12
	s_addc_u32 s5, s5, 0
	s_waitcnt lgkmcnt(0)
	v_mul_hi_u32 v4, s9, v2
	s_add_u32 s2, s2, 8
	s_addc_u32 s3, s3, 0
	s_add_i32 s6, s6, -1
	v_add_u32_e32 v4, v2, v4
	v_lshrrev_b32_e32 v4, s7, v4
	v_mul_lo_u32 v5, v4, s8
	s_cmp_lg_u32 s6, 0
	v_sub_u32_e32 v5, v2, v5
	v_mad_u64_u32 v[1:2], s[8:9], v5, s10, v[1:2]
	v_mad_u64_u32 v[21:22], s[8:9], v5, s11, v[21:22]
	v_mov_b32_e32 v2, v4
	s_cbranch_scc1 .LBB304_440
.LBB304_441:
	s_cbranch_execnz .LBB304_444
.LBB304_442:
	s_load_dwordx4 s[4:7], s[34:35], 0x4
	s_load_dwordx2 s[2:3], s[34:35], 0xc4
	s_cmp_lt_u32 s33, 2
	s_waitcnt lgkmcnt(0)
	v_mul_hi_u32 v1, s5, v3
	v_add_u32_e32 v1, v3, v1
	v_lshrrev_b32_e32 v2, s6, v1
	v_mul_lo_u32 v1, v2, s4
	v_sub_u32_e32 v3, v3, v1
	v_mul_lo_u32 v1, v3, s2
	v_mul_lo_u32 v21, v3, s3
	s_cbranch_scc1 .LBB304_444
; %bb.443:
	s_load_dwordx4 s[4:7], s[34:35], 0x10
	s_load_dwordx2 s[2:3], s[34:35], 0xcc
	s_waitcnt lgkmcnt(0)
	v_mul_hi_u32 v3, s5, v2
	v_add_u32_e32 v3, v2, v3
	v_lshrrev_b32_e32 v3, s6, v3
	v_mul_lo_u32 v3, v3, s4
	v_sub_u32_e32 v3, v2, v3
	v_mad_u64_u32 v[1:2], s[4:5], v3, s2, v[1:2]
	v_mad_u64_u32 v[21:22], s[2:3], v3, s3, v[21:22]
.LBB304_444:
	s_and_b64 vcc, exec, s[0:1]
	v_add_u32_e32 v4, 0x100, v7
	s_cbranch_vccnz .LBB304_450
; %bb.445:
	s_cmp_lg_u32 s33, 0
	s_waitcnt lgkmcnt(0)
	s_mov_b32 s26, 0
	s_cbranch_scc0 .LBB304_451
; %bb.446:
	s_min_u32 s27, s58, 15
	s_add_i32 s27, s27, 1
	s_cmp_eq_u32 s58, 2
	s_cbranch_scc1 .LBB304_452
; %bb.447:
	s_and_b32 s26, s27, 28
	s_add_u32 s2, s34, 0xc4
	s_addc_u32 s3, s35, 0
	v_mov_b32_e32 v19, 0
	s_mov_b32 s28, 0
	s_mov_b64 s[24:25], s[34:35]
	v_mov_b32_e32 v2, 0
	v_mov_b32_e32 v3, v4
.LBB304_448:                            ; =>This Inner Loop Header: Depth=1
	s_load_dwordx8 s[12:19], s[24:25], 0x4
	s_load_dwordx4 s[20:23], s[24:25], 0x24
	s_load_dwordx8 s[4:11], s[2:3], 0x0
	s_add_u32 s24, s24, 48
	s_addc_u32 s25, s25, 0
	s_waitcnt lgkmcnt(0)
	v_mul_hi_u32 v5, s13, v3
	s_add_i32 s28, s28, 4
	s_add_u32 s2, s2, 32
	s_addc_u32 s3, s3, 0
	v_add_u32_e32 v5, v3, v5
	v_lshrrev_b32_e32 v5, s14, v5
	v_mul_lo_u32 v6, v5, s12
	v_mul_hi_u32 v8, s16, v5
	s_cmp_lg_u32 s26, s28
	v_sub_u32_e32 v3, v3, v6
	v_add_u32_e32 v6, v5, v8
	v_mul_lo_u32 v8, v3, s4
	v_mul_lo_u32 v9, v3, s5
	v_lshrrev_b32_e32 v3, s17, v6
	v_mul_lo_u32 v6, v3, s15
	v_mul_hi_u32 v10, s19, v3
	v_sub_u32_e32 v5, v5, v6
	v_add_u32_e32 v6, v3, v10
	v_lshrrev_b32_e32 v6, s20, v6
	v_mul_hi_u32 v11, s22, v6
	v_mul_lo_u32 v12, v6, s18
	v_mul_lo_u32 v10, v5, s6
	;; [unrolled: 1-line block ×3, first 2 shown]
	v_sub_u32_e32 v12, v3, v12
	v_add_u32_e32 v3, v6, v11
	v_lshrrev_b32_e32 v3, s23, v3
	v_mul_lo_u32 v11, v3, s21
	v_mul_lo_u32 v13, v12, s8
	;; [unrolled: 1-line block ×3, first 2 shown]
	v_add3_u32 v2, v8, v2, v10
	v_sub_u32_e32 v6, v6, v11
	v_mul_lo_u32 v11, v6, s10
	v_mul_lo_u32 v6, v6, s11
	v_add3_u32 v5, v9, v19, v5
	v_add3_u32 v2, v13, v2, v11
	;; [unrolled: 1-line block ×3, first 2 shown]
	s_cbranch_scc1 .LBB304_448
; %bb.449:
	s_and_b32 s6, s27, 3
	s_cmp_eq_u32 s6, 0
	s_cbranch_scc0 .LBB304_453
	s_branch .LBB304_455
.LBB304_450:
                                        ; implicit-def: $vgpr2
                                        ; implicit-def: $vgpr19
	s_branch .LBB304_456
.LBB304_451:
	v_mov_b32_e32 v2, 0
	v_mov_b32_e32 v19, 0
	s_branch .LBB304_455
.LBB304_452:
	v_mov_b32_e32 v2, 0
	v_mov_b32_e32 v19, 0
	;; [unrolled: 1-line block ×3, first 2 shown]
	s_and_b32 s6, s27, 3
	s_cmp_eq_u32 s6, 0
	s_cbranch_scc1 .LBB304_455
.LBB304_453:
	s_lshl_b32 s2, s26, 3
	s_add_u32 s2, s34, s2
	s_addc_u32 s3, s35, 0
	s_add_u32 s2, s2, 0xc4
	s_addc_u32 s3, s3, 0
	s_mul_i32 s4, s26, 12
	s_add_u32 s4, s34, s4
	s_addc_u32 s5, s35, 0
.LBB304_454:                            ; =>This Inner Loop Header: Depth=1
	s_load_dwordx2 s[8:9], s[4:5], 0x4
	s_load_dword s7, s[4:5], 0xc
	s_load_dwordx2 s[10:11], s[2:3], 0x0
	s_add_u32 s4, s4, 12
	s_addc_u32 s5, s5, 0
	s_waitcnt lgkmcnt(0)
	v_mul_hi_u32 v5, s9, v3
	s_add_u32 s2, s2, 8
	s_addc_u32 s3, s3, 0
	s_add_i32 s6, s6, -1
	v_add_u32_e32 v5, v3, v5
	v_lshrrev_b32_e32 v5, s7, v5
	v_mul_lo_u32 v6, v5, s8
	s_cmp_lg_u32 s6, 0
	v_sub_u32_e32 v6, v3, v6
	v_mad_u64_u32 v[2:3], s[8:9], v6, s10, v[2:3]
	v_mad_u64_u32 v[19:20], s[8:9], v6, s11, v[19:20]
	v_mov_b32_e32 v3, v5
	s_cbranch_scc1 .LBB304_454
.LBB304_455:
	s_cbranch_execnz .LBB304_458
.LBB304_456:
	s_load_dwordx4 s[4:7], s[34:35], 0x4
	s_load_dwordx2 s[2:3], s[34:35], 0xc4
	s_cmp_lt_u32 s33, 2
	s_waitcnt lgkmcnt(0)
	v_mul_hi_u32 v2, s5, v4
	v_add_u32_e32 v2, v4, v2
	v_lshrrev_b32_e32 v3, s6, v2
	v_mul_lo_u32 v2, v3, s4
	v_sub_u32_e32 v4, v4, v2
	v_mul_lo_u32 v2, v4, s2
	v_mul_lo_u32 v19, v4, s3
	s_cbranch_scc1 .LBB304_458
; %bb.457:
	s_load_dwordx4 s[4:7], s[34:35], 0x10
	s_load_dwordx2 s[2:3], s[34:35], 0xcc
	s_waitcnt lgkmcnt(0)
	v_mul_hi_u32 v4, s5, v3
	v_add_u32_e32 v4, v3, v4
	v_lshrrev_b32_e32 v4, s6, v4
	v_mul_lo_u32 v4, v4, s4
	v_sub_u32_e32 v4, v3, v4
	v_mad_u64_u32 v[2:3], s[4:5], v4, s2, v[2:3]
	v_mad_u64_u32 v[19:20], s[2:3], v4, s3, v[19:20]
.LBB304_458:
	s_and_b64 vcc, exec, s[0:1]
	v_add_u32_e32 v5, 0x180, v7
	s_cbranch_vccnz .LBB304_464
; %bb.459:
	s_cmp_lg_u32 s33, 0
	s_waitcnt lgkmcnt(0)
	s_mov_b32 s26, 0
	s_cbranch_scc0 .LBB304_465
; %bb.460:
	s_min_u32 s27, s58, 15
	s_add_i32 s27, s27, 1
	s_cmp_eq_u32 s58, 2
	s_cbranch_scc1 .LBB304_466
; %bb.461:
	s_and_b32 s26, s27, 28
	s_add_u32 s2, s34, 0xc4
	s_addc_u32 s3, s35, 0
	v_mov_b32_e32 v17, 0
	s_mov_b32 s28, 0
	s_mov_b64 s[24:25], s[34:35]
	v_mov_b32_e32 v3, 0
	v_mov_b32_e32 v4, v5
.LBB304_462:                            ; =>This Inner Loop Header: Depth=1
	s_load_dwordx8 s[12:19], s[24:25], 0x4
	s_load_dwordx4 s[20:23], s[24:25], 0x24
	s_load_dwordx8 s[4:11], s[2:3], 0x0
	s_add_u32 s24, s24, 48
	s_addc_u32 s25, s25, 0
	s_waitcnt lgkmcnt(0)
	v_mul_hi_u32 v6, s13, v4
	s_add_i32 s28, s28, 4
	s_add_u32 s2, s2, 32
	s_addc_u32 s3, s3, 0
	v_add_u32_e32 v6, v4, v6
	v_lshrrev_b32_e32 v6, s14, v6
	v_mul_lo_u32 v8, v6, s12
	v_mul_hi_u32 v9, s16, v6
	s_cmp_lg_u32 s26, s28
	v_sub_u32_e32 v4, v4, v8
	v_add_u32_e32 v8, v6, v9
	v_mul_lo_u32 v9, v4, s4
	v_mul_lo_u32 v10, v4, s5
	v_lshrrev_b32_e32 v4, s17, v8
	v_mul_lo_u32 v8, v4, s15
	v_mul_hi_u32 v11, s19, v4
	v_sub_u32_e32 v6, v6, v8
	v_add_u32_e32 v8, v4, v11
	v_lshrrev_b32_e32 v8, s20, v8
	v_mul_hi_u32 v12, s22, v8
	v_mul_lo_u32 v13, v8, s18
	v_mul_lo_u32 v11, v6, s6
	v_mul_lo_u32 v6, v6, s7
	v_sub_u32_e32 v13, v4, v13
	v_add_u32_e32 v4, v8, v12
	v_lshrrev_b32_e32 v4, s23, v4
	v_mul_lo_u32 v12, v4, s21
	v_mul_lo_u32 v14, v13, s8
	;; [unrolled: 1-line block ×3, first 2 shown]
	v_add3_u32 v3, v9, v3, v11
	v_sub_u32_e32 v8, v8, v12
	v_mul_lo_u32 v12, v8, s10
	v_mul_lo_u32 v8, v8, s11
	v_add3_u32 v6, v10, v17, v6
	v_add3_u32 v3, v14, v3, v12
	;; [unrolled: 1-line block ×3, first 2 shown]
	s_cbranch_scc1 .LBB304_462
; %bb.463:
	s_and_b32 s6, s27, 3
	s_cmp_eq_u32 s6, 0
	s_cbranch_scc0 .LBB304_467
	s_branch .LBB304_469
.LBB304_464:
                                        ; implicit-def: $vgpr3
                                        ; implicit-def: $vgpr17
	s_branch .LBB304_470
.LBB304_465:
	v_mov_b32_e32 v3, 0
	v_mov_b32_e32 v17, 0
	s_branch .LBB304_469
.LBB304_466:
	v_mov_b32_e32 v3, 0
	v_mov_b32_e32 v17, 0
	;; [unrolled: 1-line block ×3, first 2 shown]
	s_and_b32 s6, s27, 3
	s_cmp_eq_u32 s6, 0
	s_cbranch_scc1 .LBB304_469
.LBB304_467:
	s_lshl_b32 s2, s26, 3
	s_add_u32 s2, s34, s2
	s_addc_u32 s3, s35, 0
	s_add_u32 s2, s2, 0xc4
	s_addc_u32 s3, s3, 0
	s_mul_i32 s4, s26, 12
	s_add_u32 s4, s34, s4
	s_addc_u32 s5, s35, 0
.LBB304_468:                            ; =>This Inner Loop Header: Depth=1
	s_load_dwordx2 s[8:9], s[4:5], 0x4
	s_load_dword s7, s[4:5], 0xc
	s_load_dwordx2 s[10:11], s[2:3], 0x0
	s_add_u32 s4, s4, 12
	s_addc_u32 s5, s5, 0
	s_waitcnt lgkmcnt(0)
	v_mul_hi_u32 v6, s9, v4
	s_add_u32 s2, s2, 8
	s_addc_u32 s3, s3, 0
	s_add_i32 s6, s6, -1
	v_add_u32_e32 v6, v4, v6
	v_lshrrev_b32_e32 v6, s7, v6
	v_mul_lo_u32 v8, v6, s8
	s_cmp_lg_u32 s6, 0
	v_sub_u32_e32 v8, v4, v8
	v_mad_u64_u32 v[3:4], s[8:9], v8, s10, v[3:4]
	v_mad_u64_u32 v[17:18], s[8:9], v8, s11, v[17:18]
	v_mov_b32_e32 v4, v6
	s_cbranch_scc1 .LBB304_468
.LBB304_469:
	s_cbranch_execnz .LBB304_472
.LBB304_470:
	s_load_dwordx4 s[4:7], s[34:35], 0x4
	s_load_dwordx2 s[2:3], s[34:35], 0xc4
	s_cmp_lt_u32 s33, 2
	s_waitcnt lgkmcnt(0)
	v_mul_hi_u32 v3, s5, v5
	v_add_u32_e32 v3, v5, v3
	v_lshrrev_b32_e32 v4, s6, v3
	v_mul_lo_u32 v3, v4, s4
	v_sub_u32_e32 v5, v5, v3
	v_mul_lo_u32 v3, v5, s2
	v_mul_lo_u32 v17, v5, s3
	s_cbranch_scc1 .LBB304_472
; %bb.471:
	s_load_dwordx4 s[4:7], s[34:35], 0x10
	s_load_dwordx2 s[2:3], s[34:35], 0xcc
	s_waitcnt lgkmcnt(0)
	v_mul_hi_u32 v5, s5, v4
	v_add_u32_e32 v5, v4, v5
	v_lshrrev_b32_e32 v5, s6, v5
	v_mul_lo_u32 v5, v5, s4
	v_sub_u32_e32 v5, v4, v5
	v_mad_u64_u32 v[3:4], s[4:5], v5, s2, v[3:4]
	v_mad_u64_u32 v[17:18], s[2:3], v5, s3, v[17:18]
.LBB304_472:
	s_and_b64 vcc, exec, s[0:1]
	v_add_u32_e32 v6, 0x200, v7
	s_cbranch_vccnz .LBB304_478
; %bb.473:
	s_cmp_lg_u32 s33, 0
	s_waitcnt lgkmcnt(0)
	s_mov_b32 s26, 0
	s_cbranch_scc0 .LBB304_479
; %bb.474:
	s_min_u32 s27, s58, 15
	s_add_i32 s27, s27, 1
	s_cmp_eq_u32 s58, 2
	s_cbranch_scc1 .LBB304_480
; %bb.475:
	s_and_b32 s26, s27, 28
	s_add_u32 s2, s34, 0xc4
	s_addc_u32 s3, s35, 0
	v_mov_b32_e32 v15, 0
	s_mov_b32 s28, 0
	s_mov_b64 s[24:25], s[34:35]
	v_mov_b32_e32 v4, 0
	v_mov_b32_e32 v5, v6
.LBB304_476:                            ; =>This Inner Loop Header: Depth=1
	s_load_dwordx8 s[12:19], s[24:25], 0x4
	s_load_dwordx4 s[20:23], s[24:25], 0x24
	s_load_dwordx8 s[4:11], s[2:3], 0x0
	s_add_u32 s24, s24, 48
	s_addc_u32 s25, s25, 0
	s_waitcnt lgkmcnt(0)
	v_mul_hi_u32 v8, s13, v5
	s_add_i32 s28, s28, 4
	s_add_u32 s2, s2, 32
	s_addc_u32 s3, s3, 0
	v_add_u32_e32 v8, v5, v8
	v_lshrrev_b32_e32 v8, s14, v8
	v_mul_lo_u32 v9, v8, s12
	v_mul_hi_u32 v10, s16, v8
	s_cmp_lg_u32 s26, s28
	v_sub_u32_e32 v5, v5, v9
	v_add_u32_e32 v9, v8, v10
	v_mul_lo_u32 v10, v5, s4
	v_mul_lo_u32 v11, v5, s5
	v_lshrrev_b32_e32 v5, s17, v9
	v_mul_lo_u32 v9, v5, s15
	v_mul_hi_u32 v12, s19, v5
	v_sub_u32_e32 v8, v8, v9
	v_add_u32_e32 v9, v5, v12
	v_lshrrev_b32_e32 v9, s20, v9
	v_mul_hi_u32 v13, s22, v9
	v_mul_lo_u32 v14, v9, s18
	v_mul_lo_u32 v12, v8, s6
	;; [unrolled: 1-line block ×3, first 2 shown]
	v_sub_u32_e32 v14, v5, v14
	v_add_u32_e32 v5, v9, v13
	v_lshrrev_b32_e32 v5, s23, v5
	v_mul_lo_u32 v13, v5, s21
	v_mul_lo_u32 v16, v14, s8
	v_mul_lo_u32 v14, v14, s9
	v_add3_u32 v4, v10, v4, v12
	v_sub_u32_e32 v9, v9, v13
	v_mul_lo_u32 v13, v9, s10
	v_mul_lo_u32 v9, v9, s11
	v_add3_u32 v8, v11, v15, v8
	v_add3_u32 v4, v16, v4, v13
	v_add3_u32 v15, v14, v8, v9
	s_cbranch_scc1 .LBB304_476
; %bb.477:
	s_and_b32 s6, s27, 3
	s_cmp_eq_u32 s6, 0
	s_cbranch_scc0 .LBB304_481
	s_branch .LBB304_483
.LBB304_478:
                                        ; implicit-def: $vgpr4
                                        ; implicit-def: $vgpr15
	s_branch .LBB304_484
.LBB304_479:
	v_mov_b32_e32 v4, 0
	v_mov_b32_e32 v15, 0
	s_branch .LBB304_483
.LBB304_480:
	v_mov_b32_e32 v4, 0
	v_mov_b32_e32 v15, 0
	;; [unrolled: 1-line block ×3, first 2 shown]
	s_and_b32 s6, s27, 3
	s_cmp_eq_u32 s6, 0
	s_cbranch_scc1 .LBB304_483
.LBB304_481:
	s_lshl_b32 s2, s26, 3
	s_add_u32 s2, s34, s2
	s_addc_u32 s3, s35, 0
	s_add_u32 s2, s2, 0xc4
	s_addc_u32 s3, s3, 0
	s_mul_i32 s4, s26, 12
	s_add_u32 s4, s34, s4
	s_addc_u32 s5, s35, 0
.LBB304_482:                            ; =>This Inner Loop Header: Depth=1
	s_load_dwordx2 s[8:9], s[4:5], 0x4
	s_load_dword s7, s[4:5], 0xc
	s_load_dwordx2 s[10:11], s[2:3], 0x0
	s_add_u32 s4, s4, 12
	s_addc_u32 s5, s5, 0
	s_waitcnt lgkmcnt(0)
	v_mul_hi_u32 v8, s9, v5
	s_add_u32 s2, s2, 8
	s_addc_u32 s3, s3, 0
	s_add_i32 s6, s6, -1
	v_add_u32_e32 v8, v5, v8
	v_lshrrev_b32_e32 v8, s7, v8
	v_mul_lo_u32 v9, v8, s8
	s_cmp_lg_u32 s6, 0
	v_sub_u32_e32 v9, v5, v9
	v_mad_u64_u32 v[4:5], s[8:9], v9, s10, v[4:5]
	v_mad_u64_u32 v[15:16], s[8:9], v9, s11, v[15:16]
	v_mov_b32_e32 v5, v8
	s_cbranch_scc1 .LBB304_482
.LBB304_483:
	s_cbranch_execnz .LBB304_486
.LBB304_484:
	s_load_dwordx4 s[4:7], s[34:35], 0x4
	s_load_dwordx2 s[2:3], s[34:35], 0xc4
	s_cmp_lt_u32 s33, 2
	s_waitcnt lgkmcnt(0)
	v_mul_hi_u32 v4, s5, v6
	v_add_u32_e32 v4, v6, v4
	v_lshrrev_b32_e32 v5, s6, v4
	v_mul_lo_u32 v4, v5, s4
	v_sub_u32_e32 v6, v6, v4
	v_mul_lo_u32 v4, v6, s2
	v_mul_lo_u32 v15, v6, s3
	s_cbranch_scc1 .LBB304_486
; %bb.485:
	s_load_dwordx4 s[4:7], s[34:35], 0x10
	s_load_dwordx2 s[2:3], s[34:35], 0xcc
	s_waitcnt lgkmcnt(0)
	v_mul_hi_u32 v6, s5, v5
	v_add_u32_e32 v6, v5, v6
	v_lshrrev_b32_e32 v6, s6, v6
	v_mul_lo_u32 v6, v6, s4
	v_sub_u32_e32 v6, v5, v6
	v_mad_u64_u32 v[4:5], s[4:5], v6, s2, v[4:5]
	v_mad_u64_u32 v[15:16], s[2:3], v6, s3, v[15:16]
.LBB304_486:
	s_and_b64 vcc, exec, s[0:1]
	v_add_u32_e32 v8, 0x280, v7
	s_cbranch_vccnz .LBB304_492
; %bb.487:
	s_cmp_lg_u32 s33, 0
	s_waitcnt lgkmcnt(0)
	s_mov_b32 s26, 0
	s_cbranch_scc0 .LBB304_493
; %bb.488:
	s_min_u32 s27, s58, 15
	s_add_i32 s27, s27, 1
	s_cmp_eq_u32 s58, 2
	s_cbranch_scc1 .LBB304_494
; %bb.489:
	s_and_b32 s26, s27, 28
	s_add_u32 s2, s34, 0xc4
	s_addc_u32 s3, s35, 0
	v_mov_b32_e32 v13, 0
	s_mov_b32 s28, 0
	s_mov_b64 s[24:25], s[34:35]
	v_mov_b32_e32 v5, 0
	v_mov_b32_e32 v6, v8
.LBB304_490:                            ; =>This Inner Loop Header: Depth=1
	s_load_dwordx8 s[12:19], s[24:25], 0x4
	s_load_dwordx4 s[20:23], s[24:25], 0x24
	s_load_dwordx8 s[4:11], s[2:3], 0x0
	s_add_u32 s24, s24, 48
	s_addc_u32 s25, s25, 0
	s_waitcnt lgkmcnt(0)
	v_mul_hi_u32 v9, s13, v6
	s_add_i32 s28, s28, 4
	s_add_u32 s2, s2, 32
	s_addc_u32 s3, s3, 0
	v_add_u32_e32 v9, v6, v9
	v_lshrrev_b32_e32 v9, s14, v9
	v_mul_lo_u32 v10, v9, s12
	v_mul_hi_u32 v11, s16, v9
	s_cmp_lg_u32 s26, s28
	v_sub_u32_e32 v6, v6, v10
	v_add_u32_e32 v10, v9, v11
	v_mul_lo_u32 v11, v6, s4
	v_mul_lo_u32 v12, v6, s5
	v_lshrrev_b32_e32 v6, s17, v10
	v_mul_lo_u32 v10, v6, s15
	v_mul_hi_u32 v14, s19, v6
	v_sub_u32_e32 v9, v9, v10
	v_add_u32_e32 v10, v6, v14
	v_lshrrev_b32_e32 v10, s20, v10
	v_mul_hi_u32 v16, s22, v10
	v_mul_lo_u32 v18, v10, s18
	v_mul_lo_u32 v14, v9, s6
	;; [unrolled: 1-line block ×3, first 2 shown]
	v_sub_u32_e32 v18, v6, v18
	v_add_u32_e32 v6, v10, v16
	v_lshrrev_b32_e32 v6, s23, v6
	v_mul_lo_u32 v16, v6, s21
	v_mul_lo_u32 v20, v18, s8
	;; [unrolled: 1-line block ×3, first 2 shown]
	v_add3_u32 v5, v11, v5, v14
	v_sub_u32_e32 v10, v10, v16
	v_mul_lo_u32 v16, v10, s10
	v_mul_lo_u32 v10, v10, s11
	v_add3_u32 v9, v12, v13, v9
	v_add3_u32 v5, v20, v5, v16
	;; [unrolled: 1-line block ×3, first 2 shown]
	s_cbranch_scc1 .LBB304_490
; %bb.491:
	s_and_b32 s6, s27, 3
	s_cmp_eq_u32 s6, 0
	s_cbranch_scc0 .LBB304_495
	s_branch .LBB304_497
.LBB304_492:
                                        ; implicit-def: $vgpr5
                                        ; implicit-def: $vgpr13
	s_branch .LBB304_498
.LBB304_493:
	v_mov_b32_e32 v5, 0
	v_mov_b32_e32 v13, 0
	s_branch .LBB304_497
.LBB304_494:
	v_mov_b32_e32 v5, 0
	v_mov_b32_e32 v13, 0
	;; [unrolled: 1-line block ×3, first 2 shown]
	s_and_b32 s6, s27, 3
	s_cmp_eq_u32 s6, 0
	s_cbranch_scc1 .LBB304_497
.LBB304_495:
	s_lshl_b32 s2, s26, 3
	s_add_u32 s2, s34, s2
	s_addc_u32 s3, s35, 0
	s_add_u32 s2, s2, 0xc4
	s_addc_u32 s3, s3, 0
	s_mul_i32 s4, s26, 12
	s_add_u32 s4, s34, s4
	s_addc_u32 s5, s35, 0
.LBB304_496:                            ; =>This Inner Loop Header: Depth=1
	s_load_dwordx2 s[8:9], s[4:5], 0x4
	s_load_dword s7, s[4:5], 0xc
	s_load_dwordx2 s[10:11], s[2:3], 0x0
	s_add_u32 s4, s4, 12
	s_addc_u32 s5, s5, 0
	s_waitcnt lgkmcnt(0)
	v_mul_hi_u32 v9, s9, v6
	s_add_u32 s2, s2, 8
	s_addc_u32 s3, s3, 0
	s_add_i32 s6, s6, -1
	v_add_u32_e32 v9, v6, v9
	v_lshrrev_b32_e32 v9, s7, v9
	v_mul_lo_u32 v10, v9, s8
	s_cmp_lg_u32 s6, 0
	v_sub_u32_e32 v10, v6, v10
	v_mad_u64_u32 v[5:6], s[8:9], v10, s10, v[5:6]
	v_mad_u64_u32 v[13:14], s[8:9], v10, s11, v[13:14]
	v_mov_b32_e32 v6, v9
	s_cbranch_scc1 .LBB304_496
.LBB304_497:
	s_cbranch_execnz .LBB304_500
.LBB304_498:
	s_load_dwordx4 s[4:7], s[34:35], 0x4
	s_load_dwordx2 s[2:3], s[34:35], 0xc4
	s_cmp_lt_u32 s33, 2
	s_waitcnt lgkmcnt(0)
	v_mul_hi_u32 v5, s5, v8
	v_add_u32_e32 v5, v8, v5
	v_lshrrev_b32_e32 v6, s6, v5
	v_mul_lo_u32 v5, v6, s4
	v_sub_u32_e32 v8, v8, v5
	v_mul_lo_u32 v5, v8, s2
	v_mul_lo_u32 v13, v8, s3
	s_cbranch_scc1 .LBB304_500
; %bb.499:
	s_load_dwordx4 s[4:7], s[34:35], 0x10
	s_load_dwordx2 s[2:3], s[34:35], 0xcc
	s_waitcnt lgkmcnt(0)
	v_mul_hi_u32 v8, s5, v6
	v_add_u32_e32 v8, v6, v8
	v_lshrrev_b32_e32 v8, s6, v8
	v_mul_lo_u32 v8, v8, s4
	v_sub_u32_e32 v8, v6, v8
	v_mad_u64_u32 v[5:6], s[4:5], v8, s2, v[5:6]
	v_mad_u64_u32 v[13:14], s[2:3], v8, s3, v[13:14]
.LBB304_500:
	s_and_b64 vcc, exec, s[0:1]
	v_add_u32_e32 v8, 0x300, v7
	s_cbranch_vccnz .LBB304_506
; %bb.501:
	s_cmp_lg_u32 s33, 0
	s_waitcnt lgkmcnt(0)
	s_mov_b32 s26, 0
	s_cbranch_scc0 .LBB304_507
; %bb.502:
	s_min_u32 s27, s58, 15
	s_add_i32 s27, s27, 1
	s_cmp_eq_u32 s58, 2
	s_cbranch_scc1 .LBB304_508
; %bb.503:
	s_and_b32 s26, s27, 28
	s_add_u32 s2, s34, 0xc4
	s_addc_u32 s3, s35, 0
	v_mov_b32_e32 v11, 0
	s_mov_b32 s28, 0
	s_mov_b64 s[24:25], s[34:35]
	v_mov_b32_e32 v6, 0
	v_mov_b32_e32 v7, v8
.LBB304_504:                            ; =>This Inner Loop Header: Depth=1
	s_load_dwordx8 s[12:19], s[24:25], 0x4
	s_load_dwordx4 s[20:23], s[24:25], 0x24
	s_load_dwordx8 s[4:11], s[2:3], 0x0
	s_add_u32 s24, s24, 48
	s_addc_u32 s25, s25, 0
	s_waitcnt lgkmcnt(0)
	v_mul_hi_u32 v9, s13, v7
	s_add_i32 s28, s28, 4
	s_add_u32 s2, s2, 32
	s_addc_u32 s3, s3, 0
	v_add_u32_e32 v9, v7, v9
	v_lshrrev_b32_e32 v9, s14, v9
	v_mul_lo_u32 v10, v9, s12
	v_mul_hi_u32 v12, s16, v9
	s_cmp_lg_u32 s26, s28
	v_sub_u32_e32 v7, v7, v10
	v_add_u32_e32 v10, v9, v12
	v_mul_lo_u32 v12, v7, s4
	v_mul_lo_u32 v14, v7, s5
	v_lshrrev_b32_e32 v7, s17, v10
	v_mul_lo_u32 v10, v7, s15
	v_mul_hi_u32 v16, s19, v7
	v_sub_u32_e32 v9, v9, v10
	v_add_u32_e32 v10, v7, v16
	v_lshrrev_b32_e32 v10, s20, v10
	v_mul_hi_u32 v18, s22, v10
	v_mul_lo_u32 v20, v10, s18
	v_mul_lo_u32 v16, v9, s6
	;; [unrolled: 1-line block ×3, first 2 shown]
	v_sub_u32_e32 v20, v7, v20
	v_add_u32_e32 v7, v10, v18
	v_lshrrev_b32_e32 v7, s23, v7
	v_mul_lo_u32 v18, v7, s21
	v_mul_lo_u32 v22, v20, s8
	;; [unrolled: 1-line block ×3, first 2 shown]
	v_add3_u32 v6, v12, v6, v16
	v_sub_u32_e32 v10, v10, v18
	v_mul_lo_u32 v18, v10, s10
	v_mul_lo_u32 v10, v10, s11
	v_add3_u32 v9, v14, v11, v9
	v_add3_u32 v6, v22, v6, v18
	;; [unrolled: 1-line block ×3, first 2 shown]
	s_cbranch_scc1 .LBB304_504
; %bb.505:
	s_and_b32 s6, s27, 3
	s_cmp_eq_u32 s6, 0
	s_cbranch_scc0 .LBB304_509
	s_branch .LBB304_511
.LBB304_506:
                                        ; implicit-def: $vgpr6
                                        ; implicit-def: $vgpr11
	s_branch .LBB304_512
.LBB304_507:
	v_mov_b32_e32 v6, 0
	v_mov_b32_e32 v11, 0
	s_branch .LBB304_511
.LBB304_508:
	v_mov_b32_e32 v6, 0
	v_mov_b32_e32 v11, 0
	;; [unrolled: 1-line block ×3, first 2 shown]
	s_and_b32 s6, s27, 3
	s_cmp_eq_u32 s6, 0
	s_cbranch_scc1 .LBB304_511
.LBB304_509:
	s_lshl_b32 s2, s26, 3
	s_add_u32 s2, s34, s2
	s_addc_u32 s3, s35, 0
	s_add_u32 s2, s2, 0xc4
	s_addc_u32 s3, s3, 0
	s_mul_i32 s4, s26, 12
	s_add_u32 s4, s34, s4
	s_addc_u32 s5, s35, 0
.LBB304_510:                            ; =>This Inner Loop Header: Depth=1
	s_load_dwordx2 s[8:9], s[4:5], 0x4
	s_load_dword s7, s[4:5], 0xc
	s_load_dwordx2 s[10:11], s[2:3], 0x0
	s_add_u32 s4, s4, 12
	s_addc_u32 s5, s5, 0
	s_waitcnt lgkmcnt(0)
	v_mul_hi_u32 v9, s9, v7
	s_add_u32 s2, s2, 8
	s_addc_u32 s3, s3, 0
	s_add_i32 s6, s6, -1
	v_add_u32_e32 v9, v7, v9
	v_lshrrev_b32_e32 v9, s7, v9
	v_mul_lo_u32 v10, v9, s8
	s_cmp_lg_u32 s6, 0
	v_sub_u32_e32 v10, v7, v10
	v_mad_u64_u32 v[6:7], s[8:9], v10, s10, v[6:7]
	v_mad_u64_u32 v[11:12], s[8:9], v10, s11, v[11:12]
	v_mov_b32_e32 v7, v9
	s_cbranch_scc1 .LBB304_510
.LBB304_511:
	s_cbranch_execnz .LBB304_514
.LBB304_512:
	s_load_dwordx4 s[4:7], s[34:35], 0x4
	s_load_dwordx2 s[2:3], s[34:35], 0xc4
	s_cmp_lt_u32 s33, 2
	s_waitcnt lgkmcnt(0)
	v_mul_hi_u32 v6, s5, v8
	v_add_u32_e32 v6, v8, v6
	v_lshrrev_b32_e32 v7, s6, v6
	v_mul_lo_u32 v6, v7, s4
	v_sub_u32_e32 v8, v8, v6
	v_mul_lo_u32 v6, v8, s2
	v_mul_lo_u32 v11, v8, s3
	s_cbranch_scc1 .LBB304_514
; %bb.513:
	s_load_dwordx4 s[4:7], s[34:35], 0x10
	s_load_dwordx2 s[2:3], s[34:35], 0xcc
	s_waitcnt lgkmcnt(0)
	v_mul_hi_u32 v8, s5, v7
	v_add_u32_e32 v8, v7, v8
	v_lshrrev_b32_e32 v8, s6, v8
	v_mul_lo_u32 v8, v8, s4
	v_sub_u32_e32 v8, v7, v8
	v_mad_u64_u32 v[6:7], s[4:5], v8, s2, v[6:7]
	v_mad_u64_u32 v[11:12], s[2:3], v8, s3, v[11:12]
.LBB304_514:
	s_and_b64 vcc, exec, s[0:1]
	s_cbranch_vccnz .LBB304_520
; %bb.515:
	s_cmp_lg_u32 s33, 0
	s_waitcnt lgkmcnt(0)
	s_mov_b32 s24, 0
	s_cbranch_scc0 .LBB304_521
; %bb.516:
	s_min_u32 s25, s58, 15
	s_add_i32 s25, s25, 1
	s_cmp_eq_u32 s58, 2
	s_cbranch_scc1 .LBB304_522
; %bb.517:
	s_and_b32 s24, s25, 28
	s_add_u32 s20, s34, 0xc4
	s_addc_u32 s21, s35, 0
	v_mov_b32_e32 v9, 0
	s_mov_b32 s26, 0
	s_mov_b64 s[22:23], s[34:35]
	v_mov_b32_e32 v7, 0
	v_mov_b32_e32 v8, v25
.LBB304_518:                            ; =>This Inner Loop Header: Depth=1
	s_load_dwordx8 s[8:15], s[22:23], 0x4
	s_load_dwordx4 s[16:19], s[22:23], 0x24
	s_load_dwordx8 s[0:7], s[20:21], 0x0
	s_add_u32 s22, s22, 48
	s_addc_u32 s23, s23, 0
	s_waitcnt lgkmcnt(0)
	v_mul_hi_u32 v10, s9, v8
	s_add_i32 s26, s26, 4
	s_add_u32 s20, s20, 32
	s_addc_u32 s21, s21, 0
	v_add_u32_e32 v10, v8, v10
	v_lshrrev_b32_e32 v10, s10, v10
	v_mul_lo_u32 v12, v10, s8
	v_mul_hi_u32 v14, s12, v10
	s_cmp_lg_u32 s24, s26
	v_sub_u32_e32 v8, v8, v12
	v_add_u32_e32 v12, v10, v14
	v_mul_lo_u32 v14, v8, s0
	v_mul_lo_u32 v16, v8, s1
	v_lshrrev_b32_e32 v8, s13, v12
	v_mul_lo_u32 v12, v8, s11
	v_mul_hi_u32 v18, s15, v8
	v_sub_u32_e32 v10, v10, v12
	v_add_u32_e32 v12, v8, v18
	v_lshrrev_b32_e32 v12, s16, v12
	v_mul_hi_u32 v20, s18, v12
	v_mul_lo_u32 v22, v12, s14
	v_mul_lo_u32 v18, v10, s2
	;; [unrolled: 1-line block ×3, first 2 shown]
	v_sub_u32_e32 v22, v8, v22
	v_add_u32_e32 v8, v12, v20
	v_lshrrev_b32_e32 v8, s19, v8
	v_mul_lo_u32 v20, v8, s17
	v_mul_lo_u32 v24, v22, s4
	;; [unrolled: 1-line block ×3, first 2 shown]
	v_add3_u32 v7, v14, v7, v18
	v_sub_u32_e32 v12, v12, v20
	v_mul_lo_u32 v20, v12, s6
	v_mul_lo_u32 v12, v12, s7
	v_add3_u32 v9, v16, v9, v10
	v_add3_u32 v7, v24, v7, v20
	;; [unrolled: 1-line block ×3, first 2 shown]
	s_cbranch_scc1 .LBB304_518
; %bb.519:
	s_and_b32 s4, s25, 3
	s_cmp_eq_u32 s4, 0
	s_cbranch_scc0 .LBB304_523
	s_branch .LBB304_525
.LBB304_520:
                                        ; implicit-def: $vgpr7
                                        ; implicit-def: $vgpr9
	s_branch .LBB304_526
.LBB304_521:
	v_mov_b32_e32 v7, 0
	v_mov_b32_e32 v9, 0
	s_branch .LBB304_525
.LBB304_522:
	v_mov_b32_e32 v7, 0
	v_mov_b32_e32 v9, 0
	;; [unrolled: 1-line block ×3, first 2 shown]
	s_and_b32 s4, s25, 3
	s_cmp_eq_u32 s4, 0
	s_cbranch_scc1 .LBB304_525
.LBB304_523:
	s_lshl_b32 s0, s24, 3
	s_add_u32 s0, s34, s0
	s_addc_u32 s1, s35, 0
	s_add_u32 s0, s0, 0xc4
	s_addc_u32 s1, s1, 0
	s_mul_i32 s2, s24, 12
	s_add_u32 s2, s34, s2
	s_addc_u32 s3, s35, 0
.LBB304_524:                            ; =>This Inner Loop Header: Depth=1
	s_load_dwordx2 s[6:7], s[2:3], 0x4
	s_load_dword s5, s[2:3], 0xc
	s_load_dwordx2 s[8:9], s[0:1], 0x0
	s_add_u32 s2, s2, 12
	s_addc_u32 s3, s3, 0
	s_waitcnt lgkmcnt(0)
	v_mul_hi_u32 v10, s7, v8
	s_add_u32 s0, s0, 8
	s_addc_u32 s1, s1, 0
	s_add_i32 s4, s4, -1
	v_add_u32_e32 v10, v8, v10
	v_lshrrev_b32_e32 v12, s5, v10
	v_mul_lo_u32 v10, v12, s6
	s_cmp_lg_u32 s4, 0
	v_sub_u32_e32 v10, v8, v10
	v_mad_u64_u32 v[7:8], s[6:7], v10, s8, v[7:8]
	v_mad_u64_u32 v[9:10], s[6:7], v10, s9, v[9:10]
	v_mov_b32_e32 v8, v12
	s_cbranch_scc1 .LBB304_524
.LBB304_525:
	s_cbranch_execnz .LBB304_528
.LBB304_526:
	s_load_dwordx4 s[0:3], s[34:35], 0x4
	s_load_dwordx2 s[4:5], s[34:35], 0xc4
	s_cmp_lt_u32 s33, 2
	s_waitcnt lgkmcnt(0)
	v_mul_hi_u32 v7, s1, v25
	v_add_u32_e32 v7, v25, v7
	v_lshrrev_b32_e32 v8, s2, v7
	v_mul_lo_u32 v7, v8, s0
	v_sub_u32_e32 v9, v25, v7
	v_mul_lo_u32 v7, v9, s4
	v_mul_lo_u32 v9, v9, s5
	s_cbranch_scc1 .LBB304_528
; %bb.527:
	s_load_dwordx4 s[0:3], s[34:35], 0x10
	s_load_dwordx2 s[4:5], s[34:35], 0xcc
	s_waitcnt lgkmcnt(0)
	v_mul_hi_u32 v10, s1, v8
	v_add_u32_e32 v10, v8, v10
	v_lshrrev_b32_e32 v10, s2, v10
	v_mul_lo_u32 v10, v10, s0
	v_sub_u32_e32 v10, v8, v10
	v_mad_u64_u32 v[7:8], s[0:1], v10, s4, v[7:8]
	v_mad_u64_u32 v[9:10], s[0:1], v10, s5, v[9:10]
.LBB304_528:
	s_load_dwordx4 s[0:3], s[34:35], 0x148
	s_load_dwordx2 s[4:5], s[34:35], 0x158
	s_waitcnt lgkmcnt(0)
	global_load_ubyte v8, v23, s[2:3]
	s_cmp_lg_u32 s4, 0
	s_cselect_b64 s[8:9], -1, 0
	s_and_b64 vcc, exec, s[8:9]
	s_cbranch_vccz .LBB304_533
; %bb.529:
	s_and_b32 s12, s5, 0xff
	s_cmpk_lt_i32 s12, 0x80
	s_cbranch_scc1 .LBB304_539
; %bb.530:
	s_and_b32 s4, 0xffff, s12
	s_cmpk_eq_i32 s4, 0x80
	s_mov_b64 s[6:7], -1
	s_cbranch_scc0 .LBB304_532
; %bb.531:
	s_mov_b64 s[6:7], 0
.LBB304_532:
	s_mov_b32 s4, 0x7f800001
	s_branch .LBB304_541
.LBB304_533:
                                        ; implicit-def: $sgpr6_sgpr7
	s_cbranch_execnz .LBB304_548
.LBB304_534:
	global_load_ubyte v8, v21, s[2:3]
	s_and_b64 vcc, exec, s[8:9]
	s_cbranch_vccz .LBB304_686
.LBB304_535:
	s_and_b32 s14, s5, 0xff
	s_cmpk_lt_i32 s14, 0x80
	s_cbranch_scc1 .LBB304_552
; %bb.536:
	s_and_b32 s4, 0xffff, s14
	s_cmpk_eq_i32 s4, 0x80
	s_mov_b64 s[10:11], -1
	s_cbranch_scc0 .LBB304_538
; %bb.537:
	s_mov_b64 s[10:11], 0
.LBB304_538:
	s_mov_b32 s4, 0x7f800001
	s_branch .LBB304_554
.LBB304_539:
	s_mov_b64 s[6:7], 0
	s_mov_b32 s4, 0x7f800001
	s_cbranch_execz .LBB304_541
; %bb.540:
	s_and_b32 s6, 0xffff, s12
	s_cmp_lg_u32 s6, 0
	s_mov_b32 s4, 0
	s_cselect_b64 s[6:7], -1, 0
.LBB304_541:
	s_andn2_b64 vcc, exec, s[6:7]
	s_cbranch_vccnz .LBB304_543
; %bb.542:
	s_and_b32 s6, s5, 7
	s_flbit_i32_b32 s10, s6
	s_min_u32 s10, s10, 32
	s_sub_i32 s11, s10, 28
	s_lshl_b32 s11, s5, s11
	s_lshl_b32 s4, s5, 24
	s_bfe_u32 s7, s5, 0x40003
	s_sub_i32 s10, 29, s10
	s_and_b32 s11, s11, 7
	s_cmp_eq_u32 s7, 0
	s_cselect_b32 s7, s10, s7
	s_cselect_b32 s6, s11, s6
	s_lshl_b32 s7, s7, 23
	s_and_b32 s4, s4, 0x80000000
	s_add_i32 s7, s7, 0x3b800000
	s_lshl_b32 s6, s6, 20
	s_or_b32 s4, s4, s7
	s_or_b32 s4, s4, s6
.LBB304_543:
	s_movk_i32 s6, 0x7f
	s_waitcnt vmcnt(0)
	v_cmp_gt_i16_sdwa s[10:11], v8, s6 src0_sel:BYTE_0 src1_sel:DWORD
	s_mov_b64 s[6:7], 0
	s_and_saveexec_b64 s[12:13], s[10:11]
	s_xor_b64 s[10:11], exec, s[12:13]
	s_cbranch_execnz .LBB304_566
; %bb.544:
	s_or_saveexec_b64 s[10:11], s[10:11]
	v_mov_b32_e32 v10, 0x7f800001
	s_xor_b64 exec, exec, s[10:11]
	s_cbranch_execnz .LBB304_569
.LBB304_545:
	s_or_b64 exec, exec, s[10:11]
	s_and_saveexec_b64 s[10:11], s[6:7]
	s_cbranch_execz .LBB304_547
.LBB304_546:
	v_and_b32_e32 v14, 7, v8
	v_ffbh_u32_e32 v16, v14
	v_min_u32_e32 v16, 32, v16
	v_lshrrev_b16_e32 v12, 3, v8
	v_subrev_u32_e32 v18, 28, v16
	v_and_b32_e32 v12, 15, v12
	v_lshlrev_b32_e32 v18, v18, v8
	v_sub_u32_e32 v16, 29, v16
	v_and_b32_e32 v18, 7, v18
	v_cmp_eq_u32_e32 vcc, 0, v12
	v_lshlrev_b32_e32 v10, 24, v8
	v_cndmask_b32_e32 v12, v12, v16, vcc
	v_cndmask_b32_e32 v14, v14, v18, vcc
	v_mov_b32_e32 v16, 0x3b800000
	v_lshlrev_b32_e32 v14, 20, v14
	v_and_b32_e32 v10, 0x80000000, v10
	v_lshl_add_u32 v12, v12, 23, v16
	v_or3_b32 v10, v10, v12, v14
.LBB304_547:
	s_or_b64 exec, exec, s[10:11]
	v_cmp_neq_f32_e64 s[6:7], s4, v10
	s_branch .LBB304_534
.LBB304_548:
	s_and_b32 s12, s5, 0xff
	s_cmpk_lt_i32 s12, 0x80
	s_cbranch_scc1 .LBB304_677
; %bb.549:
	s_and_b32 s4, 0xffff, s12
	s_cmpk_eq_i32 s4, 0x80
	s_mov_b64 s[6:7], -1
	s_cbranch_scc0 .LBB304_551
; %bb.550:
	s_mov_b64 s[6:7], 0
.LBB304_551:
	s_mov_b32 s4, 0x7f800001
	s_branch .LBB304_679
.LBB304_552:
	s_mov_b64 s[10:11], 0
	s_mov_b32 s4, 0x7f800001
	s_cbranch_execz .LBB304_554
; %bb.553:
	s_and_b32 s10, 0xffff, s14
	s_cmp_lg_u32 s10, 0
	s_mov_b32 s4, 0
	s_cselect_b64 s[10:11], -1, 0
.LBB304_554:
	s_andn2_b64 vcc, exec, s[10:11]
	s_cbranch_vccnz .LBB304_556
; %bb.555:
	s_and_b32 s10, s5, 7
	s_flbit_i32_b32 s12, s10
	s_min_u32 s12, s12, 32
	s_sub_i32 s13, s12, 28
	s_lshl_b32 s13, s5, s13
	s_lshl_b32 s4, s5, 24
	s_bfe_u32 s11, s5, 0x40003
	s_sub_i32 s12, 29, s12
	s_and_b32 s13, s13, 7
	s_cmp_eq_u32 s11, 0
	s_cselect_b32 s11, s12, s11
	s_cselect_b32 s10, s13, s10
	s_lshl_b32 s11, s11, 23
	s_and_b32 s4, s4, 0x80000000
	s_add_i32 s11, s11, 0x3b800000
	s_lshl_b32 s10, s10, 20
	s_or_b32 s4, s4, s11
	s_or_b32 s4, s4, s10
.LBB304_556:
	s_movk_i32 s10, 0x7f
	s_waitcnt vmcnt(0)
	v_cmp_gt_i16_sdwa s[12:13], v8, s10 src0_sel:BYTE_0 src1_sel:DWORD
	s_mov_b64 s[10:11], 0
	s_and_saveexec_b64 s[14:15], s[12:13]
	s_xor_b64 s[12:13], exec, s[14:15]
	s_cbranch_execnz .LBB304_570
; %bb.557:
	s_or_saveexec_b64 s[12:13], s[12:13]
	v_mov_b32_e32 v10, 0x7f800001
	s_xor_b64 exec, exec, s[12:13]
	s_cbranch_execnz .LBB304_573
.LBB304_558:
	s_or_b64 exec, exec, s[12:13]
	s_and_saveexec_b64 s[12:13], s[10:11]
	s_cbranch_execz .LBB304_560
.LBB304_559:
	v_and_b32_e32 v14, 7, v8
	v_ffbh_u32_e32 v16, v14
	v_min_u32_e32 v16, 32, v16
	v_lshrrev_b16_e32 v12, 3, v8
	v_subrev_u32_e32 v18, 28, v16
	v_and_b32_e32 v12, 15, v12
	v_lshlrev_b32_e32 v18, v18, v8
	v_sub_u32_e32 v16, 29, v16
	v_and_b32_e32 v18, 7, v18
	v_cmp_eq_u32_e32 vcc, 0, v12
	v_lshlrev_b32_e32 v10, 24, v8
	v_cndmask_b32_e32 v12, v12, v16, vcc
	v_cndmask_b32_e32 v14, v14, v18, vcc
	v_mov_b32_e32 v16, 0x3b800000
	v_lshlrev_b32_e32 v14, 20, v14
	v_and_b32_e32 v10, 0x80000000, v10
	v_lshl_add_u32 v12, v12, 23, v16
	v_or3_b32 v10, v10, v12, v14
.LBB304_560:
	s_or_b64 exec, exec, s[12:13]
	v_cmp_neq_f32_e64 s[10:11], s4, v10
.LBB304_561:
	global_load_ubyte v8, v19, s[2:3]
	s_and_b64 vcc, exec, s[8:9]
	s_cbranch_vccz .LBB304_704
.LBB304_562:
	s_and_b32 s16, s5, 0xff
	s_cmpk_lt_i32 s16, 0x80
	s_cbranch_scc1 .LBB304_574
; %bb.563:
	s_and_b32 s4, 0xffff, s16
	s_cmpk_eq_i32 s4, 0x80
	s_mov_b64 s[12:13], -1
	s_cbranch_scc0 .LBB304_565
; %bb.564:
	s_mov_b64 s[12:13], 0
.LBB304_565:
	s_mov_b32 s4, 0x7f800001
	s_branch .LBB304_576
.LBB304_566:
	s_movk_i32 s6, 0x80
	v_cmp_eq_u16_sdwa s[14:15], v8, s6 src0_sel:BYTE_0 src1_sel:DWORD
	s_mov_b64 s[6:7], -1
	s_and_saveexec_b64 s[12:13], s[14:15]
; %bb.567:
	s_xor_b64 s[6:7], exec, -1
; %bb.568:
	s_or_b64 exec, exec, s[12:13]
	s_and_b64 s[6:7], s[6:7], exec
	s_or_saveexec_b64 s[10:11], s[10:11]
	v_mov_b32_e32 v10, 0x7f800001
	s_xor_b64 exec, exec, s[10:11]
	s_cbranch_execz .LBB304_545
.LBB304_569:
	v_mov_b32_e32 v10, 0
	v_cmp_ne_u16_sdwa s[12:13], v8, v10 src0_sel:BYTE_0 src1_sel:DWORD
	s_andn2_b64 s[6:7], s[6:7], exec
	s_and_b64 s[12:13], s[12:13], exec
	s_or_b64 s[6:7], s[6:7], s[12:13]
	s_or_b64 exec, exec, s[10:11]
	s_and_saveexec_b64 s[10:11], s[6:7]
	s_cbranch_execnz .LBB304_546
	s_branch .LBB304_547
.LBB304_570:
	s_movk_i32 s10, 0x80
	v_cmp_eq_u16_sdwa s[16:17], v8, s10 src0_sel:BYTE_0 src1_sel:DWORD
	s_mov_b64 s[10:11], -1
	s_and_saveexec_b64 s[14:15], s[16:17]
; %bb.571:
	s_xor_b64 s[10:11], exec, -1
; %bb.572:
	s_or_b64 exec, exec, s[14:15]
	s_and_b64 s[10:11], s[10:11], exec
	s_or_saveexec_b64 s[12:13], s[12:13]
	v_mov_b32_e32 v10, 0x7f800001
	s_xor_b64 exec, exec, s[12:13]
	s_cbranch_execz .LBB304_558
.LBB304_573:
	v_mov_b32_e32 v10, 0
	v_cmp_ne_u16_sdwa s[14:15], v8, v10 src0_sel:BYTE_0 src1_sel:DWORD
	s_andn2_b64 s[10:11], s[10:11], exec
	s_and_b64 s[14:15], s[14:15], exec
	s_or_b64 s[10:11], s[10:11], s[14:15]
	s_or_b64 exec, exec, s[12:13]
	s_and_saveexec_b64 s[12:13], s[10:11]
	s_cbranch_execnz .LBB304_559
	s_branch .LBB304_560
.LBB304_574:
	s_mov_b64 s[12:13], 0
	s_mov_b32 s4, 0x7f800001
	s_cbranch_execz .LBB304_576
; %bb.575:
	s_and_b32 s12, 0xffff, s16
	s_cmp_lg_u32 s12, 0
	s_mov_b32 s4, 0
	s_cselect_b64 s[12:13], -1, 0
.LBB304_576:
	s_andn2_b64 vcc, exec, s[12:13]
	s_cbranch_vccnz .LBB304_578
; %bb.577:
	s_and_b32 s12, s5, 7
	s_flbit_i32_b32 s14, s12
	s_min_u32 s14, s14, 32
	s_sub_i32 s15, s14, 28
	s_lshl_b32 s15, s5, s15
	s_lshl_b32 s4, s5, 24
	s_bfe_u32 s13, s5, 0x40003
	s_sub_i32 s14, 29, s14
	s_and_b32 s15, s15, 7
	s_cmp_eq_u32 s13, 0
	s_cselect_b32 s13, s14, s13
	s_cselect_b32 s12, s15, s12
	s_lshl_b32 s13, s13, 23
	s_and_b32 s4, s4, 0x80000000
	s_add_i32 s13, s13, 0x3b800000
	s_lshl_b32 s12, s12, 20
	s_or_b32 s4, s4, s13
	s_or_b32 s4, s4, s12
.LBB304_578:
	s_movk_i32 s12, 0x7f
	s_waitcnt vmcnt(0)
	v_cmp_gt_i16_sdwa s[14:15], v8, s12 src0_sel:BYTE_0 src1_sel:DWORD
	s_mov_b64 s[12:13], 0
	s_and_saveexec_b64 s[16:17], s[14:15]
	s_xor_b64 s[14:15], exec, s[16:17]
	s_cbranch_execnz .LBB304_588
; %bb.579:
	s_or_saveexec_b64 s[14:15], s[14:15]
	v_mov_b32_e32 v10, 0x7f800001
	s_xor_b64 exec, exec, s[14:15]
	s_cbranch_execnz .LBB304_591
.LBB304_580:
	s_or_b64 exec, exec, s[14:15]
	s_and_saveexec_b64 s[14:15], s[12:13]
	s_cbranch_execz .LBB304_582
.LBB304_581:
	v_and_b32_e32 v14, 7, v8
	v_ffbh_u32_e32 v16, v14
	v_min_u32_e32 v16, 32, v16
	v_lshrrev_b16_e32 v12, 3, v8
	v_subrev_u32_e32 v18, 28, v16
	v_and_b32_e32 v12, 15, v12
	v_lshlrev_b32_e32 v18, v18, v8
	v_sub_u32_e32 v16, 29, v16
	v_and_b32_e32 v18, 7, v18
	v_cmp_eq_u32_e32 vcc, 0, v12
	v_lshlrev_b32_e32 v10, 24, v8
	v_cndmask_b32_e32 v12, v12, v16, vcc
	v_cndmask_b32_e32 v14, v14, v18, vcc
	v_mov_b32_e32 v16, 0x3b800000
	v_lshlrev_b32_e32 v14, 20, v14
	v_and_b32_e32 v10, 0x80000000, v10
	v_lshl_add_u32 v12, v12, 23, v16
	v_or3_b32 v10, v10, v12, v14
.LBB304_582:
	s_or_b64 exec, exec, s[14:15]
	v_cmp_neq_f32_e64 s[12:13], s4, v10
.LBB304_583:
	global_load_ubyte v8, v17, s[2:3]
	s_and_b64 vcc, exec, s[8:9]
	s_cbranch_vccz .LBB304_722
.LBB304_584:
	s_and_b32 s18, s5, 0xff
	s_cmpk_lt_i32 s18, 0x80
	s_cbranch_scc1 .LBB304_592
; %bb.585:
	s_and_b32 s4, 0xffff, s18
	s_cmpk_eq_i32 s4, 0x80
	s_mov_b64 s[14:15], -1
	s_cbranch_scc0 .LBB304_587
; %bb.586:
	s_mov_b64 s[14:15], 0
.LBB304_587:
	s_mov_b32 s4, 0x7f800001
	s_branch .LBB304_594
.LBB304_588:
	s_movk_i32 s12, 0x80
	v_cmp_eq_u16_sdwa s[18:19], v8, s12 src0_sel:BYTE_0 src1_sel:DWORD
	s_mov_b64 s[12:13], -1
	s_and_saveexec_b64 s[16:17], s[18:19]
; %bb.589:
	s_xor_b64 s[12:13], exec, -1
; %bb.590:
	s_or_b64 exec, exec, s[16:17]
	s_and_b64 s[12:13], s[12:13], exec
	s_or_saveexec_b64 s[14:15], s[14:15]
	v_mov_b32_e32 v10, 0x7f800001
	s_xor_b64 exec, exec, s[14:15]
	s_cbranch_execz .LBB304_580
.LBB304_591:
	v_mov_b32_e32 v10, 0
	v_cmp_ne_u16_sdwa s[16:17], v8, v10 src0_sel:BYTE_0 src1_sel:DWORD
	s_andn2_b64 s[12:13], s[12:13], exec
	s_and_b64 s[16:17], s[16:17], exec
	s_or_b64 s[12:13], s[12:13], s[16:17]
	s_or_b64 exec, exec, s[14:15]
	s_and_saveexec_b64 s[14:15], s[12:13]
	s_cbranch_execnz .LBB304_581
	s_branch .LBB304_582
.LBB304_592:
	s_mov_b64 s[14:15], 0
	s_mov_b32 s4, 0x7f800001
	s_cbranch_execz .LBB304_594
; %bb.593:
	s_and_b32 s14, 0xffff, s18
	s_cmp_lg_u32 s14, 0
	s_mov_b32 s4, 0
	s_cselect_b64 s[14:15], -1, 0
.LBB304_594:
	s_andn2_b64 vcc, exec, s[14:15]
	s_cbranch_vccnz .LBB304_596
; %bb.595:
	s_and_b32 s14, s5, 7
	s_flbit_i32_b32 s16, s14
	s_min_u32 s16, s16, 32
	s_sub_i32 s17, s16, 28
	s_lshl_b32 s17, s5, s17
	s_lshl_b32 s4, s5, 24
	s_bfe_u32 s15, s5, 0x40003
	s_sub_i32 s16, 29, s16
	s_and_b32 s17, s17, 7
	s_cmp_eq_u32 s15, 0
	s_cselect_b32 s15, s16, s15
	s_cselect_b32 s14, s17, s14
	s_lshl_b32 s15, s15, 23
	s_and_b32 s4, s4, 0x80000000
	s_add_i32 s15, s15, 0x3b800000
	s_lshl_b32 s14, s14, 20
	s_or_b32 s4, s4, s15
	s_or_b32 s4, s4, s14
.LBB304_596:
	s_movk_i32 s14, 0x7f
	s_waitcnt vmcnt(0)
	v_cmp_gt_i16_sdwa s[16:17], v8, s14 src0_sel:BYTE_0 src1_sel:DWORD
	s_mov_b64 s[14:15], 0
	s_and_saveexec_b64 s[18:19], s[16:17]
	s_xor_b64 s[16:17], exec, s[18:19]
	s_cbranch_execnz .LBB304_606
; %bb.597:
	s_or_saveexec_b64 s[16:17], s[16:17]
	v_mov_b32_e32 v10, 0x7f800001
	s_xor_b64 exec, exec, s[16:17]
	s_cbranch_execnz .LBB304_609
.LBB304_598:
	s_or_b64 exec, exec, s[16:17]
	s_and_saveexec_b64 s[16:17], s[14:15]
	s_cbranch_execz .LBB304_600
.LBB304_599:
	v_and_b32_e32 v14, 7, v8
	v_ffbh_u32_e32 v16, v14
	v_min_u32_e32 v16, 32, v16
	v_lshrrev_b16_e32 v12, 3, v8
	v_subrev_u32_e32 v17, 28, v16
	v_and_b32_e32 v12, 15, v12
	v_lshlrev_b32_e32 v17, v17, v8
	v_sub_u32_e32 v16, 29, v16
	v_and_b32_e32 v17, 7, v17
	v_cmp_eq_u32_e32 vcc, 0, v12
	v_lshlrev_b32_e32 v10, 24, v8
	v_cndmask_b32_e32 v12, v12, v16, vcc
	v_cndmask_b32_e32 v14, v14, v17, vcc
	v_mov_b32_e32 v16, 0x3b800000
	v_lshlrev_b32_e32 v14, 20, v14
	v_and_b32_e32 v10, 0x80000000, v10
	v_lshl_add_u32 v12, v12, 23, v16
	v_or3_b32 v10, v10, v12, v14
.LBB304_600:
	s_or_b64 exec, exec, s[16:17]
	v_cmp_neq_f32_e64 s[14:15], s4, v10
.LBB304_601:
	global_load_ubyte v8, v15, s[2:3]
	s_and_b64 vcc, exec, s[8:9]
	s_cbranch_vccz .LBB304_740
.LBB304_602:
	s_and_b32 s20, s5, 0xff
	s_cmpk_lt_i32 s20, 0x80
	s_cbranch_scc1 .LBB304_610
; %bb.603:
	s_and_b32 s4, 0xffff, s20
	s_cmpk_eq_i32 s4, 0x80
	s_mov_b64 s[16:17], -1
	s_cbranch_scc0 .LBB304_605
; %bb.604:
	s_mov_b64 s[16:17], 0
.LBB304_605:
	s_mov_b32 s4, 0x7f800001
	s_branch .LBB304_612
.LBB304_606:
	s_movk_i32 s14, 0x80
	v_cmp_eq_u16_sdwa s[20:21], v8, s14 src0_sel:BYTE_0 src1_sel:DWORD
	s_mov_b64 s[14:15], -1
	s_and_saveexec_b64 s[18:19], s[20:21]
; %bb.607:
	s_xor_b64 s[14:15], exec, -1
; %bb.608:
	s_or_b64 exec, exec, s[18:19]
	s_and_b64 s[14:15], s[14:15], exec
	s_or_saveexec_b64 s[16:17], s[16:17]
	v_mov_b32_e32 v10, 0x7f800001
	s_xor_b64 exec, exec, s[16:17]
	s_cbranch_execz .LBB304_598
.LBB304_609:
	v_mov_b32_e32 v10, 0
	v_cmp_ne_u16_sdwa s[18:19], v8, v10 src0_sel:BYTE_0 src1_sel:DWORD
	s_andn2_b64 s[14:15], s[14:15], exec
	s_and_b64 s[18:19], s[18:19], exec
	s_or_b64 s[14:15], s[14:15], s[18:19]
	s_or_b64 exec, exec, s[16:17]
	s_and_saveexec_b64 s[16:17], s[14:15]
	s_cbranch_execnz .LBB304_599
	s_branch .LBB304_600
.LBB304_610:
	s_mov_b64 s[16:17], 0
	s_mov_b32 s4, 0x7f800001
	s_cbranch_execz .LBB304_612
; %bb.611:
	s_and_b32 s16, 0xffff, s20
	s_cmp_lg_u32 s16, 0
	s_mov_b32 s4, 0
	s_cselect_b64 s[16:17], -1, 0
.LBB304_612:
	s_andn2_b64 vcc, exec, s[16:17]
	s_cbranch_vccnz .LBB304_614
; %bb.613:
	s_and_b32 s16, s5, 7
	s_flbit_i32_b32 s18, s16
	s_min_u32 s18, s18, 32
	s_sub_i32 s19, s18, 28
	s_lshl_b32 s19, s5, s19
	s_lshl_b32 s4, s5, 24
	s_bfe_u32 s17, s5, 0x40003
	s_sub_i32 s18, 29, s18
	s_and_b32 s19, s19, 7
	s_cmp_eq_u32 s17, 0
	s_cselect_b32 s17, s18, s17
	s_cselect_b32 s16, s19, s16
	s_lshl_b32 s17, s17, 23
	s_and_b32 s4, s4, 0x80000000
	s_add_i32 s17, s17, 0x3b800000
	s_lshl_b32 s16, s16, 20
	s_or_b32 s4, s4, s17
	s_or_b32 s4, s4, s16
.LBB304_614:
	s_movk_i32 s16, 0x7f
	s_waitcnt vmcnt(0)
	v_cmp_gt_i16_sdwa s[18:19], v8, s16 src0_sel:BYTE_0 src1_sel:DWORD
	s_mov_b64 s[16:17], 0
	s_and_saveexec_b64 s[20:21], s[18:19]
	s_xor_b64 s[18:19], exec, s[20:21]
	s_cbranch_execnz .LBB304_624
; %bb.615:
	s_or_saveexec_b64 s[18:19], s[18:19]
	v_mov_b32_e32 v10, 0x7f800001
	s_xor_b64 exec, exec, s[18:19]
	s_cbranch_execnz .LBB304_627
.LBB304_616:
	s_or_b64 exec, exec, s[18:19]
	s_and_saveexec_b64 s[18:19], s[16:17]
	s_cbranch_execz .LBB304_618
.LBB304_617:
	v_and_b32_e32 v14, 7, v8
	v_ffbh_u32_e32 v15, v14
	v_min_u32_e32 v15, 32, v15
	v_lshrrev_b16_e32 v12, 3, v8
	v_subrev_u32_e32 v16, 28, v15
	v_and_b32_e32 v12, 15, v12
	v_lshlrev_b32_e32 v16, v16, v8
	v_sub_u32_e32 v15, 29, v15
	v_and_b32_e32 v16, 7, v16
	v_cmp_eq_u32_e32 vcc, 0, v12
	v_lshlrev_b32_e32 v10, 24, v8
	v_cndmask_b32_e32 v12, v12, v15, vcc
	v_cndmask_b32_e32 v14, v14, v16, vcc
	v_mov_b32_e32 v15, 0x3b800000
	v_lshlrev_b32_e32 v14, 20, v14
	v_and_b32_e32 v10, 0x80000000, v10
	v_lshl_add_u32 v12, v12, 23, v15
	v_or3_b32 v10, v10, v12, v14
.LBB304_618:
	s_or_b64 exec, exec, s[18:19]
	v_cmp_neq_f32_e64 s[16:17], s4, v10
.LBB304_619:
	global_load_ubyte v8, v13, s[2:3]
	s_and_b64 vcc, exec, s[8:9]
	s_cbranch_vccz .LBB304_758
.LBB304_620:
	s_and_b32 s22, s5, 0xff
	s_cmpk_lt_i32 s22, 0x80
	s_cbranch_scc1 .LBB304_628
; %bb.621:
	s_and_b32 s4, 0xffff, s22
	s_cmpk_eq_i32 s4, 0x80
	s_mov_b64 s[18:19], -1
	s_cbranch_scc0 .LBB304_623
; %bb.622:
	s_mov_b64 s[18:19], 0
.LBB304_623:
	s_mov_b32 s4, 0x7f800001
	s_branch .LBB304_630
.LBB304_624:
	s_movk_i32 s16, 0x80
	v_cmp_eq_u16_sdwa s[22:23], v8, s16 src0_sel:BYTE_0 src1_sel:DWORD
	s_mov_b64 s[16:17], -1
	s_and_saveexec_b64 s[20:21], s[22:23]
; %bb.625:
	s_xor_b64 s[16:17], exec, -1
; %bb.626:
	s_or_b64 exec, exec, s[20:21]
	s_and_b64 s[16:17], s[16:17], exec
	s_or_saveexec_b64 s[18:19], s[18:19]
	v_mov_b32_e32 v10, 0x7f800001
	s_xor_b64 exec, exec, s[18:19]
	s_cbranch_execz .LBB304_616
.LBB304_627:
	v_mov_b32_e32 v10, 0
	v_cmp_ne_u16_sdwa s[20:21], v8, v10 src0_sel:BYTE_0 src1_sel:DWORD
	s_andn2_b64 s[16:17], s[16:17], exec
	s_and_b64 s[20:21], s[20:21], exec
	s_or_b64 s[16:17], s[16:17], s[20:21]
	s_or_b64 exec, exec, s[18:19]
	s_and_saveexec_b64 s[18:19], s[16:17]
	s_cbranch_execnz .LBB304_617
	s_branch .LBB304_618
.LBB304_628:
	s_mov_b64 s[18:19], 0
	s_mov_b32 s4, 0x7f800001
	s_cbranch_execz .LBB304_630
; %bb.629:
	s_and_b32 s18, 0xffff, s22
	s_cmp_lg_u32 s18, 0
	s_mov_b32 s4, 0
	s_cselect_b64 s[18:19], -1, 0
.LBB304_630:
	s_andn2_b64 vcc, exec, s[18:19]
	s_cbranch_vccnz .LBB304_632
; %bb.631:
	s_and_b32 s18, s5, 7
	s_flbit_i32_b32 s20, s18
	s_min_u32 s20, s20, 32
	s_sub_i32 s21, s20, 28
	s_lshl_b32 s21, s5, s21
	s_lshl_b32 s4, s5, 24
	s_bfe_u32 s19, s5, 0x40003
	s_sub_i32 s20, 29, s20
	s_and_b32 s21, s21, 7
	s_cmp_eq_u32 s19, 0
	s_cselect_b32 s19, s20, s19
	s_cselect_b32 s18, s21, s18
	s_lshl_b32 s19, s19, 23
	s_and_b32 s4, s4, 0x80000000
	s_add_i32 s19, s19, 0x3b800000
	s_lshl_b32 s18, s18, 20
	s_or_b32 s4, s4, s19
	s_or_b32 s4, s4, s18
.LBB304_632:
	s_movk_i32 s18, 0x7f
	s_waitcnt vmcnt(0)
	v_cmp_gt_i16_sdwa s[20:21], v8, s18 src0_sel:BYTE_0 src1_sel:DWORD
	s_mov_b64 s[18:19], 0
	s_and_saveexec_b64 s[22:23], s[20:21]
	s_xor_b64 s[20:21], exec, s[22:23]
	s_cbranch_execnz .LBB304_642
; %bb.633:
	s_or_saveexec_b64 s[20:21], s[20:21]
	v_mov_b32_e32 v10, 0x7f800001
	s_xor_b64 exec, exec, s[20:21]
	s_cbranch_execnz .LBB304_645
.LBB304_634:
	s_or_b64 exec, exec, s[20:21]
	s_and_saveexec_b64 s[20:21], s[18:19]
	s_cbranch_execz .LBB304_636
.LBB304_635:
	v_and_b32_e32 v13, 7, v8
	v_ffbh_u32_e32 v14, v13
	v_min_u32_e32 v14, 32, v14
	v_lshrrev_b16_e32 v12, 3, v8
	v_subrev_u32_e32 v15, 28, v14
	v_and_b32_e32 v12, 15, v12
	v_lshlrev_b32_e32 v15, v15, v8
	v_sub_u32_e32 v14, 29, v14
	v_and_b32_e32 v15, 7, v15
	v_cmp_eq_u32_e32 vcc, 0, v12
	v_lshlrev_b32_e32 v10, 24, v8
	v_cndmask_b32_e32 v12, v12, v14, vcc
	v_cndmask_b32_e32 v13, v13, v15, vcc
	v_mov_b32_e32 v14, 0x3b800000
	v_lshlrev_b32_e32 v13, 20, v13
	v_and_b32_e32 v10, 0x80000000, v10
	v_lshl_add_u32 v12, v12, 23, v14
	v_or3_b32 v10, v10, v12, v13
.LBB304_636:
	s_or_b64 exec, exec, s[20:21]
	v_cmp_neq_f32_e64 s[18:19], s4, v10
.LBB304_637:
	global_load_ubyte v8, v11, s[2:3]
	s_and_b64 vcc, exec, s[8:9]
	s_cbranch_vccz .LBB304_776
.LBB304_638:
	s_and_b32 s24, s5, 0xff
	s_cmpk_lt_i32 s24, 0x80
	s_cbranch_scc1 .LBB304_646
; %bb.639:
	s_and_b32 s4, 0xffff, s24
	s_cmpk_eq_i32 s4, 0x80
	s_mov_b64 s[20:21], -1
	s_cbranch_scc0 .LBB304_641
; %bb.640:
	s_mov_b64 s[20:21], 0
.LBB304_641:
	s_mov_b32 s4, 0x7f800001
	s_branch .LBB304_648
.LBB304_642:
	s_movk_i32 s18, 0x80
	v_cmp_eq_u16_sdwa s[24:25], v8, s18 src0_sel:BYTE_0 src1_sel:DWORD
	s_mov_b64 s[18:19], -1
	s_and_saveexec_b64 s[22:23], s[24:25]
; %bb.643:
	s_xor_b64 s[18:19], exec, -1
; %bb.644:
	s_or_b64 exec, exec, s[22:23]
	s_and_b64 s[18:19], s[18:19], exec
	s_or_saveexec_b64 s[20:21], s[20:21]
	v_mov_b32_e32 v10, 0x7f800001
	s_xor_b64 exec, exec, s[20:21]
	s_cbranch_execz .LBB304_634
.LBB304_645:
	v_mov_b32_e32 v10, 0
	v_cmp_ne_u16_sdwa s[22:23], v8, v10 src0_sel:BYTE_0 src1_sel:DWORD
	s_andn2_b64 s[18:19], s[18:19], exec
	s_and_b64 s[22:23], s[22:23], exec
	s_or_b64 s[18:19], s[18:19], s[22:23]
	s_or_b64 exec, exec, s[20:21]
	s_and_saveexec_b64 s[20:21], s[18:19]
	s_cbranch_execnz .LBB304_635
	s_branch .LBB304_636
.LBB304_646:
	s_mov_b64 s[20:21], 0
	s_mov_b32 s4, 0x7f800001
	s_cbranch_execz .LBB304_648
; %bb.647:
	s_and_b32 s20, 0xffff, s24
	s_cmp_lg_u32 s20, 0
	s_mov_b32 s4, 0
	s_cselect_b64 s[20:21], -1, 0
.LBB304_648:
	s_andn2_b64 vcc, exec, s[20:21]
	s_cbranch_vccnz .LBB304_650
; %bb.649:
	s_and_b32 s20, s5, 7
	s_flbit_i32_b32 s22, s20
	s_min_u32 s22, s22, 32
	s_sub_i32 s23, s22, 28
	s_lshl_b32 s23, s5, s23
	s_lshl_b32 s4, s5, 24
	s_bfe_u32 s21, s5, 0x40003
	s_sub_i32 s22, 29, s22
	s_and_b32 s23, s23, 7
	s_cmp_eq_u32 s21, 0
	s_cselect_b32 s21, s22, s21
	s_cselect_b32 s20, s23, s20
	s_lshl_b32 s21, s21, 23
	s_and_b32 s4, s4, 0x80000000
	s_add_i32 s21, s21, 0x3b800000
	s_lshl_b32 s20, s20, 20
	s_or_b32 s4, s4, s21
	s_or_b32 s4, s4, s20
.LBB304_650:
	s_movk_i32 s20, 0x7f
	s_waitcnt vmcnt(0)
	v_cmp_gt_i16_sdwa s[22:23], v8, s20 src0_sel:BYTE_0 src1_sel:DWORD
	s_mov_b64 s[20:21], 0
	s_and_saveexec_b64 s[24:25], s[22:23]
	s_xor_b64 s[22:23], exec, s[24:25]
	s_cbranch_execnz .LBB304_660
; %bb.651:
	s_or_saveexec_b64 s[22:23], s[22:23]
	v_mov_b32_e32 v10, 0x7f800001
	s_xor_b64 exec, exec, s[22:23]
	s_cbranch_execnz .LBB304_663
.LBB304_652:
	s_or_b64 exec, exec, s[22:23]
	s_and_saveexec_b64 s[22:23], s[20:21]
	s_cbranch_execz .LBB304_654
.LBB304_653:
	v_and_b32_e32 v12, 7, v8
	v_ffbh_u32_e32 v13, v12
	v_min_u32_e32 v13, 32, v13
	v_lshrrev_b16_e32 v11, 3, v8
	v_subrev_u32_e32 v14, 28, v13
	v_and_b32_e32 v11, 15, v11
	v_lshlrev_b32_e32 v14, v14, v8
	v_sub_u32_e32 v13, 29, v13
	v_and_b32_e32 v14, 7, v14
	v_cmp_eq_u32_e32 vcc, 0, v11
	v_lshlrev_b32_e32 v10, 24, v8
	v_cndmask_b32_e32 v11, v11, v13, vcc
	v_cndmask_b32_e32 v12, v12, v14, vcc
	v_mov_b32_e32 v13, 0x3b800000
	v_lshlrev_b32_e32 v12, 20, v12
	v_and_b32_e32 v10, 0x80000000, v10
	v_lshl_add_u32 v11, v11, 23, v13
	v_or3_b32 v10, v10, v11, v12
.LBB304_654:
	s_or_b64 exec, exec, s[22:23]
	v_cmp_neq_f32_e64 s[20:21], s4, v10
.LBB304_655:
	global_load_ubyte v8, v9, s[2:3]
	s_and_b64 vcc, exec, s[8:9]
	s_cbranch_vccz .LBB304_794
.LBB304_656:
	s_and_b32 s22, s5, 0xff
	s_cmpk_lt_i32 s22, 0x80
	s_cbranch_scc1 .LBB304_664
; %bb.657:
	s_and_b32 s2, 0xffff, s22
	s_cmpk_eq_i32 s2, 0x80
	s_mov_b64 s[2:3], -1
	s_cbranch_scc0 .LBB304_659
; %bb.658:
	s_mov_b64 s[2:3], 0
.LBB304_659:
	s_mov_b32 s4, 0x7f800001
	s_branch .LBB304_666
.LBB304_660:
	s_movk_i32 s20, 0x80
	v_cmp_eq_u16_sdwa s[26:27], v8, s20 src0_sel:BYTE_0 src1_sel:DWORD
	s_mov_b64 s[20:21], -1
	s_and_saveexec_b64 s[24:25], s[26:27]
; %bb.661:
	s_xor_b64 s[20:21], exec, -1
; %bb.662:
	s_or_b64 exec, exec, s[24:25]
	s_and_b64 s[20:21], s[20:21], exec
	s_or_saveexec_b64 s[22:23], s[22:23]
	v_mov_b32_e32 v10, 0x7f800001
	s_xor_b64 exec, exec, s[22:23]
	s_cbranch_execz .LBB304_652
.LBB304_663:
	v_mov_b32_e32 v10, 0
	v_cmp_ne_u16_sdwa s[24:25], v8, v10 src0_sel:BYTE_0 src1_sel:DWORD
	s_andn2_b64 s[20:21], s[20:21], exec
	s_and_b64 s[24:25], s[24:25], exec
	s_or_b64 s[20:21], s[20:21], s[24:25]
	s_or_b64 exec, exec, s[22:23]
	s_and_saveexec_b64 s[22:23], s[20:21]
	s_cbranch_execnz .LBB304_653
	s_branch .LBB304_654
.LBB304_664:
	s_mov_b64 s[2:3], 0
	s_mov_b32 s4, 0x7f800001
	s_cbranch_execz .LBB304_666
; %bb.665:
	s_and_b32 s2, 0xffff, s22
	s_cmp_lg_u32 s2, 0
	s_mov_b32 s4, 0
	s_cselect_b64 s[2:3], -1, 0
.LBB304_666:
	s_andn2_b64 vcc, exec, s[2:3]
	s_cbranch_vccnz .LBB304_668
; %bb.667:
	s_and_b32 s3, s5, 7
	s_flbit_i32_b32 s8, s3
	s_min_u32 s8, s8, 32
	s_sub_i32 s9, s8, 28
	s_lshl_b32 s9, s5, s9
	s_lshl_b32 s2, s5, 24
	s_bfe_u32 s4, s5, 0x40003
	s_sub_i32 s8, 29, s8
	s_and_b32 s9, s9, 7
	s_cmp_eq_u32 s4, 0
	s_cselect_b32 s4, s8, s4
	s_cselect_b32 s3, s9, s3
	s_lshl_b32 s4, s4, 23
	s_and_b32 s2, s2, 0x80000000
	s_add_i32 s4, s4, 0x3b800000
	s_lshl_b32 s3, s3, 20
	s_or_b32 s2, s2, s4
	s_or_b32 s4, s2, s3
.LBB304_668:
	s_movk_i32 s2, 0x7f
	s_waitcnt vmcnt(0)
	v_cmp_gt_i16_sdwa s[8:9], v8, s2 src0_sel:BYTE_0 src1_sel:DWORD
	s_mov_b64 s[2:3], 0
	s_and_saveexec_b64 s[22:23], s[8:9]
	s_xor_b64 s[8:9], exec, s[22:23]
	s_cbranch_execnz .LBB304_673
; %bb.669:
	s_or_saveexec_b64 s[8:9], s[8:9]
	v_mov_b32_e32 v9, 0x7f800001
	s_xor_b64 exec, exec, s[8:9]
	s_cbranch_execnz .LBB304_676
.LBB304_670:
	s_or_b64 exec, exec, s[8:9]
	s_and_saveexec_b64 s[8:9], s[2:3]
	s_cbranch_execz .LBB304_672
.LBB304_671:
	v_and_b32_e32 v11, 7, v8
	v_ffbh_u32_e32 v12, v11
	v_min_u32_e32 v12, 32, v12
	v_lshrrev_b16_e32 v10, 3, v8
	v_subrev_u32_e32 v13, 28, v12
	v_and_b32_e32 v10, 15, v10
	v_lshlrev_b32_e32 v13, v13, v8
	v_sub_u32_e32 v12, 29, v12
	v_and_b32_e32 v13, 7, v13
	v_cmp_eq_u32_e32 vcc, 0, v10
	v_lshlrev_b32_e32 v9, 24, v8
	v_cndmask_b32_e32 v10, v10, v12, vcc
	v_cndmask_b32_e32 v11, v11, v13, vcc
	v_mov_b32_e32 v12, 0x3b800000
	v_lshlrev_b32_e32 v11, 20, v11
	v_and_b32_e32 v9, 0x80000000, v9
	v_lshl_add_u32 v10, v10, 23, v12
	v_or3_b32 v9, v9, v10, v11
.LBB304_672:
	s_or_b64 exec, exec, s[8:9]
	v_cmp_neq_f32_e64 s[2:3], s4, v9
	s_branch .LBB304_812
.LBB304_673:
	s_movk_i32 s2, 0x80
	v_cmp_eq_u16_sdwa s[24:25], v8, s2 src0_sel:BYTE_0 src1_sel:DWORD
	s_mov_b64 s[2:3], -1
	s_and_saveexec_b64 s[22:23], s[24:25]
; %bb.674:
	s_xor_b64 s[2:3], exec, -1
; %bb.675:
	s_or_b64 exec, exec, s[22:23]
	s_and_b64 s[2:3], s[2:3], exec
	s_or_saveexec_b64 s[8:9], s[8:9]
	v_mov_b32_e32 v9, 0x7f800001
	s_xor_b64 exec, exec, s[8:9]
	s_cbranch_execz .LBB304_670
.LBB304_676:
	v_mov_b32_e32 v9, 0
	v_cmp_ne_u16_sdwa s[22:23], v8, v9 src0_sel:BYTE_0 src1_sel:DWORD
	s_andn2_b64 s[2:3], s[2:3], exec
	s_and_b64 s[22:23], s[22:23], exec
	s_or_b64 s[2:3], s[2:3], s[22:23]
	s_or_b64 exec, exec, s[8:9]
	s_and_saveexec_b64 s[8:9], s[2:3]
	s_cbranch_execnz .LBB304_671
	s_branch .LBB304_672
.LBB304_677:
	s_mov_b64 s[6:7], 0
	s_mov_b32 s4, 0x7f800001
	s_cbranch_execz .LBB304_679
; %bb.678:
	s_and_b32 s6, 0xffff, s12
	s_cmp_lg_u32 s6, 0
	s_mov_b32 s4, 0
	s_cselect_b64 s[6:7], -1, 0
.LBB304_679:
	s_andn2_b64 vcc, exec, s[6:7]
	s_cbranch_vccnz .LBB304_681
; %bb.680:
	s_and_b32 s6, s5, 7
	s_flbit_i32_b32 s10, s6
	s_min_u32 s10, s10, 32
	s_sub_i32 s11, s10, 28
	s_lshl_b32 s11, s5, s11
	s_lshl_b32 s4, s5, 24
	s_bfe_u32 s7, s5, 0x40003
	s_sub_i32 s10, 29, s10
	s_and_b32 s11, s11, 7
	s_cmp_eq_u32 s7, 0
	s_cselect_b32 s7, s10, s7
	s_cselect_b32 s6, s11, s6
	s_lshl_b32 s7, s7, 23
	s_and_b32 s4, s4, 0x80000000
	s_add_i32 s7, s7, 0x3b800000
	s_lshl_b32 s6, s6, 20
	s_or_b32 s4, s4, s7
	s_or_b32 s4, s4, s6
.LBB304_681:
	s_movk_i32 s6, 0x7f
	s_waitcnt vmcnt(0)
	v_cmp_gt_i16_sdwa s[10:11], v8, s6 src0_sel:BYTE_0 src1_sel:DWORD
	s_mov_b64 s[6:7], 0
	s_and_saveexec_b64 s[12:13], s[10:11]
	s_xor_b64 s[10:11], exec, s[12:13]
	s_cbranch_execnz .LBB304_691
; %bb.682:
	s_or_saveexec_b64 s[10:11], s[10:11]
	v_mov_b32_e32 v10, 0x7f800001
	s_xor_b64 exec, exec, s[10:11]
	s_cbranch_execnz .LBB304_694
.LBB304_683:
	s_or_b64 exec, exec, s[10:11]
	s_and_saveexec_b64 s[10:11], s[6:7]
	s_cbranch_execz .LBB304_685
.LBB304_684:
	v_and_b32_e32 v14, 7, v8
	v_ffbh_u32_e32 v16, v14
	v_min_u32_e32 v16, 32, v16
	v_lshrrev_b16_e32 v12, 3, v8
	v_subrev_u32_e32 v18, 28, v16
	v_lshlrev_b32_e32 v10, 24, v8
	v_and_b32_e32 v12, 15, v12
	v_lshlrev_b32_e32 v8, v18, v8
	v_sub_u32_e32 v16, 29, v16
	v_and_b32_e32 v8, 7, v8
	v_cmp_eq_u32_e32 vcc, 0, v12
	v_cndmask_b32_e32 v12, v12, v16, vcc
	v_cndmask_b32_e32 v8, v14, v8, vcc
	v_mov_b32_e32 v14, 0x3b800000
	v_lshlrev_b32_e32 v8, 20, v8
	v_and_b32_e32 v10, 0x80000000, v10
	v_lshl_add_u32 v12, v12, 23, v14
	v_or3_b32 v10, v10, v12, v8
.LBB304_685:
	s_or_b64 exec, exec, s[10:11]
	v_cmp_eq_f32_e64 s[6:7], s4, v10
	global_load_ubyte v8, v21, s[2:3]
	s_and_b64 vcc, exec, s[8:9]
	s_cbranch_vccnz .LBB304_535
.LBB304_686:
                                        ; implicit-def: $sgpr10_sgpr11
	s_cbranch_execz .LBB304_561
; %bb.687:
	s_and_b32 s14, s5, 0xff
	s_cmpk_lt_i32 s14, 0x80
	s_cbranch_scc1 .LBB304_695
; %bb.688:
	s_and_b32 s4, 0xffff, s14
	s_cmpk_eq_i32 s4, 0x80
	s_mov_b64 s[10:11], -1
	s_cbranch_scc0 .LBB304_690
; %bb.689:
	s_mov_b64 s[10:11], 0
.LBB304_690:
	s_mov_b32 s4, 0x7f800001
	s_branch .LBB304_697
.LBB304_691:
	s_movk_i32 s6, 0x80
	v_cmp_eq_u16_sdwa s[14:15], v8, s6 src0_sel:BYTE_0 src1_sel:DWORD
	s_mov_b64 s[6:7], -1
	s_and_saveexec_b64 s[12:13], s[14:15]
; %bb.692:
	s_xor_b64 s[6:7], exec, -1
; %bb.693:
	s_or_b64 exec, exec, s[12:13]
	s_and_b64 s[6:7], s[6:7], exec
	s_or_saveexec_b64 s[10:11], s[10:11]
	v_mov_b32_e32 v10, 0x7f800001
	s_xor_b64 exec, exec, s[10:11]
	s_cbranch_execz .LBB304_683
.LBB304_694:
	v_mov_b32_e32 v10, 0
	v_cmp_ne_u16_sdwa s[12:13], v8, v10 src0_sel:BYTE_0 src1_sel:DWORD
	s_andn2_b64 s[6:7], s[6:7], exec
	s_and_b64 s[12:13], s[12:13], exec
	s_or_b64 s[6:7], s[6:7], s[12:13]
	s_or_b64 exec, exec, s[10:11]
	s_and_saveexec_b64 s[10:11], s[6:7]
	s_cbranch_execnz .LBB304_684
	s_branch .LBB304_685
.LBB304_695:
	s_mov_b64 s[10:11], 0
	s_mov_b32 s4, 0x7f800001
	s_cbranch_execz .LBB304_697
; %bb.696:
	s_and_b32 s10, 0xffff, s14
	s_cmp_lg_u32 s10, 0
	s_mov_b32 s4, 0
	s_cselect_b64 s[10:11], -1, 0
.LBB304_697:
	s_andn2_b64 vcc, exec, s[10:11]
	s_cbranch_vccnz .LBB304_699
; %bb.698:
	s_and_b32 s10, s5, 7
	s_flbit_i32_b32 s12, s10
	s_min_u32 s12, s12, 32
	s_sub_i32 s13, s12, 28
	s_lshl_b32 s13, s5, s13
	s_lshl_b32 s4, s5, 24
	s_bfe_u32 s11, s5, 0x40003
	s_sub_i32 s12, 29, s12
	s_and_b32 s13, s13, 7
	s_cmp_eq_u32 s11, 0
	s_cselect_b32 s11, s12, s11
	s_cselect_b32 s10, s13, s10
	s_lshl_b32 s11, s11, 23
	s_and_b32 s4, s4, 0x80000000
	s_add_i32 s11, s11, 0x3b800000
	s_lshl_b32 s10, s10, 20
	s_or_b32 s4, s4, s11
	s_or_b32 s4, s4, s10
.LBB304_699:
	s_movk_i32 s10, 0x7f
	s_waitcnt vmcnt(0)
	v_cmp_gt_i16_sdwa s[12:13], v8, s10 src0_sel:BYTE_0 src1_sel:DWORD
	s_mov_b64 s[10:11], 0
	s_and_saveexec_b64 s[14:15], s[12:13]
	s_xor_b64 s[12:13], exec, s[14:15]
	s_cbranch_execnz .LBB304_709
; %bb.700:
	s_or_saveexec_b64 s[12:13], s[12:13]
	v_mov_b32_e32 v10, 0x7f800001
	s_xor_b64 exec, exec, s[12:13]
	s_cbranch_execnz .LBB304_712
.LBB304_701:
	s_or_b64 exec, exec, s[12:13]
	s_and_saveexec_b64 s[12:13], s[10:11]
	s_cbranch_execz .LBB304_703
.LBB304_702:
	v_and_b32_e32 v14, 7, v8
	v_ffbh_u32_e32 v16, v14
	v_min_u32_e32 v16, 32, v16
	v_lshrrev_b16_e32 v12, 3, v8
	v_subrev_u32_e32 v18, 28, v16
	v_lshlrev_b32_e32 v10, 24, v8
	v_and_b32_e32 v12, 15, v12
	v_lshlrev_b32_e32 v8, v18, v8
	v_sub_u32_e32 v16, 29, v16
	v_and_b32_e32 v8, 7, v8
	v_cmp_eq_u32_e32 vcc, 0, v12
	v_cndmask_b32_e32 v12, v12, v16, vcc
	v_cndmask_b32_e32 v8, v14, v8, vcc
	v_mov_b32_e32 v14, 0x3b800000
	v_lshlrev_b32_e32 v8, 20, v8
	v_and_b32_e32 v10, 0x80000000, v10
	v_lshl_add_u32 v12, v12, 23, v14
	v_or3_b32 v10, v10, v12, v8
.LBB304_703:
	s_or_b64 exec, exec, s[12:13]
	v_cmp_eq_f32_e64 s[10:11], s4, v10
	global_load_ubyte v8, v19, s[2:3]
	s_and_b64 vcc, exec, s[8:9]
	s_cbranch_vccnz .LBB304_562
.LBB304_704:
                                        ; implicit-def: $sgpr12_sgpr13
	s_cbranch_execz .LBB304_583
; %bb.705:
	s_and_b32 s16, s5, 0xff
	s_cmpk_lt_i32 s16, 0x80
	s_cbranch_scc1 .LBB304_713
; %bb.706:
	s_and_b32 s4, 0xffff, s16
	s_cmpk_eq_i32 s4, 0x80
	s_mov_b64 s[12:13], -1
	s_cbranch_scc0 .LBB304_708
; %bb.707:
	s_mov_b64 s[12:13], 0
.LBB304_708:
	s_mov_b32 s4, 0x7f800001
	s_branch .LBB304_715
.LBB304_709:
	s_movk_i32 s10, 0x80
	v_cmp_eq_u16_sdwa s[16:17], v8, s10 src0_sel:BYTE_0 src1_sel:DWORD
	s_mov_b64 s[10:11], -1
	s_and_saveexec_b64 s[14:15], s[16:17]
; %bb.710:
	s_xor_b64 s[10:11], exec, -1
; %bb.711:
	s_or_b64 exec, exec, s[14:15]
	s_and_b64 s[10:11], s[10:11], exec
	s_or_saveexec_b64 s[12:13], s[12:13]
	v_mov_b32_e32 v10, 0x7f800001
	s_xor_b64 exec, exec, s[12:13]
	s_cbranch_execz .LBB304_701
.LBB304_712:
	v_mov_b32_e32 v10, 0
	v_cmp_ne_u16_sdwa s[14:15], v8, v10 src0_sel:BYTE_0 src1_sel:DWORD
	s_andn2_b64 s[10:11], s[10:11], exec
	s_and_b64 s[14:15], s[14:15], exec
	s_or_b64 s[10:11], s[10:11], s[14:15]
	s_or_b64 exec, exec, s[12:13]
	s_and_saveexec_b64 s[12:13], s[10:11]
	s_cbranch_execnz .LBB304_702
	s_branch .LBB304_703
.LBB304_713:
	s_mov_b64 s[12:13], 0
	s_mov_b32 s4, 0x7f800001
	s_cbranch_execz .LBB304_715
; %bb.714:
	s_and_b32 s12, 0xffff, s16
	s_cmp_lg_u32 s12, 0
	s_mov_b32 s4, 0
	s_cselect_b64 s[12:13], -1, 0
.LBB304_715:
	s_andn2_b64 vcc, exec, s[12:13]
	s_cbranch_vccnz .LBB304_717
; %bb.716:
	s_and_b32 s12, s5, 7
	s_flbit_i32_b32 s14, s12
	s_min_u32 s14, s14, 32
	s_sub_i32 s15, s14, 28
	s_lshl_b32 s15, s5, s15
	s_lshl_b32 s4, s5, 24
	s_bfe_u32 s13, s5, 0x40003
	s_sub_i32 s14, 29, s14
	s_and_b32 s15, s15, 7
	s_cmp_eq_u32 s13, 0
	s_cselect_b32 s13, s14, s13
	s_cselect_b32 s12, s15, s12
	s_lshl_b32 s13, s13, 23
	s_and_b32 s4, s4, 0x80000000
	s_add_i32 s13, s13, 0x3b800000
	s_lshl_b32 s12, s12, 20
	s_or_b32 s4, s4, s13
	s_or_b32 s4, s4, s12
.LBB304_717:
	s_movk_i32 s12, 0x7f
	s_waitcnt vmcnt(0)
	v_cmp_gt_i16_sdwa s[14:15], v8, s12 src0_sel:BYTE_0 src1_sel:DWORD
	s_mov_b64 s[12:13], 0
	s_and_saveexec_b64 s[16:17], s[14:15]
	s_xor_b64 s[14:15], exec, s[16:17]
	s_cbranch_execnz .LBB304_727
; %bb.718:
	s_or_saveexec_b64 s[14:15], s[14:15]
	v_mov_b32_e32 v10, 0x7f800001
	s_xor_b64 exec, exec, s[14:15]
	s_cbranch_execnz .LBB304_730
.LBB304_719:
	s_or_b64 exec, exec, s[14:15]
	s_and_saveexec_b64 s[14:15], s[12:13]
	s_cbranch_execz .LBB304_721
.LBB304_720:
	v_and_b32_e32 v14, 7, v8
	v_ffbh_u32_e32 v16, v14
	v_min_u32_e32 v16, 32, v16
	v_lshrrev_b16_e32 v12, 3, v8
	v_subrev_u32_e32 v18, 28, v16
	v_lshlrev_b32_e32 v10, 24, v8
	v_and_b32_e32 v12, 15, v12
	v_lshlrev_b32_e32 v8, v18, v8
	v_sub_u32_e32 v16, 29, v16
	v_and_b32_e32 v8, 7, v8
	v_cmp_eq_u32_e32 vcc, 0, v12
	v_cndmask_b32_e32 v12, v12, v16, vcc
	v_cndmask_b32_e32 v8, v14, v8, vcc
	v_mov_b32_e32 v14, 0x3b800000
	v_lshlrev_b32_e32 v8, 20, v8
	v_and_b32_e32 v10, 0x80000000, v10
	v_lshl_add_u32 v12, v12, 23, v14
	v_or3_b32 v10, v10, v12, v8
.LBB304_721:
	s_or_b64 exec, exec, s[14:15]
	v_cmp_eq_f32_e64 s[12:13], s4, v10
	global_load_ubyte v8, v17, s[2:3]
	s_and_b64 vcc, exec, s[8:9]
	s_cbranch_vccnz .LBB304_584
.LBB304_722:
                                        ; implicit-def: $sgpr14_sgpr15
	s_cbranch_execz .LBB304_601
; %bb.723:
	s_and_b32 s18, s5, 0xff
	s_cmpk_lt_i32 s18, 0x80
	s_cbranch_scc1 .LBB304_731
; %bb.724:
	s_and_b32 s4, 0xffff, s18
	s_cmpk_eq_i32 s4, 0x80
	s_mov_b64 s[14:15], -1
	s_cbranch_scc0 .LBB304_726
; %bb.725:
	s_mov_b64 s[14:15], 0
.LBB304_726:
	s_mov_b32 s4, 0x7f800001
	s_branch .LBB304_733
.LBB304_727:
	s_movk_i32 s12, 0x80
	v_cmp_eq_u16_sdwa s[18:19], v8, s12 src0_sel:BYTE_0 src1_sel:DWORD
	s_mov_b64 s[12:13], -1
	s_and_saveexec_b64 s[16:17], s[18:19]
; %bb.728:
	s_xor_b64 s[12:13], exec, -1
; %bb.729:
	s_or_b64 exec, exec, s[16:17]
	s_and_b64 s[12:13], s[12:13], exec
	s_or_saveexec_b64 s[14:15], s[14:15]
	v_mov_b32_e32 v10, 0x7f800001
	s_xor_b64 exec, exec, s[14:15]
	s_cbranch_execz .LBB304_719
.LBB304_730:
	v_mov_b32_e32 v10, 0
	v_cmp_ne_u16_sdwa s[16:17], v8, v10 src0_sel:BYTE_0 src1_sel:DWORD
	s_andn2_b64 s[12:13], s[12:13], exec
	s_and_b64 s[16:17], s[16:17], exec
	s_or_b64 s[12:13], s[12:13], s[16:17]
	s_or_b64 exec, exec, s[14:15]
	s_and_saveexec_b64 s[14:15], s[12:13]
	s_cbranch_execnz .LBB304_720
	s_branch .LBB304_721
.LBB304_731:
	s_mov_b64 s[14:15], 0
	s_mov_b32 s4, 0x7f800001
	s_cbranch_execz .LBB304_733
; %bb.732:
	s_and_b32 s14, 0xffff, s18
	s_cmp_lg_u32 s14, 0
	s_mov_b32 s4, 0
	s_cselect_b64 s[14:15], -1, 0
.LBB304_733:
	s_andn2_b64 vcc, exec, s[14:15]
	s_cbranch_vccnz .LBB304_735
; %bb.734:
	s_and_b32 s14, s5, 7
	s_flbit_i32_b32 s16, s14
	s_min_u32 s16, s16, 32
	s_sub_i32 s17, s16, 28
	s_lshl_b32 s17, s5, s17
	s_lshl_b32 s4, s5, 24
	s_bfe_u32 s15, s5, 0x40003
	s_sub_i32 s16, 29, s16
	s_and_b32 s17, s17, 7
	s_cmp_eq_u32 s15, 0
	s_cselect_b32 s15, s16, s15
	s_cselect_b32 s14, s17, s14
	s_lshl_b32 s15, s15, 23
	s_and_b32 s4, s4, 0x80000000
	s_add_i32 s15, s15, 0x3b800000
	s_lshl_b32 s14, s14, 20
	s_or_b32 s4, s4, s15
	s_or_b32 s4, s4, s14
.LBB304_735:
	s_movk_i32 s14, 0x7f
	s_waitcnt vmcnt(0)
	v_cmp_gt_i16_sdwa s[16:17], v8, s14 src0_sel:BYTE_0 src1_sel:DWORD
	s_mov_b64 s[14:15], 0
	s_and_saveexec_b64 s[18:19], s[16:17]
	s_xor_b64 s[16:17], exec, s[18:19]
	s_cbranch_execnz .LBB304_745
; %bb.736:
	s_or_saveexec_b64 s[16:17], s[16:17]
	v_mov_b32_e32 v10, 0x7f800001
	s_xor_b64 exec, exec, s[16:17]
	s_cbranch_execnz .LBB304_748
.LBB304_737:
	s_or_b64 exec, exec, s[16:17]
	s_and_saveexec_b64 s[16:17], s[14:15]
	s_cbranch_execz .LBB304_739
.LBB304_738:
	v_and_b32_e32 v14, 7, v8
	v_ffbh_u32_e32 v16, v14
	v_min_u32_e32 v16, 32, v16
	v_lshrrev_b16_e32 v12, 3, v8
	v_subrev_u32_e32 v17, 28, v16
	v_lshlrev_b32_e32 v10, 24, v8
	v_and_b32_e32 v12, 15, v12
	v_lshlrev_b32_e32 v8, v17, v8
	v_sub_u32_e32 v16, 29, v16
	v_and_b32_e32 v8, 7, v8
	v_cmp_eq_u32_e32 vcc, 0, v12
	v_cndmask_b32_e32 v12, v12, v16, vcc
	v_cndmask_b32_e32 v8, v14, v8, vcc
	v_mov_b32_e32 v14, 0x3b800000
	v_lshlrev_b32_e32 v8, 20, v8
	v_and_b32_e32 v10, 0x80000000, v10
	v_lshl_add_u32 v12, v12, 23, v14
	v_or3_b32 v10, v10, v12, v8
.LBB304_739:
	s_or_b64 exec, exec, s[16:17]
	v_cmp_eq_f32_e64 s[14:15], s4, v10
	global_load_ubyte v8, v15, s[2:3]
	s_and_b64 vcc, exec, s[8:9]
	s_cbranch_vccnz .LBB304_602
.LBB304_740:
                                        ; implicit-def: $sgpr16_sgpr17
	s_cbranch_execz .LBB304_619
; %bb.741:
	s_and_b32 s20, s5, 0xff
	s_cmpk_lt_i32 s20, 0x80
	s_cbranch_scc1 .LBB304_749
; %bb.742:
	s_and_b32 s4, 0xffff, s20
	s_cmpk_eq_i32 s4, 0x80
	s_mov_b64 s[16:17], -1
	s_cbranch_scc0 .LBB304_744
; %bb.743:
	s_mov_b64 s[16:17], 0
.LBB304_744:
	s_mov_b32 s4, 0x7f800001
	s_branch .LBB304_751
.LBB304_745:
	s_movk_i32 s14, 0x80
	v_cmp_eq_u16_sdwa s[20:21], v8, s14 src0_sel:BYTE_0 src1_sel:DWORD
	s_mov_b64 s[14:15], -1
	s_and_saveexec_b64 s[18:19], s[20:21]
; %bb.746:
	s_xor_b64 s[14:15], exec, -1
; %bb.747:
	s_or_b64 exec, exec, s[18:19]
	s_and_b64 s[14:15], s[14:15], exec
	s_or_saveexec_b64 s[16:17], s[16:17]
	v_mov_b32_e32 v10, 0x7f800001
	s_xor_b64 exec, exec, s[16:17]
	s_cbranch_execz .LBB304_737
.LBB304_748:
	v_mov_b32_e32 v10, 0
	v_cmp_ne_u16_sdwa s[18:19], v8, v10 src0_sel:BYTE_0 src1_sel:DWORD
	s_andn2_b64 s[14:15], s[14:15], exec
	s_and_b64 s[18:19], s[18:19], exec
	s_or_b64 s[14:15], s[14:15], s[18:19]
	s_or_b64 exec, exec, s[16:17]
	s_and_saveexec_b64 s[16:17], s[14:15]
	s_cbranch_execnz .LBB304_738
	s_branch .LBB304_739
.LBB304_749:
	s_mov_b64 s[16:17], 0
	s_mov_b32 s4, 0x7f800001
	s_cbranch_execz .LBB304_751
; %bb.750:
	s_and_b32 s16, 0xffff, s20
	s_cmp_lg_u32 s16, 0
	s_mov_b32 s4, 0
	s_cselect_b64 s[16:17], -1, 0
.LBB304_751:
	s_andn2_b64 vcc, exec, s[16:17]
	s_cbranch_vccnz .LBB304_753
; %bb.752:
	s_and_b32 s16, s5, 7
	s_flbit_i32_b32 s18, s16
	s_min_u32 s18, s18, 32
	s_sub_i32 s19, s18, 28
	s_lshl_b32 s19, s5, s19
	s_lshl_b32 s4, s5, 24
	s_bfe_u32 s17, s5, 0x40003
	s_sub_i32 s18, 29, s18
	s_and_b32 s19, s19, 7
	s_cmp_eq_u32 s17, 0
	s_cselect_b32 s17, s18, s17
	s_cselect_b32 s16, s19, s16
	s_lshl_b32 s17, s17, 23
	s_and_b32 s4, s4, 0x80000000
	s_add_i32 s17, s17, 0x3b800000
	s_lshl_b32 s16, s16, 20
	s_or_b32 s4, s4, s17
	s_or_b32 s4, s4, s16
.LBB304_753:
	s_movk_i32 s16, 0x7f
	s_waitcnt vmcnt(0)
	v_cmp_gt_i16_sdwa s[18:19], v8, s16 src0_sel:BYTE_0 src1_sel:DWORD
	s_mov_b64 s[16:17], 0
	s_and_saveexec_b64 s[20:21], s[18:19]
	s_xor_b64 s[18:19], exec, s[20:21]
	s_cbranch_execnz .LBB304_763
; %bb.754:
	s_or_saveexec_b64 s[18:19], s[18:19]
	v_mov_b32_e32 v10, 0x7f800001
	s_xor_b64 exec, exec, s[18:19]
	s_cbranch_execnz .LBB304_766
.LBB304_755:
	s_or_b64 exec, exec, s[18:19]
	s_and_saveexec_b64 s[18:19], s[16:17]
	s_cbranch_execz .LBB304_757
.LBB304_756:
	v_and_b32_e32 v14, 7, v8
	v_ffbh_u32_e32 v15, v14
	v_min_u32_e32 v15, 32, v15
	v_lshrrev_b16_e32 v12, 3, v8
	v_subrev_u32_e32 v16, 28, v15
	v_lshlrev_b32_e32 v10, 24, v8
	v_and_b32_e32 v12, 15, v12
	v_lshlrev_b32_e32 v8, v16, v8
	v_sub_u32_e32 v15, 29, v15
	v_and_b32_e32 v8, 7, v8
	v_cmp_eq_u32_e32 vcc, 0, v12
	v_cndmask_b32_e32 v12, v12, v15, vcc
	v_cndmask_b32_e32 v8, v14, v8, vcc
	v_mov_b32_e32 v14, 0x3b800000
	v_lshlrev_b32_e32 v8, 20, v8
	v_and_b32_e32 v10, 0x80000000, v10
	v_lshl_add_u32 v12, v12, 23, v14
	v_or3_b32 v10, v10, v12, v8
.LBB304_757:
	s_or_b64 exec, exec, s[18:19]
	v_cmp_eq_f32_e64 s[16:17], s4, v10
	global_load_ubyte v8, v13, s[2:3]
	s_and_b64 vcc, exec, s[8:9]
	s_cbranch_vccnz .LBB304_620
.LBB304_758:
                                        ; implicit-def: $sgpr18_sgpr19
	s_cbranch_execz .LBB304_637
; %bb.759:
	s_and_b32 s22, s5, 0xff
	s_cmpk_lt_i32 s22, 0x80
	s_cbranch_scc1 .LBB304_767
; %bb.760:
	s_and_b32 s4, 0xffff, s22
	s_cmpk_eq_i32 s4, 0x80
	s_mov_b64 s[18:19], -1
	s_cbranch_scc0 .LBB304_762
; %bb.761:
	s_mov_b64 s[18:19], 0
.LBB304_762:
	s_mov_b32 s4, 0x7f800001
	s_branch .LBB304_769
.LBB304_763:
	s_movk_i32 s16, 0x80
	v_cmp_eq_u16_sdwa s[22:23], v8, s16 src0_sel:BYTE_0 src1_sel:DWORD
	s_mov_b64 s[16:17], -1
	s_and_saveexec_b64 s[20:21], s[22:23]
; %bb.764:
	s_xor_b64 s[16:17], exec, -1
; %bb.765:
	s_or_b64 exec, exec, s[20:21]
	s_and_b64 s[16:17], s[16:17], exec
	s_or_saveexec_b64 s[18:19], s[18:19]
	v_mov_b32_e32 v10, 0x7f800001
	s_xor_b64 exec, exec, s[18:19]
	s_cbranch_execz .LBB304_755
.LBB304_766:
	v_mov_b32_e32 v10, 0
	v_cmp_ne_u16_sdwa s[20:21], v8, v10 src0_sel:BYTE_0 src1_sel:DWORD
	s_andn2_b64 s[16:17], s[16:17], exec
	s_and_b64 s[20:21], s[20:21], exec
	s_or_b64 s[16:17], s[16:17], s[20:21]
	s_or_b64 exec, exec, s[18:19]
	s_and_saveexec_b64 s[18:19], s[16:17]
	s_cbranch_execnz .LBB304_756
	s_branch .LBB304_757
.LBB304_767:
	s_mov_b64 s[18:19], 0
	s_mov_b32 s4, 0x7f800001
	s_cbranch_execz .LBB304_769
; %bb.768:
	s_and_b32 s18, 0xffff, s22
	s_cmp_lg_u32 s18, 0
	s_mov_b32 s4, 0
	s_cselect_b64 s[18:19], -1, 0
.LBB304_769:
	s_andn2_b64 vcc, exec, s[18:19]
	s_cbranch_vccnz .LBB304_771
; %bb.770:
	s_and_b32 s18, s5, 7
	s_flbit_i32_b32 s20, s18
	s_min_u32 s20, s20, 32
	s_sub_i32 s21, s20, 28
	s_lshl_b32 s21, s5, s21
	s_lshl_b32 s4, s5, 24
	s_bfe_u32 s19, s5, 0x40003
	s_sub_i32 s20, 29, s20
	s_and_b32 s21, s21, 7
	s_cmp_eq_u32 s19, 0
	s_cselect_b32 s19, s20, s19
	s_cselect_b32 s18, s21, s18
	s_lshl_b32 s19, s19, 23
	s_and_b32 s4, s4, 0x80000000
	s_add_i32 s19, s19, 0x3b800000
	s_lshl_b32 s18, s18, 20
	s_or_b32 s4, s4, s19
	s_or_b32 s4, s4, s18
.LBB304_771:
	s_movk_i32 s18, 0x7f
	s_waitcnt vmcnt(0)
	v_cmp_gt_i16_sdwa s[20:21], v8, s18 src0_sel:BYTE_0 src1_sel:DWORD
	s_mov_b64 s[18:19], 0
	s_and_saveexec_b64 s[22:23], s[20:21]
	s_xor_b64 s[20:21], exec, s[22:23]
	s_cbranch_execnz .LBB304_781
; %bb.772:
	s_or_saveexec_b64 s[20:21], s[20:21]
	v_mov_b32_e32 v10, 0x7f800001
	s_xor_b64 exec, exec, s[20:21]
	s_cbranch_execnz .LBB304_784
.LBB304_773:
	s_or_b64 exec, exec, s[20:21]
	s_and_saveexec_b64 s[20:21], s[18:19]
	s_cbranch_execz .LBB304_775
.LBB304_774:
	v_and_b32_e32 v13, 7, v8
	v_ffbh_u32_e32 v14, v13
	v_min_u32_e32 v14, 32, v14
	v_lshrrev_b16_e32 v12, 3, v8
	v_subrev_u32_e32 v15, 28, v14
	v_lshlrev_b32_e32 v10, 24, v8
	v_and_b32_e32 v12, 15, v12
	v_lshlrev_b32_e32 v8, v15, v8
	v_sub_u32_e32 v14, 29, v14
	v_and_b32_e32 v8, 7, v8
	v_cmp_eq_u32_e32 vcc, 0, v12
	v_cndmask_b32_e32 v12, v12, v14, vcc
	v_cndmask_b32_e32 v8, v13, v8, vcc
	v_mov_b32_e32 v13, 0x3b800000
	v_lshlrev_b32_e32 v8, 20, v8
	v_and_b32_e32 v10, 0x80000000, v10
	v_lshl_add_u32 v12, v12, 23, v13
	v_or3_b32 v10, v10, v12, v8
.LBB304_775:
	s_or_b64 exec, exec, s[20:21]
	v_cmp_eq_f32_e64 s[18:19], s4, v10
	global_load_ubyte v8, v11, s[2:3]
	s_and_b64 vcc, exec, s[8:9]
	s_cbranch_vccnz .LBB304_638
.LBB304_776:
                                        ; implicit-def: $sgpr20_sgpr21
	s_cbranch_execz .LBB304_655
; %bb.777:
	s_and_b32 s24, s5, 0xff
	s_cmpk_lt_i32 s24, 0x80
	s_cbranch_scc1 .LBB304_785
; %bb.778:
	s_and_b32 s4, 0xffff, s24
	s_cmpk_eq_i32 s4, 0x80
	s_mov_b64 s[20:21], -1
	s_cbranch_scc0 .LBB304_780
; %bb.779:
	s_mov_b64 s[20:21], 0
.LBB304_780:
	s_mov_b32 s4, 0x7f800001
	s_branch .LBB304_787
.LBB304_781:
	s_movk_i32 s18, 0x80
	v_cmp_eq_u16_sdwa s[24:25], v8, s18 src0_sel:BYTE_0 src1_sel:DWORD
	s_mov_b64 s[18:19], -1
	s_and_saveexec_b64 s[22:23], s[24:25]
; %bb.782:
	s_xor_b64 s[18:19], exec, -1
; %bb.783:
	s_or_b64 exec, exec, s[22:23]
	s_and_b64 s[18:19], s[18:19], exec
	s_or_saveexec_b64 s[20:21], s[20:21]
	v_mov_b32_e32 v10, 0x7f800001
	s_xor_b64 exec, exec, s[20:21]
	s_cbranch_execz .LBB304_773
.LBB304_784:
	v_mov_b32_e32 v10, 0
	v_cmp_ne_u16_sdwa s[22:23], v8, v10 src0_sel:BYTE_0 src1_sel:DWORD
	s_andn2_b64 s[18:19], s[18:19], exec
	s_and_b64 s[22:23], s[22:23], exec
	s_or_b64 s[18:19], s[18:19], s[22:23]
	s_or_b64 exec, exec, s[20:21]
	s_and_saveexec_b64 s[20:21], s[18:19]
	s_cbranch_execnz .LBB304_774
	s_branch .LBB304_775
.LBB304_785:
	s_mov_b64 s[20:21], 0
	s_mov_b32 s4, 0x7f800001
	s_cbranch_execz .LBB304_787
; %bb.786:
	s_and_b32 s20, 0xffff, s24
	s_cmp_lg_u32 s20, 0
	s_mov_b32 s4, 0
	s_cselect_b64 s[20:21], -1, 0
.LBB304_787:
	s_andn2_b64 vcc, exec, s[20:21]
	s_cbranch_vccnz .LBB304_789
; %bb.788:
	s_and_b32 s20, s5, 7
	s_flbit_i32_b32 s22, s20
	s_min_u32 s22, s22, 32
	s_sub_i32 s23, s22, 28
	s_lshl_b32 s23, s5, s23
	s_lshl_b32 s4, s5, 24
	s_bfe_u32 s21, s5, 0x40003
	s_sub_i32 s22, 29, s22
	s_and_b32 s23, s23, 7
	s_cmp_eq_u32 s21, 0
	s_cselect_b32 s21, s22, s21
	s_cselect_b32 s20, s23, s20
	s_lshl_b32 s21, s21, 23
	s_and_b32 s4, s4, 0x80000000
	s_add_i32 s21, s21, 0x3b800000
	s_lshl_b32 s20, s20, 20
	s_or_b32 s4, s4, s21
	s_or_b32 s4, s4, s20
.LBB304_789:
	s_movk_i32 s20, 0x7f
	s_waitcnt vmcnt(0)
	v_cmp_gt_i16_sdwa s[22:23], v8, s20 src0_sel:BYTE_0 src1_sel:DWORD
	s_mov_b64 s[20:21], 0
	s_and_saveexec_b64 s[24:25], s[22:23]
	s_xor_b64 s[22:23], exec, s[24:25]
	s_cbranch_execnz .LBB304_799
; %bb.790:
	s_or_saveexec_b64 s[22:23], s[22:23]
	v_mov_b32_e32 v10, 0x7f800001
	s_xor_b64 exec, exec, s[22:23]
	s_cbranch_execnz .LBB304_802
.LBB304_791:
	s_or_b64 exec, exec, s[22:23]
	s_and_saveexec_b64 s[22:23], s[20:21]
	s_cbranch_execz .LBB304_793
.LBB304_792:
	v_and_b32_e32 v12, 7, v8
	v_ffbh_u32_e32 v13, v12
	v_min_u32_e32 v13, 32, v13
	v_lshrrev_b16_e32 v11, 3, v8
	v_subrev_u32_e32 v14, 28, v13
	v_lshlrev_b32_e32 v10, 24, v8
	v_and_b32_e32 v11, 15, v11
	v_lshlrev_b32_e32 v8, v14, v8
	v_sub_u32_e32 v13, 29, v13
	v_and_b32_e32 v8, 7, v8
	v_cmp_eq_u32_e32 vcc, 0, v11
	v_cndmask_b32_e32 v11, v11, v13, vcc
	v_cndmask_b32_e32 v8, v12, v8, vcc
	v_mov_b32_e32 v12, 0x3b800000
	v_lshlrev_b32_e32 v8, 20, v8
	v_and_b32_e32 v10, 0x80000000, v10
	v_lshl_add_u32 v11, v11, 23, v12
	v_or3_b32 v10, v10, v11, v8
.LBB304_793:
	s_or_b64 exec, exec, s[22:23]
	v_cmp_eq_f32_e64 s[20:21], s4, v10
	global_load_ubyte v8, v9, s[2:3]
	s_and_b64 vcc, exec, s[8:9]
	s_cbranch_vccnz .LBB304_656
.LBB304_794:
                                        ; implicit-def: $sgpr2_sgpr3
	s_cbranch_execz .LBB304_812
; %bb.795:
	s_and_b32 s4, s5, 0xff
	s_cmpk_lt_i32 s4, 0x80
	s_cbranch_scc1 .LBB304_803
; %bb.796:
	s_and_b32 s2, 0xffff, s4
	s_cmpk_eq_i32 s2, 0x80
	s_mov_b64 s[2:3], -1
	s_cbranch_scc0 .LBB304_798
; %bb.797:
	s_mov_b64 s[2:3], 0
.LBB304_798:
	s_mov_b32 s22, 0x7f800001
	s_branch .LBB304_805
.LBB304_799:
	s_movk_i32 s20, 0x80
	v_cmp_eq_u16_sdwa s[26:27], v8, s20 src0_sel:BYTE_0 src1_sel:DWORD
	s_mov_b64 s[20:21], -1
	s_and_saveexec_b64 s[24:25], s[26:27]
; %bb.800:
	s_xor_b64 s[20:21], exec, -1
; %bb.801:
	s_or_b64 exec, exec, s[24:25]
	s_and_b64 s[20:21], s[20:21], exec
	s_or_saveexec_b64 s[22:23], s[22:23]
	v_mov_b32_e32 v10, 0x7f800001
	s_xor_b64 exec, exec, s[22:23]
	s_cbranch_execz .LBB304_791
.LBB304_802:
	v_mov_b32_e32 v10, 0
	v_cmp_ne_u16_sdwa s[24:25], v8, v10 src0_sel:BYTE_0 src1_sel:DWORD
	s_andn2_b64 s[20:21], s[20:21], exec
	s_and_b64 s[24:25], s[24:25], exec
	s_or_b64 s[20:21], s[20:21], s[24:25]
	s_or_b64 exec, exec, s[22:23]
	s_and_saveexec_b64 s[22:23], s[20:21]
	s_cbranch_execnz .LBB304_792
	s_branch .LBB304_793
.LBB304_803:
	s_mov_b64 s[2:3], 0
	s_mov_b32 s22, 0x7f800001
	s_cbranch_execz .LBB304_805
; %bb.804:
	s_and_b32 s2, 0xffff, s4
	s_cmp_lg_u32 s2, 0
	s_mov_b32 s22, 0
	s_cselect_b64 s[2:3], -1, 0
.LBB304_805:
	s_andn2_b64 vcc, exec, s[2:3]
	s_cbranch_vccnz .LBB304_807
; %bb.806:
	s_and_b32 s3, s5, 7
	s_flbit_i32_b32 s8, s3
	s_min_u32 s8, s8, 32
	s_sub_i32 s9, s8, 28
	s_lshl_b32 s2, s5, 24
	s_bfe_u32 s4, s5, 0x40003
	s_lshl_b32 s5, s5, s9
	s_sub_i32 s8, 29, s8
	s_and_b32 s5, s5, 7
	s_cmp_eq_u32 s4, 0
	s_cselect_b32 s4, s8, s4
	s_cselect_b32 s3, s5, s3
	s_lshl_b32 s4, s4, 23
	s_and_b32 s2, s2, 0x80000000
	s_add_i32 s4, s4, 0x3b800000
	s_lshl_b32 s3, s3, 20
	s_or_b32 s2, s2, s4
	s_or_b32 s22, s2, s3
.LBB304_807:
	s_movk_i32 s2, 0x7f
	s_waitcnt vmcnt(0)
	v_cmp_gt_i16_sdwa s[4:5], v8, s2 src0_sel:BYTE_0 src1_sel:DWORD
	s_mov_b64 s[2:3], 0
	s_and_saveexec_b64 s[8:9], s[4:5]
	s_xor_b64 s[4:5], exec, s[8:9]
	s_cbranch_execnz .LBB304_813
; %bb.808:
	s_or_saveexec_b64 s[4:5], s[4:5]
	v_mov_b32_e32 v9, 0x7f800001
	s_xor_b64 exec, exec, s[4:5]
	s_cbranch_execnz .LBB304_816
.LBB304_809:
	s_or_b64 exec, exec, s[4:5]
	s_and_saveexec_b64 s[4:5], s[2:3]
	s_cbranch_execz .LBB304_811
.LBB304_810:
	v_and_b32_e32 v11, 7, v8
	v_ffbh_u32_e32 v12, v11
	v_min_u32_e32 v12, 32, v12
	v_lshrrev_b16_e32 v10, 3, v8
	v_subrev_u32_e32 v13, 28, v12
	v_lshlrev_b32_e32 v9, 24, v8
	v_and_b32_e32 v10, 15, v10
	v_lshlrev_b32_e32 v8, v13, v8
	v_sub_u32_e32 v12, 29, v12
	v_and_b32_e32 v8, 7, v8
	v_cmp_eq_u32_e32 vcc, 0, v10
	v_cndmask_b32_e32 v10, v10, v12, vcc
	v_cndmask_b32_e32 v8, v11, v8, vcc
	v_mov_b32_e32 v11, 0x3b800000
	v_lshlrev_b32_e32 v8, 20, v8
	v_and_b32_e32 v9, 0x80000000, v9
	v_lshl_add_u32 v10, v10, 23, v11
	v_or3_b32 v9, v9, v10, v8
.LBB304_811:
	s_or_b64 exec, exec, s[4:5]
	v_cmp_eq_f32_e64 s[2:3], s22, v9
.LBB304_812:
	v_cndmask_b32_e64 v14, 0, 1, s[6:7]
	s_waitcnt vmcnt(0)
	v_cndmask_b32_e64 v8, 0, 1, s[20:21]
	v_cndmask_b32_e64 v9, 0, 1, s[18:19]
	;; [unrolled: 1-line block ×7, first 2 shown]
	global_store_byte v0, v14, s[0:1]
	global_store_byte v1, v13, s[0:1]
	;; [unrolled: 1-line block ×8, first 2 shown]
	s_endpgm
.LBB304_813:
	s_movk_i32 s2, 0x80
	v_cmp_eq_u16_sdwa s[24:25], v8, s2 src0_sel:BYTE_0 src1_sel:DWORD
	s_mov_b64 s[2:3], -1
	s_and_saveexec_b64 s[8:9], s[24:25]
; %bb.814:
	s_xor_b64 s[2:3], exec, -1
; %bb.815:
	s_or_b64 exec, exec, s[8:9]
	s_and_b64 s[2:3], s[2:3], exec
	s_or_saveexec_b64 s[4:5], s[4:5]
	v_mov_b32_e32 v9, 0x7f800001
	s_xor_b64 exec, exec, s[4:5]
	s_cbranch_execz .LBB304_809
.LBB304_816:
	v_mov_b32_e32 v9, 0
	v_cmp_ne_u16_sdwa s[8:9], v8, v9 src0_sel:BYTE_0 src1_sel:DWORD
	s_andn2_b64 s[2:3], s[2:3], exec
	s_and_b64 s[8:9], s[8:9], exec
	s_or_b64 s[2:3], s[2:3], s[8:9]
	s_or_b64 exec, exec, s[4:5]
	s_and_saveexec_b64 s[4:5], s[2:3]
	s_cbranch_execnz .LBB304_810
	s_branch .LBB304_811
.LBB304_817:
	s_movk_i32 s0, 0x80
	v_cmp_eq_u16_sdwa s[8:9], v1, s0 src0_sel:BYTE_0 src1_sel:DWORD
	s_mov_b64 s[0:1], -1
	s_and_saveexec_b64 s[4:5], s[8:9]
; %bb.818:
	s_xor_b64 s[0:1], exec, -1
; %bb.819:
	s_or_b64 exec, exec, s[4:5]
	s_and_b64 s[0:1], s[0:1], exec
	s_or_saveexec_b64 s[2:3], s[2:3]
	v_mov_b32_e32 v2, 0x7f800001
	s_xor_b64 exec, exec, s[2:3]
	s_cbranch_execz .LBB304_409
.LBB304_820:
	v_mov_b32_e32 v2, 0
	v_cmp_ne_u16_sdwa s[4:5], v1, v2 src0_sel:BYTE_0 src1_sel:DWORD
	s_andn2_b64 s[0:1], s[0:1], exec
	s_and_b64 s[4:5], s[4:5], exec
	s_or_b64 s[0:1], s[0:1], s[4:5]
	s_or_b64 exec, exec, s[2:3]
	s_and_saveexec_b64 s[2:3], s[0:1]
	s_cbranch_execnz .LBB304_410
	s_branch .LBB304_411
	.section	.rodata,"a",@progbits
	.p2align	6, 0x0
	.amdhsa_kernel _ZN2at6native32elementwise_kernel_manual_unrollILi128ELi8EZNS0_22gpu_kernel_impl_nocastINS0_13AUnaryFunctorIN3c1015Float8_e4m3fnuzES5_bNS0_12_GLOBAL__N_116CompareEqFunctorIS5_EEEEEEvRNS_18TensorIteratorBaseERKT_EUlibE_EEviT1_
		.amdhsa_group_segment_fixed_size 0
		.amdhsa_private_segment_fixed_size 0
		.amdhsa_kernarg_size 360
		.amdhsa_user_sgpr_count 6
		.amdhsa_user_sgpr_private_segment_buffer 1
		.amdhsa_user_sgpr_dispatch_ptr 0
		.amdhsa_user_sgpr_queue_ptr 0
		.amdhsa_user_sgpr_kernarg_segment_ptr 1
		.amdhsa_user_sgpr_dispatch_id 0
		.amdhsa_user_sgpr_flat_scratch_init 0
		.amdhsa_user_sgpr_private_segment_size 0
		.amdhsa_uses_dynamic_stack 0
		.amdhsa_system_sgpr_private_segment_wavefront_offset 0
		.amdhsa_system_sgpr_workgroup_id_x 1
		.amdhsa_system_sgpr_workgroup_id_y 0
		.amdhsa_system_sgpr_workgroup_id_z 0
		.amdhsa_system_sgpr_workgroup_info 0
		.amdhsa_system_vgpr_workitem_id 0
		.amdhsa_next_free_vgpr 26
		.amdhsa_next_free_sgpr 64
		.amdhsa_reserve_vcc 1
		.amdhsa_reserve_flat_scratch 0
		.amdhsa_float_round_mode_32 0
		.amdhsa_float_round_mode_16_64 0
		.amdhsa_float_denorm_mode_32 3
		.amdhsa_float_denorm_mode_16_64 3
		.amdhsa_dx10_clamp 1
		.amdhsa_ieee_mode 1
		.amdhsa_fp16_overflow 0
		.amdhsa_exception_fp_ieee_invalid_op 0
		.amdhsa_exception_fp_denorm_src 0
		.amdhsa_exception_fp_ieee_div_zero 0
		.amdhsa_exception_fp_ieee_overflow 0
		.amdhsa_exception_fp_ieee_underflow 0
		.amdhsa_exception_fp_ieee_inexact 0
		.amdhsa_exception_int_div_zero 0
	.end_amdhsa_kernel
	.section	.text._ZN2at6native32elementwise_kernel_manual_unrollILi128ELi8EZNS0_22gpu_kernel_impl_nocastINS0_13AUnaryFunctorIN3c1015Float8_e4m3fnuzES5_bNS0_12_GLOBAL__N_116CompareEqFunctorIS5_EEEEEEvRNS_18TensorIteratorBaseERKT_EUlibE_EEviT1_,"axG",@progbits,_ZN2at6native32elementwise_kernel_manual_unrollILi128ELi8EZNS0_22gpu_kernel_impl_nocastINS0_13AUnaryFunctorIN3c1015Float8_e4m3fnuzES5_bNS0_12_GLOBAL__N_116CompareEqFunctorIS5_EEEEEEvRNS_18TensorIteratorBaseERKT_EUlibE_EEviT1_,comdat
.Lfunc_end304:
	.size	_ZN2at6native32elementwise_kernel_manual_unrollILi128ELi8EZNS0_22gpu_kernel_impl_nocastINS0_13AUnaryFunctorIN3c1015Float8_e4m3fnuzES5_bNS0_12_GLOBAL__N_116CompareEqFunctorIS5_EEEEEEvRNS_18TensorIteratorBaseERKT_EUlibE_EEviT1_, .Lfunc_end304-_ZN2at6native32elementwise_kernel_manual_unrollILi128ELi8EZNS0_22gpu_kernel_impl_nocastINS0_13AUnaryFunctorIN3c1015Float8_e4m3fnuzES5_bNS0_12_GLOBAL__N_116CompareEqFunctorIS5_EEEEEEvRNS_18TensorIteratorBaseERKT_EUlibE_EEviT1_
                                        ; -- End function
	.set _ZN2at6native32elementwise_kernel_manual_unrollILi128ELi8EZNS0_22gpu_kernel_impl_nocastINS0_13AUnaryFunctorIN3c1015Float8_e4m3fnuzES5_bNS0_12_GLOBAL__N_116CompareEqFunctorIS5_EEEEEEvRNS_18TensorIteratorBaseERKT_EUlibE_EEviT1_.num_vgpr, 26
	.set _ZN2at6native32elementwise_kernel_manual_unrollILi128ELi8EZNS0_22gpu_kernel_impl_nocastINS0_13AUnaryFunctorIN3c1015Float8_e4m3fnuzES5_bNS0_12_GLOBAL__N_116CompareEqFunctorIS5_EEEEEEvRNS_18TensorIteratorBaseERKT_EUlibE_EEviT1_.num_agpr, 0
	.set _ZN2at6native32elementwise_kernel_manual_unrollILi128ELi8EZNS0_22gpu_kernel_impl_nocastINS0_13AUnaryFunctorIN3c1015Float8_e4m3fnuzES5_bNS0_12_GLOBAL__N_116CompareEqFunctorIS5_EEEEEEvRNS_18TensorIteratorBaseERKT_EUlibE_EEviT1_.numbered_sgpr, 64
	.set _ZN2at6native32elementwise_kernel_manual_unrollILi128ELi8EZNS0_22gpu_kernel_impl_nocastINS0_13AUnaryFunctorIN3c1015Float8_e4m3fnuzES5_bNS0_12_GLOBAL__N_116CompareEqFunctorIS5_EEEEEEvRNS_18TensorIteratorBaseERKT_EUlibE_EEviT1_.num_named_barrier, 0
	.set _ZN2at6native32elementwise_kernel_manual_unrollILi128ELi8EZNS0_22gpu_kernel_impl_nocastINS0_13AUnaryFunctorIN3c1015Float8_e4m3fnuzES5_bNS0_12_GLOBAL__N_116CompareEqFunctorIS5_EEEEEEvRNS_18TensorIteratorBaseERKT_EUlibE_EEviT1_.private_seg_size, 0
	.set _ZN2at6native32elementwise_kernel_manual_unrollILi128ELi8EZNS0_22gpu_kernel_impl_nocastINS0_13AUnaryFunctorIN3c1015Float8_e4m3fnuzES5_bNS0_12_GLOBAL__N_116CompareEqFunctorIS5_EEEEEEvRNS_18TensorIteratorBaseERKT_EUlibE_EEviT1_.uses_vcc, 1
	.set _ZN2at6native32elementwise_kernel_manual_unrollILi128ELi8EZNS0_22gpu_kernel_impl_nocastINS0_13AUnaryFunctorIN3c1015Float8_e4m3fnuzES5_bNS0_12_GLOBAL__N_116CompareEqFunctorIS5_EEEEEEvRNS_18TensorIteratorBaseERKT_EUlibE_EEviT1_.uses_flat_scratch, 0
	.set _ZN2at6native32elementwise_kernel_manual_unrollILi128ELi8EZNS0_22gpu_kernel_impl_nocastINS0_13AUnaryFunctorIN3c1015Float8_e4m3fnuzES5_bNS0_12_GLOBAL__N_116CompareEqFunctorIS5_EEEEEEvRNS_18TensorIteratorBaseERKT_EUlibE_EEviT1_.has_dyn_sized_stack, 0
	.set _ZN2at6native32elementwise_kernel_manual_unrollILi128ELi8EZNS0_22gpu_kernel_impl_nocastINS0_13AUnaryFunctorIN3c1015Float8_e4m3fnuzES5_bNS0_12_GLOBAL__N_116CompareEqFunctorIS5_EEEEEEvRNS_18TensorIteratorBaseERKT_EUlibE_EEviT1_.has_recursion, 0
	.set _ZN2at6native32elementwise_kernel_manual_unrollILi128ELi8EZNS0_22gpu_kernel_impl_nocastINS0_13AUnaryFunctorIN3c1015Float8_e4m3fnuzES5_bNS0_12_GLOBAL__N_116CompareEqFunctorIS5_EEEEEEvRNS_18TensorIteratorBaseERKT_EUlibE_EEviT1_.has_indirect_call, 0
	.section	.AMDGPU.csdata,"",@progbits
; Kernel info:
; codeLenInByte = 24448
; TotalNumSgprs: 68
; NumVgprs: 26
; ScratchSize: 0
; MemoryBound: 0
; FloatMode: 240
; IeeeMode: 1
; LDSByteSize: 0 bytes/workgroup (compile time only)
; SGPRBlocks: 8
; VGPRBlocks: 6
; NumSGPRsForWavesPerEU: 68
; NumVGPRsForWavesPerEU: 26
; Occupancy: 9
; WaveLimiterHint : 1
; COMPUTE_PGM_RSRC2:SCRATCH_EN: 0
; COMPUTE_PGM_RSRC2:USER_SGPR: 6
; COMPUTE_PGM_RSRC2:TRAP_HANDLER: 0
; COMPUTE_PGM_RSRC2:TGID_X_EN: 1
; COMPUTE_PGM_RSRC2:TGID_Y_EN: 0
; COMPUTE_PGM_RSRC2:TGID_Z_EN: 0
; COMPUTE_PGM_RSRC2:TIDIG_COMP_CNT: 0
	.text
	.p2align	2                               ; -- Begin function _ZN2at6native6invokeINS0_13AUnaryFunctorIN3c1015Float8_e4m3fnuzES4_bNS0_12_GLOBAL__N_116CompareEqFunctorIS4_EEEEi15function_traitsIS8_EEENT1_11result_typeERKT_PrKPcPKT0_PKNS3_10ScalarTypeEi
	.type	_ZN2at6native6invokeINS0_13AUnaryFunctorIN3c1015Float8_e4m3fnuzES4_bNS0_12_GLOBAL__N_116CompareEqFunctorIS4_EEEEi15function_traitsIS8_EEENT1_11result_typeERKT_PrKPcPKT0_PKNS3_10ScalarTypeEi,@function
_ZN2at6native6invokeINS0_13AUnaryFunctorIN3c1015Float8_e4m3fnuzES4_bNS0_12_GLOBAL__N_116CompareEqFunctorIS4_EEEEi15function_traitsIS8_EEENT1_11result_typeERKT_PrKPcPKT0_PKNS3_10ScalarTypeEi: ; @_ZN2at6native6invokeINS0_13AUnaryFunctorIN3c1015Float8_e4m3fnuzES4_bNS0_12_GLOBAL__N_116CompareEqFunctorIS4_EEEEi15function_traitsIS8_EEENT1_11result_typeERKT_PrKPcPKT0_PKNS3_10ScalarTypeEi
; %bb.0:
	s_waitcnt vmcnt(0) expcnt(0) lgkmcnt(0)
	v_mul_lo_u32 v4, v6, v4
	s_mov_b64 s[6:7], 0
	v_ashrrev_i32_e32 v6, 31, v4
	v_add_co_u32_e32 v2, vcc, v2, v4
	v_mov_b32_e32 v4, 10
	v_addc_co_u32_e32 v3, vcc, v3, v6, vcc
	v_cmp_gt_i16_sdwa s[4:5], v5, v4 src0_sel:BYTE_0 src1_sel:DWORD
                                        ; implicit-def: $vgpr4
	s_and_saveexec_b64 s[8:9], s[4:5]
	s_xor_b64 s[4:5], exec, s[8:9]
	s_cbranch_execnz .LBB305_4
; %bb.1:
	s_andn2_saveexec_b64 s[4:5], s[4:5]
	s_cbranch_execnz .LBB305_16
.LBB305_2:
	s_or_b64 exec, exec, s[4:5]
                                        ; implicit-def: $sgpr8_sgpr9
	s_and_saveexec_b64 s[4:5], s[6:7]
	s_cbranch_execnz .LBB305_123
.LBB305_3:
	s_or_b64 exec, exec, s[4:5]
	v_cndmask_b32_e64 v0, 0, 1, s[8:9]
	s_waitcnt vmcnt(0) lgkmcnt(0)
	s_setpc_b64 s[30:31]
.LBB305_4:
	v_mov_b32_e32 v4, 25
	v_cmp_gt_i16_sdwa s[10:11], v5, v4 src0_sel:BYTE_0 src1_sel:DWORD
	s_mov_b64 s[8:9], 0
	s_mov_b64 s[12:13], 0
                                        ; implicit-def: $vgpr4
	s_and_saveexec_b64 s[14:15], s[10:11]
	s_xor_b64 s[10:11], exec, s[14:15]
	s_cbranch_execnz .LBB305_143
; %bb.5:
	s_andn2_saveexec_b64 s[10:11], s[10:11]
	s_cbranch_execnz .LBB305_200
.LBB305_6:
	s_or_b64 exec, exec, s[10:11]
	s_and_saveexec_b64 s[10:11], s[12:13]
	s_cbranch_execnz .LBB305_247
.LBB305_7:
	s_or_b64 exec, exec, s[10:11]
	s_and_saveexec_b64 s[10:11], s[8:9]
	s_xor_b64 s[8:9], exec, s[10:11]
	s_cbranch_execz .LBB305_15
.LBB305_8:
	flat_load_ubyte v2, v[2:3]
	s_mov_b32 s10, 0x43800000
	s_waitcnt vmcnt(0) lgkmcnt(0)
	v_mov_b32_e32 v4, 0x80
	v_cmp_ne_u16_e32 vcc, 0, v2
	v_cndmask_b32_e64 v3, 0, 1.0, vcc
	v_cmp_gt_u32_e32 vcc, s10, v3
	s_and_saveexec_b64 s[10:11], vcc
	s_cbranch_execz .LBB305_14
; %bb.9:
	s_mov_b32 s12, 0x3bffffff
	v_cmp_lt_u32_e32 vcc, s12, v3
	s_mov_b64 s[12:13], 0
                                        ; implicit-def: $vgpr2
	s_and_saveexec_b64 s[14:15], vcc
	s_xor_b64 s[14:15], exec, s[14:15]
	s_cbranch_execnz .LBB305_264
; %bb.10:
	s_andn2_saveexec_b64 s[14:15], s[14:15]
	s_cbranch_execnz .LBB305_265
.LBB305_11:
	s_or_b64 exec, exec, s[14:15]
	v_mov_b32_e32 v4, 0
	s_and_saveexec_b64 s[14:15], s[12:13]
.LBB305_12:
	v_mov_b32_e32 v4, v2
.LBB305_13:
	s_or_b64 exec, exec, s[14:15]
.LBB305_14:
	s_or_b64 exec, exec, s[10:11]
	s_or_b64 s[6:7], s[6:7], exec
.LBB305_15:
	s_or_b64 exec, exec, s[8:9]
	s_and_b64 s[6:7], s[6:7], exec
                                        ; implicit-def: $vgpr5
                                        ; implicit-def: $vgpr2_vgpr3
	s_andn2_saveexec_b64 s[4:5], s[4:5]
	s_cbranch_execz .LBB305_2
.LBB305_16:
	s_waitcnt vmcnt(0) lgkmcnt(0)
	v_mov_b32_e32 v4, 4
	v_cmp_gt_i16_sdwa s[8:9], v5, v4 src0_sel:BYTE_0 src1_sel:DWORD
                                        ; implicit-def: $vgpr4
	s_and_saveexec_b64 s[10:11], s[8:9]
	s_xor_b64 s[8:9], exec, s[10:11]
	s_cbranch_execz .LBB305_74
; %bb.17:
	v_mov_b32_e32 v4, 7
	v_cmp_gt_i16_sdwa s[10:11], v5, v4 src0_sel:BYTE_0 src1_sel:DWORD
                                        ; implicit-def: $vgpr4
	s_and_saveexec_b64 s[12:13], s[10:11]
	s_xor_b64 s[10:11], exec, s[12:13]
	s_cbranch_execz .LBB305_45
; %bb.18:
	;; [unrolled: 7-line block ×4, first 2 shown]
	flat_load_dwordx2 v[2:3], v[2:3]
	s_mov_b32 s16, 0x43800000
	v_mov_b32_e32 v4, 0x80
	s_waitcnt vmcnt(0) lgkmcnt(0)
	v_cvt_f32_f64_e32 v2, v[2:3]
	v_and_b32_e32 v3, 0x7fffffff, v2
	v_cmp_gt_u32_e32 vcc, s16, v3
	s_and_saveexec_b64 s[16:17], vcc
	s_cbranch_execz .LBB305_26
; %bb.21:
	s_mov_b32 s18, 0x3bffffff
	v_cmp_lt_u32_e32 vcc, s18, v3
	s_mov_b64 s[18:19], 0
                                        ; implicit-def: $vgpr3
	s_and_saveexec_b64 s[20:21], vcc
	s_xor_b64 s[20:21], exec, s[20:21]
	s_cbranch_execnz .LBB305_282
; %bb.22:
	s_andn2_saveexec_b64 s[20:21], s[20:21]
	s_cbranch_execnz .LBB305_283
.LBB305_23:
	s_or_b64 exec, exec, s[20:21]
	v_mov_b32_e32 v4, 0
	s_and_saveexec_b64 s[20:21], s[18:19]
.LBB305_24:
	v_lshrrev_b32_e32 v2, 24, v2
	s_movk_i32 s18, 0x80
	v_and_or_b32 v4, v2, s18, v3
.LBB305_25:
	s_or_b64 exec, exec, s[20:21]
.LBB305_26:
	s_or_b64 exec, exec, s[16:17]
                                        ; implicit-def: $vgpr2_vgpr3
.LBB305_27:
	s_andn2_saveexec_b64 s[14:15], s[14:15]
	s_cbranch_execz .LBB305_35
; %bb.28:
	flat_load_dword v2, v[2:3]
	s_mov_b32 s16, 0x43800000
	v_mov_b32_e32 v4, 0x80
	s_waitcnt vmcnt(0) lgkmcnt(0)
	v_and_b32_e32 v3, 0x7fffffff, v2
	v_cmp_gt_u32_e32 vcc, s16, v3
	s_and_saveexec_b64 s[16:17], vcc
	s_cbranch_execz .LBB305_34
; %bb.29:
	s_mov_b32 s18, 0x3bffffff
	v_cmp_lt_u32_e32 vcc, s18, v3
	s_mov_b64 s[18:19], 0
                                        ; implicit-def: $vgpr3
	s_and_saveexec_b64 s[20:21], vcc
	s_xor_b64 s[20:21], exec, s[20:21]
	s_cbranch_execnz .LBB305_284
; %bb.30:
	s_andn2_saveexec_b64 s[20:21], s[20:21]
	s_cbranch_execnz .LBB305_285
.LBB305_31:
	s_or_b64 exec, exec, s[20:21]
	v_mov_b32_e32 v4, 0
	s_and_saveexec_b64 s[20:21], s[18:19]
.LBB305_32:
	v_lshrrev_b32_e32 v2, 24, v2
	s_movk_i32 s18, 0x80
	v_and_or_b32 v4, v2, s18, v3
.LBB305_33:
	s_or_b64 exec, exec, s[20:21]
.LBB305_34:
	s_or_b64 exec, exec, s[16:17]
.LBB305_35:
	s_or_b64 exec, exec, s[14:15]
                                        ; implicit-def: $vgpr2_vgpr3
.LBB305_36:
	s_andn2_saveexec_b64 s[12:13], s[12:13]
	s_cbranch_execz .LBB305_44
; %bb.37:
	flat_load_dword v2, v[2:3]
	s_mov_b32 s14, 0x43800000
	v_mov_b32_e32 v4, 0x80
	s_waitcnt vmcnt(0) lgkmcnt(0)
	v_cvt_f32_f16_e32 v2, v2
	v_and_b32_e32 v3, 0x7fffffff, v2
	v_cmp_gt_u32_e32 vcc, s14, v3
	s_and_saveexec_b64 s[14:15], vcc
	s_cbranch_execz .LBB305_43
; %bb.38:
	s_mov_b32 s16, 0x3bffffff
	v_cmp_lt_u32_e32 vcc, s16, v3
	s_mov_b64 s[16:17], 0
                                        ; implicit-def: $vgpr3
	s_and_saveexec_b64 s[18:19], vcc
	s_xor_b64 s[18:19], exec, s[18:19]
	s_cbranch_execnz .LBB305_266
; %bb.39:
	s_andn2_saveexec_b64 s[18:19], s[18:19]
	s_cbranch_execnz .LBB305_267
.LBB305_40:
	s_or_b64 exec, exec, s[18:19]
	v_mov_b32_e32 v4, 0
	s_and_saveexec_b64 s[18:19], s[16:17]
.LBB305_41:
	v_lshrrev_b32_e32 v2, 24, v2
	s_movk_i32 s16, 0x80
	v_and_or_b32 v4, v2, s16, v3
.LBB305_42:
	s_or_b64 exec, exec, s[18:19]
.LBB305_43:
	s_or_b64 exec, exec, s[14:15]
.LBB305_44:
	s_or_b64 exec, exec, s[12:13]
                                        ; implicit-def: $vgpr5
                                        ; implicit-def: $vgpr2_vgpr3
.LBB305_45:
	s_andn2_saveexec_b64 s[10:11], s[10:11]
	s_cbranch_execz .LBB305_73
; %bb.46:
	v_mov_b32_e32 v4, 5
	v_cmp_gt_i16_sdwa s[12:13], v5, v4 src0_sel:BYTE_0 src1_sel:DWORD
                                        ; implicit-def: $vgpr4
	s_and_saveexec_b64 s[14:15], s[12:13]
	s_xor_b64 s[12:13], exec, s[14:15]
	s_cbranch_execz .LBB305_64
; %bb.47:
	v_mov_b32_e32 v4, 6
	v_cmp_gt_i16_sdwa s[14:15], v5, v4 src0_sel:BYTE_0 src1_sel:DWORD
                                        ; implicit-def: $vgpr4
	s_and_saveexec_b64 s[16:17], s[14:15]
	s_xor_b64 s[14:15], exec, s[16:17]
	s_cbranch_execz .LBB305_55
; %bb.48:
	flat_load_dwordx2 v[2:3], v[2:3]
	s_mov_b32 s16, 0x43800000
	v_mov_b32_e32 v4, 0x80
	s_waitcnt vmcnt(0) lgkmcnt(0)
	v_cvt_f32_f64_e32 v2, v[2:3]
	v_and_b32_e32 v3, 0x7fffffff, v2
	v_cmp_gt_u32_e32 vcc, s16, v3
	s_and_saveexec_b64 s[16:17], vcc
	s_cbranch_execz .LBB305_54
; %bb.49:
	s_mov_b32 s18, 0x3bffffff
	v_cmp_lt_u32_e32 vcc, s18, v3
	s_mov_b64 s[18:19], 0
                                        ; implicit-def: $vgpr3
	s_and_saveexec_b64 s[20:21], vcc
	s_xor_b64 s[20:21], exec, s[20:21]
	s_cbranch_execnz .LBB305_286
; %bb.50:
	s_andn2_saveexec_b64 s[20:21], s[20:21]
	s_cbranch_execnz .LBB305_287
.LBB305_51:
	s_or_b64 exec, exec, s[20:21]
	v_mov_b32_e32 v4, 0
	s_and_saveexec_b64 s[20:21], s[18:19]
.LBB305_52:
	v_lshrrev_b32_e32 v2, 24, v2
	s_movk_i32 s18, 0x80
	v_and_or_b32 v4, v2, s18, v3
.LBB305_53:
	s_or_b64 exec, exec, s[20:21]
.LBB305_54:
	s_or_b64 exec, exec, s[16:17]
                                        ; implicit-def: $vgpr2_vgpr3
.LBB305_55:
	s_andn2_saveexec_b64 s[14:15], s[14:15]
	s_cbranch_execz .LBB305_63
; %bb.56:
	flat_load_dword v2, v[2:3]
	s_mov_b32 s16, 0x43800000
	v_mov_b32_e32 v4, 0x80
	s_waitcnt vmcnt(0) lgkmcnt(0)
	v_and_b32_e32 v3, 0x7fffffff, v2
	v_cmp_gt_u32_e32 vcc, s16, v3
	s_and_saveexec_b64 s[16:17], vcc
	s_cbranch_execz .LBB305_62
; %bb.57:
	s_mov_b32 s18, 0x3bffffff
	v_cmp_lt_u32_e32 vcc, s18, v3
	s_mov_b64 s[18:19], 0
                                        ; implicit-def: $vgpr3
	s_and_saveexec_b64 s[20:21], vcc
	s_xor_b64 s[20:21], exec, s[20:21]
	s_cbranch_execnz .LBB305_288
; %bb.58:
	s_andn2_saveexec_b64 s[20:21], s[20:21]
	s_cbranch_execnz .LBB305_289
.LBB305_59:
	s_or_b64 exec, exec, s[20:21]
	v_mov_b32_e32 v4, 0
	s_and_saveexec_b64 s[20:21], s[18:19]
.LBB305_60:
	v_lshrrev_b32_e32 v2, 24, v2
	s_movk_i32 s18, 0x80
	v_and_or_b32 v4, v2, s18, v3
.LBB305_61:
	s_or_b64 exec, exec, s[20:21]
.LBB305_62:
	s_or_b64 exec, exec, s[16:17]
.LBB305_63:
	s_or_b64 exec, exec, s[14:15]
                                        ; implicit-def: $vgpr2_vgpr3
.LBB305_64:
	s_andn2_saveexec_b64 s[12:13], s[12:13]
	s_cbranch_execz .LBB305_72
; %bb.65:
	flat_load_ushort v2, v[2:3]
	s_mov_b32 s14, 0x43800000
	v_mov_b32_e32 v4, 0x80
	s_waitcnt vmcnt(0) lgkmcnt(0)
	v_cvt_f32_f16_e32 v2, v2
	v_and_b32_e32 v3, 0x7fffffff, v2
	v_cmp_gt_u32_e32 vcc, s14, v3
	s_and_saveexec_b64 s[14:15], vcc
	s_cbranch_execz .LBB305_71
; %bb.66:
	s_mov_b32 s16, 0x3bffffff
	v_cmp_lt_u32_e32 vcc, s16, v3
	s_mov_b64 s[16:17], 0
                                        ; implicit-def: $vgpr3
	s_and_saveexec_b64 s[18:19], vcc
	s_xor_b64 s[18:19], exec, s[18:19]
	s_cbranch_execnz .LBB305_268
; %bb.67:
	s_andn2_saveexec_b64 s[18:19], s[18:19]
	s_cbranch_execnz .LBB305_269
.LBB305_68:
	s_or_b64 exec, exec, s[18:19]
	v_mov_b32_e32 v4, 0
	s_and_saveexec_b64 s[18:19], s[16:17]
.LBB305_69:
	v_lshrrev_b32_e32 v2, 24, v2
	s_movk_i32 s16, 0x80
	v_and_or_b32 v4, v2, s16, v3
.LBB305_70:
	s_or_b64 exec, exec, s[18:19]
.LBB305_71:
	s_or_b64 exec, exec, s[14:15]
.LBB305_72:
	s_or_b64 exec, exec, s[12:13]
.LBB305_73:
	s_or_b64 exec, exec, s[10:11]
                                        ; implicit-def: $vgpr5
                                        ; implicit-def: $vgpr2_vgpr3
.LBB305_74:
	s_andn2_saveexec_b64 s[8:9], s[8:9]
	s_cbranch_execz .LBB305_122
; %bb.75:
	v_mov_b32_e32 v4, 1
	v_cmp_gt_i16_sdwa s[10:11], v5, v4 src0_sel:BYTE_0 src1_sel:DWORD
                                        ; implicit-def: $vgpr4
	s_and_saveexec_b64 s[12:13], s[10:11]
	s_xor_b64 s[10:11], exec, s[12:13]
	s_cbranch_execz .LBB305_103
; %bb.76:
	v_mov_b32_e32 v4, 2
	v_cmp_gt_i16_sdwa s[12:13], v5, v4 src0_sel:BYTE_0 src1_sel:DWORD
                                        ; implicit-def: $vgpr4
	s_and_saveexec_b64 s[14:15], s[12:13]
	s_xor_b64 s[12:13], exec, s[14:15]
	;; [unrolled: 7-line block ×3, first 2 shown]
	s_cbranch_execz .LBB305_85
; %bb.78:
	flat_load_dwordx2 v[2:3], v[2:3]
	s_mov_b32 s16, 0x43800000
	s_waitcnt vmcnt(0) lgkmcnt(0)
	v_xor_b32_e32 v5, v2, v3
	v_ffbh_i32_e32 v4, v3
	v_ashrrev_i32_e32 v5, 31, v5
	v_add_u32_e32 v4, -1, v4
	v_add_u32_e32 v5, 32, v5
	v_min_u32_e32 v4, v4, v5
	v_lshlrev_b64 v[2:3], v4, v[2:3]
	v_min_u32_e32 v2, 1, v2
	v_or_b32_e32 v2, v3, v2
	v_cvt_f32_i32_e32 v2, v2
	v_sub_u32_e32 v3, 32, v4
	v_mov_b32_e32 v4, 0x80
	v_ldexp_f32 v2, v2, v3
	v_and_b32_e32 v3, 0x7fffffff, v2
	v_cmp_gt_u32_e32 vcc, s16, v3
	s_and_saveexec_b64 s[16:17], vcc
	s_cbranch_execz .LBB305_84
; %bb.79:
	s_mov_b32 s18, 0x3bffffff
	v_cmp_lt_u32_e32 vcc, s18, v3
	s_mov_b64 s[18:19], 0
                                        ; implicit-def: $vgpr3
	s_and_saveexec_b64 s[20:21], vcc
	s_xor_b64 s[20:21], exec, s[20:21]
	s_cbranch_execnz .LBB305_290
; %bb.80:
	s_andn2_saveexec_b64 s[20:21], s[20:21]
	s_cbranch_execnz .LBB305_291
.LBB305_81:
	s_or_b64 exec, exec, s[20:21]
	v_mov_b32_e32 v4, 0
	s_and_saveexec_b64 s[20:21], s[18:19]
.LBB305_82:
	v_lshrrev_b32_e32 v2, 24, v2
	s_movk_i32 s18, 0x80
	v_and_or_b32 v4, v2, s18, v3
.LBB305_83:
	s_or_b64 exec, exec, s[20:21]
.LBB305_84:
	s_or_b64 exec, exec, s[16:17]
                                        ; implicit-def: $vgpr2_vgpr3
.LBB305_85:
	s_andn2_saveexec_b64 s[14:15], s[14:15]
	s_cbranch_execz .LBB305_93
; %bb.86:
	flat_load_dword v2, v[2:3]
	s_mov_b32 s16, 0x43800000
	v_mov_b32_e32 v4, 0x80
	s_waitcnt vmcnt(0) lgkmcnt(0)
	v_cvt_f32_i32_e32 v2, v2
	v_and_b32_e32 v3, 0x7fffffff, v2
	v_cmp_gt_u32_e32 vcc, s16, v3
	s_and_saveexec_b64 s[16:17], vcc
	s_cbranch_execz .LBB305_92
; %bb.87:
	s_mov_b32 s18, 0x3bffffff
	v_cmp_lt_u32_e32 vcc, s18, v3
	s_mov_b64 s[18:19], 0
                                        ; implicit-def: $vgpr3
	s_and_saveexec_b64 s[20:21], vcc
	s_xor_b64 s[20:21], exec, s[20:21]
	s_cbranch_execnz .LBB305_292
; %bb.88:
	s_andn2_saveexec_b64 s[20:21], s[20:21]
	s_cbranch_execnz .LBB305_293
.LBB305_89:
	s_or_b64 exec, exec, s[20:21]
	v_mov_b32_e32 v4, 0
	s_and_saveexec_b64 s[20:21], s[18:19]
.LBB305_90:
	v_lshrrev_b32_e32 v2, 24, v2
	s_movk_i32 s18, 0x80
	v_and_or_b32 v4, v2, s18, v3
.LBB305_91:
	s_or_b64 exec, exec, s[20:21]
.LBB305_92:
	s_or_b64 exec, exec, s[16:17]
.LBB305_93:
	s_or_b64 exec, exec, s[14:15]
                                        ; implicit-def: $vgpr2_vgpr3
.LBB305_94:
	s_andn2_saveexec_b64 s[12:13], s[12:13]
	s_cbranch_execz .LBB305_102
; %bb.95:
	flat_load_sshort v2, v[2:3]
	s_mov_b32 s14, 0x43800000
	v_mov_b32_e32 v4, 0x80
	s_waitcnt vmcnt(0) lgkmcnt(0)
	v_cvt_f32_i32_e32 v2, v2
	v_and_b32_e32 v3, 0x7fffffff, v2
	v_cmp_gt_u32_e32 vcc, s14, v3
	s_and_saveexec_b64 s[14:15], vcc
	s_cbranch_execz .LBB305_101
; %bb.96:
	s_mov_b32 s16, 0x3bffffff
	v_cmp_lt_u32_e32 vcc, s16, v3
	s_mov_b64 s[16:17], 0
                                        ; implicit-def: $vgpr3
	s_and_saveexec_b64 s[18:19], vcc
	s_xor_b64 s[18:19], exec, s[18:19]
	s_cbranch_execnz .LBB305_270
; %bb.97:
	s_andn2_saveexec_b64 s[18:19], s[18:19]
	s_cbranch_execnz .LBB305_271
.LBB305_98:
	s_or_b64 exec, exec, s[18:19]
	v_mov_b32_e32 v4, 0
	s_and_saveexec_b64 s[18:19], s[16:17]
.LBB305_99:
	v_lshrrev_b32_e32 v2, 24, v2
	s_movk_i32 s16, 0x80
	v_and_or_b32 v4, v2, s16, v3
.LBB305_100:
	s_or_b64 exec, exec, s[18:19]
.LBB305_101:
	s_or_b64 exec, exec, s[14:15]
.LBB305_102:
	s_or_b64 exec, exec, s[12:13]
                                        ; implicit-def: $vgpr5
                                        ; implicit-def: $vgpr2_vgpr3
.LBB305_103:
	s_andn2_saveexec_b64 s[10:11], s[10:11]
	s_cbranch_execz .LBB305_121
; %bb.104:
	v_mov_b32_e32 v4, 0
	v_cmp_gt_i16_sdwa s[12:13], v5, v4 src0_sel:BYTE_0 src1_sel:DWORD
                                        ; implicit-def: $vgpr4
	s_and_saveexec_b64 s[14:15], s[12:13]
	s_xor_b64 s[12:13], exec, s[14:15]
	s_cbranch_execz .LBB305_112
; %bb.105:
	flat_load_sbyte v2, v[2:3]
	s_mov_b32 s14, 0x43800000
	v_mov_b32_e32 v4, 0x80
	s_waitcnt vmcnt(0) lgkmcnt(0)
	v_cvt_f32_i32_e32 v2, v2
	v_and_b32_e32 v3, 0x7fffffff, v2
	v_cmp_gt_u32_e32 vcc, s14, v3
	s_and_saveexec_b64 s[14:15], vcc
	s_cbranch_execz .LBB305_111
; %bb.106:
	s_mov_b32 s16, 0x3bffffff
	v_cmp_lt_u32_e32 vcc, s16, v3
	s_mov_b64 s[16:17], 0
                                        ; implicit-def: $vgpr3
	s_and_saveexec_b64 s[18:19], vcc
	s_xor_b64 s[18:19], exec, s[18:19]
	s_cbranch_execnz .LBB305_272
; %bb.107:
	s_andn2_saveexec_b64 s[18:19], s[18:19]
	s_cbranch_execnz .LBB305_273
.LBB305_108:
	s_or_b64 exec, exec, s[18:19]
	v_mov_b32_e32 v4, 0
	s_and_saveexec_b64 s[18:19], s[16:17]
.LBB305_109:
	v_lshrrev_b32_e32 v2, 24, v2
	s_movk_i32 s16, 0x80
	v_and_or_b32 v4, v2, s16, v3
.LBB305_110:
	s_or_b64 exec, exec, s[18:19]
.LBB305_111:
	s_or_b64 exec, exec, s[14:15]
                                        ; implicit-def: $vgpr2_vgpr3
.LBB305_112:
	s_andn2_saveexec_b64 s[12:13], s[12:13]
	s_cbranch_execz .LBB305_120
; %bb.113:
	flat_load_ubyte v2, v[2:3]
	s_mov_b32 s14, 0x43800000
	v_mov_b32_e32 v4, 0x80
	s_waitcnt vmcnt(0) lgkmcnt(0)
	v_cvt_f32_ubyte0_e32 v3, v2
	v_cmp_gt_u32_e32 vcc, s14, v3
	s_and_saveexec_b64 s[14:15], vcc
	s_cbranch_execz .LBB305_119
; %bb.114:
	s_mov_b32 s16, 0x3bffffff
	v_cmp_lt_u32_e32 vcc, s16, v3
	s_mov_b64 s[16:17], 0
                                        ; implicit-def: $vgpr2
	s_and_saveexec_b64 s[18:19], vcc
	s_xor_b64 s[18:19], exec, s[18:19]
	s_cbranch_execnz .LBB305_274
; %bb.115:
	s_andn2_saveexec_b64 s[18:19], s[18:19]
	s_cbranch_execnz .LBB305_275
.LBB305_116:
	s_or_b64 exec, exec, s[18:19]
	v_mov_b32_e32 v4, 0
	s_and_saveexec_b64 s[18:19], s[16:17]
.LBB305_117:
	v_mov_b32_e32 v4, v2
.LBB305_118:
	s_or_b64 exec, exec, s[18:19]
.LBB305_119:
	s_or_b64 exec, exec, s[14:15]
.LBB305_120:
	s_or_b64 exec, exec, s[12:13]
.LBB305_121:
	s_or_b64 exec, exec, s[10:11]
.LBB305_122:
	s_or_b64 exec, exec, s[8:9]
	s_or_b64 s[6:7], s[6:7], exec
	s_or_b64 exec, exec, s[4:5]
                                        ; implicit-def: $sgpr8_sgpr9
	s_and_saveexec_b64 s[4:5], s[6:7]
	s_cbranch_execz .LBB305_3
.LBB305_123:
	v_cmp_ne_u32_e32 vcc, 0, v0
                                        ; implicit-def: $sgpr8_sgpr9
	s_and_saveexec_b64 s[6:7], vcc
	s_xor_b64 s[6:7], exec, s[6:7]
	s_cbranch_execz .LBB305_133
; %bb.124:
	s_movk_i32 s8, 0x7f
	v_cmp_gt_i16_sdwa s[10:11], v1, s8 src0_sel:BYTE_0 src1_sel:DWORD
	s_mov_b64 s[8:9], 0
	s_and_saveexec_b64 s[12:13], s[10:11]
	s_xor_b64 s[10:11], exec, s[12:13]
	s_cbranch_execnz .LBB305_248
; %bb.125:
	s_or_saveexec_b64 s[10:11], s[10:11]
	v_mov_b32_e32 v0, 0x7f800001
	s_xor_b64 exec, exec, s[10:11]
	s_cbranch_execnz .LBB305_251
.LBB305_126:
	s_or_b64 exec, exec, s[10:11]
	s_and_saveexec_b64 s[10:11], s[8:9]
	s_cbranch_execz .LBB305_128
.LBB305_127:
	v_and_b32_e32 v2, 7, v1
	v_ffbh_u32_e32 v3, v2
	v_min_u32_e32 v3, 32, v3
	v_lshrrev_b16_e32 v0, 3, v1
	v_subrev_u32_e32 v5, 28, v3
	v_and_b32_e32 v0, 15, v0
	v_lshlrev_b32_e32 v5, v5, v1
	v_sub_u32_e32 v3, 29, v3
	v_and_b32_e32 v5, 7, v5
	v_cmp_eq_u32_e32 vcc, 0, v0
	v_cndmask_b32_e32 v0, v0, v3, vcc
	v_cndmask_b32_e32 v2, v2, v5, vcc
	v_lshlrev_b32_e32 v1, 24, v1
	v_mov_b32_e32 v3, 0x3b800000
	v_lshlrev_b32_e32 v2, 20, v2
	v_and_b32_e32 v1, 0x80000000, v1
	v_lshl_add_u32 v0, v0, 23, v3
	v_or3_b32 v0, v1, v0, v2
.LBB305_128:
	s_or_b64 exec, exec, s[10:11]
	s_movk_i32 s8, 0x7f
	s_waitcnt vmcnt(0) lgkmcnt(0)
	v_cmp_gt_i16_sdwa s[10:11], v4, s8 src0_sel:BYTE_0 src1_sel:DWORD
	s_mov_b64 s[8:9], 0
	s_and_saveexec_b64 s[12:13], s[10:11]
	s_xor_b64 s[10:11], exec, s[12:13]
	s_cbranch_execnz .LBB305_252
; %bb.129:
	s_or_saveexec_b64 s[10:11], s[10:11]
	v_mov_b32_e32 v1, 0x7f800001
	s_xor_b64 exec, exec, s[10:11]
	s_cbranch_execnz .LBB305_255
.LBB305_130:
	s_or_b64 exec, exec, s[10:11]
	s_and_saveexec_b64 s[10:11], s[8:9]
	s_cbranch_execz .LBB305_132
.LBB305_131:
	v_and_b32_e32 v2, 7, v4
	v_ffbh_u32_e32 v3, v2
	v_min_u32_e32 v3, 32, v3
	v_lshrrev_b16_e32 v1, 3, v4
	v_subrev_u32_e32 v5, 28, v3
	v_and_b32_e32 v1, 15, v1
	v_lshlrev_b32_e32 v5, v5, v4
	v_sub_u32_e32 v3, 29, v3
	v_and_b32_e32 v5, 7, v5
	v_cmp_eq_u32_e32 vcc, 0, v1
	v_cndmask_b32_e32 v1, v1, v3, vcc
	v_cndmask_b32_e32 v2, v2, v5, vcc
	v_lshlrev_b32_e32 v3, 24, v4
	v_mov_b32_e32 v4, 0x3b800000
	v_lshlrev_b32_e32 v2, 20, v2
	v_and_b32_e32 v3, 0x80000000, v3
	v_lshl_add_u32 v1, v1, 23, v4
	v_or3_b32 v1, v3, v1, v2
.LBB305_132:
	s_or_b64 exec, exec, s[10:11]
	v_cmp_neq_f32_e64 s[8:9], v0, v1
                                        ; implicit-def: $vgpr4
                                        ; implicit-def: $vgpr1
.LBB305_133:
	s_andn2_saveexec_b64 s[6:7], s[6:7]
	s_cbranch_execz .LBB305_3
; %bb.134:
	s_movk_i32 s6, 0x7f
	v_cmp_gt_i16_sdwa s[10:11], v1, s6 src0_sel:BYTE_0 src1_sel:DWORD
	s_mov_b64 s[6:7], 0
	s_and_saveexec_b64 s[12:13], s[10:11]
	s_xor_b64 s[10:11], exec, s[12:13]
	s_cbranch_execnz .LBB305_256
; %bb.135:
	s_or_saveexec_b64 s[10:11], s[10:11]
	v_mov_b32_e32 v0, 0x7f800001
	s_xor_b64 exec, exec, s[10:11]
	s_cbranch_execnz .LBB305_259
.LBB305_136:
	s_or_b64 exec, exec, s[10:11]
	s_and_saveexec_b64 s[10:11], s[6:7]
	s_cbranch_execz .LBB305_138
.LBB305_137:
	v_and_b32_e32 v2, 7, v1
	v_ffbh_u32_e32 v3, v2
	v_min_u32_e32 v3, 32, v3
	v_lshrrev_b16_e32 v0, 3, v1
	v_subrev_u32_e32 v5, 28, v3
	v_and_b32_e32 v0, 15, v0
	v_lshlrev_b32_e32 v5, v5, v1
	v_sub_u32_e32 v3, 29, v3
	v_and_b32_e32 v5, 7, v5
	v_cmp_eq_u32_e32 vcc, 0, v0
	v_cndmask_b32_e32 v0, v0, v3, vcc
	v_cndmask_b32_e32 v2, v2, v5, vcc
	v_lshlrev_b32_e32 v1, 24, v1
	v_mov_b32_e32 v3, 0x3b800000
	v_lshlrev_b32_e32 v2, 20, v2
	v_and_b32_e32 v1, 0x80000000, v1
	v_lshl_add_u32 v0, v0, 23, v3
	v_or3_b32 v0, v1, v0, v2
.LBB305_138:
	s_or_b64 exec, exec, s[10:11]
	s_movk_i32 s6, 0x7f
	s_waitcnt vmcnt(0) lgkmcnt(0)
	v_cmp_gt_i16_sdwa s[10:11], v4, s6 src0_sel:BYTE_0 src1_sel:DWORD
	s_mov_b64 s[6:7], 0
	s_and_saveexec_b64 s[12:13], s[10:11]
	s_xor_b64 s[10:11], exec, s[12:13]
	s_cbranch_execnz .LBB305_260
; %bb.139:
	s_or_saveexec_b64 s[10:11], s[10:11]
	v_mov_b32_e32 v1, 0x7f800001
	s_xor_b64 exec, exec, s[10:11]
	s_cbranch_execnz .LBB305_263
.LBB305_140:
	s_or_b64 exec, exec, s[10:11]
	s_and_saveexec_b64 s[10:11], s[6:7]
	s_cbranch_execz .LBB305_142
.LBB305_141:
	v_and_b32_e32 v2, 7, v4
	v_ffbh_u32_e32 v3, v2
	v_min_u32_e32 v3, 32, v3
	v_lshrrev_b16_e32 v1, 3, v4
	v_subrev_u32_e32 v5, 28, v3
	v_and_b32_e32 v1, 15, v1
	v_lshlrev_b32_e32 v5, v5, v4
	v_sub_u32_e32 v3, 29, v3
	v_and_b32_e32 v5, 7, v5
	v_cmp_eq_u32_e32 vcc, 0, v1
	v_cndmask_b32_e32 v1, v1, v3, vcc
	v_cndmask_b32_e32 v2, v2, v5, vcc
	v_lshlrev_b32_e32 v3, 24, v4
	v_mov_b32_e32 v4, 0x3b800000
	v_lshlrev_b32_e32 v2, 20, v2
	v_and_b32_e32 v3, 0x80000000, v3
	v_lshl_add_u32 v1, v1, 23, v4
	v_or3_b32 v1, v3, v1, v2
.LBB305_142:
	s_or_b64 exec, exec, s[10:11]
	v_cmp_eq_f32_e32 vcc, v0, v1
	s_andn2_b64 s[6:7], s[8:9], exec
	s_and_b64 s[8:9], vcc, exec
	s_or_b64 s[8:9], s[6:7], s[8:9]
	s_or_b64 exec, exec, s[4:5]
	v_cndmask_b32_e64 v0, 0, 1, s[8:9]
	s_setpc_b64 s[30:31]
.LBB305_143:
	v_mov_b32_e32 v4, 28
	v_cmp_gt_i16_sdwa s[6:7], v5, v4 src0_sel:BYTE_0 src1_sel:DWORD
	s_mov_b64 s[14:15], 0
                                        ; implicit-def: $vgpr4
	s_and_saveexec_b64 s[16:17], s[6:7]
	s_xor_b64 s[6:7], exec, s[16:17]
	s_cbranch_execz .LBB305_177
; %bb.144:
	v_mov_b32_e32 v4, 43
	v_cmp_gt_i16_sdwa s[12:13], v5, v4 src0_sel:BYTE_0 src1_sel:DWORD
	s_mov_b64 s[16:17], 0
	s_mov_b64 s[18:19], 0
                                        ; implicit-def: $vgpr4
	s_and_saveexec_b64 s[14:15], s[12:13]
	s_xor_b64 s[12:13], exec, s[14:15]
	s_cbranch_execz .LBB305_166
; %bb.145:
	v_mov_b32_e32 v4, 45
	v_cmp_gt_i16_sdwa s[18:19], v5, v4 src0_sel:BYTE_0 src1_sel:DWORD
	s_mov_b64 s[14:15], 0
                                        ; implicit-def: $vgpr4
	s_and_saveexec_b64 s[20:21], s[18:19]
	s_xor_b64 s[18:19], exec, s[20:21]
	s_cbranch_execz .LBB305_155
; %bb.146:
	v_mov_b32_e32 v4, 46
	v_cmp_eq_u16_sdwa s[22:23], v5, v4 src0_sel:BYTE_0 src1_sel:DWORD
	s_mov_b64 s[20:21], -1
                                        ; implicit-def: $vgpr4
	s_and_saveexec_b64 s[14:15], s[22:23]
	s_cbranch_execz .LBB305_154
; %bb.147:
	flat_load_dword v4, v[2:3]
	s_mov_b32 s16, 0x43800000
	s_waitcnt vmcnt(0) lgkmcnt(0)
	v_lshlrev_b32_e32 v5, 16, v4
	v_and_b32_e32 v6, 0x7fffffff, v5
	v_cmp_gt_u32_e32 vcc, s16, v6
	v_mov_b32_e32 v4, 0x80
	s_and_saveexec_b64 s[16:17], vcc
	s_cbranch_execz .LBB305_153
; %bb.148:
	s_mov_b32 s20, 0x3bffffff
	v_cmp_lt_u32_e32 vcc, s20, v6
	s_mov_b64 s[20:21], 0
                                        ; implicit-def: $vgpr6
	s_and_saveexec_b64 s[22:23], vcc
	s_xor_b64 s[22:23], exec, s[22:23]
	s_cbranch_execnz .LBB305_306
; %bb.149:
	s_andn2_saveexec_b64 s[22:23], s[22:23]
	s_cbranch_execnz .LBB305_307
.LBB305_150:
	s_or_b64 exec, exec, s[22:23]
	v_mov_b32_e32 v4, 0
	s_and_saveexec_b64 s[22:23], s[20:21]
.LBB305_151:
	v_lshrrev_b32_e32 v4, 24, v5
	s_movk_i32 s20, 0x80
	v_and_or_b32 v4, v4, s20, v6
.LBB305_152:
	s_or_b64 exec, exec, s[22:23]
.LBB305_153:
	s_or_b64 exec, exec, s[16:17]
	s_mov_b64 s[16:17], exec
	s_xor_b64 s[20:21], exec, -1
.LBB305_154:
	s_or_b64 exec, exec, s[14:15]
	s_and_b64 s[16:17], s[16:17], exec
	s_and_b64 s[14:15], s[20:21], exec
                                        ; implicit-def: $vgpr5
.LBB305_155:
	s_andn2_saveexec_b64 s[18:19], s[18:19]
	s_cbranch_execz .LBB305_165
; %bb.156:
	v_mov_b32_e32 v4, 44
	v_cmp_eq_u16_sdwa s[26:27], v5, v4 src0_sel:BYTE_0 src1_sel:DWORD
	s_mov_b64 s[22:23], -1
	s_mov_b64 s[24:25], s[16:17]
                                        ; implicit-def: $vgpr4
	s_and_saveexec_b64 s[20:21], s[26:27]
	s_cbranch_execz .LBB305_164
; %bb.157:
	flat_load_ubyte v4, v[2:3]
	s_movk_i32 s22, 0xff
	v_mov_b32_e32 v5, 0x7f800001
	v_mov_b32_e32 v6, 0x400000
	s_mov_b32 s23, 0x43800000
	s_waitcnt vmcnt(0) lgkmcnt(0)
	v_lshlrev_b32_e32 v7, 23, v4
	v_cmp_ne_u32_e32 vcc, s22, v4
	v_cndmask_b32_e32 v5, v5, v7, vcc
	v_cmp_ne_u32_e32 vcc, 0, v4
	v_cndmask_b32_e32 v6, v6, v5, vcc
	v_cmp_gt_u32_e32 vcc, s23, v6
	v_mov_b32_e32 v4, 0x80
	s_and_saveexec_b64 s[22:23], vcc
	s_cbranch_execz .LBB305_163
; %bb.158:
	s_mov_b32 s24, 0x3bffffff
	v_cmp_lt_u32_e32 vcc, s24, v6
	s_mov_b64 s[24:25], 0
                                        ; implicit-def: $vgpr5
	s_and_saveexec_b64 s[26:27], vcc
	s_xor_b64 s[26:27], exec, s[26:27]
	s_cbranch_execnz .LBB305_308
; %bb.159:
	s_andn2_saveexec_b64 s[26:27], s[26:27]
	s_cbranch_execnz .LBB305_309
.LBB305_160:
	s_or_b64 exec, exec, s[26:27]
	v_mov_b32_e32 v4, 0
	s_and_saveexec_b64 s[26:27], s[24:25]
.LBB305_161:
	v_mov_b32_e32 v4, v5
.LBB305_162:
	s_or_b64 exec, exec, s[26:27]
.LBB305_163:
	s_or_b64 exec, exec, s[22:23]
	s_or_b64 s[24:25], s[16:17], exec
	s_xor_b64 s[22:23], exec, -1
.LBB305_164:
	s_or_b64 exec, exec, s[20:21]
	s_andn2_b64 s[16:17], s[16:17], exec
	s_and_b64 s[20:21], s[24:25], exec
	s_or_b64 s[16:17], s[16:17], s[20:21]
	s_andn2_b64 s[14:15], s[14:15], exec
	s_and_b64 s[20:21], s[22:23], exec
	s_or_b64 s[14:15], s[14:15], s[20:21]
.LBB305_165:
	s_or_b64 exec, exec, s[18:19]
	s_and_b64 s[18:19], s[16:17], exec
	s_and_b64 s[16:17], s[14:15], exec
                                        ; implicit-def: $vgpr5
.LBB305_166:
	s_andn2_saveexec_b64 s[12:13], s[12:13]
	s_cbranch_execz .LBB305_176
; %bb.167:
	v_mov_b32_e32 v4, 29
	v_cmp_eq_u16_sdwa s[24:25], v5, v4 src0_sel:BYTE_0 src1_sel:DWORD
	s_mov_b64 s[20:21], -1
	s_mov_b64 s[22:23], s[18:19]
                                        ; implicit-def: $vgpr4
	s_and_saveexec_b64 s[14:15], s[24:25]
	s_cbranch_execz .LBB305_175
; %bb.168:
	flat_load_dwordx2 v[4:5], v[2:3]
	s_mov_b32 s20, 0x43800000
	s_waitcnt vmcnt(0) lgkmcnt(0)
	v_ffbh_u32_e32 v6, v5
	v_min_u32_e32 v6, 32, v6
	v_lshlrev_b64 v[4:5], v6, v[4:5]
	v_min_u32_e32 v4, 1, v4
	v_or_b32_e32 v4, v5, v4
	v_cvt_f32_u32_e32 v4, v4
	v_sub_u32_e32 v5, 32, v6
	v_ldexp_f32 v6, v4, v5
	v_cmp_gt_u32_e32 vcc, s20, v6
	v_mov_b32_e32 v4, 0x80
	s_and_saveexec_b64 s[20:21], vcc
	s_cbranch_execz .LBB305_174
; %bb.169:
	s_mov_b32 s22, 0x3bffffff
	v_cmp_lt_u32_e32 vcc, s22, v6
	s_mov_b64 s[22:23], 0
                                        ; implicit-def: $vgpr5
	s_and_saveexec_b64 s[24:25], vcc
	s_xor_b64 s[24:25], exec, s[24:25]
	s_cbranch_execnz .LBB305_294
; %bb.170:
	s_andn2_saveexec_b64 s[24:25], s[24:25]
	s_cbranch_execnz .LBB305_295
.LBB305_171:
	s_or_b64 exec, exec, s[24:25]
	v_mov_b32_e32 v4, 0
	s_and_saveexec_b64 s[24:25], s[22:23]
.LBB305_172:
	v_mov_b32_e32 v4, v5
.LBB305_173:
	s_or_b64 exec, exec, s[24:25]
.LBB305_174:
	s_or_b64 exec, exec, s[20:21]
	s_or_b64 s[22:23], s[18:19], exec
	s_xor_b64 s[20:21], exec, -1
.LBB305_175:
	s_or_b64 exec, exec, s[14:15]
	s_andn2_b64 s[14:15], s[18:19], exec
	s_and_b64 s[18:19], s[22:23], exec
	s_or_b64 s[18:19], s[14:15], s[18:19]
	s_andn2_b64 s[14:15], s[16:17], exec
	s_and_b64 s[16:17], s[20:21], exec
	s_or_b64 s[16:17], s[14:15], s[16:17]
.LBB305_176:
	s_or_b64 exec, exec, s[12:13]
	s_and_b64 s[14:15], s[18:19], exec
	s_and_b64 s[12:13], s[16:17], exec
                                        ; implicit-def: $vgpr5
.LBB305_177:
	s_andn2_saveexec_b64 s[6:7], s[6:7]
	s_cbranch_execz .LBB305_199
; %bb.178:
	v_mov_b32_e32 v4, 26
	v_cmp_gt_i16_sdwa s[16:17], v5, v4 src0_sel:BYTE_0 src1_sel:DWORD
                                        ; implicit-def: $vgpr4
	s_and_saveexec_b64 s[18:19], s[16:17]
	s_xor_b64 s[16:17], exec, s[18:19]
	s_cbranch_execz .LBB305_196
; %bb.179:
	v_mov_b32_e32 v4, 27
	v_cmp_gt_i16_sdwa s[18:19], v5, v4 src0_sel:BYTE_0 src1_sel:DWORD
                                        ; implicit-def: $vgpr4
	s_and_saveexec_b64 s[20:21], s[18:19]
	s_xor_b64 s[18:19], exec, s[20:21]
	s_cbranch_execz .LBB305_187
; %bb.180:
	flat_load_dword v4, v[2:3]
	s_mov_b32 s20, 0x43800000
	s_waitcnt vmcnt(0) lgkmcnt(0)
	v_cvt_f32_u32_e32 v6, v4
	v_mov_b32_e32 v4, 0x80
	v_cmp_gt_u32_e32 vcc, s20, v6
	s_and_saveexec_b64 s[20:21], vcc
	s_cbranch_execz .LBB305_186
; %bb.181:
	s_mov_b32 s22, 0x3bffffff
	v_cmp_lt_u32_e32 vcc, s22, v6
	s_mov_b64 s[22:23], 0
                                        ; implicit-def: $vgpr5
	s_and_saveexec_b64 s[24:25], vcc
	s_xor_b64 s[24:25], exec, s[24:25]
	s_cbranch_execnz .LBB305_296
; %bb.182:
	s_andn2_saveexec_b64 s[24:25], s[24:25]
	s_cbranch_execnz .LBB305_297
.LBB305_183:
	s_or_b64 exec, exec, s[24:25]
	v_mov_b32_e32 v4, 0
	s_and_saveexec_b64 s[24:25], s[22:23]
.LBB305_184:
	v_mov_b32_e32 v4, v5
.LBB305_185:
	s_or_b64 exec, exec, s[24:25]
.LBB305_186:
	s_or_b64 exec, exec, s[20:21]
.LBB305_187:
	s_andn2_saveexec_b64 s[18:19], s[18:19]
	s_cbranch_execz .LBB305_195
; %bb.188:
	flat_load_ushort v4, v[2:3]
	s_mov_b32 s20, 0x43800000
	s_waitcnt vmcnt(0) lgkmcnt(0)
	v_cvt_f32_u32_e32 v6, v4
	v_mov_b32_e32 v4, 0x80
	v_cmp_gt_u32_e32 vcc, s20, v6
	s_and_saveexec_b64 s[20:21], vcc
	s_cbranch_execz .LBB305_194
; %bb.189:
	s_mov_b32 s22, 0x3bffffff
	v_cmp_lt_u32_e32 vcc, s22, v6
	s_mov_b64 s[22:23], 0
                                        ; implicit-def: $vgpr5
	s_and_saveexec_b64 s[24:25], vcc
	s_xor_b64 s[24:25], exec, s[24:25]
	s_cbranch_execnz .LBB305_298
; %bb.190:
	s_andn2_saveexec_b64 s[24:25], s[24:25]
	s_cbranch_execnz .LBB305_299
.LBB305_191:
	s_or_b64 exec, exec, s[24:25]
	v_mov_b32_e32 v4, 0
	s_and_saveexec_b64 s[24:25], s[22:23]
.LBB305_192:
	v_mov_b32_e32 v4, v5
.LBB305_193:
	s_or_b64 exec, exec, s[24:25]
.LBB305_194:
	s_or_b64 exec, exec, s[20:21]
.LBB305_195:
	s_or_b64 exec, exec, s[18:19]
.LBB305_196:
	s_andn2_saveexec_b64 s[16:17], s[16:17]
	s_cbranch_execz .LBB305_198
; %bb.197:
	flat_load_ubyte v4, v[2:3]
.LBB305_198:
	s_or_b64 exec, exec, s[16:17]
	s_or_b64 s[14:15], s[14:15], exec
.LBB305_199:
	s_or_b64 exec, exec, s[6:7]
	s_and_b64 s[6:7], s[14:15], exec
	s_and_b64 s[12:13], s[12:13], exec
                                        ; implicit-def: $vgpr5
	s_andn2_saveexec_b64 s[10:11], s[10:11]
	s_cbranch_execz .LBB305_6
.LBB305_200:
	s_waitcnt vmcnt(0) lgkmcnt(0)
	v_mov_b32_e32 v4, 22
	v_cmp_gt_i16_sdwa s[8:9], v5, v4 src0_sel:BYTE_0 src1_sel:DWORD
	s_mov_b64 s[14:15], s[6:7]
                                        ; implicit-def: $vgpr4
	s_and_saveexec_b64 s[16:17], s[8:9]
	s_xor_b64 s[8:9], exec, s[16:17]
	s_cbranch_execz .LBB305_232
; %bb.201:
	v_mov_b32_e32 v4, 23
	v_cmp_gt_i16_sdwa s[14:15], v5, v4 src0_sel:BYTE_0 src1_sel:DWORD
                                        ; implicit-def: $vgpr4
	s_and_saveexec_b64 s[16:17], s[14:15]
	s_xor_b64 s[14:15], exec, s[16:17]
	s_cbranch_execz .LBB305_223
; %bb.202:
	v_mov_b32_e32 v4, 24
	v_cmp_gt_i16_sdwa s[16:17], v5, v4 src0_sel:BYTE_0 src1_sel:DWORD
                                        ; implicit-def: $vgpr4
	s_and_saveexec_b64 s[18:19], s[16:17]
	s_xor_b64 s[16:17], exec, s[18:19]
	s_cbranch_execz .LBB305_214
; %bb.203:
	flat_load_ubyte v4, v[2:3]
	s_movk_i32 s18, 0x7f
	s_waitcnt vmcnt(0) lgkmcnt(0)
	v_cmp_lt_i16_e32 vcc, s18, v4
	s_mov_b64 s[18:19], 0
	s_and_saveexec_b64 s[20:21], vcc
	s_xor_b64 s[20:21], exec, s[20:21]
	s_cbranch_execnz .LBB305_276
; %bb.204:
	s_or_saveexec_b64 s[20:21], s[20:21]
	v_mov_b32_e32 v5, 0x7f800001
	s_xor_b64 exec, exec, s[20:21]
	s_cbranch_execnz .LBB305_279
.LBB305_205:
	s_or_b64 exec, exec, s[20:21]
	s_and_saveexec_b64 s[20:21], s[18:19]
	s_cbranch_execz .LBB305_207
.LBB305_206:
	v_lshlrev_b32_e32 v5, 24, v4
	v_and_b32_e32 v4, 0xffff, v4
	v_and_b32_e32 v6, 3, v4
	v_ffbh_u32_e32 v8, v6
	v_min_u32_e32 v8, 32, v8
	v_subrev_u32_e32 v9, 29, v8
	v_bfe_u32 v7, v4, 2, 5
	v_lshlrev_b32_e32 v4, v9, v4
	v_sub_u32_e32 v8, 30, v8
	v_and_b32_e32 v4, 3, v4
	v_cmp_eq_u32_e32 vcc, 0, v7
	v_cndmask_b32_e32 v7, v7, v8, vcc
	v_cndmask_b32_e32 v4, v6, v4, vcc
	v_mov_b32_e32 v6, 0x37800000
	v_lshlrev_b32_e32 v4, 21, v4
	v_and_b32_e32 v5, 0x80000000, v5
	v_lshl_add_u32 v6, v7, 23, v6
	v_or3_b32 v5, v5, v6, v4
.LBB305_207:
	s_or_b64 exec, exec, s[20:21]
	v_and_b32_e32 v6, 0x7fffffff, v5
	s_mov_b32 s18, 0x43800000
	v_cmp_gt_u32_e32 vcc, s18, v6
	v_mov_b32_e32 v4, 0x80
	s_and_saveexec_b64 s[18:19], vcc
	s_cbranch_execz .LBB305_213
; %bb.208:
	s_mov_b32 s20, 0x3bffffff
	v_cmp_lt_u32_e32 vcc, s20, v6
	s_mov_b64 s[20:21], 0
                                        ; implicit-def: $vgpr6
	s_and_saveexec_b64 s[22:23], vcc
	s_xor_b64 s[22:23], exec, s[22:23]
	s_cbranch_execnz .LBB305_300
; %bb.209:
	s_andn2_saveexec_b64 s[22:23], s[22:23]
	s_cbranch_execnz .LBB305_301
.LBB305_210:
	s_or_b64 exec, exec, s[22:23]
	v_mov_b32_e32 v4, 0
	s_and_saveexec_b64 s[22:23], s[20:21]
.LBB305_211:
	v_lshrrev_b32_e32 v4, 24, v5
	s_movk_i32 s20, 0x80
	v_and_or_b32 v4, v4, s20, v6
.LBB305_212:
	s_or_b64 exec, exec, s[22:23]
.LBB305_213:
	s_or_b64 exec, exec, s[18:19]
.LBB305_214:
	s_andn2_saveexec_b64 s[16:17], s[16:17]
	s_cbranch_execz .LBB305_222
; %bb.215:
	flat_load_ubyte v4, v[2:3]
	s_mov_b32 s18, 0x7f800000
	s_brev_b32 s19, 1
	s_mov_b32 s20, 0x43800000
	s_waitcnt vmcnt(0) lgkmcnt(0)
	v_lshlrev_b32_e32 v4, 24, v4
	v_and_b32_e32 v5, 0x7f000000, v4
	v_ffbh_u32_e32 v6, v5
	v_min_u32_e32 v6, 32, v6
	v_sub_u32_e64 v6, v6, 4 clamp
	v_lshlrev_b32_e32 v8, v6, v5
	v_lshlrev_b32_e32 v6, 23, v6
	v_lshrrev_b32_e32 v8, 4, v8
	v_add_u32_e32 v7, 0x1000000, v5
	v_sub_u32_e32 v6, v8, v6
	v_ashrrev_i32_e32 v7, 8, v7
	v_add_u32_e32 v6, 0x3c000000, v6
	v_and_or_b32 v6, v7, s18, v6
	v_cmp_ne_u32_e32 vcc, 0, v5
	v_cndmask_b32_e32 v7, 0, v6, vcc
	v_and_or_b32 v5, v4, s19, v7
	v_and_b32_e32 v6, 0x7fffffff, v5
	v_cmp_gt_u32_e32 vcc, s20, v6
	v_mov_b32_e32 v4, 0x80
	s_and_saveexec_b64 s[18:19], vcc
	s_cbranch_execz .LBB305_221
; %bb.216:
	s_mov_b32 s20, 0x3bffffff
	v_cmp_lt_u32_e32 vcc, s20, v6
	s_mov_b64 s[20:21], 0
                                        ; implicit-def: $vgpr6
	s_and_saveexec_b64 s[22:23], vcc
	s_xor_b64 s[22:23], exec, s[22:23]
	s_cbranch_execnz .LBB305_302
; %bb.217:
	s_andn2_saveexec_b64 s[22:23], s[22:23]
	s_cbranch_execnz .LBB305_303
.LBB305_218:
	s_or_b64 exec, exec, s[22:23]
	v_mov_b32_e32 v4, 0
	s_and_saveexec_b64 s[22:23], s[20:21]
.LBB305_219:
	v_lshrrev_b32_e32 v4, 24, v5
	s_movk_i32 s20, 0x80
	v_and_or_b32 v4, v4, s20, v6
.LBB305_220:
	s_or_b64 exec, exec, s[22:23]
.LBB305_221:
	s_or_b64 exec, exec, s[18:19]
.LBB305_222:
	s_or_b64 exec, exec, s[16:17]
.LBB305_223:
	s_andn2_saveexec_b64 s[14:15], s[14:15]
	s_cbranch_execz .LBB305_231
; %bb.224:
	flat_load_ubyte v4, v[2:3]
	s_movk_i32 s16, 0x7f00
	s_brev_b32 s17, 16
	s_brev_b32 s18, 1
	s_mov_b32 s19, 0x43800000
	s_waitcnt vmcnt(0) lgkmcnt(0)
	v_lshlrev_b16_e32 v5, 8, v4
	v_lshlrev_b32_e32 v4, 25, v4
	v_lshrrev_b32_e32 v6, 4, v4
	v_and_or_b32 v7, v5, s16, 0.5
	v_or_b32_e32 v6, 0x70000000, v6
	v_add_f32_e32 v7, -0.5, v7
	v_mul_f32_e32 v6, 0x7800000, v6
	v_cmp_gt_u32_e32 vcc, s17, v4
	v_bfe_i32 v5, v5, 0, 16
	v_cndmask_b32_e32 v7, v6, v7, vcc
	v_and_or_b32 v5, v5, s18, v7
	v_and_b32_e32 v6, 0x7fffffff, v5
	v_cmp_gt_u32_e32 vcc, s19, v6
	v_mov_b32_e32 v4, 0x80
	s_and_saveexec_b64 s[16:17], vcc
	s_cbranch_execz .LBB305_230
; %bb.225:
	s_mov_b32 s18, 0x3bffffff
	v_cmp_lt_u32_e32 vcc, s18, v6
	s_mov_b64 s[18:19], 0
                                        ; implicit-def: $vgpr6
	s_and_saveexec_b64 s[20:21], vcc
	s_xor_b64 s[20:21], exec, s[20:21]
	s_cbranch_execnz .LBB305_280
; %bb.226:
	s_andn2_saveexec_b64 s[20:21], s[20:21]
	s_cbranch_execnz .LBB305_281
.LBB305_227:
	s_or_b64 exec, exec, s[20:21]
	v_mov_b32_e32 v4, 0
	s_and_saveexec_b64 s[20:21], s[18:19]
.LBB305_228:
	v_lshrrev_b32_e32 v4, 24, v5
	s_movk_i32 s18, 0x80
	v_and_or_b32 v4, v4, s18, v6
.LBB305_229:
	s_or_b64 exec, exec, s[20:21]
.LBB305_230:
	s_or_b64 exec, exec, s[16:17]
.LBB305_231:
	s_or_b64 exec, exec, s[14:15]
	s_or_b64 s[14:15], s[6:7], exec
                                        ; implicit-def: $vgpr5
.LBB305_232:
	s_or_saveexec_b64 s[8:9], s[8:9]
	s_mov_b64 s[16:17], 0
	s_mov_b64 s[18:19], s[12:13]
	s_xor_b64 exec, exec, s[8:9]
	s_cbranch_execz .LBB305_246
; %bb.233:
	v_mov_b32_e32 v4, 14
	v_cmp_gt_i16_sdwa s[16:17], v5, v4 src0_sel:BYTE_0 src1_sel:DWORD
	s_mov_b64 s[18:19], s[12:13]
	s_mov_b64 s[20:21], s[14:15]
                                        ; implicit-def: $vgpr4
	s_and_saveexec_b64 s[22:23], s[16:17]
	s_xor_b64 s[16:17], exec, s[22:23]
	s_cbranch_execz .LBB305_243
; %bb.234:
	v_mov_b32_e32 v4, 15
	v_cmp_eq_u16_sdwa s[24:25], v5, v4 src0_sel:BYTE_0 src1_sel:DWORD
	s_mov_b64 s[22:23], -1
	s_mov_b64 s[20:21], s[14:15]
                                        ; implicit-def: $vgpr4
	s_and_saveexec_b64 s[18:19], s[24:25]
	s_cbranch_execz .LBB305_242
; %bb.235:
	flat_load_ushort v5, v[2:3]
	s_mov_b32 s20, 0x43800000
	v_mov_b32_e32 v4, 0x80
	s_waitcnt vmcnt(0) lgkmcnt(0)
	v_lshlrev_b32_e32 v7, 16, v5
	v_and_b32_e32 v6, 0x7fffffff, v7
	v_cmp_gt_u32_e32 vcc, s20, v6
	s_and_saveexec_b64 s[20:21], vcc
	s_cbranch_execz .LBB305_241
; %bb.236:
	s_mov_b32 s22, 0x3bffffff
	v_cmp_lt_u32_e32 vcc, s22, v6
	s_mov_b64 s[22:23], 0
                                        ; implicit-def: $vgpr6
	s_and_saveexec_b64 s[24:25], vcc
	s_xor_b64 s[24:25], exec, s[24:25]
	s_cbranch_execnz .LBB305_304
; %bb.237:
	s_andn2_saveexec_b64 s[24:25], s[24:25]
	s_cbranch_execnz .LBB305_305
.LBB305_238:
	s_or_b64 exec, exec, s[24:25]
	v_mov_b32_e32 v4, 0
	s_and_saveexec_b64 s[24:25], s[22:23]
.LBB305_239:
	v_lshrrev_b32_e32 v4, 8, v5
	s_movk_i32 s22, 0x80
	v_and_or_b32 v4, v4, s22, v6
.LBB305_240:
	s_or_b64 exec, exec, s[24:25]
.LBB305_241:
	s_or_b64 exec, exec, s[20:21]
	s_or_b64 s[20:21], s[14:15], exec
	s_xor_b64 s[22:23], exec, -1
.LBB305_242:
	s_or_b64 exec, exec, s[18:19]
	s_andn2_b64 s[18:19], s[14:15], exec
	s_and_b64 s[20:21], s[20:21], exec
	s_or_b64 s[20:21], s[18:19], s[20:21]
	s_andn2_b64 s[18:19], s[12:13], exec
	s_and_b64 s[22:23], s[22:23], exec
	s_or_b64 s[18:19], s[18:19], s[22:23]
                                        ; implicit-def: $vgpr5
.LBB305_243:
	s_or_saveexec_b64 s[16:17], s[16:17]
	s_mov_b64 s[22:23], 0
	s_xor_b64 exec, exec, s[16:17]
; %bb.244:
	v_mov_b32_e32 v6, 11
	v_cmp_ne_u16_sdwa s[24:25], v5, v6 src0_sel:BYTE_0 src1_sel:DWORD
	s_andn2_b64 s[18:19], s[18:19], exec
	s_and_b64 s[24:25], s[24:25], exec
	s_mov_b64 s[22:23], exec
	s_or_b64 s[18:19], s[18:19], s[24:25]
; %bb.245:
	s_or_b64 exec, exec, s[16:17]
	s_andn2_b64 s[14:15], s[14:15], exec
	s_and_b64 s[16:17], s[20:21], exec
	s_andn2_b64 s[20:21], s[12:13], exec
	s_and_b64 s[18:19], s[18:19], exec
	s_or_b64 s[14:15], s[14:15], s[16:17]
	s_and_b64 s[16:17], s[22:23], exec
	s_or_b64 s[18:19], s[20:21], s[18:19]
.LBB305_246:
	s_or_b64 exec, exec, s[8:9]
	s_andn2_b64 s[6:7], s[6:7], exec
	s_and_b64 s[8:9], s[14:15], exec
	s_andn2_b64 s[12:13], s[12:13], exec
	s_and_b64 s[14:15], s[18:19], exec
	s_or_b64 s[6:7], s[6:7], s[8:9]
	s_and_b64 s[8:9], s[16:17], exec
	s_or_b64 s[12:13], s[12:13], s[14:15]
	s_or_b64 exec, exec, s[10:11]
	s_and_saveexec_b64 s[10:11], s[12:13]
	s_cbranch_execz .LBB305_7
.LBB305_247:
	s_trap 2
	; divergent unreachable
	s_andn2_b64 s[8:9], s[8:9], exec
	s_or_b64 exec, exec, s[10:11]
	s_and_saveexec_b64 s[10:11], s[8:9]
	s_xor_b64 s[8:9], exec, s[10:11]
	s_cbranch_execnz .LBB305_8
	s_branch .LBB305_15
.LBB305_248:
	s_movk_i32 s8, 0x80
	v_cmp_eq_u16_sdwa s[14:15], v1, s8 src0_sel:BYTE_0 src1_sel:DWORD
	s_mov_b64 s[8:9], -1
	s_and_saveexec_b64 s[12:13], s[14:15]
; %bb.249:
	s_xor_b64 s[8:9], exec, -1
; %bb.250:
	s_or_b64 exec, exec, s[12:13]
	s_and_b64 s[8:9], s[8:9], exec
	s_or_saveexec_b64 s[10:11], s[10:11]
	v_mov_b32_e32 v0, 0x7f800001
	s_xor_b64 exec, exec, s[10:11]
	s_cbranch_execz .LBB305_126
.LBB305_251:
	v_mov_b32_e32 v0, 0
	v_cmp_ne_u16_sdwa s[12:13], v1, v0 src0_sel:BYTE_0 src1_sel:DWORD
	s_andn2_b64 s[8:9], s[8:9], exec
	s_and_b64 s[12:13], s[12:13], exec
	s_or_b64 s[8:9], s[8:9], s[12:13]
	s_or_b64 exec, exec, s[10:11]
	s_and_saveexec_b64 s[10:11], s[8:9]
	s_cbranch_execnz .LBB305_127
	s_branch .LBB305_128
.LBB305_252:
	s_movk_i32 s8, 0x80
	v_cmp_eq_u16_sdwa s[14:15], v4, s8 src0_sel:BYTE_0 src1_sel:DWORD
	s_mov_b64 s[8:9], -1
	s_and_saveexec_b64 s[12:13], s[14:15]
; %bb.253:
	s_xor_b64 s[8:9], exec, -1
; %bb.254:
	s_or_b64 exec, exec, s[12:13]
	s_and_b64 s[8:9], s[8:9], exec
	s_or_saveexec_b64 s[10:11], s[10:11]
	v_mov_b32_e32 v1, 0x7f800001
	s_xor_b64 exec, exec, s[10:11]
	s_cbranch_execz .LBB305_130
.LBB305_255:
	v_mov_b32_e32 v1, 0
	v_cmp_ne_u16_sdwa s[12:13], v4, v1 src0_sel:BYTE_0 src1_sel:DWORD
	s_andn2_b64 s[8:9], s[8:9], exec
	s_and_b64 s[12:13], s[12:13], exec
	s_or_b64 s[8:9], s[8:9], s[12:13]
	s_or_b64 exec, exec, s[10:11]
	s_and_saveexec_b64 s[10:11], s[8:9]
	s_cbranch_execnz .LBB305_131
	s_branch .LBB305_132
.LBB305_256:
	s_movk_i32 s6, 0x80
	v_cmp_eq_u16_sdwa s[14:15], v1, s6 src0_sel:BYTE_0 src1_sel:DWORD
	s_mov_b64 s[6:7], -1
	s_and_saveexec_b64 s[12:13], s[14:15]
; %bb.257:
	s_xor_b64 s[6:7], exec, -1
; %bb.258:
	s_or_b64 exec, exec, s[12:13]
	s_and_b64 s[6:7], s[6:7], exec
	s_or_saveexec_b64 s[10:11], s[10:11]
	v_mov_b32_e32 v0, 0x7f800001
	s_xor_b64 exec, exec, s[10:11]
	s_cbranch_execz .LBB305_136
.LBB305_259:
	v_mov_b32_e32 v0, 0
	v_cmp_ne_u16_sdwa s[12:13], v1, v0 src0_sel:BYTE_0 src1_sel:DWORD
	s_andn2_b64 s[6:7], s[6:7], exec
	s_and_b64 s[12:13], s[12:13], exec
	s_or_b64 s[6:7], s[6:7], s[12:13]
	s_or_b64 exec, exec, s[10:11]
	s_and_saveexec_b64 s[10:11], s[6:7]
	s_cbranch_execnz .LBB305_137
	s_branch .LBB305_138
.LBB305_260:
	s_movk_i32 s6, 0x80
	v_cmp_eq_u16_sdwa s[14:15], v4, s6 src0_sel:BYTE_0 src1_sel:DWORD
	s_mov_b64 s[6:7], -1
	s_and_saveexec_b64 s[12:13], s[14:15]
; %bb.261:
	s_xor_b64 s[6:7], exec, -1
; %bb.262:
	s_or_b64 exec, exec, s[12:13]
	s_and_b64 s[6:7], s[6:7], exec
	s_or_saveexec_b64 s[10:11], s[10:11]
	v_mov_b32_e32 v1, 0x7f800001
	s_xor_b64 exec, exec, s[10:11]
	s_cbranch_execz .LBB305_140
.LBB305_263:
	v_mov_b32_e32 v1, 0
	v_cmp_ne_u16_sdwa s[12:13], v4, v1 src0_sel:BYTE_0 src1_sel:DWORD
	s_andn2_b64 s[6:7], s[6:7], exec
	s_and_b64 s[12:13], s[12:13], exec
	s_or_b64 s[6:7], s[6:7], s[12:13]
	s_or_b64 exec, exec, s[10:11]
	s_and_saveexec_b64 s[10:11], s[6:7]
	s_cbranch_execnz .LBB305_141
	s_branch .LBB305_142
.LBB305_264:
	v_bfe_u32 v2, v3, 20, 1
	s_mov_b32 s16, 0x487ffff
	v_add3_u32 v2, v3, v2, s16
	s_mov_b64 s[12:13], exec
	v_lshrrev_b32_e32 v2, 20, v2
                                        ; implicit-def: $vgpr3
	s_andn2_saveexec_b64 s[14:15], s[14:15]
	s_cbranch_execz .LBB305_11
.LBB305_265:
	v_add_f32_e32 v2, 0x46000000, v3
	v_and_b32_e32 v2, 0xff, v2
	v_cmp_ne_u32_e32 vcc, 0, v2
	s_andn2_b64 s[12:13], s[12:13], exec
	s_and_b64 s[16:17], vcc, exec
	s_or_b64 s[12:13], s[12:13], s[16:17]
	s_or_b64 exec, exec, s[14:15]
	v_mov_b32_e32 v4, 0
	s_and_saveexec_b64 s[14:15], s[12:13]
	s_cbranch_execnz .LBB305_12
	s_branch .LBB305_13
.LBB305_266:
	v_bfe_u32 v3, v2, 20, 1
	s_mov_b32 s20, 0x487ffff
	v_add3_u32 v3, v2, v3, s20
	s_mov_b64 s[16:17], exec
	v_lshrrev_b32_e32 v3, 20, v3
	s_andn2_saveexec_b64 s[18:19], s[18:19]
	s_cbranch_execz .LBB305_40
.LBB305_267:
	s_mov_b32 s20, 0x46000000
	v_add_f32_e64 v3, |v2|, s20
	v_and_b32_e32 v3, 0xff, v3
	v_cmp_ne_u32_e32 vcc, 0, v3
	s_andn2_b64 s[16:17], s[16:17], exec
	s_and_b64 s[20:21], vcc, exec
	s_or_b64 s[16:17], s[16:17], s[20:21]
	s_or_b64 exec, exec, s[18:19]
	v_mov_b32_e32 v4, 0
	s_and_saveexec_b64 s[18:19], s[16:17]
	s_cbranch_execnz .LBB305_41
	s_branch .LBB305_42
.LBB305_268:
	v_bfe_u32 v3, v2, 20, 1
	s_mov_b32 s20, 0x487ffff
	v_add3_u32 v3, v2, v3, s20
	s_mov_b64 s[16:17], exec
	v_lshrrev_b32_e32 v3, 20, v3
	s_andn2_saveexec_b64 s[18:19], s[18:19]
	s_cbranch_execz .LBB305_68
.LBB305_269:
	s_mov_b32 s20, 0x46000000
	v_add_f32_e64 v3, |v2|, s20
	v_and_b32_e32 v3, 0xff, v3
	v_cmp_ne_u32_e32 vcc, 0, v3
	s_andn2_b64 s[16:17], s[16:17], exec
	s_and_b64 s[20:21], vcc, exec
	s_or_b64 s[16:17], s[16:17], s[20:21]
	s_or_b64 exec, exec, s[18:19]
	v_mov_b32_e32 v4, 0
	s_and_saveexec_b64 s[18:19], s[16:17]
	s_cbranch_execnz .LBB305_69
	s_branch .LBB305_70
.LBB305_270:
	v_bfe_u32 v3, v2, 20, 1
	s_mov_b32 s20, 0x487ffff
	v_add3_u32 v3, v2, v3, s20
	s_mov_b64 s[16:17], exec
	v_lshrrev_b32_e32 v3, 20, v3
	s_andn2_saveexec_b64 s[18:19], s[18:19]
	s_cbranch_execz .LBB305_98
.LBB305_271:
	s_mov_b32 s20, 0x46000000
	v_add_f32_e64 v3, |v2|, s20
	v_and_b32_e32 v3, 0xff, v3
	v_cmp_ne_u32_e32 vcc, 0, v3
	s_andn2_b64 s[16:17], s[16:17], exec
	s_and_b64 s[20:21], vcc, exec
	s_or_b64 s[16:17], s[16:17], s[20:21]
	s_or_b64 exec, exec, s[18:19]
	v_mov_b32_e32 v4, 0
	s_and_saveexec_b64 s[18:19], s[16:17]
	s_cbranch_execnz .LBB305_99
	s_branch .LBB305_100
.LBB305_272:
	v_bfe_u32 v3, v2, 20, 1
	s_mov_b32 s20, 0x487ffff
	v_add3_u32 v3, v2, v3, s20
	s_mov_b64 s[16:17], exec
	v_lshrrev_b32_e32 v3, 20, v3
	s_andn2_saveexec_b64 s[18:19], s[18:19]
	s_cbranch_execz .LBB305_108
.LBB305_273:
	s_mov_b32 s20, 0x46000000
	v_add_f32_e64 v3, |v2|, s20
	v_and_b32_e32 v3, 0xff, v3
	v_cmp_ne_u32_e32 vcc, 0, v3
	s_andn2_b64 s[16:17], s[16:17], exec
	s_and_b64 s[20:21], vcc, exec
	s_or_b64 s[16:17], s[16:17], s[20:21]
	s_or_b64 exec, exec, s[18:19]
	v_mov_b32_e32 v4, 0
	s_and_saveexec_b64 s[18:19], s[16:17]
	s_cbranch_execnz .LBB305_109
	s_branch .LBB305_110
.LBB305_274:
	v_bfe_u32 v2, v3, 20, 1
	s_mov_b32 s20, 0x487ffff
	v_add3_u32 v2, v3, v2, s20
	s_mov_b64 s[16:17], exec
	v_lshrrev_b32_e32 v2, 20, v2
                                        ; implicit-def: $vgpr3
	s_andn2_saveexec_b64 s[18:19], s[18:19]
	s_cbranch_execz .LBB305_116
.LBB305_275:
	v_add_f32_e32 v2, 0x46000000, v3
	v_and_b32_e32 v2, 0xff, v2
	v_cmp_ne_u32_e32 vcc, 0, v2
	s_andn2_b64 s[16:17], s[16:17], exec
	s_and_b64 s[20:21], vcc, exec
	s_or_b64 s[16:17], s[16:17], s[20:21]
	s_or_b64 exec, exec, s[18:19]
	v_mov_b32_e32 v4, 0
	s_and_saveexec_b64 s[18:19], s[16:17]
	s_cbranch_execnz .LBB305_117
	s_branch .LBB305_118
.LBB305_276:
	s_movk_i32 s18, 0x80
	v_cmp_eq_u16_e32 vcc, s18, v4
	s_mov_b64 s[18:19], -1
	s_and_saveexec_b64 s[22:23], vcc
; %bb.277:
	s_xor_b64 s[18:19], exec, -1
; %bb.278:
	s_or_b64 exec, exec, s[22:23]
	s_and_b64 s[18:19], s[18:19], exec
	s_or_saveexec_b64 s[20:21], s[20:21]
	v_mov_b32_e32 v5, 0x7f800001
	s_xor_b64 exec, exec, s[20:21]
	s_cbranch_execz .LBB305_205
.LBB305_279:
	v_cmp_ne_u16_e32 vcc, 0, v4
	s_andn2_b64 s[18:19], s[18:19], exec
	s_and_b64 s[22:23], vcc, exec
	v_mov_b32_e32 v5, 0
	s_or_b64 s[18:19], s[18:19], s[22:23]
	s_or_b64 exec, exec, s[20:21]
	s_and_saveexec_b64 s[20:21], s[18:19]
	s_cbranch_execnz .LBB305_206
	s_branch .LBB305_207
.LBB305_280:
	v_bfe_u32 v4, v7, 20, 1
	s_mov_b32 s22, 0x487ffff
	v_add3_u32 v4, v5, v4, s22
	s_mov_b64 s[18:19], exec
	v_lshrrev_b32_e32 v6, 20, v4
	s_andn2_saveexec_b64 s[20:21], s[20:21]
	s_cbranch_execz .LBB305_227
.LBB305_281:
	s_mov_b32 s22, 0x46000000
	v_add_f32_e64 v4, |v5|, s22
	v_and_b32_e32 v6, 0xff, v4
	v_cmp_ne_u32_e32 vcc, 0, v6
	s_andn2_b64 s[18:19], s[18:19], exec
	s_and_b64 s[22:23], vcc, exec
	s_or_b64 s[18:19], s[18:19], s[22:23]
	s_or_b64 exec, exec, s[20:21]
	v_mov_b32_e32 v4, 0
	s_and_saveexec_b64 s[20:21], s[18:19]
	s_cbranch_execnz .LBB305_228
	s_branch .LBB305_229
.LBB305_282:
	v_bfe_u32 v3, v2, 20, 1
	s_mov_b32 s22, 0x487ffff
	v_add3_u32 v3, v2, v3, s22
	s_mov_b64 s[18:19], exec
	v_lshrrev_b32_e32 v3, 20, v3
	s_andn2_saveexec_b64 s[20:21], s[20:21]
	s_cbranch_execz .LBB305_23
.LBB305_283:
	s_mov_b32 s22, 0x46000000
	v_add_f32_e64 v3, |v2|, s22
	v_and_b32_e32 v3, 0xff, v3
	v_cmp_ne_u32_e32 vcc, 0, v3
	s_andn2_b64 s[18:19], s[18:19], exec
	s_and_b64 s[22:23], vcc, exec
	s_or_b64 s[18:19], s[18:19], s[22:23]
	s_or_b64 exec, exec, s[20:21]
	v_mov_b32_e32 v4, 0
	s_and_saveexec_b64 s[20:21], s[18:19]
	s_cbranch_execnz .LBB305_24
	s_branch .LBB305_25
.LBB305_284:
	v_bfe_u32 v3, v2, 20, 1
	s_mov_b32 s22, 0x487ffff
	v_add3_u32 v3, v2, v3, s22
	s_mov_b64 s[18:19], exec
	v_lshrrev_b32_e32 v3, 20, v3
	s_andn2_saveexec_b64 s[20:21], s[20:21]
	s_cbranch_execz .LBB305_31
.LBB305_285:
	s_mov_b32 s22, 0x46000000
	v_add_f32_e64 v3, |v2|, s22
	v_and_b32_e32 v3, 0xff, v3
	v_cmp_ne_u32_e32 vcc, 0, v3
	s_andn2_b64 s[18:19], s[18:19], exec
	s_and_b64 s[22:23], vcc, exec
	s_or_b64 s[18:19], s[18:19], s[22:23]
	s_or_b64 exec, exec, s[20:21]
	v_mov_b32_e32 v4, 0
	s_and_saveexec_b64 s[20:21], s[18:19]
	s_cbranch_execnz .LBB305_32
	s_branch .LBB305_33
.LBB305_286:
	v_bfe_u32 v3, v2, 20, 1
	s_mov_b32 s22, 0x487ffff
	v_add3_u32 v3, v2, v3, s22
	s_mov_b64 s[18:19], exec
	v_lshrrev_b32_e32 v3, 20, v3
	s_andn2_saveexec_b64 s[20:21], s[20:21]
	s_cbranch_execz .LBB305_51
.LBB305_287:
	s_mov_b32 s22, 0x46000000
	v_add_f32_e64 v3, |v2|, s22
	v_and_b32_e32 v3, 0xff, v3
	v_cmp_ne_u32_e32 vcc, 0, v3
	s_andn2_b64 s[18:19], s[18:19], exec
	s_and_b64 s[22:23], vcc, exec
	s_or_b64 s[18:19], s[18:19], s[22:23]
	s_or_b64 exec, exec, s[20:21]
	v_mov_b32_e32 v4, 0
	s_and_saveexec_b64 s[20:21], s[18:19]
	s_cbranch_execnz .LBB305_52
	s_branch .LBB305_53
.LBB305_288:
	v_bfe_u32 v3, v2, 20, 1
	s_mov_b32 s22, 0x487ffff
	v_add3_u32 v3, v2, v3, s22
	s_mov_b64 s[18:19], exec
	v_lshrrev_b32_e32 v3, 20, v3
	s_andn2_saveexec_b64 s[20:21], s[20:21]
	s_cbranch_execz .LBB305_59
.LBB305_289:
	s_mov_b32 s22, 0x46000000
	v_add_f32_e64 v3, |v2|, s22
	v_and_b32_e32 v3, 0xff, v3
	v_cmp_ne_u32_e32 vcc, 0, v3
	s_andn2_b64 s[18:19], s[18:19], exec
	s_and_b64 s[22:23], vcc, exec
	s_or_b64 s[18:19], s[18:19], s[22:23]
	s_or_b64 exec, exec, s[20:21]
	v_mov_b32_e32 v4, 0
	s_and_saveexec_b64 s[20:21], s[18:19]
	s_cbranch_execnz .LBB305_60
	s_branch .LBB305_61
.LBB305_290:
	v_bfe_u32 v3, v2, 20, 1
	s_mov_b32 s22, 0x487ffff
	v_add3_u32 v3, v2, v3, s22
	s_mov_b64 s[18:19], exec
	v_lshrrev_b32_e32 v3, 20, v3
	s_andn2_saveexec_b64 s[20:21], s[20:21]
	s_cbranch_execz .LBB305_81
.LBB305_291:
	s_mov_b32 s22, 0x46000000
	v_add_f32_e64 v3, |v2|, s22
	v_and_b32_e32 v3, 0xff, v3
	v_cmp_ne_u32_e32 vcc, 0, v3
	s_andn2_b64 s[18:19], s[18:19], exec
	s_and_b64 s[22:23], vcc, exec
	s_or_b64 s[18:19], s[18:19], s[22:23]
	s_or_b64 exec, exec, s[20:21]
	v_mov_b32_e32 v4, 0
	s_and_saveexec_b64 s[20:21], s[18:19]
	s_cbranch_execnz .LBB305_82
	s_branch .LBB305_83
.LBB305_292:
	v_bfe_u32 v3, v2, 20, 1
	s_mov_b32 s22, 0x487ffff
	v_add3_u32 v3, v2, v3, s22
	s_mov_b64 s[18:19], exec
	v_lshrrev_b32_e32 v3, 20, v3
	s_andn2_saveexec_b64 s[20:21], s[20:21]
	s_cbranch_execz .LBB305_89
.LBB305_293:
	s_mov_b32 s22, 0x46000000
	v_add_f32_e64 v3, |v2|, s22
	v_and_b32_e32 v3, 0xff, v3
	v_cmp_ne_u32_e32 vcc, 0, v3
	s_andn2_b64 s[18:19], s[18:19], exec
	s_and_b64 s[22:23], vcc, exec
	s_or_b64 s[18:19], s[18:19], s[22:23]
	s_or_b64 exec, exec, s[20:21]
	v_mov_b32_e32 v4, 0
	s_and_saveexec_b64 s[20:21], s[18:19]
	s_cbranch_execnz .LBB305_90
	s_branch .LBB305_91
.LBB305_294:
	v_bfe_u32 v4, v6, 20, 1
	s_mov_b32 s26, 0x487ffff
	v_add3_u32 v4, v6, v4, s26
	s_mov_b64 s[22:23], exec
	v_lshrrev_b32_e32 v5, 20, v4
                                        ; implicit-def: $vgpr6
	s_andn2_saveexec_b64 s[24:25], s[24:25]
	s_cbranch_execz .LBB305_171
.LBB305_295:
	v_add_f32_e32 v4, 0x46000000, v6
	v_and_b32_e32 v5, 0xff, v4
	v_cmp_ne_u32_e32 vcc, 0, v5
	s_andn2_b64 s[22:23], s[22:23], exec
	s_and_b64 s[26:27], vcc, exec
	s_or_b64 s[22:23], s[22:23], s[26:27]
	s_or_b64 exec, exec, s[24:25]
	v_mov_b32_e32 v4, 0
	s_and_saveexec_b64 s[24:25], s[22:23]
	s_cbranch_execnz .LBB305_172
	s_branch .LBB305_173
.LBB305_296:
	v_bfe_u32 v4, v6, 20, 1
	s_mov_b32 s26, 0x487ffff
	v_add3_u32 v4, v6, v4, s26
	s_mov_b64 s[22:23], exec
	v_lshrrev_b32_e32 v5, 20, v4
                                        ; implicit-def: $vgpr6
	s_andn2_saveexec_b64 s[24:25], s[24:25]
	s_cbranch_execz .LBB305_183
.LBB305_297:
	v_add_f32_e32 v4, 0x46000000, v6
	v_and_b32_e32 v5, 0xff, v4
	v_cmp_ne_u32_e32 vcc, 0, v5
	s_andn2_b64 s[22:23], s[22:23], exec
	s_and_b64 s[26:27], vcc, exec
	s_or_b64 s[22:23], s[22:23], s[26:27]
	s_or_b64 exec, exec, s[24:25]
	v_mov_b32_e32 v4, 0
	s_and_saveexec_b64 s[24:25], s[22:23]
	s_cbranch_execnz .LBB305_184
	s_branch .LBB305_185
.LBB305_298:
	v_bfe_u32 v4, v6, 20, 1
	s_mov_b32 s26, 0x487ffff
	v_add3_u32 v4, v6, v4, s26
	s_mov_b64 s[22:23], exec
	v_lshrrev_b32_e32 v5, 20, v4
                                        ; implicit-def: $vgpr6
	s_andn2_saveexec_b64 s[24:25], s[24:25]
	s_cbranch_execz .LBB305_191
.LBB305_299:
	v_add_f32_e32 v4, 0x46000000, v6
	v_and_b32_e32 v5, 0xff, v4
	v_cmp_ne_u32_e32 vcc, 0, v5
	s_andn2_b64 s[22:23], s[22:23], exec
	s_and_b64 s[26:27], vcc, exec
	s_or_b64 s[22:23], s[22:23], s[26:27]
	s_or_b64 exec, exec, s[24:25]
	v_mov_b32_e32 v4, 0
	s_and_saveexec_b64 s[24:25], s[22:23]
	s_cbranch_execnz .LBB305_192
	s_branch .LBB305_193
.LBB305_300:
	v_bfe_u32 v4, v5, 20, 1
	s_mov_b32 s24, 0x487ffff
	v_add3_u32 v4, v5, v4, s24
	s_mov_b64 s[20:21], exec
	v_lshrrev_b32_e32 v6, 20, v4
	s_andn2_saveexec_b64 s[22:23], s[22:23]
	s_cbranch_execz .LBB305_210
.LBB305_301:
	s_mov_b32 s24, 0x46000000
	v_add_f32_e64 v4, |v5|, s24
	v_and_b32_e32 v6, 0xff, v4
	v_cmp_ne_u32_e32 vcc, 0, v6
	s_andn2_b64 s[20:21], s[20:21], exec
	s_and_b64 s[24:25], vcc, exec
	s_or_b64 s[20:21], s[20:21], s[24:25]
	s_or_b64 exec, exec, s[22:23]
	v_mov_b32_e32 v4, 0
	s_and_saveexec_b64 s[22:23], s[20:21]
	s_cbranch_execnz .LBB305_211
	s_branch .LBB305_212
.LBB305_302:
	v_bfe_u32 v4, v7, 20, 1
	s_mov_b32 s24, 0x487ffff
	v_add3_u32 v4, v5, v4, s24
	s_mov_b64 s[20:21], exec
	v_lshrrev_b32_e32 v6, 20, v4
	s_andn2_saveexec_b64 s[22:23], s[22:23]
	s_cbranch_execz .LBB305_218
.LBB305_303:
	s_mov_b32 s24, 0x46000000
	v_add_f32_e64 v4, |v5|, s24
	v_and_b32_e32 v6, 0xff, v4
	v_cmp_ne_u32_e32 vcc, 0, v6
	s_andn2_b64 s[20:21], s[20:21], exec
	s_and_b64 s[24:25], vcc, exec
	s_or_b64 s[20:21], s[20:21], s[24:25]
	s_or_b64 exec, exec, s[22:23]
	v_mov_b32_e32 v4, 0
	s_and_saveexec_b64 s[22:23], s[20:21]
	s_cbranch_execnz .LBB305_219
	s_branch .LBB305_220
.LBB305_304:
	v_bfe_u32 v4, v5, 4, 1
	s_mov_b32 s26, 0x487ffff
	v_add3_u32 v4, v7, v4, s26
	s_mov_b64 s[22:23], exec
	v_lshrrev_b32_e32 v6, 20, v4
                                        ; implicit-def: $vgpr7
	s_andn2_saveexec_b64 s[24:25], s[24:25]
	s_cbranch_execz .LBB305_238
.LBB305_305:
	s_mov_b32 s26, 0x46000000
	v_add_f32_e64 v4, |v7|, s26
	v_and_b32_e32 v6, 0xff, v4
	v_cmp_ne_u32_e32 vcc, 0, v6
	s_andn2_b64 s[22:23], s[22:23], exec
	s_and_b64 s[26:27], vcc, exec
	s_or_b64 s[22:23], s[22:23], s[26:27]
	s_or_b64 exec, exec, s[24:25]
	v_mov_b32_e32 v4, 0
	s_and_saveexec_b64 s[24:25], s[22:23]
	s_cbranch_execnz .LBB305_239
	s_branch .LBB305_240
.LBB305_306:
	v_bfe_u32 v4, v5, 20, 1
	s_mov_b32 s24, 0x487ffff
	v_add3_u32 v4, v5, v4, s24
	s_mov_b64 s[20:21], exec
	v_lshrrev_b32_e32 v6, 20, v4
	s_andn2_saveexec_b64 s[22:23], s[22:23]
	s_cbranch_execz .LBB305_150
.LBB305_307:
	s_mov_b32 s24, 0x46000000
	v_add_f32_e64 v4, |v5|, s24
	v_and_b32_e32 v6, 0xff, v4
	v_cmp_ne_u32_e32 vcc, 0, v6
	s_andn2_b64 s[20:21], s[20:21], exec
	s_and_b64 s[24:25], vcc, exec
	s_or_b64 s[20:21], s[20:21], s[24:25]
	s_or_b64 exec, exec, s[22:23]
	v_mov_b32_e32 v4, 0
	s_and_saveexec_b64 s[22:23], s[20:21]
	s_cbranch_execnz .LBB305_151
	s_branch .LBB305_152
.LBB305_308:
	v_bfe_u32 v4, v6, 20, 1
	s_mov_b32 s28, 0x487ffff
	v_add3_u32 v4, v6, v4, s28
	s_mov_b64 s[24:25], exec
	v_lshrrev_b32_e32 v5, 20, v4
                                        ; implicit-def: $vgpr6
	s_andn2_saveexec_b64 s[26:27], s[26:27]
	s_cbranch_execz .LBB305_160
.LBB305_309:
	v_add_f32_e32 v4, 0x46000000, v6
	v_and_b32_e32 v5, 0xff, v4
	v_cmp_ne_u32_e32 vcc, 0, v5
	s_andn2_b64 s[24:25], s[24:25], exec
	s_and_b64 s[28:29], vcc, exec
	s_or_b64 s[24:25], s[24:25], s[28:29]
	s_or_b64 exec, exec, s[26:27]
	v_mov_b32_e32 v4, 0
	s_and_saveexec_b64 s[26:27], s[24:25]
	s_cbranch_execnz .LBB305_161
	s_branch .LBB305_162
.Lfunc_end305:
	.size	_ZN2at6native6invokeINS0_13AUnaryFunctorIN3c1015Float8_e4m3fnuzES4_bNS0_12_GLOBAL__N_116CompareEqFunctorIS4_EEEEi15function_traitsIS8_EEENT1_11result_typeERKT_PrKPcPKT0_PKNS3_10ScalarTypeEi, .Lfunc_end305-_ZN2at6native6invokeINS0_13AUnaryFunctorIN3c1015Float8_e4m3fnuzES4_bNS0_12_GLOBAL__N_116CompareEqFunctorIS4_EEEEi15function_traitsIS8_EEENT1_11result_typeERKT_PrKPcPKT0_PKNS3_10ScalarTypeEi
                                        ; -- End function
	.set .L_ZN2at6native6invokeINS0_13AUnaryFunctorIN3c1015Float8_e4m3fnuzES4_bNS0_12_GLOBAL__N_116CompareEqFunctorIS4_EEEEi15function_traitsIS8_EEENT1_11result_typeERKT_PrKPcPKT0_PKNS3_10ScalarTypeEi.num_vgpr, 10
	.set .L_ZN2at6native6invokeINS0_13AUnaryFunctorIN3c1015Float8_e4m3fnuzES4_bNS0_12_GLOBAL__N_116CompareEqFunctorIS4_EEEEi15function_traitsIS8_EEENT1_11result_typeERKT_PrKPcPKT0_PKNS3_10ScalarTypeEi.num_agpr, 0
	.set .L_ZN2at6native6invokeINS0_13AUnaryFunctorIN3c1015Float8_e4m3fnuzES4_bNS0_12_GLOBAL__N_116CompareEqFunctorIS4_EEEEi15function_traitsIS8_EEENT1_11result_typeERKT_PrKPcPKT0_PKNS3_10ScalarTypeEi.numbered_sgpr, 32
	.set .L_ZN2at6native6invokeINS0_13AUnaryFunctorIN3c1015Float8_e4m3fnuzES4_bNS0_12_GLOBAL__N_116CompareEqFunctorIS4_EEEEi15function_traitsIS8_EEENT1_11result_typeERKT_PrKPcPKT0_PKNS3_10ScalarTypeEi.num_named_barrier, 0
	.set .L_ZN2at6native6invokeINS0_13AUnaryFunctorIN3c1015Float8_e4m3fnuzES4_bNS0_12_GLOBAL__N_116CompareEqFunctorIS4_EEEEi15function_traitsIS8_EEENT1_11result_typeERKT_PrKPcPKT0_PKNS3_10ScalarTypeEi.private_seg_size, 0
	.set .L_ZN2at6native6invokeINS0_13AUnaryFunctorIN3c1015Float8_e4m3fnuzES4_bNS0_12_GLOBAL__N_116CompareEqFunctorIS4_EEEEi15function_traitsIS8_EEENT1_11result_typeERKT_PrKPcPKT0_PKNS3_10ScalarTypeEi.uses_vcc, 1
	.set .L_ZN2at6native6invokeINS0_13AUnaryFunctorIN3c1015Float8_e4m3fnuzES4_bNS0_12_GLOBAL__N_116CompareEqFunctorIS4_EEEEi15function_traitsIS8_EEENT1_11result_typeERKT_PrKPcPKT0_PKNS3_10ScalarTypeEi.uses_flat_scratch, 0
	.set .L_ZN2at6native6invokeINS0_13AUnaryFunctorIN3c1015Float8_e4m3fnuzES4_bNS0_12_GLOBAL__N_116CompareEqFunctorIS4_EEEEi15function_traitsIS8_EEENT1_11result_typeERKT_PrKPcPKT0_PKNS3_10ScalarTypeEi.has_dyn_sized_stack, 0
	.set .L_ZN2at6native6invokeINS0_13AUnaryFunctorIN3c1015Float8_e4m3fnuzES4_bNS0_12_GLOBAL__N_116CompareEqFunctorIS4_EEEEi15function_traitsIS8_EEENT1_11result_typeERKT_PrKPcPKT0_PKNS3_10ScalarTypeEi.has_recursion, 0
	.set .L_ZN2at6native6invokeINS0_13AUnaryFunctorIN3c1015Float8_e4m3fnuzES4_bNS0_12_GLOBAL__N_116CompareEqFunctorIS4_EEEEi15function_traitsIS8_EEENT1_11result_typeERKT_PrKPcPKT0_PKNS3_10ScalarTypeEi.has_indirect_call, 0
	.section	.AMDGPU.csdata,"",@progbits
; Function info:
; codeLenInByte = 7452
; TotalNumSgprs: 36
; NumVgprs: 10
; ScratchSize: 0
; MemoryBound: 0
	.section	.text._ZN2at6native32elementwise_kernel_manual_unrollILi128ELi4EZNS0_15gpu_kernel_implINS0_13AUnaryFunctorIN3c1015Float8_e4m3fnuzES5_bNS0_12_GLOBAL__N_116CompareEqFunctorIS5_EEEEEEvRNS_18TensorIteratorBaseERKT_EUlibE_EEviT1_,"axG",@progbits,_ZN2at6native32elementwise_kernel_manual_unrollILi128ELi4EZNS0_15gpu_kernel_implINS0_13AUnaryFunctorIN3c1015Float8_e4m3fnuzES5_bNS0_12_GLOBAL__N_116CompareEqFunctorIS5_EEEEEEvRNS_18TensorIteratorBaseERKT_EUlibE_EEviT1_,comdat
	.globl	_ZN2at6native32elementwise_kernel_manual_unrollILi128ELi4EZNS0_15gpu_kernel_implINS0_13AUnaryFunctorIN3c1015Float8_e4m3fnuzES5_bNS0_12_GLOBAL__N_116CompareEqFunctorIS5_EEEEEEvRNS_18TensorIteratorBaseERKT_EUlibE_EEviT1_ ; -- Begin function _ZN2at6native32elementwise_kernel_manual_unrollILi128ELi4EZNS0_15gpu_kernel_implINS0_13AUnaryFunctorIN3c1015Float8_e4m3fnuzES5_bNS0_12_GLOBAL__N_116CompareEqFunctorIS5_EEEEEEvRNS_18TensorIteratorBaseERKT_EUlibE_EEviT1_
	.p2align	8
	.type	_ZN2at6native32elementwise_kernel_manual_unrollILi128ELi4EZNS0_15gpu_kernel_implINS0_13AUnaryFunctorIN3c1015Float8_e4m3fnuzES5_bNS0_12_GLOBAL__N_116CompareEqFunctorIS5_EEEEEEvRNS_18TensorIteratorBaseERKT_EUlibE_EEviT1_,@function
_ZN2at6native32elementwise_kernel_manual_unrollILi128ELi4EZNS0_15gpu_kernel_implINS0_13AUnaryFunctorIN3c1015Float8_e4m3fnuzES5_bNS0_12_GLOBAL__N_116CompareEqFunctorIS5_EEEEEEvRNS_18TensorIteratorBaseERKT_EUlibE_EEviT1_: ; @_ZN2at6native32elementwise_kernel_manual_unrollILi128ELi4EZNS0_15gpu_kernel_implINS0_13AUnaryFunctorIN3c1015Float8_e4m3fnuzES5_bNS0_12_GLOBAL__N_116CompareEqFunctorIS5_EEEEEEvRNS_18TensorIteratorBaseERKT_EUlibE_EEviT1_
; %bb.0:
	s_load_dwordx2 s[48:49], s[4:5], 0x24
	s_load_dword s60, s[4:5], 0x0
	s_load_dwordx8 s[40:47], s[4:5], 0x8
	v_lshl_or_b32 v10, s6, 9, v0
	s_add_u32 s0, s0, s7
	v_or_b32_e32 v11, 0x180, v10
	s_addc_u32 s1, s1, 0
	s_waitcnt lgkmcnt(0)
	s_bfe_u32 s33, s49, 0x80008
	v_cmp_le_i32_e32 vcc, s60, v11
	s_mov_b64 s[34:35], 0
	s_mov_b64 s[50:51], 0
	s_mov_b32 s32, 0
	s_and_saveexec_b64 s[4:5], vcc
	s_xor_b64 s[36:37], exec, s[4:5]
	s_cbranch_execz .LBB306_508
; %bb.1:
	v_cmp_gt_i32_e32 vcc, s60, v10
	s_mov_b64 s[4:5], -1
	s_mov_b64 s[54:55], 0
	s_mov_b64 s[38:39], 0
	s_and_saveexec_b64 s[50:51], vcc
	s_cbranch_execz .LBB306_124
; %bb.2:
	s_getpc_b64 s[4:5]
	s_add_u32 s4, s4, _ZN2at6native6invokeINS0_13AUnaryFunctorIN3c1015Float8_e4m3fnuzES4_bNS0_12_GLOBAL__N_116CompareEqFunctorIS4_EEEEi15function_traitsIS8_EEENT1_11result_typeERKT_PrKPcPKT0_PKNS3_10ScalarTypeEi@rel32@lo+4
	s_addc_u32 s5, s5, _ZN2at6native6invokeINS0_13AUnaryFunctorIN3c1015Float8_e4m3fnuzES4_bNS0_12_GLOBAL__N_116CompareEqFunctorIS4_EEEEi15function_traitsIS8_EEENT1_11result_typeERKT_PrKPcPKT0_PKNS3_10ScalarTypeEi@rel32@hi+12
	v_mov_b32_e32 v0, s46
	v_mov_b32_e32 v1, s48
	;; [unrolled: 1-line block ×7, first 2 shown]
	s_swappc_b64 s[30:31], s[4:5]
	v_and_b32_e32 v0, 1, v0
	v_cmp_eq_u32_e64 s[4:5], 1, v0
	v_mul_lo_u32 v0, v10, s44
	v_mov_b32_e32 v1, s41
	s_and_b32 s14, s49, 0xff
	s_cmp_lt_i32 s14, 11
	v_ashrrev_i32_e32 v2, 31, v0
	v_add_co_u32_e32 v0, vcc, s40, v0
	v_addc_co_u32_e32 v1, vcc, v1, v2, vcc
	s_cbranch_scc1 .LBB306_9
; %bb.3:
	s_and_b32 s15, 0xffff, s14
	s_cmp_gt_i32 s15, 25
	s_cbranch_scc0 .LBB306_12
; %bb.4:
	s_cmp_gt_i32 s15, 28
	s_cbranch_scc0 .LBB306_13
; %bb.5:
	s_cmp_gt_i32 s15, 43
	s_cbranch_scc0 .LBB306_14
; %bb.6:
	s_cmp_gt_i32 s15, 45
	s_cbranch_scc0 .LBB306_15
; %bb.7:
	s_mov_b64 s[10:11], 0
	s_mov_b64 s[6:7], -1
	s_cmp_eq_u32 s15, 46
	s_mov_b64 s[8:9], 0
	s_cbranch_scc0 .LBB306_16
; %bb.8:
	v_cndmask_b32_e64 v2, 0, 1.0, s[4:5]
	v_bfe_u32 v3, v2, 16, 1
	s_movk_i32 s6, 0x7fff
	v_add3_u32 v2, v2, v3, s6
	v_lshrrev_b32_e32 v2, 16, v2
	global_store_dword v[0:1], v2, off
	s_mov_b64 s[8:9], -1
	s_mov_b64 s[6:7], 0
	s_branch .LBB306_16
.LBB306_9:
	s_mov_b64 s[6:7], 0
	s_mov_b64 s[8:9], 0
	s_cbranch_execnz .LBB306_84
.LBB306_10:
	s_andn2_b64 vcc, exec, s[8:9]
	s_cbranch_vccnz .LBB306_122
.LBB306_11:
	v_add_u32_e32 v10, 0x80, v10
	s_mov_b64 s[4:5], -1
	s_branch .LBB306_123
.LBB306_12:
	s_mov_b64 s[6:7], 0
	s_mov_b64 s[8:9], 0
	s_cbranch_execnz .LBB306_43
	s_branch .LBB306_83
.LBB306_13:
	s_mov_b64 s[10:11], -1
	s_mov_b64 s[6:7], 0
	s_mov_b64 s[8:9], 0
	s_branch .LBB306_26
.LBB306_14:
	s_mov_b64 s[10:11], -1
	s_mov_b64 s[6:7], 0
	s_mov_b64 s[8:9], 0
	s_branch .LBB306_22
.LBB306_15:
	s_mov_b64 s[10:11], -1
	s_mov_b64 s[6:7], 0
	s_mov_b64 s[8:9], 0
.LBB306_16:
	s_and_b64 vcc, exec, s[10:11]
	s_cbranch_vccz .LBB306_21
; %bb.17:
	s_cmp_eq_u32 s15, 44
	s_mov_b64 s[6:7], -1
	s_cbranch_scc0 .LBB306_21
; %bb.18:
	v_cndmask_b32_e64 v3, 0, 1.0, s[4:5]
	v_lshrrev_b32_e32 v2, 23, v3
	s_movk_i32 s6, 0xff
	v_cmp_ne_u32_e32 vcc, s6, v2
	v_mov_b32_e32 v4, 0xff
	s_and_saveexec_b64 s[8:9], vcc
; %bb.19:
	s_mov_b32 s6, 0x3fffff
	v_and_b32_e32 v4, 0x400000, v3
	v_and_or_b32 v3, v3, s6, v2
	v_cmp_ne_u32_e32 vcc, 0, v4
	v_cmp_ne_u32_e64 s[6:7], 0, v3
	s_and_b64 s[6:7], vcc, s[6:7]
	v_cndmask_b32_e64 v3, 0, 1, s[6:7]
	v_add_u32_e32 v4, v2, v3
; %bb.20:
	s_or_b64 exec, exec, s[8:9]
	s_mov_b64 s[8:9], -1
	s_mov_b64 s[6:7], 0
	global_store_byte v[0:1], v4, off
.LBB306_21:
	s_mov_b64 s[10:11], 0
.LBB306_22:
	s_and_b64 vcc, exec, s[10:11]
	s_cbranch_vccz .LBB306_25
; %bb.23:
	s_cmp_eq_u32 s15, 29
	s_mov_b64 s[6:7], -1
	s_cbranch_scc0 .LBB306_25
; %bb.24:
	s_mov_b32 s6, 0
	v_cndmask_b32_e64 v2, 0, 1, s[4:5]
	v_mov_b32_e32 v3, s6
	global_store_dwordx2 v[0:1], v[2:3], off
	s_mov_b64 s[8:9], -1
	s_mov_b64 s[6:7], 0
.LBB306_25:
	s_mov_b64 s[10:11], 0
.LBB306_26:
	s_and_b64 vcc, exec, s[10:11]
	s_cbranch_vccz .LBB306_42
; %bb.27:
	s_cmp_lt_i32 s15, 27
	s_mov_b64 s[8:9], -1
	s_cbranch_scc1 .LBB306_33
; %bb.28:
	s_cmp_gt_i32 s15, 27
	s_cbranch_scc0 .LBB306_30
; %bb.29:
	v_cndmask_b32_e64 v2, 0, 1, s[4:5]
	s_mov_b64 s[8:9], 0
	global_store_dword v[0:1], v2, off
.LBB306_30:
	s_andn2_b64 vcc, exec, s[8:9]
	s_cbranch_vccnz .LBB306_32
; %bb.31:
	v_cndmask_b32_e64 v2, 0, 1, s[4:5]
	global_store_short v[0:1], v2, off
.LBB306_32:
	s_mov_b64 s[8:9], 0
.LBB306_33:
	s_andn2_b64 vcc, exec, s[8:9]
	s_cbranch_vccnz .LBB306_41
; %bb.34:
	v_cndmask_b32_e64 v3, 0, 1.0, s[4:5]
	s_mov_b32 s8, 0x43800000
	v_cmp_gt_u32_e32 vcc, s8, v3
	v_mov_b32_e32 v4, 0x80
	s_and_saveexec_b64 s[8:9], vcc
	s_cbranch_execz .LBB306_40
; %bb.35:
	s_mov_b32 s10, 0x3bffffff
	v_cmp_lt_u32_e32 vcc, s10, v3
	s_mov_b64 s[10:11], 0
                                        ; implicit-def: $vgpr2
	s_and_saveexec_b64 s[12:13], vcc
	s_xor_b64 s[12:13], exec, s[12:13]
	s_cbranch_execz .LBB306_141
; %bb.36:
	v_bfe_u32 v2, v3, 20, 1
	s_mov_b32 s16, 0x487ffff
	v_add3_u32 v2, v3, v2, s16
	s_mov_b64 s[10:11], exec
	v_lshrrev_b32_e32 v2, 20, v2
                                        ; implicit-def: $vgpr3
	s_andn2_saveexec_b64 s[12:13], s[12:13]
	s_cbranch_execnz .LBB306_142
.LBB306_37:
	s_or_b64 exec, exec, s[12:13]
	v_mov_b32_e32 v4, 0
	s_and_saveexec_b64 s[12:13], s[10:11]
.LBB306_38:
	v_mov_b32_e32 v4, v2
.LBB306_39:
	s_or_b64 exec, exec, s[12:13]
.LBB306_40:
	s_or_b64 exec, exec, s[8:9]
	global_store_byte v[0:1], v4, off
.LBB306_41:
	s_mov_b64 s[8:9], -1
.LBB306_42:
	s_branch .LBB306_83
.LBB306_43:
	s_cmp_gt_i32 s15, 22
	s_mov_b64 s[10:11], -1
	s_cbranch_scc0 .LBB306_75
; %bb.44:
	s_cmp_lt_i32 s15, 24
	s_mov_b64 s[8:9], -1
	s_cbranch_scc1 .LBB306_64
; %bb.45:
	s_cmp_gt_i32 s15, 24
	s_cbranch_scc0 .LBB306_53
; %bb.46:
	v_cndmask_b32_e64 v3, 0, 1.0, s[4:5]
	s_mov_b32 s8, 0x47800000
	v_cmp_gt_u32_e32 vcc, s8, v3
	v_mov_b32_e32 v4, 0x80
	s_and_saveexec_b64 s[8:9], vcc
	s_cbranch_execz .LBB306_52
; %bb.47:
	s_mov_b32 s10, 0x37ffffff
	v_cmp_lt_u32_e32 vcc, s10, v3
	s_mov_b64 s[10:11], 0
                                        ; implicit-def: $vgpr2
	s_and_saveexec_b64 s[12:13], vcc
	s_xor_b64 s[12:13], exec, s[12:13]
	s_cbranch_execz .LBB306_144
; %bb.48:
	v_bfe_u32 v2, v3, 21, 1
	s_mov_b32 s16, 0x88fffff
	v_add3_u32 v2, v3, v2, s16
	s_mov_b64 s[10:11], exec
	v_lshrrev_b32_e32 v2, 21, v2
                                        ; implicit-def: $vgpr3
	s_andn2_saveexec_b64 s[12:13], s[12:13]
	s_cbranch_execnz .LBB306_145
.LBB306_49:
	s_or_b64 exec, exec, s[12:13]
	v_mov_b32_e32 v4, 0
	s_and_saveexec_b64 s[12:13], s[10:11]
.LBB306_50:
	v_mov_b32_e32 v4, v2
.LBB306_51:
	s_or_b64 exec, exec, s[12:13]
.LBB306_52:
	s_or_b64 exec, exec, s[8:9]
	s_mov_b64 s[8:9], 0
	global_store_byte v[0:1], v4, off
.LBB306_53:
	s_and_b64 vcc, exec, s[8:9]
	s_cbranch_vccz .LBB306_63
; %bb.54:
	v_cndmask_b32_e64 v2, 0, 1.0, s[4:5]
	s_mov_b32 s8, 0x43f00000
	v_cmp_gt_u32_e32 vcc, s8, v2
                                        ; implicit-def: $vgpr3
	s_and_saveexec_b64 s[8:9], vcc
	s_xor_b64 s[8:9], exec, s[8:9]
	s_cbranch_execz .LBB306_60
; %bb.55:
	s_mov_b32 s10, 0x3c7fffff
	v_cmp_lt_u32_e32 vcc, s10, v2
                                        ; implicit-def: $vgpr3
	s_and_saveexec_b64 s[10:11], vcc
	s_xor_b64 s[10:11], exec, s[10:11]
; %bb.56:
	v_bfe_u32 v3, v2, 20, 1
	s_mov_b32 s12, 0x407ffff
	v_add3_u32 v2, v2, v3, s12
	v_lshrrev_b32_e32 v3, 20, v2
	v_and_b32_e32 v2, 0xff00000, v2
	s_mov_b32 s12, 0x7f00000
	v_mov_b32_e32 v4, 0x7e
	v_cmp_ne_u32_e32 vcc, s12, v2
	v_cndmask_b32_e32 v3, v4, v3, vcc
                                        ; implicit-def: $vgpr2
; %bb.57:
	s_andn2_saveexec_b64 s[10:11], s[10:11]
; %bb.58:
	v_add_f32_e32 v3, 0x46800000, v2
; %bb.59:
	s_or_b64 exec, exec, s[10:11]
                                        ; implicit-def: $vgpr2
.LBB306_60:
	s_andn2_saveexec_b64 s[8:9], s[8:9]
; %bb.61:
	s_mov_b32 s10, 0x7f800000
	v_mov_b32_e32 v3, 0x7e
	v_mov_b32_e32 v4, 0x7f
	v_cmp_lt_u32_e32 vcc, s10, v2
	v_cndmask_b32_e32 v3, v3, v4, vcc
; %bb.62:
	s_or_b64 exec, exec, s[8:9]
	global_store_byte v[0:1], v3, off
.LBB306_63:
	s_mov_b64 s[8:9], 0
.LBB306_64:
	s_andn2_b64 vcc, exec, s[8:9]
	s_cbranch_vccnz .LBB306_74
; %bb.65:
	v_cndmask_b32_e64 v2, 0, 1.0, s[4:5]
	s_mov_b32 s8, 0x47800000
	v_cmp_gt_u32_e32 vcc, s8, v2
                                        ; implicit-def: $vgpr3
	s_and_saveexec_b64 s[8:9], vcc
	s_xor_b64 s[8:9], exec, s[8:9]
	s_cbranch_execz .LBB306_71
; %bb.66:
	s_mov_b32 s10, 0x387fffff
	v_cmp_lt_u32_e32 vcc, s10, v2
                                        ; implicit-def: $vgpr3
	s_and_saveexec_b64 s[10:11], vcc
	s_xor_b64 s[10:11], exec, s[10:11]
; %bb.67:
	v_bfe_u32 v3, v2, 21, 1
	s_mov_b32 s12, 0x80fffff
	v_add3_u32 v2, v2, v3, s12
	v_lshrrev_b32_e32 v3, 21, v2
                                        ; implicit-def: $vgpr2
; %bb.68:
	s_andn2_saveexec_b64 s[10:11], s[10:11]
; %bb.69:
	v_add_f32_e32 v3, 0x43000000, v2
; %bb.70:
	s_or_b64 exec, exec, s[10:11]
                                        ; implicit-def: $vgpr2
.LBB306_71:
	s_andn2_saveexec_b64 s[8:9], s[8:9]
; %bb.72:
	s_mov_b32 s10, 0x7f800000
	v_mov_b32_e32 v3, 0x7c
	v_mov_b32_e32 v4, 0x7f
	v_cmp_lt_u32_e32 vcc, s10, v2
	v_cndmask_b32_e32 v3, v3, v4, vcc
; %bb.73:
	s_or_b64 exec, exec, s[8:9]
	global_store_byte v[0:1], v3, off
.LBB306_74:
	s_mov_b64 s[10:11], 0
	s_mov_b64 s[8:9], -1
.LBB306_75:
	s_andn2_b64 vcc, exec, s[10:11]
	s_cbranch_vccnz .LBB306_83
; %bb.76:
	s_cmp_gt_i32 s15, 14
	s_mov_b64 s[10:11], -1
	s_cbranch_scc0 .LBB306_80
; %bb.77:
	s_cmp_eq_u32 s15, 15
	s_mov_b64 s[6:7], -1
	s_cbranch_scc0 .LBB306_79
; %bb.78:
	v_cndmask_b32_e64 v2, 0, 1.0, s[4:5]
	v_bfe_u32 v3, v2, 16, 1
	s_movk_i32 s6, 0x7fff
	v_add3_u32 v2, v2, v3, s6
	global_store_short_d16_hi v[0:1], v2, off
	s_mov_b64 s[8:9], -1
	s_mov_b64 s[6:7], 0
.LBB306_79:
	s_mov_b64 s[10:11], 0
.LBB306_80:
	s_and_b64 vcc, exec, s[10:11]
	s_cbranch_vccz .LBB306_83
; %bb.81:
	s_cmp_eq_u32 s15, 11
	s_mov_b64 s[6:7], -1
	s_cbranch_scc0 .LBB306_83
; %bb.82:
	v_cndmask_b32_e64 v2, 0, 1, s[4:5]
	s_mov_b64 s[8:9], -1
	s_mov_b64 s[6:7], 0
	global_store_byte v[0:1], v2, off
.LBB306_83:
	s_branch .LBB306_10
.LBB306_84:
	s_and_b32 s10, 0xffff, s14
	s_cmp_lt_i32 s10, 5
	s_mov_b64 s[8:9], -1
	s_cbranch_scc1 .LBB306_105
; %bb.85:
	s_cmp_lt_i32 s10, 8
	s_cbranch_scc1 .LBB306_95
; %bb.86:
	s_cmp_lt_i32 s10, 9
	s_cbranch_scc1 .LBB306_92
; %bb.87:
	s_cmp_gt_i32 s10, 9
	s_cbranch_scc0 .LBB306_89
; %bb.88:
	v_cndmask_b32_e64 v2, 0, 1, s[4:5]
	v_cvt_f64_u32_e32 v[2:3], v2
	v_mov_b32_e32 v4, 0
	v_mov_b32_e32 v5, v4
	s_mov_b64 s[8:9], 0
	global_store_dwordx4 v[0:1], v[2:5], off
.LBB306_89:
	s_andn2_b64 vcc, exec, s[8:9]
	s_cbranch_vccnz .LBB306_91
; %bb.90:
	v_cndmask_b32_e64 v2, 0, 1.0, s[4:5]
	v_mov_b32_e32 v3, 0
	global_store_dwordx2 v[0:1], v[2:3], off
.LBB306_91:
	s_mov_b64 s[8:9], 0
.LBB306_92:
	s_andn2_b64 vcc, exec, s[8:9]
	s_cbranch_vccnz .LBB306_94
; %bb.93:
	v_cndmask_b32_e64 v2, 0, 1.0, s[4:5]
	v_cvt_f16_f32_e32 v2, v2
	global_store_dword v[0:1], v2, off
.LBB306_94:
	s_mov_b64 s[8:9], 0
.LBB306_95:
	s_andn2_b64 vcc, exec, s[8:9]
	s_cbranch_vccnz .LBB306_104
; %bb.96:
	s_cmp_lt_i32 s10, 6
	s_mov_b64 s[8:9], -1
	s_cbranch_scc1 .LBB306_102
; %bb.97:
	s_cmp_gt_i32 s10, 6
	s_cbranch_scc0 .LBB306_99
; %bb.98:
	v_cndmask_b32_e64 v2, 0, 1, s[4:5]
	v_cvt_f64_u32_e32 v[2:3], v2
	s_mov_b64 s[8:9], 0
	global_store_dwordx2 v[0:1], v[2:3], off
.LBB306_99:
	s_andn2_b64 vcc, exec, s[8:9]
	s_cbranch_vccnz .LBB306_101
; %bb.100:
	v_cndmask_b32_e64 v2, 0, 1.0, s[4:5]
	global_store_dword v[0:1], v2, off
.LBB306_101:
	s_mov_b64 s[8:9], 0
.LBB306_102:
	s_andn2_b64 vcc, exec, s[8:9]
	s_cbranch_vccnz .LBB306_104
; %bb.103:
	v_cndmask_b32_e64 v2, 0, 1.0, s[4:5]
	v_cvt_f16_f32_e32 v2, v2
	global_store_short v[0:1], v2, off
.LBB306_104:
	s_mov_b64 s[8:9], 0
.LBB306_105:
	s_andn2_b64 vcc, exec, s[8:9]
	s_cbranch_vccnz .LBB306_121
; %bb.106:
	s_cmp_lt_i32 s10, 2
	s_mov_b64 s[8:9], -1
	s_cbranch_scc1 .LBB306_116
; %bb.107:
	s_cmp_lt_i32 s10, 3
	s_cbranch_scc1 .LBB306_113
; %bb.108:
	s_cmp_gt_i32 s10, 3
	s_cbranch_scc0 .LBB306_110
; %bb.109:
	s_mov_b32 s8, 0
	v_cndmask_b32_e64 v2, 0, 1, s[4:5]
	v_mov_b32_e32 v3, s8
	global_store_dwordx2 v[0:1], v[2:3], off
	s_mov_b64 s[8:9], 0
.LBB306_110:
	s_andn2_b64 vcc, exec, s[8:9]
	s_cbranch_vccnz .LBB306_112
; %bb.111:
	v_cndmask_b32_e64 v2, 0, 1, s[4:5]
	global_store_dword v[0:1], v2, off
.LBB306_112:
	s_mov_b64 s[8:9], 0
.LBB306_113:
	s_andn2_b64 vcc, exec, s[8:9]
	s_cbranch_vccnz .LBB306_115
; %bb.114:
	v_cndmask_b32_e64 v2, 0, 1, s[4:5]
	global_store_short v[0:1], v2, off
.LBB306_115:
	s_mov_b64 s[8:9], 0
.LBB306_116:
	s_andn2_b64 vcc, exec, s[8:9]
	s_cbranch_vccnz .LBB306_121
; %bb.117:
	s_mov_b64 s[8:9], -1
	s_cmp_gt_i32 s10, 0
	v_cndmask_b32_e64 v2, 0, 1, s[4:5]
	s_cbranch_scc0 .LBB306_119
; %bb.118:
	global_store_byte v[0:1], v2, off
	s_mov_b64 s[8:9], 0
.LBB306_119:
	s_andn2_b64 vcc, exec, s[8:9]
	s_cbranch_vccnz .LBB306_121
; %bb.120:
	global_store_byte v[0:1], v2, off
.LBB306_121:
	s_branch .LBB306_11
.LBB306_122:
	s_mov_b64 s[4:5], 0
                                        ; implicit-def: $vgpr10
.LBB306_123:
	s_and_b64 s[38:39], s[6:7], exec
	s_orn2_b64 s[4:5], s[4:5], exec
.LBB306_124:
	s_or_b64 exec, exec, s[50:51]
	s_mov_b64 s[8:9], 0
                                        ; implicit-def: $sgpr6_sgpr7
                                        ; implicit-def: $sgpr16
                                        ; implicit-def: $vgpr0_vgpr1
	s_and_saveexec_b64 s[50:51], s[4:5]
	s_cbranch_execz .LBB306_133
; %bb.125:
	v_cmp_gt_i32_e32 vcc, s60, v10
	s_mov_b64 s[10:11], -1
	s_mov_b64 s[52:53], s[38:39]
	s_and_saveexec_b64 s[54:55], vcc
	s_cbranch_execz .LBB306_256
; %bb.126:
	s_getpc_b64 s[4:5]
	s_add_u32 s4, s4, _ZN2at6native6invokeINS0_13AUnaryFunctorIN3c1015Float8_e4m3fnuzES4_bNS0_12_GLOBAL__N_116CompareEqFunctorIS4_EEEEi15function_traitsIS8_EEENT1_11result_typeERKT_PrKPcPKT0_PKNS3_10ScalarTypeEi@rel32@lo+4
	s_addc_u32 s5, s5, _ZN2at6native6invokeINS0_13AUnaryFunctorIN3c1015Float8_e4m3fnuzES4_bNS0_12_GLOBAL__N_116CompareEqFunctorIS4_EEEEi15function_traitsIS8_EEENT1_11result_typeERKT_PrKPcPKT0_PKNS3_10ScalarTypeEi@rel32@hi+12
	v_mov_b32_e32 v0, s46
	v_mov_b32_e32 v1, s48
	;; [unrolled: 1-line block ×7, first 2 shown]
	s_swappc_b64 s[30:31], s[4:5]
	v_and_b32_e32 v0, 1, v0
	v_cmp_eq_u32_e64 s[4:5], 1, v0
	v_mul_lo_u32 v0, v10, s44
	v_mov_b32_e32 v1, s41
	s_and_b32 s14, s49, 0xff
	s_cmp_lt_i32 s14, 11
	v_ashrrev_i32_e32 v2, 31, v0
	v_add_co_u32_e32 v0, vcc, s40, v0
	v_addc_co_u32_e32 v1, vcc, v1, v2, vcc
	s_cbranch_scc1 .LBB306_136
; %bb.127:
	s_and_b32 s15, 0xffff, s14
	s_cmp_gt_i32 s15, 25
	s_cbranch_scc0 .LBB306_139
; %bb.128:
	s_cmp_gt_i32 s15, 28
	s_cbranch_scc0 .LBB306_140
; %bb.129:
	;; [unrolled: 3-line block ×4, first 2 shown]
	s_mov_b64 s[10:11], 0
	s_mov_b64 s[6:7], -1
	s_cmp_eq_u32 s15, 46
	s_mov_b64 s[8:9], 0
	s_cbranch_scc0 .LBB306_147
; %bb.132:
	v_cndmask_b32_e64 v2, 0, 1.0, s[4:5]
	v_bfe_u32 v3, v2, 16, 1
	s_movk_i32 s6, 0x7fff
	v_add3_u32 v2, v2, v3, s6
	v_lshrrev_b32_e32 v2, 16, v2
	global_store_dword v[0:1], v2, off
	s_mov_b64 s[8:9], -1
	s_mov_b64 s[6:7], 0
	s_branch .LBB306_147
.LBB306_133:
	s_or_b64 exec, exec, s[50:51]
	s_mov_b64 s[4:5], 0
	s_and_saveexec_b64 s[10:11], s[38:39]
	s_cbranch_execnz .LBB306_468
.LBB306_134:
	s_or_b64 exec, exec, s[10:11]
	s_and_saveexec_b64 s[10:11], s[54:55]
	s_xor_b64 s[10:11], exec, s[10:11]
	s_cbranch_execz .LBB306_469
.LBB306_135:
	v_cndmask_b32_e64 v2, 0, 1, s[6:7]
	global_store_byte v[0:1], v2, off
	s_or_b64 exec, exec, s[10:11]
	s_and_saveexec_b64 s[10:11], s[8:9]
	s_xor_b64 s[8:9], exec, s[10:11]
	s_cbranch_execz .LBB306_507
	s_branch .LBB306_470
.LBB306_136:
	s_mov_b64 s[8:9], 0
	s_mov_b64 s[6:7], s[38:39]
	s_cbranch_execnz .LBB306_216
.LBB306_137:
	s_andn2_b64 vcc, exec, s[8:9]
	s_cbranch_vccnz .LBB306_254
.LBB306_138:
	v_add_u32_e32 v10, 0x80, v10
	s_mov_b64 s[4:5], -1
	s_branch .LBB306_255
.LBB306_139:
	s_mov_b64 s[10:11], -1
	s_mov_b64 s[8:9], 0
	s_mov_b64 s[6:7], s[38:39]
	s_branch .LBB306_174
.LBB306_140:
	s_mov_b64 s[10:11], -1
	s_mov_b64 s[8:9], 0
	s_mov_b64 s[6:7], s[38:39]
	s_branch .LBB306_157
.LBB306_141:
	s_andn2_saveexec_b64 s[12:13], s[12:13]
	s_cbranch_execz .LBB306_37
.LBB306_142:
	v_add_f32_e32 v2, 0x46000000, v3
	v_and_b32_e32 v2, 0xff, v2
	v_cmp_ne_u32_e32 vcc, 0, v2
	s_andn2_b64 s[10:11], s[10:11], exec
	s_and_b64 s[16:17], vcc, exec
	s_or_b64 s[10:11], s[10:11], s[16:17]
	s_or_b64 exec, exec, s[12:13]
	v_mov_b32_e32 v4, 0
	s_and_saveexec_b64 s[12:13], s[10:11]
	s_cbranch_execnz .LBB306_38
	s_branch .LBB306_39
.LBB306_143:
	s_mov_b64 s[10:11], -1
	s_mov_b64 s[8:9], 0
	s_mov_b64 s[6:7], s[38:39]
	s_branch .LBB306_153
.LBB306_144:
	s_andn2_saveexec_b64 s[12:13], s[12:13]
	s_cbranch_execz .LBB306_49
.LBB306_145:
	v_add_f32_e32 v2, 0x42800000, v3
	v_and_b32_e32 v2, 0xff, v2
	v_cmp_ne_u32_e32 vcc, 0, v2
	s_andn2_b64 s[10:11], s[10:11], exec
	s_and_b64 s[16:17], vcc, exec
	s_or_b64 s[10:11], s[10:11], s[16:17]
	s_or_b64 exec, exec, s[12:13]
	v_mov_b32_e32 v4, 0
	s_and_saveexec_b64 s[12:13], s[10:11]
	s_cbranch_execnz .LBB306_50
	s_branch .LBB306_51
.LBB306_146:
	s_mov_b64 s[10:11], -1
	s_mov_b64 s[8:9], 0
	s_mov_b64 s[6:7], s[38:39]
.LBB306_147:
	s_and_b64 vcc, exec, s[10:11]
	s_cbranch_vccz .LBB306_152
; %bb.148:
	s_cmp_eq_u32 s15, 44
	s_mov_b64 s[6:7], -1
	s_cbranch_scc0 .LBB306_152
; %bb.149:
	v_cndmask_b32_e64 v3, 0, 1.0, s[4:5]
	v_lshrrev_b32_e32 v2, 23, v3
	s_movk_i32 s6, 0xff
	v_cmp_ne_u32_e32 vcc, s6, v2
	v_mov_b32_e32 v4, 0xff
	s_and_saveexec_b64 s[8:9], vcc
; %bb.150:
	s_mov_b32 s6, 0x3fffff
	v_and_b32_e32 v4, 0x400000, v3
	v_and_or_b32 v3, v3, s6, v2
	v_cmp_ne_u32_e32 vcc, 0, v4
	v_cmp_ne_u32_e64 s[6:7], 0, v3
	s_and_b64 s[6:7], vcc, s[6:7]
	v_cndmask_b32_e64 v3, 0, 1, s[6:7]
	v_add_u32_e32 v4, v2, v3
; %bb.151:
	s_or_b64 exec, exec, s[8:9]
	s_mov_b64 s[8:9], -1
	s_mov_b64 s[6:7], 0
	global_store_byte v[0:1], v4, off
.LBB306_152:
	s_mov_b64 s[10:11], 0
.LBB306_153:
	s_and_b64 vcc, exec, s[10:11]
	s_cbranch_vccz .LBB306_156
; %bb.154:
	s_cmp_eq_u32 s15, 29
	s_mov_b64 s[6:7], -1
	s_cbranch_scc0 .LBB306_156
; %bb.155:
	s_mov_b32 s6, 0
	v_cndmask_b32_e64 v2, 0, 1, s[4:5]
	v_mov_b32_e32 v3, s6
	global_store_dwordx2 v[0:1], v[2:3], off
	s_mov_b64 s[8:9], -1
	s_mov_b64 s[6:7], 0
.LBB306_156:
	s_mov_b64 s[10:11], 0
.LBB306_157:
	s_and_b64 vcc, exec, s[10:11]
	s_cbranch_vccz .LBB306_173
; %bb.158:
	s_cmp_lt_i32 s15, 27
	s_mov_b64 s[8:9], -1
	s_cbranch_scc1 .LBB306_164
; %bb.159:
	s_cmp_gt_i32 s15, 27
	s_cbranch_scc0 .LBB306_161
; %bb.160:
	v_cndmask_b32_e64 v2, 0, 1, s[4:5]
	s_mov_b64 s[8:9], 0
	global_store_dword v[0:1], v2, off
.LBB306_161:
	s_andn2_b64 vcc, exec, s[8:9]
	s_cbranch_vccnz .LBB306_163
; %bb.162:
	v_cndmask_b32_e64 v2, 0, 1, s[4:5]
	global_store_short v[0:1], v2, off
.LBB306_163:
	s_mov_b64 s[8:9], 0
.LBB306_164:
	s_andn2_b64 vcc, exec, s[8:9]
	s_cbranch_vccnz .LBB306_172
; %bb.165:
	v_cndmask_b32_e64 v3, 0, 1.0, s[4:5]
	s_mov_b32 s8, 0x43800000
	v_cmp_gt_u32_e32 vcc, s8, v3
	v_mov_b32_e32 v4, 0x80
	s_and_saveexec_b64 s[8:9], vcc
	s_cbranch_execz .LBB306_171
; %bb.166:
	s_mov_b32 s10, 0x3bffffff
	v_cmp_lt_u32_e32 vcc, s10, v3
	s_mov_b64 s[10:11], 0
                                        ; implicit-def: $vgpr2
	s_and_saveexec_b64 s[12:13], vcc
	s_xor_b64 s[12:13], exec, s[12:13]
	s_cbranch_execz .LBB306_268
; %bb.167:
	v_bfe_u32 v2, v3, 20, 1
	s_mov_b32 s16, 0x487ffff
	v_add3_u32 v2, v3, v2, s16
	s_mov_b64 s[10:11], exec
	v_lshrrev_b32_e32 v2, 20, v2
                                        ; implicit-def: $vgpr3
	s_andn2_saveexec_b64 s[12:13], s[12:13]
	s_cbranch_execnz .LBB306_269
.LBB306_168:
	s_or_b64 exec, exec, s[12:13]
	v_mov_b32_e32 v4, 0
	s_and_saveexec_b64 s[12:13], s[10:11]
.LBB306_169:
	v_mov_b32_e32 v4, v2
.LBB306_170:
	s_or_b64 exec, exec, s[12:13]
.LBB306_171:
	s_or_b64 exec, exec, s[8:9]
	global_store_byte v[0:1], v4, off
.LBB306_172:
	s_mov_b64 s[8:9], -1
.LBB306_173:
	s_mov_b64 s[10:11], 0
.LBB306_174:
	s_and_b64 vcc, exec, s[10:11]
	s_cbranch_vccz .LBB306_215
; %bb.175:
	s_cmp_gt_i32 s15, 22
	s_mov_b64 s[10:11], -1
	s_cbranch_scc0 .LBB306_207
; %bb.176:
	s_cmp_lt_i32 s15, 24
	s_mov_b64 s[8:9], -1
	s_cbranch_scc1 .LBB306_196
; %bb.177:
	s_cmp_gt_i32 s15, 24
	s_cbranch_scc0 .LBB306_185
; %bb.178:
	v_cndmask_b32_e64 v3, 0, 1.0, s[4:5]
	s_mov_b32 s8, 0x47800000
	v_cmp_gt_u32_e32 vcc, s8, v3
	v_mov_b32_e32 v4, 0x80
	s_and_saveexec_b64 s[8:9], vcc
	s_cbranch_execz .LBB306_184
; %bb.179:
	s_mov_b32 s10, 0x37ffffff
	v_cmp_lt_u32_e32 vcc, s10, v3
	s_mov_b64 s[10:11], 0
                                        ; implicit-def: $vgpr2
	s_and_saveexec_b64 s[12:13], vcc
	s_xor_b64 s[12:13], exec, s[12:13]
	s_cbranch_execz .LBB306_271
; %bb.180:
	v_bfe_u32 v2, v3, 21, 1
	s_mov_b32 s16, 0x88fffff
	v_add3_u32 v2, v3, v2, s16
	s_mov_b64 s[10:11], exec
	v_lshrrev_b32_e32 v2, 21, v2
                                        ; implicit-def: $vgpr3
	s_andn2_saveexec_b64 s[12:13], s[12:13]
	s_cbranch_execnz .LBB306_272
.LBB306_181:
	s_or_b64 exec, exec, s[12:13]
	v_mov_b32_e32 v4, 0
	s_and_saveexec_b64 s[12:13], s[10:11]
.LBB306_182:
	v_mov_b32_e32 v4, v2
.LBB306_183:
	s_or_b64 exec, exec, s[12:13]
.LBB306_184:
	s_or_b64 exec, exec, s[8:9]
	s_mov_b64 s[8:9], 0
	global_store_byte v[0:1], v4, off
.LBB306_185:
	s_and_b64 vcc, exec, s[8:9]
	s_cbranch_vccz .LBB306_195
; %bb.186:
	v_cndmask_b32_e64 v2, 0, 1.0, s[4:5]
	s_mov_b32 s8, 0x43f00000
	v_cmp_gt_u32_e32 vcc, s8, v2
                                        ; implicit-def: $vgpr3
	s_and_saveexec_b64 s[8:9], vcc
	s_xor_b64 s[8:9], exec, s[8:9]
	s_cbranch_execz .LBB306_192
; %bb.187:
	s_mov_b32 s10, 0x3c7fffff
	v_cmp_lt_u32_e32 vcc, s10, v2
                                        ; implicit-def: $vgpr3
	s_and_saveexec_b64 s[10:11], vcc
	s_xor_b64 s[10:11], exec, s[10:11]
; %bb.188:
	v_bfe_u32 v3, v2, 20, 1
	s_mov_b32 s12, 0x407ffff
	v_add3_u32 v2, v2, v3, s12
	v_lshrrev_b32_e32 v3, 20, v2
	v_and_b32_e32 v2, 0xff00000, v2
	s_mov_b32 s12, 0x7f00000
	v_mov_b32_e32 v4, 0x7e
	v_cmp_ne_u32_e32 vcc, s12, v2
	v_cndmask_b32_e32 v3, v4, v3, vcc
                                        ; implicit-def: $vgpr2
; %bb.189:
	s_andn2_saveexec_b64 s[10:11], s[10:11]
; %bb.190:
	v_add_f32_e32 v3, 0x46800000, v2
; %bb.191:
	s_or_b64 exec, exec, s[10:11]
                                        ; implicit-def: $vgpr2
.LBB306_192:
	s_andn2_saveexec_b64 s[8:9], s[8:9]
; %bb.193:
	s_mov_b32 s10, 0x7f800000
	v_mov_b32_e32 v3, 0x7e
	v_mov_b32_e32 v4, 0x7f
	v_cmp_lt_u32_e32 vcc, s10, v2
	v_cndmask_b32_e32 v3, v3, v4, vcc
; %bb.194:
	s_or_b64 exec, exec, s[8:9]
	global_store_byte v[0:1], v3, off
.LBB306_195:
	s_mov_b64 s[8:9], 0
.LBB306_196:
	s_andn2_b64 vcc, exec, s[8:9]
	s_cbranch_vccnz .LBB306_206
; %bb.197:
	v_cndmask_b32_e64 v2, 0, 1.0, s[4:5]
	s_mov_b32 s8, 0x47800000
	v_cmp_gt_u32_e32 vcc, s8, v2
                                        ; implicit-def: $vgpr3
	s_and_saveexec_b64 s[8:9], vcc
	s_xor_b64 s[8:9], exec, s[8:9]
	s_cbranch_execz .LBB306_203
; %bb.198:
	s_mov_b32 s10, 0x387fffff
	v_cmp_lt_u32_e32 vcc, s10, v2
                                        ; implicit-def: $vgpr3
	s_and_saveexec_b64 s[10:11], vcc
	s_xor_b64 s[10:11], exec, s[10:11]
; %bb.199:
	v_bfe_u32 v3, v2, 21, 1
	s_mov_b32 s12, 0x80fffff
	v_add3_u32 v2, v2, v3, s12
	v_lshrrev_b32_e32 v3, 21, v2
                                        ; implicit-def: $vgpr2
; %bb.200:
	s_andn2_saveexec_b64 s[10:11], s[10:11]
; %bb.201:
	v_add_f32_e32 v3, 0x43000000, v2
; %bb.202:
	s_or_b64 exec, exec, s[10:11]
                                        ; implicit-def: $vgpr2
.LBB306_203:
	s_andn2_saveexec_b64 s[8:9], s[8:9]
; %bb.204:
	s_mov_b32 s10, 0x7f800000
	v_mov_b32_e32 v3, 0x7c
	v_mov_b32_e32 v4, 0x7f
	v_cmp_lt_u32_e32 vcc, s10, v2
	v_cndmask_b32_e32 v3, v3, v4, vcc
; %bb.205:
	s_or_b64 exec, exec, s[8:9]
	global_store_byte v[0:1], v3, off
.LBB306_206:
	s_mov_b64 s[10:11], 0
	s_mov_b64 s[8:9], -1
.LBB306_207:
	s_andn2_b64 vcc, exec, s[10:11]
	s_cbranch_vccnz .LBB306_215
; %bb.208:
	s_cmp_gt_i32 s15, 14
	s_mov_b64 s[10:11], -1
	s_cbranch_scc0 .LBB306_212
; %bb.209:
	s_cmp_eq_u32 s15, 15
	s_mov_b64 s[6:7], -1
	s_cbranch_scc0 .LBB306_211
; %bb.210:
	v_cndmask_b32_e64 v2, 0, 1.0, s[4:5]
	v_bfe_u32 v3, v2, 16, 1
	s_movk_i32 s6, 0x7fff
	v_add3_u32 v2, v2, v3, s6
	global_store_short_d16_hi v[0:1], v2, off
	s_mov_b64 s[8:9], -1
	s_mov_b64 s[6:7], 0
.LBB306_211:
	s_mov_b64 s[10:11], 0
.LBB306_212:
	s_and_b64 vcc, exec, s[10:11]
	s_cbranch_vccz .LBB306_215
; %bb.213:
	s_cmp_eq_u32 s15, 11
	s_mov_b64 s[6:7], -1
	s_cbranch_scc0 .LBB306_215
; %bb.214:
	v_cndmask_b32_e64 v2, 0, 1, s[4:5]
	s_mov_b64 s[8:9], -1
	s_mov_b64 s[6:7], 0
	global_store_byte v[0:1], v2, off
.LBB306_215:
	s_branch .LBB306_137
.LBB306_216:
	s_and_b32 s10, 0xffff, s14
	s_cmp_lt_i32 s10, 5
	s_mov_b64 s[8:9], -1
	s_cbranch_scc1 .LBB306_237
; %bb.217:
	s_cmp_lt_i32 s10, 8
	s_cbranch_scc1 .LBB306_227
; %bb.218:
	s_cmp_lt_i32 s10, 9
	s_cbranch_scc1 .LBB306_224
; %bb.219:
	s_cmp_gt_i32 s10, 9
	s_cbranch_scc0 .LBB306_221
; %bb.220:
	v_cndmask_b32_e64 v2, 0, 1, s[4:5]
	v_cvt_f64_u32_e32 v[2:3], v2
	v_mov_b32_e32 v4, 0
	v_mov_b32_e32 v5, v4
	s_mov_b64 s[8:9], 0
	global_store_dwordx4 v[0:1], v[2:5], off
.LBB306_221:
	s_andn2_b64 vcc, exec, s[8:9]
	s_cbranch_vccnz .LBB306_223
; %bb.222:
	v_cndmask_b32_e64 v2, 0, 1.0, s[4:5]
	v_mov_b32_e32 v3, 0
	global_store_dwordx2 v[0:1], v[2:3], off
.LBB306_223:
	s_mov_b64 s[8:9], 0
.LBB306_224:
	s_andn2_b64 vcc, exec, s[8:9]
	s_cbranch_vccnz .LBB306_226
; %bb.225:
	v_cndmask_b32_e64 v2, 0, 1.0, s[4:5]
	v_cvt_f16_f32_e32 v2, v2
	global_store_dword v[0:1], v2, off
.LBB306_226:
	s_mov_b64 s[8:9], 0
.LBB306_227:
	s_andn2_b64 vcc, exec, s[8:9]
	s_cbranch_vccnz .LBB306_236
; %bb.228:
	s_cmp_lt_i32 s10, 6
	s_mov_b64 s[8:9], -1
	s_cbranch_scc1 .LBB306_234
; %bb.229:
	s_cmp_gt_i32 s10, 6
	s_cbranch_scc0 .LBB306_231
; %bb.230:
	v_cndmask_b32_e64 v2, 0, 1, s[4:5]
	v_cvt_f64_u32_e32 v[2:3], v2
	s_mov_b64 s[8:9], 0
	global_store_dwordx2 v[0:1], v[2:3], off
.LBB306_231:
	s_andn2_b64 vcc, exec, s[8:9]
	s_cbranch_vccnz .LBB306_233
; %bb.232:
	v_cndmask_b32_e64 v2, 0, 1.0, s[4:5]
	global_store_dword v[0:1], v2, off
.LBB306_233:
	s_mov_b64 s[8:9], 0
.LBB306_234:
	s_andn2_b64 vcc, exec, s[8:9]
	s_cbranch_vccnz .LBB306_236
; %bb.235:
	v_cndmask_b32_e64 v2, 0, 1.0, s[4:5]
	v_cvt_f16_f32_e32 v2, v2
	global_store_short v[0:1], v2, off
.LBB306_236:
	s_mov_b64 s[8:9], 0
.LBB306_237:
	s_andn2_b64 vcc, exec, s[8:9]
	s_cbranch_vccnz .LBB306_253
; %bb.238:
	s_cmp_lt_i32 s10, 2
	s_mov_b64 s[8:9], -1
	s_cbranch_scc1 .LBB306_248
; %bb.239:
	s_cmp_lt_i32 s10, 3
	s_cbranch_scc1 .LBB306_245
; %bb.240:
	s_cmp_gt_i32 s10, 3
	s_cbranch_scc0 .LBB306_242
; %bb.241:
	s_mov_b32 s8, 0
	v_cndmask_b32_e64 v2, 0, 1, s[4:5]
	v_mov_b32_e32 v3, s8
	s_mov_b64 s[8:9], 0
	global_store_dwordx2 v[0:1], v[2:3], off
.LBB306_242:
	s_andn2_b64 vcc, exec, s[8:9]
	s_cbranch_vccnz .LBB306_244
; %bb.243:
	v_cndmask_b32_e64 v2, 0, 1, s[4:5]
	global_store_dword v[0:1], v2, off
.LBB306_244:
	s_mov_b64 s[8:9], 0
.LBB306_245:
	s_andn2_b64 vcc, exec, s[8:9]
	s_cbranch_vccnz .LBB306_247
; %bb.246:
	v_cndmask_b32_e64 v2, 0, 1, s[4:5]
	global_store_short v[0:1], v2, off
.LBB306_247:
	s_mov_b64 s[8:9], 0
.LBB306_248:
	s_andn2_b64 vcc, exec, s[8:9]
	s_cbranch_vccnz .LBB306_253
; %bb.249:
	s_mov_b64 s[8:9], -1
	s_cmp_gt_i32 s10, 0
	v_cndmask_b32_e64 v2, 0, 1, s[4:5]
	s_cbranch_scc0 .LBB306_251
; %bb.250:
	s_mov_b64 s[8:9], 0
	global_store_byte v[0:1], v2, off
.LBB306_251:
	s_andn2_b64 vcc, exec, s[8:9]
	s_cbranch_vccnz .LBB306_253
; %bb.252:
	global_store_byte v[0:1], v2, off
.LBB306_253:
	s_branch .LBB306_138
.LBB306_254:
	s_mov_b64 s[4:5], 0
                                        ; implicit-def: $vgpr10
.LBB306_255:
	s_andn2_b64 s[8:9], s[38:39], exec
	s_and_b64 s[6:7], s[6:7], exec
	s_or_b64 s[52:53], s[8:9], s[6:7]
	s_orn2_b64 s[10:11], s[4:5], exec
.LBB306_256:
	s_or_b64 exec, exec, s[54:55]
	s_mov_b64 s[4:5], 0
	s_mov_b64 s[8:9], 0
                                        ; implicit-def: $sgpr6_sgpr7
                                        ; implicit-def: $sgpr16
                                        ; implicit-def: $vgpr0_vgpr1
	s_and_saveexec_b64 s[54:55], s[10:11]
	s_cbranch_execz .LBB306_467
; %bb.257:
	v_cmp_gt_i32_e32 vcc, s60, v10
	s_mov_b64 s[8:9], -1
	s_mov_b64 s[58:59], s[52:53]
	s_and_saveexec_b64 s[56:57], vcc
	s_cbranch_execz .LBB306_386
; %bb.258:
	s_getpc_b64 s[4:5]
	s_add_u32 s4, s4, _ZN2at6native6invokeINS0_13AUnaryFunctorIN3c1015Float8_e4m3fnuzES4_bNS0_12_GLOBAL__N_116CompareEqFunctorIS4_EEEEi15function_traitsIS8_EEENT1_11result_typeERKT_PrKPcPKT0_PKNS3_10ScalarTypeEi@rel32@lo+4
	s_addc_u32 s5, s5, _ZN2at6native6invokeINS0_13AUnaryFunctorIN3c1015Float8_e4m3fnuzES4_bNS0_12_GLOBAL__N_116CompareEqFunctorIS4_EEEEi15function_traitsIS8_EEENT1_11result_typeERKT_PrKPcPKT0_PKNS3_10ScalarTypeEi@rel32@hi+12
	v_mov_b32_e32 v0, s46
	v_mov_b32_e32 v1, s48
	;; [unrolled: 1-line block ×7, first 2 shown]
	s_swappc_b64 s[30:31], s[4:5]
	v_and_b32_e32 v0, 1, v0
	v_cmp_eq_u32_e64 s[4:5], 1, v0
	v_mul_lo_u32 v0, v10, s44
	v_mov_b32_e32 v1, s41
	s_and_b32 s14, s49, 0xff
	s_cmp_lt_i32 s14, 11
	v_ashrrev_i32_e32 v2, 31, v0
	v_add_co_u32_e32 v0, vcc, s40, v0
	v_addc_co_u32_e32 v1, vcc, v1, v2, vcc
	s_cbranch_scc1 .LBB306_265
; %bb.259:
	s_and_b32 s15, 0xffff, s14
	s_cmp_gt_i32 s15, 25
	s_cbranch_scc0 .LBB306_266
; %bb.260:
	s_cmp_gt_i32 s15, 28
	s_cbranch_scc0 .LBB306_267
; %bb.261:
	;; [unrolled: 3-line block ×4, first 2 shown]
	s_mov_b64 s[10:11], 0
	s_mov_b64 s[6:7], -1
	s_cmp_eq_u32 s15, 46
	s_mov_b64 s[8:9], 0
	s_cbranch_scc0 .LBB306_274
; %bb.264:
	v_cndmask_b32_e64 v2, 0, 1.0, s[4:5]
	v_bfe_u32 v3, v2, 16, 1
	s_movk_i32 s6, 0x7fff
	v_add3_u32 v2, v2, v3, s6
	v_lshrrev_b32_e32 v2, 16, v2
	global_store_dword v[0:1], v2, off
	s_mov_b64 s[8:9], -1
	s_mov_b64 s[6:7], 0
	s_branch .LBB306_274
.LBB306_265:
	s_mov_b64 s[10:11], -1
	s_mov_b64 s[8:9], 0
	s_mov_b64 s[6:7], s[52:53]
	s_branch .LBB306_343
.LBB306_266:
	s_mov_b64 s[10:11], -1
	s_mov_b64 s[8:9], 0
	s_mov_b64 s[6:7], s[52:53]
	s_branch .LBB306_301
.LBB306_267:
	s_mov_b64 s[10:11], -1
	s_mov_b64 s[8:9], 0
	s_mov_b64 s[6:7], s[52:53]
	s_branch .LBB306_284
.LBB306_268:
	s_andn2_saveexec_b64 s[12:13], s[12:13]
	s_cbranch_execz .LBB306_168
.LBB306_269:
	v_add_f32_e32 v2, 0x46000000, v3
	v_and_b32_e32 v2, 0xff, v2
	v_cmp_ne_u32_e32 vcc, 0, v2
	s_andn2_b64 s[10:11], s[10:11], exec
	s_and_b64 s[16:17], vcc, exec
	s_or_b64 s[10:11], s[10:11], s[16:17]
	s_or_b64 exec, exec, s[12:13]
	v_mov_b32_e32 v4, 0
	s_and_saveexec_b64 s[12:13], s[10:11]
	s_cbranch_execnz .LBB306_169
	s_branch .LBB306_170
.LBB306_270:
	s_mov_b64 s[10:11], -1
	s_mov_b64 s[8:9], 0
	s_mov_b64 s[6:7], s[52:53]
	s_branch .LBB306_280
.LBB306_271:
	s_andn2_saveexec_b64 s[12:13], s[12:13]
	s_cbranch_execz .LBB306_181
.LBB306_272:
	v_add_f32_e32 v2, 0x42800000, v3
	v_and_b32_e32 v2, 0xff, v2
	v_cmp_ne_u32_e32 vcc, 0, v2
	s_andn2_b64 s[10:11], s[10:11], exec
	s_and_b64 s[16:17], vcc, exec
	s_or_b64 s[10:11], s[10:11], s[16:17]
	s_or_b64 exec, exec, s[12:13]
	v_mov_b32_e32 v4, 0
	s_and_saveexec_b64 s[12:13], s[10:11]
	s_cbranch_execnz .LBB306_182
	s_branch .LBB306_183
.LBB306_273:
	s_mov_b64 s[10:11], -1
	s_mov_b64 s[8:9], 0
	s_mov_b64 s[6:7], s[52:53]
.LBB306_274:
	s_and_b64 vcc, exec, s[10:11]
	s_cbranch_vccz .LBB306_279
; %bb.275:
	s_cmp_eq_u32 s15, 44
	s_mov_b64 s[6:7], -1
	s_cbranch_scc0 .LBB306_279
; %bb.276:
	v_cndmask_b32_e64 v3, 0, 1.0, s[4:5]
	v_lshrrev_b32_e32 v2, 23, v3
	s_movk_i32 s6, 0xff
	v_cmp_ne_u32_e32 vcc, s6, v2
	v_mov_b32_e32 v4, 0xff
	s_and_saveexec_b64 s[8:9], vcc
; %bb.277:
	s_mov_b32 s6, 0x3fffff
	v_and_b32_e32 v4, 0x400000, v3
	v_and_or_b32 v3, v3, s6, v2
	v_cmp_ne_u32_e32 vcc, 0, v4
	v_cmp_ne_u32_e64 s[6:7], 0, v3
	s_and_b64 s[6:7], vcc, s[6:7]
	v_cndmask_b32_e64 v3, 0, 1, s[6:7]
	v_add_u32_e32 v4, v2, v3
; %bb.278:
	s_or_b64 exec, exec, s[8:9]
	s_mov_b64 s[8:9], -1
	s_mov_b64 s[6:7], 0
	global_store_byte v[0:1], v4, off
.LBB306_279:
	s_mov_b64 s[10:11], 0
.LBB306_280:
	s_and_b64 vcc, exec, s[10:11]
	s_cbranch_vccz .LBB306_283
; %bb.281:
	s_cmp_eq_u32 s15, 29
	s_mov_b64 s[6:7], -1
	s_cbranch_scc0 .LBB306_283
; %bb.282:
	s_mov_b32 s6, 0
	v_cndmask_b32_e64 v2, 0, 1, s[4:5]
	v_mov_b32_e32 v3, s6
	global_store_dwordx2 v[0:1], v[2:3], off
	s_mov_b64 s[8:9], -1
	s_mov_b64 s[6:7], 0
.LBB306_283:
	s_mov_b64 s[10:11], 0
.LBB306_284:
	s_and_b64 vcc, exec, s[10:11]
	s_cbranch_vccz .LBB306_300
; %bb.285:
	s_cmp_lt_i32 s15, 27
	s_mov_b64 s[8:9], -1
	s_cbranch_scc1 .LBB306_291
; %bb.286:
	s_cmp_gt_i32 s15, 27
	s_cbranch_scc0 .LBB306_288
; %bb.287:
	v_cndmask_b32_e64 v2, 0, 1, s[4:5]
	s_mov_b64 s[8:9], 0
	global_store_dword v[0:1], v2, off
.LBB306_288:
	s_andn2_b64 vcc, exec, s[8:9]
	s_cbranch_vccnz .LBB306_290
; %bb.289:
	v_cndmask_b32_e64 v2, 0, 1, s[4:5]
	global_store_short v[0:1], v2, off
.LBB306_290:
	s_mov_b64 s[8:9], 0
.LBB306_291:
	s_andn2_b64 vcc, exec, s[8:9]
	s_cbranch_vccnz .LBB306_299
; %bb.292:
	v_cndmask_b32_e64 v3, 0, 1.0, s[4:5]
	s_mov_b32 s8, 0x43800000
	v_cmp_gt_u32_e32 vcc, s8, v3
	v_mov_b32_e32 v4, 0x80
	s_and_saveexec_b64 s[8:9], vcc
	s_cbranch_execz .LBB306_298
; %bb.293:
	s_mov_b32 s10, 0x3bffffff
	v_cmp_lt_u32_e32 vcc, s10, v3
	s_mov_b64 s[10:11], 0
                                        ; implicit-def: $vgpr2
	s_and_saveexec_b64 s[12:13], vcc
	s_xor_b64 s[12:13], exec, s[12:13]
	s_cbranch_execz .LBB306_998
; %bb.294:
	v_bfe_u32 v2, v3, 20, 1
	s_mov_b32 s16, 0x487ffff
	v_add3_u32 v2, v3, v2, s16
	s_mov_b64 s[10:11], exec
	v_lshrrev_b32_e32 v2, 20, v2
                                        ; implicit-def: $vgpr3
	s_andn2_saveexec_b64 s[12:13], s[12:13]
	s_cbranch_execnz .LBB306_999
.LBB306_295:
	s_or_b64 exec, exec, s[12:13]
	v_mov_b32_e32 v4, 0
	s_and_saveexec_b64 s[12:13], s[10:11]
.LBB306_296:
	v_mov_b32_e32 v4, v2
.LBB306_297:
	s_or_b64 exec, exec, s[12:13]
.LBB306_298:
	s_or_b64 exec, exec, s[8:9]
	global_store_byte v[0:1], v4, off
.LBB306_299:
	s_mov_b64 s[8:9], -1
.LBB306_300:
	s_mov_b64 s[10:11], 0
.LBB306_301:
	s_and_b64 vcc, exec, s[10:11]
	s_cbranch_vccz .LBB306_342
; %bb.302:
	s_cmp_gt_i32 s15, 22
	s_mov_b64 s[10:11], -1
	s_cbranch_scc0 .LBB306_334
; %bb.303:
	s_cmp_lt_i32 s15, 24
	s_mov_b64 s[8:9], -1
	s_cbranch_scc1 .LBB306_323
; %bb.304:
	s_cmp_gt_i32 s15, 24
	s_cbranch_scc0 .LBB306_312
; %bb.305:
	v_cndmask_b32_e64 v3, 0, 1.0, s[4:5]
	s_mov_b32 s8, 0x47800000
	v_cmp_gt_u32_e32 vcc, s8, v3
	v_mov_b32_e32 v4, 0x80
	s_and_saveexec_b64 s[8:9], vcc
	s_cbranch_execz .LBB306_311
; %bb.306:
	s_mov_b32 s10, 0x37ffffff
	v_cmp_lt_u32_e32 vcc, s10, v3
	s_mov_b64 s[10:11], 0
                                        ; implicit-def: $vgpr2
	s_and_saveexec_b64 s[12:13], vcc
	s_xor_b64 s[12:13], exec, s[12:13]
	s_cbranch_execz .LBB306_1005
; %bb.307:
	v_bfe_u32 v2, v3, 21, 1
	s_mov_b32 s16, 0x88fffff
	v_add3_u32 v2, v3, v2, s16
	s_mov_b64 s[10:11], exec
	v_lshrrev_b32_e32 v2, 21, v2
                                        ; implicit-def: $vgpr3
	s_andn2_saveexec_b64 s[12:13], s[12:13]
	s_cbranch_execnz .LBB306_1006
.LBB306_308:
	s_or_b64 exec, exec, s[12:13]
	v_mov_b32_e32 v4, 0
	s_and_saveexec_b64 s[12:13], s[10:11]
.LBB306_309:
	v_mov_b32_e32 v4, v2
.LBB306_310:
	s_or_b64 exec, exec, s[12:13]
.LBB306_311:
	s_or_b64 exec, exec, s[8:9]
	s_mov_b64 s[8:9], 0
	global_store_byte v[0:1], v4, off
.LBB306_312:
	s_and_b64 vcc, exec, s[8:9]
	s_cbranch_vccz .LBB306_322
; %bb.313:
	v_cndmask_b32_e64 v2, 0, 1.0, s[4:5]
	s_mov_b32 s8, 0x43f00000
	v_cmp_gt_u32_e32 vcc, s8, v2
                                        ; implicit-def: $vgpr3
	s_and_saveexec_b64 s[8:9], vcc
	s_xor_b64 s[8:9], exec, s[8:9]
	s_cbranch_execz .LBB306_319
; %bb.314:
	s_mov_b32 s10, 0x3c7fffff
	v_cmp_lt_u32_e32 vcc, s10, v2
                                        ; implicit-def: $vgpr3
	s_and_saveexec_b64 s[10:11], vcc
	s_xor_b64 s[10:11], exec, s[10:11]
; %bb.315:
	v_bfe_u32 v3, v2, 20, 1
	s_mov_b32 s12, 0x407ffff
	v_add3_u32 v2, v2, v3, s12
	v_lshrrev_b32_e32 v3, 20, v2
	v_and_b32_e32 v2, 0xff00000, v2
	s_mov_b32 s12, 0x7f00000
	v_mov_b32_e32 v4, 0x7e
	v_cmp_ne_u32_e32 vcc, s12, v2
	v_cndmask_b32_e32 v3, v4, v3, vcc
                                        ; implicit-def: $vgpr2
; %bb.316:
	s_andn2_saveexec_b64 s[10:11], s[10:11]
; %bb.317:
	v_add_f32_e32 v3, 0x46800000, v2
; %bb.318:
	s_or_b64 exec, exec, s[10:11]
                                        ; implicit-def: $vgpr2
.LBB306_319:
	s_andn2_saveexec_b64 s[8:9], s[8:9]
; %bb.320:
	s_mov_b32 s10, 0x7f800000
	v_mov_b32_e32 v3, 0x7e
	v_mov_b32_e32 v4, 0x7f
	v_cmp_lt_u32_e32 vcc, s10, v2
	v_cndmask_b32_e32 v3, v3, v4, vcc
; %bb.321:
	s_or_b64 exec, exec, s[8:9]
	global_store_byte v[0:1], v3, off
.LBB306_322:
	s_mov_b64 s[8:9], 0
.LBB306_323:
	s_andn2_b64 vcc, exec, s[8:9]
	s_cbranch_vccnz .LBB306_333
; %bb.324:
	v_cndmask_b32_e64 v2, 0, 1.0, s[4:5]
	s_mov_b32 s8, 0x47800000
	v_cmp_gt_u32_e32 vcc, s8, v2
                                        ; implicit-def: $vgpr3
	s_and_saveexec_b64 s[8:9], vcc
	s_xor_b64 s[8:9], exec, s[8:9]
	s_cbranch_execz .LBB306_330
; %bb.325:
	s_mov_b32 s10, 0x387fffff
	v_cmp_lt_u32_e32 vcc, s10, v2
                                        ; implicit-def: $vgpr3
	s_and_saveexec_b64 s[10:11], vcc
	s_xor_b64 s[10:11], exec, s[10:11]
; %bb.326:
	v_bfe_u32 v3, v2, 21, 1
	s_mov_b32 s12, 0x80fffff
	v_add3_u32 v2, v2, v3, s12
	v_lshrrev_b32_e32 v3, 21, v2
                                        ; implicit-def: $vgpr2
; %bb.327:
	s_andn2_saveexec_b64 s[10:11], s[10:11]
; %bb.328:
	v_add_f32_e32 v3, 0x43000000, v2
; %bb.329:
	s_or_b64 exec, exec, s[10:11]
                                        ; implicit-def: $vgpr2
.LBB306_330:
	s_andn2_saveexec_b64 s[8:9], s[8:9]
; %bb.331:
	s_mov_b32 s10, 0x7f800000
	v_mov_b32_e32 v3, 0x7c
	v_mov_b32_e32 v4, 0x7f
	v_cmp_lt_u32_e32 vcc, s10, v2
	v_cndmask_b32_e32 v3, v3, v4, vcc
; %bb.332:
	s_or_b64 exec, exec, s[8:9]
	global_store_byte v[0:1], v3, off
.LBB306_333:
	s_mov_b64 s[10:11], 0
	s_mov_b64 s[8:9], -1
.LBB306_334:
	s_andn2_b64 vcc, exec, s[10:11]
	s_cbranch_vccnz .LBB306_342
; %bb.335:
	s_cmp_gt_i32 s15, 14
	s_mov_b64 s[10:11], -1
	s_cbranch_scc0 .LBB306_339
; %bb.336:
	s_cmp_eq_u32 s15, 15
	s_mov_b64 s[6:7], -1
	s_cbranch_scc0 .LBB306_338
; %bb.337:
	v_cndmask_b32_e64 v2, 0, 1.0, s[4:5]
	v_bfe_u32 v3, v2, 16, 1
	s_movk_i32 s6, 0x7fff
	v_add3_u32 v2, v2, v3, s6
	global_store_short_d16_hi v[0:1], v2, off
	s_mov_b64 s[8:9], -1
	s_mov_b64 s[6:7], 0
.LBB306_338:
	s_mov_b64 s[10:11], 0
.LBB306_339:
	s_and_b64 vcc, exec, s[10:11]
	s_cbranch_vccz .LBB306_342
; %bb.340:
	s_cmp_eq_u32 s15, 11
	s_mov_b64 s[6:7], -1
	s_cbranch_scc0 .LBB306_342
; %bb.341:
	v_cndmask_b32_e64 v2, 0, 1, s[4:5]
	s_mov_b64 s[8:9], -1
	s_mov_b64 s[6:7], 0
	global_store_byte v[0:1], v2, off
.LBB306_342:
	s_mov_b64 s[10:11], 0
.LBB306_343:
	s_and_b64 vcc, exec, s[10:11]
	s_cbranch_vccz .LBB306_382
; %bb.344:
	s_and_b32 s10, 0xffff, s14
	s_cmp_lt_i32 s10, 5
	s_mov_b64 s[8:9], -1
	s_cbranch_scc1 .LBB306_365
; %bb.345:
	s_cmp_lt_i32 s10, 8
	s_cbranch_scc1 .LBB306_355
; %bb.346:
	s_cmp_lt_i32 s10, 9
	s_cbranch_scc1 .LBB306_352
; %bb.347:
	s_cmp_gt_i32 s10, 9
	s_cbranch_scc0 .LBB306_349
; %bb.348:
	v_cndmask_b32_e64 v2, 0, 1, s[4:5]
	v_cvt_f64_u32_e32 v[2:3], v2
	v_mov_b32_e32 v4, 0
	v_mov_b32_e32 v5, v4
	s_mov_b64 s[8:9], 0
	global_store_dwordx4 v[0:1], v[2:5], off
.LBB306_349:
	s_andn2_b64 vcc, exec, s[8:9]
	s_cbranch_vccnz .LBB306_351
; %bb.350:
	v_cndmask_b32_e64 v2, 0, 1.0, s[4:5]
	v_mov_b32_e32 v3, 0
	global_store_dwordx2 v[0:1], v[2:3], off
.LBB306_351:
	s_mov_b64 s[8:9], 0
.LBB306_352:
	s_andn2_b64 vcc, exec, s[8:9]
	s_cbranch_vccnz .LBB306_354
; %bb.353:
	v_cndmask_b32_e64 v2, 0, 1.0, s[4:5]
	v_cvt_f16_f32_e32 v2, v2
	global_store_dword v[0:1], v2, off
.LBB306_354:
	s_mov_b64 s[8:9], 0
.LBB306_355:
	s_andn2_b64 vcc, exec, s[8:9]
	s_cbranch_vccnz .LBB306_364
; %bb.356:
	s_cmp_lt_i32 s10, 6
	s_mov_b64 s[8:9], -1
	s_cbranch_scc1 .LBB306_362
; %bb.357:
	s_cmp_gt_i32 s10, 6
	s_cbranch_scc0 .LBB306_359
; %bb.358:
	v_cndmask_b32_e64 v2, 0, 1, s[4:5]
	v_cvt_f64_u32_e32 v[2:3], v2
	s_mov_b64 s[8:9], 0
	global_store_dwordx2 v[0:1], v[2:3], off
.LBB306_359:
	s_andn2_b64 vcc, exec, s[8:9]
	s_cbranch_vccnz .LBB306_361
; %bb.360:
	v_cndmask_b32_e64 v2, 0, 1.0, s[4:5]
	global_store_dword v[0:1], v2, off
.LBB306_361:
	s_mov_b64 s[8:9], 0
.LBB306_362:
	s_andn2_b64 vcc, exec, s[8:9]
	s_cbranch_vccnz .LBB306_364
; %bb.363:
	v_cndmask_b32_e64 v2, 0, 1.0, s[4:5]
	v_cvt_f16_f32_e32 v2, v2
	global_store_short v[0:1], v2, off
.LBB306_364:
	s_mov_b64 s[8:9], 0
.LBB306_365:
	s_andn2_b64 vcc, exec, s[8:9]
	s_cbranch_vccnz .LBB306_381
; %bb.366:
	s_cmp_lt_i32 s10, 2
	s_mov_b64 s[8:9], -1
	s_cbranch_scc1 .LBB306_376
; %bb.367:
	s_cmp_lt_i32 s10, 3
	s_cbranch_scc1 .LBB306_373
; %bb.368:
	s_cmp_gt_i32 s10, 3
	s_cbranch_scc0 .LBB306_370
; %bb.369:
	s_mov_b32 s8, 0
	v_cndmask_b32_e64 v2, 0, 1, s[4:5]
	v_mov_b32_e32 v3, s8
	s_mov_b64 s[8:9], 0
	global_store_dwordx2 v[0:1], v[2:3], off
.LBB306_370:
	s_andn2_b64 vcc, exec, s[8:9]
	s_cbranch_vccnz .LBB306_372
; %bb.371:
	v_cndmask_b32_e64 v2, 0, 1, s[4:5]
	global_store_dword v[0:1], v2, off
.LBB306_372:
	s_mov_b64 s[8:9], 0
.LBB306_373:
	s_andn2_b64 vcc, exec, s[8:9]
	s_cbranch_vccnz .LBB306_375
; %bb.374:
	v_cndmask_b32_e64 v2, 0, 1, s[4:5]
	global_store_short v[0:1], v2, off
.LBB306_375:
	s_mov_b64 s[8:9], 0
.LBB306_376:
	s_andn2_b64 vcc, exec, s[8:9]
	s_cbranch_vccnz .LBB306_381
; %bb.377:
	s_mov_b64 s[8:9], -1
	s_cmp_gt_i32 s10, 0
	v_cndmask_b32_e64 v2, 0, 1, s[4:5]
	s_cbranch_scc0 .LBB306_379
; %bb.378:
	s_mov_b64 s[8:9], 0
	global_store_byte v[0:1], v2, off
.LBB306_379:
	s_andn2_b64 vcc, exec, s[8:9]
	s_cbranch_vccnz .LBB306_381
; %bb.380:
	global_store_byte v[0:1], v2, off
.LBB306_381:
	s_mov_b64 s[8:9], -1
.LBB306_382:
	s_andn2_b64 vcc, exec, s[8:9]
	s_cbranch_vccnz .LBB306_384
; %bb.383:
	v_add_u32_e32 v10, 0x80, v10
	s_mov_b64 s[4:5], -1
	s_branch .LBB306_385
.LBB306_384:
	s_mov_b64 s[4:5], 0
                                        ; implicit-def: $vgpr10
.LBB306_385:
	s_andn2_b64 s[8:9], s[52:53], exec
	s_and_b64 s[6:7], s[6:7], exec
	s_or_b64 s[58:59], s[8:9], s[6:7]
	s_orn2_b64 s[8:9], s[4:5], exec
.LBB306_386:
	s_or_b64 exec, exec, s[56:57]
	s_mov_b64 s[4:5], 0
	s_mov_b64 s[12:13], 0
                                        ; implicit-def: $sgpr6_sgpr7
                                        ; implicit-def: $sgpr16
                                        ; implicit-def: $vgpr0_vgpr1
	s_and_saveexec_b64 s[56:57], s[8:9]
	s_cbranch_execz .LBB306_466
; %bb.387:
	v_cmp_gt_i32_e32 vcc, s60, v10
	s_mov_b64 s[8:9], 0
	s_mov_b64 s[10:11], s[58:59]
                                        ; implicit-def: $sgpr6_sgpr7
                                        ; implicit-def: $sgpr16
                                        ; implicit-def: $vgpr0_vgpr1
	s_and_saveexec_b64 s[60:61], vcc
	s_cbranch_execz .LBB306_465
; %bb.388:
	s_getpc_b64 s[4:5]
	s_add_u32 s4, s4, _ZN2at6native6invokeINS0_13AUnaryFunctorIN3c1015Float8_e4m3fnuzES4_bNS0_12_GLOBAL__N_116CompareEqFunctorIS4_EEEEi15function_traitsIS8_EEENT1_11result_typeERKT_PrKPcPKT0_PKNS3_10ScalarTypeEi@rel32@lo+4
	s_addc_u32 s5, s5, _ZN2at6native6invokeINS0_13AUnaryFunctorIN3c1015Float8_e4m3fnuzES4_bNS0_12_GLOBAL__N_116CompareEqFunctorIS4_EEEEi15function_traitsIS8_EEENT1_11result_typeERKT_PrKPcPKT0_PKNS3_10ScalarTypeEi@rel32@hi+12
	v_mov_b32_e32 v0, s46
	v_mov_b32_e32 v1, s48
	;; [unrolled: 1-line block ×7, first 2 shown]
	s_swappc_b64 s[30:31], s[4:5]
	v_and_b32_e32 v0, 1, v0
	v_cmp_eq_u32_e64 s[6:7], 1, v0
	v_mul_lo_u32 v0, v10, s44
	v_mov_b32_e32 v1, s41
	s_and_b32 s16, s49, 0xff
	s_cmp_lt_i32 s16, 11
	v_ashrrev_i32_e32 v2, 31, v0
	v_add_co_u32_e32 v0, vcc, s40, v0
	v_addc_co_u32_e32 v1, vcc, v1, v2, vcc
	s_cbranch_scc1 .LBB306_462
; %bb.389:
	s_and_b32 s17, 0xffff, s16
	s_mov_b64 s[10:11], -1
	s_cmp_gt_i32 s17, 25
	s_mov_b64 s[4:5], s[58:59]
	s_cbranch_scc0 .LBB306_422
; %bb.390:
	s_mov_b64 s[8:9], -1
	s_cmp_gt_i32 s17, 28
	s_mov_b64 s[4:5], s[58:59]
	s_cbranch_scc0 .LBB306_406
; %bb.391:
	s_cmp_gt_i32 s17, 43
	s_mov_b64 s[4:5], s[58:59]
	s_cbranch_scc0 .LBB306_402
; %bb.392:
	;; [unrolled: 4-line block ×3, first 2 shown]
	s_cmp_eq_u32 s17, 46
	s_mov_b64 s[4:5], -1
	s_cbranch_scc0 .LBB306_395
; %bb.394:
	v_cndmask_b32_e64 v2, 0, 1.0, s[6:7]
	v_bfe_u32 v3, v2, 16, 1
	s_movk_i32 s4, 0x7fff
	v_add3_u32 v2, v2, v3, s4
	v_lshrrev_b32_e32 v2, 16, v2
	global_store_dword v[0:1], v2, off
	s_mov_b64 s[4:5], 0
.LBB306_395:
	s_mov_b64 s[8:9], 0
.LBB306_396:
	s_and_b64 vcc, exec, s[8:9]
	s_cbranch_vccz .LBB306_401
; %bb.397:
	s_cmp_eq_u32 s17, 44
	s_mov_b64 s[4:5], -1
	s_cbranch_scc0 .LBB306_401
; %bb.398:
	v_cndmask_b32_e64 v3, 0, 1.0, s[6:7]
	v_lshrrev_b32_e32 v2, 23, v3
	s_movk_i32 s4, 0xff
	v_cmp_ne_u32_e32 vcc, s4, v2
	v_mov_b32_e32 v4, 0xff
	s_and_saveexec_b64 s[8:9], vcc
; %bb.399:
	s_mov_b32 s4, 0x3fffff
	v_and_b32_e32 v4, 0x400000, v3
	v_and_or_b32 v3, v3, s4, v2
	v_cmp_ne_u32_e32 vcc, 0, v4
	v_cmp_ne_u32_e64 s[4:5], 0, v3
	s_and_b64 s[4:5], vcc, s[4:5]
	v_cndmask_b32_e64 v3, 0, 1, s[4:5]
	v_add_u32_e32 v4, v2, v3
; %bb.400:
	s_or_b64 exec, exec, s[8:9]
	s_mov_b64 s[4:5], 0
	global_store_byte v[0:1], v4, off
.LBB306_401:
	s_mov_b64 s[8:9], 0
.LBB306_402:
	s_and_b64 vcc, exec, s[8:9]
	s_cbranch_vccz .LBB306_405
; %bb.403:
	s_cmp_eq_u32 s17, 29
	s_mov_b64 s[4:5], -1
	s_cbranch_scc0 .LBB306_405
; %bb.404:
	s_mov_b32 s4, 0
	v_cndmask_b32_e64 v2, 0, 1, s[6:7]
	v_mov_b32_e32 v3, s4
	global_store_dwordx2 v[0:1], v[2:3], off
	s_mov_b64 s[4:5], 0
.LBB306_405:
	s_mov_b64 s[8:9], 0
.LBB306_406:
	s_and_b64 vcc, exec, s[8:9]
	s_cbranch_vccz .LBB306_421
; %bb.407:
	s_cmp_lt_i32 s17, 27
	s_mov_b64 s[8:9], -1
	s_cbranch_scc1 .LBB306_413
; %bb.408:
	s_cmp_gt_i32 s17, 27
	v_cndmask_b32_e64 v2, 0, 1, s[6:7]
	s_cbranch_scc0 .LBB306_410
; %bb.409:
	s_mov_b64 s[8:9], 0
	global_store_dword v[0:1], v2, off
.LBB306_410:
	s_andn2_b64 vcc, exec, s[8:9]
	s_cbranch_vccnz .LBB306_412
; %bb.411:
	global_store_short v[0:1], v2, off
.LBB306_412:
	s_mov_b64 s[8:9], 0
.LBB306_413:
	s_andn2_b64 vcc, exec, s[8:9]
	s_cbranch_vccnz .LBB306_421
; %bb.414:
	v_cndmask_b32_e64 v3, 0, 1.0, s[6:7]
	s_mov_b32 s8, 0x43800000
	v_cmp_gt_u32_e32 vcc, s8, v3
	v_mov_b32_e32 v4, 0x80
	s_and_saveexec_b64 s[8:9], vcc
	s_cbranch_execz .LBB306_420
; %bb.415:
	s_mov_b32 s10, 0x3bffffff
	v_cmp_lt_u32_e32 vcc, s10, v3
	s_mov_b64 s[10:11], 0
                                        ; implicit-def: $vgpr2
	s_and_saveexec_b64 s[12:13], vcc
	s_xor_b64 s[12:13], exec, s[12:13]
	s_cbranch_execz .LBB306_1007
; %bb.416:
	v_bfe_u32 v2, v3, 20, 1
	s_mov_b32 s14, 0x487ffff
	v_add3_u32 v2, v3, v2, s14
	s_mov_b64 s[10:11], exec
	v_lshrrev_b32_e32 v2, 20, v2
                                        ; implicit-def: $vgpr3
	s_andn2_saveexec_b64 s[12:13], s[12:13]
	s_cbranch_execnz .LBB306_1008
.LBB306_417:
	s_or_b64 exec, exec, s[12:13]
	v_mov_b32_e32 v4, 0
	s_and_saveexec_b64 s[12:13], s[10:11]
.LBB306_418:
	v_mov_b32_e32 v4, v2
.LBB306_419:
	s_or_b64 exec, exec, s[12:13]
.LBB306_420:
	s_or_b64 exec, exec, s[8:9]
	global_store_byte v[0:1], v4, off
.LBB306_421:
	s_mov_b64 s[10:11], 0
.LBB306_422:
	s_mov_b64 s[8:9], 0
	s_and_b64 vcc, exec, s[10:11]
	s_cbranch_vccz .LBB306_463
; %bb.423:
	s_cmp_gt_i32 s17, 22
	s_mov_b64 s[10:11], -1
	s_cbranch_scc0 .LBB306_455
; %bb.424:
	s_cmp_lt_i32 s17, 24
	s_cbranch_scc1 .LBB306_444
; %bb.425:
	s_cmp_gt_i32 s17, 24
	s_cbranch_scc0 .LBB306_433
; %bb.426:
	v_cndmask_b32_e64 v3, 0, 1.0, s[6:7]
	s_mov_b32 s10, 0x47800000
	v_cmp_gt_u32_e32 vcc, s10, v3
	v_mov_b32_e32 v4, 0x80
	s_and_saveexec_b64 s[10:11], vcc
	s_cbranch_execz .LBB306_432
; %bb.427:
	s_mov_b32 s12, 0x37ffffff
	v_cmp_lt_u32_e32 vcc, s12, v3
	s_mov_b64 s[12:13], 0
                                        ; implicit-def: $vgpr2
	s_and_saveexec_b64 s[14:15], vcc
	s_xor_b64 s[14:15], exec, s[14:15]
	s_cbranch_execz .LBB306_1011
; %bb.428:
	v_bfe_u32 v2, v3, 21, 1
	s_mov_b32 s18, 0x88fffff
	v_add3_u32 v2, v3, v2, s18
	s_mov_b64 s[12:13], exec
	v_lshrrev_b32_e32 v2, 21, v2
                                        ; implicit-def: $vgpr3
	s_andn2_saveexec_b64 s[14:15], s[14:15]
	s_cbranch_execnz .LBB306_1012
.LBB306_429:
	s_or_b64 exec, exec, s[14:15]
	v_mov_b32_e32 v4, 0
	s_and_saveexec_b64 s[14:15], s[12:13]
.LBB306_430:
	v_mov_b32_e32 v4, v2
.LBB306_431:
	s_or_b64 exec, exec, s[14:15]
.LBB306_432:
	s_or_b64 exec, exec, s[10:11]
	s_mov_b64 s[10:11], 0
	global_store_byte v[0:1], v4, off
.LBB306_433:
	s_and_b64 vcc, exec, s[10:11]
	s_cbranch_vccz .LBB306_443
; %bb.434:
	v_cndmask_b32_e64 v2, 0, 1.0, s[6:7]
	s_mov_b32 s10, 0x43f00000
	v_cmp_gt_u32_e32 vcc, s10, v2
                                        ; implicit-def: $vgpr3
	s_and_saveexec_b64 s[10:11], vcc
	s_xor_b64 s[10:11], exec, s[10:11]
	s_cbranch_execz .LBB306_440
; %bb.435:
	s_mov_b32 s12, 0x3c7fffff
	v_cmp_lt_u32_e32 vcc, s12, v2
                                        ; implicit-def: $vgpr3
	s_and_saveexec_b64 s[12:13], vcc
	s_xor_b64 s[12:13], exec, s[12:13]
; %bb.436:
	v_bfe_u32 v3, v2, 20, 1
	s_mov_b32 s14, 0x407ffff
	v_add3_u32 v2, v2, v3, s14
	v_lshrrev_b32_e32 v3, 20, v2
	v_and_b32_e32 v2, 0xff00000, v2
	s_mov_b32 s14, 0x7f00000
	v_mov_b32_e32 v4, 0x7e
	v_cmp_ne_u32_e32 vcc, s14, v2
	v_cndmask_b32_e32 v3, v4, v3, vcc
                                        ; implicit-def: $vgpr2
; %bb.437:
	s_andn2_saveexec_b64 s[12:13], s[12:13]
; %bb.438:
	v_add_f32_e32 v3, 0x46800000, v2
; %bb.439:
	s_or_b64 exec, exec, s[12:13]
                                        ; implicit-def: $vgpr2
.LBB306_440:
	s_andn2_saveexec_b64 s[10:11], s[10:11]
; %bb.441:
	s_mov_b32 s12, 0x7f800000
	v_mov_b32_e32 v3, 0x7e
	v_mov_b32_e32 v4, 0x7f
	v_cmp_lt_u32_e32 vcc, s12, v2
	v_cndmask_b32_e32 v3, v3, v4, vcc
; %bb.442:
	s_or_b64 exec, exec, s[10:11]
	global_store_byte v[0:1], v3, off
.LBB306_443:
	s_mov_b64 s[10:11], 0
.LBB306_444:
	s_andn2_b64 vcc, exec, s[10:11]
	s_cbranch_vccnz .LBB306_454
; %bb.445:
	v_cndmask_b32_e64 v2, 0, 1.0, s[6:7]
	s_mov_b32 s10, 0x47800000
	v_cmp_gt_u32_e32 vcc, s10, v2
                                        ; implicit-def: $vgpr3
	s_and_saveexec_b64 s[10:11], vcc
	s_xor_b64 s[10:11], exec, s[10:11]
	s_cbranch_execz .LBB306_451
; %bb.446:
	s_mov_b32 s12, 0x387fffff
	v_cmp_lt_u32_e32 vcc, s12, v2
                                        ; implicit-def: $vgpr3
	s_and_saveexec_b64 s[12:13], vcc
	s_xor_b64 s[12:13], exec, s[12:13]
; %bb.447:
	v_bfe_u32 v3, v2, 21, 1
	s_mov_b32 s14, 0x80fffff
	v_add3_u32 v2, v2, v3, s14
	v_lshrrev_b32_e32 v3, 21, v2
                                        ; implicit-def: $vgpr2
; %bb.448:
	s_andn2_saveexec_b64 s[12:13], s[12:13]
; %bb.449:
	v_add_f32_e32 v3, 0x43000000, v2
; %bb.450:
	s_or_b64 exec, exec, s[12:13]
                                        ; implicit-def: $vgpr2
.LBB306_451:
	s_andn2_saveexec_b64 s[10:11], s[10:11]
; %bb.452:
	s_mov_b32 s12, 0x7f800000
	v_mov_b32_e32 v3, 0x7c
	v_mov_b32_e32 v4, 0x7f
	v_cmp_lt_u32_e32 vcc, s12, v2
	v_cndmask_b32_e32 v3, v3, v4, vcc
; %bb.453:
	s_or_b64 exec, exec, s[10:11]
	global_store_byte v[0:1], v3, off
.LBB306_454:
	s_mov_b64 s[10:11], 0
.LBB306_455:
	s_andn2_b64 vcc, exec, s[10:11]
	s_mov_b64 s[10:11], 0
	s_cbranch_vccnz .LBB306_464
; %bb.456:
	s_cmp_gt_i32 s17, 14
	s_mov_b64 s[12:13], -1
	s_cbranch_scc0 .LBB306_460
; %bb.457:
	s_cmp_eq_u32 s17, 15
	s_mov_b64 s[4:5], -1
	s_cbranch_scc0 .LBB306_459
; %bb.458:
	v_cndmask_b32_e64 v2, 0, 1.0, s[6:7]
	v_bfe_u32 v3, v2, 16, 1
	s_movk_i32 s4, 0x7fff
	v_add3_u32 v2, v2, v3, s4
	global_store_short_d16_hi v[0:1], v2, off
	s_mov_b64 s[4:5], 0
.LBB306_459:
	s_mov_b64 s[12:13], 0
.LBB306_460:
	s_and_b64 vcc, exec, s[12:13]
	s_cbranch_vccz .LBB306_464
; %bb.461:
	s_cmp_lg_u32 s17, 11
	s_cselect_b64 s[12:13], -1, 0
	s_andn2_b64 s[4:5], s[4:5], exec
	s_and_b64 s[12:13], s[12:13], exec
	s_mov_b64 s[10:11], -1
	s_or_b64 s[4:5], s[4:5], s[12:13]
	s_branch .LBB306_464
.LBB306_462:
	s_mov_b64 s[10:11], 0
	s_mov_b64 s[8:9], -1
	s_mov_b64 s[4:5], s[58:59]
	s_branch .LBB306_464
.LBB306_463:
	s_mov_b64 s[10:11], 0
.LBB306_464:
	s_and_b64 s[12:13], s[8:9], exec
	s_and_b64 s[8:9], s[10:11], exec
	s_andn2_b64 s[10:11], s[58:59], exec
	s_and_b64 s[4:5], s[4:5], exec
	s_or_b64 s[10:11], s[10:11], s[4:5]
.LBB306_465:
	s_or_b64 exec, exec, s[60:61]
	s_and_b64 s[4:5], s[8:9], exec
	s_andn2_b64 s[8:9], s[58:59], exec
	s_and_b64 s[10:11], s[10:11], exec
	s_and_b64 s[12:13], s[12:13], exec
	s_or_b64 s[58:59], s[8:9], s[10:11]
.LBB306_466:
	s_or_b64 exec, exec, s[56:57]
	s_and_b64 s[8:9], s[12:13], exec
	s_andn2_b64 s[10:11], s[52:53], exec
	s_and_b64 s[12:13], s[58:59], exec
	s_and_b64 s[4:5], s[4:5], exec
	s_or_b64 s[52:53], s[10:11], s[12:13]
.LBB306_467:
	s_or_b64 exec, exec, s[54:55]
	s_and_b64 s[54:55], s[4:5], exec
	s_andn2_b64 s[4:5], s[38:39], exec
	s_and_b64 s[10:11], s[52:53], exec
	s_and_b64 s[8:9], s[8:9], exec
	s_or_b64 s[38:39], s[4:5], s[10:11]
	s_or_b64 exec, exec, s[50:51]
	s_mov_b64 s[4:5], 0
	s_and_saveexec_b64 s[10:11], s[38:39]
	s_cbranch_execz .LBB306_134
.LBB306_468:
	s_mov_b64 s[4:5], exec
	s_andn2_b64 s[54:55], s[54:55], exec
	s_trap 2
	s_or_b64 exec, exec, s[10:11]
	s_and_saveexec_b64 s[10:11], s[54:55]
	s_xor_b64 s[10:11], exec, s[10:11]
	s_cbranch_execnz .LBB306_135
.LBB306_469:
	s_or_b64 exec, exec, s[10:11]
	s_and_saveexec_b64 s[10:11], s[8:9]
	s_xor_b64 s[8:9], exec, s[10:11]
	s_cbranch_execz .LBB306_507
.LBB306_470:
	s_sext_i32_i16 s12, s16
	s_cmp_lt_i32 s12, 5
	s_mov_b64 s[10:11], -1
	s_cbranch_scc1 .LBB306_491
; %bb.471:
	s_cmp_lt_i32 s12, 8
	s_cbranch_scc1 .LBB306_481
; %bb.472:
	s_cmp_lt_i32 s12, 9
	s_cbranch_scc1 .LBB306_478
; %bb.473:
	s_cmp_gt_i32 s12, 9
	s_cbranch_scc0 .LBB306_475
; %bb.474:
	v_cndmask_b32_e64 v2, 0, 1, s[6:7]
	v_cvt_f64_u32_e32 v[2:3], v2
	v_mov_b32_e32 v4, 0
	v_mov_b32_e32 v5, v4
	s_mov_b64 s[10:11], 0
	global_store_dwordx4 v[0:1], v[2:5], off
.LBB306_475:
	s_andn2_b64 vcc, exec, s[10:11]
	s_cbranch_vccnz .LBB306_477
; %bb.476:
	v_cndmask_b32_e64 v2, 0, 1.0, s[6:7]
	v_mov_b32_e32 v3, 0
	global_store_dwordx2 v[0:1], v[2:3], off
.LBB306_477:
	s_mov_b64 s[10:11], 0
.LBB306_478:
	s_andn2_b64 vcc, exec, s[10:11]
	s_cbranch_vccnz .LBB306_480
; %bb.479:
	v_cndmask_b32_e64 v2, 0, 1.0, s[6:7]
	v_cvt_f16_f32_e32 v2, v2
	global_store_dword v[0:1], v2, off
.LBB306_480:
	s_mov_b64 s[10:11], 0
.LBB306_481:
	s_andn2_b64 vcc, exec, s[10:11]
	s_cbranch_vccnz .LBB306_490
; %bb.482:
	s_sext_i32_i16 s12, s16
	s_cmp_lt_i32 s12, 6
	s_mov_b64 s[10:11], -1
	s_cbranch_scc1 .LBB306_488
; %bb.483:
	s_cmp_gt_i32 s12, 6
	s_cbranch_scc0 .LBB306_485
; %bb.484:
	v_cndmask_b32_e64 v2, 0, 1, s[6:7]
	v_cvt_f64_u32_e32 v[2:3], v2
	s_mov_b64 s[10:11], 0
	global_store_dwordx2 v[0:1], v[2:3], off
.LBB306_485:
	s_andn2_b64 vcc, exec, s[10:11]
	s_cbranch_vccnz .LBB306_487
; %bb.486:
	v_cndmask_b32_e64 v2, 0, 1.0, s[6:7]
	global_store_dword v[0:1], v2, off
.LBB306_487:
	s_mov_b64 s[10:11], 0
.LBB306_488:
	s_andn2_b64 vcc, exec, s[10:11]
	s_cbranch_vccnz .LBB306_490
; %bb.489:
	v_cndmask_b32_e64 v2, 0, 1.0, s[6:7]
	v_cvt_f16_f32_e32 v2, v2
	global_store_short v[0:1], v2, off
.LBB306_490:
	s_mov_b64 s[10:11], 0
.LBB306_491:
	s_andn2_b64 vcc, exec, s[10:11]
	s_cbranch_vccnz .LBB306_507
; %bb.492:
	s_sext_i32_i16 s12, s16
	s_cmp_lt_i32 s12, 2
	s_mov_b64 s[10:11], -1
	s_cbranch_scc1 .LBB306_502
; %bb.493:
	s_cmp_lt_i32 s12, 3
	s_cbranch_scc1 .LBB306_499
; %bb.494:
	s_cmp_gt_i32 s12, 3
	s_cbranch_scc0 .LBB306_496
; %bb.495:
	s_mov_b32 s10, 0
	v_cndmask_b32_e64 v2, 0, 1, s[6:7]
	v_mov_b32_e32 v3, s10
	s_mov_b64 s[10:11], 0
	global_store_dwordx2 v[0:1], v[2:3], off
.LBB306_496:
	s_andn2_b64 vcc, exec, s[10:11]
	s_cbranch_vccnz .LBB306_498
; %bb.497:
	v_cndmask_b32_e64 v2, 0, 1, s[6:7]
	global_store_dword v[0:1], v2, off
.LBB306_498:
	s_mov_b64 s[10:11], 0
.LBB306_499:
	s_andn2_b64 vcc, exec, s[10:11]
	s_cbranch_vccnz .LBB306_501
; %bb.500:
	v_cndmask_b32_e64 v2, 0, 1, s[6:7]
	global_store_short v[0:1], v2, off
.LBB306_501:
	s_mov_b64 s[10:11], 0
.LBB306_502:
	s_andn2_b64 vcc, exec, s[10:11]
	s_cbranch_vccnz .LBB306_507
; %bb.503:
	s_sext_i32_i16 s12, s16
	s_mov_b64 s[10:11], -1
	s_cmp_gt_i32 s12, 0
	v_cndmask_b32_e64 v2, 0, 1, s[6:7]
	s_cbranch_scc0 .LBB306_505
; %bb.504:
	s_mov_b64 s[10:11], 0
	global_store_byte v[0:1], v2, off
.LBB306_505:
	s_andn2_b64 vcc, exec, s[10:11]
	s_cbranch_vccnz .LBB306_507
; %bb.506:
	global_store_byte v[0:1], v2, off
.LBB306_507:
	s_or_b64 exec, exec, s[8:9]
	s_and_b64 s[50:51], s[4:5], exec
                                        ; implicit-def: $vgpr10
                                        ; implicit-def: $vgpr11
.LBB306_508:
	s_or_saveexec_b64 s[52:53], s[36:37]
	s_mov_b64 s[4:5], 0
                                        ; implicit-def: $sgpr6_sgpr7
                                        ; implicit-def: $sgpr18
                                        ; implicit-def: $vgpr0_vgpr1
	s_xor_b64 exec, exec, s[52:53]
	s_cbranch_execz .LBB306_941
; %bb.509:
	s_getpc_b64 s[54:55]
	s_add_u32 s54, s54, _ZN2at6native6invokeINS0_13AUnaryFunctorIN3c1015Float8_e4m3fnuzES4_bNS0_12_GLOBAL__N_116CompareEqFunctorIS4_EEEEi15function_traitsIS8_EEENT1_11result_typeERKT_PrKPcPKT0_PKNS3_10ScalarTypeEi@rel32@lo+4
	s_addc_u32 s55, s55, _ZN2at6native6invokeINS0_13AUnaryFunctorIN3c1015Float8_e4m3fnuzES4_bNS0_12_GLOBAL__N_116CompareEqFunctorIS4_EEEEi15function_traitsIS8_EEENT1_11result_typeERKT_PrKPcPKT0_PKNS3_10ScalarTypeEi@rel32@hi+12
	v_mov_b32_e32 v0, s46
	v_mov_b32_e32 v1, s48
	;; [unrolled: 1-line block ×7, first 2 shown]
	v_add_u32_e32 v12, 0x80, v10
	v_add_u32_e32 v13, 0x100, v10
	s_swappc_b64 s[30:31], s[54:55]
	v_and_b32_e32 v0, 1, v0
	v_cmp_eq_u32_e64 s[38:39], 1, v0
	v_mov_b32_e32 v0, s46
	v_mov_b32_e32 v1, s48
	v_mov_b32_e32 v2, s42
	v_mov_b32_e32 v3, s43
	v_mov_b32_e32 v4, s45
	v_mov_b32_e32 v5, s33
	v_mov_b32_e32 v6, v12
	s_swappc_b64 s[30:31], s[54:55]
	v_and_b32_e32 v0, 1, v0
	v_cmp_eq_u32_e64 s[36:37], 1, v0
	v_mov_b32_e32 v0, s46
	v_mov_b32_e32 v1, s48
	v_mov_b32_e32 v2, s42
	v_mov_b32_e32 v3, s43
	v_mov_b32_e32 v4, s45
	v_mov_b32_e32 v5, s33
	v_mov_b32_e32 v6, v13
	;; [unrolled: 10-line block ×3, first 2 shown]
	s_swappc_b64 s[30:31], s[54:55]
	v_mul_lo_u32 v2, s44, v10
	v_and_b32_e32 v0, 1, v0
	v_cmp_eq_u32_e64 s[6:7], 1, v0
	v_mov_b32_e32 v1, s41
	s_and_b32 s18, s49, 0xff
	v_ashrrev_i32_e32 v3, 31, v2
	v_add_co_u32_e32 v0, vcc, s40, v2
	s_cmp_lt_i32 s18, 11
	v_addc_co_u32_e32 v1, vcc, v1, v3, vcc
	s_cbranch_scc1 .LBB306_588
; %bb.510:
	s_and_b32 s16, 0xffff, s18
	s_mov_b64 s[8:9], -1
	s_mov_b64 s[10:11], 0
	s_cmp_gt_i32 s16, 25
	s_mov_b64 s[12:13], 0
	s_mov_b64 s[4:5], 0
	s_cbranch_scc0 .LBB306_543
; %bb.511:
	s_cmp_gt_i32 s16, 28
	s_cbranch_scc0 .LBB306_526
; %bb.512:
	s_cmp_gt_i32 s16, 43
	;; [unrolled: 3-line block ×3, first 2 shown]
	s_cbranch_scc0 .LBB306_516
; %bb.514:
	s_mov_b64 s[4:5], -1
	s_mov_b64 s[8:9], 0
	s_cmp_eq_u32 s16, 46
	s_cbranch_scc0 .LBB306_516
; %bb.515:
	v_cndmask_b32_e64 v3, 0, 1.0, s[38:39]
	v_bfe_u32 v4, v3, 16, 1
	s_movk_i32 s4, 0x7fff
	v_add3_u32 v3, v3, v4, s4
	v_lshrrev_b32_e32 v3, 16, v3
	global_store_dword v[0:1], v3, off
	s_mov_b64 s[4:5], 0
	s_mov_b64 s[12:13], -1
.LBB306_516:
	s_and_b64 vcc, exec, s[8:9]
	s_cbranch_vccz .LBB306_521
; %bb.517:
	s_cmp_eq_u32 s16, 44
	s_mov_b64 s[4:5], -1
	s_cbranch_scc0 .LBB306_521
; %bb.518:
	v_cndmask_b32_e64 v4, 0, 1.0, s[38:39]
	v_lshrrev_b32_e32 v3, 23, v4
	s_movk_i32 s4, 0xff
	v_cmp_ne_u32_e32 vcc, s4, v3
	v_mov_b32_e32 v5, 0xff
	s_and_saveexec_b64 s[8:9], vcc
; %bb.519:
	s_mov_b32 s4, 0x3fffff
	v_and_b32_e32 v5, 0x400000, v4
	v_and_or_b32 v4, v4, s4, v3
	v_cmp_ne_u32_e32 vcc, 0, v5
	v_cmp_ne_u32_e64 s[4:5], 0, v4
	s_and_b64 s[4:5], vcc, s[4:5]
	v_cndmask_b32_e64 v4, 0, 1, s[4:5]
	v_add_u32_e32 v5, v3, v4
; %bb.520:
	s_or_b64 exec, exec, s[8:9]
	s_mov_b64 s[4:5], 0
	s_mov_b64 s[12:13], -1
	global_store_byte v[0:1], v5, off
.LBB306_521:
	s_mov_b64 s[8:9], 0
.LBB306_522:
	s_and_b64 vcc, exec, s[8:9]
	s_cbranch_vccz .LBB306_525
; %bb.523:
	s_cmp_eq_u32 s16, 29
	s_mov_b64 s[4:5], -1
	s_cbranch_scc0 .LBB306_525
; %bb.524:
	s_mov_b32 s4, 0
	v_cndmask_b32_e64 v3, 0, 1, s[38:39]
	v_mov_b32_e32 v4, s4
	global_store_dwordx2 v[0:1], v[3:4], off
	s_mov_b64 s[4:5], 0
	s_mov_b64 s[12:13], -1
.LBB306_525:
	s_mov_b64 s[8:9], 0
.LBB306_526:
	s_and_b64 vcc, exec, s[8:9]
	s_cbranch_vccz .LBB306_542
; %bb.527:
	s_cmp_lt_i32 s16, 27
	s_mov_b64 s[8:9], -1
	s_cbranch_scc1 .LBB306_533
; %bb.528:
	s_cmp_gt_i32 s16, 27
	s_cbranch_scc0 .LBB306_530
; %bb.529:
	v_cndmask_b32_e64 v3, 0, 1, s[38:39]
	s_mov_b64 s[8:9], 0
	global_store_dword v[0:1], v3, off
.LBB306_530:
	s_andn2_b64 vcc, exec, s[8:9]
	s_cbranch_vccnz .LBB306_532
; %bb.531:
	v_cndmask_b32_e64 v3, 0, 1, s[38:39]
	global_store_short v[0:1], v3, off
.LBB306_532:
	s_mov_b64 s[8:9], 0
.LBB306_533:
	s_andn2_b64 vcc, exec, s[8:9]
	s_cbranch_vccnz .LBB306_541
; %bb.534:
	v_cndmask_b32_e64 v4, 0, 1.0, s[38:39]
	s_mov_b32 s8, 0x43800000
	v_cmp_gt_u32_e32 vcc, s8, v4
	v_mov_b32_e32 v5, 0x80
	s_and_saveexec_b64 s[8:9], vcc
	s_cbranch_execz .LBB306_540
; %bb.535:
	s_mov_b32 s12, 0x3bffffff
	v_cmp_lt_u32_e32 vcc, s12, v4
	s_mov_b64 s[12:13], 0
                                        ; implicit-def: $vgpr3
	s_and_saveexec_b64 s[14:15], vcc
	s_xor_b64 s[14:15], exec, s[14:15]
	s_cbranch_execz .LBB306_985
; %bb.536:
	v_bfe_u32 v3, v4, 20, 1
	s_mov_b32 s17, 0x487ffff
	v_add3_u32 v3, v4, v3, s17
	s_mov_b64 s[12:13], exec
	v_lshrrev_b32_e32 v3, 20, v3
                                        ; implicit-def: $vgpr4
	s_andn2_saveexec_b64 s[14:15], s[14:15]
	s_cbranch_execnz .LBB306_986
.LBB306_537:
	s_or_b64 exec, exec, s[14:15]
	v_mov_b32_e32 v5, 0
	s_and_saveexec_b64 s[14:15], s[12:13]
.LBB306_538:
	v_mov_b32_e32 v5, v3
.LBB306_539:
	s_or_b64 exec, exec, s[14:15]
.LBB306_540:
	s_or_b64 exec, exec, s[8:9]
	global_store_byte v[0:1], v5, off
.LBB306_541:
	s_mov_b64 s[12:13], -1
.LBB306_542:
	s_mov_b64 s[8:9], 0
.LBB306_543:
	s_and_b64 vcc, exec, s[8:9]
	s_cbranch_vccz .LBB306_583
; %bb.544:
	s_cmp_gt_i32 s16, 22
	s_mov_b64 s[8:9], -1
	s_cbranch_scc0 .LBB306_576
; %bb.545:
	s_cmp_lt_i32 s16, 24
	s_cbranch_scc1 .LBB306_565
; %bb.546:
	s_cmp_gt_i32 s16, 24
	s_cbranch_scc0 .LBB306_554
; %bb.547:
	v_cndmask_b32_e64 v4, 0, 1.0, s[38:39]
	s_mov_b32 s8, 0x47800000
	v_cmp_gt_u32_e32 vcc, s8, v4
	v_mov_b32_e32 v5, 0x80
	s_and_saveexec_b64 s[8:9], vcc
	s_cbranch_execz .LBB306_553
; %bb.548:
	s_mov_b32 s10, 0x37ffffff
	v_cmp_lt_u32_e32 vcc, s10, v4
	s_mov_b64 s[10:11], 0
                                        ; implicit-def: $vgpr3
	s_and_saveexec_b64 s[12:13], vcc
	s_xor_b64 s[12:13], exec, s[12:13]
	s_cbranch_execz .LBB306_988
; %bb.549:
	v_bfe_u32 v3, v4, 21, 1
	s_mov_b32 s14, 0x88fffff
	v_add3_u32 v3, v4, v3, s14
	s_mov_b64 s[10:11], exec
	v_lshrrev_b32_e32 v3, 21, v3
                                        ; implicit-def: $vgpr4
	s_andn2_saveexec_b64 s[12:13], s[12:13]
	s_cbranch_execnz .LBB306_989
.LBB306_550:
	s_or_b64 exec, exec, s[12:13]
	v_mov_b32_e32 v5, 0
	s_and_saveexec_b64 s[12:13], s[10:11]
.LBB306_551:
	v_mov_b32_e32 v5, v3
.LBB306_552:
	s_or_b64 exec, exec, s[12:13]
.LBB306_553:
	s_or_b64 exec, exec, s[8:9]
	s_mov_b64 s[8:9], 0
	global_store_byte v[0:1], v5, off
.LBB306_554:
	s_and_b64 vcc, exec, s[8:9]
	s_cbranch_vccz .LBB306_564
; %bb.555:
	v_cndmask_b32_e64 v3, 0, 1.0, s[38:39]
	s_mov_b32 s8, 0x43f00000
	v_cmp_gt_u32_e32 vcc, s8, v3
                                        ; implicit-def: $vgpr4
	s_and_saveexec_b64 s[8:9], vcc
	s_xor_b64 s[8:9], exec, s[8:9]
	s_cbranch_execz .LBB306_561
; %bb.556:
	s_mov_b32 s10, 0x3c7fffff
	v_cmp_lt_u32_e32 vcc, s10, v3
                                        ; implicit-def: $vgpr4
	s_and_saveexec_b64 s[10:11], vcc
	s_xor_b64 s[10:11], exec, s[10:11]
; %bb.557:
	v_bfe_u32 v4, v3, 20, 1
	s_mov_b32 s12, 0x407ffff
	v_add3_u32 v3, v3, v4, s12
	v_lshrrev_b32_e32 v4, 20, v3
	v_and_b32_e32 v3, 0xff00000, v3
	s_mov_b32 s12, 0x7f00000
	v_mov_b32_e32 v5, 0x7e
	v_cmp_ne_u32_e32 vcc, s12, v3
	v_cndmask_b32_e32 v4, v5, v4, vcc
                                        ; implicit-def: $vgpr3
; %bb.558:
	s_andn2_saveexec_b64 s[10:11], s[10:11]
; %bb.559:
	v_add_f32_e32 v4, 0x46800000, v3
; %bb.560:
	s_or_b64 exec, exec, s[10:11]
                                        ; implicit-def: $vgpr3
.LBB306_561:
	s_andn2_saveexec_b64 s[8:9], s[8:9]
; %bb.562:
	s_mov_b32 s10, 0x7f800000
	v_mov_b32_e32 v4, 0x7e
	v_mov_b32_e32 v5, 0x7f
	v_cmp_lt_u32_e32 vcc, s10, v3
	v_cndmask_b32_e32 v4, v4, v5, vcc
; %bb.563:
	s_or_b64 exec, exec, s[8:9]
	global_store_byte v[0:1], v4, off
.LBB306_564:
	s_mov_b64 s[8:9], 0
.LBB306_565:
	s_andn2_b64 vcc, exec, s[8:9]
	s_cbranch_vccnz .LBB306_575
; %bb.566:
	v_cndmask_b32_e64 v3, 0, 1.0, s[38:39]
	s_mov_b32 s8, 0x47800000
	v_cmp_gt_u32_e32 vcc, s8, v3
                                        ; implicit-def: $vgpr4
	s_and_saveexec_b64 s[8:9], vcc
	s_xor_b64 s[8:9], exec, s[8:9]
	s_cbranch_execz .LBB306_572
; %bb.567:
	s_mov_b32 s10, 0x387fffff
	v_cmp_lt_u32_e32 vcc, s10, v3
                                        ; implicit-def: $vgpr4
	s_and_saveexec_b64 s[10:11], vcc
	s_xor_b64 s[10:11], exec, s[10:11]
; %bb.568:
	v_bfe_u32 v4, v3, 21, 1
	s_mov_b32 s12, 0x80fffff
	v_add3_u32 v3, v3, v4, s12
	v_lshrrev_b32_e32 v4, 21, v3
                                        ; implicit-def: $vgpr3
; %bb.569:
	s_andn2_saveexec_b64 s[10:11], s[10:11]
; %bb.570:
	v_add_f32_e32 v4, 0x43000000, v3
; %bb.571:
	s_or_b64 exec, exec, s[10:11]
                                        ; implicit-def: $vgpr3
.LBB306_572:
	s_andn2_saveexec_b64 s[8:9], s[8:9]
; %bb.573:
	s_mov_b32 s10, 0x7f800000
	v_mov_b32_e32 v4, 0x7c
	v_mov_b32_e32 v5, 0x7f
	v_cmp_lt_u32_e32 vcc, s10, v3
	v_cndmask_b32_e32 v4, v4, v5, vcc
; %bb.574:
	s_or_b64 exec, exec, s[8:9]
	global_store_byte v[0:1], v4, off
.LBB306_575:
	s_mov_b64 s[8:9], 0
	s_mov_b64 s[12:13], -1
.LBB306_576:
	s_andn2_b64 vcc, exec, s[8:9]
	s_mov_b64 s[10:11], 0
	s_cbranch_vccnz .LBB306_583
; %bb.577:
	s_cmp_gt_i32 s16, 14
	s_mov_b64 s[8:9], -1
	s_cbranch_scc0 .LBB306_581
; %bb.578:
	s_cmp_eq_u32 s16, 15
	s_mov_b64 s[4:5], -1
	s_cbranch_scc0 .LBB306_580
; %bb.579:
	v_cndmask_b32_e64 v3, 0, 1.0, s[38:39]
	v_bfe_u32 v4, v3, 16, 1
	s_movk_i32 s4, 0x7fff
	v_add3_u32 v3, v3, v4, s4
	global_store_short_d16_hi v[0:1], v3, off
	s_mov_b64 s[4:5], 0
	s_mov_b64 s[12:13], -1
.LBB306_580:
	s_mov_b64 s[8:9], 0
.LBB306_581:
	s_and_b64 vcc, exec, s[8:9]
	s_cbranch_vccz .LBB306_583
; %bb.582:
	s_cmp_lg_u32 s16, 11
	s_mov_b64 s[10:11], -1
	s_cselect_b64 s[4:5], -1, 0
.LBB306_583:
	s_and_b64 vcc, exec, s[4:5]
	s_mov_b64 s[8:9], s[50:51]
	s_cbranch_vccnz .LBB306_987
; %bb.584:
	s_andn2_b64 vcc, exec, s[10:11]
	s_cbranch_vccnz .LBB306_586
.LBB306_585:
	v_cndmask_b32_e64 v3, 0, 1, s[38:39]
	global_store_byte v[0:1], v3, off
	s_mov_b64 s[12:13], -1
.LBB306_586:
.LBB306_587:
	s_andn2_b64 vcc, exec, s[12:13]
	s_cbranch_vccz .LBB306_627
	s_branch .LBB306_939
.LBB306_588:
	s_mov_b64 s[12:13], 0
	s_mov_b64 s[8:9], s[50:51]
	s_cbranch_execz .LBB306_587
; %bb.589:
	s_and_b32 s10, 0xffff, s18
	s_cmp_lt_i32 s10, 5
	s_mov_b64 s[4:5], -1
	s_cbranch_scc1 .LBB306_610
; %bb.590:
	s_cmp_lt_i32 s10, 8
	s_cbranch_scc1 .LBB306_600
; %bb.591:
	s_cmp_lt_i32 s10, 9
	s_cbranch_scc1 .LBB306_597
; %bb.592:
	s_cmp_gt_i32 s10, 9
	s_cbranch_scc0 .LBB306_594
; %bb.593:
	v_cndmask_b32_e64 v3, 0, 1, s[38:39]
	v_cvt_f64_u32_e32 v[3:4], v3
	v_mov_b32_e32 v5, 0
	v_mov_b32_e32 v6, v5
	s_mov_b64 s[4:5], 0
	global_store_dwordx4 v[0:1], v[3:6], off
.LBB306_594:
	s_andn2_b64 vcc, exec, s[4:5]
	s_cbranch_vccnz .LBB306_596
; %bb.595:
	v_cndmask_b32_e64 v3, 0, 1.0, s[38:39]
	v_mov_b32_e32 v4, 0
	global_store_dwordx2 v[0:1], v[3:4], off
.LBB306_596:
	s_mov_b64 s[4:5], 0
.LBB306_597:
	s_andn2_b64 vcc, exec, s[4:5]
	s_cbranch_vccnz .LBB306_599
; %bb.598:
	v_cndmask_b32_e64 v3, 0, 1.0, s[38:39]
	v_cvt_f16_f32_e32 v3, v3
	global_store_dword v[0:1], v3, off
.LBB306_599:
	s_mov_b64 s[4:5], 0
.LBB306_600:
	s_andn2_b64 vcc, exec, s[4:5]
	s_cbranch_vccnz .LBB306_609
; %bb.601:
	s_cmp_lt_i32 s10, 6
	s_mov_b64 s[4:5], -1
	s_cbranch_scc1 .LBB306_607
; %bb.602:
	s_cmp_gt_i32 s10, 6
	s_cbranch_scc0 .LBB306_604
; %bb.603:
	v_cndmask_b32_e64 v3, 0, 1, s[38:39]
	v_cvt_f64_u32_e32 v[3:4], v3
	s_mov_b64 s[4:5], 0
	global_store_dwordx2 v[0:1], v[3:4], off
.LBB306_604:
	s_andn2_b64 vcc, exec, s[4:5]
	s_cbranch_vccnz .LBB306_606
; %bb.605:
	v_cndmask_b32_e64 v3, 0, 1.0, s[38:39]
	global_store_dword v[0:1], v3, off
.LBB306_606:
	s_mov_b64 s[4:5], 0
.LBB306_607:
	s_andn2_b64 vcc, exec, s[4:5]
	s_cbranch_vccnz .LBB306_609
; %bb.608:
	v_cndmask_b32_e64 v3, 0, 1.0, s[38:39]
	v_cvt_f16_f32_e32 v3, v3
	global_store_short v[0:1], v3, off
.LBB306_609:
	s_mov_b64 s[4:5], 0
.LBB306_610:
	s_andn2_b64 vcc, exec, s[4:5]
	s_cbranch_vccnz .LBB306_626
; %bb.611:
	s_cmp_lt_i32 s10, 2
	s_mov_b64 s[4:5], -1
	s_cbranch_scc1 .LBB306_621
; %bb.612:
	s_cmp_lt_i32 s10, 3
	s_cbranch_scc1 .LBB306_618
; %bb.613:
	s_cmp_gt_i32 s10, 3
	s_cbranch_scc0 .LBB306_615
; %bb.614:
	s_mov_b32 s4, 0
	v_cndmask_b32_e64 v3, 0, 1, s[38:39]
	v_mov_b32_e32 v4, s4
	global_store_dwordx2 v[0:1], v[3:4], off
	s_mov_b64 s[4:5], 0
.LBB306_615:
	s_andn2_b64 vcc, exec, s[4:5]
	s_cbranch_vccnz .LBB306_617
; %bb.616:
	v_cndmask_b32_e64 v3, 0, 1, s[38:39]
	global_store_dword v[0:1], v3, off
.LBB306_617:
	s_mov_b64 s[4:5], 0
.LBB306_618:
	s_andn2_b64 vcc, exec, s[4:5]
	s_cbranch_vccnz .LBB306_620
; %bb.619:
	v_cndmask_b32_e64 v3, 0, 1, s[38:39]
	global_store_short v[0:1], v3, off
.LBB306_620:
	s_mov_b64 s[4:5], 0
.LBB306_621:
	s_andn2_b64 vcc, exec, s[4:5]
	s_cbranch_vccnz .LBB306_626
; %bb.622:
	s_mov_b64 s[4:5], -1
	s_cmp_gt_i32 s10, 0
	v_cndmask_b32_e64 v3, 0, 1, s[38:39]
	s_cbranch_scc0 .LBB306_624
; %bb.623:
	global_store_byte v[0:1], v3, off
	s_mov_b64 s[4:5], 0
.LBB306_624:
	s_andn2_b64 vcc, exec, s[4:5]
	s_cbranch_vccnz .LBB306_626
; %bb.625:
	global_store_byte v[0:1], v3, off
.LBB306_626:
.LBB306_627:
	s_lshl_b32 s19, s44, 7
	v_add_u32_e32 v2, s19, v2
	v_ashrrev_i32_e32 v1, 31, v2
	v_mov_b32_e32 v3, s41
	v_add_co_u32_e32 v0, vcc, s40, v2
	s_cmp_lt_i32 s18, 11
	v_addc_co_u32_e32 v1, vcc, v3, v1, vcc
	s_cbranch_scc1 .LBB306_706
; %bb.628:
	s_and_b32 s20, 0xffff, s18
	s_mov_b64 s[14:15], -1
	s_mov_b64 s[10:11], 0
	s_cmp_gt_i32 s20, 25
	s_mov_b64 s[12:13], 0
	s_mov_b64 s[4:5], 0
	s_cbranch_scc0 .LBB306_661
; %bb.629:
	s_cmp_gt_i32 s20, 28
	s_cbranch_scc0 .LBB306_644
; %bb.630:
	s_cmp_gt_i32 s20, 43
	;; [unrolled: 3-line block ×3, first 2 shown]
	s_cbranch_scc0 .LBB306_634
; %bb.632:
	s_mov_b64 s[4:5], -1
	s_mov_b64 s[14:15], 0
	s_cmp_eq_u32 s20, 46
	s_cbranch_scc0 .LBB306_634
; %bb.633:
	v_cndmask_b32_e64 v3, 0, 1.0, s[36:37]
	v_bfe_u32 v4, v3, 16, 1
	s_movk_i32 s4, 0x7fff
	v_add3_u32 v3, v3, v4, s4
	v_lshrrev_b32_e32 v3, 16, v3
	global_store_dword v[0:1], v3, off
	s_mov_b64 s[4:5], 0
	s_mov_b64 s[12:13], -1
.LBB306_634:
	s_and_b64 vcc, exec, s[14:15]
	s_cbranch_vccz .LBB306_639
; %bb.635:
	s_cmp_eq_u32 s20, 44
	s_mov_b64 s[4:5], -1
	s_cbranch_scc0 .LBB306_639
; %bb.636:
	v_cndmask_b32_e64 v4, 0, 1.0, s[36:37]
	v_lshrrev_b32_e32 v3, 23, v4
	s_movk_i32 s4, 0xff
	v_cmp_ne_u32_e32 vcc, s4, v3
	v_mov_b32_e32 v5, 0xff
	s_and_saveexec_b64 s[12:13], vcc
; %bb.637:
	s_mov_b32 s4, 0x3fffff
	v_and_b32_e32 v5, 0x400000, v4
	v_and_or_b32 v4, v4, s4, v3
	v_cmp_ne_u32_e32 vcc, 0, v5
	v_cmp_ne_u32_e64 s[4:5], 0, v4
	s_and_b64 s[4:5], vcc, s[4:5]
	v_cndmask_b32_e64 v4, 0, 1, s[4:5]
	v_add_u32_e32 v5, v3, v4
; %bb.638:
	s_or_b64 exec, exec, s[12:13]
	s_mov_b64 s[4:5], 0
	s_mov_b64 s[12:13], -1
	global_store_byte v[0:1], v5, off
.LBB306_639:
	s_mov_b64 s[14:15], 0
.LBB306_640:
	s_and_b64 vcc, exec, s[14:15]
	s_cbranch_vccz .LBB306_643
; %bb.641:
	s_cmp_eq_u32 s20, 29
	s_mov_b64 s[4:5], -1
	s_cbranch_scc0 .LBB306_643
; %bb.642:
	s_mov_b32 s4, 0
	v_cndmask_b32_e64 v3, 0, 1, s[36:37]
	v_mov_b32_e32 v4, s4
	global_store_dwordx2 v[0:1], v[3:4], off
	s_mov_b64 s[4:5], 0
	s_mov_b64 s[12:13], -1
.LBB306_643:
	s_mov_b64 s[14:15], 0
.LBB306_644:
	s_and_b64 vcc, exec, s[14:15]
	s_cbranch_vccz .LBB306_660
; %bb.645:
	s_cmp_lt_i32 s20, 27
	s_mov_b64 s[12:13], -1
	s_cbranch_scc1 .LBB306_651
; %bb.646:
	s_cmp_gt_i32 s20, 27
	s_cbranch_scc0 .LBB306_648
; %bb.647:
	v_cndmask_b32_e64 v3, 0, 1, s[36:37]
	s_mov_b64 s[12:13], 0
	global_store_dword v[0:1], v3, off
.LBB306_648:
	s_andn2_b64 vcc, exec, s[12:13]
	s_cbranch_vccnz .LBB306_650
; %bb.649:
	v_cndmask_b32_e64 v3, 0, 1, s[36:37]
	global_store_short v[0:1], v3, off
.LBB306_650:
	s_mov_b64 s[12:13], 0
.LBB306_651:
	s_andn2_b64 vcc, exec, s[12:13]
	s_cbranch_vccnz .LBB306_659
; %bb.652:
	v_cndmask_b32_e64 v4, 0, 1.0, s[36:37]
	s_mov_b32 s12, 0x43800000
	v_cmp_gt_u32_e32 vcc, s12, v4
	v_mov_b32_e32 v5, 0x80
	s_and_saveexec_b64 s[12:13], vcc
	s_cbranch_execz .LBB306_658
; %bb.653:
	s_mov_b32 s14, 0x3bffffff
	v_cmp_lt_u32_e32 vcc, s14, v4
	s_mov_b64 s[14:15], 0
                                        ; implicit-def: $vgpr3
	s_and_saveexec_b64 s[16:17], vcc
	s_xor_b64 s[16:17], exec, s[16:17]
	s_cbranch_execz .LBB306_990
; %bb.654:
	v_bfe_u32 v3, v4, 20, 1
	s_mov_b32 s21, 0x487ffff
	v_add3_u32 v3, v4, v3, s21
	s_mov_b64 s[14:15], exec
	v_lshrrev_b32_e32 v3, 20, v3
                                        ; implicit-def: $vgpr4
	s_andn2_saveexec_b64 s[16:17], s[16:17]
	s_cbranch_execnz .LBB306_991
.LBB306_655:
	s_or_b64 exec, exec, s[16:17]
	v_mov_b32_e32 v5, 0
	s_and_saveexec_b64 s[16:17], s[14:15]
.LBB306_656:
	v_mov_b32_e32 v5, v3
.LBB306_657:
	s_or_b64 exec, exec, s[16:17]
.LBB306_658:
	s_or_b64 exec, exec, s[12:13]
	global_store_byte v[0:1], v5, off
.LBB306_659:
	s_mov_b64 s[12:13], -1
.LBB306_660:
	s_mov_b64 s[14:15], 0
.LBB306_661:
	s_and_b64 vcc, exec, s[14:15]
	s_cbranch_vccz .LBB306_701
; %bb.662:
	s_cmp_gt_i32 s20, 22
	s_mov_b64 s[10:11], -1
	s_cbranch_scc0 .LBB306_694
; %bb.663:
	s_cmp_lt_i32 s20, 24
	s_cbranch_scc1 .LBB306_683
; %bb.664:
	s_cmp_gt_i32 s20, 24
	s_cbranch_scc0 .LBB306_672
; %bb.665:
	v_cndmask_b32_e64 v4, 0, 1.0, s[36:37]
	s_mov_b32 s10, 0x47800000
	v_cmp_gt_u32_e32 vcc, s10, v4
	v_mov_b32_e32 v5, 0x80
	s_and_saveexec_b64 s[10:11], vcc
	s_cbranch_execz .LBB306_671
; %bb.666:
	s_mov_b32 s12, 0x37ffffff
	v_cmp_lt_u32_e32 vcc, s12, v4
	s_mov_b64 s[12:13], 0
                                        ; implicit-def: $vgpr3
	s_and_saveexec_b64 s[14:15], vcc
	s_xor_b64 s[14:15], exec, s[14:15]
	s_cbranch_execz .LBB306_993
; %bb.667:
	v_bfe_u32 v3, v4, 21, 1
	s_mov_b32 s16, 0x88fffff
	v_add3_u32 v3, v4, v3, s16
	s_mov_b64 s[12:13], exec
	v_lshrrev_b32_e32 v3, 21, v3
                                        ; implicit-def: $vgpr4
	s_andn2_saveexec_b64 s[14:15], s[14:15]
	s_cbranch_execnz .LBB306_994
.LBB306_668:
	s_or_b64 exec, exec, s[14:15]
	v_mov_b32_e32 v5, 0
	s_and_saveexec_b64 s[14:15], s[12:13]
.LBB306_669:
	v_mov_b32_e32 v5, v3
.LBB306_670:
	s_or_b64 exec, exec, s[14:15]
.LBB306_671:
	s_or_b64 exec, exec, s[10:11]
	s_mov_b64 s[10:11], 0
	global_store_byte v[0:1], v5, off
.LBB306_672:
	s_and_b64 vcc, exec, s[10:11]
	s_cbranch_vccz .LBB306_682
; %bb.673:
	v_cndmask_b32_e64 v3, 0, 1.0, s[36:37]
	s_mov_b32 s10, 0x43f00000
	v_cmp_gt_u32_e32 vcc, s10, v3
                                        ; implicit-def: $vgpr4
	s_and_saveexec_b64 s[10:11], vcc
	s_xor_b64 s[10:11], exec, s[10:11]
	s_cbranch_execz .LBB306_679
; %bb.674:
	s_mov_b32 s12, 0x3c7fffff
	v_cmp_lt_u32_e32 vcc, s12, v3
                                        ; implicit-def: $vgpr4
	s_and_saveexec_b64 s[12:13], vcc
	s_xor_b64 s[12:13], exec, s[12:13]
; %bb.675:
	v_bfe_u32 v4, v3, 20, 1
	s_mov_b32 s14, 0x407ffff
	v_add3_u32 v3, v3, v4, s14
	v_lshrrev_b32_e32 v4, 20, v3
	v_and_b32_e32 v3, 0xff00000, v3
	s_mov_b32 s14, 0x7f00000
	v_mov_b32_e32 v5, 0x7e
	v_cmp_ne_u32_e32 vcc, s14, v3
	v_cndmask_b32_e32 v4, v5, v4, vcc
                                        ; implicit-def: $vgpr3
; %bb.676:
	s_andn2_saveexec_b64 s[12:13], s[12:13]
; %bb.677:
	v_add_f32_e32 v4, 0x46800000, v3
; %bb.678:
	s_or_b64 exec, exec, s[12:13]
                                        ; implicit-def: $vgpr3
.LBB306_679:
	s_andn2_saveexec_b64 s[10:11], s[10:11]
; %bb.680:
	s_mov_b32 s12, 0x7f800000
	v_mov_b32_e32 v4, 0x7e
	v_mov_b32_e32 v5, 0x7f
	v_cmp_lt_u32_e32 vcc, s12, v3
	v_cndmask_b32_e32 v4, v4, v5, vcc
; %bb.681:
	s_or_b64 exec, exec, s[10:11]
	global_store_byte v[0:1], v4, off
.LBB306_682:
	s_mov_b64 s[10:11], 0
.LBB306_683:
	s_andn2_b64 vcc, exec, s[10:11]
	s_cbranch_vccnz .LBB306_693
; %bb.684:
	v_cndmask_b32_e64 v3, 0, 1.0, s[36:37]
	s_mov_b32 s10, 0x47800000
	v_cmp_gt_u32_e32 vcc, s10, v3
                                        ; implicit-def: $vgpr4
	s_and_saveexec_b64 s[10:11], vcc
	s_xor_b64 s[10:11], exec, s[10:11]
	s_cbranch_execz .LBB306_690
; %bb.685:
	s_mov_b32 s12, 0x387fffff
	v_cmp_lt_u32_e32 vcc, s12, v3
                                        ; implicit-def: $vgpr4
	s_and_saveexec_b64 s[12:13], vcc
	s_xor_b64 s[12:13], exec, s[12:13]
; %bb.686:
	v_bfe_u32 v4, v3, 21, 1
	s_mov_b32 s14, 0x80fffff
	v_add3_u32 v3, v3, v4, s14
	v_lshrrev_b32_e32 v4, 21, v3
                                        ; implicit-def: $vgpr3
; %bb.687:
	s_andn2_saveexec_b64 s[12:13], s[12:13]
; %bb.688:
	v_add_f32_e32 v4, 0x43000000, v3
; %bb.689:
	s_or_b64 exec, exec, s[12:13]
                                        ; implicit-def: $vgpr3
.LBB306_690:
	s_andn2_saveexec_b64 s[10:11], s[10:11]
; %bb.691:
	s_mov_b32 s12, 0x7f800000
	v_mov_b32_e32 v4, 0x7c
	v_mov_b32_e32 v5, 0x7f
	v_cmp_lt_u32_e32 vcc, s12, v3
	v_cndmask_b32_e32 v4, v4, v5, vcc
; %bb.692:
	s_or_b64 exec, exec, s[10:11]
	global_store_byte v[0:1], v4, off
.LBB306_693:
	s_mov_b64 s[10:11], 0
	s_mov_b64 s[12:13], -1
.LBB306_694:
	s_andn2_b64 vcc, exec, s[10:11]
	s_mov_b64 s[10:11], 0
	s_cbranch_vccnz .LBB306_701
; %bb.695:
	s_cmp_gt_i32 s20, 14
	s_mov_b64 s[14:15], -1
	s_cbranch_scc0 .LBB306_699
; %bb.696:
	s_cmp_eq_u32 s20, 15
	s_mov_b64 s[4:5], -1
	s_cbranch_scc0 .LBB306_698
; %bb.697:
	v_cndmask_b32_e64 v3, 0, 1.0, s[36:37]
	v_bfe_u32 v4, v3, 16, 1
	s_movk_i32 s4, 0x7fff
	v_add3_u32 v3, v3, v4, s4
	global_store_short_d16_hi v[0:1], v3, off
	s_mov_b64 s[4:5], 0
	s_mov_b64 s[12:13], -1
.LBB306_698:
	s_mov_b64 s[14:15], 0
.LBB306_699:
	s_and_b64 vcc, exec, s[14:15]
	s_cbranch_vccz .LBB306_701
; %bb.700:
	s_cmp_lg_u32 s20, 11
	s_mov_b64 s[10:11], -1
	s_cselect_b64 s[4:5], -1, 0
.LBB306_701:
	s_and_b64 vcc, exec, s[4:5]
	s_cbranch_vccnz .LBB306_992
; %bb.702:
	s_andn2_b64 vcc, exec, s[10:11]
	s_cbranch_vccnz .LBB306_704
.LBB306_703:
	v_cndmask_b32_e64 v3, 0, 1, s[36:37]
	s_mov_b64 s[12:13], -1
	global_store_byte v[0:1], v3, off
.LBB306_704:
.LBB306_705:
	s_andn2_b64 vcc, exec, s[12:13]
	s_cbranch_vccz .LBB306_745
	s_branch .LBB306_939
.LBB306_706:
	s_mov_b64 s[12:13], 0
	s_cbranch_execz .LBB306_705
; %bb.707:
	s_and_b32 s10, 0xffff, s18
	s_cmp_lt_i32 s10, 5
	s_mov_b64 s[4:5], -1
	s_cbranch_scc1 .LBB306_728
; %bb.708:
	s_cmp_lt_i32 s10, 8
	s_cbranch_scc1 .LBB306_718
; %bb.709:
	s_cmp_lt_i32 s10, 9
	s_cbranch_scc1 .LBB306_715
; %bb.710:
	s_cmp_gt_i32 s10, 9
	s_cbranch_scc0 .LBB306_712
; %bb.711:
	v_cndmask_b32_e64 v3, 0, 1, s[36:37]
	v_cvt_f64_u32_e32 v[3:4], v3
	v_mov_b32_e32 v5, 0
	v_mov_b32_e32 v6, v5
	s_mov_b64 s[4:5], 0
	global_store_dwordx4 v[0:1], v[3:6], off
.LBB306_712:
	s_andn2_b64 vcc, exec, s[4:5]
	s_cbranch_vccnz .LBB306_714
; %bb.713:
	v_cndmask_b32_e64 v3, 0, 1.0, s[36:37]
	v_mov_b32_e32 v4, 0
	global_store_dwordx2 v[0:1], v[3:4], off
.LBB306_714:
	s_mov_b64 s[4:5], 0
.LBB306_715:
	s_andn2_b64 vcc, exec, s[4:5]
	s_cbranch_vccnz .LBB306_717
; %bb.716:
	v_cndmask_b32_e64 v3, 0, 1.0, s[36:37]
	v_cvt_f16_f32_e32 v3, v3
	global_store_dword v[0:1], v3, off
.LBB306_717:
	s_mov_b64 s[4:5], 0
.LBB306_718:
	s_andn2_b64 vcc, exec, s[4:5]
	s_cbranch_vccnz .LBB306_727
; %bb.719:
	s_cmp_lt_i32 s10, 6
	s_mov_b64 s[4:5], -1
	s_cbranch_scc1 .LBB306_725
; %bb.720:
	s_cmp_gt_i32 s10, 6
	s_cbranch_scc0 .LBB306_722
; %bb.721:
	v_cndmask_b32_e64 v3, 0, 1, s[36:37]
	v_cvt_f64_u32_e32 v[3:4], v3
	s_mov_b64 s[4:5], 0
	global_store_dwordx2 v[0:1], v[3:4], off
.LBB306_722:
	s_andn2_b64 vcc, exec, s[4:5]
	s_cbranch_vccnz .LBB306_724
; %bb.723:
	v_cndmask_b32_e64 v3, 0, 1.0, s[36:37]
	global_store_dword v[0:1], v3, off
.LBB306_724:
	s_mov_b64 s[4:5], 0
.LBB306_725:
	s_andn2_b64 vcc, exec, s[4:5]
	s_cbranch_vccnz .LBB306_727
; %bb.726:
	v_cndmask_b32_e64 v3, 0, 1.0, s[36:37]
	v_cvt_f16_f32_e32 v3, v3
	global_store_short v[0:1], v3, off
.LBB306_727:
	s_mov_b64 s[4:5], 0
.LBB306_728:
	s_andn2_b64 vcc, exec, s[4:5]
	s_cbranch_vccnz .LBB306_744
; %bb.729:
	s_cmp_lt_i32 s10, 2
	s_mov_b64 s[4:5], -1
	s_cbranch_scc1 .LBB306_739
; %bb.730:
	s_cmp_lt_i32 s10, 3
	s_cbranch_scc1 .LBB306_736
; %bb.731:
	s_cmp_gt_i32 s10, 3
	s_cbranch_scc0 .LBB306_733
; %bb.732:
	s_mov_b32 s4, 0
	v_cndmask_b32_e64 v3, 0, 1, s[36:37]
	v_mov_b32_e32 v4, s4
	global_store_dwordx2 v[0:1], v[3:4], off
	s_mov_b64 s[4:5], 0
.LBB306_733:
	s_andn2_b64 vcc, exec, s[4:5]
	s_cbranch_vccnz .LBB306_735
; %bb.734:
	v_cndmask_b32_e64 v3, 0, 1, s[36:37]
	global_store_dword v[0:1], v3, off
.LBB306_735:
	s_mov_b64 s[4:5], 0
.LBB306_736:
	s_andn2_b64 vcc, exec, s[4:5]
	s_cbranch_vccnz .LBB306_738
; %bb.737:
	v_cndmask_b32_e64 v3, 0, 1, s[36:37]
	global_store_short v[0:1], v3, off
.LBB306_738:
	s_mov_b64 s[4:5], 0
.LBB306_739:
	s_andn2_b64 vcc, exec, s[4:5]
	s_cbranch_vccnz .LBB306_744
; %bb.740:
	s_mov_b64 s[4:5], -1
	s_cmp_gt_i32 s10, 0
	v_cndmask_b32_e64 v3, 0, 1, s[36:37]
	s_cbranch_scc0 .LBB306_742
; %bb.741:
	global_store_byte v[0:1], v3, off
	s_mov_b64 s[4:5], 0
.LBB306_742:
	s_andn2_b64 vcc, exec, s[4:5]
	s_cbranch_vccnz .LBB306_744
; %bb.743:
	global_store_byte v[0:1], v3, off
.LBB306_744:
.LBB306_745:
	v_add_u32_e32 v2, s19, v2
	v_ashrrev_i32_e32 v1, 31, v2
	v_mov_b32_e32 v3, s41
	v_add_co_u32_e32 v0, vcc, s40, v2
	s_cmp_lt_i32 s18, 11
	v_addc_co_u32_e32 v1, vcc, v3, v1, vcc
	s_cbranch_scc1 .LBB306_900
; %bb.746:
	s_and_b32 s20, 0xffff, s18
	s_mov_b64 s[14:15], -1
	s_mov_b64 s[10:11], 0
	s_cmp_gt_i32 s20, 25
	s_mov_b64 s[12:13], 0
	s_mov_b64 s[4:5], 0
	s_cbranch_scc0 .LBB306_779
; %bb.747:
	s_cmp_gt_i32 s20, 28
	s_cbranch_scc0 .LBB306_762
; %bb.748:
	s_cmp_gt_i32 s20, 43
	;; [unrolled: 3-line block ×3, first 2 shown]
	s_cbranch_scc0 .LBB306_752
; %bb.750:
	s_mov_b64 s[4:5], -1
	s_mov_b64 s[14:15], 0
	s_cmp_eq_u32 s20, 46
	s_cbranch_scc0 .LBB306_752
; %bb.751:
	v_cndmask_b32_e64 v3, 0, 1.0, s[34:35]
	v_bfe_u32 v4, v3, 16, 1
	s_movk_i32 s4, 0x7fff
	v_add3_u32 v3, v3, v4, s4
	v_lshrrev_b32_e32 v3, 16, v3
	global_store_dword v[0:1], v3, off
	s_mov_b64 s[4:5], 0
	s_mov_b64 s[12:13], -1
.LBB306_752:
	s_and_b64 vcc, exec, s[14:15]
	s_cbranch_vccz .LBB306_757
; %bb.753:
	s_cmp_eq_u32 s20, 44
	s_mov_b64 s[4:5], -1
	s_cbranch_scc0 .LBB306_757
; %bb.754:
	v_cndmask_b32_e64 v4, 0, 1.0, s[34:35]
	v_lshrrev_b32_e32 v3, 23, v4
	s_movk_i32 s4, 0xff
	v_cmp_ne_u32_e32 vcc, s4, v3
	v_mov_b32_e32 v5, 0xff
	s_and_saveexec_b64 s[12:13], vcc
; %bb.755:
	s_mov_b32 s4, 0x3fffff
	v_and_b32_e32 v5, 0x400000, v4
	v_and_or_b32 v4, v4, s4, v3
	v_cmp_ne_u32_e32 vcc, 0, v5
	v_cmp_ne_u32_e64 s[4:5], 0, v4
	s_and_b64 s[4:5], vcc, s[4:5]
	v_cndmask_b32_e64 v4, 0, 1, s[4:5]
	v_add_u32_e32 v5, v3, v4
; %bb.756:
	s_or_b64 exec, exec, s[12:13]
	s_mov_b64 s[4:5], 0
	s_mov_b64 s[12:13], -1
	global_store_byte v[0:1], v5, off
.LBB306_757:
	s_mov_b64 s[14:15], 0
.LBB306_758:
	s_and_b64 vcc, exec, s[14:15]
	s_cbranch_vccz .LBB306_761
; %bb.759:
	s_cmp_eq_u32 s20, 29
	s_mov_b64 s[4:5], -1
	s_cbranch_scc0 .LBB306_761
; %bb.760:
	s_mov_b32 s4, 0
	v_cndmask_b32_e64 v3, 0, 1, s[34:35]
	v_mov_b32_e32 v4, s4
	global_store_dwordx2 v[0:1], v[3:4], off
	s_mov_b64 s[4:5], 0
	s_mov_b64 s[12:13], -1
.LBB306_761:
	s_mov_b64 s[14:15], 0
.LBB306_762:
	s_and_b64 vcc, exec, s[14:15]
	s_cbranch_vccz .LBB306_778
; %bb.763:
	s_cmp_lt_i32 s20, 27
	s_mov_b64 s[12:13], -1
	s_cbranch_scc1 .LBB306_769
; %bb.764:
	s_cmp_gt_i32 s20, 27
	s_cbranch_scc0 .LBB306_766
; %bb.765:
	v_cndmask_b32_e64 v3, 0, 1, s[34:35]
	s_mov_b64 s[12:13], 0
	global_store_dword v[0:1], v3, off
.LBB306_766:
	s_andn2_b64 vcc, exec, s[12:13]
	s_cbranch_vccnz .LBB306_768
; %bb.767:
	v_cndmask_b32_e64 v3, 0, 1, s[34:35]
	global_store_short v[0:1], v3, off
.LBB306_768:
	s_mov_b64 s[12:13], 0
.LBB306_769:
	s_andn2_b64 vcc, exec, s[12:13]
	s_cbranch_vccnz .LBB306_777
; %bb.770:
	v_cndmask_b32_e64 v4, 0, 1.0, s[34:35]
	s_mov_b32 s12, 0x43800000
	v_cmp_gt_u32_e32 vcc, s12, v4
	v_mov_b32_e32 v5, 0x80
	s_and_saveexec_b64 s[12:13], vcc
	s_cbranch_execz .LBB306_776
; %bb.771:
	s_mov_b32 s14, 0x3bffffff
	v_cmp_lt_u32_e32 vcc, s14, v4
	s_mov_b64 s[14:15], 0
                                        ; implicit-def: $vgpr3
	s_and_saveexec_b64 s[16:17], vcc
	s_xor_b64 s[16:17], exec, s[16:17]
	s_cbranch_execz .LBB306_995
; %bb.772:
	v_bfe_u32 v3, v4, 20, 1
	s_mov_b32 s21, 0x487ffff
	v_add3_u32 v3, v4, v3, s21
	s_mov_b64 s[14:15], exec
	v_lshrrev_b32_e32 v3, 20, v3
                                        ; implicit-def: $vgpr4
	s_andn2_saveexec_b64 s[16:17], s[16:17]
	s_cbranch_execnz .LBB306_996
.LBB306_773:
	s_or_b64 exec, exec, s[16:17]
	v_mov_b32_e32 v5, 0
	s_and_saveexec_b64 s[16:17], s[14:15]
.LBB306_774:
	v_mov_b32_e32 v5, v3
.LBB306_775:
	s_or_b64 exec, exec, s[16:17]
.LBB306_776:
	s_or_b64 exec, exec, s[12:13]
	global_store_byte v[0:1], v5, off
.LBB306_777:
	s_mov_b64 s[12:13], -1
.LBB306_778:
	s_mov_b64 s[14:15], 0
.LBB306_779:
	s_and_b64 vcc, exec, s[14:15]
	s_cbranch_vccz .LBB306_819
; %bb.780:
	s_cmp_gt_i32 s20, 22
	s_mov_b64 s[10:11], -1
	s_cbranch_scc0 .LBB306_812
; %bb.781:
	s_cmp_lt_i32 s20, 24
	s_cbranch_scc1 .LBB306_801
; %bb.782:
	s_cmp_gt_i32 s20, 24
	s_cbranch_scc0 .LBB306_790
; %bb.783:
	v_cndmask_b32_e64 v4, 0, 1.0, s[34:35]
	s_mov_b32 s10, 0x47800000
	v_cmp_gt_u32_e32 vcc, s10, v4
	v_mov_b32_e32 v5, 0x80
	s_and_saveexec_b64 s[10:11], vcc
	s_cbranch_execz .LBB306_789
; %bb.784:
	s_mov_b32 s12, 0x37ffffff
	v_cmp_lt_u32_e32 vcc, s12, v4
	s_mov_b64 s[12:13], 0
                                        ; implicit-def: $vgpr3
	s_and_saveexec_b64 s[14:15], vcc
	s_xor_b64 s[14:15], exec, s[14:15]
	s_cbranch_execz .LBB306_1000
; %bb.785:
	v_bfe_u32 v3, v4, 21, 1
	s_mov_b32 s16, 0x88fffff
	v_add3_u32 v3, v4, v3, s16
	s_mov_b64 s[12:13], exec
	v_lshrrev_b32_e32 v3, 21, v3
                                        ; implicit-def: $vgpr4
	s_andn2_saveexec_b64 s[14:15], s[14:15]
	s_cbranch_execnz .LBB306_1001
.LBB306_786:
	s_or_b64 exec, exec, s[14:15]
	v_mov_b32_e32 v5, 0
	s_and_saveexec_b64 s[14:15], s[12:13]
.LBB306_787:
	v_mov_b32_e32 v5, v3
.LBB306_788:
	s_or_b64 exec, exec, s[14:15]
.LBB306_789:
	s_or_b64 exec, exec, s[10:11]
	s_mov_b64 s[10:11], 0
	global_store_byte v[0:1], v5, off
.LBB306_790:
	s_and_b64 vcc, exec, s[10:11]
	s_cbranch_vccz .LBB306_800
; %bb.791:
	v_cndmask_b32_e64 v3, 0, 1.0, s[34:35]
	s_mov_b32 s10, 0x43f00000
	v_cmp_gt_u32_e32 vcc, s10, v3
                                        ; implicit-def: $vgpr4
	s_and_saveexec_b64 s[10:11], vcc
	s_xor_b64 s[10:11], exec, s[10:11]
	s_cbranch_execz .LBB306_797
; %bb.792:
	s_mov_b32 s12, 0x3c7fffff
	v_cmp_lt_u32_e32 vcc, s12, v3
                                        ; implicit-def: $vgpr4
	s_and_saveexec_b64 s[12:13], vcc
	s_xor_b64 s[12:13], exec, s[12:13]
; %bb.793:
	v_bfe_u32 v4, v3, 20, 1
	s_mov_b32 s14, 0x407ffff
	v_add3_u32 v3, v3, v4, s14
	v_lshrrev_b32_e32 v4, 20, v3
	v_and_b32_e32 v3, 0xff00000, v3
	s_mov_b32 s14, 0x7f00000
	v_mov_b32_e32 v5, 0x7e
	v_cmp_ne_u32_e32 vcc, s14, v3
	v_cndmask_b32_e32 v4, v5, v4, vcc
                                        ; implicit-def: $vgpr3
; %bb.794:
	s_andn2_saveexec_b64 s[12:13], s[12:13]
; %bb.795:
	v_add_f32_e32 v4, 0x46800000, v3
; %bb.796:
	s_or_b64 exec, exec, s[12:13]
                                        ; implicit-def: $vgpr3
.LBB306_797:
	s_andn2_saveexec_b64 s[10:11], s[10:11]
; %bb.798:
	s_mov_b32 s12, 0x7f800000
	v_mov_b32_e32 v4, 0x7e
	v_mov_b32_e32 v5, 0x7f
	v_cmp_lt_u32_e32 vcc, s12, v3
	v_cndmask_b32_e32 v4, v4, v5, vcc
; %bb.799:
	s_or_b64 exec, exec, s[10:11]
	global_store_byte v[0:1], v4, off
.LBB306_800:
	s_mov_b64 s[10:11], 0
.LBB306_801:
	s_andn2_b64 vcc, exec, s[10:11]
	s_cbranch_vccnz .LBB306_811
; %bb.802:
	v_cndmask_b32_e64 v3, 0, 1.0, s[34:35]
	s_mov_b32 s10, 0x47800000
	v_cmp_gt_u32_e32 vcc, s10, v3
                                        ; implicit-def: $vgpr4
	s_and_saveexec_b64 s[10:11], vcc
	s_xor_b64 s[10:11], exec, s[10:11]
	s_cbranch_execz .LBB306_808
; %bb.803:
	s_mov_b32 s12, 0x387fffff
	v_cmp_lt_u32_e32 vcc, s12, v3
                                        ; implicit-def: $vgpr4
	s_and_saveexec_b64 s[12:13], vcc
	s_xor_b64 s[12:13], exec, s[12:13]
; %bb.804:
	v_bfe_u32 v4, v3, 21, 1
	s_mov_b32 s14, 0x80fffff
	v_add3_u32 v3, v3, v4, s14
	v_lshrrev_b32_e32 v4, 21, v3
                                        ; implicit-def: $vgpr3
; %bb.805:
	s_andn2_saveexec_b64 s[12:13], s[12:13]
; %bb.806:
	v_add_f32_e32 v4, 0x43000000, v3
; %bb.807:
	s_or_b64 exec, exec, s[12:13]
                                        ; implicit-def: $vgpr3
.LBB306_808:
	s_andn2_saveexec_b64 s[10:11], s[10:11]
; %bb.809:
	s_mov_b32 s12, 0x7f800000
	v_mov_b32_e32 v4, 0x7c
	v_mov_b32_e32 v5, 0x7f
	v_cmp_lt_u32_e32 vcc, s12, v3
	v_cndmask_b32_e32 v4, v4, v5, vcc
; %bb.810:
	s_or_b64 exec, exec, s[10:11]
	global_store_byte v[0:1], v4, off
.LBB306_811:
	s_mov_b64 s[10:11], 0
	s_mov_b64 s[12:13], -1
.LBB306_812:
	s_andn2_b64 vcc, exec, s[10:11]
	s_mov_b64 s[10:11], 0
	s_cbranch_vccnz .LBB306_819
; %bb.813:
	s_cmp_gt_i32 s20, 14
	s_mov_b64 s[14:15], -1
	s_cbranch_scc0 .LBB306_817
; %bb.814:
	s_cmp_eq_u32 s20, 15
	s_mov_b64 s[4:5], -1
	s_cbranch_scc0 .LBB306_816
; %bb.815:
	v_cndmask_b32_e64 v3, 0, 1.0, s[34:35]
	v_bfe_u32 v4, v3, 16, 1
	s_movk_i32 s4, 0x7fff
	v_add3_u32 v3, v3, v4, s4
	global_store_short_d16_hi v[0:1], v3, off
	s_mov_b64 s[4:5], 0
	s_mov_b64 s[12:13], -1
.LBB306_816:
	s_mov_b64 s[14:15], 0
.LBB306_817:
	s_and_b64 vcc, exec, s[14:15]
	s_cbranch_vccz .LBB306_819
; %bb.818:
	s_cmp_lg_u32 s20, 11
	s_mov_b64 s[10:11], -1
	s_cselect_b64 s[4:5], -1, 0
.LBB306_819:
	s_and_b64 vcc, exec, s[4:5]
	s_cbranch_vccnz .LBB306_997
; %bb.820:
	s_andn2_b64 vcc, exec, s[10:11]
	s_cbranch_vccnz .LBB306_822
.LBB306_821:
	v_cndmask_b32_e64 v3, 0, 1, s[34:35]
	s_mov_b64 s[12:13], -1
	global_store_byte v[0:1], v3, off
.LBB306_822:
.LBB306_823:
	s_andn2_b64 vcc, exec, s[12:13]
	s_cbranch_vccnz .LBB306_939
.LBB306_824:
	v_add_u32_e32 v0, s19, v2
	v_ashrrev_i32_e32 v1, 31, v0
	v_mov_b32_e32 v2, s41
	v_add_co_u32_e32 v0, vcc, s40, v0
	s_cmp_lt_i32 s18, 11
	v_addc_co_u32_e32 v1, vcc, v2, v1, vcc
	s_cbranch_scc1 .LBB306_984
; %bb.825:
	s_and_b32 s19, 0xffff, s18
	s_mov_b64 s[12:13], -1
	s_mov_b64 s[10:11], 0
	s_cmp_gt_i32 s19, 25
	s_mov_b64 s[4:5], 0
	s_cbranch_scc0 .LBB306_858
; %bb.826:
	s_cmp_gt_i32 s19, 28
	s_cbranch_scc0 .LBB306_842
; %bb.827:
	s_cmp_gt_i32 s19, 43
	;; [unrolled: 3-line block ×3, first 2 shown]
	s_cbranch_scc0 .LBB306_832
; %bb.829:
	s_cmp_eq_u32 s19, 46
	s_mov_b64 s[4:5], -1
	s_cbranch_scc0 .LBB306_831
; %bb.830:
	v_cndmask_b32_e64 v2, 0, 1.0, s[6:7]
	v_bfe_u32 v3, v2, 16, 1
	s_movk_i32 s4, 0x7fff
	v_add3_u32 v2, v2, v3, s4
	v_lshrrev_b32_e32 v2, 16, v2
	global_store_dword v[0:1], v2, off
	s_mov_b64 s[4:5], 0
.LBB306_831:
	s_mov_b64 s[12:13], 0
.LBB306_832:
	s_and_b64 vcc, exec, s[12:13]
	s_cbranch_vccz .LBB306_837
; %bb.833:
	s_cmp_eq_u32 s19, 44
	s_mov_b64 s[4:5], -1
	s_cbranch_scc0 .LBB306_837
; %bb.834:
	v_cndmask_b32_e64 v3, 0, 1.0, s[6:7]
	v_lshrrev_b32_e32 v2, 23, v3
	s_movk_i32 s4, 0xff
	v_cmp_ne_u32_e32 vcc, s4, v2
	v_mov_b32_e32 v4, 0xff
	s_and_saveexec_b64 s[12:13], vcc
; %bb.835:
	s_mov_b32 s4, 0x3fffff
	v_and_b32_e32 v4, 0x400000, v3
	v_and_or_b32 v3, v3, s4, v2
	v_cmp_ne_u32_e32 vcc, 0, v4
	v_cmp_ne_u32_e64 s[4:5], 0, v3
	s_and_b64 s[4:5], vcc, s[4:5]
	v_cndmask_b32_e64 v3, 0, 1, s[4:5]
	v_add_u32_e32 v4, v2, v3
; %bb.836:
	s_or_b64 exec, exec, s[12:13]
	s_mov_b64 s[4:5], 0
	global_store_byte v[0:1], v4, off
.LBB306_837:
	s_mov_b64 s[12:13], 0
.LBB306_838:
	s_and_b64 vcc, exec, s[12:13]
	s_cbranch_vccz .LBB306_841
; %bb.839:
	s_cmp_eq_u32 s19, 29
	s_mov_b64 s[4:5], -1
	s_cbranch_scc0 .LBB306_841
; %bb.840:
	s_mov_b32 s4, 0
	v_cndmask_b32_e64 v2, 0, 1, s[6:7]
	v_mov_b32_e32 v3, s4
	global_store_dwordx2 v[0:1], v[2:3], off
	s_mov_b64 s[4:5], 0
.LBB306_841:
	s_mov_b64 s[12:13], 0
.LBB306_842:
	s_and_b64 vcc, exec, s[12:13]
	s_cbranch_vccz .LBB306_857
; %bb.843:
	s_cmp_lt_i32 s19, 27
	s_mov_b64 s[12:13], -1
	s_cbranch_scc1 .LBB306_849
; %bb.844:
	s_cmp_gt_i32 s19, 27
	v_cndmask_b32_e64 v2, 0, 1, s[6:7]
	s_cbranch_scc0 .LBB306_846
; %bb.845:
	global_store_dword v[0:1], v2, off
	s_mov_b64 s[12:13], 0
.LBB306_846:
	s_andn2_b64 vcc, exec, s[12:13]
	s_cbranch_vccnz .LBB306_848
; %bb.847:
	global_store_short v[0:1], v2, off
.LBB306_848:
	s_mov_b64 s[12:13], 0
.LBB306_849:
	s_andn2_b64 vcc, exec, s[12:13]
	s_cbranch_vccnz .LBB306_857
; %bb.850:
	v_cndmask_b32_e64 v3, 0, 1.0, s[6:7]
	s_mov_b32 s12, 0x43800000
	v_cmp_gt_u32_e32 vcc, s12, v3
	v_mov_b32_e32 v4, 0x80
	s_and_saveexec_b64 s[12:13], vcc
	s_cbranch_execz .LBB306_856
; %bb.851:
	s_mov_b32 s14, 0x3bffffff
	v_cmp_lt_u32_e32 vcc, s14, v3
	s_mov_b64 s[14:15], 0
                                        ; implicit-def: $vgpr2
	s_and_saveexec_b64 s[16:17], vcc
	s_xor_b64 s[16:17], exec, s[16:17]
	s_cbranch_execz .LBB306_1002
; %bb.852:
	v_bfe_u32 v2, v3, 20, 1
	s_mov_b32 s20, 0x487ffff
	v_add3_u32 v2, v3, v2, s20
	s_mov_b64 s[14:15], exec
	v_lshrrev_b32_e32 v2, 20, v2
                                        ; implicit-def: $vgpr3
	s_andn2_saveexec_b64 s[16:17], s[16:17]
	s_cbranch_execnz .LBB306_1003
.LBB306_853:
	s_or_b64 exec, exec, s[16:17]
	v_mov_b32_e32 v4, 0
	s_and_saveexec_b64 s[16:17], s[14:15]
.LBB306_854:
	v_mov_b32_e32 v4, v2
.LBB306_855:
	s_or_b64 exec, exec, s[16:17]
.LBB306_856:
	s_or_b64 exec, exec, s[12:13]
	global_store_byte v[0:1], v4, off
.LBB306_857:
	s_mov_b64 s[12:13], 0
.LBB306_858:
	s_and_b64 vcc, exec, s[12:13]
	s_cbranch_vccz .LBB306_898
; %bb.859:
	s_cmp_gt_i32 s19, 22
	s_mov_b64 s[10:11], -1
	s_cbranch_scc0 .LBB306_891
; %bb.860:
	s_cmp_lt_i32 s19, 24
	s_cbranch_scc1 .LBB306_880
; %bb.861:
	s_cmp_gt_i32 s19, 24
	s_cbranch_scc0 .LBB306_869
; %bb.862:
	v_cndmask_b32_e64 v3, 0, 1.0, s[6:7]
	s_mov_b32 s10, 0x47800000
	v_cmp_gt_u32_e32 vcc, s10, v3
	v_mov_b32_e32 v4, 0x80
	s_and_saveexec_b64 s[10:11], vcc
	s_cbranch_execz .LBB306_868
; %bb.863:
	s_mov_b32 s12, 0x37ffffff
	v_cmp_lt_u32_e32 vcc, s12, v3
	s_mov_b64 s[12:13], 0
                                        ; implicit-def: $vgpr2
	s_and_saveexec_b64 s[14:15], vcc
	s_xor_b64 s[14:15], exec, s[14:15]
	s_cbranch_execz .LBB306_1009
; %bb.864:
	v_bfe_u32 v2, v3, 21, 1
	s_mov_b32 s16, 0x88fffff
	v_add3_u32 v2, v3, v2, s16
	s_mov_b64 s[12:13], exec
	v_lshrrev_b32_e32 v2, 21, v2
                                        ; implicit-def: $vgpr3
	s_andn2_saveexec_b64 s[14:15], s[14:15]
	s_cbranch_execnz .LBB306_1010
.LBB306_865:
	s_or_b64 exec, exec, s[14:15]
	v_mov_b32_e32 v4, 0
	s_and_saveexec_b64 s[14:15], s[12:13]
.LBB306_866:
	v_mov_b32_e32 v4, v2
.LBB306_867:
	s_or_b64 exec, exec, s[14:15]
.LBB306_868:
	s_or_b64 exec, exec, s[10:11]
	s_mov_b64 s[10:11], 0
	global_store_byte v[0:1], v4, off
.LBB306_869:
	s_and_b64 vcc, exec, s[10:11]
	s_cbranch_vccz .LBB306_879
; %bb.870:
	v_cndmask_b32_e64 v2, 0, 1.0, s[6:7]
	s_mov_b32 s10, 0x43f00000
	v_cmp_gt_u32_e32 vcc, s10, v2
                                        ; implicit-def: $vgpr3
	s_and_saveexec_b64 s[10:11], vcc
	s_xor_b64 s[10:11], exec, s[10:11]
	s_cbranch_execz .LBB306_876
; %bb.871:
	s_mov_b32 s12, 0x3c7fffff
	v_cmp_lt_u32_e32 vcc, s12, v2
                                        ; implicit-def: $vgpr3
	s_and_saveexec_b64 s[12:13], vcc
	s_xor_b64 s[12:13], exec, s[12:13]
; %bb.872:
	v_bfe_u32 v3, v2, 20, 1
	s_mov_b32 s14, 0x407ffff
	v_add3_u32 v2, v2, v3, s14
	v_lshrrev_b32_e32 v3, 20, v2
	v_and_b32_e32 v2, 0xff00000, v2
	s_mov_b32 s14, 0x7f00000
	v_mov_b32_e32 v4, 0x7e
	v_cmp_ne_u32_e32 vcc, s14, v2
	v_cndmask_b32_e32 v3, v4, v3, vcc
                                        ; implicit-def: $vgpr2
; %bb.873:
	s_andn2_saveexec_b64 s[12:13], s[12:13]
; %bb.874:
	v_add_f32_e32 v3, 0x46800000, v2
; %bb.875:
	s_or_b64 exec, exec, s[12:13]
                                        ; implicit-def: $vgpr2
.LBB306_876:
	s_andn2_saveexec_b64 s[10:11], s[10:11]
; %bb.877:
	s_mov_b32 s12, 0x7f800000
	v_mov_b32_e32 v3, 0x7e
	v_mov_b32_e32 v4, 0x7f
	v_cmp_lt_u32_e32 vcc, s12, v2
	v_cndmask_b32_e32 v3, v3, v4, vcc
; %bb.878:
	s_or_b64 exec, exec, s[10:11]
	global_store_byte v[0:1], v3, off
.LBB306_879:
	s_mov_b64 s[10:11], 0
.LBB306_880:
	s_andn2_b64 vcc, exec, s[10:11]
	s_cbranch_vccnz .LBB306_890
; %bb.881:
	v_cndmask_b32_e64 v2, 0, 1.0, s[6:7]
	s_mov_b32 s10, 0x47800000
	v_cmp_gt_u32_e32 vcc, s10, v2
                                        ; implicit-def: $vgpr3
	s_and_saveexec_b64 s[10:11], vcc
	s_xor_b64 s[10:11], exec, s[10:11]
	s_cbranch_execz .LBB306_887
; %bb.882:
	s_mov_b32 s12, 0x387fffff
	v_cmp_lt_u32_e32 vcc, s12, v2
                                        ; implicit-def: $vgpr3
	s_and_saveexec_b64 s[12:13], vcc
	s_xor_b64 s[12:13], exec, s[12:13]
; %bb.883:
	v_bfe_u32 v3, v2, 21, 1
	s_mov_b32 s14, 0x80fffff
	v_add3_u32 v2, v2, v3, s14
	v_lshrrev_b32_e32 v3, 21, v2
                                        ; implicit-def: $vgpr2
; %bb.884:
	s_andn2_saveexec_b64 s[12:13], s[12:13]
; %bb.885:
	v_add_f32_e32 v3, 0x43000000, v2
; %bb.886:
	s_or_b64 exec, exec, s[12:13]
                                        ; implicit-def: $vgpr2
.LBB306_887:
	s_andn2_saveexec_b64 s[10:11], s[10:11]
; %bb.888:
	s_mov_b32 s12, 0x7f800000
	v_mov_b32_e32 v3, 0x7c
	v_mov_b32_e32 v4, 0x7f
	v_cmp_lt_u32_e32 vcc, s12, v2
	v_cndmask_b32_e32 v3, v3, v4, vcc
; %bb.889:
	s_or_b64 exec, exec, s[10:11]
	global_store_byte v[0:1], v3, off
.LBB306_890:
	s_mov_b64 s[10:11], 0
.LBB306_891:
	s_andn2_b64 vcc, exec, s[10:11]
	s_mov_b64 s[10:11], 0
	s_cbranch_vccnz .LBB306_898
; %bb.892:
	s_cmp_gt_i32 s19, 14
	s_mov_b64 s[12:13], -1
	s_cbranch_scc0 .LBB306_896
; %bb.893:
	s_cmp_eq_u32 s19, 15
	s_mov_b64 s[4:5], -1
	s_cbranch_scc0 .LBB306_895
; %bb.894:
	v_cndmask_b32_e64 v2, 0, 1.0, s[6:7]
	v_bfe_u32 v3, v2, 16, 1
	s_movk_i32 s4, 0x7fff
	v_add3_u32 v2, v2, v3, s4
	global_store_short_d16_hi v[0:1], v2, off
	s_mov_b64 s[4:5], 0
.LBB306_895:
	s_mov_b64 s[12:13], 0
.LBB306_896:
	s_and_b64 vcc, exec, s[12:13]
	s_cbranch_vccz .LBB306_898
; %bb.897:
	s_cmp_lg_u32 s19, 11
	s_mov_b64 s[10:11], -1
	s_cselect_b64 s[4:5], -1, 0
.LBB306_898:
	s_and_b64 vcc, exec, s[4:5]
	s_cbranch_vccnz .LBB306_1004
.LBB306_899:
	s_mov_b64 s[4:5], 0
	s_branch .LBB306_940
.LBB306_900:
	s_mov_b64 s[12:13], 0
	s_cbranch_execz .LBB306_823
; %bb.901:
	s_and_b32 s10, 0xffff, s18
	s_cmp_lt_i32 s10, 5
	s_mov_b64 s[4:5], -1
	s_cbranch_scc1 .LBB306_922
; %bb.902:
	s_cmp_lt_i32 s10, 8
	s_cbranch_scc1 .LBB306_912
; %bb.903:
	s_cmp_lt_i32 s10, 9
	s_cbranch_scc1 .LBB306_909
; %bb.904:
	s_cmp_gt_i32 s10, 9
	s_cbranch_scc0 .LBB306_906
; %bb.905:
	v_cndmask_b32_e64 v3, 0, 1, s[34:35]
	v_cvt_f64_u32_e32 v[3:4], v3
	v_mov_b32_e32 v5, 0
	v_mov_b32_e32 v6, v5
	s_mov_b64 s[4:5], 0
	global_store_dwordx4 v[0:1], v[3:6], off
.LBB306_906:
	s_andn2_b64 vcc, exec, s[4:5]
	s_cbranch_vccnz .LBB306_908
; %bb.907:
	v_cndmask_b32_e64 v3, 0, 1.0, s[34:35]
	v_mov_b32_e32 v4, 0
	global_store_dwordx2 v[0:1], v[3:4], off
.LBB306_908:
	s_mov_b64 s[4:5], 0
.LBB306_909:
	s_andn2_b64 vcc, exec, s[4:5]
	s_cbranch_vccnz .LBB306_911
; %bb.910:
	v_cndmask_b32_e64 v3, 0, 1.0, s[34:35]
	v_cvt_f16_f32_e32 v3, v3
	global_store_dword v[0:1], v3, off
.LBB306_911:
	s_mov_b64 s[4:5], 0
.LBB306_912:
	s_andn2_b64 vcc, exec, s[4:5]
	s_cbranch_vccnz .LBB306_921
; %bb.913:
	s_cmp_lt_i32 s10, 6
	s_mov_b64 s[4:5], -1
	s_cbranch_scc1 .LBB306_919
; %bb.914:
	s_cmp_gt_i32 s10, 6
	s_cbranch_scc0 .LBB306_916
; %bb.915:
	v_cndmask_b32_e64 v3, 0, 1, s[34:35]
	v_cvt_f64_u32_e32 v[3:4], v3
	s_mov_b64 s[4:5], 0
	global_store_dwordx2 v[0:1], v[3:4], off
.LBB306_916:
	s_andn2_b64 vcc, exec, s[4:5]
	s_cbranch_vccnz .LBB306_918
; %bb.917:
	v_cndmask_b32_e64 v3, 0, 1.0, s[34:35]
	global_store_dword v[0:1], v3, off
.LBB306_918:
	s_mov_b64 s[4:5], 0
.LBB306_919:
	s_andn2_b64 vcc, exec, s[4:5]
	s_cbranch_vccnz .LBB306_921
; %bb.920:
	v_cndmask_b32_e64 v3, 0, 1.0, s[34:35]
	v_cvt_f16_f32_e32 v3, v3
	global_store_short v[0:1], v3, off
.LBB306_921:
	s_mov_b64 s[4:5], 0
.LBB306_922:
	s_andn2_b64 vcc, exec, s[4:5]
	s_cbranch_vccnz .LBB306_938
; %bb.923:
	s_cmp_lt_i32 s10, 2
	s_mov_b64 s[4:5], -1
	s_cbranch_scc1 .LBB306_933
; %bb.924:
	s_cmp_lt_i32 s10, 3
	s_cbranch_scc1 .LBB306_930
; %bb.925:
	s_cmp_gt_i32 s10, 3
	s_cbranch_scc0 .LBB306_927
; %bb.926:
	s_mov_b32 s4, 0
	v_cndmask_b32_e64 v3, 0, 1, s[34:35]
	v_mov_b32_e32 v4, s4
	global_store_dwordx2 v[0:1], v[3:4], off
	s_mov_b64 s[4:5], 0
.LBB306_927:
	s_andn2_b64 vcc, exec, s[4:5]
	s_cbranch_vccnz .LBB306_929
; %bb.928:
	v_cndmask_b32_e64 v3, 0, 1, s[34:35]
	global_store_dword v[0:1], v3, off
.LBB306_929:
	s_mov_b64 s[4:5], 0
.LBB306_930:
	s_andn2_b64 vcc, exec, s[4:5]
	s_cbranch_vccnz .LBB306_932
; %bb.931:
	v_cndmask_b32_e64 v3, 0, 1, s[34:35]
	global_store_short v[0:1], v3, off
.LBB306_932:
	s_mov_b64 s[4:5], 0
.LBB306_933:
	s_andn2_b64 vcc, exec, s[4:5]
	s_cbranch_vccnz .LBB306_938
; %bb.934:
	s_mov_b64 s[4:5], -1
	s_cmp_gt_i32 s10, 0
	v_cndmask_b32_e64 v3, 0, 1, s[34:35]
	s_cbranch_scc0 .LBB306_936
; %bb.935:
	global_store_byte v[0:1], v3, off
	s_mov_b64 s[4:5], 0
.LBB306_936:
	s_andn2_b64 vcc, exec, s[4:5]
	s_cbranch_vccnz .LBB306_938
; %bb.937:
	global_store_byte v[0:1], v3, off
.LBB306_938:
	s_branch .LBB306_824
.LBB306_939:
	s_mov_b64 s[4:5], 0
	s_mov_b64 s[10:11], 0
                                        ; implicit-def: $sgpr18
                                        ; implicit-def: $vgpr0_vgpr1
.LBB306_940:
	s_and_b64 s[34:35], s[10:11], exec
	s_andn2_b64 s[10:11], s[50:51], exec
	s_and_b64 s[8:9], s[8:9], exec
	s_and_b64 s[4:5], s[4:5], exec
	s_or_b64 s[50:51], s[10:11], s[8:9]
.LBB306_941:
	s_or_b64 exec, exec, s[52:53]
	s_and_saveexec_b64 s[8:9], s[50:51]
	s_cbranch_execz .LBB306_944
; %bb.942:
	; divergent unreachable
	s_or_b64 exec, exec, s[8:9]
	s_and_saveexec_b64 s[8:9], s[34:35]
	s_xor_b64 s[8:9], exec, s[8:9]
	s_cbranch_execnz .LBB306_945
.LBB306_943:
	s_or_b64 exec, exec, s[8:9]
	s_and_saveexec_b64 s[8:9], s[4:5]
	s_cbranch_execnz .LBB306_946
	s_branch .LBB306_983
.LBB306_944:
	s_or_b64 exec, exec, s[8:9]
	s_and_saveexec_b64 s[8:9], s[34:35]
	s_xor_b64 s[8:9], exec, s[8:9]
	s_cbranch_execz .LBB306_943
.LBB306_945:
	v_cndmask_b32_e64 v2, 0, 1, s[6:7]
	global_store_byte v[0:1], v2, off
	s_or_b64 exec, exec, s[8:9]
	s_and_saveexec_b64 s[8:9], s[4:5]
	s_cbranch_execz .LBB306_983
.LBB306_946:
	s_sext_i32_i16 s8, s18
	s_cmp_lt_i32 s8, 5
	s_mov_b64 s[4:5], -1
	s_cbranch_scc1 .LBB306_967
; %bb.947:
	s_cmp_lt_i32 s8, 8
	s_cbranch_scc1 .LBB306_957
; %bb.948:
	s_cmp_lt_i32 s8, 9
	s_cbranch_scc1 .LBB306_954
; %bb.949:
	s_cmp_gt_i32 s8, 9
	s_cbranch_scc0 .LBB306_951
; %bb.950:
	v_cndmask_b32_e64 v2, 0, 1, s[6:7]
	v_cvt_f64_u32_e32 v[2:3], v2
	v_mov_b32_e32 v4, 0
	v_mov_b32_e32 v5, v4
	s_mov_b64 s[4:5], 0
	global_store_dwordx4 v[0:1], v[2:5], off
.LBB306_951:
	s_andn2_b64 vcc, exec, s[4:5]
	s_cbranch_vccnz .LBB306_953
; %bb.952:
	v_cndmask_b32_e64 v2, 0, 1.0, s[6:7]
	v_mov_b32_e32 v3, 0
	global_store_dwordx2 v[0:1], v[2:3], off
.LBB306_953:
	s_mov_b64 s[4:5], 0
.LBB306_954:
	s_andn2_b64 vcc, exec, s[4:5]
	s_cbranch_vccnz .LBB306_956
; %bb.955:
	v_cndmask_b32_e64 v2, 0, 1.0, s[6:7]
	v_cvt_f16_f32_e32 v2, v2
	global_store_dword v[0:1], v2, off
.LBB306_956:
	s_mov_b64 s[4:5], 0
.LBB306_957:
	s_andn2_b64 vcc, exec, s[4:5]
	s_cbranch_vccnz .LBB306_966
; %bb.958:
	s_sext_i32_i16 s8, s18
	s_cmp_lt_i32 s8, 6
	s_mov_b64 s[4:5], -1
	s_cbranch_scc1 .LBB306_964
; %bb.959:
	s_cmp_gt_i32 s8, 6
	s_cbranch_scc0 .LBB306_961
; %bb.960:
	v_cndmask_b32_e64 v2, 0, 1, s[6:7]
	v_cvt_f64_u32_e32 v[2:3], v2
	s_mov_b64 s[4:5], 0
	global_store_dwordx2 v[0:1], v[2:3], off
.LBB306_961:
	s_andn2_b64 vcc, exec, s[4:5]
	s_cbranch_vccnz .LBB306_963
; %bb.962:
	v_cndmask_b32_e64 v2, 0, 1.0, s[6:7]
	global_store_dword v[0:1], v2, off
.LBB306_963:
	s_mov_b64 s[4:5], 0
.LBB306_964:
	s_andn2_b64 vcc, exec, s[4:5]
	s_cbranch_vccnz .LBB306_966
; %bb.965:
	v_cndmask_b32_e64 v2, 0, 1.0, s[6:7]
	v_cvt_f16_f32_e32 v2, v2
	global_store_short v[0:1], v2, off
.LBB306_966:
	s_mov_b64 s[4:5], 0
.LBB306_967:
	s_andn2_b64 vcc, exec, s[4:5]
	s_cbranch_vccnz .LBB306_983
; %bb.968:
	s_sext_i32_i16 s8, s18
	s_cmp_lt_i32 s8, 2
	s_mov_b64 s[4:5], -1
	s_cbranch_scc1 .LBB306_978
; %bb.969:
	s_cmp_lt_i32 s8, 3
	s_cbranch_scc1 .LBB306_975
; %bb.970:
	s_cmp_gt_i32 s8, 3
	s_cbranch_scc0 .LBB306_972
; %bb.971:
	s_mov_b32 s4, 0
	v_cndmask_b32_e64 v2, 0, 1, s[6:7]
	v_mov_b32_e32 v3, s4
	global_store_dwordx2 v[0:1], v[2:3], off
	s_mov_b64 s[4:5], 0
.LBB306_972:
	s_andn2_b64 vcc, exec, s[4:5]
	s_cbranch_vccnz .LBB306_974
; %bb.973:
	v_cndmask_b32_e64 v2, 0, 1, s[6:7]
	global_store_dword v[0:1], v2, off
.LBB306_974:
	s_mov_b64 s[4:5], 0
.LBB306_975:
	s_andn2_b64 vcc, exec, s[4:5]
	s_cbranch_vccnz .LBB306_977
; %bb.976:
	v_cndmask_b32_e64 v2, 0, 1, s[6:7]
	global_store_short v[0:1], v2, off
.LBB306_977:
	s_mov_b64 s[4:5], 0
.LBB306_978:
	s_andn2_b64 vcc, exec, s[4:5]
	s_cbranch_vccnz .LBB306_983
; %bb.979:
	s_sext_i32_i16 s8, s18
	s_mov_b64 s[4:5], -1
	s_cmp_gt_i32 s8, 0
	v_cndmask_b32_e64 v2, 0, 1, s[6:7]
	s_cbranch_scc0 .LBB306_981
; %bb.980:
	global_store_byte v[0:1], v2, off
	s_mov_b64 s[4:5], 0
.LBB306_981:
	s_andn2_b64 vcc, exec, s[4:5]
	s_cbranch_vccnz .LBB306_983
; %bb.982:
	global_store_byte v[0:1], v2, off
	s_endpgm
.LBB306_983:
	s_endpgm
.LBB306_984:
	s_mov_b64 s[10:11], 0
	s_mov_b64 s[4:5], -1
	s_branch .LBB306_940
.LBB306_985:
	s_andn2_saveexec_b64 s[14:15], s[14:15]
	s_cbranch_execz .LBB306_537
.LBB306_986:
	v_add_f32_e32 v3, 0x46000000, v4
	v_and_b32_e32 v3, 0xff, v3
	v_cmp_ne_u32_e32 vcc, 0, v3
	s_andn2_b64 s[12:13], s[12:13], exec
	s_and_b64 s[20:21], vcc, exec
	s_or_b64 s[12:13], s[12:13], s[20:21]
	s_or_b64 exec, exec, s[14:15]
	v_mov_b32_e32 v5, 0
	s_and_saveexec_b64 s[14:15], s[12:13]
	s_cbranch_execnz .LBB306_538
	s_branch .LBB306_539
.LBB306_987:
	s_or_b64 s[8:9], s[50:51], exec
	s_trap 2
	s_cbranch_execz .LBB306_585
	s_branch .LBB306_586
.LBB306_988:
	s_andn2_saveexec_b64 s[12:13], s[12:13]
	s_cbranch_execz .LBB306_550
.LBB306_989:
	v_add_f32_e32 v3, 0x42800000, v4
	v_and_b32_e32 v3, 0xff, v3
	v_cmp_ne_u32_e32 vcc, 0, v3
	s_andn2_b64 s[10:11], s[10:11], exec
	s_and_b64 s[14:15], vcc, exec
	s_or_b64 s[10:11], s[10:11], s[14:15]
	s_or_b64 exec, exec, s[12:13]
	v_mov_b32_e32 v5, 0
	s_and_saveexec_b64 s[12:13], s[10:11]
	s_cbranch_execnz .LBB306_551
	s_branch .LBB306_552
.LBB306_990:
	s_andn2_saveexec_b64 s[16:17], s[16:17]
	s_cbranch_execz .LBB306_655
.LBB306_991:
	v_add_f32_e32 v3, 0x46000000, v4
	v_and_b32_e32 v3, 0xff, v3
	v_cmp_ne_u32_e32 vcc, 0, v3
	s_andn2_b64 s[14:15], s[14:15], exec
	s_and_b64 s[22:23], vcc, exec
	s_or_b64 s[14:15], s[14:15], s[22:23]
	s_or_b64 exec, exec, s[16:17]
	v_mov_b32_e32 v5, 0
	s_and_saveexec_b64 s[16:17], s[14:15]
	s_cbranch_execnz .LBB306_656
	s_branch .LBB306_657
.LBB306_992:
	s_trap 2
	s_or_b64 s[8:9], s[8:9], exec
	s_cbranch_execz .LBB306_703
	s_branch .LBB306_704
.LBB306_993:
	s_andn2_saveexec_b64 s[14:15], s[14:15]
	s_cbranch_execz .LBB306_668
.LBB306_994:
	v_add_f32_e32 v3, 0x42800000, v4
	v_and_b32_e32 v3, 0xff, v3
	v_cmp_ne_u32_e32 vcc, 0, v3
	s_andn2_b64 s[12:13], s[12:13], exec
	s_and_b64 s[16:17], vcc, exec
	s_or_b64 s[12:13], s[12:13], s[16:17]
	s_or_b64 exec, exec, s[14:15]
	v_mov_b32_e32 v5, 0
	s_and_saveexec_b64 s[14:15], s[12:13]
	s_cbranch_execnz .LBB306_669
	s_branch .LBB306_670
.LBB306_995:
	s_andn2_saveexec_b64 s[16:17], s[16:17]
	s_cbranch_execz .LBB306_773
.LBB306_996:
	v_add_f32_e32 v3, 0x46000000, v4
	v_and_b32_e32 v3, 0xff, v3
	v_cmp_ne_u32_e32 vcc, 0, v3
	s_andn2_b64 s[14:15], s[14:15], exec
	s_and_b64 s[22:23], vcc, exec
	s_or_b64 s[14:15], s[14:15], s[22:23]
	s_or_b64 exec, exec, s[16:17]
	v_mov_b32_e32 v5, 0
	s_and_saveexec_b64 s[16:17], s[14:15]
	s_cbranch_execnz .LBB306_774
	s_branch .LBB306_775
.LBB306_997:
	s_trap 2
	s_or_b64 s[8:9], s[8:9], exec
	s_cbranch_execz .LBB306_821
	s_branch .LBB306_822
.LBB306_998:
	s_andn2_saveexec_b64 s[12:13], s[12:13]
	s_cbranch_execz .LBB306_295
.LBB306_999:
	v_add_f32_e32 v2, 0x46000000, v3
	v_and_b32_e32 v2, 0xff, v2
	v_cmp_ne_u32_e32 vcc, 0, v2
	s_andn2_b64 s[10:11], s[10:11], exec
	s_and_b64 s[16:17], vcc, exec
	s_or_b64 s[10:11], s[10:11], s[16:17]
	s_or_b64 exec, exec, s[12:13]
	v_mov_b32_e32 v4, 0
	s_and_saveexec_b64 s[12:13], s[10:11]
	s_cbranch_execnz .LBB306_296
	s_branch .LBB306_297
.LBB306_1000:
	s_andn2_saveexec_b64 s[14:15], s[14:15]
	s_cbranch_execz .LBB306_786
.LBB306_1001:
	v_add_f32_e32 v3, 0x42800000, v4
	v_and_b32_e32 v3, 0xff, v3
	v_cmp_ne_u32_e32 vcc, 0, v3
	s_andn2_b64 s[12:13], s[12:13], exec
	s_and_b64 s[16:17], vcc, exec
	s_or_b64 s[12:13], s[12:13], s[16:17]
	s_or_b64 exec, exec, s[14:15]
	v_mov_b32_e32 v5, 0
	s_and_saveexec_b64 s[14:15], s[12:13]
	s_cbranch_execnz .LBB306_787
	s_branch .LBB306_788
.LBB306_1002:
	s_andn2_saveexec_b64 s[16:17], s[16:17]
	s_cbranch_execz .LBB306_853
.LBB306_1003:
	v_add_f32_e32 v2, 0x46000000, v3
	v_and_b32_e32 v2, 0xff, v2
	v_cmp_ne_u32_e32 vcc, 0, v2
	s_andn2_b64 s[14:15], s[14:15], exec
	s_and_b64 s[20:21], vcc, exec
	s_or_b64 s[14:15], s[14:15], s[20:21]
	s_or_b64 exec, exec, s[16:17]
	v_mov_b32_e32 v4, 0
	s_and_saveexec_b64 s[16:17], s[14:15]
	s_cbranch_execnz .LBB306_854
	s_branch .LBB306_855
.LBB306_1004:
	s_mov_b64 s[10:11], 0
	s_or_b64 s[8:9], s[8:9], exec
	s_trap 2
	s_branch .LBB306_899
.LBB306_1005:
	s_andn2_saveexec_b64 s[12:13], s[12:13]
	s_cbranch_execz .LBB306_308
.LBB306_1006:
	v_add_f32_e32 v2, 0x42800000, v3
	v_and_b32_e32 v2, 0xff, v2
	v_cmp_ne_u32_e32 vcc, 0, v2
	s_andn2_b64 s[10:11], s[10:11], exec
	s_and_b64 s[16:17], vcc, exec
	s_or_b64 s[10:11], s[10:11], s[16:17]
	s_or_b64 exec, exec, s[12:13]
	v_mov_b32_e32 v4, 0
	s_and_saveexec_b64 s[12:13], s[10:11]
	s_cbranch_execnz .LBB306_309
	s_branch .LBB306_310
.LBB306_1007:
	s_andn2_saveexec_b64 s[12:13], s[12:13]
	s_cbranch_execz .LBB306_417
.LBB306_1008:
	v_add_f32_e32 v2, 0x46000000, v3
	v_and_b32_e32 v2, 0xff, v2
	v_cmp_ne_u32_e32 vcc, 0, v2
	s_andn2_b64 s[10:11], s[10:11], exec
	s_and_b64 s[14:15], vcc, exec
	s_or_b64 s[10:11], s[10:11], s[14:15]
	s_or_b64 exec, exec, s[12:13]
	v_mov_b32_e32 v4, 0
	s_and_saveexec_b64 s[12:13], s[10:11]
	s_cbranch_execnz .LBB306_418
	s_branch .LBB306_419
.LBB306_1009:
	s_andn2_saveexec_b64 s[14:15], s[14:15]
	s_cbranch_execz .LBB306_865
.LBB306_1010:
	v_add_f32_e32 v2, 0x42800000, v3
	v_and_b32_e32 v2, 0xff, v2
	v_cmp_ne_u32_e32 vcc, 0, v2
	s_andn2_b64 s[12:13], s[12:13], exec
	s_and_b64 s[16:17], vcc, exec
	s_or_b64 s[12:13], s[12:13], s[16:17]
	s_or_b64 exec, exec, s[14:15]
	v_mov_b32_e32 v4, 0
	s_and_saveexec_b64 s[14:15], s[12:13]
	s_cbranch_execnz .LBB306_866
	s_branch .LBB306_867
.LBB306_1011:
	s_andn2_saveexec_b64 s[14:15], s[14:15]
	s_cbranch_execz .LBB306_429
.LBB306_1012:
	v_add_f32_e32 v2, 0x42800000, v3
	v_and_b32_e32 v2, 0xff, v2
	v_cmp_ne_u32_e32 vcc, 0, v2
	s_andn2_b64 s[12:13], s[12:13], exec
	s_and_b64 s[18:19], vcc, exec
	s_or_b64 s[12:13], s[12:13], s[18:19]
	s_or_b64 exec, exec, s[14:15]
	v_mov_b32_e32 v4, 0
	s_and_saveexec_b64 s[14:15], s[12:13]
	s_cbranch_execnz .LBB306_430
	s_branch .LBB306_431
	.section	.rodata,"a",@progbits
	.p2align	6, 0x0
	.amdhsa_kernel _ZN2at6native32elementwise_kernel_manual_unrollILi128ELi4EZNS0_15gpu_kernel_implINS0_13AUnaryFunctorIN3c1015Float8_e4m3fnuzES5_bNS0_12_GLOBAL__N_116CompareEqFunctorIS5_EEEEEEvRNS_18TensorIteratorBaseERKT_EUlibE_EEviT1_
		.amdhsa_group_segment_fixed_size 0
		.amdhsa_private_segment_fixed_size 0
		.amdhsa_kernarg_size 48
		.amdhsa_user_sgpr_count 6
		.amdhsa_user_sgpr_private_segment_buffer 1
		.amdhsa_user_sgpr_dispatch_ptr 0
		.amdhsa_user_sgpr_queue_ptr 0
		.amdhsa_user_sgpr_kernarg_segment_ptr 1
		.amdhsa_user_sgpr_dispatch_id 0
		.amdhsa_user_sgpr_flat_scratch_init 0
		.amdhsa_user_sgpr_private_segment_size 0
		.amdhsa_uses_dynamic_stack 0
		.amdhsa_system_sgpr_private_segment_wavefront_offset 0
		.amdhsa_system_sgpr_workgroup_id_x 1
		.amdhsa_system_sgpr_workgroup_id_y 0
		.amdhsa_system_sgpr_workgroup_id_z 0
		.amdhsa_system_sgpr_workgroup_info 0
		.amdhsa_system_vgpr_workitem_id 0
		.amdhsa_next_free_vgpr 14
		.amdhsa_next_free_sgpr 62
		.amdhsa_reserve_vcc 1
		.amdhsa_reserve_flat_scratch 0
		.amdhsa_float_round_mode_32 0
		.amdhsa_float_round_mode_16_64 0
		.amdhsa_float_denorm_mode_32 3
		.amdhsa_float_denorm_mode_16_64 3
		.amdhsa_dx10_clamp 1
		.amdhsa_ieee_mode 1
		.amdhsa_fp16_overflow 0
		.amdhsa_exception_fp_ieee_invalid_op 0
		.amdhsa_exception_fp_denorm_src 0
		.amdhsa_exception_fp_ieee_div_zero 0
		.amdhsa_exception_fp_ieee_overflow 0
		.amdhsa_exception_fp_ieee_underflow 0
		.amdhsa_exception_fp_ieee_inexact 0
		.amdhsa_exception_int_div_zero 0
	.end_amdhsa_kernel
	.section	.text._ZN2at6native32elementwise_kernel_manual_unrollILi128ELi4EZNS0_15gpu_kernel_implINS0_13AUnaryFunctorIN3c1015Float8_e4m3fnuzES5_bNS0_12_GLOBAL__N_116CompareEqFunctorIS5_EEEEEEvRNS_18TensorIteratorBaseERKT_EUlibE_EEviT1_,"axG",@progbits,_ZN2at6native32elementwise_kernel_manual_unrollILi128ELi4EZNS0_15gpu_kernel_implINS0_13AUnaryFunctorIN3c1015Float8_e4m3fnuzES5_bNS0_12_GLOBAL__N_116CompareEqFunctorIS5_EEEEEEvRNS_18TensorIteratorBaseERKT_EUlibE_EEviT1_,comdat
.Lfunc_end306:
	.size	_ZN2at6native32elementwise_kernel_manual_unrollILi128ELi4EZNS0_15gpu_kernel_implINS0_13AUnaryFunctorIN3c1015Float8_e4m3fnuzES5_bNS0_12_GLOBAL__N_116CompareEqFunctorIS5_EEEEEEvRNS_18TensorIteratorBaseERKT_EUlibE_EEviT1_, .Lfunc_end306-_ZN2at6native32elementwise_kernel_manual_unrollILi128ELi4EZNS0_15gpu_kernel_implINS0_13AUnaryFunctorIN3c1015Float8_e4m3fnuzES5_bNS0_12_GLOBAL__N_116CompareEqFunctorIS5_EEEEEEvRNS_18TensorIteratorBaseERKT_EUlibE_EEviT1_
                                        ; -- End function
	.set _ZN2at6native32elementwise_kernel_manual_unrollILi128ELi4EZNS0_15gpu_kernel_implINS0_13AUnaryFunctorIN3c1015Float8_e4m3fnuzES5_bNS0_12_GLOBAL__N_116CompareEqFunctorIS5_EEEEEEvRNS_18TensorIteratorBaseERKT_EUlibE_EEviT1_.num_vgpr, max(14, .L_ZN2at6native6invokeINS0_13AUnaryFunctorIN3c1015Float8_e4m3fnuzES4_bNS0_12_GLOBAL__N_116CompareEqFunctorIS4_EEEEi15function_traitsIS8_EEENT1_11result_typeERKT_PrKPcPKT0_PKNS3_10ScalarTypeEi.num_vgpr)
	.set _ZN2at6native32elementwise_kernel_manual_unrollILi128ELi4EZNS0_15gpu_kernel_implINS0_13AUnaryFunctorIN3c1015Float8_e4m3fnuzES5_bNS0_12_GLOBAL__N_116CompareEqFunctorIS5_EEEEEEvRNS_18TensorIteratorBaseERKT_EUlibE_EEviT1_.num_agpr, max(0, .L_ZN2at6native6invokeINS0_13AUnaryFunctorIN3c1015Float8_e4m3fnuzES4_bNS0_12_GLOBAL__N_116CompareEqFunctorIS4_EEEEi15function_traitsIS8_EEENT1_11result_typeERKT_PrKPcPKT0_PKNS3_10ScalarTypeEi.num_agpr)
	.set _ZN2at6native32elementwise_kernel_manual_unrollILi128ELi4EZNS0_15gpu_kernel_implINS0_13AUnaryFunctorIN3c1015Float8_e4m3fnuzES5_bNS0_12_GLOBAL__N_116CompareEqFunctorIS5_EEEEEEvRNS_18TensorIteratorBaseERKT_EUlibE_EEviT1_.numbered_sgpr, max(62, .L_ZN2at6native6invokeINS0_13AUnaryFunctorIN3c1015Float8_e4m3fnuzES4_bNS0_12_GLOBAL__N_116CompareEqFunctorIS4_EEEEi15function_traitsIS8_EEENT1_11result_typeERKT_PrKPcPKT0_PKNS3_10ScalarTypeEi.numbered_sgpr)
	.set _ZN2at6native32elementwise_kernel_manual_unrollILi128ELi4EZNS0_15gpu_kernel_implINS0_13AUnaryFunctorIN3c1015Float8_e4m3fnuzES5_bNS0_12_GLOBAL__N_116CompareEqFunctorIS5_EEEEEEvRNS_18TensorIteratorBaseERKT_EUlibE_EEviT1_.num_named_barrier, max(0, .L_ZN2at6native6invokeINS0_13AUnaryFunctorIN3c1015Float8_e4m3fnuzES4_bNS0_12_GLOBAL__N_116CompareEqFunctorIS4_EEEEi15function_traitsIS8_EEENT1_11result_typeERKT_PrKPcPKT0_PKNS3_10ScalarTypeEi.num_named_barrier)
	.set _ZN2at6native32elementwise_kernel_manual_unrollILi128ELi4EZNS0_15gpu_kernel_implINS0_13AUnaryFunctorIN3c1015Float8_e4m3fnuzES5_bNS0_12_GLOBAL__N_116CompareEqFunctorIS5_EEEEEEvRNS_18TensorIteratorBaseERKT_EUlibE_EEviT1_.private_seg_size, 0+max(.L_ZN2at6native6invokeINS0_13AUnaryFunctorIN3c1015Float8_e4m3fnuzES4_bNS0_12_GLOBAL__N_116CompareEqFunctorIS4_EEEEi15function_traitsIS8_EEENT1_11result_typeERKT_PrKPcPKT0_PKNS3_10ScalarTypeEi.private_seg_size)
	.set _ZN2at6native32elementwise_kernel_manual_unrollILi128ELi4EZNS0_15gpu_kernel_implINS0_13AUnaryFunctorIN3c1015Float8_e4m3fnuzES5_bNS0_12_GLOBAL__N_116CompareEqFunctorIS5_EEEEEEvRNS_18TensorIteratorBaseERKT_EUlibE_EEviT1_.uses_vcc, or(1, .L_ZN2at6native6invokeINS0_13AUnaryFunctorIN3c1015Float8_e4m3fnuzES4_bNS0_12_GLOBAL__N_116CompareEqFunctorIS4_EEEEi15function_traitsIS8_EEENT1_11result_typeERKT_PrKPcPKT0_PKNS3_10ScalarTypeEi.uses_vcc)
	.set _ZN2at6native32elementwise_kernel_manual_unrollILi128ELi4EZNS0_15gpu_kernel_implINS0_13AUnaryFunctorIN3c1015Float8_e4m3fnuzES5_bNS0_12_GLOBAL__N_116CompareEqFunctorIS5_EEEEEEvRNS_18TensorIteratorBaseERKT_EUlibE_EEviT1_.uses_flat_scratch, or(0, .L_ZN2at6native6invokeINS0_13AUnaryFunctorIN3c1015Float8_e4m3fnuzES4_bNS0_12_GLOBAL__N_116CompareEqFunctorIS4_EEEEi15function_traitsIS8_EEENT1_11result_typeERKT_PrKPcPKT0_PKNS3_10ScalarTypeEi.uses_flat_scratch)
	.set _ZN2at6native32elementwise_kernel_manual_unrollILi128ELi4EZNS0_15gpu_kernel_implINS0_13AUnaryFunctorIN3c1015Float8_e4m3fnuzES5_bNS0_12_GLOBAL__N_116CompareEqFunctorIS5_EEEEEEvRNS_18TensorIteratorBaseERKT_EUlibE_EEviT1_.has_dyn_sized_stack, or(0, .L_ZN2at6native6invokeINS0_13AUnaryFunctorIN3c1015Float8_e4m3fnuzES4_bNS0_12_GLOBAL__N_116CompareEqFunctorIS4_EEEEi15function_traitsIS8_EEENT1_11result_typeERKT_PrKPcPKT0_PKNS3_10ScalarTypeEi.has_dyn_sized_stack)
	.set _ZN2at6native32elementwise_kernel_manual_unrollILi128ELi4EZNS0_15gpu_kernel_implINS0_13AUnaryFunctorIN3c1015Float8_e4m3fnuzES5_bNS0_12_GLOBAL__N_116CompareEqFunctorIS5_EEEEEEvRNS_18TensorIteratorBaseERKT_EUlibE_EEviT1_.has_recursion, or(0, .L_ZN2at6native6invokeINS0_13AUnaryFunctorIN3c1015Float8_e4m3fnuzES4_bNS0_12_GLOBAL__N_116CompareEqFunctorIS4_EEEEi15function_traitsIS8_EEENT1_11result_typeERKT_PrKPcPKT0_PKNS3_10ScalarTypeEi.has_recursion)
	.set _ZN2at6native32elementwise_kernel_manual_unrollILi128ELi4EZNS0_15gpu_kernel_implINS0_13AUnaryFunctorIN3c1015Float8_e4m3fnuzES5_bNS0_12_GLOBAL__N_116CompareEqFunctorIS5_EEEEEEvRNS_18TensorIteratorBaseERKT_EUlibE_EEviT1_.has_indirect_call, or(0, .L_ZN2at6native6invokeINS0_13AUnaryFunctorIN3c1015Float8_e4m3fnuzES4_bNS0_12_GLOBAL__N_116CompareEqFunctorIS4_EEEEi15function_traitsIS8_EEENT1_11result_typeERKT_PrKPcPKT0_PKNS3_10ScalarTypeEi.has_indirect_call)
	.section	.AMDGPU.csdata,"",@progbits
; Kernel info:
; codeLenInByte = 15696
; TotalNumSgprs: 66
; NumVgprs: 14
; ScratchSize: 0
; MemoryBound: 0
; FloatMode: 240
; IeeeMode: 1
; LDSByteSize: 0 bytes/workgroup (compile time only)
; SGPRBlocks: 8
; VGPRBlocks: 3
; NumSGPRsForWavesPerEU: 66
; NumVGPRsForWavesPerEU: 14
; Occupancy: 10
; WaveLimiterHint : 0
; COMPUTE_PGM_RSRC2:SCRATCH_EN: 0
; COMPUTE_PGM_RSRC2:USER_SGPR: 6
; COMPUTE_PGM_RSRC2:TRAP_HANDLER: 0
; COMPUTE_PGM_RSRC2:TGID_X_EN: 1
; COMPUTE_PGM_RSRC2:TGID_Y_EN: 0
; COMPUTE_PGM_RSRC2:TGID_Z_EN: 0
; COMPUTE_PGM_RSRC2:TIDIG_COMP_CNT: 0
	.text
	.p2align	2                               ; -- Begin function _ZN2at6native6invokeINS0_13AUnaryFunctorIN3c1015Float8_e4m3fnuzES4_bNS0_12_GLOBAL__N_116CompareEqFunctorIS4_EEEEj15function_traitsIS8_EEENT1_11result_typeERKT_PrKPcPKT0_PKNS3_10ScalarTypeEi
	.type	_ZN2at6native6invokeINS0_13AUnaryFunctorIN3c1015Float8_e4m3fnuzES4_bNS0_12_GLOBAL__N_116CompareEqFunctorIS4_EEEEj15function_traitsIS8_EEENT1_11result_typeERKT_PrKPcPKT0_PKNS3_10ScalarTypeEi,@function
_ZN2at6native6invokeINS0_13AUnaryFunctorIN3c1015Float8_e4m3fnuzES4_bNS0_12_GLOBAL__N_116CompareEqFunctorIS4_EEEEj15function_traitsIS8_EEENT1_11result_typeERKT_PrKPcPKT0_PKNS3_10ScalarTypeEi: ; @_ZN2at6native6invokeINS0_13AUnaryFunctorIN3c1015Float8_e4m3fnuzES4_bNS0_12_GLOBAL__N_116CompareEqFunctorIS4_EEEEj15function_traitsIS8_EEENT1_11result_typeERKT_PrKPcPKT0_PKNS3_10ScalarTypeEi
; %bb.0:
	s_waitcnt vmcnt(0) expcnt(0) lgkmcnt(0)
	v_add_co_u32_e32 v2, vcc, v2, v4
	v_mov_b32_e32 v4, 10
	v_addc_co_u32_e32 v3, vcc, 0, v3, vcc
	v_cmp_gt_i16_sdwa s[4:5], v5, v4 src0_sel:BYTE_0 src1_sel:DWORD
	s_mov_b64 s[6:7], 0
                                        ; implicit-def: $vgpr4
	s_and_saveexec_b64 s[8:9], s[4:5]
	s_xor_b64 s[4:5], exec, s[8:9]
	s_cbranch_execnz .LBB307_4
; %bb.1:
	s_andn2_saveexec_b64 s[4:5], s[4:5]
	s_cbranch_execnz .LBB307_16
.LBB307_2:
	s_or_b64 exec, exec, s[4:5]
                                        ; implicit-def: $sgpr8_sgpr9
	s_and_saveexec_b64 s[4:5], s[6:7]
	s_cbranch_execnz .LBB307_123
.LBB307_3:
	s_or_b64 exec, exec, s[4:5]
	v_cndmask_b32_e64 v0, 0, 1, s[8:9]
	s_waitcnt vmcnt(0) lgkmcnt(0)
	s_setpc_b64 s[30:31]
.LBB307_4:
	v_mov_b32_e32 v4, 25
	v_cmp_gt_i16_sdwa s[10:11], v5, v4 src0_sel:BYTE_0 src1_sel:DWORD
	s_mov_b64 s[8:9], 0
	s_mov_b64 s[12:13], 0
                                        ; implicit-def: $vgpr4
	s_and_saveexec_b64 s[14:15], s[10:11]
	s_xor_b64 s[10:11], exec, s[14:15]
	s_cbranch_execnz .LBB307_143
; %bb.5:
	s_andn2_saveexec_b64 s[10:11], s[10:11]
	s_cbranch_execnz .LBB307_200
.LBB307_6:
	s_or_b64 exec, exec, s[10:11]
	s_and_saveexec_b64 s[10:11], s[12:13]
	s_cbranch_execnz .LBB307_247
.LBB307_7:
	s_or_b64 exec, exec, s[10:11]
	s_and_saveexec_b64 s[10:11], s[8:9]
	s_xor_b64 s[8:9], exec, s[10:11]
	s_cbranch_execz .LBB307_15
.LBB307_8:
	flat_load_ubyte v2, v[2:3]
	s_mov_b32 s10, 0x43800000
	s_waitcnt vmcnt(0) lgkmcnt(0)
	v_mov_b32_e32 v4, 0x80
	v_cmp_ne_u16_e32 vcc, 0, v2
	v_cndmask_b32_e64 v3, 0, 1.0, vcc
	v_cmp_gt_u32_e32 vcc, s10, v3
	s_and_saveexec_b64 s[10:11], vcc
	s_cbranch_execz .LBB307_14
; %bb.9:
	s_mov_b32 s12, 0x3bffffff
	v_cmp_lt_u32_e32 vcc, s12, v3
	s_mov_b64 s[12:13], 0
                                        ; implicit-def: $vgpr2
	s_and_saveexec_b64 s[14:15], vcc
	s_xor_b64 s[14:15], exec, s[14:15]
	s_cbranch_execnz .LBB307_264
; %bb.10:
	s_andn2_saveexec_b64 s[14:15], s[14:15]
	s_cbranch_execnz .LBB307_265
.LBB307_11:
	s_or_b64 exec, exec, s[14:15]
	v_mov_b32_e32 v4, 0
	s_and_saveexec_b64 s[14:15], s[12:13]
.LBB307_12:
	v_mov_b32_e32 v4, v2
.LBB307_13:
	s_or_b64 exec, exec, s[14:15]
.LBB307_14:
	s_or_b64 exec, exec, s[10:11]
	s_or_b64 s[6:7], s[6:7], exec
.LBB307_15:
	s_or_b64 exec, exec, s[8:9]
	s_and_b64 s[6:7], s[6:7], exec
                                        ; implicit-def: $vgpr5
                                        ; implicit-def: $vgpr2_vgpr3
	s_andn2_saveexec_b64 s[4:5], s[4:5]
	s_cbranch_execz .LBB307_2
.LBB307_16:
	s_waitcnt vmcnt(0) lgkmcnt(0)
	v_mov_b32_e32 v4, 4
	v_cmp_gt_i16_sdwa s[8:9], v5, v4 src0_sel:BYTE_0 src1_sel:DWORD
                                        ; implicit-def: $vgpr4
	s_and_saveexec_b64 s[10:11], s[8:9]
	s_xor_b64 s[8:9], exec, s[10:11]
	s_cbranch_execz .LBB307_74
; %bb.17:
	v_mov_b32_e32 v4, 7
	v_cmp_gt_i16_sdwa s[10:11], v5, v4 src0_sel:BYTE_0 src1_sel:DWORD
                                        ; implicit-def: $vgpr4
	s_and_saveexec_b64 s[12:13], s[10:11]
	s_xor_b64 s[10:11], exec, s[12:13]
	s_cbranch_execz .LBB307_45
; %bb.18:
	;; [unrolled: 7-line block ×4, first 2 shown]
	flat_load_dwordx2 v[2:3], v[2:3]
	s_mov_b32 s16, 0x43800000
	v_mov_b32_e32 v4, 0x80
	s_waitcnt vmcnt(0) lgkmcnt(0)
	v_cvt_f32_f64_e32 v2, v[2:3]
	v_and_b32_e32 v3, 0x7fffffff, v2
	v_cmp_gt_u32_e32 vcc, s16, v3
	s_and_saveexec_b64 s[16:17], vcc
	s_cbranch_execz .LBB307_26
; %bb.21:
	s_mov_b32 s18, 0x3bffffff
	v_cmp_lt_u32_e32 vcc, s18, v3
	s_mov_b64 s[18:19], 0
                                        ; implicit-def: $vgpr3
	s_and_saveexec_b64 s[20:21], vcc
	s_xor_b64 s[20:21], exec, s[20:21]
	s_cbranch_execnz .LBB307_282
; %bb.22:
	s_andn2_saveexec_b64 s[20:21], s[20:21]
	s_cbranch_execnz .LBB307_283
.LBB307_23:
	s_or_b64 exec, exec, s[20:21]
	v_mov_b32_e32 v4, 0
	s_and_saveexec_b64 s[20:21], s[18:19]
.LBB307_24:
	v_lshrrev_b32_e32 v2, 24, v2
	s_movk_i32 s18, 0x80
	v_and_or_b32 v4, v2, s18, v3
.LBB307_25:
	s_or_b64 exec, exec, s[20:21]
.LBB307_26:
	s_or_b64 exec, exec, s[16:17]
                                        ; implicit-def: $vgpr2_vgpr3
.LBB307_27:
	s_andn2_saveexec_b64 s[14:15], s[14:15]
	s_cbranch_execz .LBB307_35
; %bb.28:
	flat_load_dword v2, v[2:3]
	s_mov_b32 s16, 0x43800000
	v_mov_b32_e32 v4, 0x80
	s_waitcnt vmcnt(0) lgkmcnt(0)
	v_and_b32_e32 v3, 0x7fffffff, v2
	v_cmp_gt_u32_e32 vcc, s16, v3
	s_and_saveexec_b64 s[16:17], vcc
	s_cbranch_execz .LBB307_34
; %bb.29:
	s_mov_b32 s18, 0x3bffffff
	v_cmp_lt_u32_e32 vcc, s18, v3
	s_mov_b64 s[18:19], 0
                                        ; implicit-def: $vgpr3
	s_and_saveexec_b64 s[20:21], vcc
	s_xor_b64 s[20:21], exec, s[20:21]
	s_cbranch_execnz .LBB307_284
; %bb.30:
	s_andn2_saveexec_b64 s[20:21], s[20:21]
	s_cbranch_execnz .LBB307_285
.LBB307_31:
	s_or_b64 exec, exec, s[20:21]
	v_mov_b32_e32 v4, 0
	s_and_saveexec_b64 s[20:21], s[18:19]
.LBB307_32:
	v_lshrrev_b32_e32 v2, 24, v2
	s_movk_i32 s18, 0x80
	v_and_or_b32 v4, v2, s18, v3
.LBB307_33:
	s_or_b64 exec, exec, s[20:21]
.LBB307_34:
	s_or_b64 exec, exec, s[16:17]
.LBB307_35:
	s_or_b64 exec, exec, s[14:15]
                                        ; implicit-def: $vgpr2_vgpr3
.LBB307_36:
	s_andn2_saveexec_b64 s[12:13], s[12:13]
	s_cbranch_execz .LBB307_44
; %bb.37:
	flat_load_dword v2, v[2:3]
	s_mov_b32 s14, 0x43800000
	v_mov_b32_e32 v4, 0x80
	s_waitcnt vmcnt(0) lgkmcnt(0)
	v_cvt_f32_f16_e32 v2, v2
	v_and_b32_e32 v3, 0x7fffffff, v2
	v_cmp_gt_u32_e32 vcc, s14, v3
	s_and_saveexec_b64 s[14:15], vcc
	s_cbranch_execz .LBB307_43
; %bb.38:
	s_mov_b32 s16, 0x3bffffff
	v_cmp_lt_u32_e32 vcc, s16, v3
	s_mov_b64 s[16:17], 0
                                        ; implicit-def: $vgpr3
	s_and_saveexec_b64 s[18:19], vcc
	s_xor_b64 s[18:19], exec, s[18:19]
	s_cbranch_execnz .LBB307_266
; %bb.39:
	s_andn2_saveexec_b64 s[18:19], s[18:19]
	s_cbranch_execnz .LBB307_267
.LBB307_40:
	s_or_b64 exec, exec, s[18:19]
	v_mov_b32_e32 v4, 0
	s_and_saveexec_b64 s[18:19], s[16:17]
.LBB307_41:
	v_lshrrev_b32_e32 v2, 24, v2
	s_movk_i32 s16, 0x80
	v_and_or_b32 v4, v2, s16, v3
.LBB307_42:
	s_or_b64 exec, exec, s[18:19]
.LBB307_43:
	s_or_b64 exec, exec, s[14:15]
.LBB307_44:
	s_or_b64 exec, exec, s[12:13]
                                        ; implicit-def: $vgpr5
                                        ; implicit-def: $vgpr2_vgpr3
.LBB307_45:
	s_andn2_saveexec_b64 s[10:11], s[10:11]
	s_cbranch_execz .LBB307_73
; %bb.46:
	v_mov_b32_e32 v4, 5
	v_cmp_gt_i16_sdwa s[12:13], v5, v4 src0_sel:BYTE_0 src1_sel:DWORD
                                        ; implicit-def: $vgpr4
	s_and_saveexec_b64 s[14:15], s[12:13]
	s_xor_b64 s[12:13], exec, s[14:15]
	s_cbranch_execz .LBB307_64
; %bb.47:
	v_mov_b32_e32 v4, 6
	v_cmp_gt_i16_sdwa s[14:15], v5, v4 src0_sel:BYTE_0 src1_sel:DWORD
                                        ; implicit-def: $vgpr4
	s_and_saveexec_b64 s[16:17], s[14:15]
	s_xor_b64 s[14:15], exec, s[16:17]
	s_cbranch_execz .LBB307_55
; %bb.48:
	flat_load_dwordx2 v[2:3], v[2:3]
	s_mov_b32 s16, 0x43800000
	v_mov_b32_e32 v4, 0x80
	s_waitcnt vmcnt(0) lgkmcnt(0)
	v_cvt_f32_f64_e32 v2, v[2:3]
	v_and_b32_e32 v3, 0x7fffffff, v2
	v_cmp_gt_u32_e32 vcc, s16, v3
	s_and_saveexec_b64 s[16:17], vcc
	s_cbranch_execz .LBB307_54
; %bb.49:
	s_mov_b32 s18, 0x3bffffff
	v_cmp_lt_u32_e32 vcc, s18, v3
	s_mov_b64 s[18:19], 0
                                        ; implicit-def: $vgpr3
	s_and_saveexec_b64 s[20:21], vcc
	s_xor_b64 s[20:21], exec, s[20:21]
	s_cbranch_execnz .LBB307_286
; %bb.50:
	s_andn2_saveexec_b64 s[20:21], s[20:21]
	s_cbranch_execnz .LBB307_287
.LBB307_51:
	s_or_b64 exec, exec, s[20:21]
	v_mov_b32_e32 v4, 0
	s_and_saveexec_b64 s[20:21], s[18:19]
.LBB307_52:
	v_lshrrev_b32_e32 v2, 24, v2
	s_movk_i32 s18, 0x80
	v_and_or_b32 v4, v2, s18, v3
.LBB307_53:
	s_or_b64 exec, exec, s[20:21]
.LBB307_54:
	s_or_b64 exec, exec, s[16:17]
                                        ; implicit-def: $vgpr2_vgpr3
.LBB307_55:
	s_andn2_saveexec_b64 s[14:15], s[14:15]
	s_cbranch_execz .LBB307_63
; %bb.56:
	flat_load_dword v2, v[2:3]
	s_mov_b32 s16, 0x43800000
	v_mov_b32_e32 v4, 0x80
	s_waitcnt vmcnt(0) lgkmcnt(0)
	v_and_b32_e32 v3, 0x7fffffff, v2
	v_cmp_gt_u32_e32 vcc, s16, v3
	s_and_saveexec_b64 s[16:17], vcc
	s_cbranch_execz .LBB307_62
; %bb.57:
	s_mov_b32 s18, 0x3bffffff
	v_cmp_lt_u32_e32 vcc, s18, v3
	s_mov_b64 s[18:19], 0
                                        ; implicit-def: $vgpr3
	s_and_saveexec_b64 s[20:21], vcc
	s_xor_b64 s[20:21], exec, s[20:21]
	s_cbranch_execnz .LBB307_288
; %bb.58:
	s_andn2_saveexec_b64 s[20:21], s[20:21]
	s_cbranch_execnz .LBB307_289
.LBB307_59:
	s_or_b64 exec, exec, s[20:21]
	v_mov_b32_e32 v4, 0
	s_and_saveexec_b64 s[20:21], s[18:19]
.LBB307_60:
	v_lshrrev_b32_e32 v2, 24, v2
	s_movk_i32 s18, 0x80
	v_and_or_b32 v4, v2, s18, v3
.LBB307_61:
	s_or_b64 exec, exec, s[20:21]
.LBB307_62:
	s_or_b64 exec, exec, s[16:17]
.LBB307_63:
	s_or_b64 exec, exec, s[14:15]
                                        ; implicit-def: $vgpr2_vgpr3
.LBB307_64:
	s_andn2_saveexec_b64 s[12:13], s[12:13]
	s_cbranch_execz .LBB307_72
; %bb.65:
	flat_load_ushort v2, v[2:3]
	s_mov_b32 s14, 0x43800000
	v_mov_b32_e32 v4, 0x80
	s_waitcnt vmcnt(0) lgkmcnt(0)
	v_cvt_f32_f16_e32 v2, v2
	v_and_b32_e32 v3, 0x7fffffff, v2
	v_cmp_gt_u32_e32 vcc, s14, v3
	s_and_saveexec_b64 s[14:15], vcc
	s_cbranch_execz .LBB307_71
; %bb.66:
	s_mov_b32 s16, 0x3bffffff
	v_cmp_lt_u32_e32 vcc, s16, v3
	s_mov_b64 s[16:17], 0
                                        ; implicit-def: $vgpr3
	s_and_saveexec_b64 s[18:19], vcc
	s_xor_b64 s[18:19], exec, s[18:19]
	s_cbranch_execnz .LBB307_268
; %bb.67:
	s_andn2_saveexec_b64 s[18:19], s[18:19]
	s_cbranch_execnz .LBB307_269
.LBB307_68:
	s_or_b64 exec, exec, s[18:19]
	v_mov_b32_e32 v4, 0
	s_and_saveexec_b64 s[18:19], s[16:17]
.LBB307_69:
	v_lshrrev_b32_e32 v2, 24, v2
	s_movk_i32 s16, 0x80
	v_and_or_b32 v4, v2, s16, v3
.LBB307_70:
	s_or_b64 exec, exec, s[18:19]
.LBB307_71:
	s_or_b64 exec, exec, s[14:15]
.LBB307_72:
	s_or_b64 exec, exec, s[12:13]
.LBB307_73:
	s_or_b64 exec, exec, s[10:11]
                                        ; implicit-def: $vgpr5
                                        ; implicit-def: $vgpr2_vgpr3
.LBB307_74:
	s_andn2_saveexec_b64 s[8:9], s[8:9]
	s_cbranch_execz .LBB307_122
; %bb.75:
	v_mov_b32_e32 v4, 1
	v_cmp_gt_i16_sdwa s[10:11], v5, v4 src0_sel:BYTE_0 src1_sel:DWORD
                                        ; implicit-def: $vgpr4
	s_and_saveexec_b64 s[12:13], s[10:11]
	s_xor_b64 s[10:11], exec, s[12:13]
	s_cbranch_execz .LBB307_103
; %bb.76:
	v_mov_b32_e32 v4, 2
	v_cmp_gt_i16_sdwa s[12:13], v5, v4 src0_sel:BYTE_0 src1_sel:DWORD
                                        ; implicit-def: $vgpr4
	s_and_saveexec_b64 s[14:15], s[12:13]
	s_xor_b64 s[12:13], exec, s[14:15]
	;; [unrolled: 7-line block ×3, first 2 shown]
	s_cbranch_execz .LBB307_85
; %bb.78:
	flat_load_dwordx2 v[2:3], v[2:3]
	s_mov_b32 s16, 0x43800000
	s_waitcnt vmcnt(0) lgkmcnt(0)
	v_xor_b32_e32 v5, v2, v3
	v_ffbh_i32_e32 v4, v3
	v_ashrrev_i32_e32 v5, 31, v5
	v_add_u32_e32 v4, -1, v4
	v_add_u32_e32 v5, 32, v5
	v_min_u32_e32 v4, v4, v5
	v_lshlrev_b64 v[2:3], v4, v[2:3]
	v_min_u32_e32 v2, 1, v2
	v_or_b32_e32 v2, v3, v2
	v_cvt_f32_i32_e32 v2, v2
	v_sub_u32_e32 v3, 32, v4
	v_mov_b32_e32 v4, 0x80
	v_ldexp_f32 v2, v2, v3
	v_and_b32_e32 v3, 0x7fffffff, v2
	v_cmp_gt_u32_e32 vcc, s16, v3
	s_and_saveexec_b64 s[16:17], vcc
	s_cbranch_execz .LBB307_84
; %bb.79:
	s_mov_b32 s18, 0x3bffffff
	v_cmp_lt_u32_e32 vcc, s18, v3
	s_mov_b64 s[18:19], 0
                                        ; implicit-def: $vgpr3
	s_and_saveexec_b64 s[20:21], vcc
	s_xor_b64 s[20:21], exec, s[20:21]
	s_cbranch_execnz .LBB307_290
; %bb.80:
	s_andn2_saveexec_b64 s[20:21], s[20:21]
	s_cbranch_execnz .LBB307_291
.LBB307_81:
	s_or_b64 exec, exec, s[20:21]
	v_mov_b32_e32 v4, 0
	s_and_saveexec_b64 s[20:21], s[18:19]
.LBB307_82:
	v_lshrrev_b32_e32 v2, 24, v2
	s_movk_i32 s18, 0x80
	v_and_or_b32 v4, v2, s18, v3
.LBB307_83:
	s_or_b64 exec, exec, s[20:21]
.LBB307_84:
	s_or_b64 exec, exec, s[16:17]
                                        ; implicit-def: $vgpr2_vgpr3
.LBB307_85:
	s_andn2_saveexec_b64 s[14:15], s[14:15]
	s_cbranch_execz .LBB307_93
; %bb.86:
	flat_load_dword v2, v[2:3]
	s_mov_b32 s16, 0x43800000
	v_mov_b32_e32 v4, 0x80
	s_waitcnt vmcnt(0) lgkmcnt(0)
	v_cvt_f32_i32_e32 v2, v2
	v_and_b32_e32 v3, 0x7fffffff, v2
	v_cmp_gt_u32_e32 vcc, s16, v3
	s_and_saveexec_b64 s[16:17], vcc
	s_cbranch_execz .LBB307_92
; %bb.87:
	s_mov_b32 s18, 0x3bffffff
	v_cmp_lt_u32_e32 vcc, s18, v3
	s_mov_b64 s[18:19], 0
                                        ; implicit-def: $vgpr3
	s_and_saveexec_b64 s[20:21], vcc
	s_xor_b64 s[20:21], exec, s[20:21]
	s_cbranch_execnz .LBB307_292
; %bb.88:
	s_andn2_saveexec_b64 s[20:21], s[20:21]
	s_cbranch_execnz .LBB307_293
.LBB307_89:
	s_or_b64 exec, exec, s[20:21]
	v_mov_b32_e32 v4, 0
	s_and_saveexec_b64 s[20:21], s[18:19]
.LBB307_90:
	v_lshrrev_b32_e32 v2, 24, v2
	s_movk_i32 s18, 0x80
	v_and_or_b32 v4, v2, s18, v3
.LBB307_91:
	s_or_b64 exec, exec, s[20:21]
.LBB307_92:
	s_or_b64 exec, exec, s[16:17]
.LBB307_93:
	s_or_b64 exec, exec, s[14:15]
                                        ; implicit-def: $vgpr2_vgpr3
.LBB307_94:
	s_andn2_saveexec_b64 s[12:13], s[12:13]
	s_cbranch_execz .LBB307_102
; %bb.95:
	flat_load_sshort v2, v[2:3]
	s_mov_b32 s14, 0x43800000
	v_mov_b32_e32 v4, 0x80
	s_waitcnt vmcnt(0) lgkmcnt(0)
	v_cvt_f32_i32_e32 v2, v2
	v_and_b32_e32 v3, 0x7fffffff, v2
	v_cmp_gt_u32_e32 vcc, s14, v3
	s_and_saveexec_b64 s[14:15], vcc
	s_cbranch_execz .LBB307_101
; %bb.96:
	s_mov_b32 s16, 0x3bffffff
	v_cmp_lt_u32_e32 vcc, s16, v3
	s_mov_b64 s[16:17], 0
                                        ; implicit-def: $vgpr3
	s_and_saveexec_b64 s[18:19], vcc
	s_xor_b64 s[18:19], exec, s[18:19]
	s_cbranch_execnz .LBB307_270
; %bb.97:
	s_andn2_saveexec_b64 s[18:19], s[18:19]
	s_cbranch_execnz .LBB307_271
.LBB307_98:
	s_or_b64 exec, exec, s[18:19]
	v_mov_b32_e32 v4, 0
	s_and_saveexec_b64 s[18:19], s[16:17]
.LBB307_99:
	v_lshrrev_b32_e32 v2, 24, v2
	s_movk_i32 s16, 0x80
	v_and_or_b32 v4, v2, s16, v3
.LBB307_100:
	s_or_b64 exec, exec, s[18:19]
.LBB307_101:
	s_or_b64 exec, exec, s[14:15]
.LBB307_102:
	s_or_b64 exec, exec, s[12:13]
                                        ; implicit-def: $vgpr5
                                        ; implicit-def: $vgpr2_vgpr3
.LBB307_103:
	s_andn2_saveexec_b64 s[10:11], s[10:11]
	s_cbranch_execz .LBB307_121
; %bb.104:
	v_mov_b32_e32 v4, 0
	v_cmp_gt_i16_sdwa s[12:13], v5, v4 src0_sel:BYTE_0 src1_sel:DWORD
                                        ; implicit-def: $vgpr4
	s_and_saveexec_b64 s[14:15], s[12:13]
	s_xor_b64 s[12:13], exec, s[14:15]
	s_cbranch_execz .LBB307_112
; %bb.105:
	flat_load_sbyte v2, v[2:3]
	s_mov_b32 s14, 0x43800000
	v_mov_b32_e32 v4, 0x80
	s_waitcnt vmcnt(0) lgkmcnt(0)
	v_cvt_f32_i32_e32 v2, v2
	v_and_b32_e32 v3, 0x7fffffff, v2
	v_cmp_gt_u32_e32 vcc, s14, v3
	s_and_saveexec_b64 s[14:15], vcc
	s_cbranch_execz .LBB307_111
; %bb.106:
	s_mov_b32 s16, 0x3bffffff
	v_cmp_lt_u32_e32 vcc, s16, v3
	s_mov_b64 s[16:17], 0
                                        ; implicit-def: $vgpr3
	s_and_saveexec_b64 s[18:19], vcc
	s_xor_b64 s[18:19], exec, s[18:19]
	s_cbranch_execnz .LBB307_272
; %bb.107:
	s_andn2_saveexec_b64 s[18:19], s[18:19]
	s_cbranch_execnz .LBB307_273
.LBB307_108:
	s_or_b64 exec, exec, s[18:19]
	v_mov_b32_e32 v4, 0
	s_and_saveexec_b64 s[18:19], s[16:17]
.LBB307_109:
	v_lshrrev_b32_e32 v2, 24, v2
	s_movk_i32 s16, 0x80
	v_and_or_b32 v4, v2, s16, v3
.LBB307_110:
	s_or_b64 exec, exec, s[18:19]
.LBB307_111:
	s_or_b64 exec, exec, s[14:15]
                                        ; implicit-def: $vgpr2_vgpr3
.LBB307_112:
	s_andn2_saveexec_b64 s[12:13], s[12:13]
	s_cbranch_execz .LBB307_120
; %bb.113:
	flat_load_ubyte v2, v[2:3]
	s_mov_b32 s14, 0x43800000
	v_mov_b32_e32 v4, 0x80
	s_waitcnt vmcnt(0) lgkmcnt(0)
	v_cvt_f32_ubyte0_e32 v3, v2
	v_cmp_gt_u32_e32 vcc, s14, v3
	s_and_saveexec_b64 s[14:15], vcc
	s_cbranch_execz .LBB307_119
; %bb.114:
	s_mov_b32 s16, 0x3bffffff
	v_cmp_lt_u32_e32 vcc, s16, v3
	s_mov_b64 s[16:17], 0
                                        ; implicit-def: $vgpr2
	s_and_saveexec_b64 s[18:19], vcc
	s_xor_b64 s[18:19], exec, s[18:19]
	s_cbranch_execnz .LBB307_274
; %bb.115:
	s_andn2_saveexec_b64 s[18:19], s[18:19]
	s_cbranch_execnz .LBB307_275
.LBB307_116:
	s_or_b64 exec, exec, s[18:19]
	v_mov_b32_e32 v4, 0
	s_and_saveexec_b64 s[18:19], s[16:17]
.LBB307_117:
	v_mov_b32_e32 v4, v2
.LBB307_118:
	s_or_b64 exec, exec, s[18:19]
.LBB307_119:
	s_or_b64 exec, exec, s[14:15]
.LBB307_120:
	s_or_b64 exec, exec, s[12:13]
.LBB307_121:
	s_or_b64 exec, exec, s[10:11]
.LBB307_122:
	s_or_b64 exec, exec, s[8:9]
	s_or_b64 s[6:7], s[6:7], exec
	s_or_b64 exec, exec, s[4:5]
                                        ; implicit-def: $sgpr8_sgpr9
	s_and_saveexec_b64 s[4:5], s[6:7]
	s_cbranch_execz .LBB307_3
.LBB307_123:
	v_cmp_ne_u32_e32 vcc, 0, v0
                                        ; implicit-def: $sgpr8_sgpr9
	s_and_saveexec_b64 s[6:7], vcc
	s_xor_b64 s[6:7], exec, s[6:7]
	s_cbranch_execz .LBB307_133
; %bb.124:
	s_movk_i32 s8, 0x7f
	v_cmp_gt_i16_sdwa s[10:11], v1, s8 src0_sel:BYTE_0 src1_sel:DWORD
	s_mov_b64 s[8:9], 0
	s_and_saveexec_b64 s[12:13], s[10:11]
	s_xor_b64 s[10:11], exec, s[12:13]
	s_cbranch_execnz .LBB307_248
; %bb.125:
	s_or_saveexec_b64 s[10:11], s[10:11]
	v_mov_b32_e32 v0, 0x7f800001
	s_xor_b64 exec, exec, s[10:11]
	s_cbranch_execnz .LBB307_251
.LBB307_126:
	s_or_b64 exec, exec, s[10:11]
	s_and_saveexec_b64 s[10:11], s[8:9]
	s_cbranch_execz .LBB307_128
.LBB307_127:
	v_and_b32_e32 v2, 7, v1
	v_ffbh_u32_e32 v3, v2
	v_min_u32_e32 v3, 32, v3
	v_lshrrev_b16_e32 v0, 3, v1
	v_subrev_u32_e32 v5, 28, v3
	v_and_b32_e32 v0, 15, v0
	v_lshlrev_b32_e32 v5, v5, v1
	v_sub_u32_e32 v3, 29, v3
	v_and_b32_e32 v5, 7, v5
	v_cmp_eq_u32_e32 vcc, 0, v0
	v_cndmask_b32_e32 v0, v0, v3, vcc
	v_cndmask_b32_e32 v2, v2, v5, vcc
	v_lshlrev_b32_e32 v1, 24, v1
	v_mov_b32_e32 v3, 0x3b800000
	v_lshlrev_b32_e32 v2, 20, v2
	v_and_b32_e32 v1, 0x80000000, v1
	v_lshl_add_u32 v0, v0, 23, v3
	v_or3_b32 v0, v1, v0, v2
.LBB307_128:
	s_or_b64 exec, exec, s[10:11]
	s_movk_i32 s8, 0x7f
	s_waitcnt vmcnt(0) lgkmcnt(0)
	v_cmp_gt_i16_sdwa s[10:11], v4, s8 src0_sel:BYTE_0 src1_sel:DWORD
	s_mov_b64 s[8:9], 0
	s_and_saveexec_b64 s[12:13], s[10:11]
	s_xor_b64 s[10:11], exec, s[12:13]
	s_cbranch_execnz .LBB307_252
; %bb.129:
	s_or_saveexec_b64 s[10:11], s[10:11]
	v_mov_b32_e32 v1, 0x7f800001
	s_xor_b64 exec, exec, s[10:11]
	s_cbranch_execnz .LBB307_255
.LBB307_130:
	s_or_b64 exec, exec, s[10:11]
	s_and_saveexec_b64 s[10:11], s[8:9]
	s_cbranch_execz .LBB307_132
.LBB307_131:
	v_and_b32_e32 v2, 7, v4
	v_ffbh_u32_e32 v3, v2
	v_min_u32_e32 v3, 32, v3
	v_lshrrev_b16_e32 v1, 3, v4
	v_subrev_u32_e32 v5, 28, v3
	v_and_b32_e32 v1, 15, v1
	v_lshlrev_b32_e32 v5, v5, v4
	v_sub_u32_e32 v3, 29, v3
	v_and_b32_e32 v5, 7, v5
	v_cmp_eq_u32_e32 vcc, 0, v1
	v_cndmask_b32_e32 v1, v1, v3, vcc
	v_cndmask_b32_e32 v2, v2, v5, vcc
	v_lshlrev_b32_e32 v3, 24, v4
	v_mov_b32_e32 v4, 0x3b800000
	v_lshlrev_b32_e32 v2, 20, v2
	v_and_b32_e32 v3, 0x80000000, v3
	v_lshl_add_u32 v1, v1, 23, v4
	v_or3_b32 v1, v3, v1, v2
.LBB307_132:
	s_or_b64 exec, exec, s[10:11]
	v_cmp_neq_f32_e64 s[8:9], v0, v1
                                        ; implicit-def: $vgpr4
                                        ; implicit-def: $vgpr1
.LBB307_133:
	s_andn2_saveexec_b64 s[6:7], s[6:7]
	s_cbranch_execz .LBB307_3
; %bb.134:
	s_movk_i32 s6, 0x7f
	v_cmp_gt_i16_sdwa s[10:11], v1, s6 src0_sel:BYTE_0 src1_sel:DWORD
	s_mov_b64 s[6:7], 0
	s_and_saveexec_b64 s[12:13], s[10:11]
	s_xor_b64 s[10:11], exec, s[12:13]
	s_cbranch_execnz .LBB307_256
; %bb.135:
	s_or_saveexec_b64 s[10:11], s[10:11]
	v_mov_b32_e32 v0, 0x7f800001
	s_xor_b64 exec, exec, s[10:11]
	s_cbranch_execnz .LBB307_259
.LBB307_136:
	s_or_b64 exec, exec, s[10:11]
	s_and_saveexec_b64 s[10:11], s[6:7]
	s_cbranch_execz .LBB307_138
.LBB307_137:
	v_and_b32_e32 v2, 7, v1
	v_ffbh_u32_e32 v3, v2
	v_min_u32_e32 v3, 32, v3
	v_lshrrev_b16_e32 v0, 3, v1
	v_subrev_u32_e32 v5, 28, v3
	v_and_b32_e32 v0, 15, v0
	v_lshlrev_b32_e32 v5, v5, v1
	v_sub_u32_e32 v3, 29, v3
	v_and_b32_e32 v5, 7, v5
	v_cmp_eq_u32_e32 vcc, 0, v0
	v_cndmask_b32_e32 v0, v0, v3, vcc
	v_cndmask_b32_e32 v2, v2, v5, vcc
	v_lshlrev_b32_e32 v1, 24, v1
	v_mov_b32_e32 v3, 0x3b800000
	v_lshlrev_b32_e32 v2, 20, v2
	v_and_b32_e32 v1, 0x80000000, v1
	v_lshl_add_u32 v0, v0, 23, v3
	v_or3_b32 v0, v1, v0, v2
.LBB307_138:
	s_or_b64 exec, exec, s[10:11]
	s_movk_i32 s6, 0x7f
	s_waitcnt vmcnt(0) lgkmcnt(0)
	v_cmp_gt_i16_sdwa s[10:11], v4, s6 src0_sel:BYTE_0 src1_sel:DWORD
	s_mov_b64 s[6:7], 0
	s_and_saveexec_b64 s[12:13], s[10:11]
	s_xor_b64 s[10:11], exec, s[12:13]
	s_cbranch_execnz .LBB307_260
; %bb.139:
	s_or_saveexec_b64 s[10:11], s[10:11]
	v_mov_b32_e32 v1, 0x7f800001
	s_xor_b64 exec, exec, s[10:11]
	s_cbranch_execnz .LBB307_263
.LBB307_140:
	s_or_b64 exec, exec, s[10:11]
	s_and_saveexec_b64 s[10:11], s[6:7]
	s_cbranch_execz .LBB307_142
.LBB307_141:
	v_and_b32_e32 v2, 7, v4
	v_ffbh_u32_e32 v3, v2
	v_min_u32_e32 v3, 32, v3
	v_lshrrev_b16_e32 v1, 3, v4
	v_subrev_u32_e32 v5, 28, v3
	v_and_b32_e32 v1, 15, v1
	v_lshlrev_b32_e32 v5, v5, v4
	v_sub_u32_e32 v3, 29, v3
	v_and_b32_e32 v5, 7, v5
	v_cmp_eq_u32_e32 vcc, 0, v1
	v_cndmask_b32_e32 v1, v1, v3, vcc
	v_cndmask_b32_e32 v2, v2, v5, vcc
	v_lshlrev_b32_e32 v3, 24, v4
	v_mov_b32_e32 v4, 0x3b800000
	v_lshlrev_b32_e32 v2, 20, v2
	v_and_b32_e32 v3, 0x80000000, v3
	v_lshl_add_u32 v1, v1, 23, v4
	v_or3_b32 v1, v3, v1, v2
.LBB307_142:
	s_or_b64 exec, exec, s[10:11]
	v_cmp_eq_f32_e32 vcc, v0, v1
	s_andn2_b64 s[6:7], s[8:9], exec
	s_and_b64 s[8:9], vcc, exec
	s_or_b64 s[8:9], s[6:7], s[8:9]
	s_or_b64 exec, exec, s[4:5]
	v_cndmask_b32_e64 v0, 0, 1, s[8:9]
	s_setpc_b64 s[30:31]
.LBB307_143:
	v_mov_b32_e32 v4, 28
	v_cmp_gt_i16_sdwa s[6:7], v5, v4 src0_sel:BYTE_0 src1_sel:DWORD
	s_mov_b64 s[14:15], 0
                                        ; implicit-def: $vgpr4
	s_and_saveexec_b64 s[16:17], s[6:7]
	s_xor_b64 s[6:7], exec, s[16:17]
	s_cbranch_execz .LBB307_177
; %bb.144:
	v_mov_b32_e32 v4, 43
	v_cmp_gt_i16_sdwa s[12:13], v5, v4 src0_sel:BYTE_0 src1_sel:DWORD
	s_mov_b64 s[16:17], 0
	s_mov_b64 s[18:19], 0
                                        ; implicit-def: $vgpr4
	s_and_saveexec_b64 s[14:15], s[12:13]
	s_xor_b64 s[12:13], exec, s[14:15]
	s_cbranch_execz .LBB307_166
; %bb.145:
	v_mov_b32_e32 v4, 45
	v_cmp_gt_i16_sdwa s[18:19], v5, v4 src0_sel:BYTE_0 src1_sel:DWORD
	s_mov_b64 s[14:15], 0
                                        ; implicit-def: $vgpr4
	s_and_saveexec_b64 s[20:21], s[18:19]
	s_xor_b64 s[18:19], exec, s[20:21]
	s_cbranch_execz .LBB307_155
; %bb.146:
	v_mov_b32_e32 v4, 46
	v_cmp_eq_u16_sdwa s[22:23], v5, v4 src0_sel:BYTE_0 src1_sel:DWORD
	s_mov_b64 s[20:21], -1
                                        ; implicit-def: $vgpr4
	s_and_saveexec_b64 s[14:15], s[22:23]
	s_cbranch_execz .LBB307_154
; %bb.147:
	flat_load_dword v4, v[2:3]
	s_mov_b32 s16, 0x43800000
	s_waitcnt vmcnt(0) lgkmcnt(0)
	v_lshlrev_b32_e32 v5, 16, v4
	v_and_b32_e32 v6, 0x7fffffff, v5
	v_cmp_gt_u32_e32 vcc, s16, v6
	v_mov_b32_e32 v4, 0x80
	s_and_saveexec_b64 s[16:17], vcc
	s_cbranch_execz .LBB307_153
; %bb.148:
	s_mov_b32 s20, 0x3bffffff
	v_cmp_lt_u32_e32 vcc, s20, v6
	s_mov_b64 s[20:21], 0
                                        ; implicit-def: $vgpr6
	s_and_saveexec_b64 s[22:23], vcc
	s_xor_b64 s[22:23], exec, s[22:23]
	s_cbranch_execnz .LBB307_306
; %bb.149:
	s_andn2_saveexec_b64 s[22:23], s[22:23]
	s_cbranch_execnz .LBB307_307
.LBB307_150:
	s_or_b64 exec, exec, s[22:23]
	v_mov_b32_e32 v4, 0
	s_and_saveexec_b64 s[22:23], s[20:21]
.LBB307_151:
	v_lshrrev_b32_e32 v4, 24, v5
	s_movk_i32 s20, 0x80
	v_and_or_b32 v4, v4, s20, v6
.LBB307_152:
	s_or_b64 exec, exec, s[22:23]
.LBB307_153:
	s_or_b64 exec, exec, s[16:17]
	s_mov_b64 s[16:17], exec
	s_xor_b64 s[20:21], exec, -1
.LBB307_154:
	s_or_b64 exec, exec, s[14:15]
	s_and_b64 s[16:17], s[16:17], exec
	s_and_b64 s[14:15], s[20:21], exec
                                        ; implicit-def: $vgpr5
.LBB307_155:
	s_andn2_saveexec_b64 s[18:19], s[18:19]
	s_cbranch_execz .LBB307_165
; %bb.156:
	v_mov_b32_e32 v4, 44
	v_cmp_eq_u16_sdwa s[26:27], v5, v4 src0_sel:BYTE_0 src1_sel:DWORD
	s_mov_b64 s[22:23], -1
	s_mov_b64 s[24:25], s[16:17]
                                        ; implicit-def: $vgpr4
	s_and_saveexec_b64 s[20:21], s[26:27]
	s_cbranch_execz .LBB307_164
; %bb.157:
	flat_load_ubyte v4, v[2:3]
	s_movk_i32 s22, 0xff
	v_mov_b32_e32 v5, 0x7f800001
	v_mov_b32_e32 v6, 0x400000
	s_mov_b32 s23, 0x43800000
	s_waitcnt vmcnt(0) lgkmcnt(0)
	v_lshlrev_b32_e32 v7, 23, v4
	v_cmp_ne_u32_e32 vcc, s22, v4
	v_cndmask_b32_e32 v5, v5, v7, vcc
	v_cmp_ne_u32_e32 vcc, 0, v4
	v_cndmask_b32_e32 v6, v6, v5, vcc
	v_cmp_gt_u32_e32 vcc, s23, v6
	v_mov_b32_e32 v4, 0x80
	s_and_saveexec_b64 s[22:23], vcc
	s_cbranch_execz .LBB307_163
; %bb.158:
	s_mov_b32 s24, 0x3bffffff
	v_cmp_lt_u32_e32 vcc, s24, v6
	s_mov_b64 s[24:25], 0
                                        ; implicit-def: $vgpr5
	s_and_saveexec_b64 s[26:27], vcc
	s_xor_b64 s[26:27], exec, s[26:27]
	s_cbranch_execnz .LBB307_308
; %bb.159:
	s_andn2_saveexec_b64 s[26:27], s[26:27]
	s_cbranch_execnz .LBB307_309
.LBB307_160:
	s_or_b64 exec, exec, s[26:27]
	v_mov_b32_e32 v4, 0
	s_and_saveexec_b64 s[26:27], s[24:25]
.LBB307_161:
	v_mov_b32_e32 v4, v5
.LBB307_162:
	s_or_b64 exec, exec, s[26:27]
.LBB307_163:
	s_or_b64 exec, exec, s[22:23]
	s_or_b64 s[24:25], s[16:17], exec
	s_xor_b64 s[22:23], exec, -1
.LBB307_164:
	s_or_b64 exec, exec, s[20:21]
	s_andn2_b64 s[16:17], s[16:17], exec
	s_and_b64 s[20:21], s[24:25], exec
	s_or_b64 s[16:17], s[16:17], s[20:21]
	s_andn2_b64 s[14:15], s[14:15], exec
	s_and_b64 s[20:21], s[22:23], exec
	s_or_b64 s[14:15], s[14:15], s[20:21]
.LBB307_165:
	s_or_b64 exec, exec, s[18:19]
	s_and_b64 s[18:19], s[16:17], exec
	s_and_b64 s[16:17], s[14:15], exec
                                        ; implicit-def: $vgpr5
.LBB307_166:
	s_andn2_saveexec_b64 s[12:13], s[12:13]
	s_cbranch_execz .LBB307_176
; %bb.167:
	v_mov_b32_e32 v4, 29
	v_cmp_eq_u16_sdwa s[24:25], v5, v4 src0_sel:BYTE_0 src1_sel:DWORD
	s_mov_b64 s[20:21], -1
	s_mov_b64 s[22:23], s[18:19]
                                        ; implicit-def: $vgpr4
	s_and_saveexec_b64 s[14:15], s[24:25]
	s_cbranch_execz .LBB307_175
; %bb.168:
	flat_load_dwordx2 v[4:5], v[2:3]
	s_mov_b32 s20, 0x43800000
	s_waitcnt vmcnt(0) lgkmcnt(0)
	v_ffbh_u32_e32 v6, v5
	v_min_u32_e32 v6, 32, v6
	v_lshlrev_b64 v[4:5], v6, v[4:5]
	v_min_u32_e32 v4, 1, v4
	v_or_b32_e32 v4, v5, v4
	v_cvt_f32_u32_e32 v4, v4
	v_sub_u32_e32 v5, 32, v6
	v_ldexp_f32 v6, v4, v5
	v_cmp_gt_u32_e32 vcc, s20, v6
	v_mov_b32_e32 v4, 0x80
	s_and_saveexec_b64 s[20:21], vcc
	s_cbranch_execz .LBB307_174
; %bb.169:
	s_mov_b32 s22, 0x3bffffff
	v_cmp_lt_u32_e32 vcc, s22, v6
	s_mov_b64 s[22:23], 0
                                        ; implicit-def: $vgpr5
	s_and_saveexec_b64 s[24:25], vcc
	s_xor_b64 s[24:25], exec, s[24:25]
	s_cbranch_execnz .LBB307_294
; %bb.170:
	s_andn2_saveexec_b64 s[24:25], s[24:25]
	s_cbranch_execnz .LBB307_295
.LBB307_171:
	s_or_b64 exec, exec, s[24:25]
	v_mov_b32_e32 v4, 0
	s_and_saveexec_b64 s[24:25], s[22:23]
.LBB307_172:
	v_mov_b32_e32 v4, v5
.LBB307_173:
	s_or_b64 exec, exec, s[24:25]
.LBB307_174:
	s_or_b64 exec, exec, s[20:21]
	s_or_b64 s[22:23], s[18:19], exec
	s_xor_b64 s[20:21], exec, -1
.LBB307_175:
	s_or_b64 exec, exec, s[14:15]
	s_andn2_b64 s[14:15], s[18:19], exec
	s_and_b64 s[18:19], s[22:23], exec
	s_or_b64 s[18:19], s[14:15], s[18:19]
	s_andn2_b64 s[14:15], s[16:17], exec
	s_and_b64 s[16:17], s[20:21], exec
	s_or_b64 s[16:17], s[14:15], s[16:17]
.LBB307_176:
	s_or_b64 exec, exec, s[12:13]
	s_and_b64 s[14:15], s[18:19], exec
	s_and_b64 s[12:13], s[16:17], exec
                                        ; implicit-def: $vgpr5
.LBB307_177:
	s_andn2_saveexec_b64 s[6:7], s[6:7]
	s_cbranch_execz .LBB307_199
; %bb.178:
	v_mov_b32_e32 v4, 26
	v_cmp_gt_i16_sdwa s[16:17], v5, v4 src0_sel:BYTE_0 src1_sel:DWORD
                                        ; implicit-def: $vgpr4
	s_and_saveexec_b64 s[18:19], s[16:17]
	s_xor_b64 s[16:17], exec, s[18:19]
	s_cbranch_execz .LBB307_196
; %bb.179:
	v_mov_b32_e32 v4, 27
	v_cmp_gt_i16_sdwa s[18:19], v5, v4 src0_sel:BYTE_0 src1_sel:DWORD
                                        ; implicit-def: $vgpr4
	s_and_saveexec_b64 s[20:21], s[18:19]
	s_xor_b64 s[18:19], exec, s[20:21]
	s_cbranch_execz .LBB307_187
; %bb.180:
	flat_load_dword v4, v[2:3]
	s_mov_b32 s20, 0x43800000
	s_waitcnt vmcnt(0) lgkmcnt(0)
	v_cvt_f32_u32_e32 v6, v4
	v_mov_b32_e32 v4, 0x80
	v_cmp_gt_u32_e32 vcc, s20, v6
	s_and_saveexec_b64 s[20:21], vcc
	s_cbranch_execz .LBB307_186
; %bb.181:
	s_mov_b32 s22, 0x3bffffff
	v_cmp_lt_u32_e32 vcc, s22, v6
	s_mov_b64 s[22:23], 0
                                        ; implicit-def: $vgpr5
	s_and_saveexec_b64 s[24:25], vcc
	s_xor_b64 s[24:25], exec, s[24:25]
	s_cbranch_execnz .LBB307_296
; %bb.182:
	s_andn2_saveexec_b64 s[24:25], s[24:25]
	s_cbranch_execnz .LBB307_297
.LBB307_183:
	s_or_b64 exec, exec, s[24:25]
	v_mov_b32_e32 v4, 0
	s_and_saveexec_b64 s[24:25], s[22:23]
.LBB307_184:
	v_mov_b32_e32 v4, v5
.LBB307_185:
	s_or_b64 exec, exec, s[24:25]
.LBB307_186:
	s_or_b64 exec, exec, s[20:21]
.LBB307_187:
	s_andn2_saveexec_b64 s[18:19], s[18:19]
	s_cbranch_execz .LBB307_195
; %bb.188:
	flat_load_ushort v4, v[2:3]
	s_mov_b32 s20, 0x43800000
	s_waitcnt vmcnt(0) lgkmcnt(0)
	v_cvt_f32_u32_e32 v6, v4
	v_mov_b32_e32 v4, 0x80
	v_cmp_gt_u32_e32 vcc, s20, v6
	s_and_saveexec_b64 s[20:21], vcc
	s_cbranch_execz .LBB307_194
; %bb.189:
	s_mov_b32 s22, 0x3bffffff
	v_cmp_lt_u32_e32 vcc, s22, v6
	s_mov_b64 s[22:23], 0
                                        ; implicit-def: $vgpr5
	s_and_saveexec_b64 s[24:25], vcc
	s_xor_b64 s[24:25], exec, s[24:25]
	s_cbranch_execnz .LBB307_298
; %bb.190:
	s_andn2_saveexec_b64 s[24:25], s[24:25]
	s_cbranch_execnz .LBB307_299
.LBB307_191:
	s_or_b64 exec, exec, s[24:25]
	v_mov_b32_e32 v4, 0
	s_and_saveexec_b64 s[24:25], s[22:23]
.LBB307_192:
	v_mov_b32_e32 v4, v5
.LBB307_193:
	s_or_b64 exec, exec, s[24:25]
.LBB307_194:
	s_or_b64 exec, exec, s[20:21]
.LBB307_195:
	s_or_b64 exec, exec, s[18:19]
.LBB307_196:
	s_andn2_saveexec_b64 s[16:17], s[16:17]
	s_cbranch_execz .LBB307_198
; %bb.197:
	flat_load_ubyte v4, v[2:3]
.LBB307_198:
	s_or_b64 exec, exec, s[16:17]
	s_or_b64 s[14:15], s[14:15], exec
.LBB307_199:
	s_or_b64 exec, exec, s[6:7]
	s_and_b64 s[6:7], s[14:15], exec
	s_and_b64 s[12:13], s[12:13], exec
                                        ; implicit-def: $vgpr5
	s_andn2_saveexec_b64 s[10:11], s[10:11]
	s_cbranch_execz .LBB307_6
.LBB307_200:
	s_waitcnt vmcnt(0) lgkmcnt(0)
	v_mov_b32_e32 v4, 22
	v_cmp_gt_i16_sdwa s[8:9], v5, v4 src0_sel:BYTE_0 src1_sel:DWORD
	s_mov_b64 s[14:15], s[6:7]
                                        ; implicit-def: $vgpr4
	s_and_saveexec_b64 s[16:17], s[8:9]
	s_xor_b64 s[8:9], exec, s[16:17]
	s_cbranch_execz .LBB307_232
; %bb.201:
	v_mov_b32_e32 v4, 23
	v_cmp_gt_i16_sdwa s[14:15], v5, v4 src0_sel:BYTE_0 src1_sel:DWORD
                                        ; implicit-def: $vgpr4
	s_and_saveexec_b64 s[16:17], s[14:15]
	s_xor_b64 s[14:15], exec, s[16:17]
	s_cbranch_execz .LBB307_223
; %bb.202:
	v_mov_b32_e32 v4, 24
	v_cmp_gt_i16_sdwa s[16:17], v5, v4 src0_sel:BYTE_0 src1_sel:DWORD
                                        ; implicit-def: $vgpr4
	s_and_saveexec_b64 s[18:19], s[16:17]
	s_xor_b64 s[16:17], exec, s[18:19]
	s_cbranch_execz .LBB307_214
; %bb.203:
	flat_load_ubyte v4, v[2:3]
	s_movk_i32 s18, 0x7f
	s_waitcnt vmcnt(0) lgkmcnt(0)
	v_cmp_lt_i16_e32 vcc, s18, v4
	s_mov_b64 s[18:19], 0
	s_and_saveexec_b64 s[20:21], vcc
	s_xor_b64 s[20:21], exec, s[20:21]
	s_cbranch_execnz .LBB307_276
; %bb.204:
	s_or_saveexec_b64 s[20:21], s[20:21]
	v_mov_b32_e32 v5, 0x7f800001
	s_xor_b64 exec, exec, s[20:21]
	s_cbranch_execnz .LBB307_279
.LBB307_205:
	s_or_b64 exec, exec, s[20:21]
	s_and_saveexec_b64 s[20:21], s[18:19]
	s_cbranch_execz .LBB307_207
.LBB307_206:
	v_lshlrev_b32_e32 v5, 24, v4
	v_and_b32_e32 v4, 0xffff, v4
	v_and_b32_e32 v6, 3, v4
	v_ffbh_u32_e32 v8, v6
	v_min_u32_e32 v8, 32, v8
	v_subrev_u32_e32 v9, 29, v8
	v_bfe_u32 v7, v4, 2, 5
	v_lshlrev_b32_e32 v4, v9, v4
	v_sub_u32_e32 v8, 30, v8
	v_and_b32_e32 v4, 3, v4
	v_cmp_eq_u32_e32 vcc, 0, v7
	v_cndmask_b32_e32 v7, v7, v8, vcc
	v_cndmask_b32_e32 v4, v6, v4, vcc
	v_mov_b32_e32 v6, 0x37800000
	v_lshlrev_b32_e32 v4, 21, v4
	v_and_b32_e32 v5, 0x80000000, v5
	v_lshl_add_u32 v6, v7, 23, v6
	v_or3_b32 v5, v5, v6, v4
.LBB307_207:
	s_or_b64 exec, exec, s[20:21]
	v_and_b32_e32 v6, 0x7fffffff, v5
	s_mov_b32 s18, 0x43800000
	v_cmp_gt_u32_e32 vcc, s18, v6
	v_mov_b32_e32 v4, 0x80
	s_and_saveexec_b64 s[18:19], vcc
	s_cbranch_execz .LBB307_213
; %bb.208:
	s_mov_b32 s20, 0x3bffffff
	v_cmp_lt_u32_e32 vcc, s20, v6
	s_mov_b64 s[20:21], 0
                                        ; implicit-def: $vgpr6
	s_and_saveexec_b64 s[22:23], vcc
	s_xor_b64 s[22:23], exec, s[22:23]
	s_cbranch_execnz .LBB307_300
; %bb.209:
	s_andn2_saveexec_b64 s[22:23], s[22:23]
	s_cbranch_execnz .LBB307_301
.LBB307_210:
	s_or_b64 exec, exec, s[22:23]
	v_mov_b32_e32 v4, 0
	s_and_saveexec_b64 s[22:23], s[20:21]
.LBB307_211:
	v_lshrrev_b32_e32 v4, 24, v5
	s_movk_i32 s20, 0x80
	v_and_or_b32 v4, v4, s20, v6
.LBB307_212:
	s_or_b64 exec, exec, s[22:23]
.LBB307_213:
	s_or_b64 exec, exec, s[18:19]
.LBB307_214:
	s_andn2_saveexec_b64 s[16:17], s[16:17]
	s_cbranch_execz .LBB307_222
; %bb.215:
	flat_load_ubyte v4, v[2:3]
	s_mov_b32 s18, 0x7f800000
	s_brev_b32 s19, 1
	s_mov_b32 s20, 0x43800000
	s_waitcnt vmcnt(0) lgkmcnt(0)
	v_lshlrev_b32_e32 v4, 24, v4
	v_and_b32_e32 v5, 0x7f000000, v4
	v_ffbh_u32_e32 v6, v5
	v_min_u32_e32 v6, 32, v6
	v_sub_u32_e64 v6, v6, 4 clamp
	v_lshlrev_b32_e32 v8, v6, v5
	v_lshlrev_b32_e32 v6, 23, v6
	v_lshrrev_b32_e32 v8, 4, v8
	v_add_u32_e32 v7, 0x1000000, v5
	v_sub_u32_e32 v6, v8, v6
	v_ashrrev_i32_e32 v7, 8, v7
	v_add_u32_e32 v6, 0x3c000000, v6
	v_and_or_b32 v6, v7, s18, v6
	v_cmp_ne_u32_e32 vcc, 0, v5
	v_cndmask_b32_e32 v7, 0, v6, vcc
	v_and_or_b32 v5, v4, s19, v7
	v_and_b32_e32 v6, 0x7fffffff, v5
	v_cmp_gt_u32_e32 vcc, s20, v6
	v_mov_b32_e32 v4, 0x80
	s_and_saveexec_b64 s[18:19], vcc
	s_cbranch_execz .LBB307_221
; %bb.216:
	s_mov_b32 s20, 0x3bffffff
	v_cmp_lt_u32_e32 vcc, s20, v6
	s_mov_b64 s[20:21], 0
                                        ; implicit-def: $vgpr6
	s_and_saveexec_b64 s[22:23], vcc
	s_xor_b64 s[22:23], exec, s[22:23]
	s_cbranch_execnz .LBB307_302
; %bb.217:
	s_andn2_saveexec_b64 s[22:23], s[22:23]
	s_cbranch_execnz .LBB307_303
.LBB307_218:
	s_or_b64 exec, exec, s[22:23]
	v_mov_b32_e32 v4, 0
	s_and_saveexec_b64 s[22:23], s[20:21]
.LBB307_219:
	v_lshrrev_b32_e32 v4, 24, v5
	s_movk_i32 s20, 0x80
	v_and_or_b32 v4, v4, s20, v6
.LBB307_220:
	s_or_b64 exec, exec, s[22:23]
.LBB307_221:
	s_or_b64 exec, exec, s[18:19]
.LBB307_222:
	s_or_b64 exec, exec, s[16:17]
.LBB307_223:
	s_andn2_saveexec_b64 s[14:15], s[14:15]
	s_cbranch_execz .LBB307_231
; %bb.224:
	flat_load_ubyte v4, v[2:3]
	s_movk_i32 s16, 0x7f00
	s_brev_b32 s17, 16
	s_brev_b32 s18, 1
	s_mov_b32 s19, 0x43800000
	s_waitcnt vmcnt(0) lgkmcnt(0)
	v_lshlrev_b16_e32 v5, 8, v4
	v_lshlrev_b32_e32 v4, 25, v4
	v_lshrrev_b32_e32 v6, 4, v4
	v_and_or_b32 v7, v5, s16, 0.5
	v_or_b32_e32 v6, 0x70000000, v6
	v_add_f32_e32 v7, -0.5, v7
	v_mul_f32_e32 v6, 0x7800000, v6
	v_cmp_gt_u32_e32 vcc, s17, v4
	v_bfe_i32 v5, v5, 0, 16
	v_cndmask_b32_e32 v7, v6, v7, vcc
	v_and_or_b32 v5, v5, s18, v7
	v_and_b32_e32 v6, 0x7fffffff, v5
	v_cmp_gt_u32_e32 vcc, s19, v6
	v_mov_b32_e32 v4, 0x80
	s_and_saveexec_b64 s[16:17], vcc
	s_cbranch_execz .LBB307_230
; %bb.225:
	s_mov_b32 s18, 0x3bffffff
	v_cmp_lt_u32_e32 vcc, s18, v6
	s_mov_b64 s[18:19], 0
                                        ; implicit-def: $vgpr6
	s_and_saveexec_b64 s[20:21], vcc
	s_xor_b64 s[20:21], exec, s[20:21]
	s_cbranch_execnz .LBB307_280
; %bb.226:
	s_andn2_saveexec_b64 s[20:21], s[20:21]
	s_cbranch_execnz .LBB307_281
.LBB307_227:
	s_or_b64 exec, exec, s[20:21]
	v_mov_b32_e32 v4, 0
	s_and_saveexec_b64 s[20:21], s[18:19]
.LBB307_228:
	v_lshrrev_b32_e32 v4, 24, v5
	s_movk_i32 s18, 0x80
	v_and_or_b32 v4, v4, s18, v6
.LBB307_229:
	s_or_b64 exec, exec, s[20:21]
.LBB307_230:
	s_or_b64 exec, exec, s[16:17]
.LBB307_231:
	s_or_b64 exec, exec, s[14:15]
	s_or_b64 s[14:15], s[6:7], exec
                                        ; implicit-def: $vgpr5
.LBB307_232:
	s_or_saveexec_b64 s[8:9], s[8:9]
	s_mov_b64 s[16:17], 0
	s_mov_b64 s[18:19], s[12:13]
	s_xor_b64 exec, exec, s[8:9]
	s_cbranch_execz .LBB307_246
; %bb.233:
	v_mov_b32_e32 v4, 14
	v_cmp_gt_i16_sdwa s[16:17], v5, v4 src0_sel:BYTE_0 src1_sel:DWORD
	s_mov_b64 s[18:19], s[12:13]
	s_mov_b64 s[20:21], s[14:15]
                                        ; implicit-def: $vgpr4
	s_and_saveexec_b64 s[22:23], s[16:17]
	s_xor_b64 s[16:17], exec, s[22:23]
	s_cbranch_execz .LBB307_243
; %bb.234:
	v_mov_b32_e32 v4, 15
	v_cmp_eq_u16_sdwa s[24:25], v5, v4 src0_sel:BYTE_0 src1_sel:DWORD
	s_mov_b64 s[22:23], -1
	s_mov_b64 s[20:21], s[14:15]
                                        ; implicit-def: $vgpr4
	s_and_saveexec_b64 s[18:19], s[24:25]
	s_cbranch_execz .LBB307_242
; %bb.235:
	flat_load_ushort v5, v[2:3]
	s_mov_b32 s20, 0x43800000
	v_mov_b32_e32 v4, 0x80
	s_waitcnt vmcnt(0) lgkmcnt(0)
	v_lshlrev_b32_e32 v7, 16, v5
	v_and_b32_e32 v6, 0x7fffffff, v7
	v_cmp_gt_u32_e32 vcc, s20, v6
	s_and_saveexec_b64 s[20:21], vcc
	s_cbranch_execz .LBB307_241
; %bb.236:
	s_mov_b32 s22, 0x3bffffff
	v_cmp_lt_u32_e32 vcc, s22, v6
	s_mov_b64 s[22:23], 0
                                        ; implicit-def: $vgpr6
	s_and_saveexec_b64 s[24:25], vcc
	s_xor_b64 s[24:25], exec, s[24:25]
	s_cbranch_execnz .LBB307_304
; %bb.237:
	s_andn2_saveexec_b64 s[24:25], s[24:25]
	s_cbranch_execnz .LBB307_305
.LBB307_238:
	s_or_b64 exec, exec, s[24:25]
	v_mov_b32_e32 v4, 0
	s_and_saveexec_b64 s[24:25], s[22:23]
.LBB307_239:
	v_lshrrev_b32_e32 v4, 8, v5
	s_movk_i32 s22, 0x80
	v_and_or_b32 v4, v4, s22, v6
.LBB307_240:
	s_or_b64 exec, exec, s[24:25]
.LBB307_241:
	s_or_b64 exec, exec, s[20:21]
	s_or_b64 s[20:21], s[14:15], exec
	s_xor_b64 s[22:23], exec, -1
.LBB307_242:
	s_or_b64 exec, exec, s[18:19]
	s_andn2_b64 s[18:19], s[14:15], exec
	s_and_b64 s[20:21], s[20:21], exec
	s_or_b64 s[20:21], s[18:19], s[20:21]
	s_andn2_b64 s[18:19], s[12:13], exec
	s_and_b64 s[22:23], s[22:23], exec
	s_or_b64 s[18:19], s[18:19], s[22:23]
                                        ; implicit-def: $vgpr5
.LBB307_243:
	s_or_saveexec_b64 s[16:17], s[16:17]
	s_mov_b64 s[22:23], 0
	s_xor_b64 exec, exec, s[16:17]
; %bb.244:
	v_mov_b32_e32 v6, 11
	v_cmp_ne_u16_sdwa s[24:25], v5, v6 src0_sel:BYTE_0 src1_sel:DWORD
	s_andn2_b64 s[18:19], s[18:19], exec
	s_and_b64 s[24:25], s[24:25], exec
	s_mov_b64 s[22:23], exec
	s_or_b64 s[18:19], s[18:19], s[24:25]
; %bb.245:
	s_or_b64 exec, exec, s[16:17]
	s_andn2_b64 s[14:15], s[14:15], exec
	s_and_b64 s[16:17], s[20:21], exec
	s_andn2_b64 s[20:21], s[12:13], exec
	s_and_b64 s[18:19], s[18:19], exec
	s_or_b64 s[14:15], s[14:15], s[16:17]
	s_and_b64 s[16:17], s[22:23], exec
	s_or_b64 s[18:19], s[20:21], s[18:19]
.LBB307_246:
	s_or_b64 exec, exec, s[8:9]
	s_andn2_b64 s[6:7], s[6:7], exec
	s_and_b64 s[8:9], s[14:15], exec
	s_andn2_b64 s[12:13], s[12:13], exec
	s_and_b64 s[14:15], s[18:19], exec
	s_or_b64 s[6:7], s[6:7], s[8:9]
	s_and_b64 s[8:9], s[16:17], exec
	s_or_b64 s[12:13], s[12:13], s[14:15]
	s_or_b64 exec, exec, s[10:11]
	s_and_saveexec_b64 s[10:11], s[12:13]
	s_cbranch_execz .LBB307_7
.LBB307_247:
	s_trap 2
	; divergent unreachable
	s_andn2_b64 s[8:9], s[8:9], exec
	s_or_b64 exec, exec, s[10:11]
	s_and_saveexec_b64 s[10:11], s[8:9]
	s_xor_b64 s[8:9], exec, s[10:11]
	s_cbranch_execnz .LBB307_8
	s_branch .LBB307_15
.LBB307_248:
	s_movk_i32 s8, 0x80
	v_cmp_eq_u16_sdwa s[14:15], v1, s8 src0_sel:BYTE_0 src1_sel:DWORD
	s_mov_b64 s[8:9], -1
	s_and_saveexec_b64 s[12:13], s[14:15]
; %bb.249:
	s_xor_b64 s[8:9], exec, -1
; %bb.250:
	s_or_b64 exec, exec, s[12:13]
	s_and_b64 s[8:9], s[8:9], exec
	s_or_saveexec_b64 s[10:11], s[10:11]
	v_mov_b32_e32 v0, 0x7f800001
	s_xor_b64 exec, exec, s[10:11]
	s_cbranch_execz .LBB307_126
.LBB307_251:
	v_mov_b32_e32 v0, 0
	v_cmp_ne_u16_sdwa s[12:13], v1, v0 src0_sel:BYTE_0 src1_sel:DWORD
	s_andn2_b64 s[8:9], s[8:9], exec
	s_and_b64 s[12:13], s[12:13], exec
	s_or_b64 s[8:9], s[8:9], s[12:13]
	s_or_b64 exec, exec, s[10:11]
	s_and_saveexec_b64 s[10:11], s[8:9]
	s_cbranch_execnz .LBB307_127
	s_branch .LBB307_128
.LBB307_252:
	s_movk_i32 s8, 0x80
	v_cmp_eq_u16_sdwa s[14:15], v4, s8 src0_sel:BYTE_0 src1_sel:DWORD
	s_mov_b64 s[8:9], -1
	s_and_saveexec_b64 s[12:13], s[14:15]
; %bb.253:
	s_xor_b64 s[8:9], exec, -1
; %bb.254:
	s_or_b64 exec, exec, s[12:13]
	s_and_b64 s[8:9], s[8:9], exec
	s_or_saveexec_b64 s[10:11], s[10:11]
	v_mov_b32_e32 v1, 0x7f800001
	s_xor_b64 exec, exec, s[10:11]
	s_cbranch_execz .LBB307_130
.LBB307_255:
	v_mov_b32_e32 v1, 0
	v_cmp_ne_u16_sdwa s[12:13], v4, v1 src0_sel:BYTE_0 src1_sel:DWORD
	s_andn2_b64 s[8:9], s[8:9], exec
	s_and_b64 s[12:13], s[12:13], exec
	s_or_b64 s[8:9], s[8:9], s[12:13]
	s_or_b64 exec, exec, s[10:11]
	s_and_saveexec_b64 s[10:11], s[8:9]
	s_cbranch_execnz .LBB307_131
	s_branch .LBB307_132
.LBB307_256:
	s_movk_i32 s6, 0x80
	v_cmp_eq_u16_sdwa s[14:15], v1, s6 src0_sel:BYTE_0 src1_sel:DWORD
	s_mov_b64 s[6:7], -1
	s_and_saveexec_b64 s[12:13], s[14:15]
; %bb.257:
	s_xor_b64 s[6:7], exec, -1
; %bb.258:
	s_or_b64 exec, exec, s[12:13]
	s_and_b64 s[6:7], s[6:7], exec
	s_or_saveexec_b64 s[10:11], s[10:11]
	v_mov_b32_e32 v0, 0x7f800001
	s_xor_b64 exec, exec, s[10:11]
	s_cbranch_execz .LBB307_136
.LBB307_259:
	v_mov_b32_e32 v0, 0
	v_cmp_ne_u16_sdwa s[12:13], v1, v0 src0_sel:BYTE_0 src1_sel:DWORD
	s_andn2_b64 s[6:7], s[6:7], exec
	s_and_b64 s[12:13], s[12:13], exec
	s_or_b64 s[6:7], s[6:7], s[12:13]
	s_or_b64 exec, exec, s[10:11]
	s_and_saveexec_b64 s[10:11], s[6:7]
	s_cbranch_execnz .LBB307_137
	s_branch .LBB307_138
.LBB307_260:
	s_movk_i32 s6, 0x80
	v_cmp_eq_u16_sdwa s[14:15], v4, s6 src0_sel:BYTE_0 src1_sel:DWORD
	s_mov_b64 s[6:7], -1
	s_and_saveexec_b64 s[12:13], s[14:15]
; %bb.261:
	s_xor_b64 s[6:7], exec, -1
; %bb.262:
	s_or_b64 exec, exec, s[12:13]
	s_and_b64 s[6:7], s[6:7], exec
	s_or_saveexec_b64 s[10:11], s[10:11]
	v_mov_b32_e32 v1, 0x7f800001
	s_xor_b64 exec, exec, s[10:11]
	s_cbranch_execz .LBB307_140
.LBB307_263:
	v_mov_b32_e32 v1, 0
	v_cmp_ne_u16_sdwa s[12:13], v4, v1 src0_sel:BYTE_0 src1_sel:DWORD
	s_andn2_b64 s[6:7], s[6:7], exec
	s_and_b64 s[12:13], s[12:13], exec
	s_or_b64 s[6:7], s[6:7], s[12:13]
	s_or_b64 exec, exec, s[10:11]
	s_and_saveexec_b64 s[10:11], s[6:7]
	s_cbranch_execnz .LBB307_141
	s_branch .LBB307_142
.LBB307_264:
	v_bfe_u32 v2, v3, 20, 1
	s_mov_b32 s16, 0x487ffff
	v_add3_u32 v2, v3, v2, s16
	s_mov_b64 s[12:13], exec
	v_lshrrev_b32_e32 v2, 20, v2
                                        ; implicit-def: $vgpr3
	s_andn2_saveexec_b64 s[14:15], s[14:15]
	s_cbranch_execz .LBB307_11
.LBB307_265:
	v_add_f32_e32 v2, 0x46000000, v3
	v_and_b32_e32 v2, 0xff, v2
	v_cmp_ne_u32_e32 vcc, 0, v2
	s_andn2_b64 s[12:13], s[12:13], exec
	s_and_b64 s[16:17], vcc, exec
	s_or_b64 s[12:13], s[12:13], s[16:17]
	s_or_b64 exec, exec, s[14:15]
	v_mov_b32_e32 v4, 0
	s_and_saveexec_b64 s[14:15], s[12:13]
	s_cbranch_execnz .LBB307_12
	s_branch .LBB307_13
.LBB307_266:
	v_bfe_u32 v3, v2, 20, 1
	s_mov_b32 s20, 0x487ffff
	v_add3_u32 v3, v2, v3, s20
	s_mov_b64 s[16:17], exec
	v_lshrrev_b32_e32 v3, 20, v3
	s_andn2_saveexec_b64 s[18:19], s[18:19]
	s_cbranch_execz .LBB307_40
.LBB307_267:
	s_mov_b32 s20, 0x46000000
	v_add_f32_e64 v3, |v2|, s20
	v_and_b32_e32 v3, 0xff, v3
	v_cmp_ne_u32_e32 vcc, 0, v3
	s_andn2_b64 s[16:17], s[16:17], exec
	s_and_b64 s[20:21], vcc, exec
	s_or_b64 s[16:17], s[16:17], s[20:21]
	s_or_b64 exec, exec, s[18:19]
	v_mov_b32_e32 v4, 0
	s_and_saveexec_b64 s[18:19], s[16:17]
	s_cbranch_execnz .LBB307_41
	s_branch .LBB307_42
.LBB307_268:
	v_bfe_u32 v3, v2, 20, 1
	s_mov_b32 s20, 0x487ffff
	v_add3_u32 v3, v2, v3, s20
	s_mov_b64 s[16:17], exec
	v_lshrrev_b32_e32 v3, 20, v3
	s_andn2_saveexec_b64 s[18:19], s[18:19]
	s_cbranch_execz .LBB307_68
.LBB307_269:
	s_mov_b32 s20, 0x46000000
	v_add_f32_e64 v3, |v2|, s20
	v_and_b32_e32 v3, 0xff, v3
	v_cmp_ne_u32_e32 vcc, 0, v3
	s_andn2_b64 s[16:17], s[16:17], exec
	s_and_b64 s[20:21], vcc, exec
	s_or_b64 s[16:17], s[16:17], s[20:21]
	s_or_b64 exec, exec, s[18:19]
	v_mov_b32_e32 v4, 0
	s_and_saveexec_b64 s[18:19], s[16:17]
	s_cbranch_execnz .LBB307_69
	s_branch .LBB307_70
.LBB307_270:
	v_bfe_u32 v3, v2, 20, 1
	s_mov_b32 s20, 0x487ffff
	v_add3_u32 v3, v2, v3, s20
	s_mov_b64 s[16:17], exec
	v_lshrrev_b32_e32 v3, 20, v3
	s_andn2_saveexec_b64 s[18:19], s[18:19]
	s_cbranch_execz .LBB307_98
.LBB307_271:
	s_mov_b32 s20, 0x46000000
	v_add_f32_e64 v3, |v2|, s20
	v_and_b32_e32 v3, 0xff, v3
	v_cmp_ne_u32_e32 vcc, 0, v3
	s_andn2_b64 s[16:17], s[16:17], exec
	s_and_b64 s[20:21], vcc, exec
	s_or_b64 s[16:17], s[16:17], s[20:21]
	s_or_b64 exec, exec, s[18:19]
	v_mov_b32_e32 v4, 0
	s_and_saveexec_b64 s[18:19], s[16:17]
	s_cbranch_execnz .LBB307_99
	s_branch .LBB307_100
.LBB307_272:
	v_bfe_u32 v3, v2, 20, 1
	s_mov_b32 s20, 0x487ffff
	v_add3_u32 v3, v2, v3, s20
	s_mov_b64 s[16:17], exec
	v_lshrrev_b32_e32 v3, 20, v3
	s_andn2_saveexec_b64 s[18:19], s[18:19]
	s_cbranch_execz .LBB307_108
.LBB307_273:
	s_mov_b32 s20, 0x46000000
	v_add_f32_e64 v3, |v2|, s20
	v_and_b32_e32 v3, 0xff, v3
	v_cmp_ne_u32_e32 vcc, 0, v3
	s_andn2_b64 s[16:17], s[16:17], exec
	s_and_b64 s[20:21], vcc, exec
	s_or_b64 s[16:17], s[16:17], s[20:21]
	s_or_b64 exec, exec, s[18:19]
	v_mov_b32_e32 v4, 0
	s_and_saveexec_b64 s[18:19], s[16:17]
	s_cbranch_execnz .LBB307_109
	s_branch .LBB307_110
.LBB307_274:
	v_bfe_u32 v2, v3, 20, 1
	s_mov_b32 s20, 0x487ffff
	v_add3_u32 v2, v3, v2, s20
	s_mov_b64 s[16:17], exec
	v_lshrrev_b32_e32 v2, 20, v2
                                        ; implicit-def: $vgpr3
	s_andn2_saveexec_b64 s[18:19], s[18:19]
	s_cbranch_execz .LBB307_116
.LBB307_275:
	v_add_f32_e32 v2, 0x46000000, v3
	v_and_b32_e32 v2, 0xff, v2
	v_cmp_ne_u32_e32 vcc, 0, v2
	s_andn2_b64 s[16:17], s[16:17], exec
	s_and_b64 s[20:21], vcc, exec
	s_or_b64 s[16:17], s[16:17], s[20:21]
	s_or_b64 exec, exec, s[18:19]
	v_mov_b32_e32 v4, 0
	s_and_saveexec_b64 s[18:19], s[16:17]
	s_cbranch_execnz .LBB307_117
	s_branch .LBB307_118
.LBB307_276:
	s_movk_i32 s18, 0x80
	v_cmp_eq_u16_e32 vcc, s18, v4
	s_mov_b64 s[18:19], -1
	s_and_saveexec_b64 s[22:23], vcc
; %bb.277:
	s_xor_b64 s[18:19], exec, -1
; %bb.278:
	s_or_b64 exec, exec, s[22:23]
	s_and_b64 s[18:19], s[18:19], exec
	s_or_saveexec_b64 s[20:21], s[20:21]
	v_mov_b32_e32 v5, 0x7f800001
	s_xor_b64 exec, exec, s[20:21]
	s_cbranch_execz .LBB307_205
.LBB307_279:
	v_cmp_ne_u16_e32 vcc, 0, v4
	s_andn2_b64 s[18:19], s[18:19], exec
	s_and_b64 s[22:23], vcc, exec
	v_mov_b32_e32 v5, 0
	s_or_b64 s[18:19], s[18:19], s[22:23]
	s_or_b64 exec, exec, s[20:21]
	s_and_saveexec_b64 s[20:21], s[18:19]
	s_cbranch_execnz .LBB307_206
	s_branch .LBB307_207
.LBB307_280:
	v_bfe_u32 v4, v7, 20, 1
	s_mov_b32 s22, 0x487ffff
	v_add3_u32 v4, v5, v4, s22
	s_mov_b64 s[18:19], exec
	v_lshrrev_b32_e32 v6, 20, v4
	s_andn2_saveexec_b64 s[20:21], s[20:21]
	s_cbranch_execz .LBB307_227
.LBB307_281:
	s_mov_b32 s22, 0x46000000
	v_add_f32_e64 v4, |v5|, s22
	v_and_b32_e32 v6, 0xff, v4
	v_cmp_ne_u32_e32 vcc, 0, v6
	s_andn2_b64 s[18:19], s[18:19], exec
	s_and_b64 s[22:23], vcc, exec
	s_or_b64 s[18:19], s[18:19], s[22:23]
	s_or_b64 exec, exec, s[20:21]
	v_mov_b32_e32 v4, 0
	s_and_saveexec_b64 s[20:21], s[18:19]
	s_cbranch_execnz .LBB307_228
	s_branch .LBB307_229
.LBB307_282:
	v_bfe_u32 v3, v2, 20, 1
	s_mov_b32 s22, 0x487ffff
	v_add3_u32 v3, v2, v3, s22
	s_mov_b64 s[18:19], exec
	v_lshrrev_b32_e32 v3, 20, v3
	s_andn2_saveexec_b64 s[20:21], s[20:21]
	s_cbranch_execz .LBB307_23
.LBB307_283:
	s_mov_b32 s22, 0x46000000
	v_add_f32_e64 v3, |v2|, s22
	v_and_b32_e32 v3, 0xff, v3
	v_cmp_ne_u32_e32 vcc, 0, v3
	s_andn2_b64 s[18:19], s[18:19], exec
	s_and_b64 s[22:23], vcc, exec
	s_or_b64 s[18:19], s[18:19], s[22:23]
	s_or_b64 exec, exec, s[20:21]
	v_mov_b32_e32 v4, 0
	s_and_saveexec_b64 s[20:21], s[18:19]
	s_cbranch_execnz .LBB307_24
	s_branch .LBB307_25
.LBB307_284:
	v_bfe_u32 v3, v2, 20, 1
	s_mov_b32 s22, 0x487ffff
	v_add3_u32 v3, v2, v3, s22
	s_mov_b64 s[18:19], exec
	v_lshrrev_b32_e32 v3, 20, v3
	s_andn2_saveexec_b64 s[20:21], s[20:21]
	s_cbranch_execz .LBB307_31
.LBB307_285:
	s_mov_b32 s22, 0x46000000
	v_add_f32_e64 v3, |v2|, s22
	v_and_b32_e32 v3, 0xff, v3
	v_cmp_ne_u32_e32 vcc, 0, v3
	s_andn2_b64 s[18:19], s[18:19], exec
	s_and_b64 s[22:23], vcc, exec
	s_or_b64 s[18:19], s[18:19], s[22:23]
	s_or_b64 exec, exec, s[20:21]
	v_mov_b32_e32 v4, 0
	s_and_saveexec_b64 s[20:21], s[18:19]
	s_cbranch_execnz .LBB307_32
	s_branch .LBB307_33
.LBB307_286:
	v_bfe_u32 v3, v2, 20, 1
	s_mov_b32 s22, 0x487ffff
	v_add3_u32 v3, v2, v3, s22
	s_mov_b64 s[18:19], exec
	v_lshrrev_b32_e32 v3, 20, v3
	s_andn2_saveexec_b64 s[20:21], s[20:21]
	s_cbranch_execz .LBB307_51
.LBB307_287:
	s_mov_b32 s22, 0x46000000
	v_add_f32_e64 v3, |v2|, s22
	v_and_b32_e32 v3, 0xff, v3
	v_cmp_ne_u32_e32 vcc, 0, v3
	s_andn2_b64 s[18:19], s[18:19], exec
	s_and_b64 s[22:23], vcc, exec
	s_or_b64 s[18:19], s[18:19], s[22:23]
	s_or_b64 exec, exec, s[20:21]
	v_mov_b32_e32 v4, 0
	s_and_saveexec_b64 s[20:21], s[18:19]
	s_cbranch_execnz .LBB307_52
	s_branch .LBB307_53
.LBB307_288:
	v_bfe_u32 v3, v2, 20, 1
	s_mov_b32 s22, 0x487ffff
	v_add3_u32 v3, v2, v3, s22
	s_mov_b64 s[18:19], exec
	v_lshrrev_b32_e32 v3, 20, v3
	s_andn2_saveexec_b64 s[20:21], s[20:21]
	s_cbranch_execz .LBB307_59
.LBB307_289:
	s_mov_b32 s22, 0x46000000
	v_add_f32_e64 v3, |v2|, s22
	v_and_b32_e32 v3, 0xff, v3
	v_cmp_ne_u32_e32 vcc, 0, v3
	s_andn2_b64 s[18:19], s[18:19], exec
	s_and_b64 s[22:23], vcc, exec
	s_or_b64 s[18:19], s[18:19], s[22:23]
	s_or_b64 exec, exec, s[20:21]
	v_mov_b32_e32 v4, 0
	s_and_saveexec_b64 s[20:21], s[18:19]
	s_cbranch_execnz .LBB307_60
	s_branch .LBB307_61
.LBB307_290:
	v_bfe_u32 v3, v2, 20, 1
	s_mov_b32 s22, 0x487ffff
	v_add3_u32 v3, v2, v3, s22
	s_mov_b64 s[18:19], exec
	v_lshrrev_b32_e32 v3, 20, v3
	s_andn2_saveexec_b64 s[20:21], s[20:21]
	s_cbranch_execz .LBB307_81
.LBB307_291:
	s_mov_b32 s22, 0x46000000
	v_add_f32_e64 v3, |v2|, s22
	v_and_b32_e32 v3, 0xff, v3
	v_cmp_ne_u32_e32 vcc, 0, v3
	s_andn2_b64 s[18:19], s[18:19], exec
	s_and_b64 s[22:23], vcc, exec
	s_or_b64 s[18:19], s[18:19], s[22:23]
	s_or_b64 exec, exec, s[20:21]
	v_mov_b32_e32 v4, 0
	s_and_saveexec_b64 s[20:21], s[18:19]
	s_cbranch_execnz .LBB307_82
	s_branch .LBB307_83
.LBB307_292:
	v_bfe_u32 v3, v2, 20, 1
	s_mov_b32 s22, 0x487ffff
	v_add3_u32 v3, v2, v3, s22
	s_mov_b64 s[18:19], exec
	v_lshrrev_b32_e32 v3, 20, v3
	s_andn2_saveexec_b64 s[20:21], s[20:21]
	s_cbranch_execz .LBB307_89
.LBB307_293:
	s_mov_b32 s22, 0x46000000
	v_add_f32_e64 v3, |v2|, s22
	v_and_b32_e32 v3, 0xff, v3
	v_cmp_ne_u32_e32 vcc, 0, v3
	s_andn2_b64 s[18:19], s[18:19], exec
	s_and_b64 s[22:23], vcc, exec
	s_or_b64 s[18:19], s[18:19], s[22:23]
	s_or_b64 exec, exec, s[20:21]
	v_mov_b32_e32 v4, 0
	s_and_saveexec_b64 s[20:21], s[18:19]
	s_cbranch_execnz .LBB307_90
	s_branch .LBB307_91
.LBB307_294:
	v_bfe_u32 v4, v6, 20, 1
	s_mov_b32 s26, 0x487ffff
	v_add3_u32 v4, v6, v4, s26
	s_mov_b64 s[22:23], exec
	v_lshrrev_b32_e32 v5, 20, v4
                                        ; implicit-def: $vgpr6
	s_andn2_saveexec_b64 s[24:25], s[24:25]
	s_cbranch_execz .LBB307_171
.LBB307_295:
	v_add_f32_e32 v4, 0x46000000, v6
	v_and_b32_e32 v5, 0xff, v4
	v_cmp_ne_u32_e32 vcc, 0, v5
	s_andn2_b64 s[22:23], s[22:23], exec
	s_and_b64 s[26:27], vcc, exec
	s_or_b64 s[22:23], s[22:23], s[26:27]
	s_or_b64 exec, exec, s[24:25]
	v_mov_b32_e32 v4, 0
	s_and_saveexec_b64 s[24:25], s[22:23]
	s_cbranch_execnz .LBB307_172
	s_branch .LBB307_173
.LBB307_296:
	v_bfe_u32 v4, v6, 20, 1
	s_mov_b32 s26, 0x487ffff
	v_add3_u32 v4, v6, v4, s26
	s_mov_b64 s[22:23], exec
	v_lshrrev_b32_e32 v5, 20, v4
                                        ; implicit-def: $vgpr6
	s_andn2_saveexec_b64 s[24:25], s[24:25]
	s_cbranch_execz .LBB307_183
.LBB307_297:
	v_add_f32_e32 v4, 0x46000000, v6
	v_and_b32_e32 v5, 0xff, v4
	v_cmp_ne_u32_e32 vcc, 0, v5
	s_andn2_b64 s[22:23], s[22:23], exec
	s_and_b64 s[26:27], vcc, exec
	s_or_b64 s[22:23], s[22:23], s[26:27]
	s_or_b64 exec, exec, s[24:25]
	v_mov_b32_e32 v4, 0
	s_and_saveexec_b64 s[24:25], s[22:23]
	s_cbranch_execnz .LBB307_184
	s_branch .LBB307_185
.LBB307_298:
	v_bfe_u32 v4, v6, 20, 1
	s_mov_b32 s26, 0x487ffff
	v_add3_u32 v4, v6, v4, s26
	s_mov_b64 s[22:23], exec
	v_lshrrev_b32_e32 v5, 20, v4
                                        ; implicit-def: $vgpr6
	s_andn2_saveexec_b64 s[24:25], s[24:25]
	s_cbranch_execz .LBB307_191
.LBB307_299:
	v_add_f32_e32 v4, 0x46000000, v6
	v_and_b32_e32 v5, 0xff, v4
	v_cmp_ne_u32_e32 vcc, 0, v5
	s_andn2_b64 s[22:23], s[22:23], exec
	s_and_b64 s[26:27], vcc, exec
	s_or_b64 s[22:23], s[22:23], s[26:27]
	s_or_b64 exec, exec, s[24:25]
	v_mov_b32_e32 v4, 0
	s_and_saveexec_b64 s[24:25], s[22:23]
	s_cbranch_execnz .LBB307_192
	s_branch .LBB307_193
.LBB307_300:
	v_bfe_u32 v4, v5, 20, 1
	s_mov_b32 s24, 0x487ffff
	v_add3_u32 v4, v5, v4, s24
	s_mov_b64 s[20:21], exec
	v_lshrrev_b32_e32 v6, 20, v4
	s_andn2_saveexec_b64 s[22:23], s[22:23]
	s_cbranch_execz .LBB307_210
.LBB307_301:
	s_mov_b32 s24, 0x46000000
	v_add_f32_e64 v4, |v5|, s24
	v_and_b32_e32 v6, 0xff, v4
	v_cmp_ne_u32_e32 vcc, 0, v6
	s_andn2_b64 s[20:21], s[20:21], exec
	s_and_b64 s[24:25], vcc, exec
	s_or_b64 s[20:21], s[20:21], s[24:25]
	s_or_b64 exec, exec, s[22:23]
	v_mov_b32_e32 v4, 0
	s_and_saveexec_b64 s[22:23], s[20:21]
	s_cbranch_execnz .LBB307_211
	s_branch .LBB307_212
.LBB307_302:
	v_bfe_u32 v4, v7, 20, 1
	s_mov_b32 s24, 0x487ffff
	v_add3_u32 v4, v5, v4, s24
	s_mov_b64 s[20:21], exec
	v_lshrrev_b32_e32 v6, 20, v4
	s_andn2_saveexec_b64 s[22:23], s[22:23]
	s_cbranch_execz .LBB307_218
.LBB307_303:
	s_mov_b32 s24, 0x46000000
	v_add_f32_e64 v4, |v5|, s24
	v_and_b32_e32 v6, 0xff, v4
	v_cmp_ne_u32_e32 vcc, 0, v6
	s_andn2_b64 s[20:21], s[20:21], exec
	s_and_b64 s[24:25], vcc, exec
	s_or_b64 s[20:21], s[20:21], s[24:25]
	s_or_b64 exec, exec, s[22:23]
	v_mov_b32_e32 v4, 0
	s_and_saveexec_b64 s[22:23], s[20:21]
	s_cbranch_execnz .LBB307_219
	s_branch .LBB307_220
.LBB307_304:
	v_bfe_u32 v4, v5, 4, 1
	s_mov_b32 s26, 0x487ffff
	v_add3_u32 v4, v7, v4, s26
	s_mov_b64 s[22:23], exec
	v_lshrrev_b32_e32 v6, 20, v4
                                        ; implicit-def: $vgpr7
	s_andn2_saveexec_b64 s[24:25], s[24:25]
	s_cbranch_execz .LBB307_238
.LBB307_305:
	s_mov_b32 s26, 0x46000000
	v_add_f32_e64 v4, |v7|, s26
	v_and_b32_e32 v6, 0xff, v4
	v_cmp_ne_u32_e32 vcc, 0, v6
	s_andn2_b64 s[22:23], s[22:23], exec
	s_and_b64 s[26:27], vcc, exec
	s_or_b64 s[22:23], s[22:23], s[26:27]
	s_or_b64 exec, exec, s[24:25]
	v_mov_b32_e32 v4, 0
	s_and_saveexec_b64 s[24:25], s[22:23]
	s_cbranch_execnz .LBB307_239
	s_branch .LBB307_240
.LBB307_306:
	v_bfe_u32 v4, v5, 20, 1
	s_mov_b32 s24, 0x487ffff
	v_add3_u32 v4, v5, v4, s24
	s_mov_b64 s[20:21], exec
	v_lshrrev_b32_e32 v6, 20, v4
	s_andn2_saveexec_b64 s[22:23], s[22:23]
	s_cbranch_execz .LBB307_150
.LBB307_307:
	s_mov_b32 s24, 0x46000000
	v_add_f32_e64 v4, |v5|, s24
	v_and_b32_e32 v6, 0xff, v4
	v_cmp_ne_u32_e32 vcc, 0, v6
	s_andn2_b64 s[20:21], s[20:21], exec
	s_and_b64 s[24:25], vcc, exec
	s_or_b64 s[20:21], s[20:21], s[24:25]
	s_or_b64 exec, exec, s[22:23]
	v_mov_b32_e32 v4, 0
	s_and_saveexec_b64 s[22:23], s[20:21]
	s_cbranch_execnz .LBB307_151
	s_branch .LBB307_152
.LBB307_308:
	v_bfe_u32 v4, v6, 20, 1
	s_mov_b32 s28, 0x487ffff
	v_add3_u32 v4, v6, v4, s28
	s_mov_b64 s[24:25], exec
	v_lshrrev_b32_e32 v5, 20, v4
                                        ; implicit-def: $vgpr6
	s_andn2_saveexec_b64 s[26:27], s[26:27]
	s_cbranch_execz .LBB307_160
.LBB307_309:
	v_add_f32_e32 v4, 0x46000000, v6
	v_and_b32_e32 v5, 0xff, v4
	v_cmp_ne_u32_e32 vcc, 0, v5
	s_andn2_b64 s[24:25], s[24:25], exec
	s_and_b64 s[28:29], vcc, exec
	s_or_b64 s[24:25], s[24:25], s[28:29]
	s_or_b64 exec, exec, s[26:27]
	v_mov_b32_e32 v4, 0
	s_and_saveexec_b64 s[26:27], s[24:25]
	s_cbranch_execnz .LBB307_161
	s_branch .LBB307_162
.Lfunc_end307:
	.size	_ZN2at6native6invokeINS0_13AUnaryFunctorIN3c1015Float8_e4m3fnuzES4_bNS0_12_GLOBAL__N_116CompareEqFunctorIS4_EEEEj15function_traitsIS8_EEENT1_11result_typeERKT_PrKPcPKT0_PKNS3_10ScalarTypeEi, .Lfunc_end307-_ZN2at6native6invokeINS0_13AUnaryFunctorIN3c1015Float8_e4m3fnuzES4_bNS0_12_GLOBAL__N_116CompareEqFunctorIS4_EEEEj15function_traitsIS8_EEENT1_11result_typeERKT_PrKPcPKT0_PKNS3_10ScalarTypeEi
                                        ; -- End function
	.set .L_ZN2at6native6invokeINS0_13AUnaryFunctorIN3c1015Float8_e4m3fnuzES4_bNS0_12_GLOBAL__N_116CompareEqFunctorIS4_EEEEj15function_traitsIS8_EEENT1_11result_typeERKT_PrKPcPKT0_PKNS3_10ScalarTypeEi.num_vgpr, 10
	.set .L_ZN2at6native6invokeINS0_13AUnaryFunctorIN3c1015Float8_e4m3fnuzES4_bNS0_12_GLOBAL__N_116CompareEqFunctorIS4_EEEEj15function_traitsIS8_EEENT1_11result_typeERKT_PrKPcPKT0_PKNS3_10ScalarTypeEi.num_agpr, 0
	.set .L_ZN2at6native6invokeINS0_13AUnaryFunctorIN3c1015Float8_e4m3fnuzES4_bNS0_12_GLOBAL__N_116CompareEqFunctorIS4_EEEEj15function_traitsIS8_EEENT1_11result_typeERKT_PrKPcPKT0_PKNS3_10ScalarTypeEi.numbered_sgpr, 32
	.set .L_ZN2at6native6invokeINS0_13AUnaryFunctorIN3c1015Float8_e4m3fnuzES4_bNS0_12_GLOBAL__N_116CompareEqFunctorIS4_EEEEj15function_traitsIS8_EEENT1_11result_typeERKT_PrKPcPKT0_PKNS3_10ScalarTypeEi.num_named_barrier, 0
	.set .L_ZN2at6native6invokeINS0_13AUnaryFunctorIN3c1015Float8_e4m3fnuzES4_bNS0_12_GLOBAL__N_116CompareEqFunctorIS4_EEEEj15function_traitsIS8_EEENT1_11result_typeERKT_PrKPcPKT0_PKNS3_10ScalarTypeEi.private_seg_size, 0
	.set .L_ZN2at6native6invokeINS0_13AUnaryFunctorIN3c1015Float8_e4m3fnuzES4_bNS0_12_GLOBAL__N_116CompareEqFunctorIS4_EEEEj15function_traitsIS8_EEENT1_11result_typeERKT_PrKPcPKT0_PKNS3_10ScalarTypeEi.uses_vcc, 1
	.set .L_ZN2at6native6invokeINS0_13AUnaryFunctorIN3c1015Float8_e4m3fnuzES4_bNS0_12_GLOBAL__N_116CompareEqFunctorIS4_EEEEj15function_traitsIS8_EEENT1_11result_typeERKT_PrKPcPKT0_PKNS3_10ScalarTypeEi.uses_flat_scratch, 0
	.set .L_ZN2at6native6invokeINS0_13AUnaryFunctorIN3c1015Float8_e4m3fnuzES4_bNS0_12_GLOBAL__N_116CompareEqFunctorIS4_EEEEj15function_traitsIS8_EEENT1_11result_typeERKT_PrKPcPKT0_PKNS3_10ScalarTypeEi.has_dyn_sized_stack, 0
	.set .L_ZN2at6native6invokeINS0_13AUnaryFunctorIN3c1015Float8_e4m3fnuzES4_bNS0_12_GLOBAL__N_116CompareEqFunctorIS4_EEEEj15function_traitsIS8_EEENT1_11result_typeERKT_PrKPcPKT0_PKNS3_10ScalarTypeEi.has_recursion, 0
	.set .L_ZN2at6native6invokeINS0_13AUnaryFunctorIN3c1015Float8_e4m3fnuzES4_bNS0_12_GLOBAL__N_116CompareEqFunctorIS4_EEEEj15function_traitsIS8_EEENT1_11result_typeERKT_PrKPcPKT0_PKNS3_10ScalarTypeEi.has_indirect_call, 0
	.section	.AMDGPU.csdata,"",@progbits
; Function info:
; codeLenInByte = 7440
; TotalNumSgprs: 36
; NumVgprs: 10
; ScratchSize: 0
; MemoryBound: 0
	.section	.text._ZN2at6native32elementwise_kernel_manual_unrollILi128ELi4EZNS0_15gpu_kernel_implINS0_13AUnaryFunctorIN3c1015Float8_e4m3fnuzES5_bNS0_12_GLOBAL__N_116CompareEqFunctorIS5_EEEEEEvRNS_18TensorIteratorBaseERKT_EUlibE0_EEviT1_,"axG",@progbits,_ZN2at6native32elementwise_kernel_manual_unrollILi128ELi4EZNS0_15gpu_kernel_implINS0_13AUnaryFunctorIN3c1015Float8_e4m3fnuzES5_bNS0_12_GLOBAL__N_116CompareEqFunctorIS5_EEEEEEvRNS_18TensorIteratorBaseERKT_EUlibE0_EEviT1_,comdat
	.globl	_ZN2at6native32elementwise_kernel_manual_unrollILi128ELi4EZNS0_15gpu_kernel_implINS0_13AUnaryFunctorIN3c1015Float8_e4m3fnuzES5_bNS0_12_GLOBAL__N_116CompareEqFunctorIS5_EEEEEEvRNS_18TensorIteratorBaseERKT_EUlibE0_EEviT1_ ; -- Begin function _ZN2at6native32elementwise_kernel_manual_unrollILi128ELi4EZNS0_15gpu_kernel_implINS0_13AUnaryFunctorIN3c1015Float8_e4m3fnuzES5_bNS0_12_GLOBAL__N_116CompareEqFunctorIS5_EEEEEEvRNS_18TensorIteratorBaseERKT_EUlibE0_EEviT1_
	.p2align	8
	.type	_ZN2at6native32elementwise_kernel_manual_unrollILi128ELi4EZNS0_15gpu_kernel_implINS0_13AUnaryFunctorIN3c1015Float8_e4m3fnuzES5_bNS0_12_GLOBAL__N_116CompareEqFunctorIS5_EEEEEEvRNS_18TensorIteratorBaseERKT_EUlibE0_EEviT1_,@function
_ZN2at6native32elementwise_kernel_manual_unrollILi128ELi4EZNS0_15gpu_kernel_implINS0_13AUnaryFunctorIN3c1015Float8_e4m3fnuzES5_bNS0_12_GLOBAL__N_116CompareEqFunctorIS5_EEEEEEvRNS_18TensorIteratorBaseERKT_EUlibE0_EEviT1_: ; @_ZN2at6native32elementwise_kernel_manual_unrollILi128ELi4EZNS0_15gpu_kernel_implINS0_13AUnaryFunctorIN3c1015Float8_e4m3fnuzES5_bNS0_12_GLOBAL__N_116CompareEqFunctorIS5_EEEEEEvRNS_18TensorIteratorBaseERKT_EUlibE0_EEviT1_
; %bb.0:
	s_load_dword s78, s[4:5], 0x0
	s_load_dword s33, s[4:5], 0x8
	s_add_u32 s0, s0, s7
	s_addc_u32 s1, s1, 0
	s_mov_b64 s[34:35], s[4:5]
	s_add_u32 s48, s34, 8
	s_addc_u32 s49, s35, 0
	v_lshl_or_b32 v12, s6, 9, v0
	s_waitcnt lgkmcnt(0)
	s_add_i32 s80, s33, -1
	v_or_b32_e32 v2, 0x180, v12
	s_cmp_gt_u32 s80, 1
	v_cmp_le_i32_e32 vcc, s78, v2
	s_cselect_b64 s[52:53], -1, 0
	s_mov_b64 s[50:51], 0
	s_mov_b64 s[44:45], 0
	s_mov_b32 s32, 0
	s_and_saveexec_b64 s[4:5], vcc
	s_xor_b64 s[54:55], exec, s[4:5]
	s_cbranch_execz .LBB308_566
; %bb.1:
	s_load_dwordx4 s[40:43], s[48:49], 0x4
	s_load_dwordx2 s[58:59], s[48:49], 0x14
	s_load_dwordx2 s[56:57], s[48:49], 0x158
	s_load_dword s81, s[48:49], 0x160
	s_cmp_lg_u32 s33, 0
	s_load_dwordx4 s[44:47], s[48:49], 0xc4
	s_load_dwordx4 s[36:39], s[48:49], 0x148
	s_cselect_b64 s[64:65], -1, 0
	s_add_u32 s62, s48, 0xc4
	s_addc_u32 s63, s49, 0
	s_min_u32 s83, s80, 15
	s_cmp_gt_u32 s33, 1
	s_cselect_b64 s[60:61], -1, 0
	s_waitcnt lgkmcnt(0)
	s_bfe_u32 s82, s81, 0x80008
	v_cmp_gt_i32_e32 vcc, s78, v12
	s_mov_b64 s[4:5], -1
	s_mov_b64 s[72:73], 0
	s_mov_b64 s[66:67], 0
	s_and_saveexec_b64 s[68:69], vcc
	s_cbranch_execz .LBB308_138
; %bb.2:
	s_andn2_b64 vcc, exec, s[52:53]
	s_cbranch_vccnz .LBB308_7
; %bb.3:
	s_andn2_b64 vcc, exec, s[64:65]
	s_cbranch_vccnz .LBB308_8
; %bb.4:
	s_add_i32 s29, s83, 1
	s_cmp_eq_u32 s80, 2
	s_cbranch_scc1 .LBB308_9
; %bb.5:
	s_and_b32 s28, s29, 28
	v_mov_b32_e32 v4, 0
	s_mov_b32 s30, 0
	s_mov_b64 s[24:25], s[48:49]
	s_mov_b64 s[26:27], s[62:63]
	v_mov_b32_e32 v10, 0
	v_mov_b32_e32 v0, v12
.LBB308_6:                              ; =>This Inner Loop Header: Depth=1
	s_load_dwordx8 s[12:19], s[24:25], 0x4
	s_load_dwordx4 s[20:23], s[24:25], 0x24
	s_load_dwordx8 s[4:11], s[26:27], 0x0
	s_add_u32 s24, s24, 48
	s_addc_u32 s25, s25, 0
	s_waitcnt lgkmcnt(0)
	v_mul_hi_u32 v1, s13, v0
	s_add_i32 s30, s30, 4
	s_add_u32 s26, s26, 32
	s_addc_u32 s27, s27, 0
	v_add_u32_e32 v1, v0, v1
	v_lshrrev_b32_e32 v1, s14, v1
	v_mul_lo_u32 v2, v1, s12
	v_mul_hi_u32 v3, s16, v1
	s_cmp_lg_u32 s28, s30
	v_sub_u32_e32 v0, v0, v2
	v_add_u32_e32 v2, v1, v3
	v_mul_lo_u32 v3, v0, s4
	v_mul_lo_u32 v5, v0, s5
	v_lshrrev_b32_e32 v0, s17, v2
	v_mul_lo_u32 v2, v0, s15
	v_mul_hi_u32 v6, s19, v0
	v_sub_u32_e32 v1, v1, v2
	v_add_u32_e32 v2, v0, v6
	v_lshrrev_b32_e32 v2, s20, v2
	v_mul_hi_u32 v7, s22, v2
	v_mul_lo_u32 v8, v2, s18
	v_mul_lo_u32 v6, v1, s6
	;; [unrolled: 1-line block ×3, first 2 shown]
	v_sub_u32_e32 v8, v0, v8
	v_add_u32_e32 v0, v2, v7
	v_lshrrev_b32_e32 v0, s23, v0
	v_mul_lo_u32 v7, v0, s21
	v_mul_lo_u32 v9, v8, s8
	;; [unrolled: 1-line block ×3, first 2 shown]
	v_add3_u32 v3, v3, v10, v6
	v_sub_u32_e32 v2, v2, v7
	v_mul_lo_u32 v7, v2, s10
	v_mul_lo_u32 v2, v2, s11
	v_add3_u32 v1, v5, v4, v1
	v_add3_u32 v10, v9, v3, v7
	;; [unrolled: 1-line block ×3, first 2 shown]
	s_cbranch_scc1 .LBB308_6
	s_branch .LBB308_10
.LBB308_7:
                                        ; implicit-def: $vgpr10
                                        ; implicit-def: $vgpr4
	s_andn2_b64 vcc, exec, s[4:5]
	s_cbranch_vccz .LBB308_14
	s_branch .LBB308_16
.LBB308_8:
	v_mov_b32_e32 v10, 0
	v_mov_b32_e32 v4, 0
	s_branch .LBB308_13
.LBB308_9:
	s_mov_b32 s28, 0
	v_mov_b32_e32 v10, 0
	v_mov_b32_e32 v4, 0
	;; [unrolled: 1-line block ×3, first 2 shown]
.LBB308_10:
	s_and_b32 s8, s29, 3
	s_cmp_eq_u32 s8, 0
	s_cbranch_scc1 .LBB308_13
; %bb.11:
	s_lshl_b32 s4, s28, 3
	s_add_u32 s4, s48, s4
	s_addc_u32 s5, s49, 0
	s_add_u32 s4, s4, 0xc4
	s_addc_u32 s5, s5, 0
	s_mul_i32 s6, s28, 12
	s_add_u32 s6, s48, s6
	s_addc_u32 s7, s49, 0
.LBB308_12:                             ; =>This Inner Loop Header: Depth=1
	s_load_dwordx2 s[10:11], s[6:7], 0x4
	s_load_dword s9, s[6:7], 0xc
	s_load_dwordx2 s[12:13], s[4:5], 0x0
	s_add_u32 s6, s6, 12
	s_addc_u32 s7, s7, 0
	s_waitcnt lgkmcnt(0)
	v_mul_hi_u32 v1, s11, v0
	s_add_u32 s4, s4, 8
	s_addc_u32 s5, s5, 0
	s_add_i32 s8, s8, -1
	v_add_u32_e32 v1, v0, v1
	v_lshrrev_b32_e32 v1, s9, v1
	v_mul_lo_u32 v2, v1, s10
	s_cmp_lg_u32 s8, 0
	v_sub_u32_e32 v0, v0, v2
	v_mad_u64_u32 v[10:11], s[10:11], v0, s12, v[10:11]
	v_mad_u64_u32 v[4:5], s[10:11], v0, s13, v[4:5]
	v_mov_b32_e32 v0, v1
	s_cbranch_scc1 .LBB308_12
.LBB308_13:
	s_cbranch_execnz .LBB308_16
.LBB308_14:
	v_mul_hi_u32 v0, s41, v12
	s_andn2_b64 vcc, exec, s[60:61]
	v_add_u32_e32 v0, v12, v0
	v_lshrrev_b32_e32 v0, s42, v0
	v_mul_lo_u32 v1, v0, s40
	v_sub_u32_e32 v1, v12, v1
	v_mul_lo_u32 v10, v1, s44
	v_mul_lo_u32 v4, v1, s45
	s_cbranch_vccnz .LBB308_16
; %bb.15:
	v_mul_hi_u32 v1, s58, v0
	v_add_u32_e32 v1, v0, v1
	v_lshrrev_b32_e32 v1, s59, v1
	v_mul_lo_u32 v1, v1, s43
	v_sub_u32_e32 v0, v0, v1
	v_mad_u64_u32 v[10:11], s[4:5], v0, s46, v[10:11]
	v_mad_u64_u32 v[4:5], s[4:5], v0, s47, v[4:5]
.LBB308_16:
	s_getpc_b64 s[4:5]
	s_add_u32 s4, s4, _ZN2at6native6invokeINS0_13AUnaryFunctorIN3c1015Float8_e4m3fnuzES4_bNS0_12_GLOBAL__N_116CompareEqFunctorIS4_EEEEj15function_traitsIS8_EEENT1_11result_typeERKT_PrKPcPKT0_PKNS3_10ScalarTypeEi@rel32@lo+4
	s_addc_u32 s5, s5, _ZN2at6native6invokeINS0_13AUnaryFunctorIN3c1015Float8_e4m3fnuzES4_bNS0_12_GLOBAL__N_116CompareEqFunctorIS4_EEEEj15function_traitsIS8_EEENT1_11result_typeERKT_PrKPcPKT0_PKNS3_10ScalarTypeEi@rel32@hi+12
	v_mov_b32_e32 v0, s56
	v_mov_b32_e32 v1, s57
	;; [unrolled: 1-line block ×5, first 2 shown]
	s_swappc_b64 s[30:31], s[4:5]
	v_and_b32_e32 v0, 1, v0
	v_cmp_eq_u32_e64 s[4:5], 1, v0
	v_mov_b32_e32 v1, s37
	s_and_b32 s14, s81, 0xff
	v_add_co_u32_e32 v0, vcc, s36, v10
	s_cmp_lt_i32 s14, 11
	v_addc_co_u32_e32 v1, vcc, 0, v1, vcc
	s_cbranch_scc1 .LBB308_23
; %bb.17:
	s_and_b32 s15, 0xffff, s14
	s_cmp_gt_i32 s15, 25
	s_cbranch_scc0 .LBB308_26
; %bb.18:
	s_cmp_gt_i32 s15, 28
	s_cbranch_scc0 .LBB308_27
; %bb.19:
	s_cmp_gt_i32 s15, 43
	s_cbranch_scc0 .LBB308_28
; %bb.20:
	s_cmp_gt_i32 s15, 45
	s_cbranch_scc0 .LBB308_29
; %bb.21:
	s_mov_b64 s[10:11], 0
	s_mov_b64 s[6:7], -1
	s_cmp_eq_u32 s15, 46
	s_mov_b64 s[8:9], 0
	s_cbranch_scc0 .LBB308_30
; %bb.22:
	v_cndmask_b32_e64 v2, 0, 1.0, s[4:5]
	v_bfe_u32 v3, v2, 16, 1
	s_movk_i32 s6, 0x7fff
	v_add3_u32 v2, v2, v3, s6
	v_lshrrev_b32_e32 v2, 16, v2
	global_store_dword v[0:1], v2, off
	s_mov_b64 s[8:9], -1
	s_mov_b64 s[6:7], 0
	s_branch .LBB308_30
.LBB308_23:
	s_mov_b64 s[6:7], 0
	s_mov_b64 s[8:9], 0
	s_cbranch_execnz .LBB308_98
.LBB308_24:
	s_andn2_b64 vcc, exec, s[8:9]
	s_cbranch_vccnz .LBB308_136
.LBB308_25:
	v_add_u32_e32 v12, 0x80, v12
	s_mov_b64 s[4:5], -1
	s_branch .LBB308_137
.LBB308_26:
	s_mov_b64 s[6:7], 0
	s_mov_b64 s[8:9], 0
	s_cbranch_execnz .LBB308_57
	s_branch .LBB308_97
.LBB308_27:
	s_mov_b64 s[10:11], -1
	s_mov_b64 s[6:7], 0
	s_mov_b64 s[8:9], 0
	s_branch .LBB308_40
.LBB308_28:
	s_mov_b64 s[10:11], -1
	s_mov_b64 s[6:7], 0
	s_mov_b64 s[8:9], 0
	s_branch .LBB308_36
.LBB308_29:
	s_mov_b64 s[10:11], -1
	s_mov_b64 s[6:7], 0
	s_mov_b64 s[8:9], 0
.LBB308_30:
	s_and_b64 vcc, exec, s[10:11]
	s_cbranch_vccz .LBB308_35
; %bb.31:
	s_cmp_eq_u32 s15, 44
	s_mov_b64 s[6:7], -1
	s_cbranch_scc0 .LBB308_35
; %bb.32:
	v_cndmask_b32_e64 v3, 0, 1.0, s[4:5]
	v_lshrrev_b32_e32 v2, 23, v3
	s_movk_i32 s6, 0xff
	v_cmp_ne_u32_e32 vcc, s6, v2
	v_mov_b32_e32 v4, 0xff
	s_and_saveexec_b64 s[8:9], vcc
; %bb.33:
	s_mov_b32 s6, 0x3fffff
	v_and_b32_e32 v4, 0x400000, v3
	v_and_or_b32 v3, v3, s6, v2
	v_cmp_ne_u32_e32 vcc, 0, v4
	v_cmp_ne_u32_e64 s[6:7], 0, v3
	s_and_b64 s[6:7], vcc, s[6:7]
	v_cndmask_b32_e64 v3, 0, 1, s[6:7]
	v_add_u32_e32 v4, v2, v3
; %bb.34:
	s_or_b64 exec, exec, s[8:9]
	s_mov_b64 s[8:9], -1
	s_mov_b64 s[6:7], 0
	global_store_byte v[0:1], v4, off
.LBB308_35:
	s_mov_b64 s[10:11], 0
.LBB308_36:
	s_and_b64 vcc, exec, s[10:11]
	s_cbranch_vccz .LBB308_39
; %bb.37:
	s_cmp_eq_u32 s15, 29
	s_mov_b64 s[6:7], -1
	s_cbranch_scc0 .LBB308_39
; %bb.38:
	s_mov_b32 s6, 0
	v_cndmask_b32_e64 v2, 0, 1, s[4:5]
	v_mov_b32_e32 v3, s6
	global_store_dwordx2 v[0:1], v[2:3], off
	s_mov_b64 s[8:9], -1
	s_mov_b64 s[6:7], 0
.LBB308_39:
	s_mov_b64 s[10:11], 0
.LBB308_40:
	s_and_b64 vcc, exec, s[10:11]
	s_cbranch_vccz .LBB308_56
; %bb.41:
	s_cmp_lt_i32 s15, 27
	s_mov_b64 s[8:9], -1
	s_cbranch_scc1 .LBB308_47
; %bb.42:
	s_cmp_gt_i32 s15, 27
	s_cbranch_scc0 .LBB308_44
; %bb.43:
	v_cndmask_b32_e64 v2, 0, 1, s[4:5]
	s_mov_b64 s[8:9], 0
	global_store_dword v[0:1], v2, off
.LBB308_44:
	s_andn2_b64 vcc, exec, s[8:9]
	s_cbranch_vccnz .LBB308_46
; %bb.45:
	v_cndmask_b32_e64 v2, 0, 1, s[4:5]
	global_store_short v[0:1], v2, off
.LBB308_46:
	s_mov_b64 s[8:9], 0
.LBB308_47:
	s_andn2_b64 vcc, exec, s[8:9]
	s_cbranch_vccnz .LBB308_55
; %bb.48:
	v_cndmask_b32_e64 v3, 0, 1.0, s[4:5]
	s_mov_b32 s8, 0x43800000
	v_cmp_gt_u32_e32 vcc, s8, v3
	v_mov_b32_e32 v4, 0x80
	s_and_saveexec_b64 s[8:9], vcc
	s_cbranch_execz .LBB308_54
; %bb.49:
	s_mov_b32 s10, 0x3bffffff
	v_cmp_lt_u32_e32 vcc, s10, v3
	s_mov_b64 s[10:11], 0
                                        ; implicit-def: $vgpr2
	s_and_saveexec_b64 s[12:13], vcc
	s_xor_b64 s[12:13], exec, s[12:13]
	s_cbranch_execz .LBB308_169
; %bb.50:
	v_bfe_u32 v2, v3, 20, 1
	s_mov_b32 s16, 0x487ffff
	v_add3_u32 v2, v3, v2, s16
	s_mov_b64 s[10:11], exec
	v_lshrrev_b32_e32 v2, 20, v2
                                        ; implicit-def: $vgpr3
	s_andn2_saveexec_b64 s[12:13], s[12:13]
	s_cbranch_execnz .LBB308_170
.LBB308_51:
	s_or_b64 exec, exec, s[12:13]
	v_mov_b32_e32 v4, 0
	s_and_saveexec_b64 s[12:13], s[10:11]
.LBB308_52:
	v_mov_b32_e32 v4, v2
.LBB308_53:
	s_or_b64 exec, exec, s[12:13]
.LBB308_54:
	s_or_b64 exec, exec, s[8:9]
	global_store_byte v[0:1], v4, off
.LBB308_55:
	s_mov_b64 s[8:9], -1
.LBB308_56:
	s_branch .LBB308_97
.LBB308_57:
	s_cmp_gt_i32 s15, 22
	s_mov_b64 s[10:11], -1
	s_cbranch_scc0 .LBB308_89
; %bb.58:
	s_cmp_lt_i32 s15, 24
	s_mov_b64 s[8:9], -1
	s_cbranch_scc1 .LBB308_78
; %bb.59:
	s_cmp_gt_i32 s15, 24
	s_cbranch_scc0 .LBB308_67
; %bb.60:
	v_cndmask_b32_e64 v3, 0, 1.0, s[4:5]
	s_mov_b32 s8, 0x47800000
	v_cmp_gt_u32_e32 vcc, s8, v3
	v_mov_b32_e32 v4, 0x80
	s_and_saveexec_b64 s[8:9], vcc
	s_cbranch_execz .LBB308_66
; %bb.61:
	s_mov_b32 s10, 0x37ffffff
	v_cmp_lt_u32_e32 vcc, s10, v3
	s_mov_b64 s[10:11], 0
                                        ; implicit-def: $vgpr2
	s_and_saveexec_b64 s[12:13], vcc
	s_xor_b64 s[12:13], exec, s[12:13]
	s_cbranch_execz .LBB308_172
; %bb.62:
	v_bfe_u32 v2, v3, 21, 1
	s_mov_b32 s16, 0x88fffff
	v_add3_u32 v2, v3, v2, s16
	s_mov_b64 s[10:11], exec
	v_lshrrev_b32_e32 v2, 21, v2
                                        ; implicit-def: $vgpr3
	s_andn2_saveexec_b64 s[12:13], s[12:13]
	s_cbranch_execnz .LBB308_173
.LBB308_63:
	s_or_b64 exec, exec, s[12:13]
	v_mov_b32_e32 v4, 0
	s_and_saveexec_b64 s[12:13], s[10:11]
.LBB308_64:
	v_mov_b32_e32 v4, v2
.LBB308_65:
	s_or_b64 exec, exec, s[12:13]
.LBB308_66:
	s_or_b64 exec, exec, s[8:9]
	s_mov_b64 s[8:9], 0
	global_store_byte v[0:1], v4, off
.LBB308_67:
	s_and_b64 vcc, exec, s[8:9]
	s_cbranch_vccz .LBB308_77
; %bb.68:
	v_cndmask_b32_e64 v2, 0, 1.0, s[4:5]
	s_mov_b32 s8, 0x43f00000
	v_cmp_gt_u32_e32 vcc, s8, v2
                                        ; implicit-def: $vgpr3
	s_and_saveexec_b64 s[8:9], vcc
	s_xor_b64 s[8:9], exec, s[8:9]
	s_cbranch_execz .LBB308_74
; %bb.69:
	s_mov_b32 s10, 0x3c7fffff
	v_cmp_lt_u32_e32 vcc, s10, v2
                                        ; implicit-def: $vgpr3
	s_and_saveexec_b64 s[10:11], vcc
	s_xor_b64 s[10:11], exec, s[10:11]
; %bb.70:
	v_bfe_u32 v3, v2, 20, 1
	s_mov_b32 s12, 0x407ffff
	v_add3_u32 v2, v2, v3, s12
	v_lshrrev_b32_e32 v3, 20, v2
	v_and_b32_e32 v2, 0xff00000, v2
	s_mov_b32 s12, 0x7f00000
	v_mov_b32_e32 v4, 0x7e
	v_cmp_ne_u32_e32 vcc, s12, v2
	v_cndmask_b32_e32 v3, v4, v3, vcc
                                        ; implicit-def: $vgpr2
; %bb.71:
	s_andn2_saveexec_b64 s[10:11], s[10:11]
; %bb.72:
	v_add_f32_e32 v3, 0x46800000, v2
; %bb.73:
	s_or_b64 exec, exec, s[10:11]
                                        ; implicit-def: $vgpr2
.LBB308_74:
	s_andn2_saveexec_b64 s[8:9], s[8:9]
; %bb.75:
	s_mov_b32 s10, 0x7f800000
	v_mov_b32_e32 v3, 0x7e
	v_mov_b32_e32 v4, 0x7f
	v_cmp_lt_u32_e32 vcc, s10, v2
	v_cndmask_b32_e32 v3, v3, v4, vcc
; %bb.76:
	s_or_b64 exec, exec, s[8:9]
	global_store_byte v[0:1], v3, off
.LBB308_77:
	s_mov_b64 s[8:9], 0
.LBB308_78:
	s_andn2_b64 vcc, exec, s[8:9]
	s_cbranch_vccnz .LBB308_88
; %bb.79:
	v_cndmask_b32_e64 v2, 0, 1.0, s[4:5]
	s_mov_b32 s8, 0x47800000
	v_cmp_gt_u32_e32 vcc, s8, v2
                                        ; implicit-def: $vgpr3
	s_and_saveexec_b64 s[8:9], vcc
	s_xor_b64 s[8:9], exec, s[8:9]
	s_cbranch_execz .LBB308_85
; %bb.80:
	s_mov_b32 s10, 0x387fffff
	v_cmp_lt_u32_e32 vcc, s10, v2
                                        ; implicit-def: $vgpr3
	s_and_saveexec_b64 s[10:11], vcc
	s_xor_b64 s[10:11], exec, s[10:11]
; %bb.81:
	v_bfe_u32 v3, v2, 21, 1
	s_mov_b32 s12, 0x80fffff
	v_add3_u32 v2, v2, v3, s12
	v_lshrrev_b32_e32 v3, 21, v2
                                        ; implicit-def: $vgpr2
; %bb.82:
	s_andn2_saveexec_b64 s[10:11], s[10:11]
; %bb.83:
	v_add_f32_e32 v3, 0x43000000, v2
; %bb.84:
	s_or_b64 exec, exec, s[10:11]
                                        ; implicit-def: $vgpr2
.LBB308_85:
	s_andn2_saveexec_b64 s[8:9], s[8:9]
; %bb.86:
	s_mov_b32 s10, 0x7f800000
	v_mov_b32_e32 v3, 0x7c
	v_mov_b32_e32 v4, 0x7f
	v_cmp_lt_u32_e32 vcc, s10, v2
	v_cndmask_b32_e32 v3, v3, v4, vcc
; %bb.87:
	s_or_b64 exec, exec, s[8:9]
	global_store_byte v[0:1], v3, off
.LBB308_88:
	s_mov_b64 s[10:11], 0
	s_mov_b64 s[8:9], -1
.LBB308_89:
	s_andn2_b64 vcc, exec, s[10:11]
	s_cbranch_vccnz .LBB308_97
; %bb.90:
	s_cmp_gt_i32 s15, 14
	s_mov_b64 s[10:11], -1
	s_cbranch_scc0 .LBB308_94
; %bb.91:
	s_cmp_eq_u32 s15, 15
	s_mov_b64 s[6:7], -1
	s_cbranch_scc0 .LBB308_93
; %bb.92:
	v_cndmask_b32_e64 v2, 0, 1.0, s[4:5]
	v_bfe_u32 v3, v2, 16, 1
	s_movk_i32 s6, 0x7fff
	v_add3_u32 v2, v2, v3, s6
	global_store_short_d16_hi v[0:1], v2, off
	s_mov_b64 s[8:9], -1
	s_mov_b64 s[6:7], 0
.LBB308_93:
	s_mov_b64 s[10:11], 0
.LBB308_94:
	s_and_b64 vcc, exec, s[10:11]
	s_cbranch_vccz .LBB308_97
; %bb.95:
	s_cmp_eq_u32 s15, 11
	s_mov_b64 s[6:7], -1
	s_cbranch_scc0 .LBB308_97
; %bb.96:
	v_cndmask_b32_e64 v2, 0, 1, s[4:5]
	s_mov_b64 s[8:9], -1
	s_mov_b64 s[6:7], 0
	global_store_byte v[0:1], v2, off
.LBB308_97:
	s_branch .LBB308_24
.LBB308_98:
	s_and_b32 s10, 0xffff, s14
	s_cmp_lt_i32 s10, 5
	s_mov_b64 s[8:9], -1
	s_cbranch_scc1 .LBB308_119
; %bb.99:
	s_cmp_lt_i32 s10, 8
	s_cbranch_scc1 .LBB308_109
; %bb.100:
	s_cmp_lt_i32 s10, 9
	s_cbranch_scc1 .LBB308_106
; %bb.101:
	s_cmp_gt_i32 s10, 9
	s_cbranch_scc0 .LBB308_103
; %bb.102:
	v_cndmask_b32_e64 v2, 0, 1, s[4:5]
	v_cvt_f64_u32_e32 v[2:3], v2
	v_mov_b32_e32 v4, 0
	v_mov_b32_e32 v5, v4
	s_mov_b64 s[8:9], 0
	global_store_dwordx4 v[0:1], v[2:5], off
.LBB308_103:
	s_andn2_b64 vcc, exec, s[8:9]
	s_cbranch_vccnz .LBB308_105
; %bb.104:
	v_cndmask_b32_e64 v2, 0, 1.0, s[4:5]
	v_mov_b32_e32 v3, 0
	global_store_dwordx2 v[0:1], v[2:3], off
.LBB308_105:
	s_mov_b64 s[8:9], 0
.LBB308_106:
	s_andn2_b64 vcc, exec, s[8:9]
	s_cbranch_vccnz .LBB308_108
; %bb.107:
	v_cndmask_b32_e64 v2, 0, 1.0, s[4:5]
	v_cvt_f16_f32_e32 v2, v2
	global_store_dword v[0:1], v2, off
.LBB308_108:
	s_mov_b64 s[8:9], 0
.LBB308_109:
	s_andn2_b64 vcc, exec, s[8:9]
	s_cbranch_vccnz .LBB308_118
; %bb.110:
	s_cmp_lt_i32 s10, 6
	s_mov_b64 s[8:9], -1
	s_cbranch_scc1 .LBB308_116
; %bb.111:
	s_cmp_gt_i32 s10, 6
	s_cbranch_scc0 .LBB308_113
; %bb.112:
	v_cndmask_b32_e64 v2, 0, 1, s[4:5]
	v_cvt_f64_u32_e32 v[2:3], v2
	s_mov_b64 s[8:9], 0
	global_store_dwordx2 v[0:1], v[2:3], off
.LBB308_113:
	s_andn2_b64 vcc, exec, s[8:9]
	s_cbranch_vccnz .LBB308_115
; %bb.114:
	v_cndmask_b32_e64 v2, 0, 1.0, s[4:5]
	global_store_dword v[0:1], v2, off
.LBB308_115:
	s_mov_b64 s[8:9], 0
.LBB308_116:
	s_andn2_b64 vcc, exec, s[8:9]
	s_cbranch_vccnz .LBB308_118
; %bb.117:
	v_cndmask_b32_e64 v2, 0, 1.0, s[4:5]
	v_cvt_f16_f32_e32 v2, v2
	global_store_short v[0:1], v2, off
.LBB308_118:
	s_mov_b64 s[8:9], 0
.LBB308_119:
	s_andn2_b64 vcc, exec, s[8:9]
	s_cbranch_vccnz .LBB308_135
; %bb.120:
	s_cmp_lt_i32 s10, 2
	s_mov_b64 s[8:9], -1
	s_cbranch_scc1 .LBB308_130
; %bb.121:
	s_cmp_lt_i32 s10, 3
	s_cbranch_scc1 .LBB308_127
; %bb.122:
	s_cmp_gt_i32 s10, 3
	s_cbranch_scc0 .LBB308_124
; %bb.123:
	s_mov_b32 s8, 0
	v_cndmask_b32_e64 v2, 0, 1, s[4:5]
	v_mov_b32_e32 v3, s8
	global_store_dwordx2 v[0:1], v[2:3], off
	s_mov_b64 s[8:9], 0
.LBB308_124:
	s_andn2_b64 vcc, exec, s[8:9]
	s_cbranch_vccnz .LBB308_126
; %bb.125:
	v_cndmask_b32_e64 v2, 0, 1, s[4:5]
	global_store_dword v[0:1], v2, off
.LBB308_126:
	s_mov_b64 s[8:9], 0
.LBB308_127:
	s_andn2_b64 vcc, exec, s[8:9]
	s_cbranch_vccnz .LBB308_129
; %bb.128:
	v_cndmask_b32_e64 v2, 0, 1, s[4:5]
	global_store_short v[0:1], v2, off
.LBB308_129:
	s_mov_b64 s[8:9], 0
.LBB308_130:
	s_andn2_b64 vcc, exec, s[8:9]
	s_cbranch_vccnz .LBB308_135
; %bb.131:
	s_cmp_gt_i32 s10, 0
	s_mov_b64 s[8:9], -1
	s_cbranch_scc0 .LBB308_133
; %bb.132:
	v_cndmask_b32_e64 v2, 0, 1, s[4:5]
	global_store_byte v[0:1], v2, off
	s_mov_b64 s[8:9], 0
.LBB308_133:
	s_andn2_b64 vcc, exec, s[8:9]
	s_cbranch_vccnz .LBB308_135
; %bb.134:
	v_cndmask_b32_e64 v2, 0, 1, s[4:5]
	global_store_byte v[0:1], v2, off
.LBB308_135:
	s_branch .LBB308_25
.LBB308_136:
	s_mov_b64 s[4:5], 0
                                        ; implicit-def: $vgpr12
.LBB308_137:
	s_and_b64 s[66:67], s[6:7], exec
	s_orn2_b64 s[4:5], s[4:5], exec
.LBB308_138:
	s_or_b64 exec, exec, s[68:69]
	s_mov_b64 s[8:9], 0
                                        ; implicit-def: $sgpr6_sgpr7
                                        ; implicit-def: $sgpr16
                                        ; implicit-def: $vgpr0_vgpr1
	s_and_saveexec_b64 s[68:69], s[4:5]
	s_cbranch_execz .LBB308_145
; %bb.139:
	v_cmp_gt_i32_e32 vcc, s78, v12
	s_mov_b64 s[10:11], -1
	s_mov_b64 s[70:71], s[66:67]
	s_and_saveexec_b64 s[72:73], vcc
	s_cbranch_execz .LBB308_284
; %bb.140:
	s_andn2_b64 vcc, exec, s[52:53]
	s_cbranch_vccnz .LBB308_148
; %bb.141:
	s_andn2_b64 vcc, exec, s[64:65]
	s_cbranch_vccnz .LBB308_149
; %bb.142:
	s_add_i32 s29, s83, 1
	s_cmp_eq_u32 s80, 2
	s_cbranch_scc1 .LBB308_150
; %bb.143:
	s_and_b32 s28, s29, 28
	v_mov_b32_e32 v4, 0
	s_mov_b32 s30, 0
	s_mov_b64 s[24:25], s[48:49]
	s_mov_b64 s[26:27], s[62:63]
	v_mov_b32_e32 v10, 0
	v_mov_b32_e32 v0, v12
.LBB308_144:                            ; =>This Inner Loop Header: Depth=1
	s_load_dwordx8 s[12:19], s[24:25], 0x4
	s_load_dwordx4 s[20:23], s[24:25], 0x24
	s_load_dwordx8 s[4:11], s[26:27], 0x0
	s_add_u32 s24, s24, 48
	s_addc_u32 s25, s25, 0
	s_waitcnt lgkmcnt(0)
	v_mul_hi_u32 v1, s13, v0
	s_add_i32 s30, s30, 4
	s_add_u32 s26, s26, 32
	s_addc_u32 s27, s27, 0
	v_add_u32_e32 v1, v0, v1
	v_lshrrev_b32_e32 v1, s14, v1
	v_mul_lo_u32 v2, v1, s12
	v_mul_hi_u32 v3, s16, v1
	s_cmp_eq_u32 s28, s30
	v_sub_u32_e32 v0, v0, v2
	v_add_u32_e32 v2, v1, v3
	v_mul_lo_u32 v3, v0, s4
	v_mul_lo_u32 v5, v0, s5
	v_lshrrev_b32_e32 v0, s17, v2
	v_mul_lo_u32 v2, v0, s15
	v_mul_hi_u32 v6, s19, v0
	v_sub_u32_e32 v1, v1, v2
	v_add_u32_e32 v2, v0, v6
	v_lshrrev_b32_e32 v2, s20, v2
	v_mul_hi_u32 v7, s22, v2
	v_mul_lo_u32 v8, v2, s18
	v_mul_lo_u32 v6, v1, s6
	;; [unrolled: 1-line block ×3, first 2 shown]
	v_sub_u32_e32 v8, v0, v8
	v_add_u32_e32 v0, v2, v7
	v_lshrrev_b32_e32 v0, s23, v0
	v_mul_lo_u32 v7, v0, s21
	v_mul_lo_u32 v9, v8, s8
	;; [unrolled: 1-line block ×3, first 2 shown]
	v_add3_u32 v3, v3, v10, v6
	v_sub_u32_e32 v2, v2, v7
	v_mul_lo_u32 v7, v2, s10
	v_mul_lo_u32 v2, v2, s11
	v_add3_u32 v1, v5, v4, v1
	v_add3_u32 v10, v9, v3, v7
	;; [unrolled: 1-line block ×3, first 2 shown]
	s_cbranch_scc0 .LBB308_144
	s_branch .LBB308_151
.LBB308_145:
	s_or_b64 exec, exec, s[68:69]
	s_mov_b64 s[4:5], 0
	s_and_saveexec_b64 s[10:11], s[66:67]
	s_cbranch_execnz .LBB308_526
.LBB308_146:
	s_or_b64 exec, exec, s[10:11]
	s_and_saveexec_b64 s[10:11], s[72:73]
	s_xor_b64 s[10:11], exec, s[10:11]
	s_cbranch_execz .LBB308_527
.LBB308_147:
	v_cndmask_b32_e64 v2, 0, 1, s[6:7]
	global_store_byte v[0:1], v2, off
	s_or_b64 exec, exec, s[10:11]
	s_and_saveexec_b64 s[10:11], s[8:9]
	s_xor_b64 s[8:9], exec, s[10:11]
	s_cbranch_execz .LBB308_565
	s_branch .LBB308_528
.LBB308_148:
                                        ; implicit-def: $vgpr10
                                        ; implicit-def: $vgpr4
	s_branch .LBB308_155
.LBB308_149:
	v_mov_b32_e32 v10, 0
	v_mov_b32_e32 v4, 0
	s_branch .LBB308_154
.LBB308_150:
	s_mov_b32 s28, 0
	v_mov_b32_e32 v10, 0
	v_mov_b32_e32 v4, 0
	;; [unrolled: 1-line block ×3, first 2 shown]
.LBB308_151:
	s_and_b32 s8, s29, 3
	s_cmp_eq_u32 s8, 0
	s_cbranch_scc1 .LBB308_154
; %bb.152:
	s_lshl_b32 s4, s28, 3
	s_add_u32 s4, s48, s4
	s_addc_u32 s5, s49, 0
	s_add_u32 s4, s4, 0xc4
	s_addc_u32 s5, s5, 0
	s_mul_i32 s6, s28, 12
	s_add_u32 s6, s48, s6
	s_addc_u32 s7, s49, 0
.LBB308_153:                            ; =>This Inner Loop Header: Depth=1
	s_load_dwordx2 s[10:11], s[6:7], 0x4
	s_load_dword s9, s[6:7], 0xc
	s_load_dwordx2 s[12:13], s[4:5], 0x0
	s_add_u32 s6, s6, 12
	s_addc_u32 s7, s7, 0
	s_waitcnt lgkmcnt(0)
	v_mul_hi_u32 v1, s11, v0
	s_add_u32 s4, s4, 8
	s_addc_u32 s5, s5, 0
	s_add_i32 s8, s8, -1
	v_add_u32_e32 v1, v0, v1
	v_lshrrev_b32_e32 v1, s9, v1
	v_mul_lo_u32 v2, v1, s10
	s_cmp_lg_u32 s8, 0
	v_sub_u32_e32 v0, v0, v2
	v_mad_u64_u32 v[10:11], s[10:11], v0, s12, v[10:11]
	v_mad_u64_u32 v[4:5], s[10:11], v0, s13, v[4:5]
	v_mov_b32_e32 v0, v1
	s_cbranch_scc1 .LBB308_153
.LBB308_154:
	s_cbranch_execnz .LBB308_157
.LBB308_155:
	v_mul_hi_u32 v0, s41, v12
	s_andn2_b64 vcc, exec, s[60:61]
	v_add_u32_e32 v0, v12, v0
	v_lshrrev_b32_e32 v0, s42, v0
	v_mul_lo_u32 v1, v0, s40
	v_sub_u32_e32 v1, v12, v1
	v_mul_lo_u32 v10, v1, s44
	v_mul_lo_u32 v4, v1, s45
	s_cbranch_vccnz .LBB308_157
; %bb.156:
	v_mul_hi_u32 v1, s58, v0
	v_add_u32_e32 v1, v0, v1
	v_lshrrev_b32_e32 v1, s59, v1
	v_mul_lo_u32 v1, v1, s43
	v_sub_u32_e32 v0, v0, v1
	v_mad_u64_u32 v[10:11], s[4:5], v0, s46, v[10:11]
	v_mad_u64_u32 v[4:5], s[4:5], v0, s47, v[4:5]
.LBB308_157:
	s_getpc_b64 s[4:5]
	s_add_u32 s4, s4, _ZN2at6native6invokeINS0_13AUnaryFunctorIN3c1015Float8_e4m3fnuzES4_bNS0_12_GLOBAL__N_116CompareEqFunctorIS4_EEEEj15function_traitsIS8_EEENT1_11result_typeERKT_PrKPcPKT0_PKNS3_10ScalarTypeEi@rel32@lo+4
	s_addc_u32 s5, s5, _ZN2at6native6invokeINS0_13AUnaryFunctorIN3c1015Float8_e4m3fnuzES4_bNS0_12_GLOBAL__N_116CompareEqFunctorIS4_EEEEj15function_traitsIS8_EEENT1_11result_typeERKT_PrKPcPKT0_PKNS3_10ScalarTypeEi@rel32@hi+12
	v_mov_b32_e32 v0, s56
	v_mov_b32_e32 v1, s57
	;; [unrolled: 1-line block ×5, first 2 shown]
	s_swappc_b64 s[30:31], s[4:5]
	v_and_b32_e32 v0, 1, v0
	v_cmp_eq_u32_e64 s[4:5], 1, v0
	v_mov_b32_e32 v1, s37
	s_and_b32 s14, s81, 0xff
	v_add_co_u32_e32 v0, vcc, s36, v10
	s_cmp_lt_i32 s14, 11
	v_addc_co_u32_e32 v1, vcc, 0, v1, vcc
	s_cbranch_scc1 .LBB308_164
; %bb.158:
	s_and_b32 s15, 0xffff, s14
	s_cmp_gt_i32 s15, 25
	s_cbranch_scc0 .LBB308_167
; %bb.159:
	s_cmp_gt_i32 s15, 28
	s_cbranch_scc0 .LBB308_168
; %bb.160:
	;; [unrolled: 3-line block ×4, first 2 shown]
	s_mov_b64 s[10:11], 0
	s_mov_b64 s[6:7], -1
	s_cmp_eq_u32 s15, 46
	s_mov_b64 s[8:9], 0
	s_cbranch_scc0 .LBB308_175
; %bb.163:
	v_cndmask_b32_e64 v2, 0, 1.0, s[4:5]
	v_bfe_u32 v3, v2, 16, 1
	s_movk_i32 s6, 0x7fff
	v_add3_u32 v2, v2, v3, s6
	v_lshrrev_b32_e32 v2, 16, v2
	global_store_dword v[0:1], v2, off
	s_mov_b64 s[8:9], -1
	s_mov_b64 s[6:7], 0
	s_branch .LBB308_175
.LBB308_164:
	s_mov_b64 s[8:9], 0
	s_mov_b64 s[6:7], s[66:67]
	s_cbranch_execnz .LBB308_244
.LBB308_165:
	s_andn2_b64 vcc, exec, s[8:9]
	s_cbranch_vccnz .LBB308_282
.LBB308_166:
	v_add_u32_e32 v12, 0x80, v12
	s_mov_b64 s[4:5], -1
	s_branch .LBB308_283
.LBB308_167:
	s_mov_b64 s[10:11], -1
	s_mov_b64 s[8:9], 0
	s_mov_b64 s[6:7], s[66:67]
	s_branch .LBB308_202
.LBB308_168:
	s_mov_b64 s[10:11], -1
	s_mov_b64 s[8:9], 0
	s_mov_b64 s[6:7], s[66:67]
	s_branch .LBB308_185
.LBB308_169:
	s_andn2_saveexec_b64 s[12:13], s[12:13]
	s_cbranch_execz .LBB308_51
.LBB308_170:
	v_add_f32_e32 v2, 0x46000000, v3
	v_and_b32_e32 v2, 0xff, v2
	v_cmp_ne_u32_e32 vcc, 0, v2
	s_andn2_b64 s[10:11], s[10:11], exec
	s_and_b64 s[16:17], vcc, exec
	s_or_b64 s[10:11], s[10:11], s[16:17]
	s_or_b64 exec, exec, s[12:13]
	v_mov_b32_e32 v4, 0
	s_and_saveexec_b64 s[12:13], s[10:11]
	s_cbranch_execnz .LBB308_52
	s_branch .LBB308_53
.LBB308_171:
	s_mov_b64 s[10:11], -1
	s_mov_b64 s[8:9], 0
	s_mov_b64 s[6:7], s[66:67]
	s_branch .LBB308_181
.LBB308_172:
	s_andn2_saveexec_b64 s[12:13], s[12:13]
	s_cbranch_execz .LBB308_63
.LBB308_173:
	v_add_f32_e32 v2, 0x42800000, v3
	v_and_b32_e32 v2, 0xff, v2
	v_cmp_ne_u32_e32 vcc, 0, v2
	s_andn2_b64 s[10:11], s[10:11], exec
	s_and_b64 s[16:17], vcc, exec
	s_or_b64 s[10:11], s[10:11], s[16:17]
	s_or_b64 exec, exec, s[12:13]
	v_mov_b32_e32 v4, 0
	s_and_saveexec_b64 s[12:13], s[10:11]
	s_cbranch_execnz .LBB308_64
	s_branch .LBB308_65
.LBB308_174:
	s_mov_b64 s[10:11], -1
	s_mov_b64 s[8:9], 0
	s_mov_b64 s[6:7], s[66:67]
.LBB308_175:
	s_and_b64 vcc, exec, s[10:11]
	s_cbranch_vccz .LBB308_180
; %bb.176:
	s_cmp_eq_u32 s15, 44
	s_mov_b64 s[6:7], -1
	s_cbranch_scc0 .LBB308_180
; %bb.177:
	v_cndmask_b32_e64 v3, 0, 1.0, s[4:5]
	v_lshrrev_b32_e32 v2, 23, v3
	s_movk_i32 s6, 0xff
	v_cmp_ne_u32_e32 vcc, s6, v2
	v_mov_b32_e32 v4, 0xff
	s_and_saveexec_b64 s[8:9], vcc
; %bb.178:
	s_mov_b32 s6, 0x3fffff
	v_and_b32_e32 v4, 0x400000, v3
	v_and_or_b32 v3, v3, s6, v2
	v_cmp_ne_u32_e32 vcc, 0, v4
	v_cmp_ne_u32_e64 s[6:7], 0, v3
	s_and_b64 s[6:7], vcc, s[6:7]
	v_cndmask_b32_e64 v3, 0, 1, s[6:7]
	v_add_u32_e32 v4, v2, v3
; %bb.179:
	s_or_b64 exec, exec, s[8:9]
	s_mov_b64 s[8:9], -1
	s_mov_b64 s[6:7], 0
	global_store_byte v[0:1], v4, off
.LBB308_180:
	s_mov_b64 s[10:11], 0
.LBB308_181:
	s_and_b64 vcc, exec, s[10:11]
	s_cbranch_vccz .LBB308_184
; %bb.182:
	s_cmp_eq_u32 s15, 29
	s_mov_b64 s[6:7], -1
	s_cbranch_scc0 .LBB308_184
; %bb.183:
	s_mov_b32 s6, 0
	v_cndmask_b32_e64 v2, 0, 1, s[4:5]
	v_mov_b32_e32 v3, s6
	global_store_dwordx2 v[0:1], v[2:3], off
	s_mov_b64 s[8:9], -1
	s_mov_b64 s[6:7], 0
.LBB308_184:
	s_mov_b64 s[10:11], 0
.LBB308_185:
	s_and_b64 vcc, exec, s[10:11]
	s_cbranch_vccz .LBB308_201
; %bb.186:
	s_cmp_lt_i32 s15, 27
	s_mov_b64 s[8:9], -1
	s_cbranch_scc1 .LBB308_192
; %bb.187:
	s_cmp_gt_i32 s15, 27
	s_cbranch_scc0 .LBB308_189
; %bb.188:
	v_cndmask_b32_e64 v2, 0, 1, s[4:5]
	s_mov_b64 s[8:9], 0
	global_store_dword v[0:1], v2, off
.LBB308_189:
	s_andn2_b64 vcc, exec, s[8:9]
	s_cbranch_vccnz .LBB308_191
; %bb.190:
	v_cndmask_b32_e64 v2, 0, 1, s[4:5]
	global_store_short v[0:1], v2, off
.LBB308_191:
	s_mov_b64 s[8:9], 0
.LBB308_192:
	s_andn2_b64 vcc, exec, s[8:9]
	s_cbranch_vccnz .LBB308_200
; %bb.193:
	v_cndmask_b32_e64 v3, 0, 1.0, s[4:5]
	s_mov_b32 s8, 0x43800000
	v_cmp_gt_u32_e32 vcc, s8, v3
	v_mov_b32_e32 v4, 0x80
	s_and_saveexec_b64 s[8:9], vcc
	s_cbranch_execz .LBB308_199
; %bb.194:
	s_mov_b32 s10, 0x3bffffff
	v_cmp_lt_u32_e32 vcc, s10, v3
	s_mov_b64 s[10:11], 0
                                        ; implicit-def: $vgpr2
	s_and_saveexec_b64 s[12:13], vcc
	s_xor_b64 s[12:13], exec, s[12:13]
	s_cbranch_execz .LBB308_311
; %bb.195:
	v_bfe_u32 v2, v3, 20, 1
	s_mov_b32 s16, 0x487ffff
	v_add3_u32 v2, v3, v2, s16
	s_mov_b64 s[10:11], exec
	v_lshrrev_b32_e32 v2, 20, v2
                                        ; implicit-def: $vgpr3
	s_andn2_saveexec_b64 s[12:13], s[12:13]
	s_cbranch_execnz .LBB308_312
.LBB308_196:
	s_or_b64 exec, exec, s[12:13]
	v_mov_b32_e32 v4, 0
	s_and_saveexec_b64 s[12:13], s[10:11]
.LBB308_197:
	v_mov_b32_e32 v4, v2
.LBB308_198:
	s_or_b64 exec, exec, s[12:13]
.LBB308_199:
	s_or_b64 exec, exec, s[8:9]
	global_store_byte v[0:1], v4, off
.LBB308_200:
	s_mov_b64 s[8:9], -1
.LBB308_201:
	s_mov_b64 s[10:11], 0
.LBB308_202:
	s_and_b64 vcc, exec, s[10:11]
	s_cbranch_vccz .LBB308_243
; %bb.203:
	s_cmp_gt_i32 s15, 22
	s_mov_b64 s[10:11], -1
	s_cbranch_scc0 .LBB308_235
; %bb.204:
	s_cmp_lt_i32 s15, 24
	s_mov_b64 s[8:9], -1
	s_cbranch_scc1 .LBB308_224
; %bb.205:
	s_cmp_gt_i32 s15, 24
	s_cbranch_scc0 .LBB308_213
; %bb.206:
	v_cndmask_b32_e64 v3, 0, 1.0, s[4:5]
	s_mov_b32 s8, 0x47800000
	v_cmp_gt_u32_e32 vcc, s8, v3
	v_mov_b32_e32 v4, 0x80
	s_and_saveexec_b64 s[8:9], vcc
	s_cbranch_execz .LBB308_212
; %bb.207:
	s_mov_b32 s10, 0x37ffffff
	v_cmp_lt_u32_e32 vcc, s10, v3
	s_mov_b64 s[10:11], 0
                                        ; implicit-def: $vgpr2
	s_and_saveexec_b64 s[12:13], vcc
	s_xor_b64 s[12:13], exec, s[12:13]
	s_cbranch_execz .LBB308_314
; %bb.208:
	v_bfe_u32 v2, v3, 21, 1
	s_mov_b32 s16, 0x88fffff
	v_add3_u32 v2, v3, v2, s16
	s_mov_b64 s[10:11], exec
	v_lshrrev_b32_e32 v2, 21, v2
                                        ; implicit-def: $vgpr3
	s_andn2_saveexec_b64 s[12:13], s[12:13]
	s_cbranch_execnz .LBB308_315
.LBB308_209:
	s_or_b64 exec, exec, s[12:13]
	v_mov_b32_e32 v4, 0
	s_and_saveexec_b64 s[12:13], s[10:11]
.LBB308_210:
	v_mov_b32_e32 v4, v2
.LBB308_211:
	s_or_b64 exec, exec, s[12:13]
.LBB308_212:
	s_or_b64 exec, exec, s[8:9]
	s_mov_b64 s[8:9], 0
	global_store_byte v[0:1], v4, off
.LBB308_213:
	s_and_b64 vcc, exec, s[8:9]
	s_cbranch_vccz .LBB308_223
; %bb.214:
	v_cndmask_b32_e64 v2, 0, 1.0, s[4:5]
	s_mov_b32 s8, 0x43f00000
	v_cmp_gt_u32_e32 vcc, s8, v2
                                        ; implicit-def: $vgpr3
	s_and_saveexec_b64 s[8:9], vcc
	s_xor_b64 s[8:9], exec, s[8:9]
	s_cbranch_execz .LBB308_220
; %bb.215:
	s_mov_b32 s10, 0x3c7fffff
	v_cmp_lt_u32_e32 vcc, s10, v2
                                        ; implicit-def: $vgpr3
	s_and_saveexec_b64 s[10:11], vcc
	s_xor_b64 s[10:11], exec, s[10:11]
; %bb.216:
	v_bfe_u32 v3, v2, 20, 1
	s_mov_b32 s12, 0x407ffff
	v_add3_u32 v2, v2, v3, s12
	v_lshrrev_b32_e32 v3, 20, v2
	v_and_b32_e32 v2, 0xff00000, v2
	s_mov_b32 s12, 0x7f00000
	v_mov_b32_e32 v4, 0x7e
	v_cmp_ne_u32_e32 vcc, s12, v2
	v_cndmask_b32_e32 v3, v4, v3, vcc
                                        ; implicit-def: $vgpr2
; %bb.217:
	s_andn2_saveexec_b64 s[10:11], s[10:11]
; %bb.218:
	v_add_f32_e32 v3, 0x46800000, v2
; %bb.219:
	s_or_b64 exec, exec, s[10:11]
                                        ; implicit-def: $vgpr2
.LBB308_220:
	s_andn2_saveexec_b64 s[8:9], s[8:9]
; %bb.221:
	s_mov_b32 s10, 0x7f800000
	v_mov_b32_e32 v3, 0x7e
	v_mov_b32_e32 v4, 0x7f
	v_cmp_lt_u32_e32 vcc, s10, v2
	v_cndmask_b32_e32 v3, v3, v4, vcc
; %bb.222:
	s_or_b64 exec, exec, s[8:9]
	global_store_byte v[0:1], v3, off
.LBB308_223:
	s_mov_b64 s[8:9], 0
.LBB308_224:
	s_andn2_b64 vcc, exec, s[8:9]
	s_cbranch_vccnz .LBB308_234
; %bb.225:
	v_cndmask_b32_e64 v2, 0, 1.0, s[4:5]
	s_mov_b32 s8, 0x47800000
	v_cmp_gt_u32_e32 vcc, s8, v2
                                        ; implicit-def: $vgpr3
	s_and_saveexec_b64 s[8:9], vcc
	s_xor_b64 s[8:9], exec, s[8:9]
	s_cbranch_execz .LBB308_231
; %bb.226:
	s_mov_b32 s10, 0x387fffff
	v_cmp_lt_u32_e32 vcc, s10, v2
                                        ; implicit-def: $vgpr3
	s_and_saveexec_b64 s[10:11], vcc
	s_xor_b64 s[10:11], exec, s[10:11]
; %bb.227:
	v_bfe_u32 v3, v2, 21, 1
	s_mov_b32 s12, 0x80fffff
	v_add3_u32 v2, v2, v3, s12
	v_lshrrev_b32_e32 v3, 21, v2
                                        ; implicit-def: $vgpr2
; %bb.228:
	s_andn2_saveexec_b64 s[10:11], s[10:11]
; %bb.229:
	v_add_f32_e32 v3, 0x43000000, v2
; %bb.230:
	s_or_b64 exec, exec, s[10:11]
                                        ; implicit-def: $vgpr2
.LBB308_231:
	s_andn2_saveexec_b64 s[8:9], s[8:9]
; %bb.232:
	s_mov_b32 s10, 0x7f800000
	v_mov_b32_e32 v3, 0x7c
	v_mov_b32_e32 v4, 0x7f
	v_cmp_lt_u32_e32 vcc, s10, v2
	v_cndmask_b32_e32 v3, v3, v4, vcc
; %bb.233:
	s_or_b64 exec, exec, s[8:9]
	global_store_byte v[0:1], v3, off
.LBB308_234:
	s_mov_b64 s[10:11], 0
	s_mov_b64 s[8:9], -1
.LBB308_235:
	s_andn2_b64 vcc, exec, s[10:11]
	s_cbranch_vccnz .LBB308_243
; %bb.236:
	s_cmp_gt_i32 s15, 14
	s_mov_b64 s[10:11], -1
	s_cbranch_scc0 .LBB308_240
; %bb.237:
	s_cmp_eq_u32 s15, 15
	s_mov_b64 s[6:7], -1
	s_cbranch_scc0 .LBB308_239
; %bb.238:
	v_cndmask_b32_e64 v2, 0, 1.0, s[4:5]
	v_bfe_u32 v3, v2, 16, 1
	s_movk_i32 s6, 0x7fff
	v_add3_u32 v2, v2, v3, s6
	global_store_short_d16_hi v[0:1], v2, off
	s_mov_b64 s[8:9], -1
	s_mov_b64 s[6:7], 0
.LBB308_239:
	s_mov_b64 s[10:11], 0
.LBB308_240:
	s_and_b64 vcc, exec, s[10:11]
	s_cbranch_vccz .LBB308_243
; %bb.241:
	s_cmp_eq_u32 s15, 11
	s_mov_b64 s[6:7], -1
	s_cbranch_scc0 .LBB308_243
; %bb.242:
	v_cndmask_b32_e64 v2, 0, 1, s[4:5]
	s_mov_b64 s[8:9], -1
	s_mov_b64 s[6:7], 0
	global_store_byte v[0:1], v2, off
.LBB308_243:
	s_branch .LBB308_165
.LBB308_244:
	s_and_b32 s10, 0xffff, s14
	s_cmp_lt_i32 s10, 5
	s_mov_b64 s[8:9], -1
	s_cbranch_scc1 .LBB308_265
; %bb.245:
	s_cmp_lt_i32 s10, 8
	s_cbranch_scc1 .LBB308_255
; %bb.246:
	s_cmp_lt_i32 s10, 9
	s_cbranch_scc1 .LBB308_252
; %bb.247:
	s_cmp_gt_i32 s10, 9
	s_cbranch_scc0 .LBB308_249
; %bb.248:
	v_cndmask_b32_e64 v2, 0, 1, s[4:5]
	v_cvt_f64_u32_e32 v[2:3], v2
	v_mov_b32_e32 v4, 0
	v_mov_b32_e32 v5, v4
	s_mov_b64 s[8:9], 0
	global_store_dwordx4 v[0:1], v[2:5], off
.LBB308_249:
	s_andn2_b64 vcc, exec, s[8:9]
	s_cbranch_vccnz .LBB308_251
; %bb.250:
	v_cndmask_b32_e64 v2, 0, 1.0, s[4:5]
	v_mov_b32_e32 v3, 0
	global_store_dwordx2 v[0:1], v[2:3], off
.LBB308_251:
	s_mov_b64 s[8:9], 0
.LBB308_252:
	s_andn2_b64 vcc, exec, s[8:9]
	s_cbranch_vccnz .LBB308_254
; %bb.253:
	v_cndmask_b32_e64 v2, 0, 1.0, s[4:5]
	v_cvt_f16_f32_e32 v2, v2
	global_store_dword v[0:1], v2, off
.LBB308_254:
	s_mov_b64 s[8:9], 0
.LBB308_255:
	s_andn2_b64 vcc, exec, s[8:9]
	s_cbranch_vccnz .LBB308_264
; %bb.256:
	s_cmp_lt_i32 s10, 6
	s_mov_b64 s[8:9], -1
	s_cbranch_scc1 .LBB308_262
; %bb.257:
	s_cmp_gt_i32 s10, 6
	s_cbranch_scc0 .LBB308_259
; %bb.258:
	v_cndmask_b32_e64 v2, 0, 1, s[4:5]
	v_cvt_f64_u32_e32 v[2:3], v2
	s_mov_b64 s[8:9], 0
	global_store_dwordx2 v[0:1], v[2:3], off
.LBB308_259:
	s_andn2_b64 vcc, exec, s[8:9]
	s_cbranch_vccnz .LBB308_261
; %bb.260:
	v_cndmask_b32_e64 v2, 0, 1.0, s[4:5]
	global_store_dword v[0:1], v2, off
.LBB308_261:
	s_mov_b64 s[8:9], 0
.LBB308_262:
	s_andn2_b64 vcc, exec, s[8:9]
	s_cbranch_vccnz .LBB308_264
; %bb.263:
	v_cndmask_b32_e64 v2, 0, 1.0, s[4:5]
	v_cvt_f16_f32_e32 v2, v2
	global_store_short v[0:1], v2, off
.LBB308_264:
	s_mov_b64 s[8:9], 0
.LBB308_265:
	s_andn2_b64 vcc, exec, s[8:9]
	s_cbranch_vccnz .LBB308_281
; %bb.266:
	s_cmp_lt_i32 s10, 2
	s_mov_b64 s[8:9], -1
	s_cbranch_scc1 .LBB308_276
; %bb.267:
	s_cmp_lt_i32 s10, 3
	s_cbranch_scc1 .LBB308_273
; %bb.268:
	s_cmp_gt_i32 s10, 3
	s_cbranch_scc0 .LBB308_270
; %bb.269:
	s_mov_b32 s8, 0
	v_cndmask_b32_e64 v2, 0, 1, s[4:5]
	v_mov_b32_e32 v3, s8
	s_mov_b64 s[8:9], 0
	global_store_dwordx2 v[0:1], v[2:3], off
.LBB308_270:
	s_andn2_b64 vcc, exec, s[8:9]
	s_cbranch_vccnz .LBB308_272
; %bb.271:
	v_cndmask_b32_e64 v2, 0, 1, s[4:5]
	global_store_dword v[0:1], v2, off
.LBB308_272:
	s_mov_b64 s[8:9], 0
.LBB308_273:
	s_andn2_b64 vcc, exec, s[8:9]
	s_cbranch_vccnz .LBB308_275
; %bb.274:
	v_cndmask_b32_e64 v2, 0, 1, s[4:5]
	global_store_short v[0:1], v2, off
.LBB308_275:
	s_mov_b64 s[8:9], 0
.LBB308_276:
	s_andn2_b64 vcc, exec, s[8:9]
	s_cbranch_vccnz .LBB308_281
; %bb.277:
	s_cmp_gt_i32 s10, 0
	s_mov_b64 s[8:9], -1
	s_cbranch_scc0 .LBB308_279
; %bb.278:
	v_cndmask_b32_e64 v2, 0, 1, s[4:5]
	s_mov_b64 s[8:9], 0
	global_store_byte v[0:1], v2, off
.LBB308_279:
	s_andn2_b64 vcc, exec, s[8:9]
	s_cbranch_vccnz .LBB308_281
; %bb.280:
	v_cndmask_b32_e64 v2, 0, 1, s[4:5]
	global_store_byte v[0:1], v2, off
.LBB308_281:
	s_branch .LBB308_166
.LBB308_282:
	s_mov_b64 s[4:5], 0
                                        ; implicit-def: $vgpr12
.LBB308_283:
	s_andn2_b64 s[8:9], s[66:67], exec
	s_and_b64 s[6:7], s[6:7], exec
	s_or_b64 s[70:71], s[8:9], s[6:7]
	s_orn2_b64 s[10:11], s[4:5], exec
.LBB308_284:
	s_or_b64 exec, exec, s[72:73]
	s_mov_b64 s[4:5], 0
	s_mov_b64 s[8:9], 0
                                        ; implicit-def: $sgpr6_sgpr7
                                        ; implicit-def: $sgpr16
                                        ; implicit-def: $vgpr0_vgpr1
	s_and_saveexec_b64 s[72:73], s[10:11]
	s_cbranch_execz .LBB308_525
; %bb.285:
	v_cmp_gt_i32_e32 vcc, s78, v12
	s_mov_b64 s[8:9], -1
	s_mov_b64 s[76:77], s[70:71]
	s_and_saveexec_b64 s[74:75], vcc
	s_cbranch_execz .LBB308_429
; %bb.286:
	s_andn2_b64 vcc, exec, s[52:53]
	s_cbranch_vccnz .LBB308_291
; %bb.287:
	s_andn2_b64 vcc, exec, s[64:65]
	s_cbranch_vccnz .LBB308_292
; %bb.288:
	s_add_i32 s29, s83, 1
	s_cmp_eq_u32 s80, 2
	s_cbranch_scc1 .LBB308_293
; %bb.289:
	s_and_b32 s28, s29, 28
	v_mov_b32_e32 v4, 0
	s_mov_b32 s30, 0
	s_mov_b64 s[24:25], s[48:49]
	s_mov_b64 s[26:27], s[62:63]
	v_mov_b32_e32 v10, 0
	v_mov_b32_e32 v0, v12
.LBB308_290:                            ; =>This Inner Loop Header: Depth=1
	s_load_dwordx8 s[12:19], s[24:25], 0x4
	s_load_dwordx4 s[20:23], s[24:25], 0x24
	s_load_dwordx8 s[4:11], s[26:27], 0x0
	s_add_u32 s24, s24, 48
	s_addc_u32 s25, s25, 0
	s_waitcnt lgkmcnt(0)
	v_mul_hi_u32 v1, s13, v0
	s_add_i32 s30, s30, 4
	s_add_u32 s26, s26, 32
	s_addc_u32 s27, s27, 0
	v_add_u32_e32 v1, v0, v1
	v_lshrrev_b32_e32 v1, s14, v1
	v_mul_lo_u32 v2, v1, s12
	v_mul_hi_u32 v3, s16, v1
	s_cmp_eq_u32 s28, s30
	v_sub_u32_e32 v0, v0, v2
	v_add_u32_e32 v2, v1, v3
	v_mul_lo_u32 v3, v0, s4
	v_mul_lo_u32 v5, v0, s5
	v_lshrrev_b32_e32 v0, s17, v2
	v_mul_lo_u32 v2, v0, s15
	v_mul_hi_u32 v6, s19, v0
	v_sub_u32_e32 v1, v1, v2
	v_add_u32_e32 v2, v0, v6
	v_lshrrev_b32_e32 v2, s20, v2
	v_mul_hi_u32 v7, s22, v2
	v_mul_lo_u32 v8, v2, s18
	v_mul_lo_u32 v6, v1, s6
	;; [unrolled: 1-line block ×3, first 2 shown]
	v_sub_u32_e32 v8, v0, v8
	v_add_u32_e32 v0, v2, v7
	v_lshrrev_b32_e32 v0, s23, v0
	v_mul_lo_u32 v7, v0, s21
	v_mul_lo_u32 v9, v8, s8
	;; [unrolled: 1-line block ×3, first 2 shown]
	v_add3_u32 v3, v3, v10, v6
	v_sub_u32_e32 v2, v2, v7
	v_mul_lo_u32 v7, v2, s10
	v_mul_lo_u32 v2, v2, s11
	v_add3_u32 v1, v5, v4, v1
	v_add3_u32 v10, v9, v3, v7
	;; [unrolled: 1-line block ×3, first 2 shown]
	s_cbranch_scc0 .LBB308_290
	s_branch .LBB308_294
.LBB308_291:
	s_mov_b64 s[4:5], -1
                                        ; implicit-def: $vgpr10
                                        ; implicit-def: $vgpr4
	s_branch .LBB308_298
.LBB308_292:
	v_mov_b32_e32 v10, 0
	v_mov_b32_e32 v4, 0
	s_branch .LBB308_297
.LBB308_293:
	s_mov_b32 s28, 0
	v_mov_b32_e32 v10, 0
	v_mov_b32_e32 v4, 0
	;; [unrolled: 1-line block ×3, first 2 shown]
.LBB308_294:
	s_and_b32 s8, s29, 3
	s_cmp_eq_u32 s8, 0
	s_cbranch_scc1 .LBB308_297
; %bb.295:
	s_lshl_b32 s4, s28, 3
	s_add_u32 s4, s48, s4
	s_addc_u32 s5, s49, 0
	s_add_u32 s4, s4, 0xc4
	s_addc_u32 s5, s5, 0
	s_mul_i32 s6, s28, 12
	s_add_u32 s6, s48, s6
	s_addc_u32 s7, s49, 0
.LBB308_296:                            ; =>This Inner Loop Header: Depth=1
	s_load_dwordx2 s[10:11], s[6:7], 0x4
	s_load_dword s9, s[6:7], 0xc
	s_load_dwordx2 s[12:13], s[4:5], 0x0
	s_add_u32 s6, s6, 12
	s_addc_u32 s7, s7, 0
	s_waitcnt lgkmcnt(0)
	v_mul_hi_u32 v1, s11, v0
	s_add_u32 s4, s4, 8
	s_addc_u32 s5, s5, 0
	s_add_i32 s8, s8, -1
	v_add_u32_e32 v1, v0, v1
	v_lshrrev_b32_e32 v1, s9, v1
	v_mul_lo_u32 v2, v1, s10
	s_cmp_lg_u32 s8, 0
	v_sub_u32_e32 v0, v0, v2
	v_mad_u64_u32 v[10:11], s[10:11], v0, s12, v[10:11]
	v_mad_u64_u32 v[4:5], s[10:11], v0, s13, v[4:5]
	v_mov_b32_e32 v0, v1
	s_cbranch_scc1 .LBB308_296
.LBB308_297:
	s_mov_b64 s[4:5], 0
.LBB308_298:
	s_andn2_b64 vcc, exec, s[4:5]
	s_cbranch_vccnz .LBB308_301
; %bb.299:
	v_mul_hi_u32 v0, s41, v12
	s_andn2_b64 vcc, exec, s[60:61]
	v_add_u32_e32 v0, v12, v0
	v_lshrrev_b32_e32 v0, s42, v0
	v_mul_lo_u32 v1, v0, s40
	v_sub_u32_e32 v1, v12, v1
	v_mul_lo_u32 v10, v1, s44
	v_mul_lo_u32 v4, v1, s45
	s_cbranch_vccnz .LBB308_301
; %bb.300:
	v_mul_hi_u32 v1, s58, v0
	v_add_u32_e32 v1, v0, v1
	v_lshrrev_b32_e32 v1, s59, v1
	v_mul_lo_u32 v1, v1, s43
	v_sub_u32_e32 v0, v0, v1
	v_mad_u64_u32 v[10:11], s[4:5], v0, s46, v[10:11]
	v_mad_u64_u32 v[4:5], s[4:5], v0, s47, v[4:5]
.LBB308_301:
	s_getpc_b64 s[4:5]
	s_add_u32 s4, s4, _ZN2at6native6invokeINS0_13AUnaryFunctorIN3c1015Float8_e4m3fnuzES4_bNS0_12_GLOBAL__N_116CompareEqFunctorIS4_EEEEj15function_traitsIS8_EEENT1_11result_typeERKT_PrKPcPKT0_PKNS3_10ScalarTypeEi@rel32@lo+4
	s_addc_u32 s5, s5, _ZN2at6native6invokeINS0_13AUnaryFunctorIN3c1015Float8_e4m3fnuzES4_bNS0_12_GLOBAL__N_116CompareEqFunctorIS4_EEEEj15function_traitsIS8_EEENT1_11result_typeERKT_PrKPcPKT0_PKNS3_10ScalarTypeEi@rel32@hi+12
	v_mov_b32_e32 v0, s56
	v_mov_b32_e32 v1, s57
	;; [unrolled: 1-line block ×5, first 2 shown]
	s_swappc_b64 s[30:31], s[4:5]
	v_and_b32_e32 v0, 1, v0
	v_cmp_eq_u32_e64 s[4:5], 1, v0
	v_mov_b32_e32 v1, s37
	s_and_b32 s14, s81, 0xff
	v_add_co_u32_e32 v0, vcc, s36, v10
	s_cmp_lt_i32 s14, 11
	v_addc_co_u32_e32 v1, vcc, 0, v1, vcc
	s_cbranch_scc1 .LBB308_308
; %bb.302:
	s_and_b32 s15, 0xffff, s14
	s_cmp_gt_i32 s15, 25
	s_cbranch_scc0 .LBB308_309
; %bb.303:
	s_cmp_gt_i32 s15, 28
	s_cbranch_scc0 .LBB308_310
; %bb.304:
	;; [unrolled: 3-line block ×4, first 2 shown]
	s_mov_b64 s[10:11], 0
	s_mov_b64 s[6:7], -1
	s_cmp_eq_u32 s15, 46
	s_mov_b64 s[8:9], 0
	s_cbranch_scc0 .LBB308_317
; %bb.307:
	v_cndmask_b32_e64 v2, 0, 1.0, s[4:5]
	v_bfe_u32 v3, v2, 16, 1
	s_movk_i32 s6, 0x7fff
	v_add3_u32 v2, v2, v3, s6
	v_lshrrev_b32_e32 v2, 16, v2
	global_store_dword v[0:1], v2, off
	s_mov_b64 s[8:9], -1
	s_mov_b64 s[6:7], 0
	s_branch .LBB308_317
.LBB308_308:
	s_mov_b64 s[10:11], -1
	s_mov_b64 s[8:9], 0
	s_mov_b64 s[6:7], s[70:71]
	s_branch .LBB308_386
.LBB308_309:
	s_mov_b64 s[10:11], -1
	s_mov_b64 s[8:9], 0
	s_mov_b64 s[6:7], s[70:71]
	s_branch .LBB308_344
.LBB308_310:
	s_mov_b64 s[10:11], -1
	s_mov_b64 s[8:9], 0
	s_mov_b64 s[6:7], s[70:71]
	s_branch .LBB308_327
.LBB308_311:
	s_andn2_saveexec_b64 s[12:13], s[12:13]
	s_cbranch_execz .LBB308_196
.LBB308_312:
	v_add_f32_e32 v2, 0x46000000, v3
	v_and_b32_e32 v2, 0xff, v2
	v_cmp_ne_u32_e32 vcc, 0, v2
	s_andn2_b64 s[10:11], s[10:11], exec
	s_and_b64 s[16:17], vcc, exec
	s_or_b64 s[10:11], s[10:11], s[16:17]
	s_or_b64 exec, exec, s[12:13]
	v_mov_b32_e32 v4, 0
	s_and_saveexec_b64 s[12:13], s[10:11]
	s_cbranch_execnz .LBB308_197
	s_branch .LBB308_198
.LBB308_313:
	s_mov_b64 s[10:11], -1
	s_mov_b64 s[8:9], 0
	s_mov_b64 s[6:7], s[70:71]
	s_branch .LBB308_323
.LBB308_314:
	s_andn2_saveexec_b64 s[12:13], s[12:13]
	s_cbranch_execz .LBB308_209
.LBB308_315:
	v_add_f32_e32 v2, 0x42800000, v3
	v_and_b32_e32 v2, 0xff, v2
	v_cmp_ne_u32_e32 vcc, 0, v2
	s_andn2_b64 s[10:11], s[10:11], exec
	s_and_b64 s[16:17], vcc, exec
	s_or_b64 s[10:11], s[10:11], s[16:17]
	s_or_b64 exec, exec, s[12:13]
	v_mov_b32_e32 v4, 0
	s_and_saveexec_b64 s[12:13], s[10:11]
	s_cbranch_execnz .LBB308_210
	s_branch .LBB308_211
.LBB308_316:
	s_mov_b64 s[10:11], -1
	s_mov_b64 s[8:9], 0
	s_mov_b64 s[6:7], s[70:71]
.LBB308_317:
	s_and_b64 vcc, exec, s[10:11]
	s_cbranch_vccz .LBB308_322
; %bb.318:
	s_cmp_eq_u32 s15, 44
	s_mov_b64 s[6:7], -1
	s_cbranch_scc0 .LBB308_322
; %bb.319:
	v_cndmask_b32_e64 v3, 0, 1.0, s[4:5]
	v_lshrrev_b32_e32 v2, 23, v3
	s_movk_i32 s6, 0xff
	v_cmp_ne_u32_e32 vcc, s6, v2
	v_mov_b32_e32 v4, 0xff
	s_and_saveexec_b64 s[8:9], vcc
; %bb.320:
	s_mov_b32 s6, 0x3fffff
	v_and_b32_e32 v4, 0x400000, v3
	v_and_or_b32 v3, v3, s6, v2
	v_cmp_ne_u32_e32 vcc, 0, v4
	v_cmp_ne_u32_e64 s[6:7], 0, v3
	s_and_b64 s[6:7], vcc, s[6:7]
	v_cndmask_b32_e64 v3, 0, 1, s[6:7]
	v_add_u32_e32 v4, v2, v3
; %bb.321:
	s_or_b64 exec, exec, s[8:9]
	s_mov_b64 s[8:9], -1
	s_mov_b64 s[6:7], 0
	global_store_byte v[0:1], v4, off
.LBB308_322:
	s_mov_b64 s[10:11], 0
.LBB308_323:
	s_and_b64 vcc, exec, s[10:11]
	s_cbranch_vccz .LBB308_326
; %bb.324:
	s_cmp_eq_u32 s15, 29
	s_mov_b64 s[6:7], -1
	s_cbranch_scc0 .LBB308_326
; %bb.325:
	s_mov_b32 s6, 0
	v_cndmask_b32_e64 v2, 0, 1, s[4:5]
	v_mov_b32_e32 v3, s6
	global_store_dwordx2 v[0:1], v[2:3], off
	s_mov_b64 s[8:9], -1
	s_mov_b64 s[6:7], 0
.LBB308_326:
	s_mov_b64 s[10:11], 0
.LBB308_327:
	s_and_b64 vcc, exec, s[10:11]
	s_cbranch_vccz .LBB308_343
; %bb.328:
	s_cmp_lt_i32 s15, 27
	s_mov_b64 s[8:9], -1
	s_cbranch_scc1 .LBB308_334
; %bb.329:
	s_cmp_gt_i32 s15, 27
	s_cbranch_scc0 .LBB308_331
; %bb.330:
	v_cndmask_b32_e64 v2, 0, 1, s[4:5]
	s_mov_b64 s[8:9], 0
	global_store_dword v[0:1], v2, off
.LBB308_331:
	s_andn2_b64 vcc, exec, s[8:9]
	s_cbranch_vccnz .LBB308_333
; %bb.332:
	v_cndmask_b32_e64 v2, 0, 1, s[4:5]
	global_store_short v[0:1], v2, off
.LBB308_333:
	s_mov_b64 s[8:9], 0
.LBB308_334:
	s_andn2_b64 vcc, exec, s[8:9]
	s_cbranch_vccnz .LBB308_342
; %bb.335:
	v_cndmask_b32_e64 v3, 0, 1.0, s[4:5]
	s_mov_b32 s8, 0x43800000
	v_cmp_gt_u32_e32 vcc, s8, v3
	v_mov_b32_e32 v4, 0x80
	s_and_saveexec_b64 s[8:9], vcc
	s_cbranch_execz .LBB308_341
; %bb.336:
	s_mov_b32 s10, 0x3bffffff
	v_cmp_lt_u32_e32 vcc, s10, v3
	s_mov_b64 s[10:11], 0
                                        ; implicit-def: $vgpr2
	s_and_saveexec_b64 s[12:13], vcc
	s_xor_b64 s[12:13], exec, s[12:13]
	s_cbranch_execz .LBB308_1112
; %bb.337:
	v_bfe_u32 v2, v3, 20, 1
	s_mov_b32 s16, 0x487ffff
	v_add3_u32 v2, v3, v2, s16
	s_mov_b64 s[10:11], exec
	v_lshrrev_b32_e32 v2, 20, v2
                                        ; implicit-def: $vgpr3
	s_andn2_saveexec_b64 s[12:13], s[12:13]
	s_cbranch_execnz .LBB308_1113
.LBB308_338:
	s_or_b64 exec, exec, s[12:13]
	v_mov_b32_e32 v4, 0
	s_and_saveexec_b64 s[12:13], s[10:11]
.LBB308_339:
	v_mov_b32_e32 v4, v2
.LBB308_340:
	s_or_b64 exec, exec, s[12:13]
.LBB308_341:
	s_or_b64 exec, exec, s[8:9]
	global_store_byte v[0:1], v4, off
.LBB308_342:
	s_mov_b64 s[8:9], -1
.LBB308_343:
	s_mov_b64 s[10:11], 0
.LBB308_344:
	s_and_b64 vcc, exec, s[10:11]
	s_cbranch_vccz .LBB308_385
; %bb.345:
	s_cmp_gt_i32 s15, 22
	s_mov_b64 s[10:11], -1
	s_cbranch_scc0 .LBB308_377
; %bb.346:
	s_cmp_lt_i32 s15, 24
	s_mov_b64 s[8:9], -1
	s_cbranch_scc1 .LBB308_366
; %bb.347:
	s_cmp_gt_i32 s15, 24
	s_cbranch_scc0 .LBB308_355
; %bb.348:
	v_cndmask_b32_e64 v3, 0, 1.0, s[4:5]
	s_mov_b32 s8, 0x47800000
	v_cmp_gt_u32_e32 vcc, s8, v3
	v_mov_b32_e32 v4, 0x80
	s_and_saveexec_b64 s[8:9], vcc
	s_cbranch_execz .LBB308_354
; %bb.349:
	s_mov_b32 s10, 0x37ffffff
	v_cmp_lt_u32_e32 vcc, s10, v3
	s_mov_b64 s[10:11], 0
                                        ; implicit-def: $vgpr2
	s_and_saveexec_b64 s[12:13], vcc
	s_xor_b64 s[12:13], exec, s[12:13]
	s_cbranch_execz .LBB308_1119
; %bb.350:
	v_bfe_u32 v2, v3, 21, 1
	s_mov_b32 s16, 0x88fffff
	v_add3_u32 v2, v3, v2, s16
	s_mov_b64 s[10:11], exec
	v_lshrrev_b32_e32 v2, 21, v2
                                        ; implicit-def: $vgpr3
	s_andn2_saveexec_b64 s[12:13], s[12:13]
	s_cbranch_execnz .LBB308_1120
.LBB308_351:
	s_or_b64 exec, exec, s[12:13]
	v_mov_b32_e32 v4, 0
	s_and_saveexec_b64 s[12:13], s[10:11]
.LBB308_352:
	v_mov_b32_e32 v4, v2
.LBB308_353:
	s_or_b64 exec, exec, s[12:13]
.LBB308_354:
	s_or_b64 exec, exec, s[8:9]
	s_mov_b64 s[8:9], 0
	global_store_byte v[0:1], v4, off
.LBB308_355:
	s_and_b64 vcc, exec, s[8:9]
	s_cbranch_vccz .LBB308_365
; %bb.356:
	v_cndmask_b32_e64 v2, 0, 1.0, s[4:5]
	s_mov_b32 s8, 0x43f00000
	v_cmp_gt_u32_e32 vcc, s8, v2
                                        ; implicit-def: $vgpr3
	s_and_saveexec_b64 s[8:9], vcc
	s_xor_b64 s[8:9], exec, s[8:9]
	s_cbranch_execz .LBB308_362
; %bb.357:
	s_mov_b32 s10, 0x3c7fffff
	v_cmp_lt_u32_e32 vcc, s10, v2
                                        ; implicit-def: $vgpr3
	s_and_saveexec_b64 s[10:11], vcc
	s_xor_b64 s[10:11], exec, s[10:11]
; %bb.358:
	v_bfe_u32 v3, v2, 20, 1
	s_mov_b32 s12, 0x407ffff
	v_add3_u32 v2, v2, v3, s12
	v_lshrrev_b32_e32 v3, 20, v2
	v_and_b32_e32 v2, 0xff00000, v2
	s_mov_b32 s12, 0x7f00000
	v_mov_b32_e32 v4, 0x7e
	v_cmp_ne_u32_e32 vcc, s12, v2
	v_cndmask_b32_e32 v3, v4, v3, vcc
                                        ; implicit-def: $vgpr2
; %bb.359:
	s_andn2_saveexec_b64 s[10:11], s[10:11]
; %bb.360:
	v_add_f32_e32 v3, 0x46800000, v2
; %bb.361:
	s_or_b64 exec, exec, s[10:11]
                                        ; implicit-def: $vgpr2
.LBB308_362:
	s_andn2_saveexec_b64 s[8:9], s[8:9]
; %bb.363:
	s_mov_b32 s10, 0x7f800000
	v_mov_b32_e32 v3, 0x7e
	v_mov_b32_e32 v4, 0x7f
	v_cmp_lt_u32_e32 vcc, s10, v2
	v_cndmask_b32_e32 v3, v3, v4, vcc
; %bb.364:
	s_or_b64 exec, exec, s[8:9]
	global_store_byte v[0:1], v3, off
.LBB308_365:
	s_mov_b64 s[8:9], 0
.LBB308_366:
	s_andn2_b64 vcc, exec, s[8:9]
	s_cbranch_vccnz .LBB308_376
; %bb.367:
	v_cndmask_b32_e64 v2, 0, 1.0, s[4:5]
	s_mov_b32 s8, 0x47800000
	v_cmp_gt_u32_e32 vcc, s8, v2
                                        ; implicit-def: $vgpr3
	s_and_saveexec_b64 s[8:9], vcc
	s_xor_b64 s[8:9], exec, s[8:9]
	s_cbranch_execz .LBB308_373
; %bb.368:
	s_mov_b32 s10, 0x387fffff
	v_cmp_lt_u32_e32 vcc, s10, v2
                                        ; implicit-def: $vgpr3
	s_and_saveexec_b64 s[10:11], vcc
	s_xor_b64 s[10:11], exec, s[10:11]
; %bb.369:
	v_bfe_u32 v3, v2, 21, 1
	s_mov_b32 s12, 0x80fffff
	v_add3_u32 v2, v2, v3, s12
	v_lshrrev_b32_e32 v3, 21, v2
                                        ; implicit-def: $vgpr2
; %bb.370:
	s_andn2_saveexec_b64 s[10:11], s[10:11]
; %bb.371:
	v_add_f32_e32 v3, 0x43000000, v2
; %bb.372:
	s_or_b64 exec, exec, s[10:11]
                                        ; implicit-def: $vgpr2
.LBB308_373:
	s_andn2_saveexec_b64 s[8:9], s[8:9]
; %bb.374:
	s_mov_b32 s10, 0x7f800000
	v_mov_b32_e32 v3, 0x7c
	v_mov_b32_e32 v4, 0x7f
	v_cmp_lt_u32_e32 vcc, s10, v2
	v_cndmask_b32_e32 v3, v3, v4, vcc
; %bb.375:
	s_or_b64 exec, exec, s[8:9]
	global_store_byte v[0:1], v3, off
.LBB308_376:
	s_mov_b64 s[10:11], 0
	s_mov_b64 s[8:9], -1
.LBB308_377:
	s_andn2_b64 vcc, exec, s[10:11]
	s_cbranch_vccnz .LBB308_385
; %bb.378:
	s_cmp_gt_i32 s15, 14
	s_mov_b64 s[10:11], -1
	s_cbranch_scc0 .LBB308_382
; %bb.379:
	s_cmp_eq_u32 s15, 15
	s_mov_b64 s[6:7], -1
	s_cbranch_scc0 .LBB308_381
; %bb.380:
	v_cndmask_b32_e64 v2, 0, 1.0, s[4:5]
	v_bfe_u32 v3, v2, 16, 1
	s_movk_i32 s6, 0x7fff
	v_add3_u32 v2, v2, v3, s6
	global_store_short_d16_hi v[0:1], v2, off
	s_mov_b64 s[8:9], -1
	s_mov_b64 s[6:7], 0
.LBB308_381:
	s_mov_b64 s[10:11], 0
.LBB308_382:
	s_and_b64 vcc, exec, s[10:11]
	s_cbranch_vccz .LBB308_385
; %bb.383:
	s_cmp_eq_u32 s15, 11
	s_mov_b64 s[6:7], -1
	s_cbranch_scc0 .LBB308_385
; %bb.384:
	v_cndmask_b32_e64 v2, 0, 1, s[4:5]
	s_mov_b64 s[8:9], -1
	s_mov_b64 s[6:7], 0
	global_store_byte v[0:1], v2, off
.LBB308_385:
	s_mov_b64 s[10:11], 0
.LBB308_386:
	s_and_b64 vcc, exec, s[10:11]
	s_cbranch_vccz .LBB308_425
; %bb.387:
	s_and_b32 s10, 0xffff, s14
	s_cmp_lt_i32 s10, 5
	s_mov_b64 s[8:9], -1
	s_cbranch_scc1 .LBB308_408
; %bb.388:
	s_cmp_lt_i32 s10, 8
	s_cbranch_scc1 .LBB308_398
; %bb.389:
	s_cmp_lt_i32 s10, 9
	s_cbranch_scc1 .LBB308_395
; %bb.390:
	s_cmp_gt_i32 s10, 9
	s_cbranch_scc0 .LBB308_392
; %bb.391:
	v_cndmask_b32_e64 v2, 0, 1, s[4:5]
	v_cvt_f64_u32_e32 v[2:3], v2
	v_mov_b32_e32 v4, 0
	v_mov_b32_e32 v5, v4
	s_mov_b64 s[8:9], 0
	global_store_dwordx4 v[0:1], v[2:5], off
.LBB308_392:
	s_andn2_b64 vcc, exec, s[8:9]
	s_cbranch_vccnz .LBB308_394
; %bb.393:
	v_cndmask_b32_e64 v2, 0, 1.0, s[4:5]
	v_mov_b32_e32 v3, 0
	global_store_dwordx2 v[0:1], v[2:3], off
.LBB308_394:
	s_mov_b64 s[8:9], 0
.LBB308_395:
	s_andn2_b64 vcc, exec, s[8:9]
	s_cbranch_vccnz .LBB308_397
; %bb.396:
	v_cndmask_b32_e64 v2, 0, 1.0, s[4:5]
	v_cvt_f16_f32_e32 v2, v2
	global_store_dword v[0:1], v2, off
.LBB308_397:
	s_mov_b64 s[8:9], 0
.LBB308_398:
	s_andn2_b64 vcc, exec, s[8:9]
	s_cbranch_vccnz .LBB308_407
; %bb.399:
	s_cmp_lt_i32 s10, 6
	s_mov_b64 s[8:9], -1
	s_cbranch_scc1 .LBB308_405
; %bb.400:
	s_cmp_gt_i32 s10, 6
	s_cbranch_scc0 .LBB308_402
; %bb.401:
	v_cndmask_b32_e64 v2, 0, 1, s[4:5]
	v_cvt_f64_u32_e32 v[2:3], v2
	s_mov_b64 s[8:9], 0
	global_store_dwordx2 v[0:1], v[2:3], off
.LBB308_402:
	s_andn2_b64 vcc, exec, s[8:9]
	s_cbranch_vccnz .LBB308_404
; %bb.403:
	v_cndmask_b32_e64 v2, 0, 1.0, s[4:5]
	global_store_dword v[0:1], v2, off
.LBB308_404:
	s_mov_b64 s[8:9], 0
.LBB308_405:
	s_andn2_b64 vcc, exec, s[8:9]
	s_cbranch_vccnz .LBB308_407
; %bb.406:
	v_cndmask_b32_e64 v2, 0, 1.0, s[4:5]
	v_cvt_f16_f32_e32 v2, v2
	global_store_short v[0:1], v2, off
.LBB308_407:
	s_mov_b64 s[8:9], 0
.LBB308_408:
	s_andn2_b64 vcc, exec, s[8:9]
	s_cbranch_vccnz .LBB308_424
; %bb.409:
	s_cmp_lt_i32 s10, 2
	s_mov_b64 s[8:9], -1
	s_cbranch_scc1 .LBB308_419
; %bb.410:
	s_cmp_lt_i32 s10, 3
	s_cbranch_scc1 .LBB308_416
; %bb.411:
	s_cmp_gt_i32 s10, 3
	s_cbranch_scc0 .LBB308_413
; %bb.412:
	s_mov_b32 s8, 0
	v_cndmask_b32_e64 v2, 0, 1, s[4:5]
	v_mov_b32_e32 v3, s8
	s_mov_b64 s[8:9], 0
	global_store_dwordx2 v[0:1], v[2:3], off
.LBB308_413:
	s_andn2_b64 vcc, exec, s[8:9]
	s_cbranch_vccnz .LBB308_415
; %bb.414:
	v_cndmask_b32_e64 v2, 0, 1, s[4:5]
	global_store_dword v[0:1], v2, off
.LBB308_415:
	s_mov_b64 s[8:9], 0
.LBB308_416:
	s_andn2_b64 vcc, exec, s[8:9]
	s_cbranch_vccnz .LBB308_418
; %bb.417:
	v_cndmask_b32_e64 v2, 0, 1, s[4:5]
	global_store_short v[0:1], v2, off
.LBB308_418:
	s_mov_b64 s[8:9], 0
.LBB308_419:
	s_andn2_b64 vcc, exec, s[8:9]
	s_cbranch_vccnz .LBB308_424
; %bb.420:
	s_mov_b64 s[8:9], -1
	s_cmp_gt_i32 s10, 0
	v_cndmask_b32_e64 v2, 0, 1, s[4:5]
	s_cbranch_scc0 .LBB308_422
; %bb.421:
	s_mov_b64 s[8:9], 0
	global_store_byte v[0:1], v2, off
.LBB308_422:
	s_andn2_b64 vcc, exec, s[8:9]
	s_cbranch_vccnz .LBB308_424
; %bb.423:
	global_store_byte v[0:1], v2, off
.LBB308_424:
	s_mov_b64 s[8:9], -1
.LBB308_425:
	s_andn2_b64 vcc, exec, s[8:9]
	s_cbranch_vccnz .LBB308_427
; %bb.426:
	v_add_u32_e32 v12, 0x80, v12
	s_mov_b64 s[4:5], -1
	s_branch .LBB308_428
.LBB308_427:
	s_mov_b64 s[4:5], 0
                                        ; implicit-def: $vgpr12
.LBB308_428:
	s_andn2_b64 s[8:9], s[70:71], exec
	s_and_b64 s[6:7], s[6:7], exec
	s_or_b64 s[76:77], s[8:9], s[6:7]
	s_orn2_b64 s[8:9], s[4:5], exec
.LBB308_429:
	s_or_b64 exec, exec, s[74:75]
	s_mov_b64 s[4:5], 0
	s_mov_b64 s[12:13], 0
                                        ; implicit-def: $sgpr6_sgpr7
                                        ; implicit-def: $sgpr16
                                        ; implicit-def: $vgpr0_vgpr1
	s_and_saveexec_b64 s[74:75], s[8:9]
	s_cbranch_execz .LBB308_524
; %bb.430:
	v_cmp_gt_i32_e32 vcc, s78, v12
	s_mov_b64 s[8:9], 0
	s_mov_b64 s[10:11], s[76:77]
                                        ; implicit-def: $sgpr6_sgpr7
                                        ; implicit-def: $sgpr16
                                        ; implicit-def: $vgpr0_vgpr1
	s_and_saveexec_b64 s[78:79], vcc
	s_cbranch_execz .LBB308_523
; %bb.431:
	s_andn2_b64 vcc, exec, s[52:53]
	s_cbranch_vccnz .LBB308_436
; %bb.432:
	s_andn2_b64 vcc, exec, s[64:65]
	s_cbranch_vccnz .LBB308_437
; %bb.433:
	s_add_i32 s83, s83, 1
	s_cmp_eq_u32 s80, 2
	s_cbranch_scc1 .LBB308_438
; %bb.434:
	s_and_b32 s26, s83, 28
	v_mov_b32_e32 v4, 0
	s_mov_b32 s27, 0
	s_mov_b64 s[24:25], s[48:49]
	v_mov_b32_e32 v10, 0
	v_mov_b32_e32 v0, v12
.LBB308_435:                            ; =>This Inner Loop Header: Depth=1
	s_load_dwordx8 s[12:19], s[24:25], 0x4
	s_load_dwordx4 s[20:23], s[24:25], 0x24
	s_load_dwordx8 s[4:11], s[62:63], 0x0
	s_add_u32 s24, s24, 48
	s_addc_u32 s25, s25, 0
	s_waitcnt lgkmcnt(0)
	v_mul_hi_u32 v1, s13, v0
	s_add_i32 s27, s27, 4
	s_add_u32 s62, s62, 32
	s_addc_u32 s63, s63, 0
	v_add_u32_e32 v1, v0, v1
	v_lshrrev_b32_e32 v1, s14, v1
	v_mul_lo_u32 v2, v1, s12
	v_mul_hi_u32 v3, s16, v1
	s_cmp_eq_u32 s26, s27
	v_sub_u32_e32 v0, v0, v2
	v_add_u32_e32 v2, v1, v3
	v_mul_lo_u32 v3, v0, s4
	v_mul_lo_u32 v5, v0, s5
	v_lshrrev_b32_e32 v0, s17, v2
	v_mul_lo_u32 v2, v0, s15
	v_mul_hi_u32 v6, s19, v0
	v_sub_u32_e32 v1, v1, v2
	v_add_u32_e32 v2, v0, v6
	v_lshrrev_b32_e32 v2, s20, v2
	v_mul_hi_u32 v7, s22, v2
	v_mul_lo_u32 v8, v2, s18
	v_mul_lo_u32 v6, v1, s6
	;; [unrolled: 1-line block ×3, first 2 shown]
	v_sub_u32_e32 v8, v0, v8
	v_add_u32_e32 v0, v2, v7
	v_lshrrev_b32_e32 v0, s23, v0
	v_mul_lo_u32 v7, v0, s21
	v_mul_lo_u32 v9, v8, s8
	v_mul_lo_u32 v8, v8, s9
	v_add3_u32 v3, v3, v10, v6
	v_sub_u32_e32 v2, v2, v7
	v_mul_lo_u32 v7, v2, s10
	v_mul_lo_u32 v2, v2, s11
	v_add3_u32 v1, v5, v4, v1
	v_add3_u32 v10, v9, v3, v7
	;; [unrolled: 1-line block ×3, first 2 shown]
	s_cbranch_scc0 .LBB308_435
	s_branch .LBB308_439
.LBB308_436:
	s_mov_b64 s[4:5], -1
                                        ; implicit-def: $vgpr10
                                        ; implicit-def: $vgpr4
	s_branch .LBB308_443
.LBB308_437:
	v_mov_b32_e32 v10, 0
	v_mov_b32_e32 v4, 0
	s_branch .LBB308_442
.LBB308_438:
	s_mov_b32 s26, 0
	v_mov_b32_e32 v10, 0
	v_mov_b32_e32 v4, 0
	;; [unrolled: 1-line block ×3, first 2 shown]
.LBB308_439:
	s_and_b32 s8, s83, 3
	s_cmp_eq_u32 s8, 0
	s_cbranch_scc1 .LBB308_442
; %bb.440:
	s_lshl_b32 s4, s26, 3
	s_add_u32 s4, s48, s4
	s_addc_u32 s5, s49, 0
	s_add_u32 s4, s4, 0xc4
	s_addc_u32 s5, s5, 0
	s_mul_i32 s6, s26, 12
	s_add_u32 s6, s48, s6
	s_addc_u32 s7, s49, 0
.LBB308_441:                            ; =>This Inner Loop Header: Depth=1
	s_load_dwordx2 s[10:11], s[6:7], 0x4
	s_load_dword s9, s[6:7], 0xc
	s_load_dwordx2 s[12:13], s[4:5], 0x0
	s_add_u32 s6, s6, 12
	s_addc_u32 s7, s7, 0
	s_waitcnt lgkmcnt(0)
	v_mul_hi_u32 v1, s11, v0
	s_add_u32 s4, s4, 8
	s_addc_u32 s5, s5, 0
	s_add_i32 s8, s8, -1
	v_add_u32_e32 v1, v0, v1
	v_lshrrev_b32_e32 v1, s9, v1
	v_mul_lo_u32 v2, v1, s10
	s_cmp_lg_u32 s8, 0
	v_sub_u32_e32 v0, v0, v2
	v_mad_u64_u32 v[10:11], s[10:11], v0, s12, v[10:11]
	v_mad_u64_u32 v[4:5], s[10:11], v0, s13, v[4:5]
	v_mov_b32_e32 v0, v1
	s_cbranch_scc1 .LBB308_441
.LBB308_442:
	s_mov_b64 s[4:5], 0
.LBB308_443:
	s_andn2_b64 vcc, exec, s[4:5]
	s_cbranch_vccnz .LBB308_446
; %bb.444:
	v_mul_hi_u32 v0, s41, v12
	s_andn2_b64 vcc, exec, s[60:61]
	v_add_u32_e32 v0, v12, v0
	v_lshrrev_b32_e32 v0, s42, v0
	v_mul_lo_u32 v1, v0, s40
	v_sub_u32_e32 v1, v12, v1
	v_mul_lo_u32 v10, v1, s44
	v_mul_lo_u32 v4, v1, s45
	s_cbranch_vccnz .LBB308_446
; %bb.445:
	v_mul_hi_u32 v1, s58, v0
	v_add_u32_e32 v1, v0, v1
	v_lshrrev_b32_e32 v1, s59, v1
	v_mul_lo_u32 v1, v1, s43
	v_sub_u32_e32 v0, v0, v1
	v_mad_u64_u32 v[10:11], s[4:5], v0, s46, v[10:11]
	v_mad_u64_u32 v[4:5], s[4:5], v0, s47, v[4:5]
.LBB308_446:
	s_getpc_b64 s[4:5]
	s_add_u32 s4, s4, _ZN2at6native6invokeINS0_13AUnaryFunctorIN3c1015Float8_e4m3fnuzES4_bNS0_12_GLOBAL__N_116CompareEqFunctorIS4_EEEEj15function_traitsIS8_EEENT1_11result_typeERKT_PrKPcPKT0_PKNS3_10ScalarTypeEi@rel32@lo+4
	s_addc_u32 s5, s5, _ZN2at6native6invokeINS0_13AUnaryFunctorIN3c1015Float8_e4m3fnuzES4_bNS0_12_GLOBAL__N_116CompareEqFunctorIS4_EEEEj15function_traitsIS8_EEENT1_11result_typeERKT_PrKPcPKT0_PKNS3_10ScalarTypeEi@rel32@hi+12
	v_mov_b32_e32 v0, s56
	v_mov_b32_e32 v1, s57
	v_mov_b32_e32 v2, s38
	v_mov_b32_e32 v3, s39
	v_mov_b32_e32 v5, s82
	s_swappc_b64 s[30:31], s[4:5]
	v_and_b32_e32 v0, 1, v0
	v_cmp_eq_u32_e64 s[6:7], 1, v0
	v_mov_b32_e32 v1, s37
	s_and_b32 s16, s81, 0xff
	v_add_co_u32_e32 v0, vcc, s36, v10
	s_cmp_lt_i32 s16, 11
	v_addc_co_u32_e32 v1, vcc, 0, v1, vcc
	s_cbranch_scc1 .LBB308_520
; %bb.447:
	s_and_b32 s17, 0xffff, s16
	s_mov_b64 s[10:11], -1
	s_cmp_gt_i32 s17, 25
	s_mov_b64 s[4:5], s[76:77]
	s_cbranch_scc0 .LBB308_480
; %bb.448:
	s_mov_b64 s[8:9], -1
	s_cmp_gt_i32 s17, 28
	s_mov_b64 s[4:5], s[76:77]
	s_cbranch_scc0 .LBB308_464
; %bb.449:
	s_cmp_gt_i32 s17, 43
	s_mov_b64 s[4:5], s[76:77]
	s_cbranch_scc0 .LBB308_460
; %bb.450:
	;; [unrolled: 4-line block ×3, first 2 shown]
	s_cmp_eq_u32 s17, 46
	s_mov_b64 s[4:5], -1
	s_cbranch_scc0 .LBB308_453
; %bb.452:
	v_cndmask_b32_e64 v2, 0, 1.0, s[6:7]
	v_bfe_u32 v3, v2, 16, 1
	s_movk_i32 s4, 0x7fff
	v_add3_u32 v2, v2, v3, s4
	v_lshrrev_b32_e32 v2, 16, v2
	global_store_dword v[0:1], v2, off
	s_mov_b64 s[4:5], 0
.LBB308_453:
	s_mov_b64 s[8:9], 0
.LBB308_454:
	s_and_b64 vcc, exec, s[8:9]
	s_cbranch_vccz .LBB308_459
; %bb.455:
	s_cmp_eq_u32 s17, 44
	s_mov_b64 s[4:5], -1
	s_cbranch_scc0 .LBB308_459
; %bb.456:
	v_cndmask_b32_e64 v3, 0, 1.0, s[6:7]
	v_lshrrev_b32_e32 v2, 23, v3
	s_movk_i32 s4, 0xff
	v_cmp_ne_u32_e32 vcc, s4, v2
	v_mov_b32_e32 v4, 0xff
	s_and_saveexec_b64 s[8:9], vcc
; %bb.457:
	s_mov_b32 s4, 0x3fffff
	v_and_b32_e32 v4, 0x400000, v3
	v_and_or_b32 v3, v3, s4, v2
	v_cmp_ne_u32_e32 vcc, 0, v4
	v_cmp_ne_u32_e64 s[4:5], 0, v3
	s_and_b64 s[4:5], vcc, s[4:5]
	v_cndmask_b32_e64 v3, 0, 1, s[4:5]
	v_add_u32_e32 v4, v2, v3
; %bb.458:
	s_or_b64 exec, exec, s[8:9]
	s_mov_b64 s[4:5], 0
	global_store_byte v[0:1], v4, off
.LBB308_459:
	s_mov_b64 s[8:9], 0
.LBB308_460:
	s_and_b64 vcc, exec, s[8:9]
	s_cbranch_vccz .LBB308_463
; %bb.461:
	s_cmp_eq_u32 s17, 29
	s_mov_b64 s[4:5], -1
	s_cbranch_scc0 .LBB308_463
; %bb.462:
	s_mov_b32 s4, 0
	v_cndmask_b32_e64 v2, 0, 1, s[6:7]
	v_mov_b32_e32 v3, s4
	global_store_dwordx2 v[0:1], v[2:3], off
	s_mov_b64 s[4:5], 0
.LBB308_463:
	s_mov_b64 s[8:9], 0
.LBB308_464:
	s_and_b64 vcc, exec, s[8:9]
	s_cbranch_vccz .LBB308_479
; %bb.465:
	s_cmp_lt_i32 s17, 27
	s_mov_b64 s[8:9], -1
	s_cbranch_scc1 .LBB308_471
; %bb.466:
	s_cmp_gt_i32 s17, 27
	v_cndmask_b32_e64 v2, 0, 1, s[6:7]
	s_cbranch_scc0 .LBB308_468
; %bb.467:
	s_mov_b64 s[8:9], 0
	global_store_dword v[0:1], v2, off
.LBB308_468:
	s_andn2_b64 vcc, exec, s[8:9]
	s_cbranch_vccnz .LBB308_470
; %bb.469:
	global_store_short v[0:1], v2, off
.LBB308_470:
	s_mov_b64 s[8:9], 0
.LBB308_471:
	s_andn2_b64 vcc, exec, s[8:9]
	s_cbranch_vccnz .LBB308_479
; %bb.472:
	v_cndmask_b32_e64 v3, 0, 1.0, s[6:7]
	s_mov_b32 s8, 0x43800000
	v_cmp_gt_u32_e32 vcc, s8, v3
	v_mov_b32_e32 v4, 0x80
	s_and_saveexec_b64 s[8:9], vcc
	s_cbranch_execz .LBB308_478
; %bb.473:
	s_mov_b32 s10, 0x3bffffff
	v_cmp_lt_u32_e32 vcc, s10, v3
	s_mov_b64 s[10:11], 0
                                        ; implicit-def: $vgpr2
	s_and_saveexec_b64 s[12:13], vcc
	s_xor_b64 s[12:13], exec, s[12:13]
	s_cbranch_execz .LBB308_1121
; %bb.474:
	v_bfe_u32 v2, v3, 20, 1
	s_mov_b32 s14, 0x487ffff
	v_add3_u32 v2, v3, v2, s14
	s_mov_b64 s[10:11], exec
	v_lshrrev_b32_e32 v2, 20, v2
                                        ; implicit-def: $vgpr3
	s_andn2_saveexec_b64 s[12:13], s[12:13]
	s_cbranch_execnz .LBB308_1122
.LBB308_475:
	s_or_b64 exec, exec, s[12:13]
	v_mov_b32_e32 v4, 0
	s_and_saveexec_b64 s[12:13], s[10:11]
.LBB308_476:
	v_mov_b32_e32 v4, v2
.LBB308_477:
	s_or_b64 exec, exec, s[12:13]
.LBB308_478:
	s_or_b64 exec, exec, s[8:9]
	global_store_byte v[0:1], v4, off
.LBB308_479:
	s_mov_b64 s[10:11], 0
.LBB308_480:
	s_mov_b64 s[8:9], 0
	s_and_b64 vcc, exec, s[10:11]
	s_cbranch_vccz .LBB308_521
; %bb.481:
	s_cmp_gt_i32 s17, 22
	s_mov_b64 s[10:11], -1
	s_cbranch_scc0 .LBB308_513
; %bb.482:
	s_cmp_lt_i32 s17, 24
	s_cbranch_scc1 .LBB308_502
; %bb.483:
	s_cmp_gt_i32 s17, 24
	s_cbranch_scc0 .LBB308_491
; %bb.484:
	v_cndmask_b32_e64 v3, 0, 1.0, s[6:7]
	s_mov_b32 s10, 0x47800000
	v_cmp_gt_u32_e32 vcc, s10, v3
	v_mov_b32_e32 v4, 0x80
	s_and_saveexec_b64 s[10:11], vcc
	s_cbranch_execz .LBB308_490
; %bb.485:
	s_mov_b32 s12, 0x37ffffff
	v_cmp_lt_u32_e32 vcc, s12, v3
	s_mov_b64 s[12:13], 0
                                        ; implicit-def: $vgpr2
	s_and_saveexec_b64 s[14:15], vcc
	s_xor_b64 s[14:15], exec, s[14:15]
	s_cbranch_execz .LBB308_1125
; %bb.486:
	v_bfe_u32 v2, v3, 21, 1
	s_mov_b32 s18, 0x88fffff
	v_add3_u32 v2, v3, v2, s18
	s_mov_b64 s[12:13], exec
	v_lshrrev_b32_e32 v2, 21, v2
                                        ; implicit-def: $vgpr3
	s_andn2_saveexec_b64 s[14:15], s[14:15]
	s_cbranch_execnz .LBB308_1126
.LBB308_487:
	s_or_b64 exec, exec, s[14:15]
	v_mov_b32_e32 v4, 0
	s_and_saveexec_b64 s[14:15], s[12:13]
.LBB308_488:
	v_mov_b32_e32 v4, v2
.LBB308_489:
	s_or_b64 exec, exec, s[14:15]
.LBB308_490:
	s_or_b64 exec, exec, s[10:11]
	s_mov_b64 s[10:11], 0
	global_store_byte v[0:1], v4, off
.LBB308_491:
	s_and_b64 vcc, exec, s[10:11]
	s_cbranch_vccz .LBB308_501
; %bb.492:
	v_cndmask_b32_e64 v2, 0, 1.0, s[6:7]
	s_mov_b32 s10, 0x43f00000
	v_cmp_gt_u32_e32 vcc, s10, v2
                                        ; implicit-def: $vgpr3
	s_and_saveexec_b64 s[10:11], vcc
	s_xor_b64 s[10:11], exec, s[10:11]
	s_cbranch_execz .LBB308_498
; %bb.493:
	s_mov_b32 s12, 0x3c7fffff
	v_cmp_lt_u32_e32 vcc, s12, v2
                                        ; implicit-def: $vgpr3
	s_and_saveexec_b64 s[12:13], vcc
	s_xor_b64 s[12:13], exec, s[12:13]
; %bb.494:
	v_bfe_u32 v3, v2, 20, 1
	s_mov_b32 s14, 0x407ffff
	v_add3_u32 v2, v2, v3, s14
	v_lshrrev_b32_e32 v3, 20, v2
	v_and_b32_e32 v2, 0xff00000, v2
	s_mov_b32 s14, 0x7f00000
	v_mov_b32_e32 v4, 0x7e
	v_cmp_ne_u32_e32 vcc, s14, v2
	v_cndmask_b32_e32 v3, v4, v3, vcc
                                        ; implicit-def: $vgpr2
; %bb.495:
	s_andn2_saveexec_b64 s[12:13], s[12:13]
; %bb.496:
	v_add_f32_e32 v3, 0x46800000, v2
; %bb.497:
	s_or_b64 exec, exec, s[12:13]
                                        ; implicit-def: $vgpr2
.LBB308_498:
	s_andn2_saveexec_b64 s[10:11], s[10:11]
; %bb.499:
	s_mov_b32 s12, 0x7f800000
	v_mov_b32_e32 v3, 0x7e
	v_mov_b32_e32 v4, 0x7f
	v_cmp_lt_u32_e32 vcc, s12, v2
	v_cndmask_b32_e32 v3, v3, v4, vcc
; %bb.500:
	s_or_b64 exec, exec, s[10:11]
	global_store_byte v[0:1], v3, off
.LBB308_501:
	s_mov_b64 s[10:11], 0
.LBB308_502:
	s_andn2_b64 vcc, exec, s[10:11]
	s_cbranch_vccnz .LBB308_512
; %bb.503:
	v_cndmask_b32_e64 v2, 0, 1.0, s[6:7]
	s_mov_b32 s10, 0x47800000
	v_cmp_gt_u32_e32 vcc, s10, v2
                                        ; implicit-def: $vgpr3
	s_and_saveexec_b64 s[10:11], vcc
	s_xor_b64 s[10:11], exec, s[10:11]
	s_cbranch_execz .LBB308_509
; %bb.504:
	s_mov_b32 s12, 0x387fffff
	v_cmp_lt_u32_e32 vcc, s12, v2
                                        ; implicit-def: $vgpr3
	s_and_saveexec_b64 s[12:13], vcc
	s_xor_b64 s[12:13], exec, s[12:13]
; %bb.505:
	v_bfe_u32 v3, v2, 21, 1
	s_mov_b32 s14, 0x80fffff
	v_add3_u32 v2, v2, v3, s14
	v_lshrrev_b32_e32 v3, 21, v2
                                        ; implicit-def: $vgpr2
; %bb.506:
	s_andn2_saveexec_b64 s[12:13], s[12:13]
; %bb.507:
	v_add_f32_e32 v3, 0x43000000, v2
; %bb.508:
	s_or_b64 exec, exec, s[12:13]
                                        ; implicit-def: $vgpr2
.LBB308_509:
	s_andn2_saveexec_b64 s[10:11], s[10:11]
; %bb.510:
	s_mov_b32 s12, 0x7f800000
	v_mov_b32_e32 v3, 0x7c
	v_mov_b32_e32 v4, 0x7f
	v_cmp_lt_u32_e32 vcc, s12, v2
	v_cndmask_b32_e32 v3, v3, v4, vcc
; %bb.511:
	s_or_b64 exec, exec, s[10:11]
	global_store_byte v[0:1], v3, off
.LBB308_512:
	s_mov_b64 s[10:11], 0
.LBB308_513:
	s_andn2_b64 vcc, exec, s[10:11]
	s_mov_b64 s[10:11], 0
	s_cbranch_vccnz .LBB308_522
; %bb.514:
	s_cmp_gt_i32 s17, 14
	s_mov_b64 s[12:13], -1
	s_cbranch_scc0 .LBB308_518
; %bb.515:
	s_cmp_eq_u32 s17, 15
	s_mov_b64 s[4:5], -1
	s_cbranch_scc0 .LBB308_517
; %bb.516:
	v_cndmask_b32_e64 v2, 0, 1.0, s[6:7]
	v_bfe_u32 v3, v2, 16, 1
	s_movk_i32 s4, 0x7fff
	v_add3_u32 v2, v2, v3, s4
	global_store_short_d16_hi v[0:1], v2, off
	s_mov_b64 s[4:5], 0
.LBB308_517:
	s_mov_b64 s[12:13], 0
.LBB308_518:
	s_and_b64 vcc, exec, s[12:13]
	s_cbranch_vccz .LBB308_522
; %bb.519:
	s_cmp_lg_u32 s17, 11
	s_cselect_b64 s[12:13], -1, 0
	s_andn2_b64 s[4:5], s[4:5], exec
	s_and_b64 s[12:13], s[12:13], exec
	s_mov_b64 s[10:11], -1
	s_or_b64 s[4:5], s[4:5], s[12:13]
	s_branch .LBB308_522
.LBB308_520:
	s_mov_b64 s[10:11], 0
	s_mov_b64 s[8:9], -1
	s_mov_b64 s[4:5], s[76:77]
	s_branch .LBB308_522
.LBB308_521:
	s_mov_b64 s[10:11], 0
.LBB308_522:
	s_and_b64 s[12:13], s[8:9], exec
	s_and_b64 s[8:9], s[10:11], exec
	s_andn2_b64 s[10:11], s[76:77], exec
	s_and_b64 s[4:5], s[4:5], exec
	s_or_b64 s[10:11], s[10:11], s[4:5]
.LBB308_523:
	s_or_b64 exec, exec, s[78:79]
	s_and_b64 s[4:5], s[8:9], exec
	s_andn2_b64 s[8:9], s[76:77], exec
	s_and_b64 s[10:11], s[10:11], exec
	s_and_b64 s[12:13], s[12:13], exec
	s_or_b64 s[76:77], s[8:9], s[10:11]
.LBB308_524:
	s_or_b64 exec, exec, s[74:75]
	s_and_b64 s[8:9], s[12:13], exec
	s_andn2_b64 s[10:11], s[70:71], exec
	s_and_b64 s[12:13], s[76:77], exec
	s_and_b64 s[4:5], s[4:5], exec
	s_or_b64 s[70:71], s[10:11], s[12:13]
.LBB308_525:
	s_or_b64 exec, exec, s[72:73]
	s_and_b64 s[72:73], s[4:5], exec
	s_andn2_b64 s[4:5], s[66:67], exec
	s_and_b64 s[10:11], s[70:71], exec
	s_and_b64 s[8:9], s[8:9], exec
	s_or_b64 s[66:67], s[4:5], s[10:11]
	s_or_b64 exec, exec, s[68:69]
	s_mov_b64 s[4:5], 0
	s_and_saveexec_b64 s[10:11], s[66:67]
	s_cbranch_execz .LBB308_146
.LBB308_526:
	s_mov_b64 s[4:5], exec
	s_andn2_b64 s[72:73], s[72:73], exec
	s_trap 2
	s_or_b64 exec, exec, s[10:11]
	s_and_saveexec_b64 s[10:11], s[72:73]
	s_xor_b64 s[10:11], exec, s[10:11]
	s_cbranch_execnz .LBB308_147
.LBB308_527:
	s_or_b64 exec, exec, s[10:11]
	s_and_saveexec_b64 s[10:11], s[8:9]
	s_xor_b64 s[8:9], exec, s[10:11]
	s_cbranch_execz .LBB308_565
.LBB308_528:
	s_sext_i32_i16 s12, s16
	s_cmp_lt_i32 s12, 5
	s_mov_b64 s[10:11], -1
	s_cbranch_scc1 .LBB308_549
; %bb.529:
	s_cmp_lt_i32 s12, 8
	s_cbranch_scc1 .LBB308_539
; %bb.530:
	s_cmp_lt_i32 s12, 9
	s_cbranch_scc1 .LBB308_536
; %bb.531:
	s_cmp_gt_i32 s12, 9
	s_cbranch_scc0 .LBB308_533
; %bb.532:
	v_cndmask_b32_e64 v2, 0, 1, s[6:7]
	v_cvt_f64_u32_e32 v[2:3], v2
	v_mov_b32_e32 v4, 0
	v_mov_b32_e32 v5, v4
	s_mov_b64 s[10:11], 0
	global_store_dwordx4 v[0:1], v[2:5], off
.LBB308_533:
	s_andn2_b64 vcc, exec, s[10:11]
	s_cbranch_vccnz .LBB308_535
; %bb.534:
	v_cndmask_b32_e64 v2, 0, 1.0, s[6:7]
	v_mov_b32_e32 v3, 0
	global_store_dwordx2 v[0:1], v[2:3], off
.LBB308_535:
	s_mov_b64 s[10:11], 0
.LBB308_536:
	s_andn2_b64 vcc, exec, s[10:11]
	s_cbranch_vccnz .LBB308_538
; %bb.537:
	v_cndmask_b32_e64 v2, 0, 1.0, s[6:7]
	v_cvt_f16_f32_e32 v2, v2
	global_store_dword v[0:1], v2, off
.LBB308_538:
	s_mov_b64 s[10:11], 0
.LBB308_539:
	s_andn2_b64 vcc, exec, s[10:11]
	s_cbranch_vccnz .LBB308_548
; %bb.540:
	s_sext_i32_i16 s12, s16
	s_cmp_lt_i32 s12, 6
	s_mov_b64 s[10:11], -1
	s_cbranch_scc1 .LBB308_546
; %bb.541:
	s_cmp_gt_i32 s12, 6
	s_cbranch_scc0 .LBB308_543
; %bb.542:
	v_cndmask_b32_e64 v2, 0, 1, s[6:7]
	v_cvt_f64_u32_e32 v[2:3], v2
	s_mov_b64 s[10:11], 0
	global_store_dwordx2 v[0:1], v[2:3], off
.LBB308_543:
	s_andn2_b64 vcc, exec, s[10:11]
	s_cbranch_vccnz .LBB308_545
; %bb.544:
	v_cndmask_b32_e64 v2, 0, 1.0, s[6:7]
	global_store_dword v[0:1], v2, off
.LBB308_545:
	s_mov_b64 s[10:11], 0
.LBB308_546:
	s_andn2_b64 vcc, exec, s[10:11]
	s_cbranch_vccnz .LBB308_548
; %bb.547:
	v_cndmask_b32_e64 v2, 0, 1.0, s[6:7]
	v_cvt_f16_f32_e32 v2, v2
	global_store_short v[0:1], v2, off
.LBB308_548:
	s_mov_b64 s[10:11], 0
.LBB308_549:
	s_andn2_b64 vcc, exec, s[10:11]
	s_cbranch_vccnz .LBB308_565
; %bb.550:
	s_sext_i32_i16 s12, s16
	s_cmp_lt_i32 s12, 2
	s_mov_b64 s[10:11], -1
	s_cbranch_scc1 .LBB308_560
; %bb.551:
	s_cmp_lt_i32 s12, 3
	s_cbranch_scc1 .LBB308_557
; %bb.552:
	s_cmp_gt_i32 s12, 3
	s_cbranch_scc0 .LBB308_554
; %bb.553:
	s_mov_b32 s10, 0
	v_cndmask_b32_e64 v2, 0, 1, s[6:7]
	v_mov_b32_e32 v3, s10
	s_mov_b64 s[10:11], 0
	global_store_dwordx2 v[0:1], v[2:3], off
.LBB308_554:
	s_andn2_b64 vcc, exec, s[10:11]
	s_cbranch_vccnz .LBB308_556
; %bb.555:
	v_cndmask_b32_e64 v2, 0, 1, s[6:7]
	global_store_dword v[0:1], v2, off
.LBB308_556:
	s_mov_b64 s[10:11], 0
.LBB308_557:
	s_andn2_b64 vcc, exec, s[10:11]
	s_cbranch_vccnz .LBB308_559
; %bb.558:
	v_cndmask_b32_e64 v2, 0, 1, s[6:7]
	global_store_short v[0:1], v2, off
.LBB308_559:
	s_mov_b64 s[10:11], 0
.LBB308_560:
	s_andn2_b64 vcc, exec, s[10:11]
	s_cbranch_vccnz .LBB308_565
; %bb.561:
	s_sext_i32_i16 s10, s16
	s_cmp_gt_i32 s10, 0
	s_mov_b64 s[10:11], -1
	s_cbranch_scc0 .LBB308_563
; %bb.562:
	v_cndmask_b32_e64 v2, 0, 1, s[6:7]
	s_mov_b64 s[10:11], 0
	global_store_byte v[0:1], v2, off
.LBB308_563:
	s_andn2_b64 vcc, exec, s[10:11]
	s_cbranch_vccnz .LBB308_565
; %bb.564:
	v_cndmask_b32_e64 v2, 0, 1, s[6:7]
	global_store_byte v[0:1], v2, off
.LBB308_565:
	s_or_b64 exec, exec, s[8:9]
	s_and_b64 s[44:45], s[4:5], exec
                                        ; implicit-def: $vgpr2
                                        ; implicit-def: $vgpr12
.LBB308_566:
	s_or_saveexec_b64 s[46:47], s[54:55]
	s_mov_b64 s[4:5], 0
                                        ; implicit-def: $sgpr6_sgpr7
                                        ; implicit-def: $sgpr18
                                        ; implicit-def: $vgpr0_vgpr1
	s_xor_b64 exec, exec, s[46:47]
	s_cbranch_execz .LBB308_1055
; %bb.567:
	v_cndmask_b32_e64 v0, 0, 1, s[52:53]
	v_cmp_ne_u32_e64 s[4:5], 1, v0
	s_andn2_b64 vcc, exec, s[52:53]
	s_cbranch_vccnz .LBB308_573
; %bb.568:
	s_cmp_lg_u32 s33, 0
	s_mov_b32 s30, 0
	s_cbranch_scc0 .LBB308_574
; %bb.569:
	s_min_u32 s31, s80, 15
	s_add_i32 s31, s31, 1
	s_cmp_eq_u32 s80, 2
	s_cbranch_scc1 .LBB308_575
; %bb.570:
	s_and_b32 s30, s31, 28
	s_add_u32 s6, s48, 0xc4
	s_addc_u32 s7, s49, 0
	v_mov_b32_e32 v4, 0
	s_mov_b32 s36, 0
	s_mov_b64 s[28:29], s[48:49]
	v_mov_b32_e32 v20, 0
	v_mov_b32_e32 v0, v12
.LBB308_571:                            ; =>This Inner Loop Header: Depth=1
	s_load_dwordx8 s[16:23], s[28:29], 0x4
	s_load_dwordx4 s[24:27], s[28:29], 0x24
	s_load_dwordx8 s[8:15], s[6:7], 0x0
	s_add_u32 s28, s28, 48
	s_addc_u32 s29, s29, 0
	s_waitcnt lgkmcnt(0)
	v_mul_hi_u32 v1, s17, v0
	s_add_i32 s36, s36, 4
	s_add_u32 s6, s6, 32
	s_addc_u32 s7, s7, 0
	v_add_u32_e32 v1, v0, v1
	v_lshrrev_b32_e32 v1, s18, v1
	v_mul_lo_u32 v3, v1, s16
	v_mul_hi_u32 v5, s20, v1
	s_cmp_lg_u32 s30, s36
	v_sub_u32_e32 v0, v0, v3
	v_add_u32_e32 v3, v1, v5
	v_mul_lo_u32 v5, v0, s8
	v_mul_lo_u32 v6, v0, s9
	v_lshrrev_b32_e32 v0, s21, v3
	v_mul_lo_u32 v3, v0, s19
	v_mul_hi_u32 v7, s23, v0
	v_sub_u32_e32 v1, v1, v3
	v_add_u32_e32 v3, v0, v7
	v_lshrrev_b32_e32 v3, s24, v3
	v_mul_hi_u32 v8, s26, v3
	v_mul_lo_u32 v9, v3, s22
	v_mul_lo_u32 v7, v1, s10
	;; [unrolled: 1-line block ×3, first 2 shown]
	v_sub_u32_e32 v9, v0, v9
	v_add_u32_e32 v0, v3, v8
	v_lshrrev_b32_e32 v0, s27, v0
	v_mul_lo_u32 v8, v0, s25
	v_mul_lo_u32 v10, v9, s12
	;; [unrolled: 1-line block ×3, first 2 shown]
	v_add3_u32 v5, v5, v20, v7
	v_sub_u32_e32 v3, v3, v8
	v_mul_lo_u32 v8, v3, s14
	v_mul_lo_u32 v3, v3, s15
	v_add3_u32 v1, v6, v4, v1
	v_add3_u32 v20, v10, v5, v8
	;; [unrolled: 1-line block ×3, first 2 shown]
	s_cbranch_scc1 .LBB308_571
; %bb.572:
	s_and_b32 s10, s31, 3
	s_cmp_eq_u32 s10, 0
	s_cbranch_scc0 .LBB308_576
	s_branch .LBB308_578
.LBB308_573:
                                        ; implicit-def: $vgpr20
                                        ; implicit-def: $vgpr4
	s_branch .LBB308_579
.LBB308_574:
	v_mov_b32_e32 v20, 0
	v_mov_b32_e32 v4, 0
	s_branch .LBB308_578
.LBB308_575:
	v_mov_b32_e32 v20, 0
	v_mov_b32_e32 v4, 0
	;; [unrolled: 1-line block ×3, first 2 shown]
	s_and_b32 s10, s31, 3
	s_cmp_eq_u32 s10, 0
	s_cbranch_scc1 .LBB308_578
.LBB308_576:
	s_lshl_b32 s6, s30, 3
	s_add_u32 s6, s48, s6
	s_addc_u32 s7, s49, 0
	s_add_u32 s6, s6, 0xc4
	s_addc_u32 s7, s7, 0
	s_mul_i32 s8, s30, 12
	s_add_u32 s8, s48, s8
	s_addc_u32 s9, s49, 0
.LBB308_577:                            ; =>This Inner Loop Header: Depth=1
	s_load_dwordx2 s[12:13], s[8:9], 0x4
	s_load_dword s11, s[8:9], 0xc
	s_load_dwordx2 s[14:15], s[6:7], 0x0
	s_add_u32 s8, s8, 12
	s_addc_u32 s9, s9, 0
	s_waitcnt lgkmcnt(0)
	v_mul_hi_u32 v1, s13, v0
	s_add_u32 s6, s6, 8
	s_addc_u32 s7, s7, 0
	s_add_i32 s10, s10, -1
	v_add_u32_e32 v1, v0, v1
	v_lshrrev_b32_e32 v1, s11, v1
	v_mul_lo_u32 v3, v1, s12
	s_cmp_lg_u32 s10, 0
	v_sub_u32_e32 v0, v0, v3
	v_mad_u64_u32 v[20:21], s[12:13], v0, s14, v[20:21]
	v_mad_u64_u32 v[4:5], s[12:13], v0, s15, v[4:5]
	v_mov_b32_e32 v0, v1
	s_cbranch_scc1 .LBB308_577
.LBB308_578:
	s_cbranch_execnz .LBB308_581
.LBB308_579:
	s_load_dwordx4 s[8:11], s[48:49], 0x4
	s_load_dwordx2 s[6:7], s[48:49], 0xc4
	s_cmp_lt_u32 s33, 2
	s_waitcnt lgkmcnt(0)
	v_mul_hi_u32 v0, s9, v12
	v_add_u32_e32 v0, v12, v0
	v_lshrrev_b32_e32 v0, s10, v0
	v_mul_lo_u32 v1, v0, s8
	v_sub_u32_e32 v1, v12, v1
	v_mul_lo_u32 v20, v1, s6
	v_mul_lo_u32 v4, v1, s7
	s_cbranch_scc1 .LBB308_581
; %bb.580:
	s_load_dwordx4 s[8:11], s[48:49], 0x10
	s_load_dwordx2 s[6:7], s[48:49], 0xcc
	s_waitcnt lgkmcnt(0)
	v_mul_hi_u32 v1, s9, v0
	v_add_u32_e32 v1, v0, v1
	v_lshrrev_b32_e32 v1, s10, v1
	v_mul_lo_u32 v1, v1, s8
	v_sub_u32_e32 v0, v0, v1
	v_mad_u64_u32 v[20:21], s[8:9], v0, s6, v[20:21]
	v_mad_u64_u32 v[4:5], s[6:7], v0, s7, v[4:5]
.LBB308_581:
	s_and_b64 vcc, exec, s[4:5]
	v_add_u32_e32 v0, 0x80, v12
	s_cbranch_vccnz .LBB308_587
; %bb.582:
	s_cmp_lg_u32 s33, 0
	s_mov_b32 s30, 0
	s_cbranch_scc0 .LBB308_588
; %bb.583:
	s_min_u32 s31, s80, 15
	s_add_i32 s31, s31, 1
	s_cmp_eq_u32 s80, 2
	s_cbranch_scc1 .LBB308_589
; %bb.584:
	s_and_b32 s30, s31, 28
	s_add_u32 s6, s48, 0xc4
	s_addc_u32 s7, s49, 0
	v_mov_b32_e32 v10, 0
	s_mov_b32 s36, 0
	s_mov_b64 s[28:29], s[48:49]
	v_mov_b32_e32 v18, 0
	v_mov_b32_e32 v1, v0
.LBB308_585:                            ; =>This Inner Loop Header: Depth=1
	s_load_dwordx8 s[16:23], s[28:29], 0x4
	s_load_dwordx4 s[24:27], s[28:29], 0x24
	s_load_dwordx8 s[8:15], s[6:7], 0x0
	s_add_u32 s28, s28, 48
	s_addc_u32 s29, s29, 0
	s_waitcnt lgkmcnt(0)
	v_mul_hi_u32 v3, s17, v1
	s_add_i32 s36, s36, 4
	s_add_u32 s6, s6, 32
	s_addc_u32 s7, s7, 0
	v_add_u32_e32 v3, v1, v3
	v_lshrrev_b32_e32 v3, s18, v3
	v_mul_lo_u32 v5, v3, s16
	v_mul_hi_u32 v6, s20, v3
	s_cmp_lg_u32 s30, s36
	v_sub_u32_e32 v1, v1, v5
	v_add_u32_e32 v5, v3, v6
	v_mul_lo_u32 v6, v1, s8
	v_mul_lo_u32 v7, v1, s9
	v_lshrrev_b32_e32 v1, s21, v5
	v_mul_lo_u32 v5, v1, s19
	v_mul_hi_u32 v8, s23, v1
	v_sub_u32_e32 v3, v3, v5
	v_add_u32_e32 v5, v1, v8
	v_lshrrev_b32_e32 v5, s24, v5
	v_mul_hi_u32 v9, s26, v5
	v_mul_lo_u32 v11, v5, s22
	v_mul_lo_u32 v8, v3, s10
	;; [unrolled: 1-line block ×3, first 2 shown]
	v_sub_u32_e32 v11, v1, v11
	v_add_u32_e32 v1, v5, v9
	v_lshrrev_b32_e32 v1, s27, v1
	v_mul_lo_u32 v9, v1, s25
	v_mul_lo_u32 v13, v11, s12
	;; [unrolled: 1-line block ×3, first 2 shown]
	v_add3_u32 v6, v6, v18, v8
	v_sub_u32_e32 v5, v5, v9
	v_mul_lo_u32 v9, v5, s14
	v_mul_lo_u32 v5, v5, s15
	v_add3_u32 v3, v7, v10, v3
	v_add3_u32 v18, v13, v6, v9
	;; [unrolled: 1-line block ×3, first 2 shown]
	s_cbranch_scc1 .LBB308_585
; %bb.586:
	s_and_b32 s10, s31, 3
	s_cmp_eq_u32 s10, 0
	s_cbranch_scc0 .LBB308_590
	s_branch .LBB308_592
.LBB308_587:
                                        ; implicit-def: $vgpr18
                                        ; implicit-def: $vgpr10
	s_branch .LBB308_593
.LBB308_588:
	v_mov_b32_e32 v18, 0
	v_mov_b32_e32 v10, 0
	s_branch .LBB308_592
.LBB308_589:
	v_mov_b32_e32 v18, 0
	v_mov_b32_e32 v10, 0
	;; [unrolled: 1-line block ×3, first 2 shown]
	s_and_b32 s10, s31, 3
	s_cmp_eq_u32 s10, 0
	s_cbranch_scc1 .LBB308_592
.LBB308_590:
	s_lshl_b32 s6, s30, 3
	s_add_u32 s6, s48, s6
	s_addc_u32 s7, s49, 0
	s_add_u32 s6, s6, 0xc4
	s_addc_u32 s7, s7, 0
	s_mul_i32 s8, s30, 12
	s_add_u32 s8, s48, s8
	s_addc_u32 s9, s49, 0
.LBB308_591:                            ; =>This Inner Loop Header: Depth=1
	s_load_dwordx2 s[12:13], s[8:9], 0x4
	s_load_dword s11, s[8:9], 0xc
	s_load_dwordx2 s[14:15], s[6:7], 0x0
	s_add_u32 s8, s8, 12
	s_addc_u32 s9, s9, 0
	s_waitcnt lgkmcnt(0)
	v_mul_hi_u32 v3, s13, v1
	s_add_u32 s6, s6, 8
	s_addc_u32 s7, s7, 0
	s_add_i32 s10, s10, -1
	v_add_u32_e32 v3, v1, v3
	v_lshrrev_b32_e32 v3, s11, v3
	v_mul_lo_u32 v5, v3, s12
	s_cmp_lg_u32 s10, 0
	v_sub_u32_e32 v1, v1, v5
	v_mad_u64_u32 v[18:19], s[12:13], v1, s14, v[18:19]
	v_mad_u64_u32 v[10:11], s[12:13], v1, s15, v[10:11]
	v_mov_b32_e32 v1, v3
	s_cbranch_scc1 .LBB308_591
.LBB308_592:
	s_cbranch_execnz .LBB308_595
.LBB308_593:
	s_load_dwordx4 s[8:11], s[48:49], 0x4
	s_load_dwordx2 s[6:7], s[48:49], 0xc4
	s_cmp_lt_u32 s33, 2
	s_waitcnt lgkmcnt(0)
	v_mul_hi_u32 v1, s9, v0
	v_add_u32_e32 v1, v0, v1
	v_lshrrev_b32_e32 v1, s10, v1
	v_mul_lo_u32 v3, v1, s8
	v_sub_u32_e32 v0, v0, v3
	v_mul_lo_u32 v18, v0, s6
	v_mul_lo_u32 v10, v0, s7
	s_cbranch_scc1 .LBB308_595
; %bb.594:
	s_load_dwordx4 s[8:11], s[48:49], 0x10
	s_load_dwordx2 s[6:7], s[48:49], 0xcc
	s_waitcnt lgkmcnt(0)
	v_mul_hi_u32 v0, s9, v1
	v_add_u32_e32 v0, v1, v0
	v_lshrrev_b32_e32 v0, s10, v0
	v_mul_lo_u32 v0, v0, s8
	v_sub_u32_e32 v0, v1, v0
	v_mad_u64_u32 v[18:19], s[8:9], v0, s6, v[18:19]
	v_mad_u64_u32 v[10:11], s[6:7], v0, s7, v[10:11]
.LBB308_595:
	s_and_b64 vcc, exec, s[4:5]
	v_add_u32_e32 v0, 0x100, v12
	s_cbranch_vccnz .LBB308_601
; %bb.596:
	s_cmp_lg_u32 s33, 0
	s_mov_b32 s30, 0
	s_cbranch_scc0 .LBB308_602
; %bb.597:
	s_min_u32 s31, s80, 15
	s_add_i32 s31, s31, 1
	s_cmp_eq_u32 s80, 2
	s_cbranch_scc1 .LBB308_603
; %bb.598:
	s_and_b32 s30, s31, 28
	s_add_u32 s6, s48, 0xc4
	s_addc_u32 s7, s49, 0
	v_mov_b32_e32 v11, 0
	s_mov_b32 s36, 0
	s_mov_b64 s[28:29], s[48:49]
	v_mov_b32_e32 v16, 0
	v_mov_b32_e32 v1, v0
.LBB308_599:                            ; =>This Inner Loop Header: Depth=1
	s_load_dwordx8 s[16:23], s[28:29], 0x4
	s_load_dwordx4 s[24:27], s[28:29], 0x24
	s_load_dwordx8 s[8:15], s[6:7], 0x0
	s_add_u32 s28, s28, 48
	s_addc_u32 s29, s29, 0
	s_waitcnt lgkmcnt(0)
	v_mul_hi_u32 v3, s17, v1
	s_add_i32 s36, s36, 4
	s_add_u32 s6, s6, 32
	s_addc_u32 s7, s7, 0
	v_add_u32_e32 v3, v1, v3
	v_lshrrev_b32_e32 v3, s18, v3
	v_mul_lo_u32 v5, v3, s16
	v_mul_hi_u32 v6, s20, v3
	s_cmp_lg_u32 s30, s36
	v_sub_u32_e32 v1, v1, v5
	v_add_u32_e32 v5, v3, v6
	v_mul_lo_u32 v6, v1, s8
	v_mul_lo_u32 v7, v1, s9
	v_lshrrev_b32_e32 v1, s21, v5
	v_mul_lo_u32 v5, v1, s19
	v_mul_hi_u32 v8, s23, v1
	v_sub_u32_e32 v3, v3, v5
	v_add_u32_e32 v5, v1, v8
	v_lshrrev_b32_e32 v5, s24, v5
	v_mul_hi_u32 v9, s26, v5
	v_mul_lo_u32 v12, v5, s22
	v_mul_lo_u32 v8, v3, s10
	;; [unrolled: 1-line block ×3, first 2 shown]
	v_sub_u32_e32 v12, v1, v12
	v_add_u32_e32 v1, v5, v9
	v_lshrrev_b32_e32 v1, s27, v1
	v_mul_lo_u32 v9, v1, s25
	v_mul_lo_u32 v13, v12, s12
	;; [unrolled: 1-line block ×3, first 2 shown]
	v_add3_u32 v6, v6, v16, v8
	v_sub_u32_e32 v5, v5, v9
	v_mul_lo_u32 v9, v5, s14
	v_mul_lo_u32 v5, v5, s15
	v_add3_u32 v3, v7, v11, v3
	v_add3_u32 v16, v13, v6, v9
	;; [unrolled: 1-line block ×3, first 2 shown]
	s_cbranch_scc1 .LBB308_599
; %bb.600:
	s_and_b32 s10, s31, 3
	s_cmp_eq_u32 s10, 0
	s_cbranch_scc0 .LBB308_604
	s_branch .LBB308_606
.LBB308_601:
                                        ; implicit-def: $vgpr16
                                        ; implicit-def: $vgpr11
	s_branch .LBB308_607
.LBB308_602:
	v_mov_b32_e32 v16, 0
	v_mov_b32_e32 v11, 0
	s_branch .LBB308_606
.LBB308_603:
	v_mov_b32_e32 v16, 0
	v_mov_b32_e32 v11, 0
	;; [unrolled: 1-line block ×3, first 2 shown]
	s_and_b32 s10, s31, 3
	s_cmp_eq_u32 s10, 0
	s_cbranch_scc1 .LBB308_606
.LBB308_604:
	s_lshl_b32 s6, s30, 3
	s_add_u32 s6, s48, s6
	s_addc_u32 s7, s49, 0
	s_add_u32 s6, s6, 0xc4
	s_addc_u32 s7, s7, 0
	s_mul_i32 s8, s30, 12
	s_add_u32 s8, s48, s8
	s_addc_u32 s9, s49, 0
.LBB308_605:                            ; =>This Inner Loop Header: Depth=1
	s_load_dwordx2 s[12:13], s[8:9], 0x4
	s_load_dword s11, s[8:9], 0xc
	s_load_dwordx2 s[14:15], s[6:7], 0x0
	s_add_u32 s8, s8, 12
	s_addc_u32 s9, s9, 0
	s_waitcnt lgkmcnt(0)
	v_mul_hi_u32 v3, s13, v1
	s_add_u32 s6, s6, 8
	s_addc_u32 s7, s7, 0
	s_add_i32 s10, s10, -1
	v_add_u32_e32 v3, v1, v3
	v_lshrrev_b32_e32 v3, s11, v3
	v_mul_lo_u32 v5, v3, s12
	s_cmp_lg_u32 s10, 0
	v_sub_u32_e32 v1, v1, v5
	v_mad_u64_u32 v[16:17], s[12:13], v1, s14, v[16:17]
	v_mad_u64_u32 v[11:12], s[12:13], v1, s15, v[11:12]
	v_mov_b32_e32 v1, v3
	s_cbranch_scc1 .LBB308_605
.LBB308_606:
	s_cbranch_execnz .LBB308_609
.LBB308_607:
	s_load_dwordx4 s[8:11], s[48:49], 0x4
	s_load_dwordx2 s[6:7], s[48:49], 0xc4
	s_cmp_lt_u32 s33, 2
	s_waitcnt lgkmcnt(0)
	v_mul_hi_u32 v1, s9, v0
	v_add_u32_e32 v1, v0, v1
	v_lshrrev_b32_e32 v1, s10, v1
	v_mul_lo_u32 v3, v1, s8
	v_sub_u32_e32 v0, v0, v3
	v_mul_lo_u32 v16, v0, s6
	v_mul_lo_u32 v11, v0, s7
	s_cbranch_scc1 .LBB308_609
; %bb.608:
	s_load_dwordx4 s[8:11], s[48:49], 0x10
	s_load_dwordx2 s[6:7], s[48:49], 0xcc
	s_waitcnt lgkmcnt(0)
	v_mul_hi_u32 v0, s9, v1
	v_add_u32_e32 v0, v1, v0
	v_lshrrev_b32_e32 v0, s10, v0
	v_mul_lo_u32 v0, v0, s8
	v_sub_u32_e32 v0, v1, v0
	v_mad_u64_u32 v[16:17], s[8:9], v0, s6, v[16:17]
	v_mad_u64_u32 v[11:12], s[6:7], v0, s7, v[11:12]
.LBB308_609:
	s_and_b64 vcc, exec, s[4:5]
	s_cbranch_vccnz .LBB308_615
; %bb.610:
	s_cmp_lg_u32 s33, 0
	s_mov_b32 s28, 0
	s_cbranch_scc0 .LBB308_616
; %bb.611:
	s_min_u32 s29, s80, 15
	s_add_i32 s29, s29, 1
	s_cmp_eq_u32 s80, 2
	s_cbranch_scc1 .LBB308_617
; %bb.612:
	s_and_b32 s28, s29, 28
	s_add_u32 s24, s48, 0xc4
	s_addc_u32 s25, s49, 0
	v_mov_b32_e32 v12, 0
	s_mov_b32 s30, 0
	s_mov_b64 s[26:27], s[48:49]
	v_mov_b32_e32 v14, 0
	v_mov_b32_e32 v0, v2
.LBB308_613:                            ; =>This Inner Loop Header: Depth=1
	s_load_dwordx8 s[12:19], s[26:27], 0x4
	s_load_dwordx4 s[20:23], s[26:27], 0x24
	s_load_dwordx8 s[4:11], s[24:25], 0x0
	s_add_u32 s26, s26, 48
	s_addc_u32 s27, s27, 0
	s_waitcnt lgkmcnt(0)
	v_mul_hi_u32 v1, s13, v0
	s_add_i32 s30, s30, 4
	s_add_u32 s24, s24, 32
	s_addc_u32 s25, s25, 0
	v_add_u32_e32 v1, v0, v1
	v_lshrrev_b32_e32 v1, s14, v1
	v_mul_lo_u32 v3, v1, s12
	v_mul_hi_u32 v5, s16, v1
	s_cmp_lg_u32 s28, s30
	v_sub_u32_e32 v0, v0, v3
	v_add_u32_e32 v3, v1, v5
	v_mul_lo_u32 v5, v0, s4
	v_mul_lo_u32 v6, v0, s5
	v_lshrrev_b32_e32 v0, s17, v3
	v_mul_lo_u32 v3, v0, s15
	v_mul_hi_u32 v7, s19, v0
	v_sub_u32_e32 v1, v1, v3
	v_add_u32_e32 v3, v0, v7
	v_lshrrev_b32_e32 v3, s20, v3
	v_mul_hi_u32 v8, s22, v3
	v_mul_lo_u32 v9, v3, s18
	v_mul_lo_u32 v7, v1, s6
	;; [unrolled: 1-line block ×3, first 2 shown]
	v_sub_u32_e32 v9, v0, v9
	v_add_u32_e32 v0, v3, v8
	v_lshrrev_b32_e32 v0, s23, v0
	v_mul_lo_u32 v8, v0, s21
	v_mul_lo_u32 v13, v9, s8
	v_mul_lo_u32 v9, v9, s9
	v_add3_u32 v5, v5, v14, v7
	v_sub_u32_e32 v3, v3, v8
	v_mul_lo_u32 v8, v3, s10
	v_mul_lo_u32 v3, v3, s11
	v_add3_u32 v1, v6, v12, v1
	v_add3_u32 v14, v13, v5, v8
	;; [unrolled: 1-line block ×3, first 2 shown]
	s_cbranch_scc1 .LBB308_613
; %bb.614:
	s_and_b32 s8, s29, 3
	s_cmp_eq_u32 s8, 0
	s_cbranch_scc0 .LBB308_618
	s_branch .LBB308_620
.LBB308_615:
                                        ; implicit-def: $vgpr14
                                        ; implicit-def: $vgpr12
	s_branch .LBB308_621
.LBB308_616:
	v_mov_b32_e32 v14, 0
	v_mov_b32_e32 v12, 0
	s_branch .LBB308_620
.LBB308_617:
	v_mov_b32_e32 v14, 0
	v_mov_b32_e32 v12, 0
	;; [unrolled: 1-line block ×3, first 2 shown]
	s_and_b32 s8, s29, 3
	s_cmp_eq_u32 s8, 0
	s_cbranch_scc1 .LBB308_620
.LBB308_618:
	s_lshl_b32 s4, s28, 3
	s_add_u32 s4, s48, s4
	s_addc_u32 s5, s49, 0
	s_add_u32 s4, s4, 0xc4
	s_addc_u32 s5, s5, 0
	s_mul_i32 s6, s28, 12
	s_add_u32 s6, s48, s6
	s_addc_u32 s7, s49, 0
.LBB308_619:                            ; =>This Inner Loop Header: Depth=1
	s_load_dwordx2 s[10:11], s[6:7], 0x4
	s_load_dword s9, s[6:7], 0xc
	s_load_dwordx2 s[12:13], s[4:5], 0x0
	s_add_u32 s6, s6, 12
	s_addc_u32 s7, s7, 0
	s_waitcnt lgkmcnt(0)
	v_mul_hi_u32 v1, s11, v0
	s_add_u32 s4, s4, 8
	s_addc_u32 s5, s5, 0
	s_add_i32 s8, s8, -1
	v_add_u32_e32 v1, v0, v1
	v_lshrrev_b32_e32 v1, s9, v1
	v_mul_lo_u32 v3, v1, s10
	s_cmp_lg_u32 s8, 0
	v_sub_u32_e32 v0, v0, v3
	v_mad_u64_u32 v[14:15], s[10:11], v0, s12, v[14:15]
	v_mad_u64_u32 v[12:13], s[10:11], v0, s13, v[12:13]
	v_mov_b32_e32 v0, v1
	s_cbranch_scc1 .LBB308_619
.LBB308_620:
	s_cbranch_execnz .LBB308_623
.LBB308_621:
	s_load_dwordx4 s[4:7], s[48:49], 0x4
	s_load_dwordx2 s[8:9], s[48:49], 0xc4
	s_cmp_lt_u32 s33, 2
	s_waitcnt lgkmcnt(0)
	v_mul_hi_u32 v0, s5, v2
	v_add_u32_e32 v0, v2, v0
	v_lshrrev_b32_e32 v0, s6, v0
	v_mul_lo_u32 v1, v0, s4
	v_sub_u32_e32 v1, v2, v1
	v_mul_lo_u32 v14, v1, s8
	v_mul_lo_u32 v12, v1, s9
	s_cbranch_scc1 .LBB308_623
; %bb.622:
	s_load_dwordx4 s[4:7], s[48:49], 0x10
	s_load_dwordx2 s[8:9], s[48:49], 0xcc
	s_waitcnt lgkmcnt(0)
	v_mul_hi_u32 v1, s5, v0
	v_add_u32_e32 v1, v0, v1
	v_lshrrev_b32_e32 v1, s6, v1
	v_mul_lo_u32 v1, v1, s4
	v_sub_u32_e32 v0, v0, v1
	v_mad_u64_u32 v[14:15], s[4:5], v0, s8, v[14:15]
	v_mad_u64_u32 v[12:13], s[4:5], v0, s9, v[12:13]
.LBB308_623:
	s_load_dword s4, s[34:35], 0x168
	s_load_dwordx2 s[50:51], s[48:49], 0x158
	s_load_dwordx4 s[40:43], s[48:49], 0x148
	s_getpc_b64 s[52:53]
	s_add_u32 s52, s52, _ZN2at6native6invokeINS0_13AUnaryFunctorIN3c1015Float8_e4m3fnuzES4_bNS0_12_GLOBAL__N_116CompareEqFunctorIS4_EEEEj15function_traitsIS8_EEENT1_11result_typeERKT_PrKPcPKT0_PKNS3_10ScalarTypeEi@rel32@lo+4
	s_addc_u32 s53, s53, _ZN2at6native6invokeINS0_13AUnaryFunctorIN3c1015Float8_e4m3fnuzES4_bNS0_12_GLOBAL__N_116CompareEqFunctorIS4_EEEEj15function_traitsIS8_EEENT1_11result_typeERKT_PrKPcPKT0_PKNS3_10ScalarTypeEi@rel32@hi+12
	s_waitcnt lgkmcnt(0)
	s_lshr_b32 s33, s4, 8
	v_mov_b32_e32 v0, s50
	v_mov_b32_e32 v1, s51
	v_mov_b32_e32 v2, s42
	v_mov_b32_e32 v3, s43
	v_mov_b32_e32 v5, s33
	s_swappc_b64 s[30:31], s[52:53]
	v_and_b32_e32 v0, 1, v0
	v_cmp_eq_u32_e64 s[38:39], 1, v0
	v_mov_b32_e32 v0, s50
	v_mov_b32_e32 v1, s51
	v_mov_b32_e32 v2, s42
	v_mov_b32_e32 v3, s43
	v_mov_b32_e32 v4, v10
	v_mov_b32_e32 v5, s33
	s_swappc_b64 s[30:31], s[52:53]
	v_and_b32_e32 v0, 1, v0
	v_cmp_eq_u32_e64 s[36:37], 1, v0
	v_mov_b32_e32 v0, s50
	;; [unrolled: 9-line block ×3, first 2 shown]
	v_mov_b32_e32 v1, s51
	v_mov_b32_e32 v2, s42
	;; [unrolled: 1-line block ×5, first 2 shown]
	s_swappc_b64 s[30:31], s[52:53]
	s_load_dword s4, s[48:49], 0x160
	v_and_b32_e32 v0, 1, v0
	v_cmp_eq_u32_e64 s[6:7], 1, v0
	v_mov_b32_e32 v1, s41
	v_add_co_u32_e32 v0, vcc, s40, v20
	s_waitcnt lgkmcnt(0)
	s_and_b32 s18, s4, 0xff
	s_cmp_lt_i32 s18, 11
	v_addc_co_u32_e32 v1, vcc, 0, v1, vcc
	s_cbranch_scc1 .LBB308_702
; %bb.624:
	s_and_b32 s16, 0xffff, s18
	s_mov_b64 s[8:9], -1
	s_mov_b64 s[10:11], 0
	s_cmp_gt_i32 s16, 25
	s_mov_b64 s[12:13], 0
	s_mov_b64 s[4:5], 0
	s_cbranch_scc0 .LBB308_657
; %bb.625:
	s_cmp_gt_i32 s16, 28
	s_cbranch_scc0 .LBB308_640
; %bb.626:
	s_cmp_gt_i32 s16, 43
	;; [unrolled: 3-line block ×3, first 2 shown]
	s_cbranch_scc0 .LBB308_630
; %bb.628:
	s_mov_b64 s[4:5], -1
	s_mov_b64 s[8:9], 0
	s_cmp_eq_u32 s16, 46
	s_cbranch_scc0 .LBB308_630
; %bb.629:
	v_cndmask_b32_e64 v2, 0, 1.0, s[38:39]
	v_bfe_u32 v3, v2, 16, 1
	s_movk_i32 s4, 0x7fff
	v_add3_u32 v2, v2, v3, s4
	v_lshrrev_b32_e32 v2, 16, v2
	global_store_dword v[0:1], v2, off
	s_mov_b64 s[4:5], 0
	s_mov_b64 s[12:13], -1
.LBB308_630:
	s_and_b64 vcc, exec, s[8:9]
	s_cbranch_vccz .LBB308_635
; %bb.631:
	s_cmp_eq_u32 s16, 44
	s_mov_b64 s[4:5], -1
	s_cbranch_scc0 .LBB308_635
; %bb.632:
	v_cndmask_b32_e64 v3, 0, 1.0, s[38:39]
	v_lshrrev_b32_e32 v2, 23, v3
	s_movk_i32 s4, 0xff
	v_cmp_ne_u32_e32 vcc, s4, v2
	v_mov_b32_e32 v4, 0xff
	s_and_saveexec_b64 s[8:9], vcc
; %bb.633:
	s_mov_b32 s4, 0x3fffff
	v_and_b32_e32 v4, 0x400000, v3
	v_and_or_b32 v3, v3, s4, v2
	v_cmp_ne_u32_e32 vcc, 0, v4
	v_cmp_ne_u32_e64 s[4:5], 0, v3
	s_and_b64 s[4:5], vcc, s[4:5]
	v_cndmask_b32_e64 v3, 0, 1, s[4:5]
	v_add_u32_e32 v4, v2, v3
; %bb.634:
	s_or_b64 exec, exec, s[8:9]
	s_mov_b64 s[4:5], 0
	s_mov_b64 s[12:13], -1
	global_store_byte v[0:1], v4, off
.LBB308_635:
	s_mov_b64 s[8:9], 0
.LBB308_636:
	s_and_b64 vcc, exec, s[8:9]
	s_cbranch_vccz .LBB308_639
; %bb.637:
	s_cmp_eq_u32 s16, 29
	s_mov_b64 s[4:5], -1
	s_cbranch_scc0 .LBB308_639
; %bb.638:
	s_mov_b32 s4, 0
	v_cndmask_b32_e64 v2, 0, 1, s[38:39]
	v_mov_b32_e32 v3, s4
	global_store_dwordx2 v[0:1], v[2:3], off
	s_mov_b64 s[4:5], 0
	s_mov_b64 s[12:13], -1
.LBB308_639:
	s_mov_b64 s[8:9], 0
.LBB308_640:
	s_and_b64 vcc, exec, s[8:9]
	s_cbranch_vccz .LBB308_656
; %bb.641:
	s_cmp_lt_i32 s16, 27
	s_mov_b64 s[8:9], -1
	s_cbranch_scc1 .LBB308_647
; %bb.642:
	s_cmp_gt_i32 s16, 27
	s_cbranch_scc0 .LBB308_644
; %bb.643:
	v_cndmask_b32_e64 v2, 0, 1, s[38:39]
	s_mov_b64 s[8:9], 0
	global_store_dword v[0:1], v2, off
.LBB308_644:
	s_andn2_b64 vcc, exec, s[8:9]
	s_cbranch_vccnz .LBB308_646
; %bb.645:
	v_cndmask_b32_e64 v2, 0, 1, s[38:39]
	global_store_short v[0:1], v2, off
.LBB308_646:
	s_mov_b64 s[8:9], 0
.LBB308_647:
	s_andn2_b64 vcc, exec, s[8:9]
	s_cbranch_vccnz .LBB308_655
; %bb.648:
	v_cndmask_b32_e64 v3, 0, 1.0, s[38:39]
	s_mov_b32 s8, 0x43800000
	v_cmp_gt_u32_e32 vcc, s8, v3
	v_mov_b32_e32 v4, 0x80
	s_and_saveexec_b64 s[8:9], vcc
	s_cbranch_execz .LBB308_654
; %bb.649:
	s_mov_b32 s12, 0x3bffffff
	v_cmp_lt_u32_e32 vcc, s12, v3
	s_mov_b64 s[12:13], 0
                                        ; implicit-def: $vgpr2
	s_and_saveexec_b64 s[14:15], vcc
	s_xor_b64 s[14:15], exec, s[14:15]
	s_cbranch_execz .LBB308_1099
; %bb.650:
	v_bfe_u32 v2, v3, 20, 1
	s_mov_b32 s17, 0x487ffff
	v_add3_u32 v2, v3, v2, s17
	s_mov_b64 s[12:13], exec
	v_lshrrev_b32_e32 v2, 20, v2
                                        ; implicit-def: $vgpr3
	s_andn2_saveexec_b64 s[14:15], s[14:15]
	s_cbranch_execnz .LBB308_1100
.LBB308_651:
	s_or_b64 exec, exec, s[14:15]
	v_mov_b32_e32 v4, 0
	s_and_saveexec_b64 s[14:15], s[12:13]
.LBB308_652:
	v_mov_b32_e32 v4, v2
.LBB308_653:
	s_or_b64 exec, exec, s[14:15]
.LBB308_654:
	s_or_b64 exec, exec, s[8:9]
	global_store_byte v[0:1], v4, off
.LBB308_655:
	s_mov_b64 s[12:13], -1
.LBB308_656:
	s_mov_b64 s[8:9], 0
.LBB308_657:
	s_and_b64 vcc, exec, s[8:9]
	s_cbranch_vccz .LBB308_697
; %bb.658:
	s_cmp_gt_i32 s16, 22
	s_mov_b64 s[8:9], -1
	s_cbranch_scc0 .LBB308_690
; %bb.659:
	s_cmp_lt_i32 s16, 24
	s_cbranch_scc1 .LBB308_679
; %bb.660:
	s_cmp_gt_i32 s16, 24
	s_cbranch_scc0 .LBB308_668
; %bb.661:
	v_cndmask_b32_e64 v3, 0, 1.0, s[38:39]
	s_mov_b32 s8, 0x47800000
	v_cmp_gt_u32_e32 vcc, s8, v3
	v_mov_b32_e32 v4, 0x80
	s_and_saveexec_b64 s[8:9], vcc
	s_cbranch_execz .LBB308_667
; %bb.662:
	s_mov_b32 s10, 0x37ffffff
	v_cmp_lt_u32_e32 vcc, s10, v3
	s_mov_b64 s[10:11], 0
                                        ; implicit-def: $vgpr2
	s_and_saveexec_b64 s[12:13], vcc
	s_xor_b64 s[12:13], exec, s[12:13]
	s_cbranch_execz .LBB308_1102
; %bb.663:
	v_bfe_u32 v2, v3, 21, 1
	s_mov_b32 s14, 0x88fffff
	v_add3_u32 v2, v3, v2, s14
	s_mov_b64 s[10:11], exec
	v_lshrrev_b32_e32 v2, 21, v2
                                        ; implicit-def: $vgpr3
	s_andn2_saveexec_b64 s[12:13], s[12:13]
	s_cbranch_execnz .LBB308_1103
.LBB308_664:
	s_or_b64 exec, exec, s[12:13]
	v_mov_b32_e32 v4, 0
	s_and_saveexec_b64 s[12:13], s[10:11]
.LBB308_665:
	v_mov_b32_e32 v4, v2
.LBB308_666:
	s_or_b64 exec, exec, s[12:13]
.LBB308_667:
	s_or_b64 exec, exec, s[8:9]
	s_mov_b64 s[8:9], 0
	global_store_byte v[0:1], v4, off
.LBB308_668:
	s_and_b64 vcc, exec, s[8:9]
	s_cbranch_vccz .LBB308_678
; %bb.669:
	v_cndmask_b32_e64 v2, 0, 1.0, s[38:39]
	s_mov_b32 s8, 0x43f00000
	v_cmp_gt_u32_e32 vcc, s8, v2
                                        ; implicit-def: $vgpr3
	s_and_saveexec_b64 s[8:9], vcc
	s_xor_b64 s[8:9], exec, s[8:9]
	s_cbranch_execz .LBB308_675
; %bb.670:
	s_mov_b32 s10, 0x3c7fffff
	v_cmp_lt_u32_e32 vcc, s10, v2
                                        ; implicit-def: $vgpr3
	s_and_saveexec_b64 s[10:11], vcc
	s_xor_b64 s[10:11], exec, s[10:11]
; %bb.671:
	v_bfe_u32 v3, v2, 20, 1
	s_mov_b32 s12, 0x407ffff
	v_add3_u32 v2, v2, v3, s12
	v_lshrrev_b32_e32 v3, 20, v2
	v_and_b32_e32 v2, 0xff00000, v2
	s_mov_b32 s12, 0x7f00000
	v_mov_b32_e32 v4, 0x7e
	v_cmp_ne_u32_e32 vcc, s12, v2
	v_cndmask_b32_e32 v3, v4, v3, vcc
                                        ; implicit-def: $vgpr2
; %bb.672:
	s_andn2_saveexec_b64 s[10:11], s[10:11]
; %bb.673:
	v_add_f32_e32 v3, 0x46800000, v2
; %bb.674:
	s_or_b64 exec, exec, s[10:11]
                                        ; implicit-def: $vgpr2
.LBB308_675:
	s_andn2_saveexec_b64 s[8:9], s[8:9]
; %bb.676:
	s_mov_b32 s10, 0x7f800000
	v_mov_b32_e32 v3, 0x7e
	v_mov_b32_e32 v4, 0x7f
	v_cmp_lt_u32_e32 vcc, s10, v2
	v_cndmask_b32_e32 v3, v3, v4, vcc
; %bb.677:
	s_or_b64 exec, exec, s[8:9]
	global_store_byte v[0:1], v3, off
.LBB308_678:
	s_mov_b64 s[8:9], 0
.LBB308_679:
	s_andn2_b64 vcc, exec, s[8:9]
	s_cbranch_vccnz .LBB308_689
; %bb.680:
	v_cndmask_b32_e64 v2, 0, 1.0, s[38:39]
	s_mov_b32 s8, 0x47800000
	v_cmp_gt_u32_e32 vcc, s8, v2
                                        ; implicit-def: $vgpr3
	s_and_saveexec_b64 s[8:9], vcc
	s_xor_b64 s[8:9], exec, s[8:9]
	s_cbranch_execz .LBB308_686
; %bb.681:
	s_mov_b32 s10, 0x387fffff
	v_cmp_lt_u32_e32 vcc, s10, v2
                                        ; implicit-def: $vgpr3
	s_and_saveexec_b64 s[10:11], vcc
	s_xor_b64 s[10:11], exec, s[10:11]
; %bb.682:
	v_bfe_u32 v3, v2, 21, 1
	s_mov_b32 s12, 0x80fffff
	v_add3_u32 v2, v2, v3, s12
	v_lshrrev_b32_e32 v3, 21, v2
                                        ; implicit-def: $vgpr2
; %bb.683:
	s_andn2_saveexec_b64 s[10:11], s[10:11]
; %bb.684:
	v_add_f32_e32 v3, 0x43000000, v2
; %bb.685:
	s_or_b64 exec, exec, s[10:11]
                                        ; implicit-def: $vgpr2
.LBB308_686:
	s_andn2_saveexec_b64 s[8:9], s[8:9]
; %bb.687:
	s_mov_b32 s10, 0x7f800000
	v_mov_b32_e32 v3, 0x7c
	v_mov_b32_e32 v4, 0x7f
	v_cmp_lt_u32_e32 vcc, s10, v2
	v_cndmask_b32_e32 v3, v3, v4, vcc
; %bb.688:
	s_or_b64 exec, exec, s[8:9]
	global_store_byte v[0:1], v3, off
.LBB308_689:
	s_mov_b64 s[8:9], 0
	s_mov_b64 s[12:13], -1
.LBB308_690:
	s_andn2_b64 vcc, exec, s[8:9]
	s_mov_b64 s[10:11], 0
	s_cbranch_vccnz .LBB308_697
; %bb.691:
	s_cmp_gt_i32 s16, 14
	s_mov_b64 s[8:9], -1
	s_cbranch_scc0 .LBB308_695
; %bb.692:
	s_cmp_eq_u32 s16, 15
	s_mov_b64 s[4:5], -1
	s_cbranch_scc0 .LBB308_694
; %bb.693:
	v_cndmask_b32_e64 v2, 0, 1.0, s[38:39]
	v_bfe_u32 v3, v2, 16, 1
	s_movk_i32 s4, 0x7fff
	v_add3_u32 v2, v2, v3, s4
	global_store_short_d16_hi v[0:1], v2, off
	s_mov_b64 s[4:5], 0
	s_mov_b64 s[12:13], -1
.LBB308_694:
	s_mov_b64 s[8:9], 0
.LBB308_695:
	s_and_b64 vcc, exec, s[8:9]
	s_cbranch_vccz .LBB308_697
; %bb.696:
	s_cmp_lg_u32 s16, 11
	s_mov_b64 s[10:11], -1
	s_cselect_b64 s[4:5], -1, 0
.LBB308_697:
	s_and_b64 vcc, exec, s[4:5]
	s_mov_b64 s[8:9], s[44:45]
	s_cbranch_vccnz .LBB308_1101
; %bb.698:
	s_andn2_b64 vcc, exec, s[10:11]
	s_cbranch_vccnz .LBB308_700
.LBB308_699:
	v_cndmask_b32_e64 v2, 0, 1, s[38:39]
	global_store_byte v[0:1], v2, off
	s_mov_b64 s[12:13], -1
.LBB308_700:
.LBB308_701:
	s_andn2_b64 vcc, exec, s[12:13]
	s_cbranch_vccz .LBB308_741
	s_branch .LBB308_1053
.LBB308_702:
	s_mov_b64 s[12:13], 0
	s_mov_b64 s[8:9], s[44:45]
	s_cbranch_execz .LBB308_701
; %bb.703:
	s_and_b32 s10, 0xffff, s18
	s_cmp_lt_i32 s10, 5
	s_mov_b64 s[4:5], -1
	s_cbranch_scc1 .LBB308_724
; %bb.704:
	s_cmp_lt_i32 s10, 8
	s_cbranch_scc1 .LBB308_714
; %bb.705:
	s_cmp_lt_i32 s10, 9
	s_cbranch_scc1 .LBB308_711
; %bb.706:
	s_cmp_gt_i32 s10, 9
	s_cbranch_scc0 .LBB308_708
; %bb.707:
	v_cndmask_b32_e64 v2, 0, 1, s[38:39]
	v_cvt_f64_u32_e32 v[2:3], v2
	v_mov_b32_e32 v4, 0
	v_mov_b32_e32 v5, v4
	s_mov_b64 s[4:5], 0
	global_store_dwordx4 v[0:1], v[2:5], off
.LBB308_708:
	s_andn2_b64 vcc, exec, s[4:5]
	s_cbranch_vccnz .LBB308_710
; %bb.709:
	v_cndmask_b32_e64 v2, 0, 1.0, s[38:39]
	v_mov_b32_e32 v3, 0
	global_store_dwordx2 v[0:1], v[2:3], off
.LBB308_710:
	s_mov_b64 s[4:5], 0
.LBB308_711:
	s_andn2_b64 vcc, exec, s[4:5]
	s_cbranch_vccnz .LBB308_713
; %bb.712:
	v_cndmask_b32_e64 v2, 0, 1.0, s[38:39]
	v_cvt_f16_f32_e32 v2, v2
	global_store_dword v[0:1], v2, off
.LBB308_713:
	s_mov_b64 s[4:5], 0
.LBB308_714:
	s_andn2_b64 vcc, exec, s[4:5]
	s_cbranch_vccnz .LBB308_723
; %bb.715:
	s_cmp_lt_i32 s10, 6
	s_mov_b64 s[4:5], -1
	s_cbranch_scc1 .LBB308_721
; %bb.716:
	s_cmp_gt_i32 s10, 6
	s_cbranch_scc0 .LBB308_718
; %bb.717:
	v_cndmask_b32_e64 v2, 0, 1, s[38:39]
	v_cvt_f64_u32_e32 v[2:3], v2
	s_mov_b64 s[4:5], 0
	global_store_dwordx2 v[0:1], v[2:3], off
.LBB308_718:
	s_andn2_b64 vcc, exec, s[4:5]
	s_cbranch_vccnz .LBB308_720
; %bb.719:
	v_cndmask_b32_e64 v2, 0, 1.0, s[38:39]
	global_store_dword v[0:1], v2, off
.LBB308_720:
	s_mov_b64 s[4:5], 0
.LBB308_721:
	s_andn2_b64 vcc, exec, s[4:5]
	s_cbranch_vccnz .LBB308_723
; %bb.722:
	v_cndmask_b32_e64 v2, 0, 1.0, s[38:39]
	v_cvt_f16_f32_e32 v2, v2
	global_store_short v[0:1], v2, off
.LBB308_723:
	s_mov_b64 s[4:5], 0
.LBB308_724:
	s_andn2_b64 vcc, exec, s[4:5]
	s_cbranch_vccnz .LBB308_740
; %bb.725:
	s_cmp_lt_i32 s10, 2
	s_mov_b64 s[4:5], -1
	s_cbranch_scc1 .LBB308_735
; %bb.726:
	s_cmp_lt_i32 s10, 3
	s_cbranch_scc1 .LBB308_732
; %bb.727:
	s_cmp_gt_i32 s10, 3
	s_cbranch_scc0 .LBB308_729
; %bb.728:
	s_mov_b32 s4, 0
	v_cndmask_b32_e64 v2, 0, 1, s[38:39]
	v_mov_b32_e32 v3, s4
	global_store_dwordx2 v[0:1], v[2:3], off
	s_mov_b64 s[4:5], 0
.LBB308_729:
	s_andn2_b64 vcc, exec, s[4:5]
	s_cbranch_vccnz .LBB308_731
; %bb.730:
	v_cndmask_b32_e64 v2, 0, 1, s[38:39]
	global_store_dword v[0:1], v2, off
.LBB308_731:
	s_mov_b64 s[4:5], 0
.LBB308_732:
	s_andn2_b64 vcc, exec, s[4:5]
	s_cbranch_vccnz .LBB308_734
; %bb.733:
	v_cndmask_b32_e64 v2, 0, 1, s[38:39]
	global_store_short v[0:1], v2, off
.LBB308_734:
	s_mov_b64 s[4:5], 0
.LBB308_735:
	s_andn2_b64 vcc, exec, s[4:5]
	s_cbranch_vccnz .LBB308_740
; %bb.736:
	s_cmp_gt_i32 s10, 0
	s_mov_b64 s[4:5], -1
	s_cbranch_scc0 .LBB308_738
; %bb.737:
	v_cndmask_b32_e64 v2, 0, 1, s[38:39]
	global_store_byte v[0:1], v2, off
	s_mov_b64 s[4:5], 0
.LBB308_738:
	s_andn2_b64 vcc, exec, s[4:5]
	s_cbranch_vccnz .LBB308_740
; %bb.739:
	v_cndmask_b32_e64 v2, 0, 1, s[38:39]
	global_store_byte v[0:1], v2, off
.LBB308_740:
.LBB308_741:
	v_mov_b32_e32 v1, s41
	s_and_b32 s19, 0xffff, s18
	v_add_co_u32_e32 v0, vcc, s40, v18
	s_cmp_lt_i32 s19, 11
	v_addc_co_u32_e32 v1, vcc, 0, v1, vcc
	s_cbranch_scc1 .LBB308_820
; %bb.742:
	s_mov_b64 s[14:15], -1
	s_mov_b64 s[10:11], 0
	s_cmp_gt_i32 s19, 25
	s_mov_b64 s[12:13], 0
	s_mov_b64 s[4:5], 0
	s_cbranch_scc0 .LBB308_775
; %bb.743:
	s_cmp_gt_i32 s19, 28
	s_cbranch_scc0 .LBB308_758
; %bb.744:
	s_cmp_gt_i32 s19, 43
	;; [unrolled: 3-line block ×3, first 2 shown]
	s_cbranch_scc0 .LBB308_748
; %bb.746:
	s_mov_b64 s[4:5], -1
	s_mov_b64 s[14:15], 0
	s_cmp_eq_u32 s19, 46
	s_cbranch_scc0 .LBB308_748
; %bb.747:
	v_cndmask_b32_e64 v2, 0, 1.0, s[36:37]
	v_bfe_u32 v3, v2, 16, 1
	s_movk_i32 s4, 0x7fff
	v_add3_u32 v2, v2, v3, s4
	v_lshrrev_b32_e32 v2, 16, v2
	global_store_dword v[0:1], v2, off
	s_mov_b64 s[4:5], 0
	s_mov_b64 s[12:13], -1
.LBB308_748:
	s_and_b64 vcc, exec, s[14:15]
	s_cbranch_vccz .LBB308_753
; %bb.749:
	s_cmp_eq_u32 s19, 44
	s_mov_b64 s[4:5], -1
	s_cbranch_scc0 .LBB308_753
; %bb.750:
	v_cndmask_b32_e64 v3, 0, 1.0, s[36:37]
	v_lshrrev_b32_e32 v2, 23, v3
	s_movk_i32 s4, 0xff
	v_cmp_ne_u32_e32 vcc, s4, v2
	v_mov_b32_e32 v4, 0xff
	s_and_saveexec_b64 s[12:13], vcc
; %bb.751:
	s_mov_b32 s4, 0x3fffff
	v_and_b32_e32 v4, 0x400000, v3
	v_and_or_b32 v3, v3, s4, v2
	v_cmp_ne_u32_e32 vcc, 0, v4
	v_cmp_ne_u32_e64 s[4:5], 0, v3
	s_and_b64 s[4:5], vcc, s[4:5]
	v_cndmask_b32_e64 v3, 0, 1, s[4:5]
	v_add_u32_e32 v4, v2, v3
; %bb.752:
	s_or_b64 exec, exec, s[12:13]
	s_mov_b64 s[4:5], 0
	s_mov_b64 s[12:13], -1
	global_store_byte v[0:1], v4, off
.LBB308_753:
	s_mov_b64 s[14:15], 0
.LBB308_754:
	s_and_b64 vcc, exec, s[14:15]
	s_cbranch_vccz .LBB308_757
; %bb.755:
	s_cmp_eq_u32 s19, 29
	s_mov_b64 s[4:5], -1
	s_cbranch_scc0 .LBB308_757
; %bb.756:
	s_mov_b32 s4, 0
	v_cndmask_b32_e64 v2, 0, 1, s[36:37]
	v_mov_b32_e32 v3, s4
	global_store_dwordx2 v[0:1], v[2:3], off
	s_mov_b64 s[4:5], 0
	s_mov_b64 s[12:13], -1
.LBB308_757:
	s_mov_b64 s[14:15], 0
.LBB308_758:
	s_and_b64 vcc, exec, s[14:15]
	s_cbranch_vccz .LBB308_774
; %bb.759:
	s_cmp_lt_i32 s19, 27
	s_mov_b64 s[12:13], -1
	s_cbranch_scc1 .LBB308_765
; %bb.760:
	s_cmp_gt_i32 s19, 27
	s_cbranch_scc0 .LBB308_762
; %bb.761:
	v_cndmask_b32_e64 v2, 0, 1, s[36:37]
	s_mov_b64 s[12:13], 0
	global_store_dword v[0:1], v2, off
.LBB308_762:
	s_andn2_b64 vcc, exec, s[12:13]
	s_cbranch_vccnz .LBB308_764
; %bb.763:
	v_cndmask_b32_e64 v2, 0, 1, s[36:37]
	global_store_short v[0:1], v2, off
.LBB308_764:
	s_mov_b64 s[12:13], 0
.LBB308_765:
	s_andn2_b64 vcc, exec, s[12:13]
	s_cbranch_vccnz .LBB308_773
; %bb.766:
	v_cndmask_b32_e64 v3, 0, 1.0, s[36:37]
	s_mov_b32 s12, 0x43800000
	v_cmp_gt_u32_e32 vcc, s12, v3
	v_mov_b32_e32 v4, 0x80
	s_and_saveexec_b64 s[12:13], vcc
	s_cbranch_execz .LBB308_772
; %bb.767:
	s_mov_b32 s14, 0x3bffffff
	v_cmp_lt_u32_e32 vcc, s14, v3
	s_mov_b64 s[14:15], 0
                                        ; implicit-def: $vgpr2
	s_and_saveexec_b64 s[16:17], vcc
	s_xor_b64 s[16:17], exec, s[16:17]
	s_cbranch_execz .LBB308_1104
; %bb.768:
	v_bfe_u32 v2, v3, 20, 1
	s_mov_b32 s20, 0x487ffff
	v_add3_u32 v2, v3, v2, s20
	s_mov_b64 s[14:15], exec
	v_lshrrev_b32_e32 v2, 20, v2
                                        ; implicit-def: $vgpr3
	s_andn2_saveexec_b64 s[16:17], s[16:17]
	s_cbranch_execnz .LBB308_1105
.LBB308_769:
	s_or_b64 exec, exec, s[16:17]
	v_mov_b32_e32 v4, 0
	s_and_saveexec_b64 s[16:17], s[14:15]
.LBB308_770:
	v_mov_b32_e32 v4, v2
.LBB308_771:
	s_or_b64 exec, exec, s[16:17]
.LBB308_772:
	s_or_b64 exec, exec, s[12:13]
	global_store_byte v[0:1], v4, off
.LBB308_773:
	s_mov_b64 s[12:13], -1
.LBB308_774:
	s_mov_b64 s[14:15], 0
.LBB308_775:
	s_and_b64 vcc, exec, s[14:15]
	s_cbranch_vccz .LBB308_815
; %bb.776:
	s_cmp_gt_i32 s19, 22
	s_mov_b64 s[10:11], -1
	s_cbranch_scc0 .LBB308_808
; %bb.777:
	s_cmp_lt_i32 s19, 24
	s_cbranch_scc1 .LBB308_797
; %bb.778:
	s_cmp_gt_i32 s19, 24
	s_cbranch_scc0 .LBB308_786
; %bb.779:
	v_cndmask_b32_e64 v3, 0, 1.0, s[36:37]
	s_mov_b32 s10, 0x47800000
	v_cmp_gt_u32_e32 vcc, s10, v3
	v_mov_b32_e32 v4, 0x80
	s_and_saveexec_b64 s[10:11], vcc
	s_cbranch_execz .LBB308_785
; %bb.780:
	s_mov_b32 s12, 0x37ffffff
	v_cmp_lt_u32_e32 vcc, s12, v3
	s_mov_b64 s[12:13], 0
                                        ; implicit-def: $vgpr2
	s_and_saveexec_b64 s[14:15], vcc
	s_xor_b64 s[14:15], exec, s[14:15]
	s_cbranch_execz .LBB308_1107
; %bb.781:
	v_bfe_u32 v2, v3, 21, 1
	s_mov_b32 s16, 0x88fffff
	v_add3_u32 v2, v3, v2, s16
	s_mov_b64 s[12:13], exec
	v_lshrrev_b32_e32 v2, 21, v2
                                        ; implicit-def: $vgpr3
	s_andn2_saveexec_b64 s[14:15], s[14:15]
	s_cbranch_execnz .LBB308_1108
.LBB308_782:
	s_or_b64 exec, exec, s[14:15]
	v_mov_b32_e32 v4, 0
	s_and_saveexec_b64 s[14:15], s[12:13]
.LBB308_783:
	v_mov_b32_e32 v4, v2
.LBB308_784:
	s_or_b64 exec, exec, s[14:15]
.LBB308_785:
	s_or_b64 exec, exec, s[10:11]
	s_mov_b64 s[10:11], 0
	global_store_byte v[0:1], v4, off
.LBB308_786:
	s_and_b64 vcc, exec, s[10:11]
	s_cbranch_vccz .LBB308_796
; %bb.787:
	v_cndmask_b32_e64 v2, 0, 1.0, s[36:37]
	s_mov_b32 s10, 0x43f00000
	v_cmp_gt_u32_e32 vcc, s10, v2
                                        ; implicit-def: $vgpr3
	s_and_saveexec_b64 s[10:11], vcc
	s_xor_b64 s[10:11], exec, s[10:11]
	s_cbranch_execz .LBB308_793
; %bb.788:
	s_mov_b32 s12, 0x3c7fffff
	v_cmp_lt_u32_e32 vcc, s12, v2
                                        ; implicit-def: $vgpr3
	s_and_saveexec_b64 s[12:13], vcc
	s_xor_b64 s[12:13], exec, s[12:13]
; %bb.789:
	v_bfe_u32 v3, v2, 20, 1
	s_mov_b32 s14, 0x407ffff
	v_add3_u32 v2, v2, v3, s14
	v_lshrrev_b32_e32 v3, 20, v2
	v_and_b32_e32 v2, 0xff00000, v2
	s_mov_b32 s14, 0x7f00000
	v_mov_b32_e32 v4, 0x7e
	v_cmp_ne_u32_e32 vcc, s14, v2
	v_cndmask_b32_e32 v3, v4, v3, vcc
                                        ; implicit-def: $vgpr2
; %bb.790:
	s_andn2_saveexec_b64 s[12:13], s[12:13]
; %bb.791:
	v_add_f32_e32 v3, 0x46800000, v2
; %bb.792:
	s_or_b64 exec, exec, s[12:13]
                                        ; implicit-def: $vgpr2
.LBB308_793:
	s_andn2_saveexec_b64 s[10:11], s[10:11]
; %bb.794:
	s_mov_b32 s12, 0x7f800000
	v_mov_b32_e32 v3, 0x7e
	v_mov_b32_e32 v4, 0x7f
	v_cmp_lt_u32_e32 vcc, s12, v2
	v_cndmask_b32_e32 v3, v3, v4, vcc
; %bb.795:
	s_or_b64 exec, exec, s[10:11]
	global_store_byte v[0:1], v3, off
.LBB308_796:
	s_mov_b64 s[10:11], 0
.LBB308_797:
	s_andn2_b64 vcc, exec, s[10:11]
	s_cbranch_vccnz .LBB308_807
; %bb.798:
	v_cndmask_b32_e64 v2, 0, 1.0, s[36:37]
	s_mov_b32 s10, 0x47800000
	v_cmp_gt_u32_e32 vcc, s10, v2
                                        ; implicit-def: $vgpr3
	s_and_saveexec_b64 s[10:11], vcc
	s_xor_b64 s[10:11], exec, s[10:11]
	s_cbranch_execz .LBB308_804
; %bb.799:
	s_mov_b32 s12, 0x387fffff
	v_cmp_lt_u32_e32 vcc, s12, v2
                                        ; implicit-def: $vgpr3
	s_and_saveexec_b64 s[12:13], vcc
	s_xor_b64 s[12:13], exec, s[12:13]
; %bb.800:
	v_bfe_u32 v3, v2, 21, 1
	s_mov_b32 s14, 0x80fffff
	v_add3_u32 v2, v2, v3, s14
	v_lshrrev_b32_e32 v3, 21, v2
                                        ; implicit-def: $vgpr2
; %bb.801:
	s_andn2_saveexec_b64 s[12:13], s[12:13]
; %bb.802:
	v_add_f32_e32 v3, 0x43000000, v2
; %bb.803:
	s_or_b64 exec, exec, s[12:13]
                                        ; implicit-def: $vgpr2
.LBB308_804:
	s_andn2_saveexec_b64 s[10:11], s[10:11]
; %bb.805:
	s_mov_b32 s12, 0x7f800000
	v_mov_b32_e32 v3, 0x7c
	v_mov_b32_e32 v4, 0x7f
	v_cmp_lt_u32_e32 vcc, s12, v2
	v_cndmask_b32_e32 v3, v3, v4, vcc
; %bb.806:
	s_or_b64 exec, exec, s[10:11]
	global_store_byte v[0:1], v3, off
.LBB308_807:
	s_mov_b64 s[10:11], 0
	s_mov_b64 s[12:13], -1
.LBB308_808:
	s_andn2_b64 vcc, exec, s[10:11]
	s_mov_b64 s[10:11], 0
	s_cbranch_vccnz .LBB308_815
; %bb.809:
	s_cmp_gt_i32 s19, 14
	s_mov_b64 s[14:15], -1
	s_cbranch_scc0 .LBB308_813
; %bb.810:
	s_cmp_eq_u32 s19, 15
	s_mov_b64 s[4:5], -1
	s_cbranch_scc0 .LBB308_812
; %bb.811:
	v_cndmask_b32_e64 v2, 0, 1.0, s[36:37]
	v_bfe_u32 v3, v2, 16, 1
	s_movk_i32 s4, 0x7fff
	v_add3_u32 v2, v2, v3, s4
	global_store_short_d16_hi v[0:1], v2, off
	s_mov_b64 s[4:5], 0
	s_mov_b64 s[12:13], -1
.LBB308_812:
	s_mov_b64 s[14:15], 0
.LBB308_813:
	s_and_b64 vcc, exec, s[14:15]
	s_cbranch_vccz .LBB308_815
; %bb.814:
	s_cmp_lg_u32 s19, 11
	s_mov_b64 s[10:11], -1
	s_cselect_b64 s[4:5], -1, 0
.LBB308_815:
	s_and_b64 vcc, exec, s[4:5]
	s_cbranch_vccnz .LBB308_1106
; %bb.816:
	s_andn2_b64 vcc, exec, s[10:11]
	s_cbranch_vccnz .LBB308_818
.LBB308_817:
	v_cndmask_b32_e64 v2, 0, 1, s[36:37]
	s_mov_b64 s[12:13], -1
	global_store_byte v[0:1], v2, off
.LBB308_818:
.LBB308_819:
	s_andn2_b64 vcc, exec, s[12:13]
	s_cbranch_vccz .LBB308_859
	s_branch .LBB308_1053
.LBB308_820:
	s_mov_b64 s[12:13], 0
	s_cbranch_execz .LBB308_819
; %bb.821:
	s_cmp_lt_i32 s19, 5
	s_mov_b64 s[4:5], -1
	s_cbranch_scc1 .LBB308_842
; %bb.822:
	s_cmp_lt_i32 s19, 8
	s_cbranch_scc1 .LBB308_832
; %bb.823:
	s_cmp_lt_i32 s19, 9
	s_cbranch_scc1 .LBB308_829
; %bb.824:
	s_cmp_gt_i32 s19, 9
	s_cbranch_scc0 .LBB308_826
; %bb.825:
	v_cndmask_b32_e64 v2, 0, 1, s[36:37]
	v_cvt_f64_u32_e32 v[2:3], v2
	v_mov_b32_e32 v4, 0
	v_mov_b32_e32 v5, v4
	s_mov_b64 s[4:5], 0
	global_store_dwordx4 v[0:1], v[2:5], off
.LBB308_826:
	s_andn2_b64 vcc, exec, s[4:5]
	s_cbranch_vccnz .LBB308_828
; %bb.827:
	v_cndmask_b32_e64 v2, 0, 1.0, s[36:37]
	v_mov_b32_e32 v3, 0
	global_store_dwordx2 v[0:1], v[2:3], off
.LBB308_828:
	s_mov_b64 s[4:5], 0
.LBB308_829:
	s_andn2_b64 vcc, exec, s[4:5]
	s_cbranch_vccnz .LBB308_831
; %bb.830:
	v_cndmask_b32_e64 v2, 0, 1.0, s[36:37]
	v_cvt_f16_f32_e32 v2, v2
	global_store_dword v[0:1], v2, off
.LBB308_831:
	s_mov_b64 s[4:5], 0
.LBB308_832:
	s_andn2_b64 vcc, exec, s[4:5]
	s_cbranch_vccnz .LBB308_841
; %bb.833:
	s_cmp_lt_i32 s19, 6
	s_mov_b64 s[4:5], -1
	s_cbranch_scc1 .LBB308_839
; %bb.834:
	s_cmp_gt_i32 s19, 6
	s_cbranch_scc0 .LBB308_836
; %bb.835:
	v_cndmask_b32_e64 v2, 0, 1, s[36:37]
	v_cvt_f64_u32_e32 v[2:3], v2
	s_mov_b64 s[4:5], 0
	global_store_dwordx2 v[0:1], v[2:3], off
.LBB308_836:
	s_andn2_b64 vcc, exec, s[4:5]
	s_cbranch_vccnz .LBB308_838
; %bb.837:
	v_cndmask_b32_e64 v2, 0, 1.0, s[36:37]
	global_store_dword v[0:1], v2, off
.LBB308_838:
	s_mov_b64 s[4:5], 0
.LBB308_839:
	s_andn2_b64 vcc, exec, s[4:5]
	s_cbranch_vccnz .LBB308_841
; %bb.840:
	v_cndmask_b32_e64 v2, 0, 1.0, s[36:37]
	v_cvt_f16_f32_e32 v2, v2
	global_store_short v[0:1], v2, off
.LBB308_841:
	s_mov_b64 s[4:5], 0
.LBB308_842:
	s_andn2_b64 vcc, exec, s[4:5]
	s_cbranch_vccnz .LBB308_858
; %bb.843:
	s_cmp_lt_i32 s19, 2
	s_mov_b64 s[4:5], -1
	s_cbranch_scc1 .LBB308_853
; %bb.844:
	s_cmp_lt_i32 s19, 3
	s_cbranch_scc1 .LBB308_850
; %bb.845:
	s_cmp_gt_i32 s19, 3
	s_cbranch_scc0 .LBB308_847
; %bb.846:
	s_mov_b32 s4, 0
	v_cndmask_b32_e64 v2, 0, 1, s[36:37]
	v_mov_b32_e32 v3, s4
	global_store_dwordx2 v[0:1], v[2:3], off
	s_mov_b64 s[4:5], 0
.LBB308_847:
	s_andn2_b64 vcc, exec, s[4:5]
	s_cbranch_vccnz .LBB308_849
; %bb.848:
	v_cndmask_b32_e64 v2, 0, 1, s[36:37]
	global_store_dword v[0:1], v2, off
.LBB308_849:
	s_mov_b64 s[4:5], 0
.LBB308_850:
	s_andn2_b64 vcc, exec, s[4:5]
	s_cbranch_vccnz .LBB308_852
; %bb.851:
	v_cndmask_b32_e64 v2, 0, 1, s[36:37]
	global_store_short v[0:1], v2, off
.LBB308_852:
	s_mov_b64 s[4:5], 0
.LBB308_853:
	s_andn2_b64 vcc, exec, s[4:5]
	s_cbranch_vccnz .LBB308_858
; %bb.854:
	s_cmp_gt_i32 s19, 0
	s_mov_b64 s[4:5], -1
	s_cbranch_scc0 .LBB308_856
; %bb.855:
	v_cndmask_b32_e64 v2, 0, 1, s[36:37]
	global_store_byte v[0:1], v2, off
	s_mov_b64 s[4:5], 0
.LBB308_856:
	s_andn2_b64 vcc, exec, s[4:5]
	s_cbranch_vccnz .LBB308_858
; %bb.857:
	v_cndmask_b32_e64 v2, 0, 1, s[36:37]
	global_store_byte v[0:1], v2, off
.LBB308_858:
.LBB308_859:
	v_mov_b32_e32 v1, s41
	v_add_co_u32_e32 v0, vcc, s40, v16
	s_cmp_lt_i32 s19, 11
	v_addc_co_u32_e32 v1, vcc, 0, v1, vcc
	s_cbranch_scc1 .LBB308_1014
; %bb.860:
	s_mov_b64 s[14:15], -1
	s_mov_b64 s[10:11], 0
	s_cmp_gt_i32 s19, 25
	s_mov_b64 s[12:13], 0
	s_mov_b64 s[4:5], 0
	s_cbranch_scc0 .LBB308_893
; %bb.861:
	s_cmp_gt_i32 s19, 28
	s_cbranch_scc0 .LBB308_876
; %bb.862:
	s_cmp_gt_i32 s19, 43
	;; [unrolled: 3-line block ×3, first 2 shown]
	s_cbranch_scc0 .LBB308_866
; %bb.864:
	s_mov_b64 s[4:5], -1
	s_mov_b64 s[14:15], 0
	s_cmp_eq_u32 s19, 46
	s_cbranch_scc0 .LBB308_866
; %bb.865:
	v_cndmask_b32_e64 v2, 0, 1.0, s[34:35]
	v_bfe_u32 v3, v2, 16, 1
	s_movk_i32 s4, 0x7fff
	v_add3_u32 v2, v2, v3, s4
	v_lshrrev_b32_e32 v2, 16, v2
	global_store_dword v[0:1], v2, off
	s_mov_b64 s[4:5], 0
	s_mov_b64 s[12:13], -1
.LBB308_866:
	s_and_b64 vcc, exec, s[14:15]
	s_cbranch_vccz .LBB308_871
; %bb.867:
	s_cmp_eq_u32 s19, 44
	s_mov_b64 s[4:5], -1
	s_cbranch_scc0 .LBB308_871
; %bb.868:
	v_cndmask_b32_e64 v3, 0, 1.0, s[34:35]
	v_lshrrev_b32_e32 v2, 23, v3
	s_movk_i32 s4, 0xff
	v_cmp_ne_u32_e32 vcc, s4, v2
	v_mov_b32_e32 v4, 0xff
	s_and_saveexec_b64 s[12:13], vcc
; %bb.869:
	s_mov_b32 s4, 0x3fffff
	v_and_b32_e32 v4, 0x400000, v3
	v_and_or_b32 v3, v3, s4, v2
	v_cmp_ne_u32_e32 vcc, 0, v4
	v_cmp_ne_u32_e64 s[4:5], 0, v3
	s_and_b64 s[4:5], vcc, s[4:5]
	v_cndmask_b32_e64 v3, 0, 1, s[4:5]
	v_add_u32_e32 v4, v2, v3
; %bb.870:
	s_or_b64 exec, exec, s[12:13]
	s_mov_b64 s[4:5], 0
	s_mov_b64 s[12:13], -1
	global_store_byte v[0:1], v4, off
.LBB308_871:
	s_mov_b64 s[14:15], 0
.LBB308_872:
	s_and_b64 vcc, exec, s[14:15]
	s_cbranch_vccz .LBB308_875
; %bb.873:
	s_cmp_eq_u32 s19, 29
	s_mov_b64 s[4:5], -1
	s_cbranch_scc0 .LBB308_875
; %bb.874:
	s_mov_b32 s4, 0
	v_cndmask_b32_e64 v2, 0, 1, s[34:35]
	v_mov_b32_e32 v3, s4
	global_store_dwordx2 v[0:1], v[2:3], off
	s_mov_b64 s[4:5], 0
	s_mov_b64 s[12:13], -1
.LBB308_875:
	s_mov_b64 s[14:15], 0
.LBB308_876:
	s_and_b64 vcc, exec, s[14:15]
	s_cbranch_vccz .LBB308_892
; %bb.877:
	s_cmp_lt_i32 s19, 27
	s_mov_b64 s[12:13], -1
	s_cbranch_scc1 .LBB308_883
; %bb.878:
	s_cmp_gt_i32 s19, 27
	s_cbranch_scc0 .LBB308_880
; %bb.879:
	v_cndmask_b32_e64 v2, 0, 1, s[34:35]
	s_mov_b64 s[12:13], 0
	global_store_dword v[0:1], v2, off
.LBB308_880:
	s_andn2_b64 vcc, exec, s[12:13]
	s_cbranch_vccnz .LBB308_882
; %bb.881:
	v_cndmask_b32_e64 v2, 0, 1, s[34:35]
	global_store_short v[0:1], v2, off
.LBB308_882:
	s_mov_b64 s[12:13], 0
.LBB308_883:
	s_andn2_b64 vcc, exec, s[12:13]
	s_cbranch_vccnz .LBB308_891
; %bb.884:
	v_cndmask_b32_e64 v3, 0, 1.0, s[34:35]
	s_mov_b32 s12, 0x43800000
	v_cmp_gt_u32_e32 vcc, s12, v3
	v_mov_b32_e32 v4, 0x80
	s_and_saveexec_b64 s[12:13], vcc
	s_cbranch_execz .LBB308_890
; %bb.885:
	s_mov_b32 s14, 0x3bffffff
	v_cmp_lt_u32_e32 vcc, s14, v3
	s_mov_b64 s[14:15], 0
                                        ; implicit-def: $vgpr2
	s_and_saveexec_b64 s[16:17], vcc
	s_xor_b64 s[16:17], exec, s[16:17]
	s_cbranch_execz .LBB308_1109
; %bb.886:
	v_bfe_u32 v2, v3, 20, 1
	s_mov_b32 s20, 0x487ffff
	v_add3_u32 v2, v3, v2, s20
	s_mov_b64 s[14:15], exec
	v_lshrrev_b32_e32 v2, 20, v2
                                        ; implicit-def: $vgpr3
	s_andn2_saveexec_b64 s[16:17], s[16:17]
	s_cbranch_execnz .LBB308_1110
.LBB308_887:
	s_or_b64 exec, exec, s[16:17]
	v_mov_b32_e32 v4, 0
	s_and_saveexec_b64 s[16:17], s[14:15]
.LBB308_888:
	v_mov_b32_e32 v4, v2
.LBB308_889:
	s_or_b64 exec, exec, s[16:17]
.LBB308_890:
	s_or_b64 exec, exec, s[12:13]
	global_store_byte v[0:1], v4, off
.LBB308_891:
	s_mov_b64 s[12:13], -1
.LBB308_892:
	s_mov_b64 s[14:15], 0
.LBB308_893:
	s_and_b64 vcc, exec, s[14:15]
	s_cbranch_vccz .LBB308_933
; %bb.894:
	s_cmp_gt_i32 s19, 22
	s_mov_b64 s[10:11], -1
	s_cbranch_scc0 .LBB308_926
; %bb.895:
	s_cmp_lt_i32 s19, 24
	s_cbranch_scc1 .LBB308_915
; %bb.896:
	s_cmp_gt_i32 s19, 24
	s_cbranch_scc0 .LBB308_904
; %bb.897:
	v_cndmask_b32_e64 v3, 0, 1.0, s[34:35]
	s_mov_b32 s10, 0x47800000
	v_cmp_gt_u32_e32 vcc, s10, v3
	v_mov_b32_e32 v4, 0x80
	s_and_saveexec_b64 s[10:11], vcc
	s_cbranch_execz .LBB308_903
; %bb.898:
	s_mov_b32 s12, 0x37ffffff
	v_cmp_lt_u32_e32 vcc, s12, v3
	s_mov_b64 s[12:13], 0
                                        ; implicit-def: $vgpr2
	s_and_saveexec_b64 s[14:15], vcc
	s_xor_b64 s[14:15], exec, s[14:15]
	s_cbranch_execz .LBB308_1114
; %bb.899:
	v_bfe_u32 v2, v3, 21, 1
	s_mov_b32 s16, 0x88fffff
	v_add3_u32 v2, v3, v2, s16
	s_mov_b64 s[12:13], exec
	v_lshrrev_b32_e32 v2, 21, v2
                                        ; implicit-def: $vgpr3
	s_andn2_saveexec_b64 s[14:15], s[14:15]
	s_cbranch_execnz .LBB308_1115
.LBB308_900:
	s_or_b64 exec, exec, s[14:15]
	v_mov_b32_e32 v4, 0
	s_and_saveexec_b64 s[14:15], s[12:13]
.LBB308_901:
	v_mov_b32_e32 v4, v2
.LBB308_902:
	s_or_b64 exec, exec, s[14:15]
.LBB308_903:
	s_or_b64 exec, exec, s[10:11]
	s_mov_b64 s[10:11], 0
	global_store_byte v[0:1], v4, off
.LBB308_904:
	s_and_b64 vcc, exec, s[10:11]
	s_cbranch_vccz .LBB308_914
; %bb.905:
	v_cndmask_b32_e64 v2, 0, 1.0, s[34:35]
	s_mov_b32 s10, 0x43f00000
	v_cmp_gt_u32_e32 vcc, s10, v2
                                        ; implicit-def: $vgpr3
	s_and_saveexec_b64 s[10:11], vcc
	s_xor_b64 s[10:11], exec, s[10:11]
	s_cbranch_execz .LBB308_911
; %bb.906:
	s_mov_b32 s12, 0x3c7fffff
	v_cmp_lt_u32_e32 vcc, s12, v2
                                        ; implicit-def: $vgpr3
	s_and_saveexec_b64 s[12:13], vcc
	s_xor_b64 s[12:13], exec, s[12:13]
; %bb.907:
	v_bfe_u32 v3, v2, 20, 1
	s_mov_b32 s14, 0x407ffff
	v_add3_u32 v2, v2, v3, s14
	v_lshrrev_b32_e32 v3, 20, v2
	v_and_b32_e32 v2, 0xff00000, v2
	s_mov_b32 s14, 0x7f00000
	v_mov_b32_e32 v4, 0x7e
	v_cmp_ne_u32_e32 vcc, s14, v2
	v_cndmask_b32_e32 v3, v4, v3, vcc
                                        ; implicit-def: $vgpr2
; %bb.908:
	s_andn2_saveexec_b64 s[12:13], s[12:13]
; %bb.909:
	v_add_f32_e32 v3, 0x46800000, v2
; %bb.910:
	s_or_b64 exec, exec, s[12:13]
                                        ; implicit-def: $vgpr2
.LBB308_911:
	s_andn2_saveexec_b64 s[10:11], s[10:11]
; %bb.912:
	s_mov_b32 s12, 0x7f800000
	v_mov_b32_e32 v3, 0x7e
	v_mov_b32_e32 v4, 0x7f
	v_cmp_lt_u32_e32 vcc, s12, v2
	v_cndmask_b32_e32 v3, v3, v4, vcc
; %bb.913:
	s_or_b64 exec, exec, s[10:11]
	global_store_byte v[0:1], v3, off
.LBB308_914:
	s_mov_b64 s[10:11], 0
.LBB308_915:
	s_andn2_b64 vcc, exec, s[10:11]
	s_cbranch_vccnz .LBB308_925
; %bb.916:
	v_cndmask_b32_e64 v2, 0, 1.0, s[34:35]
	s_mov_b32 s10, 0x47800000
	v_cmp_gt_u32_e32 vcc, s10, v2
                                        ; implicit-def: $vgpr3
	s_and_saveexec_b64 s[10:11], vcc
	s_xor_b64 s[10:11], exec, s[10:11]
	s_cbranch_execz .LBB308_922
; %bb.917:
	s_mov_b32 s12, 0x387fffff
	v_cmp_lt_u32_e32 vcc, s12, v2
                                        ; implicit-def: $vgpr3
	s_and_saveexec_b64 s[12:13], vcc
	s_xor_b64 s[12:13], exec, s[12:13]
; %bb.918:
	v_bfe_u32 v3, v2, 21, 1
	s_mov_b32 s14, 0x80fffff
	v_add3_u32 v2, v2, v3, s14
	v_lshrrev_b32_e32 v3, 21, v2
                                        ; implicit-def: $vgpr2
; %bb.919:
	s_andn2_saveexec_b64 s[12:13], s[12:13]
; %bb.920:
	v_add_f32_e32 v3, 0x43000000, v2
; %bb.921:
	s_or_b64 exec, exec, s[12:13]
                                        ; implicit-def: $vgpr2
.LBB308_922:
	s_andn2_saveexec_b64 s[10:11], s[10:11]
; %bb.923:
	s_mov_b32 s12, 0x7f800000
	v_mov_b32_e32 v3, 0x7c
	v_mov_b32_e32 v4, 0x7f
	v_cmp_lt_u32_e32 vcc, s12, v2
	v_cndmask_b32_e32 v3, v3, v4, vcc
; %bb.924:
	s_or_b64 exec, exec, s[10:11]
	global_store_byte v[0:1], v3, off
.LBB308_925:
	s_mov_b64 s[10:11], 0
	s_mov_b64 s[12:13], -1
.LBB308_926:
	s_andn2_b64 vcc, exec, s[10:11]
	s_mov_b64 s[10:11], 0
	s_cbranch_vccnz .LBB308_933
; %bb.927:
	s_cmp_gt_i32 s19, 14
	s_mov_b64 s[14:15], -1
	s_cbranch_scc0 .LBB308_931
; %bb.928:
	s_cmp_eq_u32 s19, 15
	s_mov_b64 s[4:5], -1
	s_cbranch_scc0 .LBB308_930
; %bb.929:
	v_cndmask_b32_e64 v2, 0, 1.0, s[34:35]
	v_bfe_u32 v3, v2, 16, 1
	s_movk_i32 s4, 0x7fff
	v_add3_u32 v2, v2, v3, s4
	global_store_short_d16_hi v[0:1], v2, off
	s_mov_b64 s[4:5], 0
	s_mov_b64 s[12:13], -1
.LBB308_930:
	s_mov_b64 s[14:15], 0
.LBB308_931:
	s_and_b64 vcc, exec, s[14:15]
	s_cbranch_vccz .LBB308_933
; %bb.932:
	s_cmp_lg_u32 s19, 11
	s_mov_b64 s[10:11], -1
	s_cselect_b64 s[4:5], -1, 0
.LBB308_933:
	s_and_b64 vcc, exec, s[4:5]
	s_cbranch_vccnz .LBB308_1111
; %bb.934:
	s_andn2_b64 vcc, exec, s[10:11]
	s_cbranch_vccnz .LBB308_936
.LBB308_935:
	v_cndmask_b32_e64 v2, 0, 1, s[34:35]
	s_mov_b64 s[12:13], -1
	global_store_byte v[0:1], v2, off
.LBB308_936:
.LBB308_937:
	s_andn2_b64 vcc, exec, s[12:13]
	s_cbranch_vccnz .LBB308_1053
.LBB308_938:
	v_mov_b32_e32 v1, s41
	v_add_co_u32_e32 v0, vcc, s40, v14
	s_cmp_lt_i32 s19, 11
	v_addc_co_u32_e32 v1, vcc, 0, v1, vcc
	s_cbranch_scc1 .LBB308_1098
; %bb.939:
	s_mov_b64 s[12:13], -1
	s_mov_b64 s[10:11], 0
	s_cmp_gt_i32 s19, 25
	s_mov_b64 s[4:5], 0
	s_cbranch_scc0 .LBB308_972
; %bb.940:
	s_cmp_gt_i32 s19, 28
	s_cbranch_scc0 .LBB308_956
; %bb.941:
	s_cmp_gt_i32 s19, 43
	;; [unrolled: 3-line block ×3, first 2 shown]
	s_cbranch_scc0 .LBB308_946
; %bb.943:
	s_cmp_eq_u32 s19, 46
	s_mov_b64 s[4:5], -1
	s_cbranch_scc0 .LBB308_945
; %bb.944:
	v_cndmask_b32_e64 v2, 0, 1.0, s[6:7]
	v_bfe_u32 v3, v2, 16, 1
	s_movk_i32 s4, 0x7fff
	v_add3_u32 v2, v2, v3, s4
	v_lshrrev_b32_e32 v2, 16, v2
	global_store_dword v[0:1], v2, off
	s_mov_b64 s[4:5], 0
.LBB308_945:
	s_mov_b64 s[12:13], 0
.LBB308_946:
	s_and_b64 vcc, exec, s[12:13]
	s_cbranch_vccz .LBB308_951
; %bb.947:
	s_cmp_eq_u32 s19, 44
	s_mov_b64 s[4:5], -1
	s_cbranch_scc0 .LBB308_951
; %bb.948:
	v_cndmask_b32_e64 v3, 0, 1.0, s[6:7]
	v_lshrrev_b32_e32 v2, 23, v3
	s_movk_i32 s4, 0xff
	v_cmp_ne_u32_e32 vcc, s4, v2
	v_mov_b32_e32 v4, 0xff
	s_and_saveexec_b64 s[12:13], vcc
; %bb.949:
	s_mov_b32 s4, 0x3fffff
	v_and_b32_e32 v4, 0x400000, v3
	v_and_or_b32 v3, v3, s4, v2
	v_cmp_ne_u32_e32 vcc, 0, v4
	v_cmp_ne_u32_e64 s[4:5], 0, v3
	s_and_b64 s[4:5], vcc, s[4:5]
	v_cndmask_b32_e64 v3, 0, 1, s[4:5]
	v_add_u32_e32 v4, v2, v3
; %bb.950:
	s_or_b64 exec, exec, s[12:13]
	s_mov_b64 s[4:5], 0
	global_store_byte v[0:1], v4, off
.LBB308_951:
	s_mov_b64 s[12:13], 0
.LBB308_952:
	s_and_b64 vcc, exec, s[12:13]
	s_cbranch_vccz .LBB308_955
; %bb.953:
	s_cmp_eq_u32 s19, 29
	s_mov_b64 s[4:5], -1
	s_cbranch_scc0 .LBB308_955
; %bb.954:
	s_mov_b32 s4, 0
	v_cndmask_b32_e64 v2, 0, 1, s[6:7]
	v_mov_b32_e32 v3, s4
	global_store_dwordx2 v[0:1], v[2:3], off
	s_mov_b64 s[4:5], 0
.LBB308_955:
	s_mov_b64 s[12:13], 0
.LBB308_956:
	s_and_b64 vcc, exec, s[12:13]
	s_cbranch_vccz .LBB308_971
; %bb.957:
	s_cmp_lt_i32 s19, 27
	s_mov_b64 s[12:13], -1
	s_cbranch_scc1 .LBB308_963
; %bb.958:
	s_cmp_gt_i32 s19, 27
	v_cndmask_b32_e64 v2, 0, 1, s[6:7]
	s_cbranch_scc0 .LBB308_960
; %bb.959:
	global_store_dword v[0:1], v2, off
	s_mov_b64 s[12:13], 0
.LBB308_960:
	s_andn2_b64 vcc, exec, s[12:13]
	s_cbranch_vccnz .LBB308_962
; %bb.961:
	global_store_short v[0:1], v2, off
.LBB308_962:
	s_mov_b64 s[12:13], 0
.LBB308_963:
	s_andn2_b64 vcc, exec, s[12:13]
	s_cbranch_vccnz .LBB308_971
; %bb.964:
	v_cndmask_b32_e64 v3, 0, 1.0, s[6:7]
	s_mov_b32 s12, 0x43800000
	v_cmp_gt_u32_e32 vcc, s12, v3
	v_mov_b32_e32 v4, 0x80
	s_and_saveexec_b64 s[12:13], vcc
	s_cbranch_execz .LBB308_970
; %bb.965:
	s_mov_b32 s14, 0x3bffffff
	v_cmp_lt_u32_e32 vcc, s14, v3
	s_mov_b64 s[14:15], 0
                                        ; implicit-def: $vgpr2
	s_and_saveexec_b64 s[16:17], vcc
	s_xor_b64 s[16:17], exec, s[16:17]
	s_cbranch_execz .LBB308_1116
; %bb.966:
	v_bfe_u32 v2, v3, 20, 1
	s_mov_b32 s20, 0x487ffff
	v_add3_u32 v2, v3, v2, s20
	s_mov_b64 s[14:15], exec
	v_lshrrev_b32_e32 v2, 20, v2
                                        ; implicit-def: $vgpr3
	s_andn2_saveexec_b64 s[16:17], s[16:17]
	s_cbranch_execnz .LBB308_1117
.LBB308_967:
	s_or_b64 exec, exec, s[16:17]
	v_mov_b32_e32 v4, 0
	s_and_saveexec_b64 s[16:17], s[14:15]
.LBB308_968:
	v_mov_b32_e32 v4, v2
.LBB308_969:
	s_or_b64 exec, exec, s[16:17]
.LBB308_970:
	s_or_b64 exec, exec, s[12:13]
	global_store_byte v[0:1], v4, off
.LBB308_971:
	s_mov_b64 s[12:13], 0
.LBB308_972:
	s_and_b64 vcc, exec, s[12:13]
	s_cbranch_vccz .LBB308_1012
; %bb.973:
	s_cmp_gt_i32 s19, 22
	s_mov_b64 s[10:11], -1
	s_cbranch_scc0 .LBB308_1005
; %bb.974:
	s_cmp_lt_i32 s19, 24
	s_cbranch_scc1 .LBB308_994
; %bb.975:
	s_cmp_gt_i32 s19, 24
	s_cbranch_scc0 .LBB308_983
; %bb.976:
	v_cndmask_b32_e64 v3, 0, 1.0, s[6:7]
	s_mov_b32 s10, 0x47800000
	v_cmp_gt_u32_e32 vcc, s10, v3
	v_mov_b32_e32 v4, 0x80
	s_and_saveexec_b64 s[10:11], vcc
	s_cbranch_execz .LBB308_982
; %bb.977:
	s_mov_b32 s12, 0x37ffffff
	v_cmp_lt_u32_e32 vcc, s12, v3
	s_mov_b64 s[12:13], 0
                                        ; implicit-def: $vgpr2
	s_and_saveexec_b64 s[14:15], vcc
	s_xor_b64 s[14:15], exec, s[14:15]
	s_cbranch_execz .LBB308_1123
; %bb.978:
	v_bfe_u32 v2, v3, 21, 1
	s_mov_b32 s16, 0x88fffff
	v_add3_u32 v2, v3, v2, s16
	s_mov_b64 s[12:13], exec
	v_lshrrev_b32_e32 v2, 21, v2
                                        ; implicit-def: $vgpr3
	s_andn2_saveexec_b64 s[14:15], s[14:15]
	s_cbranch_execnz .LBB308_1124
.LBB308_979:
	s_or_b64 exec, exec, s[14:15]
	v_mov_b32_e32 v4, 0
	s_and_saveexec_b64 s[14:15], s[12:13]
.LBB308_980:
	v_mov_b32_e32 v4, v2
.LBB308_981:
	s_or_b64 exec, exec, s[14:15]
.LBB308_982:
	s_or_b64 exec, exec, s[10:11]
	s_mov_b64 s[10:11], 0
	global_store_byte v[0:1], v4, off
.LBB308_983:
	s_and_b64 vcc, exec, s[10:11]
	s_cbranch_vccz .LBB308_993
; %bb.984:
	v_cndmask_b32_e64 v2, 0, 1.0, s[6:7]
	s_mov_b32 s10, 0x43f00000
	v_cmp_gt_u32_e32 vcc, s10, v2
                                        ; implicit-def: $vgpr3
	s_and_saveexec_b64 s[10:11], vcc
	s_xor_b64 s[10:11], exec, s[10:11]
	s_cbranch_execz .LBB308_990
; %bb.985:
	s_mov_b32 s12, 0x3c7fffff
	v_cmp_lt_u32_e32 vcc, s12, v2
                                        ; implicit-def: $vgpr3
	s_and_saveexec_b64 s[12:13], vcc
	s_xor_b64 s[12:13], exec, s[12:13]
; %bb.986:
	v_bfe_u32 v3, v2, 20, 1
	s_mov_b32 s14, 0x407ffff
	v_add3_u32 v2, v2, v3, s14
	v_lshrrev_b32_e32 v3, 20, v2
	v_and_b32_e32 v2, 0xff00000, v2
	s_mov_b32 s14, 0x7f00000
	v_mov_b32_e32 v4, 0x7e
	v_cmp_ne_u32_e32 vcc, s14, v2
	v_cndmask_b32_e32 v3, v4, v3, vcc
                                        ; implicit-def: $vgpr2
; %bb.987:
	s_andn2_saveexec_b64 s[12:13], s[12:13]
; %bb.988:
	v_add_f32_e32 v3, 0x46800000, v2
; %bb.989:
	s_or_b64 exec, exec, s[12:13]
                                        ; implicit-def: $vgpr2
.LBB308_990:
	s_andn2_saveexec_b64 s[10:11], s[10:11]
; %bb.991:
	s_mov_b32 s12, 0x7f800000
	v_mov_b32_e32 v3, 0x7e
	v_mov_b32_e32 v4, 0x7f
	v_cmp_lt_u32_e32 vcc, s12, v2
	v_cndmask_b32_e32 v3, v3, v4, vcc
; %bb.992:
	s_or_b64 exec, exec, s[10:11]
	global_store_byte v[0:1], v3, off
.LBB308_993:
	s_mov_b64 s[10:11], 0
.LBB308_994:
	s_andn2_b64 vcc, exec, s[10:11]
	s_cbranch_vccnz .LBB308_1004
; %bb.995:
	v_cndmask_b32_e64 v2, 0, 1.0, s[6:7]
	s_mov_b32 s10, 0x47800000
	v_cmp_gt_u32_e32 vcc, s10, v2
                                        ; implicit-def: $vgpr3
	s_and_saveexec_b64 s[10:11], vcc
	s_xor_b64 s[10:11], exec, s[10:11]
	s_cbranch_execz .LBB308_1001
; %bb.996:
	s_mov_b32 s12, 0x387fffff
	v_cmp_lt_u32_e32 vcc, s12, v2
                                        ; implicit-def: $vgpr3
	s_and_saveexec_b64 s[12:13], vcc
	s_xor_b64 s[12:13], exec, s[12:13]
; %bb.997:
	v_bfe_u32 v3, v2, 21, 1
	s_mov_b32 s14, 0x80fffff
	v_add3_u32 v2, v2, v3, s14
	v_lshrrev_b32_e32 v3, 21, v2
                                        ; implicit-def: $vgpr2
; %bb.998:
	s_andn2_saveexec_b64 s[12:13], s[12:13]
; %bb.999:
	v_add_f32_e32 v3, 0x43000000, v2
; %bb.1000:
	s_or_b64 exec, exec, s[12:13]
                                        ; implicit-def: $vgpr2
.LBB308_1001:
	s_andn2_saveexec_b64 s[10:11], s[10:11]
; %bb.1002:
	s_mov_b32 s12, 0x7f800000
	v_mov_b32_e32 v3, 0x7c
	v_mov_b32_e32 v4, 0x7f
	v_cmp_lt_u32_e32 vcc, s12, v2
	v_cndmask_b32_e32 v3, v3, v4, vcc
; %bb.1003:
	s_or_b64 exec, exec, s[10:11]
	global_store_byte v[0:1], v3, off
.LBB308_1004:
	s_mov_b64 s[10:11], 0
.LBB308_1005:
	s_andn2_b64 vcc, exec, s[10:11]
	s_mov_b64 s[10:11], 0
	s_cbranch_vccnz .LBB308_1012
; %bb.1006:
	s_cmp_gt_i32 s19, 14
	s_mov_b64 s[12:13], -1
	s_cbranch_scc0 .LBB308_1010
; %bb.1007:
	s_cmp_eq_u32 s19, 15
	s_mov_b64 s[4:5], -1
	s_cbranch_scc0 .LBB308_1009
; %bb.1008:
	v_cndmask_b32_e64 v2, 0, 1.0, s[6:7]
	v_bfe_u32 v3, v2, 16, 1
	s_movk_i32 s4, 0x7fff
	v_add3_u32 v2, v2, v3, s4
	global_store_short_d16_hi v[0:1], v2, off
	s_mov_b64 s[4:5], 0
.LBB308_1009:
	s_mov_b64 s[12:13], 0
.LBB308_1010:
	s_and_b64 vcc, exec, s[12:13]
	s_cbranch_vccz .LBB308_1012
; %bb.1011:
	s_cmp_lg_u32 s19, 11
	s_mov_b64 s[10:11], -1
	s_cselect_b64 s[4:5], -1, 0
.LBB308_1012:
	s_and_b64 vcc, exec, s[4:5]
	s_cbranch_vccnz .LBB308_1118
.LBB308_1013:
	s_mov_b64 s[4:5], 0
	s_branch .LBB308_1054
.LBB308_1014:
	s_mov_b64 s[12:13], 0
	s_cbranch_execz .LBB308_937
; %bb.1015:
	s_cmp_lt_i32 s19, 5
	s_mov_b64 s[4:5], -1
	s_cbranch_scc1 .LBB308_1036
; %bb.1016:
	s_cmp_lt_i32 s19, 8
	s_cbranch_scc1 .LBB308_1026
; %bb.1017:
	s_cmp_lt_i32 s19, 9
	s_cbranch_scc1 .LBB308_1023
; %bb.1018:
	s_cmp_gt_i32 s19, 9
	s_cbranch_scc0 .LBB308_1020
; %bb.1019:
	v_cndmask_b32_e64 v2, 0, 1, s[34:35]
	v_cvt_f64_u32_e32 v[2:3], v2
	v_mov_b32_e32 v4, 0
	v_mov_b32_e32 v5, v4
	s_mov_b64 s[4:5], 0
	global_store_dwordx4 v[0:1], v[2:5], off
.LBB308_1020:
	s_andn2_b64 vcc, exec, s[4:5]
	s_cbranch_vccnz .LBB308_1022
; %bb.1021:
	v_cndmask_b32_e64 v2, 0, 1.0, s[34:35]
	v_mov_b32_e32 v3, 0
	global_store_dwordx2 v[0:1], v[2:3], off
.LBB308_1022:
	s_mov_b64 s[4:5], 0
.LBB308_1023:
	s_andn2_b64 vcc, exec, s[4:5]
	s_cbranch_vccnz .LBB308_1025
; %bb.1024:
	v_cndmask_b32_e64 v2, 0, 1.0, s[34:35]
	v_cvt_f16_f32_e32 v2, v2
	global_store_dword v[0:1], v2, off
.LBB308_1025:
	s_mov_b64 s[4:5], 0
.LBB308_1026:
	s_andn2_b64 vcc, exec, s[4:5]
	s_cbranch_vccnz .LBB308_1035
; %bb.1027:
	s_cmp_lt_i32 s19, 6
	s_mov_b64 s[4:5], -1
	s_cbranch_scc1 .LBB308_1033
; %bb.1028:
	s_cmp_gt_i32 s19, 6
	s_cbranch_scc0 .LBB308_1030
; %bb.1029:
	v_cndmask_b32_e64 v2, 0, 1, s[34:35]
	v_cvt_f64_u32_e32 v[2:3], v2
	s_mov_b64 s[4:5], 0
	global_store_dwordx2 v[0:1], v[2:3], off
.LBB308_1030:
	s_andn2_b64 vcc, exec, s[4:5]
	s_cbranch_vccnz .LBB308_1032
; %bb.1031:
	v_cndmask_b32_e64 v2, 0, 1.0, s[34:35]
	global_store_dword v[0:1], v2, off
.LBB308_1032:
	s_mov_b64 s[4:5], 0
.LBB308_1033:
	s_andn2_b64 vcc, exec, s[4:5]
	s_cbranch_vccnz .LBB308_1035
; %bb.1034:
	v_cndmask_b32_e64 v2, 0, 1.0, s[34:35]
	v_cvt_f16_f32_e32 v2, v2
	global_store_short v[0:1], v2, off
.LBB308_1035:
	s_mov_b64 s[4:5], 0
.LBB308_1036:
	s_andn2_b64 vcc, exec, s[4:5]
	s_cbranch_vccnz .LBB308_1052
; %bb.1037:
	s_cmp_lt_i32 s19, 2
	s_mov_b64 s[4:5], -1
	s_cbranch_scc1 .LBB308_1047
; %bb.1038:
	s_cmp_lt_i32 s19, 3
	s_cbranch_scc1 .LBB308_1044
; %bb.1039:
	s_cmp_gt_i32 s19, 3
	s_cbranch_scc0 .LBB308_1041
; %bb.1040:
	s_mov_b32 s4, 0
	v_cndmask_b32_e64 v2, 0, 1, s[34:35]
	v_mov_b32_e32 v3, s4
	global_store_dwordx2 v[0:1], v[2:3], off
	s_mov_b64 s[4:5], 0
.LBB308_1041:
	s_andn2_b64 vcc, exec, s[4:5]
	s_cbranch_vccnz .LBB308_1043
; %bb.1042:
	v_cndmask_b32_e64 v2, 0, 1, s[34:35]
	global_store_dword v[0:1], v2, off
.LBB308_1043:
	s_mov_b64 s[4:5], 0
.LBB308_1044:
	s_andn2_b64 vcc, exec, s[4:5]
	s_cbranch_vccnz .LBB308_1046
; %bb.1045:
	v_cndmask_b32_e64 v2, 0, 1, s[34:35]
	global_store_short v[0:1], v2, off
.LBB308_1046:
	s_mov_b64 s[4:5], 0
.LBB308_1047:
	s_andn2_b64 vcc, exec, s[4:5]
	s_cbranch_vccnz .LBB308_1052
; %bb.1048:
	s_cmp_gt_i32 s19, 0
	s_mov_b64 s[4:5], -1
	s_cbranch_scc0 .LBB308_1050
; %bb.1049:
	v_cndmask_b32_e64 v2, 0, 1, s[34:35]
	global_store_byte v[0:1], v2, off
	s_mov_b64 s[4:5], 0
.LBB308_1050:
	s_andn2_b64 vcc, exec, s[4:5]
	s_cbranch_vccnz .LBB308_1052
; %bb.1051:
	v_cndmask_b32_e64 v2, 0, 1, s[34:35]
	global_store_byte v[0:1], v2, off
.LBB308_1052:
	s_branch .LBB308_938
.LBB308_1053:
	s_mov_b64 s[4:5], 0
	s_mov_b64 s[10:11], 0
                                        ; implicit-def: $sgpr18
                                        ; implicit-def: $vgpr0_vgpr1
.LBB308_1054:
	s_and_b64 s[50:51], s[10:11], exec
	s_andn2_b64 s[10:11], s[44:45], exec
	s_and_b64 s[8:9], s[8:9], exec
	s_and_b64 s[4:5], s[4:5], exec
	s_or_b64 s[44:45], s[10:11], s[8:9]
.LBB308_1055:
	s_or_b64 exec, exec, s[46:47]
	s_and_saveexec_b64 s[8:9], s[44:45]
	s_cbranch_execz .LBB308_1058
; %bb.1056:
	; divergent unreachable
	s_or_b64 exec, exec, s[8:9]
	s_and_saveexec_b64 s[8:9], s[50:51]
	s_xor_b64 s[8:9], exec, s[8:9]
	s_cbranch_execnz .LBB308_1059
.LBB308_1057:
	s_or_b64 exec, exec, s[8:9]
	s_and_saveexec_b64 s[8:9], s[4:5]
	s_cbranch_execnz .LBB308_1060
	s_branch .LBB308_1097
.LBB308_1058:
	s_or_b64 exec, exec, s[8:9]
	s_and_saveexec_b64 s[8:9], s[50:51]
	s_xor_b64 s[8:9], exec, s[8:9]
	s_cbranch_execz .LBB308_1057
.LBB308_1059:
	v_cndmask_b32_e64 v2, 0, 1, s[6:7]
	global_store_byte v[0:1], v2, off
	s_or_b64 exec, exec, s[8:9]
	s_and_saveexec_b64 s[8:9], s[4:5]
	s_cbranch_execz .LBB308_1097
.LBB308_1060:
	s_sext_i32_i16 s8, s18
	s_cmp_lt_i32 s8, 5
	s_mov_b64 s[4:5], -1
	s_cbranch_scc1 .LBB308_1081
; %bb.1061:
	s_cmp_lt_i32 s8, 8
	s_cbranch_scc1 .LBB308_1071
; %bb.1062:
	s_cmp_lt_i32 s8, 9
	s_cbranch_scc1 .LBB308_1068
; %bb.1063:
	s_cmp_gt_i32 s8, 9
	s_cbranch_scc0 .LBB308_1065
; %bb.1064:
	v_cndmask_b32_e64 v2, 0, 1, s[6:7]
	v_cvt_f64_u32_e32 v[2:3], v2
	v_mov_b32_e32 v4, 0
	v_mov_b32_e32 v5, v4
	s_mov_b64 s[4:5], 0
	global_store_dwordx4 v[0:1], v[2:5], off
.LBB308_1065:
	s_andn2_b64 vcc, exec, s[4:5]
	s_cbranch_vccnz .LBB308_1067
; %bb.1066:
	v_cndmask_b32_e64 v2, 0, 1.0, s[6:7]
	v_mov_b32_e32 v3, 0
	global_store_dwordx2 v[0:1], v[2:3], off
.LBB308_1067:
	s_mov_b64 s[4:5], 0
.LBB308_1068:
	s_andn2_b64 vcc, exec, s[4:5]
	s_cbranch_vccnz .LBB308_1070
; %bb.1069:
	v_cndmask_b32_e64 v2, 0, 1.0, s[6:7]
	v_cvt_f16_f32_e32 v2, v2
	global_store_dword v[0:1], v2, off
.LBB308_1070:
	s_mov_b64 s[4:5], 0
.LBB308_1071:
	s_andn2_b64 vcc, exec, s[4:5]
	s_cbranch_vccnz .LBB308_1080
; %bb.1072:
	s_sext_i32_i16 s8, s18
	s_cmp_lt_i32 s8, 6
	s_mov_b64 s[4:5], -1
	s_cbranch_scc1 .LBB308_1078
; %bb.1073:
	s_cmp_gt_i32 s8, 6
	s_cbranch_scc0 .LBB308_1075
; %bb.1074:
	v_cndmask_b32_e64 v2, 0, 1, s[6:7]
	v_cvt_f64_u32_e32 v[2:3], v2
	s_mov_b64 s[4:5], 0
	global_store_dwordx2 v[0:1], v[2:3], off
.LBB308_1075:
	s_andn2_b64 vcc, exec, s[4:5]
	s_cbranch_vccnz .LBB308_1077
; %bb.1076:
	v_cndmask_b32_e64 v2, 0, 1.0, s[6:7]
	global_store_dword v[0:1], v2, off
.LBB308_1077:
	s_mov_b64 s[4:5], 0
.LBB308_1078:
	s_andn2_b64 vcc, exec, s[4:5]
	s_cbranch_vccnz .LBB308_1080
; %bb.1079:
	v_cndmask_b32_e64 v2, 0, 1.0, s[6:7]
	v_cvt_f16_f32_e32 v2, v2
	global_store_short v[0:1], v2, off
.LBB308_1080:
	s_mov_b64 s[4:5], 0
.LBB308_1081:
	s_andn2_b64 vcc, exec, s[4:5]
	s_cbranch_vccnz .LBB308_1097
; %bb.1082:
	s_sext_i32_i16 s8, s18
	s_cmp_lt_i32 s8, 2
	s_mov_b64 s[4:5], -1
	s_cbranch_scc1 .LBB308_1092
; %bb.1083:
	s_cmp_lt_i32 s8, 3
	s_cbranch_scc1 .LBB308_1089
; %bb.1084:
	s_cmp_gt_i32 s8, 3
	s_cbranch_scc0 .LBB308_1086
; %bb.1085:
	s_mov_b32 s4, 0
	v_cndmask_b32_e64 v2, 0, 1, s[6:7]
	v_mov_b32_e32 v3, s4
	global_store_dwordx2 v[0:1], v[2:3], off
	s_mov_b64 s[4:5], 0
.LBB308_1086:
	s_andn2_b64 vcc, exec, s[4:5]
	s_cbranch_vccnz .LBB308_1088
; %bb.1087:
	v_cndmask_b32_e64 v2, 0, 1, s[6:7]
	global_store_dword v[0:1], v2, off
.LBB308_1088:
	s_mov_b64 s[4:5], 0
.LBB308_1089:
	s_andn2_b64 vcc, exec, s[4:5]
	s_cbranch_vccnz .LBB308_1091
; %bb.1090:
	v_cndmask_b32_e64 v2, 0, 1, s[6:7]
	global_store_short v[0:1], v2, off
.LBB308_1091:
	s_mov_b64 s[4:5], 0
.LBB308_1092:
	s_andn2_b64 vcc, exec, s[4:5]
	s_cbranch_vccnz .LBB308_1097
; %bb.1093:
	s_sext_i32_i16 s4, s18
	s_cmp_gt_i32 s4, 0
	s_mov_b64 s[4:5], -1
	s_cbranch_scc0 .LBB308_1095
; %bb.1094:
	v_cndmask_b32_e64 v2, 0, 1, s[6:7]
	global_store_byte v[0:1], v2, off
	s_mov_b64 s[4:5], 0
.LBB308_1095:
	s_andn2_b64 vcc, exec, s[4:5]
	s_cbranch_vccnz .LBB308_1097
; %bb.1096:
	v_cndmask_b32_e64 v2, 0, 1, s[6:7]
	global_store_byte v[0:1], v2, off
	s_endpgm
.LBB308_1097:
	s_endpgm
.LBB308_1098:
	s_mov_b64 s[10:11], 0
	s_mov_b64 s[4:5], -1
	s_branch .LBB308_1054
.LBB308_1099:
	s_andn2_saveexec_b64 s[14:15], s[14:15]
	s_cbranch_execz .LBB308_651
.LBB308_1100:
	v_add_f32_e32 v2, 0x46000000, v3
	v_and_b32_e32 v2, 0xff, v2
	v_cmp_ne_u32_e32 vcc, 0, v2
	s_andn2_b64 s[12:13], s[12:13], exec
	s_and_b64 s[20:21], vcc, exec
	s_or_b64 s[12:13], s[12:13], s[20:21]
	s_or_b64 exec, exec, s[14:15]
	v_mov_b32_e32 v4, 0
	s_and_saveexec_b64 s[14:15], s[12:13]
	s_cbranch_execnz .LBB308_652
	s_branch .LBB308_653
.LBB308_1101:
	s_or_b64 s[8:9], s[44:45], exec
	s_trap 2
	s_cbranch_execz .LBB308_699
	s_branch .LBB308_700
.LBB308_1102:
	s_andn2_saveexec_b64 s[12:13], s[12:13]
	s_cbranch_execz .LBB308_664
.LBB308_1103:
	v_add_f32_e32 v2, 0x42800000, v3
	v_and_b32_e32 v2, 0xff, v2
	v_cmp_ne_u32_e32 vcc, 0, v2
	s_andn2_b64 s[10:11], s[10:11], exec
	s_and_b64 s[14:15], vcc, exec
	s_or_b64 s[10:11], s[10:11], s[14:15]
	s_or_b64 exec, exec, s[12:13]
	v_mov_b32_e32 v4, 0
	s_and_saveexec_b64 s[12:13], s[10:11]
	s_cbranch_execnz .LBB308_665
	s_branch .LBB308_666
.LBB308_1104:
	s_andn2_saveexec_b64 s[16:17], s[16:17]
	s_cbranch_execz .LBB308_769
.LBB308_1105:
	v_add_f32_e32 v2, 0x46000000, v3
	v_and_b32_e32 v2, 0xff, v2
	v_cmp_ne_u32_e32 vcc, 0, v2
	s_andn2_b64 s[14:15], s[14:15], exec
	s_and_b64 s[20:21], vcc, exec
	s_or_b64 s[14:15], s[14:15], s[20:21]
	s_or_b64 exec, exec, s[16:17]
	v_mov_b32_e32 v4, 0
	s_and_saveexec_b64 s[16:17], s[14:15]
	s_cbranch_execnz .LBB308_770
	s_branch .LBB308_771
.LBB308_1106:
	s_trap 2
	s_or_b64 s[8:9], s[8:9], exec
	s_cbranch_execz .LBB308_817
	s_branch .LBB308_818
.LBB308_1107:
	s_andn2_saveexec_b64 s[14:15], s[14:15]
	s_cbranch_execz .LBB308_782
.LBB308_1108:
	v_add_f32_e32 v2, 0x42800000, v3
	v_and_b32_e32 v2, 0xff, v2
	v_cmp_ne_u32_e32 vcc, 0, v2
	s_andn2_b64 s[12:13], s[12:13], exec
	s_and_b64 s[16:17], vcc, exec
	s_or_b64 s[12:13], s[12:13], s[16:17]
	s_or_b64 exec, exec, s[14:15]
	v_mov_b32_e32 v4, 0
	s_and_saveexec_b64 s[14:15], s[12:13]
	s_cbranch_execnz .LBB308_783
	s_branch .LBB308_784
.LBB308_1109:
	s_andn2_saveexec_b64 s[16:17], s[16:17]
	s_cbranch_execz .LBB308_887
.LBB308_1110:
	v_add_f32_e32 v2, 0x46000000, v3
	v_and_b32_e32 v2, 0xff, v2
	v_cmp_ne_u32_e32 vcc, 0, v2
	s_andn2_b64 s[14:15], s[14:15], exec
	s_and_b64 s[20:21], vcc, exec
	s_or_b64 s[14:15], s[14:15], s[20:21]
	s_or_b64 exec, exec, s[16:17]
	v_mov_b32_e32 v4, 0
	s_and_saveexec_b64 s[16:17], s[14:15]
	s_cbranch_execnz .LBB308_888
	s_branch .LBB308_889
.LBB308_1111:
	s_trap 2
	s_or_b64 s[8:9], s[8:9], exec
	s_cbranch_execz .LBB308_935
	s_branch .LBB308_936
.LBB308_1112:
	s_andn2_saveexec_b64 s[12:13], s[12:13]
	s_cbranch_execz .LBB308_338
.LBB308_1113:
	v_add_f32_e32 v2, 0x46000000, v3
	v_and_b32_e32 v2, 0xff, v2
	v_cmp_ne_u32_e32 vcc, 0, v2
	s_andn2_b64 s[10:11], s[10:11], exec
	s_and_b64 s[16:17], vcc, exec
	s_or_b64 s[10:11], s[10:11], s[16:17]
	s_or_b64 exec, exec, s[12:13]
	v_mov_b32_e32 v4, 0
	s_and_saveexec_b64 s[12:13], s[10:11]
	s_cbranch_execnz .LBB308_339
	s_branch .LBB308_340
.LBB308_1114:
	s_andn2_saveexec_b64 s[14:15], s[14:15]
	s_cbranch_execz .LBB308_900
.LBB308_1115:
	v_add_f32_e32 v2, 0x42800000, v3
	v_and_b32_e32 v2, 0xff, v2
	v_cmp_ne_u32_e32 vcc, 0, v2
	s_andn2_b64 s[12:13], s[12:13], exec
	s_and_b64 s[16:17], vcc, exec
	s_or_b64 s[12:13], s[12:13], s[16:17]
	s_or_b64 exec, exec, s[14:15]
	v_mov_b32_e32 v4, 0
	s_and_saveexec_b64 s[14:15], s[12:13]
	s_cbranch_execnz .LBB308_901
	s_branch .LBB308_902
.LBB308_1116:
	s_andn2_saveexec_b64 s[16:17], s[16:17]
	s_cbranch_execz .LBB308_967
.LBB308_1117:
	v_add_f32_e32 v2, 0x46000000, v3
	v_and_b32_e32 v2, 0xff, v2
	v_cmp_ne_u32_e32 vcc, 0, v2
	s_andn2_b64 s[14:15], s[14:15], exec
	s_and_b64 s[20:21], vcc, exec
	s_or_b64 s[14:15], s[14:15], s[20:21]
	s_or_b64 exec, exec, s[16:17]
	v_mov_b32_e32 v4, 0
	s_and_saveexec_b64 s[16:17], s[14:15]
	s_cbranch_execnz .LBB308_968
	s_branch .LBB308_969
.LBB308_1118:
	s_mov_b64 s[10:11], 0
	s_or_b64 s[8:9], s[8:9], exec
	s_trap 2
	s_branch .LBB308_1013
.LBB308_1119:
	s_andn2_saveexec_b64 s[12:13], s[12:13]
	s_cbranch_execz .LBB308_351
.LBB308_1120:
	v_add_f32_e32 v2, 0x42800000, v3
	v_and_b32_e32 v2, 0xff, v2
	v_cmp_ne_u32_e32 vcc, 0, v2
	s_andn2_b64 s[10:11], s[10:11], exec
	s_and_b64 s[16:17], vcc, exec
	s_or_b64 s[10:11], s[10:11], s[16:17]
	s_or_b64 exec, exec, s[12:13]
	v_mov_b32_e32 v4, 0
	s_and_saveexec_b64 s[12:13], s[10:11]
	s_cbranch_execnz .LBB308_352
	s_branch .LBB308_353
.LBB308_1121:
	s_andn2_saveexec_b64 s[12:13], s[12:13]
	s_cbranch_execz .LBB308_475
.LBB308_1122:
	v_add_f32_e32 v2, 0x46000000, v3
	v_and_b32_e32 v2, 0xff, v2
	v_cmp_ne_u32_e32 vcc, 0, v2
	s_andn2_b64 s[10:11], s[10:11], exec
	s_and_b64 s[14:15], vcc, exec
	s_or_b64 s[10:11], s[10:11], s[14:15]
	s_or_b64 exec, exec, s[12:13]
	v_mov_b32_e32 v4, 0
	s_and_saveexec_b64 s[12:13], s[10:11]
	s_cbranch_execnz .LBB308_476
	s_branch .LBB308_477
.LBB308_1123:
	s_andn2_saveexec_b64 s[14:15], s[14:15]
	s_cbranch_execz .LBB308_979
.LBB308_1124:
	v_add_f32_e32 v2, 0x42800000, v3
	v_and_b32_e32 v2, 0xff, v2
	v_cmp_ne_u32_e32 vcc, 0, v2
	s_andn2_b64 s[12:13], s[12:13], exec
	s_and_b64 s[16:17], vcc, exec
	s_or_b64 s[12:13], s[12:13], s[16:17]
	s_or_b64 exec, exec, s[14:15]
	v_mov_b32_e32 v4, 0
	s_and_saveexec_b64 s[14:15], s[12:13]
	s_cbranch_execnz .LBB308_980
	s_branch .LBB308_981
.LBB308_1125:
	s_andn2_saveexec_b64 s[14:15], s[14:15]
	s_cbranch_execz .LBB308_487
.LBB308_1126:
	v_add_f32_e32 v2, 0x42800000, v3
	v_and_b32_e32 v2, 0xff, v2
	v_cmp_ne_u32_e32 vcc, 0, v2
	s_andn2_b64 s[12:13], s[12:13], exec
	s_and_b64 s[18:19], vcc, exec
	s_or_b64 s[12:13], s[12:13], s[18:19]
	s_or_b64 exec, exec, s[14:15]
	v_mov_b32_e32 v4, 0
	s_and_saveexec_b64 s[14:15], s[12:13]
	s_cbranch_execnz .LBB308_488
	s_branch .LBB308_489
	.section	.rodata,"a",@progbits
	.p2align	6, 0x0
	.amdhsa_kernel _ZN2at6native32elementwise_kernel_manual_unrollILi128ELi4EZNS0_15gpu_kernel_implINS0_13AUnaryFunctorIN3c1015Float8_e4m3fnuzES5_bNS0_12_GLOBAL__N_116CompareEqFunctorIS5_EEEEEEvRNS_18TensorIteratorBaseERKT_EUlibE0_EEviT1_
		.amdhsa_group_segment_fixed_size 0
		.amdhsa_private_segment_fixed_size 0
		.amdhsa_kernarg_size 368
		.amdhsa_user_sgpr_count 6
		.amdhsa_user_sgpr_private_segment_buffer 1
		.amdhsa_user_sgpr_dispatch_ptr 0
		.amdhsa_user_sgpr_queue_ptr 0
		.amdhsa_user_sgpr_kernarg_segment_ptr 1
		.amdhsa_user_sgpr_dispatch_id 0
		.amdhsa_user_sgpr_flat_scratch_init 0
		.amdhsa_user_sgpr_private_segment_size 0
		.amdhsa_uses_dynamic_stack 0
		.amdhsa_system_sgpr_private_segment_wavefront_offset 0
		.amdhsa_system_sgpr_workgroup_id_x 1
		.amdhsa_system_sgpr_workgroup_id_y 0
		.amdhsa_system_sgpr_workgroup_id_z 0
		.amdhsa_system_sgpr_workgroup_info 0
		.amdhsa_system_vgpr_workitem_id 0
		.amdhsa_next_free_vgpr 22
		.amdhsa_next_free_sgpr 84
		.amdhsa_reserve_vcc 1
		.amdhsa_reserve_flat_scratch 0
		.amdhsa_float_round_mode_32 0
		.amdhsa_float_round_mode_16_64 0
		.amdhsa_float_denorm_mode_32 3
		.amdhsa_float_denorm_mode_16_64 3
		.amdhsa_dx10_clamp 1
		.amdhsa_ieee_mode 1
		.amdhsa_fp16_overflow 0
		.amdhsa_exception_fp_ieee_invalid_op 0
		.amdhsa_exception_fp_denorm_src 0
		.amdhsa_exception_fp_ieee_div_zero 0
		.amdhsa_exception_fp_ieee_overflow 0
		.amdhsa_exception_fp_ieee_underflow 0
		.amdhsa_exception_fp_ieee_inexact 0
		.amdhsa_exception_int_div_zero 0
	.end_amdhsa_kernel
	.section	.text._ZN2at6native32elementwise_kernel_manual_unrollILi128ELi4EZNS0_15gpu_kernel_implINS0_13AUnaryFunctorIN3c1015Float8_e4m3fnuzES5_bNS0_12_GLOBAL__N_116CompareEqFunctorIS5_EEEEEEvRNS_18TensorIteratorBaseERKT_EUlibE0_EEviT1_,"axG",@progbits,_ZN2at6native32elementwise_kernel_manual_unrollILi128ELi4EZNS0_15gpu_kernel_implINS0_13AUnaryFunctorIN3c1015Float8_e4m3fnuzES5_bNS0_12_GLOBAL__N_116CompareEqFunctorIS5_EEEEEEvRNS_18TensorIteratorBaseERKT_EUlibE0_EEviT1_,comdat
.Lfunc_end308:
	.size	_ZN2at6native32elementwise_kernel_manual_unrollILi128ELi4EZNS0_15gpu_kernel_implINS0_13AUnaryFunctorIN3c1015Float8_e4m3fnuzES5_bNS0_12_GLOBAL__N_116CompareEqFunctorIS5_EEEEEEvRNS_18TensorIteratorBaseERKT_EUlibE0_EEviT1_, .Lfunc_end308-_ZN2at6native32elementwise_kernel_manual_unrollILi128ELi4EZNS0_15gpu_kernel_implINS0_13AUnaryFunctorIN3c1015Float8_e4m3fnuzES5_bNS0_12_GLOBAL__N_116CompareEqFunctorIS5_EEEEEEvRNS_18TensorIteratorBaseERKT_EUlibE0_EEviT1_
                                        ; -- End function
	.set _ZN2at6native32elementwise_kernel_manual_unrollILi128ELi4EZNS0_15gpu_kernel_implINS0_13AUnaryFunctorIN3c1015Float8_e4m3fnuzES5_bNS0_12_GLOBAL__N_116CompareEqFunctorIS5_EEEEEEvRNS_18TensorIteratorBaseERKT_EUlibE0_EEviT1_.num_vgpr, max(22, .L_ZN2at6native6invokeINS0_13AUnaryFunctorIN3c1015Float8_e4m3fnuzES4_bNS0_12_GLOBAL__N_116CompareEqFunctorIS4_EEEEj15function_traitsIS8_EEENT1_11result_typeERKT_PrKPcPKT0_PKNS3_10ScalarTypeEi.num_vgpr)
	.set _ZN2at6native32elementwise_kernel_manual_unrollILi128ELi4EZNS0_15gpu_kernel_implINS0_13AUnaryFunctorIN3c1015Float8_e4m3fnuzES5_bNS0_12_GLOBAL__N_116CompareEqFunctorIS5_EEEEEEvRNS_18TensorIteratorBaseERKT_EUlibE0_EEviT1_.num_agpr, max(0, .L_ZN2at6native6invokeINS0_13AUnaryFunctorIN3c1015Float8_e4m3fnuzES4_bNS0_12_GLOBAL__N_116CompareEqFunctorIS4_EEEEj15function_traitsIS8_EEENT1_11result_typeERKT_PrKPcPKT0_PKNS3_10ScalarTypeEi.num_agpr)
	.set _ZN2at6native32elementwise_kernel_manual_unrollILi128ELi4EZNS0_15gpu_kernel_implINS0_13AUnaryFunctorIN3c1015Float8_e4m3fnuzES5_bNS0_12_GLOBAL__N_116CompareEqFunctorIS5_EEEEEEvRNS_18TensorIteratorBaseERKT_EUlibE0_EEviT1_.numbered_sgpr, max(84, .L_ZN2at6native6invokeINS0_13AUnaryFunctorIN3c1015Float8_e4m3fnuzES4_bNS0_12_GLOBAL__N_116CompareEqFunctorIS4_EEEEj15function_traitsIS8_EEENT1_11result_typeERKT_PrKPcPKT0_PKNS3_10ScalarTypeEi.numbered_sgpr)
	.set _ZN2at6native32elementwise_kernel_manual_unrollILi128ELi4EZNS0_15gpu_kernel_implINS0_13AUnaryFunctorIN3c1015Float8_e4m3fnuzES5_bNS0_12_GLOBAL__N_116CompareEqFunctorIS5_EEEEEEvRNS_18TensorIteratorBaseERKT_EUlibE0_EEviT1_.num_named_barrier, max(0, .L_ZN2at6native6invokeINS0_13AUnaryFunctorIN3c1015Float8_e4m3fnuzES4_bNS0_12_GLOBAL__N_116CompareEqFunctorIS4_EEEEj15function_traitsIS8_EEENT1_11result_typeERKT_PrKPcPKT0_PKNS3_10ScalarTypeEi.num_named_barrier)
	.set _ZN2at6native32elementwise_kernel_manual_unrollILi128ELi4EZNS0_15gpu_kernel_implINS0_13AUnaryFunctorIN3c1015Float8_e4m3fnuzES5_bNS0_12_GLOBAL__N_116CompareEqFunctorIS5_EEEEEEvRNS_18TensorIteratorBaseERKT_EUlibE0_EEviT1_.private_seg_size, 0+max(.L_ZN2at6native6invokeINS0_13AUnaryFunctorIN3c1015Float8_e4m3fnuzES4_bNS0_12_GLOBAL__N_116CompareEqFunctorIS4_EEEEj15function_traitsIS8_EEENT1_11result_typeERKT_PrKPcPKT0_PKNS3_10ScalarTypeEi.private_seg_size)
	.set _ZN2at6native32elementwise_kernel_manual_unrollILi128ELi4EZNS0_15gpu_kernel_implINS0_13AUnaryFunctorIN3c1015Float8_e4m3fnuzES5_bNS0_12_GLOBAL__N_116CompareEqFunctorIS5_EEEEEEvRNS_18TensorIteratorBaseERKT_EUlibE0_EEviT1_.uses_vcc, or(1, .L_ZN2at6native6invokeINS0_13AUnaryFunctorIN3c1015Float8_e4m3fnuzES4_bNS0_12_GLOBAL__N_116CompareEqFunctorIS4_EEEEj15function_traitsIS8_EEENT1_11result_typeERKT_PrKPcPKT0_PKNS3_10ScalarTypeEi.uses_vcc)
	.set _ZN2at6native32elementwise_kernel_manual_unrollILi128ELi4EZNS0_15gpu_kernel_implINS0_13AUnaryFunctorIN3c1015Float8_e4m3fnuzES5_bNS0_12_GLOBAL__N_116CompareEqFunctorIS5_EEEEEEvRNS_18TensorIteratorBaseERKT_EUlibE0_EEviT1_.uses_flat_scratch, or(0, .L_ZN2at6native6invokeINS0_13AUnaryFunctorIN3c1015Float8_e4m3fnuzES4_bNS0_12_GLOBAL__N_116CompareEqFunctorIS4_EEEEj15function_traitsIS8_EEENT1_11result_typeERKT_PrKPcPKT0_PKNS3_10ScalarTypeEi.uses_flat_scratch)
	.set _ZN2at6native32elementwise_kernel_manual_unrollILi128ELi4EZNS0_15gpu_kernel_implINS0_13AUnaryFunctorIN3c1015Float8_e4m3fnuzES5_bNS0_12_GLOBAL__N_116CompareEqFunctorIS5_EEEEEEvRNS_18TensorIteratorBaseERKT_EUlibE0_EEviT1_.has_dyn_sized_stack, or(0, .L_ZN2at6native6invokeINS0_13AUnaryFunctorIN3c1015Float8_e4m3fnuzES4_bNS0_12_GLOBAL__N_116CompareEqFunctorIS4_EEEEj15function_traitsIS8_EEENT1_11result_typeERKT_PrKPcPKT0_PKNS3_10ScalarTypeEi.has_dyn_sized_stack)
	.set _ZN2at6native32elementwise_kernel_manual_unrollILi128ELi4EZNS0_15gpu_kernel_implINS0_13AUnaryFunctorIN3c1015Float8_e4m3fnuzES5_bNS0_12_GLOBAL__N_116CompareEqFunctorIS5_EEEEEEvRNS_18TensorIteratorBaseERKT_EUlibE0_EEviT1_.has_recursion, or(0, .L_ZN2at6native6invokeINS0_13AUnaryFunctorIN3c1015Float8_e4m3fnuzES4_bNS0_12_GLOBAL__N_116CompareEqFunctorIS4_EEEEj15function_traitsIS8_EEENT1_11result_typeERKT_PrKPcPKT0_PKNS3_10ScalarTypeEi.has_recursion)
	.set _ZN2at6native32elementwise_kernel_manual_unrollILi128ELi4EZNS0_15gpu_kernel_implINS0_13AUnaryFunctorIN3c1015Float8_e4m3fnuzES5_bNS0_12_GLOBAL__N_116CompareEqFunctorIS5_EEEEEEvRNS_18TensorIteratorBaseERKT_EUlibE0_EEviT1_.has_indirect_call, or(0, .L_ZN2at6native6invokeINS0_13AUnaryFunctorIN3c1015Float8_e4m3fnuzES4_bNS0_12_GLOBAL__N_116CompareEqFunctorIS4_EEEEj15function_traitsIS8_EEENT1_11result_typeERKT_PrKPcPKT0_PKNS3_10ScalarTypeEi.has_indirect_call)
	.section	.AMDGPU.csdata,"",@progbits
; Kernel info:
; codeLenInByte = 20888
; TotalNumSgprs: 88
; NumVgprs: 22
; ScratchSize: 0
; MemoryBound: 0
; FloatMode: 240
; IeeeMode: 1
; LDSByteSize: 0 bytes/workgroup (compile time only)
; SGPRBlocks: 10
; VGPRBlocks: 5
; NumSGPRsForWavesPerEU: 88
; NumVGPRsForWavesPerEU: 22
; Occupancy: 9
; WaveLimiterHint : 1
; COMPUTE_PGM_RSRC2:SCRATCH_EN: 0
; COMPUTE_PGM_RSRC2:USER_SGPR: 6
; COMPUTE_PGM_RSRC2:TRAP_HANDLER: 0
; COMPUTE_PGM_RSRC2:TGID_X_EN: 1
; COMPUTE_PGM_RSRC2:TGID_Y_EN: 0
; COMPUTE_PGM_RSRC2:TGID_Z_EN: 0
; COMPUTE_PGM_RSRC2:TIDIG_COMP_CNT: 0
	.section	.text._ZN2at6native29vectorized_elementwise_kernelILi16ENS0_13BinaryFunctorIN3c1014Float8_e8m0fnuES4_bNS0_12_GLOBAL__N_116CompareEqFunctorIS4_EEEESt5arrayIPcLm3EEEEviT0_T1_,"axG",@progbits,_ZN2at6native29vectorized_elementwise_kernelILi16ENS0_13BinaryFunctorIN3c1014Float8_e8m0fnuES4_bNS0_12_GLOBAL__N_116CompareEqFunctorIS4_EEEESt5arrayIPcLm3EEEEviT0_T1_,comdat
	.globl	_ZN2at6native29vectorized_elementwise_kernelILi16ENS0_13BinaryFunctorIN3c1014Float8_e8m0fnuES4_bNS0_12_GLOBAL__N_116CompareEqFunctorIS4_EEEESt5arrayIPcLm3EEEEviT0_T1_ ; -- Begin function _ZN2at6native29vectorized_elementwise_kernelILi16ENS0_13BinaryFunctorIN3c1014Float8_e8m0fnuES4_bNS0_12_GLOBAL__N_116CompareEqFunctorIS4_EEEESt5arrayIPcLm3EEEEviT0_T1_
	.p2align	8
	.type	_ZN2at6native29vectorized_elementwise_kernelILi16ENS0_13BinaryFunctorIN3c1014Float8_e8m0fnuES4_bNS0_12_GLOBAL__N_116CompareEqFunctorIS4_EEEESt5arrayIPcLm3EEEEviT0_T1_,@function
_ZN2at6native29vectorized_elementwise_kernelILi16ENS0_13BinaryFunctorIN3c1014Float8_e8m0fnuES4_bNS0_12_GLOBAL__N_116CompareEqFunctorIS4_EEEESt5arrayIPcLm3EEEEviT0_T1_: ; @_ZN2at6native29vectorized_elementwise_kernelILi16ENS0_13BinaryFunctorIN3c1014Float8_e8m0fnuES4_bNS0_12_GLOBAL__N_116CompareEqFunctorIS4_EEEESt5arrayIPcLm3EEEEviT0_T1_
; %bb.0:
	s_load_dwordx2 s[2:3], s[4:5], 0x0
	s_load_dwordx4 s[8:11], s[4:5], 0x8
	s_load_dwordx2 s[14:15], s[4:5], 0x18
	s_lshl_b32 s33, s6, 12
	s_mov_b64 s[0:1], -1
	s_waitcnt lgkmcnt(0)
	s_sub_i32 s40, s2, s33
	s_cmpk_gt_i32 s40, 0xfff
	s_cbranch_scc0 .LBB309_2
; %bb.1:
	s_ashr_i32 s2, s33, 31
	s_add_u32 s0, s10, s33
	s_addc_u32 s1, s11, s2
	v_lshlrev_b32_e32 v9, 4, v0
	global_load_dwordx4 v[1:4], v9, s[0:1]
	s_add_u32 s0, s14, s33
	s_addc_u32 s1, s15, s2
	global_load_dwordx4 v[5:8], v9, s[0:1]
	s_movk_i32 s4, 0xff
	v_mov_b32_e32 v10, 23
	v_mov_b32_e32 v11, 0x7f800001
	v_mov_b32_e32 v12, 0
	v_mov_b32_e32 v13, 0x400000
	s_cmp_eq_u32 s3, 0
	v_mov_b32_e32 v14, 1
	s_waitcnt vmcnt(1)
	v_lshlrev_b32_sdwa v23, v10, v1 dst_sel:DWORD dst_unused:UNUSED_PAD src0_sel:DWORD src1_sel:BYTE_0
	v_cmp_ne_u16_sdwa vcc, v1, s4 src0_sel:BYTE_0 src1_sel:DWORD
	v_lshlrev_b32_sdwa v26, v10, v1 dst_sel:DWORD dst_unused:UNUSED_PAD src0_sel:DWORD src1_sel:BYTE_3
	v_cndmask_b32_e32 v23, v11, v23, vcc
	v_cmp_ne_u16_sdwa vcc, v1, s4 src0_sel:BYTE_3 src1_sel:DWORD
	v_lshrrev_b32_e32 v15, 8, v1
	v_lshlrev_b32_e32 v24, 15, v1
	v_cndmask_b32_e32 v26, v11, v26, vcc
	v_cmp_ne_u16_sdwa vcc, v1, v12 src0_sel:BYTE_0 src1_sel:DWORD
	v_and_b32_sdwa v16, v1, s4 dst_sel:DWORD dst_unused:UNUSED_PAD src0_sel:WORD_1 src1_sel:DWORD
	v_lshlrev_b32_e32 v25, 7, v1
	v_and_b32_e32 v24, 0x7f800000, v24
	v_cndmask_b32_e32 v23, v13, v23, vcc
	v_cmp_ne_u16_sdwa vcc, v15, s4 src0_sel:BYTE_0 src1_sel:DWORD
	v_and_b32_e32 v25, 0x7f800000, v25
	v_cndmask_b32_e32 v24, v11, v24, vcc
	v_cmp_ne_u16_e32 vcc, s4, v16
	v_cndmask_b32_e32 v25, v11, v25, vcc
	v_cmp_ne_u16_sdwa vcc, v1, v12 src0_sel:BYTE_3 src1_sel:DWORD
	s_waitcnt vmcnt(0)
	v_lshlrev_b32_sdwa v35, v10, v5 dst_sel:DWORD dst_unused:UNUSED_PAD src0_sel:DWORD src1_sel:BYTE_0
	v_cndmask_b32_e32 v1, v13, v26, vcc
	v_cmp_ne_u16_sdwa vcc, v5, s4 src0_sel:BYTE_0 src1_sel:DWORD
	v_cndmask_b32_e32 v35, v11, v35, vcc
	v_cmp_ne_u16_sdwa vcc, v15, v12 src0_sel:BYTE_0 src1_sel:DWORD
	v_cndmask_b32_e32 v15, v13, v24, vcc
	v_cmp_ne_u16_e32 vcc, 0, v16
	v_lshlrev_b32_sdwa v26, v10, v5 dst_sel:DWORD dst_unused:UNUSED_PAD src0_sel:DWORD src1_sel:BYTE_3
	v_cndmask_b32_e32 v16, v13, v25, vcc
	v_cmp_ne_u16_sdwa vcc, v5, s4 src0_sel:BYTE_3 src1_sel:DWORD
	v_lshrrev_b32_e32 v27, 8, v5
	v_lshlrev_b32_e32 v36, 15, v5
	v_cndmask_b32_e32 v26, v11, v26, vcc
	v_cmp_ne_u16_sdwa vcc, v5, v12 src0_sel:BYTE_0 src1_sel:DWORD
	v_and_b32_sdwa v28, v5, s4 dst_sel:DWORD dst_unused:UNUSED_PAD src0_sel:WORD_1 src1_sel:DWORD
	v_lshlrev_b32_e32 v37, 7, v5
	v_and_b32_e32 v24, 0x7f800000, v36
	v_cndmask_b32_e32 v35, v13, v35, vcc
	v_cmp_ne_u16_sdwa vcc, v27, s4 src0_sel:BYTE_0 src1_sel:DWORD
	v_and_b32_e32 v25, 0x7f800000, v37
	v_cndmask_b32_e32 v24, v11, v24, vcc
	v_cmp_ne_u16_e32 vcc, s4, v28
	v_cndmask_b32_e32 v25, v11, v25, vcc
	v_cmp_eq_f32_e32 vcc, v23, v35
	v_cndmask_b32_e64 v36, 0, 1, vcc
	v_cmp_neq_f32_e32 vcc, v23, v35
	v_cndmask_b32_e64 v23, 0, 1, vcc
	v_cmp_ne_u16_sdwa vcc, v27, v12 src0_sel:BYTE_0 src1_sel:DWORD
	v_cndmask_b32_e32 v24, v13, v24, vcc
	v_cmp_ne_u16_e32 vcc, 0, v28
	v_cmp_eq_f32_e64 s[0:1], v15, v24
	v_cndmask_b32_e32 v25, v13, v25, vcc
	v_cndmask_b32_e64 v27, 0, 1, s[0:1]
	v_cmp_neq_f32_e64 s[0:1], v15, v24
	v_cndmask_b32_e64 v15, 0, 1, s[0:1]
	v_cmp_eq_f32_e64 s[0:1], v16, v25
	v_cndmask_b32_e64 v24, 0, 1, s[0:1]
	v_cmp_neq_f32_e64 s[0:1], v16, v25
	v_cndmask_b32_e64 v16, 0, 1, s[0:1]
	v_cmp_ne_u16_sdwa s[0:1], v5, v12 src0_sel:BYTE_3 src1_sel:DWORD
	v_cndmask_b32_e64 v5, v13, v26, s[0:1]
	s_cselect_b64 vcc, -1, 0
	v_cmp_eq_f32_e64 s[0:1], v1, v5
	v_cndmask_b32_e32 v16, v16, v24, vcc
	v_cndmask_b32_e64 v24, 0, 1, s[0:1]
	v_cmp_neq_f32_e64 s[0:1], v1, v5
	v_cndmask_b32_e64 v1, 0, 1, s[0:1]
	v_lshlrev_b32_sdwa v5, v10, v2 dst_sel:DWORD dst_unused:UNUSED_PAD src0_sel:DWORD src1_sel:BYTE_0
	v_cmp_ne_u16_sdwa s[0:1], v2, s4 src0_sel:BYTE_0 src1_sel:DWORD
	v_cndmask_b32_e64 v5, v11, v5, s[0:1]
	v_cmp_ne_u16_sdwa s[0:1], v2, v12 src0_sel:BYTE_0 src1_sel:DWORD
	v_cndmask_b32_e32 v1, v1, v24, vcc
	v_cndmask_b32_e64 v5, v13, v5, s[0:1]
	v_lshlrev_b32_sdwa v24, v10, v6 dst_sel:DWORD dst_unused:UNUSED_PAD src0_sel:DWORD src1_sel:BYTE_0
	v_cmp_ne_u16_sdwa s[0:1], v6, s4 src0_sel:BYTE_0 src1_sel:DWORD
	v_cndmask_b32_e64 v24, v11, v24, s[0:1]
	v_cmp_ne_u16_sdwa s[0:1], v6, v12 src0_sel:BYTE_0 src1_sel:DWORD
	v_cndmask_b32_e64 v24, v13, v24, s[0:1]
	v_cmp_eq_f32_e64 s[0:1], v5, v24
	v_lshrrev_b32_e32 v17, 8, v2
	v_cndmask_b32_e64 v25, 0, 1, s[0:1]
	v_cmp_neq_f32_e64 s[0:1], v5, v24
	v_lshlrev_b32_e32 v24, 15, v2
	v_cndmask_b32_e64 v5, 0, 1, s[0:1]
	v_and_b32_e32 v24, 0x7f800000, v24
	v_cmp_ne_u16_sdwa s[0:1], v17, s4 src0_sel:BYTE_0 src1_sel:DWORD
	v_cndmask_b32_e64 v24, v11, v24, s[0:1]
	v_cmp_ne_u16_sdwa s[0:1], v17, v12 src0_sel:BYTE_0 src1_sel:DWORD
	v_lshrrev_b32_e32 v29, 8, v6
	v_cndmask_b32_e64 v17, v13, v24, s[0:1]
	v_lshlrev_b32_e32 v24, 15, v6
	v_and_b32_e32 v24, 0x7f800000, v24
	v_cmp_ne_u16_sdwa s[0:1], v29, s4 src0_sel:BYTE_0 src1_sel:DWORD
	v_cndmask_b32_e64 v24, v11, v24, s[0:1]
	v_cmp_ne_u16_sdwa s[0:1], v29, v12 src0_sel:BYTE_0 src1_sel:DWORD
	v_cndmask_b32_e64 v24, v13, v24, s[0:1]
	v_cmp_eq_f32_e64 s[0:1], v17, v24
	v_and_b32_sdwa v18, v2, s4 dst_sel:DWORD dst_unused:UNUSED_PAD src0_sel:WORD_1 src1_sel:DWORD
	v_cndmask_b32_e32 v5, v5, v25, vcc
	v_cndmask_b32_e64 v25, 0, 1, s[0:1]
	v_cmp_neq_f32_e64 s[0:1], v17, v24
	v_lshlrev_b32_e32 v24, 7, v2
	v_cndmask_b32_e64 v17, 0, 1, s[0:1]
	v_and_b32_e32 v24, 0x7f800000, v24
	v_cmp_ne_u16_e64 s[0:1], s4, v18
	v_cndmask_b32_e64 v24, v11, v24, s[0:1]
	v_cmp_ne_u16_e64 s[0:1], 0, v18
	v_and_b32_sdwa v30, v6, s4 dst_sel:DWORD dst_unused:UNUSED_PAD src0_sel:WORD_1 src1_sel:DWORD
	v_cndmask_b32_e64 v18, v13, v24, s[0:1]
	v_lshlrev_b32_e32 v24, 7, v6
	v_and_b32_e32 v24, 0x7f800000, v24
	v_cmp_ne_u16_e64 s[0:1], s4, v30
	v_cndmask_b32_e64 v24, v11, v24, s[0:1]
	v_cmp_ne_u16_e64 s[0:1], 0, v30
	v_cndmask_b32_e64 v24, v13, v24, s[0:1]
	v_cmp_eq_f32_e64 s[0:1], v18, v24
	v_cndmask_b32_e32 v17, v17, v25, vcc
	v_cndmask_b32_e64 v25, 0, 1, s[0:1]
	v_cmp_neq_f32_e64 s[0:1], v18, v24
	v_cndmask_b32_e64 v18, 0, 1, s[0:1]
	v_lshlrev_b32_sdwa v24, v10, v2 dst_sel:DWORD dst_unused:UNUSED_PAD src0_sel:DWORD src1_sel:BYTE_3
	v_cmp_ne_u16_sdwa s[0:1], v2, s4 src0_sel:BYTE_3 src1_sel:DWORD
	v_cndmask_b32_e64 v24, v11, v24, s[0:1]
	v_cmp_ne_u16_sdwa s[0:1], v2, v12 src0_sel:BYTE_3 src1_sel:DWORD
	v_cndmask_b32_e64 v2, v13, v24, s[0:1]
	v_lshlrev_b32_sdwa v24, v10, v6 dst_sel:DWORD dst_unused:UNUSED_PAD src0_sel:DWORD src1_sel:BYTE_3
	v_cmp_ne_u16_sdwa s[0:1], v6, s4 src0_sel:BYTE_3 src1_sel:DWORD
	v_cndmask_b32_e64 v24, v11, v24, s[0:1]
	v_cmp_ne_u16_sdwa s[0:1], v6, v12 src0_sel:BYTE_3 src1_sel:DWORD
	v_cndmask_b32_e64 v6, v13, v24, s[0:1]
	v_cmp_eq_f32_e64 s[0:1], v2, v6
	v_cndmask_b32_e64 v24, 0, 1, s[0:1]
	v_cmp_neq_f32_e64 s[0:1], v2, v6
	v_cndmask_b32_e64 v2, 0, 1, s[0:1]
	v_lshlrev_b32_sdwa v6, v10, v3 dst_sel:DWORD dst_unused:UNUSED_PAD src0_sel:DWORD src1_sel:BYTE_0
	v_cmp_ne_u16_sdwa s[0:1], v3, s4 src0_sel:BYTE_0 src1_sel:DWORD
	v_cndmask_b32_e64 v6, v11, v6, s[0:1]
	v_cmp_ne_u16_sdwa s[0:1], v3, v12 src0_sel:BYTE_0 src1_sel:DWORD
	v_cndmask_b32_e32 v2, v2, v24, vcc
	v_cndmask_b32_e64 v6, v13, v6, s[0:1]
	v_lshlrev_b32_sdwa v24, v10, v7 dst_sel:DWORD dst_unused:UNUSED_PAD src0_sel:DWORD src1_sel:BYTE_0
	v_cmp_ne_u16_sdwa s[0:1], v7, s4 src0_sel:BYTE_0 src1_sel:DWORD
	v_cndmask_b32_e64 v24, v11, v24, s[0:1]
	v_cmp_ne_u16_sdwa s[0:1], v7, v12 src0_sel:BYTE_0 src1_sel:DWORD
	v_cndmask_b32_e64 v24, v13, v24, s[0:1]
	v_cmp_eq_f32_e64 s[0:1], v6, v24
	v_lshrrev_b32_e32 v19, 8, v3
	v_cndmask_b32_e32 v18, v18, v25, vcc
	v_cndmask_b32_e64 v25, 0, 1, s[0:1]
	v_cmp_neq_f32_e64 s[0:1], v6, v24
	v_lshlrev_b32_e32 v24, 15, v3
	v_cndmask_b32_e64 v6, 0, 1, s[0:1]
	v_and_b32_e32 v24, 0x7f800000, v24
	v_cmp_ne_u16_sdwa s[0:1], v19, s4 src0_sel:BYTE_0 src1_sel:DWORD
	v_cndmask_b32_e64 v24, v11, v24, s[0:1]
	v_cmp_ne_u16_sdwa s[0:1], v19, v12 src0_sel:BYTE_0 src1_sel:DWORD
	v_lshrrev_b32_e32 v31, 8, v7
	v_cndmask_b32_e64 v19, v13, v24, s[0:1]
	v_lshlrev_b32_e32 v24, 15, v7
	v_and_b32_e32 v24, 0x7f800000, v24
	v_cmp_ne_u16_sdwa s[0:1], v31, s4 src0_sel:BYTE_0 src1_sel:DWORD
	v_cndmask_b32_e64 v24, v11, v24, s[0:1]
	v_cmp_ne_u16_sdwa s[0:1], v31, v12 src0_sel:BYTE_0 src1_sel:DWORD
	v_cndmask_b32_e64 v24, v13, v24, s[0:1]
	v_cmp_eq_f32_e64 s[0:1], v19, v24
	v_and_b32_sdwa v20, v3, s4 dst_sel:DWORD dst_unused:UNUSED_PAD src0_sel:WORD_1 src1_sel:DWORD
	v_cndmask_b32_e32 v6, v6, v25, vcc
	v_cndmask_b32_e64 v25, 0, 1, s[0:1]
	v_cmp_neq_f32_e64 s[0:1], v19, v24
	v_lshlrev_b32_e32 v24, 7, v3
	v_cndmask_b32_e64 v19, 0, 1, s[0:1]
	v_and_b32_e32 v24, 0x7f800000, v24
	v_cmp_ne_u16_e64 s[0:1], s4, v20
	v_cndmask_b32_e64 v24, v11, v24, s[0:1]
	v_cmp_ne_u16_e64 s[0:1], 0, v20
	v_and_b32_sdwa v32, v7, s4 dst_sel:DWORD dst_unused:UNUSED_PAD src0_sel:WORD_1 src1_sel:DWORD
	v_cndmask_b32_e64 v20, v13, v24, s[0:1]
	v_lshlrev_b32_e32 v24, 7, v7
	v_and_b32_e32 v24, 0x7f800000, v24
	v_cmp_ne_u16_e64 s[0:1], s4, v32
	v_cndmask_b32_e64 v24, v11, v24, s[0:1]
	v_cmp_ne_u16_e64 s[0:1], 0, v32
	v_cndmask_b32_e64 v24, v13, v24, s[0:1]
	v_cmp_eq_f32_e64 s[0:1], v20, v24
	v_cndmask_b32_e32 v19, v19, v25, vcc
	v_cndmask_b32_e64 v25, 0, 1, s[0:1]
	v_cmp_neq_f32_e64 s[0:1], v20, v24
	v_cndmask_b32_e64 v20, 0, 1, s[0:1]
	v_lshlrev_b32_sdwa v24, v10, v3 dst_sel:DWORD dst_unused:UNUSED_PAD src0_sel:DWORD src1_sel:BYTE_3
	v_cmp_ne_u16_sdwa s[0:1], v3, s4 src0_sel:BYTE_3 src1_sel:DWORD
	v_cndmask_b32_e64 v24, v11, v24, s[0:1]
	v_cmp_ne_u16_sdwa s[0:1], v3, v12 src0_sel:BYTE_3 src1_sel:DWORD
	v_cndmask_b32_e64 v3, v13, v24, s[0:1]
	v_lshlrev_b32_sdwa v24, v10, v7 dst_sel:DWORD dst_unused:UNUSED_PAD src0_sel:DWORD src1_sel:BYTE_3
	v_cmp_ne_u16_sdwa s[0:1], v7, s4 src0_sel:BYTE_3 src1_sel:DWORD
	v_cndmask_b32_e64 v24, v11, v24, s[0:1]
	v_cmp_ne_u16_sdwa s[0:1], v7, v12 src0_sel:BYTE_3 src1_sel:DWORD
	v_cndmask_b32_e64 v7, v13, v24, s[0:1]
	v_cmp_eq_f32_e64 s[0:1], v3, v7
	v_cndmask_b32_e64 v24, 0, 1, s[0:1]
	v_cmp_neq_f32_e64 s[0:1], v3, v7
	v_cndmask_b32_e64 v3, 0, 1, s[0:1]
	v_lshlrev_b32_sdwa v7, v10, v4 dst_sel:DWORD dst_unused:UNUSED_PAD src0_sel:DWORD src1_sel:BYTE_0
	v_cmp_ne_u16_sdwa s[0:1], v4, s4 src0_sel:BYTE_0 src1_sel:DWORD
	v_cndmask_b32_e64 v7, v11, v7, s[0:1]
	v_cmp_ne_u16_sdwa s[0:1], v4, v12 src0_sel:BYTE_0 src1_sel:DWORD
	v_cndmask_b32_e32 v3, v3, v24, vcc
	v_cndmask_b32_e64 v7, v13, v7, s[0:1]
	v_lshlrev_b32_sdwa v24, v10, v8 dst_sel:DWORD dst_unused:UNUSED_PAD src0_sel:DWORD src1_sel:BYTE_0
	v_cmp_ne_u16_sdwa s[0:1], v8, s4 src0_sel:BYTE_0 src1_sel:DWORD
	v_cndmask_b32_e64 v24, v11, v24, s[0:1]
	v_cmp_ne_u16_sdwa s[0:1], v8, v12 src0_sel:BYTE_0 src1_sel:DWORD
	v_cndmask_b32_e64 v24, v13, v24, s[0:1]
	v_cmp_eq_f32_e64 s[0:1], v7, v24
	v_lshrrev_b32_e32 v21, 8, v4
	v_cndmask_b32_e32 v20, v20, v25, vcc
	v_cndmask_b32_e64 v25, 0, 1, s[0:1]
	v_cmp_neq_f32_e64 s[0:1], v7, v24
	v_lshlrev_b32_e32 v24, 15, v4
	v_cndmask_b32_e64 v7, 0, 1, s[0:1]
	v_and_b32_e32 v24, 0x7f800000, v24
	v_cmp_ne_u16_sdwa s[0:1], v21, s4 src0_sel:BYTE_0 src1_sel:DWORD
	v_cndmask_b32_e64 v24, v11, v24, s[0:1]
	v_cmp_ne_u16_sdwa s[0:1], v21, v12 src0_sel:BYTE_0 src1_sel:DWORD
	v_lshrrev_b32_e32 v33, 8, v8
	v_cndmask_b32_e64 v21, v13, v24, s[0:1]
	v_lshlrev_b32_e32 v24, 15, v8
	v_and_b32_e32 v24, 0x7f800000, v24
	v_cmp_ne_u16_sdwa s[0:1], v33, s4 src0_sel:BYTE_0 src1_sel:DWORD
	v_cndmask_b32_e64 v24, v11, v24, s[0:1]
	v_cmp_ne_u16_sdwa s[0:1], v33, v12 src0_sel:BYTE_0 src1_sel:DWORD
	v_cndmask_b32_e64 v24, v13, v24, s[0:1]
	v_cmp_eq_f32_e64 s[0:1], v21, v24
	v_and_b32_sdwa v22, v4, s4 dst_sel:DWORD dst_unused:UNUSED_PAD src0_sel:WORD_1 src1_sel:DWORD
	v_cndmask_b32_e32 v7, v7, v25, vcc
	v_cndmask_b32_e64 v25, 0, 1, s[0:1]
	v_cmp_neq_f32_e64 s[0:1], v21, v24
	v_lshlrev_b32_e32 v24, 7, v4
	v_cndmask_b32_e64 v21, 0, 1, s[0:1]
	v_and_b32_e32 v24, 0x7f800000, v24
	v_cmp_ne_u16_e64 s[0:1], s4, v22
	v_cndmask_b32_e64 v24, v11, v24, s[0:1]
	v_cmp_ne_u16_e64 s[0:1], 0, v22
	v_and_b32_sdwa v34, v8, s4 dst_sel:DWORD dst_unused:UNUSED_PAD src0_sel:WORD_1 src1_sel:DWORD
	v_cndmask_b32_e64 v22, v13, v24, s[0:1]
	v_lshlrev_b32_e32 v24, 7, v8
	v_and_b32_e32 v24, 0x7f800000, v24
	v_cmp_ne_u16_e64 s[0:1], s4, v34
	v_cndmask_b32_e64 v24, v11, v24, s[0:1]
	v_cmp_ne_u16_e64 s[0:1], 0, v34
	v_cndmask_b32_e64 v24, v13, v24, s[0:1]
	v_cmp_eq_f32_e64 s[0:1], v22, v24
	v_cndmask_b32_e32 v21, v21, v25, vcc
	v_cndmask_b32_e64 v25, 0, 1, s[0:1]
	v_cmp_neq_f32_e64 s[0:1], v22, v24
	v_cndmask_b32_e64 v22, 0, 1, s[0:1]
	v_lshlrev_b32_sdwa v24, v10, v4 dst_sel:DWORD dst_unused:UNUSED_PAD src0_sel:DWORD src1_sel:BYTE_3
	v_cmp_ne_u16_sdwa s[0:1], v4, s4 src0_sel:BYTE_3 src1_sel:DWORD
	v_cndmask_b32_e64 v24, v11, v24, s[0:1]
	v_cmp_ne_u16_sdwa s[0:1], v4, v12 src0_sel:BYTE_3 src1_sel:DWORD
	v_cndmask_b32_e64 v4, v13, v24, s[0:1]
	v_lshlrev_b32_sdwa v10, v10, v8 dst_sel:DWORD dst_unused:UNUSED_PAD src0_sel:DWORD src1_sel:BYTE_3
	v_cmp_ne_u16_sdwa s[0:1], v8, s4 src0_sel:BYTE_3 src1_sel:DWORD
	v_cndmask_b32_e64 v10, v11, v10, s[0:1]
	v_cmp_ne_u16_sdwa s[0:1], v8, v12 src0_sel:BYTE_3 src1_sel:DWORD
	v_cndmask_b32_e64 v8, v13, v10, s[0:1]
	v_cmp_eq_f32_e64 s[0:1], v4, v8
	v_cndmask_b32_e64 v10, 0, 1, s[0:1]
	v_cmp_neq_f32_e64 s[0:1], v4, v8
	v_cndmask_b32_e64 v4, 0, 1, s[0:1]
	v_cndmask_b32_e32 v23, v23, v36, vcc
	v_cndmask_b32_e32 v15, v15, v27, vcc
	v_and_b32_e32 v5, 1, v5
	v_and_b32_sdwa v17, v17, v14 dst_sel:BYTE_1 dst_unused:UNUSED_PAD src0_sel:DWORD src1_sel:DWORD
	v_and_b32_e32 v18, 1, v18
	v_and_b32_sdwa v2, v2, v14 dst_sel:BYTE_1 dst_unused:UNUSED_PAD src0_sel:DWORD src1_sel:DWORD
	v_cndmask_b32_e32 v22, v22, v25, vcc
	v_cndmask_b32_e32 v4, v4, v10, vcc
	v_and_b32_e32 v23, 1, v23
	v_and_b32_sdwa v15, v15, v14 dst_sel:BYTE_1 dst_unused:UNUSED_PAD src0_sel:DWORD src1_sel:DWORD
	v_and_b32_e32 v16, 1, v16
	v_and_b32_sdwa v1, v1, v14 dst_sel:BYTE_1 dst_unused:UNUSED_PAD src0_sel:DWORD src1_sel:DWORD
	;; [unrolled: 2-line block ×6, first 2 shown]
	v_or_b32_e32 v5, v5, v17
	v_or_b32_sdwa v2, v18, v2 dst_sel:WORD_1 dst_unused:UNUSED_PAD src0_sel:DWORD src1_sel:DWORD
	s_add_u32 s0, s8, s33
	v_or_b32_e32 v7, v7, v21
	v_or_b32_sdwa v4, v22, v4 dst_sel:WORD_1 dst_unused:UNUSED_PAD src0_sel:DWORD src1_sel:DWORD
	v_or_b32_e32 v6, v6, v19
	v_or_b32_sdwa v3, v20, v3 dst_sel:WORD_1 dst_unused:UNUSED_PAD src0_sel:DWORD src1_sel:DWORD
	v_or_b32_sdwa v2, v5, v2 dst_sel:DWORD dst_unused:UNUSED_PAD src0_sel:WORD_0 src1_sel:DWORD
	v_or_b32_e32 v5, v23, v15
	v_or_b32_sdwa v1, v16, v1 dst_sel:WORD_1 dst_unused:UNUSED_PAD src0_sel:DWORD src1_sel:DWORD
	s_addc_u32 s1, s9, s2
	v_or_b32_sdwa v4, v7, v4 dst_sel:DWORD dst_unused:UNUSED_PAD src0_sel:WORD_0 src1_sel:DWORD
	v_or_b32_sdwa v3, v6, v3 dst_sel:DWORD dst_unused:UNUSED_PAD src0_sel:WORD_0 src1_sel:DWORD
	;; [unrolled: 1-line block ×3, first 2 shown]
	global_store_dwordx4 v9, v[1:4], s[0:1]
	s_mov_b64 s[0:1], 0
.LBB309_2:
	s_andn2_b64 vcc, exec, s[0:1]
	s_cbranch_vccnz .LBB309_83
; %bb.3:
	v_cmp_gt_i32_e32 vcc, s40, v0
	v_mov_b32_e32 v5, 0
	v_or_b32_e32 v6, s33, v0
	v_mov_b32_e32 v9, 0
	v_mov_b32_e32 v7, 0
	v_mov_b32_e32 v10, 0
	v_mov_b32_e32 v8, 0
	v_mov_b32_e32 v12, 0
	v_mov_b32_e32 v11, 0
	v_mov_b32_e32 v14, 0
	v_mov_b32_e32 v13, 0
	v_mov_b32_e32 v16, 0
	v_mov_b32_e32 v15, 0
	v_mov_b32_e32 v18, 0
	v_mov_b32_e32 v17, 0
	v_mov_b32_e32 v20, 0
	v_mov_b32_e32 v19, 0
	v_mov_b32_e32 v22, 0
	v_mov_b32_e32 v21, 0
	v_mov_b32_e32 v24, 0
	v_mov_b32_e32 v23, 0
	v_mov_b32_e32 v26, 0
	v_mov_b32_e32 v25, 0
	v_mov_b32_e32 v28, 0
	v_mov_b32_e32 v27, 0
	v_mov_b32_e32 v30, 0
	v_mov_b32_e32 v29, 0
	v_mov_b32_e32 v32, 0
	v_mov_b32_e32 v31, 0
	v_mov_b32_e32 v34, 0
	v_mov_b32_e32 v33, 0
	v_mov_b32_e32 v36, 0
	v_mov_b32_e32 v35, 0
	v_mov_b32_e32 v38, 0
	v_mov_b32_e32 v37, 0
	s_and_saveexec_b64 s[4:5], vcc
	s_cbranch_execz .LBB309_35
; %bb.4:
	global_load_ubyte v38, v6, s[10:11]
	global_load_ubyte v37, v6, s[14:15]
	v_or_b32_e32 v1, 0x100, v0
	v_cmp_gt_u32_e64 s[0:1], s40, v1
	v_mov_b32_e32 v35, 0
	v_mov_b32_e32 v36, 0
	;; [unrolled: 1-line block ×30, first 2 shown]
	s_and_saveexec_b64 s[6:7], s[0:1]
	s_cbranch_execz .LBB309_34
; %bb.5:
	v_add_u32_e32 v3, s33, v0
	global_load_ubyte v36, v3, s[10:11] offset:256
	global_load_ubyte v35, v3, s[14:15] offset:256
	v_or_b32_e32 v1, 0x200, v0
	v_mov_b32_e32 v33, 0
	v_cmp_gt_u32_e64 s[0:1], s40, v1
	v_mov_b32_e32 v34, 0
	v_mov_b32_e32 v31, 0
	;; [unrolled: 1-line block ×27, first 2 shown]
	s_and_saveexec_b64 s[12:13], s[0:1]
	s_cbranch_execz .LBB309_33
; %bb.6:
	v_mov_b32_e32 v2, s11
	v_add_co_u32_e64 v1, s[0:1], s10, v3
	v_addc_co_u32_e64 v2, s[0:1], 0, v2, s[0:1]
	v_mov_b32_e32 v4, s15
	v_add_co_u32_e64 v3, s[0:1], s14, v3
	v_addc_co_u32_e64 v4, s[0:1], 0, v4, s[0:1]
	global_load_ubyte v34, v[1:2], off offset:512
	global_load_ubyte v33, v[3:4], off offset:512
	v_or_b32_e32 v7, 0x300, v0
	v_cmp_gt_u32_e64 s[0:1], s40, v7
	v_mov_b32_e32 v31, 0
	v_mov_b32_e32 v32, 0
	;; [unrolled: 1-line block ×26, first 2 shown]
	s_and_saveexec_b64 s[10:11], s[0:1]
	s_cbranch_execz .LBB309_32
; %bb.7:
	global_load_ubyte v32, v[1:2], off offset:768
	global_load_ubyte v31, v[3:4], off offset:768
	v_or_b32_e32 v7, 0x400, v0
	v_cmp_gt_u32_e64 s[0:1], s40, v7
	v_mov_b32_e32 v29, 0
	v_mov_b32_e32 v30, 0
	;; [unrolled: 1-line block ×24, first 2 shown]
	s_and_saveexec_b64 s[14:15], s[0:1]
	s_cbranch_execz .LBB309_31
; %bb.8:
	global_load_ubyte v30, v[1:2], off offset:1024
	global_load_ubyte v29, v[3:4], off offset:1024
	v_or_b32_e32 v7, 0x500, v0
	v_cmp_gt_u32_e64 s[0:1], s40, v7
	v_mov_b32_e32 v27, 0
	v_mov_b32_e32 v28, 0
	;; [unrolled: 1-line block ×22, first 2 shown]
	s_and_saveexec_b64 s[16:17], s[0:1]
	s_cbranch_execz .LBB309_30
; %bb.9:
	global_load_ubyte v28, v[1:2], off offset:1280
	global_load_ubyte v27, v[3:4], off offset:1280
	v_or_b32_e32 v7, 0x600, v0
	v_cmp_gt_u32_e64 s[0:1], s40, v7
	v_mov_b32_e32 v25, 0
	v_mov_b32_e32 v26, 0
	;; [unrolled: 1-line block ×20, first 2 shown]
	s_and_saveexec_b64 s[18:19], s[0:1]
	s_cbranch_execz .LBB309_29
; %bb.10:
	global_load_ubyte v26, v[1:2], off offset:1536
	global_load_ubyte v25, v[3:4], off offset:1536
	v_or_b32_e32 v7, 0x700, v0
	v_cmp_gt_u32_e64 s[0:1], s40, v7
	v_mov_b32_e32 v23, 0
	v_mov_b32_e32 v24, 0
	;; [unrolled: 1-line block ×18, first 2 shown]
	s_and_saveexec_b64 s[20:21], s[0:1]
	s_cbranch_execz .LBB309_28
; %bb.11:
	global_load_ubyte v24, v[1:2], off offset:1792
	global_load_ubyte v23, v[3:4], off offset:1792
	v_or_b32_e32 v7, 0x800, v0
	v_cmp_gt_u32_e64 s[0:1], s40, v7
	v_mov_b32_e32 v21, 0
	v_mov_b32_e32 v22, 0
	;; [unrolled: 1-line block ×16, first 2 shown]
	s_and_saveexec_b64 s[22:23], s[0:1]
	s_cbranch_execz .LBB309_27
; %bb.12:
	global_load_ubyte v22, v[1:2], off offset:2048
	global_load_ubyte v21, v[3:4], off offset:2048
	v_or_b32_e32 v7, 0x900, v0
	v_cmp_gt_u32_e64 s[0:1], s40, v7
	v_mov_b32_e32 v19, 0
	v_mov_b32_e32 v20, 0
	;; [unrolled: 1-line block ×14, first 2 shown]
	s_and_saveexec_b64 s[24:25], s[0:1]
	s_cbranch_execz .LBB309_26
; %bb.13:
	global_load_ubyte v20, v[1:2], off offset:2304
	global_load_ubyte v19, v[3:4], off offset:2304
	v_or_b32_e32 v7, 0xa00, v0
	v_cmp_gt_u32_e64 s[0:1], s40, v7
	v_mov_b32_e32 v17, 0
	v_mov_b32_e32 v18, 0
	v_mov_b32_e32 v15, 0
	v_mov_b32_e32 v16, 0
	v_mov_b32_e32 v13, 0
	v_mov_b32_e32 v14, 0
	v_mov_b32_e32 v11, 0
	v_mov_b32_e32 v12, 0
	v_mov_b32_e32 v8, 0
	v_mov_b32_e32 v10, 0
	v_mov_b32_e32 v7, 0
	v_mov_b32_e32 v9, 0
	s_and_saveexec_b64 s[26:27], s[0:1]
	s_cbranch_execz .LBB309_25
; %bb.14:
	global_load_ubyte v18, v[1:2], off offset:2560
	global_load_ubyte v17, v[3:4], off offset:2560
	v_or_b32_e32 v7, 0xb00, v0
	v_cmp_gt_u32_e64 s[0:1], s40, v7
	v_mov_b32_e32 v15, 0
	v_mov_b32_e32 v16, 0
	;; [unrolled: 1-line block ×10, first 2 shown]
	s_and_saveexec_b64 s[28:29], s[0:1]
	s_cbranch_execz .LBB309_24
; %bb.15:
	global_load_ubyte v16, v[1:2], off offset:2816
	global_load_ubyte v15, v[3:4], off offset:2816
	v_or_b32_e32 v7, 0xc00, v0
	v_cmp_gt_u32_e64 s[0:1], s40, v7
	v_mov_b32_e32 v13, 0
	v_mov_b32_e32 v14, 0
	;; [unrolled: 1-line block ×8, first 2 shown]
	s_and_saveexec_b64 s[30:31], s[0:1]
	s_cbranch_execz .LBB309_23
; %bb.16:
	global_load_ubyte v14, v[1:2], off offset:3072
	global_load_ubyte v13, v[3:4], off offset:3072
	v_or_b32_e32 v7, 0xd00, v0
	v_cmp_gt_u32_e64 s[0:1], s40, v7
	v_mov_b32_e32 v11, 0
	v_mov_b32_e32 v12, 0
	;; [unrolled: 1-line block ×6, first 2 shown]
	s_and_saveexec_b64 s[34:35], s[0:1]
	s_cbranch_execz .LBB309_22
; %bb.17:
	global_load_ubyte v12, v[1:2], off offset:3328
	global_load_ubyte v11, v[3:4], off offset:3328
	v_or_b32_e32 v7, 0xe00, v0
	v_cmp_gt_u32_e64 s[0:1], s40, v7
	v_mov_b32_e32 v8, 0
	v_mov_b32_e32 v10, 0
	;; [unrolled: 1-line block ×4, first 2 shown]
	s_and_saveexec_b64 s[36:37], s[0:1]
	s_cbranch_execz .LBB309_21
; %bb.18:
	global_load_ubyte v10, v[1:2], off offset:3584
	global_load_ubyte v8, v[3:4], off offset:3584
	v_or_b32_e32 v7, 0xf00, v0
	v_cmp_gt_u32_e64 s[0:1], s40, v7
	v_mov_b32_e32 v7, 0
	v_mov_b32_e32 v9, 0
	s_and_saveexec_b64 s[38:39], s[0:1]
	s_cbranch_execz .LBB309_20
; %bb.19:
	global_load_ubyte v9, v[1:2], off offset:3840
	global_load_ubyte v7, v[3:4], off offset:3840
.LBB309_20:
	s_or_b64 exec, exec, s[38:39]
.LBB309_21:
	s_or_b64 exec, exec, s[36:37]
.LBB309_22:
	s_or_b64 exec, exec, s[34:35]
.LBB309_23:
	s_or_b64 exec, exec, s[30:31]
.LBB309_24:
	s_or_b64 exec, exec, s[28:29]
.LBB309_25:
	s_or_b64 exec, exec, s[26:27]
.LBB309_26:
	s_or_b64 exec, exec, s[24:25]
.LBB309_27:
	s_or_b64 exec, exec, s[22:23]
.LBB309_28:
	s_or_b64 exec, exec, s[20:21]
.LBB309_29:
	s_or_b64 exec, exec, s[18:19]
.LBB309_30:
	s_or_b64 exec, exec, s[16:17]
.LBB309_31:
	s_or_b64 exec, exec, s[14:15]
.LBB309_32:
	s_or_b64 exec, exec, s[10:11]
.LBB309_33:
	s_or_b64 exec, exec, s[12:13]
.LBB309_34:
	s_or_b64 exec, exec, s[6:7]
.LBB309_35:
	s_or_b64 exec, exec, s[4:5]
	s_cmp_eq_u32 s3, 0
	s_cselect_b64 s[0:1], -1, 0
	v_mov_b32_e32 v3, v5
	v_mov_b32_e32 v2, v5
	;; [unrolled: 1-line block ×3, first 2 shown]
	s_and_saveexec_b64 s[4:5], vcc
	s_cbranch_execz .LBB309_37
; %bb.36:
	s_movk_i32 s6, 0xff
	v_mov_b32_e32 v1, 23
	s_waitcnt vmcnt(1)
	v_lshlrev_b32_sdwa v2, v1, v38 dst_sel:DWORD dst_unused:UNUSED_PAD src0_sel:DWORD src1_sel:BYTE_0
	v_mov_b32_e32 v4, 0x7f800001
	v_cmp_ne_u16_sdwa s[2:3], v38, s6 src0_sel:BYTE_0 src1_sel:DWORD
	v_mov_b32_e32 v3, 0
	v_cndmask_b32_e64 v2, v4, v2, s[2:3]
	v_mov_b32_e32 v5, 0x400000
	v_cmp_ne_u16_sdwa s[2:3], v38, v3 src0_sel:BYTE_0 src1_sel:DWORD
	v_cndmask_b32_e64 v2, v5, v2, s[2:3]
	s_waitcnt vmcnt(0)
	v_lshlrev_b32_sdwa v1, v1, v37 dst_sel:DWORD dst_unused:UNUSED_PAD src0_sel:DWORD src1_sel:BYTE_0
	v_cmp_ne_u16_sdwa s[2:3], v37, s6 src0_sel:BYTE_0 src1_sel:DWORD
	v_cndmask_b32_e64 v1, v4, v1, s[2:3]
	v_cmp_ne_u16_sdwa s[2:3], v37, v3 src0_sel:BYTE_0 src1_sel:DWORD
	v_cndmask_b32_e64 v1, v5, v1, s[2:3]
	v_cmp_eq_f32_e64 s[2:3], v2, v1
	v_cndmask_b32_e64 v4, 0, 1, s[2:3]
	v_cmp_neq_f32_e64 s[2:3], v2, v1
	v_cndmask_b32_e64 v1, 0, 1, s[2:3]
	v_cndmask_b32_e64 v1, v1, v4, s[0:1]
	v_and_b32_e32 v1, 1, v1
	v_and_b32_e32 v5, 0xffff, v1
	v_mov_b32_e32 v2, v3
	v_mov_b32_e32 v1, v3
.LBB309_37:
	s_or_b64 exec, exec, s[4:5]
	v_or_b32_e32 v4, 0x100, v0
	v_cmp_gt_i32_e64 s[2:3], s40, v4
	s_and_saveexec_b64 s[4:5], s[2:3]
	s_cbranch_execz .LBB309_39
; %bb.38:
	s_movk_i32 s6, 0xff
	s_waitcnt vmcnt(0)
	v_mov_b32_e32 v37, 23
	v_lshlrev_b32_sdwa v38, v37, v36 dst_sel:DWORD dst_unused:UNUSED_PAD src0_sel:DWORD src1_sel:BYTE_0
	v_mov_b32_e32 v39, 0x7f800001
	v_cmp_ne_u16_sdwa s[2:3], v36, s6 src0_sel:BYTE_0 src1_sel:DWORD
	v_mov_b32_e32 v40, 0
	v_cndmask_b32_e64 v38, v39, v38, s[2:3]
	v_mov_b32_e32 v41, 0x400000
	v_cmp_ne_u16_sdwa s[2:3], v36, v40 src0_sel:BYTE_0 src1_sel:DWORD
	v_cndmask_b32_e64 v36, v41, v38, s[2:3]
	v_lshlrev_b32_sdwa v37, v37, v35 dst_sel:DWORD dst_unused:UNUSED_PAD src0_sel:DWORD src1_sel:BYTE_0
	v_cmp_ne_u16_sdwa s[2:3], v35, s6 src0_sel:BYTE_0 src1_sel:DWORD
	v_cndmask_b32_e64 v37, v39, v37, s[2:3]
	v_cmp_ne_u16_sdwa s[2:3], v35, v40 src0_sel:BYTE_0 src1_sel:DWORD
	v_cndmask_b32_e64 v35, v41, v37, s[2:3]
	v_cmp_eq_f32_e64 s[2:3], v36, v35
	v_cndmask_b32_e64 v37, 0, 1, s[2:3]
	v_cmp_neq_f32_e64 s[2:3], v36, v35
	v_cndmask_b32_e64 v35, 0, 1, s[2:3]
	v_cndmask_b32_e64 v35, v35, v37, s[0:1]
	v_mov_b32_e32 v36, 1
	v_and_b32_sdwa v35, v35, v36 dst_sel:BYTE_1 dst_unused:UNUSED_PAD src0_sel:DWORD src1_sel:DWORD
	v_or_b32_sdwa v35, v5, v35 dst_sel:DWORD dst_unused:UNUSED_PAD src0_sel:BYTE_0 src1_sel:DWORD
	v_and_b32_e32 v35, 0xffff, v35
	s_mov_b32 s2, 0xffff0000
	v_and_or_b32 v5, v5, s2, v35
.LBB309_39:
	s_or_b64 exec, exec, s[4:5]
	s_waitcnt vmcnt(0)
	v_or_b32_e32 v35, 0x200, v0
	v_cmp_gt_i32_e64 s[2:3], s40, v35
	s_and_saveexec_b64 s[4:5], s[2:3]
	s_cbranch_execz .LBB309_41
; %bb.40:
	s_movk_i32 s2, 0xff00
	s_movk_i32 s6, 0xff
	v_mov_b32_e32 v36, 23
	v_and_b32_sdwa v35, v5, s2 dst_sel:DWORD dst_unused:UNUSED_PAD src0_sel:WORD_1 src1_sel:DWORD
	v_lshlrev_b32_sdwa v37, v36, v34 dst_sel:DWORD dst_unused:UNUSED_PAD src0_sel:DWORD src1_sel:BYTE_0
	v_mov_b32_e32 v38, 0x7f800001
	v_cmp_ne_u16_sdwa s[2:3], v34, s6 src0_sel:BYTE_0 src1_sel:DWORD
	v_mov_b32_e32 v39, 0
	v_cndmask_b32_e64 v37, v38, v37, s[2:3]
	v_mov_b32_e32 v40, 0x400000
	v_cmp_ne_u16_sdwa s[2:3], v34, v39 src0_sel:BYTE_0 src1_sel:DWORD
	v_cndmask_b32_e64 v34, v40, v37, s[2:3]
	v_lshlrev_b32_sdwa v36, v36, v33 dst_sel:DWORD dst_unused:UNUSED_PAD src0_sel:DWORD src1_sel:BYTE_0
	v_cmp_ne_u16_sdwa s[2:3], v33, s6 src0_sel:BYTE_0 src1_sel:DWORD
	v_cndmask_b32_e64 v36, v38, v36, s[2:3]
	v_cmp_ne_u16_sdwa s[2:3], v33, v39 src0_sel:BYTE_0 src1_sel:DWORD
	v_cndmask_b32_e64 v33, v40, v36, s[2:3]
	v_cmp_eq_f32_e64 s[2:3], v34, v33
	v_cndmask_b32_e64 v36, 0, 1, s[2:3]
	v_cmp_neq_f32_e64 s[2:3], v34, v33
	v_cndmask_b32_e64 v33, 0, 1, s[2:3]
	v_cndmask_b32_e64 v33, v33, v36, s[0:1]
	v_and_b32_e32 v33, 1, v33
	v_or_b32_sdwa v33, v33, v35 dst_sel:WORD_1 dst_unused:UNUSED_PAD src0_sel:DWORD src1_sel:DWORD
	s_mov_b32 s2, 0xffff
	v_and_or_b32 v5, v5, s2, v33
.LBB309_41:
	s_or_b64 exec, exec, s[4:5]
	v_or_b32_e32 v33, 0x300, v0
	v_cmp_gt_i32_e64 s[2:3], s40, v33
	s_and_saveexec_b64 s[4:5], s[2:3]
	s_cbranch_execz .LBB309_43
; %bb.42:
	s_movk_i32 s6, 0xff
	v_mov_b32_e32 v34, 23
	v_lshlrev_b32_sdwa v35, v34, v32 dst_sel:DWORD dst_unused:UNUSED_PAD src0_sel:DWORD src1_sel:BYTE_0
	v_mov_b32_e32 v36, 0x7f800001
	v_cmp_ne_u16_sdwa s[2:3], v32, s6 src0_sel:BYTE_0 src1_sel:DWORD
	v_mov_b32_e32 v37, 0
	v_cndmask_b32_e64 v35, v36, v35, s[2:3]
	v_mov_b32_e32 v38, 0x400000
	v_cmp_ne_u16_sdwa s[2:3], v32, v37 src0_sel:BYTE_0 src1_sel:DWORD
	v_cndmask_b32_e64 v32, v38, v35, s[2:3]
	v_lshlrev_b32_sdwa v34, v34, v31 dst_sel:DWORD dst_unused:UNUSED_PAD src0_sel:DWORD src1_sel:BYTE_0
	v_cmp_ne_u16_sdwa s[2:3], v31, s6 src0_sel:BYTE_0 src1_sel:DWORD
	v_cndmask_b32_e64 v34, v36, v34, s[2:3]
	v_cmp_ne_u16_sdwa s[2:3], v31, v37 src0_sel:BYTE_0 src1_sel:DWORD
	v_cndmask_b32_e64 v31, v38, v34, s[2:3]
	v_cmp_eq_f32_e64 s[2:3], v32, v31
	v_cndmask_b32_e64 v34, 0, 1, s[2:3]
	v_cmp_neq_f32_e64 s[2:3], v32, v31
	v_cndmask_b32_e64 v31, 0, 1, s[2:3]
	v_cndmask_b32_e64 v31, v31, v34, s[0:1]
	v_mov_b32_e32 v32, 1
	v_and_b32_sdwa v33, v5, s6 dst_sel:DWORD dst_unused:UNUSED_PAD src0_sel:WORD_1 src1_sel:DWORD
	v_and_b32_sdwa v31, v31, v32 dst_sel:BYTE_1 dst_unused:UNUSED_PAD src0_sel:DWORD src1_sel:DWORD
	v_or_b32_sdwa v31, v33, v31 dst_sel:WORD_1 dst_unused:UNUSED_PAD src0_sel:DWORD src1_sel:DWORD
	s_mov_b32 s2, 0xffff
	v_and_or_b32 v5, v5, s2, v31
.LBB309_43:
	s_or_b64 exec, exec, s[4:5]
	v_or_b32_e32 v31, 0x400, v0
	v_cmp_gt_i32_e64 s[2:3], s40, v31
	s_and_saveexec_b64 s[4:5], s[2:3]
	s_cbranch_execz .LBB309_45
; %bb.44:
	s_movk_i32 s6, 0xff
	v_mov_b32_e32 v32, 23
	v_lshlrev_b32_sdwa v33, v32, v30 dst_sel:DWORD dst_unused:UNUSED_PAD src0_sel:DWORD src1_sel:BYTE_0
	v_mov_b32_e32 v34, 0x7f800001
	v_cmp_ne_u16_sdwa s[2:3], v30, s6 src0_sel:BYTE_0 src1_sel:DWORD
	v_mov_b32_e32 v35, 0
	v_cndmask_b32_e64 v33, v34, v33, s[2:3]
	v_mov_b32_e32 v36, 0x400000
	v_cmp_ne_u16_sdwa s[2:3], v30, v35 src0_sel:BYTE_0 src1_sel:DWORD
	v_cndmask_b32_e64 v30, v36, v33, s[2:3]
	v_lshlrev_b32_sdwa v32, v32, v29 dst_sel:DWORD dst_unused:UNUSED_PAD src0_sel:DWORD src1_sel:BYTE_0
	v_cmp_ne_u16_sdwa s[2:3], v29, s6 src0_sel:BYTE_0 src1_sel:DWORD
	v_cndmask_b32_e64 v32, v34, v32, s[2:3]
	v_cmp_ne_u16_sdwa s[2:3], v29, v35 src0_sel:BYTE_0 src1_sel:DWORD
	v_cndmask_b32_e64 v29, v36, v32, s[2:3]
	v_cmp_eq_f32_e64 s[2:3], v30, v29
	v_cndmask_b32_e64 v32, 0, 1, s[2:3]
	v_cmp_neq_f32_e64 s[2:3], v30, v29
	v_cndmask_b32_e64 v29, 0, 1, s[2:3]
	v_cndmask_b32_e64 v29, v29, v32, s[0:1]
	v_and_b32_e32 v31, 0xffffff00, v3
	v_and_b32_e32 v29, 1, v29
	v_or_b32_e32 v29, v29, v31
	v_and_b32_e32 v29, 0xffff, v29
	s_mov_b32 s2, 0xffff0000
	v_and_or_b32 v3, v3, s2, v29
.LBB309_45:
	s_or_b64 exec, exec, s[4:5]
	v_or_b32_e32 v29, 0x500, v0
	v_cmp_gt_i32_e64 s[2:3], s40, v29
	s_and_saveexec_b64 s[4:5], s[2:3]
	s_cbranch_execz .LBB309_47
; %bb.46:
	s_movk_i32 s6, 0xff
	v_mov_b32_e32 v29, 23
	v_lshlrev_b32_sdwa v30, v29, v28 dst_sel:DWORD dst_unused:UNUSED_PAD src0_sel:DWORD src1_sel:BYTE_0
	v_mov_b32_e32 v31, 0x7f800001
	v_cmp_ne_u16_sdwa s[2:3], v28, s6 src0_sel:BYTE_0 src1_sel:DWORD
	v_mov_b32_e32 v32, 0
	v_cndmask_b32_e64 v30, v31, v30, s[2:3]
	v_mov_b32_e32 v33, 0x400000
	v_cmp_ne_u16_sdwa s[2:3], v28, v32 src0_sel:BYTE_0 src1_sel:DWORD
	v_cndmask_b32_e64 v28, v33, v30, s[2:3]
	v_lshlrev_b32_sdwa v29, v29, v27 dst_sel:DWORD dst_unused:UNUSED_PAD src0_sel:DWORD src1_sel:BYTE_0
	v_cmp_ne_u16_sdwa s[2:3], v27, s6 src0_sel:BYTE_0 src1_sel:DWORD
	v_cndmask_b32_e64 v29, v31, v29, s[2:3]
	v_cmp_ne_u16_sdwa s[2:3], v27, v32 src0_sel:BYTE_0 src1_sel:DWORD
	v_cndmask_b32_e64 v27, v33, v29, s[2:3]
	v_cmp_eq_f32_e64 s[2:3], v28, v27
	v_cndmask_b32_e64 v29, 0, 1, s[2:3]
	v_cmp_neq_f32_e64 s[2:3], v28, v27
	v_cndmask_b32_e64 v27, 0, 1, s[2:3]
	v_cndmask_b32_e64 v27, v27, v29, s[0:1]
	v_mov_b32_e32 v28, 1
	v_and_b32_sdwa v27, v27, v28 dst_sel:BYTE_1 dst_unused:UNUSED_PAD src0_sel:DWORD src1_sel:DWORD
	v_or_b32_sdwa v27, v3, v27 dst_sel:DWORD dst_unused:UNUSED_PAD src0_sel:BYTE_0 src1_sel:DWORD
	v_and_b32_e32 v27, 0xffff, v27
	s_mov_b32 s2, 0xffff0000
	v_and_or_b32 v3, v3, s2, v27
.LBB309_47:
	s_or_b64 exec, exec, s[4:5]
	v_or_b32_e32 v27, 0x600, v0
	v_cmp_gt_i32_e64 s[2:3], s40, v27
	s_and_saveexec_b64 s[4:5], s[2:3]
	s_cbranch_execz .LBB309_49
; %bb.48:
	s_movk_i32 s2, 0xff00
	s_movk_i32 s6, 0xff
	v_mov_b32_e32 v28, 23
	v_and_b32_sdwa v27, v3, s2 dst_sel:DWORD dst_unused:UNUSED_PAD src0_sel:WORD_1 src1_sel:DWORD
	v_lshlrev_b32_sdwa v29, v28, v26 dst_sel:DWORD dst_unused:UNUSED_PAD src0_sel:DWORD src1_sel:BYTE_0
	v_mov_b32_e32 v30, 0x7f800001
	v_cmp_ne_u16_sdwa s[2:3], v26, s6 src0_sel:BYTE_0 src1_sel:DWORD
	v_mov_b32_e32 v31, 0
	v_cndmask_b32_e64 v29, v30, v29, s[2:3]
	v_mov_b32_e32 v32, 0x400000
	v_cmp_ne_u16_sdwa s[2:3], v26, v31 src0_sel:BYTE_0 src1_sel:DWORD
	v_cndmask_b32_e64 v26, v32, v29, s[2:3]
	v_lshlrev_b32_sdwa v28, v28, v25 dst_sel:DWORD dst_unused:UNUSED_PAD src0_sel:DWORD src1_sel:BYTE_0
	v_cmp_ne_u16_sdwa s[2:3], v25, s6 src0_sel:BYTE_0 src1_sel:DWORD
	v_cndmask_b32_e64 v28, v30, v28, s[2:3]
	v_cmp_ne_u16_sdwa s[2:3], v25, v31 src0_sel:BYTE_0 src1_sel:DWORD
	v_cndmask_b32_e64 v25, v32, v28, s[2:3]
	v_cmp_eq_f32_e64 s[2:3], v26, v25
	v_cndmask_b32_e64 v28, 0, 1, s[2:3]
	v_cmp_neq_f32_e64 s[2:3], v26, v25
	v_cndmask_b32_e64 v25, 0, 1, s[2:3]
	v_cndmask_b32_e64 v25, v25, v28, s[0:1]
	v_and_b32_e32 v25, 1, v25
	v_or_b32_sdwa v25, v25, v27 dst_sel:WORD_1 dst_unused:UNUSED_PAD src0_sel:DWORD src1_sel:DWORD
	s_mov_b32 s2, 0xffff
	v_and_or_b32 v3, v3, s2, v25
.LBB309_49:
	s_or_b64 exec, exec, s[4:5]
	v_or_b32_e32 v25, 0x700, v0
	v_cmp_gt_i32_e64 s[2:3], s40, v25
	s_and_saveexec_b64 s[4:5], s[2:3]
	s_cbranch_execz .LBB309_51
; %bb.50:
	s_movk_i32 s6, 0xff
	v_mov_b32_e32 v26, 23
	v_lshlrev_b32_sdwa v27, v26, v24 dst_sel:DWORD dst_unused:UNUSED_PAD src0_sel:DWORD src1_sel:BYTE_0
	v_mov_b32_e32 v28, 0x7f800001
	v_cmp_ne_u16_sdwa s[2:3], v24, s6 src0_sel:BYTE_0 src1_sel:DWORD
	v_mov_b32_e32 v29, 0
	v_cndmask_b32_e64 v27, v28, v27, s[2:3]
	v_mov_b32_e32 v30, 0x400000
	v_cmp_ne_u16_sdwa s[2:3], v24, v29 src0_sel:BYTE_0 src1_sel:DWORD
	v_cndmask_b32_e64 v24, v30, v27, s[2:3]
	v_lshlrev_b32_sdwa v26, v26, v23 dst_sel:DWORD dst_unused:UNUSED_PAD src0_sel:DWORD src1_sel:BYTE_0
	v_cmp_ne_u16_sdwa s[2:3], v23, s6 src0_sel:BYTE_0 src1_sel:DWORD
	v_cndmask_b32_e64 v26, v28, v26, s[2:3]
	v_cmp_ne_u16_sdwa s[2:3], v23, v29 src0_sel:BYTE_0 src1_sel:DWORD
	v_cndmask_b32_e64 v23, v30, v26, s[2:3]
	v_cmp_eq_f32_e64 s[2:3], v24, v23
	v_cndmask_b32_e64 v26, 0, 1, s[2:3]
	v_cmp_neq_f32_e64 s[2:3], v24, v23
	v_cndmask_b32_e64 v23, 0, 1, s[2:3]
	v_cndmask_b32_e64 v23, v23, v26, s[0:1]
	v_mov_b32_e32 v24, 1
	v_and_b32_sdwa v25, v3, s6 dst_sel:DWORD dst_unused:UNUSED_PAD src0_sel:WORD_1 src1_sel:DWORD
	v_and_b32_sdwa v23, v23, v24 dst_sel:BYTE_1 dst_unused:UNUSED_PAD src0_sel:DWORD src1_sel:DWORD
	v_or_b32_sdwa v23, v25, v23 dst_sel:WORD_1 dst_unused:UNUSED_PAD src0_sel:DWORD src1_sel:DWORD
	s_mov_b32 s2, 0xffff
	v_and_or_b32 v3, v3, s2, v23
.LBB309_51:
	s_or_b64 exec, exec, s[4:5]
	v_or_b32_e32 v23, 0x800, v0
	v_cmp_gt_i32_e64 s[2:3], s40, v23
	s_and_saveexec_b64 s[4:5], s[2:3]
	s_cbranch_execz .LBB309_53
; %bb.52:
	s_movk_i32 s6, 0xff
	v_mov_b32_e32 v24, 23
	v_lshlrev_b32_sdwa v25, v24, v22 dst_sel:DWORD dst_unused:UNUSED_PAD src0_sel:DWORD src1_sel:BYTE_0
	v_mov_b32_e32 v26, 0x7f800001
	v_cmp_ne_u16_sdwa s[2:3], v22, s6 src0_sel:BYTE_0 src1_sel:DWORD
	v_mov_b32_e32 v27, 0
	v_cndmask_b32_e64 v25, v26, v25, s[2:3]
	v_mov_b32_e32 v28, 0x400000
	v_cmp_ne_u16_sdwa s[2:3], v22, v27 src0_sel:BYTE_0 src1_sel:DWORD
	v_cndmask_b32_e64 v22, v28, v25, s[2:3]
	v_lshlrev_b32_sdwa v24, v24, v21 dst_sel:DWORD dst_unused:UNUSED_PAD src0_sel:DWORD src1_sel:BYTE_0
	v_cmp_ne_u16_sdwa s[2:3], v21, s6 src0_sel:BYTE_0 src1_sel:DWORD
	v_cndmask_b32_e64 v24, v26, v24, s[2:3]
	v_cmp_ne_u16_sdwa s[2:3], v21, v27 src0_sel:BYTE_0 src1_sel:DWORD
	v_cndmask_b32_e64 v21, v28, v24, s[2:3]
	v_cmp_eq_f32_e64 s[2:3], v22, v21
	v_cndmask_b32_e64 v24, 0, 1, s[2:3]
	v_cmp_neq_f32_e64 s[2:3], v22, v21
	v_cndmask_b32_e64 v21, 0, 1, s[2:3]
	v_cndmask_b32_e64 v21, v21, v24, s[0:1]
	v_and_b32_e32 v23, 0xffffff00, v2
	v_and_b32_e32 v21, 1, v21
	v_or_b32_e32 v21, v21, v23
	v_and_b32_e32 v21, 0xffff, v21
	s_mov_b32 s2, 0xffff0000
	v_and_or_b32 v2, v2, s2, v21
.LBB309_53:
	s_or_b64 exec, exec, s[4:5]
	v_or_b32_e32 v21, 0x900, v0
	v_cmp_gt_i32_e64 s[2:3], s40, v21
	s_and_saveexec_b64 s[4:5], s[2:3]
	s_cbranch_execz .LBB309_55
; %bb.54:
	s_movk_i32 s6, 0xff
	v_mov_b32_e32 v21, 23
	v_lshlrev_b32_sdwa v22, v21, v20 dst_sel:DWORD dst_unused:UNUSED_PAD src0_sel:DWORD src1_sel:BYTE_0
	v_mov_b32_e32 v23, 0x7f800001
	v_cmp_ne_u16_sdwa s[2:3], v20, s6 src0_sel:BYTE_0 src1_sel:DWORD
	v_mov_b32_e32 v24, 0
	v_cndmask_b32_e64 v22, v23, v22, s[2:3]
	v_mov_b32_e32 v25, 0x400000
	v_cmp_ne_u16_sdwa s[2:3], v20, v24 src0_sel:BYTE_0 src1_sel:DWORD
	v_cndmask_b32_e64 v20, v25, v22, s[2:3]
	v_lshlrev_b32_sdwa v21, v21, v19 dst_sel:DWORD dst_unused:UNUSED_PAD src0_sel:DWORD src1_sel:BYTE_0
	v_cmp_ne_u16_sdwa s[2:3], v19, s6 src0_sel:BYTE_0 src1_sel:DWORD
	v_cndmask_b32_e64 v21, v23, v21, s[2:3]
	v_cmp_ne_u16_sdwa s[2:3], v19, v24 src0_sel:BYTE_0 src1_sel:DWORD
	v_cndmask_b32_e64 v19, v25, v21, s[2:3]
	v_cmp_eq_f32_e64 s[2:3], v20, v19
	v_cndmask_b32_e64 v21, 0, 1, s[2:3]
	v_cmp_neq_f32_e64 s[2:3], v20, v19
	v_cndmask_b32_e64 v19, 0, 1, s[2:3]
	v_cndmask_b32_e64 v19, v19, v21, s[0:1]
	v_mov_b32_e32 v20, 1
	v_and_b32_sdwa v19, v19, v20 dst_sel:BYTE_1 dst_unused:UNUSED_PAD src0_sel:DWORD src1_sel:DWORD
	v_or_b32_sdwa v19, v2, v19 dst_sel:DWORD dst_unused:UNUSED_PAD src0_sel:BYTE_0 src1_sel:DWORD
	v_and_b32_e32 v19, 0xffff, v19
	s_mov_b32 s2, 0xffff0000
	v_and_or_b32 v2, v2, s2, v19
.LBB309_55:
	s_or_b64 exec, exec, s[4:5]
	v_or_b32_e32 v19, 0xa00, v0
	v_cmp_gt_i32_e64 s[2:3], s40, v19
	s_and_saveexec_b64 s[4:5], s[2:3]
	s_cbranch_execz .LBB309_57
; %bb.56:
	s_movk_i32 s2, 0xff00
	s_movk_i32 s6, 0xff
	v_mov_b32_e32 v20, 23
	v_and_b32_sdwa v19, v2, s2 dst_sel:DWORD dst_unused:UNUSED_PAD src0_sel:WORD_1 src1_sel:DWORD
	v_lshlrev_b32_sdwa v21, v20, v18 dst_sel:DWORD dst_unused:UNUSED_PAD src0_sel:DWORD src1_sel:BYTE_0
	v_mov_b32_e32 v22, 0x7f800001
	v_cmp_ne_u16_sdwa s[2:3], v18, s6 src0_sel:BYTE_0 src1_sel:DWORD
	v_mov_b32_e32 v23, 0
	v_cndmask_b32_e64 v21, v22, v21, s[2:3]
	v_mov_b32_e32 v24, 0x400000
	v_cmp_ne_u16_sdwa s[2:3], v18, v23 src0_sel:BYTE_0 src1_sel:DWORD
	v_cndmask_b32_e64 v18, v24, v21, s[2:3]
	v_lshlrev_b32_sdwa v20, v20, v17 dst_sel:DWORD dst_unused:UNUSED_PAD src0_sel:DWORD src1_sel:BYTE_0
	v_cmp_ne_u16_sdwa s[2:3], v17, s6 src0_sel:BYTE_0 src1_sel:DWORD
	v_cndmask_b32_e64 v20, v22, v20, s[2:3]
	v_cmp_ne_u16_sdwa s[2:3], v17, v23 src0_sel:BYTE_0 src1_sel:DWORD
	v_cndmask_b32_e64 v17, v24, v20, s[2:3]
	v_cmp_eq_f32_e64 s[2:3], v18, v17
	v_cndmask_b32_e64 v20, 0, 1, s[2:3]
	v_cmp_neq_f32_e64 s[2:3], v18, v17
	v_cndmask_b32_e64 v17, 0, 1, s[2:3]
	v_cndmask_b32_e64 v17, v17, v20, s[0:1]
	v_and_b32_e32 v17, 1, v17
	v_or_b32_sdwa v17, v17, v19 dst_sel:WORD_1 dst_unused:UNUSED_PAD src0_sel:DWORD src1_sel:DWORD
	s_mov_b32 s2, 0xffff
	v_and_or_b32 v2, v2, s2, v17
.LBB309_57:
	s_or_b64 exec, exec, s[4:5]
	v_or_b32_e32 v17, 0xb00, v0
	v_cmp_gt_i32_e64 s[2:3], s40, v17
	s_and_saveexec_b64 s[4:5], s[2:3]
	s_cbranch_execz .LBB309_59
; %bb.58:
	s_movk_i32 s6, 0xff
	v_mov_b32_e32 v18, 23
	v_lshlrev_b32_sdwa v19, v18, v16 dst_sel:DWORD dst_unused:UNUSED_PAD src0_sel:DWORD src1_sel:BYTE_0
	v_mov_b32_e32 v20, 0x7f800001
	v_cmp_ne_u16_sdwa s[2:3], v16, s6 src0_sel:BYTE_0 src1_sel:DWORD
	v_mov_b32_e32 v21, 0
	v_cndmask_b32_e64 v19, v20, v19, s[2:3]
	v_mov_b32_e32 v22, 0x400000
	v_cmp_ne_u16_sdwa s[2:3], v16, v21 src0_sel:BYTE_0 src1_sel:DWORD
	v_cndmask_b32_e64 v16, v22, v19, s[2:3]
	v_lshlrev_b32_sdwa v18, v18, v15 dst_sel:DWORD dst_unused:UNUSED_PAD src0_sel:DWORD src1_sel:BYTE_0
	v_cmp_ne_u16_sdwa s[2:3], v15, s6 src0_sel:BYTE_0 src1_sel:DWORD
	v_cndmask_b32_e64 v18, v20, v18, s[2:3]
	v_cmp_ne_u16_sdwa s[2:3], v15, v21 src0_sel:BYTE_0 src1_sel:DWORD
	v_cndmask_b32_e64 v15, v22, v18, s[2:3]
	v_cmp_eq_f32_e64 s[2:3], v16, v15
	v_cndmask_b32_e64 v18, 0, 1, s[2:3]
	v_cmp_neq_f32_e64 s[2:3], v16, v15
	v_cndmask_b32_e64 v15, 0, 1, s[2:3]
	v_cndmask_b32_e64 v15, v15, v18, s[0:1]
	v_mov_b32_e32 v16, 1
	v_and_b32_sdwa v17, v2, s6 dst_sel:DWORD dst_unused:UNUSED_PAD src0_sel:WORD_1 src1_sel:DWORD
	v_and_b32_sdwa v15, v15, v16 dst_sel:BYTE_1 dst_unused:UNUSED_PAD src0_sel:DWORD src1_sel:DWORD
	v_or_b32_sdwa v15, v17, v15 dst_sel:WORD_1 dst_unused:UNUSED_PAD src0_sel:DWORD src1_sel:DWORD
	s_mov_b32 s2, 0xffff
	v_and_or_b32 v2, v2, s2, v15
.LBB309_59:
	s_or_b64 exec, exec, s[4:5]
	v_or_b32_e32 v15, 0xc00, v0
	v_cmp_gt_i32_e64 s[2:3], s40, v15
	s_and_saveexec_b64 s[4:5], s[2:3]
	s_cbranch_execz .LBB309_61
; %bb.60:
	s_movk_i32 s6, 0xff
	v_mov_b32_e32 v16, 23
	v_lshlrev_b32_sdwa v17, v16, v14 dst_sel:DWORD dst_unused:UNUSED_PAD src0_sel:DWORD src1_sel:BYTE_0
	v_mov_b32_e32 v18, 0x7f800001
	v_cmp_ne_u16_sdwa s[2:3], v14, s6 src0_sel:BYTE_0 src1_sel:DWORD
	v_mov_b32_e32 v19, 0
	v_cndmask_b32_e64 v17, v18, v17, s[2:3]
	v_mov_b32_e32 v20, 0x400000
	v_cmp_ne_u16_sdwa s[2:3], v14, v19 src0_sel:BYTE_0 src1_sel:DWORD
	v_cndmask_b32_e64 v14, v20, v17, s[2:3]
	v_lshlrev_b32_sdwa v16, v16, v13 dst_sel:DWORD dst_unused:UNUSED_PAD src0_sel:DWORD src1_sel:BYTE_0
	v_cmp_ne_u16_sdwa s[2:3], v13, s6 src0_sel:BYTE_0 src1_sel:DWORD
	v_cndmask_b32_e64 v16, v18, v16, s[2:3]
	v_cmp_ne_u16_sdwa s[2:3], v13, v19 src0_sel:BYTE_0 src1_sel:DWORD
	v_cndmask_b32_e64 v13, v20, v16, s[2:3]
	v_cmp_eq_f32_e64 s[2:3], v14, v13
	v_cndmask_b32_e64 v16, 0, 1, s[2:3]
	v_cmp_neq_f32_e64 s[2:3], v14, v13
	v_cndmask_b32_e64 v13, 0, 1, s[2:3]
	v_cndmask_b32_e64 v13, v13, v16, s[0:1]
	v_and_b32_e32 v15, 0xffffff00, v1
	v_and_b32_e32 v13, 1, v13
	v_or_b32_e32 v13, v13, v15
	v_and_b32_e32 v13, 0xffff, v13
	s_mov_b32 s2, 0xffff0000
	v_and_or_b32 v1, v1, s2, v13
.LBB309_61:
	s_or_b64 exec, exec, s[4:5]
	v_or_b32_e32 v13, 0xd00, v0
	v_cmp_gt_i32_e64 s[2:3], s40, v13
	s_and_saveexec_b64 s[4:5], s[2:3]
	s_cbranch_execz .LBB309_63
; %bb.62:
	s_movk_i32 s6, 0xff
	v_mov_b32_e32 v13, 23
	v_lshlrev_b32_sdwa v14, v13, v12 dst_sel:DWORD dst_unused:UNUSED_PAD src0_sel:DWORD src1_sel:BYTE_0
	v_mov_b32_e32 v15, 0x7f800001
	v_cmp_ne_u16_sdwa s[2:3], v12, s6 src0_sel:BYTE_0 src1_sel:DWORD
	v_mov_b32_e32 v16, 0
	v_cndmask_b32_e64 v14, v15, v14, s[2:3]
	v_mov_b32_e32 v17, 0x400000
	v_cmp_ne_u16_sdwa s[2:3], v12, v16 src0_sel:BYTE_0 src1_sel:DWORD
	v_cndmask_b32_e64 v12, v17, v14, s[2:3]
	v_lshlrev_b32_sdwa v13, v13, v11 dst_sel:DWORD dst_unused:UNUSED_PAD src0_sel:DWORD src1_sel:BYTE_0
	v_cmp_ne_u16_sdwa s[2:3], v11, s6 src0_sel:BYTE_0 src1_sel:DWORD
	v_cndmask_b32_e64 v13, v15, v13, s[2:3]
	v_cmp_ne_u16_sdwa s[2:3], v11, v16 src0_sel:BYTE_0 src1_sel:DWORD
	v_cndmask_b32_e64 v11, v17, v13, s[2:3]
	v_cmp_eq_f32_e64 s[2:3], v12, v11
	v_cndmask_b32_e64 v13, 0, 1, s[2:3]
	v_cmp_neq_f32_e64 s[2:3], v12, v11
	v_cndmask_b32_e64 v11, 0, 1, s[2:3]
	v_cndmask_b32_e64 v11, v11, v13, s[0:1]
	v_mov_b32_e32 v12, 1
	v_and_b32_sdwa v11, v11, v12 dst_sel:BYTE_1 dst_unused:UNUSED_PAD src0_sel:DWORD src1_sel:DWORD
	v_or_b32_sdwa v11, v1, v11 dst_sel:DWORD dst_unused:UNUSED_PAD src0_sel:BYTE_0 src1_sel:DWORD
	v_and_b32_e32 v11, 0xffff, v11
	s_mov_b32 s2, 0xffff0000
	v_and_or_b32 v1, v1, s2, v11
.LBB309_63:
	s_or_b64 exec, exec, s[4:5]
	v_or_b32_e32 v11, 0xe00, v0
	v_cmp_gt_i32_e64 s[2:3], s40, v11
	s_and_saveexec_b64 s[4:5], s[2:3]
	s_cbranch_execz .LBB309_65
; %bb.64:
	s_movk_i32 s2, 0xff00
	s_movk_i32 s6, 0xff
	v_mov_b32_e32 v12, 23
	v_and_b32_sdwa v11, v1, s2 dst_sel:DWORD dst_unused:UNUSED_PAD src0_sel:WORD_1 src1_sel:DWORD
	v_lshlrev_b32_sdwa v13, v12, v10 dst_sel:DWORD dst_unused:UNUSED_PAD src0_sel:DWORD src1_sel:BYTE_0
	v_mov_b32_e32 v14, 0x7f800001
	v_cmp_ne_u16_sdwa s[2:3], v10, s6 src0_sel:BYTE_0 src1_sel:DWORD
	v_mov_b32_e32 v15, 0
	v_cndmask_b32_e64 v13, v14, v13, s[2:3]
	v_mov_b32_e32 v16, 0x400000
	v_cmp_ne_u16_sdwa s[2:3], v10, v15 src0_sel:BYTE_0 src1_sel:DWORD
	v_cndmask_b32_e64 v10, v16, v13, s[2:3]
	v_lshlrev_b32_sdwa v12, v12, v8 dst_sel:DWORD dst_unused:UNUSED_PAD src0_sel:DWORD src1_sel:BYTE_0
	v_cmp_ne_u16_sdwa s[2:3], v8, s6 src0_sel:BYTE_0 src1_sel:DWORD
	v_cndmask_b32_e64 v12, v14, v12, s[2:3]
	v_cmp_ne_u16_sdwa s[2:3], v8, v15 src0_sel:BYTE_0 src1_sel:DWORD
	v_cndmask_b32_e64 v8, v16, v12, s[2:3]
	v_cmp_eq_f32_e64 s[2:3], v10, v8
	v_cndmask_b32_e64 v12, 0, 1, s[2:3]
	v_cmp_neq_f32_e64 s[2:3], v10, v8
	v_cndmask_b32_e64 v8, 0, 1, s[2:3]
	v_cndmask_b32_e64 v8, v8, v12, s[0:1]
	v_and_b32_e32 v8, 1, v8
	v_or_b32_sdwa v8, v8, v11 dst_sel:WORD_1 dst_unused:UNUSED_PAD src0_sel:DWORD src1_sel:DWORD
	s_mov_b32 s2, 0xffff
	v_and_or_b32 v1, v1, s2, v8
.LBB309_65:
	s_or_b64 exec, exec, s[4:5]
	v_or_b32_e32 v8, 0xf00, v0
	v_cmp_gt_i32_e64 s[2:3], s40, v8
	s_and_saveexec_b64 s[4:5], s[2:3]
	s_cbranch_execnz .LBB309_84
; %bb.66:
	s_or_b64 exec, exec, s[4:5]
	s_and_saveexec_b64 s[0:1], vcc
	s_xor_b64 s[0:1], exec, s[0:1]
	s_cbranch_execnz .LBB309_85
.LBB309_67:
	s_or_b64 exec, exec, s[0:1]
	v_cmp_gt_i32_e32 vcc, s40, v0
	s_and_saveexec_b64 s[0:1], vcc
	s_cbranch_execnz .LBB309_86
.LBB309_68:
	s_or_b64 exec, exec, s[0:1]
	v_cmp_gt_i32_e32 vcc, s40, v0
	s_and_saveexec_b64 s[0:1], vcc
	s_cbranch_execnz .LBB309_87
.LBB309_69:
	s_or_b64 exec, exec, s[0:1]
	v_cmp_gt_i32_e32 vcc, s40, v0
	s_and_saveexec_b64 s[0:1], vcc
	s_cbranch_execnz .LBB309_88
.LBB309_70:
	s_or_b64 exec, exec, s[0:1]
	v_cmp_gt_i32_e32 vcc, s40, v0
	s_and_saveexec_b64 s[0:1], vcc
	s_cbranch_execnz .LBB309_89
.LBB309_71:
	s_or_b64 exec, exec, s[0:1]
	v_cmp_gt_i32_e32 vcc, s40, v0
	s_and_saveexec_b64 s[0:1], vcc
	s_cbranch_execnz .LBB309_90
.LBB309_72:
	s_or_b64 exec, exec, s[0:1]
	v_cmp_gt_i32_e32 vcc, s40, v0
	s_and_saveexec_b64 s[0:1], vcc
	s_cbranch_execnz .LBB309_91
.LBB309_73:
	s_or_b64 exec, exec, s[0:1]
	v_cmp_gt_i32_e32 vcc, s40, v0
	s_and_saveexec_b64 s[0:1], vcc
	s_cbranch_execnz .LBB309_92
.LBB309_74:
	s_or_b64 exec, exec, s[0:1]
	v_cmp_gt_i32_e32 vcc, s40, v0
	s_and_saveexec_b64 s[0:1], vcc
	s_cbranch_execnz .LBB309_93
.LBB309_75:
	s_or_b64 exec, exec, s[0:1]
	v_cmp_gt_i32_e32 vcc, s40, v0
	s_and_saveexec_b64 s[0:1], vcc
	s_cbranch_execnz .LBB309_94
.LBB309_76:
	s_or_b64 exec, exec, s[0:1]
	v_cmp_gt_i32_e32 vcc, s40, v0
	s_and_saveexec_b64 s[0:1], vcc
	s_cbranch_execnz .LBB309_95
.LBB309_77:
	s_or_b64 exec, exec, s[0:1]
	v_cmp_gt_i32_e32 vcc, s40, v0
	s_and_saveexec_b64 s[0:1], vcc
	s_cbranch_execnz .LBB309_96
.LBB309_78:
	s_or_b64 exec, exec, s[0:1]
	v_cmp_gt_i32_e32 vcc, s40, v0
	s_and_saveexec_b64 s[0:1], vcc
	s_cbranch_execnz .LBB309_97
.LBB309_79:
	s_or_b64 exec, exec, s[0:1]
	v_cmp_gt_i32_e32 vcc, s40, v0
	s_and_saveexec_b64 s[0:1], vcc
	s_cbranch_execnz .LBB309_98
.LBB309_80:
	s_or_b64 exec, exec, s[0:1]
	v_cmp_gt_i32_e32 vcc, s40, v0
	s_and_saveexec_b64 s[0:1], vcc
	s_cbranch_execnz .LBB309_99
.LBB309_81:
	s_or_b64 exec, exec, s[0:1]
	v_cmp_gt_i32_e32 vcc, s40, v0
	s_and_saveexec_b64 s[0:1], vcc
	s_cbranch_execz .LBB309_83
.LBB309_82:
	v_lshrrev_b32_e32 v1, 24, v1
	v_add_u32_e32 v0, s33, v0
	global_store_byte v0, v1, s[8:9]
.LBB309_83:
	s_endpgm
.LBB309_84:
	s_movk_i32 s6, 0xff
	v_mov_b32_e32 v10, 23
	v_lshlrev_b32_sdwa v11, v10, v9 dst_sel:DWORD dst_unused:UNUSED_PAD src0_sel:DWORD src1_sel:BYTE_0
	v_mov_b32_e32 v12, 0x7f800001
	v_cmp_ne_u16_sdwa s[2:3], v9, s6 src0_sel:BYTE_0 src1_sel:DWORD
	v_mov_b32_e32 v13, 0
	v_cndmask_b32_e64 v11, v12, v11, s[2:3]
	v_mov_b32_e32 v14, 0x400000
	v_cmp_ne_u16_sdwa s[2:3], v9, v13 src0_sel:BYTE_0 src1_sel:DWORD
	v_cndmask_b32_e64 v9, v14, v11, s[2:3]
	v_lshlrev_b32_sdwa v10, v10, v7 dst_sel:DWORD dst_unused:UNUSED_PAD src0_sel:DWORD src1_sel:BYTE_0
	v_cmp_ne_u16_sdwa s[2:3], v7, s6 src0_sel:BYTE_0 src1_sel:DWORD
	v_cndmask_b32_e64 v10, v12, v10, s[2:3]
	v_cmp_ne_u16_sdwa s[2:3], v7, v13 src0_sel:BYTE_0 src1_sel:DWORD
	v_cndmask_b32_e64 v7, v14, v10, s[2:3]
	v_cmp_eq_f32_e64 s[2:3], v9, v7
	v_cndmask_b32_e64 v10, 0, 1, s[2:3]
	v_cmp_neq_f32_e64 s[2:3], v9, v7
	v_cndmask_b32_e64 v7, 0, 1, s[2:3]
	v_cndmask_b32_e64 v7, v7, v10, s[0:1]
	v_mov_b32_e32 v9, 1
	v_and_b32_sdwa v8, v1, s6 dst_sel:DWORD dst_unused:UNUSED_PAD src0_sel:WORD_1 src1_sel:DWORD
	v_and_b32_sdwa v7, v7, v9 dst_sel:BYTE_1 dst_unused:UNUSED_PAD src0_sel:DWORD src1_sel:DWORD
	v_or_b32_sdwa v7, v8, v7 dst_sel:WORD_1 dst_unused:UNUSED_PAD src0_sel:DWORD src1_sel:DWORD
	s_mov_b32 s0, 0xffff
	v_and_or_b32 v1, v1, s0, v7
	s_or_b64 exec, exec, s[4:5]
	s_and_saveexec_b64 s[0:1], vcc
	s_xor_b64 s[0:1], exec, s[0:1]
	s_cbranch_execz .LBB309_67
.LBB309_85:
	v_mov_b32_e32 v0, v4
	global_store_byte v6, v5, s[8:9]
	s_or_b64 exec, exec, s[0:1]
	v_cmp_gt_i32_e32 vcc, s40, v0
	s_and_saveexec_b64 s[0:1], vcc
	s_cbranch_execz .LBB309_68
.LBB309_86:
	v_lshrrev_b32_e32 v4, 8, v5
	v_add_u32_e32 v6, s33, v0
	v_add_u32_e32 v0, 0x100, v0
	global_store_byte v6, v4, s[8:9]
	s_or_b64 exec, exec, s[0:1]
	v_cmp_gt_i32_e32 vcc, s40, v0
	s_and_saveexec_b64 s[0:1], vcc
	s_cbranch_execz .LBB309_69
.LBB309_87:
	v_add_u32_e32 v4, s33, v0
	v_add_u32_e32 v0, 0x100, v0
	global_store_byte_d16_hi v4, v5, s[8:9]
	s_or_b64 exec, exec, s[0:1]
	v_cmp_gt_i32_e32 vcc, s40, v0
	s_and_saveexec_b64 s[0:1], vcc
	s_cbranch_execz .LBB309_70
.LBB309_88:
	v_lshrrev_b32_e32 v4, 24, v5
	v_add_u32_e32 v5, s33, v0
	v_add_u32_e32 v0, 0x100, v0
	global_store_byte v5, v4, s[8:9]
	s_or_b64 exec, exec, s[0:1]
	v_cmp_gt_i32_e32 vcc, s40, v0
	s_and_saveexec_b64 s[0:1], vcc
	s_cbranch_execz .LBB309_71
.LBB309_89:
	v_add_u32_e32 v4, s33, v0
	v_add_u32_e32 v0, 0x100, v0
	global_store_byte v4, v3, s[8:9]
	s_or_b64 exec, exec, s[0:1]
	v_cmp_gt_i32_e32 vcc, s40, v0
	s_and_saveexec_b64 s[0:1], vcc
	s_cbranch_execz .LBB309_72
.LBB309_90:
	v_lshrrev_b32_e32 v4, 8, v3
	v_add_u32_e32 v5, s33, v0
	v_add_u32_e32 v0, 0x100, v0
	global_store_byte v5, v4, s[8:9]
	s_or_b64 exec, exec, s[0:1]
	v_cmp_gt_i32_e32 vcc, s40, v0
	s_and_saveexec_b64 s[0:1], vcc
	s_cbranch_execz .LBB309_73
.LBB309_91:
	v_add_u32_e32 v4, s33, v0
	v_add_u32_e32 v0, 0x100, v0
	global_store_byte_d16_hi v4, v3, s[8:9]
	s_or_b64 exec, exec, s[0:1]
	v_cmp_gt_i32_e32 vcc, s40, v0
	s_and_saveexec_b64 s[0:1], vcc
	s_cbranch_execz .LBB309_74
.LBB309_92:
	v_lshrrev_b32_e32 v3, 24, v3
	v_add_u32_e32 v4, s33, v0
	v_add_u32_e32 v0, 0x100, v0
	global_store_byte v4, v3, s[8:9]
	s_or_b64 exec, exec, s[0:1]
	v_cmp_gt_i32_e32 vcc, s40, v0
	s_and_saveexec_b64 s[0:1], vcc
	s_cbranch_execz .LBB309_75
.LBB309_93:
	v_add_u32_e32 v3, s33, v0
	v_add_u32_e32 v0, 0x100, v0
	global_store_byte v3, v2, s[8:9]
	s_or_b64 exec, exec, s[0:1]
	v_cmp_gt_i32_e32 vcc, s40, v0
	s_and_saveexec_b64 s[0:1], vcc
	s_cbranch_execz .LBB309_76
.LBB309_94:
	v_lshrrev_b32_e32 v3, 8, v2
	v_add_u32_e32 v4, s33, v0
	v_add_u32_e32 v0, 0x100, v0
	global_store_byte v4, v3, s[8:9]
	s_or_b64 exec, exec, s[0:1]
	v_cmp_gt_i32_e32 vcc, s40, v0
	s_and_saveexec_b64 s[0:1], vcc
	s_cbranch_execz .LBB309_77
.LBB309_95:
	v_add_u32_e32 v3, s33, v0
	v_add_u32_e32 v0, 0x100, v0
	global_store_byte_d16_hi v3, v2, s[8:9]
	s_or_b64 exec, exec, s[0:1]
	v_cmp_gt_i32_e32 vcc, s40, v0
	s_and_saveexec_b64 s[0:1], vcc
	s_cbranch_execz .LBB309_78
.LBB309_96:
	v_lshrrev_b32_e32 v2, 24, v2
	v_add_u32_e32 v3, s33, v0
	v_add_u32_e32 v0, 0x100, v0
	global_store_byte v3, v2, s[8:9]
	s_or_b64 exec, exec, s[0:1]
	v_cmp_gt_i32_e32 vcc, s40, v0
	s_and_saveexec_b64 s[0:1], vcc
	s_cbranch_execz .LBB309_79
.LBB309_97:
	v_add_u32_e32 v2, s33, v0
	v_add_u32_e32 v0, 0x100, v0
	global_store_byte v2, v1, s[8:9]
	s_or_b64 exec, exec, s[0:1]
	v_cmp_gt_i32_e32 vcc, s40, v0
	s_and_saveexec_b64 s[0:1], vcc
	s_cbranch_execz .LBB309_80
.LBB309_98:
	v_lshrrev_b32_e32 v2, 8, v1
	v_add_u32_e32 v3, s33, v0
	v_add_u32_e32 v0, 0x100, v0
	global_store_byte v3, v2, s[8:9]
	s_or_b64 exec, exec, s[0:1]
	v_cmp_gt_i32_e32 vcc, s40, v0
	s_and_saveexec_b64 s[0:1], vcc
	s_cbranch_execz .LBB309_81
.LBB309_99:
	v_add_u32_e32 v2, s33, v0
	v_add_u32_e32 v0, 0x100, v0
	global_store_byte_d16_hi v2, v1, s[8:9]
	s_or_b64 exec, exec, s[0:1]
	v_cmp_gt_i32_e32 vcc, s40, v0
	s_and_saveexec_b64 s[0:1], vcc
	s_cbranch_execnz .LBB309_82
	s_branch .LBB309_83
	.section	.rodata,"a",@progbits
	.p2align	6, 0x0
	.amdhsa_kernel _ZN2at6native29vectorized_elementwise_kernelILi16ENS0_13BinaryFunctorIN3c1014Float8_e8m0fnuES4_bNS0_12_GLOBAL__N_116CompareEqFunctorIS4_EEEESt5arrayIPcLm3EEEEviT0_T1_
		.amdhsa_group_segment_fixed_size 0
		.amdhsa_private_segment_fixed_size 0
		.amdhsa_kernarg_size 32
		.amdhsa_user_sgpr_count 6
		.amdhsa_user_sgpr_private_segment_buffer 1
		.amdhsa_user_sgpr_dispatch_ptr 0
		.amdhsa_user_sgpr_queue_ptr 0
		.amdhsa_user_sgpr_kernarg_segment_ptr 1
		.amdhsa_user_sgpr_dispatch_id 0
		.amdhsa_user_sgpr_flat_scratch_init 0
		.amdhsa_user_sgpr_private_segment_size 0
		.amdhsa_uses_dynamic_stack 0
		.amdhsa_system_sgpr_private_segment_wavefront_offset 0
		.amdhsa_system_sgpr_workgroup_id_x 1
		.amdhsa_system_sgpr_workgroup_id_y 0
		.amdhsa_system_sgpr_workgroup_id_z 0
		.amdhsa_system_sgpr_workgroup_info 0
		.amdhsa_system_vgpr_workitem_id 0
		.amdhsa_next_free_vgpr 42
		.amdhsa_next_free_sgpr 41
		.amdhsa_reserve_vcc 1
		.amdhsa_reserve_flat_scratch 0
		.amdhsa_float_round_mode_32 0
		.amdhsa_float_round_mode_16_64 0
		.amdhsa_float_denorm_mode_32 3
		.amdhsa_float_denorm_mode_16_64 3
		.amdhsa_dx10_clamp 1
		.amdhsa_ieee_mode 1
		.amdhsa_fp16_overflow 0
		.amdhsa_exception_fp_ieee_invalid_op 0
		.amdhsa_exception_fp_denorm_src 0
		.amdhsa_exception_fp_ieee_div_zero 0
		.amdhsa_exception_fp_ieee_overflow 0
		.amdhsa_exception_fp_ieee_underflow 0
		.amdhsa_exception_fp_ieee_inexact 0
		.amdhsa_exception_int_div_zero 0
	.end_amdhsa_kernel
	.section	.text._ZN2at6native29vectorized_elementwise_kernelILi16ENS0_13BinaryFunctorIN3c1014Float8_e8m0fnuES4_bNS0_12_GLOBAL__N_116CompareEqFunctorIS4_EEEESt5arrayIPcLm3EEEEviT0_T1_,"axG",@progbits,_ZN2at6native29vectorized_elementwise_kernelILi16ENS0_13BinaryFunctorIN3c1014Float8_e8m0fnuES4_bNS0_12_GLOBAL__N_116CompareEqFunctorIS4_EEEESt5arrayIPcLm3EEEEviT0_T1_,comdat
.Lfunc_end309:
	.size	_ZN2at6native29vectorized_elementwise_kernelILi16ENS0_13BinaryFunctorIN3c1014Float8_e8m0fnuES4_bNS0_12_GLOBAL__N_116CompareEqFunctorIS4_EEEESt5arrayIPcLm3EEEEviT0_T1_, .Lfunc_end309-_ZN2at6native29vectorized_elementwise_kernelILi16ENS0_13BinaryFunctorIN3c1014Float8_e8m0fnuES4_bNS0_12_GLOBAL__N_116CompareEqFunctorIS4_EEEESt5arrayIPcLm3EEEEviT0_T1_
                                        ; -- End function
	.set _ZN2at6native29vectorized_elementwise_kernelILi16ENS0_13BinaryFunctorIN3c1014Float8_e8m0fnuES4_bNS0_12_GLOBAL__N_116CompareEqFunctorIS4_EEEESt5arrayIPcLm3EEEEviT0_T1_.num_vgpr, 42
	.set _ZN2at6native29vectorized_elementwise_kernelILi16ENS0_13BinaryFunctorIN3c1014Float8_e8m0fnuES4_bNS0_12_GLOBAL__N_116CompareEqFunctorIS4_EEEESt5arrayIPcLm3EEEEviT0_T1_.num_agpr, 0
	.set _ZN2at6native29vectorized_elementwise_kernelILi16ENS0_13BinaryFunctorIN3c1014Float8_e8m0fnuES4_bNS0_12_GLOBAL__N_116CompareEqFunctorIS4_EEEESt5arrayIPcLm3EEEEviT0_T1_.numbered_sgpr, 41
	.set _ZN2at6native29vectorized_elementwise_kernelILi16ENS0_13BinaryFunctorIN3c1014Float8_e8m0fnuES4_bNS0_12_GLOBAL__N_116CompareEqFunctorIS4_EEEESt5arrayIPcLm3EEEEviT0_T1_.num_named_barrier, 0
	.set _ZN2at6native29vectorized_elementwise_kernelILi16ENS0_13BinaryFunctorIN3c1014Float8_e8m0fnuES4_bNS0_12_GLOBAL__N_116CompareEqFunctorIS4_EEEESt5arrayIPcLm3EEEEviT0_T1_.private_seg_size, 0
	.set _ZN2at6native29vectorized_elementwise_kernelILi16ENS0_13BinaryFunctorIN3c1014Float8_e8m0fnuES4_bNS0_12_GLOBAL__N_116CompareEqFunctorIS4_EEEESt5arrayIPcLm3EEEEviT0_T1_.uses_vcc, 1
	.set _ZN2at6native29vectorized_elementwise_kernelILi16ENS0_13BinaryFunctorIN3c1014Float8_e8m0fnuES4_bNS0_12_GLOBAL__N_116CompareEqFunctorIS4_EEEESt5arrayIPcLm3EEEEviT0_T1_.uses_flat_scratch, 0
	.set _ZN2at6native29vectorized_elementwise_kernelILi16ENS0_13BinaryFunctorIN3c1014Float8_e8m0fnuES4_bNS0_12_GLOBAL__N_116CompareEqFunctorIS4_EEEESt5arrayIPcLm3EEEEviT0_T1_.has_dyn_sized_stack, 0
	.set _ZN2at6native29vectorized_elementwise_kernelILi16ENS0_13BinaryFunctorIN3c1014Float8_e8m0fnuES4_bNS0_12_GLOBAL__N_116CompareEqFunctorIS4_EEEESt5arrayIPcLm3EEEEviT0_T1_.has_recursion, 0
	.set _ZN2at6native29vectorized_elementwise_kernelILi16ENS0_13BinaryFunctorIN3c1014Float8_e8m0fnuES4_bNS0_12_GLOBAL__N_116CompareEqFunctorIS4_EEEESt5arrayIPcLm3EEEEviT0_T1_.has_indirect_call, 0
	.section	.AMDGPU.csdata,"",@progbits
; Kernel info:
; codeLenInByte = 8444
; TotalNumSgprs: 45
; NumVgprs: 42
; ScratchSize: 0
; MemoryBound: 0
; FloatMode: 240
; IeeeMode: 1
; LDSByteSize: 0 bytes/workgroup (compile time only)
; SGPRBlocks: 5
; VGPRBlocks: 10
; NumSGPRsForWavesPerEU: 45
; NumVGPRsForWavesPerEU: 42
; Occupancy: 5
; WaveLimiterHint : 0
; COMPUTE_PGM_RSRC2:SCRATCH_EN: 0
; COMPUTE_PGM_RSRC2:USER_SGPR: 6
; COMPUTE_PGM_RSRC2:TRAP_HANDLER: 0
; COMPUTE_PGM_RSRC2:TGID_X_EN: 1
; COMPUTE_PGM_RSRC2:TGID_Y_EN: 0
; COMPUTE_PGM_RSRC2:TGID_Z_EN: 0
; COMPUTE_PGM_RSRC2:TIDIG_COMP_CNT: 0
	.section	.text._ZN2at6native29vectorized_elementwise_kernelILi8ENS0_13BinaryFunctorIN3c1014Float8_e8m0fnuES4_bNS0_12_GLOBAL__N_116CompareEqFunctorIS4_EEEESt5arrayIPcLm3EEEEviT0_T1_,"axG",@progbits,_ZN2at6native29vectorized_elementwise_kernelILi8ENS0_13BinaryFunctorIN3c1014Float8_e8m0fnuES4_bNS0_12_GLOBAL__N_116CompareEqFunctorIS4_EEEESt5arrayIPcLm3EEEEviT0_T1_,comdat
	.globl	_ZN2at6native29vectorized_elementwise_kernelILi8ENS0_13BinaryFunctorIN3c1014Float8_e8m0fnuES4_bNS0_12_GLOBAL__N_116CompareEqFunctorIS4_EEEESt5arrayIPcLm3EEEEviT0_T1_ ; -- Begin function _ZN2at6native29vectorized_elementwise_kernelILi8ENS0_13BinaryFunctorIN3c1014Float8_e8m0fnuES4_bNS0_12_GLOBAL__N_116CompareEqFunctorIS4_EEEESt5arrayIPcLm3EEEEviT0_T1_
	.p2align	8
	.type	_ZN2at6native29vectorized_elementwise_kernelILi8ENS0_13BinaryFunctorIN3c1014Float8_e8m0fnuES4_bNS0_12_GLOBAL__N_116CompareEqFunctorIS4_EEEESt5arrayIPcLm3EEEEviT0_T1_,@function
_ZN2at6native29vectorized_elementwise_kernelILi8ENS0_13BinaryFunctorIN3c1014Float8_e8m0fnuES4_bNS0_12_GLOBAL__N_116CompareEqFunctorIS4_EEEESt5arrayIPcLm3EEEEviT0_T1_: ; @_ZN2at6native29vectorized_elementwise_kernelILi8ENS0_13BinaryFunctorIN3c1014Float8_e8m0fnuES4_bNS0_12_GLOBAL__N_116CompareEqFunctorIS4_EEEESt5arrayIPcLm3EEEEviT0_T1_
; %bb.0:
	s_load_dwordx2 s[2:3], s[4:5], 0x0
	s_load_dwordx4 s[8:11], s[4:5], 0x8
	s_load_dwordx2 s[14:15], s[4:5], 0x18
	s_lshl_b32 s33, s6, 12
	s_mov_b64 s[0:1], -1
	s_waitcnt lgkmcnt(0)
	s_sub_i32 s40, s2, s33
	s_cmpk_gt_i32 s40, 0xfff
	s_cbranch_scc0 .LBB310_2
; %bb.1:
	s_ashr_i32 s2, s33, 31
	s_add_u32 s0, s10, s33
	s_addc_u32 s1, s11, s2
	v_lshlrev_b32_e32 v9, 3, v0
	global_load_dwordx2 v[1:2], v9, s[0:1]
	global_load_dwordx2 v[3:4], v9, s[0:1] offset:2048
	s_add_u32 s0, s14, s33
	s_addc_u32 s1, s15, s2
	global_load_dwordx2 v[5:6], v9, s[0:1]
	global_load_dwordx2 v[7:8], v9, s[0:1] offset:2048
	s_movk_i32 s4, 0xff
	v_mov_b32_e32 v14, 23
	v_mov_b32_e32 v10, 0x7f800001
	;; [unrolled: 1-line block ×4, first 2 shown]
	s_mov_b32 s5, 0xffffff
	s_cmp_eq_u32 s3, 0
	v_mov_b32_e32 v13, 1
	s_waitcnt vmcnt(3)
	v_lshlrev_b32_e32 v23, 23, v1
	v_lshlrev_b32_sdwa v26, v14, v1 dst_sel:DWORD dst_unused:UNUSED_PAD src0_sel:DWORD src1_sel:BYTE_3
	v_cmp_ne_u32_sdwa vcc, v1, s4 src0_sel:BYTE_3 src1_sel:DWORD
	v_lshrrev_b32_e32 v15, 8, v1
	v_lshlrev_b32_e32 v24, 15, v1
	v_and_b32_e32 v23, 0x7f800000, v23
	v_cndmask_b32_e32 v26, v10, v26, vcc
	v_cmp_ne_u16_sdwa vcc, v1, s4 src0_sel:BYTE_0 src1_sel:DWORD
	v_and_b32_sdwa v16, v1, s4 dst_sel:DWORD dst_unused:UNUSED_PAD src0_sel:WORD_1 src1_sel:DWORD
	v_lshlrev_b32_e32 v25, 7, v1
	v_and_b32_e32 v24, 0x7f800000, v24
	v_cndmask_b32_e32 v23, v10, v23, vcc
	v_cmp_ne_u16_sdwa vcc, v15, s4 src0_sel:BYTE_0 src1_sel:DWORD
	v_and_b32_e32 v25, 0x7f800000, v25
	v_cndmask_b32_e32 v24, v10, v24, vcc
	v_cmp_ne_u16_e32 vcc, s4, v16
	v_cndmask_b32_e32 v25, v10, v25, vcc
	v_cmp_ne_u16_sdwa vcc, v1, v11 src0_sel:BYTE_0 src1_sel:DWORD
	v_cndmask_b32_e32 v23, v12, v23, vcc
	v_cmp_ne_u16_sdwa vcc, v15, v11 src0_sel:BYTE_0 src1_sel:DWORD
	s_waitcnt vmcnt(1)
	v_lshlrev_b32_e32 v35, 23, v5
	v_cndmask_b32_e32 v15, v12, v24, vcc
	v_cmp_ne_u16_e32 vcc, 0, v16
	v_lshrrev_b32_e32 v27, 8, v5
	v_lshlrev_b32_e32 v36, 15, v5
	v_and_b32_e32 v35, 0x7f800000, v35
	v_cndmask_b32_e32 v16, v12, v25, vcc
	v_cmp_ne_u16_sdwa vcc, v5, s4 src0_sel:BYTE_0 src1_sel:DWORD
	v_and_b32_sdwa v28, v5, s4 dst_sel:DWORD dst_unused:UNUSED_PAD src0_sel:WORD_1 src1_sel:DWORD
	v_lshlrev_b32_e32 v37, 7, v5
	v_and_b32_e32 v24, 0x7f800000, v36
	v_cndmask_b32_e32 v35, v10, v35, vcc
	v_cmp_ne_u16_sdwa vcc, v27, s4 src0_sel:BYTE_0 src1_sel:DWORD
	v_and_b32_e32 v25, 0x7f800000, v37
	v_cndmask_b32_e32 v24, v10, v24, vcc
	v_cmp_ne_u16_e32 vcc, s4, v28
	v_cndmask_b32_e32 v25, v10, v25, vcc
	v_cmp_ne_u16_sdwa vcc, v5, v11 src0_sel:BYTE_0 src1_sel:DWORD
	v_cndmask_b32_e32 v35, v12, v35, vcc
	v_cmp_ne_u16_sdwa vcc, v27, v11 src0_sel:BYTE_0 src1_sel:DWORD
	v_cndmask_b32_e32 v24, v12, v24, vcc
	v_cmp_ne_u16_e32 vcc, 0, v28
	v_cndmask_b32_e32 v25, v12, v25, vcc
	v_cmp_eq_f32_e32 vcc, v23, v35
	v_cndmask_b32_e64 v27, 0, 1, vcc
	v_cmp_neq_f32_e32 vcc, v23, v35
	v_cndmask_b32_e64 v23, 0, 1, vcc
	v_cmp_eq_f32_e32 vcc, v15, v24
	v_cndmask_b32_e64 v28, 0, 1, vcc
	v_cmp_neq_f32_e32 vcc, v15, v24
	v_cndmask_b32_e64 v15, 0, 1, vcc
	;; [unrolled: 4-line block ×3, first 2 shown]
	s_cselect_b64 vcc, -1, 0
	v_cmp_lt_u32_e64 s[0:1], s5, v1
	v_cndmask_b32_e32 v16, v16, v24, vcc
	v_cndmask_b32_e64 v1, v12, v26, s[0:1]
	v_lshlrev_b32_sdwa v24, v14, v5 dst_sel:DWORD dst_unused:UNUSED_PAD src0_sel:DWORD src1_sel:BYTE_3
	v_cmp_ne_u32_sdwa s[0:1], v5, s4 src0_sel:BYTE_3 src1_sel:DWORD
	v_cndmask_b32_e64 v24, v10, v24, s[0:1]
	v_cmp_lt_u32_e64 s[0:1], s5, v5
	v_cndmask_b32_e64 v5, v12, v24, s[0:1]
	v_cmp_eq_f32_e64 s[0:1], v1, v5
	v_cndmask_b32_e64 v24, 0, 1, s[0:1]
	v_cmp_neq_f32_e64 s[0:1], v1, v5
	v_cndmask_b32_e64 v1, 0, 1, s[0:1]
	v_cndmask_b32_e32 v1, v1, v24, vcc
	v_and_b32_sdwa v5, v1, v13 dst_sel:BYTE_1 dst_unused:UNUSED_PAD src0_sel:DWORD src1_sel:DWORD
	v_lshlrev_b32_e32 v1, 23, v2
	v_and_b32_e32 v1, 0x7f800000, v1
	v_cmp_ne_u16_sdwa s[0:1], v2, s4 src0_sel:BYTE_0 src1_sel:DWORD
	v_cndmask_b32_e64 v1, v10, v1, s[0:1]
	v_cmp_ne_u16_sdwa s[0:1], v2, v11 src0_sel:BYTE_0 src1_sel:DWORD
	v_lshlrev_b32_e32 v24, 23, v6
	v_cndmask_b32_e64 v1, v12, v1, s[0:1]
	v_and_b32_e32 v24, 0x7f800000, v24
	v_cmp_ne_u16_sdwa s[0:1], v6, s4 src0_sel:BYTE_0 src1_sel:DWORD
	v_cndmask_b32_e64 v24, v10, v24, s[0:1]
	v_cmp_ne_u16_sdwa s[0:1], v6, v11 src0_sel:BYTE_0 src1_sel:DWORD
	v_cndmask_b32_e64 v24, v12, v24, s[0:1]
	v_cmp_eq_f32_e64 s[0:1], v1, v24
	v_cndmask_b32_e64 v25, 0, 1, s[0:1]
	v_cmp_neq_f32_e64 s[0:1], v1, v24
	v_cndmask_b32_e64 v1, 0, 1, s[0:1]
	v_cndmask_b32_e32 v1, v1, v25, vcc
	v_lshrrev_b32_e32 v17, 8, v2
	v_and_b32_e32 v24, 1, v1
	v_lshlrev_b32_e32 v1, 15, v2
	v_and_b32_e32 v1, 0x7f800000, v1
	v_cmp_ne_u16_sdwa s[0:1], v17, s4 src0_sel:BYTE_0 src1_sel:DWORD
	v_lshrrev_b32_e32 v29, 8, v6
	v_cndmask_b32_e64 v1, v10, v1, s[0:1]
	v_cmp_ne_u16_sdwa s[0:1], v17, v11 src0_sel:BYTE_0 src1_sel:DWORD
	v_lshlrev_b32_e32 v17, 15, v6
	v_cndmask_b32_e64 v1, v12, v1, s[0:1]
	v_and_b32_e32 v17, 0x7f800000, v17
	v_cmp_ne_u16_sdwa s[0:1], v29, s4 src0_sel:BYTE_0 src1_sel:DWORD
	v_cndmask_b32_e64 v17, v10, v17, s[0:1]
	v_cmp_ne_u16_sdwa s[0:1], v29, v11 src0_sel:BYTE_0 src1_sel:DWORD
	v_cndmask_b32_e64 v17, v12, v17, s[0:1]
	v_cmp_eq_f32_e64 s[0:1], v1, v17
	v_cndmask_b32_e64 v25, 0, 1, s[0:1]
	v_cmp_neq_f32_e64 s[0:1], v1, v17
	v_cndmask_b32_e64 v1, 0, 1, s[0:1]
	v_cndmask_b32_e32 v1, v1, v25, vcc
	v_and_b32_sdwa v18, v2, s4 dst_sel:DWORD dst_unused:UNUSED_PAD src0_sel:WORD_1 src1_sel:DWORD
	v_and_b32_sdwa v17, v1, v13 dst_sel:BYTE_1 dst_unused:UNUSED_PAD src0_sel:DWORD src1_sel:DWORD
	v_lshlrev_b32_e32 v1, 7, v2
	v_and_b32_e32 v1, 0x7f800000, v1
	v_cmp_ne_u16_e64 s[0:1], s4, v18
	v_and_b32_sdwa v30, v6, s4 dst_sel:DWORD dst_unused:UNUSED_PAD src0_sel:WORD_1 src1_sel:DWORD
	v_cndmask_b32_e64 v1, v10, v1, s[0:1]
	v_cmp_ne_u16_e64 s[0:1], 0, v18
	v_lshlrev_b32_e32 v18, 7, v6
	v_cndmask_b32_e64 v1, v12, v1, s[0:1]
	v_and_b32_e32 v18, 0x7f800000, v18
	v_cmp_ne_u16_e64 s[0:1], s4, v30
	v_cndmask_b32_e64 v18, v10, v18, s[0:1]
	v_cmp_ne_u16_e64 s[0:1], 0, v30
	v_cndmask_b32_e64 v18, v12, v18, s[0:1]
	v_cmp_eq_f32_e64 s[0:1], v1, v18
	v_cndmask_b32_e64 v25, 0, 1, s[0:1]
	v_cmp_neq_f32_e64 s[0:1], v1, v18
	v_cndmask_b32_e64 v1, 0, 1, s[0:1]
	v_cndmask_b32_e32 v1, v1, v25, vcc
	v_and_b32_e32 v18, 1, v1
	v_lshlrev_b32_sdwa v1, v14, v2 dst_sel:DWORD dst_unused:UNUSED_PAD src0_sel:DWORD src1_sel:BYTE_3
	v_cmp_ne_u32_sdwa s[0:1], v2, s4 src0_sel:BYTE_3 src1_sel:DWORD
	v_cndmask_b32_e64 v1, v10, v1, s[0:1]
	v_cmp_lt_u32_e64 s[0:1], s5, v2
	v_cndmask_b32_e64 v1, v12, v1, s[0:1]
	v_lshlrev_b32_sdwa v2, v14, v6 dst_sel:DWORD dst_unused:UNUSED_PAD src0_sel:DWORD src1_sel:BYTE_3
	v_cmp_ne_u32_sdwa s[0:1], v6, s4 src0_sel:BYTE_3 src1_sel:DWORD
	v_cndmask_b32_e64 v2, v10, v2, s[0:1]
	v_cmp_lt_u32_e64 s[0:1], s5, v6
	v_cndmask_b32_e64 v2, v12, v2, s[0:1]
	v_cmp_eq_f32_e64 s[0:1], v1, v2
	v_cndmask_b32_e64 v6, 0, 1, s[0:1]
	v_cmp_neq_f32_e64 s[0:1], v1, v2
	v_cndmask_b32_e64 v1, 0, 1, s[0:1]
	v_cndmask_b32_e32 v1, v1, v6, vcc
	v_and_b32_sdwa v6, v1, v13 dst_sel:BYTE_1 dst_unused:UNUSED_PAD src0_sel:DWORD src1_sel:DWORD
	v_lshlrev_b32_e32 v1, 23, v3
	v_and_b32_e32 v1, 0x7f800000, v1
	v_cmp_ne_u16_sdwa s[0:1], v3, s4 src0_sel:BYTE_0 src1_sel:DWORD
	v_cndmask_b32_e64 v1, v10, v1, s[0:1]
	v_cmp_ne_u16_sdwa s[0:1], v3, v11 src0_sel:BYTE_0 src1_sel:DWORD
	s_waitcnt vmcnt(0)
	v_lshlrev_b32_e32 v2, 23, v7
	v_cndmask_b32_e64 v1, v12, v1, s[0:1]
	v_and_b32_e32 v2, 0x7f800000, v2
	v_cmp_ne_u16_sdwa s[0:1], v7, s4 src0_sel:BYTE_0 src1_sel:DWORD
	v_cndmask_b32_e64 v2, v10, v2, s[0:1]
	v_cmp_ne_u16_sdwa s[0:1], v7, v11 src0_sel:BYTE_0 src1_sel:DWORD
	v_cndmask_b32_e64 v2, v12, v2, s[0:1]
	v_cmp_eq_f32_e64 s[0:1], v1, v2
	v_lshrrev_b32_e32 v19, 8, v3
	v_cndmask_b32_e64 v25, 0, 1, s[0:1]
	v_cmp_neq_f32_e64 s[0:1], v1, v2
	v_lshlrev_b32_e32 v2, 15, v3
	v_cndmask_b32_e64 v1, 0, 1, s[0:1]
	v_and_b32_e32 v2, 0x7f800000, v2
	v_cmp_ne_u16_sdwa s[0:1], v19, s4 src0_sel:BYTE_0 src1_sel:DWORD
	v_lshrrev_b32_e32 v31, 8, v7
	v_cndmask_b32_e64 v2, v10, v2, s[0:1]
	v_cmp_ne_u16_sdwa s[0:1], v19, v11 src0_sel:BYTE_0 src1_sel:DWORD
	v_lshlrev_b32_e32 v19, 15, v7
	v_cndmask_b32_e64 v2, v12, v2, s[0:1]
	v_and_b32_e32 v19, 0x7f800000, v19
	v_cmp_ne_u16_sdwa s[0:1], v31, s4 src0_sel:BYTE_0 src1_sel:DWORD
	v_cndmask_b32_e64 v19, v10, v19, s[0:1]
	v_cmp_ne_u16_sdwa s[0:1], v31, v11 src0_sel:BYTE_0 src1_sel:DWORD
	v_cndmask_b32_e64 v19, v12, v19, s[0:1]
	v_cmp_eq_f32_e64 s[0:1], v2, v19
	v_cndmask_b32_e32 v1, v1, v25, vcc
	v_cndmask_b32_e64 v25, 0, 1, s[0:1]
	v_cmp_neq_f32_e64 s[0:1], v2, v19
	v_cndmask_b32_e64 v2, 0, 1, s[0:1]
	v_cndmask_b32_e32 v2, v2, v25, vcc
	v_and_b32_sdwa v20, v3, s4 dst_sel:DWORD dst_unused:UNUSED_PAD src0_sel:WORD_1 src1_sel:DWORD
	v_and_b32_sdwa v19, v2, v13 dst_sel:BYTE_1 dst_unused:UNUSED_PAD src0_sel:DWORD src1_sel:DWORD
	v_lshlrev_b32_e32 v2, 7, v3
	v_and_b32_e32 v2, 0x7f800000, v2
	v_cmp_ne_u16_e64 s[0:1], s4, v20
	v_and_b32_sdwa v32, v7, s4 dst_sel:DWORD dst_unused:UNUSED_PAD src0_sel:WORD_1 src1_sel:DWORD
	v_cndmask_b32_e64 v2, v10, v2, s[0:1]
	v_cmp_ne_u16_e64 s[0:1], 0, v20
	v_lshlrev_b32_e32 v20, 7, v7
	v_cndmask_b32_e64 v2, v12, v2, s[0:1]
	v_and_b32_e32 v20, 0x7f800000, v20
	v_cmp_ne_u16_e64 s[0:1], s4, v32
	v_cndmask_b32_e64 v20, v10, v20, s[0:1]
	v_cmp_ne_u16_e64 s[0:1], 0, v32
	v_cndmask_b32_e64 v20, v12, v20, s[0:1]
	v_cmp_eq_f32_e64 s[0:1], v2, v20
	v_cndmask_b32_e64 v25, 0, 1, s[0:1]
	v_cmp_neq_f32_e64 s[0:1], v2, v20
	v_cndmask_b32_e64 v2, 0, 1, s[0:1]
	v_cndmask_b32_e32 v2, v2, v25, vcc
	v_and_b32_e32 v20, 1, v2
	v_lshlrev_b32_sdwa v2, v14, v3 dst_sel:DWORD dst_unused:UNUSED_PAD src0_sel:DWORD src1_sel:BYTE_3
	v_cmp_ne_u32_sdwa s[0:1], v3, s4 src0_sel:BYTE_3 src1_sel:DWORD
	v_cndmask_b32_e64 v2, v10, v2, s[0:1]
	v_cmp_lt_u32_e64 s[0:1], s5, v3
	v_cndmask_b32_e64 v2, v12, v2, s[0:1]
	v_lshlrev_b32_sdwa v3, v14, v7 dst_sel:DWORD dst_unused:UNUSED_PAD src0_sel:DWORD src1_sel:BYTE_3
	v_cmp_ne_u32_sdwa s[0:1], v7, s4 src0_sel:BYTE_3 src1_sel:DWORD
	v_cndmask_b32_e64 v3, v10, v3, s[0:1]
	v_cmp_lt_u32_e64 s[0:1], s5, v7
	v_cndmask_b32_e64 v3, v12, v3, s[0:1]
	v_cmp_eq_f32_e64 s[0:1], v2, v3
	v_cndmask_b32_e64 v7, 0, 1, s[0:1]
	v_cmp_neq_f32_e64 s[0:1], v2, v3
	v_cndmask_b32_e64 v2, 0, 1, s[0:1]
	v_cndmask_b32_e32 v2, v2, v7, vcc
	v_and_b32_sdwa v3, v2, v13 dst_sel:BYTE_1 dst_unused:UNUSED_PAD src0_sel:DWORD src1_sel:DWORD
	v_lshlrev_b32_e32 v2, 23, v4
	v_and_b32_e32 v2, 0x7f800000, v2
	v_cmp_ne_u16_sdwa s[0:1], v4, s4 src0_sel:BYTE_0 src1_sel:DWORD
	v_cndmask_b32_e64 v2, v10, v2, s[0:1]
	v_cmp_ne_u16_sdwa s[0:1], v4, v11 src0_sel:BYTE_0 src1_sel:DWORD
	v_lshlrev_b32_e32 v7, 23, v8
	v_cndmask_b32_e64 v2, v12, v2, s[0:1]
	v_and_b32_e32 v7, 0x7f800000, v7
	v_cmp_ne_u16_sdwa s[0:1], v8, s4 src0_sel:BYTE_0 src1_sel:DWORD
	v_cndmask_b32_e64 v7, v10, v7, s[0:1]
	v_cmp_ne_u16_sdwa s[0:1], v8, v11 src0_sel:BYTE_0 src1_sel:DWORD
	v_cndmask_b32_e64 v7, v12, v7, s[0:1]
	v_cmp_eq_f32_e64 s[0:1], v2, v7
	v_lshrrev_b32_e32 v21, 8, v4
	v_cndmask_b32_e64 v25, 0, 1, s[0:1]
	v_cmp_neq_f32_e64 s[0:1], v2, v7
	v_lshlrev_b32_e32 v7, 15, v4
	v_cndmask_b32_e64 v2, 0, 1, s[0:1]
	v_and_b32_e32 v7, 0x7f800000, v7
	v_cmp_ne_u16_sdwa s[0:1], v21, s4 src0_sel:BYTE_0 src1_sel:DWORD
	v_lshrrev_b32_e32 v33, 8, v8
	v_cndmask_b32_e64 v7, v10, v7, s[0:1]
	v_cmp_ne_u16_sdwa s[0:1], v21, v11 src0_sel:BYTE_0 src1_sel:DWORD
	v_lshlrev_b32_e32 v21, 15, v8
	v_cndmask_b32_e64 v7, v12, v7, s[0:1]
	v_and_b32_e32 v21, 0x7f800000, v21
	v_cmp_ne_u16_sdwa s[0:1], v33, s4 src0_sel:BYTE_0 src1_sel:DWORD
	v_cndmask_b32_e64 v21, v10, v21, s[0:1]
	v_cmp_ne_u16_sdwa s[0:1], v33, v11 src0_sel:BYTE_0 src1_sel:DWORD
	v_cndmask_b32_e64 v11, v12, v21, s[0:1]
	v_cmp_eq_f32_e64 s[0:1], v7, v11
	v_and_b32_sdwa v22, v4, s4 dst_sel:DWORD dst_unused:UNUSED_PAD src0_sel:WORD_1 src1_sel:DWORD
	v_cndmask_b32_e64 v21, 0, 1, s[0:1]
	v_cmp_neq_f32_e64 s[0:1], v7, v11
	v_lshlrev_b32_e32 v11, 7, v4
	v_cndmask_b32_e64 v7, 0, 1, s[0:1]
	v_and_b32_e32 v11, 0x7f800000, v11
	v_cmp_ne_u16_e64 s[0:1], s4, v22
	v_and_b32_sdwa v34, v8, s4 dst_sel:DWORD dst_unused:UNUSED_PAD src0_sel:WORD_1 src1_sel:DWORD
	v_cndmask_b32_e32 v7, v7, v21, vcc
	v_cndmask_b32_e64 v11, v10, v11, s[0:1]
	v_cmp_ne_u16_e64 s[0:1], 0, v22
	v_lshlrev_b32_e32 v21, 7, v8
	v_cndmask_b32_e64 v11, v12, v11, s[0:1]
	v_and_b32_e32 v21, 0x7f800000, v21
	v_cmp_ne_u16_e64 s[0:1], s4, v34
	v_cndmask_b32_e64 v21, v10, v21, s[0:1]
	v_cmp_ne_u16_e64 s[0:1], 0, v34
	v_cndmask_b32_e64 v21, v12, v21, s[0:1]
	v_cmp_eq_f32_e64 s[0:1], v11, v21
	v_cndmask_b32_e64 v22, 0, 1, s[0:1]
	v_cmp_neq_f32_e64 s[0:1], v11, v21
	v_cndmask_b32_e64 v11, 0, 1, s[0:1]
	v_lshlrev_b32_sdwa v21, v14, v4 dst_sel:DWORD dst_unused:UNUSED_PAD src0_sel:DWORD src1_sel:BYTE_3
	v_cmp_ne_u32_sdwa s[0:1], v4, s4 src0_sel:BYTE_3 src1_sel:DWORD
	v_cndmask_b32_e64 v21, v10, v21, s[0:1]
	v_cmp_lt_u32_e64 s[0:1], s5, v4
	v_cndmask_b32_e64 v4, v12, v21, s[0:1]
	v_lshlrev_b32_sdwa v14, v14, v8 dst_sel:DWORD dst_unused:UNUSED_PAD src0_sel:DWORD src1_sel:BYTE_3
	v_cmp_ne_u32_sdwa s[0:1], v8, s4 src0_sel:BYTE_3 src1_sel:DWORD
	v_cndmask_b32_e64 v10, v10, v14, s[0:1]
	v_cmp_lt_u32_e64 s[0:1], s5, v8
	v_cndmask_b32_e64 v8, v12, v10, s[0:1]
	v_cmp_eq_f32_e64 s[0:1], v4, v8
	v_cndmask_b32_e64 v10, 0, 1, s[0:1]
	v_cmp_neq_f32_e64 s[0:1], v4, v8
	v_cndmask_b32_e64 v4, 0, 1, s[0:1]
	v_cndmask_b32_e32 v2, v2, v25, vcc
	v_cndmask_b32_e32 v11, v11, v22, vcc
	;; [unrolled: 1-line block ×3, first 2 shown]
	v_and_b32_e32 v1, 1, v1
	v_and_b32_e32 v2, 1, v2
	v_and_b32_sdwa v7, v7, v13 dst_sel:BYTE_1 dst_unused:UNUSED_PAD src0_sel:DWORD src1_sel:DWORD
	v_and_b32_e32 v11, 1, v11
	v_and_b32_sdwa v4, v4, v13 dst_sel:BYTE_1 dst_unused:UNUSED_PAD src0_sel:DWORD src1_sel:DWORD
	v_cndmask_b32_e32 v23, v23, v27, vcc
	v_cndmask_b32_e32 v15, v15, v28, vcc
	v_or_b32_e32 v2, v2, v7
	v_or_b32_sdwa v4, v11, v4 dst_sel:WORD_1 dst_unused:UNUSED_PAD src0_sel:DWORD src1_sel:DWORD
	v_or_b32_e32 v1, v1, v19
	v_or_b32_sdwa v3, v20, v3 dst_sel:WORD_1 dst_unused:UNUSED_PAD src0_sel:DWORD src1_sel:DWORD
	v_and_b32_e32 v23, 1, v23
	v_and_b32_sdwa v15, v15, v13 dst_sel:BYTE_1 dst_unused:UNUSED_PAD src0_sel:DWORD src1_sel:DWORD
	v_and_b32_e32 v16, 1, v16
	v_or_b32_sdwa v2, v2, v4 dst_sel:DWORD dst_unused:UNUSED_PAD src0_sel:WORD_0 src1_sel:DWORD
	v_or_b32_sdwa v1, v1, v3 dst_sel:DWORD dst_unused:UNUSED_PAD src0_sel:WORD_0 src1_sel:DWORD
	v_or_b32_e32 v3, v24, v17
	v_or_b32_sdwa v4, v18, v6 dst_sel:WORD_1 dst_unused:UNUSED_PAD src0_sel:DWORD src1_sel:DWORD
	v_or_b32_sdwa v4, v3, v4 dst_sel:DWORD dst_unused:UNUSED_PAD src0_sel:WORD_0 src1_sel:DWORD
	v_or_b32_e32 v3, v23, v15
	v_or_b32_sdwa v5, v16, v5 dst_sel:WORD_1 dst_unused:UNUSED_PAD src0_sel:DWORD src1_sel:DWORD
	s_add_u32 s0, s8, s33
	v_or_b32_sdwa v3, v3, v5 dst_sel:DWORD dst_unused:UNUSED_PAD src0_sel:WORD_0 src1_sel:DWORD
	s_addc_u32 s1, s9, s2
	global_store_dwordx2 v9, v[3:4], s[0:1]
	global_store_dwordx2 v9, v[1:2], s[0:1] offset:2048
	s_mov_b64 s[0:1], 0
.LBB310_2:
	s_andn2_b64 vcc, exec, s[0:1]
	s_cbranch_vccnz .LBB310_83
; %bb.3:
	v_cmp_gt_i32_e32 vcc, s40, v0
	v_mov_b32_e32 v5, 0
	v_or_b32_e32 v6, s33, v0
	v_mov_b32_e32 v9, 0
	v_mov_b32_e32 v7, 0
	;; [unrolled: 1-line block ×32, first 2 shown]
	s_and_saveexec_b64 s[4:5], vcc
	s_cbranch_execz .LBB310_35
; %bb.4:
	global_load_ubyte v38, v6, s[10:11]
	global_load_ubyte v37, v6, s[14:15]
	v_or_b32_e32 v1, 0x100, v0
	v_cmp_gt_u32_e64 s[0:1], s40, v1
	v_mov_b32_e32 v35, 0
	v_mov_b32_e32 v36, 0
	;; [unrolled: 1-line block ×30, first 2 shown]
	s_and_saveexec_b64 s[6:7], s[0:1]
	s_cbranch_execz .LBB310_34
; %bb.5:
	v_add_u32_e32 v3, s33, v0
	global_load_ubyte v36, v3, s[10:11] offset:256
	global_load_ubyte v35, v3, s[14:15] offset:256
	v_or_b32_e32 v1, 0x200, v0
	v_mov_b32_e32 v33, 0
	v_cmp_gt_u32_e64 s[0:1], s40, v1
	v_mov_b32_e32 v34, 0
	v_mov_b32_e32 v31, 0
	;; [unrolled: 1-line block ×27, first 2 shown]
	s_and_saveexec_b64 s[12:13], s[0:1]
	s_cbranch_execz .LBB310_33
; %bb.6:
	v_mov_b32_e32 v2, s11
	v_add_co_u32_e64 v1, s[0:1], s10, v3
	v_addc_co_u32_e64 v2, s[0:1], 0, v2, s[0:1]
	v_mov_b32_e32 v4, s15
	v_add_co_u32_e64 v3, s[0:1], s14, v3
	v_addc_co_u32_e64 v4, s[0:1], 0, v4, s[0:1]
	global_load_ubyte v34, v[1:2], off offset:512
	global_load_ubyte v33, v[3:4], off offset:512
	v_or_b32_e32 v7, 0x300, v0
	v_cmp_gt_u32_e64 s[0:1], s40, v7
	v_mov_b32_e32 v31, 0
	v_mov_b32_e32 v32, 0
	;; [unrolled: 1-line block ×26, first 2 shown]
	s_and_saveexec_b64 s[10:11], s[0:1]
	s_cbranch_execz .LBB310_32
; %bb.7:
	global_load_ubyte v32, v[1:2], off offset:768
	global_load_ubyte v31, v[3:4], off offset:768
	v_or_b32_e32 v7, 0x400, v0
	v_cmp_gt_u32_e64 s[0:1], s40, v7
	v_mov_b32_e32 v29, 0
	v_mov_b32_e32 v30, 0
	;; [unrolled: 1-line block ×24, first 2 shown]
	s_and_saveexec_b64 s[14:15], s[0:1]
	s_cbranch_execz .LBB310_31
; %bb.8:
	global_load_ubyte v30, v[1:2], off offset:1024
	global_load_ubyte v29, v[3:4], off offset:1024
	v_or_b32_e32 v7, 0x500, v0
	v_cmp_gt_u32_e64 s[0:1], s40, v7
	v_mov_b32_e32 v27, 0
	v_mov_b32_e32 v28, 0
	v_mov_b32_e32 v25, 0
	v_mov_b32_e32 v26, 0
	v_mov_b32_e32 v23, 0
	v_mov_b32_e32 v24, 0
	v_mov_b32_e32 v21, 0
	v_mov_b32_e32 v22, 0
	v_mov_b32_e32 v19, 0
	v_mov_b32_e32 v20, 0
	v_mov_b32_e32 v17, 0
	v_mov_b32_e32 v18, 0
	v_mov_b32_e32 v15, 0
	v_mov_b32_e32 v16, 0
	v_mov_b32_e32 v13, 0
	v_mov_b32_e32 v14, 0
	v_mov_b32_e32 v11, 0
	v_mov_b32_e32 v12, 0
	v_mov_b32_e32 v8, 0
	v_mov_b32_e32 v10, 0
	v_mov_b32_e32 v7, 0
	v_mov_b32_e32 v9, 0
	s_and_saveexec_b64 s[16:17], s[0:1]
	s_cbranch_execz .LBB310_30
; %bb.9:
	global_load_ubyte v28, v[1:2], off offset:1280
	global_load_ubyte v27, v[3:4], off offset:1280
	v_or_b32_e32 v7, 0x600, v0
	v_cmp_gt_u32_e64 s[0:1], s40, v7
	v_mov_b32_e32 v25, 0
	v_mov_b32_e32 v26, 0
	v_mov_b32_e32 v23, 0
	v_mov_b32_e32 v24, 0
	v_mov_b32_e32 v21, 0
	v_mov_b32_e32 v22, 0
	v_mov_b32_e32 v19, 0
	v_mov_b32_e32 v20, 0
	v_mov_b32_e32 v17, 0
	v_mov_b32_e32 v18, 0
	v_mov_b32_e32 v15, 0
	v_mov_b32_e32 v16, 0
	v_mov_b32_e32 v13, 0
	v_mov_b32_e32 v14, 0
	v_mov_b32_e32 v11, 0
	v_mov_b32_e32 v12, 0
	v_mov_b32_e32 v8, 0
	v_mov_b32_e32 v10, 0
	v_mov_b32_e32 v7, 0
	v_mov_b32_e32 v9, 0
	s_and_saveexec_b64 s[18:19], s[0:1]
	s_cbranch_execz .LBB310_29
; %bb.10:
	global_load_ubyte v26, v[1:2], off offset:1536
	global_load_ubyte v25, v[3:4], off offset:1536
	v_or_b32_e32 v7, 0x700, v0
	v_cmp_gt_u32_e64 s[0:1], s40, v7
	v_mov_b32_e32 v23, 0
	v_mov_b32_e32 v24, 0
	;; [unrolled: 1-line block ×18, first 2 shown]
	s_and_saveexec_b64 s[20:21], s[0:1]
	s_cbranch_execz .LBB310_28
; %bb.11:
	global_load_ubyte v24, v[1:2], off offset:1792
	global_load_ubyte v23, v[3:4], off offset:1792
	v_or_b32_e32 v7, 0x800, v0
	v_cmp_gt_u32_e64 s[0:1], s40, v7
	v_mov_b32_e32 v21, 0
	v_mov_b32_e32 v22, 0
	;; [unrolled: 1-line block ×16, first 2 shown]
	s_and_saveexec_b64 s[22:23], s[0:1]
	s_cbranch_execz .LBB310_27
; %bb.12:
	global_load_ubyte v22, v[1:2], off offset:2048
	global_load_ubyte v21, v[3:4], off offset:2048
	v_or_b32_e32 v7, 0x900, v0
	v_cmp_gt_u32_e64 s[0:1], s40, v7
	v_mov_b32_e32 v19, 0
	v_mov_b32_e32 v20, 0
	;; [unrolled: 1-line block ×14, first 2 shown]
	s_and_saveexec_b64 s[24:25], s[0:1]
	s_cbranch_execz .LBB310_26
; %bb.13:
	global_load_ubyte v20, v[1:2], off offset:2304
	global_load_ubyte v19, v[3:4], off offset:2304
	v_or_b32_e32 v7, 0xa00, v0
	v_cmp_gt_u32_e64 s[0:1], s40, v7
	v_mov_b32_e32 v17, 0
	v_mov_b32_e32 v18, 0
	;; [unrolled: 1-line block ×12, first 2 shown]
	s_and_saveexec_b64 s[26:27], s[0:1]
	s_cbranch_execz .LBB310_25
; %bb.14:
	global_load_ubyte v18, v[1:2], off offset:2560
	global_load_ubyte v17, v[3:4], off offset:2560
	v_or_b32_e32 v7, 0xb00, v0
	v_cmp_gt_u32_e64 s[0:1], s40, v7
	v_mov_b32_e32 v15, 0
	v_mov_b32_e32 v16, 0
	v_mov_b32_e32 v13, 0
	v_mov_b32_e32 v14, 0
	v_mov_b32_e32 v11, 0
	v_mov_b32_e32 v12, 0
	v_mov_b32_e32 v8, 0
	v_mov_b32_e32 v10, 0
	v_mov_b32_e32 v7, 0
	v_mov_b32_e32 v9, 0
	s_and_saveexec_b64 s[28:29], s[0:1]
	s_cbranch_execz .LBB310_24
; %bb.15:
	global_load_ubyte v16, v[1:2], off offset:2816
	global_load_ubyte v15, v[3:4], off offset:2816
	v_or_b32_e32 v7, 0xc00, v0
	v_cmp_gt_u32_e64 s[0:1], s40, v7
	v_mov_b32_e32 v13, 0
	v_mov_b32_e32 v14, 0
	;; [unrolled: 1-line block ×8, first 2 shown]
	s_and_saveexec_b64 s[30:31], s[0:1]
	s_cbranch_execz .LBB310_23
; %bb.16:
	global_load_ubyte v14, v[1:2], off offset:3072
	global_load_ubyte v13, v[3:4], off offset:3072
	v_or_b32_e32 v7, 0xd00, v0
	v_cmp_gt_u32_e64 s[0:1], s40, v7
	v_mov_b32_e32 v11, 0
	v_mov_b32_e32 v12, 0
	;; [unrolled: 1-line block ×6, first 2 shown]
	s_and_saveexec_b64 s[34:35], s[0:1]
	s_cbranch_execz .LBB310_22
; %bb.17:
	global_load_ubyte v12, v[1:2], off offset:3328
	global_load_ubyte v11, v[3:4], off offset:3328
	v_or_b32_e32 v7, 0xe00, v0
	v_cmp_gt_u32_e64 s[0:1], s40, v7
	v_mov_b32_e32 v8, 0
	v_mov_b32_e32 v10, 0
	;; [unrolled: 1-line block ×4, first 2 shown]
	s_and_saveexec_b64 s[36:37], s[0:1]
	s_cbranch_execz .LBB310_21
; %bb.18:
	global_load_ubyte v10, v[1:2], off offset:3584
	global_load_ubyte v8, v[3:4], off offset:3584
	v_or_b32_e32 v7, 0xf00, v0
	v_cmp_gt_u32_e64 s[0:1], s40, v7
	v_mov_b32_e32 v7, 0
	v_mov_b32_e32 v9, 0
	s_and_saveexec_b64 s[38:39], s[0:1]
	s_cbranch_execz .LBB310_20
; %bb.19:
	global_load_ubyte v9, v[1:2], off offset:3840
	global_load_ubyte v7, v[3:4], off offset:3840
.LBB310_20:
	s_or_b64 exec, exec, s[38:39]
.LBB310_21:
	s_or_b64 exec, exec, s[36:37]
.LBB310_22:
	s_or_b64 exec, exec, s[34:35]
.LBB310_23:
	s_or_b64 exec, exec, s[30:31]
.LBB310_24:
	s_or_b64 exec, exec, s[28:29]
.LBB310_25:
	s_or_b64 exec, exec, s[26:27]
.LBB310_26:
	s_or_b64 exec, exec, s[24:25]
.LBB310_27:
	s_or_b64 exec, exec, s[22:23]
.LBB310_28:
	s_or_b64 exec, exec, s[20:21]
.LBB310_29:
	s_or_b64 exec, exec, s[18:19]
.LBB310_30:
	s_or_b64 exec, exec, s[16:17]
.LBB310_31:
	s_or_b64 exec, exec, s[14:15]
.LBB310_32:
	s_or_b64 exec, exec, s[10:11]
.LBB310_33:
	s_or_b64 exec, exec, s[12:13]
.LBB310_34:
	s_or_b64 exec, exec, s[6:7]
.LBB310_35:
	s_or_b64 exec, exec, s[4:5]
	s_cmp_eq_u32 s3, 0
	s_cselect_b64 s[0:1], -1, 0
	v_mov_b32_e32 v3, v5
	v_mov_b32_e32 v2, v5
	;; [unrolled: 1-line block ×3, first 2 shown]
	s_and_saveexec_b64 s[4:5], vcc
	s_cbranch_execz .LBB310_37
; %bb.36:
	s_movk_i32 s6, 0xff
	v_mov_b32_e32 v1, 23
	s_waitcnt vmcnt(1)
	v_lshlrev_b32_sdwa v2, v1, v38 dst_sel:DWORD dst_unused:UNUSED_PAD src0_sel:DWORD src1_sel:BYTE_0
	v_mov_b32_e32 v4, 0x7f800001
	v_cmp_ne_u16_sdwa s[2:3], v38, s6 src0_sel:BYTE_0 src1_sel:DWORD
	v_mov_b32_e32 v3, 0
	v_cndmask_b32_e64 v2, v4, v2, s[2:3]
	v_mov_b32_e32 v5, 0x400000
	v_cmp_ne_u16_sdwa s[2:3], v38, v3 src0_sel:BYTE_0 src1_sel:DWORD
	v_cndmask_b32_e64 v2, v5, v2, s[2:3]
	s_waitcnt vmcnt(0)
	v_lshlrev_b32_sdwa v1, v1, v37 dst_sel:DWORD dst_unused:UNUSED_PAD src0_sel:DWORD src1_sel:BYTE_0
	v_cmp_ne_u16_sdwa s[2:3], v37, s6 src0_sel:BYTE_0 src1_sel:DWORD
	v_cndmask_b32_e64 v1, v4, v1, s[2:3]
	v_cmp_ne_u16_sdwa s[2:3], v37, v3 src0_sel:BYTE_0 src1_sel:DWORD
	v_cndmask_b32_e64 v1, v5, v1, s[2:3]
	v_cmp_eq_f32_e64 s[2:3], v2, v1
	v_cndmask_b32_e64 v4, 0, 1, s[2:3]
	v_cmp_neq_f32_e64 s[2:3], v2, v1
	v_cndmask_b32_e64 v1, 0, 1, s[2:3]
	v_cndmask_b32_e64 v1, v1, v4, s[0:1]
	v_and_b32_e32 v1, 1, v1
	v_and_b32_e32 v5, 0xffff, v1
	v_mov_b32_e32 v2, v3
	v_mov_b32_e32 v1, v3
.LBB310_37:
	s_or_b64 exec, exec, s[4:5]
	v_or_b32_e32 v4, 0x100, v0
	v_cmp_gt_i32_e64 s[2:3], s40, v4
	s_and_saveexec_b64 s[4:5], s[2:3]
	s_cbranch_execz .LBB310_39
; %bb.38:
	s_movk_i32 s6, 0xff
	s_waitcnt vmcnt(0)
	v_mov_b32_e32 v37, 23
	v_lshlrev_b32_sdwa v38, v37, v36 dst_sel:DWORD dst_unused:UNUSED_PAD src0_sel:DWORD src1_sel:BYTE_0
	v_mov_b32_e32 v39, 0x7f800001
	v_cmp_ne_u16_sdwa s[2:3], v36, s6 src0_sel:BYTE_0 src1_sel:DWORD
	v_mov_b32_e32 v40, 0
	v_cndmask_b32_e64 v38, v39, v38, s[2:3]
	v_mov_b32_e32 v41, 0x400000
	v_cmp_ne_u16_sdwa s[2:3], v36, v40 src0_sel:BYTE_0 src1_sel:DWORD
	v_cndmask_b32_e64 v36, v41, v38, s[2:3]
	v_lshlrev_b32_sdwa v37, v37, v35 dst_sel:DWORD dst_unused:UNUSED_PAD src0_sel:DWORD src1_sel:BYTE_0
	v_cmp_ne_u16_sdwa s[2:3], v35, s6 src0_sel:BYTE_0 src1_sel:DWORD
	v_cndmask_b32_e64 v37, v39, v37, s[2:3]
	v_cmp_ne_u16_sdwa s[2:3], v35, v40 src0_sel:BYTE_0 src1_sel:DWORD
	v_cndmask_b32_e64 v35, v41, v37, s[2:3]
	v_cmp_eq_f32_e64 s[2:3], v36, v35
	v_cndmask_b32_e64 v37, 0, 1, s[2:3]
	v_cmp_neq_f32_e64 s[2:3], v36, v35
	v_cndmask_b32_e64 v35, 0, 1, s[2:3]
	v_cndmask_b32_e64 v35, v35, v37, s[0:1]
	v_mov_b32_e32 v36, 1
	v_and_b32_sdwa v35, v35, v36 dst_sel:BYTE_1 dst_unused:UNUSED_PAD src0_sel:DWORD src1_sel:DWORD
	v_or_b32_sdwa v35, v5, v35 dst_sel:DWORD dst_unused:UNUSED_PAD src0_sel:BYTE_0 src1_sel:DWORD
	v_and_b32_e32 v35, 0xffff, v35
	s_mov_b32 s2, 0xffff0000
	v_and_or_b32 v5, v5, s2, v35
.LBB310_39:
	s_or_b64 exec, exec, s[4:5]
	s_waitcnt vmcnt(0)
	v_or_b32_e32 v35, 0x200, v0
	v_cmp_gt_i32_e64 s[2:3], s40, v35
	s_and_saveexec_b64 s[4:5], s[2:3]
	s_cbranch_execz .LBB310_41
; %bb.40:
	s_movk_i32 s2, 0xff00
	s_movk_i32 s6, 0xff
	v_mov_b32_e32 v36, 23
	v_and_b32_sdwa v35, v5, s2 dst_sel:DWORD dst_unused:UNUSED_PAD src0_sel:WORD_1 src1_sel:DWORD
	v_lshlrev_b32_sdwa v37, v36, v34 dst_sel:DWORD dst_unused:UNUSED_PAD src0_sel:DWORD src1_sel:BYTE_0
	v_mov_b32_e32 v38, 0x7f800001
	v_cmp_ne_u16_sdwa s[2:3], v34, s6 src0_sel:BYTE_0 src1_sel:DWORD
	v_mov_b32_e32 v39, 0
	v_cndmask_b32_e64 v37, v38, v37, s[2:3]
	v_mov_b32_e32 v40, 0x400000
	v_cmp_ne_u16_sdwa s[2:3], v34, v39 src0_sel:BYTE_0 src1_sel:DWORD
	v_cndmask_b32_e64 v34, v40, v37, s[2:3]
	v_lshlrev_b32_sdwa v36, v36, v33 dst_sel:DWORD dst_unused:UNUSED_PAD src0_sel:DWORD src1_sel:BYTE_0
	v_cmp_ne_u16_sdwa s[2:3], v33, s6 src0_sel:BYTE_0 src1_sel:DWORD
	v_cndmask_b32_e64 v36, v38, v36, s[2:3]
	v_cmp_ne_u16_sdwa s[2:3], v33, v39 src0_sel:BYTE_0 src1_sel:DWORD
	v_cndmask_b32_e64 v33, v40, v36, s[2:3]
	v_cmp_eq_f32_e64 s[2:3], v34, v33
	v_cndmask_b32_e64 v36, 0, 1, s[2:3]
	v_cmp_neq_f32_e64 s[2:3], v34, v33
	v_cndmask_b32_e64 v33, 0, 1, s[2:3]
	v_cndmask_b32_e64 v33, v33, v36, s[0:1]
	v_and_b32_e32 v33, 1, v33
	v_or_b32_sdwa v33, v33, v35 dst_sel:WORD_1 dst_unused:UNUSED_PAD src0_sel:DWORD src1_sel:DWORD
	s_mov_b32 s2, 0xffff
	v_and_or_b32 v5, v5, s2, v33
.LBB310_41:
	s_or_b64 exec, exec, s[4:5]
	v_or_b32_e32 v33, 0x300, v0
	v_cmp_gt_i32_e64 s[2:3], s40, v33
	s_and_saveexec_b64 s[4:5], s[2:3]
	s_cbranch_execz .LBB310_43
; %bb.42:
	s_movk_i32 s6, 0xff
	v_mov_b32_e32 v34, 23
	v_lshlrev_b32_sdwa v35, v34, v32 dst_sel:DWORD dst_unused:UNUSED_PAD src0_sel:DWORD src1_sel:BYTE_0
	v_mov_b32_e32 v36, 0x7f800001
	v_cmp_ne_u16_sdwa s[2:3], v32, s6 src0_sel:BYTE_0 src1_sel:DWORD
	v_mov_b32_e32 v37, 0
	v_cndmask_b32_e64 v35, v36, v35, s[2:3]
	v_mov_b32_e32 v38, 0x400000
	v_cmp_ne_u16_sdwa s[2:3], v32, v37 src0_sel:BYTE_0 src1_sel:DWORD
	v_cndmask_b32_e64 v32, v38, v35, s[2:3]
	v_lshlrev_b32_sdwa v34, v34, v31 dst_sel:DWORD dst_unused:UNUSED_PAD src0_sel:DWORD src1_sel:BYTE_0
	v_cmp_ne_u16_sdwa s[2:3], v31, s6 src0_sel:BYTE_0 src1_sel:DWORD
	v_cndmask_b32_e64 v34, v36, v34, s[2:3]
	v_cmp_ne_u16_sdwa s[2:3], v31, v37 src0_sel:BYTE_0 src1_sel:DWORD
	v_cndmask_b32_e64 v31, v38, v34, s[2:3]
	v_cmp_eq_f32_e64 s[2:3], v32, v31
	v_cndmask_b32_e64 v34, 0, 1, s[2:3]
	v_cmp_neq_f32_e64 s[2:3], v32, v31
	v_cndmask_b32_e64 v31, 0, 1, s[2:3]
	v_cndmask_b32_e64 v31, v31, v34, s[0:1]
	v_mov_b32_e32 v32, 1
	v_and_b32_sdwa v33, v5, s6 dst_sel:DWORD dst_unused:UNUSED_PAD src0_sel:WORD_1 src1_sel:DWORD
	v_and_b32_sdwa v31, v31, v32 dst_sel:BYTE_1 dst_unused:UNUSED_PAD src0_sel:DWORD src1_sel:DWORD
	v_or_b32_sdwa v31, v33, v31 dst_sel:WORD_1 dst_unused:UNUSED_PAD src0_sel:DWORD src1_sel:DWORD
	s_mov_b32 s2, 0xffff
	v_and_or_b32 v5, v5, s2, v31
.LBB310_43:
	s_or_b64 exec, exec, s[4:5]
	v_or_b32_e32 v31, 0x400, v0
	v_cmp_gt_i32_e64 s[2:3], s40, v31
	s_and_saveexec_b64 s[4:5], s[2:3]
	s_cbranch_execz .LBB310_45
; %bb.44:
	s_movk_i32 s6, 0xff
	v_mov_b32_e32 v32, 23
	v_lshlrev_b32_sdwa v33, v32, v30 dst_sel:DWORD dst_unused:UNUSED_PAD src0_sel:DWORD src1_sel:BYTE_0
	v_mov_b32_e32 v34, 0x7f800001
	v_cmp_ne_u16_sdwa s[2:3], v30, s6 src0_sel:BYTE_0 src1_sel:DWORD
	v_mov_b32_e32 v35, 0
	v_cndmask_b32_e64 v33, v34, v33, s[2:3]
	v_mov_b32_e32 v36, 0x400000
	v_cmp_ne_u16_sdwa s[2:3], v30, v35 src0_sel:BYTE_0 src1_sel:DWORD
	v_cndmask_b32_e64 v30, v36, v33, s[2:3]
	v_lshlrev_b32_sdwa v32, v32, v29 dst_sel:DWORD dst_unused:UNUSED_PAD src0_sel:DWORD src1_sel:BYTE_0
	v_cmp_ne_u16_sdwa s[2:3], v29, s6 src0_sel:BYTE_0 src1_sel:DWORD
	v_cndmask_b32_e64 v32, v34, v32, s[2:3]
	v_cmp_ne_u16_sdwa s[2:3], v29, v35 src0_sel:BYTE_0 src1_sel:DWORD
	v_cndmask_b32_e64 v29, v36, v32, s[2:3]
	v_cmp_eq_f32_e64 s[2:3], v30, v29
	v_cndmask_b32_e64 v32, 0, 1, s[2:3]
	v_cmp_neq_f32_e64 s[2:3], v30, v29
	v_cndmask_b32_e64 v29, 0, 1, s[2:3]
	v_cndmask_b32_e64 v29, v29, v32, s[0:1]
	v_and_b32_e32 v31, 0xffffff00, v3
	v_and_b32_e32 v29, 1, v29
	v_or_b32_e32 v29, v29, v31
	v_and_b32_e32 v29, 0xffff, v29
	s_mov_b32 s2, 0xffff0000
	v_and_or_b32 v3, v3, s2, v29
.LBB310_45:
	s_or_b64 exec, exec, s[4:5]
	v_or_b32_e32 v29, 0x500, v0
	v_cmp_gt_i32_e64 s[2:3], s40, v29
	s_and_saveexec_b64 s[4:5], s[2:3]
	s_cbranch_execz .LBB310_47
; %bb.46:
	s_movk_i32 s6, 0xff
	v_mov_b32_e32 v29, 23
	v_lshlrev_b32_sdwa v30, v29, v28 dst_sel:DWORD dst_unused:UNUSED_PAD src0_sel:DWORD src1_sel:BYTE_0
	v_mov_b32_e32 v31, 0x7f800001
	v_cmp_ne_u16_sdwa s[2:3], v28, s6 src0_sel:BYTE_0 src1_sel:DWORD
	v_mov_b32_e32 v32, 0
	v_cndmask_b32_e64 v30, v31, v30, s[2:3]
	v_mov_b32_e32 v33, 0x400000
	v_cmp_ne_u16_sdwa s[2:3], v28, v32 src0_sel:BYTE_0 src1_sel:DWORD
	v_cndmask_b32_e64 v28, v33, v30, s[2:3]
	v_lshlrev_b32_sdwa v29, v29, v27 dst_sel:DWORD dst_unused:UNUSED_PAD src0_sel:DWORD src1_sel:BYTE_0
	v_cmp_ne_u16_sdwa s[2:3], v27, s6 src0_sel:BYTE_0 src1_sel:DWORD
	v_cndmask_b32_e64 v29, v31, v29, s[2:3]
	v_cmp_ne_u16_sdwa s[2:3], v27, v32 src0_sel:BYTE_0 src1_sel:DWORD
	v_cndmask_b32_e64 v27, v33, v29, s[2:3]
	v_cmp_eq_f32_e64 s[2:3], v28, v27
	v_cndmask_b32_e64 v29, 0, 1, s[2:3]
	v_cmp_neq_f32_e64 s[2:3], v28, v27
	v_cndmask_b32_e64 v27, 0, 1, s[2:3]
	v_cndmask_b32_e64 v27, v27, v29, s[0:1]
	v_mov_b32_e32 v28, 1
	v_and_b32_sdwa v27, v27, v28 dst_sel:BYTE_1 dst_unused:UNUSED_PAD src0_sel:DWORD src1_sel:DWORD
	v_or_b32_sdwa v27, v3, v27 dst_sel:DWORD dst_unused:UNUSED_PAD src0_sel:BYTE_0 src1_sel:DWORD
	v_and_b32_e32 v27, 0xffff, v27
	s_mov_b32 s2, 0xffff0000
	v_and_or_b32 v3, v3, s2, v27
.LBB310_47:
	s_or_b64 exec, exec, s[4:5]
	v_or_b32_e32 v27, 0x600, v0
	v_cmp_gt_i32_e64 s[2:3], s40, v27
	s_and_saveexec_b64 s[4:5], s[2:3]
	s_cbranch_execz .LBB310_49
; %bb.48:
	s_movk_i32 s2, 0xff00
	s_movk_i32 s6, 0xff
	v_mov_b32_e32 v28, 23
	v_and_b32_sdwa v27, v3, s2 dst_sel:DWORD dst_unused:UNUSED_PAD src0_sel:WORD_1 src1_sel:DWORD
	v_lshlrev_b32_sdwa v29, v28, v26 dst_sel:DWORD dst_unused:UNUSED_PAD src0_sel:DWORD src1_sel:BYTE_0
	v_mov_b32_e32 v30, 0x7f800001
	v_cmp_ne_u16_sdwa s[2:3], v26, s6 src0_sel:BYTE_0 src1_sel:DWORD
	v_mov_b32_e32 v31, 0
	v_cndmask_b32_e64 v29, v30, v29, s[2:3]
	v_mov_b32_e32 v32, 0x400000
	v_cmp_ne_u16_sdwa s[2:3], v26, v31 src0_sel:BYTE_0 src1_sel:DWORD
	v_cndmask_b32_e64 v26, v32, v29, s[2:3]
	v_lshlrev_b32_sdwa v28, v28, v25 dst_sel:DWORD dst_unused:UNUSED_PAD src0_sel:DWORD src1_sel:BYTE_0
	v_cmp_ne_u16_sdwa s[2:3], v25, s6 src0_sel:BYTE_0 src1_sel:DWORD
	v_cndmask_b32_e64 v28, v30, v28, s[2:3]
	v_cmp_ne_u16_sdwa s[2:3], v25, v31 src0_sel:BYTE_0 src1_sel:DWORD
	v_cndmask_b32_e64 v25, v32, v28, s[2:3]
	v_cmp_eq_f32_e64 s[2:3], v26, v25
	v_cndmask_b32_e64 v28, 0, 1, s[2:3]
	v_cmp_neq_f32_e64 s[2:3], v26, v25
	v_cndmask_b32_e64 v25, 0, 1, s[2:3]
	v_cndmask_b32_e64 v25, v25, v28, s[0:1]
	v_and_b32_e32 v25, 1, v25
	v_or_b32_sdwa v25, v25, v27 dst_sel:WORD_1 dst_unused:UNUSED_PAD src0_sel:DWORD src1_sel:DWORD
	s_mov_b32 s2, 0xffff
	v_and_or_b32 v3, v3, s2, v25
.LBB310_49:
	s_or_b64 exec, exec, s[4:5]
	v_or_b32_e32 v25, 0x700, v0
	v_cmp_gt_i32_e64 s[2:3], s40, v25
	s_and_saveexec_b64 s[4:5], s[2:3]
	s_cbranch_execz .LBB310_51
; %bb.50:
	s_movk_i32 s6, 0xff
	v_mov_b32_e32 v26, 23
	v_lshlrev_b32_sdwa v27, v26, v24 dst_sel:DWORD dst_unused:UNUSED_PAD src0_sel:DWORD src1_sel:BYTE_0
	v_mov_b32_e32 v28, 0x7f800001
	v_cmp_ne_u16_sdwa s[2:3], v24, s6 src0_sel:BYTE_0 src1_sel:DWORD
	v_mov_b32_e32 v29, 0
	v_cndmask_b32_e64 v27, v28, v27, s[2:3]
	v_mov_b32_e32 v30, 0x400000
	v_cmp_ne_u16_sdwa s[2:3], v24, v29 src0_sel:BYTE_0 src1_sel:DWORD
	v_cndmask_b32_e64 v24, v30, v27, s[2:3]
	v_lshlrev_b32_sdwa v26, v26, v23 dst_sel:DWORD dst_unused:UNUSED_PAD src0_sel:DWORD src1_sel:BYTE_0
	v_cmp_ne_u16_sdwa s[2:3], v23, s6 src0_sel:BYTE_0 src1_sel:DWORD
	v_cndmask_b32_e64 v26, v28, v26, s[2:3]
	v_cmp_ne_u16_sdwa s[2:3], v23, v29 src0_sel:BYTE_0 src1_sel:DWORD
	v_cndmask_b32_e64 v23, v30, v26, s[2:3]
	v_cmp_eq_f32_e64 s[2:3], v24, v23
	v_cndmask_b32_e64 v26, 0, 1, s[2:3]
	v_cmp_neq_f32_e64 s[2:3], v24, v23
	v_cndmask_b32_e64 v23, 0, 1, s[2:3]
	v_cndmask_b32_e64 v23, v23, v26, s[0:1]
	v_mov_b32_e32 v24, 1
	v_and_b32_sdwa v25, v3, s6 dst_sel:DWORD dst_unused:UNUSED_PAD src0_sel:WORD_1 src1_sel:DWORD
	v_and_b32_sdwa v23, v23, v24 dst_sel:BYTE_1 dst_unused:UNUSED_PAD src0_sel:DWORD src1_sel:DWORD
	v_or_b32_sdwa v23, v25, v23 dst_sel:WORD_1 dst_unused:UNUSED_PAD src0_sel:DWORD src1_sel:DWORD
	s_mov_b32 s2, 0xffff
	v_and_or_b32 v3, v3, s2, v23
.LBB310_51:
	s_or_b64 exec, exec, s[4:5]
	v_or_b32_e32 v23, 0x800, v0
	v_cmp_gt_i32_e64 s[2:3], s40, v23
	s_and_saveexec_b64 s[4:5], s[2:3]
	s_cbranch_execz .LBB310_53
; %bb.52:
	s_movk_i32 s6, 0xff
	v_mov_b32_e32 v24, 23
	v_lshlrev_b32_sdwa v25, v24, v22 dst_sel:DWORD dst_unused:UNUSED_PAD src0_sel:DWORD src1_sel:BYTE_0
	v_mov_b32_e32 v26, 0x7f800001
	v_cmp_ne_u16_sdwa s[2:3], v22, s6 src0_sel:BYTE_0 src1_sel:DWORD
	v_mov_b32_e32 v27, 0
	v_cndmask_b32_e64 v25, v26, v25, s[2:3]
	v_mov_b32_e32 v28, 0x400000
	v_cmp_ne_u16_sdwa s[2:3], v22, v27 src0_sel:BYTE_0 src1_sel:DWORD
	v_cndmask_b32_e64 v22, v28, v25, s[2:3]
	v_lshlrev_b32_sdwa v24, v24, v21 dst_sel:DWORD dst_unused:UNUSED_PAD src0_sel:DWORD src1_sel:BYTE_0
	v_cmp_ne_u16_sdwa s[2:3], v21, s6 src0_sel:BYTE_0 src1_sel:DWORD
	v_cndmask_b32_e64 v24, v26, v24, s[2:3]
	v_cmp_ne_u16_sdwa s[2:3], v21, v27 src0_sel:BYTE_0 src1_sel:DWORD
	v_cndmask_b32_e64 v21, v28, v24, s[2:3]
	v_cmp_eq_f32_e64 s[2:3], v22, v21
	v_cndmask_b32_e64 v24, 0, 1, s[2:3]
	v_cmp_neq_f32_e64 s[2:3], v22, v21
	v_cndmask_b32_e64 v21, 0, 1, s[2:3]
	v_cndmask_b32_e64 v21, v21, v24, s[0:1]
	v_and_b32_e32 v23, 0xffffff00, v2
	v_and_b32_e32 v21, 1, v21
	v_or_b32_e32 v21, v21, v23
	v_and_b32_e32 v21, 0xffff, v21
	s_mov_b32 s2, 0xffff0000
	v_and_or_b32 v2, v2, s2, v21
.LBB310_53:
	s_or_b64 exec, exec, s[4:5]
	v_or_b32_e32 v21, 0x900, v0
	v_cmp_gt_i32_e64 s[2:3], s40, v21
	s_and_saveexec_b64 s[4:5], s[2:3]
	s_cbranch_execz .LBB310_55
; %bb.54:
	s_movk_i32 s6, 0xff
	v_mov_b32_e32 v21, 23
	v_lshlrev_b32_sdwa v22, v21, v20 dst_sel:DWORD dst_unused:UNUSED_PAD src0_sel:DWORD src1_sel:BYTE_0
	v_mov_b32_e32 v23, 0x7f800001
	v_cmp_ne_u16_sdwa s[2:3], v20, s6 src0_sel:BYTE_0 src1_sel:DWORD
	v_mov_b32_e32 v24, 0
	v_cndmask_b32_e64 v22, v23, v22, s[2:3]
	v_mov_b32_e32 v25, 0x400000
	v_cmp_ne_u16_sdwa s[2:3], v20, v24 src0_sel:BYTE_0 src1_sel:DWORD
	v_cndmask_b32_e64 v20, v25, v22, s[2:3]
	v_lshlrev_b32_sdwa v21, v21, v19 dst_sel:DWORD dst_unused:UNUSED_PAD src0_sel:DWORD src1_sel:BYTE_0
	v_cmp_ne_u16_sdwa s[2:3], v19, s6 src0_sel:BYTE_0 src1_sel:DWORD
	v_cndmask_b32_e64 v21, v23, v21, s[2:3]
	v_cmp_ne_u16_sdwa s[2:3], v19, v24 src0_sel:BYTE_0 src1_sel:DWORD
	v_cndmask_b32_e64 v19, v25, v21, s[2:3]
	v_cmp_eq_f32_e64 s[2:3], v20, v19
	v_cndmask_b32_e64 v21, 0, 1, s[2:3]
	v_cmp_neq_f32_e64 s[2:3], v20, v19
	v_cndmask_b32_e64 v19, 0, 1, s[2:3]
	v_cndmask_b32_e64 v19, v19, v21, s[0:1]
	v_mov_b32_e32 v20, 1
	v_and_b32_sdwa v19, v19, v20 dst_sel:BYTE_1 dst_unused:UNUSED_PAD src0_sel:DWORD src1_sel:DWORD
	v_or_b32_sdwa v19, v2, v19 dst_sel:DWORD dst_unused:UNUSED_PAD src0_sel:BYTE_0 src1_sel:DWORD
	v_and_b32_e32 v19, 0xffff, v19
	s_mov_b32 s2, 0xffff0000
	v_and_or_b32 v2, v2, s2, v19
.LBB310_55:
	s_or_b64 exec, exec, s[4:5]
	v_or_b32_e32 v19, 0xa00, v0
	v_cmp_gt_i32_e64 s[2:3], s40, v19
	s_and_saveexec_b64 s[4:5], s[2:3]
	s_cbranch_execz .LBB310_57
; %bb.56:
	s_movk_i32 s2, 0xff00
	s_movk_i32 s6, 0xff
	v_mov_b32_e32 v20, 23
	v_and_b32_sdwa v19, v2, s2 dst_sel:DWORD dst_unused:UNUSED_PAD src0_sel:WORD_1 src1_sel:DWORD
	v_lshlrev_b32_sdwa v21, v20, v18 dst_sel:DWORD dst_unused:UNUSED_PAD src0_sel:DWORD src1_sel:BYTE_0
	v_mov_b32_e32 v22, 0x7f800001
	v_cmp_ne_u16_sdwa s[2:3], v18, s6 src0_sel:BYTE_0 src1_sel:DWORD
	v_mov_b32_e32 v23, 0
	v_cndmask_b32_e64 v21, v22, v21, s[2:3]
	v_mov_b32_e32 v24, 0x400000
	v_cmp_ne_u16_sdwa s[2:3], v18, v23 src0_sel:BYTE_0 src1_sel:DWORD
	v_cndmask_b32_e64 v18, v24, v21, s[2:3]
	v_lshlrev_b32_sdwa v20, v20, v17 dst_sel:DWORD dst_unused:UNUSED_PAD src0_sel:DWORD src1_sel:BYTE_0
	v_cmp_ne_u16_sdwa s[2:3], v17, s6 src0_sel:BYTE_0 src1_sel:DWORD
	v_cndmask_b32_e64 v20, v22, v20, s[2:3]
	v_cmp_ne_u16_sdwa s[2:3], v17, v23 src0_sel:BYTE_0 src1_sel:DWORD
	v_cndmask_b32_e64 v17, v24, v20, s[2:3]
	v_cmp_eq_f32_e64 s[2:3], v18, v17
	v_cndmask_b32_e64 v20, 0, 1, s[2:3]
	v_cmp_neq_f32_e64 s[2:3], v18, v17
	v_cndmask_b32_e64 v17, 0, 1, s[2:3]
	v_cndmask_b32_e64 v17, v17, v20, s[0:1]
	v_and_b32_e32 v17, 1, v17
	v_or_b32_sdwa v17, v17, v19 dst_sel:WORD_1 dst_unused:UNUSED_PAD src0_sel:DWORD src1_sel:DWORD
	s_mov_b32 s2, 0xffff
	v_and_or_b32 v2, v2, s2, v17
.LBB310_57:
	s_or_b64 exec, exec, s[4:5]
	v_or_b32_e32 v17, 0xb00, v0
	v_cmp_gt_i32_e64 s[2:3], s40, v17
	s_and_saveexec_b64 s[4:5], s[2:3]
	s_cbranch_execz .LBB310_59
; %bb.58:
	s_movk_i32 s6, 0xff
	v_mov_b32_e32 v18, 23
	v_lshlrev_b32_sdwa v19, v18, v16 dst_sel:DWORD dst_unused:UNUSED_PAD src0_sel:DWORD src1_sel:BYTE_0
	v_mov_b32_e32 v20, 0x7f800001
	v_cmp_ne_u16_sdwa s[2:3], v16, s6 src0_sel:BYTE_0 src1_sel:DWORD
	v_mov_b32_e32 v21, 0
	v_cndmask_b32_e64 v19, v20, v19, s[2:3]
	v_mov_b32_e32 v22, 0x400000
	v_cmp_ne_u16_sdwa s[2:3], v16, v21 src0_sel:BYTE_0 src1_sel:DWORD
	v_cndmask_b32_e64 v16, v22, v19, s[2:3]
	v_lshlrev_b32_sdwa v18, v18, v15 dst_sel:DWORD dst_unused:UNUSED_PAD src0_sel:DWORD src1_sel:BYTE_0
	v_cmp_ne_u16_sdwa s[2:3], v15, s6 src0_sel:BYTE_0 src1_sel:DWORD
	v_cndmask_b32_e64 v18, v20, v18, s[2:3]
	v_cmp_ne_u16_sdwa s[2:3], v15, v21 src0_sel:BYTE_0 src1_sel:DWORD
	v_cndmask_b32_e64 v15, v22, v18, s[2:3]
	v_cmp_eq_f32_e64 s[2:3], v16, v15
	v_cndmask_b32_e64 v18, 0, 1, s[2:3]
	v_cmp_neq_f32_e64 s[2:3], v16, v15
	v_cndmask_b32_e64 v15, 0, 1, s[2:3]
	v_cndmask_b32_e64 v15, v15, v18, s[0:1]
	v_mov_b32_e32 v16, 1
	v_and_b32_sdwa v17, v2, s6 dst_sel:DWORD dst_unused:UNUSED_PAD src0_sel:WORD_1 src1_sel:DWORD
	v_and_b32_sdwa v15, v15, v16 dst_sel:BYTE_1 dst_unused:UNUSED_PAD src0_sel:DWORD src1_sel:DWORD
	v_or_b32_sdwa v15, v17, v15 dst_sel:WORD_1 dst_unused:UNUSED_PAD src0_sel:DWORD src1_sel:DWORD
	s_mov_b32 s2, 0xffff
	v_and_or_b32 v2, v2, s2, v15
.LBB310_59:
	s_or_b64 exec, exec, s[4:5]
	v_or_b32_e32 v15, 0xc00, v0
	v_cmp_gt_i32_e64 s[2:3], s40, v15
	s_and_saveexec_b64 s[4:5], s[2:3]
	s_cbranch_execz .LBB310_61
; %bb.60:
	s_movk_i32 s6, 0xff
	v_mov_b32_e32 v16, 23
	v_lshlrev_b32_sdwa v17, v16, v14 dst_sel:DWORD dst_unused:UNUSED_PAD src0_sel:DWORD src1_sel:BYTE_0
	v_mov_b32_e32 v18, 0x7f800001
	v_cmp_ne_u16_sdwa s[2:3], v14, s6 src0_sel:BYTE_0 src1_sel:DWORD
	v_mov_b32_e32 v19, 0
	v_cndmask_b32_e64 v17, v18, v17, s[2:3]
	v_mov_b32_e32 v20, 0x400000
	v_cmp_ne_u16_sdwa s[2:3], v14, v19 src0_sel:BYTE_0 src1_sel:DWORD
	v_cndmask_b32_e64 v14, v20, v17, s[2:3]
	v_lshlrev_b32_sdwa v16, v16, v13 dst_sel:DWORD dst_unused:UNUSED_PAD src0_sel:DWORD src1_sel:BYTE_0
	v_cmp_ne_u16_sdwa s[2:3], v13, s6 src0_sel:BYTE_0 src1_sel:DWORD
	v_cndmask_b32_e64 v16, v18, v16, s[2:3]
	v_cmp_ne_u16_sdwa s[2:3], v13, v19 src0_sel:BYTE_0 src1_sel:DWORD
	v_cndmask_b32_e64 v13, v20, v16, s[2:3]
	v_cmp_eq_f32_e64 s[2:3], v14, v13
	v_cndmask_b32_e64 v16, 0, 1, s[2:3]
	v_cmp_neq_f32_e64 s[2:3], v14, v13
	v_cndmask_b32_e64 v13, 0, 1, s[2:3]
	v_cndmask_b32_e64 v13, v13, v16, s[0:1]
	v_and_b32_e32 v15, 0xffffff00, v1
	v_and_b32_e32 v13, 1, v13
	v_or_b32_e32 v13, v13, v15
	v_and_b32_e32 v13, 0xffff, v13
	s_mov_b32 s2, 0xffff0000
	v_and_or_b32 v1, v1, s2, v13
.LBB310_61:
	s_or_b64 exec, exec, s[4:5]
	v_or_b32_e32 v13, 0xd00, v0
	v_cmp_gt_i32_e64 s[2:3], s40, v13
	s_and_saveexec_b64 s[4:5], s[2:3]
	s_cbranch_execz .LBB310_63
; %bb.62:
	s_movk_i32 s6, 0xff
	v_mov_b32_e32 v13, 23
	v_lshlrev_b32_sdwa v14, v13, v12 dst_sel:DWORD dst_unused:UNUSED_PAD src0_sel:DWORD src1_sel:BYTE_0
	v_mov_b32_e32 v15, 0x7f800001
	v_cmp_ne_u16_sdwa s[2:3], v12, s6 src0_sel:BYTE_0 src1_sel:DWORD
	v_mov_b32_e32 v16, 0
	v_cndmask_b32_e64 v14, v15, v14, s[2:3]
	v_mov_b32_e32 v17, 0x400000
	v_cmp_ne_u16_sdwa s[2:3], v12, v16 src0_sel:BYTE_0 src1_sel:DWORD
	v_cndmask_b32_e64 v12, v17, v14, s[2:3]
	v_lshlrev_b32_sdwa v13, v13, v11 dst_sel:DWORD dst_unused:UNUSED_PAD src0_sel:DWORD src1_sel:BYTE_0
	v_cmp_ne_u16_sdwa s[2:3], v11, s6 src0_sel:BYTE_0 src1_sel:DWORD
	v_cndmask_b32_e64 v13, v15, v13, s[2:3]
	v_cmp_ne_u16_sdwa s[2:3], v11, v16 src0_sel:BYTE_0 src1_sel:DWORD
	v_cndmask_b32_e64 v11, v17, v13, s[2:3]
	v_cmp_eq_f32_e64 s[2:3], v12, v11
	v_cndmask_b32_e64 v13, 0, 1, s[2:3]
	v_cmp_neq_f32_e64 s[2:3], v12, v11
	v_cndmask_b32_e64 v11, 0, 1, s[2:3]
	v_cndmask_b32_e64 v11, v11, v13, s[0:1]
	v_mov_b32_e32 v12, 1
	v_and_b32_sdwa v11, v11, v12 dst_sel:BYTE_1 dst_unused:UNUSED_PAD src0_sel:DWORD src1_sel:DWORD
	v_or_b32_sdwa v11, v1, v11 dst_sel:DWORD dst_unused:UNUSED_PAD src0_sel:BYTE_0 src1_sel:DWORD
	v_and_b32_e32 v11, 0xffff, v11
	s_mov_b32 s2, 0xffff0000
	v_and_or_b32 v1, v1, s2, v11
.LBB310_63:
	s_or_b64 exec, exec, s[4:5]
	v_or_b32_e32 v11, 0xe00, v0
	v_cmp_gt_i32_e64 s[2:3], s40, v11
	s_and_saveexec_b64 s[4:5], s[2:3]
	s_cbranch_execz .LBB310_65
; %bb.64:
	s_movk_i32 s2, 0xff00
	s_movk_i32 s6, 0xff
	v_mov_b32_e32 v12, 23
	v_and_b32_sdwa v11, v1, s2 dst_sel:DWORD dst_unused:UNUSED_PAD src0_sel:WORD_1 src1_sel:DWORD
	v_lshlrev_b32_sdwa v13, v12, v10 dst_sel:DWORD dst_unused:UNUSED_PAD src0_sel:DWORD src1_sel:BYTE_0
	v_mov_b32_e32 v14, 0x7f800001
	v_cmp_ne_u16_sdwa s[2:3], v10, s6 src0_sel:BYTE_0 src1_sel:DWORD
	v_mov_b32_e32 v15, 0
	v_cndmask_b32_e64 v13, v14, v13, s[2:3]
	v_mov_b32_e32 v16, 0x400000
	v_cmp_ne_u16_sdwa s[2:3], v10, v15 src0_sel:BYTE_0 src1_sel:DWORD
	v_cndmask_b32_e64 v10, v16, v13, s[2:3]
	v_lshlrev_b32_sdwa v12, v12, v8 dst_sel:DWORD dst_unused:UNUSED_PAD src0_sel:DWORD src1_sel:BYTE_0
	v_cmp_ne_u16_sdwa s[2:3], v8, s6 src0_sel:BYTE_0 src1_sel:DWORD
	v_cndmask_b32_e64 v12, v14, v12, s[2:3]
	v_cmp_ne_u16_sdwa s[2:3], v8, v15 src0_sel:BYTE_0 src1_sel:DWORD
	v_cndmask_b32_e64 v8, v16, v12, s[2:3]
	v_cmp_eq_f32_e64 s[2:3], v10, v8
	v_cndmask_b32_e64 v12, 0, 1, s[2:3]
	v_cmp_neq_f32_e64 s[2:3], v10, v8
	v_cndmask_b32_e64 v8, 0, 1, s[2:3]
	v_cndmask_b32_e64 v8, v8, v12, s[0:1]
	v_and_b32_e32 v8, 1, v8
	v_or_b32_sdwa v8, v8, v11 dst_sel:WORD_1 dst_unused:UNUSED_PAD src0_sel:DWORD src1_sel:DWORD
	s_mov_b32 s2, 0xffff
	v_and_or_b32 v1, v1, s2, v8
.LBB310_65:
	s_or_b64 exec, exec, s[4:5]
	v_or_b32_e32 v8, 0xf00, v0
	v_cmp_gt_i32_e64 s[2:3], s40, v8
	s_and_saveexec_b64 s[4:5], s[2:3]
	s_cbranch_execnz .LBB310_84
; %bb.66:
	s_or_b64 exec, exec, s[4:5]
	s_and_saveexec_b64 s[0:1], vcc
	s_xor_b64 s[0:1], exec, s[0:1]
	s_cbranch_execnz .LBB310_85
.LBB310_67:
	s_or_b64 exec, exec, s[0:1]
	v_cmp_gt_i32_e32 vcc, s40, v0
	s_and_saveexec_b64 s[0:1], vcc
	s_cbranch_execnz .LBB310_86
.LBB310_68:
	s_or_b64 exec, exec, s[0:1]
	v_cmp_gt_i32_e32 vcc, s40, v0
	s_and_saveexec_b64 s[0:1], vcc
	s_cbranch_execnz .LBB310_87
.LBB310_69:
	s_or_b64 exec, exec, s[0:1]
	v_cmp_gt_i32_e32 vcc, s40, v0
	s_and_saveexec_b64 s[0:1], vcc
	s_cbranch_execnz .LBB310_88
.LBB310_70:
	s_or_b64 exec, exec, s[0:1]
	v_cmp_gt_i32_e32 vcc, s40, v0
	s_and_saveexec_b64 s[0:1], vcc
	s_cbranch_execnz .LBB310_89
.LBB310_71:
	s_or_b64 exec, exec, s[0:1]
	v_cmp_gt_i32_e32 vcc, s40, v0
	s_and_saveexec_b64 s[0:1], vcc
	s_cbranch_execnz .LBB310_90
.LBB310_72:
	s_or_b64 exec, exec, s[0:1]
	v_cmp_gt_i32_e32 vcc, s40, v0
	s_and_saveexec_b64 s[0:1], vcc
	s_cbranch_execnz .LBB310_91
.LBB310_73:
	s_or_b64 exec, exec, s[0:1]
	v_cmp_gt_i32_e32 vcc, s40, v0
	s_and_saveexec_b64 s[0:1], vcc
	s_cbranch_execnz .LBB310_92
.LBB310_74:
	s_or_b64 exec, exec, s[0:1]
	v_cmp_gt_i32_e32 vcc, s40, v0
	s_and_saveexec_b64 s[0:1], vcc
	s_cbranch_execnz .LBB310_93
.LBB310_75:
	s_or_b64 exec, exec, s[0:1]
	v_cmp_gt_i32_e32 vcc, s40, v0
	s_and_saveexec_b64 s[0:1], vcc
	s_cbranch_execnz .LBB310_94
.LBB310_76:
	s_or_b64 exec, exec, s[0:1]
	v_cmp_gt_i32_e32 vcc, s40, v0
	s_and_saveexec_b64 s[0:1], vcc
	s_cbranch_execnz .LBB310_95
.LBB310_77:
	s_or_b64 exec, exec, s[0:1]
	v_cmp_gt_i32_e32 vcc, s40, v0
	s_and_saveexec_b64 s[0:1], vcc
	s_cbranch_execnz .LBB310_96
.LBB310_78:
	s_or_b64 exec, exec, s[0:1]
	v_cmp_gt_i32_e32 vcc, s40, v0
	s_and_saveexec_b64 s[0:1], vcc
	s_cbranch_execnz .LBB310_97
.LBB310_79:
	s_or_b64 exec, exec, s[0:1]
	v_cmp_gt_i32_e32 vcc, s40, v0
	s_and_saveexec_b64 s[0:1], vcc
	s_cbranch_execnz .LBB310_98
.LBB310_80:
	s_or_b64 exec, exec, s[0:1]
	v_cmp_gt_i32_e32 vcc, s40, v0
	s_and_saveexec_b64 s[0:1], vcc
	s_cbranch_execnz .LBB310_99
.LBB310_81:
	s_or_b64 exec, exec, s[0:1]
	v_cmp_gt_i32_e32 vcc, s40, v0
	s_and_saveexec_b64 s[0:1], vcc
	s_cbranch_execz .LBB310_83
.LBB310_82:
	v_lshrrev_b32_e32 v1, 24, v1
	v_add_u32_e32 v0, s33, v0
	global_store_byte v0, v1, s[8:9]
.LBB310_83:
	s_endpgm
.LBB310_84:
	s_movk_i32 s6, 0xff
	v_mov_b32_e32 v10, 23
	v_lshlrev_b32_sdwa v11, v10, v9 dst_sel:DWORD dst_unused:UNUSED_PAD src0_sel:DWORD src1_sel:BYTE_0
	v_mov_b32_e32 v12, 0x7f800001
	v_cmp_ne_u16_sdwa s[2:3], v9, s6 src0_sel:BYTE_0 src1_sel:DWORD
	v_mov_b32_e32 v13, 0
	v_cndmask_b32_e64 v11, v12, v11, s[2:3]
	v_mov_b32_e32 v14, 0x400000
	v_cmp_ne_u16_sdwa s[2:3], v9, v13 src0_sel:BYTE_0 src1_sel:DWORD
	v_cndmask_b32_e64 v9, v14, v11, s[2:3]
	v_lshlrev_b32_sdwa v10, v10, v7 dst_sel:DWORD dst_unused:UNUSED_PAD src0_sel:DWORD src1_sel:BYTE_0
	v_cmp_ne_u16_sdwa s[2:3], v7, s6 src0_sel:BYTE_0 src1_sel:DWORD
	v_cndmask_b32_e64 v10, v12, v10, s[2:3]
	v_cmp_ne_u16_sdwa s[2:3], v7, v13 src0_sel:BYTE_0 src1_sel:DWORD
	v_cndmask_b32_e64 v7, v14, v10, s[2:3]
	v_cmp_eq_f32_e64 s[2:3], v9, v7
	v_cndmask_b32_e64 v10, 0, 1, s[2:3]
	v_cmp_neq_f32_e64 s[2:3], v9, v7
	v_cndmask_b32_e64 v7, 0, 1, s[2:3]
	v_cndmask_b32_e64 v7, v7, v10, s[0:1]
	v_mov_b32_e32 v9, 1
	v_and_b32_sdwa v8, v1, s6 dst_sel:DWORD dst_unused:UNUSED_PAD src0_sel:WORD_1 src1_sel:DWORD
	v_and_b32_sdwa v7, v7, v9 dst_sel:BYTE_1 dst_unused:UNUSED_PAD src0_sel:DWORD src1_sel:DWORD
	v_or_b32_sdwa v7, v8, v7 dst_sel:WORD_1 dst_unused:UNUSED_PAD src0_sel:DWORD src1_sel:DWORD
	s_mov_b32 s0, 0xffff
	v_and_or_b32 v1, v1, s0, v7
	s_or_b64 exec, exec, s[4:5]
	s_and_saveexec_b64 s[0:1], vcc
	s_xor_b64 s[0:1], exec, s[0:1]
	s_cbranch_execz .LBB310_67
.LBB310_85:
	v_mov_b32_e32 v0, v4
	global_store_byte v6, v5, s[8:9]
	s_or_b64 exec, exec, s[0:1]
	v_cmp_gt_i32_e32 vcc, s40, v0
	s_and_saveexec_b64 s[0:1], vcc
	s_cbranch_execz .LBB310_68
.LBB310_86:
	v_lshrrev_b32_e32 v4, 8, v5
	v_add_u32_e32 v6, s33, v0
	v_add_u32_e32 v0, 0x100, v0
	global_store_byte v6, v4, s[8:9]
	s_or_b64 exec, exec, s[0:1]
	v_cmp_gt_i32_e32 vcc, s40, v0
	s_and_saveexec_b64 s[0:1], vcc
	s_cbranch_execz .LBB310_69
.LBB310_87:
	v_add_u32_e32 v4, s33, v0
	v_add_u32_e32 v0, 0x100, v0
	global_store_byte_d16_hi v4, v5, s[8:9]
	s_or_b64 exec, exec, s[0:1]
	v_cmp_gt_i32_e32 vcc, s40, v0
	s_and_saveexec_b64 s[0:1], vcc
	s_cbranch_execz .LBB310_70
.LBB310_88:
	v_lshrrev_b32_e32 v4, 24, v5
	v_add_u32_e32 v5, s33, v0
	v_add_u32_e32 v0, 0x100, v0
	global_store_byte v5, v4, s[8:9]
	s_or_b64 exec, exec, s[0:1]
	v_cmp_gt_i32_e32 vcc, s40, v0
	s_and_saveexec_b64 s[0:1], vcc
	s_cbranch_execz .LBB310_71
.LBB310_89:
	v_add_u32_e32 v4, s33, v0
	v_add_u32_e32 v0, 0x100, v0
	global_store_byte v4, v3, s[8:9]
	s_or_b64 exec, exec, s[0:1]
	v_cmp_gt_i32_e32 vcc, s40, v0
	s_and_saveexec_b64 s[0:1], vcc
	s_cbranch_execz .LBB310_72
.LBB310_90:
	v_lshrrev_b32_e32 v4, 8, v3
	v_add_u32_e32 v5, s33, v0
	v_add_u32_e32 v0, 0x100, v0
	global_store_byte v5, v4, s[8:9]
	s_or_b64 exec, exec, s[0:1]
	v_cmp_gt_i32_e32 vcc, s40, v0
	s_and_saveexec_b64 s[0:1], vcc
	s_cbranch_execz .LBB310_73
.LBB310_91:
	v_add_u32_e32 v4, s33, v0
	v_add_u32_e32 v0, 0x100, v0
	global_store_byte_d16_hi v4, v3, s[8:9]
	s_or_b64 exec, exec, s[0:1]
	v_cmp_gt_i32_e32 vcc, s40, v0
	s_and_saveexec_b64 s[0:1], vcc
	s_cbranch_execz .LBB310_74
.LBB310_92:
	v_lshrrev_b32_e32 v3, 24, v3
	v_add_u32_e32 v4, s33, v0
	v_add_u32_e32 v0, 0x100, v0
	global_store_byte v4, v3, s[8:9]
	s_or_b64 exec, exec, s[0:1]
	v_cmp_gt_i32_e32 vcc, s40, v0
	s_and_saveexec_b64 s[0:1], vcc
	s_cbranch_execz .LBB310_75
.LBB310_93:
	v_add_u32_e32 v3, s33, v0
	v_add_u32_e32 v0, 0x100, v0
	global_store_byte v3, v2, s[8:9]
	s_or_b64 exec, exec, s[0:1]
	v_cmp_gt_i32_e32 vcc, s40, v0
	s_and_saveexec_b64 s[0:1], vcc
	s_cbranch_execz .LBB310_76
.LBB310_94:
	v_lshrrev_b32_e32 v3, 8, v2
	v_add_u32_e32 v4, s33, v0
	v_add_u32_e32 v0, 0x100, v0
	global_store_byte v4, v3, s[8:9]
	s_or_b64 exec, exec, s[0:1]
	v_cmp_gt_i32_e32 vcc, s40, v0
	s_and_saveexec_b64 s[0:1], vcc
	s_cbranch_execz .LBB310_77
.LBB310_95:
	v_add_u32_e32 v3, s33, v0
	v_add_u32_e32 v0, 0x100, v0
	global_store_byte_d16_hi v3, v2, s[8:9]
	s_or_b64 exec, exec, s[0:1]
	v_cmp_gt_i32_e32 vcc, s40, v0
	s_and_saveexec_b64 s[0:1], vcc
	s_cbranch_execz .LBB310_78
.LBB310_96:
	v_lshrrev_b32_e32 v2, 24, v2
	v_add_u32_e32 v3, s33, v0
	v_add_u32_e32 v0, 0x100, v0
	global_store_byte v3, v2, s[8:9]
	s_or_b64 exec, exec, s[0:1]
	v_cmp_gt_i32_e32 vcc, s40, v0
	s_and_saveexec_b64 s[0:1], vcc
	s_cbranch_execz .LBB310_79
.LBB310_97:
	v_add_u32_e32 v2, s33, v0
	v_add_u32_e32 v0, 0x100, v0
	global_store_byte v2, v1, s[8:9]
	s_or_b64 exec, exec, s[0:1]
	v_cmp_gt_i32_e32 vcc, s40, v0
	s_and_saveexec_b64 s[0:1], vcc
	s_cbranch_execz .LBB310_80
.LBB310_98:
	v_lshrrev_b32_e32 v2, 8, v1
	v_add_u32_e32 v3, s33, v0
	v_add_u32_e32 v0, 0x100, v0
	global_store_byte v3, v2, s[8:9]
	s_or_b64 exec, exec, s[0:1]
	v_cmp_gt_i32_e32 vcc, s40, v0
	s_and_saveexec_b64 s[0:1], vcc
	s_cbranch_execz .LBB310_81
.LBB310_99:
	v_add_u32_e32 v2, s33, v0
	v_add_u32_e32 v0, 0x100, v0
	global_store_byte_d16_hi v2, v1, s[8:9]
	s_or_b64 exec, exec, s[0:1]
	v_cmp_gt_i32_e32 vcc, s40, v0
	s_and_saveexec_b64 s[0:1], vcc
	s_cbranch_execnz .LBB310_82
	s_branch .LBB310_83
	.section	.rodata,"a",@progbits
	.p2align	6, 0x0
	.amdhsa_kernel _ZN2at6native29vectorized_elementwise_kernelILi8ENS0_13BinaryFunctorIN3c1014Float8_e8m0fnuES4_bNS0_12_GLOBAL__N_116CompareEqFunctorIS4_EEEESt5arrayIPcLm3EEEEviT0_T1_
		.amdhsa_group_segment_fixed_size 0
		.amdhsa_private_segment_fixed_size 0
		.amdhsa_kernarg_size 32
		.amdhsa_user_sgpr_count 6
		.amdhsa_user_sgpr_private_segment_buffer 1
		.amdhsa_user_sgpr_dispatch_ptr 0
		.amdhsa_user_sgpr_queue_ptr 0
		.amdhsa_user_sgpr_kernarg_segment_ptr 1
		.amdhsa_user_sgpr_dispatch_id 0
		.amdhsa_user_sgpr_flat_scratch_init 0
		.amdhsa_user_sgpr_private_segment_size 0
		.amdhsa_uses_dynamic_stack 0
		.amdhsa_system_sgpr_private_segment_wavefront_offset 0
		.amdhsa_system_sgpr_workgroup_id_x 1
		.amdhsa_system_sgpr_workgroup_id_y 0
		.amdhsa_system_sgpr_workgroup_id_z 0
		.amdhsa_system_sgpr_workgroup_info 0
		.amdhsa_system_vgpr_workitem_id 0
		.amdhsa_next_free_vgpr 42
		.amdhsa_next_free_sgpr 41
		.amdhsa_reserve_vcc 1
		.amdhsa_reserve_flat_scratch 0
		.amdhsa_float_round_mode_32 0
		.amdhsa_float_round_mode_16_64 0
		.amdhsa_float_denorm_mode_32 3
		.amdhsa_float_denorm_mode_16_64 3
		.amdhsa_dx10_clamp 1
		.amdhsa_ieee_mode 1
		.amdhsa_fp16_overflow 0
		.amdhsa_exception_fp_ieee_invalid_op 0
		.amdhsa_exception_fp_denorm_src 0
		.amdhsa_exception_fp_ieee_div_zero 0
		.amdhsa_exception_fp_ieee_overflow 0
		.amdhsa_exception_fp_ieee_underflow 0
		.amdhsa_exception_fp_ieee_inexact 0
		.amdhsa_exception_int_div_zero 0
	.end_amdhsa_kernel
	.section	.text._ZN2at6native29vectorized_elementwise_kernelILi8ENS0_13BinaryFunctorIN3c1014Float8_e8m0fnuES4_bNS0_12_GLOBAL__N_116CompareEqFunctorIS4_EEEESt5arrayIPcLm3EEEEviT0_T1_,"axG",@progbits,_ZN2at6native29vectorized_elementwise_kernelILi8ENS0_13BinaryFunctorIN3c1014Float8_e8m0fnuES4_bNS0_12_GLOBAL__N_116CompareEqFunctorIS4_EEEESt5arrayIPcLm3EEEEviT0_T1_,comdat
.Lfunc_end310:
	.size	_ZN2at6native29vectorized_elementwise_kernelILi8ENS0_13BinaryFunctorIN3c1014Float8_e8m0fnuES4_bNS0_12_GLOBAL__N_116CompareEqFunctorIS4_EEEESt5arrayIPcLm3EEEEviT0_T1_, .Lfunc_end310-_ZN2at6native29vectorized_elementwise_kernelILi8ENS0_13BinaryFunctorIN3c1014Float8_e8m0fnuES4_bNS0_12_GLOBAL__N_116CompareEqFunctorIS4_EEEESt5arrayIPcLm3EEEEviT0_T1_
                                        ; -- End function
	.set _ZN2at6native29vectorized_elementwise_kernelILi8ENS0_13BinaryFunctorIN3c1014Float8_e8m0fnuES4_bNS0_12_GLOBAL__N_116CompareEqFunctorIS4_EEEESt5arrayIPcLm3EEEEviT0_T1_.num_vgpr, 42
	.set _ZN2at6native29vectorized_elementwise_kernelILi8ENS0_13BinaryFunctorIN3c1014Float8_e8m0fnuES4_bNS0_12_GLOBAL__N_116CompareEqFunctorIS4_EEEESt5arrayIPcLm3EEEEviT0_T1_.num_agpr, 0
	.set _ZN2at6native29vectorized_elementwise_kernelILi8ENS0_13BinaryFunctorIN3c1014Float8_e8m0fnuES4_bNS0_12_GLOBAL__N_116CompareEqFunctorIS4_EEEESt5arrayIPcLm3EEEEviT0_T1_.numbered_sgpr, 41
	.set _ZN2at6native29vectorized_elementwise_kernelILi8ENS0_13BinaryFunctorIN3c1014Float8_e8m0fnuES4_bNS0_12_GLOBAL__N_116CompareEqFunctorIS4_EEEESt5arrayIPcLm3EEEEviT0_T1_.num_named_barrier, 0
	.set _ZN2at6native29vectorized_elementwise_kernelILi8ENS0_13BinaryFunctorIN3c1014Float8_e8m0fnuES4_bNS0_12_GLOBAL__N_116CompareEqFunctorIS4_EEEESt5arrayIPcLm3EEEEviT0_T1_.private_seg_size, 0
	.set _ZN2at6native29vectorized_elementwise_kernelILi8ENS0_13BinaryFunctorIN3c1014Float8_e8m0fnuES4_bNS0_12_GLOBAL__N_116CompareEqFunctorIS4_EEEESt5arrayIPcLm3EEEEviT0_T1_.uses_vcc, 1
	.set _ZN2at6native29vectorized_elementwise_kernelILi8ENS0_13BinaryFunctorIN3c1014Float8_e8m0fnuES4_bNS0_12_GLOBAL__N_116CompareEqFunctorIS4_EEEESt5arrayIPcLm3EEEEviT0_T1_.uses_flat_scratch, 0
	.set _ZN2at6native29vectorized_elementwise_kernelILi8ENS0_13BinaryFunctorIN3c1014Float8_e8m0fnuES4_bNS0_12_GLOBAL__N_116CompareEqFunctorIS4_EEEESt5arrayIPcLm3EEEEviT0_T1_.has_dyn_sized_stack, 0
	.set _ZN2at6native29vectorized_elementwise_kernelILi8ENS0_13BinaryFunctorIN3c1014Float8_e8m0fnuES4_bNS0_12_GLOBAL__N_116CompareEqFunctorIS4_EEEESt5arrayIPcLm3EEEEviT0_T1_.has_recursion, 0
	.set _ZN2at6native29vectorized_elementwise_kernelILi8ENS0_13BinaryFunctorIN3c1014Float8_e8m0fnuES4_bNS0_12_GLOBAL__N_116CompareEqFunctorIS4_EEEESt5arrayIPcLm3EEEEviT0_T1_.has_indirect_call, 0
	.section	.AMDGPU.csdata,"",@progbits
; Kernel info:
; codeLenInByte = 8504
; TotalNumSgprs: 45
; NumVgprs: 42
; ScratchSize: 0
; MemoryBound: 0
; FloatMode: 240
; IeeeMode: 1
; LDSByteSize: 0 bytes/workgroup (compile time only)
; SGPRBlocks: 5
; VGPRBlocks: 10
; NumSGPRsForWavesPerEU: 45
; NumVGPRsForWavesPerEU: 42
; Occupancy: 5
; WaveLimiterHint : 1
; COMPUTE_PGM_RSRC2:SCRATCH_EN: 0
; COMPUTE_PGM_RSRC2:USER_SGPR: 6
; COMPUTE_PGM_RSRC2:TRAP_HANDLER: 0
; COMPUTE_PGM_RSRC2:TGID_X_EN: 1
; COMPUTE_PGM_RSRC2:TGID_Y_EN: 0
; COMPUTE_PGM_RSRC2:TGID_Z_EN: 0
; COMPUTE_PGM_RSRC2:TIDIG_COMP_CNT: 0
	.section	.text._ZN2at6native29vectorized_elementwise_kernelILi4ENS0_13BinaryFunctorIN3c1014Float8_e8m0fnuES4_bNS0_12_GLOBAL__N_116CompareEqFunctorIS4_EEEESt5arrayIPcLm3EEEEviT0_T1_,"axG",@progbits,_ZN2at6native29vectorized_elementwise_kernelILi4ENS0_13BinaryFunctorIN3c1014Float8_e8m0fnuES4_bNS0_12_GLOBAL__N_116CompareEqFunctorIS4_EEEESt5arrayIPcLm3EEEEviT0_T1_,comdat
	.globl	_ZN2at6native29vectorized_elementwise_kernelILi4ENS0_13BinaryFunctorIN3c1014Float8_e8m0fnuES4_bNS0_12_GLOBAL__N_116CompareEqFunctorIS4_EEEESt5arrayIPcLm3EEEEviT0_T1_ ; -- Begin function _ZN2at6native29vectorized_elementwise_kernelILi4ENS0_13BinaryFunctorIN3c1014Float8_e8m0fnuES4_bNS0_12_GLOBAL__N_116CompareEqFunctorIS4_EEEESt5arrayIPcLm3EEEEviT0_T1_
	.p2align	8
	.type	_ZN2at6native29vectorized_elementwise_kernelILi4ENS0_13BinaryFunctorIN3c1014Float8_e8m0fnuES4_bNS0_12_GLOBAL__N_116CompareEqFunctorIS4_EEEESt5arrayIPcLm3EEEEviT0_T1_,@function
_ZN2at6native29vectorized_elementwise_kernelILi4ENS0_13BinaryFunctorIN3c1014Float8_e8m0fnuES4_bNS0_12_GLOBAL__N_116CompareEqFunctorIS4_EEEESt5arrayIPcLm3EEEEviT0_T1_: ; @_ZN2at6native29vectorized_elementwise_kernelILi4ENS0_13BinaryFunctorIN3c1014Float8_e8m0fnuES4_bNS0_12_GLOBAL__N_116CompareEqFunctorIS4_EEEESt5arrayIPcLm3EEEEviT0_T1_
; %bb.0:
	s_load_dwordx2 s[2:3], s[4:5], 0x0
	s_load_dwordx4 s[8:11], s[4:5], 0x8
	s_load_dwordx2 s[14:15], s[4:5], 0x18
	s_lshl_b32 s33, s6, 12
	s_mov_b64 s[0:1], -1
	s_waitcnt lgkmcnt(0)
	s_sub_i32 s40, s2, s33
	s_cmpk_gt_i32 s40, 0xfff
	s_cbranch_scc0 .LBB311_2
; %bb.1:
	s_ashr_i32 s2, s33, 31
	s_add_u32 s0, s10, s33
	s_addc_u32 s1, s11, s2
	v_lshlrev_b32_e32 v1, 2, v0
	global_load_dword v2, v1, s[0:1]
	global_load_dword v3, v1, s[0:1] offset:1024
	global_load_dword v4, v1, s[0:1] offset:2048
	global_load_dword v5, v1, s[0:1] offset:3072
	s_add_u32 s0, s14, s33
	s_addc_u32 s1, s15, s2
	global_load_dword v6, v1, s[0:1]
	global_load_dword v7, v1, s[0:1] offset:1024
	global_load_dword v8, v1, s[0:1] offset:2048
	;; [unrolled: 1-line block ×3, first 2 shown]
	s_movk_i32 s4, 0xff
	v_mov_b32_e32 v10, 0x7f800001
	v_mov_b32_e32 v11, 0
	;; [unrolled: 1-line block ×3, first 2 shown]
	s_cmp_eq_u32 s3, 0
	v_mov_b32_e32 v14, 23
	s_mov_b32 s5, 0xffffff
	v_mov_b32_e32 v13, 1
	s_waitcnt vmcnt(7)
	v_lshlrev_b32_e32 v23, 23, v2
	v_lshrrev_b32_e32 v15, 8, v2
	v_lshlrev_b32_e32 v24, 15, v2
	v_and_b32_e32 v23, 0x7f800000, v23
	v_cmp_ne_u16_sdwa vcc, v2, s4 src0_sel:BYTE_0 src1_sel:DWORD
	v_and_b32_sdwa v16, v2, s4 dst_sel:DWORD dst_unused:UNUSED_PAD src0_sel:WORD_1 src1_sel:DWORD
	v_lshlrev_b32_e32 v25, 7, v2
	v_and_b32_e32 v24, 0x7f800000, v24
	v_cndmask_b32_e32 v23, v10, v23, vcc
	v_cmp_ne_u16_sdwa vcc, v15, s4 src0_sel:BYTE_0 src1_sel:DWORD
	v_and_b32_e32 v25, 0x7f800000, v25
	v_cndmask_b32_e32 v24, v10, v24, vcc
	v_cmp_ne_u16_e32 vcc, s4, v16
	v_cndmask_b32_e32 v25, v10, v25, vcc
	v_cmp_ne_u16_sdwa vcc, v2, v11 src0_sel:BYTE_0 src1_sel:DWORD
	v_cndmask_b32_e32 v23, v12, v23, vcc
	v_cmp_ne_u16_sdwa vcc, v15, v11 src0_sel:BYTE_0 src1_sel:DWORD
	s_waitcnt vmcnt(3)
	v_lshlrev_b32_e32 v34, 23, v6
	v_cndmask_b32_e32 v15, v12, v24, vcc
	v_cmp_ne_u16_e32 vcc, 0, v16
	v_lshrrev_b32_e32 v26, 8, v6
	v_lshlrev_b32_e32 v35, 15, v6
	v_and_b32_e32 v34, 0x7f800000, v34
	v_cndmask_b32_e32 v16, v12, v25, vcc
	v_cmp_ne_u16_sdwa vcc, v6, s4 src0_sel:BYTE_0 src1_sel:DWORD
	v_and_b32_sdwa v27, v6, s4 dst_sel:DWORD dst_unused:UNUSED_PAD src0_sel:WORD_1 src1_sel:DWORD
	v_lshlrev_b32_e32 v36, 7, v6
	v_and_b32_e32 v24, 0x7f800000, v35
	v_cndmask_b32_e32 v34, v10, v34, vcc
	v_cmp_ne_u16_sdwa vcc, v26, s4 src0_sel:BYTE_0 src1_sel:DWORD
	v_and_b32_e32 v25, 0x7f800000, v36
	v_cndmask_b32_e32 v24, v10, v24, vcc
	v_cmp_ne_u16_e32 vcc, s4, v27
	v_cndmask_b32_e32 v25, v10, v25, vcc
	v_cmp_ne_u16_sdwa vcc, v6, v11 src0_sel:BYTE_0 src1_sel:DWORD
	v_cndmask_b32_e32 v34, v12, v34, vcc
	v_cmp_ne_u16_sdwa vcc, v26, v11 src0_sel:BYTE_0 src1_sel:DWORD
	v_cndmask_b32_e32 v24, v12, v24, vcc
	v_cmp_ne_u16_e32 vcc, 0, v27
	v_cndmask_b32_e32 v25, v12, v25, vcc
	v_cmp_eq_f32_e32 vcc, v23, v34
	v_cndmask_b32_e64 v26, 0, 1, vcc
	v_cmp_neq_f32_e32 vcc, v23, v34
	v_cndmask_b32_e64 v23, 0, 1, vcc
	v_cmp_eq_f32_e32 vcc, v15, v24
	v_cndmask_b32_e64 v27, 0, 1, vcc
	v_cmp_neq_f32_e32 vcc, v15, v24
	v_cndmask_b32_e64 v15, 0, 1, vcc
	;; [unrolled: 4-line block ×3, first 2 shown]
	s_cselect_b64 vcc, -1, 0
	v_cndmask_b32_e32 v16, v16, v24, vcc
	v_lshlrev_b32_sdwa v24, v14, v2 dst_sel:DWORD dst_unused:UNUSED_PAD src0_sel:DWORD src1_sel:BYTE_3
	v_cmp_ne_u32_sdwa s[0:1], v2, s4 src0_sel:BYTE_3 src1_sel:DWORD
	v_cndmask_b32_e64 v24, v10, v24, s[0:1]
	v_cmp_lt_u32_e64 s[0:1], s5, v2
	v_cndmask_b32_e64 v2, v12, v24, s[0:1]
	v_lshlrev_b32_sdwa v24, v14, v6 dst_sel:DWORD dst_unused:UNUSED_PAD src0_sel:DWORD src1_sel:BYTE_3
	v_cmp_ne_u32_sdwa s[0:1], v6, s4 src0_sel:BYTE_3 src1_sel:DWORD
	v_cndmask_b32_e64 v24, v10, v24, s[0:1]
	v_cmp_lt_u32_e64 s[0:1], s5, v6
	v_cndmask_b32_e64 v6, v12, v24, s[0:1]
	v_cmp_eq_f32_e64 s[0:1], v2, v6
	v_cndmask_b32_e64 v24, 0, 1, s[0:1]
	v_cmp_neq_f32_e64 s[0:1], v2, v6
	v_lshlrev_b32_e32 v6, 23, v3
	v_cndmask_b32_e64 v2, 0, 1, s[0:1]
	v_and_b32_e32 v6, 0x7f800000, v6
	v_cmp_ne_u16_sdwa s[0:1], v3, s4 src0_sel:BYTE_0 src1_sel:DWORD
	v_cndmask_b32_e32 v2, v2, v24, vcc
	v_cndmask_b32_e64 v6, v10, v6, s[0:1]
	v_cmp_ne_u16_sdwa s[0:1], v3, v11 src0_sel:BYTE_0 src1_sel:DWORD
	s_waitcnt vmcnt(2)
	v_lshlrev_b32_e32 v24, 23, v7
	v_cndmask_b32_e64 v6, v12, v6, s[0:1]
	v_and_b32_e32 v24, 0x7f800000, v24
	v_cmp_ne_u16_sdwa s[0:1], v7, s4 src0_sel:BYTE_0 src1_sel:DWORD
	v_cndmask_b32_e64 v24, v10, v24, s[0:1]
	v_cmp_ne_u16_sdwa s[0:1], v7, v11 src0_sel:BYTE_0 src1_sel:DWORD
	v_cndmask_b32_e64 v24, v12, v24, s[0:1]
	v_cmp_eq_f32_e64 s[0:1], v6, v24
	v_lshrrev_b32_e32 v17, 8, v3
	v_cndmask_b32_e64 v25, 0, 1, s[0:1]
	v_cmp_neq_f32_e64 s[0:1], v6, v24
	v_lshlrev_b32_e32 v24, 15, v3
	v_cndmask_b32_e64 v6, 0, 1, s[0:1]
	v_and_b32_e32 v24, 0x7f800000, v24
	v_cmp_ne_u16_sdwa s[0:1], v17, s4 src0_sel:BYTE_0 src1_sel:DWORD
	v_cndmask_b32_e64 v24, v10, v24, s[0:1]
	v_cmp_ne_u16_sdwa s[0:1], v17, v11 src0_sel:BYTE_0 src1_sel:DWORD
	v_lshrrev_b32_e32 v28, 8, v7
	v_cndmask_b32_e64 v17, v12, v24, s[0:1]
	v_lshlrev_b32_e32 v24, 15, v7
	v_and_b32_e32 v24, 0x7f800000, v24
	v_cmp_ne_u16_sdwa s[0:1], v28, s4 src0_sel:BYTE_0 src1_sel:DWORD
	v_cndmask_b32_e64 v24, v10, v24, s[0:1]
	v_cmp_ne_u16_sdwa s[0:1], v28, v11 src0_sel:BYTE_0 src1_sel:DWORD
	v_cndmask_b32_e64 v24, v12, v24, s[0:1]
	v_cmp_eq_f32_e64 s[0:1], v17, v24
	v_and_b32_sdwa v18, v3, s4 dst_sel:DWORD dst_unused:UNUSED_PAD src0_sel:WORD_1 src1_sel:DWORD
	v_cndmask_b32_e32 v6, v6, v25, vcc
	v_cndmask_b32_e64 v25, 0, 1, s[0:1]
	v_cmp_neq_f32_e64 s[0:1], v17, v24
	v_lshlrev_b32_e32 v24, 7, v3
	v_cndmask_b32_e64 v17, 0, 1, s[0:1]
	v_and_b32_e32 v24, 0x7f800000, v24
	v_cmp_ne_u16_e64 s[0:1], s4, v18
	v_cndmask_b32_e64 v24, v10, v24, s[0:1]
	v_cmp_ne_u16_e64 s[0:1], 0, v18
	v_and_b32_sdwa v29, v7, s4 dst_sel:DWORD dst_unused:UNUSED_PAD src0_sel:WORD_1 src1_sel:DWORD
	v_cndmask_b32_e64 v18, v12, v24, s[0:1]
	v_lshlrev_b32_e32 v24, 7, v7
	v_and_b32_e32 v24, 0x7f800000, v24
	v_cmp_ne_u16_e64 s[0:1], s4, v29
	v_cndmask_b32_e64 v24, v10, v24, s[0:1]
	v_cmp_ne_u16_e64 s[0:1], 0, v29
	v_cndmask_b32_e64 v24, v12, v24, s[0:1]
	v_cmp_eq_f32_e64 s[0:1], v18, v24
	v_cndmask_b32_e32 v17, v17, v25, vcc
	v_cndmask_b32_e64 v25, 0, 1, s[0:1]
	v_cmp_neq_f32_e64 s[0:1], v18, v24
	v_cndmask_b32_e64 v18, 0, 1, s[0:1]
	v_lshlrev_b32_sdwa v24, v14, v3 dst_sel:DWORD dst_unused:UNUSED_PAD src0_sel:DWORD src1_sel:BYTE_3
	v_cmp_ne_u32_sdwa s[0:1], v3, s4 src0_sel:BYTE_3 src1_sel:DWORD
	v_cndmask_b32_e64 v24, v10, v24, s[0:1]
	v_cmp_lt_u32_e64 s[0:1], s5, v3
	v_cndmask_b32_e64 v3, v12, v24, s[0:1]
	v_lshlrev_b32_sdwa v24, v14, v7 dst_sel:DWORD dst_unused:UNUSED_PAD src0_sel:DWORD src1_sel:BYTE_3
	v_cmp_ne_u32_sdwa s[0:1], v7, s4 src0_sel:BYTE_3 src1_sel:DWORD
	v_cndmask_b32_e64 v24, v10, v24, s[0:1]
	v_cmp_lt_u32_e64 s[0:1], s5, v7
	v_cndmask_b32_e64 v7, v12, v24, s[0:1]
	v_cmp_eq_f32_e64 s[0:1], v3, v7
	v_cndmask_b32_e64 v24, 0, 1, s[0:1]
	v_cmp_neq_f32_e64 s[0:1], v3, v7
	v_lshlrev_b32_e32 v7, 23, v4
	v_cndmask_b32_e64 v3, 0, 1, s[0:1]
	v_and_b32_e32 v7, 0x7f800000, v7
	v_cmp_ne_u16_sdwa s[0:1], v4, s4 src0_sel:BYTE_0 src1_sel:DWORD
	v_cndmask_b32_e32 v3, v3, v24, vcc
	v_cndmask_b32_e64 v7, v10, v7, s[0:1]
	v_cmp_ne_u16_sdwa s[0:1], v4, v11 src0_sel:BYTE_0 src1_sel:DWORD
	s_waitcnt vmcnt(1)
	v_lshlrev_b32_e32 v24, 23, v8
	v_cndmask_b32_e64 v7, v12, v7, s[0:1]
	v_and_b32_e32 v24, 0x7f800000, v24
	v_cmp_ne_u16_sdwa s[0:1], v8, s4 src0_sel:BYTE_0 src1_sel:DWORD
	v_cndmask_b32_e64 v24, v10, v24, s[0:1]
	v_cmp_ne_u16_sdwa s[0:1], v8, v11 src0_sel:BYTE_0 src1_sel:DWORD
	v_cndmask_b32_e64 v24, v12, v24, s[0:1]
	v_cmp_eq_f32_e64 s[0:1], v7, v24
	v_lshrrev_b32_e32 v19, 8, v4
	v_cndmask_b32_e32 v18, v18, v25, vcc
	v_cndmask_b32_e64 v25, 0, 1, s[0:1]
	v_cmp_neq_f32_e64 s[0:1], v7, v24
	v_lshlrev_b32_e32 v24, 15, v4
	v_cndmask_b32_e64 v7, 0, 1, s[0:1]
	v_and_b32_e32 v24, 0x7f800000, v24
	v_cmp_ne_u16_sdwa s[0:1], v19, s4 src0_sel:BYTE_0 src1_sel:DWORD
	v_cndmask_b32_e64 v24, v10, v24, s[0:1]
	v_cmp_ne_u16_sdwa s[0:1], v19, v11 src0_sel:BYTE_0 src1_sel:DWORD
	v_lshrrev_b32_e32 v30, 8, v8
	v_cndmask_b32_e64 v19, v12, v24, s[0:1]
	v_lshlrev_b32_e32 v24, 15, v8
	v_and_b32_e32 v24, 0x7f800000, v24
	v_cmp_ne_u16_sdwa s[0:1], v30, s4 src0_sel:BYTE_0 src1_sel:DWORD
	v_cndmask_b32_e64 v24, v10, v24, s[0:1]
	v_cmp_ne_u16_sdwa s[0:1], v30, v11 src0_sel:BYTE_0 src1_sel:DWORD
	v_cndmask_b32_e64 v24, v12, v24, s[0:1]
	v_cmp_eq_f32_e64 s[0:1], v19, v24
	v_and_b32_sdwa v20, v4, s4 dst_sel:DWORD dst_unused:UNUSED_PAD src0_sel:WORD_1 src1_sel:DWORD
	v_cndmask_b32_e32 v7, v7, v25, vcc
	v_cndmask_b32_e64 v25, 0, 1, s[0:1]
	v_cmp_neq_f32_e64 s[0:1], v19, v24
	v_lshlrev_b32_e32 v24, 7, v4
	v_cndmask_b32_e64 v19, 0, 1, s[0:1]
	v_and_b32_e32 v24, 0x7f800000, v24
	v_cmp_ne_u16_e64 s[0:1], s4, v20
	v_cndmask_b32_e64 v24, v10, v24, s[0:1]
	v_cmp_ne_u16_e64 s[0:1], 0, v20
	v_and_b32_sdwa v31, v8, s4 dst_sel:DWORD dst_unused:UNUSED_PAD src0_sel:WORD_1 src1_sel:DWORD
	v_cndmask_b32_e64 v20, v12, v24, s[0:1]
	v_lshlrev_b32_e32 v24, 7, v8
	v_and_b32_e32 v24, 0x7f800000, v24
	v_cmp_ne_u16_e64 s[0:1], s4, v31
	v_cndmask_b32_e64 v24, v10, v24, s[0:1]
	v_cmp_ne_u16_e64 s[0:1], 0, v31
	v_cndmask_b32_e64 v24, v12, v24, s[0:1]
	v_cmp_eq_f32_e64 s[0:1], v20, v24
	v_cndmask_b32_e32 v19, v19, v25, vcc
	v_cndmask_b32_e64 v25, 0, 1, s[0:1]
	v_cmp_neq_f32_e64 s[0:1], v20, v24
	v_cndmask_b32_e64 v20, 0, 1, s[0:1]
	v_lshlrev_b32_sdwa v24, v14, v4 dst_sel:DWORD dst_unused:UNUSED_PAD src0_sel:DWORD src1_sel:BYTE_3
	v_cmp_ne_u32_sdwa s[0:1], v4, s4 src0_sel:BYTE_3 src1_sel:DWORD
	v_cndmask_b32_e64 v24, v10, v24, s[0:1]
	v_cmp_lt_u32_e64 s[0:1], s5, v4
	v_cndmask_b32_e64 v4, v12, v24, s[0:1]
	v_lshlrev_b32_sdwa v24, v14, v8 dst_sel:DWORD dst_unused:UNUSED_PAD src0_sel:DWORD src1_sel:BYTE_3
	v_cmp_ne_u32_sdwa s[0:1], v8, s4 src0_sel:BYTE_3 src1_sel:DWORD
	v_cndmask_b32_e64 v24, v10, v24, s[0:1]
	v_cmp_lt_u32_e64 s[0:1], s5, v8
	v_cndmask_b32_e64 v8, v12, v24, s[0:1]
	v_cmp_eq_f32_e64 s[0:1], v4, v8
	v_cndmask_b32_e64 v24, 0, 1, s[0:1]
	v_cmp_neq_f32_e64 s[0:1], v4, v8
	v_lshlrev_b32_e32 v8, 23, v5
	v_cndmask_b32_e64 v4, 0, 1, s[0:1]
	v_and_b32_e32 v8, 0x7f800000, v8
	v_cmp_ne_u16_sdwa s[0:1], v5, s4 src0_sel:BYTE_0 src1_sel:DWORD
	v_cndmask_b32_e32 v4, v4, v24, vcc
	v_cndmask_b32_e64 v8, v10, v8, s[0:1]
	v_cmp_ne_u16_sdwa s[0:1], v5, v11 src0_sel:BYTE_0 src1_sel:DWORD
	s_waitcnt vmcnt(0)
	v_lshlrev_b32_e32 v24, 23, v9
	v_cndmask_b32_e64 v8, v12, v8, s[0:1]
	v_and_b32_e32 v24, 0x7f800000, v24
	v_cmp_ne_u16_sdwa s[0:1], v9, s4 src0_sel:BYTE_0 src1_sel:DWORD
	v_cndmask_b32_e64 v24, v10, v24, s[0:1]
	v_cmp_ne_u16_sdwa s[0:1], v9, v11 src0_sel:BYTE_0 src1_sel:DWORD
	v_cndmask_b32_e64 v24, v12, v24, s[0:1]
	v_cmp_eq_f32_e64 s[0:1], v8, v24
	v_lshrrev_b32_e32 v21, 8, v5
	v_cndmask_b32_e32 v20, v20, v25, vcc
	v_cndmask_b32_e64 v25, 0, 1, s[0:1]
	v_cmp_neq_f32_e64 s[0:1], v8, v24
	v_lshlrev_b32_e32 v24, 15, v5
	v_cndmask_b32_e64 v8, 0, 1, s[0:1]
	v_and_b32_e32 v24, 0x7f800000, v24
	v_cmp_ne_u16_sdwa s[0:1], v21, s4 src0_sel:BYTE_0 src1_sel:DWORD
	v_cndmask_b32_e64 v24, v10, v24, s[0:1]
	v_cmp_ne_u16_sdwa s[0:1], v21, v11 src0_sel:BYTE_0 src1_sel:DWORD
	v_lshrrev_b32_e32 v32, 8, v9
	v_cndmask_b32_e64 v21, v12, v24, s[0:1]
	v_lshlrev_b32_e32 v24, 15, v9
	v_and_b32_e32 v24, 0x7f800000, v24
	v_cmp_ne_u16_sdwa s[0:1], v32, s4 src0_sel:BYTE_0 src1_sel:DWORD
	v_cndmask_b32_e64 v24, v10, v24, s[0:1]
	v_cmp_ne_u16_sdwa s[0:1], v32, v11 src0_sel:BYTE_0 src1_sel:DWORD
	v_cndmask_b32_e64 v11, v12, v24, s[0:1]
	v_cmp_eq_f32_e64 s[0:1], v21, v11
	v_and_b32_sdwa v22, v5, s4 dst_sel:DWORD dst_unused:UNUSED_PAD src0_sel:WORD_1 src1_sel:DWORD
	v_cndmask_b32_e64 v24, 0, 1, s[0:1]
	v_cmp_neq_f32_e64 s[0:1], v21, v11
	v_lshlrev_b32_e32 v21, 7, v5
	v_cndmask_b32_e64 v11, 0, 1, s[0:1]
	v_and_b32_e32 v21, 0x7f800000, v21
	v_cmp_ne_u16_e64 s[0:1], s4, v22
	v_and_b32_sdwa v33, v9, s4 dst_sel:DWORD dst_unused:UNUSED_PAD src0_sel:WORD_1 src1_sel:DWORD
	v_cndmask_b32_e64 v21, v10, v21, s[0:1]
	v_cmp_ne_u16_e64 s[0:1], 0, v22
	v_lshlrev_b32_e32 v22, 7, v9
	v_cndmask_b32_e64 v21, v12, v21, s[0:1]
	v_and_b32_e32 v22, 0x7f800000, v22
	v_cmp_ne_u16_e64 s[0:1], s4, v33
	v_cndmask_b32_e64 v22, v10, v22, s[0:1]
	v_cmp_ne_u16_e64 s[0:1], 0, v33
	v_cndmask_b32_e64 v22, v12, v22, s[0:1]
	v_cmp_eq_f32_e64 s[0:1], v21, v22
	v_cndmask_b32_e32 v11, v11, v24, vcc
	v_cndmask_b32_e64 v24, 0, 1, s[0:1]
	v_cmp_neq_f32_e64 s[0:1], v21, v22
	v_cndmask_b32_e64 v21, 0, 1, s[0:1]
	v_lshlrev_b32_sdwa v22, v14, v5 dst_sel:DWORD dst_unused:UNUSED_PAD src0_sel:DWORD src1_sel:BYTE_3
	v_cmp_ne_u32_sdwa s[0:1], v5, s4 src0_sel:BYTE_3 src1_sel:DWORD
	v_cndmask_b32_e64 v22, v10, v22, s[0:1]
	v_cmp_lt_u32_e64 s[0:1], s5, v5
	v_cndmask_b32_e64 v5, v12, v22, s[0:1]
	v_lshlrev_b32_sdwa v14, v14, v9 dst_sel:DWORD dst_unused:UNUSED_PAD src0_sel:DWORD src1_sel:BYTE_3
	v_cmp_ne_u32_sdwa s[0:1], v9, s4 src0_sel:BYTE_3 src1_sel:DWORD
	v_cndmask_b32_e64 v10, v10, v14, s[0:1]
	v_cmp_lt_u32_e64 s[0:1], s5, v9
	v_cndmask_b32_e64 v9, v12, v10, s[0:1]
	v_cmp_eq_f32_e64 s[0:1], v5, v9
	v_cndmask_b32_e64 v10, 0, 1, s[0:1]
	v_cmp_neq_f32_e64 s[0:1], v5, v9
	v_cndmask_b32_e32 v23, v23, v26, vcc
	v_cndmask_b32_e32 v15, v15, v27, vcc
	v_and_b32_e32 v6, 1, v6
	v_and_b32_sdwa v17, v17, v13 dst_sel:BYTE_1 dst_unused:UNUSED_PAD src0_sel:DWORD src1_sel:DWORD
	v_and_b32_e32 v18, 1, v18
	v_and_b32_sdwa v3, v3, v13 dst_sel:BYTE_1 dst_unused:UNUSED_PAD src0_sel:DWORD src1_sel:DWORD
	v_cndmask_b32_e64 v5, 0, 1, s[0:1]
	v_and_b32_e32 v23, 1, v23
	v_and_b32_sdwa v15, v15, v13 dst_sel:BYTE_1 dst_unused:UNUSED_PAD src0_sel:DWORD src1_sel:DWORD
	v_and_b32_e32 v16, 1, v16
	v_and_b32_sdwa v2, v2, v13 dst_sel:BYTE_1 dst_unused:UNUSED_PAD src0_sel:DWORD src1_sel:DWORD
	v_cndmask_b32_e32 v8, v8, v25, vcc
	v_cndmask_b32_e32 v21, v21, v24, vcc
	;; [unrolled: 1-line block ×3, first 2 shown]
	v_or_b32_e32 v6, v6, v17
	v_or_b32_sdwa v3, v18, v3 dst_sel:WORD_1 dst_unused:UNUSED_PAD src0_sel:DWORD src1_sel:DWORD
	v_and_b32_e32 v7, 1, v7
	v_and_b32_sdwa v19, v19, v13 dst_sel:BYTE_1 dst_unused:UNUSED_PAD src0_sel:DWORD src1_sel:DWORD
	v_and_b32_e32 v20, 1, v20
	v_and_b32_sdwa v4, v4, v13 dst_sel:BYTE_1 dst_unused:UNUSED_PAD src0_sel:DWORD src1_sel:DWORD
	;; [unrolled: 2-line block ×4, first 2 shown]
	v_or_b32_sdwa v3, v6, v3 dst_sel:DWORD dst_unused:UNUSED_PAD src0_sel:WORD_0 src1_sel:DWORD
	v_or_b32_e32 v6, v23, v15
	v_or_b32_sdwa v2, v16, v2 dst_sel:WORD_1 dst_unused:UNUSED_PAD src0_sel:DWORD src1_sel:DWORD
	s_add_u32 s0, s8, s33
	v_or_b32_e32 v8, v8, v11
	v_or_b32_sdwa v5, v21, v5 dst_sel:WORD_1 dst_unused:UNUSED_PAD src0_sel:DWORD src1_sel:DWORD
	v_or_b32_e32 v7, v7, v19
	v_or_b32_sdwa v4, v20, v4 dst_sel:WORD_1 dst_unused:UNUSED_PAD src0_sel:DWORD src1_sel:DWORD
	v_or_b32_sdwa v2, v6, v2 dst_sel:DWORD dst_unused:UNUSED_PAD src0_sel:WORD_0 src1_sel:DWORD
	s_addc_u32 s1, s9, s2
	v_or_b32_sdwa v5, v8, v5 dst_sel:DWORD dst_unused:UNUSED_PAD src0_sel:WORD_0 src1_sel:DWORD
	v_or_b32_sdwa v4, v7, v4 dst_sel:DWORD dst_unused:UNUSED_PAD src0_sel:WORD_0 src1_sel:DWORD
	global_store_dword v1, v2, s[0:1]
	global_store_dword v1, v3, s[0:1] offset:1024
	global_store_dword v1, v4, s[0:1] offset:2048
	;; [unrolled: 1-line block ×3, first 2 shown]
	s_mov_b64 s[0:1], 0
.LBB311_2:
	s_andn2_b64 vcc, exec, s[0:1]
	s_cbranch_vccnz .LBB311_83
; %bb.3:
	v_cmp_gt_i32_e32 vcc, s40, v0
	v_mov_b32_e32 v5, 0
	v_or_b32_e32 v6, s33, v0
	v_mov_b32_e32 v9, 0
	v_mov_b32_e32 v7, 0
	;; [unrolled: 1-line block ×32, first 2 shown]
	s_and_saveexec_b64 s[4:5], vcc
	s_cbranch_execz .LBB311_35
; %bb.4:
	global_load_ubyte v38, v6, s[10:11]
	global_load_ubyte v37, v6, s[14:15]
	v_or_b32_e32 v1, 0x100, v0
	v_cmp_gt_u32_e64 s[0:1], s40, v1
	v_mov_b32_e32 v35, 0
	v_mov_b32_e32 v36, 0
	;; [unrolled: 1-line block ×30, first 2 shown]
	s_and_saveexec_b64 s[6:7], s[0:1]
	s_cbranch_execz .LBB311_34
; %bb.5:
	v_add_u32_e32 v3, s33, v0
	global_load_ubyte v36, v3, s[10:11] offset:256
	global_load_ubyte v35, v3, s[14:15] offset:256
	v_or_b32_e32 v1, 0x200, v0
	v_mov_b32_e32 v33, 0
	v_cmp_gt_u32_e64 s[0:1], s40, v1
	v_mov_b32_e32 v34, 0
	v_mov_b32_e32 v31, 0
	;; [unrolled: 1-line block ×27, first 2 shown]
	s_and_saveexec_b64 s[12:13], s[0:1]
	s_cbranch_execz .LBB311_33
; %bb.6:
	v_mov_b32_e32 v2, s11
	v_add_co_u32_e64 v1, s[0:1], s10, v3
	v_addc_co_u32_e64 v2, s[0:1], 0, v2, s[0:1]
	v_mov_b32_e32 v4, s15
	v_add_co_u32_e64 v3, s[0:1], s14, v3
	v_addc_co_u32_e64 v4, s[0:1], 0, v4, s[0:1]
	global_load_ubyte v34, v[1:2], off offset:512
	global_load_ubyte v33, v[3:4], off offset:512
	v_or_b32_e32 v7, 0x300, v0
	v_cmp_gt_u32_e64 s[0:1], s40, v7
	v_mov_b32_e32 v31, 0
	v_mov_b32_e32 v32, 0
	;; [unrolled: 1-line block ×26, first 2 shown]
	s_and_saveexec_b64 s[10:11], s[0:1]
	s_cbranch_execz .LBB311_32
; %bb.7:
	global_load_ubyte v32, v[1:2], off offset:768
	global_load_ubyte v31, v[3:4], off offset:768
	v_or_b32_e32 v7, 0x400, v0
	v_cmp_gt_u32_e64 s[0:1], s40, v7
	v_mov_b32_e32 v29, 0
	v_mov_b32_e32 v30, 0
	;; [unrolled: 1-line block ×24, first 2 shown]
	s_and_saveexec_b64 s[14:15], s[0:1]
	s_cbranch_execz .LBB311_31
; %bb.8:
	global_load_ubyte v30, v[1:2], off offset:1024
	global_load_ubyte v29, v[3:4], off offset:1024
	v_or_b32_e32 v7, 0x500, v0
	v_cmp_gt_u32_e64 s[0:1], s40, v7
	v_mov_b32_e32 v27, 0
	v_mov_b32_e32 v28, 0
	;; [unrolled: 1-line block ×22, first 2 shown]
	s_and_saveexec_b64 s[16:17], s[0:1]
	s_cbranch_execz .LBB311_30
; %bb.9:
	global_load_ubyte v28, v[1:2], off offset:1280
	global_load_ubyte v27, v[3:4], off offset:1280
	v_or_b32_e32 v7, 0x600, v0
	v_cmp_gt_u32_e64 s[0:1], s40, v7
	v_mov_b32_e32 v25, 0
	v_mov_b32_e32 v26, 0
	v_mov_b32_e32 v23, 0
	v_mov_b32_e32 v24, 0
	v_mov_b32_e32 v21, 0
	v_mov_b32_e32 v22, 0
	v_mov_b32_e32 v19, 0
	v_mov_b32_e32 v20, 0
	v_mov_b32_e32 v17, 0
	v_mov_b32_e32 v18, 0
	v_mov_b32_e32 v15, 0
	v_mov_b32_e32 v16, 0
	v_mov_b32_e32 v13, 0
	v_mov_b32_e32 v14, 0
	v_mov_b32_e32 v11, 0
	v_mov_b32_e32 v12, 0
	v_mov_b32_e32 v8, 0
	v_mov_b32_e32 v10, 0
	v_mov_b32_e32 v7, 0
	v_mov_b32_e32 v9, 0
	s_and_saveexec_b64 s[18:19], s[0:1]
	s_cbranch_execz .LBB311_29
; %bb.10:
	global_load_ubyte v26, v[1:2], off offset:1536
	global_load_ubyte v25, v[3:4], off offset:1536
	v_or_b32_e32 v7, 0x700, v0
	v_cmp_gt_u32_e64 s[0:1], s40, v7
	v_mov_b32_e32 v23, 0
	v_mov_b32_e32 v24, 0
	;; [unrolled: 1-line block ×18, first 2 shown]
	s_and_saveexec_b64 s[20:21], s[0:1]
	s_cbranch_execz .LBB311_28
; %bb.11:
	global_load_ubyte v24, v[1:2], off offset:1792
	global_load_ubyte v23, v[3:4], off offset:1792
	v_or_b32_e32 v7, 0x800, v0
	v_cmp_gt_u32_e64 s[0:1], s40, v7
	v_mov_b32_e32 v21, 0
	v_mov_b32_e32 v22, 0
	;; [unrolled: 1-line block ×16, first 2 shown]
	s_and_saveexec_b64 s[22:23], s[0:1]
	s_cbranch_execz .LBB311_27
; %bb.12:
	global_load_ubyte v22, v[1:2], off offset:2048
	global_load_ubyte v21, v[3:4], off offset:2048
	v_or_b32_e32 v7, 0x900, v0
	v_cmp_gt_u32_e64 s[0:1], s40, v7
	v_mov_b32_e32 v19, 0
	v_mov_b32_e32 v20, 0
	;; [unrolled: 1-line block ×14, first 2 shown]
	s_and_saveexec_b64 s[24:25], s[0:1]
	s_cbranch_execz .LBB311_26
; %bb.13:
	global_load_ubyte v20, v[1:2], off offset:2304
	global_load_ubyte v19, v[3:4], off offset:2304
	v_or_b32_e32 v7, 0xa00, v0
	v_cmp_gt_u32_e64 s[0:1], s40, v7
	v_mov_b32_e32 v17, 0
	v_mov_b32_e32 v18, 0
	;; [unrolled: 1-line block ×12, first 2 shown]
	s_and_saveexec_b64 s[26:27], s[0:1]
	s_cbranch_execz .LBB311_25
; %bb.14:
	global_load_ubyte v18, v[1:2], off offset:2560
	global_load_ubyte v17, v[3:4], off offset:2560
	v_or_b32_e32 v7, 0xb00, v0
	v_cmp_gt_u32_e64 s[0:1], s40, v7
	v_mov_b32_e32 v15, 0
	v_mov_b32_e32 v16, 0
	;; [unrolled: 1-line block ×10, first 2 shown]
	s_and_saveexec_b64 s[28:29], s[0:1]
	s_cbranch_execz .LBB311_24
; %bb.15:
	global_load_ubyte v16, v[1:2], off offset:2816
	global_load_ubyte v15, v[3:4], off offset:2816
	v_or_b32_e32 v7, 0xc00, v0
	v_cmp_gt_u32_e64 s[0:1], s40, v7
	v_mov_b32_e32 v13, 0
	v_mov_b32_e32 v14, 0
	;; [unrolled: 1-line block ×8, first 2 shown]
	s_and_saveexec_b64 s[30:31], s[0:1]
	s_cbranch_execz .LBB311_23
; %bb.16:
	global_load_ubyte v14, v[1:2], off offset:3072
	global_load_ubyte v13, v[3:4], off offset:3072
	v_or_b32_e32 v7, 0xd00, v0
	v_cmp_gt_u32_e64 s[0:1], s40, v7
	v_mov_b32_e32 v11, 0
	v_mov_b32_e32 v12, 0
	;; [unrolled: 1-line block ×6, first 2 shown]
	s_and_saveexec_b64 s[34:35], s[0:1]
	s_cbranch_execz .LBB311_22
; %bb.17:
	global_load_ubyte v12, v[1:2], off offset:3328
	global_load_ubyte v11, v[3:4], off offset:3328
	v_or_b32_e32 v7, 0xe00, v0
	v_cmp_gt_u32_e64 s[0:1], s40, v7
	v_mov_b32_e32 v8, 0
	v_mov_b32_e32 v10, 0
	;; [unrolled: 1-line block ×4, first 2 shown]
	s_and_saveexec_b64 s[36:37], s[0:1]
	s_cbranch_execz .LBB311_21
; %bb.18:
	global_load_ubyte v10, v[1:2], off offset:3584
	global_load_ubyte v8, v[3:4], off offset:3584
	v_or_b32_e32 v7, 0xf00, v0
	v_cmp_gt_u32_e64 s[0:1], s40, v7
	v_mov_b32_e32 v7, 0
	v_mov_b32_e32 v9, 0
	s_and_saveexec_b64 s[38:39], s[0:1]
	s_cbranch_execz .LBB311_20
; %bb.19:
	global_load_ubyte v9, v[1:2], off offset:3840
	global_load_ubyte v7, v[3:4], off offset:3840
.LBB311_20:
	s_or_b64 exec, exec, s[38:39]
.LBB311_21:
	s_or_b64 exec, exec, s[36:37]
.LBB311_22:
	s_or_b64 exec, exec, s[34:35]
.LBB311_23:
	s_or_b64 exec, exec, s[30:31]
.LBB311_24:
	s_or_b64 exec, exec, s[28:29]
.LBB311_25:
	s_or_b64 exec, exec, s[26:27]
.LBB311_26:
	s_or_b64 exec, exec, s[24:25]
.LBB311_27:
	s_or_b64 exec, exec, s[22:23]
.LBB311_28:
	s_or_b64 exec, exec, s[20:21]
.LBB311_29:
	s_or_b64 exec, exec, s[18:19]
.LBB311_30:
	s_or_b64 exec, exec, s[16:17]
.LBB311_31:
	s_or_b64 exec, exec, s[14:15]
.LBB311_32:
	s_or_b64 exec, exec, s[10:11]
.LBB311_33:
	s_or_b64 exec, exec, s[12:13]
.LBB311_34:
	s_or_b64 exec, exec, s[6:7]
.LBB311_35:
	s_or_b64 exec, exec, s[4:5]
	s_cmp_eq_u32 s3, 0
	s_cselect_b64 s[0:1], -1, 0
	v_mov_b32_e32 v3, v5
	v_mov_b32_e32 v2, v5
	;; [unrolled: 1-line block ×3, first 2 shown]
	s_and_saveexec_b64 s[4:5], vcc
	s_cbranch_execz .LBB311_37
; %bb.36:
	s_movk_i32 s6, 0xff
	v_mov_b32_e32 v1, 23
	s_waitcnt vmcnt(1)
	v_lshlrev_b32_sdwa v2, v1, v38 dst_sel:DWORD dst_unused:UNUSED_PAD src0_sel:DWORD src1_sel:BYTE_0
	v_mov_b32_e32 v4, 0x7f800001
	v_cmp_ne_u16_sdwa s[2:3], v38, s6 src0_sel:BYTE_0 src1_sel:DWORD
	v_mov_b32_e32 v3, 0
	v_cndmask_b32_e64 v2, v4, v2, s[2:3]
	v_mov_b32_e32 v5, 0x400000
	v_cmp_ne_u16_sdwa s[2:3], v38, v3 src0_sel:BYTE_0 src1_sel:DWORD
	v_cndmask_b32_e64 v2, v5, v2, s[2:3]
	s_waitcnt vmcnt(0)
	v_lshlrev_b32_sdwa v1, v1, v37 dst_sel:DWORD dst_unused:UNUSED_PAD src0_sel:DWORD src1_sel:BYTE_0
	v_cmp_ne_u16_sdwa s[2:3], v37, s6 src0_sel:BYTE_0 src1_sel:DWORD
	v_cndmask_b32_e64 v1, v4, v1, s[2:3]
	v_cmp_ne_u16_sdwa s[2:3], v37, v3 src0_sel:BYTE_0 src1_sel:DWORD
	v_cndmask_b32_e64 v1, v5, v1, s[2:3]
	v_cmp_eq_f32_e64 s[2:3], v2, v1
	v_cndmask_b32_e64 v4, 0, 1, s[2:3]
	v_cmp_neq_f32_e64 s[2:3], v2, v1
	v_cndmask_b32_e64 v1, 0, 1, s[2:3]
	v_cndmask_b32_e64 v1, v1, v4, s[0:1]
	v_and_b32_e32 v1, 1, v1
	v_and_b32_e32 v5, 0xffff, v1
	v_mov_b32_e32 v2, v3
	v_mov_b32_e32 v1, v3
.LBB311_37:
	s_or_b64 exec, exec, s[4:5]
	v_or_b32_e32 v4, 0x100, v0
	v_cmp_gt_i32_e64 s[2:3], s40, v4
	s_and_saveexec_b64 s[4:5], s[2:3]
	s_cbranch_execz .LBB311_39
; %bb.38:
	s_movk_i32 s6, 0xff
	s_waitcnt vmcnt(0)
	v_mov_b32_e32 v37, 23
	v_lshlrev_b32_sdwa v38, v37, v36 dst_sel:DWORD dst_unused:UNUSED_PAD src0_sel:DWORD src1_sel:BYTE_0
	v_mov_b32_e32 v39, 0x7f800001
	v_cmp_ne_u16_sdwa s[2:3], v36, s6 src0_sel:BYTE_0 src1_sel:DWORD
	v_mov_b32_e32 v40, 0
	v_cndmask_b32_e64 v38, v39, v38, s[2:3]
	v_mov_b32_e32 v41, 0x400000
	v_cmp_ne_u16_sdwa s[2:3], v36, v40 src0_sel:BYTE_0 src1_sel:DWORD
	v_cndmask_b32_e64 v36, v41, v38, s[2:3]
	v_lshlrev_b32_sdwa v37, v37, v35 dst_sel:DWORD dst_unused:UNUSED_PAD src0_sel:DWORD src1_sel:BYTE_0
	v_cmp_ne_u16_sdwa s[2:3], v35, s6 src0_sel:BYTE_0 src1_sel:DWORD
	v_cndmask_b32_e64 v37, v39, v37, s[2:3]
	v_cmp_ne_u16_sdwa s[2:3], v35, v40 src0_sel:BYTE_0 src1_sel:DWORD
	v_cndmask_b32_e64 v35, v41, v37, s[2:3]
	v_cmp_eq_f32_e64 s[2:3], v36, v35
	v_cndmask_b32_e64 v37, 0, 1, s[2:3]
	v_cmp_neq_f32_e64 s[2:3], v36, v35
	v_cndmask_b32_e64 v35, 0, 1, s[2:3]
	v_cndmask_b32_e64 v35, v35, v37, s[0:1]
	v_mov_b32_e32 v36, 1
	v_and_b32_sdwa v35, v35, v36 dst_sel:BYTE_1 dst_unused:UNUSED_PAD src0_sel:DWORD src1_sel:DWORD
	v_or_b32_sdwa v35, v5, v35 dst_sel:DWORD dst_unused:UNUSED_PAD src0_sel:BYTE_0 src1_sel:DWORD
	v_and_b32_e32 v35, 0xffff, v35
	s_mov_b32 s2, 0xffff0000
	v_and_or_b32 v5, v5, s2, v35
.LBB311_39:
	s_or_b64 exec, exec, s[4:5]
	s_waitcnt vmcnt(0)
	v_or_b32_e32 v35, 0x200, v0
	v_cmp_gt_i32_e64 s[2:3], s40, v35
	s_and_saveexec_b64 s[4:5], s[2:3]
	s_cbranch_execz .LBB311_41
; %bb.40:
	s_movk_i32 s2, 0xff00
	s_movk_i32 s6, 0xff
	v_mov_b32_e32 v36, 23
	v_and_b32_sdwa v35, v5, s2 dst_sel:DWORD dst_unused:UNUSED_PAD src0_sel:WORD_1 src1_sel:DWORD
	v_lshlrev_b32_sdwa v37, v36, v34 dst_sel:DWORD dst_unused:UNUSED_PAD src0_sel:DWORD src1_sel:BYTE_0
	v_mov_b32_e32 v38, 0x7f800001
	v_cmp_ne_u16_sdwa s[2:3], v34, s6 src0_sel:BYTE_0 src1_sel:DWORD
	v_mov_b32_e32 v39, 0
	v_cndmask_b32_e64 v37, v38, v37, s[2:3]
	v_mov_b32_e32 v40, 0x400000
	v_cmp_ne_u16_sdwa s[2:3], v34, v39 src0_sel:BYTE_0 src1_sel:DWORD
	v_cndmask_b32_e64 v34, v40, v37, s[2:3]
	v_lshlrev_b32_sdwa v36, v36, v33 dst_sel:DWORD dst_unused:UNUSED_PAD src0_sel:DWORD src1_sel:BYTE_0
	v_cmp_ne_u16_sdwa s[2:3], v33, s6 src0_sel:BYTE_0 src1_sel:DWORD
	v_cndmask_b32_e64 v36, v38, v36, s[2:3]
	v_cmp_ne_u16_sdwa s[2:3], v33, v39 src0_sel:BYTE_0 src1_sel:DWORD
	v_cndmask_b32_e64 v33, v40, v36, s[2:3]
	v_cmp_eq_f32_e64 s[2:3], v34, v33
	v_cndmask_b32_e64 v36, 0, 1, s[2:3]
	v_cmp_neq_f32_e64 s[2:3], v34, v33
	v_cndmask_b32_e64 v33, 0, 1, s[2:3]
	v_cndmask_b32_e64 v33, v33, v36, s[0:1]
	v_and_b32_e32 v33, 1, v33
	v_or_b32_sdwa v33, v33, v35 dst_sel:WORD_1 dst_unused:UNUSED_PAD src0_sel:DWORD src1_sel:DWORD
	s_mov_b32 s2, 0xffff
	v_and_or_b32 v5, v5, s2, v33
.LBB311_41:
	s_or_b64 exec, exec, s[4:5]
	v_or_b32_e32 v33, 0x300, v0
	v_cmp_gt_i32_e64 s[2:3], s40, v33
	s_and_saveexec_b64 s[4:5], s[2:3]
	s_cbranch_execz .LBB311_43
; %bb.42:
	s_movk_i32 s6, 0xff
	v_mov_b32_e32 v34, 23
	v_lshlrev_b32_sdwa v35, v34, v32 dst_sel:DWORD dst_unused:UNUSED_PAD src0_sel:DWORD src1_sel:BYTE_0
	v_mov_b32_e32 v36, 0x7f800001
	v_cmp_ne_u16_sdwa s[2:3], v32, s6 src0_sel:BYTE_0 src1_sel:DWORD
	v_mov_b32_e32 v37, 0
	v_cndmask_b32_e64 v35, v36, v35, s[2:3]
	v_mov_b32_e32 v38, 0x400000
	v_cmp_ne_u16_sdwa s[2:3], v32, v37 src0_sel:BYTE_0 src1_sel:DWORD
	v_cndmask_b32_e64 v32, v38, v35, s[2:3]
	v_lshlrev_b32_sdwa v34, v34, v31 dst_sel:DWORD dst_unused:UNUSED_PAD src0_sel:DWORD src1_sel:BYTE_0
	v_cmp_ne_u16_sdwa s[2:3], v31, s6 src0_sel:BYTE_0 src1_sel:DWORD
	v_cndmask_b32_e64 v34, v36, v34, s[2:3]
	v_cmp_ne_u16_sdwa s[2:3], v31, v37 src0_sel:BYTE_0 src1_sel:DWORD
	v_cndmask_b32_e64 v31, v38, v34, s[2:3]
	v_cmp_eq_f32_e64 s[2:3], v32, v31
	v_cndmask_b32_e64 v34, 0, 1, s[2:3]
	v_cmp_neq_f32_e64 s[2:3], v32, v31
	v_cndmask_b32_e64 v31, 0, 1, s[2:3]
	v_cndmask_b32_e64 v31, v31, v34, s[0:1]
	v_mov_b32_e32 v32, 1
	v_and_b32_sdwa v33, v5, s6 dst_sel:DWORD dst_unused:UNUSED_PAD src0_sel:WORD_1 src1_sel:DWORD
	v_and_b32_sdwa v31, v31, v32 dst_sel:BYTE_1 dst_unused:UNUSED_PAD src0_sel:DWORD src1_sel:DWORD
	v_or_b32_sdwa v31, v33, v31 dst_sel:WORD_1 dst_unused:UNUSED_PAD src0_sel:DWORD src1_sel:DWORD
	s_mov_b32 s2, 0xffff
	v_and_or_b32 v5, v5, s2, v31
.LBB311_43:
	s_or_b64 exec, exec, s[4:5]
	v_or_b32_e32 v31, 0x400, v0
	v_cmp_gt_i32_e64 s[2:3], s40, v31
	s_and_saveexec_b64 s[4:5], s[2:3]
	s_cbranch_execz .LBB311_45
; %bb.44:
	s_movk_i32 s6, 0xff
	v_mov_b32_e32 v32, 23
	v_lshlrev_b32_sdwa v33, v32, v30 dst_sel:DWORD dst_unused:UNUSED_PAD src0_sel:DWORD src1_sel:BYTE_0
	v_mov_b32_e32 v34, 0x7f800001
	v_cmp_ne_u16_sdwa s[2:3], v30, s6 src0_sel:BYTE_0 src1_sel:DWORD
	v_mov_b32_e32 v35, 0
	v_cndmask_b32_e64 v33, v34, v33, s[2:3]
	v_mov_b32_e32 v36, 0x400000
	v_cmp_ne_u16_sdwa s[2:3], v30, v35 src0_sel:BYTE_0 src1_sel:DWORD
	v_cndmask_b32_e64 v30, v36, v33, s[2:3]
	v_lshlrev_b32_sdwa v32, v32, v29 dst_sel:DWORD dst_unused:UNUSED_PAD src0_sel:DWORD src1_sel:BYTE_0
	v_cmp_ne_u16_sdwa s[2:3], v29, s6 src0_sel:BYTE_0 src1_sel:DWORD
	v_cndmask_b32_e64 v32, v34, v32, s[2:3]
	v_cmp_ne_u16_sdwa s[2:3], v29, v35 src0_sel:BYTE_0 src1_sel:DWORD
	v_cndmask_b32_e64 v29, v36, v32, s[2:3]
	v_cmp_eq_f32_e64 s[2:3], v30, v29
	v_cndmask_b32_e64 v32, 0, 1, s[2:3]
	v_cmp_neq_f32_e64 s[2:3], v30, v29
	v_cndmask_b32_e64 v29, 0, 1, s[2:3]
	v_cndmask_b32_e64 v29, v29, v32, s[0:1]
	v_and_b32_e32 v31, 0xffffff00, v3
	v_and_b32_e32 v29, 1, v29
	v_or_b32_e32 v29, v29, v31
	v_and_b32_e32 v29, 0xffff, v29
	s_mov_b32 s2, 0xffff0000
	v_and_or_b32 v3, v3, s2, v29
.LBB311_45:
	s_or_b64 exec, exec, s[4:5]
	v_or_b32_e32 v29, 0x500, v0
	v_cmp_gt_i32_e64 s[2:3], s40, v29
	s_and_saveexec_b64 s[4:5], s[2:3]
	s_cbranch_execz .LBB311_47
; %bb.46:
	s_movk_i32 s6, 0xff
	v_mov_b32_e32 v29, 23
	v_lshlrev_b32_sdwa v30, v29, v28 dst_sel:DWORD dst_unused:UNUSED_PAD src0_sel:DWORD src1_sel:BYTE_0
	v_mov_b32_e32 v31, 0x7f800001
	v_cmp_ne_u16_sdwa s[2:3], v28, s6 src0_sel:BYTE_0 src1_sel:DWORD
	v_mov_b32_e32 v32, 0
	v_cndmask_b32_e64 v30, v31, v30, s[2:3]
	v_mov_b32_e32 v33, 0x400000
	v_cmp_ne_u16_sdwa s[2:3], v28, v32 src0_sel:BYTE_0 src1_sel:DWORD
	v_cndmask_b32_e64 v28, v33, v30, s[2:3]
	v_lshlrev_b32_sdwa v29, v29, v27 dst_sel:DWORD dst_unused:UNUSED_PAD src0_sel:DWORD src1_sel:BYTE_0
	v_cmp_ne_u16_sdwa s[2:3], v27, s6 src0_sel:BYTE_0 src1_sel:DWORD
	v_cndmask_b32_e64 v29, v31, v29, s[2:3]
	v_cmp_ne_u16_sdwa s[2:3], v27, v32 src0_sel:BYTE_0 src1_sel:DWORD
	v_cndmask_b32_e64 v27, v33, v29, s[2:3]
	v_cmp_eq_f32_e64 s[2:3], v28, v27
	v_cndmask_b32_e64 v29, 0, 1, s[2:3]
	v_cmp_neq_f32_e64 s[2:3], v28, v27
	v_cndmask_b32_e64 v27, 0, 1, s[2:3]
	v_cndmask_b32_e64 v27, v27, v29, s[0:1]
	v_mov_b32_e32 v28, 1
	v_and_b32_sdwa v27, v27, v28 dst_sel:BYTE_1 dst_unused:UNUSED_PAD src0_sel:DWORD src1_sel:DWORD
	v_or_b32_sdwa v27, v3, v27 dst_sel:DWORD dst_unused:UNUSED_PAD src0_sel:BYTE_0 src1_sel:DWORD
	v_and_b32_e32 v27, 0xffff, v27
	s_mov_b32 s2, 0xffff0000
	v_and_or_b32 v3, v3, s2, v27
.LBB311_47:
	s_or_b64 exec, exec, s[4:5]
	v_or_b32_e32 v27, 0x600, v0
	v_cmp_gt_i32_e64 s[2:3], s40, v27
	s_and_saveexec_b64 s[4:5], s[2:3]
	s_cbranch_execz .LBB311_49
; %bb.48:
	s_movk_i32 s2, 0xff00
	s_movk_i32 s6, 0xff
	v_mov_b32_e32 v28, 23
	v_and_b32_sdwa v27, v3, s2 dst_sel:DWORD dst_unused:UNUSED_PAD src0_sel:WORD_1 src1_sel:DWORD
	v_lshlrev_b32_sdwa v29, v28, v26 dst_sel:DWORD dst_unused:UNUSED_PAD src0_sel:DWORD src1_sel:BYTE_0
	v_mov_b32_e32 v30, 0x7f800001
	v_cmp_ne_u16_sdwa s[2:3], v26, s6 src0_sel:BYTE_0 src1_sel:DWORD
	v_mov_b32_e32 v31, 0
	v_cndmask_b32_e64 v29, v30, v29, s[2:3]
	v_mov_b32_e32 v32, 0x400000
	v_cmp_ne_u16_sdwa s[2:3], v26, v31 src0_sel:BYTE_0 src1_sel:DWORD
	v_cndmask_b32_e64 v26, v32, v29, s[2:3]
	v_lshlrev_b32_sdwa v28, v28, v25 dst_sel:DWORD dst_unused:UNUSED_PAD src0_sel:DWORD src1_sel:BYTE_0
	v_cmp_ne_u16_sdwa s[2:3], v25, s6 src0_sel:BYTE_0 src1_sel:DWORD
	v_cndmask_b32_e64 v28, v30, v28, s[2:3]
	v_cmp_ne_u16_sdwa s[2:3], v25, v31 src0_sel:BYTE_0 src1_sel:DWORD
	v_cndmask_b32_e64 v25, v32, v28, s[2:3]
	v_cmp_eq_f32_e64 s[2:3], v26, v25
	v_cndmask_b32_e64 v28, 0, 1, s[2:3]
	v_cmp_neq_f32_e64 s[2:3], v26, v25
	v_cndmask_b32_e64 v25, 0, 1, s[2:3]
	v_cndmask_b32_e64 v25, v25, v28, s[0:1]
	v_and_b32_e32 v25, 1, v25
	v_or_b32_sdwa v25, v25, v27 dst_sel:WORD_1 dst_unused:UNUSED_PAD src0_sel:DWORD src1_sel:DWORD
	s_mov_b32 s2, 0xffff
	v_and_or_b32 v3, v3, s2, v25
.LBB311_49:
	s_or_b64 exec, exec, s[4:5]
	v_or_b32_e32 v25, 0x700, v0
	v_cmp_gt_i32_e64 s[2:3], s40, v25
	s_and_saveexec_b64 s[4:5], s[2:3]
	s_cbranch_execz .LBB311_51
; %bb.50:
	s_movk_i32 s6, 0xff
	v_mov_b32_e32 v26, 23
	v_lshlrev_b32_sdwa v27, v26, v24 dst_sel:DWORD dst_unused:UNUSED_PAD src0_sel:DWORD src1_sel:BYTE_0
	v_mov_b32_e32 v28, 0x7f800001
	v_cmp_ne_u16_sdwa s[2:3], v24, s6 src0_sel:BYTE_0 src1_sel:DWORD
	v_mov_b32_e32 v29, 0
	v_cndmask_b32_e64 v27, v28, v27, s[2:3]
	v_mov_b32_e32 v30, 0x400000
	v_cmp_ne_u16_sdwa s[2:3], v24, v29 src0_sel:BYTE_0 src1_sel:DWORD
	v_cndmask_b32_e64 v24, v30, v27, s[2:3]
	v_lshlrev_b32_sdwa v26, v26, v23 dst_sel:DWORD dst_unused:UNUSED_PAD src0_sel:DWORD src1_sel:BYTE_0
	v_cmp_ne_u16_sdwa s[2:3], v23, s6 src0_sel:BYTE_0 src1_sel:DWORD
	v_cndmask_b32_e64 v26, v28, v26, s[2:3]
	v_cmp_ne_u16_sdwa s[2:3], v23, v29 src0_sel:BYTE_0 src1_sel:DWORD
	v_cndmask_b32_e64 v23, v30, v26, s[2:3]
	v_cmp_eq_f32_e64 s[2:3], v24, v23
	v_cndmask_b32_e64 v26, 0, 1, s[2:3]
	v_cmp_neq_f32_e64 s[2:3], v24, v23
	v_cndmask_b32_e64 v23, 0, 1, s[2:3]
	v_cndmask_b32_e64 v23, v23, v26, s[0:1]
	v_mov_b32_e32 v24, 1
	v_and_b32_sdwa v25, v3, s6 dst_sel:DWORD dst_unused:UNUSED_PAD src0_sel:WORD_1 src1_sel:DWORD
	v_and_b32_sdwa v23, v23, v24 dst_sel:BYTE_1 dst_unused:UNUSED_PAD src0_sel:DWORD src1_sel:DWORD
	v_or_b32_sdwa v23, v25, v23 dst_sel:WORD_1 dst_unused:UNUSED_PAD src0_sel:DWORD src1_sel:DWORD
	s_mov_b32 s2, 0xffff
	v_and_or_b32 v3, v3, s2, v23
.LBB311_51:
	s_or_b64 exec, exec, s[4:5]
	v_or_b32_e32 v23, 0x800, v0
	v_cmp_gt_i32_e64 s[2:3], s40, v23
	s_and_saveexec_b64 s[4:5], s[2:3]
	s_cbranch_execz .LBB311_53
; %bb.52:
	s_movk_i32 s6, 0xff
	v_mov_b32_e32 v24, 23
	v_lshlrev_b32_sdwa v25, v24, v22 dst_sel:DWORD dst_unused:UNUSED_PAD src0_sel:DWORD src1_sel:BYTE_0
	v_mov_b32_e32 v26, 0x7f800001
	v_cmp_ne_u16_sdwa s[2:3], v22, s6 src0_sel:BYTE_0 src1_sel:DWORD
	v_mov_b32_e32 v27, 0
	v_cndmask_b32_e64 v25, v26, v25, s[2:3]
	v_mov_b32_e32 v28, 0x400000
	v_cmp_ne_u16_sdwa s[2:3], v22, v27 src0_sel:BYTE_0 src1_sel:DWORD
	v_cndmask_b32_e64 v22, v28, v25, s[2:3]
	v_lshlrev_b32_sdwa v24, v24, v21 dst_sel:DWORD dst_unused:UNUSED_PAD src0_sel:DWORD src1_sel:BYTE_0
	v_cmp_ne_u16_sdwa s[2:3], v21, s6 src0_sel:BYTE_0 src1_sel:DWORD
	v_cndmask_b32_e64 v24, v26, v24, s[2:3]
	v_cmp_ne_u16_sdwa s[2:3], v21, v27 src0_sel:BYTE_0 src1_sel:DWORD
	v_cndmask_b32_e64 v21, v28, v24, s[2:3]
	v_cmp_eq_f32_e64 s[2:3], v22, v21
	v_cndmask_b32_e64 v24, 0, 1, s[2:3]
	v_cmp_neq_f32_e64 s[2:3], v22, v21
	v_cndmask_b32_e64 v21, 0, 1, s[2:3]
	v_cndmask_b32_e64 v21, v21, v24, s[0:1]
	v_and_b32_e32 v23, 0xffffff00, v2
	v_and_b32_e32 v21, 1, v21
	v_or_b32_e32 v21, v21, v23
	v_and_b32_e32 v21, 0xffff, v21
	s_mov_b32 s2, 0xffff0000
	v_and_or_b32 v2, v2, s2, v21
.LBB311_53:
	s_or_b64 exec, exec, s[4:5]
	v_or_b32_e32 v21, 0x900, v0
	v_cmp_gt_i32_e64 s[2:3], s40, v21
	s_and_saveexec_b64 s[4:5], s[2:3]
	s_cbranch_execz .LBB311_55
; %bb.54:
	s_movk_i32 s6, 0xff
	v_mov_b32_e32 v21, 23
	v_lshlrev_b32_sdwa v22, v21, v20 dst_sel:DWORD dst_unused:UNUSED_PAD src0_sel:DWORD src1_sel:BYTE_0
	v_mov_b32_e32 v23, 0x7f800001
	v_cmp_ne_u16_sdwa s[2:3], v20, s6 src0_sel:BYTE_0 src1_sel:DWORD
	v_mov_b32_e32 v24, 0
	v_cndmask_b32_e64 v22, v23, v22, s[2:3]
	v_mov_b32_e32 v25, 0x400000
	v_cmp_ne_u16_sdwa s[2:3], v20, v24 src0_sel:BYTE_0 src1_sel:DWORD
	v_cndmask_b32_e64 v20, v25, v22, s[2:3]
	v_lshlrev_b32_sdwa v21, v21, v19 dst_sel:DWORD dst_unused:UNUSED_PAD src0_sel:DWORD src1_sel:BYTE_0
	v_cmp_ne_u16_sdwa s[2:3], v19, s6 src0_sel:BYTE_0 src1_sel:DWORD
	v_cndmask_b32_e64 v21, v23, v21, s[2:3]
	v_cmp_ne_u16_sdwa s[2:3], v19, v24 src0_sel:BYTE_0 src1_sel:DWORD
	v_cndmask_b32_e64 v19, v25, v21, s[2:3]
	v_cmp_eq_f32_e64 s[2:3], v20, v19
	v_cndmask_b32_e64 v21, 0, 1, s[2:3]
	v_cmp_neq_f32_e64 s[2:3], v20, v19
	v_cndmask_b32_e64 v19, 0, 1, s[2:3]
	v_cndmask_b32_e64 v19, v19, v21, s[0:1]
	v_mov_b32_e32 v20, 1
	v_and_b32_sdwa v19, v19, v20 dst_sel:BYTE_1 dst_unused:UNUSED_PAD src0_sel:DWORD src1_sel:DWORD
	v_or_b32_sdwa v19, v2, v19 dst_sel:DWORD dst_unused:UNUSED_PAD src0_sel:BYTE_0 src1_sel:DWORD
	v_and_b32_e32 v19, 0xffff, v19
	s_mov_b32 s2, 0xffff0000
	v_and_or_b32 v2, v2, s2, v19
.LBB311_55:
	s_or_b64 exec, exec, s[4:5]
	v_or_b32_e32 v19, 0xa00, v0
	v_cmp_gt_i32_e64 s[2:3], s40, v19
	s_and_saveexec_b64 s[4:5], s[2:3]
	s_cbranch_execz .LBB311_57
; %bb.56:
	s_movk_i32 s2, 0xff00
	s_movk_i32 s6, 0xff
	v_mov_b32_e32 v20, 23
	v_and_b32_sdwa v19, v2, s2 dst_sel:DWORD dst_unused:UNUSED_PAD src0_sel:WORD_1 src1_sel:DWORD
	v_lshlrev_b32_sdwa v21, v20, v18 dst_sel:DWORD dst_unused:UNUSED_PAD src0_sel:DWORD src1_sel:BYTE_0
	v_mov_b32_e32 v22, 0x7f800001
	v_cmp_ne_u16_sdwa s[2:3], v18, s6 src0_sel:BYTE_0 src1_sel:DWORD
	v_mov_b32_e32 v23, 0
	v_cndmask_b32_e64 v21, v22, v21, s[2:3]
	v_mov_b32_e32 v24, 0x400000
	v_cmp_ne_u16_sdwa s[2:3], v18, v23 src0_sel:BYTE_0 src1_sel:DWORD
	v_cndmask_b32_e64 v18, v24, v21, s[2:3]
	v_lshlrev_b32_sdwa v20, v20, v17 dst_sel:DWORD dst_unused:UNUSED_PAD src0_sel:DWORD src1_sel:BYTE_0
	v_cmp_ne_u16_sdwa s[2:3], v17, s6 src0_sel:BYTE_0 src1_sel:DWORD
	v_cndmask_b32_e64 v20, v22, v20, s[2:3]
	v_cmp_ne_u16_sdwa s[2:3], v17, v23 src0_sel:BYTE_0 src1_sel:DWORD
	v_cndmask_b32_e64 v17, v24, v20, s[2:3]
	v_cmp_eq_f32_e64 s[2:3], v18, v17
	v_cndmask_b32_e64 v20, 0, 1, s[2:3]
	v_cmp_neq_f32_e64 s[2:3], v18, v17
	v_cndmask_b32_e64 v17, 0, 1, s[2:3]
	v_cndmask_b32_e64 v17, v17, v20, s[0:1]
	v_and_b32_e32 v17, 1, v17
	v_or_b32_sdwa v17, v17, v19 dst_sel:WORD_1 dst_unused:UNUSED_PAD src0_sel:DWORD src1_sel:DWORD
	s_mov_b32 s2, 0xffff
	v_and_or_b32 v2, v2, s2, v17
.LBB311_57:
	s_or_b64 exec, exec, s[4:5]
	v_or_b32_e32 v17, 0xb00, v0
	v_cmp_gt_i32_e64 s[2:3], s40, v17
	s_and_saveexec_b64 s[4:5], s[2:3]
	s_cbranch_execz .LBB311_59
; %bb.58:
	s_movk_i32 s6, 0xff
	v_mov_b32_e32 v18, 23
	v_lshlrev_b32_sdwa v19, v18, v16 dst_sel:DWORD dst_unused:UNUSED_PAD src0_sel:DWORD src1_sel:BYTE_0
	v_mov_b32_e32 v20, 0x7f800001
	v_cmp_ne_u16_sdwa s[2:3], v16, s6 src0_sel:BYTE_0 src1_sel:DWORD
	v_mov_b32_e32 v21, 0
	v_cndmask_b32_e64 v19, v20, v19, s[2:3]
	v_mov_b32_e32 v22, 0x400000
	v_cmp_ne_u16_sdwa s[2:3], v16, v21 src0_sel:BYTE_0 src1_sel:DWORD
	v_cndmask_b32_e64 v16, v22, v19, s[2:3]
	v_lshlrev_b32_sdwa v18, v18, v15 dst_sel:DWORD dst_unused:UNUSED_PAD src0_sel:DWORD src1_sel:BYTE_0
	v_cmp_ne_u16_sdwa s[2:3], v15, s6 src0_sel:BYTE_0 src1_sel:DWORD
	v_cndmask_b32_e64 v18, v20, v18, s[2:3]
	v_cmp_ne_u16_sdwa s[2:3], v15, v21 src0_sel:BYTE_0 src1_sel:DWORD
	v_cndmask_b32_e64 v15, v22, v18, s[2:3]
	v_cmp_eq_f32_e64 s[2:3], v16, v15
	v_cndmask_b32_e64 v18, 0, 1, s[2:3]
	v_cmp_neq_f32_e64 s[2:3], v16, v15
	v_cndmask_b32_e64 v15, 0, 1, s[2:3]
	v_cndmask_b32_e64 v15, v15, v18, s[0:1]
	v_mov_b32_e32 v16, 1
	v_and_b32_sdwa v17, v2, s6 dst_sel:DWORD dst_unused:UNUSED_PAD src0_sel:WORD_1 src1_sel:DWORD
	v_and_b32_sdwa v15, v15, v16 dst_sel:BYTE_1 dst_unused:UNUSED_PAD src0_sel:DWORD src1_sel:DWORD
	v_or_b32_sdwa v15, v17, v15 dst_sel:WORD_1 dst_unused:UNUSED_PAD src0_sel:DWORD src1_sel:DWORD
	s_mov_b32 s2, 0xffff
	v_and_or_b32 v2, v2, s2, v15
.LBB311_59:
	s_or_b64 exec, exec, s[4:5]
	v_or_b32_e32 v15, 0xc00, v0
	v_cmp_gt_i32_e64 s[2:3], s40, v15
	s_and_saveexec_b64 s[4:5], s[2:3]
	s_cbranch_execz .LBB311_61
; %bb.60:
	s_movk_i32 s6, 0xff
	v_mov_b32_e32 v16, 23
	v_lshlrev_b32_sdwa v17, v16, v14 dst_sel:DWORD dst_unused:UNUSED_PAD src0_sel:DWORD src1_sel:BYTE_0
	v_mov_b32_e32 v18, 0x7f800001
	v_cmp_ne_u16_sdwa s[2:3], v14, s6 src0_sel:BYTE_0 src1_sel:DWORD
	v_mov_b32_e32 v19, 0
	v_cndmask_b32_e64 v17, v18, v17, s[2:3]
	v_mov_b32_e32 v20, 0x400000
	v_cmp_ne_u16_sdwa s[2:3], v14, v19 src0_sel:BYTE_0 src1_sel:DWORD
	v_cndmask_b32_e64 v14, v20, v17, s[2:3]
	v_lshlrev_b32_sdwa v16, v16, v13 dst_sel:DWORD dst_unused:UNUSED_PAD src0_sel:DWORD src1_sel:BYTE_0
	v_cmp_ne_u16_sdwa s[2:3], v13, s6 src0_sel:BYTE_0 src1_sel:DWORD
	v_cndmask_b32_e64 v16, v18, v16, s[2:3]
	v_cmp_ne_u16_sdwa s[2:3], v13, v19 src0_sel:BYTE_0 src1_sel:DWORD
	v_cndmask_b32_e64 v13, v20, v16, s[2:3]
	v_cmp_eq_f32_e64 s[2:3], v14, v13
	v_cndmask_b32_e64 v16, 0, 1, s[2:3]
	v_cmp_neq_f32_e64 s[2:3], v14, v13
	v_cndmask_b32_e64 v13, 0, 1, s[2:3]
	v_cndmask_b32_e64 v13, v13, v16, s[0:1]
	v_and_b32_e32 v15, 0xffffff00, v1
	v_and_b32_e32 v13, 1, v13
	v_or_b32_e32 v13, v13, v15
	v_and_b32_e32 v13, 0xffff, v13
	s_mov_b32 s2, 0xffff0000
	v_and_or_b32 v1, v1, s2, v13
.LBB311_61:
	s_or_b64 exec, exec, s[4:5]
	v_or_b32_e32 v13, 0xd00, v0
	v_cmp_gt_i32_e64 s[2:3], s40, v13
	s_and_saveexec_b64 s[4:5], s[2:3]
	s_cbranch_execz .LBB311_63
; %bb.62:
	s_movk_i32 s6, 0xff
	v_mov_b32_e32 v13, 23
	v_lshlrev_b32_sdwa v14, v13, v12 dst_sel:DWORD dst_unused:UNUSED_PAD src0_sel:DWORD src1_sel:BYTE_0
	v_mov_b32_e32 v15, 0x7f800001
	v_cmp_ne_u16_sdwa s[2:3], v12, s6 src0_sel:BYTE_0 src1_sel:DWORD
	v_mov_b32_e32 v16, 0
	v_cndmask_b32_e64 v14, v15, v14, s[2:3]
	v_mov_b32_e32 v17, 0x400000
	v_cmp_ne_u16_sdwa s[2:3], v12, v16 src0_sel:BYTE_0 src1_sel:DWORD
	v_cndmask_b32_e64 v12, v17, v14, s[2:3]
	v_lshlrev_b32_sdwa v13, v13, v11 dst_sel:DWORD dst_unused:UNUSED_PAD src0_sel:DWORD src1_sel:BYTE_0
	v_cmp_ne_u16_sdwa s[2:3], v11, s6 src0_sel:BYTE_0 src1_sel:DWORD
	v_cndmask_b32_e64 v13, v15, v13, s[2:3]
	v_cmp_ne_u16_sdwa s[2:3], v11, v16 src0_sel:BYTE_0 src1_sel:DWORD
	v_cndmask_b32_e64 v11, v17, v13, s[2:3]
	v_cmp_eq_f32_e64 s[2:3], v12, v11
	v_cndmask_b32_e64 v13, 0, 1, s[2:3]
	v_cmp_neq_f32_e64 s[2:3], v12, v11
	v_cndmask_b32_e64 v11, 0, 1, s[2:3]
	v_cndmask_b32_e64 v11, v11, v13, s[0:1]
	v_mov_b32_e32 v12, 1
	v_and_b32_sdwa v11, v11, v12 dst_sel:BYTE_1 dst_unused:UNUSED_PAD src0_sel:DWORD src1_sel:DWORD
	v_or_b32_sdwa v11, v1, v11 dst_sel:DWORD dst_unused:UNUSED_PAD src0_sel:BYTE_0 src1_sel:DWORD
	v_and_b32_e32 v11, 0xffff, v11
	s_mov_b32 s2, 0xffff0000
	v_and_or_b32 v1, v1, s2, v11
.LBB311_63:
	s_or_b64 exec, exec, s[4:5]
	v_or_b32_e32 v11, 0xe00, v0
	v_cmp_gt_i32_e64 s[2:3], s40, v11
	s_and_saveexec_b64 s[4:5], s[2:3]
	s_cbranch_execz .LBB311_65
; %bb.64:
	s_movk_i32 s2, 0xff00
	s_movk_i32 s6, 0xff
	v_mov_b32_e32 v12, 23
	v_and_b32_sdwa v11, v1, s2 dst_sel:DWORD dst_unused:UNUSED_PAD src0_sel:WORD_1 src1_sel:DWORD
	v_lshlrev_b32_sdwa v13, v12, v10 dst_sel:DWORD dst_unused:UNUSED_PAD src0_sel:DWORD src1_sel:BYTE_0
	v_mov_b32_e32 v14, 0x7f800001
	v_cmp_ne_u16_sdwa s[2:3], v10, s6 src0_sel:BYTE_0 src1_sel:DWORD
	v_mov_b32_e32 v15, 0
	v_cndmask_b32_e64 v13, v14, v13, s[2:3]
	v_mov_b32_e32 v16, 0x400000
	v_cmp_ne_u16_sdwa s[2:3], v10, v15 src0_sel:BYTE_0 src1_sel:DWORD
	v_cndmask_b32_e64 v10, v16, v13, s[2:3]
	v_lshlrev_b32_sdwa v12, v12, v8 dst_sel:DWORD dst_unused:UNUSED_PAD src0_sel:DWORD src1_sel:BYTE_0
	v_cmp_ne_u16_sdwa s[2:3], v8, s6 src0_sel:BYTE_0 src1_sel:DWORD
	v_cndmask_b32_e64 v12, v14, v12, s[2:3]
	v_cmp_ne_u16_sdwa s[2:3], v8, v15 src0_sel:BYTE_0 src1_sel:DWORD
	v_cndmask_b32_e64 v8, v16, v12, s[2:3]
	v_cmp_eq_f32_e64 s[2:3], v10, v8
	v_cndmask_b32_e64 v12, 0, 1, s[2:3]
	v_cmp_neq_f32_e64 s[2:3], v10, v8
	v_cndmask_b32_e64 v8, 0, 1, s[2:3]
	v_cndmask_b32_e64 v8, v8, v12, s[0:1]
	v_and_b32_e32 v8, 1, v8
	v_or_b32_sdwa v8, v8, v11 dst_sel:WORD_1 dst_unused:UNUSED_PAD src0_sel:DWORD src1_sel:DWORD
	s_mov_b32 s2, 0xffff
	v_and_or_b32 v1, v1, s2, v8
.LBB311_65:
	s_or_b64 exec, exec, s[4:5]
	v_or_b32_e32 v8, 0xf00, v0
	v_cmp_gt_i32_e64 s[2:3], s40, v8
	s_and_saveexec_b64 s[4:5], s[2:3]
	s_cbranch_execnz .LBB311_84
; %bb.66:
	s_or_b64 exec, exec, s[4:5]
	s_and_saveexec_b64 s[0:1], vcc
	s_xor_b64 s[0:1], exec, s[0:1]
	s_cbranch_execnz .LBB311_85
.LBB311_67:
	s_or_b64 exec, exec, s[0:1]
	v_cmp_gt_i32_e32 vcc, s40, v0
	s_and_saveexec_b64 s[0:1], vcc
	s_cbranch_execnz .LBB311_86
.LBB311_68:
	s_or_b64 exec, exec, s[0:1]
	v_cmp_gt_i32_e32 vcc, s40, v0
	s_and_saveexec_b64 s[0:1], vcc
	s_cbranch_execnz .LBB311_87
.LBB311_69:
	s_or_b64 exec, exec, s[0:1]
	v_cmp_gt_i32_e32 vcc, s40, v0
	s_and_saveexec_b64 s[0:1], vcc
	s_cbranch_execnz .LBB311_88
.LBB311_70:
	s_or_b64 exec, exec, s[0:1]
	v_cmp_gt_i32_e32 vcc, s40, v0
	s_and_saveexec_b64 s[0:1], vcc
	s_cbranch_execnz .LBB311_89
.LBB311_71:
	s_or_b64 exec, exec, s[0:1]
	v_cmp_gt_i32_e32 vcc, s40, v0
	s_and_saveexec_b64 s[0:1], vcc
	s_cbranch_execnz .LBB311_90
.LBB311_72:
	s_or_b64 exec, exec, s[0:1]
	v_cmp_gt_i32_e32 vcc, s40, v0
	s_and_saveexec_b64 s[0:1], vcc
	s_cbranch_execnz .LBB311_91
.LBB311_73:
	s_or_b64 exec, exec, s[0:1]
	v_cmp_gt_i32_e32 vcc, s40, v0
	s_and_saveexec_b64 s[0:1], vcc
	s_cbranch_execnz .LBB311_92
.LBB311_74:
	s_or_b64 exec, exec, s[0:1]
	v_cmp_gt_i32_e32 vcc, s40, v0
	s_and_saveexec_b64 s[0:1], vcc
	s_cbranch_execnz .LBB311_93
.LBB311_75:
	s_or_b64 exec, exec, s[0:1]
	v_cmp_gt_i32_e32 vcc, s40, v0
	s_and_saveexec_b64 s[0:1], vcc
	s_cbranch_execnz .LBB311_94
.LBB311_76:
	s_or_b64 exec, exec, s[0:1]
	v_cmp_gt_i32_e32 vcc, s40, v0
	s_and_saveexec_b64 s[0:1], vcc
	s_cbranch_execnz .LBB311_95
.LBB311_77:
	s_or_b64 exec, exec, s[0:1]
	v_cmp_gt_i32_e32 vcc, s40, v0
	s_and_saveexec_b64 s[0:1], vcc
	s_cbranch_execnz .LBB311_96
.LBB311_78:
	s_or_b64 exec, exec, s[0:1]
	v_cmp_gt_i32_e32 vcc, s40, v0
	s_and_saveexec_b64 s[0:1], vcc
	s_cbranch_execnz .LBB311_97
.LBB311_79:
	s_or_b64 exec, exec, s[0:1]
	v_cmp_gt_i32_e32 vcc, s40, v0
	s_and_saveexec_b64 s[0:1], vcc
	s_cbranch_execnz .LBB311_98
.LBB311_80:
	s_or_b64 exec, exec, s[0:1]
	v_cmp_gt_i32_e32 vcc, s40, v0
	s_and_saveexec_b64 s[0:1], vcc
	s_cbranch_execnz .LBB311_99
.LBB311_81:
	s_or_b64 exec, exec, s[0:1]
	v_cmp_gt_i32_e32 vcc, s40, v0
	s_and_saveexec_b64 s[0:1], vcc
	s_cbranch_execz .LBB311_83
.LBB311_82:
	v_lshrrev_b32_e32 v1, 24, v1
	v_add_u32_e32 v0, s33, v0
	global_store_byte v0, v1, s[8:9]
.LBB311_83:
	s_endpgm
.LBB311_84:
	s_movk_i32 s6, 0xff
	v_mov_b32_e32 v10, 23
	v_lshlrev_b32_sdwa v11, v10, v9 dst_sel:DWORD dst_unused:UNUSED_PAD src0_sel:DWORD src1_sel:BYTE_0
	v_mov_b32_e32 v12, 0x7f800001
	v_cmp_ne_u16_sdwa s[2:3], v9, s6 src0_sel:BYTE_0 src1_sel:DWORD
	v_mov_b32_e32 v13, 0
	v_cndmask_b32_e64 v11, v12, v11, s[2:3]
	v_mov_b32_e32 v14, 0x400000
	v_cmp_ne_u16_sdwa s[2:3], v9, v13 src0_sel:BYTE_0 src1_sel:DWORD
	v_cndmask_b32_e64 v9, v14, v11, s[2:3]
	v_lshlrev_b32_sdwa v10, v10, v7 dst_sel:DWORD dst_unused:UNUSED_PAD src0_sel:DWORD src1_sel:BYTE_0
	v_cmp_ne_u16_sdwa s[2:3], v7, s6 src0_sel:BYTE_0 src1_sel:DWORD
	v_cndmask_b32_e64 v10, v12, v10, s[2:3]
	v_cmp_ne_u16_sdwa s[2:3], v7, v13 src0_sel:BYTE_0 src1_sel:DWORD
	v_cndmask_b32_e64 v7, v14, v10, s[2:3]
	v_cmp_eq_f32_e64 s[2:3], v9, v7
	v_cndmask_b32_e64 v10, 0, 1, s[2:3]
	v_cmp_neq_f32_e64 s[2:3], v9, v7
	v_cndmask_b32_e64 v7, 0, 1, s[2:3]
	v_cndmask_b32_e64 v7, v7, v10, s[0:1]
	v_mov_b32_e32 v9, 1
	v_and_b32_sdwa v8, v1, s6 dst_sel:DWORD dst_unused:UNUSED_PAD src0_sel:WORD_1 src1_sel:DWORD
	v_and_b32_sdwa v7, v7, v9 dst_sel:BYTE_1 dst_unused:UNUSED_PAD src0_sel:DWORD src1_sel:DWORD
	v_or_b32_sdwa v7, v8, v7 dst_sel:WORD_1 dst_unused:UNUSED_PAD src0_sel:DWORD src1_sel:DWORD
	s_mov_b32 s0, 0xffff
	v_and_or_b32 v1, v1, s0, v7
	s_or_b64 exec, exec, s[4:5]
	s_and_saveexec_b64 s[0:1], vcc
	s_xor_b64 s[0:1], exec, s[0:1]
	s_cbranch_execz .LBB311_67
.LBB311_85:
	v_mov_b32_e32 v0, v4
	global_store_byte v6, v5, s[8:9]
	s_or_b64 exec, exec, s[0:1]
	v_cmp_gt_i32_e32 vcc, s40, v0
	s_and_saveexec_b64 s[0:1], vcc
	s_cbranch_execz .LBB311_68
.LBB311_86:
	v_lshrrev_b32_e32 v4, 8, v5
	v_add_u32_e32 v6, s33, v0
	v_add_u32_e32 v0, 0x100, v0
	global_store_byte v6, v4, s[8:9]
	s_or_b64 exec, exec, s[0:1]
	v_cmp_gt_i32_e32 vcc, s40, v0
	s_and_saveexec_b64 s[0:1], vcc
	s_cbranch_execz .LBB311_69
.LBB311_87:
	v_add_u32_e32 v4, s33, v0
	v_add_u32_e32 v0, 0x100, v0
	global_store_byte_d16_hi v4, v5, s[8:9]
	s_or_b64 exec, exec, s[0:1]
	v_cmp_gt_i32_e32 vcc, s40, v0
	s_and_saveexec_b64 s[0:1], vcc
	s_cbranch_execz .LBB311_70
.LBB311_88:
	v_lshrrev_b32_e32 v4, 24, v5
	v_add_u32_e32 v5, s33, v0
	v_add_u32_e32 v0, 0x100, v0
	global_store_byte v5, v4, s[8:9]
	s_or_b64 exec, exec, s[0:1]
	v_cmp_gt_i32_e32 vcc, s40, v0
	s_and_saveexec_b64 s[0:1], vcc
	s_cbranch_execz .LBB311_71
.LBB311_89:
	v_add_u32_e32 v4, s33, v0
	v_add_u32_e32 v0, 0x100, v0
	global_store_byte v4, v3, s[8:9]
	s_or_b64 exec, exec, s[0:1]
	v_cmp_gt_i32_e32 vcc, s40, v0
	s_and_saveexec_b64 s[0:1], vcc
	s_cbranch_execz .LBB311_72
.LBB311_90:
	v_lshrrev_b32_e32 v4, 8, v3
	v_add_u32_e32 v5, s33, v0
	v_add_u32_e32 v0, 0x100, v0
	global_store_byte v5, v4, s[8:9]
	s_or_b64 exec, exec, s[0:1]
	v_cmp_gt_i32_e32 vcc, s40, v0
	s_and_saveexec_b64 s[0:1], vcc
	s_cbranch_execz .LBB311_73
.LBB311_91:
	v_add_u32_e32 v4, s33, v0
	v_add_u32_e32 v0, 0x100, v0
	global_store_byte_d16_hi v4, v3, s[8:9]
	s_or_b64 exec, exec, s[0:1]
	v_cmp_gt_i32_e32 vcc, s40, v0
	s_and_saveexec_b64 s[0:1], vcc
	s_cbranch_execz .LBB311_74
.LBB311_92:
	v_lshrrev_b32_e32 v3, 24, v3
	v_add_u32_e32 v4, s33, v0
	v_add_u32_e32 v0, 0x100, v0
	global_store_byte v4, v3, s[8:9]
	s_or_b64 exec, exec, s[0:1]
	v_cmp_gt_i32_e32 vcc, s40, v0
	s_and_saveexec_b64 s[0:1], vcc
	s_cbranch_execz .LBB311_75
.LBB311_93:
	v_add_u32_e32 v3, s33, v0
	v_add_u32_e32 v0, 0x100, v0
	global_store_byte v3, v2, s[8:9]
	s_or_b64 exec, exec, s[0:1]
	v_cmp_gt_i32_e32 vcc, s40, v0
	s_and_saveexec_b64 s[0:1], vcc
	s_cbranch_execz .LBB311_76
.LBB311_94:
	v_lshrrev_b32_e32 v3, 8, v2
	v_add_u32_e32 v4, s33, v0
	v_add_u32_e32 v0, 0x100, v0
	global_store_byte v4, v3, s[8:9]
	s_or_b64 exec, exec, s[0:1]
	v_cmp_gt_i32_e32 vcc, s40, v0
	s_and_saveexec_b64 s[0:1], vcc
	s_cbranch_execz .LBB311_77
.LBB311_95:
	v_add_u32_e32 v3, s33, v0
	v_add_u32_e32 v0, 0x100, v0
	global_store_byte_d16_hi v3, v2, s[8:9]
	s_or_b64 exec, exec, s[0:1]
	v_cmp_gt_i32_e32 vcc, s40, v0
	s_and_saveexec_b64 s[0:1], vcc
	s_cbranch_execz .LBB311_78
.LBB311_96:
	v_lshrrev_b32_e32 v2, 24, v2
	v_add_u32_e32 v3, s33, v0
	v_add_u32_e32 v0, 0x100, v0
	global_store_byte v3, v2, s[8:9]
	s_or_b64 exec, exec, s[0:1]
	v_cmp_gt_i32_e32 vcc, s40, v0
	s_and_saveexec_b64 s[0:1], vcc
	s_cbranch_execz .LBB311_79
.LBB311_97:
	v_add_u32_e32 v2, s33, v0
	v_add_u32_e32 v0, 0x100, v0
	global_store_byte v2, v1, s[8:9]
	s_or_b64 exec, exec, s[0:1]
	v_cmp_gt_i32_e32 vcc, s40, v0
	s_and_saveexec_b64 s[0:1], vcc
	s_cbranch_execz .LBB311_80
.LBB311_98:
	v_lshrrev_b32_e32 v2, 8, v1
	v_add_u32_e32 v3, s33, v0
	v_add_u32_e32 v0, 0x100, v0
	global_store_byte v3, v2, s[8:9]
	s_or_b64 exec, exec, s[0:1]
	v_cmp_gt_i32_e32 vcc, s40, v0
	s_and_saveexec_b64 s[0:1], vcc
	s_cbranch_execz .LBB311_81
.LBB311_99:
	v_add_u32_e32 v2, s33, v0
	v_add_u32_e32 v0, 0x100, v0
	global_store_byte_d16_hi v2, v1, s[8:9]
	s_or_b64 exec, exec, s[0:1]
	v_cmp_gt_i32_e32 vcc, s40, v0
	s_and_saveexec_b64 s[0:1], vcc
	s_cbranch_execnz .LBB311_82
	s_branch .LBB311_83
	.section	.rodata,"a",@progbits
	.p2align	6, 0x0
	.amdhsa_kernel _ZN2at6native29vectorized_elementwise_kernelILi4ENS0_13BinaryFunctorIN3c1014Float8_e8m0fnuES4_bNS0_12_GLOBAL__N_116CompareEqFunctorIS4_EEEESt5arrayIPcLm3EEEEviT0_T1_
		.amdhsa_group_segment_fixed_size 0
		.amdhsa_private_segment_fixed_size 0
		.amdhsa_kernarg_size 32
		.amdhsa_user_sgpr_count 6
		.amdhsa_user_sgpr_private_segment_buffer 1
		.amdhsa_user_sgpr_dispatch_ptr 0
		.amdhsa_user_sgpr_queue_ptr 0
		.amdhsa_user_sgpr_kernarg_segment_ptr 1
		.amdhsa_user_sgpr_dispatch_id 0
		.amdhsa_user_sgpr_flat_scratch_init 0
		.amdhsa_user_sgpr_private_segment_size 0
		.amdhsa_uses_dynamic_stack 0
		.amdhsa_system_sgpr_private_segment_wavefront_offset 0
		.amdhsa_system_sgpr_workgroup_id_x 1
		.amdhsa_system_sgpr_workgroup_id_y 0
		.amdhsa_system_sgpr_workgroup_id_z 0
		.amdhsa_system_sgpr_workgroup_info 0
		.amdhsa_system_vgpr_workitem_id 0
		.amdhsa_next_free_vgpr 42
		.amdhsa_next_free_sgpr 41
		.amdhsa_reserve_vcc 1
		.amdhsa_reserve_flat_scratch 0
		.amdhsa_float_round_mode_32 0
		.amdhsa_float_round_mode_16_64 0
		.amdhsa_float_denorm_mode_32 3
		.amdhsa_float_denorm_mode_16_64 3
		.amdhsa_dx10_clamp 1
		.amdhsa_ieee_mode 1
		.amdhsa_fp16_overflow 0
		.amdhsa_exception_fp_ieee_invalid_op 0
		.amdhsa_exception_fp_denorm_src 0
		.amdhsa_exception_fp_ieee_div_zero 0
		.amdhsa_exception_fp_ieee_overflow 0
		.amdhsa_exception_fp_ieee_underflow 0
		.amdhsa_exception_fp_ieee_inexact 0
		.amdhsa_exception_int_div_zero 0
	.end_amdhsa_kernel
	.section	.text._ZN2at6native29vectorized_elementwise_kernelILi4ENS0_13BinaryFunctorIN3c1014Float8_e8m0fnuES4_bNS0_12_GLOBAL__N_116CompareEqFunctorIS4_EEEESt5arrayIPcLm3EEEEviT0_T1_,"axG",@progbits,_ZN2at6native29vectorized_elementwise_kernelILi4ENS0_13BinaryFunctorIN3c1014Float8_e8m0fnuES4_bNS0_12_GLOBAL__N_116CompareEqFunctorIS4_EEEESt5arrayIPcLm3EEEEviT0_T1_,comdat
.Lfunc_end311:
	.size	_ZN2at6native29vectorized_elementwise_kernelILi4ENS0_13BinaryFunctorIN3c1014Float8_e8m0fnuES4_bNS0_12_GLOBAL__N_116CompareEqFunctorIS4_EEEESt5arrayIPcLm3EEEEviT0_T1_, .Lfunc_end311-_ZN2at6native29vectorized_elementwise_kernelILi4ENS0_13BinaryFunctorIN3c1014Float8_e8m0fnuES4_bNS0_12_GLOBAL__N_116CompareEqFunctorIS4_EEEESt5arrayIPcLm3EEEEviT0_T1_
                                        ; -- End function
	.set _ZN2at6native29vectorized_elementwise_kernelILi4ENS0_13BinaryFunctorIN3c1014Float8_e8m0fnuES4_bNS0_12_GLOBAL__N_116CompareEqFunctorIS4_EEEESt5arrayIPcLm3EEEEviT0_T1_.num_vgpr, 42
	.set _ZN2at6native29vectorized_elementwise_kernelILi4ENS0_13BinaryFunctorIN3c1014Float8_e8m0fnuES4_bNS0_12_GLOBAL__N_116CompareEqFunctorIS4_EEEESt5arrayIPcLm3EEEEviT0_T1_.num_agpr, 0
	.set _ZN2at6native29vectorized_elementwise_kernelILi4ENS0_13BinaryFunctorIN3c1014Float8_e8m0fnuES4_bNS0_12_GLOBAL__N_116CompareEqFunctorIS4_EEEESt5arrayIPcLm3EEEEviT0_T1_.numbered_sgpr, 41
	.set _ZN2at6native29vectorized_elementwise_kernelILi4ENS0_13BinaryFunctorIN3c1014Float8_e8m0fnuES4_bNS0_12_GLOBAL__N_116CompareEqFunctorIS4_EEEESt5arrayIPcLm3EEEEviT0_T1_.num_named_barrier, 0
	.set _ZN2at6native29vectorized_elementwise_kernelILi4ENS0_13BinaryFunctorIN3c1014Float8_e8m0fnuES4_bNS0_12_GLOBAL__N_116CompareEqFunctorIS4_EEEESt5arrayIPcLm3EEEEviT0_T1_.private_seg_size, 0
	.set _ZN2at6native29vectorized_elementwise_kernelILi4ENS0_13BinaryFunctorIN3c1014Float8_e8m0fnuES4_bNS0_12_GLOBAL__N_116CompareEqFunctorIS4_EEEESt5arrayIPcLm3EEEEviT0_T1_.uses_vcc, 1
	.set _ZN2at6native29vectorized_elementwise_kernelILi4ENS0_13BinaryFunctorIN3c1014Float8_e8m0fnuES4_bNS0_12_GLOBAL__N_116CompareEqFunctorIS4_EEEESt5arrayIPcLm3EEEEviT0_T1_.uses_flat_scratch, 0
	.set _ZN2at6native29vectorized_elementwise_kernelILi4ENS0_13BinaryFunctorIN3c1014Float8_e8m0fnuES4_bNS0_12_GLOBAL__N_116CompareEqFunctorIS4_EEEESt5arrayIPcLm3EEEEviT0_T1_.has_dyn_sized_stack, 0
	.set _ZN2at6native29vectorized_elementwise_kernelILi4ENS0_13BinaryFunctorIN3c1014Float8_e8m0fnuES4_bNS0_12_GLOBAL__N_116CompareEqFunctorIS4_EEEESt5arrayIPcLm3EEEEviT0_T1_.has_recursion, 0
	.set _ZN2at6native29vectorized_elementwise_kernelILi4ENS0_13BinaryFunctorIN3c1014Float8_e8m0fnuES4_bNS0_12_GLOBAL__N_116CompareEqFunctorIS4_EEEESt5arrayIPcLm3EEEEviT0_T1_.has_indirect_call, 0
	.section	.AMDGPU.csdata,"",@progbits
; Kernel info:
; codeLenInByte = 8564
; TotalNumSgprs: 45
; NumVgprs: 42
; ScratchSize: 0
; MemoryBound: 0
; FloatMode: 240
; IeeeMode: 1
; LDSByteSize: 0 bytes/workgroup (compile time only)
; SGPRBlocks: 5
; VGPRBlocks: 10
; NumSGPRsForWavesPerEU: 45
; NumVGPRsForWavesPerEU: 42
; Occupancy: 5
; WaveLimiterHint : 1
; COMPUTE_PGM_RSRC2:SCRATCH_EN: 0
; COMPUTE_PGM_RSRC2:USER_SGPR: 6
; COMPUTE_PGM_RSRC2:TRAP_HANDLER: 0
; COMPUTE_PGM_RSRC2:TGID_X_EN: 1
; COMPUTE_PGM_RSRC2:TGID_Y_EN: 0
; COMPUTE_PGM_RSRC2:TGID_Z_EN: 0
; COMPUTE_PGM_RSRC2:TIDIG_COMP_CNT: 0
	.section	.text._ZN2at6native29vectorized_elementwise_kernelILi2ENS0_13BinaryFunctorIN3c1014Float8_e8m0fnuES4_bNS0_12_GLOBAL__N_116CompareEqFunctorIS4_EEEESt5arrayIPcLm3EEEEviT0_T1_,"axG",@progbits,_ZN2at6native29vectorized_elementwise_kernelILi2ENS0_13BinaryFunctorIN3c1014Float8_e8m0fnuES4_bNS0_12_GLOBAL__N_116CompareEqFunctorIS4_EEEESt5arrayIPcLm3EEEEviT0_T1_,comdat
	.globl	_ZN2at6native29vectorized_elementwise_kernelILi2ENS0_13BinaryFunctorIN3c1014Float8_e8m0fnuES4_bNS0_12_GLOBAL__N_116CompareEqFunctorIS4_EEEESt5arrayIPcLm3EEEEviT0_T1_ ; -- Begin function _ZN2at6native29vectorized_elementwise_kernelILi2ENS0_13BinaryFunctorIN3c1014Float8_e8m0fnuES4_bNS0_12_GLOBAL__N_116CompareEqFunctorIS4_EEEESt5arrayIPcLm3EEEEviT0_T1_
	.p2align	8
	.type	_ZN2at6native29vectorized_elementwise_kernelILi2ENS0_13BinaryFunctorIN3c1014Float8_e8m0fnuES4_bNS0_12_GLOBAL__N_116CompareEqFunctorIS4_EEEESt5arrayIPcLm3EEEEviT0_T1_,@function
_ZN2at6native29vectorized_elementwise_kernelILi2ENS0_13BinaryFunctorIN3c1014Float8_e8m0fnuES4_bNS0_12_GLOBAL__N_116CompareEqFunctorIS4_EEEESt5arrayIPcLm3EEEEviT0_T1_: ; @_ZN2at6native29vectorized_elementwise_kernelILi2ENS0_13BinaryFunctorIN3c1014Float8_e8m0fnuES4_bNS0_12_GLOBAL__N_116CompareEqFunctorIS4_EEEESt5arrayIPcLm3EEEEviT0_T1_
; %bb.0:
	s_load_dwordx2 s[2:3], s[4:5], 0x0
	s_load_dwordx4 s[8:11], s[4:5], 0x8
	s_load_dwordx2 s[14:15], s[4:5], 0x18
	s_lshl_b32 s33, s6, 12
	s_mov_b64 s[0:1], -1
	s_waitcnt lgkmcnt(0)
	s_sub_i32 s40, s2, s33
	s_cmpk_gt_i32 s40, 0xfff
	s_cbranch_scc0 .LBB312_2
; %bb.1:
	s_ashr_i32 s2, s33, 31
	s_add_u32 s0, s10, s33
	s_addc_u32 s1, s11, s2
	v_lshlrev_b32_e32 v1, 1, v0
	global_load_ushort v2, v1, s[0:1]
	global_load_ushort v3, v1, s[0:1] offset:512
	s_add_u32 s6, s14, s33
	s_addc_u32 s7, s15, s2
	global_load_ushort v4, v1, s[6:7]
	global_load_ushort v5, v1, s[6:7] offset:512
	global_load_ushort v9, v1, s[0:1] offset:1024
	;; [unrolled: 1-line block ×13, first 2 shown]
	s_movk_i32 s4, 0xff
	v_mov_b32_e32 v6, 23
	v_mov_b32_e32 v7, 0x7f800001
	;; [unrolled: 1-line block ×4, first 2 shown]
	s_cmp_eq_u32 s3, 0
	v_mov_b32_e32 v11, 1
	s_waitcnt vmcnt(15)
	v_lshlrev_b32_sdwa v23, v6, v2 dst_sel:DWORD dst_unused:UNUSED_PAD src0_sel:DWORD src1_sel:BYTE_0
	v_cmp_ne_u16_sdwa vcc, v2, s4 src0_sel:BYTE_0 src1_sel:DWORD
	v_lshlrev_b32_sdwa v24, v6, v2 dst_sel:DWORD dst_unused:UNUSED_PAD src0_sel:DWORD src1_sel:BYTE_1
	v_cndmask_b32_e32 v23, v7, v23, vcc
	v_cmp_ne_u16_sdwa vcc, v2, s4 src0_sel:BYTE_1 src1_sel:DWORD
	s_waitcnt vmcnt(14)
	v_lshlrev_b32_sdwa v25, v6, v3 dst_sel:DWORD dst_unused:UNUSED_PAD src0_sel:DWORD src1_sel:BYTE_0
	v_cndmask_b32_e32 v24, v7, v24, vcc
	v_cmp_ne_u16_sdwa vcc, v3, s4 src0_sel:BYTE_0 src1_sel:DWORD
	v_lshlrev_b32_sdwa v26, v6, v3 dst_sel:DWORD dst_unused:UNUSED_PAD src0_sel:DWORD src1_sel:BYTE_1
	v_cndmask_b32_e32 v25, v7, v25, vcc
	v_cmp_ne_u16_sdwa vcc, v3, s4 src0_sel:BYTE_1 src1_sel:DWORD
	v_cndmask_b32_e32 v26, v7, v26, vcc
	v_cmp_ne_u16_sdwa vcc, v2, v8 src0_sel:BYTE_0 src1_sel:DWORD
	v_cndmask_b32_e32 v23, v10, v23, vcc
	v_cmp_ne_u16_sdwa vcc, v2, v8 src0_sel:BYTE_1 src1_sel:DWORD
	v_cndmask_b32_e32 v2, v10, v24, vcc
	v_cmp_ne_u16_sdwa vcc, v3, v8 src0_sel:BYTE_0 src1_sel:DWORD
	v_cndmask_b32_e32 v25, v10, v25, vcc
	v_cmp_ne_u16_sdwa vcc, v3, v8 src0_sel:BYTE_1 src1_sel:DWORD
	s_waitcnt vmcnt(13)
	v_lshlrev_b32_sdwa v27, v6, v4 dst_sel:DWORD dst_unused:UNUSED_PAD src0_sel:DWORD src1_sel:BYTE_0
	v_cndmask_b32_e32 v3, v10, v26, vcc
	v_cmp_ne_u16_sdwa vcc, v4, s4 src0_sel:BYTE_0 src1_sel:DWORD
	v_lshlrev_b32_sdwa v24, v6, v4 dst_sel:DWORD dst_unused:UNUSED_PAD src0_sel:DWORD src1_sel:BYTE_1
	v_cndmask_b32_e32 v27, v7, v27, vcc
	v_cmp_ne_u16_sdwa vcc, v4, s4 src0_sel:BYTE_1 src1_sel:DWORD
	s_waitcnt vmcnt(12)
	v_lshlrev_b32_sdwa v28, v6, v5 dst_sel:DWORD dst_unused:UNUSED_PAD src0_sel:DWORD src1_sel:BYTE_0
	v_cndmask_b32_e32 v24, v7, v24, vcc
	v_cmp_ne_u16_sdwa vcc, v5, s4 src0_sel:BYTE_0 src1_sel:DWORD
	v_lshlrev_b32_sdwa v26, v6, v5 dst_sel:DWORD dst_unused:UNUSED_PAD src0_sel:DWORD src1_sel:BYTE_1
	v_cndmask_b32_e32 v28, v7, v28, vcc
	v_cmp_ne_u16_sdwa vcc, v5, s4 src0_sel:BYTE_1 src1_sel:DWORD
	v_cndmask_b32_e32 v26, v7, v26, vcc
	v_cmp_ne_u16_sdwa vcc, v4, v8 src0_sel:BYTE_0 src1_sel:DWORD
	v_cndmask_b32_e32 v27, v10, v27, vcc
	v_cmp_ne_u16_sdwa vcc, v4, v8 src0_sel:BYTE_1 src1_sel:DWORD
	v_cndmask_b32_e32 v4, v10, v24, vcc
	v_cmp_ne_u16_sdwa vcc, v5, v8 src0_sel:BYTE_0 src1_sel:DWORD
	v_cndmask_b32_e32 v24, v10, v28, vcc
	v_cmp_ne_u16_sdwa vcc, v5, v8 src0_sel:BYTE_1 src1_sel:DWORD
	v_cndmask_b32_e32 v5, v10, v26, vcc
	v_cmp_eq_f32_e32 vcc, v23, v27
	v_cndmask_b32_e64 v26, 0, 1, vcc
	v_cmp_neq_f32_e32 vcc, v23, v27
	v_cndmask_b32_e64 v23, 0, 1, vcc
	v_cmp_eq_f32_e32 vcc, v2, v4
	v_cndmask_b32_e64 v27, 0, 1, vcc
	v_cmp_neq_f32_e32 vcc, v2, v4
	v_cndmask_b32_e64 v2, 0, 1, vcc
	v_cmp_eq_f32_e32 vcc, v25, v24
	v_cndmask_b32_e64 v4, 0, 1, vcc
	v_cmp_neq_f32_e32 vcc, v25, v24
	v_cmp_neq_f32_e64 s[0:1], v3, v5
	v_cndmask_b32_e64 v24, 0, 1, vcc
	v_cmp_eq_f32_e32 vcc, v3, v5
	v_cndmask_b32_e64 v3, 0, 1, s[0:1]
	s_waitcnt vmcnt(11)
	v_lshlrev_b32_sdwa v5, v6, v9 dst_sel:DWORD dst_unused:UNUSED_PAD src0_sel:DWORD src1_sel:BYTE_0
	v_cmp_ne_u16_sdwa s[0:1], v9, s4 src0_sel:BYTE_0 src1_sel:DWORD
	v_cndmask_b32_e64 v25, 0, 1, vcc
	s_cselect_b64 vcc, -1, 0
	v_cndmask_b32_e64 v5, v7, v5, s[0:1]
	v_cmp_ne_u16_sdwa s[0:1], v9, v8 src0_sel:BYTE_0 src1_sel:DWORD
	v_cndmask_b32_e32 v4, v24, v4, vcc
	v_cndmask_b32_e64 v5, v10, v5, s[0:1]
	s_waitcnt vmcnt(10)
	v_lshlrev_b32_sdwa v24, v6, v12 dst_sel:DWORD dst_unused:UNUSED_PAD src0_sel:DWORD src1_sel:BYTE_0
	v_cmp_ne_u16_sdwa s[0:1], v12, s4 src0_sel:BYTE_0 src1_sel:DWORD
	v_cndmask_b32_e64 v24, v7, v24, s[0:1]
	v_cmp_ne_u16_sdwa s[0:1], v12, v8 src0_sel:BYTE_0 src1_sel:DWORD
	v_cndmask_b32_e64 v24, v10, v24, s[0:1]
	v_cmp_eq_f32_e64 s[0:1], v5, v24
	v_cndmask_b32_e32 v3, v3, v25, vcc
	v_cndmask_b32_e64 v25, 0, 1, s[0:1]
	v_cmp_neq_f32_e64 s[0:1], v5, v24
	v_cndmask_b32_e64 v5, 0, 1, s[0:1]
	v_lshlrev_b32_sdwa v24, v6, v9 dst_sel:DWORD dst_unused:UNUSED_PAD src0_sel:DWORD src1_sel:BYTE_1
	v_cmp_ne_u16_sdwa s[0:1], v9, s4 src0_sel:BYTE_1 src1_sel:DWORD
	v_cndmask_b32_e64 v24, v7, v24, s[0:1]
	v_cmp_ne_u16_sdwa s[0:1], v9, v8 src0_sel:BYTE_1 src1_sel:DWORD
	v_cndmask_b32_e64 v9, v10, v24, s[0:1]
	v_lshlrev_b32_sdwa v24, v6, v12 dst_sel:DWORD dst_unused:UNUSED_PAD src0_sel:DWORD src1_sel:BYTE_1
	v_cmp_ne_u16_sdwa s[0:1], v12, s4 src0_sel:BYTE_1 src1_sel:DWORD
	v_cndmask_b32_e64 v24, v7, v24, s[0:1]
	v_cmp_ne_u16_sdwa s[0:1], v12, v8 src0_sel:BYTE_1 src1_sel:DWORD
	v_cndmask_b32_e64 v12, v10, v24, s[0:1]
	v_cmp_eq_f32_e64 s[0:1], v9, v12
	v_cndmask_b32_e64 v24, 0, 1, s[0:1]
	v_cmp_neq_f32_e64 s[0:1], v9, v12
	v_cndmask_b32_e64 v9, 0, 1, s[0:1]
	s_waitcnt vmcnt(9)
	v_lshlrev_b32_sdwa v12, v6, v13 dst_sel:DWORD dst_unused:UNUSED_PAD src0_sel:DWORD src1_sel:BYTE_0
	v_cmp_ne_u16_sdwa s[0:1], v13, s4 src0_sel:BYTE_0 src1_sel:DWORD
	v_cndmask_b32_e64 v12, v7, v12, s[0:1]
	v_cmp_ne_u16_sdwa s[0:1], v13, v8 src0_sel:BYTE_0 src1_sel:DWORD
	v_cndmask_b32_e32 v9, v9, v24, vcc
	v_cndmask_b32_e64 v12, v10, v12, s[0:1]
	s_waitcnt vmcnt(4)
	v_lshlrev_b32_sdwa v24, v6, v18 dst_sel:DWORD dst_unused:UNUSED_PAD src0_sel:DWORD src1_sel:BYTE_0
	v_cmp_ne_u16_sdwa s[0:1], v18, s4 src0_sel:BYTE_0 src1_sel:DWORD
	v_cndmask_b32_e64 v24, v7, v24, s[0:1]
	v_cmp_ne_u16_sdwa s[0:1], v18, v8 src0_sel:BYTE_0 src1_sel:DWORD
	v_cndmask_b32_e64 v24, v10, v24, s[0:1]
	v_cmp_eq_f32_e64 s[0:1], v12, v24
	v_cndmask_b32_e32 v5, v5, v25, vcc
	v_cndmask_b32_e64 v25, 0, 1, s[0:1]
	v_cmp_neq_f32_e64 s[0:1], v12, v24
	v_cndmask_b32_e64 v12, 0, 1, s[0:1]
	v_lshlrev_b32_sdwa v24, v6, v13 dst_sel:DWORD dst_unused:UNUSED_PAD src0_sel:DWORD src1_sel:BYTE_1
	v_cmp_ne_u16_sdwa s[0:1], v13, s4 src0_sel:BYTE_1 src1_sel:DWORD
	v_cndmask_b32_e64 v24, v7, v24, s[0:1]
	v_cmp_ne_u16_sdwa s[0:1], v13, v8 src0_sel:BYTE_1 src1_sel:DWORD
	v_cndmask_b32_e64 v13, v10, v24, s[0:1]
	v_lshlrev_b32_sdwa v24, v6, v18 dst_sel:DWORD dst_unused:UNUSED_PAD src0_sel:DWORD src1_sel:BYTE_1
	v_cmp_ne_u16_sdwa s[0:1], v18, s4 src0_sel:BYTE_1 src1_sel:DWORD
	v_cndmask_b32_e64 v24, v7, v24, s[0:1]
	v_cmp_ne_u16_sdwa s[0:1], v18, v8 src0_sel:BYTE_1 src1_sel:DWORD
	v_cndmask_b32_e64 v18, v10, v24, s[0:1]
	v_cmp_eq_f32_e64 s[0:1], v13, v18
	v_cndmask_b32_e64 v24, 0, 1, s[0:1]
	v_cmp_neq_f32_e64 s[0:1], v13, v18
	v_cndmask_b32_e64 v13, 0, 1, s[0:1]
	v_lshlrev_b32_sdwa v18, v6, v14 dst_sel:DWORD dst_unused:UNUSED_PAD src0_sel:DWORD src1_sel:BYTE_0
	v_cmp_ne_u16_sdwa s[0:1], v14, s4 src0_sel:BYTE_0 src1_sel:DWORD
	v_cndmask_b32_e64 v18, v7, v18, s[0:1]
	v_cmp_ne_u16_sdwa s[0:1], v14, v8 src0_sel:BYTE_0 src1_sel:DWORD
	v_cndmask_b32_e32 v13, v13, v24, vcc
	v_cndmask_b32_e64 v18, v10, v18, s[0:1]
	s_waitcnt vmcnt(3)
	v_lshlrev_b32_sdwa v24, v6, v19 dst_sel:DWORD dst_unused:UNUSED_PAD src0_sel:DWORD src1_sel:BYTE_0
	v_cmp_ne_u16_sdwa s[0:1], v19, s4 src0_sel:BYTE_0 src1_sel:DWORD
	v_cndmask_b32_e64 v24, v7, v24, s[0:1]
	v_cmp_ne_u16_sdwa s[0:1], v19, v8 src0_sel:BYTE_0 src1_sel:DWORD
	v_cndmask_b32_e64 v24, v10, v24, s[0:1]
	v_cmp_eq_f32_e64 s[0:1], v18, v24
	v_cndmask_b32_e32 v12, v12, v25, vcc
	v_cndmask_b32_e64 v25, 0, 1, s[0:1]
	v_cmp_neq_f32_e64 s[0:1], v18, v24
	v_cndmask_b32_e64 v18, 0, 1, s[0:1]
	v_lshlrev_b32_sdwa v24, v6, v14 dst_sel:DWORD dst_unused:UNUSED_PAD src0_sel:DWORD src1_sel:BYTE_1
	v_cmp_ne_u16_sdwa s[0:1], v14, s4 src0_sel:BYTE_1 src1_sel:DWORD
	v_cndmask_b32_e64 v24, v7, v24, s[0:1]
	v_cmp_ne_u16_sdwa s[0:1], v14, v8 src0_sel:BYTE_1 src1_sel:DWORD
	v_cndmask_b32_e64 v14, v10, v24, s[0:1]
	v_lshlrev_b32_sdwa v24, v6, v19 dst_sel:DWORD dst_unused:UNUSED_PAD src0_sel:DWORD src1_sel:BYTE_1
	v_cmp_ne_u16_sdwa s[0:1], v19, s4 src0_sel:BYTE_1 src1_sel:DWORD
	v_cndmask_b32_e64 v24, v7, v24, s[0:1]
	v_cmp_ne_u16_sdwa s[0:1], v19, v8 src0_sel:BYTE_1 src1_sel:DWORD
	v_cndmask_b32_e64 v19, v10, v24, s[0:1]
	v_cmp_eq_f32_e64 s[0:1], v14, v19
	v_cndmask_b32_e64 v24, 0, 1, s[0:1]
	v_cmp_neq_f32_e64 s[0:1], v14, v19
	v_cndmask_b32_e64 v14, 0, 1, s[0:1]
	;; [unrolled: 31-line block ×4, first 2 shown]
	v_lshlrev_b32_sdwa v21, v6, v17 dst_sel:DWORD dst_unused:UNUSED_PAD src0_sel:DWORD src1_sel:BYTE_0
	v_cmp_ne_u16_sdwa s[0:1], v17, s4 src0_sel:BYTE_0 src1_sel:DWORD
	v_cndmask_b32_e64 v21, v7, v21, s[0:1]
	v_cmp_ne_u16_sdwa s[0:1], v17, v8 src0_sel:BYTE_0 src1_sel:DWORD
	v_cndmask_b32_e32 v16, v16, v24, vcc
	v_cndmask_b32_e64 v21, v10, v21, s[0:1]
	s_waitcnt vmcnt(0)
	v_lshlrev_b32_sdwa v24, v6, v22 dst_sel:DWORD dst_unused:UNUSED_PAD src0_sel:DWORD src1_sel:BYTE_0
	v_cmp_ne_u16_sdwa s[0:1], v22, s4 src0_sel:BYTE_0 src1_sel:DWORD
	v_cndmask_b32_e64 v24, v7, v24, s[0:1]
	v_cmp_ne_u16_sdwa s[0:1], v22, v8 src0_sel:BYTE_0 src1_sel:DWORD
	v_cndmask_b32_e64 v24, v10, v24, s[0:1]
	v_cmp_eq_f32_e64 s[0:1], v21, v24
	v_cndmask_b32_e32 v20, v20, v25, vcc
	v_cndmask_b32_e64 v25, 0, 1, s[0:1]
	v_cmp_neq_f32_e64 s[0:1], v21, v24
	v_cndmask_b32_e64 v21, 0, 1, s[0:1]
	v_lshlrev_b32_sdwa v24, v6, v17 dst_sel:DWORD dst_unused:UNUSED_PAD src0_sel:DWORD src1_sel:BYTE_1
	v_cmp_ne_u16_sdwa s[0:1], v17, s4 src0_sel:BYTE_1 src1_sel:DWORD
	v_cndmask_b32_e64 v24, v7, v24, s[0:1]
	v_cmp_ne_u16_sdwa s[0:1], v17, v8 src0_sel:BYTE_1 src1_sel:DWORD
	v_cndmask_b32_e64 v17, v10, v24, s[0:1]
	v_lshlrev_b32_sdwa v6, v6, v22 dst_sel:DWORD dst_unused:UNUSED_PAD src0_sel:DWORD src1_sel:BYTE_1
	v_cmp_ne_u16_sdwa s[0:1], v22, s4 src0_sel:BYTE_1 src1_sel:DWORD
	v_cndmask_b32_e64 v6, v7, v6, s[0:1]
	v_cmp_ne_u16_sdwa s[0:1], v22, v8 src0_sel:BYTE_1 src1_sel:DWORD
	v_cndmask_b32_e64 v6, v10, v6, s[0:1]
	v_cmp_eq_f32_e64 s[0:1], v17, v6
	v_cndmask_b32_e64 v7, 0, 1, s[0:1]
	v_cmp_neq_f32_e64 s[0:1], v17, v6
	v_cndmask_b32_e32 v23, v23, v26, vcc
	v_cndmask_b32_e32 v2, v2, v27, vcc
	v_cndmask_b32_e64 v6, 0, 1, s[0:1]
	v_and_b32_e32 v23, 1, v23
	v_and_b32_sdwa v2, v2, v11 dst_sel:BYTE_1 dst_unused:UNUSED_PAD src0_sel:DWORD src1_sel:DWORD
	v_cndmask_b32_e32 v21, v21, v25, vcc
	v_cndmask_b32_e32 v6, v6, v7, vcc
	s_add_u32 s0, s8, s33
	v_and_b32_e32 v4, 1, v4
	v_and_b32_sdwa v3, v3, v11 dst_sel:BYTE_1 dst_unused:UNUSED_PAD src0_sel:DWORD src1_sel:DWORD
	v_and_b32_e32 v5, 1, v5
	v_and_b32_sdwa v9, v9, v11 dst_sel:BYTE_1 dst_unused:UNUSED_PAD src0_sel:DWORD src1_sel:DWORD
	;; [unrolled: 2-line block ×7, first 2 shown]
	v_or_b32_e32 v2, v23, v2
	s_addc_u32 s1, s9, s2
	v_or_b32_e32 v6, v21, v6
	v_or_b32_e32 v7, v20, v16
	;; [unrolled: 1-line block ×7, first 2 shown]
	global_store_short v1, v2, s[0:1]
	global_store_short v1, v3, s[0:1] offset:512
	global_store_short v1, v5, s[0:1] offset:1024
	;; [unrolled: 1-line block ×7, first 2 shown]
	s_mov_b64 s[0:1], 0
.LBB312_2:
	s_andn2_b64 vcc, exec, s[0:1]
	s_cbranch_vccnz .LBB312_83
; %bb.3:
	v_cmp_gt_i32_e32 vcc, s40, v0
	v_mov_b32_e32 v5, 0
	v_or_b32_e32 v6, s33, v0
	v_mov_b32_e32 v9, 0
	v_mov_b32_e32 v7, 0
	;; [unrolled: 1-line block ×32, first 2 shown]
	s_and_saveexec_b64 s[4:5], vcc
	s_cbranch_execz .LBB312_35
; %bb.4:
	global_load_ubyte v38, v6, s[10:11]
	global_load_ubyte v37, v6, s[14:15]
	v_or_b32_e32 v1, 0x100, v0
	v_cmp_gt_u32_e64 s[0:1], s40, v1
	v_mov_b32_e32 v35, 0
	v_mov_b32_e32 v36, 0
	;; [unrolled: 1-line block ×30, first 2 shown]
	s_and_saveexec_b64 s[6:7], s[0:1]
	s_cbranch_execz .LBB312_34
; %bb.5:
	v_add_u32_e32 v3, s33, v0
	global_load_ubyte v36, v3, s[10:11] offset:256
	global_load_ubyte v35, v3, s[14:15] offset:256
	v_or_b32_e32 v1, 0x200, v0
	v_mov_b32_e32 v33, 0
	v_cmp_gt_u32_e64 s[0:1], s40, v1
	v_mov_b32_e32 v34, 0
	v_mov_b32_e32 v31, 0
	;; [unrolled: 1-line block ×27, first 2 shown]
	s_and_saveexec_b64 s[12:13], s[0:1]
	s_cbranch_execz .LBB312_33
; %bb.6:
	v_mov_b32_e32 v2, s11
	v_add_co_u32_e64 v1, s[0:1], s10, v3
	v_addc_co_u32_e64 v2, s[0:1], 0, v2, s[0:1]
	v_mov_b32_e32 v4, s15
	v_add_co_u32_e64 v3, s[0:1], s14, v3
	v_addc_co_u32_e64 v4, s[0:1], 0, v4, s[0:1]
	global_load_ubyte v34, v[1:2], off offset:512
	global_load_ubyte v33, v[3:4], off offset:512
	v_or_b32_e32 v7, 0x300, v0
	v_cmp_gt_u32_e64 s[0:1], s40, v7
	v_mov_b32_e32 v31, 0
	v_mov_b32_e32 v32, 0
	;; [unrolled: 1-line block ×26, first 2 shown]
	s_and_saveexec_b64 s[10:11], s[0:1]
	s_cbranch_execz .LBB312_32
; %bb.7:
	global_load_ubyte v32, v[1:2], off offset:768
	global_load_ubyte v31, v[3:4], off offset:768
	v_or_b32_e32 v7, 0x400, v0
	v_cmp_gt_u32_e64 s[0:1], s40, v7
	v_mov_b32_e32 v29, 0
	v_mov_b32_e32 v30, 0
	;; [unrolled: 1-line block ×24, first 2 shown]
	s_and_saveexec_b64 s[14:15], s[0:1]
	s_cbranch_execz .LBB312_31
; %bb.8:
	global_load_ubyte v30, v[1:2], off offset:1024
	global_load_ubyte v29, v[3:4], off offset:1024
	v_or_b32_e32 v7, 0x500, v0
	v_cmp_gt_u32_e64 s[0:1], s40, v7
	v_mov_b32_e32 v27, 0
	v_mov_b32_e32 v28, 0
	;; [unrolled: 1-line block ×22, first 2 shown]
	s_and_saveexec_b64 s[16:17], s[0:1]
	s_cbranch_execz .LBB312_30
; %bb.9:
	global_load_ubyte v28, v[1:2], off offset:1280
	global_load_ubyte v27, v[3:4], off offset:1280
	v_or_b32_e32 v7, 0x600, v0
	v_cmp_gt_u32_e64 s[0:1], s40, v7
	v_mov_b32_e32 v25, 0
	v_mov_b32_e32 v26, 0
	;; [unrolled: 1-line block ×20, first 2 shown]
	s_and_saveexec_b64 s[18:19], s[0:1]
	s_cbranch_execz .LBB312_29
; %bb.10:
	global_load_ubyte v26, v[1:2], off offset:1536
	global_load_ubyte v25, v[3:4], off offset:1536
	v_or_b32_e32 v7, 0x700, v0
	v_cmp_gt_u32_e64 s[0:1], s40, v7
	v_mov_b32_e32 v23, 0
	v_mov_b32_e32 v24, 0
	;; [unrolled: 1-line block ×18, first 2 shown]
	s_and_saveexec_b64 s[20:21], s[0:1]
	s_cbranch_execz .LBB312_28
; %bb.11:
	global_load_ubyte v24, v[1:2], off offset:1792
	global_load_ubyte v23, v[3:4], off offset:1792
	v_or_b32_e32 v7, 0x800, v0
	v_cmp_gt_u32_e64 s[0:1], s40, v7
	v_mov_b32_e32 v21, 0
	v_mov_b32_e32 v22, 0
	;; [unrolled: 1-line block ×16, first 2 shown]
	s_and_saveexec_b64 s[22:23], s[0:1]
	s_cbranch_execz .LBB312_27
; %bb.12:
	global_load_ubyte v22, v[1:2], off offset:2048
	global_load_ubyte v21, v[3:4], off offset:2048
	v_or_b32_e32 v7, 0x900, v0
	v_cmp_gt_u32_e64 s[0:1], s40, v7
	v_mov_b32_e32 v19, 0
	v_mov_b32_e32 v20, 0
	;; [unrolled: 1-line block ×14, first 2 shown]
	s_and_saveexec_b64 s[24:25], s[0:1]
	s_cbranch_execz .LBB312_26
; %bb.13:
	global_load_ubyte v20, v[1:2], off offset:2304
	global_load_ubyte v19, v[3:4], off offset:2304
	v_or_b32_e32 v7, 0xa00, v0
	v_cmp_gt_u32_e64 s[0:1], s40, v7
	v_mov_b32_e32 v17, 0
	v_mov_b32_e32 v18, 0
	;; [unrolled: 1-line block ×12, first 2 shown]
	s_and_saveexec_b64 s[26:27], s[0:1]
	s_cbranch_execz .LBB312_25
; %bb.14:
	global_load_ubyte v18, v[1:2], off offset:2560
	global_load_ubyte v17, v[3:4], off offset:2560
	v_or_b32_e32 v7, 0xb00, v0
	v_cmp_gt_u32_e64 s[0:1], s40, v7
	v_mov_b32_e32 v15, 0
	v_mov_b32_e32 v16, 0
	v_mov_b32_e32 v13, 0
	v_mov_b32_e32 v14, 0
	v_mov_b32_e32 v11, 0
	v_mov_b32_e32 v12, 0
	v_mov_b32_e32 v8, 0
	v_mov_b32_e32 v10, 0
	v_mov_b32_e32 v7, 0
	v_mov_b32_e32 v9, 0
	s_and_saveexec_b64 s[28:29], s[0:1]
	s_cbranch_execz .LBB312_24
; %bb.15:
	global_load_ubyte v16, v[1:2], off offset:2816
	global_load_ubyte v15, v[3:4], off offset:2816
	v_or_b32_e32 v7, 0xc00, v0
	v_cmp_gt_u32_e64 s[0:1], s40, v7
	v_mov_b32_e32 v13, 0
	v_mov_b32_e32 v14, 0
	;; [unrolled: 1-line block ×8, first 2 shown]
	s_and_saveexec_b64 s[30:31], s[0:1]
	s_cbranch_execz .LBB312_23
; %bb.16:
	global_load_ubyte v14, v[1:2], off offset:3072
	global_load_ubyte v13, v[3:4], off offset:3072
	v_or_b32_e32 v7, 0xd00, v0
	v_cmp_gt_u32_e64 s[0:1], s40, v7
	v_mov_b32_e32 v11, 0
	v_mov_b32_e32 v12, 0
	v_mov_b32_e32 v8, 0
	v_mov_b32_e32 v10, 0
	v_mov_b32_e32 v7, 0
	v_mov_b32_e32 v9, 0
	s_and_saveexec_b64 s[34:35], s[0:1]
	s_cbranch_execz .LBB312_22
; %bb.17:
	global_load_ubyte v12, v[1:2], off offset:3328
	global_load_ubyte v11, v[3:4], off offset:3328
	v_or_b32_e32 v7, 0xe00, v0
	v_cmp_gt_u32_e64 s[0:1], s40, v7
	v_mov_b32_e32 v8, 0
	v_mov_b32_e32 v10, 0
	;; [unrolled: 1-line block ×4, first 2 shown]
	s_and_saveexec_b64 s[36:37], s[0:1]
	s_cbranch_execz .LBB312_21
; %bb.18:
	global_load_ubyte v10, v[1:2], off offset:3584
	global_load_ubyte v8, v[3:4], off offset:3584
	v_or_b32_e32 v7, 0xf00, v0
	v_cmp_gt_u32_e64 s[0:1], s40, v7
	v_mov_b32_e32 v7, 0
	v_mov_b32_e32 v9, 0
	s_and_saveexec_b64 s[38:39], s[0:1]
	s_cbranch_execz .LBB312_20
; %bb.19:
	global_load_ubyte v9, v[1:2], off offset:3840
	global_load_ubyte v7, v[3:4], off offset:3840
.LBB312_20:
	s_or_b64 exec, exec, s[38:39]
.LBB312_21:
	s_or_b64 exec, exec, s[36:37]
.LBB312_22:
	s_or_b64 exec, exec, s[34:35]
.LBB312_23:
	s_or_b64 exec, exec, s[30:31]
.LBB312_24:
	s_or_b64 exec, exec, s[28:29]
.LBB312_25:
	s_or_b64 exec, exec, s[26:27]
.LBB312_26:
	s_or_b64 exec, exec, s[24:25]
.LBB312_27:
	s_or_b64 exec, exec, s[22:23]
.LBB312_28:
	s_or_b64 exec, exec, s[20:21]
.LBB312_29:
	s_or_b64 exec, exec, s[18:19]
.LBB312_30:
	s_or_b64 exec, exec, s[16:17]
.LBB312_31:
	s_or_b64 exec, exec, s[14:15]
.LBB312_32:
	s_or_b64 exec, exec, s[10:11]
.LBB312_33:
	s_or_b64 exec, exec, s[12:13]
.LBB312_34:
	s_or_b64 exec, exec, s[6:7]
.LBB312_35:
	s_or_b64 exec, exec, s[4:5]
	s_cmp_eq_u32 s3, 0
	s_cselect_b64 s[0:1], -1, 0
	v_mov_b32_e32 v3, v5
	v_mov_b32_e32 v2, v5
	;; [unrolled: 1-line block ×3, first 2 shown]
	s_and_saveexec_b64 s[4:5], vcc
	s_cbranch_execz .LBB312_37
; %bb.36:
	s_movk_i32 s6, 0xff
	v_mov_b32_e32 v1, 23
	s_waitcnt vmcnt(1)
	v_lshlrev_b32_sdwa v2, v1, v38 dst_sel:DWORD dst_unused:UNUSED_PAD src0_sel:DWORD src1_sel:BYTE_0
	v_mov_b32_e32 v4, 0x7f800001
	v_cmp_ne_u16_sdwa s[2:3], v38, s6 src0_sel:BYTE_0 src1_sel:DWORD
	v_mov_b32_e32 v3, 0
	v_cndmask_b32_e64 v2, v4, v2, s[2:3]
	v_mov_b32_e32 v5, 0x400000
	v_cmp_ne_u16_sdwa s[2:3], v38, v3 src0_sel:BYTE_0 src1_sel:DWORD
	v_cndmask_b32_e64 v2, v5, v2, s[2:3]
	s_waitcnt vmcnt(0)
	v_lshlrev_b32_sdwa v1, v1, v37 dst_sel:DWORD dst_unused:UNUSED_PAD src0_sel:DWORD src1_sel:BYTE_0
	v_cmp_ne_u16_sdwa s[2:3], v37, s6 src0_sel:BYTE_0 src1_sel:DWORD
	v_cndmask_b32_e64 v1, v4, v1, s[2:3]
	v_cmp_ne_u16_sdwa s[2:3], v37, v3 src0_sel:BYTE_0 src1_sel:DWORD
	v_cndmask_b32_e64 v1, v5, v1, s[2:3]
	v_cmp_eq_f32_e64 s[2:3], v2, v1
	v_cndmask_b32_e64 v4, 0, 1, s[2:3]
	v_cmp_neq_f32_e64 s[2:3], v2, v1
	v_cndmask_b32_e64 v1, 0, 1, s[2:3]
	v_cndmask_b32_e64 v1, v1, v4, s[0:1]
	v_and_b32_e32 v1, 1, v1
	v_and_b32_e32 v5, 0xffff, v1
	v_mov_b32_e32 v2, v3
	v_mov_b32_e32 v1, v3
.LBB312_37:
	s_or_b64 exec, exec, s[4:5]
	v_or_b32_e32 v4, 0x100, v0
	v_cmp_gt_i32_e64 s[2:3], s40, v4
	s_and_saveexec_b64 s[4:5], s[2:3]
	s_cbranch_execz .LBB312_39
; %bb.38:
	s_movk_i32 s6, 0xff
	s_waitcnt vmcnt(0)
	v_mov_b32_e32 v37, 23
	v_lshlrev_b32_sdwa v38, v37, v36 dst_sel:DWORD dst_unused:UNUSED_PAD src0_sel:DWORD src1_sel:BYTE_0
	v_mov_b32_e32 v39, 0x7f800001
	v_cmp_ne_u16_sdwa s[2:3], v36, s6 src0_sel:BYTE_0 src1_sel:DWORD
	v_mov_b32_e32 v40, 0
	v_cndmask_b32_e64 v38, v39, v38, s[2:3]
	v_mov_b32_e32 v41, 0x400000
	v_cmp_ne_u16_sdwa s[2:3], v36, v40 src0_sel:BYTE_0 src1_sel:DWORD
	v_cndmask_b32_e64 v36, v41, v38, s[2:3]
	v_lshlrev_b32_sdwa v37, v37, v35 dst_sel:DWORD dst_unused:UNUSED_PAD src0_sel:DWORD src1_sel:BYTE_0
	v_cmp_ne_u16_sdwa s[2:3], v35, s6 src0_sel:BYTE_0 src1_sel:DWORD
	v_cndmask_b32_e64 v37, v39, v37, s[2:3]
	v_cmp_ne_u16_sdwa s[2:3], v35, v40 src0_sel:BYTE_0 src1_sel:DWORD
	v_cndmask_b32_e64 v35, v41, v37, s[2:3]
	v_cmp_eq_f32_e64 s[2:3], v36, v35
	v_cndmask_b32_e64 v37, 0, 1, s[2:3]
	v_cmp_neq_f32_e64 s[2:3], v36, v35
	v_cndmask_b32_e64 v35, 0, 1, s[2:3]
	v_cndmask_b32_e64 v35, v35, v37, s[0:1]
	v_mov_b32_e32 v36, 1
	v_and_b32_sdwa v35, v35, v36 dst_sel:BYTE_1 dst_unused:UNUSED_PAD src0_sel:DWORD src1_sel:DWORD
	v_or_b32_sdwa v35, v5, v35 dst_sel:DWORD dst_unused:UNUSED_PAD src0_sel:BYTE_0 src1_sel:DWORD
	v_and_b32_e32 v35, 0xffff, v35
	s_mov_b32 s2, 0xffff0000
	v_and_or_b32 v5, v5, s2, v35
.LBB312_39:
	s_or_b64 exec, exec, s[4:5]
	s_waitcnt vmcnt(0)
	v_or_b32_e32 v35, 0x200, v0
	v_cmp_gt_i32_e64 s[2:3], s40, v35
	s_and_saveexec_b64 s[4:5], s[2:3]
	s_cbranch_execz .LBB312_41
; %bb.40:
	s_movk_i32 s2, 0xff00
	s_movk_i32 s6, 0xff
	v_mov_b32_e32 v36, 23
	v_and_b32_sdwa v35, v5, s2 dst_sel:DWORD dst_unused:UNUSED_PAD src0_sel:WORD_1 src1_sel:DWORD
	v_lshlrev_b32_sdwa v37, v36, v34 dst_sel:DWORD dst_unused:UNUSED_PAD src0_sel:DWORD src1_sel:BYTE_0
	v_mov_b32_e32 v38, 0x7f800001
	v_cmp_ne_u16_sdwa s[2:3], v34, s6 src0_sel:BYTE_0 src1_sel:DWORD
	v_mov_b32_e32 v39, 0
	v_cndmask_b32_e64 v37, v38, v37, s[2:3]
	v_mov_b32_e32 v40, 0x400000
	v_cmp_ne_u16_sdwa s[2:3], v34, v39 src0_sel:BYTE_0 src1_sel:DWORD
	v_cndmask_b32_e64 v34, v40, v37, s[2:3]
	v_lshlrev_b32_sdwa v36, v36, v33 dst_sel:DWORD dst_unused:UNUSED_PAD src0_sel:DWORD src1_sel:BYTE_0
	v_cmp_ne_u16_sdwa s[2:3], v33, s6 src0_sel:BYTE_0 src1_sel:DWORD
	v_cndmask_b32_e64 v36, v38, v36, s[2:3]
	v_cmp_ne_u16_sdwa s[2:3], v33, v39 src0_sel:BYTE_0 src1_sel:DWORD
	v_cndmask_b32_e64 v33, v40, v36, s[2:3]
	v_cmp_eq_f32_e64 s[2:3], v34, v33
	v_cndmask_b32_e64 v36, 0, 1, s[2:3]
	v_cmp_neq_f32_e64 s[2:3], v34, v33
	v_cndmask_b32_e64 v33, 0, 1, s[2:3]
	v_cndmask_b32_e64 v33, v33, v36, s[0:1]
	v_and_b32_e32 v33, 1, v33
	v_or_b32_sdwa v33, v33, v35 dst_sel:WORD_1 dst_unused:UNUSED_PAD src0_sel:DWORD src1_sel:DWORD
	s_mov_b32 s2, 0xffff
	v_and_or_b32 v5, v5, s2, v33
.LBB312_41:
	s_or_b64 exec, exec, s[4:5]
	v_or_b32_e32 v33, 0x300, v0
	v_cmp_gt_i32_e64 s[2:3], s40, v33
	s_and_saveexec_b64 s[4:5], s[2:3]
	s_cbranch_execz .LBB312_43
; %bb.42:
	s_movk_i32 s6, 0xff
	v_mov_b32_e32 v34, 23
	v_lshlrev_b32_sdwa v35, v34, v32 dst_sel:DWORD dst_unused:UNUSED_PAD src0_sel:DWORD src1_sel:BYTE_0
	v_mov_b32_e32 v36, 0x7f800001
	v_cmp_ne_u16_sdwa s[2:3], v32, s6 src0_sel:BYTE_0 src1_sel:DWORD
	v_mov_b32_e32 v37, 0
	v_cndmask_b32_e64 v35, v36, v35, s[2:3]
	v_mov_b32_e32 v38, 0x400000
	v_cmp_ne_u16_sdwa s[2:3], v32, v37 src0_sel:BYTE_0 src1_sel:DWORD
	v_cndmask_b32_e64 v32, v38, v35, s[2:3]
	v_lshlrev_b32_sdwa v34, v34, v31 dst_sel:DWORD dst_unused:UNUSED_PAD src0_sel:DWORD src1_sel:BYTE_0
	v_cmp_ne_u16_sdwa s[2:3], v31, s6 src0_sel:BYTE_0 src1_sel:DWORD
	v_cndmask_b32_e64 v34, v36, v34, s[2:3]
	v_cmp_ne_u16_sdwa s[2:3], v31, v37 src0_sel:BYTE_0 src1_sel:DWORD
	v_cndmask_b32_e64 v31, v38, v34, s[2:3]
	v_cmp_eq_f32_e64 s[2:3], v32, v31
	v_cndmask_b32_e64 v34, 0, 1, s[2:3]
	v_cmp_neq_f32_e64 s[2:3], v32, v31
	v_cndmask_b32_e64 v31, 0, 1, s[2:3]
	v_cndmask_b32_e64 v31, v31, v34, s[0:1]
	v_mov_b32_e32 v32, 1
	v_and_b32_sdwa v33, v5, s6 dst_sel:DWORD dst_unused:UNUSED_PAD src0_sel:WORD_1 src1_sel:DWORD
	v_and_b32_sdwa v31, v31, v32 dst_sel:BYTE_1 dst_unused:UNUSED_PAD src0_sel:DWORD src1_sel:DWORD
	v_or_b32_sdwa v31, v33, v31 dst_sel:WORD_1 dst_unused:UNUSED_PAD src0_sel:DWORD src1_sel:DWORD
	s_mov_b32 s2, 0xffff
	v_and_or_b32 v5, v5, s2, v31
.LBB312_43:
	s_or_b64 exec, exec, s[4:5]
	v_or_b32_e32 v31, 0x400, v0
	v_cmp_gt_i32_e64 s[2:3], s40, v31
	s_and_saveexec_b64 s[4:5], s[2:3]
	s_cbranch_execz .LBB312_45
; %bb.44:
	s_movk_i32 s6, 0xff
	v_mov_b32_e32 v32, 23
	v_lshlrev_b32_sdwa v33, v32, v30 dst_sel:DWORD dst_unused:UNUSED_PAD src0_sel:DWORD src1_sel:BYTE_0
	v_mov_b32_e32 v34, 0x7f800001
	v_cmp_ne_u16_sdwa s[2:3], v30, s6 src0_sel:BYTE_0 src1_sel:DWORD
	v_mov_b32_e32 v35, 0
	v_cndmask_b32_e64 v33, v34, v33, s[2:3]
	v_mov_b32_e32 v36, 0x400000
	v_cmp_ne_u16_sdwa s[2:3], v30, v35 src0_sel:BYTE_0 src1_sel:DWORD
	v_cndmask_b32_e64 v30, v36, v33, s[2:3]
	v_lshlrev_b32_sdwa v32, v32, v29 dst_sel:DWORD dst_unused:UNUSED_PAD src0_sel:DWORD src1_sel:BYTE_0
	v_cmp_ne_u16_sdwa s[2:3], v29, s6 src0_sel:BYTE_0 src1_sel:DWORD
	v_cndmask_b32_e64 v32, v34, v32, s[2:3]
	v_cmp_ne_u16_sdwa s[2:3], v29, v35 src0_sel:BYTE_0 src1_sel:DWORD
	v_cndmask_b32_e64 v29, v36, v32, s[2:3]
	v_cmp_eq_f32_e64 s[2:3], v30, v29
	v_cndmask_b32_e64 v32, 0, 1, s[2:3]
	v_cmp_neq_f32_e64 s[2:3], v30, v29
	v_cndmask_b32_e64 v29, 0, 1, s[2:3]
	v_cndmask_b32_e64 v29, v29, v32, s[0:1]
	v_and_b32_e32 v31, 0xffffff00, v3
	v_and_b32_e32 v29, 1, v29
	v_or_b32_e32 v29, v29, v31
	v_and_b32_e32 v29, 0xffff, v29
	s_mov_b32 s2, 0xffff0000
	v_and_or_b32 v3, v3, s2, v29
.LBB312_45:
	s_or_b64 exec, exec, s[4:5]
	v_or_b32_e32 v29, 0x500, v0
	v_cmp_gt_i32_e64 s[2:3], s40, v29
	s_and_saveexec_b64 s[4:5], s[2:3]
	s_cbranch_execz .LBB312_47
; %bb.46:
	s_movk_i32 s6, 0xff
	v_mov_b32_e32 v29, 23
	v_lshlrev_b32_sdwa v30, v29, v28 dst_sel:DWORD dst_unused:UNUSED_PAD src0_sel:DWORD src1_sel:BYTE_0
	v_mov_b32_e32 v31, 0x7f800001
	v_cmp_ne_u16_sdwa s[2:3], v28, s6 src0_sel:BYTE_0 src1_sel:DWORD
	v_mov_b32_e32 v32, 0
	v_cndmask_b32_e64 v30, v31, v30, s[2:3]
	v_mov_b32_e32 v33, 0x400000
	v_cmp_ne_u16_sdwa s[2:3], v28, v32 src0_sel:BYTE_0 src1_sel:DWORD
	v_cndmask_b32_e64 v28, v33, v30, s[2:3]
	v_lshlrev_b32_sdwa v29, v29, v27 dst_sel:DWORD dst_unused:UNUSED_PAD src0_sel:DWORD src1_sel:BYTE_0
	v_cmp_ne_u16_sdwa s[2:3], v27, s6 src0_sel:BYTE_0 src1_sel:DWORD
	v_cndmask_b32_e64 v29, v31, v29, s[2:3]
	v_cmp_ne_u16_sdwa s[2:3], v27, v32 src0_sel:BYTE_0 src1_sel:DWORD
	v_cndmask_b32_e64 v27, v33, v29, s[2:3]
	v_cmp_eq_f32_e64 s[2:3], v28, v27
	v_cndmask_b32_e64 v29, 0, 1, s[2:3]
	v_cmp_neq_f32_e64 s[2:3], v28, v27
	v_cndmask_b32_e64 v27, 0, 1, s[2:3]
	v_cndmask_b32_e64 v27, v27, v29, s[0:1]
	v_mov_b32_e32 v28, 1
	v_and_b32_sdwa v27, v27, v28 dst_sel:BYTE_1 dst_unused:UNUSED_PAD src0_sel:DWORD src1_sel:DWORD
	v_or_b32_sdwa v27, v3, v27 dst_sel:DWORD dst_unused:UNUSED_PAD src0_sel:BYTE_0 src1_sel:DWORD
	v_and_b32_e32 v27, 0xffff, v27
	s_mov_b32 s2, 0xffff0000
	v_and_or_b32 v3, v3, s2, v27
.LBB312_47:
	s_or_b64 exec, exec, s[4:5]
	v_or_b32_e32 v27, 0x600, v0
	v_cmp_gt_i32_e64 s[2:3], s40, v27
	s_and_saveexec_b64 s[4:5], s[2:3]
	s_cbranch_execz .LBB312_49
; %bb.48:
	s_movk_i32 s2, 0xff00
	s_movk_i32 s6, 0xff
	v_mov_b32_e32 v28, 23
	v_and_b32_sdwa v27, v3, s2 dst_sel:DWORD dst_unused:UNUSED_PAD src0_sel:WORD_1 src1_sel:DWORD
	v_lshlrev_b32_sdwa v29, v28, v26 dst_sel:DWORD dst_unused:UNUSED_PAD src0_sel:DWORD src1_sel:BYTE_0
	v_mov_b32_e32 v30, 0x7f800001
	v_cmp_ne_u16_sdwa s[2:3], v26, s6 src0_sel:BYTE_0 src1_sel:DWORD
	v_mov_b32_e32 v31, 0
	v_cndmask_b32_e64 v29, v30, v29, s[2:3]
	v_mov_b32_e32 v32, 0x400000
	v_cmp_ne_u16_sdwa s[2:3], v26, v31 src0_sel:BYTE_0 src1_sel:DWORD
	v_cndmask_b32_e64 v26, v32, v29, s[2:3]
	v_lshlrev_b32_sdwa v28, v28, v25 dst_sel:DWORD dst_unused:UNUSED_PAD src0_sel:DWORD src1_sel:BYTE_0
	v_cmp_ne_u16_sdwa s[2:3], v25, s6 src0_sel:BYTE_0 src1_sel:DWORD
	v_cndmask_b32_e64 v28, v30, v28, s[2:3]
	v_cmp_ne_u16_sdwa s[2:3], v25, v31 src0_sel:BYTE_0 src1_sel:DWORD
	v_cndmask_b32_e64 v25, v32, v28, s[2:3]
	v_cmp_eq_f32_e64 s[2:3], v26, v25
	v_cndmask_b32_e64 v28, 0, 1, s[2:3]
	v_cmp_neq_f32_e64 s[2:3], v26, v25
	v_cndmask_b32_e64 v25, 0, 1, s[2:3]
	v_cndmask_b32_e64 v25, v25, v28, s[0:1]
	v_and_b32_e32 v25, 1, v25
	v_or_b32_sdwa v25, v25, v27 dst_sel:WORD_1 dst_unused:UNUSED_PAD src0_sel:DWORD src1_sel:DWORD
	s_mov_b32 s2, 0xffff
	v_and_or_b32 v3, v3, s2, v25
.LBB312_49:
	s_or_b64 exec, exec, s[4:5]
	v_or_b32_e32 v25, 0x700, v0
	v_cmp_gt_i32_e64 s[2:3], s40, v25
	s_and_saveexec_b64 s[4:5], s[2:3]
	s_cbranch_execz .LBB312_51
; %bb.50:
	s_movk_i32 s6, 0xff
	v_mov_b32_e32 v26, 23
	v_lshlrev_b32_sdwa v27, v26, v24 dst_sel:DWORD dst_unused:UNUSED_PAD src0_sel:DWORD src1_sel:BYTE_0
	v_mov_b32_e32 v28, 0x7f800001
	v_cmp_ne_u16_sdwa s[2:3], v24, s6 src0_sel:BYTE_0 src1_sel:DWORD
	v_mov_b32_e32 v29, 0
	v_cndmask_b32_e64 v27, v28, v27, s[2:3]
	v_mov_b32_e32 v30, 0x400000
	v_cmp_ne_u16_sdwa s[2:3], v24, v29 src0_sel:BYTE_0 src1_sel:DWORD
	v_cndmask_b32_e64 v24, v30, v27, s[2:3]
	v_lshlrev_b32_sdwa v26, v26, v23 dst_sel:DWORD dst_unused:UNUSED_PAD src0_sel:DWORD src1_sel:BYTE_0
	v_cmp_ne_u16_sdwa s[2:3], v23, s6 src0_sel:BYTE_0 src1_sel:DWORD
	v_cndmask_b32_e64 v26, v28, v26, s[2:3]
	v_cmp_ne_u16_sdwa s[2:3], v23, v29 src0_sel:BYTE_0 src1_sel:DWORD
	v_cndmask_b32_e64 v23, v30, v26, s[2:3]
	v_cmp_eq_f32_e64 s[2:3], v24, v23
	v_cndmask_b32_e64 v26, 0, 1, s[2:3]
	v_cmp_neq_f32_e64 s[2:3], v24, v23
	v_cndmask_b32_e64 v23, 0, 1, s[2:3]
	v_cndmask_b32_e64 v23, v23, v26, s[0:1]
	v_mov_b32_e32 v24, 1
	v_and_b32_sdwa v25, v3, s6 dst_sel:DWORD dst_unused:UNUSED_PAD src0_sel:WORD_1 src1_sel:DWORD
	v_and_b32_sdwa v23, v23, v24 dst_sel:BYTE_1 dst_unused:UNUSED_PAD src0_sel:DWORD src1_sel:DWORD
	v_or_b32_sdwa v23, v25, v23 dst_sel:WORD_1 dst_unused:UNUSED_PAD src0_sel:DWORD src1_sel:DWORD
	s_mov_b32 s2, 0xffff
	v_and_or_b32 v3, v3, s2, v23
.LBB312_51:
	s_or_b64 exec, exec, s[4:5]
	v_or_b32_e32 v23, 0x800, v0
	v_cmp_gt_i32_e64 s[2:3], s40, v23
	s_and_saveexec_b64 s[4:5], s[2:3]
	s_cbranch_execz .LBB312_53
; %bb.52:
	s_movk_i32 s6, 0xff
	v_mov_b32_e32 v24, 23
	v_lshlrev_b32_sdwa v25, v24, v22 dst_sel:DWORD dst_unused:UNUSED_PAD src0_sel:DWORD src1_sel:BYTE_0
	v_mov_b32_e32 v26, 0x7f800001
	v_cmp_ne_u16_sdwa s[2:3], v22, s6 src0_sel:BYTE_0 src1_sel:DWORD
	v_mov_b32_e32 v27, 0
	v_cndmask_b32_e64 v25, v26, v25, s[2:3]
	v_mov_b32_e32 v28, 0x400000
	v_cmp_ne_u16_sdwa s[2:3], v22, v27 src0_sel:BYTE_0 src1_sel:DWORD
	v_cndmask_b32_e64 v22, v28, v25, s[2:3]
	v_lshlrev_b32_sdwa v24, v24, v21 dst_sel:DWORD dst_unused:UNUSED_PAD src0_sel:DWORD src1_sel:BYTE_0
	v_cmp_ne_u16_sdwa s[2:3], v21, s6 src0_sel:BYTE_0 src1_sel:DWORD
	v_cndmask_b32_e64 v24, v26, v24, s[2:3]
	v_cmp_ne_u16_sdwa s[2:3], v21, v27 src0_sel:BYTE_0 src1_sel:DWORD
	v_cndmask_b32_e64 v21, v28, v24, s[2:3]
	v_cmp_eq_f32_e64 s[2:3], v22, v21
	v_cndmask_b32_e64 v24, 0, 1, s[2:3]
	v_cmp_neq_f32_e64 s[2:3], v22, v21
	v_cndmask_b32_e64 v21, 0, 1, s[2:3]
	v_cndmask_b32_e64 v21, v21, v24, s[0:1]
	v_and_b32_e32 v23, 0xffffff00, v2
	v_and_b32_e32 v21, 1, v21
	v_or_b32_e32 v21, v21, v23
	v_and_b32_e32 v21, 0xffff, v21
	s_mov_b32 s2, 0xffff0000
	v_and_or_b32 v2, v2, s2, v21
.LBB312_53:
	s_or_b64 exec, exec, s[4:5]
	v_or_b32_e32 v21, 0x900, v0
	v_cmp_gt_i32_e64 s[2:3], s40, v21
	s_and_saveexec_b64 s[4:5], s[2:3]
	s_cbranch_execz .LBB312_55
; %bb.54:
	s_movk_i32 s6, 0xff
	v_mov_b32_e32 v21, 23
	v_lshlrev_b32_sdwa v22, v21, v20 dst_sel:DWORD dst_unused:UNUSED_PAD src0_sel:DWORD src1_sel:BYTE_0
	v_mov_b32_e32 v23, 0x7f800001
	v_cmp_ne_u16_sdwa s[2:3], v20, s6 src0_sel:BYTE_0 src1_sel:DWORD
	v_mov_b32_e32 v24, 0
	v_cndmask_b32_e64 v22, v23, v22, s[2:3]
	v_mov_b32_e32 v25, 0x400000
	v_cmp_ne_u16_sdwa s[2:3], v20, v24 src0_sel:BYTE_0 src1_sel:DWORD
	v_cndmask_b32_e64 v20, v25, v22, s[2:3]
	v_lshlrev_b32_sdwa v21, v21, v19 dst_sel:DWORD dst_unused:UNUSED_PAD src0_sel:DWORD src1_sel:BYTE_0
	v_cmp_ne_u16_sdwa s[2:3], v19, s6 src0_sel:BYTE_0 src1_sel:DWORD
	v_cndmask_b32_e64 v21, v23, v21, s[2:3]
	v_cmp_ne_u16_sdwa s[2:3], v19, v24 src0_sel:BYTE_0 src1_sel:DWORD
	v_cndmask_b32_e64 v19, v25, v21, s[2:3]
	v_cmp_eq_f32_e64 s[2:3], v20, v19
	v_cndmask_b32_e64 v21, 0, 1, s[2:3]
	v_cmp_neq_f32_e64 s[2:3], v20, v19
	v_cndmask_b32_e64 v19, 0, 1, s[2:3]
	v_cndmask_b32_e64 v19, v19, v21, s[0:1]
	v_mov_b32_e32 v20, 1
	v_and_b32_sdwa v19, v19, v20 dst_sel:BYTE_1 dst_unused:UNUSED_PAD src0_sel:DWORD src1_sel:DWORD
	v_or_b32_sdwa v19, v2, v19 dst_sel:DWORD dst_unused:UNUSED_PAD src0_sel:BYTE_0 src1_sel:DWORD
	v_and_b32_e32 v19, 0xffff, v19
	s_mov_b32 s2, 0xffff0000
	v_and_or_b32 v2, v2, s2, v19
.LBB312_55:
	s_or_b64 exec, exec, s[4:5]
	v_or_b32_e32 v19, 0xa00, v0
	v_cmp_gt_i32_e64 s[2:3], s40, v19
	s_and_saveexec_b64 s[4:5], s[2:3]
	s_cbranch_execz .LBB312_57
; %bb.56:
	s_movk_i32 s2, 0xff00
	s_movk_i32 s6, 0xff
	v_mov_b32_e32 v20, 23
	v_and_b32_sdwa v19, v2, s2 dst_sel:DWORD dst_unused:UNUSED_PAD src0_sel:WORD_1 src1_sel:DWORD
	v_lshlrev_b32_sdwa v21, v20, v18 dst_sel:DWORD dst_unused:UNUSED_PAD src0_sel:DWORD src1_sel:BYTE_0
	v_mov_b32_e32 v22, 0x7f800001
	v_cmp_ne_u16_sdwa s[2:3], v18, s6 src0_sel:BYTE_0 src1_sel:DWORD
	v_mov_b32_e32 v23, 0
	v_cndmask_b32_e64 v21, v22, v21, s[2:3]
	v_mov_b32_e32 v24, 0x400000
	v_cmp_ne_u16_sdwa s[2:3], v18, v23 src0_sel:BYTE_0 src1_sel:DWORD
	v_cndmask_b32_e64 v18, v24, v21, s[2:3]
	v_lshlrev_b32_sdwa v20, v20, v17 dst_sel:DWORD dst_unused:UNUSED_PAD src0_sel:DWORD src1_sel:BYTE_0
	v_cmp_ne_u16_sdwa s[2:3], v17, s6 src0_sel:BYTE_0 src1_sel:DWORD
	v_cndmask_b32_e64 v20, v22, v20, s[2:3]
	v_cmp_ne_u16_sdwa s[2:3], v17, v23 src0_sel:BYTE_0 src1_sel:DWORD
	v_cndmask_b32_e64 v17, v24, v20, s[2:3]
	v_cmp_eq_f32_e64 s[2:3], v18, v17
	v_cndmask_b32_e64 v20, 0, 1, s[2:3]
	v_cmp_neq_f32_e64 s[2:3], v18, v17
	v_cndmask_b32_e64 v17, 0, 1, s[2:3]
	v_cndmask_b32_e64 v17, v17, v20, s[0:1]
	v_and_b32_e32 v17, 1, v17
	v_or_b32_sdwa v17, v17, v19 dst_sel:WORD_1 dst_unused:UNUSED_PAD src0_sel:DWORD src1_sel:DWORD
	s_mov_b32 s2, 0xffff
	v_and_or_b32 v2, v2, s2, v17
.LBB312_57:
	s_or_b64 exec, exec, s[4:5]
	v_or_b32_e32 v17, 0xb00, v0
	v_cmp_gt_i32_e64 s[2:3], s40, v17
	s_and_saveexec_b64 s[4:5], s[2:3]
	s_cbranch_execz .LBB312_59
; %bb.58:
	s_movk_i32 s6, 0xff
	v_mov_b32_e32 v18, 23
	v_lshlrev_b32_sdwa v19, v18, v16 dst_sel:DWORD dst_unused:UNUSED_PAD src0_sel:DWORD src1_sel:BYTE_0
	v_mov_b32_e32 v20, 0x7f800001
	v_cmp_ne_u16_sdwa s[2:3], v16, s6 src0_sel:BYTE_0 src1_sel:DWORD
	v_mov_b32_e32 v21, 0
	v_cndmask_b32_e64 v19, v20, v19, s[2:3]
	v_mov_b32_e32 v22, 0x400000
	v_cmp_ne_u16_sdwa s[2:3], v16, v21 src0_sel:BYTE_0 src1_sel:DWORD
	v_cndmask_b32_e64 v16, v22, v19, s[2:3]
	v_lshlrev_b32_sdwa v18, v18, v15 dst_sel:DWORD dst_unused:UNUSED_PAD src0_sel:DWORD src1_sel:BYTE_0
	v_cmp_ne_u16_sdwa s[2:3], v15, s6 src0_sel:BYTE_0 src1_sel:DWORD
	v_cndmask_b32_e64 v18, v20, v18, s[2:3]
	v_cmp_ne_u16_sdwa s[2:3], v15, v21 src0_sel:BYTE_0 src1_sel:DWORD
	v_cndmask_b32_e64 v15, v22, v18, s[2:3]
	v_cmp_eq_f32_e64 s[2:3], v16, v15
	v_cndmask_b32_e64 v18, 0, 1, s[2:3]
	v_cmp_neq_f32_e64 s[2:3], v16, v15
	v_cndmask_b32_e64 v15, 0, 1, s[2:3]
	v_cndmask_b32_e64 v15, v15, v18, s[0:1]
	v_mov_b32_e32 v16, 1
	v_and_b32_sdwa v17, v2, s6 dst_sel:DWORD dst_unused:UNUSED_PAD src0_sel:WORD_1 src1_sel:DWORD
	v_and_b32_sdwa v15, v15, v16 dst_sel:BYTE_1 dst_unused:UNUSED_PAD src0_sel:DWORD src1_sel:DWORD
	v_or_b32_sdwa v15, v17, v15 dst_sel:WORD_1 dst_unused:UNUSED_PAD src0_sel:DWORD src1_sel:DWORD
	s_mov_b32 s2, 0xffff
	v_and_or_b32 v2, v2, s2, v15
.LBB312_59:
	s_or_b64 exec, exec, s[4:5]
	v_or_b32_e32 v15, 0xc00, v0
	v_cmp_gt_i32_e64 s[2:3], s40, v15
	s_and_saveexec_b64 s[4:5], s[2:3]
	s_cbranch_execz .LBB312_61
; %bb.60:
	s_movk_i32 s6, 0xff
	v_mov_b32_e32 v16, 23
	v_lshlrev_b32_sdwa v17, v16, v14 dst_sel:DWORD dst_unused:UNUSED_PAD src0_sel:DWORD src1_sel:BYTE_0
	v_mov_b32_e32 v18, 0x7f800001
	v_cmp_ne_u16_sdwa s[2:3], v14, s6 src0_sel:BYTE_0 src1_sel:DWORD
	v_mov_b32_e32 v19, 0
	v_cndmask_b32_e64 v17, v18, v17, s[2:3]
	v_mov_b32_e32 v20, 0x400000
	v_cmp_ne_u16_sdwa s[2:3], v14, v19 src0_sel:BYTE_0 src1_sel:DWORD
	v_cndmask_b32_e64 v14, v20, v17, s[2:3]
	v_lshlrev_b32_sdwa v16, v16, v13 dst_sel:DWORD dst_unused:UNUSED_PAD src0_sel:DWORD src1_sel:BYTE_0
	v_cmp_ne_u16_sdwa s[2:3], v13, s6 src0_sel:BYTE_0 src1_sel:DWORD
	v_cndmask_b32_e64 v16, v18, v16, s[2:3]
	v_cmp_ne_u16_sdwa s[2:3], v13, v19 src0_sel:BYTE_0 src1_sel:DWORD
	v_cndmask_b32_e64 v13, v20, v16, s[2:3]
	v_cmp_eq_f32_e64 s[2:3], v14, v13
	v_cndmask_b32_e64 v16, 0, 1, s[2:3]
	v_cmp_neq_f32_e64 s[2:3], v14, v13
	v_cndmask_b32_e64 v13, 0, 1, s[2:3]
	v_cndmask_b32_e64 v13, v13, v16, s[0:1]
	v_and_b32_e32 v15, 0xffffff00, v1
	v_and_b32_e32 v13, 1, v13
	v_or_b32_e32 v13, v13, v15
	v_and_b32_e32 v13, 0xffff, v13
	s_mov_b32 s2, 0xffff0000
	v_and_or_b32 v1, v1, s2, v13
.LBB312_61:
	s_or_b64 exec, exec, s[4:5]
	v_or_b32_e32 v13, 0xd00, v0
	v_cmp_gt_i32_e64 s[2:3], s40, v13
	s_and_saveexec_b64 s[4:5], s[2:3]
	s_cbranch_execz .LBB312_63
; %bb.62:
	s_movk_i32 s6, 0xff
	v_mov_b32_e32 v13, 23
	v_lshlrev_b32_sdwa v14, v13, v12 dst_sel:DWORD dst_unused:UNUSED_PAD src0_sel:DWORD src1_sel:BYTE_0
	v_mov_b32_e32 v15, 0x7f800001
	v_cmp_ne_u16_sdwa s[2:3], v12, s6 src0_sel:BYTE_0 src1_sel:DWORD
	v_mov_b32_e32 v16, 0
	v_cndmask_b32_e64 v14, v15, v14, s[2:3]
	v_mov_b32_e32 v17, 0x400000
	v_cmp_ne_u16_sdwa s[2:3], v12, v16 src0_sel:BYTE_0 src1_sel:DWORD
	v_cndmask_b32_e64 v12, v17, v14, s[2:3]
	v_lshlrev_b32_sdwa v13, v13, v11 dst_sel:DWORD dst_unused:UNUSED_PAD src0_sel:DWORD src1_sel:BYTE_0
	v_cmp_ne_u16_sdwa s[2:3], v11, s6 src0_sel:BYTE_0 src1_sel:DWORD
	v_cndmask_b32_e64 v13, v15, v13, s[2:3]
	v_cmp_ne_u16_sdwa s[2:3], v11, v16 src0_sel:BYTE_0 src1_sel:DWORD
	v_cndmask_b32_e64 v11, v17, v13, s[2:3]
	v_cmp_eq_f32_e64 s[2:3], v12, v11
	v_cndmask_b32_e64 v13, 0, 1, s[2:3]
	v_cmp_neq_f32_e64 s[2:3], v12, v11
	v_cndmask_b32_e64 v11, 0, 1, s[2:3]
	v_cndmask_b32_e64 v11, v11, v13, s[0:1]
	v_mov_b32_e32 v12, 1
	v_and_b32_sdwa v11, v11, v12 dst_sel:BYTE_1 dst_unused:UNUSED_PAD src0_sel:DWORD src1_sel:DWORD
	v_or_b32_sdwa v11, v1, v11 dst_sel:DWORD dst_unused:UNUSED_PAD src0_sel:BYTE_0 src1_sel:DWORD
	v_and_b32_e32 v11, 0xffff, v11
	s_mov_b32 s2, 0xffff0000
	v_and_or_b32 v1, v1, s2, v11
.LBB312_63:
	s_or_b64 exec, exec, s[4:5]
	v_or_b32_e32 v11, 0xe00, v0
	v_cmp_gt_i32_e64 s[2:3], s40, v11
	s_and_saveexec_b64 s[4:5], s[2:3]
	s_cbranch_execz .LBB312_65
; %bb.64:
	s_movk_i32 s2, 0xff00
	s_movk_i32 s6, 0xff
	v_mov_b32_e32 v12, 23
	v_and_b32_sdwa v11, v1, s2 dst_sel:DWORD dst_unused:UNUSED_PAD src0_sel:WORD_1 src1_sel:DWORD
	v_lshlrev_b32_sdwa v13, v12, v10 dst_sel:DWORD dst_unused:UNUSED_PAD src0_sel:DWORD src1_sel:BYTE_0
	v_mov_b32_e32 v14, 0x7f800001
	v_cmp_ne_u16_sdwa s[2:3], v10, s6 src0_sel:BYTE_0 src1_sel:DWORD
	v_mov_b32_e32 v15, 0
	v_cndmask_b32_e64 v13, v14, v13, s[2:3]
	v_mov_b32_e32 v16, 0x400000
	v_cmp_ne_u16_sdwa s[2:3], v10, v15 src0_sel:BYTE_0 src1_sel:DWORD
	v_cndmask_b32_e64 v10, v16, v13, s[2:3]
	v_lshlrev_b32_sdwa v12, v12, v8 dst_sel:DWORD dst_unused:UNUSED_PAD src0_sel:DWORD src1_sel:BYTE_0
	v_cmp_ne_u16_sdwa s[2:3], v8, s6 src0_sel:BYTE_0 src1_sel:DWORD
	v_cndmask_b32_e64 v12, v14, v12, s[2:3]
	v_cmp_ne_u16_sdwa s[2:3], v8, v15 src0_sel:BYTE_0 src1_sel:DWORD
	v_cndmask_b32_e64 v8, v16, v12, s[2:3]
	v_cmp_eq_f32_e64 s[2:3], v10, v8
	v_cndmask_b32_e64 v12, 0, 1, s[2:3]
	v_cmp_neq_f32_e64 s[2:3], v10, v8
	v_cndmask_b32_e64 v8, 0, 1, s[2:3]
	v_cndmask_b32_e64 v8, v8, v12, s[0:1]
	v_and_b32_e32 v8, 1, v8
	v_or_b32_sdwa v8, v8, v11 dst_sel:WORD_1 dst_unused:UNUSED_PAD src0_sel:DWORD src1_sel:DWORD
	s_mov_b32 s2, 0xffff
	v_and_or_b32 v1, v1, s2, v8
.LBB312_65:
	s_or_b64 exec, exec, s[4:5]
	v_or_b32_e32 v8, 0xf00, v0
	v_cmp_gt_i32_e64 s[2:3], s40, v8
	s_and_saveexec_b64 s[4:5], s[2:3]
	s_cbranch_execnz .LBB312_84
; %bb.66:
	s_or_b64 exec, exec, s[4:5]
	s_and_saveexec_b64 s[0:1], vcc
	s_xor_b64 s[0:1], exec, s[0:1]
	s_cbranch_execnz .LBB312_85
.LBB312_67:
	s_or_b64 exec, exec, s[0:1]
	v_cmp_gt_i32_e32 vcc, s40, v0
	s_and_saveexec_b64 s[0:1], vcc
	s_cbranch_execnz .LBB312_86
.LBB312_68:
	s_or_b64 exec, exec, s[0:1]
	v_cmp_gt_i32_e32 vcc, s40, v0
	s_and_saveexec_b64 s[0:1], vcc
	s_cbranch_execnz .LBB312_87
.LBB312_69:
	s_or_b64 exec, exec, s[0:1]
	v_cmp_gt_i32_e32 vcc, s40, v0
	s_and_saveexec_b64 s[0:1], vcc
	s_cbranch_execnz .LBB312_88
.LBB312_70:
	s_or_b64 exec, exec, s[0:1]
	v_cmp_gt_i32_e32 vcc, s40, v0
	s_and_saveexec_b64 s[0:1], vcc
	s_cbranch_execnz .LBB312_89
.LBB312_71:
	s_or_b64 exec, exec, s[0:1]
	v_cmp_gt_i32_e32 vcc, s40, v0
	s_and_saveexec_b64 s[0:1], vcc
	s_cbranch_execnz .LBB312_90
.LBB312_72:
	s_or_b64 exec, exec, s[0:1]
	v_cmp_gt_i32_e32 vcc, s40, v0
	s_and_saveexec_b64 s[0:1], vcc
	s_cbranch_execnz .LBB312_91
.LBB312_73:
	s_or_b64 exec, exec, s[0:1]
	v_cmp_gt_i32_e32 vcc, s40, v0
	s_and_saveexec_b64 s[0:1], vcc
	s_cbranch_execnz .LBB312_92
.LBB312_74:
	s_or_b64 exec, exec, s[0:1]
	v_cmp_gt_i32_e32 vcc, s40, v0
	s_and_saveexec_b64 s[0:1], vcc
	s_cbranch_execnz .LBB312_93
.LBB312_75:
	s_or_b64 exec, exec, s[0:1]
	v_cmp_gt_i32_e32 vcc, s40, v0
	s_and_saveexec_b64 s[0:1], vcc
	s_cbranch_execnz .LBB312_94
.LBB312_76:
	s_or_b64 exec, exec, s[0:1]
	v_cmp_gt_i32_e32 vcc, s40, v0
	s_and_saveexec_b64 s[0:1], vcc
	s_cbranch_execnz .LBB312_95
.LBB312_77:
	s_or_b64 exec, exec, s[0:1]
	v_cmp_gt_i32_e32 vcc, s40, v0
	s_and_saveexec_b64 s[0:1], vcc
	s_cbranch_execnz .LBB312_96
.LBB312_78:
	s_or_b64 exec, exec, s[0:1]
	v_cmp_gt_i32_e32 vcc, s40, v0
	s_and_saveexec_b64 s[0:1], vcc
	s_cbranch_execnz .LBB312_97
.LBB312_79:
	s_or_b64 exec, exec, s[0:1]
	v_cmp_gt_i32_e32 vcc, s40, v0
	s_and_saveexec_b64 s[0:1], vcc
	s_cbranch_execnz .LBB312_98
.LBB312_80:
	s_or_b64 exec, exec, s[0:1]
	v_cmp_gt_i32_e32 vcc, s40, v0
	s_and_saveexec_b64 s[0:1], vcc
	s_cbranch_execnz .LBB312_99
.LBB312_81:
	s_or_b64 exec, exec, s[0:1]
	v_cmp_gt_i32_e32 vcc, s40, v0
	s_and_saveexec_b64 s[0:1], vcc
	s_cbranch_execz .LBB312_83
.LBB312_82:
	v_lshrrev_b32_e32 v1, 24, v1
	v_add_u32_e32 v0, s33, v0
	global_store_byte v0, v1, s[8:9]
.LBB312_83:
	s_endpgm
.LBB312_84:
	s_movk_i32 s6, 0xff
	v_mov_b32_e32 v10, 23
	v_lshlrev_b32_sdwa v11, v10, v9 dst_sel:DWORD dst_unused:UNUSED_PAD src0_sel:DWORD src1_sel:BYTE_0
	v_mov_b32_e32 v12, 0x7f800001
	v_cmp_ne_u16_sdwa s[2:3], v9, s6 src0_sel:BYTE_0 src1_sel:DWORD
	v_mov_b32_e32 v13, 0
	v_cndmask_b32_e64 v11, v12, v11, s[2:3]
	v_mov_b32_e32 v14, 0x400000
	v_cmp_ne_u16_sdwa s[2:3], v9, v13 src0_sel:BYTE_0 src1_sel:DWORD
	v_cndmask_b32_e64 v9, v14, v11, s[2:3]
	v_lshlrev_b32_sdwa v10, v10, v7 dst_sel:DWORD dst_unused:UNUSED_PAD src0_sel:DWORD src1_sel:BYTE_0
	v_cmp_ne_u16_sdwa s[2:3], v7, s6 src0_sel:BYTE_0 src1_sel:DWORD
	v_cndmask_b32_e64 v10, v12, v10, s[2:3]
	v_cmp_ne_u16_sdwa s[2:3], v7, v13 src0_sel:BYTE_0 src1_sel:DWORD
	v_cndmask_b32_e64 v7, v14, v10, s[2:3]
	v_cmp_eq_f32_e64 s[2:3], v9, v7
	v_cndmask_b32_e64 v10, 0, 1, s[2:3]
	v_cmp_neq_f32_e64 s[2:3], v9, v7
	v_cndmask_b32_e64 v7, 0, 1, s[2:3]
	v_cndmask_b32_e64 v7, v7, v10, s[0:1]
	v_mov_b32_e32 v9, 1
	v_and_b32_sdwa v8, v1, s6 dst_sel:DWORD dst_unused:UNUSED_PAD src0_sel:WORD_1 src1_sel:DWORD
	v_and_b32_sdwa v7, v7, v9 dst_sel:BYTE_1 dst_unused:UNUSED_PAD src0_sel:DWORD src1_sel:DWORD
	v_or_b32_sdwa v7, v8, v7 dst_sel:WORD_1 dst_unused:UNUSED_PAD src0_sel:DWORD src1_sel:DWORD
	s_mov_b32 s0, 0xffff
	v_and_or_b32 v1, v1, s0, v7
	s_or_b64 exec, exec, s[4:5]
	s_and_saveexec_b64 s[0:1], vcc
	s_xor_b64 s[0:1], exec, s[0:1]
	s_cbranch_execz .LBB312_67
.LBB312_85:
	v_mov_b32_e32 v0, v4
	global_store_byte v6, v5, s[8:9]
	s_or_b64 exec, exec, s[0:1]
	v_cmp_gt_i32_e32 vcc, s40, v0
	s_and_saveexec_b64 s[0:1], vcc
	s_cbranch_execz .LBB312_68
.LBB312_86:
	v_lshrrev_b32_e32 v4, 8, v5
	v_add_u32_e32 v6, s33, v0
	v_add_u32_e32 v0, 0x100, v0
	global_store_byte v6, v4, s[8:9]
	s_or_b64 exec, exec, s[0:1]
	v_cmp_gt_i32_e32 vcc, s40, v0
	s_and_saveexec_b64 s[0:1], vcc
	s_cbranch_execz .LBB312_69
.LBB312_87:
	v_add_u32_e32 v4, s33, v0
	v_add_u32_e32 v0, 0x100, v0
	global_store_byte_d16_hi v4, v5, s[8:9]
	s_or_b64 exec, exec, s[0:1]
	v_cmp_gt_i32_e32 vcc, s40, v0
	s_and_saveexec_b64 s[0:1], vcc
	s_cbranch_execz .LBB312_70
.LBB312_88:
	v_lshrrev_b32_e32 v4, 24, v5
	v_add_u32_e32 v5, s33, v0
	v_add_u32_e32 v0, 0x100, v0
	global_store_byte v5, v4, s[8:9]
	s_or_b64 exec, exec, s[0:1]
	v_cmp_gt_i32_e32 vcc, s40, v0
	s_and_saveexec_b64 s[0:1], vcc
	s_cbranch_execz .LBB312_71
.LBB312_89:
	v_add_u32_e32 v4, s33, v0
	v_add_u32_e32 v0, 0x100, v0
	global_store_byte v4, v3, s[8:9]
	s_or_b64 exec, exec, s[0:1]
	v_cmp_gt_i32_e32 vcc, s40, v0
	s_and_saveexec_b64 s[0:1], vcc
	s_cbranch_execz .LBB312_72
.LBB312_90:
	v_lshrrev_b32_e32 v4, 8, v3
	v_add_u32_e32 v5, s33, v0
	v_add_u32_e32 v0, 0x100, v0
	global_store_byte v5, v4, s[8:9]
	s_or_b64 exec, exec, s[0:1]
	v_cmp_gt_i32_e32 vcc, s40, v0
	s_and_saveexec_b64 s[0:1], vcc
	s_cbranch_execz .LBB312_73
.LBB312_91:
	v_add_u32_e32 v4, s33, v0
	v_add_u32_e32 v0, 0x100, v0
	global_store_byte_d16_hi v4, v3, s[8:9]
	s_or_b64 exec, exec, s[0:1]
	v_cmp_gt_i32_e32 vcc, s40, v0
	s_and_saveexec_b64 s[0:1], vcc
	s_cbranch_execz .LBB312_74
.LBB312_92:
	v_lshrrev_b32_e32 v3, 24, v3
	v_add_u32_e32 v4, s33, v0
	v_add_u32_e32 v0, 0x100, v0
	global_store_byte v4, v3, s[8:9]
	s_or_b64 exec, exec, s[0:1]
	v_cmp_gt_i32_e32 vcc, s40, v0
	s_and_saveexec_b64 s[0:1], vcc
	s_cbranch_execz .LBB312_75
.LBB312_93:
	v_add_u32_e32 v3, s33, v0
	v_add_u32_e32 v0, 0x100, v0
	global_store_byte v3, v2, s[8:9]
	s_or_b64 exec, exec, s[0:1]
	v_cmp_gt_i32_e32 vcc, s40, v0
	s_and_saveexec_b64 s[0:1], vcc
	s_cbranch_execz .LBB312_76
.LBB312_94:
	v_lshrrev_b32_e32 v3, 8, v2
	v_add_u32_e32 v4, s33, v0
	v_add_u32_e32 v0, 0x100, v0
	global_store_byte v4, v3, s[8:9]
	s_or_b64 exec, exec, s[0:1]
	v_cmp_gt_i32_e32 vcc, s40, v0
	s_and_saveexec_b64 s[0:1], vcc
	s_cbranch_execz .LBB312_77
.LBB312_95:
	v_add_u32_e32 v3, s33, v0
	v_add_u32_e32 v0, 0x100, v0
	global_store_byte_d16_hi v3, v2, s[8:9]
	s_or_b64 exec, exec, s[0:1]
	v_cmp_gt_i32_e32 vcc, s40, v0
	s_and_saveexec_b64 s[0:1], vcc
	s_cbranch_execz .LBB312_78
.LBB312_96:
	v_lshrrev_b32_e32 v2, 24, v2
	v_add_u32_e32 v3, s33, v0
	v_add_u32_e32 v0, 0x100, v0
	global_store_byte v3, v2, s[8:9]
	s_or_b64 exec, exec, s[0:1]
	v_cmp_gt_i32_e32 vcc, s40, v0
	s_and_saveexec_b64 s[0:1], vcc
	s_cbranch_execz .LBB312_79
.LBB312_97:
	v_add_u32_e32 v2, s33, v0
	v_add_u32_e32 v0, 0x100, v0
	global_store_byte v2, v1, s[8:9]
	s_or_b64 exec, exec, s[0:1]
	v_cmp_gt_i32_e32 vcc, s40, v0
	s_and_saveexec_b64 s[0:1], vcc
	s_cbranch_execz .LBB312_80
.LBB312_98:
	v_lshrrev_b32_e32 v2, 8, v1
	v_add_u32_e32 v3, s33, v0
	v_add_u32_e32 v0, 0x100, v0
	global_store_byte v3, v2, s[8:9]
	s_or_b64 exec, exec, s[0:1]
	v_cmp_gt_i32_e32 vcc, s40, v0
	s_and_saveexec_b64 s[0:1], vcc
	s_cbranch_execz .LBB312_81
.LBB312_99:
	v_add_u32_e32 v2, s33, v0
	v_add_u32_e32 v0, 0x100, v0
	global_store_byte_d16_hi v2, v1, s[8:9]
	s_or_b64 exec, exec, s[0:1]
	v_cmp_gt_i32_e32 vcc, s40, v0
	s_and_saveexec_b64 s[0:1], vcc
	s_cbranch_execnz .LBB312_82
	s_branch .LBB312_83
	.section	.rodata,"a",@progbits
	.p2align	6, 0x0
	.amdhsa_kernel _ZN2at6native29vectorized_elementwise_kernelILi2ENS0_13BinaryFunctorIN3c1014Float8_e8m0fnuES4_bNS0_12_GLOBAL__N_116CompareEqFunctorIS4_EEEESt5arrayIPcLm3EEEEviT0_T1_
		.amdhsa_group_segment_fixed_size 0
		.amdhsa_private_segment_fixed_size 0
		.amdhsa_kernarg_size 32
		.amdhsa_user_sgpr_count 6
		.amdhsa_user_sgpr_private_segment_buffer 1
		.amdhsa_user_sgpr_dispatch_ptr 0
		.amdhsa_user_sgpr_queue_ptr 0
		.amdhsa_user_sgpr_kernarg_segment_ptr 1
		.amdhsa_user_sgpr_dispatch_id 0
		.amdhsa_user_sgpr_flat_scratch_init 0
		.amdhsa_user_sgpr_private_segment_size 0
		.amdhsa_uses_dynamic_stack 0
		.amdhsa_system_sgpr_private_segment_wavefront_offset 0
		.amdhsa_system_sgpr_workgroup_id_x 1
		.amdhsa_system_sgpr_workgroup_id_y 0
		.amdhsa_system_sgpr_workgroup_id_z 0
		.amdhsa_system_sgpr_workgroup_info 0
		.amdhsa_system_vgpr_workitem_id 0
		.amdhsa_next_free_vgpr 42
		.amdhsa_next_free_sgpr 41
		.amdhsa_reserve_vcc 1
		.amdhsa_reserve_flat_scratch 0
		.amdhsa_float_round_mode_32 0
		.amdhsa_float_round_mode_16_64 0
		.amdhsa_float_denorm_mode_32 3
		.amdhsa_float_denorm_mode_16_64 3
		.amdhsa_dx10_clamp 1
		.amdhsa_ieee_mode 1
		.amdhsa_fp16_overflow 0
		.amdhsa_exception_fp_ieee_invalid_op 0
		.amdhsa_exception_fp_denorm_src 0
		.amdhsa_exception_fp_ieee_div_zero 0
		.amdhsa_exception_fp_ieee_overflow 0
		.amdhsa_exception_fp_ieee_underflow 0
		.amdhsa_exception_fp_ieee_inexact 0
		.amdhsa_exception_int_div_zero 0
	.end_amdhsa_kernel
	.section	.text._ZN2at6native29vectorized_elementwise_kernelILi2ENS0_13BinaryFunctorIN3c1014Float8_e8m0fnuES4_bNS0_12_GLOBAL__N_116CompareEqFunctorIS4_EEEESt5arrayIPcLm3EEEEviT0_T1_,"axG",@progbits,_ZN2at6native29vectorized_elementwise_kernelILi2ENS0_13BinaryFunctorIN3c1014Float8_e8m0fnuES4_bNS0_12_GLOBAL__N_116CompareEqFunctorIS4_EEEESt5arrayIPcLm3EEEEviT0_T1_,comdat
.Lfunc_end312:
	.size	_ZN2at6native29vectorized_elementwise_kernelILi2ENS0_13BinaryFunctorIN3c1014Float8_e8m0fnuES4_bNS0_12_GLOBAL__N_116CompareEqFunctorIS4_EEEESt5arrayIPcLm3EEEEviT0_T1_, .Lfunc_end312-_ZN2at6native29vectorized_elementwise_kernelILi2ENS0_13BinaryFunctorIN3c1014Float8_e8m0fnuES4_bNS0_12_GLOBAL__N_116CompareEqFunctorIS4_EEEESt5arrayIPcLm3EEEEviT0_T1_
                                        ; -- End function
	.set _ZN2at6native29vectorized_elementwise_kernelILi2ENS0_13BinaryFunctorIN3c1014Float8_e8m0fnuES4_bNS0_12_GLOBAL__N_116CompareEqFunctorIS4_EEEESt5arrayIPcLm3EEEEviT0_T1_.num_vgpr, 42
	.set _ZN2at6native29vectorized_elementwise_kernelILi2ENS0_13BinaryFunctorIN3c1014Float8_e8m0fnuES4_bNS0_12_GLOBAL__N_116CompareEqFunctorIS4_EEEESt5arrayIPcLm3EEEEviT0_T1_.num_agpr, 0
	.set _ZN2at6native29vectorized_elementwise_kernelILi2ENS0_13BinaryFunctorIN3c1014Float8_e8m0fnuES4_bNS0_12_GLOBAL__N_116CompareEqFunctorIS4_EEEESt5arrayIPcLm3EEEEviT0_T1_.numbered_sgpr, 41
	.set _ZN2at6native29vectorized_elementwise_kernelILi2ENS0_13BinaryFunctorIN3c1014Float8_e8m0fnuES4_bNS0_12_GLOBAL__N_116CompareEqFunctorIS4_EEEESt5arrayIPcLm3EEEEviT0_T1_.num_named_barrier, 0
	.set _ZN2at6native29vectorized_elementwise_kernelILi2ENS0_13BinaryFunctorIN3c1014Float8_e8m0fnuES4_bNS0_12_GLOBAL__N_116CompareEqFunctorIS4_EEEESt5arrayIPcLm3EEEEviT0_T1_.private_seg_size, 0
	.set _ZN2at6native29vectorized_elementwise_kernelILi2ENS0_13BinaryFunctorIN3c1014Float8_e8m0fnuES4_bNS0_12_GLOBAL__N_116CompareEqFunctorIS4_EEEESt5arrayIPcLm3EEEEviT0_T1_.uses_vcc, 1
	.set _ZN2at6native29vectorized_elementwise_kernelILi2ENS0_13BinaryFunctorIN3c1014Float8_e8m0fnuES4_bNS0_12_GLOBAL__N_116CompareEqFunctorIS4_EEEESt5arrayIPcLm3EEEEviT0_T1_.uses_flat_scratch, 0
	.set _ZN2at6native29vectorized_elementwise_kernelILi2ENS0_13BinaryFunctorIN3c1014Float8_e8m0fnuES4_bNS0_12_GLOBAL__N_116CompareEqFunctorIS4_EEEESt5arrayIPcLm3EEEEviT0_T1_.has_dyn_sized_stack, 0
	.set _ZN2at6native29vectorized_elementwise_kernelILi2ENS0_13BinaryFunctorIN3c1014Float8_e8m0fnuES4_bNS0_12_GLOBAL__N_116CompareEqFunctorIS4_EEEESt5arrayIPcLm3EEEEviT0_T1_.has_recursion, 0
	.set _ZN2at6native29vectorized_elementwise_kernelILi2ENS0_13BinaryFunctorIN3c1014Float8_e8m0fnuES4_bNS0_12_GLOBAL__N_116CompareEqFunctorIS4_EEEESt5arrayIPcLm3EEEEviT0_T1_.has_indirect_call, 0
	.section	.AMDGPU.csdata,"",@progbits
; Kernel info:
; codeLenInByte = 8436
; TotalNumSgprs: 45
; NumVgprs: 42
; ScratchSize: 0
; MemoryBound: 0
; FloatMode: 240
; IeeeMode: 1
; LDSByteSize: 0 bytes/workgroup (compile time only)
; SGPRBlocks: 5
; VGPRBlocks: 10
; NumSGPRsForWavesPerEU: 45
; NumVGPRsForWavesPerEU: 42
; Occupancy: 5
; WaveLimiterHint : 1
; COMPUTE_PGM_RSRC2:SCRATCH_EN: 0
; COMPUTE_PGM_RSRC2:USER_SGPR: 6
; COMPUTE_PGM_RSRC2:TRAP_HANDLER: 0
; COMPUTE_PGM_RSRC2:TGID_X_EN: 1
; COMPUTE_PGM_RSRC2:TGID_Y_EN: 0
; COMPUTE_PGM_RSRC2:TGID_Z_EN: 0
; COMPUTE_PGM_RSRC2:TIDIG_COMP_CNT: 0
	.section	.text._ZN2at6native27unrolled_elementwise_kernelINS0_13BinaryFunctorIN3c1014Float8_e8m0fnuES4_bNS0_12_GLOBAL__N_116CompareEqFunctorIS4_EEEESt5arrayIPcLm3EELi4E23TrivialOffsetCalculatorILi2EjESC_ILi1EjENS0_6memory15LoadWithoutCastENSF_16StoreWithoutCastEEEviT_T0_T2_T3_T4_T5_,"axG",@progbits,_ZN2at6native27unrolled_elementwise_kernelINS0_13BinaryFunctorIN3c1014Float8_e8m0fnuES4_bNS0_12_GLOBAL__N_116CompareEqFunctorIS4_EEEESt5arrayIPcLm3EELi4E23TrivialOffsetCalculatorILi2EjESC_ILi1EjENS0_6memory15LoadWithoutCastENSF_16StoreWithoutCastEEEviT_T0_T2_T3_T4_T5_,comdat
	.globl	_ZN2at6native27unrolled_elementwise_kernelINS0_13BinaryFunctorIN3c1014Float8_e8m0fnuES4_bNS0_12_GLOBAL__N_116CompareEqFunctorIS4_EEEESt5arrayIPcLm3EELi4E23TrivialOffsetCalculatorILi2EjESC_ILi1EjENS0_6memory15LoadWithoutCastENSF_16StoreWithoutCastEEEviT_T0_T2_T3_T4_T5_ ; -- Begin function _ZN2at6native27unrolled_elementwise_kernelINS0_13BinaryFunctorIN3c1014Float8_e8m0fnuES4_bNS0_12_GLOBAL__N_116CompareEqFunctorIS4_EEEESt5arrayIPcLm3EELi4E23TrivialOffsetCalculatorILi2EjESC_ILi1EjENS0_6memory15LoadWithoutCastENSF_16StoreWithoutCastEEEviT_T0_T2_T3_T4_T5_
	.p2align	8
	.type	_ZN2at6native27unrolled_elementwise_kernelINS0_13BinaryFunctorIN3c1014Float8_e8m0fnuES4_bNS0_12_GLOBAL__N_116CompareEqFunctorIS4_EEEESt5arrayIPcLm3EELi4E23TrivialOffsetCalculatorILi2EjESC_ILi1EjENS0_6memory15LoadWithoutCastENSF_16StoreWithoutCastEEEviT_T0_T2_T3_T4_T5_,@function
_ZN2at6native27unrolled_elementwise_kernelINS0_13BinaryFunctorIN3c1014Float8_e8m0fnuES4_bNS0_12_GLOBAL__N_116CompareEqFunctorIS4_EEEESt5arrayIPcLm3EELi4E23TrivialOffsetCalculatorILi2EjESC_ILi1EjENS0_6memory15LoadWithoutCastENSF_16StoreWithoutCastEEEviT_T0_T2_T3_T4_T5_: ; @_ZN2at6native27unrolled_elementwise_kernelINS0_13BinaryFunctorIN3c1014Float8_e8m0fnuES4_bNS0_12_GLOBAL__N_116CompareEqFunctorIS4_EEEESt5arrayIPcLm3EELi4E23TrivialOffsetCalculatorILi2EjESC_ILi1EjENS0_6memory15LoadWithoutCastENSF_16StoreWithoutCastEEEviT_T0_T2_T3_T4_T5_
; %bb.0:
	s_load_dwordx2 s[2:3], s[4:5], 0x0
	s_load_dwordx4 s[8:11], s[4:5], 0x8
	s_load_dwordx2 s[12:13], s[4:5], 0x18
	s_lshl_b32 s18, s6, 10
	v_mov_b32_e32 v1, 0
	s_waitcnt lgkmcnt(0)
	s_sub_i32 s19, s2, s18
	v_cmp_gt_i32_e32 vcc, s19, v0
	v_or_b32_e32 v2, s18, v0
	v_mov_b32_e32 v4, 0
	v_mov_b32_e32 v3, 0
	v_mov_b32_e32 v6, 0
	v_mov_b32_e32 v5, 0
	v_mov_b32_e32 v8, 0
	v_mov_b32_e32 v7, 0
	v_mov_b32_e32 v10, 0
	v_mov_b32_e32 v9, 0
	s_and_saveexec_b64 s[4:5], vcc
	s_cbranch_execz .LBB313_8
; %bb.1:
	global_load_ubyte v10, v2, s[10:11]
	global_load_ubyte v9, v2, s[12:13]
	v_or_b32_e32 v11, 0x100, v0
	v_cmp_gt_u32_e64 s[0:1], s19, v11
	v_mov_b32_e32 v7, 0
	v_mov_b32_e32 v8, 0
	;; [unrolled: 1-line block ×6, first 2 shown]
	s_and_saveexec_b64 s[6:7], s[0:1]
	s_cbranch_execz .LBB313_7
; %bb.2:
	v_add_u32_e32 v3, s18, v11
	global_load_ubyte v8, v3, s[10:11]
	global_load_ubyte v7, v3, s[12:13]
	v_or_b32_e32 v11, 0x200, v0
	v_cmp_gt_u32_e64 s[0:1], s19, v11
	v_mov_b32_e32 v5, 0
	v_mov_b32_e32 v6, 0
	;; [unrolled: 1-line block ×4, first 2 shown]
	s_and_saveexec_b64 s[14:15], s[0:1]
	s_cbranch_execz .LBB313_6
; %bb.3:
	v_add_u32_e32 v3, s18, v11
	global_load_ubyte v6, v3, s[10:11]
	global_load_ubyte v5, v3, s[12:13]
	v_or_b32_e32 v11, 0x300, v0
	v_cmp_gt_u32_e64 s[0:1], s19, v11
	v_mov_b32_e32 v3, 0
	v_mov_b32_e32 v4, 0
	s_and_saveexec_b64 s[16:17], s[0:1]
	s_cbranch_execz .LBB313_5
; %bb.4:
	v_add_u32_e32 v11, s18, v11
	global_load_ubyte v4, v11, s[10:11]
	global_load_ubyte v3, v11, s[12:13]
.LBB313_5:
	s_or_b64 exec, exec, s[16:17]
.LBB313_6:
	s_or_b64 exec, exec, s[14:15]
.LBB313_7:
	s_or_b64 exec, exec, s[6:7]
.LBB313_8:
	s_or_b64 exec, exec, s[4:5]
	s_cmp_eq_u32 s3, 0
	s_cselect_b64 s[0:1], -1, 0
	s_and_saveexec_b64 s[4:5], vcc
	s_cbranch_execz .LBB313_10
; %bb.9:
	s_movk_i32 s6, 0xff
	v_mov_b32_e32 v1, 23
	s_waitcnt vmcnt(1)
	v_lshlrev_b32_sdwa v11, v1, v10 dst_sel:DWORD dst_unused:UNUSED_PAD src0_sel:DWORD src1_sel:BYTE_0
	v_mov_b32_e32 v12, 0x7f800001
	v_cmp_ne_u16_sdwa s[2:3], v10, s6 src0_sel:BYTE_0 src1_sel:DWORD
	v_mov_b32_e32 v13, 0
	v_cndmask_b32_e64 v11, v12, v11, s[2:3]
	v_mov_b32_e32 v14, 0x400000
	v_cmp_ne_u16_sdwa s[2:3], v10, v13 src0_sel:BYTE_0 src1_sel:DWORD
	v_cndmask_b32_e64 v10, v14, v11, s[2:3]
	s_waitcnt vmcnt(0)
	v_lshlrev_b32_sdwa v1, v1, v9 dst_sel:DWORD dst_unused:UNUSED_PAD src0_sel:DWORD src1_sel:BYTE_0
	v_cmp_ne_u16_sdwa s[2:3], v9, s6 src0_sel:BYTE_0 src1_sel:DWORD
	v_cndmask_b32_e64 v1, v12, v1, s[2:3]
	v_cmp_ne_u16_sdwa s[2:3], v9, v13 src0_sel:BYTE_0 src1_sel:DWORD
	v_cndmask_b32_e64 v1, v14, v1, s[2:3]
	v_cmp_eq_f32_e64 s[2:3], v10, v1
	v_cndmask_b32_e64 v9, 0, 1, s[2:3]
	v_cmp_neq_f32_e64 s[2:3], v10, v1
	v_cndmask_b32_e64 v1, 0, 1, s[2:3]
	v_cndmask_b32_e64 v1, v1, v9, s[0:1]
	v_and_b32_e32 v1, 1, v1
.LBB313_10:
	s_or_b64 exec, exec, s[4:5]
	s_waitcnt vmcnt(0)
	v_or_b32_e32 v9, 0x100, v0
	v_cmp_gt_i32_e64 s[2:3], s19, v9
	s_and_saveexec_b64 s[4:5], s[2:3]
	s_cbranch_execz .LBB313_12
; %bb.11:
	s_movk_i32 s6, 0xff
	v_mov_b32_e32 v10, 23
	v_lshlrev_b32_sdwa v11, v10, v8 dst_sel:DWORD dst_unused:UNUSED_PAD src0_sel:DWORD src1_sel:BYTE_0
	v_mov_b32_e32 v12, 0x7f800001
	v_cmp_ne_u16_sdwa s[2:3], v8, s6 src0_sel:BYTE_0 src1_sel:DWORD
	v_mov_b32_e32 v13, 0
	v_cndmask_b32_e64 v11, v12, v11, s[2:3]
	v_mov_b32_e32 v14, 0x400000
	v_cmp_ne_u16_sdwa s[2:3], v8, v13 src0_sel:BYTE_0 src1_sel:DWORD
	v_cndmask_b32_e64 v8, v14, v11, s[2:3]
	v_lshlrev_b32_sdwa v10, v10, v7 dst_sel:DWORD dst_unused:UNUSED_PAD src0_sel:DWORD src1_sel:BYTE_0
	v_cmp_ne_u16_sdwa s[2:3], v7, s6 src0_sel:BYTE_0 src1_sel:DWORD
	v_cndmask_b32_e64 v10, v12, v10, s[2:3]
	v_cmp_ne_u16_sdwa s[2:3], v7, v13 src0_sel:BYTE_0 src1_sel:DWORD
	v_cndmask_b32_e64 v7, v14, v10, s[2:3]
	v_cmp_eq_f32_e64 s[2:3], v8, v7
	v_cndmask_b32_e64 v10, 0, 1, s[2:3]
	v_cmp_neq_f32_e64 s[2:3], v8, v7
	v_cndmask_b32_e64 v7, 0, 1, s[2:3]
	v_cndmask_b32_e64 v7, v7, v10, s[0:1]
	v_mov_b32_e32 v8, 1
	v_and_b32_sdwa v7, v7, v8 dst_sel:BYTE_1 dst_unused:UNUSED_PAD src0_sel:DWORD src1_sel:DWORD
	v_or_b32_e32 v1, v1, v7
	v_and_b32_e32 v1, 0xffff, v1
.LBB313_12:
	s_or_b64 exec, exec, s[4:5]
	v_or_b32_e32 v7, 0x200, v0
	v_cmp_gt_i32_e64 s[2:3], s19, v7
	s_and_saveexec_b64 s[4:5], s[2:3]
	s_cbranch_execz .LBB313_14
; %bb.13:
	s_movk_i32 s6, 0xff
	v_mov_b32_e32 v7, 23
	v_lshlrev_b32_sdwa v8, v7, v6 dst_sel:DWORD dst_unused:UNUSED_PAD src0_sel:DWORD src1_sel:BYTE_0
	v_mov_b32_e32 v10, 0x7f800001
	v_cmp_ne_u16_sdwa s[2:3], v6, s6 src0_sel:BYTE_0 src1_sel:DWORD
	v_mov_b32_e32 v11, 0
	v_cndmask_b32_e64 v8, v10, v8, s[2:3]
	v_mov_b32_e32 v12, 0x400000
	v_cmp_ne_u16_sdwa s[2:3], v6, v11 src0_sel:BYTE_0 src1_sel:DWORD
	v_cndmask_b32_e64 v6, v12, v8, s[2:3]
	v_lshlrev_b32_sdwa v7, v7, v5 dst_sel:DWORD dst_unused:UNUSED_PAD src0_sel:DWORD src1_sel:BYTE_0
	v_cmp_ne_u16_sdwa s[2:3], v5, s6 src0_sel:BYTE_0 src1_sel:DWORD
	v_cndmask_b32_e64 v7, v10, v7, s[2:3]
	v_cmp_ne_u16_sdwa s[2:3], v5, v11 src0_sel:BYTE_0 src1_sel:DWORD
	v_cndmask_b32_e64 v5, v12, v7, s[2:3]
	v_cmp_eq_f32_e64 s[2:3], v6, v5
	v_cndmask_b32_e64 v7, 0, 1, s[2:3]
	v_cmp_neq_f32_e64 s[2:3], v6, v5
	v_cndmask_b32_e64 v5, 0, 1, s[2:3]
	v_cndmask_b32_e64 v5, v5, v7, s[0:1]
	v_and_b32_e32 v5, 1, v5
	v_lshl_or_b32 v1, v5, 16, v1
.LBB313_14:
	s_or_b64 exec, exec, s[4:5]
	v_or_b32_e32 v5, 0x300, v0
	v_cmp_gt_i32_e64 s[2:3], s19, v5
	s_and_saveexec_b64 s[4:5], s[2:3]
	s_cbranch_execnz .LBB313_20
; %bb.15:
	s_or_b64 exec, exec, s[4:5]
	s_and_saveexec_b64 s[0:1], vcc
	s_xor_b64 s[0:1], exec, s[0:1]
	s_cbranch_execnz .LBB313_21
.LBB313_16:
	s_or_b64 exec, exec, s[0:1]
	v_cmp_gt_i32_e32 vcc, s19, v0
	s_and_saveexec_b64 s[0:1], vcc
	s_cbranch_execnz .LBB313_22
.LBB313_17:
	s_or_b64 exec, exec, s[0:1]
	v_cmp_gt_i32_e32 vcc, s19, v0
	s_and_saveexec_b64 s[0:1], vcc
	s_cbranch_execnz .LBB313_23
.LBB313_18:
	s_or_b64 exec, exec, s[0:1]
	v_cmp_gt_i32_e32 vcc, s19, v0
	s_and_saveexec_b64 s[0:1], vcc
	s_cbranch_execnz .LBB313_24
.LBB313_19:
	s_endpgm
.LBB313_20:
	s_movk_i32 s6, 0xff
	v_mov_b32_e32 v5, 23
	v_lshlrev_b32_sdwa v6, v5, v4 dst_sel:DWORD dst_unused:UNUSED_PAD src0_sel:DWORD src1_sel:BYTE_0
	v_mov_b32_e32 v7, 0x7f800001
	v_cmp_ne_u16_sdwa s[2:3], v4, s6 src0_sel:BYTE_0 src1_sel:DWORD
	v_mov_b32_e32 v8, 0
	v_cndmask_b32_e64 v6, v7, v6, s[2:3]
	v_mov_b32_e32 v10, 0x400000
	v_cmp_ne_u16_sdwa s[2:3], v4, v8 src0_sel:BYTE_0 src1_sel:DWORD
	v_cndmask_b32_e64 v4, v10, v6, s[2:3]
	v_lshlrev_b32_sdwa v5, v5, v3 dst_sel:DWORD dst_unused:UNUSED_PAD src0_sel:DWORD src1_sel:BYTE_0
	v_cmp_ne_u16_sdwa s[2:3], v3, s6 src0_sel:BYTE_0 src1_sel:DWORD
	v_cndmask_b32_e64 v5, v7, v5, s[2:3]
	v_cmp_ne_u16_sdwa s[2:3], v3, v8 src0_sel:BYTE_0 src1_sel:DWORD
	v_cndmask_b32_e64 v3, v10, v5, s[2:3]
	v_cmp_eq_f32_e64 s[2:3], v4, v3
	v_cndmask_b32_e64 v5, 0, 1, s[2:3]
	v_cmp_neq_f32_e64 s[2:3], v4, v3
	v_cndmask_b32_e64 v3, 0, 1, s[2:3]
	v_cndmask_b32_e64 v3, v3, v5, s[0:1]
	v_mov_b32_e32 v4, 1
	v_and_b32_sdwa v3, v3, v4 dst_sel:BYTE_1 dst_unused:UNUSED_PAD src0_sel:DWORD src1_sel:DWORD
	v_or_b32_sdwa v3, v1, v3 dst_sel:WORD_1 dst_unused:UNUSED_PAD src0_sel:WORD_1 src1_sel:DWORD
	s_mov_b32 s0, 0xffff
	v_and_or_b32 v1, v1, s0, v3
	s_or_b64 exec, exec, s[4:5]
	s_and_saveexec_b64 s[0:1], vcc
	s_xor_b64 s[0:1], exec, s[0:1]
	s_cbranch_execz .LBB313_16
.LBB313_21:
	v_mov_b32_e32 v0, v9
	global_store_byte v2, v1, s[8:9]
	s_or_b64 exec, exec, s[0:1]
	v_cmp_gt_i32_e32 vcc, s19, v0
	s_and_saveexec_b64 s[0:1], vcc
	s_cbranch_execz .LBB313_17
.LBB313_22:
	v_add_u32_e32 v2, 0x100, v0
	v_add_u32_e32 v0, s18, v0
	v_lshrrev_b32_e32 v3, 8, v1
	global_store_byte v0, v3, s[8:9]
	v_mov_b32_e32 v0, v2
	s_or_b64 exec, exec, s[0:1]
	v_cmp_gt_i32_e32 vcc, s19, v0
	s_and_saveexec_b64 s[0:1], vcc
	s_cbranch_execz .LBB313_18
.LBB313_23:
	v_add_u32_e32 v2, 0x100, v0
	v_add_u32_e32 v0, s18, v0
	global_store_byte_d16_hi v0, v1, s[8:9]
	v_mov_b32_e32 v0, v2
	s_or_b64 exec, exec, s[0:1]
	v_cmp_gt_i32_e32 vcc, s19, v0
	s_and_saveexec_b64 s[0:1], vcc
	s_cbranch_execz .LBB313_19
.LBB313_24:
	v_add_u32_e32 v0, s18, v0
	v_lshrrev_b32_e32 v1, 24, v1
	global_store_byte v0, v1, s[8:9]
	s_endpgm
	.section	.rodata,"a",@progbits
	.p2align	6, 0x0
	.amdhsa_kernel _ZN2at6native27unrolled_elementwise_kernelINS0_13BinaryFunctorIN3c1014Float8_e8m0fnuES4_bNS0_12_GLOBAL__N_116CompareEqFunctorIS4_EEEESt5arrayIPcLm3EELi4E23TrivialOffsetCalculatorILi2EjESC_ILi1EjENS0_6memory15LoadWithoutCastENSF_16StoreWithoutCastEEEviT_T0_T2_T3_T4_T5_
		.amdhsa_group_segment_fixed_size 0
		.amdhsa_private_segment_fixed_size 0
		.amdhsa_kernarg_size 36
		.amdhsa_user_sgpr_count 6
		.amdhsa_user_sgpr_private_segment_buffer 1
		.amdhsa_user_sgpr_dispatch_ptr 0
		.amdhsa_user_sgpr_queue_ptr 0
		.amdhsa_user_sgpr_kernarg_segment_ptr 1
		.amdhsa_user_sgpr_dispatch_id 0
		.amdhsa_user_sgpr_flat_scratch_init 0
		.amdhsa_user_sgpr_private_segment_size 0
		.amdhsa_uses_dynamic_stack 0
		.amdhsa_system_sgpr_private_segment_wavefront_offset 0
		.amdhsa_system_sgpr_workgroup_id_x 1
		.amdhsa_system_sgpr_workgroup_id_y 0
		.amdhsa_system_sgpr_workgroup_id_z 0
		.amdhsa_system_sgpr_workgroup_info 0
		.amdhsa_system_vgpr_workitem_id 0
		.amdhsa_next_free_vgpr 15
		.amdhsa_next_free_sgpr 20
		.amdhsa_reserve_vcc 1
		.amdhsa_reserve_flat_scratch 0
		.amdhsa_float_round_mode_32 0
		.amdhsa_float_round_mode_16_64 0
		.amdhsa_float_denorm_mode_32 3
		.amdhsa_float_denorm_mode_16_64 3
		.amdhsa_dx10_clamp 1
		.amdhsa_ieee_mode 1
		.amdhsa_fp16_overflow 0
		.amdhsa_exception_fp_ieee_invalid_op 0
		.amdhsa_exception_fp_denorm_src 0
		.amdhsa_exception_fp_ieee_div_zero 0
		.amdhsa_exception_fp_ieee_overflow 0
		.amdhsa_exception_fp_ieee_underflow 0
		.amdhsa_exception_fp_ieee_inexact 0
		.amdhsa_exception_int_div_zero 0
	.end_amdhsa_kernel
	.section	.text._ZN2at6native27unrolled_elementwise_kernelINS0_13BinaryFunctorIN3c1014Float8_e8m0fnuES4_bNS0_12_GLOBAL__N_116CompareEqFunctorIS4_EEEESt5arrayIPcLm3EELi4E23TrivialOffsetCalculatorILi2EjESC_ILi1EjENS0_6memory15LoadWithoutCastENSF_16StoreWithoutCastEEEviT_T0_T2_T3_T4_T5_,"axG",@progbits,_ZN2at6native27unrolled_elementwise_kernelINS0_13BinaryFunctorIN3c1014Float8_e8m0fnuES4_bNS0_12_GLOBAL__N_116CompareEqFunctorIS4_EEEESt5arrayIPcLm3EELi4E23TrivialOffsetCalculatorILi2EjESC_ILi1EjENS0_6memory15LoadWithoutCastENSF_16StoreWithoutCastEEEviT_T0_T2_T3_T4_T5_,comdat
.Lfunc_end313:
	.size	_ZN2at6native27unrolled_elementwise_kernelINS0_13BinaryFunctorIN3c1014Float8_e8m0fnuES4_bNS0_12_GLOBAL__N_116CompareEqFunctorIS4_EEEESt5arrayIPcLm3EELi4E23TrivialOffsetCalculatorILi2EjESC_ILi1EjENS0_6memory15LoadWithoutCastENSF_16StoreWithoutCastEEEviT_T0_T2_T3_T4_T5_, .Lfunc_end313-_ZN2at6native27unrolled_elementwise_kernelINS0_13BinaryFunctorIN3c1014Float8_e8m0fnuES4_bNS0_12_GLOBAL__N_116CompareEqFunctorIS4_EEEESt5arrayIPcLm3EELi4E23TrivialOffsetCalculatorILi2EjESC_ILi1EjENS0_6memory15LoadWithoutCastENSF_16StoreWithoutCastEEEviT_T0_T2_T3_T4_T5_
                                        ; -- End function
	.set _ZN2at6native27unrolled_elementwise_kernelINS0_13BinaryFunctorIN3c1014Float8_e8m0fnuES4_bNS0_12_GLOBAL__N_116CompareEqFunctorIS4_EEEESt5arrayIPcLm3EELi4E23TrivialOffsetCalculatorILi2EjESC_ILi1EjENS0_6memory15LoadWithoutCastENSF_16StoreWithoutCastEEEviT_T0_T2_T3_T4_T5_.num_vgpr, 15
	.set _ZN2at6native27unrolled_elementwise_kernelINS0_13BinaryFunctorIN3c1014Float8_e8m0fnuES4_bNS0_12_GLOBAL__N_116CompareEqFunctorIS4_EEEESt5arrayIPcLm3EELi4E23TrivialOffsetCalculatorILi2EjESC_ILi1EjENS0_6memory15LoadWithoutCastENSF_16StoreWithoutCastEEEviT_T0_T2_T3_T4_T5_.num_agpr, 0
	.set _ZN2at6native27unrolled_elementwise_kernelINS0_13BinaryFunctorIN3c1014Float8_e8m0fnuES4_bNS0_12_GLOBAL__N_116CompareEqFunctorIS4_EEEESt5arrayIPcLm3EELi4E23TrivialOffsetCalculatorILi2EjESC_ILi1EjENS0_6memory15LoadWithoutCastENSF_16StoreWithoutCastEEEviT_T0_T2_T3_T4_T5_.numbered_sgpr, 20
	.set _ZN2at6native27unrolled_elementwise_kernelINS0_13BinaryFunctorIN3c1014Float8_e8m0fnuES4_bNS0_12_GLOBAL__N_116CompareEqFunctorIS4_EEEESt5arrayIPcLm3EELi4E23TrivialOffsetCalculatorILi2EjESC_ILi1EjENS0_6memory15LoadWithoutCastENSF_16StoreWithoutCastEEEviT_T0_T2_T3_T4_T5_.num_named_barrier, 0
	.set _ZN2at6native27unrolled_elementwise_kernelINS0_13BinaryFunctorIN3c1014Float8_e8m0fnuES4_bNS0_12_GLOBAL__N_116CompareEqFunctorIS4_EEEESt5arrayIPcLm3EELi4E23TrivialOffsetCalculatorILi2EjESC_ILi1EjENS0_6memory15LoadWithoutCastENSF_16StoreWithoutCastEEEviT_T0_T2_T3_T4_T5_.private_seg_size, 0
	.set _ZN2at6native27unrolled_elementwise_kernelINS0_13BinaryFunctorIN3c1014Float8_e8m0fnuES4_bNS0_12_GLOBAL__N_116CompareEqFunctorIS4_EEEESt5arrayIPcLm3EELi4E23TrivialOffsetCalculatorILi2EjESC_ILi1EjENS0_6memory15LoadWithoutCastENSF_16StoreWithoutCastEEEviT_T0_T2_T3_T4_T5_.uses_vcc, 1
	.set _ZN2at6native27unrolled_elementwise_kernelINS0_13BinaryFunctorIN3c1014Float8_e8m0fnuES4_bNS0_12_GLOBAL__N_116CompareEqFunctorIS4_EEEESt5arrayIPcLm3EELi4E23TrivialOffsetCalculatorILi2EjESC_ILi1EjENS0_6memory15LoadWithoutCastENSF_16StoreWithoutCastEEEviT_T0_T2_T3_T4_T5_.uses_flat_scratch, 0
	.set _ZN2at6native27unrolled_elementwise_kernelINS0_13BinaryFunctorIN3c1014Float8_e8m0fnuES4_bNS0_12_GLOBAL__N_116CompareEqFunctorIS4_EEEESt5arrayIPcLm3EELi4E23TrivialOffsetCalculatorILi2EjESC_ILi1EjENS0_6memory15LoadWithoutCastENSF_16StoreWithoutCastEEEviT_T0_T2_T3_T4_T5_.has_dyn_sized_stack, 0
	.set _ZN2at6native27unrolled_elementwise_kernelINS0_13BinaryFunctorIN3c1014Float8_e8m0fnuES4_bNS0_12_GLOBAL__N_116CompareEqFunctorIS4_EEEESt5arrayIPcLm3EELi4E23TrivialOffsetCalculatorILi2EjESC_ILi1EjENS0_6memory15LoadWithoutCastENSF_16StoreWithoutCastEEEviT_T0_T2_T3_T4_T5_.has_recursion, 0
	.set _ZN2at6native27unrolled_elementwise_kernelINS0_13BinaryFunctorIN3c1014Float8_e8m0fnuES4_bNS0_12_GLOBAL__N_116CompareEqFunctorIS4_EEEESt5arrayIPcLm3EELi4E23TrivialOffsetCalculatorILi2EjESC_ILi1EjENS0_6memory15LoadWithoutCastENSF_16StoreWithoutCastEEEviT_T0_T2_T3_T4_T5_.has_indirect_call, 0
	.section	.AMDGPU.csdata,"",@progbits
; Kernel info:
; codeLenInByte = 1296
; TotalNumSgprs: 24
; NumVgprs: 15
; ScratchSize: 0
; MemoryBound: 0
; FloatMode: 240
; IeeeMode: 1
; LDSByteSize: 0 bytes/workgroup (compile time only)
; SGPRBlocks: 2
; VGPRBlocks: 3
; NumSGPRsForWavesPerEU: 24
; NumVGPRsForWavesPerEU: 15
; Occupancy: 10
; WaveLimiterHint : 0
; COMPUTE_PGM_RSRC2:SCRATCH_EN: 0
; COMPUTE_PGM_RSRC2:USER_SGPR: 6
; COMPUTE_PGM_RSRC2:TRAP_HANDLER: 0
; COMPUTE_PGM_RSRC2:TGID_X_EN: 1
; COMPUTE_PGM_RSRC2:TGID_Y_EN: 0
; COMPUTE_PGM_RSRC2:TGID_Z_EN: 0
; COMPUTE_PGM_RSRC2:TIDIG_COMP_CNT: 0
	.section	.text._ZN2at6native32elementwise_kernel_manual_unrollILi128ELi8EZNS0_22gpu_kernel_impl_nocastINS0_13BinaryFunctorIN3c1014Float8_e8m0fnuES5_bNS0_12_GLOBAL__N_116CompareEqFunctorIS5_EEEEEEvRNS_18TensorIteratorBaseERKT_EUlibE_EEviT1_,"axG",@progbits,_ZN2at6native32elementwise_kernel_manual_unrollILi128ELi8EZNS0_22gpu_kernel_impl_nocastINS0_13BinaryFunctorIN3c1014Float8_e8m0fnuES5_bNS0_12_GLOBAL__N_116CompareEqFunctorIS5_EEEEEEvRNS_18TensorIteratorBaseERKT_EUlibE_EEviT1_,comdat
	.globl	_ZN2at6native32elementwise_kernel_manual_unrollILi128ELi8EZNS0_22gpu_kernel_impl_nocastINS0_13BinaryFunctorIN3c1014Float8_e8m0fnuES5_bNS0_12_GLOBAL__N_116CompareEqFunctorIS5_EEEEEEvRNS_18TensorIteratorBaseERKT_EUlibE_EEviT1_ ; -- Begin function _ZN2at6native32elementwise_kernel_manual_unrollILi128ELi8EZNS0_22gpu_kernel_impl_nocastINS0_13BinaryFunctorIN3c1014Float8_e8m0fnuES5_bNS0_12_GLOBAL__N_116CompareEqFunctorIS5_EEEEEEvRNS_18TensorIteratorBaseERKT_EUlibE_EEviT1_
	.p2align	8
	.type	_ZN2at6native32elementwise_kernel_manual_unrollILi128ELi8EZNS0_22gpu_kernel_impl_nocastINS0_13BinaryFunctorIN3c1014Float8_e8m0fnuES5_bNS0_12_GLOBAL__N_116CompareEqFunctorIS5_EEEEEEvRNS_18TensorIteratorBaseERKT_EUlibE_EEviT1_,@function
_ZN2at6native32elementwise_kernel_manual_unrollILi128ELi8EZNS0_22gpu_kernel_impl_nocastINS0_13BinaryFunctorIN3c1014Float8_e8m0fnuES5_bNS0_12_GLOBAL__N_116CompareEqFunctorIS5_EEEEEEvRNS_18TensorIteratorBaseERKT_EUlibE_EEviT1_: ; @_ZN2at6native32elementwise_kernel_manual_unrollILi128ELi8EZNS0_22gpu_kernel_impl_nocastINS0_13BinaryFunctorIN3c1014Float8_e8m0fnuES5_bNS0_12_GLOBAL__N_116CompareEqFunctorIS5_EEEEEEvRNS_18TensorIteratorBaseERKT_EUlibE_EEviT1_
; %bb.0:
	s_load_dword s38, s[4:5], 0x0
	s_load_dword s33, s[4:5], 0x8
	s_add_u32 s20, s4, 8
	s_addc_u32 s21, s5, 0
	v_lshl_or_b32 v30, s6, 10, v0
	v_or_b32_e32 v40, 0x380, v30
	s_waitcnt lgkmcnt(0)
	s_add_i32 s36, s33, -1
	s_cmp_gt_u32 s36, 1
	v_cmp_le_i32_e32 vcc, s38, v40
	s_cselect_b64 s[2:3], -1, 0
	s_and_saveexec_b64 s[0:1], vcc
	s_xor_b64 s[16:17], exec, s[0:1]
	s_cbranch_execz .LBB314_106
; %bb.1:
	s_load_dwordx4 s[12:15], s[20:21], 0x4
	s_load_dwordx2 s[24:25], s[20:21], 0x14
	s_load_dwordx4 s[8:11], s[20:21], 0xc4
	s_load_dwordx2 s[22:23], s[20:21], 0xd4
	s_load_dword s0, s[20:21], 0x1a0
	s_cmp_lg_u32 s33, 0
	s_load_dwordx2 s[18:19], s[20:21], 0x198
	s_load_dwordx4 s[4:7], s[20:21], 0x188
	s_cselect_b64 s[28:29], -1, 0
	s_min_u32 s37, s36, 15
	s_cmp_gt_u32 s33, 1
	s_cselect_b64 s[26:27], -1, 0
	s_waitcnt lgkmcnt(0)
	s_cmp_eq_u32 s0, 0
	s_cselect_b64 s[0:1], -1, 0
	v_cmp_gt_i32_e32 vcc, s38, v30
	s_and_saveexec_b64 s[30:31], vcc
	s_cbranch_execnz .LBB314_9
; %bb.2:
	s_or_b64 exec, exec, s[30:31]
	v_cmp_gt_i32_e32 vcc, s38, v30
	s_and_saveexec_b64 s[30:31], vcc
	s_cbranch_execnz .LBB314_21
.LBB314_3:
	s_or_b64 exec, exec, s[30:31]
	v_cmp_gt_i32_e32 vcc, s38, v30
	s_and_saveexec_b64 s[30:31], vcc
	s_cbranch_execnz .LBB314_33
.LBB314_4:
	s_or_b64 exec, exec, s[30:31]
	v_cmp_gt_i32_e32 vcc, s38, v30
	s_and_saveexec_b64 s[30:31], vcc
	s_cbranch_execnz .LBB314_45
.LBB314_5:
	s_or_b64 exec, exec, s[30:31]
	v_cmp_gt_i32_e32 vcc, s38, v30
	s_and_saveexec_b64 s[30:31], vcc
	s_cbranch_execnz .LBB314_57
.LBB314_6:
	s_or_b64 exec, exec, s[30:31]
	v_cmp_gt_i32_e32 vcc, s38, v30
	s_and_saveexec_b64 s[30:31], vcc
	s_cbranch_execnz .LBB314_69
.LBB314_7:
	s_or_b64 exec, exec, s[30:31]
	v_cmp_gt_i32_e32 vcc, s38, v30
	s_and_saveexec_b64 s[30:31], vcc
	s_cbranch_execnz .LBB314_81
.LBB314_8:
	s_or_b64 exec, exec, s[30:31]
	v_cmp_gt_i32_e32 vcc, s38, v30
	s_and_saveexec_b64 s[30:31], vcc
	s_cbranch_execnz .LBB314_93
	s_branch .LBB314_105
.LBB314_9:
	s_andn2_b64 vcc, exec, s[2:3]
	s_cbranch_vccnz .LBB314_15
; %bb.10:
	s_andn2_b64 vcc, exec, s[28:29]
	s_cbranch_vccnz .LBB314_16
; %bb.11:
	s_add_i32 s34, s37, 1
	s_and_b32 s39, s34, 30
	s_add_u32 s34, s20, 0xffffffe8
	s_addc_u32 s35, s21, -1
	v_mov_b32_e32 v2, 0
	v_mov_b32_e32 v4, 0
	;; [unrolled: 1-line block ×4, first 2 shown]
.LBB314_12:                             ; =>This Inner Loop Header: Depth=1
	s_load_dwordx4 s[40:43], s[34:35], 0x1c
	s_load_dwordx2 s[48:49], s[34:35], 0x2c
	s_load_dwordx2 s[50:51], s[34:35], 0xec
	s_load_dwordx4 s[44:47], s[34:35], 0xdc
	s_add_u32 s34, s34, 24
	s_waitcnt lgkmcnt(0)
	v_mul_hi_u32 v3, s41, v1
	s_addc_u32 s35, s35, 0
	s_add_i32 s39, s39, -2
	s_cmp_lg_u32 s39, 0
	v_add_u32_e32 v3, v1, v3
	v_lshrrev_b32_e32 v3, s42, v3
	v_mul_lo_u32 v5, v3, s40
	v_mul_hi_u32 v6, s48, v3
	v_sub_u32_e32 v5, v1, v5
	v_add_u32_e32 v1, v3, v6
	v_lshrrev_b32_e32 v1, s49, v1
	v_mul_lo_u32 v8, v1, s43
	v_mul_lo_u32 v6, v5, s44
	v_mul_lo_u32 v7, v5, s45
	v_mul_lo_u32 v5, v5, s46
	v_sub_u32_e32 v3, v3, v8
	v_mul_lo_u32 v8, v3, s47
	v_mul_lo_u32 v9, v3, s50
	;; [unrolled: 1-line block ×3, first 2 shown]
	v_add3_u32 v0, v6, v0, v8
	v_add3_u32 v4, v7, v4, v9
	;; [unrolled: 1-line block ×3, first 2 shown]
	s_cbranch_scc1 .LBB314_12
; %bb.13:
	s_bitcmp1_b32 s37, 0
	s_cselect_b64 s[40:41], -1, 0
	s_and_b64 vcc, exec, s[40:41]
	s_cbranch_vccnz .LBB314_17
; %bb.14:
	s_load_dwordx2 s[40:41], s[34:35], 0x1c
	s_load_dword s39, s[34:35], 0x24
	s_load_dwordx2 s[42:43], s[34:35], 0xdc
	s_waitcnt lgkmcnt(0)
	v_mul_hi_u32 v3, s41, v1
	v_add_u32_e32 v3, v1, v3
	v_lshrrev_b32_e32 v3, s39, v3
	v_mul_lo_u32 v3, v3, s40
	s_load_dword s39, s[34:35], 0xe4
	v_sub_u32_e32 v3, v1, v3
	v_mad_u64_u32 v[0:1], s[34:35], v3, s42, v[0:1]
	v_mad_u64_u32 v[4:5], s[34:35], v3, s43, v[4:5]
	s_waitcnt lgkmcnt(0)
	v_mad_u64_u32 v[2:3], s[34:35], v3, s39, v[2:3]
	s_cbranch_execz .LBB314_18
	s_branch .LBB314_20
.LBB314_15:
                                        ; implicit-def: $vgpr0
                                        ; implicit-def: $vgpr4
                                        ; implicit-def: $vgpr2
	s_branch .LBB314_18
.LBB314_16:
	v_mov_b32_e32 v0, 0
	v_mov_b32_e32 v4, 0
	;; [unrolled: 1-line block ×3, first 2 shown]
.LBB314_17:
	s_cbranch_execnz .LBB314_20
.LBB314_18:
	v_mul_hi_u32 v0, s13, v30
	s_andn2_b64 vcc, exec, s[26:27]
	v_add_u32_e32 v0, v30, v0
	v_lshrrev_b32_e32 v1, s14, v0
	v_mul_lo_u32 v0, v1, s12
	v_sub_u32_e32 v2, v30, v0
	v_mul_lo_u32 v0, v2, s8
	v_mul_lo_u32 v4, v2, s9
	;; [unrolled: 1-line block ×3, first 2 shown]
	s_cbranch_vccnz .LBB314_20
; %bb.19:
	v_mul_hi_u32 v3, s24, v1
	v_add_u32_e32 v3, v1, v3
	v_lshrrev_b32_e32 v3, s25, v3
	v_mul_lo_u32 v3, v3, s15
	v_sub_u32_e32 v3, v1, v3
	v_mad_u64_u32 v[0:1], s[34:35], v3, s11, v[0:1]
	v_mad_u64_u32 v[4:5], s[34:35], v3, s22, v[4:5]
	;; [unrolled: 1-line block ×3, first 2 shown]
.LBB314_20:
	global_load_ubyte v1, v4, s[6:7]
	global_load_ubyte v3, v2, s[18:19]
	s_movk_i32 s34, 0xff
	v_mov_b32_e32 v2, 0x7f800001
	v_mov_b32_e32 v4, 0x400000
	v_add_u32_e32 v30, 0x80, v30
	s_waitcnt vmcnt(1)
	v_lshlrev_b32_e32 v5, 23, v1
	v_cmp_ne_u32_e32 vcc, s34, v1
	s_waitcnt vmcnt(0)
	v_lshlrev_b32_e32 v6, 23, v3
	v_cndmask_b32_e32 v5, v2, v5, vcc
	v_cmp_ne_u32_e32 vcc, s34, v3
	v_cndmask_b32_e32 v2, v2, v6, vcc
	v_cmp_ne_u32_e32 vcc, 0, v1
	v_cndmask_b32_e32 v1, v4, v5, vcc
	v_cmp_ne_u32_e32 vcc, 0, v3
	v_cndmask_b32_e32 v2, v4, v2, vcc
	v_cmp_eq_f32_e32 vcc, v1, v2
	v_cndmask_b32_e64 v3, 0, 1, vcc
	v_cmp_neq_f32_e32 vcc, v1, v2
	v_cndmask_b32_e64 v1, 0, 1, vcc
	v_cndmask_b32_e64 v1, v1, v3, s[0:1]
	v_and_b32_e32 v1, 1, v1
	global_store_byte v0, v1, s[4:5]
	s_or_b64 exec, exec, s[30:31]
	v_cmp_gt_i32_e32 vcc, s38, v30
	s_and_saveexec_b64 s[30:31], vcc
	s_cbranch_execz .LBB314_3
.LBB314_21:
	s_andn2_b64 vcc, exec, s[2:3]
	s_cbranch_vccnz .LBB314_27
; %bb.22:
	s_andn2_b64 vcc, exec, s[28:29]
	s_cbranch_vccnz .LBB314_28
; %bb.23:
	s_add_i32 s34, s37, 1
	s_and_b32 s39, s34, 30
	s_add_u32 s34, s20, 0xffffffe8
	s_addc_u32 s35, s21, -1
	v_mov_b32_e32 v2, 0
	v_mov_b32_e32 v4, 0
	;; [unrolled: 1-line block ×4, first 2 shown]
.LBB314_24:                             ; =>This Inner Loop Header: Depth=1
	s_load_dwordx4 s[40:43], s[34:35], 0x1c
	s_load_dwordx2 s[48:49], s[34:35], 0x2c
	s_load_dwordx2 s[50:51], s[34:35], 0xec
	s_load_dwordx4 s[44:47], s[34:35], 0xdc
	s_add_u32 s34, s34, 24
	s_waitcnt lgkmcnt(0)
	v_mul_hi_u32 v3, s41, v1
	s_addc_u32 s35, s35, 0
	s_add_i32 s39, s39, -2
	s_cmp_eq_u32 s39, 0
	v_add_u32_e32 v3, v1, v3
	v_lshrrev_b32_e32 v3, s42, v3
	v_mul_lo_u32 v5, v3, s40
	v_mul_hi_u32 v6, s48, v3
	v_sub_u32_e32 v5, v1, v5
	v_add_u32_e32 v1, v3, v6
	v_lshrrev_b32_e32 v1, s49, v1
	v_mul_lo_u32 v8, v1, s43
	v_mul_lo_u32 v6, v5, s44
	;; [unrolled: 1-line block ×4, first 2 shown]
	v_sub_u32_e32 v3, v3, v8
	v_mul_lo_u32 v8, v3, s47
	v_mul_lo_u32 v9, v3, s50
	;; [unrolled: 1-line block ×3, first 2 shown]
	v_add3_u32 v0, v6, v0, v8
	v_add3_u32 v4, v7, v4, v9
	v_add3_u32 v2, v5, v2, v3
	s_cbranch_scc0 .LBB314_24
; %bb.25:
	s_bitcmp1_b32 s37, 0
	s_cselect_b64 s[40:41], -1, 0
	s_and_b64 vcc, exec, s[40:41]
	s_cbranch_vccnz .LBB314_29
; %bb.26:
	s_load_dwordx2 s[40:41], s[34:35], 0x1c
	s_load_dword s39, s[34:35], 0x24
	s_load_dwordx2 s[42:43], s[34:35], 0xdc
	s_waitcnt lgkmcnt(0)
	v_mul_hi_u32 v3, s41, v1
	v_add_u32_e32 v3, v1, v3
	v_lshrrev_b32_e32 v3, s39, v3
	v_mul_lo_u32 v3, v3, s40
	s_load_dword s39, s[34:35], 0xe4
	v_sub_u32_e32 v3, v1, v3
	v_mad_u64_u32 v[0:1], s[34:35], v3, s42, v[0:1]
	v_mad_u64_u32 v[4:5], s[34:35], v3, s43, v[4:5]
	s_waitcnt lgkmcnt(0)
	v_mad_u64_u32 v[2:3], s[34:35], v3, s39, v[2:3]
	s_branch .LBB314_29
.LBB314_27:
                                        ; implicit-def: $vgpr0
                                        ; implicit-def: $vgpr4
                                        ; implicit-def: $vgpr2
	s_branch .LBB314_30
.LBB314_28:
	v_mov_b32_e32 v0, 0
	v_mov_b32_e32 v4, 0
	;; [unrolled: 1-line block ×3, first 2 shown]
.LBB314_29:
	s_cbranch_execnz .LBB314_32
.LBB314_30:
	v_mul_hi_u32 v0, s13, v30
	s_andn2_b64 vcc, exec, s[26:27]
	v_add_u32_e32 v0, v30, v0
	v_lshrrev_b32_e32 v1, s14, v0
	v_mul_lo_u32 v0, v1, s12
	v_sub_u32_e32 v2, v30, v0
	v_mul_lo_u32 v0, v2, s8
	v_mul_lo_u32 v4, v2, s9
	;; [unrolled: 1-line block ×3, first 2 shown]
	s_cbranch_vccnz .LBB314_32
; %bb.31:
	v_mul_hi_u32 v3, s24, v1
	v_add_u32_e32 v3, v1, v3
	v_lshrrev_b32_e32 v3, s25, v3
	v_mul_lo_u32 v3, v3, s15
	v_sub_u32_e32 v3, v1, v3
	v_mad_u64_u32 v[0:1], s[34:35], v3, s11, v[0:1]
	v_mad_u64_u32 v[4:5], s[34:35], v3, s22, v[4:5]
	;; [unrolled: 1-line block ×3, first 2 shown]
.LBB314_32:
	global_load_ubyte v1, v4, s[6:7]
	global_load_ubyte v3, v2, s[18:19]
	s_movk_i32 s34, 0xff
	v_mov_b32_e32 v2, 0x7f800001
	v_mov_b32_e32 v4, 0x400000
	v_add_u32_e32 v30, 0x80, v30
	s_waitcnt vmcnt(1)
	v_lshlrev_b32_e32 v5, 23, v1
	v_cmp_ne_u32_e32 vcc, s34, v1
	s_waitcnt vmcnt(0)
	v_lshlrev_b32_e32 v6, 23, v3
	v_cndmask_b32_e32 v5, v2, v5, vcc
	v_cmp_ne_u32_e32 vcc, s34, v3
	v_cndmask_b32_e32 v2, v2, v6, vcc
	v_cmp_ne_u32_e32 vcc, 0, v1
	;; [unrolled: 2-line block ×3, first 2 shown]
	v_cndmask_b32_e32 v2, v4, v2, vcc
	v_cmp_eq_f32_e32 vcc, v1, v2
	v_cndmask_b32_e64 v3, 0, 1, vcc
	v_cmp_neq_f32_e32 vcc, v1, v2
	v_cndmask_b32_e64 v1, 0, 1, vcc
	v_cndmask_b32_e64 v1, v1, v3, s[0:1]
	v_and_b32_e32 v1, 1, v1
	global_store_byte v0, v1, s[4:5]
	s_or_b64 exec, exec, s[30:31]
	v_cmp_gt_i32_e32 vcc, s38, v30
	s_and_saveexec_b64 s[30:31], vcc
	s_cbranch_execz .LBB314_4
.LBB314_33:
	s_andn2_b64 vcc, exec, s[2:3]
	s_cbranch_vccnz .LBB314_39
; %bb.34:
	s_andn2_b64 vcc, exec, s[28:29]
	s_cbranch_vccnz .LBB314_40
; %bb.35:
	s_add_i32 s34, s37, 1
	s_and_b32 s39, s34, 30
	s_add_u32 s34, s20, 0xffffffe8
	s_addc_u32 s35, s21, -1
	v_mov_b32_e32 v2, 0
	v_mov_b32_e32 v4, 0
	;; [unrolled: 1-line block ×4, first 2 shown]
.LBB314_36:                             ; =>This Inner Loop Header: Depth=1
	s_load_dwordx4 s[40:43], s[34:35], 0x1c
	s_load_dwordx2 s[48:49], s[34:35], 0x2c
	s_load_dwordx2 s[50:51], s[34:35], 0xec
	s_load_dwordx4 s[44:47], s[34:35], 0xdc
	s_add_u32 s34, s34, 24
	s_waitcnt lgkmcnt(0)
	v_mul_hi_u32 v3, s41, v1
	s_addc_u32 s35, s35, 0
	s_add_i32 s39, s39, -2
	s_cmp_eq_u32 s39, 0
	v_add_u32_e32 v3, v1, v3
	v_lshrrev_b32_e32 v3, s42, v3
	v_mul_lo_u32 v5, v3, s40
	v_mul_hi_u32 v6, s48, v3
	v_sub_u32_e32 v5, v1, v5
	v_add_u32_e32 v1, v3, v6
	v_lshrrev_b32_e32 v1, s49, v1
	v_mul_lo_u32 v8, v1, s43
	v_mul_lo_u32 v6, v5, s44
	;; [unrolled: 1-line block ×4, first 2 shown]
	v_sub_u32_e32 v3, v3, v8
	v_mul_lo_u32 v8, v3, s47
	v_mul_lo_u32 v9, v3, s50
	;; [unrolled: 1-line block ×3, first 2 shown]
	v_add3_u32 v0, v6, v0, v8
	v_add3_u32 v4, v7, v4, v9
	;; [unrolled: 1-line block ×3, first 2 shown]
	s_cbranch_scc0 .LBB314_36
; %bb.37:
	s_bitcmp1_b32 s37, 0
	s_cselect_b64 s[40:41], -1, 0
	s_and_b64 vcc, exec, s[40:41]
	s_cbranch_vccnz .LBB314_41
; %bb.38:
	s_load_dwordx2 s[40:41], s[34:35], 0x1c
	s_load_dword s39, s[34:35], 0x24
	s_load_dwordx2 s[42:43], s[34:35], 0xdc
	s_waitcnt lgkmcnt(0)
	v_mul_hi_u32 v3, s41, v1
	v_add_u32_e32 v3, v1, v3
	v_lshrrev_b32_e32 v3, s39, v3
	v_mul_lo_u32 v3, v3, s40
	s_load_dword s39, s[34:35], 0xe4
	v_sub_u32_e32 v3, v1, v3
	v_mad_u64_u32 v[0:1], s[34:35], v3, s42, v[0:1]
	v_mad_u64_u32 v[4:5], s[34:35], v3, s43, v[4:5]
	s_waitcnt lgkmcnt(0)
	v_mad_u64_u32 v[2:3], s[34:35], v3, s39, v[2:3]
	s_branch .LBB314_41
.LBB314_39:
                                        ; implicit-def: $vgpr0
                                        ; implicit-def: $vgpr4
                                        ; implicit-def: $vgpr2
	s_branch .LBB314_42
.LBB314_40:
	v_mov_b32_e32 v0, 0
	v_mov_b32_e32 v4, 0
	;; [unrolled: 1-line block ×3, first 2 shown]
.LBB314_41:
	s_cbranch_execnz .LBB314_44
.LBB314_42:
	v_mul_hi_u32 v0, s13, v30
	s_andn2_b64 vcc, exec, s[26:27]
	v_add_u32_e32 v0, v30, v0
	v_lshrrev_b32_e32 v1, s14, v0
	v_mul_lo_u32 v0, v1, s12
	v_sub_u32_e32 v2, v30, v0
	v_mul_lo_u32 v0, v2, s8
	v_mul_lo_u32 v4, v2, s9
	;; [unrolled: 1-line block ×3, first 2 shown]
	s_cbranch_vccnz .LBB314_44
; %bb.43:
	v_mul_hi_u32 v3, s24, v1
	v_add_u32_e32 v3, v1, v3
	v_lshrrev_b32_e32 v3, s25, v3
	v_mul_lo_u32 v3, v3, s15
	v_sub_u32_e32 v3, v1, v3
	v_mad_u64_u32 v[0:1], s[34:35], v3, s11, v[0:1]
	v_mad_u64_u32 v[4:5], s[34:35], v3, s22, v[4:5]
	;; [unrolled: 1-line block ×3, first 2 shown]
.LBB314_44:
	global_load_ubyte v1, v4, s[6:7]
	global_load_ubyte v3, v2, s[18:19]
	s_movk_i32 s34, 0xff
	v_mov_b32_e32 v2, 0x7f800001
	v_mov_b32_e32 v4, 0x400000
	v_add_u32_e32 v30, 0x80, v30
	s_waitcnt vmcnt(1)
	v_lshlrev_b32_e32 v5, 23, v1
	v_cmp_ne_u32_e32 vcc, s34, v1
	s_waitcnt vmcnt(0)
	v_lshlrev_b32_e32 v6, 23, v3
	v_cndmask_b32_e32 v5, v2, v5, vcc
	v_cmp_ne_u32_e32 vcc, s34, v3
	v_cndmask_b32_e32 v2, v2, v6, vcc
	v_cmp_ne_u32_e32 vcc, 0, v1
	;; [unrolled: 2-line block ×3, first 2 shown]
	v_cndmask_b32_e32 v2, v4, v2, vcc
	v_cmp_eq_f32_e32 vcc, v1, v2
	v_cndmask_b32_e64 v3, 0, 1, vcc
	v_cmp_neq_f32_e32 vcc, v1, v2
	v_cndmask_b32_e64 v1, 0, 1, vcc
	v_cndmask_b32_e64 v1, v1, v3, s[0:1]
	v_and_b32_e32 v1, 1, v1
	global_store_byte v0, v1, s[4:5]
	s_or_b64 exec, exec, s[30:31]
	v_cmp_gt_i32_e32 vcc, s38, v30
	s_and_saveexec_b64 s[30:31], vcc
	s_cbranch_execz .LBB314_5
.LBB314_45:
	s_andn2_b64 vcc, exec, s[2:3]
	s_cbranch_vccnz .LBB314_51
; %bb.46:
	s_andn2_b64 vcc, exec, s[28:29]
	s_cbranch_vccnz .LBB314_52
; %bb.47:
	s_add_i32 s34, s37, 1
	s_and_b32 s39, s34, 30
	s_add_u32 s34, s20, 0xffffffe8
	s_addc_u32 s35, s21, -1
	v_mov_b32_e32 v2, 0
	v_mov_b32_e32 v4, 0
	;; [unrolled: 1-line block ×4, first 2 shown]
.LBB314_48:                             ; =>This Inner Loop Header: Depth=1
	s_load_dwordx4 s[40:43], s[34:35], 0x1c
	s_load_dwordx2 s[48:49], s[34:35], 0x2c
	s_load_dwordx2 s[50:51], s[34:35], 0xec
	s_load_dwordx4 s[44:47], s[34:35], 0xdc
	s_add_u32 s34, s34, 24
	s_waitcnt lgkmcnt(0)
	v_mul_hi_u32 v3, s41, v1
	s_addc_u32 s35, s35, 0
	s_add_i32 s39, s39, -2
	s_cmp_eq_u32 s39, 0
	v_add_u32_e32 v3, v1, v3
	v_lshrrev_b32_e32 v3, s42, v3
	v_mul_lo_u32 v5, v3, s40
	v_mul_hi_u32 v6, s48, v3
	v_sub_u32_e32 v5, v1, v5
	v_add_u32_e32 v1, v3, v6
	v_lshrrev_b32_e32 v1, s49, v1
	v_mul_lo_u32 v8, v1, s43
	v_mul_lo_u32 v6, v5, s44
	;; [unrolled: 1-line block ×4, first 2 shown]
	v_sub_u32_e32 v3, v3, v8
	v_mul_lo_u32 v8, v3, s47
	v_mul_lo_u32 v9, v3, s50
	;; [unrolled: 1-line block ×3, first 2 shown]
	v_add3_u32 v0, v6, v0, v8
	v_add3_u32 v4, v7, v4, v9
	;; [unrolled: 1-line block ×3, first 2 shown]
	s_cbranch_scc0 .LBB314_48
; %bb.49:
	s_bitcmp1_b32 s37, 0
	s_cselect_b64 s[40:41], -1, 0
	s_and_b64 vcc, exec, s[40:41]
	s_cbranch_vccnz .LBB314_53
; %bb.50:
	s_load_dwordx2 s[40:41], s[34:35], 0x1c
	s_load_dword s39, s[34:35], 0x24
	s_load_dwordx2 s[42:43], s[34:35], 0xdc
	s_waitcnt lgkmcnt(0)
	v_mul_hi_u32 v3, s41, v1
	v_add_u32_e32 v3, v1, v3
	v_lshrrev_b32_e32 v3, s39, v3
	v_mul_lo_u32 v3, v3, s40
	s_load_dword s39, s[34:35], 0xe4
	v_sub_u32_e32 v3, v1, v3
	v_mad_u64_u32 v[0:1], s[34:35], v3, s42, v[0:1]
	v_mad_u64_u32 v[4:5], s[34:35], v3, s43, v[4:5]
	s_waitcnt lgkmcnt(0)
	v_mad_u64_u32 v[2:3], s[34:35], v3, s39, v[2:3]
	s_branch .LBB314_53
.LBB314_51:
                                        ; implicit-def: $vgpr0
                                        ; implicit-def: $vgpr4
                                        ; implicit-def: $vgpr2
	s_branch .LBB314_54
.LBB314_52:
	v_mov_b32_e32 v0, 0
	v_mov_b32_e32 v4, 0
	;; [unrolled: 1-line block ×3, first 2 shown]
.LBB314_53:
	s_cbranch_execnz .LBB314_56
.LBB314_54:
	v_mul_hi_u32 v0, s13, v30
	s_andn2_b64 vcc, exec, s[26:27]
	v_add_u32_e32 v0, v30, v0
	v_lshrrev_b32_e32 v1, s14, v0
	v_mul_lo_u32 v0, v1, s12
	v_sub_u32_e32 v2, v30, v0
	v_mul_lo_u32 v0, v2, s8
	v_mul_lo_u32 v4, v2, s9
	;; [unrolled: 1-line block ×3, first 2 shown]
	s_cbranch_vccnz .LBB314_56
; %bb.55:
	v_mul_hi_u32 v3, s24, v1
	v_add_u32_e32 v3, v1, v3
	v_lshrrev_b32_e32 v3, s25, v3
	v_mul_lo_u32 v3, v3, s15
	v_sub_u32_e32 v3, v1, v3
	v_mad_u64_u32 v[0:1], s[34:35], v3, s11, v[0:1]
	v_mad_u64_u32 v[4:5], s[34:35], v3, s22, v[4:5]
	;; [unrolled: 1-line block ×3, first 2 shown]
.LBB314_56:
	global_load_ubyte v1, v4, s[6:7]
	global_load_ubyte v3, v2, s[18:19]
	s_movk_i32 s34, 0xff
	v_mov_b32_e32 v2, 0x7f800001
	v_mov_b32_e32 v4, 0x400000
	v_add_u32_e32 v30, 0x80, v30
	s_waitcnt vmcnt(1)
	v_lshlrev_b32_e32 v5, 23, v1
	v_cmp_ne_u32_e32 vcc, s34, v1
	s_waitcnt vmcnt(0)
	v_lshlrev_b32_e32 v6, 23, v3
	v_cndmask_b32_e32 v5, v2, v5, vcc
	v_cmp_ne_u32_e32 vcc, s34, v3
	v_cndmask_b32_e32 v2, v2, v6, vcc
	v_cmp_ne_u32_e32 vcc, 0, v1
	;; [unrolled: 2-line block ×3, first 2 shown]
	v_cndmask_b32_e32 v2, v4, v2, vcc
	v_cmp_eq_f32_e32 vcc, v1, v2
	v_cndmask_b32_e64 v3, 0, 1, vcc
	v_cmp_neq_f32_e32 vcc, v1, v2
	v_cndmask_b32_e64 v1, 0, 1, vcc
	v_cndmask_b32_e64 v1, v1, v3, s[0:1]
	v_and_b32_e32 v1, 1, v1
	global_store_byte v0, v1, s[4:5]
	s_or_b64 exec, exec, s[30:31]
	v_cmp_gt_i32_e32 vcc, s38, v30
	s_and_saveexec_b64 s[30:31], vcc
	s_cbranch_execz .LBB314_6
.LBB314_57:
	s_andn2_b64 vcc, exec, s[2:3]
	s_cbranch_vccnz .LBB314_63
; %bb.58:
	s_andn2_b64 vcc, exec, s[28:29]
	s_cbranch_vccnz .LBB314_64
; %bb.59:
	s_add_i32 s34, s37, 1
	s_and_b32 s39, s34, 30
	s_add_u32 s34, s20, 0xffffffe8
	s_addc_u32 s35, s21, -1
	v_mov_b32_e32 v2, 0
	v_mov_b32_e32 v4, 0
	;; [unrolled: 1-line block ×4, first 2 shown]
.LBB314_60:                             ; =>This Inner Loop Header: Depth=1
	s_load_dwordx4 s[40:43], s[34:35], 0x1c
	s_load_dwordx2 s[48:49], s[34:35], 0x2c
	s_load_dwordx2 s[50:51], s[34:35], 0xec
	s_load_dwordx4 s[44:47], s[34:35], 0xdc
	s_add_u32 s34, s34, 24
	s_waitcnt lgkmcnt(0)
	v_mul_hi_u32 v3, s41, v1
	s_addc_u32 s35, s35, 0
	s_add_i32 s39, s39, -2
	s_cmp_eq_u32 s39, 0
	v_add_u32_e32 v3, v1, v3
	v_lshrrev_b32_e32 v3, s42, v3
	v_mul_lo_u32 v5, v3, s40
	v_mul_hi_u32 v6, s48, v3
	v_sub_u32_e32 v5, v1, v5
	v_add_u32_e32 v1, v3, v6
	v_lshrrev_b32_e32 v1, s49, v1
	v_mul_lo_u32 v8, v1, s43
	v_mul_lo_u32 v6, v5, s44
	;; [unrolled: 1-line block ×4, first 2 shown]
	v_sub_u32_e32 v3, v3, v8
	v_mul_lo_u32 v8, v3, s47
	v_mul_lo_u32 v9, v3, s50
	v_mul_lo_u32 v3, v3, s51
	v_add3_u32 v0, v6, v0, v8
	v_add3_u32 v4, v7, v4, v9
	;; [unrolled: 1-line block ×3, first 2 shown]
	s_cbranch_scc0 .LBB314_60
; %bb.61:
	s_bitcmp1_b32 s37, 0
	s_cselect_b64 s[40:41], -1, 0
	s_and_b64 vcc, exec, s[40:41]
	s_cbranch_vccnz .LBB314_65
; %bb.62:
	s_load_dwordx2 s[40:41], s[34:35], 0x1c
	s_load_dword s39, s[34:35], 0x24
	s_load_dwordx2 s[42:43], s[34:35], 0xdc
	s_waitcnt lgkmcnt(0)
	v_mul_hi_u32 v3, s41, v1
	v_add_u32_e32 v3, v1, v3
	v_lshrrev_b32_e32 v3, s39, v3
	v_mul_lo_u32 v3, v3, s40
	s_load_dword s39, s[34:35], 0xe4
	v_sub_u32_e32 v3, v1, v3
	v_mad_u64_u32 v[0:1], s[34:35], v3, s42, v[0:1]
	v_mad_u64_u32 v[4:5], s[34:35], v3, s43, v[4:5]
	s_waitcnt lgkmcnt(0)
	v_mad_u64_u32 v[2:3], s[34:35], v3, s39, v[2:3]
	s_branch .LBB314_65
.LBB314_63:
                                        ; implicit-def: $vgpr0
                                        ; implicit-def: $vgpr4
                                        ; implicit-def: $vgpr2
	s_branch .LBB314_66
.LBB314_64:
	v_mov_b32_e32 v0, 0
	v_mov_b32_e32 v4, 0
	;; [unrolled: 1-line block ×3, first 2 shown]
.LBB314_65:
	s_cbranch_execnz .LBB314_68
.LBB314_66:
	v_mul_hi_u32 v0, s13, v30
	s_andn2_b64 vcc, exec, s[26:27]
	v_add_u32_e32 v0, v30, v0
	v_lshrrev_b32_e32 v1, s14, v0
	v_mul_lo_u32 v0, v1, s12
	v_sub_u32_e32 v2, v30, v0
	v_mul_lo_u32 v0, v2, s8
	v_mul_lo_u32 v4, v2, s9
	;; [unrolled: 1-line block ×3, first 2 shown]
	s_cbranch_vccnz .LBB314_68
; %bb.67:
	v_mul_hi_u32 v3, s24, v1
	v_add_u32_e32 v3, v1, v3
	v_lshrrev_b32_e32 v3, s25, v3
	v_mul_lo_u32 v3, v3, s15
	v_sub_u32_e32 v3, v1, v3
	v_mad_u64_u32 v[0:1], s[34:35], v3, s11, v[0:1]
	v_mad_u64_u32 v[4:5], s[34:35], v3, s22, v[4:5]
	;; [unrolled: 1-line block ×3, first 2 shown]
.LBB314_68:
	global_load_ubyte v1, v4, s[6:7]
	global_load_ubyte v3, v2, s[18:19]
	s_movk_i32 s34, 0xff
	v_mov_b32_e32 v2, 0x7f800001
	v_mov_b32_e32 v4, 0x400000
	v_add_u32_e32 v30, 0x80, v30
	s_waitcnt vmcnt(1)
	v_lshlrev_b32_e32 v5, 23, v1
	v_cmp_ne_u32_e32 vcc, s34, v1
	s_waitcnt vmcnt(0)
	v_lshlrev_b32_e32 v6, 23, v3
	v_cndmask_b32_e32 v5, v2, v5, vcc
	v_cmp_ne_u32_e32 vcc, s34, v3
	v_cndmask_b32_e32 v2, v2, v6, vcc
	v_cmp_ne_u32_e32 vcc, 0, v1
	;; [unrolled: 2-line block ×3, first 2 shown]
	v_cndmask_b32_e32 v2, v4, v2, vcc
	v_cmp_eq_f32_e32 vcc, v1, v2
	v_cndmask_b32_e64 v3, 0, 1, vcc
	v_cmp_neq_f32_e32 vcc, v1, v2
	v_cndmask_b32_e64 v1, 0, 1, vcc
	v_cndmask_b32_e64 v1, v1, v3, s[0:1]
	v_and_b32_e32 v1, 1, v1
	global_store_byte v0, v1, s[4:5]
	s_or_b64 exec, exec, s[30:31]
	v_cmp_gt_i32_e32 vcc, s38, v30
	s_and_saveexec_b64 s[30:31], vcc
	s_cbranch_execz .LBB314_7
.LBB314_69:
	s_andn2_b64 vcc, exec, s[2:3]
	s_cbranch_vccnz .LBB314_75
; %bb.70:
	s_andn2_b64 vcc, exec, s[28:29]
	s_cbranch_vccnz .LBB314_76
; %bb.71:
	s_add_i32 s34, s37, 1
	s_and_b32 s39, s34, 30
	s_add_u32 s34, s20, 0xffffffe8
	s_addc_u32 s35, s21, -1
	v_mov_b32_e32 v2, 0
	v_mov_b32_e32 v4, 0
	;; [unrolled: 1-line block ×4, first 2 shown]
.LBB314_72:                             ; =>This Inner Loop Header: Depth=1
	s_load_dwordx4 s[40:43], s[34:35], 0x1c
	s_load_dwordx2 s[48:49], s[34:35], 0x2c
	s_load_dwordx2 s[50:51], s[34:35], 0xec
	s_load_dwordx4 s[44:47], s[34:35], 0xdc
	s_add_u32 s34, s34, 24
	s_waitcnt lgkmcnt(0)
	v_mul_hi_u32 v3, s41, v1
	s_addc_u32 s35, s35, 0
	s_add_i32 s39, s39, -2
	s_cmp_eq_u32 s39, 0
	v_add_u32_e32 v3, v1, v3
	v_lshrrev_b32_e32 v3, s42, v3
	v_mul_lo_u32 v5, v3, s40
	v_mul_hi_u32 v6, s48, v3
	v_sub_u32_e32 v5, v1, v5
	v_add_u32_e32 v1, v3, v6
	v_lshrrev_b32_e32 v1, s49, v1
	v_mul_lo_u32 v8, v1, s43
	v_mul_lo_u32 v6, v5, s44
	;; [unrolled: 1-line block ×4, first 2 shown]
	v_sub_u32_e32 v3, v3, v8
	v_mul_lo_u32 v8, v3, s47
	v_mul_lo_u32 v9, v3, s50
	;; [unrolled: 1-line block ×3, first 2 shown]
	v_add3_u32 v0, v6, v0, v8
	v_add3_u32 v4, v7, v4, v9
	;; [unrolled: 1-line block ×3, first 2 shown]
	s_cbranch_scc0 .LBB314_72
; %bb.73:
	s_bitcmp1_b32 s37, 0
	s_cselect_b64 s[40:41], -1, 0
	s_and_b64 vcc, exec, s[40:41]
	s_cbranch_vccnz .LBB314_77
; %bb.74:
	s_load_dwordx2 s[40:41], s[34:35], 0x1c
	s_load_dword s39, s[34:35], 0x24
	s_load_dwordx2 s[42:43], s[34:35], 0xdc
	s_waitcnt lgkmcnt(0)
	v_mul_hi_u32 v3, s41, v1
	v_add_u32_e32 v3, v1, v3
	v_lshrrev_b32_e32 v3, s39, v3
	v_mul_lo_u32 v3, v3, s40
	s_load_dword s39, s[34:35], 0xe4
	v_sub_u32_e32 v3, v1, v3
	v_mad_u64_u32 v[0:1], s[34:35], v3, s42, v[0:1]
	v_mad_u64_u32 v[4:5], s[34:35], v3, s43, v[4:5]
	s_waitcnt lgkmcnt(0)
	v_mad_u64_u32 v[2:3], s[34:35], v3, s39, v[2:3]
	s_branch .LBB314_77
.LBB314_75:
                                        ; implicit-def: $vgpr0
                                        ; implicit-def: $vgpr4
                                        ; implicit-def: $vgpr2
	s_branch .LBB314_78
.LBB314_76:
	v_mov_b32_e32 v0, 0
	v_mov_b32_e32 v4, 0
	v_mov_b32_e32 v2, 0
.LBB314_77:
	s_cbranch_execnz .LBB314_80
.LBB314_78:
	v_mul_hi_u32 v0, s13, v30
	s_andn2_b64 vcc, exec, s[26:27]
	v_add_u32_e32 v0, v30, v0
	v_lshrrev_b32_e32 v1, s14, v0
	v_mul_lo_u32 v0, v1, s12
	v_sub_u32_e32 v2, v30, v0
	v_mul_lo_u32 v0, v2, s8
	v_mul_lo_u32 v4, v2, s9
	;; [unrolled: 1-line block ×3, first 2 shown]
	s_cbranch_vccnz .LBB314_80
; %bb.79:
	v_mul_hi_u32 v3, s24, v1
	v_add_u32_e32 v3, v1, v3
	v_lshrrev_b32_e32 v3, s25, v3
	v_mul_lo_u32 v3, v3, s15
	v_sub_u32_e32 v3, v1, v3
	v_mad_u64_u32 v[0:1], s[34:35], v3, s11, v[0:1]
	v_mad_u64_u32 v[4:5], s[34:35], v3, s22, v[4:5]
	v_mad_u64_u32 v[2:3], s[34:35], v3, s23, v[2:3]
.LBB314_80:
	global_load_ubyte v1, v4, s[6:7]
	global_load_ubyte v3, v2, s[18:19]
	s_movk_i32 s34, 0xff
	v_mov_b32_e32 v2, 0x7f800001
	v_mov_b32_e32 v4, 0x400000
	v_add_u32_e32 v30, 0x80, v30
	s_waitcnt vmcnt(1)
	v_lshlrev_b32_e32 v5, 23, v1
	v_cmp_ne_u32_e32 vcc, s34, v1
	s_waitcnt vmcnt(0)
	v_lshlrev_b32_e32 v6, 23, v3
	v_cndmask_b32_e32 v5, v2, v5, vcc
	v_cmp_ne_u32_e32 vcc, s34, v3
	v_cndmask_b32_e32 v2, v2, v6, vcc
	v_cmp_ne_u32_e32 vcc, 0, v1
	;; [unrolled: 2-line block ×3, first 2 shown]
	v_cndmask_b32_e32 v2, v4, v2, vcc
	v_cmp_eq_f32_e32 vcc, v1, v2
	v_cndmask_b32_e64 v3, 0, 1, vcc
	v_cmp_neq_f32_e32 vcc, v1, v2
	v_cndmask_b32_e64 v1, 0, 1, vcc
	v_cndmask_b32_e64 v1, v1, v3, s[0:1]
	v_and_b32_e32 v1, 1, v1
	global_store_byte v0, v1, s[4:5]
	s_or_b64 exec, exec, s[30:31]
	v_cmp_gt_i32_e32 vcc, s38, v30
	s_and_saveexec_b64 s[30:31], vcc
	s_cbranch_execz .LBB314_8
.LBB314_81:
	s_andn2_b64 vcc, exec, s[2:3]
	s_cbranch_vccnz .LBB314_87
; %bb.82:
	s_andn2_b64 vcc, exec, s[28:29]
	s_cbranch_vccnz .LBB314_88
; %bb.83:
	s_add_i32 s34, s37, 1
	s_and_b32 s39, s34, 30
	s_add_u32 s34, s20, 0xffffffe8
	s_addc_u32 s35, s21, -1
	v_mov_b32_e32 v2, 0
	v_mov_b32_e32 v4, 0
	;; [unrolled: 1-line block ×4, first 2 shown]
.LBB314_84:                             ; =>This Inner Loop Header: Depth=1
	s_load_dwordx4 s[40:43], s[34:35], 0x1c
	s_load_dwordx2 s[48:49], s[34:35], 0x2c
	s_load_dwordx2 s[50:51], s[34:35], 0xec
	s_load_dwordx4 s[44:47], s[34:35], 0xdc
	s_add_u32 s34, s34, 24
	s_waitcnt lgkmcnt(0)
	v_mul_hi_u32 v3, s41, v1
	s_addc_u32 s35, s35, 0
	s_add_i32 s39, s39, -2
	s_cmp_eq_u32 s39, 0
	v_add_u32_e32 v3, v1, v3
	v_lshrrev_b32_e32 v3, s42, v3
	v_mul_lo_u32 v5, v3, s40
	v_mul_hi_u32 v6, s48, v3
	v_sub_u32_e32 v5, v1, v5
	v_add_u32_e32 v1, v3, v6
	v_lshrrev_b32_e32 v1, s49, v1
	v_mul_lo_u32 v8, v1, s43
	v_mul_lo_u32 v6, v5, s44
	;; [unrolled: 1-line block ×4, first 2 shown]
	v_sub_u32_e32 v3, v3, v8
	v_mul_lo_u32 v8, v3, s47
	v_mul_lo_u32 v9, v3, s50
	;; [unrolled: 1-line block ×3, first 2 shown]
	v_add3_u32 v0, v6, v0, v8
	v_add3_u32 v4, v7, v4, v9
	;; [unrolled: 1-line block ×3, first 2 shown]
	s_cbranch_scc0 .LBB314_84
; %bb.85:
	s_bitcmp1_b32 s37, 0
	s_cselect_b64 s[40:41], -1, 0
	s_and_b64 vcc, exec, s[40:41]
	s_cbranch_vccnz .LBB314_89
; %bb.86:
	s_load_dwordx2 s[40:41], s[34:35], 0x1c
	s_load_dword s39, s[34:35], 0x24
	s_load_dwordx2 s[42:43], s[34:35], 0xdc
	s_waitcnt lgkmcnt(0)
	v_mul_hi_u32 v3, s41, v1
	v_add_u32_e32 v3, v1, v3
	v_lshrrev_b32_e32 v3, s39, v3
	v_mul_lo_u32 v3, v3, s40
	s_load_dword s39, s[34:35], 0xe4
	v_sub_u32_e32 v3, v1, v3
	v_mad_u64_u32 v[0:1], s[34:35], v3, s42, v[0:1]
	v_mad_u64_u32 v[4:5], s[34:35], v3, s43, v[4:5]
	s_waitcnt lgkmcnt(0)
	v_mad_u64_u32 v[2:3], s[34:35], v3, s39, v[2:3]
	s_branch .LBB314_89
.LBB314_87:
                                        ; implicit-def: $vgpr0
                                        ; implicit-def: $vgpr4
                                        ; implicit-def: $vgpr2
	s_branch .LBB314_90
.LBB314_88:
	v_mov_b32_e32 v0, 0
	v_mov_b32_e32 v4, 0
	;; [unrolled: 1-line block ×3, first 2 shown]
.LBB314_89:
	s_cbranch_execnz .LBB314_92
.LBB314_90:
	v_mul_hi_u32 v0, s13, v30
	s_andn2_b64 vcc, exec, s[26:27]
	v_add_u32_e32 v0, v30, v0
	v_lshrrev_b32_e32 v1, s14, v0
	v_mul_lo_u32 v0, v1, s12
	v_sub_u32_e32 v2, v30, v0
	v_mul_lo_u32 v0, v2, s8
	v_mul_lo_u32 v4, v2, s9
	;; [unrolled: 1-line block ×3, first 2 shown]
	s_cbranch_vccnz .LBB314_92
; %bb.91:
	v_mul_hi_u32 v3, s24, v1
	v_add_u32_e32 v3, v1, v3
	v_lshrrev_b32_e32 v3, s25, v3
	v_mul_lo_u32 v3, v3, s15
	v_sub_u32_e32 v3, v1, v3
	v_mad_u64_u32 v[0:1], s[34:35], v3, s11, v[0:1]
	v_mad_u64_u32 v[4:5], s[34:35], v3, s22, v[4:5]
	v_mad_u64_u32 v[2:3], s[34:35], v3, s23, v[2:3]
.LBB314_92:
	global_load_ubyte v1, v4, s[6:7]
	global_load_ubyte v3, v2, s[18:19]
	s_movk_i32 s34, 0xff
	v_mov_b32_e32 v2, 0x7f800001
	v_mov_b32_e32 v4, 0x400000
	v_add_u32_e32 v30, 0x80, v30
	s_waitcnt vmcnt(1)
	v_lshlrev_b32_e32 v5, 23, v1
	v_cmp_ne_u32_e32 vcc, s34, v1
	s_waitcnt vmcnt(0)
	v_lshlrev_b32_e32 v6, 23, v3
	v_cndmask_b32_e32 v5, v2, v5, vcc
	v_cmp_ne_u32_e32 vcc, s34, v3
	v_cndmask_b32_e32 v2, v2, v6, vcc
	v_cmp_ne_u32_e32 vcc, 0, v1
	;; [unrolled: 2-line block ×3, first 2 shown]
	v_cndmask_b32_e32 v2, v4, v2, vcc
	v_cmp_eq_f32_e32 vcc, v1, v2
	v_cndmask_b32_e64 v3, 0, 1, vcc
	v_cmp_neq_f32_e32 vcc, v1, v2
	v_cndmask_b32_e64 v1, 0, 1, vcc
	v_cndmask_b32_e64 v1, v1, v3, s[0:1]
	v_and_b32_e32 v1, 1, v1
	global_store_byte v0, v1, s[4:5]
	s_or_b64 exec, exec, s[30:31]
	v_cmp_gt_i32_e32 vcc, s38, v30
	s_and_saveexec_b64 s[30:31], vcc
	s_cbranch_execz .LBB314_105
.LBB314_93:
	s_andn2_b64 vcc, exec, s[2:3]
	s_cbranch_vccnz .LBB314_99
; %bb.94:
	s_andn2_b64 vcc, exec, s[28:29]
	s_cbranch_vccnz .LBB314_100
; %bb.95:
	s_add_i32 s28, s37, 1
	s_and_b32 s34, s28, 30
	s_add_u32 s28, s20, 0xffffffe8
	s_addc_u32 s29, s21, -1
	v_mov_b32_e32 v2, 0
	v_mov_b32_e32 v4, 0
	;; [unrolled: 1-line block ×4, first 2 shown]
.LBB314_96:                             ; =>This Inner Loop Header: Depth=1
	s_load_dwordx4 s[40:43], s[28:29], 0x1c
	s_load_dwordx2 s[38:39], s[28:29], 0x2c
	s_load_dwordx2 s[48:49], s[28:29], 0xec
	s_load_dwordx4 s[44:47], s[28:29], 0xdc
	s_add_u32 s28, s28, 24
	s_waitcnt lgkmcnt(0)
	v_mul_hi_u32 v3, s41, v1
	s_addc_u32 s29, s29, 0
	s_add_i32 s34, s34, -2
	s_cmp_eq_u32 s34, 0
	v_add_u32_e32 v3, v1, v3
	v_lshrrev_b32_e32 v3, s42, v3
	v_mul_lo_u32 v5, v3, s40
	v_mul_hi_u32 v6, s38, v3
	v_sub_u32_e32 v5, v1, v5
	v_add_u32_e32 v1, v3, v6
	v_lshrrev_b32_e32 v1, s39, v1
	v_mul_lo_u32 v8, v1, s43
	v_mul_lo_u32 v6, v5, s44
	;; [unrolled: 1-line block ×4, first 2 shown]
	v_sub_u32_e32 v3, v3, v8
	v_mul_lo_u32 v8, v3, s47
	v_mul_lo_u32 v9, v3, s48
	;; [unrolled: 1-line block ×3, first 2 shown]
	v_add3_u32 v0, v6, v0, v8
	v_add3_u32 v4, v7, v4, v9
	;; [unrolled: 1-line block ×3, first 2 shown]
	s_cbranch_scc0 .LBB314_96
; %bb.97:
	s_bitcmp1_b32 s37, 0
	s_cselect_b64 s[34:35], -1, 0
	s_and_b64 vcc, exec, s[34:35]
	s_cbranch_vccnz .LBB314_101
; %bb.98:
	s_load_dwordx2 s[34:35], s[28:29], 0x1c
	s_load_dword s37, s[28:29], 0x24
	s_load_dwordx2 s[38:39], s[28:29], 0xdc
	s_waitcnt lgkmcnt(0)
	v_mul_hi_u32 v3, s35, v1
	v_add_u32_e32 v3, v1, v3
	v_lshrrev_b32_e32 v3, s37, v3
	v_mul_lo_u32 v3, v3, s34
	s_load_dword s34, s[28:29], 0xe4
	v_sub_u32_e32 v3, v1, v3
	v_mad_u64_u32 v[0:1], s[28:29], v3, s38, v[0:1]
	v_mad_u64_u32 v[4:5], s[28:29], v3, s39, v[4:5]
	s_waitcnt lgkmcnt(0)
	v_mad_u64_u32 v[2:3], s[28:29], v3, s34, v[2:3]
	s_branch .LBB314_101
.LBB314_99:
                                        ; implicit-def: $vgpr0
                                        ; implicit-def: $vgpr4
                                        ; implicit-def: $vgpr2
	s_branch .LBB314_102
.LBB314_100:
	v_mov_b32_e32 v0, 0
	v_mov_b32_e32 v4, 0
	;; [unrolled: 1-line block ×3, first 2 shown]
.LBB314_101:
	s_cbranch_execnz .LBB314_104
.LBB314_102:
	v_mul_hi_u32 v0, s13, v30
	s_andn2_b64 vcc, exec, s[26:27]
	v_add_u32_e32 v0, v30, v0
	v_lshrrev_b32_e32 v1, s14, v0
	v_mul_lo_u32 v0, v1, s12
	v_sub_u32_e32 v2, v30, v0
	v_mul_lo_u32 v0, v2, s8
	v_mul_lo_u32 v4, v2, s9
	;; [unrolled: 1-line block ×3, first 2 shown]
	s_cbranch_vccnz .LBB314_104
; %bb.103:
	v_mul_hi_u32 v3, s24, v1
	v_add_u32_e32 v3, v1, v3
	v_lshrrev_b32_e32 v3, s25, v3
	v_mul_lo_u32 v3, v3, s15
	v_sub_u32_e32 v3, v1, v3
	v_mad_u64_u32 v[0:1], s[8:9], v3, s11, v[0:1]
	v_mad_u64_u32 v[4:5], s[8:9], v3, s22, v[4:5]
	;; [unrolled: 1-line block ×3, first 2 shown]
.LBB314_104:
	global_load_ubyte v1, v4, s[6:7]
	global_load_ubyte v3, v2, s[18:19]
	s_movk_i32 s6, 0xff
	v_mov_b32_e32 v2, 0x7f800001
	v_mov_b32_e32 v4, 0x400000
	s_waitcnt vmcnt(1)
	v_lshlrev_b32_e32 v5, 23, v1
	v_cmp_ne_u32_e32 vcc, s6, v1
	s_waitcnt vmcnt(0)
	v_lshlrev_b32_e32 v6, 23, v3
	v_cndmask_b32_e32 v5, v2, v5, vcc
	v_cmp_ne_u32_e32 vcc, s6, v3
	v_cndmask_b32_e32 v2, v2, v6, vcc
	v_cmp_ne_u32_e32 vcc, 0, v1
	;; [unrolled: 2-line block ×3, first 2 shown]
	v_cndmask_b32_e32 v2, v4, v2, vcc
	v_cmp_eq_f32_e32 vcc, v1, v2
	v_cndmask_b32_e64 v3, 0, 1, vcc
	v_cmp_neq_f32_e32 vcc, v1, v2
	v_cndmask_b32_e64 v1, 0, 1, vcc
	v_cndmask_b32_e64 v1, v1, v3, s[0:1]
	v_and_b32_e32 v1, 1, v1
	global_store_byte v0, v1, s[4:5]
.LBB314_105:
	s_or_b64 exec, exec, s[30:31]
                                        ; implicit-def: $vgpr40
                                        ; implicit-def: $vgpr30
.LBB314_106:
	s_andn2_saveexec_b64 s[0:1], s[16:17]
	s_cbranch_execz .LBB314_113
; %bb.107:
	v_cndmask_b32_e64 v0, 0, 1, s[2:3]
	v_cmp_ne_u32_e64 s[0:1], 1, v0
	s_andn2_b64 vcc, exec, s[2:3]
	s_cbranch_vccnz .LBB314_114
; %bb.108:
	s_cmp_lg_u32 s33, 0
	s_cbranch_scc0 .LBB314_115
; %bb.109:
	s_min_u32 s4, s36, 15
	s_add_i32 s2, s4, 1
	s_and_b32 s5, s2, 30
	s_add_u32 s2, s20, 0xffffffe8
	s_addc_u32 s3, s21, -1
	v_mov_b32_e32 v2, 0
	v_mov_b32_e32 v4, 0
	;; [unrolled: 1-line block ×4, first 2 shown]
.LBB314_110:                            ; =>This Inner Loop Header: Depth=1
	s_load_dwordx4 s[8:11], s[2:3], 0x1c
	s_load_dwordx2 s[6:7], s[2:3], 0x2c
	s_load_dwordx2 s[16:17], s[2:3], 0xec
	s_load_dwordx4 s[12:15], s[2:3], 0xdc
	s_add_u32 s2, s2, 24
	s_waitcnt lgkmcnt(0)
	v_mul_hi_u32 v3, s9, v1
	s_addc_u32 s3, s3, 0
	s_add_i32 s5, s5, -2
	s_cmp_lg_u32 s5, 0
	v_add_u32_e32 v3, v1, v3
	v_lshrrev_b32_e32 v3, s10, v3
	v_mul_lo_u32 v5, v3, s8
	v_mul_hi_u32 v6, s6, v3
	v_sub_u32_e32 v5, v1, v5
	v_add_u32_e32 v1, v3, v6
	v_lshrrev_b32_e32 v1, s7, v1
	v_mul_lo_u32 v8, v1, s11
	v_mul_lo_u32 v6, v5, s12
	;; [unrolled: 1-line block ×4, first 2 shown]
	v_sub_u32_e32 v3, v3, v8
	v_mul_lo_u32 v8, v3, s15
	v_mul_lo_u32 v9, v3, s16
	;; [unrolled: 1-line block ×3, first 2 shown]
	v_add3_u32 v0, v6, v0, v8
	v_add3_u32 v4, v7, v4, v9
	;; [unrolled: 1-line block ×3, first 2 shown]
	s_cbranch_scc1 .LBB314_110
; %bb.111:
	s_bitcmp1_b32 s4, 0
	s_cselect_b64 s[4:5], -1, 0
	s_and_b64 vcc, exec, s[4:5]
	s_cbranch_vccnz .LBB314_116
; %bb.112:
	s_load_dwordx2 s[4:5], s[2:3], 0x1c
	s_load_dword s8, s[2:3], 0x24
	s_load_dwordx2 s[6:7], s[2:3], 0xdc
	s_waitcnt lgkmcnt(0)
	v_mul_hi_u32 v3, s5, v1
	v_add_u32_e32 v3, v1, v3
	v_lshrrev_b32_e32 v3, s8, v3
	v_mul_lo_u32 v3, v3, s4
	s_load_dword s4, s[2:3], 0xe4
	v_sub_u32_e32 v3, v1, v3
	v_mad_u64_u32 v[0:1], s[2:3], v3, s6, v[0:1]
	v_mad_u64_u32 v[4:5], s[2:3], v3, s7, v[4:5]
	s_waitcnt lgkmcnt(0)
	v_mad_u64_u32 v[2:3], s[2:3], v3, s4, v[2:3]
	s_cbranch_execz .LBB314_117
	s_branch .LBB314_119
.LBB314_113:
	s_endpgm
.LBB314_114:
                                        ; implicit-def: $vgpr0
                                        ; implicit-def: $vgpr4
                                        ; implicit-def: $vgpr2
	s_branch .LBB314_117
.LBB314_115:
	v_mov_b32_e32 v0, 0
	v_mov_b32_e32 v4, 0
	v_mov_b32_e32 v2, 0
.LBB314_116:
	s_cbranch_execnz .LBB314_119
.LBB314_117:
	s_load_dwordx4 s[4:7], s[20:21], 0x4
	s_load_dwordx4 s[8:11], s[20:21], 0xc4
	s_cmp_lt_u32 s33, 2
	s_waitcnt lgkmcnt(0)
	v_mul_hi_u32 v0, s5, v30
	v_add_u32_e32 v0, v30, v0
	v_lshrrev_b32_e32 v1, s6, v0
	v_mul_lo_u32 v0, v1, s4
	v_sub_u32_e32 v2, v30, v0
	v_mul_lo_u32 v0, v2, s8
	v_mul_lo_u32 v4, v2, s9
	;; [unrolled: 1-line block ×3, first 2 shown]
	s_cbranch_scc1 .LBB314_119
; %bb.118:
	s_load_dwordx4 s[4:7], s[20:21], 0x10
	s_load_dwordx4 s[8:11], s[20:21], 0xd0
	s_waitcnt lgkmcnt(0)
	v_mul_hi_u32 v3, s5, v1
	v_add_u32_e32 v3, v1, v3
	v_lshrrev_b32_e32 v3, s6, v3
	v_mul_lo_u32 v3, v3, s4
	v_sub_u32_e32 v3, v1, v3
	v_mad_u64_u32 v[0:1], s[2:3], v3, s8, v[0:1]
	v_mad_u64_u32 v[4:5], s[2:3], v3, s9, v[4:5]
	;; [unrolled: 1-line block ×3, first 2 shown]
.LBB314_119:
	s_and_b64 vcc, exec, s[0:1]
	v_add_u32_e32 v1, 0x80, v30
	s_cbranch_vccnz .LBB314_125
; %bb.120:
	s_cmp_lg_u32 s33, 0
	s_cbranch_scc0 .LBB314_126
; %bb.121:
	s_min_u32 s4, s36, 15
	s_add_i32 s2, s4, 1
	s_and_b32 s5, s2, 30
	s_add_u32 s2, s20, 0xffffffe8
	s_addc_u32 s3, s21, -1
	v_mov_b32_e32 v7, 0
	v_mov_b32_e32 v9, 0
	;; [unrolled: 1-line block ×4, first 2 shown]
.LBB314_122:                            ; =>This Inner Loop Header: Depth=1
	s_load_dwordx4 s[8:11], s[2:3], 0x1c
	s_load_dwordx2 s[6:7], s[2:3], 0x2c
	s_load_dwordx2 s[16:17], s[2:3], 0xec
	s_load_dwordx4 s[12:15], s[2:3], 0xdc
	s_add_u32 s2, s2, 24
	s_waitcnt lgkmcnt(0)
	v_mul_hi_u32 v6, s9, v3
	s_addc_u32 s3, s3, 0
	s_add_i32 s5, s5, -2
	s_cmp_lg_u32 s5, 0
	v_add_u32_e32 v6, v3, v6
	v_lshrrev_b32_e32 v6, s10, v6
	v_mul_lo_u32 v8, v6, s8
	v_mul_hi_u32 v10, s6, v6
	v_sub_u32_e32 v8, v3, v8
	v_add_u32_e32 v3, v6, v10
	v_lshrrev_b32_e32 v3, s7, v3
	v_mul_lo_u32 v12, v3, s11
	v_mul_lo_u32 v10, v8, s12
	;; [unrolled: 1-line block ×4, first 2 shown]
	v_sub_u32_e32 v6, v6, v12
	v_mul_lo_u32 v12, v6, s15
	v_mul_lo_u32 v13, v6, s16
	;; [unrolled: 1-line block ×3, first 2 shown]
	v_add3_u32 v5, v10, v5, v12
	v_add3_u32 v9, v11, v9, v13
	;; [unrolled: 1-line block ×3, first 2 shown]
	s_cbranch_scc1 .LBB314_122
; %bb.123:
	s_bitcmp1_b32 s4, 0
	s_cselect_b64 s[4:5], -1, 0
	s_and_b64 vcc, exec, s[4:5]
	s_cbranch_vccnz .LBB314_127
; %bb.124:
	s_load_dwordx2 s[4:5], s[2:3], 0x1c
	s_load_dword s8, s[2:3], 0x24
	s_load_dwordx2 s[6:7], s[2:3], 0xdc
	s_waitcnt lgkmcnt(0)
	v_mul_hi_u32 v6, s5, v3
	v_add_u32_e32 v6, v3, v6
	v_lshrrev_b32_e32 v6, s8, v6
	v_mul_lo_u32 v6, v6, s4
	s_load_dword s4, s[2:3], 0xe4
	v_sub_u32_e32 v3, v3, v6
	v_mad_u64_u32 v[5:6], s[2:3], v3, s6, v[5:6]
	v_mad_u64_u32 v[9:10], s[2:3], v3, s7, v[9:10]
	s_waitcnt lgkmcnt(0)
	v_mad_u64_u32 v[7:8], s[2:3], v3, s4, v[7:8]
	s_cbranch_execz .LBB314_128
	s_branch .LBB314_130
.LBB314_125:
                                        ; implicit-def: $vgpr5
                                        ; implicit-def: $vgpr9
                                        ; implicit-def: $vgpr7
	s_branch .LBB314_128
.LBB314_126:
	v_mov_b32_e32 v5, 0
	v_mov_b32_e32 v9, 0
	;; [unrolled: 1-line block ×3, first 2 shown]
.LBB314_127:
	s_cbranch_execnz .LBB314_130
.LBB314_128:
	s_load_dwordx4 s[4:7], s[20:21], 0x4
	s_load_dwordx4 s[8:11], s[20:21], 0xc4
	s_cmp_lt_u32 s33, 2
	s_waitcnt lgkmcnt(0)
	v_mul_hi_u32 v3, s5, v1
	v_add_u32_e32 v3, v1, v3
	v_lshrrev_b32_e32 v3, s6, v3
	v_mul_lo_u32 v5, v3, s4
	v_sub_u32_e32 v1, v1, v5
	v_mul_lo_u32 v5, v1, s8
	v_mul_lo_u32 v9, v1, s9
	;; [unrolled: 1-line block ×3, first 2 shown]
	s_cbranch_scc1 .LBB314_130
; %bb.129:
	s_load_dwordx4 s[4:7], s[20:21], 0x10
	s_load_dwordx4 s[8:11], s[20:21], 0xd0
	s_waitcnt lgkmcnt(0)
	v_mul_hi_u32 v1, s5, v3
	v_add_u32_e32 v1, v3, v1
	v_lshrrev_b32_e32 v1, s6, v1
	v_mul_lo_u32 v1, v1, s4
	v_sub_u32_e32 v1, v3, v1
	v_mad_u64_u32 v[5:6], s[2:3], v1, s8, v[5:6]
	v_mad_u64_u32 v[9:10], s[2:3], v1, s9, v[9:10]
	;; [unrolled: 1-line block ×3, first 2 shown]
.LBB314_130:
	s_and_b64 vcc, exec, s[0:1]
	v_add_u32_e32 v1, 0x100, v30
	s_cbranch_vccnz .LBB314_136
; %bb.131:
	s_cmp_lg_u32 s33, 0
	s_cbranch_scc0 .LBB314_137
; %bb.132:
	s_min_u32 s4, s36, 15
	s_add_i32 s2, s4, 1
	s_and_b32 s5, s2, 30
	s_add_u32 s2, s20, 0xffffffe8
	s_addc_u32 s3, s21, -1
	v_mov_b32_e32 v13, 0
	v_mov_b32_e32 v15, 0
	v_mov_b32_e32 v10, 0
	v_mov_b32_e32 v3, v1
.LBB314_133:                            ; =>This Inner Loop Header: Depth=1
	s_load_dwordx4 s[8:11], s[2:3], 0x1c
	s_load_dwordx2 s[6:7], s[2:3], 0x2c
	s_load_dwordx2 s[16:17], s[2:3], 0xec
	s_load_dwordx4 s[12:15], s[2:3], 0xdc
	s_add_u32 s2, s2, 24
	s_waitcnt lgkmcnt(0)
	v_mul_hi_u32 v6, s9, v3
	s_addc_u32 s3, s3, 0
	s_add_i32 s5, s5, -2
	s_cmp_lg_u32 s5, 0
	v_add_u32_e32 v6, v3, v6
	v_lshrrev_b32_e32 v6, s10, v6
	v_mul_lo_u32 v8, v6, s8
	v_mul_hi_u32 v11, s6, v6
	v_sub_u32_e32 v8, v3, v8
	v_add_u32_e32 v3, v6, v11
	v_lshrrev_b32_e32 v3, s7, v3
	v_mul_lo_u32 v14, v3, s11
	v_mul_lo_u32 v11, v8, s12
	;; [unrolled: 1-line block ×4, first 2 shown]
	v_sub_u32_e32 v6, v6, v14
	v_mul_lo_u32 v14, v6, s15
	v_mul_lo_u32 v16, v6, s16
	;; [unrolled: 1-line block ×3, first 2 shown]
	v_add3_u32 v10, v11, v10, v14
	v_add3_u32 v15, v12, v15, v16
	;; [unrolled: 1-line block ×3, first 2 shown]
	s_cbranch_scc1 .LBB314_133
; %bb.134:
	s_bitcmp1_b32 s4, 0
	s_cselect_b64 s[4:5], -1, 0
	s_and_b64 vcc, exec, s[4:5]
	s_cbranch_vccnz .LBB314_138
; %bb.135:
	s_load_dwordx2 s[4:5], s[2:3], 0x1c
	s_load_dword s8, s[2:3], 0x24
	s_load_dwordx2 s[6:7], s[2:3], 0xdc
	s_waitcnt lgkmcnt(0)
	v_mul_hi_u32 v6, s5, v3
	v_add_u32_e32 v6, v3, v6
	v_lshrrev_b32_e32 v6, s8, v6
	v_mul_lo_u32 v6, v6, s4
	s_load_dword s4, s[2:3], 0xe4
	v_sub_u32_e32 v3, v3, v6
	v_mad_u64_u32 v[10:11], s[2:3], v3, s6, v[10:11]
	v_mad_u64_u32 v[15:16], s[2:3], v3, s7, v[15:16]
	s_waitcnt lgkmcnt(0)
	v_mad_u64_u32 v[13:14], s[2:3], v3, s4, v[13:14]
	s_cbranch_execz .LBB314_139
	s_branch .LBB314_141
.LBB314_136:
                                        ; implicit-def: $vgpr10
                                        ; implicit-def: $vgpr15
                                        ; implicit-def: $vgpr13
	s_branch .LBB314_139
.LBB314_137:
	v_mov_b32_e32 v10, 0
	v_mov_b32_e32 v15, 0
	;; [unrolled: 1-line block ×3, first 2 shown]
.LBB314_138:
	s_cbranch_execnz .LBB314_141
.LBB314_139:
	s_load_dwordx4 s[4:7], s[20:21], 0x4
	s_load_dwordx4 s[8:11], s[20:21], 0xc4
	s_cmp_lt_u32 s33, 2
	s_waitcnt lgkmcnt(0)
	v_mul_hi_u32 v3, s5, v1
	v_add_u32_e32 v3, v1, v3
	v_lshrrev_b32_e32 v3, s6, v3
	v_mul_lo_u32 v6, v3, s4
	v_sub_u32_e32 v1, v1, v6
	v_mul_lo_u32 v10, v1, s8
	v_mul_lo_u32 v15, v1, s9
	;; [unrolled: 1-line block ×3, first 2 shown]
	s_cbranch_scc1 .LBB314_141
; %bb.140:
	s_load_dwordx4 s[4:7], s[20:21], 0x10
	s_load_dwordx4 s[8:11], s[20:21], 0xd0
	s_waitcnt lgkmcnt(0)
	v_mul_hi_u32 v1, s5, v3
	v_add_u32_e32 v1, v3, v1
	v_lshrrev_b32_e32 v1, s6, v1
	v_mul_lo_u32 v1, v1, s4
	v_sub_u32_e32 v1, v3, v1
	v_mad_u64_u32 v[10:11], s[2:3], v1, s8, v[10:11]
	v_mad_u64_u32 v[15:16], s[2:3], v1, s9, v[15:16]
	;; [unrolled: 1-line block ×3, first 2 shown]
.LBB314_141:
	s_and_b64 vcc, exec, s[0:1]
	v_add_u32_e32 v1, 0x180, v30
	s_cbranch_vccnz .LBB314_147
; %bb.142:
	s_cmp_lg_u32 s33, 0
	s_cbranch_scc0 .LBB314_148
; %bb.143:
	s_min_u32 s4, s36, 15
	s_add_i32 s2, s4, 1
	s_and_b32 s5, s2, 30
	s_add_u32 s2, s20, 0xffffffe8
	s_addc_u32 s3, s21, -1
	v_mov_b32_e32 v16, 0
	v_mov_b32_e32 v18, 0
	;; [unrolled: 1-line block ×4, first 2 shown]
.LBB314_144:                            ; =>This Inner Loop Header: Depth=1
	s_load_dwordx4 s[8:11], s[2:3], 0x1c
	s_load_dwordx2 s[6:7], s[2:3], 0x2c
	s_load_dwordx2 s[16:17], s[2:3], 0xec
	s_load_dwordx4 s[12:15], s[2:3], 0xdc
	s_add_u32 s2, s2, 24
	s_waitcnt lgkmcnt(0)
	v_mul_hi_u32 v6, s9, v3
	s_addc_u32 s3, s3, 0
	s_add_i32 s5, s5, -2
	s_cmp_lg_u32 s5, 0
	v_add_u32_e32 v6, v3, v6
	v_lshrrev_b32_e32 v6, s10, v6
	v_mul_lo_u32 v8, v6, s8
	v_mul_hi_u32 v12, s6, v6
	v_sub_u32_e32 v8, v3, v8
	v_add_u32_e32 v3, v6, v12
	v_lshrrev_b32_e32 v3, s7, v3
	v_mul_lo_u32 v17, v3, s11
	v_mul_lo_u32 v12, v8, s12
	v_mul_lo_u32 v14, v8, s13
	v_mul_lo_u32 v8, v8, s14
	v_sub_u32_e32 v6, v6, v17
	v_mul_lo_u32 v17, v6, s15
	v_mul_lo_u32 v19, v6, s16
	v_mul_lo_u32 v6, v6, s17
	v_add3_u32 v11, v12, v11, v17
	v_add3_u32 v18, v14, v18, v19
	;; [unrolled: 1-line block ×3, first 2 shown]
	s_cbranch_scc1 .LBB314_144
; %bb.145:
	s_bitcmp1_b32 s4, 0
	s_cselect_b64 s[4:5], -1, 0
	s_and_b64 vcc, exec, s[4:5]
	s_cbranch_vccnz .LBB314_149
; %bb.146:
	s_load_dwordx2 s[4:5], s[2:3], 0x1c
	s_load_dword s8, s[2:3], 0x24
	s_load_dwordx2 s[6:7], s[2:3], 0xdc
	s_waitcnt lgkmcnt(0)
	v_mul_hi_u32 v6, s5, v3
	v_add_u32_e32 v6, v3, v6
	v_lshrrev_b32_e32 v6, s8, v6
	v_mul_lo_u32 v6, v6, s4
	s_load_dword s4, s[2:3], 0xe4
	v_sub_u32_e32 v3, v3, v6
	v_mad_u64_u32 v[11:12], s[2:3], v3, s6, v[11:12]
	v_mad_u64_u32 v[18:19], s[2:3], v3, s7, v[18:19]
	s_waitcnt lgkmcnt(0)
	v_mad_u64_u32 v[16:17], s[2:3], v3, s4, v[16:17]
	s_cbranch_execz .LBB314_150
	s_branch .LBB314_152
.LBB314_147:
                                        ; implicit-def: $vgpr11
                                        ; implicit-def: $vgpr18
                                        ; implicit-def: $vgpr16
	s_branch .LBB314_150
.LBB314_148:
	v_mov_b32_e32 v11, 0
	v_mov_b32_e32 v18, 0
	;; [unrolled: 1-line block ×3, first 2 shown]
.LBB314_149:
	s_cbranch_execnz .LBB314_152
.LBB314_150:
	s_load_dwordx4 s[4:7], s[20:21], 0x4
	s_load_dwordx4 s[8:11], s[20:21], 0xc4
	s_cmp_lt_u32 s33, 2
	s_waitcnt lgkmcnt(0)
	v_mul_hi_u32 v3, s5, v1
	v_add_u32_e32 v3, v1, v3
	v_lshrrev_b32_e32 v3, s6, v3
	v_mul_lo_u32 v6, v3, s4
	v_sub_u32_e32 v1, v1, v6
	v_mul_lo_u32 v11, v1, s8
	v_mul_lo_u32 v18, v1, s9
	;; [unrolled: 1-line block ×3, first 2 shown]
	s_cbranch_scc1 .LBB314_152
; %bb.151:
	s_load_dwordx4 s[4:7], s[20:21], 0x10
	s_load_dwordx4 s[8:11], s[20:21], 0xd0
	s_waitcnt lgkmcnt(0)
	v_mul_hi_u32 v1, s5, v3
	v_add_u32_e32 v1, v3, v1
	v_lshrrev_b32_e32 v1, s6, v1
	v_mul_lo_u32 v1, v1, s4
	v_sub_u32_e32 v1, v3, v1
	v_mad_u64_u32 v[11:12], s[2:3], v1, s8, v[11:12]
	v_mad_u64_u32 v[18:19], s[2:3], v1, s9, v[18:19]
	;; [unrolled: 1-line block ×3, first 2 shown]
.LBB314_152:
	s_and_b64 vcc, exec, s[0:1]
	v_add_u32_e32 v1, 0x200, v30
	s_cbranch_vccnz .LBB314_158
; %bb.153:
	s_cmp_lg_u32 s33, 0
	s_cbranch_scc0 .LBB314_159
; %bb.154:
	s_min_u32 s4, s36, 15
	s_add_i32 s2, s4, 1
	s_and_b32 s5, s2, 30
	s_add_u32 s2, s20, 0xffffffe8
	s_addc_u32 s3, s21, -1
	v_mov_b32_e32 v21, 0
	v_mov_b32_e32 v23, 0
	;; [unrolled: 1-line block ×4, first 2 shown]
.LBB314_155:                            ; =>This Inner Loop Header: Depth=1
	s_load_dwordx4 s[8:11], s[2:3], 0x1c
	s_load_dwordx2 s[6:7], s[2:3], 0x2c
	s_load_dwordx2 s[16:17], s[2:3], 0xec
	s_load_dwordx4 s[12:15], s[2:3], 0xdc
	s_add_u32 s2, s2, 24
	s_waitcnt lgkmcnt(0)
	v_mul_hi_u32 v6, s9, v3
	s_addc_u32 s3, s3, 0
	s_add_i32 s5, s5, -2
	s_cmp_lg_u32 s5, 0
	v_add_u32_e32 v6, v3, v6
	v_lshrrev_b32_e32 v6, s10, v6
	v_mul_lo_u32 v8, v6, s8
	v_mul_hi_u32 v12, s6, v6
	v_sub_u32_e32 v8, v3, v8
	v_add_u32_e32 v3, v6, v12
	v_lshrrev_b32_e32 v3, s7, v3
	v_mul_lo_u32 v17, v3, s11
	v_mul_lo_u32 v12, v8, s12
	;; [unrolled: 1-line block ×4, first 2 shown]
	v_sub_u32_e32 v6, v6, v17
	v_mul_lo_u32 v17, v6, s15
	v_mul_lo_u32 v20, v6, s16
	;; [unrolled: 1-line block ×3, first 2 shown]
	v_add3_u32 v19, v12, v19, v17
	v_add3_u32 v23, v14, v23, v20
	;; [unrolled: 1-line block ×3, first 2 shown]
	s_cbranch_scc1 .LBB314_155
; %bb.156:
	s_bitcmp1_b32 s4, 0
	s_cselect_b64 s[4:5], -1, 0
	s_and_b64 vcc, exec, s[4:5]
	s_cbranch_vccnz .LBB314_160
; %bb.157:
	s_load_dwordx2 s[4:5], s[2:3], 0x1c
	s_load_dword s8, s[2:3], 0x24
	s_load_dwordx2 s[6:7], s[2:3], 0xdc
	s_waitcnt lgkmcnt(0)
	v_mul_hi_u32 v6, s5, v3
	v_add_u32_e32 v6, v3, v6
	v_lshrrev_b32_e32 v6, s8, v6
	v_mul_lo_u32 v6, v6, s4
	s_load_dword s4, s[2:3], 0xe4
	v_sub_u32_e32 v3, v3, v6
	v_mad_u64_u32 v[19:20], s[2:3], v3, s6, v[19:20]
	v_mad_u64_u32 v[23:24], s[2:3], v3, s7, v[23:24]
	s_waitcnt lgkmcnt(0)
	v_mad_u64_u32 v[21:22], s[2:3], v3, s4, v[21:22]
	s_cbranch_execz .LBB314_161
	s_branch .LBB314_163
.LBB314_158:
                                        ; implicit-def: $vgpr19
                                        ; implicit-def: $vgpr23
                                        ; implicit-def: $vgpr21
	s_branch .LBB314_161
.LBB314_159:
	v_mov_b32_e32 v19, 0
	v_mov_b32_e32 v23, 0
	;; [unrolled: 1-line block ×3, first 2 shown]
.LBB314_160:
	s_cbranch_execnz .LBB314_163
.LBB314_161:
	s_load_dwordx4 s[4:7], s[20:21], 0x4
	s_load_dwordx4 s[8:11], s[20:21], 0xc4
	s_cmp_lt_u32 s33, 2
	s_waitcnt lgkmcnt(0)
	v_mul_hi_u32 v3, s5, v1
	v_add_u32_e32 v3, v1, v3
	v_lshrrev_b32_e32 v3, s6, v3
	v_mul_lo_u32 v6, v3, s4
	v_sub_u32_e32 v1, v1, v6
	v_mul_lo_u32 v19, v1, s8
	v_mul_lo_u32 v23, v1, s9
	;; [unrolled: 1-line block ×3, first 2 shown]
	s_cbranch_scc1 .LBB314_163
; %bb.162:
	s_load_dwordx4 s[4:7], s[20:21], 0x10
	s_load_dwordx4 s[8:11], s[20:21], 0xd0
	s_waitcnt lgkmcnt(0)
	v_mul_hi_u32 v1, s5, v3
	v_add_u32_e32 v1, v3, v1
	v_lshrrev_b32_e32 v1, s6, v1
	v_mul_lo_u32 v1, v1, s4
	v_sub_u32_e32 v1, v3, v1
	v_mad_u64_u32 v[19:20], s[2:3], v1, s8, v[19:20]
	v_mad_u64_u32 v[23:24], s[2:3], v1, s9, v[23:24]
	v_mad_u64_u32 v[21:22], s[2:3], v1, s10, v[21:22]
.LBB314_163:
	s_and_b64 vcc, exec, s[0:1]
	v_add_u32_e32 v1, 0x280, v30
	s_cbranch_vccnz .LBB314_169
; %bb.164:
	s_cmp_lg_u32 s33, 0
	s_cbranch_scc0 .LBB314_170
; %bb.165:
	s_min_u32 s4, s36, 15
	s_add_i32 s2, s4, 1
	s_and_b32 s5, s2, 30
	s_add_u32 s2, s20, 0xffffffe8
	s_addc_u32 s3, s21, -1
	v_mov_b32_e32 v28, 0
	v_mov_b32_e32 v26, 0
	;; [unrolled: 1-line block ×4, first 2 shown]
.LBB314_166:                            ; =>This Inner Loop Header: Depth=1
	s_load_dwordx4 s[8:11], s[2:3], 0x1c
	s_load_dwordx2 s[6:7], s[2:3], 0x2c
	s_load_dwordx2 s[16:17], s[2:3], 0xec
	s_load_dwordx4 s[12:15], s[2:3], 0xdc
	s_add_u32 s2, s2, 24
	s_waitcnt lgkmcnt(0)
	v_mul_hi_u32 v6, s9, v3
	s_addc_u32 s3, s3, 0
	s_add_i32 s5, s5, -2
	s_cmp_lg_u32 s5, 0
	v_add_u32_e32 v6, v3, v6
	v_lshrrev_b32_e32 v6, s10, v6
	v_mul_lo_u32 v8, v6, s8
	v_mul_hi_u32 v12, s6, v6
	v_sub_u32_e32 v8, v3, v8
	v_add_u32_e32 v3, v6, v12
	v_lshrrev_b32_e32 v3, s7, v3
	v_mul_lo_u32 v17, v3, s11
	v_mul_lo_u32 v12, v8, s12
	;; [unrolled: 1-line block ×4, first 2 shown]
	v_sub_u32_e32 v6, v6, v17
	v_mul_lo_u32 v17, v6, s15
	v_mul_lo_u32 v20, v6, s16
	;; [unrolled: 1-line block ×3, first 2 shown]
	v_add3_u32 v24, v12, v24, v17
	v_add3_u32 v26, v14, v26, v20
	;; [unrolled: 1-line block ×3, first 2 shown]
	s_cbranch_scc1 .LBB314_166
; %bb.167:
	s_bitcmp1_b32 s4, 0
	s_cselect_b64 s[4:5], -1, 0
	s_and_b64 vcc, exec, s[4:5]
	s_cbranch_vccnz .LBB314_171
; %bb.168:
	s_load_dwordx2 s[4:5], s[2:3], 0x1c
	s_load_dword s8, s[2:3], 0x24
	s_load_dwordx2 s[6:7], s[2:3], 0xdc
	s_waitcnt lgkmcnt(0)
	v_mul_hi_u32 v6, s5, v3
	v_add_u32_e32 v6, v3, v6
	v_lshrrev_b32_e32 v6, s8, v6
	v_mul_lo_u32 v6, v6, s4
	s_load_dword s4, s[2:3], 0xe4
	v_sub_u32_e32 v3, v3, v6
	v_mad_u64_u32 v[24:25], s[2:3], v3, s6, v[24:25]
	v_mad_u64_u32 v[26:27], s[2:3], v3, s7, v[26:27]
	s_waitcnt lgkmcnt(0)
	v_mad_u64_u32 v[28:29], s[2:3], v3, s4, v[28:29]
	s_cbranch_execz .LBB314_172
	s_branch .LBB314_174
.LBB314_169:
                                        ; implicit-def: $vgpr24
                                        ; implicit-def: $vgpr26
                                        ; implicit-def: $vgpr28
	s_branch .LBB314_172
.LBB314_170:
	v_mov_b32_e32 v24, 0
	v_mov_b32_e32 v26, 0
	;; [unrolled: 1-line block ×3, first 2 shown]
.LBB314_171:
	s_cbranch_execnz .LBB314_174
.LBB314_172:
	s_load_dwordx4 s[4:7], s[20:21], 0x4
	s_load_dwordx4 s[8:11], s[20:21], 0xc4
	s_cmp_lt_u32 s33, 2
	s_waitcnt lgkmcnt(0)
	v_mul_hi_u32 v3, s5, v1
	v_add_u32_e32 v3, v1, v3
	v_lshrrev_b32_e32 v3, s6, v3
	v_mul_lo_u32 v6, v3, s4
	v_sub_u32_e32 v1, v1, v6
	v_mul_lo_u32 v24, v1, s8
	v_mul_lo_u32 v26, v1, s9
	;; [unrolled: 1-line block ×3, first 2 shown]
	s_cbranch_scc1 .LBB314_174
; %bb.173:
	s_load_dwordx4 s[4:7], s[20:21], 0x10
	s_load_dwordx4 s[8:11], s[20:21], 0xd0
	s_waitcnt lgkmcnt(0)
	v_mul_hi_u32 v1, s5, v3
	v_add_u32_e32 v1, v3, v1
	v_lshrrev_b32_e32 v1, s6, v1
	v_mul_lo_u32 v1, v1, s4
	v_sub_u32_e32 v1, v3, v1
	v_mad_u64_u32 v[24:25], s[2:3], v1, s8, v[24:25]
	v_mad_u64_u32 v[26:27], s[2:3], v1, s9, v[26:27]
	;; [unrolled: 1-line block ×3, first 2 shown]
.LBB314_174:
	s_and_b64 vcc, exec, s[0:1]
	v_add_u32_e32 v1, 0x300, v30
	s_cbranch_vccnz .LBB314_180
; %bb.175:
	s_cmp_lg_u32 s33, 0
	s_cbranch_scc0 .LBB314_181
; %bb.176:
	s_min_u32 s4, s36, 15
	s_add_i32 s2, s4, 1
	s_and_b32 s5, s2, 30
	s_add_u32 s2, s20, 0xffffffe8
	s_addc_u32 s3, s21, -1
	v_mov_b32_e32 v33, 0
	v_mov_b32_e32 v31, 0
	;; [unrolled: 1-line block ×4, first 2 shown]
.LBB314_177:                            ; =>This Inner Loop Header: Depth=1
	s_load_dwordx4 s[8:11], s[2:3], 0x1c
	s_load_dwordx2 s[6:7], s[2:3], 0x2c
	s_load_dwordx2 s[16:17], s[2:3], 0xec
	s_load_dwordx4 s[12:15], s[2:3], 0xdc
	s_add_u32 s2, s2, 24
	s_waitcnt lgkmcnt(0)
	v_mul_hi_u32 v6, s9, v3
	s_addc_u32 s3, s3, 0
	s_add_i32 s5, s5, -2
	s_cmp_lg_u32 s5, 0
	v_add_u32_e32 v6, v3, v6
	v_lshrrev_b32_e32 v6, s10, v6
	v_mul_lo_u32 v8, v6, s8
	v_mul_hi_u32 v12, s6, v6
	v_sub_u32_e32 v8, v3, v8
	v_add_u32_e32 v3, v6, v12
	v_lshrrev_b32_e32 v3, s7, v3
	v_mul_lo_u32 v17, v3, s11
	v_mul_lo_u32 v12, v8, s12
	;; [unrolled: 1-line block ×4, first 2 shown]
	v_sub_u32_e32 v6, v6, v17
	v_mul_lo_u32 v17, v6, s15
	v_mul_lo_u32 v20, v6, s16
	;; [unrolled: 1-line block ×3, first 2 shown]
	v_add3_u32 v29, v12, v29, v17
	v_add3_u32 v31, v14, v31, v20
	;; [unrolled: 1-line block ×3, first 2 shown]
	s_cbranch_scc1 .LBB314_177
; %bb.178:
	s_bitcmp1_b32 s4, 0
	s_cselect_b64 s[4:5], -1, 0
	s_and_b64 vcc, exec, s[4:5]
	s_cbranch_vccnz .LBB314_182
; %bb.179:
	s_load_dwordx2 s[4:5], s[2:3], 0x1c
	s_load_dword s8, s[2:3], 0x24
	s_load_dwordx2 s[6:7], s[2:3], 0xdc
	s_waitcnt lgkmcnt(0)
	v_mul_hi_u32 v6, s5, v3
	v_add_u32_e32 v6, v3, v6
	v_lshrrev_b32_e32 v6, s8, v6
	v_mul_lo_u32 v6, v6, s4
	s_load_dword s4, s[2:3], 0xe4
	v_sub_u32_e32 v3, v3, v6
	v_mad_u64_u32 v[29:30], s[2:3], v3, s6, v[29:30]
	v_mad_u64_u32 v[31:32], s[2:3], v3, s7, v[31:32]
	s_waitcnt lgkmcnt(0)
	v_mad_u64_u32 v[33:34], s[2:3], v3, s4, v[33:34]
	s_cbranch_execz .LBB314_183
	s_branch .LBB314_185
.LBB314_180:
                                        ; implicit-def: $vgpr29
                                        ; implicit-def: $vgpr31
                                        ; implicit-def: $vgpr33
	s_branch .LBB314_183
.LBB314_181:
	v_mov_b32_e32 v29, 0
	v_mov_b32_e32 v31, 0
	;; [unrolled: 1-line block ×3, first 2 shown]
.LBB314_182:
	s_cbranch_execnz .LBB314_185
.LBB314_183:
	s_load_dwordx4 s[4:7], s[20:21], 0x4
	s_load_dwordx4 s[8:11], s[20:21], 0xc4
	s_cmp_lt_u32 s33, 2
	s_waitcnt lgkmcnt(0)
	v_mul_hi_u32 v3, s5, v1
	v_add_u32_e32 v3, v1, v3
	v_lshrrev_b32_e32 v3, s6, v3
	v_mul_lo_u32 v6, v3, s4
	v_sub_u32_e32 v1, v1, v6
	v_mul_lo_u32 v29, v1, s8
	v_mul_lo_u32 v31, v1, s9
	;; [unrolled: 1-line block ×3, first 2 shown]
	s_cbranch_scc1 .LBB314_185
; %bb.184:
	s_load_dwordx4 s[4:7], s[20:21], 0x10
	s_load_dwordx4 s[8:11], s[20:21], 0xd0
	s_waitcnt lgkmcnt(0)
	v_mul_hi_u32 v1, s5, v3
	v_add_u32_e32 v1, v3, v1
	v_lshrrev_b32_e32 v1, s6, v1
	v_mul_lo_u32 v1, v1, s4
	v_sub_u32_e32 v1, v3, v1
	v_mad_u64_u32 v[29:30], s[2:3], v1, s8, v[29:30]
	v_mad_u64_u32 v[31:32], s[2:3], v1, s9, v[31:32]
	;; [unrolled: 1-line block ×3, first 2 shown]
.LBB314_185:
	s_and_b64 vcc, exec, s[0:1]
	s_cbranch_vccnz .LBB314_191
; %bb.186:
	s_cmp_lg_u32 s33, 0
	s_cbranch_scc0 .LBB314_192
; %bb.187:
	s_min_u32 s2, s36, 15
	s_add_i32 s0, s2, 1
	s_and_b32 s3, s0, 30
	s_add_u32 s0, s20, 0xffffffe8
	s_addc_u32 s1, s21, -1
	v_mov_b32_e32 v36, 0
	v_mov_b32_e32 v38, 0
	;; [unrolled: 1-line block ×4, first 2 shown]
.LBB314_188:                            ; =>This Inner Loop Header: Depth=1
	s_load_dwordx4 s[4:7], s[0:1], 0x1c
	s_load_dwordx2 s[12:13], s[0:1], 0x2c
	s_load_dwordx2 s[14:15], s[0:1], 0xec
	s_load_dwordx4 s[8:11], s[0:1], 0xdc
	s_add_u32 s0, s0, 24
	s_waitcnt lgkmcnt(0)
	v_mul_hi_u32 v3, s5, v1
	s_addc_u32 s1, s1, 0
	s_add_i32 s3, s3, -2
	s_cmp_lg_u32 s3, 0
	v_add_u32_e32 v3, v1, v3
	v_lshrrev_b32_e32 v3, s6, v3
	v_mul_lo_u32 v6, v3, s4
	v_mul_hi_u32 v8, s12, v3
	v_sub_u32_e32 v6, v1, v6
	v_add_u32_e32 v1, v3, v8
	v_lshrrev_b32_e32 v1, s13, v1
	v_mul_lo_u32 v14, v1, s7
	v_mul_lo_u32 v8, v6, s8
	v_mul_lo_u32 v12, v6, s9
	v_mul_lo_u32 v6, v6, s10
	v_sub_u32_e32 v3, v3, v14
	v_mul_lo_u32 v14, v3, s11
	v_mul_lo_u32 v17, v3, s14
	;; [unrolled: 1-line block ×3, first 2 shown]
	v_add3_u32 v34, v8, v34, v14
	v_add3_u32 v38, v12, v38, v17
	;; [unrolled: 1-line block ×3, first 2 shown]
	s_cbranch_scc1 .LBB314_188
; %bb.189:
	s_bitcmp1_b32 s2, 0
	s_cselect_b64 s[2:3], -1, 0
	s_and_b64 vcc, exec, s[2:3]
	s_cbranch_vccnz .LBB314_193
; %bb.190:
	s_load_dwordx2 s[2:3], s[0:1], 0x1c
	s_load_dword s6, s[0:1], 0x24
	s_load_dwordx2 s[4:5], s[0:1], 0xdc
	s_waitcnt lgkmcnt(0)
	v_mul_hi_u32 v3, s3, v1
	v_add_u32_e32 v3, v1, v3
	v_lshrrev_b32_e32 v3, s6, v3
	v_mul_lo_u32 v3, v3, s2
	s_load_dword s2, s[0:1], 0xe4
	v_sub_u32_e32 v1, v1, v3
	v_mad_u64_u32 v[34:35], s[0:1], v1, s4, v[34:35]
	v_mad_u64_u32 v[38:39], s[0:1], v1, s5, v[38:39]
	s_waitcnt lgkmcnt(0)
	v_mad_u64_u32 v[36:37], s[0:1], v1, s2, v[36:37]
	s_cbranch_execz .LBB314_194
	s_branch .LBB314_196
.LBB314_191:
                                        ; implicit-def: $vgpr34
                                        ; implicit-def: $vgpr38
                                        ; implicit-def: $vgpr36
	s_branch .LBB314_194
.LBB314_192:
	v_mov_b32_e32 v34, 0
	v_mov_b32_e32 v38, 0
	;; [unrolled: 1-line block ×3, first 2 shown]
.LBB314_193:
	s_cbranch_execnz .LBB314_196
.LBB314_194:
	s_load_dwordx4 s[0:3], s[20:21], 0x4
	s_load_dwordx4 s[4:7], s[20:21], 0xc4
	s_cmp_lt_u32 s33, 2
	s_waitcnt lgkmcnt(0)
	v_mul_hi_u32 v1, s1, v40
	v_add_u32_e32 v1, v40, v1
	v_lshrrev_b32_e32 v1, s2, v1
	v_mul_lo_u32 v3, v1, s0
	v_sub_u32_e32 v3, v40, v3
	v_mul_lo_u32 v34, v3, s4
	v_mul_lo_u32 v38, v3, s5
	;; [unrolled: 1-line block ×3, first 2 shown]
	s_cbranch_scc1 .LBB314_196
; %bb.195:
	s_load_dwordx4 s[0:3], s[20:21], 0x10
	s_load_dwordx4 s[4:7], s[20:21], 0xd0
	s_waitcnt lgkmcnt(0)
	v_mul_hi_u32 v3, s1, v1
	v_add_u32_e32 v3, v1, v3
	v_lshrrev_b32_e32 v3, s2, v3
	v_mul_lo_u32 v3, v3, s0
	v_sub_u32_e32 v1, v1, v3
	v_mad_u64_u32 v[34:35], s[0:1], v1, s4, v[34:35]
	v_mad_u64_u32 v[38:39], s[0:1], v1, s5, v[38:39]
	;; [unrolled: 1-line block ×3, first 2 shown]
.LBB314_196:
	s_load_dwordx2 s[2:3], s[20:21], 0x198
	s_load_dwordx4 s[16:19], s[20:21], 0x188
	s_movk_i32 s14, 0xff
	v_mov_b32_e32 v1, 0x7f800001
	s_load_dword s6, s[20:21], 0x1a0
	s_waitcnt lgkmcnt(0)
	global_load_ubyte v6, v13, s[2:3]
	global_load_ubyte v8, v15, s[18:19]
	s_cmp_eq_u32 s6, 0
	s_waitcnt vmcnt(1)
	v_lshlrev_b32_e32 v3, 23, v6
	v_cmp_ne_u32_e32 vcc, s14, v6
	v_cndmask_b32_e32 v12, v1, v3, vcc
	v_cmp_ne_u32_e32 vcc, 0, v6
	s_waitcnt vmcnt(0)
	v_lshlrev_b32_e32 v6, 23, v8
	v_cmp_ne_u32_e64 s[0:1], s14, v8
	v_mov_b32_e32 v3, 0x400000
	v_cndmask_b32_e64 v6, v1, v6, s[0:1]
	v_cmp_ne_u32_e64 s[0:1], 0, v8
	v_cndmask_b32_e64 v6, v3, v6, s[0:1]
	v_cndmask_b32_e32 v8, v3, v12, vcc
	v_cmp_eq_f32_e64 s[0:1], v6, v8
	v_cmp_neq_f32_e32 vcc, v6, v8
	global_load_ubyte v12, v18, s[18:19]
	global_load_ubyte v13, v16, s[2:3]
	;; [unrolled: 1-line block ×8, first 2 shown]
                                        ; kill: killed $vgpr4
                                        ; kill: killed $vgpr9
                                        ; kill: killed $vgpr2
                                        ; kill: killed $vgpr7
                                        ; kill: killed $vgpr18
                                        ; kill: killed $vgpr23
                                        ; kill: killed $vgpr16
                                        ; kill: killed $vgpr21
	s_nop 0
	global_load_ubyte v2, v26, s[18:19]
	global_load_ubyte v4, v28, s[2:3]
	;; [unrolled: 1-line block ×6, first 2 shown]
	s_waitcnt vmcnt(13)
	v_lshlrev_b32_e32 v21, 23, v12
	v_cmp_ne_u32_e64 s[2:3], s14, v12
	v_cndmask_b32_e64 v21, v1, v21, s[2:3]
	v_cmp_ne_u32_e64 s[2:3], 0, v12
	s_waitcnt vmcnt(12)
	v_lshlrev_b32_e32 v12, 23, v13
	v_cmp_ne_u32_e64 s[4:5], s14, v13
	v_cndmask_b32_e64 v12, v1, v12, s[4:5]
	v_cmp_ne_u32_e64 s[4:5], 0, v13
	v_cndmask_b32_e64 v13, v3, v21, s[2:3]
	v_cndmask_b32_e64 v12, v3, v12, s[4:5]
	v_cmp_eq_f32_e64 s[2:3], v13, v12
	v_cmp_neq_f32_e64 s[4:5], v13, v12
	s_waitcnt vmcnt(11)
	v_lshlrev_b32_e32 v12, 23, v14
	s_waitcnt vmcnt(10)
	v_lshlrev_b32_e32 v13, 23, v15
	v_cmp_ne_u32_e64 s[6:7], s14, v14
	v_cmp_ne_u32_e64 s[8:9], s14, v15
	v_cndmask_b32_e64 v12, v1, v12, s[6:7]
	v_cmp_ne_u32_e64 s[6:7], 0, v14
	v_cndmask_b32_e64 v13, v1, v13, s[8:9]
	v_cmp_ne_u32_e64 s[8:9], 0, v15
	s_waitcnt vmcnt(8)
	v_lshlrev_b32_e32 v15, 23, v20
	v_cmp_ne_u32_e64 s[12:13], s14, v20
	v_lshlrev_b32_e32 v14, 23, v17
	v_cmp_ne_u32_e64 s[10:11], s14, v17
	v_cndmask_b32_e64 v15, v1, v15, s[12:13]
	v_cndmask_b32_e64 v12, v3, v12, s[6:7]
	;; [unrolled: 1-line block ×3, first 2 shown]
	v_cmp_ne_u32_e64 s[6:7], 0, v20
	v_cndmask_b32_e64 v14, v1, v14, s[10:11]
	v_cmp_ne_u32_e64 s[10:11], 0, v17
	v_cndmask_b32_e64 v15, v3, v15, s[6:7]
	v_cmp_eq_f32_e64 s[6:7], v12, v13
	v_cndmask_b32_e64 v14, v3, v14, s[10:11]
	v_cndmask_b32_e64 v20, 0, 1, s[6:7]
	v_cmp_neq_f32_e64 s[6:7], v12, v13
	v_cndmask_b32_e64 v12, 0, 1, s[6:7]
	v_cmp_eq_f32_e64 s[6:7], v14, v15
	s_waitcnt vmcnt(7)
	v_lshlrev_b32_e32 v17, 23, v8
	v_cmp_ne_u32_e64 s[12:13], s14, v8
	v_cndmask_b32_e64 v13, 0, 1, s[6:7]
	v_cmp_neq_f32_e64 s[6:7], v14, v15
	v_cndmask_b32_e64 v15, 0, 1, s[0:1]
	s_cselect_b64 s[0:1], -1, 0
	v_cndmask_b32_e64 v17, v1, v17, s[12:13]
	v_cndmask_b32_e64 v12, v12, v20, s[0:1]
	v_cndmask_b32_e64 v20, 0, 1, vcc
	v_cmp_ne_u32_e32 vcc, 0, v8
	v_cndmask_b32_e32 v8, v3, v17, vcc
	s_waitcnt vmcnt(6)
	v_lshlrev_b32_e32 v17, 23, v6
	v_cmp_ne_u32_e32 vcc, s14, v6
	v_cndmask_b32_e32 v17, v1, v17, vcc
	v_cmp_ne_u32_e32 vcc, 0, v6
	v_cndmask_b32_e32 v6, v3, v17, vcc
	v_cmp_eq_f32_e32 vcc, v8, v6
	v_cndmask_b32_e64 v17, 0, 1, vcc
	v_cmp_neq_f32_e32 vcc, v8, v6
	v_cndmask_b32_e64 v6, 0, 1, vcc
	s_waitcnt vmcnt(5)
	v_lshlrev_b32_e32 v8, 23, v2
	v_cmp_ne_u32_e32 vcc, s14, v2
	v_cndmask_b32_e32 v8, v1, v8, vcc
	v_cmp_ne_u32_e32 vcc, 0, v2
	v_cndmask_b32_e32 v2, v3, v8, vcc
	s_waitcnt vmcnt(4)
	v_lshlrev_b32_e32 v8, 23, v4
	v_cmp_ne_u32_e32 vcc, s14, v4
	v_cndmask_b32_e32 v8, v1, v8, vcc
	v_cmp_ne_u32_e32 vcc, 0, v4
	v_cndmask_b32_e32 v4, v3, v8, vcc
	v_cmp_eq_f32_e32 vcc, v2, v4
	v_cndmask_b32_e64 v8, 0, 1, vcc
	v_cmp_neq_f32_e32 vcc, v2, v4
	v_cndmask_b32_e64 v2, 0, 1, vcc
	s_waitcnt vmcnt(3)
	v_lshlrev_b32_e32 v4, 23, v7
	v_cmp_ne_u32_e32 vcc, s14, v7
	v_cndmask_b32_e32 v4, v1, v4, vcc
	v_cmp_ne_u32_e32 vcc, 0, v7
	v_cndmask_b32_e32 v4, v3, v4, vcc
	s_waitcnt vmcnt(2)
	v_lshlrev_b32_e32 v7, 23, v9
	v_cmp_ne_u32_e32 vcc, s14, v9
	v_cndmask_b32_e32 v7, v1, v7, vcc
	v_cmp_ne_u32_e32 vcc, 0, v9
	v_cndmask_b32_e32 v7, v3, v7, vcc
	v_cmp_eq_f32_e32 vcc, v4, v7
	v_cndmask_b32_e64 v2, v2, v8, s[0:1]
	v_cndmask_b32_e64 v8, 0, 1, vcc
	v_cmp_neq_f32_e32 vcc, v4, v7
	v_cndmask_b32_e64 v4, 0, 1, vcc
	s_waitcnt vmcnt(1)
	v_lshlrev_b32_e32 v7, 23, v16
	v_cmp_ne_u32_e32 vcc, s14, v16
	v_cndmask_b32_e32 v7, v1, v7, vcc
	v_cmp_ne_u32_e32 vcc, 0, v16
	v_cndmask_b32_e64 v4, v4, v8, s[0:1]
	v_cndmask_b32_e32 v7, v3, v7, vcc
	s_waitcnt vmcnt(0)
	v_lshlrev_b32_e32 v8, 23, v18
	v_cmp_ne_u32_e32 vcc, s14, v18
	v_cndmask_b32_e32 v1, v1, v8, vcc
	v_cmp_ne_u32_e32 vcc, 0, v18
	v_cndmask_b32_e32 v1, v3, v1, vcc
	v_cmp_eq_f32_e32 vcc, v7, v1
	v_cndmask_b32_e64 v14, 0, 1, s[6:7]
	v_cndmask_b32_e64 v3, 0, 1, vcc
	v_cmp_neq_f32_e32 vcc, v7, v1
	v_cndmask_b32_e64 v13, v14, v13, s[0:1]
	v_cndmask_b32_e64 v14, 0, 1, s[2:3]
	;; [unrolled: 1-line block ×4, first 2 shown]
	v_cndmask_b32_e64 v1, 0, 1, vcc
	v_cndmask_b32_e64 v14, v20, v14, s[0:1]
	v_and_b32_e32 v12, 1, v12
	v_cndmask_b32_e64 v6, v6, v17, s[0:1]
	v_cndmask_b32_e64 v1, v1, v3, s[0:1]
	v_and_b32_e32 v13, 1, v13
	v_and_b32_e32 v15, 1, v15
	;; [unrolled: 1-line block ×7, first 2 shown]
	global_store_byte v0, v12, s[16:17]
	global_store_byte v5, v13, s[16:17]
	;; [unrolled: 1-line block ×8, first 2 shown]
	s_endpgm
	.section	.rodata,"a",@progbits
	.p2align	6, 0x0
	.amdhsa_kernel _ZN2at6native32elementwise_kernel_manual_unrollILi128ELi8EZNS0_22gpu_kernel_impl_nocastINS0_13BinaryFunctorIN3c1014Float8_e8m0fnuES5_bNS0_12_GLOBAL__N_116CompareEqFunctorIS5_EEEEEEvRNS_18TensorIteratorBaseERKT_EUlibE_EEviT1_
		.amdhsa_group_segment_fixed_size 0
		.amdhsa_private_segment_fixed_size 0
		.amdhsa_kernarg_size 432
		.amdhsa_user_sgpr_count 6
		.amdhsa_user_sgpr_private_segment_buffer 1
		.amdhsa_user_sgpr_dispatch_ptr 0
		.amdhsa_user_sgpr_queue_ptr 0
		.amdhsa_user_sgpr_kernarg_segment_ptr 1
		.amdhsa_user_sgpr_dispatch_id 0
		.amdhsa_user_sgpr_flat_scratch_init 0
		.amdhsa_user_sgpr_private_segment_size 0
		.amdhsa_uses_dynamic_stack 0
		.amdhsa_system_sgpr_private_segment_wavefront_offset 0
		.amdhsa_system_sgpr_workgroup_id_x 1
		.amdhsa_system_sgpr_workgroup_id_y 0
		.amdhsa_system_sgpr_workgroup_id_z 0
		.amdhsa_system_sgpr_workgroup_info 0
		.amdhsa_system_vgpr_workitem_id 0
		.amdhsa_next_free_vgpr 41
		.amdhsa_next_free_sgpr 52
		.amdhsa_reserve_vcc 1
		.amdhsa_reserve_flat_scratch 0
		.amdhsa_float_round_mode_32 0
		.amdhsa_float_round_mode_16_64 0
		.amdhsa_float_denorm_mode_32 3
		.amdhsa_float_denorm_mode_16_64 3
		.amdhsa_dx10_clamp 1
		.amdhsa_ieee_mode 1
		.amdhsa_fp16_overflow 0
		.amdhsa_exception_fp_ieee_invalid_op 0
		.amdhsa_exception_fp_denorm_src 0
		.amdhsa_exception_fp_ieee_div_zero 0
		.amdhsa_exception_fp_ieee_overflow 0
		.amdhsa_exception_fp_ieee_underflow 0
		.amdhsa_exception_fp_ieee_inexact 0
		.amdhsa_exception_int_div_zero 0
	.end_amdhsa_kernel
	.section	.text._ZN2at6native32elementwise_kernel_manual_unrollILi128ELi8EZNS0_22gpu_kernel_impl_nocastINS0_13BinaryFunctorIN3c1014Float8_e8m0fnuES5_bNS0_12_GLOBAL__N_116CompareEqFunctorIS5_EEEEEEvRNS_18TensorIteratorBaseERKT_EUlibE_EEviT1_,"axG",@progbits,_ZN2at6native32elementwise_kernel_manual_unrollILi128ELi8EZNS0_22gpu_kernel_impl_nocastINS0_13BinaryFunctorIN3c1014Float8_e8m0fnuES5_bNS0_12_GLOBAL__N_116CompareEqFunctorIS5_EEEEEEvRNS_18TensorIteratorBaseERKT_EUlibE_EEviT1_,comdat
.Lfunc_end314:
	.size	_ZN2at6native32elementwise_kernel_manual_unrollILi128ELi8EZNS0_22gpu_kernel_impl_nocastINS0_13BinaryFunctorIN3c1014Float8_e8m0fnuES5_bNS0_12_GLOBAL__N_116CompareEqFunctorIS5_EEEEEEvRNS_18TensorIteratorBaseERKT_EUlibE_EEviT1_, .Lfunc_end314-_ZN2at6native32elementwise_kernel_manual_unrollILi128ELi8EZNS0_22gpu_kernel_impl_nocastINS0_13BinaryFunctorIN3c1014Float8_e8m0fnuES5_bNS0_12_GLOBAL__N_116CompareEqFunctorIS5_EEEEEEvRNS_18TensorIteratorBaseERKT_EUlibE_EEviT1_
                                        ; -- End function
	.set _ZN2at6native32elementwise_kernel_manual_unrollILi128ELi8EZNS0_22gpu_kernel_impl_nocastINS0_13BinaryFunctorIN3c1014Float8_e8m0fnuES5_bNS0_12_GLOBAL__N_116CompareEqFunctorIS5_EEEEEEvRNS_18TensorIteratorBaseERKT_EUlibE_EEviT1_.num_vgpr, 41
	.set _ZN2at6native32elementwise_kernel_manual_unrollILi128ELi8EZNS0_22gpu_kernel_impl_nocastINS0_13BinaryFunctorIN3c1014Float8_e8m0fnuES5_bNS0_12_GLOBAL__N_116CompareEqFunctorIS5_EEEEEEvRNS_18TensorIteratorBaseERKT_EUlibE_EEviT1_.num_agpr, 0
	.set _ZN2at6native32elementwise_kernel_manual_unrollILi128ELi8EZNS0_22gpu_kernel_impl_nocastINS0_13BinaryFunctorIN3c1014Float8_e8m0fnuES5_bNS0_12_GLOBAL__N_116CompareEqFunctorIS5_EEEEEEvRNS_18TensorIteratorBaseERKT_EUlibE_EEviT1_.numbered_sgpr, 52
	.set _ZN2at6native32elementwise_kernel_manual_unrollILi128ELi8EZNS0_22gpu_kernel_impl_nocastINS0_13BinaryFunctorIN3c1014Float8_e8m0fnuES5_bNS0_12_GLOBAL__N_116CompareEqFunctorIS5_EEEEEEvRNS_18TensorIteratorBaseERKT_EUlibE_EEviT1_.num_named_barrier, 0
	.set _ZN2at6native32elementwise_kernel_manual_unrollILi128ELi8EZNS0_22gpu_kernel_impl_nocastINS0_13BinaryFunctorIN3c1014Float8_e8m0fnuES5_bNS0_12_GLOBAL__N_116CompareEqFunctorIS5_EEEEEEvRNS_18TensorIteratorBaseERKT_EUlibE_EEviT1_.private_seg_size, 0
	.set _ZN2at6native32elementwise_kernel_manual_unrollILi128ELi8EZNS0_22gpu_kernel_impl_nocastINS0_13BinaryFunctorIN3c1014Float8_e8m0fnuES5_bNS0_12_GLOBAL__N_116CompareEqFunctorIS5_EEEEEEvRNS_18TensorIteratorBaseERKT_EUlibE_EEviT1_.uses_vcc, 1
	.set _ZN2at6native32elementwise_kernel_manual_unrollILi128ELi8EZNS0_22gpu_kernel_impl_nocastINS0_13BinaryFunctorIN3c1014Float8_e8m0fnuES5_bNS0_12_GLOBAL__N_116CompareEqFunctorIS5_EEEEEEvRNS_18TensorIteratorBaseERKT_EUlibE_EEviT1_.uses_flat_scratch, 0
	.set _ZN2at6native32elementwise_kernel_manual_unrollILi128ELi8EZNS0_22gpu_kernel_impl_nocastINS0_13BinaryFunctorIN3c1014Float8_e8m0fnuES5_bNS0_12_GLOBAL__N_116CompareEqFunctorIS5_EEEEEEvRNS_18TensorIteratorBaseERKT_EUlibE_EEviT1_.has_dyn_sized_stack, 0
	.set _ZN2at6native32elementwise_kernel_manual_unrollILi128ELi8EZNS0_22gpu_kernel_impl_nocastINS0_13BinaryFunctorIN3c1014Float8_e8m0fnuES5_bNS0_12_GLOBAL__N_116CompareEqFunctorIS5_EEEEEEvRNS_18TensorIteratorBaseERKT_EUlibE_EEviT1_.has_recursion, 0
	.set _ZN2at6native32elementwise_kernel_manual_unrollILi128ELi8EZNS0_22gpu_kernel_impl_nocastINS0_13BinaryFunctorIN3c1014Float8_e8m0fnuES5_bNS0_12_GLOBAL__N_116CompareEqFunctorIS5_EEEEEEvRNS_18TensorIteratorBaseERKT_EUlibE_EEviT1_.has_indirect_call, 0
	.section	.AMDGPU.csdata,"",@progbits
; Kernel info:
; codeLenInByte = 10700
; TotalNumSgprs: 56
; NumVgprs: 41
; ScratchSize: 0
; MemoryBound: 0
; FloatMode: 240
; IeeeMode: 1
; LDSByteSize: 0 bytes/workgroup (compile time only)
; SGPRBlocks: 6
; VGPRBlocks: 10
; NumSGPRsForWavesPerEU: 56
; NumVGPRsForWavesPerEU: 41
; Occupancy: 5
; WaveLimiterHint : 1
; COMPUTE_PGM_RSRC2:SCRATCH_EN: 0
; COMPUTE_PGM_RSRC2:USER_SGPR: 6
; COMPUTE_PGM_RSRC2:TRAP_HANDLER: 0
; COMPUTE_PGM_RSRC2:TGID_X_EN: 1
; COMPUTE_PGM_RSRC2:TGID_Y_EN: 0
; COMPUTE_PGM_RSRC2:TGID_Z_EN: 0
; COMPUTE_PGM_RSRC2:TIDIG_COMP_CNT: 0
	.section	.text._ZN2at6native32elementwise_kernel_manual_unrollILi128ELi4EZNS0_15gpu_kernel_implINS0_13BinaryFunctorIN3c1014Float8_e8m0fnuES5_bNS0_12_GLOBAL__N_116CompareEqFunctorIS5_EEEEEEvRNS_18TensorIteratorBaseERKT_EUlibE_EEviT1_,"axG",@progbits,_ZN2at6native32elementwise_kernel_manual_unrollILi128ELi4EZNS0_15gpu_kernel_implINS0_13BinaryFunctorIN3c1014Float8_e8m0fnuES5_bNS0_12_GLOBAL__N_116CompareEqFunctorIS5_EEEEEEvRNS_18TensorIteratorBaseERKT_EUlibE_EEviT1_,comdat
	.globl	_ZN2at6native32elementwise_kernel_manual_unrollILi128ELi4EZNS0_15gpu_kernel_implINS0_13BinaryFunctorIN3c1014Float8_e8m0fnuES5_bNS0_12_GLOBAL__N_116CompareEqFunctorIS5_EEEEEEvRNS_18TensorIteratorBaseERKT_EUlibE_EEviT1_ ; -- Begin function _ZN2at6native32elementwise_kernel_manual_unrollILi128ELi4EZNS0_15gpu_kernel_implINS0_13BinaryFunctorIN3c1014Float8_e8m0fnuES5_bNS0_12_GLOBAL__N_116CompareEqFunctorIS5_EEEEEEvRNS_18TensorIteratorBaseERKT_EUlibE_EEviT1_
	.p2align	8
	.type	_ZN2at6native32elementwise_kernel_manual_unrollILi128ELi4EZNS0_15gpu_kernel_implINS0_13BinaryFunctorIN3c1014Float8_e8m0fnuES5_bNS0_12_GLOBAL__N_116CompareEqFunctorIS5_EEEEEEvRNS_18TensorIteratorBaseERKT_EUlibE_EEviT1_,@function
_ZN2at6native32elementwise_kernel_manual_unrollILi128ELi4EZNS0_15gpu_kernel_implINS0_13BinaryFunctorIN3c1014Float8_e8m0fnuES5_bNS0_12_GLOBAL__N_116CompareEqFunctorIS5_EEEEEEvRNS_18TensorIteratorBaseERKT_EUlibE_EEviT1_: ; @_ZN2at6native32elementwise_kernel_manual_unrollILi128ELi4EZNS0_15gpu_kernel_implINS0_13BinaryFunctorIN3c1014Float8_e8m0fnuES5_bNS0_12_GLOBAL__N_116CompareEqFunctorIS5_EEEEEEvRNS_18TensorIteratorBaseERKT_EUlibE_EEviT1_
; %bb.0:
	s_load_dword s33, s[4:5], 0x30
	s_load_dword s50, s[4:5], 0x0
	s_load_dwordx4 s[8:11], s[4:5], 0x8
	s_load_dwordx2 s[16:17], s[4:5], 0x18
	s_load_dwordx4 s[12:15], s[4:5], 0x20
	v_lshl_or_b32 v2, s6, 9, v0
	v_or_b32_e32 v0, 0x180, v2
	s_waitcnt lgkmcnt(0)
	s_lshr_b32 s55, s33, 8
	s_lshr_b32 s54, s33, 16
	v_cmp_le_i32_e32 vcc, s50, v0
	s_mov_b64 s[6:7], 0
	s_mov_b64 s[20:21], 0
	s_and_saveexec_b64 s[0:1], vcc
	s_xor_b64 s[18:19], exec, s[0:1]
	s_cbranch_execz .LBB315_1881
; %bb.1:
	s_cmp_eq_u32 s15, 0
	s_cselect_b64 s[0:1], -1, 0
	v_cmp_gt_i32_e32 vcc, s50, v2
	s_mov_b64 s[2:3], -1
	s_mov_b64 s[30:31], 0
	s_mov_b64 s[24:25], 0
	;; [unrolled: 1-line block ×3, first 2 shown]
	s_and_saveexec_b64 s[26:27], vcc
	s_cbranch_execz .LBB315_467
; %bb.2:
	v_mul_lo_u32 v0, v2, s13
	v_mov_b32_e32 v1, s11
	s_and_b32 s22, s55, 0xff
	s_cmp_lt_i32 s22, 11
	v_ashrrev_i32_e32 v3, 31, v0
	v_add_co_u32_e32 v0, vcc, s10, v0
	v_addc_co_u32_e32 v1, vcc, v1, v3, vcc
	s_cbranch_scc1 .LBB315_11
; %bb.3:
	s_and_b32 s23, 0xffff, s22
	s_cmp_gt_i32 s23, 25
	s_cbranch_scc0 .LBB315_22
; %bb.4:
	s_cmp_gt_i32 s23, 28
	s_cbranch_scc0 .LBB315_32
; %bb.5:
	;; [unrolled: 3-line block ×4, first 2 shown]
	s_cmp_eq_u32 s23, 46
	s_mov_b64 s[4:5], 0
	s_cbranch_scc0 .LBB315_41
; %bb.8:
	global_load_dword v4, v[0:1], off
	s_movk_i32 s2, 0xff
	v_mov_b32_e32 v3, 0xff
	s_waitcnt vmcnt(0)
	v_lshlrev_b32_e32 v5, 16, v4
	v_bfe_u32 v6, v5, 23, 8
	v_cmp_ne_u32_e32 vcc, s2, v6
	s_and_saveexec_b64 s[20:21], vcc
; %bb.9:
	v_bfe_u32 v3, v4, 7, 9
	v_and_b32_e32 v4, 64, v4
	s_mov_b32 s2, 0x3f0000
	v_cmp_ne_u32_e32 vcc, 0, v4
	v_and_or_b32 v4, v5, s2, v6
	v_cmp_ne_u32_e64 s[2:3], 0, v4
	s_and_b64 s[2:3], vcc, s[2:3]
	v_cndmask_b32_e64 v4, 0, 1, s[2:3]
	v_add_u32_e32 v3, v3, v4
; %bb.10:
	s_or_b64 exec, exec, s[20:21]
	s_mov_b64 s[2:3], -1
	s_branch .LBB315_43
.LBB315_11:
                                        ; implicit-def: $vgpr3
	s_mov_b64 s[2:3], 0
	s_cbranch_execnz .LBB315_127
.LBB315_12:
	s_andn2_b64 vcc, exec, s[2:3]
	s_cbranch_vccnz .LBB315_196
.LBB315_13:
	v_mul_lo_u32 v0, v2, s14
	v_mov_b32_e32 v1, s17
	s_and_b32 s28, s54, 0xff
	s_cmp_lt_i32 s28, 11
	v_ashrrev_i32_e32 v4, 31, v0
	v_add_co_u32_e32 v0, vcc, s16, v0
	v_addc_co_u32_e32 v1, vcc, v1, v4, vcc
	s_cbranch_scc1 .LBB315_23
; %bb.14:
	s_and_b32 s29, 0xffff, s28
	s_cmp_gt_i32 s29, 25
	s_cbranch_scc0 .LBB315_33
; %bb.15:
	s_cmp_gt_i32 s29, 28
	s_cbranch_scc0 .LBB315_36
; %bb.16:
	;; [unrolled: 3-line block ×4, first 2 shown]
	s_cmp_eq_u32 s29, 46
	s_mov_b64 s[4:5], 0
	s_cbranch_scc0 .LBB315_197
; %bb.19:
	global_load_dword v5, v[0:1], off
	s_movk_i32 s2, 0xff
	v_mov_b32_e32 v4, 0xff
	s_waitcnt vmcnt(0)
	v_lshlrev_b32_e32 v6, 16, v5
	v_bfe_u32 v7, v6, 23, 8
	v_cmp_ne_u32_e32 vcc, s2, v7
	s_and_saveexec_b64 s[20:21], vcc
; %bb.20:
	v_bfe_u32 v4, v5, 7, 9
	v_and_b32_e32 v5, 64, v5
	s_mov_b32 s2, 0x3f0000
	v_cmp_ne_u32_e32 vcc, 0, v5
	v_and_or_b32 v5, v6, s2, v7
	v_cmp_ne_u32_e64 s[2:3], 0, v5
	s_and_b64 s[2:3], vcc, s[2:3]
	v_cndmask_b32_e64 v5, 0, 1, s[2:3]
	v_add_u32_e32 v4, v4, v5
; %bb.21:
	s_or_b64 exec, exec, s[20:21]
	s_mov_b64 s[2:3], -1
	s_mov_b64 s[22:23], 0
	s_branch .LBB315_199
.LBB315_22:
	s_mov_b64 s[2:3], 0
                                        ; implicit-def: $vgpr3
	s_cbranch_execnz .LBB315_82
	s_branch .LBB315_126
.LBB315_23:
	s_mov_b64 s[22:23], 0
                                        ; implicit-def: $vgpr4
	s_mov_b64 s[2:3], 0
	s_cbranch_execnz .LBB315_394
.LBB315_24:
	s_andn2_b64 vcc, exec, s[2:3]
	s_cbranch_vccnz .LBB315_464
.LBB315_25:
	s_movk_i32 s2, 0xff
	v_mov_b32_e32 v0, 23
	s_waitcnt vmcnt(0)
	v_lshlrev_b32_sdwa v1, v0, v3 dst_sel:DWORD dst_unused:UNUSED_PAD src0_sel:DWORD src1_sel:BYTE_0
	v_mov_b32_e32 v5, 0x7f800001
	v_cmp_ne_u16_sdwa vcc, v3, s2 src0_sel:BYTE_0 src1_sel:DWORD
	v_mov_b32_e32 v6, 0
	v_cndmask_b32_e32 v1, v5, v1, vcc
	v_mov_b32_e32 v7, 0x400000
	v_cmp_ne_u16_sdwa vcc, v3, v6 src0_sel:BYTE_0 src1_sel:DWORD
	v_cndmask_b32_e32 v1, v7, v1, vcc
	v_lshlrev_b32_sdwa v0, v0, v4 dst_sel:DWORD dst_unused:UNUSED_PAD src0_sel:DWORD src1_sel:BYTE_0
	v_cmp_ne_u16_sdwa vcc, v4, s2 src0_sel:BYTE_0 src1_sel:DWORD
	v_cndmask_b32_e32 v0, v5, v0, vcc
	v_cmp_ne_u16_sdwa vcc, v4, v6 src0_sel:BYTE_0 src1_sel:DWORD
	v_cndmask_b32_e32 v0, v7, v0, vcc
	v_cmp_eq_f32_e32 vcc, v1, v0
	v_cndmask_b32_e64 v3, 0, 1, vcc
	v_cmp_neq_f32_e32 vcc, v1, v0
	v_mul_lo_u32 v1, v2, s12
	v_cndmask_b32_e64 v0, 0, 1, vcc
	v_cndmask_b32_e64 v0, v0, v3, s[0:1]
	v_and_b32_e32 v0, 1, v0
	v_cmp_eq_u32_e64 s[2:3], 1, v0
	v_ashrrev_i32_e32 v3, 31, v1
	v_mov_b32_e32 v4, s9
	s_and_b32 s36, s33, 0xff
	v_add_co_u32_e32 v0, vcc, s8, v1
	s_cmp_lt_i32 s36, 11
	v_addc_co_u32_e32 v1, vcc, v4, v3, vcc
	s_cbranch_scc1 .LBB315_34
; %bb.26:
	s_and_b32 s37, 0xffff, s36
	s_cmp_gt_i32 s37, 25
	s_cbranch_scc0 .LBB315_37
; %bb.27:
	s_cmp_gt_i32 s37, 28
	s_cbranch_scc0 .LBB315_40
; %bb.28:
	;; [unrolled: 3-line block ×4, first 2 shown]
	s_mov_b64 s[28:29], 0
	s_mov_b64 s[4:5], -1
	s_cmp_eq_u32 s37, 46
	s_mov_b64 s[20:21], 0
	s_cbranch_scc0 .LBB315_203
; %bb.31:
	v_cndmask_b32_e64 v3, 0, 1.0, s[2:3]
	v_bfe_u32 v4, v3, 16, 1
	s_movk_i32 s4, 0x7fff
	v_add3_u32 v3, v3, v4, s4
	v_lshrrev_b32_e32 v3, 16, v3
	global_store_dword v[0:1], v3, off
	s_mov_b64 s[20:21], -1
	s_mov_b64 s[4:5], 0
	s_branch .LBB315_203
.LBB315_32:
	s_mov_b64 s[4:5], -1
	s_mov_b64 s[2:3], 0
                                        ; implicit-def: $vgpr3
	s_branch .LBB315_57
.LBB315_33:
	s_mov_b64 s[4:5], -1
	s_mov_b64 s[22:23], 0
	s_mov_b64 s[2:3], 0
                                        ; implicit-def: $vgpr4
	s_branch .LBB315_348
.LBB315_34:
	s_mov_b64 s[28:29], -1
	s_mov_b64 s[4:5], 0
	s_mov_b64 s[20:21], 0
	s_branch .LBB315_272
.LBB315_35:
	s_mov_b64 s[4:5], -1
	s_mov_b64 s[2:3], 0
                                        ; implicit-def: $vgpr3
	s_branch .LBB315_50
.LBB315_36:
	s_mov_b64 s[4:5], -1
	s_mov_b64 s[22:23], 0
	s_mov_b64 s[2:3], 0
                                        ; implicit-def: $vgpr4
	s_branch .LBB315_323
.LBB315_37:
	s_mov_b64 s[28:29], -1
	s_mov_b64 s[4:5], 0
	s_mov_b64 s[20:21], 0
	s_branch .LBB315_230
.LBB315_38:
	s_mov_b64 s[4:5], -1
	s_branch .LBB315_42
.LBB315_39:
	s_mov_b64 s[4:5], -1
	s_mov_b64 s[22:23], 0
	s_mov_b64 s[2:3], 0
                                        ; implicit-def: $vgpr4
	s_branch .LBB315_316
.LBB315_40:
	s_mov_b64 s[28:29], -1
	s_mov_b64 s[4:5], 0
	s_mov_b64 s[20:21], 0
	s_branch .LBB315_213
.LBB315_41:
	s_mov_b64 s[24:25], -1
.LBB315_42:
	s_mov_b64 s[2:3], 0
                                        ; implicit-def: $vgpr3
.LBB315_43:
	s_and_b64 vcc, exec, s[4:5]
	s_cbranch_vccz .LBB315_49
; %bb.44:
	s_cmp_eq_u32 s23, 44
	s_cbranch_scc0 .LBB315_48
; %bb.45:
	global_load_ubyte v3, v[0:1], off
	s_mov_b64 s[2:3], -1
	s_mov_b64 s[24:25], 0
	s_branch .LBB315_49
.LBB315_46:
	s_mov_b64 s[4:5], -1
	s_mov_b64 s[22:23], 0
	s_branch .LBB315_198
.LBB315_47:
	s_mov_b64 s[28:29], -1
	s_mov_b64 s[4:5], 0
	s_mov_b64 s[20:21], 0
	s_branch .LBB315_209
.LBB315_48:
	s_mov_b64 s[24:25], -1
                                        ; implicit-def: $vgpr3
.LBB315_49:
	s_mov_b64 s[4:5], 0
.LBB315_50:
	s_and_b64 vcc, exec, s[4:5]
	s_cbranch_vccz .LBB315_56
; %bb.51:
	s_cmp_eq_u32 s23, 29
	s_cbranch_scc0 .LBB315_55
; %bb.52:
	global_load_dwordx2 v[3:4], v[0:1], off
	s_movk_i32 s2, 0xff
	s_waitcnt vmcnt(0)
	v_ffbh_u32_e32 v5, v4
	v_min_u32_e32 v5, 32, v5
	v_lshlrev_b64 v[3:4], v5, v[3:4]
	v_min_u32_e32 v3, 1, v3
	v_or_b32_e32 v3, v4, v3
	v_cvt_f32_u32_e32 v3, v3
	v_sub_u32_e32 v4, 32, v5
	v_ldexp_f32 v5, v3, v4
	v_lshrrev_b32_e32 v4, 23, v5
	v_cmp_ne_u32_e32 vcc, s2, v4
	v_mov_b32_e32 v3, 0xff
	s_and_saveexec_b64 s[4:5], vcc
; %bb.53:
	v_and_b32_e32 v3, 0x400000, v5
	s_mov_b32 s2, 0x3fffff
	v_cmp_ne_u32_e32 vcc, 0, v3
	v_and_or_b32 v3, v5, s2, v4
	v_cmp_ne_u32_e64 s[2:3], 0, v3
	s_and_b64 s[2:3], vcc, s[2:3]
	v_cndmask_b32_e64 v3, 0, 1, s[2:3]
	v_add_u32_e32 v3, v4, v3
; %bb.54:
	s_or_b64 exec, exec, s[4:5]
	s_mov_b64 s[2:3], -1
	s_mov_b64 s[24:25], 0
	s_branch .LBB315_56
.LBB315_55:
	s_mov_b64 s[24:25], -1
                                        ; implicit-def: $vgpr3
.LBB315_56:
	s_mov_b64 s[4:5], 0
.LBB315_57:
	s_and_b64 vcc, exec, s[4:5]
	s_cbranch_vccz .LBB315_81
; %bb.58:
	s_cmp_lt_i32 s23, 27
	s_cbranch_scc1 .LBB315_63
; %bb.59:
	s_cmp_gt_i32 s23, 27
	s_cbranch_scc0 .LBB315_64
; %bb.60:
	global_load_dword v3, v[0:1], off
	s_movk_i32 s2, 0xff
	s_waitcnt vmcnt(0)
	v_cvt_f32_u32_e32 v5, v3
	v_mov_b32_e32 v3, 0xff
	v_lshrrev_b32_e32 v4, 23, v5
	v_cmp_ne_u32_e32 vcc, s2, v4
	s_and_saveexec_b64 s[4:5], vcc
; %bb.61:
	v_and_b32_e32 v3, 0x400000, v5
	s_mov_b32 s2, 0x3fffff
	v_cmp_ne_u32_e32 vcc, 0, v3
	v_and_or_b32 v3, v5, s2, v4
	v_cmp_ne_u32_e64 s[2:3], 0, v3
	s_and_b64 s[2:3], vcc, s[2:3]
	v_cndmask_b32_e64 v3, 0, 1, s[2:3]
	v_add_u32_e32 v3, v4, v3
; %bb.62:
	s_or_b64 exec, exec, s[4:5]
	s_mov_b64 s[2:3], 0
	s_branch .LBB315_65
.LBB315_63:
	s_mov_b64 s[2:3], -1
                                        ; implicit-def: $vgpr3
	s_branch .LBB315_70
.LBB315_64:
	s_mov_b64 s[2:3], -1
                                        ; implicit-def: $vgpr3
.LBB315_65:
	s_andn2_b64 vcc, exec, s[2:3]
	s_cbranch_vccnz .LBB315_69
; %bb.66:
	global_load_ushort v3, v[0:1], off
	s_movk_i32 s2, 0xff
	s_waitcnt vmcnt(0)
	v_cvt_f32_u32_e32 v5, v3
	v_mov_b32_e32 v3, 0xff
	v_lshrrev_b32_e32 v4, 23, v5
	v_cmp_ne_u32_e32 vcc, s2, v4
	s_and_saveexec_b64 s[4:5], vcc
; %bb.67:
	v_and_b32_e32 v3, 0x400000, v5
	s_mov_b32 s2, 0x3fffff
	v_cmp_ne_u32_e32 vcc, 0, v3
	v_and_or_b32 v3, v5, s2, v4
	v_cmp_ne_u32_e64 s[2:3], 0, v3
	s_and_b64 s[2:3], vcc, s[2:3]
	v_cndmask_b32_e64 v3, 0, 1, s[2:3]
	v_add_u32_e32 v3, v4, v3
; %bb.68:
	s_or_b64 exec, exec, s[4:5]
.LBB315_69:
	s_mov_b64 s[2:3], 0
.LBB315_70:
	s_andn2_b64 vcc, exec, s[2:3]
	s_cbranch_vccnz .LBB315_80
; %bb.71:
	global_load_ubyte v3, v[0:1], off
	s_movk_i32 s2, 0x7f
	s_waitcnt vmcnt(0)
	v_cmp_lt_i16_e32 vcc, s2, v3
	s_mov_b64 s[2:3], 0
	s_and_saveexec_b64 s[4:5], vcc
	s_xor_b64 s[4:5], exec, s[4:5]
	s_cbranch_execz .LBB315_95
; %bb.72:
	s_movk_i32 s2, 0x80
	v_cmp_eq_u16_e32 vcc, s2, v3
	s_mov_b64 s[2:3], -1
	s_and_saveexec_b64 s[20:21], vcc
; %bb.73:
	s_xor_b64 s[2:3], exec, -1
; %bb.74:
	s_or_b64 exec, exec, s[20:21]
	s_and_b64 s[2:3], s[2:3], exec
	s_or_saveexec_b64 s[4:5], s[4:5]
	v_mov_b32_e32 v4, 0x7f800001
	s_xor_b64 exec, exec, s[4:5]
	s_cbranch_execnz .LBB315_96
.LBB315_75:
	s_or_b64 exec, exec, s[4:5]
	s_and_saveexec_b64 s[4:5], s[2:3]
	s_cbranch_execz .LBB315_77
.LBB315_76:
	v_and_b32_e32 v3, 0xffff, v3
	v_and_b32_e32 v4, 7, v3
	v_ffbh_u32_e32 v6, v4
	v_min_u32_e32 v6, 32, v6
	v_subrev_u32_e32 v7, 28, v6
	v_bfe_u32 v5, v3, 3, 4
	v_lshlrev_b32_e32 v3, v7, v3
	v_and_b32_e32 v3, 7, v3
	v_cmp_eq_u32_e32 vcc, 0, v5
	v_sub_u32_e32 v6, 29, v6
	v_cndmask_b32_e32 v3, v4, v3, vcc
	v_cndmask_b32_e32 v5, v5, v6, vcc
	v_lshlrev_b32_e32 v3, 20, v3
	v_lshl_or_b32 v3, v5, 23, v3
	v_add_u32_e32 v4, 0x3b800000, v3
.LBB315_77:
	s_or_b64 exec, exec, s[4:5]
	v_lshrrev_b32_e32 v5, 23, v4
	s_movk_i32 s2, 0xff
	v_cmp_ne_u32_e32 vcc, s2, v5
	v_mov_b32_e32 v3, 0xff
	s_and_saveexec_b64 s[4:5], vcc
; %bb.78:
	v_and_b32_e32 v3, 0x400000, v4
	s_mov_b32 s2, 0x3fffff
	v_cmp_ne_u32_e32 vcc, 0, v3
	v_and_or_b32 v3, v4, s2, v5
	v_cmp_ne_u32_e64 s[2:3], 0, v3
	s_and_b64 s[2:3], vcc, s[2:3]
	v_cndmask_b32_e64 v3, 0, 1, s[2:3]
	v_add_u32_e32 v3, v5, v3
; %bb.79:
	s_or_b64 exec, exec, s[4:5]
.LBB315_80:
	s_mov_b64 s[2:3], -1
.LBB315_81:
	s_branch .LBB315_126
.LBB315_82:
	s_cmp_gt_i32 s23, 22
	s_cbranch_scc0 .LBB315_94
; %bb.83:
	s_cmp_lt_i32 s23, 24
	s_cbranch_scc1 .LBB315_97
; %bb.84:
	s_cmp_gt_i32 s23, 24
	s_cbranch_scc0 .LBB315_98
; %bb.85:
	global_load_ubyte v3, v[0:1], off
	s_movk_i32 s2, 0x7f
	s_waitcnt vmcnt(0)
	v_cmp_lt_i16_e32 vcc, s2, v3
	s_mov_b64 s[2:3], 0
	s_and_saveexec_b64 s[4:5], vcc
	s_xor_b64 s[4:5], exec, s[4:5]
	s_cbranch_execz .LBB315_116
; %bb.86:
	s_movk_i32 s2, 0x80
	v_cmp_eq_u16_e32 vcc, s2, v3
	s_mov_b64 s[2:3], -1
	s_and_saveexec_b64 s[20:21], vcc
; %bb.87:
	s_xor_b64 s[2:3], exec, -1
; %bb.88:
	s_or_b64 exec, exec, s[20:21]
	s_and_b64 s[2:3], s[2:3], exec
	s_or_saveexec_b64 s[4:5], s[4:5]
	v_mov_b32_e32 v4, 0x7f800001
	s_xor_b64 exec, exec, s[4:5]
	s_cbranch_execnz .LBB315_117
.LBB315_89:
	s_or_b64 exec, exec, s[4:5]
	s_and_saveexec_b64 s[4:5], s[2:3]
	s_cbranch_execz .LBB315_91
.LBB315_90:
	v_and_b32_e32 v3, 0xffff, v3
	v_and_b32_e32 v4, 3, v3
	v_ffbh_u32_e32 v6, v4
	v_min_u32_e32 v6, 32, v6
	v_subrev_u32_e32 v7, 29, v6
	v_bfe_u32 v5, v3, 2, 5
	v_lshlrev_b32_e32 v3, v7, v3
	v_and_b32_e32 v3, 3, v3
	v_cmp_eq_u32_e32 vcc, 0, v5
	v_sub_u32_e32 v6, 30, v6
	v_cndmask_b32_e32 v3, v4, v3, vcc
	v_cndmask_b32_e32 v5, v5, v6, vcc
	v_lshlrev_b32_e32 v3, 21, v3
	v_lshl_or_b32 v3, v5, 23, v3
	v_add_u32_e32 v4, 0x37800000, v3
.LBB315_91:
	s_or_b64 exec, exec, s[4:5]
	v_lshrrev_b32_e32 v5, 23, v4
	s_movk_i32 s2, 0xff
	v_cmp_ne_u32_e32 vcc, s2, v5
	v_mov_b32_e32 v3, 0xff
	s_and_saveexec_b64 s[4:5], vcc
; %bb.92:
	v_and_b32_e32 v3, 0x400000, v4
	s_mov_b32 s2, 0x3fffff
	v_cmp_ne_u32_e32 vcc, 0, v3
	v_and_or_b32 v3, v4, s2, v5
	v_cmp_ne_u32_e64 s[2:3], 0, v3
	s_and_b64 s[2:3], vcc, s[2:3]
	v_cndmask_b32_e64 v3, 0, 1, s[2:3]
	v_add_u32_e32 v3, v5, v3
; %bb.93:
	s_or_b64 exec, exec, s[4:5]
	s_mov_b64 s[2:3], 0
	s_branch .LBB315_99
.LBB315_94:
	s_mov_b64 s[4:5], -1
                                        ; implicit-def: $vgpr3
	s_branch .LBB315_109
.LBB315_95:
	s_or_saveexec_b64 s[4:5], s[4:5]
	v_mov_b32_e32 v4, 0x7f800001
	s_xor_b64 exec, exec, s[4:5]
	s_cbranch_execz .LBB315_75
.LBB315_96:
	v_cmp_ne_u16_e32 vcc, 0, v3
	s_andn2_b64 s[2:3], s[2:3], exec
	s_and_b64 s[20:21], vcc, exec
	v_and_b32_e32 v4, 0xffff, v3
	s_or_b64 s[2:3], s[2:3], s[20:21]
	s_or_b64 exec, exec, s[4:5]
	s_and_saveexec_b64 s[4:5], s[2:3]
	s_cbranch_execnz .LBB315_76
	s_branch .LBB315_77
.LBB315_97:
	s_mov_b64 s[2:3], -1
                                        ; implicit-def: $vgpr3
	s_branch .LBB315_104
.LBB315_98:
	s_mov_b64 s[2:3], -1
                                        ; implicit-def: $vgpr3
.LBB315_99:
	s_and_b64 vcc, exec, s[2:3]
	s_cbranch_vccz .LBB315_103
; %bb.100:
	global_load_ubyte v3, v[0:1], off
	s_mov_b32 s2, 0x7f800000
	s_movk_i32 s3, 0xff
	s_waitcnt vmcnt(0)
	v_lshlrev_b32_e32 v3, 24, v3
	v_and_b32_e32 v3, 0x7f000000, v3
	v_ffbh_u32_e32 v4, v3
	v_min_u32_e32 v4, 32, v4
	v_sub_u32_e64 v4, v4, 4 clamp
	v_lshlrev_b32_e32 v6, v4, v3
	v_lshlrev_b32_e32 v4, 23, v4
	v_lshrrev_b32_e32 v6, 4, v6
	v_add_u32_e32 v5, 0x1000000, v3
	v_sub_u32_e32 v4, v6, v4
	v_ashrrev_i32_e32 v5, 8, v5
	v_add_u32_e32 v4, 0x3c000000, v4
	v_and_or_b32 v4, v5, s2, v4
	v_cmp_ne_u32_e32 vcc, 0, v3
	v_cndmask_b32_e32 v5, 0, v4, vcc
	v_lshrrev_b32_e32 v4, 23, v5
	v_cmp_ne_u32_e32 vcc, s3, v4
	v_mov_b32_e32 v3, 0xff
	s_and_saveexec_b64 s[4:5], vcc
; %bb.101:
	v_and_b32_e32 v3, 0x400000, v5
	s_mov_b32 s2, 0x3fffff
	v_cmp_ne_u32_e32 vcc, 0, v3
	v_and_or_b32 v3, v5, s2, v4
	v_cmp_ne_u32_e64 s[2:3], 0, v3
	s_and_b64 s[2:3], vcc, s[2:3]
	v_cndmask_b32_e64 v3, 0, 1, s[2:3]
	v_add_u32_e32 v3, v4, v3
; %bb.102:
	s_or_b64 exec, exec, s[4:5]
.LBB315_103:
	s_mov_b64 s[2:3], 0
.LBB315_104:
	s_andn2_b64 vcc, exec, s[2:3]
	s_cbranch_vccnz .LBB315_108
; %bb.105:
	global_load_ubyte v3, v[0:1], off
	s_movk_i32 s2, 0x7f00
	s_brev_b32 s3, 16
	s_movk_i32 s4, 0xff
	s_waitcnt vmcnt(0)
	v_lshlrev_b32_e32 v4, 8, v3
	v_lshlrev_b32_e32 v3, 25, v3
	v_lshrrev_b32_e32 v5, 4, v3
	v_and_or_b32 v4, v4, s2, 0.5
	v_or_b32_e32 v5, 0x70000000, v5
	v_add_f32_e32 v4, -0.5, v4
	v_mul_f32_e32 v5, 0x7800000, v5
	v_cmp_gt_u32_e32 vcc, s3, v3
	v_cndmask_b32_e32 v4, v5, v4, vcc
	v_bfe_u32 v5, v4, 23, 8
	v_cmp_ne_u32_e32 vcc, s4, v5
	v_mov_b32_e32 v3, 0xff
	s_and_saveexec_b64 s[4:5], vcc
; %bb.106:
	s_mov_b32 s2, 0x3fffff
	v_lshrrev_b32_e32 v3, 23, v4
	v_and_b32_e32 v6, 0x400000, v4
	v_and_or_b32 v4, v4, s2, v5
	v_cmp_ne_u32_e32 vcc, 0, v6
	v_cmp_ne_u32_e64 s[2:3], 0, v4
	s_and_b64 s[2:3], vcc, s[2:3]
	v_cndmask_b32_e64 v4, 0, 1, s[2:3]
	v_add_u32_e32 v3, v3, v4
; %bb.107:
	s_or_b64 exec, exec, s[4:5]
.LBB315_108:
	s_mov_b64 s[4:5], 0
	s_mov_b64 s[2:3], -1
.LBB315_109:
	s_andn2_b64 vcc, exec, s[4:5]
	s_cbranch_vccnz .LBB315_126
; %bb.110:
	s_cmp_gt_i32 s23, 14
	s_cbranch_scc0 .LBB315_115
; %bb.111:
	s_cmp_eq_u32 s23, 15
	s_cbranch_scc0 .LBB315_118
; %bb.112:
	global_load_ushort v4, v[0:1], off
	s_movk_i32 s2, 0xff
	s_waitcnt vmcnt(1)
	v_mov_b32_e32 v3, 0xff
	s_waitcnt vmcnt(0)
	v_bfe_u32 v5, v4, 7, 8
	v_cmp_ne_u32_e32 vcc, s2, v5
	s_and_saveexec_b64 s[4:5], vcc
	s_cbranch_execz .LBB315_114
; %bb.113:
	v_lshrrev_b32_e32 v3, 7, v4
	v_lshlrev_b32_e32 v6, 16, v4
	v_and_b32_e32 v4, 64, v4
	s_mov_b32 s2, 0x3f0000
	v_cmp_ne_u32_e32 vcc, 0, v4
	v_and_or_b32 v4, v6, s2, v5
	v_cmp_ne_u32_e64 s[2:3], 0, v4
	s_and_b64 s[2:3], vcc, s[2:3]
	v_cndmask_b32_e64 v4, 0, 1, s[2:3]
	v_add_u32_e32 v3, v3, v4
.LBB315_114:
	s_or_b64 exec, exec, s[4:5]
	s_mov_b64 s[2:3], -1
	s_mov_b64 s[24:25], 0
	s_branch .LBB315_119
.LBB315_115:
	s_mov_b64 s[4:5], -1
                                        ; implicit-def: $vgpr3
	s_branch .LBB315_120
.LBB315_116:
	s_or_saveexec_b64 s[4:5], s[4:5]
	v_mov_b32_e32 v4, 0x7f800001
	s_xor_b64 exec, exec, s[4:5]
	s_cbranch_execz .LBB315_89
.LBB315_117:
	v_cmp_ne_u16_e32 vcc, 0, v3
	s_andn2_b64 s[2:3], s[2:3], exec
	s_and_b64 s[20:21], vcc, exec
	v_and_b32_e32 v4, 0xffff, v3
	s_or_b64 s[2:3], s[2:3], s[20:21]
	s_or_b64 exec, exec, s[4:5]
	s_and_saveexec_b64 s[4:5], s[2:3]
	s_cbranch_execnz .LBB315_90
	s_branch .LBB315_91
.LBB315_118:
	s_mov_b64 s[24:25], -1
                                        ; implicit-def: $vgpr3
.LBB315_119:
	s_mov_b64 s[4:5], 0
.LBB315_120:
	s_and_b64 vcc, exec, s[4:5]
	s_cbranch_vccz .LBB315_126
; %bb.121:
	s_cmp_eq_u32 s23, 11
	s_cbranch_scc0 .LBB315_125
; %bb.122:
	global_load_ubyte v3, v[0:1], off
	s_movk_i32 s2, 0xff
	s_waitcnt vmcnt(0)
	v_cmp_ne_u16_e32 vcc, 0, v3
	v_cndmask_b32_e64 v5, 0, 1.0, vcc
	v_lshrrev_b32_e32 v4, 23, v5
	v_cmp_ne_u32_e32 vcc, s2, v4
	v_mov_b32_e32 v3, 0xff
	s_and_saveexec_b64 s[4:5], vcc
; %bb.123:
	v_and_b32_e32 v3, 0x400000, v5
	s_mov_b32 s2, 0x3fffff
	v_cmp_ne_u32_e32 vcc, 0, v3
	v_and_or_b32 v3, v5, s2, v4
	v_cmp_ne_u32_e64 s[2:3], 0, v3
	s_and_b64 s[2:3], vcc, s[2:3]
	v_cndmask_b32_e64 v3, 0, 1, s[2:3]
	v_add_u32_e32 v3, v4, v3
; %bb.124:
	s_or_b64 exec, exec, s[4:5]
	s_mov_b64 s[2:3], -1
	s_mov_b64 s[24:25], 0
	s_branch .LBB315_126
.LBB315_125:
	s_mov_b64 s[24:25], -1
                                        ; implicit-def: $vgpr3
.LBB315_126:
	s_branch .LBB315_12
.LBB315_127:
	s_and_b32 s20, 0xffff, s22
	s_cmp_lt_i32 s20, 5
	s_cbranch_scc1 .LBB315_134
; %bb.128:
	s_cmp_lt_i32 s20, 8
	s_cbranch_scc1 .LBB315_135
; %bb.129:
	;; [unrolled: 3-line block ×3, first 2 shown]
	s_cmp_gt_i32 s20, 9
	s_cbranch_scc0 .LBB315_137
; %bb.131:
	global_load_dwordx2 v[3:4], v[0:1], off
	s_movk_i32 s2, 0xff
	s_waitcnt vmcnt(0)
	v_cvt_f32_f64_e32 v4, v[3:4]
	v_mov_b32_e32 v3, 0xff
	v_bfe_u32 v5, v4, 23, 8
	v_cmp_ne_u32_e32 vcc, s2, v5
	s_and_saveexec_b64 s[4:5], vcc
; %bb.132:
	s_mov_b32 s2, 0x3fffff
	v_lshrrev_b32_e32 v3, 23, v4
	v_and_b32_e32 v6, 0x400000, v4
	v_and_or_b32 v4, v4, s2, v5
	v_cmp_ne_u32_e32 vcc, 0, v6
	v_cmp_ne_u32_e64 s[2:3], 0, v4
	s_and_b64 s[2:3], vcc, s[2:3]
	v_cndmask_b32_e64 v4, 0, 1, s[2:3]
	v_add_u32_e32 v3, v3, v4
; %bb.133:
	s_or_b64 exec, exec, s[4:5]
	s_mov_b64 s[2:3], 0
	s_branch .LBB315_138
.LBB315_134:
                                        ; implicit-def: $vgpr3
	s_branch .LBB315_166
.LBB315_135:
	s_mov_b64 s[2:3], -1
                                        ; implicit-def: $vgpr3
	s_branch .LBB315_148
.LBB315_136:
	s_mov_b64 s[2:3], -1
                                        ; implicit-def: $vgpr3
	s_branch .LBB315_143
.LBB315_137:
	s_mov_b64 s[2:3], -1
                                        ; implicit-def: $vgpr3
.LBB315_138:
	s_andn2_b64 vcc, exec, s[2:3]
	s_cbranch_vccnz .LBB315_142
; %bb.139:
	global_load_dword v4, v[0:1], off
	s_movk_i32 s2, 0xff
	s_waitcnt vmcnt(1)
	v_mov_b32_e32 v3, 0xff
	s_waitcnt vmcnt(0)
	v_bfe_u32 v5, v4, 23, 8
	v_cmp_ne_u32_e32 vcc, s2, v5
	s_and_saveexec_b64 s[4:5], vcc
; %bb.140:
	s_mov_b32 s2, 0x3fffff
	v_lshrrev_b32_e32 v3, 23, v4
	v_and_b32_e32 v6, 0x400000, v4
	v_and_or_b32 v4, v4, s2, v5
	v_cmp_ne_u32_e32 vcc, 0, v6
	v_cmp_ne_u32_e64 s[2:3], 0, v4
	s_and_b64 s[2:3], vcc, s[2:3]
	v_cndmask_b32_e64 v4, 0, 1, s[2:3]
	v_add_u32_e32 v3, v3, v4
; %bb.141:
	s_or_b64 exec, exec, s[4:5]
.LBB315_142:
	s_mov_b64 s[2:3], 0
.LBB315_143:
	s_andn2_b64 vcc, exec, s[2:3]
	s_cbranch_vccnz .LBB315_147
; %bb.144:
	global_load_dword v3, v[0:1], off
	s_movk_i32 s2, 0xff
	s_waitcnt vmcnt(0)
	v_cvt_f32_f16_e32 v4, v3
	v_mov_b32_e32 v3, 0xff
	v_bfe_u32 v5, v4, 23, 8
	v_cmp_ne_u32_e32 vcc, s2, v5
	s_and_saveexec_b64 s[4:5], vcc
; %bb.145:
	s_mov_b32 s2, 0x3fffff
	v_lshrrev_b32_e32 v3, 23, v4
	v_and_b32_e32 v6, 0x400000, v4
	v_and_or_b32 v4, v4, s2, v5
	v_cmp_ne_u32_e32 vcc, 0, v6
	v_cmp_ne_u32_e64 s[2:3], 0, v4
	s_and_b64 s[2:3], vcc, s[2:3]
	v_cndmask_b32_e64 v4, 0, 1, s[2:3]
	v_add_u32_e32 v3, v3, v4
; %bb.146:
	s_or_b64 exec, exec, s[4:5]
.LBB315_147:
	s_mov_b64 s[2:3], 0
.LBB315_148:
	s_andn2_b64 vcc, exec, s[2:3]
	s_cbranch_vccnz .LBB315_165
; %bb.149:
	s_cmp_lt_i32 s20, 6
	s_cbranch_scc1 .LBB315_154
; %bb.150:
	s_cmp_gt_i32 s20, 6
	s_cbranch_scc0 .LBB315_155
; %bb.151:
	global_load_dwordx2 v[3:4], v[0:1], off
	s_movk_i32 s2, 0xff
	s_waitcnt vmcnt(0)
	v_cvt_f32_f64_e32 v4, v[3:4]
	v_mov_b32_e32 v3, 0xff
	v_bfe_u32 v5, v4, 23, 8
	v_cmp_ne_u32_e32 vcc, s2, v5
	s_and_saveexec_b64 s[4:5], vcc
; %bb.152:
	s_mov_b32 s2, 0x3fffff
	v_lshrrev_b32_e32 v3, 23, v4
	v_and_b32_e32 v6, 0x400000, v4
	v_and_or_b32 v4, v4, s2, v5
	v_cmp_ne_u32_e32 vcc, 0, v6
	v_cmp_ne_u32_e64 s[2:3], 0, v4
	s_and_b64 s[2:3], vcc, s[2:3]
	v_cndmask_b32_e64 v4, 0, 1, s[2:3]
	v_add_u32_e32 v3, v3, v4
; %bb.153:
	s_or_b64 exec, exec, s[4:5]
	s_mov_b64 s[2:3], 0
	s_branch .LBB315_156
.LBB315_154:
	s_mov_b64 s[2:3], -1
                                        ; implicit-def: $vgpr3
	s_branch .LBB315_161
.LBB315_155:
	s_mov_b64 s[2:3], -1
                                        ; implicit-def: $vgpr3
.LBB315_156:
	s_andn2_b64 vcc, exec, s[2:3]
	s_cbranch_vccnz .LBB315_160
; %bb.157:
	global_load_dword v4, v[0:1], off
	s_movk_i32 s2, 0xff
	s_waitcnt vmcnt(1)
	v_mov_b32_e32 v3, 0xff
	s_waitcnt vmcnt(0)
	v_bfe_u32 v5, v4, 23, 8
	v_cmp_ne_u32_e32 vcc, s2, v5
	s_and_saveexec_b64 s[4:5], vcc
; %bb.158:
	s_mov_b32 s2, 0x3fffff
	v_lshrrev_b32_e32 v3, 23, v4
	v_and_b32_e32 v6, 0x400000, v4
	v_and_or_b32 v4, v4, s2, v5
	v_cmp_ne_u32_e32 vcc, 0, v6
	v_cmp_ne_u32_e64 s[2:3], 0, v4
	s_and_b64 s[2:3], vcc, s[2:3]
	v_cndmask_b32_e64 v4, 0, 1, s[2:3]
	v_add_u32_e32 v3, v3, v4
; %bb.159:
	s_or_b64 exec, exec, s[4:5]
.LBB315_160:
	s_mov_b64 s[2:3], 0
.LBB315_161:
	s_andn2_b64 vcc, exec, s[2:3]
	s_cbranch_vccnz .LBB315_165
; %bb.162:
	global_load_ushort v3, v[0:1], off
	s_movk_i32 s2, 0xff
	s_waitcnt vmcnt(0)
	v_cvt_f32_f16_e32 v4, v3
	v_mov_b32_e32 v3, 0xff
	v_bfe_u32 v5, v4, 23, 8
	v_cmp_ne_u32_e32 vcc, s2, v5
	s_and_saveexec_b64 s[4:5], vcc
; %bb.163:
	s_mov_b32 s2, 0x3fffff
	v_lshrrev_b32_e32 v3, 23, v4
	v_and_b32_e32 v6, 0x400000, v4
	v_and_or_b32 v4, v4, s2, v5
	v_cmp_ne_u32_e32 vcc, 0, v6
	v_cmp_ne_u32_e64 s[2:3], 0, v4
	s_and_b64 s[2:3], vcc, s[2:3]
	v_cndmask_b32_e64 v4, 0, 1, s[2:3]
	v_add_u32_e32 v3, v3, v4
; %bb.164:
	s_or_b64 exec, exec, s[4:5]
.LBB315_165:
	s_cbranch_execnz .LBB315_195
.LBB315_166:
	s_cmp_lt_i32 s20, 2
	s_cbranch_scc1 .LBB315_172
; %bb.167:
	s_cmp_lt_i32 s20, 3
	s_cbranch_scc1 .LBB315_173
; %bb.168:
	s_cmp_gt_i32 s20, 3
	s_cbranch_scc0 .LBB315_174
; %bb.169:
	global_load_dwordx2 v[3:4], v[0:1], off
	s_movk_i32 s2, 0xff
	s_waitcnt vmcnt(0)
	v_xor_b32_e32 v6, v3, v4
	v_ffbh_i32_e32 v5, v4
	v_ashrrev_i32_e32 v6, 31, v6
	v_add_u32_e32 v5, -1, v5
	v_add_u32_e32 v6, 32, v6
	v_min_u32_e32 v5, v5, v6
	v_lshlrev_b64 v[3:4], v5, v[3:4]
	v_min_u32_e32 v3, 1, v3
	v_or_b32_e32 v3, v4, v3
	v_cvt_f32_i32_e32 v3, v3
	v_sub_u32_e32 v4, 32, v5
	v_ldexp_f32 v4, v3, v4
	v_bfe_u32 v5, v4, 23, 8
	v_cmp_ne_u32_e32 vcc, s2, v5
	v_mov_b32_e32 v3, 0xff
	s_and_saveexec_b64 s[4:5], vcc
; %bb.170:
	s_mov_b32 s2, 0x3fffff
	v_lshrrev_b32_e32 v3, 23, v4
	v_and_b32_e32 v6, 0x400000, v4
	v_and_or_b32 v4, v4, s2, v5
	v_cmp_ne_u32_e32 vcc, 0, v6
	v_cmp_ne_u32_e64 s[2:3], 0, v4
	s_and_b64 s[2:3], vcc, s[2:3]
	v_cndmask_b32_e64 v4, 0, 1, s[2:3]
	v_add_u32_e32 v3, v3, v4
; %bb.171:
	s_or_b64 exec, exec, s[4:5]
	s_mov_b64 s[2:3], 0
	s_branch .LBB315_175
.LBB315_172:
	s_mov_b64 s[2:3], -1
                                        ; implicit-def: $vgpr3
	s_branch .LBB315_185
.LBB315_173:
	s_mov_b64 s[2:3], -1
                                        ; implicit-def: $vgpr3
	s_branch .LBB315_180
.LBB315_174:
	s_mov_b64 s[2:3], -1
                                        ; implicit-def: $vgpr3
.LBB315_175:
	s_andn2_b64 vcc, exec, s[2:3]
	s_cbranch_vccnz .LBB315_179
; %bb.176:
	global_load_dword v3, v[0:1], off
	s_movk_i32 s2, 0xff
	s_waitcnt vmcnt(0)
	v_cvt_f32_i32_e32 v4, v3
	v_mov_b32_e32 v3, 0xff
	v_bfe_u32 v5, v4, 23, 8
	v_cmp_ne_u32_e32 vcc, s2, v5
	s_and_saveexec_b64 s[4:5], vcc
; %bb.177:
	s_mov_b32 s2, 0x3fffff
	v_lshrrev_b32_e32 v3, 23, v4
	v_and_b32_e32 v6, 0x400000, v4
	v_and_or_b32 v4, v4, s2, v5
	v_cmp_ne_u32_e32 vcc, 0, v6
	v_cmp_ne_u32_e64 s[2:3], 0, v4
	s_and_b64 s[2:3], vcc, s[2:3]
	v_cndmask_b32_e64 v4, 0, 1, s[2:3]
	v_add_u32_e32 v3, v3, v4
; %bb.178:
	s_or_b64 exec, exec, s[4:5]
.LBB315_179:
	s_mov_b64 s[2:3], 0
.LBB315_180:
	s_andn2_b64 vcc, exec, s[2:3]
	s_cbranch_vccnz .LBB315_184
; %bb.181:
	global_load_sshort v3, v[0:1], off
	s_movk_i32 s2, 0xff
	s_waitcnt vmcnt(0)
	v_cvt_f32_i32_e32 v4, v3
	v_mov_b32_e32 v3, 0xff
	v_bfe_u32 v5, v4, 23, 8
	v_cmp_ne_u32_e32 vcc, s2, v5
	s_and_saveexec_b64 s[4:5], vcc
; %bb.182:
	s_mov_b32 s2, 0x3fffff
	v_lshrrev_b32_e32 v3, 23, v4
	v_and_b32_e32 v6, 0x400000, v4
	v_and_or_b32 v4, v4, s2, v5
	v_cmp_ne_u32_e32 vcc, 0, v6
	v_cmp_ne_u32_e64 s[2:3], 0, v4
	s_and_b64 s[2:3], vcc, s[2:3]
	v_cndmask_b32_e64 v4, 0, 1, s[2:3]
	v_add_u32_e32 v3, v3, v4
; %bb.183:
	s_or_b64 exec, exec, s[4:5]
.LBB315_184:
	s_mov_b64 s[2:3], 0
.LBB315_185:
	s_andn2_b64 vcc, exec, s[2:3]
	s_cbranch_vccnz .LBB315_195
; %bb.186:
	s_cmp_gt_i32 s20, 0
	s_cbranch_scc0 .LBB315_190
; %bb.187:
	global_load_sbyte v3, v[0:1], off
	s_movk_i32 s2, 0xff
	s_waitcnt vmcnt(0)
	v_cvt_f32_i32_e32 v4, v3
	v_mov_b32_e32 v3, 0xff
	v_bfe_u32 v5, v4, 23, 8
	v_cmp_ne_u32_e32 vcc, s2, v5
	s_and_saveexec_b64 s[4:5], vcc
; %bb.188:
	s_mov_b32 s2, 0x3fffff
	v_lshrrev_b32_e32 v3, 23, v4
	v_and_b32_e32 v6, 0x400000, v4
	v_and_or_b32 v4, v4, s2, v5
	v_cmp_ne_u32_e32 vcc, 0, v6
	v_cmp_ne_u32_e64 s[2:3], 0, v4
	s_and_b64 s[2:3], vcc, s[2:3]
	v_cndmask_b32_e64 v4, 0, 1, s[2:3]
	v_add_u32_e32 v3, v3, v4
; %bb.189:
	s_or_b64 exec, exec, s[4:5]
	s_mov_b64 s[2:3], 0
	s_branch .LBB315_191
.LBB315_190:
	s_mov_b64 s[2:3], -1
                                        ; implicit-def: $vgpr3
.LBB315_191:
	s_andn2_b64 vcc, exec, s[2:3]
	s_cbranch_vccnz .LBB315_195
; %bb.192:
	global_load_ubyte v0, v[0:1], off
	s_movk_i32 s2, 0xff
	s_waitcnt vmcnt(1)
	v_mov_b32_e32 v3, 0xff
	s_waitcnt vmcnt(0)
	v_cvt_f32_ubyte0_e32 v1, v0
	v_lshrrev_b32_e32 v0, 23, v1
	v_cmp_ne_u32_e32 vcc, s2, v0
	s_and_saveexec_b64 s[4:5], vcc
; %bb.193:
	s_mov_b32 s2, 0x3fffff
	v_and_b32_e32 v3, 0x400000, v1
	v_and_or_b32 v1, v1, s2, v0
	v_cmp_ne_u32_e32 vcc, 0, v3
	v_cmp_ne_u32_e64 s[2:3], 0, v1
	s_and_b64 s[2:3], vcc, s[2:3]
	v_cndmask_b32_e64 v1, 0, 1, s[2:3]
	v_add_u32_e32 v3, v0, v1
; %bb.194:
	s_or_b64 exec, exec, s[4:5]
.LBB315_195:
	s_branch .LBB315_13
.LBB315_196:
	s_mov_b64 s[4:5], 0
	s_mov_b64 s[22:23], 0
	s_branch .LBB315_465
.LBB315_197:
	s_mov_b64 s[22:23], -1
.LBB315_198:
	s_mov_b64 s[2:3], 0
                                        ; implicit-def: $vgpr4
.LBB315_199:
	s_and_b64 vcc, exec, s[4:5]
	s_cbranch_vccz .LBB315_315
; %bb.200:
	s_cmp_eq_u32 s29, 44
	s_cbranch_scc0 .LBB315_314
; %bb.201:
	global_load_ubyte v4, v[0:1], off
	s_mov_b64 s[2:3], -1
	s_mov_b64 s[22:23], 0
	s_branch .LBB315_315
.LBB315_202:
	s_mov_b64 s[28:29], -1
	s_mov_b64 s[4:5], 0
	s_mov_b64 s[20:21], 0
.LBB315_203:
	s_and_b64 vcc, exec, s[28:29]
	s_cbranch_vccz .LBB315_208
; %bb.204:
	s_cmp_eq_u32 s37, 44
	s_mov_b64 s[4:5], -1
	s_cbranch_scc0 .LBB315_208
; %bb.205:
	v_cndmask_b32_e64 v4, 0, 1.0, s[2:3]
	v_lshrrev_b32_e32 v3, 23, v4
	s_movk_i32 s4, 0xff
	v_cmp_ne_u32_e32 vcc, s4, v3
	v_mov_b32_e32 v5, 0xff
	s_and_saveexec_b64 s[20:21], vcc
; %bb.206:
	s_mov_b32 s4, 0x3fffff
	v_and_b32_e32 v5, 0x400000, v4
	v_and_or_b32 v4, v4, s4, v3
	v_cmp_ne_u32_e32 vcc, 0, v5
	v_cmp_ne_u32_e64 s[4:5], 0, v4
	s_and_b64 s[4:5], vcc, s[4:5]
	v_cndmask_b32_e64 v4, 0, 1, s[4:5]
	v_add_u32_e32 v5, v3, v4
; %bb.207:
	s_or_b64 exec, exec, s[20:21]
	s_mov_b64 s[20:21], -1
	s_mov_b64 s[4:5], 0
	global_store_byte v[0:1], v5, off
.LBB315_208:
	s_mov_b64 s[28:29], 0
.LBB315_209:
	s_and_b64 vcc, exec, s[28:29]
	s_cbranch_vccz .LBB315_212
; %bb.210:
	s_cmp_eq_u32 s37, 29
	s_mov_b64 s[4:5], -1
	s_cbranch_scc0 .LBB315_212
; %bb.211:
	s_mov_b32 s4, 0
	v_cndmask_b32_e64 v3, 0, 1, s[2:3]
	v_mov_b32_e32 v4, s4
	global_store_dwordx2 v[0:1], v[3:4], off
	s_mov_b64 s[20:21], -1
	s_mov_b64 s[4:5], 0
.LBB315_212:
	s_mov_b64 s[28:29], 0
.LBB315_213:
	s_and_b64 vcc, exec, s[28:29]
	s_cbranch_vccz .LBB315_229
; %bb.214:
	s_cmp_lt_i32 s37, 27
	s_mov_b64 s[20:21], -1
	s_cbranch_scc1 .LBB315_220
; %bb.215:
	s_cmp_gt_i32 s37, 27
	s_cbranch_scc0 .LBB315_217
; %bb.216:
	v_cndmask_b32_e64 v3, 0, 1, s[2:3]
	s_mov_b64 s[20:21], 0
	global_store_dword v[0:1], v3, off
.LBB315_217:
	s_andn2_b64 vcc, exec, s[20:21]
	s_cbranch_vccnz .LBB315_219
; %bb.218:
	v_cndmask_b32_e64 v3, 0, 1, s[2:3]
	global_store_short v[0:1], v3, off
.LBB315_219:
	s_mov_b64 s[20:21], 0
.LBB315_220:
	s_andn2_b64 vcc, exec, s[20:21]
	s_cbranch_vccnz .LBB315_228
; %bb.221:
	v_cndmask_b32_e64 v4, 0, 1.0, s[2:3]
	s_mov_b32 s20, 0x43800000
	v_cmp_gt_u32_e32 vcc, s20, v4
	v_mov_b32_e32 v5, 0x80
	s_and_saveexec_b64 s[20:21], vcc
	s_cbranch_execz .LBB315_227
; %bb.222:
	s_mov_b32 s28, 0x3bffffff
	v_cmp_lt_u32_e32 vcc, s28, v4
	s_mov_b64 s[28:29], 0
                                        ; implicit-def: $vgpr3
	s_and_saveexec_b64 s[34:35], vcc
	s_xor_b64 s[34:35], exec, s[34:35]
	s_cbranch_execz .LBB315_502
; %bb.223:
	v_bfe_u32 v3, v4, 20, 1
	s_mov_b32 s38, 0x487ffff
	v_add3_u32 v3, v4, v3, s38
	s_mov_b64 s[28:29], exec
	v_lshrrev_b32_e32 v3, 20, v3
                                        ; implicit-def: $vgpr4
	s_andn2_saveexec_b64 s[34:35], s[34:35]
	s_cbranch_execnz .LBB315_503
.LBB315_224:
	s_or_b64 exec, exec, s[34:35]
	v_mov_b32_e32 v5, 0
	s_and_saveexec_b64 s[34:35], s[28:29]
.LBB315_225:
	v_mov_b32_e32 v5, v3
.LBB315_226:
	s_or_b64 exec, exec, s[34:35]
.LBB315_227:
	s_or_b64 exec, exec, s[20:21]
	global_store_byte v[0:1], v5, off
.LBB315_228:
	s_mov_b64 s[20:21], -1
.LBB315_229:
	s_mov_b64 s[28:29], 0
.LBB315_230:
	s_and_b64 vcc, exec, s[28:29]
	s_cbranch_vccz .LBB315_271
; %bb.231:
	s_cmp_gt_i32 s37, 22
	s_mov_b64 s[28:29], -1
	s_cbranch_scc0 .LBB315_263
; %bb.232:
	s_cmp_lt_i32 s37, 24
	s_mov_b64 s[20:21], -1
	s_cbranch_scc1 .LBB315_252
; %bb.233:
	s_cmp_gt_i32 s37, 24
	s_cbranch_scc0 .LBB315_241
; %bb.234:
	v_cndmask_b32_e64 v4, 0, 1.0, s[2:3]
	s_mov_b32 s20, 0x47800000
	v_cmp_gt_u32_e32 vcc, s20, v4
	v_mov_b32_e32 v5, 0x80
	s_and_saveexec_b64 s[20:21], vcc
	s_cbranch_execz .LBB315_240
; %bb.235:
	s_mov_b32 s28, 0x37ffffff
	v_cmp_lt_u32_e32 vcc, s28, v4
	s_mov_b64 s[28:29], 0
                                        ; implicit-def: $vgpr3
	s_and_saveexec_b64 s[34:35], vcc
	s_xor_b64 s[34:35], exec, s[34:35]
	s_cbranch_execz .LBB315_661
; %bb.236:
	v_bfe_u32 v3, v4, 21, 1
	s_mov_b32 s38, 0x88fffff
	v_add3_u32 v3, v4, v3, s38
	s_mov_b64 s[28:29], exec
	v_lshrrev_b32_e32 v3, 21, v3
                                        ; implicit-def: $vgpr4
	s_andn2_saveexec_b64 s[34:35], s[34:35]
	s_cbranch_execnz .LBB315_662
.LBB315_237:
	s_or_b64 exec, exec, s[34:35]
	v_mov_b32_e32 v5, 0
	s_and_saveexec_b64 s[34:35], s[28:29]
.LBB315_238:
	v_mov_b32_e32 v5, v3
.LBB315_239:
	s_or_b64 exec, exec, s[34:35]
.LBB315_240:
	s_or_b64 exec, exec, s[20:21]
	s_mov_b64 s[20:21], 0
	global_store_byte v[0:1], v5, off
.LBB315_241:
	s_and_b64 vcc, exec, s[20:21]
	s_cbranch_vccz .LBB315_251
; %bb.242:
	v_cndmask_b32_e64 v3, 0, 1.0, s[2:3]
	s_mov_b32 s20, 0x43f00000
	v_cmp_gt_u32_e32 vcc, s20, v3
                                        ; implicit-def: $vgpr4
	s_and_saveexec_b64 s[20:21], vcc
	s_xor_b64 s[20:21], exec, s[20:21]
	s_cbranch_execz .LBB315_248
; %bb.243:
	s_mov_b32 s28, 0x3c7fffff
	v_cmp_lt_u32_e32 vcc, s28, v3
                                        ; implicit-def: $vgpr4
	s_and_saveexec_b64 s[28:29], vcc
	s_xor_b64 s[28:29], exec, s[28:29]
; %bb.244:
	v_bfe_u32 v4, v3, 20, 1
	s_mov_b32 s34, 0x407ffff
	v_add3_u32 v3, v3, v4, s34
	v_lshrrev_b32_e32 v4, 20, v3
	v_and_b32_e32 v3, 0xff00000, v3
	s_mov_b32 s34, 0x7f00000
	v_mov_b32_e32 v5, 0x7e
	v_cmp_ne_u32_e32 vcc, s34, v3
	v_cndmask_b32_e32 v4, v5, v4, vcc
                                        ; implicit-def: $vgpr3
; %bb.245:
	s_andn2_saveexec_b64 s[28:29], s[28:29]
; %bb.246:
	v_add_f32_e32 v4, 0x46800000, v3
; %bb.247:
	s_or_b64 exec, exec, s[28:29]
                                        ; implicit-def: $vgpr3
.LBB315_248:
	s_andn2_saveexec_b64 s[20:21], s[20:21]
; %bb.249:
	s_mov_b32 s28, 0x7f800000
	v_mov_b32_e32 v4, 0x7e
	v_mov_b32_e32 v5, 0x7f
	v_cmp_lt_u32_e32 vcc, s28, v3
	v_cndmask_b32_e32 v4, v4, v5, vcc
; %bb.250:
	s_or_b64 exec, exec, s[20:21]
	global_store_byte v[0:1], v4, off
.LBB315_251:
	s_mov_b64 s[20:21], 0
.LBB315_252:
	s_andn2_b64 vcc, exec, s[20:21]
	s_cbranch_vccnz .LBB315_262
; %bb.253:
	v_cndmask_b32_e64 v3, 0, 1.0, s[2:3]
	s_mov_b32 s20, 0x47800000
	v_cmp_gt_u32_e32 vcc, s20, v3
                                        ; implicit-def: $vgpr4
	s_and_saveexec_b64 s[20:21], vcc
	s_xor_b64 s[20:21], exec, s[20:21]
	s_cbranch_execz .LBB315_259
; %bb.254:
	s_mov_b32 s28, 0x387fffff
	v_cmp_lt_u32_e32 vcc, s28, v3
                                        ; implicit-def: $vgpr4
	s_and_saveexec_b64 s[28:29], vcc
	s_xor_b64 s[28:29], exec, s[28:29]
; %bb.255:
	v_bfe_u32 v4, v3, 21, 1
	s_mov_b32 s34, 0x80fffff
	v_add3_u32 v3, v3, v4, s34
	v_lshrrev_b32_e32 v4, 21, v3
                                        ; implicit-def: $vgpr3
; %bb.256:
	s_andn2_saveexec_b64 s[28:29], s[28:29]
; %bb.257:
	v_add_f32_e32 v4, 0x43000000, v3
; %bb.258:
	s_or_b64 exec, exec, s[28:29]
                                        ; implicit-def: $vgpr3
.LBB315_259:
	s_andn2_saveexec_b64 s[20:21], s[20:21]
; %bb.260:
	s_mov_b32 s28, 0x7f800000
	v_mov_b32_e32 v4, 0x7c
	v_mov_b32_e32 v5, 0x7f
	v_cmp_lt_u32_e32 vcc, s28, v3
	v_cndmask_b32_e32 v4, v4, v5, vcc
; %bb.261:
	s_or_b64 exec, exec, s[20:21]
	global_store_byte v[0:1], v4, off
.LBB315_262:
	s_mov_b64 s[28:29], 0
	s_mov_b64 s[20:21], -1
.LBB315_263:
	s_andn2_b64 vcc, exec, s[28:29]
	s_cbranch_vccnz .LBB315_271
; %bb.264:
	s_cmp_gt_i32 s37, 14
	s_mov_b64 s[28:29], -1
	s_cbranch_scc0 .LBB315_268
; %bb.265:
	s_cmp_eq_u32 s37, 15
	s_mov_b64 s[4:5], -1
	s_cbranch_scc0 .LBB315_267
; %bb.266:
	v_cndmask_b32_e64 v3, 0, 1.0, s[2:3]
	v_bfe_u32 v4, v3, 16, 1
	s_movk_i32 s4, 0x7fff
	v_add3_u32 v3, v3, v4, s4
	global_store_short_d16_hi v[0:1], v3, off
	s_mov_b64 s[20:21], -1
	s_mov_b64 s[4:5], 0
.LBB315_267:
	s_mov_b64 s[28:29], 0
.LBB315_268:
	s_and_b64 vcc, exec, s[28:29]
	s_cbranch_vccz .LBB315_271
; %bb.269:
	s_cmp_eq_u32 s37, 11
	s_mov_b64 s[4:5], -1
	s_cbranch_scc0 .LBB315_271
; %bb.270:
	v_cndmask_b32_e64 v3, 0, 1, s[2:3]
	s_mov_b64 s[20:21], -1
	s_mov_b64 s[4:5], 0
	global_store_byte v[0:1], v3, off
.LBB315_271:
	s_mov_b64 s[28:29], 0
.LBB315_272:
	s_and_b64 vcc, exec, s[28:29]
	s_cbranch_vccz .LBB315_311
; %bb.273:
	s_and_b32 s28, 0xffff, s36
	s_cmp_lt_i32 s28, 5
	s_mov_b64 s[20:21], -1
	s_cbranch_scc1 .LBB315_294
; %bb.274:
	s_cmp_lt_i32 s28, 8
	s_cbranch_scc1 .LBB315_284
; %bb.275:
	s_cmp_lt_i32 s28, 9
	s_cbranch_scc1 .LBB315_281
; %bb.276:
	s_cmp_gt_i32 s28, 9
	s_cbranch_scc0 .LBB315_278
; %bb.277:
	v_cndmask_b32_e64 v3, 0, 1, s[2:3]
	v_cvt_f64_u32_e32 v[3:4], v3
	v_mov_b32_e32 v5, 0
	v_mov_b32_e32 v6, v5
	s_mov_b64 s[20:21], 0
	global_store_dwordx4 v[0:1], v[3:6], off
.LBB315_278:
	s_andn2_b64 vcc, exec, s[20:21]
	s_cbranch_vccnz .LBB315_280
; %bb.279:
	v_cndmask_b32_e64 v3, 0, 1.0, s[2:3]
	v_mov_b32_e32 v4, 0
	global_store_dwordx2 v[0:1], v[3:4], off
.LBB315_280:
	s_mov_b64 s[20:21], 0
.LBB315_281:
	s_andn2_b64 vcc, exec, s[20:21]
	s_cbranch_vccnz .LBB315_283
; %bb.282:
	v_cndmask_b32_e64 v3, 0, 1.0, s[2:3]
	v_cvt_f16_f32_e32 v3, v3
	global_store_dword v[0:1], v3, off
.LBB315_283:
	s_mov_b64 s[20:21], 0
.LBB315_284:
	s_andn2_b64 vcc, exec, s[20:21]
	s_cbranch_vccnz .LBB315_293
; %bb.285:
	s_cmp_lt_i32 s28, 6
	s_mov_b64 s[20:21], -1
	s_cbranch_scc1 .LBB315_291
; %bb.286:
	s_cmp_gt_i32 s28, 6
	s_cbranch_scc0 .LBB315_288
; %bb.287:
	v_cndmask_b32_e64 v3, 0, 1, s[2:3]
	v_cvt_f64_u32_e32 v[3:4], v3
	s_mov_b64 s[20:21], 0
	global_store_dwordx2 v[0:1], v[3:4], off
.LBB315_288:
	s_andn2_b64 vcc, exec, s[20:21]
	s_cbranch_vccnz .LBB315_290
; %bb.289:
	v_cndmask_b32_e64 v3, 0, 1.0, s[2:3]
	global_store_dword v[0:1], v3, off
.LBB315_290:
	s_mov_b64 s[20:21], 0
.LBB315_291:
	s_andn2_b64 vcc, exec, s[20:21]
	s_cbranch_vccnz .LBB315_293
; %bb.292:
	v_cndmask_b32_e64 v3, 0, 1.0, s[2:3]
	v_cvt_f16_f32_e32 v3, v3
	global_store_short v[0:1], v3, off
.LBB315_293:
	s_mov_b64 s[20:21], 0
.LBB315_294:
	s_andn2_b64 vcc, exec, s[20:21]
	s_cbranch_vccnz .LBB315_310
; %bb.295:
	s_cmp_lt_i32 s28, 2
	s_mov_b64 s[20:21], -1
	s_cbranch_scc1 .LBB315_305
; %bb.296:
	s_cmp_lt_i32 s28, 3
	s_cbranch_scc1 .LBB315_302
; %bb.297:
	s_cmp_gt_i32 s28, 3
	s_cbranch_scc0 .LBB315_299
; %bb.298:
	s_mov_b32 s20, 0
	v_cndmask_b32_e64 v3, 0, 1, s[2:3]
	v_mov_b32_e32 v4, s20
	global_store_dwordx2 v[0:1], v[3:4], off
	s_mov_b64 s[20:21], 0
.LBB315_299:
	s_andn2_b64 vcc, exec, s[20:21]
	s_cbranch_vccnz .LBB315_301
; %bb.300:
	v_cndmask_b32_e64 v3, 0, 1, s[2:3]
	global_store_dword v[0:1], v3, off
.LBB315_301:
	s_mov_b64 s[20:21], 0
.LBB315_302:
	s_andn2_b64 vcc, exec, s[20:21]
	s_cbranch_vccnz .LBB315_304
; %bb.303:
	v_cndmask_b32_e64 v3, 0, 1, s[2:3]
	global_store_short v[0:1], v3, off
.LBB315_304:
	s_mov_b64 s[20:21], 0
.LBB315_305:
	s_andn2_b64 vcc, exec, s[20:21]
	s_cbranch_vccnz .LBB315_310
; %bb.306:
	s_mov_b64 s[20:21], -1
	s_cmp_gt_i32 s28, 0
	v_cndmask_b32_e64 v3, 0, 1, s[2:3]
	s_cbranch_scc0 .LBB315_308
; %bb.307:
	global_store_byte v[0:1], v3, off
	s_mov_b64 s[20:21], 0
.LBB315_308:
	s_andn2_b64 vcc, exec, s[20:21]
	s_cbranch_vccnz .LBB315_310
; %bb.309:
	global_store_byte v[0:1], v3, off
.LBB315_310:
	s_mov_b64 s[20:21], -1
.LBB315_311:
	s_andn2_b64 vcc, exec, s[20:21]
	s_cbranch_vccnz .LBB315_313
; %bb.312:
	v_add_u32_e32 v2, 0x80, v2
	s_mov_b64 s[2:3], -1
	s_branch .LBB315_466
.LBB315_313:
	s_mov_b64 s[2:3], 0
                                        ; implicit-def: $vgpr2
	s_branch .LBB315_466
.LBB315_314:
	s_mov_b64 s[22:23], -1
                                        ; implicit-def: $vgpr4
.LBB315_315:
	s_mov_b64 s[4:5], 0
.LBB315_316:
	s_and_b64 vcc, exec, s[4:5]
	s_cbranch_vccz .LBB315_322
; %bb.317:
	s_cmp_eq_u32 s29, 29
	s_cbranch_scc0 .LBB315_321
; %bb.318:
	global_load_dwordx2 v[4:5], v[0:1], off
	s_movk_i32 s2, 0xff
	s_waitcnt vmcnt(0)
	v_ffbh_u32_e32 v6, v5
	v_min_u32_e32 v6, 32, v6
	v_lshlrev_b64 v[4:5], v6, v[4:5]
	v_min_u32_e32 v4, 1, v4
	v_or_b32_e32 v4, v5, v4
	v_cvt_f32_u32_e32 v4, v4
	v_sub_u32_e32 v5, 32, v6
	v_ldexp_f32 v6, v4, v5
	v_lshrrev_b32_e32 v5, 23, v6
	v_cmp_ne_u32_e32 vcc, s2, v5
	v_mov_b32_e32 v4, 0xff
	s_and_saveexec_b64 s[4:5], vcc
; %bb.319:
	v_and_b32_e32 v4, 0x400000, v6
	s_mov_b32 s2, 0x3fffff
	v_cmp_ne_u32_e32 vcc, 0, v4
	v_and_or_b32 v4, v6, s2, v5
	v_cmp_ne_u32_e64 s[2:3], 0, v4
	s_and_b64 s[2:3], vcc, s[2:3]
	v_cndmask_b32_e64 v4, 0, 1, s[2:3]
	v_add_u32_e32 v4, v5, v4
; %bb.320:
	s_or_b64 exec, exec, s[4:5]
	s_mov_b64 s[2:3], -1
	s_mov_b64 s[22:23], 0
	s_branch .LBB315_322
.LBB315_321:
	s_mov_b64 s[22:23], -1
                                        ; implicit-def: $vgpr4
.LBB315_322:
	s_mov_b64 s[4:5], 0
.LBB315_323:
	s_and_b64 vcc, exec, s[4:5]
	s_cbranch_vccz .LBB315_347
; %bb.324:
	s_cmp_lt_i32 s29, 27
	s_cbranch_scc1 .LBB315_329
; %bb.325:
	s_cmp_gt_i32 s29, 27
	s_cbranch_scc0 .LBB315_330
; %bb.326:
	global_load_dword v4, v[0:1], off
	s_movk_i32 s2, 0xff
	s_waitcnt vmcnt(0)
	v_cvt_f32_u32_e32 v6, v4
	v_mov_b32_e32 v4, 0xff
	v_lshrrev_b32_e32 v5, 23, v6
	v_cmp_ne_u32_e32 vcc, s2, v5
	s_and_saveexec_b64 s[4:5], vcc
; %bb.327:
	v_and_b32_e32 v4, 0x400000, v6
	s_mov_b32 s2, 0x3fffff
	v_cmp_ne_u32_e32 vcc, 0, v4
	v_and_or_b32 v4, v6, s2, v5
	v_cmp_ne_u32_e64 s[2:3], 0, v4
	s_and_b64 s[2:3], vcc, s[2:3]
	v_cndmask_b32_e64 v4, 0, 1, s[2:3]
	v_add_u32_e32 v4, v5, v4
; %bb.328:
	s_or_b64 exec, exec, s[4:5]
	s_mov_b64 s[2:3], 0
	s_branch .LBB315_331
.LBB315_329:
	s_mov_b64 s[2:3], -1
                                        ; implicit-def: $vgpr4
	s_branch .LBB315_336
.LBB315_330:
	s_mov_b64 s[2:3], -1
                                        ; implicit-def: $vgpr4
.LBB315_331:
	s_andn2_b64 vcc, exec, s[2:3]
	s_cbranch_vccnz .LBB315_335
; %bb.332:
	global_load_ushort v4, v[0:1], off
	s_movk_i32 s2, 0xff
	s_waitcnt vmcnt(0)
	v_cvt_f32_u32_e32 v6, v4
	v_mov_b32_e32 v4, 0xff
	v_lshrrev_b32_e32 v5, 23, v6
	v_cmp_ne_u32_e32 vcc, s2, v5
	s_and_saveexec_b64 s[4:5], vcc
; %bb.333:
	v_and_b32_e32 v4, 0x400000, v6
	s_mov_b32 s2, 0x3fffff
	v_cmp_ne_u32_e32 vcc, 0, v4
	v_and_or_b32 v4, v6, s2, v5
	v_cmp_ne_u32_e64 s[2:3], 0, v4
	s_and_b64 s[2:3], vcc, s[2:3]
	v_cndmask_b32_e64 v4, 0, 1, s[2:3]
	v_add_u32_e32 v4, v5, v4
; %bb.334:
	s_or_b64 exec, exec, s[4:5]
.LBB315_335:
	s_mov_b64 s[2:3], 0
.LBB315_336:
	s_andn2_b64 vcc, exec, s[2:3]
	s_cbranch_vccnz .LBB315_346
; %bb.337:
	global_load_ubyte v4, v[0:1], off
	s_movk_i32 s2, 0x7f
	s_waitcnt vmcnt(0)
	v_cmp_lt_i16_e32 vcc, s2, v4
	s_mov_b64 s[2:3], 0
	s_and_saveexec_b64 s[4:5], vcc
	s_xor_b64 s[4:5], exec, s[4:5]
	s_cbranch_execz .LBB315_362
; %bb.338:
	s_movk_i32 s2, 0x80
	v_cmp_eq_u16_e32 vcc, s2, v4
	s_mov_b64 s[2:3], -1
	s_and_saveexec_b64 s[20:21], vcc
; %bb.339:
	s_xor_b64 s[2:3], exec, -1
; %bb.340:
	s_or_b64 exec, exec, s[20:21]
	s_and_b64 s[2:3], s[2:3], exec
	s_or_saveexec_b64 s[4:5], s[4:5]
	v_mov_b32_e32 v5, 0x7f800001
	s_xor_b64 exec, exec, s[4:5]
	s_cbranch_execnz .LBB315_363
.LBB315_341:
	s_or_b64 exec, exec, s[4:5]
	s_and_saveexec_b64 s[4:5], s[2:3]
	s_cbranch_execz .LBB315_343
.LBB315_342:
	v_and_b32_e32 v4, 0xffff, v4
	v_and_b32_e32 v5, 7, v4
	v_ffbh_u32_e32 v7, v5
	v_min_u32_e32 v7, 32, v7
	v_subrev_u32_e32 v8, 28, v7
	v_bfe_u32 v6, v4, 3, 4
	v_lshlrev_b32_e32 v4, v8, v4
	v_and_b32_e32 v4, 7, v4
	v_cmp_eq_u32_e32 vcc, 0, v6
	v_sub_u32_e32 v7, 29, v7
	v_cndmask_b32_e32 v4, v5, v4, vcc
	v_cndmask_b32_e32 v6, v6, v7, vcc
	v_lshlrev_b32_e32 v4, 20, v4
	v_lshl_or_b32 v4, v6, 23, v4
	v_add_u32_e32 v5, 0x3b800000, v4
.LBB315_343:
	s_or_b64 exec, exec, s[4:5]
	v_lshrrev_b32_e32 v6, 23, v5
	s_movk_i32 s2, 0xff
	v_cmp_ne_u32_e32 vcc, s2, v6
	v_mov_b32_e32 v4, 0xff
	s_and_saveexec_b64 s[4:5], vcc
; %bb.344:
	v_and_b32_e32 v4, 0x400000, v5
	s_mov_b32 s2, 0x3fffff
	v_cmp_ne_u32_e32 vcc, 0, v4
	v_and_or_b32 v4, v5, s2, v6
	v_cmp_ne_u32_e64 s[2:3], 0, v4
	s_and_b64 s[2:3], vcc, s[2:3]
	v_cndmask_b32_e64 v4, 0, 1, s[2:3]
	v_add_u32_e32 v4, v6, v4
; %bb.345:
	s_or_b64 exec, exec, s[4:5]
.LBB315_346:
	s_mov_b64 s[2:3], -1
.LBB315_347:
	s_mov_b64 s[4:5], 0
.LBB315_348:
	s_and_b64 vcc, exec, s[4:5]
	s_cbranch_vccz .LBB315_393
; %bb.349:
	s_cmp_gt_i32 s29, 22
	s_cbranch_scc0 .LBB315_361
; %bb.350:
	s_cmp_lt_i32 s29, 24
	s_cbranch_scc1 .LBB315_364
; %bb.351:
	s_cmp_gt_i32 s29, 24
	s_cbranch_scc0 .LBB315_365
; %bb.352:
	global_load_ubyte v4, v[0:1], off
	s_movk_i32 s2, 0x7f
	s_waitcnt vmcnt(0)
	v_cmp_lt_i16_e32 vcc, s2, v4
	s_mov_b64 s[2:3], 0
	s_and_saveexec_b64 s[4:5], vcc
	s_xor_b64 s[4:5], exec, s[4:5]
	s_cbranch_execz .LBB315_383
; %bb.353:
	s_movk_i32 s2, 0x80
	v_cmp_eq_u16_e32 vcc, s2, v4
	s_mov_b64 s[2:3], -1
	s_and_saveexec_b64 s[20:21], vcc
; %bb.354:
	s_xor_b64 s[2:3], exec, -1
; %bb.355:
	s_or_b64 exec, exec, s[20:21]
	s_and_b64 s[2:3], s[2:3], exec
	s_or_saveexec_b64 s[4:5], s[4:5]
	v_mov_b32_e32 v5, 0x7f800001
	s_xor_b64 exec, exec, s[4:5]
	s_cbranch_execnz .LBB315_384
.LBB315_356:
	s_or_b64 exec, exec, s[4:5]
	s_and_saveexec_b64 s[4:5], s[2:3]
	s_cbranch_execz .LBB315_358
.LBB315_357:
	v_and_b32_e32 v4, 0xffff, v4
	v_and_b32_e32 v5, 3, v4
	v_ffbh_u32_e32 v7, v5
	v_min_u32_e32 v7, 32, v7
	v_subrev_u32_e32 v8, 29, v7
	v_bfe_u32 v6, v4, 2, 5
	v_lshlrev_b32_e32 v4, v8, v4
	v_and_b32_e32 v4, 3, v4
	v_cmp_eq_u32_e32 vcc, 0, v6
	v_sub_u32_e32 v7, 30, v7
	v_cndmask_b32_e32 v4, v5, v4, vcc
	v_cndmask_b32_e32 v6, v6, v7, vcc
	v_lshlrev_b32_e32 v4, 21, v4
	v_lshl_or_b32 v4, v6, 23, v4
	v_add_u32_e32 v5, 0x37800000, v4
.LBB315_358:
	s_or_b64 exec, exec, s[4:5]
	v_lshrrev_b32_e32 v6, 23, v5
	s_movk_i32 s2, 0xff
	v_cmp_ne_u32_e32 vcc, s2, v6
	v_mov_b32_e32 v4, 0xff
	s_and_saveexec_b64 s[4:5], vcc
; %bb.359:
	v_and_b32_e32 v4, 0x400000, v5
	s_mov_b32 s2, 0x3fffff
	v_cmp_ne_u32_e32 vcc, 0, v4
	v_and_or_b32 v4, v5, s2, v6
	v_cmp_ne_u32_e64 s[2:3], 0, v4
	s_and_b64 s[2:3], vcc, s[2:3]
	v_cndmask_b32_e64 v4, 0, 1, s[2:3]
	v_add_u32_e32 v4, v6, v4
; %bb.360:
	s_or_b64 exec, exec, s[4:5]
	s_mov_b64 s[2:3], 0
	s_branch .LBB315_366
.LBB315_361:
	s_mov_b64 s[4:5], -1
                                        ; implicit-def: $vgpr4
	s_branch .LBB315_376
.LBB315_362:
	s_or_saveexec_b64 s[4:5], s[4:5]
	v_mov_b32_e32 v5, 0x7f800001
	s_xor_b64 exec, exec, s[4:5]
	s_cbranch_execz .LBB315_341
.LBB315_363:
	v_cmp_ne_u16_e32 vcc, 0, v4
	s_andn2_b64 s[2:3], s[2:3], exec
	s_and_b64 s[20:21], vcc, exec
	v_and_b32_e32 v5, 0xffff, v4
	s_or_b64 s[2:3], s[2:3], s[20:21]
	s_or_b64 exec, exec, s[4:5]
	s_and_saveexec_b64 s[4:5], s[2:3]
	s_cbranch_execnz .LBB315_342
	s_branch .LBB315_343
.LBB315_364:
	s_mov_b64 s[2:3], -1
                                        ; implicit-def: $vgpr4
	s_branch .LBB315_371
.LBB315_365:
	s_mov_b64 s[2:3], -1
                                        ; implicit-def: $vgpr4
.LBB315_366:
	s_and_b64 vcc, exec, s[2:3]
	s_cbranch_vccz .LBB315_370
; %bb.367:
	global_load_ubyte v4, v[0:1], off
	s_mov_b32 s2, 0x7f800000
	s_movk_i32 s3, 0xff
	s_waitcnt vmcnt(0)
	v_lshlrev_b32_e32 v4, 24, v4
	v_and_b32_e32 v4, 0x7f000000, v4
	v_ffbh_u32_e32 v5, v4
	v_min_u32_e32 v5, 32, v5
	v_sub_u32_e64 v5, v5, 4 clamp
	v_lshlrev_b32_e32 v7, v5, v4
	v_lshlrev_b32_e32 v5, 23, v5
	v_lshrrev_b32_e32 v7, 4, v7
	v_add_u32_e32 v6, 0x1000000, v4
	v_sub_u32_e32 v5, v7, v5
	v_ashrrev_i32_e32 v6, 8, v6
	v_add_u32_e32 v5, 0x3c000000, v5
	v_and_or_b32 v5, v6, s2, v5
	v_cmp_ne_u32_e32 vcc, 0, v4
	v_cndmask_b32_e32 v6, 0, v5, vcc
	v_lshrrev_b32_e32 v5, 23, v6
	v_cmp_ne_u32_e32 vcc, s3, v5
	v_mov_b32_e32 v4, 0xff
	s_and_saveexec_b64 s[4:5], vcc
; %bb.368:
	v_and_b32_e32 v4, 0x400000, v6
	s_mov_b32 s2, 0x3fffff
	v_cmp_ne_u32_e32 vcc, 0, v4
	v_and_or_b32 v4, v6, s2, v5
	v_cmp_ne_u32_e64 s[2:3], 0, v4
	s_and_b64 s[2:3], vcc, s[2:3]
	v_cndmask_b32_e64 v4, 0, 1, s[2:3]
	v_add_u32_e32 v4, v5, v4
; %bb.369:
	s_or_b64 exec, exec, s[4:5]
.LBB315_370:
	s_mov_b64 s[2:3], 0
.LBB315_371:
	s_andn2_b64 vcc, exec, s[2:3]
	s_cbranch_vccnz .LBB315_375
; %bb.372:
	global_load_ubyte v4, v[0:1], off
	s_movk_i32 s2, 0x7f00
	s_brev_b32 s3, 16
	s_movk_i32 s4, 0xff
	s_waitcnt vmcnt(0)
	v_lshlrev_b32_e32 v5, 8, v4
	v_lshlrev_b32_e32 v4, 25, v4
	v_lshrrev_b32_e32 v6, 4, v4
	v_and_or_b32 v5, v5, s2, 0.5
	v_or_b32_e32 v6, 0x70000000, v6
	v_add_f32_e32 v5, -0.5, v5
	v_mul_f32_e32 v6, 0x7800000, v6
	v_cmp_gt_u32_e32 vcc, s3, v4
	v_cndmask_b32_e32 v5, v6, v5, vcc
	v_bfe_u32 v6, v5, 23, 8
	v_cmp_ne_u32_e32 vcc, s4, v6
	v_mov_b32_e32 v4, 0xff
	s_and_saveexec_b64 s[4:5], vcc
; %bb.373:
	s_mov_b32 s2, 0x3fffff
	v_lshrrev_b32_e32 v4, 23, v5
	v_and_b32_e32 v7, 0x400000, v5
	v_and_or_b32 v5, v5, s2, v6
	v_cmp_ne_u32_e32 vcc, 0, v7
	v_cmp_ne_u32_e64 s[2:3], 0, v5
	s_and_b64 s[2:3], vcc, s[2:3]
	v_cndmask_b32_e64 v5, 0, 1, s[2:3]
	v_add_u32_e32 v4, v4, v5
; %bb.374:
	s_or_b64 exec, exec, s[4:5]
.LBB315_375:
	s_mov_b64 s[4:5], 0
	s_mov_b64 s[2:3], -1
.LBB315_376:
	s_andn2_b64 vcc, exec, s[4:5]
	s_cbranch_vccnz .LBB315_393
; %bb.377:
	s_cmp_gt_i32 s29, 14
	s_cbranch_scc0 .LBB315_382
; %bb.378:
	s_cmp_eq_u32 s29, 15
	s_cbranch_scc0 .LBB315_385
; %bb.379:
	global_load_ushort v5, v[0:1], off
	s_movk_i32 s2, 0xff
	s_waitcnt vmcnt(1)
	v_mov_b32_e32 v4, 0xff
	s_waitcnt vmcnt(0)
	v_bfe_u32 v6, v5, 7, 8
	v_cmp_ne_u32_e32 vcc, s2, v6
	s_and_saveexec_b64 s[4:5], vcc
	s_cbranch_execz .LBB315_381
; %bb.380:
	v_lshrrev_b32_e32 v4, 7, v5
	v_lshlrev_b32_e32 v7, 16, v5
	v_and_b32_e32 v5, 64, v5
	s_mov_b32 s2, 0x3f0000
	v_cmp_ne_u32_e32 vcc, 0, v5
	v_and_or_b32 v5, v7, s2, v6
	v_cmp_ne_u32_e64 s[2:3], 0, v5
	s_and_b64 s[2:3], vcc, s[2:3]
	v_cndmask_b32_e64 v5, 0, 1, s[2:3]
	v_add_u32_e32 v4, v4, v5
.LBB315_381:
	s_or_b64 exec, exec, s[4:5]
	s_mov_b64 s[2:3], -1
	s_mov_b64 s[22:23], 0
	s_branch .LBB315_386
.LBB315_382:
	s_mov_b64 s[4:5], -1
                                        ; implicit-def: $vgpr4
	s_branch .LBB315_387
.LBB315_383:
	s_or_saveexec_b64 s[4:5], s[4:5]
	v_mov_b32_e32 v5, 0x7f800001
	s_xor_b64 exec, exec, s[4:5]
	s_cbranch_execz .LBB315_356
.LBB315_384:
	v_cmp_ne_u16_e32 vcc, 0, v4
	s_andn2_b64 s[2:3], s[2:3], exec
	s_and_b64 s[20:21], vcc, exec
	v_and_b32_e32 v5, 0xffff, v4
	s_or_b64 s[2:3], s[2:3], s[20:21]
	s_or_b64 exec, exec, s[4:5]
	s_and_saveexec_b64 s[4:5], s[2:3]
	s_cbranch_execnz .LBB315_357
	s_branch .LBB315_358
.LBB315_385:
	s_mov_b64 s[22:23], -1
                                        ; implicit-def: $vgpr4
.LBB315_386:
	s_mov_b64 s[4:5], 0
.LBB315_387:
	s_and_b64 vcc, exec, s[4:5]
	s_cbranch_vccz .LBB315_393
; %bb.388:
	s_cmp_eq_u32 s29, 11
	s_cbranch_scc0 .LBB315_392
; %bb.389:
	global_load_ubyte v4, v[0:1], off
	s_movk_i32 s2, 0xff
	s_waitcnt vmcnt(0)
	v_cmp_ne_u16_e32 vcc, 0, v4
	v_cndmask_b32_e64 v6, 0, 1.0, vcc
	v_lshrrev_b32_e32 v5, 23, v6
	v_cmp_ne_u32_e32 vcc, s2, v5
	v_mov_b32_e32 v4, 0xff
	s_and_saveexec_b64 s[4:5], vcc
; %bb.390:
	v_and_b32_e32 v4, 0x400000, v6
	s_mov_b32 s2, 0x3fffff
	v_cmp_ne_u32_e32 vcc, 0, v4
	v_and_or_b32 v4, v6, s2, v5
	v_cmp_ne_u32_e64 s[2:3], 0, v4
	s_and_b64 s[2:3], vcc, s[2:3]
	v_cndmask_b32_e64 v4, 0, 1, s[2:3]
	v_add_u32_e32 v4, v5, v4
; %bb.391:
	s_or_b64 exec, exec, s[4:5]
	s_mov_b64 s[2:3], -1
	s_mov_b64 s[22:23], 0
	s_branch .LBB315_393
.LBB315_392:
	s_mov_b64 s[22:23], -1
                                        ; implicit-def: $vgpr4
.LBB315_393:
	s_branch .LBB315_24
.LBB315_394:
	s_and_b32 s20, 0xffff, s28
	s_cmp_lt_i32 s20, 5
	s_cbranch_scc1 .LBB315_401
; %bb.395:
	s_cmp_lt_i32 s20, 8
	s_cbranch_scc1 .LBB315_402
; %bb.396:
	s_cmp_lt_i32 s20, 9
	s_cbranch_scc1 .LBB315_403
; %bb.397:
	s_cmp_gt_i32 s20, 9
	s_cbranch_scc0 .LBB315_404
; %bb.398:
	global_load_dwordx2 v[4:5], v[0:1], off
	s_movk_i32 s2, 0xff
	s_waitcnt vmcnt(0)
	v_cvt_f32_f64_e32 v5, v[4:5]
	v_mov_b32_e32 v4, 0xff
	v_bfe_u32 v6, v5, 23, 8
	v_cmp_ne_u32_e32 vcc, s2, v6
	s_and_saveexec_b64 s[4:5], vcc
; %bb.399:
	s_mov_b32 s2, 0x3fffff
	v_lshrrev_b32_e32 v4, 23, v5
	v_and_b32_e32 v7, 0x400000, v5
	v_and_or_b32 v5, v5, s2, v6
	v_cmp_ne_u32_e32 vcc, 0, v7
	v_cmp_ne_u32_e64 s[2:3], 0, v5
	s_and_b64 s[2:3], vcc, s[2:3]
	v_cndmask_b32_e64 v5, 0, 1, s[2:3]
	v_add_u32_e32 v4, v4, v5
; %bb.400:
	s_or_b64 exec, exec, s[4:5]
	s_mov_b64 s[2:3], 0
	s_branch .LBB315_405
.LBB315_401:
	s_mov_b64 s[2:3], -1
                                        ; implicit-def: $vgpr4
	s_branch .LBB315_433
.LBB315_402:
	s_mov_b64 s[2:3], -1
                                        ; implicit-def: $vgpr4
	s_branch .LBB315_415
.LBB315_403:
	s_mov_b64 s[2:3], -1
                                        ; implicit-def: $vgpr4
	s_branch .LBB315_410
.LBB315_404:
	s_mov_b64 s[2:3], -1
                                        ; implicit-def: $vgpr4
.LBB315_405:
	s_andn2_b64 vcc, exec, s[2:3]
	s_cbranch_vccnz .LBB315_409
; %bb.406:
	global_load_dword v5, v[0:1], off
	s_movk_i32 s2, 0xff
	s_waitcnt vmcnt(1)
	v_mov_b32_e32 v4, 0xff
	s_waitcnt vmcnt(0)
	v_bfe_u32 v6, v5, 23, 8
	v_cmp_ne_u32_e32 vcc, s2, v6
	s_and_saveexec_b64 s[4:5], vcc
; %bb.407:
	s_mov_b32 s2, 0x3fffff
	v_lshrrev_b32_e32 v4, 23, v5
	v_and_b32_e32 v7, 0x400000, v5
	v_and_or_b32 v5, v5, s2, v6
	v_cmp_ne_u32_e32 vcc, 0, v7
	v_cmp_ne_u32_e64 s[2:3], 0, v5
	s_and_b64 s[2:3], vcc, s[2:3]
	v_cndmask_b32_e64 v5, 0, 1, s[2:3]
	v_add_u32_e32 v4, v4, v5
; %bb.408:
	s_or_b64 exec, exec, s[4:5]
.LBB315_409:
	s_mov_b64 s[2:3], 0
.LBB315_410:
	s_andn2_b64 vcc, exec, s[2:3]
	s_cbranch_vccnz .LBB315_414
; %bb.411:
	global_load_dword v4, v[0:1], off
	s_movk_i32 s2, 0xff
	s_waitcnt vmcnt(0)
	v_cvt_f32_f16_e32 v5, v4
	v_mov_b32_e32 v4, 0xff
	v_bfe_u32 v6, v5, 23, 8
	v_cmp_ne_u32_e32 vcc, s2, v6
	s_and_saveexec_b64 s[4:5], vcc
; %bb.412:
	s_mov_b32 s2, 0x3fffff
	v_lshrrev_b32_e32 v4, 23, v5
	v_and_b32_e32 v7, 0x400000, v5
	v_and_or_b32 v5, v5, s2, v6
	v_cmp_ne_u32_e32 vcc, 0, v7
	v_cmp_ne_u32_e64 s[2:3], 0, v5
	s_and_b64 s[2:3], vcc, s[2:3]
	v_cndmask_b32_e64 v5, 0, 1, s[2:3]
	v_add_u32_e32 v4, v4, v5
; %bb.413:
	s_or_b64 exec, exec, s[4:5]
.LBB315_414:
	s_mov_b64 s[2:3], 0
.LBB315_415:
	s_andn2_b64 vcc, exec, s[2:3]
	s_cbranch_vccnz .LBB315_432
; %bb.416:
	s_cmp_lt_i32 s20, 6
	s_cbranch_scc1 .LBB315_421
; %bb.417:
	s_cmp_gt_i32 s20, 6
	s_cbranch_scc0 .LBB315_422
; %bb.418:
	global_load_dwordx2 v[4:5], v[0:1], off
	s_movk_i32 s2, 0xff
	s_waitcnt vmcnt(0)
	v_cvt_f32_f64_e32 v5, v[4:5]
	v_mov_b32_e32 v4, 0xff
	v_bfe_u32 v6, v5, 23, 8
	v_cmp_ne_u32_e32 vcc, s2, v6
	s_and_saveexec_b64 s[4:5], vcc
; %bb.419:
	s_mov_b32 s2, 0x3fffff
	v_lshrrev_b32_e32 v4, 23, v5
	v_and_b32_e32 v7, 0x400000, v5
	v_and_or_b32 v5, v5, s2, v6
	v_cmp_ne_u32_e32 vcc, 0, v7
	v_cmp_ne_u32_e64 s[2:3], 0, v5
	s_and_b64 s[2:3], vcc, s[2:3]
	v_cndmask_b32_e64 v5, 0, 1, s[2:3]
	v_add_u32_e32 v4, v4, v5
; %bb.420:
	s_or_b64 exec, exec, s[4:5]
	s_mov_b64 s[2:3], 0
	s_branch .LBB315_423
.LBB315_421:
	s_mov_b64 s[2:3], -1
                                        ; implicit-def: $vgpr4
	s_branch .LBB315_428
.LBB315_422:
	s_mov_b64 s[2:3], -1
                                        ; implicit-def: $vgpr4
.LBB315_423:
	s_andn2_b64 vcc, exec, s[2:3]
	s_cbranch_vccnz .LBB315_427
; %bb.424:
	global_load_dword v5, v[0:1], off
	s_movk_i32 s2, 0xff
	s_waitcnt vmcnt(1)
	v_mov_b32_e32 v4, 0xff
	s_waitcnt vmcnt(0)
	v_bfe_u32 v6, v5, 23, 8
	v_cmp_ne_u32_e32 vcc, s2, v6
	s_and_saveexec_b64 s[4:5], vcc
; %bb.425:
	s_mov_b32 s2, 0x3fffff
	v_lshrrev_b32_e32 v4, 23, v5
	v_and_b32_e32 v7, 0x400000, v5
	v_and_or_b32 v5, v5, s2, v6
	v_cmp_ne_u32_e32 vcc, 0, v7
	v_cmp_ne_u32_e64 s[2:3], 0, v5
	s_and_b64 s[2:3], vcc, s[2:3]
	v_cndmask_b32_e64 v5, 0, 1, s[2:3]
	v_add_u32_e32 v4, v4, v5
; %bb.426:
	s_or_b64 exec, exec, s[4:5]
.LBB315_427:
	s_mov_b64 s[2:3], 0
.LBB315_428:
	s_andn2_b64 vcc, exec, s[2:3]
	s_cbranch_vccnz .LBB315_432
; %bb.429:
	global_load_ushort v4, v[0:1], off
	s_movk_i32 s2, 0xff
	s_waitcnt vmcnt(0)
	v_cvt_f32_f16_e32 v5, v4
	v_mov_b32_e32 v4, 0xff
	v_bfe_u32 v6, v5, 23, 8
	v_cmp_ne_u32_e32 vcc, s2, v6
	s_and_saveexec_b64 s[4:5], vcc
; %bb.430:
	s_mov_b32 s2, 0x3fffff
	v_lshrrev_b32_e32 v4, 23, v5
	v_and_b32_e32 v7, 0x400000, v5
	v_and_or_b32 v5, v5, s2, v6
	v_cmp_ne_u32_e32 vcc, 0, v7
	v_cmp_ne_u32_e64 s[2:3], 0, v5
	s_and_b64 s[2:3], vcc, s[2:3]
	v_cndmask_b32_e64 v5, 0, 1, s[2:3]
	v_add_u32_e32 v4, v4, v5
; %bb.431:
	s_or_b64 exec, exec, s[4:5]
.LBB315_432:
	s_mov_b64 s[2:3], 0
.LBB315_433:
	s_andn2_b64 vcc, exec, s[2:3]
	s_cbranch_vccnz .LBB315_463
; %bb.434:
	s_cmp_lt_i32 s20, 2
	s_cbranch_scc1 .LBB315_440
; %bb.435:
	s_cmp_lt_i32 s20, 3
	s_cbranch_scc1 .LBB315_441
; %bb.436:
	s_cmp_gt_i32 s20, 3
	s_cbranch_scc0 .LBB315_442
; %bb.437:
	global_load_dwordx2 v[4:5], v[0:1], off
	s_movk_i32 s2, 0xff
	s_waitcnt vmcnt(0)
	v_xor_b32_e32 v7, v4, v5
	v_ffbh_i32_e32 v6, v5
	v_ashrrev_i32_e32 v7, 31, v7
	v_add_u32_e32 v6, -1, v6
	v_add_u32_e32 v7, 32, v7
	v_min_u32_e32 v6, v6, v7
	v_lshlrev_b64 v[4:5], v6, v[4:5]
	v_min_u32_e32 v4, 1, v4
	v_or_b32_e32 v4, v5, v4
	v_cvt_f32_i32_e32 v4, v4
	v_sub_u32_e32 v5, 32, v6
	v_ldexp_f32 v5, v4, v5
	v_bfe_u32 v6, v5, 23, 8
	v_cmp_ne_u32_e32 vcc, s2, v6
	v_mov_b32_e32 v4, 0xff
	s_and_saveexec_b64 s[4:5], vcc
; %bb.438:
	s_mov_b32 s2, 0x3fffff
	v_lshrrev_b32_e32 v4, 23, v5
	v_and_b32_e32 v7, 0x400000, v5
	v_and_or_b32 v5, v5, s2, v6
	v_cmp_ne_u32_e32 vcc, 0, v7
	v_cmp_ne_u32_e64 s[2:3], 0, v5
	s_and_b64 s[2:3], vcc, s[2:3]
	v_cndmask_b32_e64 v5, 0, 1, s[2:3]
	v_add_u32_e32 v4, v4, v5
; %bb.439:
	s_or_b64 exec, exec, s[4:5]
	s_mov_b64 s[2:3], 0
	s_branch .LBB315_443
.LBB315_440:
	s_mov_b64 s[2:3], -1
                                        ; implicit-def: $vgpr4
	s_branch .LBB315_453
.LBB315_441:
	s_mov_b64 s[2:3], -1
                                        ; implicit-def: $vgpr4
	s_branch .LBB315_448
.LBB315_442:
	s_mov_b64 s[2:3], -1
                                        ; implicit-def: $vgpr4
.LBB315_443:
	s_andn2_b64 vcc, exec, s[2:3]
	s_cbranch_vccnz .LBB315_447
; %bb.444:
	global_load_dword v4, v[0:1], off
	s_movk_i32 s2, 0xff
	s_waitcnt vmcnt(0)
	v_cvt_f32_i32_e32 v5, v4
	v_mov_b32_e32 v4, 0xff
	v_bfe_u32 v6, v5, 23, 8
	v_cmp_ne_u32_e32 vcc, s2, v6
	s_and_saveexec_b64 s[4:5], vcc
; %bb.445:
	s_mov_b32 s2, 0x3fffff
	v_lshrrev_b32_e32 v4, 23, v5
	v_and_b32_e32 v7, 0x400000, v5
	v_and_or_b32 v5, v5, s2, v6
	v_cmp_ne_u32_e32 vcc, 0, v7
	v_cmp_ne_u32_e64 s[2:3], 0, v5
	s_and_b64 s[2:3], vcc, s[2:3]
	v_cndmask_b32_e64 v5, 0, 1, s[2:3]
	v_add_u32_e32 v4, v4, v5
; %bb.446:
	s_or_b64 exec, exec, s[4:5]
.LBB315_447:
	s_mov_b64 s[2:3], 0
.LBB315_448:
	s_andn2_b64 vcc, exec, s[2:3]
	s_cbranch_vccnz .LBB315_452
; %bb.449:
	global_load_sshort v4, v[0:1], off
	s_movk_i32 s2, 0xff
	s_waitcnt vmcnt(0)
	v_cvt_f32_i32_e32 v5, v4
	v_mov_b32_e32 v4, 0xff
	v_bfe_u32 v6, v5, 23, 8
	v_cmp_ne_u32_e32 vcc, s2, v6
	s_and_saveexec_b64 s[4:5], vcc
; %bb.450:
	s_mov_b32 s2, 0x3fffff
	v_lshrrev_b32_e32 v4, 23, v5
	v_and_b32_e32 v7, 0x400000, v5
	v_and_or_b32 v5, v5, s2, v6
	v_cmp_ne_u32_e32 vcc, 0, v7
	v_cmp_ne_u32_e64 s[2:3], 0, v5
	s_and_b64 s[2:3], vcc, s[2:3]
	v_cndmask_b32_e64 v5, 0, 1, s[2:3]
	v_add_u32_e32 v4, v4, v5
; %bb.451:
	s_or_b64 exec, exec, s[4:5]
.LBB315_452:
	s_mov_b64 s[2:3], 0
.LBB315_453:
	s_andn2_b64 vcc, exec, s[2:3]
	s_cbranch_vccnz .LBB315_463
; %bb.454:
	s_cmp_gt_i32 s20, 0
	s_cbranch_scc0 .LBB315_458
; %bb.455:
	global_load_sbyte v4, v[0:1], off
	s_movk_i32 s2, 0xff
	s_waitcnt vmcnt(0)
	v_cvt_f32_i32_e32 v5, v4
	v_mov_b32_e32 v4, 0xff
	v_bfe_u32 v6, v5, 23, 8
	v_cmp_ne_u32_e32 vcc, s2, v6
	s_and_saveexec_b64 s[4:5], vcc
; %bb.456:
	s_mov_b32 s2, 0x3fffff
	v_lshrrev_b32_e32 v4, 23, v5
	v_and_b32_e32 v7, 0x400000, v5
	v_and_or_b32 v5, v5, s2, v6
	v_cmp_ne_u32_e32 vcc, 0, v7
	v_cmp_ne_u32_e64 s[2:3], 0, v5
	s_and_b64 s[2:3], vcc, s[2:3]
	v_cndmask_b32_e64 v5, 0, 1, s[2:3]
	v_add_u32_e32 v4, v4, v5
; %bb.457:
	s_or_b64 exec, exec, s[4:5]
	s_mov_b64 s[2:3], 0
	s_branch .LBB315_459
.LBB315_458:
	s_mov_b64 s[2:3], -1
                                        ; implicit-def: $vgpr4
.LBB315_459:
	s_andn2_b64 vcc, exec, s[2:3]
	s_cbranch_vccnz .LBB315_463
; %bb.460:
	global_load_ubyte v0, v[0:1], off
	s_movk_i32 s2, 0xff
	s_waitcnt vmcnt(1)
	v_mov_b32_e32 v4, 0xff
	s_waitcnt vmcnt(0)
	v_cvt_f32_ubyte0_e32 v1, v0
	v_lshrrev_b32_e32 v0, 23, v1
	v_cmp_ne_u32_e32 vcc, s2, v0
	s_and_saveexec_b64 s[4:5], vcc
; %bb.461:
	s_mov_b32 s2, 0x3fffff
	v_and_b32_e32 v4, 0x400000, v1
	v_and_or_b32 v1, v1, s2, v0
	v_cmp_ne_u32_e32 vcc, 0, v4
	v_cmp_ne_u32_e64 s[2:3], 0, v1
	s_and_b64 s[2:3], vcc, s[2:3]
	v_cndmask_b32_e64 v1, 0, 1, s[2:3]
	v_add_u32_e32 v4, v0, v1
; %bb.462:
	s_or_b64 exec, exec, s[4:5]
.LBB315_463:
	s_branch .LBB315_25
.LBB315_464:
	s_mov_b64 s[4:5], 0
.LBB315_465:
                                        ; implicit-def: $vgpr2
	s_mov_b64 s[2:3], 0
.LBB315_466:
	s_and_b64 s[20:21], s[4:5], exec
	s_and_b64 s[22:23], s[22:23], exec
	;; [unrolled: 1-line block ×3, first 2 shown]
	s_orn2_b64 s[2:3], s[2:3], exec
.LBB315_467:
	s_or_b64 exec, exec, s[26:27]
	s_mov_b64 s[36:37], 0
	s_mov_b64 s[34:35], 0
                                        ; implicit-def: $sgpr56
                                        ; implicit-def: $vgpr0_vgpr1
                                        ; implicit-def: $vgpr3
	s_and_saveexec_b64 s[26:27], s[2:3]
	s_cbranch_execz .LBB315_478
; %bb.468:
	v_cmp_gt_i32_e32 vcc, s50, v2
	s_mov_b64 s[4:5], -1
	s_mov_b64 s[28:29], s[24:25]
	s_mov_b64 s[30:31], s[22:23]
	;; [unrolled: 1-line block ×3, first 2 shown]
	s_and_saveexec_b64 s[36:37], vcc
	s_cbranch_execz .LBB315_943
; %bb.469:
	v_mul_lo_u32 v0, v2, s13
	v_mov_b32_e32 v1, s11
	s_and_b32 s34, s55, 0xff
	s_cmp_lt_i32 s34, 11
	s_waitcnt vmcnt(0)
	v_ashrrev_i32_e32 v3, 31, v0
	v_add_co_u32_e32 v0, vcc, s10, v0
	v_addc_co_u32_e32 v1, vcc, v1, v3, vcc
	s_cbranch_scc1 .LBB315_483
; %bb.470:
	s_and_b32 s35, 0xffff, s34
	s_cmp_gt_i32 s35, 25
	s_cbranch_scc0 .LBB315_494
; %bb.471:
	s_cmp_gt_i32 s35, 28
	s_cbranch_scc0 .LBB315_496
; %bb.472:
	;; [unrolled: 3-line block ×4, first 2 shown]
	s_cmp_eq_u32 s35, 46
	s_mov_b64 s[4:5], 0
	s_cbranch_scc0 .LBB315_504
; %bb.475:
	global_load_dword v4, v[0:1], off
	s_movk_i32 s2, 0xff
	v_mov_b32_e32 v3, 0xff
	s_waitcnt vmcnt(0)
	v_lshlrev_b32_e32 v5, 16, v4
	v_bfe_u32 v6, v5, 23, 8
	v_cmp_ne_u32_e32 vcc, s2, v6
	s_and_saveexec_b64 s[28:29], vcc
; %bb.476:
	v_bfe_u32 v3, v4, 7, 9
	v_and_b32_e32 v4, 64, v4
	s_mov_b32 s2, 0x3f0000
	v_cmp_ne_u32_e32 vcc, 0, v4
	v_and_or_b32 v4, v5, s2, v6
	v_cmp_ne_u32_e64 s[2:3], 0, v4
	s_and_b64 s[2:3], vcc, s[2:3]
	v_cndmask_b32_e64 v4, 0, 1, s[2:3]
	v_add_u32_e32 v3, v3, v4
; %bb.477:
	s_or_b64 exec, exec, s[28:29]
	s_mov_b64 s[2:3], -1
	s_mov_b64 s[28:29], 0
	s_branch .LBB315_505
.LBB315_478:
	s_or_b64 exec, exec, s[26:27]
	s_mov_b64 s[4:5], 0
	s_and_saveexec_b64 s[2:3], s[24:25]
	s_cbranch_execnz .LBB315_1521
.LBB315_479:
	s_or_b64 exec, exec, s[2:3]
	s_and_saveexec_b64 s[2:3], s[30:31]
	s_xor_b64 s[24:25], exec, s[2:3]
	s_cbranch_execz .LBB315_1522
.LBB315_480:
	global_load_ubyte v3, v[0:1], off
	s_movk_i32 s2, 0xff
	s_waitcnt vmcnt(0)
	v_cmp_ne_u16_e32 vcc, 0, v3
	v_cndmask_b32_e64 v5, 0, 1.0, vcc
	v_lshrrev_b32_e32 v4, 23, v5
	v_cmp_ne_u32_e32 vcc, s2, v4
	v_mov_b32_e32 v3, 0xff
	s_and_saveexec_b64 s[26:27], vcc
; %bb.481:
	v_and_b32_e32 v3, 0x400000, v5
	s_mov_b32 s2, 0x3fffff
	v_cmp_ne_u32_e32 vcc, 0, v3
	v_and_or_b32 v3, v5, s2, v4
	v_cmp_ne_u32_e64 s[2:3], 0, v3
	s_and_b64 s[2:3], vcc, s[2:3]
	v_cndmask_b32_e64 v3, 0, 1, s[2:3]
	v_add_u32_e32 v3, v4, v3
; %bb.482:
	s_or_b64 exec, exec, s[26:27]
	s_or_b64 s[34:35], s[34:35], exec
	s_or_b64 exec, exec, s[24:25]
	s_and_saveexec_b64 s[24:25], s[36:37]
	s_cbranch_execz .LBB315_1590
	s_branch .LBB315_1523
.LBB315_483:
	s_mov_b64 s[2:3], 0
                                        ; implicit-def: $vgpr3
	s_mov_b64 s[28:29], s[24:25]
	s_and_b64 vcc, exec, s[4:5]
	s_cbranch_vccnz .LBB315_589
.LBB315_484:
	s_andn2_b64 vcc, exec, s[2:3]
	s_cbranch_vccnz .LBB315_659
.LBB315_485:
	v_mul_lo_u32 v0, v2, s14
	v_mov_b32_e32 v1, s17
	s_and_b32 s38, s54, 0xff
	s_cmp_lt_i32 s38, 11
	v_ashrrev_i32_e32 v4, 31, v0
	v_add_co_u32_e32 v0, vcc, s16, v0
	v_addc_co_u32_e32 v1, vcc, v1, v4, vcc
	s_cbranch_scc1 .LBB315_495
; %bb.486:
	s_and_b32 s39, 0xffff, s38
	s_cmp_gt_i32 s39, 25
	s_cbranch_scc0 .LBB315_497
; %bb.487:
	s_cmp_gt_i32 s39, 28
	s_cbranch_scc0 .LBB315_499
; %bb.488:
	;; [unrolled: 3-line block ×4, first 2 shown]
	s_cmp_eq_u32 s39, 46
	s_mov_b64 s[4:5], 0
	s_cbranch_scc0 .LBB315_663
; %bb.491:
	global_load_dword v5, v[0:1], off
	s_movk_i32 s2, 0xff
	v_mov_b32_e32 v4, 0xff
	s_waitcnt vmcnt(0)
	v_lshlrev_b32_e32 v6, 16, v5
	v_bfe_u32 v7, v6, 23, 8
	v_cmp_ne_u32_e32 vcc, s2, v7
	s_and_saveexec_b64 s[30:31], vcc
; %bb.492:
	v_bfe_u32 v4, v5, 7, 9
	v_and_b32_e32 v5, 64, v5
	s_mov_b32 s2, 0x3f0000
	v_cmp_ne_u32_e32 vcc, 0, v5
	v_and_or_b32 v5, v6, s2, v7
	v_cmp_ne_u32_e64 s[2:3], 0, v5
	s_and_b64 s[2:3], vcc, s[2:3]
	v_cndmask_b32_e64 v5, 0, 1, s[2:3]
	v_add_u32_e32 v4, v4, v5
; %bb.493:
	s_or_b64 exec, exec, s[30:31]
	s_mov_b64 s[2:3], -1
	s_mov_b64 s[30:31], 0
	s_branch .LBB315_664
.LBB315_494:
	s_mov_b64 s[2:3], 0
	s_mov_b64 s[28:29], s[24:25]
                                        ; implicit-def: $vgpr3
	s_branch .LBB315_543
.LBB315_495:
	s_mov_b64 s[4:5], -1
	s_mov_b64 s[2:3], 0
                                        ; implicit-def: $vgpr4
	s_mov_b64 s[30:31], s[22:23]
	s_branch .LBB315_747
.LBB315_496:
	s_mov_b64 s[2:3], 0
	s_mov_b64 s[28:29], s[24:25]
                                        ; implicit-def: $vgpr3
	s_branch .LBB315_518
.LBB315_497:
	s_mov_b64 s[4:5], -1
	s_mov_b64 s[2:3], 0
	s_mov_b64 s[30:31], s[22:23]
                                        ; implicit-def: $vgpr4
	s_branch .LBB315_701
.LBB315_498:
	s_mov_b64 s[2:3], 0
	s_mov_b64 s[28:29], s[24:25]
                                        ; implicit-def: $vgpr3
	s_branch .LBB315_511
.LBB315_499:
	s_mov_b64 s[4:5], -1
	s_mov_b64 s[2:3], 0
	s_mov_b64 s[30:31], s[22:23]
                                        ; implicit-def: $vgpr4
	s_branch .LBB315_676
.LBB315_500:
	s_mov_b64 s[2:3], 0
	s_mov_b64 s[28:29], s[24:25]
                                        ; implicit-def: $vgpr3
	s_branch .LBB315_505
.LBB315_501:
	s_mov_b64 s[4:5], -1
	s_mov_b64 s[2:3], 0
	s_mov_b64 s[30:31], s[22:23]
                                        ; implicit-def: $vgpr4
	s_branch .LBB315_669
.LBB315_502:
	s_andn2_saveexec_b64 s[34:35], s[34:35]
	s_cbranch_execz .LBB315_224
.LBB315_503:
	v_add_f32_e32 v3, 0x46000000, v4
	v_and_b32_e32 v3, 0xff, v3
	v_cmp_ne_u32_e32 vcc, 0, v3
	s_andn2_b64 s[28:29], s[28:29], exec
	s_and_b64 s[38:39], vcc, exec
	s_or_b64 s[28:29], s[28:29], s[38:39]
	s_or_b64 exec, exec, s[34:35]
	v_mov_b32_e32 v5, 0
	s_and_saveexec_b64 s[34:35], s[28:29]
	s_cbranch_execnz .LBB315_225
	s_branch .LBB315_226
.LBB315_504:
	s_mov_b64 s[28:29], -1
                                        ; implicit-def: $vgpr3
	s_mov_b64 s[2:3], 0
.LBB315_505:
	s_and_b64 vcc, exec, s[4:5]
	s_cbranch_vccz .LBB315_510
; %bb.506:
	s_cmp_eq_u32 s35, 44
	s_cbranch_scc0 .LBB315_509
; %bb.507:
	global_load_ubyte v3, v[0:1], off
	s_mov_b64 s[2:3], -1
	s_mov_b64 s[28:29], 0
	s_branch .LBB315_510
.LBB315_508:
	s_mov_b64 s[4:5], -1
	s_mov_b64 s[2:3], 0
	s_mov_b64 s[30:31], s[22:23]
                                        ; implicit-def: $vgpr4
	s_branch .LBB315_664
.LBB315_509:
	s_mov_b64 s[28:29], -1
                                        ; implicit-def: $vgpr3
.LBB315_510:
	s_mov_b64 s[4:5], 0
.LBB315_511:
	s_and_b64 vcc, exec, s[4:5]
	s_cbranch_vccz .LBB315_517
; %bb.512:
	s_cmp_eq_u32 s35, 29
	s_cbranch_scc0 .LBB315_516
; %bb.513:
	global_load_dwordx2 v[3:4], v[0:1], off
	s_movk_i32 s2, 0xff
	s_waitcnt vmcnt(0)
	v_ffbh_u32_e32 v5, v4
	v_min_u32_e32 v5, 32, v5
	v_lshlrev_b64 v[3:4], v5, v[3:4]
	v_min_u32_e32 v3, 1, v3
	v_or_b32_e32 v3, v4, v3
	v_cvt_f32_u32_e32 v3, v3
	v_sub_u32_e32 v4, 32, v5
	v_ldexp_f32 v5, v3, v4
	v_lshrrev_b32_e32 v4, 23, v5
	v_cmp_ne_u32_e32 vcc, s2, v4
	v_mov_b32_e32 v3, 0xff
	s_and_saveexec_b64 s[4:5], vcc
; %bb.514:
	v_and_b32_e32 v3, 0x400000, v5
	s_mov_b32 s2, 0x3fffff
	v_cmp_ne_u32_e32 vcc, 0, v3
	v_and_or_b32 v3, v5, s2, v4
	v_cmp_ne_u32_e64 s[2:3], 0, v3
	s_and_b64 s[2:3], vcc, s[2:3]
	v_cndmask_b32_e64 v3, 0, 1, s[2:3]
	v_add_u32_e32 v3, v4, v3
; %bb.515:
	s_or_b64 exec, exec, s[4:5]
	s_mov_b64 s[2:3], -1
	s_mov_b64 s[28:29], 0
	s_branch .LBB315_517
.LBB315_516:
	s_mov_b64 s[28:29], -1
                                        ; implicit-def: $vgpr3
.LBB315_517:
	s_mov_b64 s[4:5], 0
.LBB315_518:
	s_and_b64 vcc, exec, s[4:5]
	s_cbranch_vccz .LBB315_542
; %bb.519:
	s_cmp_lt_i32 s35, 27
	s_cbranch_scc1 .LBB315_524
; %bb.520:
	s_cmp_gt_i32 s35, 27
	s_cbranch_scc0 .LBB315_525
; %bb.521:
	global_load_dword v3, v[0:1], off
	s_movk_i32 s2, 0xff
	s_waitcnt vmcnt(0)
	v_cvt_f32_u32_e32 v5, v3
	v_mov_b32_e32 v3, 0xff
	v_lshrrev_b32_e32 v4, 23, v5
	v_cmp_ne_u32_e32 vcc, s2, v4
	s_and_saveexec_b64 s[4:5], vcc
; %bb.522:
	v_and_b32_e32 v3, 0x400000, v5
	s_mov_b32 s2, 0x3fffff
	v_cmp_ne_u32_e32 vcc, 0, v3
	v_and_or_b32 v3, v5, s2, v4
	v_cmp_ne_u32_e64 s[2:3], 0, v3
	s_and_b64 s[2:3], vcc, s[2:3]
	v_cndmask_b32_e64 v3, 0, 1, s[2:3]
	v_add_u32_e32 v3, v4, v3
; %bb.523:
	s_or_b64 exec, exec, s[4:5]
	s_mov_b64 s[2:3], 0
	s_branch .LBB315_526
.LBB315_524:
	s_mov_b64 s[2:3], -1
                                        ; implicit-def: $vgpr3
	s_branch .LBB315_531
.LBB315_525:
	s_mov_b64 s[2:3], -1
                                        ; implicit-def: $vgpr3
.LBB315_526:
	s_andn2_b64 vcc, exec, s[2:3]
	s_cbranch_vccnz .LBB315_530
; %bb.527:
	global_load_ushort v3, v[0:1], off
	s_movk_i32 s2, 0xff
	s_waitcnt vmcnt(0)
	v_cvt_f32_u32_e32 v5, v3
	v_mov_b32_e32 v3, 0xff
	v_lshrrev_b32_e32 v4, 23, v5
	v_cmp_ne_u32_e32 vcc, s2, v4
	s_and_saveexec_b64 s[4:5], vcc
; %bb.528:
	v_and_b32_e32 v3, 0x400000, v5
	s_mov_b32 s2, 0x3fffff
	v_cmp_ne_u32_e32 vcc, 0, v3
	v_and_or_b32 v3, v5, s2, v4
	v_cmp_ne_u32_e64 s[2:3], 0, v3
	s_and_b64 s[2:3], vcc, s[2:3]
	v_cndmask_b32_e64 v3, 0, 1, s[2:3]
	v_add_u32_e32 v3, v4, v3
; %bb.529:
	s_or_b64 exec, exec, s[4:5]
.LBB315_530:
	s_mov_b64 s[2:3], 0
.LBB315_531:
	s_andn2_b64 vcc, exec, s[2:3]
	s_cbranch_vccnz .LBB315_541
; %bb.532:
	global_load_ubyte v3, v[0:1], off
	s_movk_i32 s2, 0x7f
	s_waitcnt vmcnt(0)
	v_cmp_lt_i16_e32 vcc, s2, v3
	s_mov_b64 s[2:3], 0
	s_and_saveexec_b64 s[4:5], vcc
	s_xor_b64 s[4:5], exec, s[4:5]
	s_cbranch_execz .LBB315_557
; %bb.533:
	s_movk_i32 s2, 0x80
	v_cmp_eq_u16_e32 vcc, s2, v3
	s_mov_b64 s[2:3], -1
	s_and_saveexec_b64 s[30:31], vcc
; %bb.534:
	s_xor_b64 s[2:3], exec, -1
; %bb.535:
	s_or_b64 exec, exec, s[30:31]
	s_and_b64 s[2:3], s[2:3], exec
	s_or_saveexec_b64 s[4:5], s[4:5]
	v_mov_b32_e32 v4, 0x7f800001
	s_xor_b64 exec, exec, s[4:5]
	s_cbranch_execnz .LBB315_558
.LBB315_536:
	s_or_b64 exec, exec, s[4:5]
	s_and_saveexec_b64 s[4:5], s[2:3]
	s_cbranch_execz .LBB315_538
.LBB315_537:
	v_and_b32_e32 v3, 0xffff, v3
	v_and_b32_e32 v4, 7, v3
	v_ffbh_u32_e32 v6, v4
	v_min_u32_e32 v6, 32, v6
	v_subrev_u32_e32 v7, 28, v6
	v_bfe_u32 v5, v3, 3, 4
	v_lshlrev_b32_e32 v3, v7, v3
	v_and_b32_e32 v3, 7, v3
	v_cmp_eq_u32_e32 vcc, 0, v5
	v_sub_u32_e32 v6, 29, v6
	v_cndmask_b32_e32 v3, v4, v3, vcc
	v_cndmask_b32_e32 v5, v5, v6, vcc
	v_lshlrev_b32_e32 v3, 20, v3
	v_lshl_or_b32 v3, v5, 23, v3
	v_add_u32_e32 v4, 0x3b800000, v3
.LBB315_538:
	s_or_b64 exec, exec, s[4:5]
	v_lshrrev_b32_e32 v5, 23, v4
	s_movk_i32 s2, 0xff
	v_cmp_ne_u32_e32 vcc, s2, v5
	v_mov_b32_e32 v3, 0xff
	s_and_saveexec_b64 s[4:5], vcc
; %bb.539:
	v_and_b32_e32 v3, 0x400000, v4
	s_mov_b32 s2, 0x3fffff
	v_cmp_ne_u32_e32 vcc, 0, v3
	v_and_or_b32 v3, v4, s2, v5
	v_cmp_ne_u32_e64 s[2:3], 0, v3
	s_and_b64 s[2:3], vcc, s[2:3]
	v_cndmask_b32_e64 v3, 0, 1, s[2:3]
	v_add_u32_e32 v3, v5, v3
; %bb.540:
	s_or_b64 exec, exec, s[4:5]
.LBB315_541:
	s_mov_b64 s[2:3], -1
.LBB315_542:
	s_mov_b64 s[4:5], 0
.LBB315_543:
	s_and_b64 vcc, exec, s[4:5]
	s_cbranch_vccz .LBB315_588
; %bb.544:
	s_cmp_gt_i32 s35, 22
	s_cbranch_scc0 .LBB315_556
; %bb.545:
	s_cmp_lt_i32 s35, 24
	s_cbranch_scc1 .LBB315_559
; %bb.546:
	s_cmp_gt_i32 s35, 24
	s_cbranch_scc0 .LBB315_560
; %bb.547:
	global_load_ubyte v3, v[0:1], off
	s_movk_i32 s2, 0x7f
	s_waitcnt vmcnt(0)
	v_cmp_lt_i16_e32 vcc, s2, v3
	s_mov_b64 s[2:3], 0
	s_and_saveexec_b64 s[4:5], vcc
	s_xor_b64 s[4:5], exec, s[4:5]
	s_cbranch_execz .LBB315_578
; %bb.548:
	s_movk_i32 s2, 0x80
	v_cmp_eq_u16_e32 vcc, s2, v3
	s_mov_b64 s[2:3], -1
	s_and_saveexec_b64 s[30:31], vcc
; %bb.549:
	s_xor_b64 s[2:3], exec, -1
; %bb.550:
	s_or_b64 exec, exec, s[30:31]
	s_and_b64 s[2:3], s[2:3], exec
	s_or_saveexec_b64 s[4:5], s[4:5]
	v_mov_b32_e32 v4, 0x7f800001
	s_xor_b64 exec, exec, s[4:5]
	s_cbranch_execnz .LBB315_579
.LBB315_551:
	s_or_b64 exec, exec, s[4:5]
	s_and_saveexec_b64 s[4:5], s[2:3]
	s_cbranch_execz .LBB315_553
.LBB315_552:
	v_and_b32_e32 v3, 0xffff, v3
	v_and_b32_e32 v4, 3, v3
	v_ffbh_u32_e32 v6, v4
	v_min_u32_e32 v6, 32, v6
	v_subrev_u32_e32 v7, 29, v6
	v_bfe_u32 v5, v3, 2, 5
	v_lshlrev_b32_e32 v3, v7, v3
	v_and_b32_e32 v3, 3, v3
	v_cmp_eq_u32_e32 vcc, 0, v5
	v_sub_u32_e32 v6, 30, v6
	v_cndmask_b32_e32 v3, v4, v3, vcc
	v_cndmask_b32_e32 v5, v5, v6, vcc
	v_lshlrev_b32_e32 v3, 21, v3
	v_lshl_or_b32 v3, v5, 23, v3
	v_add_u32_e32 v4, 0x37800000, v3
.LBB315_553:
	s_or_b64 exec, exec, s[4:5]
	v_lshrrev_b32_e32 v5, 23, v4
	s_movk_i32 s2, 0xff
	v_cmp_ne_u32_e32 vcc, s2, v5
	v_mov_b32_e32 v3, 0xff
	s_and_saveexec_b64 s[4:5], vcc
; %bb.554:
	v_and_b32_e32 v3, 0x400000, v4
	s_mov_b32 s2, 0x3fffff
	v_cmp_ne_u32_e32 vcc, 0, v3
	v_and_or_b32 v3, v4, s2, v5
	v_cmp_ne_u32_e64 s[2:3], 0, v3
	s_and_b64 s[2:3], vcc, s[2:3]
	v_cndmask_b32_e64 v3, 0, 1, s[2:3]
	v_add_u32_e32 v3, v5, v3
; %bb.555:
	s_or_b64 exec, exec, s[4:5]
	s_mov_b64 s[2:3], 0
	s_branch .LBB315_561
.LBB315_556:
	s_mov_b64 s[4:5], -1
                                        ; implicit-def: $vgpr3
	s_branch .LBB315_571
.LBB315_557:
	s_or_saveexec_b64 s[4:5], s[4:5]
	v_mov_b32_e32 v4, 0x7f800001
	s_xor_b64 exec, exec, s[4:5]
	s_cbranch_execz .LBB315_536
.LBB315_558:
	v_cmp_ne_u16_e32 vcc, 0, v3
	s_andn2_b64 s[2:3], s[2:3], exec
	s_and_b64 s[30:31], vcc, exec
	v_and_b32_e32 v4, 0xffff, v3
	s_or_b64 s[2:3], s[2:3], s[30:31]
	s_or_b64 exec, exec, s[4:5]
	s_and_saveexec_b64 s[4:5], s[2:3]
	s_cbranch_execnz .LBB315_537
	s_branch .LBB315_538
.LBB315_559:
	s_mov_b64 s[2:3], -1
                                        ; implicit-def: $vgpr3
	s_branch .LBB315_566
.LBB315_560:
	s_mov_b64 s[2:3], -1
                                        ; implicit-def: $vgpr3
.LBB315_561:
	s_and_b64 vcc, exec, s[2:3]
	s_cbranch_vccz .LBB315_565
; %bb.562:
	global_load_ubyte v3, v[0:1], off
	s_mov_b32 s2, 0x7f800000
	s_movk_i32 s3, 0xff
	s_waitcnt vmcnt(0)
	v_lshlrev_b32_e32 v3, 24, v3
	v_and_b32_e32 v3, 0x7f000000, v3
	v_ffbh_u32_e32 v4, v3
	v_min_u32_e32 v4, 32, v4
	v_sub_u32_e64 v4, v4, 4 clamp
	v_lshlrev_b32_e32 v6, v4, v3
	v_lshlrev_b32_e32 v4, 23, v4
	v_lshrrev_b32_e32 v6, 4, v6
	v_add_u32_e32 v5, 0x1000000, v3
	v_sub_u32_e32 v4, v6, v4
	v_ashrrev_i32_e32 v5, 8, v5
	v_add_u32_e32 v4, 0x3c000000, v4
	v_and_or_b32 v4, v5, s2, v4
	v_cmp_ne_u32_e32 vcc, 0, v3
	v_cndmask_b32_e32 v5, 0, v4, vcc
	v_lshrrev_b32_e32 v4, 23, v5
	v_cmp_ne_u32_e32 vcc, s3, v4
	v_mov_b32_e32 v3, 0xff
	s_and_saveexec_b64 s[4:5], vcc
; %bb.563:
	v_and_b32_e32 v3, 0x400000, v5
	s_mov_b32 s2, 0x3fffff
	v_cmp_ne_u32_e32 vcc, 0, v3
	v_and_or_b32 v3, v5, s2, v4
	v_cmp_ne_u32_e64 s[2:3], 0, v3
	s_and_b64 s[2:3], vcc, s[2:3]
	v_cndmask_b32_e64 v3, 0, 1, s[2:3]
	v_add_u32_e32 v3, v4, v3
; %bb.564:
	s_or_b64 exec, exec, s[4:5]
.LBB315_565:
	s_mov_b64 s[2:3], 0
.LBB315_566:
	s_andn2_b64 vcc, exec, s[2:3]
	s_cbranch_vccnz .LBB315_570
; %bb.567:
	global_load_ubyte v3, v[0:1], off
	s_movk_i32 s2, 0x7f00
	s_brev_b32 s3, 16
	s_movk_i32 s4, 0xff
	s_waitcnt vmcnt(0)
	v_lshlrev_b32_e32 v4, 8, v3
	v_lshlrev_b32_e32 v3, 25, v3
	v_lshrrev_b32_e32 v5, 4, v3
	v_and_or_b32 v4, v4, s2, 0.5
	v_or_b32_e32 v5, 0x70000000, v5
	v_add_f32_e32 v4, -0.5, v4
	v_mul_f32_e32 v5, 0x7800000, v5
	v_cmp_gt_u32_e32 vcc, s3, v3
	v_cndmask_b32_e32 v4, v5, v4, vcc
	v_bfe_u32 v5, v4, 23, 8
	v_cmp_ne_u32_e32 vcc, s4, v5
	v_mov_b32_e32 v3, 0xff
	s_and_saveexec_b64 s[4:5], vcc
; %bb.568:
	s_mov_b32 s2, 0x3fffff
	v_lshrrev_b32_e32 v3, 23, v4
	v_and_b32_e32 v6, 0x400000, v4
	v_and_or_b32 v4, v4, s2, v5
	v_cmp_ne_u32_e32 vcc, 0, v6
	v_cmp_ne_u32_e64 s[2:3], 0, v4
	s_and_b64 s[2:3], vcc, s[2:3]
	v_cndmask_b32_e64 v4, 0, 1, s[2:3]
	v_add_u32_e32 v3, v3, v4
; %bb.569:
	s_or_b64 exec, exec, s[4:5]
.LBB315_570:
	s_mov_b64 s[4:5], 0
	s_mov_b64 s[2:3], -1
.LBB315_571:
	s_andn2_b64 vcc, exec, s[4:5]
	s_cbranch_vccnz .LBB315_588
; %bb.572:
	s_cmp_gt_i32 s35, 14
	s_cbranch_scc0 .LBB315_577
; %bb.573:
	s_cmp_eq_u32 s35, 15
	s_cbranch_scc0 .LBB315_580
; %bb.574:
	global_load_ushort v4, v[0:1], off
	s_movk_i32 s2, 0xff
	s_waitcnt vmcnt(1)
	v_mov_b32_e32 v3, 0xff
	s_waitcnt vmcnt(0)
	v_bfe_u32 v5, v4, 7, 8
	v_cmp_ne_u32_e32 vcc, s2, v5
	s_and_saveexec_b64 s[4:5], vcc
	s_cbranch_execz .LBB315_576
; %bb.575:
	v_lshrrev_b32_e32 v3, 7, v4
	v_lshlrev_b32_e32 v6, 16, v4
	v_and_b32_e32 v4, 64, v4
	s_mov_b32 s2, 0x3f0000
	v_cmp_ne_u32_e32 vcc, 0, v4
	v_and_or_b32 v4, v6, s2, v5
	v_cmp_ne_u32_e64 s[2:3], 0, v4
	s_and_b64 s[2:3], vcc, s[2:3]
	v_cndmask_b32_e64 v4, 0, 1, s[2:3]
	v_add_u32_e32 v3, v3, v4
.LBB315_576:
	s_or_b64 exec, exec, s[4:5]
	s_mov_b64 s[2:3], -1
	s_mov_b64 s[28:29], 0
	s_branch .LBB315_581
.LBB315_577:
	s_mov_b64 s[4:5], -1
                                        ; implicit-def: $vgpr3
	s_branch .LBB315_582
.LBB315_578:
	s_or_saveexec_b64 s[4:5], s[4:5]
	v_mov_b32_e32 v4, 0x7f800001
	s_xor_b64 exec, exec, s[4:5]
	s_cbranch_execz .LBB315_551
.LBB315_579:
	v_cmp_ne_u16_e32 vcc, 0, v3
	s_andn2_b64 s[2:3], s[2:3], exec
	s_and_b64 s[30:31], vcc, exec
	v_and_b32_e32 v4, 0xffff, v3
	s_or_b64 s[2:3], s[2:3], s[30:31]
	s_or_b64 exec, exec, s[4:5]
	s_and_saveexec_b64 s[4:5], s[2:3]
	s_cbranch_execnz .LBB315_552
	s_branch .LBB315_553
.LBB315_580:
	s_mov_b64 s[28:29], -1
                                        ; implicit-def: $vgpr3
.LBB315_581:
	s_mov_b64 s[4:5], 0
.LBB315_582:
	s_and_b64 vcc, exec, s[4:5]
	s_cbranch_vccz .LBB315_588
; %bb.583:
	s_cmp_eq_u32 s35, 11
	s_cbranch_scc0 .LBB315_587
; %bb.584:
	global_load_ubyte v3, v[0:1], off
	s_movk_i32 s2, 0xff
	s_waitcnt vmcnt(0)
	v_cmp_ne_u16_e32 vcc, 0, v3
	v_cndmask_b32_e64 v5, 0, 1.0, vcc
	v_lshrrev_b32_e32 v4, 23, v5
	v_cmp_ne_u32_e32 vcc, s2, v4
	v_mov_b32_e32 v3, 0xff
	s_and_saveexec_b64 s[4:5], vcc
; %bb.585:
	v_and_b32_e32 v3, 0x400000, v5
	s_mov_b32 s2, 0x3fffff
	v_cmp_ne_u32_e32 vcc, 0, v3
	v_and_or_b32 v3, v5, s2, v4
	v_cmp_ne_u32_e64 s[2:3], 0, v3
	s_and_b64 s[2:3], vcc, s[2:3]
	v_cndmask_b32_e64 v3, 0, 1, s[2:3]
	v_add_u32_e32 v3, v4, v3
; %bb.586:
	s_or_b64 exec, exec, s[4:5]
	s_mov_b64 s[2:3], -1
	s_mov_b64 s[28:29], 0
	s_branch .LBB315_588
.LBB315_587:
	s_mov_b64 s[28:29], -1
                                        ; implicit-def: $vgpr3
.LBB315_588:
	s_branch .LBB315_484
.LBB315_589:
	s_and_b32 s30, 0xffff, s34
	s_cmp_lt_i32 s30, 5
	s_cbranch_scc1 .LBB315_596
; %bb.590:
	s_cmp_lt_i32 s30, 8
	s_cbranch_scc1 .LBB315_597
; %bb.591:
	;; [unrolled: 3-line block ×3, first 2 shown]
	s_cmp_gt_i32 s30, 9
	s_cbranch_scc0 .LBB315_599
; %bb.593:
	global_load_dwordx2 v[3:4], v[0:1], off
	s_movk_i32 s2, 0xff
	s_waitcnt vmcnt(0)
	v_cvt_f32_f64_e32 v4, v[3:4]
	v_mov_b32_e32 v3, 0xff
	v_bfe_u32 v5, v4, 23, 8
	v_cmp_ne_u32_e32 vcc, s2, v5
	s_and_saveexec_b64 s[4:5], vcc
; %bb.594:
	s_mov_b32 s2, 0x3fffff
	v_lshrrev_b32_e32 v3, 23, v4
	v_and_b32_e32 v6, 0x400000, v4
	v_and_or_b32 v4, v4, s2, v5
	v_cmp_ne_u32_e32 vcc, 0, v6
	v_cmp_ne_u32_e64 s[2:3], 0, v4
	s_and_b64 s[2:3], vcc, s[2:3]
	v_cndmask_b32_e64 v4, 0, 1, s[2:3]
	v_add_u32_e32 v3, v3, v4
; %bb.595:
	s_or_b64 exec, exec, s[4:5]
	s_mov_b64 s[2:3], 0
	s_branch .LBB315_600
.LBB315_596:
	s_mov_b64 s[2:3], -1
                                        ; implicit-def: $vgpr3
	s_branch .LBB315_628
.LBB315_597:
	s_mov_b64 s[2:3], -1
                                        ; implicit-def: $vgpr3
	s_branch .LBB315_610
.LBB315_598:
	s_mov_b64 s[2:3], -1
                                        ; implicit-def: $vgpr3
	s_branch .LBB315_605
.LBB315_599:
	s_mov_b64 s[2:3], -1
                                        ; implicit-def: $vgpr3
.LBB315_600:
	s_andn2_b64 vcc, exec, s[2:3]
	s_cbranch_vccnz .LBB315_604
; %bb.601:
	global_load_dword v4, v[0:1], off
	s_movk_i32 s2, 0xff
	s_waitcnt vmcnt(1)
	v_mov_b32_e32 v3, 0xff
	s_waitcnt vmcnt(0)
	v_bfe_u32 v5, v4, 23, 8
	v_cmp_ne_u32_e32 vcc, s2, v5
	s_and_saveexec_b64 s[4:5], vcc
; %bb.602:
	s_mov_b32 s2, 0x3fffff
	v_lshrrev_b32_e32 v3, 23, v4
	v_and_b32_e32 v6, 0x400000, v4
	v_and_or_b32 v4, v4, s2, v5
	v_cmp_ne_u32_e32 vcc, 0, v6
	v_cmp_ne_u32_e64 s[2:3], 0, v4
	s_and_b64 s[2:3], vcc, s[2:3]
	v_cndmask_b32_e64 v4, 0, 1, s[2:3]
	v_add_u32_e32 v3, v3, v4
; %bb.603:
	s_or_b64 exec, exec, s[4:5]
.LBB315_604:
	s_mov_b64 s[2:3], 0
.LBB315_605:
	s_andn2_b64 vcc, exec, s[2:3]
	s_cbranch_vccnz .LBB315_609
; %bb.606:
	global_load_dword v3, v[0:1], off
	s_movk_i32 s2, 0xff
	s_waitcnt vmcnt(0)
	v_cvt_f32_f16_e32 v4, v3
	v_mov_b32_e32 v3, 0xff
	v_bfe_u32 v5, v4, 23, 8
	v_cmp_ne_u32_e32 vcc, s2, v5
	s_and_saveexec_b64 s[4:5], vcc
; %bb.607:
	s_mov_b32 s2, 0x3fffff
	v_lshrrev_b32_e32 v3, 23, v4
	v_and_b32_e32 v6, 0x400000, v4
	v_and_or_b32 v4, v4, s2, v5
	v_cmp_ne_u32_e32 vcc, 0, v6
	v_cmp_ne_u32_e64 s[2:3], 0, v4
	s_and_b64 s[2:3], vcc, s[2:3]
	v_cndmask_b32_e64 v4, 0, 1, s[2:3]
	v_add_u32_e32 v3, v3, v4
; %bb.608:
	s_or_b64 exec, exec, s[4:5]
.LBB315_609:
	s_mov_b64 s[2:3], 0
.LBB315_610:
	s_andn2_b64 vcc, exec, s[2:3]
	s_cbranch_vccnz .LBB315_627
; %bb.611:
	s_cmp_lt_i32 s30, 6
	s_cbranch_scc1 .LBB315_616
; %bb.612:
	s_cmp_gt_i32 s30, 6
	s_cbranch_scc0 .LBB315_617
; %bb.613:
	global_load_dwordx2 v[3:4], v[0:1], off
	s_movk_i32 s2, 0xff
	s_waitcnt vmcnt(0)
	v_cvt_f32_f64_e32 v4, v[3:4]
	v_mov_b32_e32 v3, 0xff
	v_bfe_u32 v5, v4, 23, 8
	v_cmp_ne_u32_e32 vcc, s2, v5
	s_and_saveexec_b64 s[4:5], vcc
; %bb.614:
	s_mov_b32 s2, 0x3fffff
	v_lshrrev_b32_e32 v3, 23, v4
	v_and_b32_e32 v6, 0x400000, v4
	v_and_or_b32 v4, v4, s2, v5
	v_cmp_ne_u32_e32 vcc, 0, v6
	v_cmp_ne_u32_e64 s[2:3], 0, v4
	s_and_b64 s[2:3], vcc, s[2:3]
	v_cndmask_b32_e64 v4, 0, 1, s[2:3]
	v_add_u32_e32 v3, v3, v4
; %bb.615:
	s_or_b64 exec, exec, s[4:5]
	s_mov_b64 s[2:3], 0
	s_branch .LBB315_618
.LBB315_616:
	s_mov_b64 s[2:3], -1
                                        ; implicit-def: $vgpr3
	s_branch .LBB315_623
.LBB315_617:
	s_mov_b64 s[2:3], -1
                                        ; implicit-def: $vgpr3
.LBB315_618:
	s_andn2_b64 vcc, exec, s[2:3]
	s_cbranch_vccnz .LBB315_622
; %bb.619:
	global_load_dword v4, v[0:1], off
	s_movk_i32 s2, 0xff
	s_waitcnt vmcnt(1)
	v_mov_b32_e32 v3, 0xff
	s_waitcnt vmcnt(0)
	v_bfe_u32 v5, v4, 23, 8
	v_cmp_ne_u32_e32 vcc, s2, v5
	s_and_saveexec_b64 s[4:5], vcc
; %bb.620:
	s_mov_b32 s2, 0x3fffff
	v_lshrrev_b32_e32 v3, 23, v4
	v_and_b32_e32 v6, 0x400000, v4
	v_and_or_b32 v4, v4, s2, v5
	v_cmp_ne_u32_e32 vcc, 0, v6
	v_cmp_ne_u32_e64 s[2:3], 0, v4
	s_and_b64 s[2:3], vcc, s[2:3]
	v_cndmask_b32_e64 v4, 0, 1, s[2:3]
	v_add_u32_e32 v3, v3, v4
; %bb.621:
	s_or_b64 exec, exec, s[4:5]
.LBB315_622:
	s_mov_b64 s[2:3], 0
.LBB315_623:
	s_andn2_b64 vcc, exec, s[2:3]
	s_cbranch_vccnz .LBB315_627
; %bb.624:
	global_load_ushort v3, v[0:1], off
	s_movk_i32 s2, 0xff
	s_waitcnt vmcnt(0)
	v_cvt_f32_f16_e32 v4, v3
	v_mov_b32_e32 v3, 0xff
	v_bfe_u32 v5, v4, 23, 8
	v_cmp_ne_u32_e32 vcc, s2, v5
	s_and_saveexec_b64 s[4:5], vcc
; %bb.625:
	s_mov_b32 s2, 0x3fffff
	v_lshrrev_b32_e32 v3, 23, v4
	v_and_b32_e32 v6, 0x400000, v4
	v_and_or_b32 v4, v4, s2, v5
	v_cmp_ne_u32_e32 vcc, 0, v6
	v_cmp_ne_u32_e64 s[2:3], 0, v4
	s_and_b64 s[2:3], vcc, s[2:3]
	v_cndmask_b32_e64 v4, 0, 1, s[2:3]
	v_add_u32_e32 v3, v3, v4
; %bb.626:
	s_or_b64 exec, exec, s[4:5]
.LBB315_627:
	s_mov_b64 s[2:3], 0
.LBB315_628:
	s_andn2_b64 vcc, exec, s[2:3]
	s_cbranch_vccnz .LBB315_658
; %bb.629:
	s_cmp_lt_i32 s30, 2
	s_cbranch_scc1 .LBB315_635
; %bb.630:
	s_cmp_lt_i32 s30, 3
	s_cbranch_scc1 .LBB315_636
; %bb.631:
	s_cmp_gt_i32 s30, 3
	s_cbranch_scc0 .LBB315_637
; %bb.632:
	global_load_dwordx2 v[3:4], v[0:1], off
	s_movk_i32 s2, 0xff
	s_waitcnt vmcnt(0)
	v_xor_b32_e32 v6, v3, v4
	v_ffbh_i32_e32 v5, v4
	v_ashrrev_i32_e32 v6, 31, v6
	v_add_u32_e32 v5, -1, v5
	v_add_u32_e32 v6, 32, v6
	v_min_u32_e32 v5, v5, v6
	v_lshlrev_b64 v[3:4], v5, v[3:4]
	v_min_u32_e32 v3, 1, v3
	v_or_b32_e32 v3, v4, v3
	v_cvt_f32_i32_e32 v3, v3
	v_sub_u32_e32 v4, 32, v5
	v_ldexp_f32 v4, v3, v4
	v_bfe_u32 v5, v4, 23, 8
	v_cmp_ne_u32_e32 vcc, s2, v5
	v_mov_b32_e32 v3, 0xff
	s_and_saveexec_b64 s[4:5], vcc
; %bb.633:
	s_mov_b32 s2, 0x3fffff
	v_lshrrev_b32_e32 v3, 23, v4
	v_and_b32_e32 v6, 0x400000, v4
	v_and_or_b32 v4, v4, s2, v5
	v_cmp_ne_u32_e32 vcc, 0, v6
	v_cmp_ne_u32_e64 s[2:3], 0, v4
	s_and_b64 s[2:3], vcc, s[2:3]
	v_cndmask_b32_e64 v4, 0, 1, s[2:3]
	v_add_u32_e32 v3, v3, v4
; %bb.634:
	s_or_b64 exec, exec, s[4:5]
	s_mov_b64 s[2:3], 0
	s_branch .LBB315_638
.LBB315_635:
	s_mov_b64 s[2:3], -1
                                        ; implicit-def: $vgpr3
	s_branch .LBB315_648
.LBB315_636:
	s_mov_b64 s[2:3], -1
                                        ; implicit-def: $vgpr3
	s_branch .LBB315_643
.LBB315_637:
	s_mov_b64 s[2:3], -1
                                        ; implicit-def: $vgpr3
.LBB315_638:
	s_andn2_b64 vcc, exec, s[2:3]
	s_cbranch_vccnz .LBB315_642
; %bb.639:
	global_load_dword v3, v[0:1], off
	s_movk_i32 s2, 0xff
	s_waitcnt vmcnt(0)
	v_cvt_f32_i32_e32 v4, v3
	v_mov_b32_e32 v3, 0xff
	v_bfe_u32 v5, v4, 23, 8
	v_cmp_ne_u32_e32 vcc, s2, v5
	s_and_saveexec_b64 s[4:5], vcc
; %bb.640:
	s_mov_b32 s2, 0x3fffff
	v_lshrrev_b32_e32 v3, 23, v4
	v_and_b32_e32 v6, 0x400000, v4
	v_and_or_b32 v4, v4, s2, v5
	v_cmp_ne_u32_e32 vcc, 0, v6
	v_cmp_ne_u32_e64 s[2:3], 0, v4
	s_and_b64 s[2:3], vcc, s[2:3]
	v_cndmask_b32_e64 v4, 0, 1, s[2:3]
	v_add_u32_e32 v3, v3, v4
; %bb.641:
	s_or_b64 exec, exec, s[4:5]
.LBB315_642:
	s_mov_b64 s[2:3], 0
.LBB315_643:
	s_andn2_b64 vcc, exec, s[2:3]
	s_cbranch_vccnz .LBB315_647
; %bb.644:
	global_load_sshort v3, v[0:1], off
	s_movk_i32 s2, 0xff
	s_waitcnt vmcnt(0)
	v_cvt_f32_i32_e32 v4, v3
	v_mov_b32_e32 v3, 0xff
	v_bfe_u32 v5, v4, 23, 8
	v_cmp_ne_u32_e32 vcc, s2, v5
	s_and_saveexec_b64 s[4:5], vcc
; %bb.645:
	s_mov_b32 s2, 0x3fffff
	v_lshrrev_b32_e32 v3, 23, v4
	v_and_b32_e32 v6, 0x400000, v4
	v_and_or_b32 v4, v4, s2, v5
	v_cmp_ne_u32_e32 vcc, 0, v6
	v_cmp_ne_u32_e64 s[2:3], 0, v4
	s_and_b64 s[2:3], vcc, s[2:3]
	v_cndmask_b32_e64 v4, 0, 1, s[2:3]
	v_add_u32_e32 v3, v3, v4
; %bb.646:
	s_or_b64 exec, exec, s[4:5]
.LBB315_647:
	s_mov_b64 s[2:3], 0
.LBB315_648:
	s_andn2_b64 vcc, exec, s[2:3]
	s_cbranch_vccnz .LBB315_658
; %bb.649:
	s_cmp_gt_i32 s30, 0
	s_cbranch_scc0 .LBB315_653
; %bb.650:
	global_load_sbyte v3, v[0:1], off
	s_movk_i32 s2, 0xff
	s_waitcnt vmcnt(0)
	v_cvt_f32_i32_e32 v4, v3
	v_mov_b32_e32 v3, 0xff
	v_bfe_u32 v5, v4, 23, 8
	v_cmp_ne_u32_e32 vcc, s2, v5
	s_and_saveexec_b64 s[4:5], vcc
; %bb.651:
	s_mov_b32 s2, 0x3fffff
	v_lshrrev_b32_e32 v3, 23, v4
	v_and_b32_e32 v6, 0x400000, v4
	v_and_or_b32 v4, v4, s2, v5
	v_cmp_ne_u32_e32 vcc, 0, v6
	v_cmp_ne_u32_e64 s[2:3], 0, v4
	s_and_b64 s[2:3], vcc, s[2:3]
	v_cndmask_b32_e64 v4, 0, 1, s[2:3]
	v_add_u32_e32 v3, v3, v4
; %bb.652:
	s_or_b64 exec, exec, s[4:5]
	s_mov_b64 s[2:3], 0
	s_branch .LBB315_654
.LBB315_653:
	s_mov_b64 s[2:3], -1
                                        ; implicit-def: $vgpr3
.LBB315_654:
	s_andn2_b64 vcc, exec, s[2:3]
	s_cbranch_vccnz .LBB315_658
; %bb.655:
	global_load_ubyte v0, v[0:1], off
	s_movk_i32 s2, 0xff
	s_waitcnt vmcnt(1)
	v_mov_b32_e32 v3, 0xff
	s_waitcnt vmcnt(0)
	v_cvt_f32_ubyte0_e32 v1, v0
	v_lshrrev_b32_e32 v0, 23, v1
	v_cmp_ne_u32_e32 vcc, s2, v0
	s_and_saveexec_b64 s[4:5], vcc
; %bb.656:
	s_mov_b32 s2, 0x3fffff
	v_and_b32_e32 v3, 0x400000, v1
	v_and_or_b32 v1, v1, s2, v0
	v_cmp_ne_u32_e32 vcc, 0, v3
	v_cmp_ne_u32_e64 s[2:3], 0, v1
	s_and_b64 s[2:3], vcc, s[2:3]
	v_cndmask_b32_e64 v1, 0, 1, s[2:3]
	v_add_u32_e32 v3, v0, v1
; %bb.657:
	s_or_b64 exec, exec, s[4:5]
.LBB315_658:
	s_branch .LBB315_485
.LBB315_659:
	s_mov_b64 s[2:3], 0
	s_mov_b64 s[4:5], s[20:21]
	;; [unrolled: 1-line block ×3, first 2 shown]
.LBB315_660:
                                        ; implicit-def: $vgpr2
	s_branch .LBB315_942
.LBB315_661:
	s_andn2_saveexec_b64 s[34:35], s[34:35]
	s_cbranch_execz .LBB315_237
.LBB315_662:
	v_add_f32_e32 v3, 0x42800000, v4
	v_and_b32_e32 v3, 0xff, v3
	v_cmp_ne_u32_e32 vcc, 0, v3
	s_andn2_b64 s[28:29], s[28:29], exec
	s_and_b64 s[38:39], vcc, exec
	s_or_b64 s[28:29], s[28:29], s[38:39]
	s_or_b64 exec, exec, s[34:35]
	v_mov_b32_e32 v5, 0
	s_and_saveexec_b64 s[34:35], s[28:29]
	s_cbranch_execnz .LBB315_238
	s_branch .LBB315_239
.LBB315_663:
	s_mov_b64 s[30:31], -1
                                        ; implicit-def: $vgpr4
	s_mov_b64 s[2:3], 0
.LBB315_664:
	s_and_b64 vcc, exec, s[4:5]
	s_cbranch_vccz .LBB315_668
; %bb.665:
	s_cmp_eq_u32 s39, 44
	s_cbranch_scc0 .LBB315_667
; %bb.666:
	global_load_ubyte v4, v[0:1], off
	s_mov_b64 s[2:3], -1
	s_mov_b64 s[30:31], 0
	s_branch .LBB315_668
.LBB315_667:
	s_mov_b64 s[30:31], -1
                                        ; implicit-def: $vgpr4
.LBB315_668:
	s_mov_b64 s[4:5], 0
.LBB315_669:
	s_and_b64 vcc, exec, s[4:5]
	s_cbranch_vccz .LBB315_675
; %bb.670:
	s_cmp_eq_u32 s39, 29
	s_cbranch_scc0 .LBB315_674
; %bb.671:
	global_load_dwordx2 v[4:5], v[0:1], off
	s_movk_i32 s2, 0xff
	s_waitcnt vmcnt(0)
	v_ffbh_u32_e32 v6, v5
	v_min_u32_e32 v6, 32, v6
	v_lshlrev_b64 v[4:5], v6, v[4:5]
	v_min_u32_e32 v4, 1, v4
	v_or_b32_e32 v4, v5, v4
	v_cvt_f32_u32_e32 v4, v4
	v_sub_u32_e32 v5, 32, v6
	v_ldexp_f32 v6, v4, v5
	v_lshrrev_b32_e32 v5, 23, v6
	v_cmp_ne_u32_e32 vcc, s2, v5
	v_mov_b32_e32 v4, 0xff
	s_and_saveexec_b64 s[4:5], vcc
; %bb.672:
	v_and_b32_e32 v4, 0x400000, v6
	s_mov_b32 s2, 0x3fffff
	v_cmp_ne_u32_e32 vcc, 0, v4
	v_and_or_b32 v4, v6, s2, v5
	v_cmp_ne_u32_e64 s[2:3], 0, v4
	s_and_b64 s[2:3], vcc, s[2:3]
	v_cndmask_b32_e64 v4, 0, 1, s[2:3]
	v_add_u32_e32 v4, v5, v4
; %bb.673:
	s_or_b64 exec, exec, s[4:5]
	s_mov_b64 s[2:3], -1
	s_mov_b64 s[30:31], 0
	s_branch .LBB315_675
.LBB315_674:
	s_mov_b64 s[30:31], -1
                                        ; implicit-def: $vgpr4
.LBB315_675:
	s_mov_b64 s[4:5], 0
.LBB315_676:
	s_and_b64 vcc, exec, s[4:5]
	s_cbranch_vccz .LBB315_700
; %bb.677:
	s_cmp_lt_i32 s39, 27
	s_cbranch_scc1 .LBB315_682
; %bb.678:
	s_cmp_gt_i32 s39, 27
	s_cbranch_scc0 .LBB315_683
; %bb.679:
	global_load_dword v4, v[0:1], off
	s_movk_i32 s2, 0xff
	s_waitcnt vmcnt(0)
	v_cvt_f32_u32_e32 v6, v4
	v_mov_b32_e32 v4, 0xff
	v_lshrrev_b32_e32 v5, 23, v6
	v_cmp_ne_u32_e32 vcc, s2, v5
	s_and_saveexec_b64 s[4:5], vcc
; %bb.680:
	v_and_b32_e32 v4, 0x400000, v6
	s_mov_b32 s2, 0x3fffff
	v_cmp_ne_u32_e32 vcc, 0, v4
	v_and_or_b32 v4, v6, s2, v5
	v_cmp_ne_u32_e64 s[2:3], 0, v4
	s_and_b64 s[2:3], vcc, s[2:3]
	v_cndmask_b32_e64 v4, 0, 1, s[2:3]
	v_add_u32_e32 v4, v5, v4
; %bb.681:
	s_or_b64 exec, exec, s[4:5]
	s_mov_b64 s[2:3], 0
	s_branch .LBB315_684
.LBB315_682:
	s_mov_b64 s[2:3], -1
                                        ; implicit-def: $vgpr4
	s_branch .LBB315_689
.LBB315_683:
	s_mov_b64 s[2:3], -1
                                        ; implicit-def: $vgpr4
.LBB315_684:
	s_andn2_b64 vcc, exec, s[2:3]
	s_cbranch_vccnz .LBB315_688
; %bb.685:
	global_load_ushort v4, v[0:1], off
	s_movk_i32 s2, 0xff
	s_waitcnt vmcnt(0)
	v_cvt_f32_u32_e32 v6, v4
	v_mov_b32_e32 v4, 0xff
	v_lshrrev_b32_e32 v5, 23, v6
	v_cmp_ne_u32_e32 vcc, s2, v5
	s_and_saveexec_b64 s[4:5], vcc
; %bb.686:
	v_and_b32_e32 v4, 0x400000, v6
	s_mov_b32 s2, 0x3fffff
	v_cmp_ne_u32_e32 vcc, 0, v4
	v_and_or_b32 v4, v6, s2, v5
	v_cmp_ne_u32_e64 s[2:3], 0, v4
	s_and_b64 s[2:3], vcc, s[2:3]
	v_cndmask_b32_e64 v4, 0, 1, s[2:3]
	v_add_u32_e32 v4, v5, v4
; %bb.687:
	s_or_b64 exec, exec, s[4:5]
.LBB315_688:
	s_mov_b64 s[2:3], 0
.LBB315_689:
	s_andn2_b64 vcc, exec, s[2:3]
	s_cbranch_vccnz .LBB315_699
; %bb.690:
	global_load_ubyte v4, v[0:1], off
	s_movk_i32 s2, 0x7f
	s_waitcnt vmcnt(0)
	v_cmp_lt_i16_e32 vcc, s2, v4
	s_mov_b64 s[2:3], 0
	s_and_saveexec_b64 s[4:5], vcc
	s_xor_b64 s[4:5], exec, s[4:5]
	s_cbranch_execz .LBB315_715
; %bb.691:
	s_movk_i32 s2, 0x80
	v_cmp_eq_u16_e32 vcc, s2, v4
	s_mov_b64 s[2:3], -1
	s_and_saveexec_b64 s[34:35], vcc
; %bb.692:
	s_xor_b64 s[2:3], exec, -1
; %bb.693:
	s_or_b64 exec, exec, s[34:35]
	s_and_b64 s[2:3], s[2:3], exec
	s_or_saveexec_b64 s[4:5], s[4:5]
	v_mov_b32_e32 v5, 0x7f800001
	s_xor_b64 exec, exec, s[4:5]
	s_cbranch_execnz .LBB315_716
.LBB315_694:
	s_or_b64 exec, exec, s[4:5]
	s_and_saveexec_b64 s[4:5], s[2:3]
	s_cbranch_execz .LBB315_696
.LBB315_695:
	v_and_b32_e32 v4, 0xffff, v4
	v_and_b32_e32 v5, 7, v4
	v_ffbh_u32_e32 v7, v5
	v_min_u32_e32 v7, 32, v7
	v_subrev_u32_e32 v8, 28, v7
	v_bfe_u32 v6, v4, 3, 4
	v_lshlrev_b32_e32 v4, v8, v4
	v_and_b32_e32 v4, 7, v4
	v_cmp_eq_u32_e32 vcc, 0, v6
	v_sub_u32_e32 v7, 29, v7
	v_cndmask_b32_e32 v4, v5, v4, vcc
	v_cndmask_b32_e32 v6, v6, v7, vcc
	v_lshlrev_b32_e32 v4, 20, v4
	v_lshl_or_b32 v4, v6, 23, v4
	v_add_u32_e32 v5, 0x3b800000, v4
.LBB315_696:
	s_or_b64 exec, exec, s[4:5]
	v_lshrrev_b32_e32 v6, 23, v5
	s_movk_i32 s2, 0xff
	v_cmp_ne_u32_e32 vcc, s2, v6
	v_mov_b32_e32 v4, 0xff
	s_and_saveexec_b64 s[4:5], vcc
; %bb.697:
	v_and_b32_e32 v4, 0x400000, v5
	s_mov_b32 s2, 0x3fffff
	v_cmp_ne_u32_e32 vcc, 0, v4
	v_and_or_b32 v4, v5, s2, v6
	v_cmp_ne_u32_e64 s[2:3], 0, v4
	s_and_b64 s[2:3], vcc, s[2:3]
	v_cndmask_b32_e64 v4, 0, 1, s[2:3]
	v_add_u32_e32 v4, v6, v4
; %bb.698:
	s_or_b64 exec, exec, s[4:5]
.LBB315_699:
	s_mov_b64 s[2:3], -1
.LBB315_700:
	s_mov_b64 s[4:5], 0
.LBB315_701:
	s_and_b64 vcc, exec, s[4:5]
	s_cbranch_vccz .LBB315_746
; %bb.702:
	s_cmp_gt_i32 s39, 22
	s_cbranch_scc0 .LBB315_714
; %bb.703:
	s_cmp_lt_i32 s39, 24
	s_cbranch_scc1 .LBB315_717
; %bb.704:
	s_cmp_gt_i32 s39, 24
	s_cbranch_scc0 .LBB315_718
; %bb.705:
	global_load_ubyte v4, v[0:1], off
	s_movk_i32 s2, 0x7f
	s_waitcnt vmcnt(0)
	v_cmp_lt_i16_e32 vcc, s2, v4
	s_mov_b64 s[2:3], 0
	s_and_saveexec_b64 s[4:5], vcc
	s_xor_b64 s[4:5], exec, s[4:5]
	s_cbranch_execz .LBB315_736
; %bb.706:
	s_movk_i32 s2, 0x80
	v_cmp_eq_u16_e32 vcc, s2, v4
	s_mov_b64 s[2:3], -1
	s_and_saveexec_b64 s[34:35], vcc
; %bb.707:
	s_xor_b64 s[2:3], exec, -1
; %bb.708:
	s_or_b64 exec, exec, s[34:35]
	s_and_b64 s[2:3], s[2:3], exec
	s_or_saveexec_b64 s[4:5], s[4:5]
	v_mov_b32_e32 v5, 0x7f800001
	s_xor_b64 exec, exec, s[4:5]
	s_cbranch_execnz .LBB315_737
.LBB315_709:
	s_or_b64 exec, exec, s[4:5]
	s_and_saveexec_b64 s[4:5], s[2:3]
	s_cbranch_execz .LBB315_711
.LBB315_710:
	v_and_b32_e32 v4, 0xffff, v4
	v_and_b32_e32 v5, 3, v4
	v_ffbh_u32_e32 v7, v5
	v_min_u32_e32 v7, 32, v7
	v_subrev_u32_e32 v8, 29, v7
	v_bfe_u32 v6, v4, 2, 5
	v_lshlrev_b32_e32 v4, v8, v4
	v_and_b32_e32 v4, 3, v4
	v_cmp_eq_u32_e32 vcc, 0, v6
	v_sub_u32_e32 v7, 30, v7
	v_cndmask_b32_e32 v4, v5, v4, vcc
	v_cndmask_b32_e32 v6, v6, v7, vcc
	v_lshlrev_b32_e32 v4, 21, v4
	v_lshl_or_b32 v4, v6, 23, v4
	v_add_u32_e32 v5, 0x37800000, v4
.LBB315_711:
	s_or_b64 exec, exec, s[4:5]
	v_lshrrev_b32_e32 v6, 23, v5
	s_movk_i32 s2, 0xff
	v_cmp_ne_u32_e32 vcc, s2, v6
	v_mov_b32_e32 v4, 0xff
	s_and_saveexec_b64 s[4:5], vcc
; %bb.712:
	v_and_b32_e32 v4, 0x400000, v5
	s_mov_b32 s2, 0x3fffff
	v_cmp_ne_u32_e32 vcc, 0, v4
	v_and_or_b32 v4, v5, s2, v6
	v_cmp_ne_u32_e64 s[2:3], 0, v4
	s_and_b64 s[2:3], vcc, s[2:3]
	v_cndmask_b32_e64 v4, 0, 1, s[2:3]
	v_add_u32_e32 v4, v6, v4
; %bb.713:
	s_or_b64 exec, exec, s[4:5]
	s_mov_b64 s[2:3], 0
	s_branch .LBB315_719
.LBB315_714:
	s_mov_b64 s[4:5], -1
                                        ; implicit-def: $vgpr4
	s_branch .LBB315_729
.LBB315_715:
	s_or_saveexec_b64 s[4:5], s[4:5]
	v_mov_b32_e32 v5, 0x7f800001
	s_xor_b64 exec, exec, s[4:5]
	s_cbranch_execz .LBB315_694
.LBB315_716:
	v_cmp_ne_u16_e32 vcc, 0, v4
	s_andn2_b64 s[2:3], s[2:3], exec
	s_and_b64 s[34:35], vcc, exec
	v_and_b32_e32 v5, 0xffff, v4
	s_or_b64 s[2:3], s[2:3], s[34:35]
	s_or_b64 exec, exec, s[4:5]
	s_and_saveexec_b64 s[4:5], s[2:3]
	s_cbranch_execnz .LBB315_695
	s_branch .LBB315_696
.LBB315_717:
	s_mov_b64 s[2:3], -1
                                        ; implicit-def: $vgpr4
	s_branch .LBB315_724
.LBB315_718:
	s_mov_b64 s[2:3], -1
                                        ; implicit-def: $vgpr4
.LBB315_719:
	s_and_b64 vcc, exec, s[2:3]
	s_cbranch_vccz .LBB315_723
; %bb.720:
	global_load_ubyte v4, v[0:1], off
	s_mov_b32 s2, 0x7f800000
	s_movk_i32 s3, 0xff
	s_waitcnt vmcnt(0)
	v_lshlrev_b32_e32 v4, 24, v4
	v_and_b32_e32 v4, 0x7f000000, v4
	v_ffbh_u32_e32 v5, v4
	v_min_u32_e32 v5, 32, v5
	v_sub_u32_e64 v5, v5, 4 clamp
	v_lshlrev_b32_e32 v7, v5, v4
	v_lshlrev_b32_e32 v5, 23, v5
	v_lshrrev_b32_e32 v7, 4, v7
	v_add_u32_e32 v6, 0x1000000, v4
	v_sub_u32_e32 v5, v7, v5
	v_ashrrev_i32_e32 v6, 8, v6
	v_add_u32_e32 v5, 0x3c000000, v5
	v_and_or_b32 v5, v6, s2, v5
	v_cmp_ne_u32_e32 vcc, 0, v4
	v_cndmask_b32_e32 v6, 0, v5, vcc
	v_lshrrev_b32_e32 v5, 23, v6
	v_cmp_ne_u32_e32 vcc, s3, v5
	v_mov_b32_e32 v4, 0xff
	s_and_saveexec_b64 s[4:5], vcc
; %bb.721:
	v_and_b32_e32 v4, 0x400000, v6
	s_mov_b32 s2, 0x3fffff
	v_cmp_ne_u32_e32 vcc, 0, v4
	v_and_or_b32 v4, v6, s2, v5
	v_cmp_ne_u32_e64 s[2:3], 0, v4
	s_and_b64 s[2:3], vcc, s[2:3]
	v_cndmask_b32_e64 v4, 0, 1, s[2:3]
	v_add_u32_e32 v4, v5, v4
; %bb.722:
	s_or_b64 exec, exec, s[4:5]
.LBB315_723:
	s_mov_b64 s[2:3], 0
.LBB315_724:
	s_andn2_b64 vcc, exec, s[2:3]
	s_cbranch_vccnz .LBB315_728
; %bb.725:
	global_load_ubyte v4, v[0:1], off
	s_movk_i32 s2, 0x7f00
	s_brev_b32 s3, 16
	s_movk_i32 s4, 0xff
	s_waitcnt vmcnt(0)
	v_lshlrev_b32_e32 v5, 8, v4
	v_lshlrev_b32_e32 v4, 25, v4
	v_lshrrev_b32_e32 v6, 4, v4
	v_and_or_b32 v5, v5, s2, 0.5
	v_or_b32_e32 v6, 0x70000000, v6
	v_add_f32_e32 v5, -0.5, v5
	v_mul_f32_e32 v6, 0x7800000, v6
	v_cmp_gt_u32_e32 vcc, s3, v4
	v_cndmask_b32_e32 v5, v6, v5, vcc
	v_bfe_u32 v6, v5, 23, 8
	v_cmp_ne_u32_e32 vcc, s4, v6
	v_mov_b32_e32 v4, 0xff
	s_and_saveexec_b64 s[4:5], vcc
; %bb.726:
	s_mov_b32 s2, 0x3fffff
	v_lshrrev_b32_e32 v4, 23, v5
	v_and_b32_e32 v7, 0x400000, v5
	v_and_or_b32 v5, v5, s2, v6
	v_cmp_ne_u32_e32 vcc, 0, v7
	v_cmp_ne_u32_e64 s[2:3], 0, v5
	s_and_b64 s[2:3], vcc, s[2:3]
	v_cndmask_b32_e64 v5, 0, 1, s[2:3]
	v_add_u32_e32 v4, v4, v5
; %bb.727:
	s_or_b64 exec, exec, s[4:5]
.LBB315_728:
	s_mov_b64 s[4:5], 0
	s_mov_b64 s[2:3], -1
.LBB315_729:
	s_andn2_b64 vcc, exec, s[4:5]
	s_cbranch_vccnz .LBB315_746
; %bb.730:
	s_cmp_gt_i32 s39, 14
	s_cbranch_scc0 .LBB315_735
; %bb.731:
	s_cmp_eq_u32 s39, 15
	s_cbranch_scc0 .LBB315_738
; %bb.732:
	global_load_ushort v5, v[0:1], off
	s_movk_i32 s2, 0xff
	s_waitcnt vmcnt(1)
	v_mov_b32_e32 v4, 0xff
	s_waitcnt vmcnt(0)
	v_bfe_u32 v6, v5, 7, 8
	v_cmp_ne_u32_e32 vcc, s2, v6
	s_and_saveexec_b64 s[4:5], vcc
	s_cbranch_execz .LBB315_734
; %bb.733:
	v_lshrrev_b32_e32 v4, 7, v5
	v_lshlrev_b32_e32 v7, 16, v5
	v_and_b32_e32 v5, 64, v5
	s_mov_b32 s2, 0x3f0000
	v_cmp_ne_u32_e32 vcc, 0, v5
	v_and_or_b32 v5, v7, s2, v6
	v_cmp_ne_u32_e64 s[2:3], 0, v5
	s_and_b64 s[2:3], vcc, s[2:3]
	v_cndmask_b32_e64 v5, 0, 1, s[2:3]
	v_add_u32_e32 v4, v4, v5
.LBB315_734:
	s_or_b64 exec, exec, s[4:5]
	s_mov_b64 s[2:3], -1
	s_mov_b64 s[30:31], 0
	s_branch .LBB315_739
.LBB315_735:
	s_mov_b64 s[4:5], -1
                                        ; implicit-def: $vgpr4
	s_branch .LBB315_740
.LBB315_736:
	s_or_saveexec_b64 s[4:5], s[4:5]
	v_mov_b32_e32 v5, 0x7f800001
	s_xor_b64 exec, exec, s[4:5]
	s_cbranch_execz .LBB315_709
.LBB315_737:
	v_cmp_ne_u16_e32 vcc, 0, v4
	s_andn2_b64 s[2:3], s[2:3], exec
	s_and_b64 s[34:35], vcc, exec
	v_and_b32_e32 v5, 0xffff, v4
	s_or_b64 s[2:3], s[2:3], s[34:35]
	s_or_b64 exec, exec, s[4:5]
	s_and_saveexec_b64 s[4:5], s[2:3]
	s_cbranch_execnz .LBB315_710
	s_branch .LBB315_711
.LBB315_738:
	s_mov_b64 s[30:31], -1
                                        ; implicit-def: $vgpr4
.LBB315_739:
	s_mov_b64 s[4:5], 0
.LBB315_740:
	s_and_b64 vcc, exec, s[4:5]
	s_cbranch_vccz .LBB315_746
; %bb.741:
	s_cmp_eq_u32 s39, 11
	s_cbranch_scc0 .LBB315_745
; %bb.742:
	global_load_ubyte v4, v[0:1], off
	s_movk_i32 s2, 0xff
	s_waitcnt vmcnt(0)
	v_cmp_ne_u16_e32 vcc, 0, v4
	v_cndmask_b32_e64 v6, 0, 1.0, vcc
	v_lshrrev_b32_e32 v5, 23, v6
	v_cmp_ne_u32_e32 vcc, s2, v5
	v_mov_b32_e32 v4, 0xff
	s_and_saveexec_b64 s[4:5], vcc
; %bb.743:
	v_and_b32_e32 v4, 0x400000, v6
	s_mov_b32 s2, 0x3fffff
	v_cmp_ne_u32_e32 vcc, 0, v4
	v_and_or_b32 v4, v6, s2, v5
	v_cmp_ne_u32_e64 s[2:3], 0, v4
	s_and_b64 s[2:3], vcc, s[2:3]
	v_cndmask_b32_e64 v4, 0, 1, s[2:3]
	v_add_u32_e32 v4, v5, v4
; %bb.744:
	s_or_b64 exec, exec, s[4:5]
	s_mov_b64 s[2:3], -1
	s_mov_b64 s[30:31], 0
	s_branch .LBB315_746
.LBB315_745:
	s_mov_b64 s[30:31], -1
                                        ; implicit-def: $vgpr4
.LBB315_746:
	s_mov_b64 s[4:5], 0
.LBB315_747:
	s_and_b64 vcc, exec, s[4:5]
	s_cbranch_vccz .LBB315_818
; %bb.748:
	s_and_b32 s34, 0xffff, s38
	s_cmp_lt_i32 s34, 5
	s_cbranch_scc1 .LBB315_755
; %bb.749:
	s_cmp_lt_i32 s34, 8
	s_cbranch_scc1 .LBB315_756
; %bb.750:
	;; [unrolled: 3-line block ×3, first 2 shown]
	s_cmp_gt_i32 s34, 9
	s_cbranch_scc0 .LBB315_758
; %bb.752:
	global_load_dwordx2 v[4:5], v[0:1], off
	s_movk_i32 s2, 0xff
	s_waitcnt vmcnt(0)
	v_cvt_f32_f64_e32 v5, v[4:5]
	v_mov_b32_e32 v4, 0xff
	v_bfe_u32 v6, v5, 23, 8
	v_cmp_ne_u32_e32 vcc, s2, v6
	s_and_saveexec_b64 s[4:5], vcc
; %bb.753:
	s_mov_b32 s2, 0x3fffff
	v_lshrrev_b32_e32 v4, 23, v5
	v_and_b32_e32 v7, 0x400000, v5
	v_and_or_b32 v5, v5, s2, v6
	v_cmp_ne_u32_e32 vcc, 0, v7
	v_cmp_ne_u32_e64 s[2:3], 0, v5
	s_and_b64 s[2:3], vcc, s[2:3]
	v_cndmask_b32_e64 v5, 0, 1, s[2:3]
	v_add_u32_e32 v4, v4, v5
; %bb.754:
	s_or_b64 exec, exec, s[4:5]
	s_mov_b64 s[2:3], 0
	s_branch .LBB315_759
.LBB315_755:
	s_mov_b64 s[2:3], -1
                                        ; implicit-def: $vgpr4
	s_branch .LBB315_787
.LBB315_756:
	s_mov_b64 s[2:3], -1
                                        ; implicit-def: $vgpr4
	s_branch .LBB315_769
.LBB315_757:
	s_mov_b64 s[2:3], -1
                                        ; implicit-def: $vgpr4
	s_branch .LBB315_764
.LBB315_758:
	s_mov_b64 s[2:3], -1
                                        ; implicit-def: $vgpr4
.LBB315_759:
	s_andn2_b64 vcc, exec, s[2:3]
	s_cbranch_vccnz .LBB315_763
; %bb.760:
	global_load_dword v5, v[0:1], off
	s_movk_i32 s2, 0xff
	s_waitcnt vmcnt(1)
	v_mov_b32_e32 v4, 0xff
	s_waitcnt vmcnt(0)
	v_bfe_u32 v6, v5, 23, 8
	v_cmp_ne_u32_e32 vcc, s2, v6
	s_and_saveexec_b64 s[4:5], vcc
; %bb.761:
	s_mov_b32 s2, 0x3fffff
	v_lshrrev_b32_e32 v4, 23, v5
	v_and_b32_e32 v7, 0x400000, v5
	v_and_or_b32 v5, v5, s2, v6
	v_cmp_ne_u32_e32 vcc, 0, v7
	v_cmp_ne_u32_e64 s[2:3], 0, v5
	s_and_b64 s[2:3], vcc, s[2:3]
	v_cndmask_b32_e64 v5, 0, 1, s[2:3]
	v_add_u32_e32 v4, v4, v5
; %bb.762:
	s_or_b64 exec, exec, s[4:5]
.LBB315_763:
	s_mov_b64 s[2:3], 0
.LBB315_764:
	s_andn2_b64 vcc, exec, s[2:3]
	s_cbranch_vccnz .LBB315_768
; %bb.765:
	global_load_dword v4, v[0:1], off
	s_movk_i32 s2, 0xff
	s_waitcnt vmcnt(0)
	v_cvt_f32_f16_e32 v5, v4
	v_mov_b32_e32 v4, 0xff
	v_bfe_u32 v6, v5, 23, 8
	v_cmp_ne_u32_e32 vcc, s2, v6
	s_and_saveexec_b64 s[4:5], vcc
; %bb.766:
	s_mov_b32 s2, 0x3fffff
	v_lshrrev_b32_e32 v4, 23, v5
	v_and_b32_e32 v7, 0x400000, v5
	v_and_or_b32 v5, v5, s2, v6
	v_cmp_ne_u32_e32 vcc, 0, v7
	v_cmp_ne_u32_e64 s[2:3], 0, v5
	s_and_b64 s[2:3], vcc, s[2:3]
	v_cndmask_b32_e64 v5, 0, 1, s[2:3]
	v_add_u32_e32 v4, v4, v5
; %bb.767:
	s_or_b64 exec, exec, s[4:5]
.LBB315_768:
	s_mov_b64 s[2:3], 0
.LBB315_769:
	s_andn2_b64 vcc, exec, s[2:3]
	s_cbranch_vccnz .LBB315_786
; %bb.770:
	s_cmp_lt_i32 s34, 6
	s_cbranch_scc1 .LBB315_775
; %bb.771:
	s_cmp_gt_i32 s34, 6
	s_cbranch_scc0 .LBB315_776
; %bb.772:
	global_load_dwordx2 v[4:5], v[0:1], off
	s_movk_i32 s2, 0xff
	s_waitcnt vmcnt(0)
	v_cvt_f32_f64_e32 v5, v[4:5]
	v_mov_b32_e32 v4, 0xff
	v_bfe_u32 v6, v5, 23, 8
	v_cmp_ne_u32_e32 vcc, s2, v6
	s_and_saveexec_b64 s[4:5], vcc
; %bb.773:
	s_mov_b32 s2, 0x3fffff
	v_lshrrev_b32_e32 v4, 23, v5
	v_and_b32_e32 v7, 0x400000, v5
	v_and_or_b32 v5, v5, s2, v6
	v_cmp_ne_u32_e32 vcc, 0, v7
	v_cmp_ne_u32_e64 s[2:3], 0, v5
	s_and_b64 s[2:3], vcc, s[2:3]
	v_cndmask_b32_e64 v5, 0, 1, s[2:3]
	v_add_u32_e32 v4, v4, v5
; %bb.774:
	s_or_b64 exec, exec, s[4:5]
	s_mov_b64 s[2:3], 0
	s_branch .LBB315_777
.LBB315_775:
	s_mov_b64 s[2:3], -1
                                        ; implicit-def: $vgpr4
	s_branch .LBB315_782
.LBB315_776:
	s_mov_b64 s[2:3], -1
                                        ; implicit-def: $vgpr4
.LBB315_777:
	s_andn2_b64 vcc, exec, s[2:3]
	s_cbranch_vccnz .LBB315_781
; %bb.778:
	global_load_dword v5, v[0:1], off
	s_movk_i32 s2, 0xff
	s_waitcnt vmcnt(1)
	v_mov_b32_e32 v4, 0xff
	s_waitcnt vmcnt(0)
	v_bfe_u32 v6, v5, 23, 8
	v_cmp_ne_u32_e32 vcc, s2, v6
	s_and_saveexec_b64 s[4:5], vcc
; %bb.779:
	s_mov_b32 s2, 0x3fffff
	v_lshrrev_b32_e32 v4, 23, v5
	v_and_b32_e32 v7, 0x400000, v5
	v_and_or_b32 v5, v5, s2, v6
	v_cmp_ne_u32_e32 vcc, 0, v7
	v_cmp_ne_u32_e64 s[2:3], 0, v5
	s_and_b64 s[2:3], vcc, s[2:3]
	v_cndmask_b32_e64 v5, 0, 1, s[2:3]
	v_add_u32_e32 v4, v4, v5
; %bb.780:
	s_or_b64 exec, exec, s[4:5]
.LBB315_781:
	s_mov_b64 s[2:3], 0
.LBB315_782:
	s_andn2_b64 vcc, exec, s[2:3]
	s_cbranch_vccnz .LBB315_786
; %bb.783:
	global_load_ushort v4, v[0:1], off
	s_movk_i32 s2, 0xff
	s_waitcnt vmcnt(0)
	v_cvt_f32_f16_e32 v5, v4
	v_mov_b32_e32 v4, 0xff
	v_bfe_u32 v6, v5, 23, 8
	v_cmp_ne_u32_e32 vcc, s2, v6
	s_and_saveexec_b64 s[4:5], vcc
; %bb.784:
	s_mov_b32 s2, 0x3fffff
	v_lshrrev_b32_e32 v4, 23, v5
	v_and_b32_e32 v7, 0x400000, v5
	v_and_or_b32 v5, v5, s2, v6
	v_cmp_ne_u32_e32 vcc, 0, v7
	v_cmp_ne_u32_e64 s[2:3], 0, v5
	s_and_b64 s[2:3], vcc, s[2:3]
	v_cndmask_b32_e64 v5, 0, 1, s[2:3]
	v_add_u32_e32 v4, v4, v5
; %bb.785:
	s_or_b64 exec, exec, s[4:5]
.LBB315_786:
	s_mov_b64 s[2:3], 0
.LBB315_787:
	s_andn2_b64 vcc, exec, s[2:3]
	s_cbranch_vccnz .LBB315_817
; %bb.788:
	s_cmp_lt_i32 s34, 2
	s_cbranch_scc1 .LBB315_794
; %bb.789:
	s_cmp_lt_i32 s34, 3
	s_cbranch_scc1 .LBB315_795
; %bb.790:
	s_cmp_gt_i32 s34, 3
	s_cbranch_scc0 .LBB315_796
; %bb.791:
	global_load_dwordx2 v[4:5], v[0:1], off
	s_movk_i32 s2, 0xff
	s_waitcnt vmcnt(0)
	v_xor_b32_e32 v7, v4, v5
	v_ffbh_i32_e32 v6, v5
	v_ashrrev_i32_e32 v7, 31, v7
	v_add_u32_e32 v6, -1, v6
	v_add_u32_e32 v7, 32, v7
	v_min_u32_e32 v6, v6, v7
	v_lshlrev_b64 v[4:5], v6, v[4:5]
	v_min_u32_e32 v4, 1, v4
	v_or_b32_e32 v4, v5, v4
	v_cvt_f32_i32_e32 v4, v4
	v_sub_u32_e32 v5, 32, v6
	v_ldexp_f32 v5, v4, v5
	v_bfe_u32 v6, v5, 23, 8
	v_cmp_ne_u32_e32 vcc, s2, v6
	v_mov_b32_e32 v4, 0xff
	s_and_saveexec_b64 s[4:5], vcc
; %bb.792:
	s_mov_b32 s2, 0x3fffff
	v_lshrrev_b32_e32 v4, 23, v5
	v_and_b32_e32 v7, 0x400000, v5
	v_and_or_b32 v5, v5, s2, v6
	v_cmp_ne_u32_e32 vcc, 0, v7
	v_cmp_ne_u32_e64 s[2:3], 0, v5
	s_and_b64 s[2:3], vcc, s[2:3]
	v_cndmask_b32_e64 v5, 0, 1, s[2:3]
	v_add_u32_e32 v4, v4, v5
; %bb.793:
	s_or_b64 exec, exec, s[4:5]
	s_mov_b64 s[2:3], 0
	s_branch .LBB315_797
.LBB315_794:
	s_mov_b64 s[2:3], -1
                                        ; implicit-def: $vgpr4
	s_branch .LBB315_807
.LBB315_795:
	s_mov_b64 s[2:3], -1
                                        ; implicit-def: $vgpr4
	s_branch .LBB315_802
.LBB315_796:
	s_mov_b64 s[2:3], -1
                                        ; implicit-def: $vgpr4
.LBB315_797:
	s_andn2_b64 vcc, exec, s[2:3]
	s_cbranch_vccnz .LBB315_801
; %bb.798:
	global_load_dword v4, v[0:1], off
	s_movk_i32 s2, 0xff
	s_waitcnt vmcnt(0)
	v_cvt_f32_i32_e32 v5, v4
	v_mov_b32_e32 v4, 0xff
	v_bfe_u32 v6, v5, 23, 8
	v_cmp_ne_u32_e32 vcc, s2, v6
	s_and_saveexec_b64 s[4:5], vcc
; %bb.799:
	s_mov_b32 s2, 0x3fffff
	v_lshrrev_b32_e32 v4, 23, v5
	v_and_b32_e32 v7, 0x400000, v5
	v_and_or_b32 v5, v5, s2, v6
	v_cmp_ne_u32_e32 vcc, 0, v7
	v_cmp_ne_u32_e64 s[2:3], 0, v5
	s_and_b64 s[2:3], vcc, s[2:3]
	v_cndmask_b32_e64 v5, 0, 1, s[2:3]
	v_add_u32_e32 v4, v4, v5
; %bb.800:
	s_or_b64 exec, exec, s[4:5]
.LBB315_801:
	s_mov_b64 s[2:3], 0
.LBB315_802:
	s_andn2_b64 vcc, exec, s[2:3]
	s_cbranch_vccnz .LBB315_806
; %bb.803:
	global_load_sshort v4, v[0:1], off
	s_movk_i32 s2, 0xff
	s_waitcnt vmcnt(0)
	v_cvt_f32_i32_e32 v5, v4
	v_mov_b32_e32 v4, 0xff
	v_bfe_u32 v6, v5, 23, 8
	v_cmp_ne_u32_e32 vcc, s2, v6
	s_and_saveexec_b64 s[4:5], vcc
; %bb.804:
	s_mov_b32 s2, 0x3fffff
	v_lshrrev_b32_e32 v4, 23, v5
	v_and_b32_e32 v7, 0x400000, v5
	v_and_or_b32 v5, v5, s2, v6
	v_cmp_ne_u32_e32 vcc, 0, v7
	v_cmp_ne_u32_e64 s[2:3], 0, v5
	s_and_b64 s[2:3], vcc, s[2:3]
	v_cndmask_b32_e64 v5, 0, 1, s[2:3]
	v_add_u32_e32 v4, v4, v5
; %bb.805:
	s_or_b64 exec, exec, s[4:5]
.LBB315_806:
	s_mov_b64 s[2:3], 0
.LBB315_807:
	s_andn2_b64 vcc, exec, s[2:3]
	s_cbranch_vccnz .LBB315_817
; %bb.808:
	s_cmp_gt_i32 s34, 0
	s_cbranch_scc0 .LBB315_812
; %bb.809:
	global_load_sbyte v4, v[0:1], off
	s_movk_i32 s2, 0xff
	s_waitcnt vmcnt(0)
	v_cvt_f32_i32_e32 v5, v4
	v_mov_b32_e32 v4, 0xff
	v_bfe_u32 v6, v5, 23, 8
	v_cmp_ne_u32_e32 vcc, s2, v6
	s_and_saveexec_b64 s[4:5], vcc
; %bb.810:
	s_mov_b32 s2, 0x3fffff
	v_lshrrev_b32_e32 v4, 23, v5
	v_and_b32_e32 v7, 0x400000, v5
	v_and_or_b32 v5, v5, s2, v6
	v_cmp_ne_u32_e32 vcc, 0, v7
	v_cmp_ne_u32_e64 s[2:3], 0, v5
	s_and_b64 s[2:3], vcc, s[2:3]
	v_cndmask_b32_e64 v5, 0, 1, s[2:3]
	v_add_u32_e32 v4, v4, v5
; %bb.811:
	s_or_b64 exec, exec, s[4:5]
	s_mov_b64 s[2:3], 0
	s_branch .LBB315_813
.LBB315_812:
	s_mov_b64 s[2:3], -1
                                        ; implicit-def: $vgpr4
.LBB315_813:
	s_andn2_b64 vcc, exec, s[2:3]
	s_cbranch_vccnz .LBB315_817
; %bb.814:
	global_load_ubyte v0, v[0:1], off
	s_movk_i32 s2, 0xff
	s_waitcnt vmcnt(1)
	v_mov_b32_e32 v4, 0xff
	s_waitcnt vmcnt(0)
	v_cvt_f32_ubyte0_e32 v1, v0
	v_lshrrev_b32_e32 v0, 23, v1
	v_cmp_ne_u32_e32 vcc, s2, v0
	s_and_saveexec_b64 s[4:5], vcc
; %bb.815:
	s_mov_b32 s2, 0x3fffff
	v_and_b32_e32 v4, 0x400000, v1
	v_and_or_b32 v1, v1, s2, v0
	v_cmp_ne_u32_e32 vcc, 0, v4
	v_cmp_ne_u32_e64 s[2:3], 0, v1
	s_and_b64 s[2:3], vcc, s[2:3]
	v_cndmask_b32_e64 v1, 0, 1, s[2:3]
	v_add_u32_e32 v4, v0, v1
; %bb.816:
	s_or_b64 exec, exec, s[4:5]
.LBB315_817:
	s_mov_b64 s[2:3], -1
.LBB315_818:
	s_andn2_b64 vcc, exec, s[2:3]
	s_cbranch_vccnz .LBB315_826
; %bb.819:
	s_movk_i32 s2, 0xff
	v_mov_b32_e32 v0, 23
	s_waitcnt vmcnt(0)
	v_lshlrev_b32_sdwa v1, v0, v3 dst_sel:DWORD dst_unused:UNUSED_PAD src0_sel:DWORD src1_sel:BYTE_0
	v_mov_b32_e32 v5, 0x7f800001
	v_cmp_ne_u16_sdwa vcc, v3, s2 src0_sel:BYTE_0 src1_sel:DWORD
	v_mov_b32_e32 v6, 0
	v_cndmask_b32_e32 v1, v5, v1, vcc
	v_mov_b32_e32 v7, 0x400000
	v_cmp_ne_u16_sdwa vcc, v3, v6 src0_sel:BYTE_0 src1_sel:DWORD
	v_cndmask_b32_e32 v1, v7, v1, vcc
	v_lshlrev_b32_sdwa v0, v0, v4 dst_sel:DWORD dst_unused:UNUSED_PAD src0_sel:DWORD src1_sel:BYTE_0
	v_cmp_ne_u16_sdwa vcc, v4, s2 src0_sel:BYTE_0 src1_sel:DWORD
	v_cndmask_b32_e32 v0, v5, v0, vcc
	v_cmp_ne_u16_sdwa vcc, v4, v6 src0_sel:BYTE_0 src1_sel:DWORD
	v_cndmask_b32_e32 v0, v7, v0, vcc
	v_cmp_eq_f32_e32 vcc, v1, v0
	v_cndmask_b32_e64 v3, 0, 1, vcc
	v_cmp_neq_f32_e32 vcc, v1, v0
	v_mul_lo_u32 v1, v2, s12
	v_cndmask_b32_e64 v0, 0, 1, vcc
	v_cndmask_b32_e64 v0, v0, v3, s[0:1]
	v_and_b32_e32 v0, 1, v0
	v_cmp_eq_u32_e64 s[2:3], 1, v0
	v_ashrrev_i32_e32 v3, 31, v1
	v_mov_b32_e32 v4, s9
	s_and_b32 s42, s33, 0xff
	v_add_co_u32_e32 v0, vcc, s8, v1
	s_cmp_lt_i32 s42, 11
	v_addc_co_u32_e32 v1, vcc, v4, v3, vcc
	s_cbranch_scc1 .LBB315_827
; %bb.820:
	s_and_b32 s43, 0xffff, s42
	s_cmp_gt_i32 s43, 25
	s_cbranch_scc0 .LBB315_828
; %bb.821:
	s_cmp_gt_i32 s43, 28
	s_cbranch_scc0 .LBB315_829
; %bb.822:
	;; [unrolled: 3-line block ×4, first 2 shown]
	s_mov_b64 s[38:39], 0
	s_mov_b64 s[4:5], -1
	s_cmp_eq_u32 s43, 46
	s_mov_b64 s[34:35], 0
	s_cbranch_scc0 .LBB315_832
; %bb.825:
	v_cndmask_b32_e64 v3, 0, 1.0, s[2:3]
	v_bfe_u32 v4, v3, 16, 1
	s_movk_i32 s4, 0x7fff
	v_add3_u32 v3, v3, v4, s4
	v_lshrrev_b32_e32 v3, 16, v3
	global_store_dword v[0:1], v3, off
	s_mov_b64 s[34:35], -1
	s_mov_b64 s[4:5], 0
	s_branch .LBB315_832
.LBB315_826:
	s_mov_b64 s[2:3], 0
                                        ; implicit-def: $vgpr2
	s_mov_b64 s[4:5], s[20:21]
	s_branch .LBB315_942
.LBB315_827:
	s_mov_b64 s[38:39], -1
	s_mov_b64 s[34:35], 0
	s_mov_b64 s[4:5], s[20:21]
	s_branch .LBB315_901
.LBB315_828:
	s_mov_b64 s[38:39], -1
	s_mov_b64 s[34:35], 0
	s_mov_b64 s[4:5], s[20:21]
	s_branch .LBB315_859
.LBB315_829:
	s_mov_b64 s[38:39], -1
	s_mov_b64 s[34:35], 0
	s_mov_b64 s[4:5], s[20:21]
	s_branch .LBB315_842
.LBB315_830:
	s_mov_b64 s[38:39], -1
	s_mov_b64 s[34:35], 0
	s_mov_b64 s[4:5], s[20:21]
	s_branch .LBB315_838
.LBB315_831:
	s_mov_b64 s[38:39], -1
	s_mov_b64 s[34:35], 0
	s_mov_b64 s[4:5], s[20:21]
.LBB315_832:
	s_and_b64 vcc, exec, s[38:39]
	s_cbranch_vccz .LBB315_837
; %bb.833:
	s_cmp_eq_u32 s43, 44
	s_mov_b64 s[4:5], -1
	s_cbranch_scc0 .LBB315_837
; %bb.834:
	v_cndmask_b32_e64 v4, 0, 1.0, s[2:3]
	v_lshrrev_b32_e32 v3, 23, v4
	s_movk_i32 s4, 0xff
	v_cmp_ne_u32_e32 vcc, s4, v3
	v_mov_b32_e32 v5, 0xff
	s_and_saveexec_b64 s[34:35], vcc
; %bb.835:
	s_mov_b32 s4, 0x3fffff
	v_and_b32_e32 v5, 0x400000, v4
	v_and_or_b32 v4, v4, s4, v3
	v_cmp_ne_u32_e32 vcc, 0, v5
	v_cmp_ne_u32_e64 s[4:5], 0, v4
	s_and_b64 s[4:5], vcc, s[4:5]
	v_cndmask_b32_e64 v4, 0, 1, s[4:5]
	v_add_u32_e32 v5, v3, v4
; %bb.836:
	s_or_b64 exec, exec, s[34:35]
	s_mov_b64 s[34:35], -1
	s_mov_b64 s[4:5], 0
	global_store_byte v[0:1], v5, off
.LBB315_837:
	s_mov_b64 s[38:39], 0
.LBB315_838:
	s_and_b64 vcc, exec, s[38:39]
	s_cbranch_vccz .LBB315_841
; %bb.839:
	s_cmp_eq_u32 s43, 29
	s_mov_b64 s[4:5], -1
	s_cbranch_scc0 .LBB315_841
; %bb.840:
	s_mov_b32 s4, 0
	v_cndmask_b32_e64 v3, 0, 1, s[2:3]
	v_mov_b32_e32 v4, s4
	global_store_dwordx2 v[0:1], v[3:4], off
	s_mov_b64 s[34:35], -1
	s_mov_b64 s[4:5], 0
.LBB315_841:
	s_mov_b64 s[38:39], 0
.LBB315_842:
	s_and_b64 vcc, exec, s[38:39]
	s_cbranch_vccz .LBB315_858
; %bb.843:
	s_cmp_lt_i32 s43, 27
	s_mov_b64 s[34:35], -1
	s_cbranch_scc1 .LBB315_849
; %bb.844:
	s_cmp_gt_i32 s43, 27
	s_cbranch_scc0 .LBB315_846
; %bb.845:
	v_cndmask_b32_e64 v3, 0, 1, s[2:3]
	s_mov_b64 s[34:35], 0
	global_store_dword v[0:1], v3, off
.LBB315_846:
	s_andn2_b64 vcc, exec, s[34:35]
	s_cbranch_vccnz .LBB315_848
; %bb.847:
	v_cndmask_b32_e64 v3, 0, 1, s[2:3]
	global_store_short v[0:1], v3, off
.LBB315_848:
	s_mov_b64 s[34:35], 0
.LBB315_849:
	s_andn2_b64 vcc, exec, s[34:35]
	s_cbranch_vccnz .LBB315_857
; %bb.850:
	v_cndmask_b32_e64 v4, 0, 1.0, s[2:3]
	s_mov_b32 s34, 0x43800000
	v_cmp_gt_u32_e32 vcc, s34, v4
	v_mov_b32_e32 v5, 0x80
	s_and_saveexec_b64 s[34:35], vcc
	s_cbranch_execz .LBB315_856
; %bb.851:
	s_mov_b32 s38, 0x3bffffff
	v_cmp_lt_u32_e32 vcc, s38, v4
	s_mov_b64 s[38:39], 0
                                        ; implicit-def: $vgpr3
	s_and_saveexec_b64 s[40:41], vcc
	s_xor_b64 s[40:41], exec, s[40:41]
	s_cbranch_execz .LBB315_960
; %bb.852:
	v_bfe_u32 v3, v4, 20, 1
	s_mov_b32 s44, 0x487ffff
	v_add3_u32 v3, v4, v3, s44
	s_mov_b64 s[38:39], exec
	v_lshrrev_b32_e32 v3, 20, v3
                                        ; implicit-def: $vgpr4
	s_andn2_saveexec_b64 s[40:41], s[40:41]
	s_cbranch_execnz .LBB315_961
.LBB315_853:
	s_or_b64 exec, exec, s[40:41]
	v_mov_b32_e32 v5, 0
	s_and_saveexec_b64 s[40:41], s[38:39]
.LBB315_854:
	v_mov_b32_e32 v5, v3
.LBB315_855:
	s_or_b64 exec, exec, s[40:41]
.LBB315_856:
	s_or_b64 exec, exec, s[34:35]
	global_store_byte v[0:1], v5, off
.LBB315_857:
	s_mov_b64 s[34:35], -1
.LBB315_858:
	s_mov_b64 s[38:39], 0
.LBB315_859:
	s_and_b64 vcc, exec, s[38:39]
	s_cbranch_vccz .LBB315_900
; %bb.860:
	s_cmp_gt_i32 s43, 22
	s_mov_b64 s[38:39], -1
	s_cbranch_scc0 .LBB315_892
; %bb.861:
	s_cmp_lt_i32 s43, 24
	s_mov_b64 s[34:35], -1
	s_cbranch_scc1 .LBB315_881
; %bb.862:
	s_cmp_gt_i32 s43, 24
	s_cbranch_scc0 .LBB315_870
; %bb.863:
	v_cndmask_b32_e64 v4, 0, 1.0, s[2:3]
	s_mov_b32 s34, 0x47800000
	v_cmp_gt_u32_e32 vcc, s34, v4
	v_mov_b32_e32 v5, 0x80
	s_and_saveexec_b64 s[34:35], vcc
	s_cbranch_execz .LBB315_869
; %bb.864:
	s_mov_b32 s38, 0x37ffffff
	v_cmp_lt_u32_e32 vcc, s38, v4
	s_mov_b64 s[38:39], 0
                                        ; implicit-def: $vgpr3
	s_and_saveexec_b64 s[40:41], vcc
	s_xor_b64 s[40:41], exec, s[40:41]
	s_cbranch_execz .LBB315_1135
; %bb.865:
	v_bfe_u32 v3, v4, 21, 1
	s_mov_b32 s44, 0x88fffff
	v_add3_u32 v3, v4, v3, s44
	s_mov_b64 s[38:39], exec
	v_lshrrev_b32_e32 v3, 21, v3
                                        ; implicit-def: $vgpr4
	s_andn2_saveexec_b64 s[40:41], s[40:41]
	s_cbranch_execnz .LBB315_1136
.LBB315_866:
	s_or_b64 exec, exec, s[40:41]
	v_mov_b32_e32 v5, 0
	s_and_saveexec_b64 s[40:41], s[38:39]
.LBB315_867:
	v_mov_b32_e32 v5, v3
.LBB315_868:
	s_or_b64 exec, exec, s[40:41]
.LBB315_869:
	s_or_b64 exec, exec, s[34:35]
	s_mov_b64 s[34:35], 0
	global_store_byte v[0:1], v5, off
.LBB315_870:
	s_and_b64 vcc, exec, s[34:35]
	s_cbranch_vccz .LBB315_880
; %bb.871:
	v_cndmask_b32_e64 v3, 0, 1.0, s[2:3]
	s_mov_b32 s34, 0x43f00000
	v_cmp_gt_u32_e32 vcc, s34, v3
                                        ; implicit-def: $vgpr4
	s_and_saveexec_b64 s[34:35], vcc
	s_xor_b64 s[34:35], exec, s[34:35]
	s_cbranch_execz .LBB315_877
; %bb.872:
	s_mov_b32 s38, 0x3c7fffff
	v_cmp_lt_u32_e32 vcc, s38, v3
                                        ; implicit-def: $vgpr4
	s_and_saveexec_b64 s[38:39], vcc
	s_xor_b64 s[38:39], exec, s[38:39]
; %bb.873:
	v_bfe_u32 v4, v3, 20, 1
	s_mov_b32 s40, 0x407ffff
	v_add3_u32 v3, v3, v4, s40
	v_lshrrev_b32_e32 v4, 20, v3
	v_and_b32_e32 v3, 0xff00000, v3
	s_mov_b32 s40, 0x7f00000
	v_mov_b32_e32 v5, 0x7e
	v_cmp_ne_u32_e32 vcc, s40, v3
	v_cndmask_b32_e32 v4, v5, v4, vcc
                                        ; implicit-def: $vgpr3
; %bb.874:
	s_andn2_saveexec_b64 s[38:39], s[38:39]
; %bb.875:
	v_add_f32_e32 v4, 0x46800000, v3
; %bb.876:
	s_or_b64 exec, exec, s[38:39]
                                        ; implicit-def: $vgpr3
.LBB315_877:
	s_andn2_saveexec_b64 s[34:35], s[34:35]
; %bb.878:
	s_mov_b32 s38, 0x7f800000
	v_mov_b32_e32 v4, 0x7e
	v_mov_b32_e32 v5, 0x7f
	v_cmp_lt_u32_e32 vcc, s38, v3
	v_cndmask_b32_e32 v4, v4, v5, vcc
; %bb.879:
	s_or_b64 exec, exec, s[34:35]
	global_store_byte v[0:1], v4, off
.LBB315_880:
	s_mov_b64 s[34:35], 0
.LBB315_881:
	s_andn2_b64 vcc, exec, s[34:35]
	s_cbranch_vccnz .LBB315_891
; %bb.882:
	v_cndmask_b32_e64 v3, 0, 1.0, s[2:3]
	s_mov_b32 s34, 0x47800000
	v_cmp_gt_u32_e32 vcc, s34, v3
                                        ; implicit-def: $vgpr4
	s_and_saveexec_b64 s[34:35], vcc
	s_xor_b64 s[34:35], exec, s[34:35]
	s_cbranch_execz .LBB315_888
; %bb.883:
	s_mov_b32 s38, 0x387fffff
	v_cmp_lt_u32_e32 vcc, s38, v3
                                        ; implicit-def: $vgpr4
	s_and_saveexec_b64 s[38:39], vcc
	s_xor_b64 s[38:39], exec, s[38:39]
; %bb.884:
	v_bfe_u32 v4, v3, 21, 1
	s_mov_b32 s40, 0x80fffff
	v_add3_u32 v3, v3, v4, s40
	v_lshrrev_b32_e32 v4, 21, v3
                                        ; implicit-def: $vgpr3
; %bb.885:
	s_andn2_saveexec_b64 s[38:39], s[38:39]
; %bb.886:
	v_add_f32_e32 v4, 0x43000000, v3
; %bb.887:
	s_or_b64 exec, exec, s[38:39]
                                        ; implicit-def: $vgpr3
.LBB315_888:
	s_andn2_saveexec_b64 s[34:35], s[34:35]
; %bb.889:
	s_mov_b32 s38, 0x7f800000
	v_mov_b32_e32 v4, 0x7c
	v_mov_b32_e32 v5, 0x7f
	v_cmp_lt_u32_e32 vcc, s38, v3
	v_cndmask_b32_e32 v4, v4, v5, vcc
; %bb.890:
	s_or_b64 exec, exec, s[34:35]
	global_store_byte v[0:1], v4, off
.LBB315_891:
	s_mov_b64 s[38:39], 0
	s_mov_b64 s[34:35], -1
.LBB315_892:
	s_andn2_b64 vcc, exec, s[38:39]
	s_cbranch_vccnz .LBB315_900
; %bb.893:
	s_cmp_gt_i32 s43, 14
	s_mov_b64 s[38:39], -1
	s_cbranch_scc0 .LBB315_897
; %bb.894:
	s_cmp_eq_u32 s43, 15
	s_mov_b64 s[4:5], -1
	s_cbranch_scc0 .LBB315_896
; %bb.895:
	v_cndmask_b32_e64 v3, 0, 1.0, s[2:3]
	v_bfe_u32 v4, v3, 16, 1
	s_movk_i32 s4, 0x7fff
	v_add3_u32 v3, v3, v4, s4
	global_store_short_d16_hi v[0:1], v3, off
	s_mov_b64 s[34:35], -1
	s_mov_b64 s[4:5], 0
.LBB315_896:
	s_mov_b64 s[38:39], 0
.LBB315_897:
	s_and_b64 vcc, exec, s[38:39]
	s_cbranch_vccz .LBB315_900
; %bb.898:
	s_cmp_eq_u32 s43, 11
	s_mov_b64 s[4:5], -1
	s_cbranch_scc0 .LBB315_900
; %bb.899:
	v_cndmask_b32_e64 v3, 0, 1, s[2:3]
	s_mov_b64 s[34:35], -1
	s_mov_b64 s[4:5], 0
	global_store_byte v[0:1], v3, off
.LBB315_900:
	s_mov_b64 s[38:39], 0
.LBB315_901:
	s_and_b64 vcc, exec, s[38:39]
	s_cbranch_vccz .LBB315_940
; %bb.902:
	s_and_b32 s38, 0xffff, s42
	s_cmp_lt_i32 s38, 5
	s_mov_b64 s[34:35], -1
	s_cbranch_scc1 .LBB315_923
; %bb.903:
	s_cmp_lt_i32 s38, 8
	s_cbranch_scc1 .LBB315_913
; %bb.904:
	s_cmp_lt_i32 s38, 9
	s_cbranch_scc1 .LBB315_910
; %bb.905:
	s_cmp_gt_i32 s38, 9
	s_cbranch_scc0 .LBB315_907
; %bb.906:
	v_cndmask_b32_e64 v3, 0, 1, s[2:3]
	v_cvt_f64_u32_e32 v[3:4], v3
	v_mov_b32_e32 v5, 0
	v_mov_b32_e32 v6, v5
	s_mov_b64 s[34:35], 0
	global_store_dwordx4 v[0:1], v[3:6], off
.LBB315_907:
	s_andn2_b64 vcc, exec, s[34:35]
	s_cbranch_vccnz .LBB315_909
; %bb.908:
	v_cndmask_b32_e64 v3, 0, 1.0, s[2:3]
	v_mov_b32_e32 v4, 0
	global_store_dwordx2 v[0:1], v[3:4], off
.LBB315_909:
	s_mov_b64 s[34:35], 0
.LBB315_910:
	s_andn2_b64 vcc, exec, s[34:35]
	s_cbranch_vccnz .LBB315_912
; %bb.911:
	v_cndmask_b32_e64 v3, 0, 1.0, s[2:3]
	v_cvt_f16_f32_e32 v3, v3
	global_store_dword v[0:1], v3, off
.LBB315_912:
	s_mov_b64 s[34:35], 0
.LBB315_913:
	s_andn2_b64 vcc, exec, s[34:35]
	s_cbranch_vccnz .LBB315_922
; %bb.914:
	s_cmp_lt_i32 s38, 6
	s_mov_b64 s[34:35], -1
	s_cbranch_scc1 .LBB315_920
; %bb.915:
	s_cmp_gt_i32 s38, 6
	s_cbranch_scc0 .LBB315_917
; %bb.916:
	v_cndmask_b32_e64 v3, 0, 1, s[2:3]
	v_cvt_f64_u32_e32 v[3:4], v3
	s_mov_b64 s[34:35], 0
	global_store_dwordx2 v[0:1], v[3:4], off
.LBB315_917:
	s_andn2_b64 vcc, exec, s[34:35]
	s_cbranch_vccnz .LBB315_919
; %bb.918:
	v_cndmask_b32_e64 v3, 0, 1.0, s[2:3]
	global_store_dword v[0:1], v3, off
.LBB315_919:
	s_mov_b64 s[34:35], 0
.LBB315_920:
	s_andn2_b64 vcc, exec, s[34:35]
	s_cbranch_vccnz .LBB315_922
; %bb.921:
	v_cndmask_b32_e64 v3, 0, 1.0, s[2:3]
	v_cvt_f16_f32_e32 v3, v3
	global_store_short v[0:1], v3, off
.LBB315_922:
	s_mov_b64 s[34:35], 0
.LBB315_923:
	s_andn2_b64 vcc, exec, s[34:35]
	s_cbranch_vccnz .LBB315_939
; %bb.924:
	s_cmp_lt_i32 s38, 2
	s_mov_b64 s[34:35], -1
	s_cbranch_scc1 .LBB315_934
; %bb.925:
	s_cmp_lt_i32 s38, 3
	s_cbranch_scc1 .LBB315_931
; %bb.926:
	s_cmp_gt_i32 s38, 3
	s_cbranch_scc0 .LBB315_928
; %bb.927:
	s_mov_b32 s34, 0
	v_cndmask_b32_e64 v3, 0, 1, s[2:3]
	v_mov_b32_e32 v4, s34
	s_mov_b64 s[34:35], 0
	global_store_dwordx2 v[0:1], v[3:4], off
.LBB315_928:
	s_andn2_b64 vcc, exec, s[34:35]
	s_cbranch_vccnz .LBB315_930
; %bb.929:
	v_cndmask_b32_e64 v3, 0, 1, s[2:3]
	global_store_dword v[0:1], v3, off
.LBB315_930:
	s_mov_b64 s[34:35], 0
.LBB315_931:
	s_andn2_b64 vcc, exec, s[34:35]
	s_cbranch_vccnz .LBB315_933
; %bb.932:
	v_cndmask_b32_e64 v3, 0, 1, s[2:3]
	global_store_short v[0:1], v3, off
.LBB315_933:
	s_mov_b64 s[34:35], 0
.LBB315_934:
	s_andn2_b64 vcc, exec, s[34:35]
	s_cbranch_vccnz .LBB315_939
; %bb.935:
	s_mov_b64 s[34:35], -1
	s_cmp_gt_i32 s38, 0
	v_cndmask_b32_e64 v3, 0, 1, s[2:3]
	s_cbranch_scc0 .LBB315_937
; %bb.936:
	s_mov_b64 s[34:35], 0
	global_store_byte v[0:1], v3, off
.LBB315_937:
	s_andn2_b64 vcc, exec, s[34:35]
	s_cbranch_vccnz .LBB315_939
; %bb.938:
	global_store_byte v[0:1], v3, off
.LBB315_939:
	s_mov_b64 s[34:35], -1
.LBB315_940:
	s_andn2_b64 vcc, exec, s[34:35]
	s_cbranch_vccnz .LBB315_955
; %bb.941:
	v_add_u32_e32 v2, 0x80, v2
	s_mov_b64 s[2:3], -1
.LBB315_942:
	s_andn2_b64 s[34:35], s[20:21], exec
	s_and_b64 s[4:5], s[4:5], exec
	s_or_b64 s[34:35], s[34:35], s[4:5]
	s_andn2_b64 s[4:5], s[22:23], exec
	s_and_b64 s[30:31], s[30:31], exec
	s_or_b64 s[30:31], s[4:5], s[30:31]
	s_andn2_b64 s[4:5], s[24:25], exec
	s_and_b64 s[28:29], s[28:29], exec
	s_or_b64 s[28:29], s[4:5], s[28:29]
	s_orn2_b64 s[4:5], s[2:3], exec
.LBB315_943:
	s_or_b64 exec, exec, s[36:37]
	s_mov_b64 s[2:3], 0
	s_mov_b64 s[38:39], 0
	;; [unrolled: 1-line block ×3, first 2 shown]
                                        ; implicit-def: $sgpr56
                                        ; implicit-def: $vgpr0_vgpr1
                                        ; implicit-def: $vgpr3
	s_and_saveexec_b64 s[36:37], s[4:5]
	s_cbranch_execz .LBB315_1520
; %bb.944:
	v_cmp_gt_i32_e32 vcc, s50, v2
	s_mov_b64 s[48:49], -1
	s_mov_b64 s[4:5], s[28:29]
	s_mov_b64 s[42:43], s[30:31]
	;; [unrolled: 1-line block ×3, first 2 shown]
	s_and_saveexec_b64 s[38:39], vcc
	s_cbranch_execz .LBB315_1417
; %bb.945:
	v_mul_lo_u32 v0, v2, s13
	v_mov_b32_e32 v1, s11
	s_and_b32 s44, s55, 0xff
	s_cmp_lt_i32 s44, 11
	s_waitcnt vmcnt(0)
	v_ashrrev_i32_e32 v3, 31, v0
	v_add_co_u32_e32 v0, vcc, s10, v0
	v_addc_co_u32_e32 v1, vcc, v1, v3, vcc
	s_cbranch_scc1 .LBB315_954
; %bb.946:
	s_and_b32 s45, 0xffff, s44
	s_cmp_gt_i32 s45, 25
	s_cbranch_scc0 .LBB315_956
; %bb.947:
	s_cmp_gt_i32 s45, 28
	s_cbranch_scc0 .LBB315_957
; %bb.948:
	;; [unrolled: 3-line block ×4, first 2 shown]
	s_cmp_eq_u32 s45, 46
	s_mov_b64 s[4:5], 0
	s_cbranch_scc0 .LBB315_962
; %bb.951:
	global_load_dword v4, v[0:1], off
	s_movk_i32 s2, 0xff
	v_mov_b32_e32 v3, 0xff
	s_waitcnt vmcnt(0)
	v_lshlrev_b32_e32 v5, 16, v4
	v_bfe_u32 v6, v5, 23, 8
	v_cmp_ne_u32_e32 vcc, s2, v6
	s_and_saveexec_b64 s[40:41], vcc
; %bb.952:
	v_bfe_u32 v3, v4, 7, 9
	v_and_b32_e32 v4, 64, v4
	s_mov_b32 s2, 0x3f0000
	v_cmp_ne_u32_e32 vcc, 0, v4
	v_and_or_b32 v4, v5, s2, v6
	v_cmp_ne_u32_e64 s[2:3], 0, v4
	s_and_b64 s[2:3], vcc, s[2:3]
	v_cndmask_b32_e64 v4, 0, 1, s[2:3]
	v_add_u32_e32 v3, v3, v4
; %bb.953:
	s_or_b64 exec, exec, s[40:41]
	s_mov_b64 s[2:3], -1
	s_mov_b64 s[40:41], 0
	s_branch .LBB315_964
.LBB315_954:
	s_mov_b64 s[4:5], -1
                                        ; implicit-def: $vgpr3
	s_mov_b64 s[40:41], s[28:29]
	s_branch .LBB315_1047
.LBB315_955:
	s_mov_b64 s[2:3], 0
	s_branch .LBB315_660
.LBB315_956:
	s_mov_b64 s[4:5], -1
	s_mov_b64 s[40:41], s[28:29]
                                        ; implicit-def: $vgpr3
	s_branch .LBB315_1001
.LBB315_957:
	s_mov_b64 s[4:5], -1
	s_mov_b64 s[40:41], s[28:29]
                                        ; implicit-def: $vgpr3
	s_branch .LBB315_976
.LBB315_958:
	s_mov_b64 s[4:5], -1
	s_mov_b64 s[40:41], s[28:29]
                                        ; implicit-def: $vgpr3
	s_branch .LBB315_969
.LBB315_959:
	s_mov_b64 s[4:5], -1
	s_mov_b64 s[40:41], s[28:29]
	s_branch .LBB315_963
.LBB315_960:
	s_andn2_saveexec_b64 s[40:41], s[40:41]
	s_cbranch_execz .LBB315_853
.LBB315_961:
	v_add_f32_e32 v3, 0x46000000, v4
	v_and_b32_e32 v3, 0xff, v3
	v_cmp_ne_u32_e32 vcc, 0, v3
	s_andn2_b64 s[38:39], s[38:39], exec
	s_and_b64 s[44:45], vcc, exec
	s_or_b64 s[38:39], s[38:39], s[44:45]
	s_or_b64 exec, exec, s[40:41]
	v_mov_b32_e32 v5, 0
	s_and_saveexec_b64 s[40:41], s[38:39]
	s_cbranch_execnz .LBB315_854
	s_branch .LBB315_855
.LBB315_962:
	s_mov_b64 s[40:41], -1
.LBB315_963:
                                        ; implicit-def: $vgpr3
.LBB315_964:
	s_and_b64 vcc, exec, s[4:5]
	s_cbranch_vccz .LBB315_968
; %bb.965:
	s_cmp_eq_u32 s45, 44
	s_cbranch_scc0 .LBB315_967
; %bb.966:
	global_load_ubyte v3, v[0:1], off
	s_mov_b64 s[2:3], -1
	s_mov_b64 s[40:41], 0
	s_branch .LBB315_968
.LBB315_967:
	s_mov_b64 s[40:41], -1
                                        ; implicit-def: $vgpr3
.LBB315_968:
	s_mov_b64 s[4:5], 0
.LBB315_969:
	s_and_b64 vcc, exec, s[4:5]
	s_cbranch_vccz .LBB315_975
; %bb.970:
	s_cmp_eq_u32 s45, 29
	s_cbranch_scc0 .LBB315_974
; %bb.971:
	global_load_dwordx2 v[3:4], v[0:1], off
	s_movk_i32 s2, 0xff
	s_waitcnt vmcnt(0)
	v_ffbh_u32_e32 v5, v4
	v_min_u32_e32 v5, 32, v5
	v_lshlrev_b64 v[3:4], v5, v[3:4]
	v_min_u32_e32 v3, 1, v3
	v_or_b32_e32 v3, v4, v3
	v_cvt_f32_u32_e32 v3, v3
	v_sub_u32_e32 v4, 32, v5
	v_ldexp_f32 v5, v3, v4
	v_lshrrev_b32_e32 v4, 23, v5
	v_cmp_ne_u32_e32 vcc, s2, v4
	v_mov_b32_e32 v3, 0xff
	s_and_saveexec_b64 s[4:5], vcc
; %bb.972:
	v_and_b32_e32 v3, 0x400000, v5
	s_mov_b32 s2, 0x3fffff
	v_cmp_ne_u32_e32 vcc, 0, v3
	v_and_or_b32 v3, v5, s2, v4
	v_cmp_ne_u32_e64 s[2:3], 0, v3
	s_and_b64 s[2:3], vcc, s[2:3]
	v_cndmask_b32_e64 v3, 0, 1, s[2:3]
	v_add_u32_e32 v3, v4, v3
; %bb.973:
	s_or_b64 exec, exec, s[4:5]
	s_mov_b64 s[2:3], -1
	s_mov_b64 s[40:41], 0
	s_branch .LBB315_975
.LBB315_974:
	s_mov_b64 s[40:41], -1
                                        ; implicit-def: $vgpr3
.LBB315_975:
	s_mov_b64 s[4:5], 0
.LBB315_976:
	s_and_b64 vcc, exec, s[4:5]
	s_cbranch_vccz .LBB315_1000
; %bb.977:
	s_cmp_lt_i32 s45, 27
	s_cbranch_scc1 .LBB315_982
; %bb.978:
	s_cmp_gt_i32 s45, 27
	s_cbranch_scc0 .LBB315_983
; %bb.979:
	global_load_dword v3, v[0:1], off
	s_movk_i32 s2, 0xff
	s_waitcnt vmcnt(0)
	v_cvt_f32_u32_e32 v5, v3
	v_mov_b32_e32 v3, 0xff
	v_lshrrev_b32_e32 v4, 23, v5
	v_cmp_ne_u32_e32 vcc, s2, v4
	s_and_saveexec_b64 s[4:5], vcc
; %bb.980:
	v_and_b32_e32 v3, 0x400000, v5
	s_mov_b32 s2, 0x3fffff
	v_cmp_ne_u32_e32 vcc, 0, v3
	v_and_or_b32 v3, v5, s2, v4
	v_cmp_ne_u32_e64 s[2:3], 0, v3
	s_and_b64 s[2:3], vcc, s[2:3]
	v_cndmask_b32_e64 v3, 0, 1, s[2:3]
	v_add_u32_e32 v3, v4, v3
; %bb.981:
	s_or_b64 exec, exec, s[4:5]
	s_mov_b64 s[2:3], 0
	s_branch .LBB315_984
.LBB315_982:
	s_mov_b64 s[2:3], -1
                                        ; implicit-def: $vgpr3
	s_branch .LBB315_989
.LBB315_983:
	s_mov_b64 s[2:3], -1
                                        ; implicit-def: $vgpr3
.LBB315_984:
	s_andn2_b64 vcc, exec, s[2:3]
	s_cbranch_vccnz .LBB315_988
; %bb.985:
	global_load_ushort v3, v[0:1], off
	s_movk_i32 s2, 0xff
	s_waitcnt vmcnt(0)
	v_cvt_f32_u32_e32 v5, v3
	v_mov_b32_e32 v3, 0xff
	v_lshrrev_b32_e32 v4, 23, v5
	v_cmp_ne_u32_e32 vcc, s2, v4
	s_and_saveexec_b64 s[4:5], vcc
; %bb.986:
	v_and_b32_e32 v3, 0x400000, v5
	s_mov_b32 s2, 0x3fffff
	v_cmp_ne_u32_e32 vcc, 0, v3
	v_and_or_b32 v3, v5, s2, v4
	v_cmp_ne_u32_e64 s[2:3], 0, v3
	s_and_b64 s[2:3], vcc, s[2:3]
	v_cndmask_b32_e64 v3, 0, 1, s[2:3]
	v_add_u32_e32 v3, v4, v3
; %bb.987:
	s_or_b64 exec, exec, s[4:5]
.LBB315_988:
	s_mov_b64 s[2:3], 0
.LBB315_989:
	s_andn2_b64 vcc, exec, s[2:3]
	s_cbranch_vccnz .LBB315_999
; %bb.990:
	global_load_ubyte v3, v[0:1], off
	s_movk_i32 s2, 0x7f
	s_waitcnt vmcnt(0)
	v_cmp_lt_i16_e32 vcc, s2, v3
	s_mov_b64 s[2:3], 0
	s_and_saveexec_b64 s[4:5], vcc
	s_xor_b64 s[4:5], exec, s[4:5]
	s_cbranch_execz .LBB315_1015
; %bb.991:
	s_movk_i32 s2, 0x80
	v_cmp_eq_u16_e32 vcc, s2, v3
	s_mov_b64 s[2:3], -1
	s_and_saveexec_b64 s[42:43], vcc
; %bb.992:
	s_xor_b64 s[2:3], exec, -1
; %bb.993:
	s_or_b64 exec, exec, s[42:43]
	s_and_b64 s[2:3], s[2:3], exec
	s_or_saveexec_b64 s[4:5], s[4:5]
	v_mov_b32_e32 v4, 0x7f800001
	s_xor_b64 exec, exec, s[4:5]
	s_cbranch_execnz .LBB315_1016
.LBB315_994:
	s_or_b64 exec, exec, s[4:5]
	s_and_saveexec_b64 s[4:5], s[2:3]
	s_cbranch_execz .LBB315_996
.LBB315_995:
	v_and_b32_e32 v3, 0xffff, v3
	v_and_b32_e32 v4, 7, v3
	v_ffbh_u32_e32 v6, v4
	v_min_u32_e32 v6, 32, v6
	v_subrev_u32_e32 v7, 28, v6
	v_bfe_u32 v5, v3, 3, 4
	v_lshlrev_b32_e32 v3, v7, v3
	v_and_b32_e32 v3, 7, v3
	v_cmp_eq_u32_e32 vcc, 0, v5
	v_sub_u32_e32 v6, 29, v6
	v_cndmask_b32_e32 v3, v4, v3, vcc
	v_cndmask_b32_e32 v5, v5, v6, vcc
	v_lshlrev_b32_e32 v3, 20, v3
	v_lshl_or_b32 v3, v5, 23, v3
	v_add_u32_e32 v4, 0x3b800000, v3
.LBB315_996:
	s_or_b64 exec, exec, s[4:5]
	v_lshrrev_b32_e32 v5, 23, v4
	s_movk_i32 s2, 0xff
	v_cmp_ne_u32_e32 vcc, s2, v5
	v_mov_b32_e32 v3, 0xff
	s_and_saveexec_b64 s[4:5], vcc
; %bb.997:
	v_and_b32_e32 v3, 0x400000, v4
	s_mov_b32 s2, 0x3fffff
	v_cmp_ne_u32_e32 vcc, 0, v3
	v_and_or_b32 v3, v4, s2, v5
	v_cmp_ne_u32_e64 s[2:3], 0, v3
	s_and_b64 s[2:3], vcc, s[2:3]
	v_cndmask_b32_e64 v3, 0, 1, s[2:3]
	v_add_u32_e32 v3, v5, v3
; %bb.998:
	s_or_b64 exec, exec, s[4:5]
.LBB315_999:
	s_mov_b64 s[2:3], -1
.LBB315_1000:
	s_mov_b64 s[4:5], 0
.LBB315_1001:
	s_and_b64 vcc, exec, s[4:5]
	s_cbranch_vccz .LBB315_1046
; %bb.1002:
	s_cmp_gt_i32 s45, 22
	s_cbranch_scc0 .LBB315_1014
; %bb.1003:
	s_cmp_lt_i32 s45, 24
	s_cbranch_scc1 .LBB315_1017
; %bb.1004:
	s_cmp_gt_i32 s45, 24
	s_cbranch_scc0 .LBB315_1018
; %bb.1005:
	global_load_ubyte v3, v[0:1], off
	s_movk_i32 s2, 0x7f
	s_waitcnt vmcnt(0)
	v_cmp_lt_i16_e32 vcc, s2, v3
	s_mov_b64 s[2:3], 0
	s_and_saveexec_b64 s[4:5], vcc
	s_xor_b64 s[4:5], exec, s[4:5]
	s_cbranch_execz .LBB315_1036
; %bb.1006:
	s_movk_i32 s2, 0x80
	v_cmp_eq_u16_e32 vcc, s2, v3
	s_mov_b64 s[2:3], -1
	s_and_saveexec_b64 s[42:43], vcc
; %bb.1007:
	s_xor_b64 s[2:3], exec, -1
; %bb.1008:
	s_or_b64 exec, exec, s[42:43]
	s_and_b64 s[2:3], s[2:3], exec
	s_or_saveexec_b64 s[4:5], s[4:5]
	v_mov_b32_e32 v4, 0x7f800001
	s_xor_b64 exec, exec, s[4:5]
	s_cbranch_execnz .LBB315_1037
.LBB315_1009:
	s_or_b64 exec, exec, s[4:5]
	s_and_saveexec_b64 s[4:5], s[2:3]
	s_cbranch_execz .LBB315_1011
.LBB315_1010:
	v_and_b32_e32 v3, 0xffff, v3
	v_and_b32_e32 v4, 3, v3
	v_ffbh_u32_e32 v6, v4
	v_min_u32_e32 v6, 32, v6
	v_subrev_u32_e32 v7, 29, v6
	v_bfe_u32 v5, v3, 2, 5
	v_lshlrev_b32_e32 v3, v7, v3
	v_and_b32_e32 v3, 3, v3
	v_cmp_eq_u32_e32 vcc, 0, v5
	v_sub_u32_e32 v6, 30, v6
	v_cndmask_b32_e32 v3, v4, v3, vcc
	v_cndmask_b32_e32 v5, v5, v6, vcc
	v_lshlrev_b32_e32 v3, 21, v3
	v_lshl_or_b32 v3, v5, 23, v3
	v_add_u32_e32 v4, 0x37800000, v3
.LBB315_1011:
	s_or_b64 exec, exec, s[4:5]
	v_lshrrev_b32_e32 v5, 23, v4
	s_movk_i32 s2, 0xff
	v_cmp_ne_u32_e32 vcc, s2, v5
	v_mov_b32_e32 v3, 0xff
	s_and_saveexec_b64 s[4:5], vcc
; %bb.1012:
	v_and_b32_e32 v3, 0x400000, v4
	s_mov_b32 s2, 0x3fffff
	v_cmp_ne_u32_e32 vcc, 0, v3
	v_and_or_b32 v3, v4, s2, v5
	v_cmp_ne_u32_e64 s[2:3], 0, v3
	s_and_b64 s[2:3], vcc, s[2:3]
	v_cndmask_b32_e64 v3, 0, 1, s[2:3]
	v_add_u32_e32 v3, v5, v3
; %bb.1013:
	s_or_b64 exec, exec, s[4:5]
	s_mov_b64 s[2:3], 0
	s_branch .LBB315_1019
.LBB315_1014:
	s_mov_b64 s[4:5], -1
                                        ; implicit-def: $vgpr3
	s_branch .LBB315_1029
.LBB315_1015:
	s_or_saveexec_b64 s[4:5], s[4:5]
	v_mov_b32_e32 v4, 0x7f800001
	s_xor_b64 exec, exec, s[4:5]
	s_cbranch_execz .LBB315_994
.LBB315_1016:
	v_cmp_ne_u16_e32 vcc, 0, v3
	s_andn2_b64 s[2:3], s[2:3], exec
	s_and_b64 s[42:43], vcc, exec
	v_and_b32_e32 v4, 0xffff, v3
	s_or_b64 s[2:3], s[2:3], s[42:43]
	s_or_b64 exec, exec, s[4:5]
	s_and_saveexec_b64 s[4:5], s[2:3]
	s_cbranch_execnz .LBB315_995
	s_branch .LBB315_996
.LBB315_1017:
	s_mov_b64 s[2:3], -1
                                        ; implicit-def: $vgpr3
	s_branch .LBB315_1024
.LBB315_1018:
	s_mov_b64 s[2:3], -1
                                        ; implicit-def: $vgpr3
.LBB315_1019:
	s_and_b64 vcc, exec, s[2:3]
	s_cbranch_vccz .LBB315_1023
; %bb.1020:
	global_load_ubyte v3, v[0:1], off
	s_mov_b32 s2, 0x7f800000
	s_movk_i32 s3, 0xff
	s_waitcnt vmcnt(0)
	v_lshlrev_b32_e32 v3, 24, v3
	v_and_b32_e32 v3, 0x7f000000, v3
	v_ffbh_u32_e32 v4, v3
	v_min_u32_e32 v4, 32, v4
	v_sub_u32_e64 v4, v4, 4 clamp
	v_lshlrev_b32_e32 v6, v4, v3
	v_lshlrev_b32_e32 v4, 23, v4
	v_lshrrev_b32_e32 v6, 4, v6
	v_add_u32_e32 v5, 0x1000000, v3
	v_sub_u32_e32 v4, v6, v4
	v_ashrrev_i32_e32 v5, 8, v5
	v_add_u32_e32 v4, 0x3c000000, v4
	v_and_or_b32 v4, v5, s2, v4
	v_cmp_ne_u32_e32 vcc, 0, v3
	v_cndmask_b32_e32 v5, 0, v4, vcc
	v_lshrrev_b32_e32 v4, 23, v5
	v_cmp_ne_u32_e32 vcc, s3, v4
	v_mov_b32_e32 v3, 0xff
	s_and_saveexec_b64 s[4:5], vcc
; %bb.1021:
	v_and_b32_e32 v3, 0x400000, v5
	s_mov_b32 s2, 0x3fffff
	v_cmp_ne_u32_e32 vcc, 0, v3
	v_and_or_b32 v3, v5, s2, v4
	v_cmp_ne_u32_e64 s[2:3], 0, v3
	s_and_b64 s[2:3], vcc, s[2:3]
	v_cndmask_b32_e64 v3, 0, 1, s[2:3]
	v_add_u32_e32 v3, v4, v3
; %bb.1022:
	s_or_b64 exec, exec, s[4:5]
.LBB315_1023:
	s_mov_b64 s[2:3], 0
.LBB315_1024:
	s_andn2_b64 vcc, exec, s[2:3]
	s_cbranch_vccnz .LBB315_1028
; %bb.1025:
	global_load_ubyte v3, v[0:1], off
	s_movk_i32 s2, 0x7f00
	s_brev_b32 s3, 16
	s_movk_i32 s4, 0xff
	s_waitcnt vmcnt(0)
	v_lshlrev_b32_e32 v4, 8, v3
	v_lshlrev_b32_e32 v3, 25, v3
	v_lshrrev_b32_e32 v5, 4, v3
	v_and_or_b32 v4, v4, s2, 0.5
	v_or_b32_e32 v5, 0x70000000, v5
	v_add_f32_e32 v4, -0.5, v4
	v_mul_f32_e32 v5, 0x7800000, v5
	v_cmp_gt_u32_e32 vcc, s3, v3
	v_cndmask_b32_e32 v4, v5, v4, vcc
	v_bfe_u32 v5, v4, 23, 8
	v_cmp_ne_u32_e32 vcc, s4, v5
	v_mov_b32_e32 v3, 0xff
	s_and_saveexec_b64 s[4:5], vcc
; %bb.1026:
	s_mov_b32 s2, 0x3fffff
	v_lshrrev_b32_e32 v3, 23, v4
	v_and_b32_e32 v6, 0x400000, v4
	v_and_or_b32 v4, v4, s2, v5
	v_cmp_ne_u32_e32 vcc, 0, v6
	v_cmp_ne_u32_e64 s[2:3], 0, v4
	s_and_b64 s[2:3], vcc, s[2:3]
	v_cndmask_b32_e64 v4, 0, 1, s[2:3]
	v_add_u32_e32 v3, v3, v4
; %bb.1027:
	s_or_b64 exec, exec, s[4:5]
.LBB315_1028:
	s_mov_b64 s[4:5], 0
	s_mov_b64 s[2:3], -1
.LBB315_1029:
	s_andn2_b64 vcc, exec, s[4:5]
	s_cbranch_vccnz .LBB315_1046
; %bb.1030:
	s_cmp_gt_i32 s45, 14
	s_cbranch_scc0 .LBB315_1035
; %bb.1031:
	s_cmp_eq_u32 s45, 15
	s_cbranch_scc0 .LBB315_1038
; %bb.1032:
	global_load_ushort v4, v[0:1], off
	s_movk_i32 s2, 0xff
	s_waitcnt vmcnt(1)
	v_mov_b32_e32 v3, 0xff
	s_waitcnt vmcnt(0)
	v_bfe_u32 v5, v4, 7, 8
	v_cmp_ne_u32_e32 vcc, s2, v5
	s_and_saveexec_b64 s[4:5], vcc
	s_cbranch_execz .LBB315_1034
; %bb.1033:
	v_lshrrev_b32_e32 v3, 7, v4
	v_lshlrev_b32_e32 v6, 16, v4
	v_and_b32_e32 v4, 64, v4
	s_mov_b32 s2, 0x3f0000
	v_cmp_ne_u32_e32 vcc, 0, v4
	v_and_or_b32 v4, v6, s2, v5
	v_cmp_ne_u32_e64 s[2:3], 0, v4
	s_and_b64 s[2:3], vcc, s[2:3]
	v_cndmask_b32_e64 v4, 0, 1, s[2:3]
	v_add_u32_e32 v3, v3, v4
.LBB315_1034:
	s_or_b64 exec, exec, s[4:5]
	s_mov_b64 s[2:3], -1
	s_mov_b64 s[40:41], 0
	s_branch .LBB315_1039
.LBB315_1035:
	s_mov_b64 s[4:5], -1
                                        ; implicit-def: $vgpr3
	s_branch .LBB315_1040
.LBB315_1036:
	s_or_saveexec_b64 s[4:5], s[4:5]
	v_mov_b32_e32 v4, 0x7f800001
	s_xor_b64 exec, exec, s[4:5]
	s_cbranch_execz .LBB315_1009
.LBB315_1037:
	v_cmp_ne_u16_e32 vcc, 0, v3
	s_andn2_b64 s[2:3], s[2:3], exec
	s_and_b64 s[42:43], vcc, exec
	v_and_b32_e32 v4, 0xffff, v3
	s_or_b64 s[2:3], s[2:3], s[42:43]
	s_or_b64 exec, exec, s[4:5]
	s_and_saveexec_b64 s[4:5], s[2:3]
	s_cbranch_execnz .LBB315_1010
	s_branch .LBB315_1011
.LBB315_1038:
	s_mov_b64 s[40:41], -1
                                        ; implicit-def: $vgpr3
.LBB315_1039:
	s_mov_b64 s[4:5], 0
.LBB315_1040:
	s_and_b64 vcc, exec, s[4:5]
	s_cbranch_vccz .LBB315_1046
; %bb.1041:
	s_cmp_eq_u32 s45, 11
	s_cbranch_scc0 .LBB315_1045
; %bb.1042:
	global_load_ubyte v3, v[0:1], off
	s_movk_i32 s2, 0xff
	s_waitcnt vmcnt(0)
	v_cmp_ne_u16_e32 vcc, 0, v3
	v_cndmask_b32_e64 v5, 0, 1.0, vcc
	v_lshrrev_b32_e32 v4, 23, v5
	v_cmp_ne_u32_e32 vcc, s2, v4
	v_mov_b32_e32 v3, 0xff
	s_and_saveexec_b64 s[4:5], vcc
; %bb.1043:
	v_and_b32_e32 v3, 0x400000, v5
	s_mov_b32 s2, 0x3fffff
	v_cmp_ne_u32_e32 vcc, 0, v3
	v_and_or_b32 v3, v5, s2, v4
	v_cmp_ne_u32_e64 s[2:3], 0, v3
	s_and_b64 s[2:3], vcc, s[2:3]
	v_cndmask_b32_e64 v3, 0, 1, s[2:3]
	v_add_u32_e32 v3, v4, v3
; %bb.1044:
	s_or_b64 exec, exec, s[4:5]
	s_mov_b64 s[2:3], -1
	s_mov_b64 s[40:41], 0
	s_branch .LBB315_1046
.LBB315_1045:
	s_mov_b64 s[40:41], -1
                                        ; implicit-def: $vgpr3
.LBB315_1046:
	s_mov_b64 s[4:5], 0
.LBB315_1047:
	s_and_b64 vcc, exec, s[4:5]
	s_cbranch_vccz .LBB315_1118
; %bb.1048:
	s_and_b32 s42, 0xffff, s44
	s_cmp_lt_i32 s42, 5
	s_cbranch_scc1 .LBB315_1055
; %bb.1049:
	s_cmp_lt_i32 s42, 8
	s_cbranch_scc1 .LBB315_1056
; %bb.1050:
	;; [unrolled: 3-line block ×3, first 2 shown]
	s_cmp_gt_i32 s42, 9
	s_cbranch_scc0 .LBB315_1058
; %bb.1052:
	global_load_dwordx2 v[3:4], v[0:1], off
	s_movk_i32 s2, 0xff
	s_waitcnt vmcnt(0)
	v_cvt_f32_f64_e32 v4, v[3:4]
	v_mov_b32_e32 v3, 0xff
	v_bfe_u32 v5, v4, 23, 8
	v_cmp_ne_u32_e32 vcc, s2, v5
	s_and_saveexec_b64 s[4:5], vcc
; %bb.1053:
	s_mov_b32 s2, 0x3fffff
	v_lshrrev_b32_e32 v3, 23, v4
	v_and_b32_e32 v6, 0x400000, v4
	v_and_or_b32 v4, v4, s2, v5
	v_cmp_ne_u32_e32 vcc, 0, v6
	v_cmp_ne_u32_e64 s[2:3], 0, v4
	s_and_b64 s[2:3], vcc, s[2:3]
	v_cndmask_b32_e64 v4, 0, 1, s[2:3]
	v_add_u32_e32 v3, v3, v4
; %bb.1054:
	s_or_b64 exec, exec, s[4:5]
	s_mov_b64 s[2:3], 0
	s_branch .LBB315_1059
.LBB315_1055:
	s_mov_b64 s[2:3], -1
                                        ; implicit-def: $vgpr3
	s_branch .LBB315_1087
.LBB315_1056:
	s_mov_b64 s[2:3], -1
                                        ; implicit-def: $vgpr3
	s_branch .LBB315_1069
.LBB315_1057:
	s_mov_b64 s[2:3], -1
                                        ; implicit-def: $vgpr3
	s_branch .LBB315_1064
.LBB315_1058:
	s_mov_b64 s[2:3], -1
                                        ; implicit-def: $vgpr3
.LBB315_1059:
	s_andn2_b64 vcc, exec, s[2:3]
	s_cbranch_vccnz .LBB315_1063
; %bb.1060:
	global_load_dword v4, v[0:1], off
	s_movk_i32 s2, 0xff
	s_waitcnt vmcnt(1)
	v_mov_b32_e32 v3, 0xff
	s_waitcnt vmcnt(0)
	v_bfe_u32 v5, v4, 23, 8
	v_cmp_ne_u32_e32 vcc, s2, v5
	s_and_saveexec_b64 s[4:5], vcc
; %bb.1061:
	s_mov_b32 s2, 0x3fffff
	v_lshrrev_b32_e32 v3, 23, v4
	v_and_b32_e32 v6, 0x400000, v4
	v_and_or_b32 v4, v4, s2, v5
	v_cmp_ne_u32_e32 vcc, 0, v6
	v_cmp_ne_u32_e64 s[2:3], 0, v4
	s_and_b64 s[2:3], vcc, s[2:3]
	v_cndmask_b32_e64 v4, 0, 1, s[2:3]
	v_add_u32_e32 v3, v3, v4
; %bb.1062:
	s_or_b64 exec, exec, s[4:5]
.LBB315_1063:
	s_mov_b64 s[2:3], 0
.LBB315_1064:
	s_andn2_b64 vcc, exec, s[2:3]
	s_cbranch_vccnz .LBB315_1068
; %bb.1065:
	global_load_dword v3, v[0:1], off
	s_movk_i32 s2, 0xff
	s_waitcnt vmcnt(0)
	v_cvt_f32_f16_e32 v4, v3
	v_mov_b32_e32 v3, 0xff
	v_bfe_u32 v5, v4, 23, 8
	v_cmp_ne_u32_e32 vcc, s2, v5
	s_and_saveexec_b64 s[4:5], vcc
; %bb.1066:
	s_mov_b32 s2, 0x3fffff
	v_lshrrev_b32_e32 v3, 23, v4
	v_and_b32_e32 v6, 0x400000, v4
	v_and_or_b32 v4, v4, s2, v5
	v_cmp_ne_u32_e32 vcc, 0, v6
	v_cmp_ne_u32_e64 s[2:3], 0, v4
	s_and_b64 s[2:3], vcc, s[2:3]
	v_cndmask_b32_e64 v4, 0, 1, s[2:3]
	v_add_u32_e32 v3, v3, v4
; %bb.1067:
	s_or_b64 exec, exec, s[4:5]
.LBB315_1068:
	s_mov_b64 s[2:3], 0
.LBB315_1069:
	s_andn2_b64 vcc, exec, s[2:3]
	s_cbranch_vccnz .LBB315_1086
; %bb.1070:
	s_cmp_lt_i32 s42, 6
	s_cbranch_scc1 .LBB315_1075
; %bb.1071:
	s_cmp_gt_i32 s42, 6
	s_cbranch_scc0 .LBB315_1076
; %bb.1072:
	global_load_dwordx2 v[3:4], v[0:1], off
	s_movk_i32 s2, 0xff
	s_waitcnt vmcnt(0)
	v_cvt_f32_f64_e32 v4, v[3:4]
	v_mov_b32_e32 v3, 0xff
	v_bfe_u32 v5, v4, 23, 8
	v_cmp_ne_u32_e32 vcc, s2, v5
	s_and_saveexec_b64 s[4:5], vcc
; %bb.1073:
	s_mov_b32 s2, 0x3fffff
	v_lshrrev_b32_e32 v3, 23, v4
	v_and_b32_e32 v6, 0x400000, v4
	v_and_or_b32 v4, v4, s2, v5
	v_cmp_ne_u32_e32 vcc, 0, v6
	v_cmp_ne_u32_e64 s[2:3], 0, v4
	s_and_b64 s[2:3], vcc, s[2:3]
	v_cndmask_b32_e64 v4, 0, 1, s[2:3]
	v_add_u32_e32 v3, v3, v4
; %bb.1074:
	s_or_b64 exec, exec, s[4:5]
	s_mov_b64 s[2:3], 0
	s_branch .LBB315_1077
.LBB315_1075:
	s_mov_b64 s[2:3], -1
                                        ; implicit-def: $vgpr3
	s_branch .LBB315_1082
.LBB315_1076:
	s_mov_b64 s[2:3], -1
                                        ; implicit-def: $vgpr3
.LBB315_1077:
	s_andn2_b64 vcc, exec, s[2:3]
	s_cbranch_vccnz .LBB315_1081
; %bb.1078:
	global_load_dword v4, v[0:1], off
	s_movk_i32 s2, 0xff
	s_waitcnt vmcnt(1)
	v_mov_b32_e32 v3, 0xff
	s_waitcnt vmcnt(0)
	v_bfe_u32 v5, v4, 23, 8
	v_cmp_ne_u32_e32 vcc, s2, v5
	s_and_saveexec_b64 s[4:5], vcc
; %bb.1079:
	s_mov_b32 s2, 0x3fffff
	v_lshrrev_b32_e32 v3, 23, v4
	v_and_b32_e32 v6, 0x400000, v4
	v_and_or_b32 v4, v4, s2, v5
	v_cmp_ne_u32_e32 vcc, 0, v6
	v_cmp_ne_u32_e64 s[2:3], 0, v4
	s_and_b64 s[2:3], vcc, s[2:3]
	v_cndmask_b32_e64 v4, 0, 1, s[2:3]
	v_add_u32_e32 v3, v3, v4
; %bb.1080:
	s_or_b64 exec, exec, s[4:5]
.LBB315_1081:
	s_mov_b64 s[2:3], 0
.LBB315_1082:
	s_andn2_b64 vcc, exec, s[2:3]
	s_cbranch_vccnz .LBB315_1086
; %bb.1083:
	global_load_ushort v3, v[0:1], off
	s_movk_i32 s2, 0xff
	s_waitcnt vmcnt(0)
	v_cvt_f32_f16_e32 v4, v3
	v_mov_b32_e32 v3, 0xff
	v_bfe_u32 v5, v4, 23, 8
	v_cmp_ne_u32_e32 vcc, s2, v5
	s_and_saveexec_b64 s[4:5], vcc
; %bb.1084:
	s_mov_b32 s2, 0x3fffff
	v_lshrrev_b32_e32 v3, 23, v4
	v_and_b32_e32 v6, 0x400000, v4
	v_and_or_b32 v4, v4, s2, v5
	v_cmp_ne_u32_e32 vcc, 0, v6
	v_cmp_ne_u32_e64 s[2:3], 0, v4
	s_and_b64 s[2:3], vcc, s[2:3]
	v_cndmask_b32_e64 v4, 0, 1, s[2:3]
	v_add_u32_e32 v3, v3, v4
; %bb.1085:
	s_or_b64 exec, exec, s[4:5]
.LBB315_1086:
	s_mov_b64 s[2:3], 0
.LBB315_1087:
	s_andn2_b64 vcc, exec, s[2:3]
	s_cbranch_vccnz .LBB315_1117
; %bb.1088:
	s_cmp_lt_i32 s42, 2
	s_cbranch_scc1 .LBB315_1094
; %bb.1089:
	s_cmp_lt_i32 s42, 3
	s_cbranch_scc1 .LBB315_1095
; %bb.1090:
	s_cmp_gt_i32 s42, 3
	s_cbranch_scc0 .LBB315_1096
; %bb.1091:
	global_load_dwordx2 v[3:4], v[0:1], off
	s_movk_i32 s2, 0xff
	s_waitcnt vmcnt(0)
	v_xor_b32_e32 v6, v3, v4
	v_ffbh_i32_e32 v5, v4
	v_ashrrev_i32_e32 v6, 31, v6
	v_add_u32_e32 v5, -1, v5
	v_add_u32_e32 v6, 32, v6
	v_min_u32_e32 v5, v5, v6
	v_lshlrev_b64 v[3:4], v5, v[3:4]
	v_min_u32_e32 v3, 1, v3
	v_or_b32_e32 v3, v4, v3
	v_cvt_f32_i32_e32 v3, v3
	v_sub_u32_e32 v4, 32, v5
	v_ldexp_f32 v4, v3, v4
	v_bfe_u32 v5, v4, 23, 8
	v_cmp_ne_u32_e32 vcc, s2, v5
	v_mov_b32_e32 v3, 0xff
	s_and_saveexec_b64 s[4:5], vcc
; %bb.1092:
	s_mov_b32 s2, 0x3fffff
	v_lshrrev_b32_e32 v3, 23, v4
	v_and_b32_e32 v6, 0x400000, v4
	v_and_or_b32 v4, v4, s2, v5
	v_cmp_ne_u32_e32 vcc, 0, v6
	v_cmp_ne_u32_e64 s[2:3], 0, v4
	s_and_b64 s[2:3], vcc, s[2:3]
	v_cndmask_b32_e64 v4, 0, 1, s[2:3]
	v_add_u32_e32 v3, v3, v4
; %bb.1093:
	s_or_b64 exec, exec, s[4:5]
	s_mov_b64 s[2:3], 0
	s_branch .LBB315_1097
.LBB315_1094:
	s_mov_b64 s[2:3], -1
                                        ; implicit-def: $vgpr3
	s_branch .LBB315_1107
.LBB315_1095:
	s_mov_b64 s[2:3], -1
                                        ; implicit-def: $vgpr3
	s_branch .LBB315_1102
.LBB315_1096:
	s_mov_b64 s[2:3], -1
                                        ; implicit-def: $vgpr3
.LBB315_1097:
	s_andn2_b64 vcc, exec, s[2:3]
	s_cbranch_vccnz .LBB315_1101
; %bb.1098:
	global_load_dword v3, v[0:1], off
	s_movk_i32 s2, 0xff
	s_waitcnt vmcnt(0)
	v_cvt_f32_i32_e32 v4, v3
	v_mov_b32_e32 v3, 0xff
	v_bfe_u32 v5, v4, 23, 8
	v_cmp_ne_u32_e32 vcc, s2, v5
	s_and_saveexec_b64 s[4:5], vcc
; %bb.1099:
	s_mov_b32 s2, 0x3fffff
	v_lshrrev_b32_e32 v3, 23, v4
	v_and_b32_e32 v6, 0x400000, v4
	v_and_or_b32 v4, v4, s2, v5
	v_cmp_ne_u32_e32 vcc, 0, v6
	v_cmp_ne_u32_e64 s[2:3], 0, v4
	s_and_b64 s[2:3], vcc, s[2:3]
	v_cndmask_b32_e64 v4, 0, 1, s[2:3]
	v_add_u32_e32 v3, v3, v4
; %bb.1100:
	s_or_b64 exec, exec, s[4:5]
.LBB315_1101:
	s_mov_b64 s[2:3], 0
.LBB315_1102:
	s_andn2_b64 vcc, exec, s[2:3]
	s_cbranch_vccnz .LBB315_1106
; %bb.1103:
	global_load_sshort v3, v[0:1], off
	s_movk_i32 s2, 0xff
	s_waitcnt vmcnt(0)
	v_cvt_f32_i32_e32 v4, v3
	v_mov_b32_e32 v3, 0xff
	v_bfe_u32 v5, v4, 23, 8
	v_cmp_ne_u32_e32 vcc, s2, v5
	s_and_saveexec_b64 s[4:5], vcc
; %bb.1104:
	s_mov_b32 s2, 0x3fffff
	v_lshrrev_b32_e32 v3, 23, v4
	v_and_b32_e32 v6, 0x400000, v4
	v_and_or_b32 v4, v4, s2, v5
	v_cmp_ne_u32_e32 vcc, 0, v6
	v_cmp_ne_u32_e64 s[2:3], 0, v4
	s_and_b64 s[2:3], vcc, s[2:3]
	v_cndmask_b32_e64 v4, 0, 1, s[2:3]
	v_add_u32_e32 v3, v3, v4
; %bb.1105:
	s_or_b64 exec, exec, s[4:5]
.LBB315_1106:
	s_mov_b64 s[2:3], 0
.LBB315_1107:
	s_andn2_b64 vcc, exec, s[2:3]
	s_cbranch_vccnz .LBB315_1117
; %bb.1108:
	s_cmp_gt_i32 s42, 0
	s_cbranch_scc0 .LBB315_1112
; %bb.1109:
	global_load_sbyte v3, v[0:1], off
	s_movk_i32 s2, 0xff
	s_waitcnt vmcnt(0)
	v_cvt_f32_i32_e32 v4, v3
	v_mov_b32_e32 v3, 0xff
	v_bfe_u32 v5, v4, 23, 8
	v_cmp_ne_u32_e32 vcc, s2, v5
	s_and_saveexec_b64 s[4:5], vcc
; %bb.1110:
	s_mov_b32 s2, 0x3fffff
	v_lshrrev_b32_e32 v3, 23, v4
	v_and_b32_e32 v6, 0x400000, v4
	v_and_or_b32 v4, v4, s2, v5
	v_cmp_ne_u32_e32 vcc, 0, v6
	v_cmp_ne_u32_e64 s[2:3], 0, v4
	s_and_b64 s[2:3], vcc, s[2:3]
	v_cndmask_b32_e64 v4, 0, 1, s[2:3]
	v_add_u32_e32 v3, v3, v4
; %bb.1111:
	s_or_b64 exec, exec, s[4:5]
	s_mov_b64 s[2:3], 0
	s_branch .LBB315_1113
.LBB315_1112:
	s_mov_b64 s[2:3], -1
                                        ; implicit-def: $vgpr3
.LBB315_1113:
	s_andn2_b64 vcc, exec, s[2:3]
	s_cbranch_vccnz .LBB315_1117
; %bb.1114:
	global_load_ubyte v0, v[0:1], off
	s_movk_i32 s2, 0xff
	s_waitcnt vmcnt(1)
	v_mov_b32_e32 v3, 0xff
	s_waitcnt vmcnt(0)
	v_cvt_f32_ubyte0_e32 v1, v0
	v_lshrrev_b32_e32 v0, 23, v1
	v_cmp_ne_u32_e32 vcc, s2, v0
	s_and_saveexec_b64 s[4:5], vcc
; %bb.1115:
	s_mov_b32 s2, 0x3fffff
	v_and_b32_e32 v3, 0x400000, v1
	v_and_or_b32 v1, v1, s2, v0
	v_cmp_ne_u32_e32 vcc, 0, v3
	v_cmp_ne_u32_e64 s[2:3], 0, v1
	s_and_b64 s[2:3], vcc, s[2:3]
	v_cndmask_b32_e64 v1, 0, 1, s[2:3]
	v_add_u32_e32 v3, v0, v1
; %bb.1116:
	s_or_b64 exec, exec, s[4:5]
.LBB315_1117:
	s_mov_b64 s[2:3], -1
.LBB315_1118:
	s_andn2_b64 vcc, exec, s[2:3]
	s_cbranch_vccnz .LBB315_1128
; %bb.1119:
	v_mul_lo_u32 v0, v2, s14
	v_mov_b32_e32 v1, s17
	s_and_b32 s46, s54, 0xff
	s_cmp_lt_i32 s46, 11
	v_ashrrev_i32_e32 v4, 31, v0
	v_add_co_u32_e32 v0, vcc, s16, v0
	v_addc_co_u32_e32 v1, vcc, v1, v4, vcc
	s_cbranch_scc1 .LBB315_1130
; %bb.1120:
	s_and_b32 s47, 0xffff, s46
	s_cmp_gt_i32 s47, 25
	s_cbranch_scc0 .LBB315_1131
; %bb.1121:
	s_cmp_gt_i32 s47, 28
	s_cbranch_scc0 .LBB315_1132
; %bb.1122:
	;; [unrolled: 3-line block ×4, first 2 shown]
	s_cmp_eq_u32 s47, 46
	s_mov_b64 s[4:5], 0
	s_cbranch_scc0 .LBB315_1137
; %bb.1125:
	global_load_dword v5, v[0:1], off
	s_movk_i32 s2, 0xff
	v_mov_b32_e32 v4, 0xff
	s_waitcnt vmcnt(0)
	v_lshlrev_b32_e32 v6, 16, v5
	v_bfe_u32 v7, v6, 23, 8
	v_cmp_ne_u32_e32 vcc, s2, v7
	s_and_saveexec_b64 s[42:43], vcc
; %bb.1126:
	v_bfe_u32 v4, v5, 7, 9
	v_and_b32_e32 v5, 64, v5
	s_mov_b32 s2, 0x3f0000
	v_cmp_ne_u32_e32 vcc, 0, v5
	v_and_or_b32 v5, v6, s2, v7
	v_cmp_ne_u32_e64 s[2:3], 0, v5
	s_and_b64 s[2:3], vcc, s[2:3]
	v_cndmask_b32_e64 v5, 0, 1, s[2:3]
	v_add_u32_e32 v4, v4, v5
; %bb.1127:
	s_or_b64 exec, exec, s[42:43]
	s_mov_b64 s[2:3], -1
	s_mov_b64 s[42:43], 0
	s_branch .LBB315_1138
.LBB315_1128:
	s_mov_b64 s[2:3], 0
	s_mov_b64 s[4:5], s[34:35]
	;; [unrolled: 1-line block ×3, first 2 shown]
.LBB315_1129:
                                        ; implicit-def: $vgpr2
	s_branch .LBB315_1416
.LBB315_1130:
	s_mov_b64 s[4:5], -1
	s_mov_b64 s[2:3], 0
                                        ; implicit-def: $vgpr4
	s_mov_b64 s[42:43], s[30:31]
	s_branch .LBB315_1221
.LBB315_1131:
	s_mov_b64 s[4:5], -1
	s_mov_b64 s[2:3], 0
	s_mov_b64 s[42:43], s[30:31]
                                        ; implicit-def: $vgpr4
	s_branch .LBB315_1175
.LBB315_1132:
	s_mov_b64 s[4:5], -1
	s_mov_b64 s[2:3], 0
	s_mov_b64 s[42:43], s[30:31]
                                        ; implicit-def: $vgpr4
	s_branch .LBB315_1150
.LBB315_1133:
	s_mov_b64 s[4:5], -1
	s_mov_b64 s[2:3], 0
	s_mov_b64 s[42:43], s[30:31]
                                        ; implicit-def: $vgpr4
	s_branch .LBB315_1143
.LBB315_1134:
	s_mov_b64 s[4:5], -1
	s_mov_b64 s[2:3], 0
	s_mov_b64 s[42:43], s[30:31]
                                        ; implicit-def: $vgpr4
	s_branch .LBB315_1138
.LBB315_1135:
	s_andn2_saveexec_b64 s[40:41], s[40:41]
	s_cbranch_execz .LBB315_866
.LBB315_1136:
	v_add_f32_e32 v3, 0x42800000, v4
	v_and_b32_e32 v3, 0xff, v3
	v_cmp_ne_u32_e32 vcc, 0, v3
	s_andn2_b64 s[38:39], s[38:39], exec
	s_and_b64 s[44:45], vcc, exec
	s_or_b64 s[38:39], s[38:39], s[44:45]
	s_or_b64 exec, exec, s[40:41]
	v_mov_b32_e32 v5, 0
	s_and_saveexec_b64 s[40:41], s[38:39]
	s_cbranch_execnz .LBB315_867
	s_branch .LBB315_868
.LBB315_1137:
	s_mov_b64 s[42:43], -1
                                        ; implicit-def: $vgpr4
	s_mov_b64 s[2:3], 0
.LBB315_1138:
	s_and_b64 vcc, exec, s[4:5]
	s_cbranch_vccz .LBB315_1142
; %bb.1139:
	s_cmp_eq_u32 s47, 44
	s_cbranch_scc0 .LBB315_1141
; %bb.1140:
	global_load_ubyte v4, v[0:1], off
	s_mov_b64 s[2:3], -1
	s_mov_b64 s[42:43], 0
	s_branch .LBB315_1142
.LBB315_1141:
	s_mov_b64 s[42:43], -1
                                        ; implicit-def: $vgpr4
.LBB315_1142:
	s_mov_b64 s[4:5], 0
.LBB315_1143:
	s_and_b64 vcc, exec, s[4:5]
	s_cbranch_vccz .LBB315_1149
; %bb.1144:
	s_cmp_eq_u32 s47, 29
	s_cbranch_scc0 .LBB315_1148
; %bb.1145:
	global_load_dwordx2 v[4:5], v[0:1], off
	s_movk_i32 s2, 0xff
	s_waitcnt vmcnt(0)
	v_ffbh_u32_e32 v6, v5
	v_min_u32_e32 v6, 32, v6
	v_lshlrev_b64 v[4:5], v6, v[4:5]
	v_min_u32_e32 v4, 1, v4
	v_or_b32_e32 v4, v5, v4
	v_cvt_f32_u32_e32 v4, v4
	v_sub_u32_e32 v5, 32, v6
	v_ldexp_f32 v6, v4, v5
	v_lshrrev_b32_e32 v5, 23, v6
	v_cmp_ne_u32_e32 vcc, s2, v5
	v_mov_b32_e32 v4, 0xff
	s_and_saveexec_b64 s[4:5], vcc
; %bb.1146:
	v_and_b32_e32 v4, 0x400000, v6
	s_mov_b32 s2, 0x3fffff
	v_cmp_ne_u32_e32 vcc, 0, v4
	v_and_or_b32 v4, v6, s2, v5
	v_cmp_ne_u32_e64 s[2:3], 0, v4
	s_and_b64 s[2:3], vcc, s[2:3]
	v_cndmask_b32_e64 v4, 0, 1, s[2:3]
	v_add_u32_e32 v4, v5, v4
; %bb.1147:
	s_or_b64 exec, exec, s[4:5]
	s_mov_b64 s[2:3], -1
	s_mov_b64 s[42:43], 0
	s_branch .LBB315_1149
.LBB315_1148:
	s_mov_b64 s[42:43], -1
                                        ; implicit-def: $vgpr4
.LBB315_1149:
	s_mov_b64 s[4:5], 0
.LBB315_1150:
	s_and_b64 vcc, exec, s[4:5]
	s_cbranch_vccz .LBB315_1174
; %bb.1151:
	s_cmp_lt_i32 s47, 27
	s_cbranch_scc1 .LBB315_1156
; %bb.1152:
	s_cmp_gt_i32 s47, 27
	s_cbranch_scc0 .LBB315_1157
; %bb.1153:
	global_load_dword v4, v[0:1], off
	s_movk_i32 s2, 0xff
	s_waitcnt vmcnt(0)
	v_cvt_f32_u32_e32 v6, v4
	v_mov_b32_e32 v4, 0xff
	v_lshrrev_b32_e32 v5, 23, v6
	v_cmp_ne_u32_e32 vcc, s2, v5
	s_and_saveexec_b64 s[4:5], vcc
; %bb.1154:
	v_and_b32_e32 v4, 0x400000, v6
	s_mov_b32 s2, 0x3fffff
	v_cmp_ne_u32_e32 vcc, 0, v4
	v_and_or_b32 v4, v6, s2, v5
	v_cmp_ne_u32_e64 s[2:3], 0, v4
	s_and_b64 s[2:3], vcc, s[2:3]
	v_cndmask_b32_e64 v4, 0, 1, s[2:3]
	v_add_u32_e32 v4, v5, v4
; %bb.1155:
	s_or_b64 exec, exec, s[4:5]
	s_mov_b64 s[2:3], 0
	s_branch .LBB315_1158
.LBB315_1156:
	s_mov_b64 s[2:3], -1
                                        ; implicit-def: $vgpr4
	s_branch .LBB315_1163
.LBB315_1157:
	s_mov_b64 s[2:3], -1
                                        ; implicit-def: $vgpr4
.LBB315_1158:
	s_andn2_b64 vcc, exec, s[2:3]
	s_cbranch_vccnz .LBB315_1162
; %bb.1159:
	global_load_ushort v4, v[0:1], off
	s_movk_i32 s2, 0xff
	s_waitcnt vmcnt(0)
	v_cvt_f32_u32_e32 v6, v4
	v_mov_b32_e32 v4, 0xff
	v_lshrrev_b32_e32 v5, 23, v6
	v_cmp_ne_u32_e32 vcc, s2, v5
	s_and_saveexec_b64 s[4:5], vcc
; %bb.1160:
	v_and_b32_e32 v4, 0x400000, v6
	s_mov_b32 s2, 0x3fffff
	v_cmp_ne_u32_e32 vcc, 0, v4
	v_and_or_b32 v4, v6, s2, v5
	v_cmp_ne_u32_e64 s[2:3], 0, v4
	s_and_b64 s[2:3], vcc, s[2:3]
	v_cndmask_b32_e64 v4, 0, 1, s[2:3]
	v_add_u32_e32 v4, v5, v4
; %bb.1161:
	s_or_b64 exec, exec, s[4:5]
.LBB315_1162:
	s_mov_b64 s[2:3], 0
.LBB315_1163:
	s_andn2_b64 vcc, exec, s[2:3]
	s_cbranch_vccnz .LBB315_1173
; %bb.1164:
	global_load_ubyte v4, v[0:1], off
	s_movk_i32 s2, 0x7f
	s_waitcnt vmcnt(0)
	v_cmp_lt_i16_e32 vcc, s2, v4
	s_mov_b64 s[2:3], 0
	s_and_saveexec_b64 s[4:5], vcc
	s_xor_b64 s[4:5], exec, s[4:5]
	s_cbranch_execz .LBB315_1189
; %bb.1165:
	s_movk_i32 s2, 0x80
	v_cmp_eq_u16_e32 vcc, s2, v4
	s_mov_b64 s[2:3], -1
	s_and_saveexec_b64 s[44:45], vcc
; %bb.1166:
	s_xor_b64 s[2:3], exec, -1
; %bb.1167:
	s_or_b64 exec, exec, s[44:45]
	s_and_b64 s[2:3], s[2:3], exec
	s_or_saveexec_b64 s[4:5], s[4:5]
	v_mov_b32_e32 v5, 0x7f800001
	s_xor_b64 exec, exec, s[4:5]
	s_cbranch_execnz .LBB315_1190
.LBB315_1168:
	s_or_b64 exec, exec, s[4:5]
	s_and_saveexec_b64 s[4:5], s[2:3]
	s_cbranch_execz .LBB315_1170
.LBB315_1169:
	v_and_b32_e32 v4, 0xffff, v4
	v_and_b32_e32 v5, 7, v4
	v_ffbh_u32_e32 v7, v5
	v_min_u32_e32 v7, 32, v7
	v_subrev_u32_e32 v8, 28, v7
	v_bfe_u32 v6, v4, 3, 4
	v_lshlrev_b32_e32 v4, v8, v4
	v_and_b32_e32 v4, 7, v4
	v_cmp_eq_u32_e32 vcc, 0, v6
	v_sub_u32_e32 v7, 29, v7
	v_cndmask_b32_e32 v4, v5, v4, vcc
	v_cndmask_b32_e32 v6, v6, v7, vcc
	v_lshlrev_b32_e32 v4, 20, v4
	v_lshl_or_b32 v4, v6, 23, v4
	v_add_u32_e32 v5, 0x3b800000, v4
.LBB315_1170:
	s_or_b64 exec, exec, s[4:5]
	v_lshrrev_b32_e32 v6, 23, v5
	s_movk_i32 s2, 0xff
	v_cmp_ne_u32_e32 vcc, s2, v6
	v_mov_b32_e32 v4, 0xff
	s_and_saveexec_b64 s[4:5], vcc
; %bb.1171:
	v_and_b32_e32 v4, 0x400000, v5
	s_mov_b32 s2, 0x3fffff
	v_cmp_ne_u32_e32 vcc, 0, v4
	v_and_or_b32 v4, v5, s2, v6
	v_cmp_ne_u32_e64 s[2:3], 0, v4
	s_and_b64 s[2:3], vcc, s[2:3]
	v_cndmask_b32_e64 v4, 0, 1, s[2:3]
	v_add_u32_e32 v4, v6, v4
; %bb.1172:
	s_or_b64 exec, exec, s[4:5]
.LBB315_1173:
	s_mov_b64 s[2:3], -1
.LBB315_1174:
	s_mov_b64 s[4:5], 0
.LBB315_1175:
	s_and_b64 vcc, exec, s[4:5]
	s_cbranch_vccz .LBB315_1220
; %bb.1176:
	s_cmp_gt_i32 s47, 22
	s_cbranch_scc0 .LBB315_1188
; %bb.1177:
	s_cmp_lt_i32 s47, 24
	s_cbranch_scc1 .LBB315_1191
; %bb.1178:
	s_cmp_gt_i32 s47, 24
	s_cbranch_scc0 .LBB315_1192
; %bb.1179:
	global_load_ubyte v4, v[0:1], off
	s_movk_i32 s2, 0x7f
	s_waitcnt vmcnt(0)
	v_cmp_lt_i16_e32 vcc, s2, v4
	s_mov_b64 s[2:3], 0
	s_and_saveexec_b64 s[4:5], vcc
	s_xor_b64 s[4:5], exec, s[4:5]
	s_cbranch_execz .LBB315_1210
; %bb.1180:
	s_movk_i32 s2, 0x80
	v_cmp_eq_u16_e32 vcc, s2, v4
	s_mov_b64 s[2:3], -1
	s_and_saveexec_b64 s[44:45], vcc
; %bb.1181:
	s_xor_b64 s[2:3], exec, -1
; %bb.1182:
	s_or_b64 exec, exec, s[44:45]
	s_and_b64 s[2:3], s[2:3], exec
	s_or_saveexec_b64 s[4:5], s[4:5]
	v_mov_b32_e32 v5, 0x7f800001
	s_xor_b64 exec, exec, s[4:5]
	s_cbranch_execnz .LBB315_1211
.LBB315_1183:
	s_or_b64 exec, exec, s[4:5]
	s_and_saveexec_b64 s[4:5], s[2:3]
	s_cbranch_execz .LBB315_1185
.LBB315_1184:
	v_and_b32_e32 v4, 0xffff, v4
	v_and_b32_e32 v5, 3, v4
	v_ffbh_u32_e32 v7, v5
	v_min_u32_e32 v7, 32, v7
	v_subrev_u32_e32 v8, 29, v7
	v_bfe_u32 v6, v4, 2, 5
	v_lshlrev_b32_e32 v4, v8, v4
	v_and_b32_e32 v4, 3, v4
	v_cmp_eq_u32_e32 vcc, 0, v6
	v_sub_u32_e32 v7, 30, v7
	v_cndmask_b32_e32 v4, v5, v4, vcc
	v_cndmask_b32_e32 v6, v6, v7, vcc
	v_lshlrev_b32_e32 v4, 21, v4
	v_lshl_or_b32 v4, v6, 23, v4
	v_add_u32_e32 v5, 0x37800000, v4
.LBB315_1185:
	s_or_b64 exec, exec, s[4:5]
	v_lshrrev_b32_e32 v6, 23, v5
	s_movk_i32 s2, 0xff
	v_cmp_ne_u32_e32 vcc, s2, v6
	v_mov_b32_e32 v4, 0xff
	s_and_saveexec_b64 s[4:5], vcc
; %bb.1186:
	v_and_b32_e32 v4, 0x400000, v5
	s_mov_b32 s2, 0x3fffff
	v_cmp_ne_u32_e32 vcc, 0, v4
	v_and_or_b32 v4, v5, s2, v6
	v_cmp_ne_u32_e64 s[2:3], 0, v4
	s_and_b64 s[2:3], vcc, s[2:3]
	v_cndmask_b32_e64 v4, 0, 1, s[2:3]
	v_add_u32_e32 v4, v6, v4
; %bb.1187:
	s_or_b64 exec, exec, s[4:5]
	s_mov_b64 s[2:3], 0
	s_branch .LBB315_1193
.LBB315_1188:
	s_mov_b64 s[4:5], -1
                                        ; implicit-def: $vgpr4
	s_branch .LBB315_1203
.LBB315_1189:
	s_or_saveexec_b64 s[4:5], s[4:5]
	v_mov_b32_e32 v5, 0x7f800001
	s_xor_b64 exec, exec, s[4:5]
	s_cbranch_execz .LBB315_1168
.LBB315_1190:
	v_cmp_ne_u16_e32 vcc, 0, v4
	s_andn2_b64 s[2:3], s[2:3], exec
	s_and_b64 s[44:45], vcc, exec
	v_and_b32_e32 v5, 0xffff, v4
	s_or_b64 s[2:3], s[2:3], s[44:45]
	s_or_b64 exec, exec, s[4:5]
	s_and_saveexec_b64 s[4:5], s[2:3]
	s_cbranch_execnz .LBB315_1169
	s_branch .LBB315_1170
.LBB315_1191:
	s_mov_b64 s[2:3], -1
                                        ; implicit-def: $vgpr4
	s_branch .LBB315_1198
.LBB315_1192:
	s_mov_b64 s[2:3], -1
                                        ; implicit-def: $vgpr4
.LBB315_1193:
	s_and_b64 vcc, exec, s[2:3]
	s_cbranch_vccz .LBB315_1197
; %bb.1194:
	global_load_ubyte v4, v[0:1], off
	s_mov_b32 s2, 0x7f800000
	s_movk_i32 s3, 0xff
	s_waitcnt vmcnt(0)
	v_lshlrev_b32_e32 v4, 24, v4
	v_and_b32_e32 v4, 0x7f000000, v4
	v_ffbh_u32_e32 v5, v4
	v_min_u32_e32 v5, 32, v5
	v_sub_u32_e64 v5, v5, 4 clamp
	v_lshlrev_b32_e32 v7, v5, v4
	v_lshlrev_b32_e32 v5, 23, v5
	v_lshrrev_b32_e32 v7, 4, v7
	v_add_u32_e32 v6, 0x1000000, v4
	v_sub_u32_e32 v5, v7, v5
	v_ashrrev_i32_e32 v6, 8, v6
	v_add_u32_e32 v5, 0x3c000000, v5
	v_and_or_b32 v5, v6, s2, v5
	v_cmp_ne_u32_e32 vcc, 0, v4
	v_cndmask_b32_e32 v6, 0, v5, vcc
	v_lshrrev_b32_e32 v5, 23, v6
	v_cmp_ne_u32_e32 vcc, s3, v5
	v_mov_b32_e32 v4, 0xff
	s_and_saveexec_b64 s[4:5], vcc
; %bb.1195:
	v_and_b32_e32 v4, 0x400000, v6
	s_mov_b32 s2, 0x3fffff
	v_cmp_ne_u32_e32 vcc, 0, v4
	v_and_or_b32 v4, v6, s2, v5
	v_cmp_ne_u32_e64 s[2:3], 0, v4
	s_and_b64 s[2:3], vcc, s[2:3]
	v_cndmask_b32_e64 v4, 0, 1, s[2:3]
	v_add_u32_e32 v4, v5, v4
; %bb.1196:
	s_or_b64 exec, exec, s[4:5]
.LBB315_1197:
	s_mov_b64 s[2:3], 0
.LBB315_1198:
	s_andn2_b64 vcc, exec, s[2:3]
	s_cbranch_vccnz .LBB315_1202
; %bb.1199:
	global_load_ubyte v4, v[0:1], off
	s_movk_i32 s2, 0x7f00
	s_brev_b32 s3, 16
	s_movk_i32 s4, 0xff
	s_waitcnt vmcnt(0)
	v_lshlrev_b32_e32 v5, 8, v4
	v_lshlrev_b32_e32 v4, 25, v4
	v_lshrrev_b32_e32 v6, 4, v4
	v_and_or_b32 v5, v5, s2, 0.5
	v_or_b32_e32 v6, 0x70000000, v6
	v_add_f32_e32 v5, -0.5, v5
	v_mul_f32_e32 v6, 0x7800000, v6
	v_cmp_gt_u32_e32 vcc, s3, v4
	v_cndmask_b32_e32 v5, v6, v5, vcc
	v_bfe_u32 v6, v5, 23, 8
	v_cmp_ne_u32_e32 vcc, s4, v6
	v_mov_b32_e32 v4, 0xff
	s_and_saveexec_b64 s[4:5], vcc
; %bb.1200:
	s_mov_b32 s2, 0x3fffff
	v_lshrrev_b32_e32 v4, 23, v5
	v_and_b32_e32 v7, 0x400000, v5
	v_and_or_b32 v5, v5, s2, v6
	v_cmp_ne_u32_e32 vcc, 0, v7
	v_cmp_ne_u32_e64 s[2:3], 0, v5
	s_and_b64 s[2:3], vcc, s[2:3]
	v_cndmask_b32_e64 v5, 0, 1, s[2:3]
	v_add_u32_e32 v4, v4, v5
; %bb.1201:
	s_or_b64 exec, exec, s[4:5]
.LBB315_1202:
	s_mov_b64 s[4:5], 0
	s_mov_b64 s[2:3], -1
.LBB315_1203:
	s_andn2_b64 vcc, exec, s[4:5]
	s_cbranch_vccnz .LBB315_1220
; %bb.1204:
	s_cmp_gt_i32 s47, 14
	s_cbranch_scc0 .LBB315_1209
; %bb.1205:
	s_cmp_eq_u32 s47, 15
	s_cbranch_scc0 .LBB315_1212
; %bb.1206:
	global_load_ushort v5, v[0:1], off
	s_movk_i32 s2, 0xff
	s_waitcnt vmcnt(1)
	v_mov_b32_e32 v4, 0xff
	s_waitcnt vmcnt(0)
	v_bfe_u32 v6, v5, 7, 8
	v_cmp_ne_u32_e32 vcc, s2, v6
	s_and_saveexec_b64 s[4:5], vcc
	s_cbranch_execz .LBB315_1208
; %bb.1207:
	v_lshrrev_b32_e32 v4, 7, v5
	v_lshlrev_b32_e32 v7, 16, v5
	v_and_b32_e32 v5, 64, v5
	s_mov_b32 s2, 0x3f0000
	v_cmp_ne_u32_e32 vcc, 0, v5
	v_and_or_b32 v5, v7, s2, v6
	v_cmp_ne_u32_e64 s[2:3], 0, v5
	s_and_b64 s[2:3], vcc, s[2:3]
	v_cndmask_b32_e64 v5, 0, 1, s[2:3]
	v_add_u32_e32 v4, v4, v5
.LBB315_1208:
	s_or_b64 exec, exec, s[4:5]
	s_mov_b64 s[2:3], -1
	s_mov_b64 s[42:43], 0
	s_branch .LBB315_1213
.LBB315_1209:
	s_mov_b64 s[4:5], -1
                                        ; implicit-def: $vgpr4
	s_branch .LBB315_1214
.LBB315_1210:
	s_or_saveexec_b64 s[4:5], s[4:5]
	v_mov_b32_e32 v5, 0x7f800001
	s_xor_b64 exec, exec, s[4:5]
	s_cbranch_execz .LBB315_1183
.LBB315_1211:
	v_cmp_ne_u16_e32 vcc, 0, v4
	s_andn2_b64 s[2:3], s[2:3], exec
	s_and_b64 s[44:45], vcc, exec
	v_and_b32_e32 v5, 0xffff, v4
	s_or_b64 s[2:3], s[2:3], s[44:45]
	s_or_b64 exec, exec, s[4:5]
	s_and_saveexec_b64 s[4:5], s[2:3]
	s_cbranch_execnz .LBB315_1184
	s_branch .LBB315_1185
.LBB315_1212:
	s_mov_b64 s[42:43], -1
                                        ; implicit-def: $vgpr4
.LBB315_1213:
	s_mov_b64 s[4:5], 0
.LBB315_1214:
	s_and_b64 vcc, exec, s[4:5]
	s_cbranch_vccz .LBB315_1220
; %bb.1215:
	s_cmp_eq_u32 s47, 11
	s_cbranch_scc0 .LBB315_1219
; %bb.1216:
	global_load_ubyte v4, v[0:1], off
	s_movk_i32 s2, 0xff
	s_waitcnt vmcnt(0)
	v_cmp_ne_u16_e32 vcc, 0, v4
	v_cndmask_b32_e64 v6, 0, 1.0, vcc
	v_lshrrev_b32_e32 v5, 23, v6
	v_cmp_ne_u32_e32 vcc, s2, v5
	v_mov_b32_e32 v4, 0xff
	s_and_saveexec_b64 s[4:5], vcc
; %bb.1217:
	v_and_b32_e32 v4, 0x400000, v6
	s_mov_b32 s2, 0x3fffff
	v_cmp_ne_u32_e32 vcc, 0, v4
	v_and_or_b32 v4, v6, s2, v5
	v_cmp_ne_u32_e64 s[2:3], 0, v4
	s_and_b64 s[2:3], vcc, s[2:3]
	v_cndmask_b32_e64 v4, 0, 1, s[2:3]
	v_add_u32_e32 v4, v5, v4
; %bb.1218:
	s_or_b64 exec, exec, s[4:5]
	s_mov_b64 s[2:3], -1
	s_mov_b64 s[42:43], 0
	s_branch .LBB315_1220
.LBB315_1219:
	s_mov_b64 s[42:43], -1
                                        ; implicit-def: $vgpr4
.LBB315_1220:
	s_mov_b64 s[4:5], 0
.LBB315_1221:
	s_and_b64 vcc, exec, s[4:5]
	s_cbranch_vccz .LBB315_1292
; %bb.1222:
	s_and_b32 s44, 0xffff, s46
	s_cmp_lt_i32 s44, 5
	s_cbranch_scc1 .LBB315_1229
; %bb.1223:
	s_cmp_lt_i32 s44, 8
	s_cbranch_scc1 .LBB315_1230
; %bb.1224:
	;; [unrolled: 3-line block ×3, first 2 shown]
	s_cmp_gt_i32 s44, 9
	s_cbranch_scc0 .LBB315_1232
; %bb.1226:
	global_load_dwordx2 v[4:5], v[0:1], off
	s_movk_i32 s2, 0xff
	s_waitcnt vmcnt(0)
	v_cvt_f32_f64_e32 v5, v[4:5]
	v_mov_b32_e32 v4, 0xff
	v_bfe_u32 v6, v5, 23, 8
	v_cmp_ne_u32_e32 vcc, s2, v6
	s_and_saveexec_b64 s[4:5], vcc
; %bb.1227:
	s_mov_b32 s2, 0x3fffff
	v_lshrrev_b32_e32 v4, 23, v5
	v_and_b32_e32 v7, 0x400000, v5
	v_and_or_b32 v5, v5, s2, v6
	v_cmp_ne_u32_e32 vcc, 0, v7
	v_cmp_ne_u32_e64 s[2:3], 0, v5
	s_and_b64 s[2:3], vcc, s[2:3]
	v_cndmask_b32_e64 v5, 0, 1, s[2:3]
	v_add_u32_e32 v4, v4, v5
; %bb.1228:
	s_or_b64 exec, exec, s[4:5]
	s_mov_b64 s[2:3], 0
	s_branch .LBB315_1233
.LBB315_1229:
	s_mov_b64 s[2:3], -1
                                        ; implicit-def: $vgpr4
	s_branch .LBB315_1261
.LBB315_1230:
	s_mov_b64 s[2:3], -1
                                        ; implicit-def: $vgpr4
	s_branch .LBB315_1243
.LBB315_1231:
	s_mov_b64 s[2:3], -1
                                        ; implicit-def: $vgpr4
	s_branch .LBB315_1238
.LBB315_1232:
	s_mov_b64 s[2:3], -1
                                        ; implicit-def: $vgpr4
.LBB315_1233:
	s_andn2_b64 vcc, exec, s[2:3]
	s_cbranch_vccnz .LBB315_1237
; %bb.1234:
	global_load_dword v5, v[0:1], off
	s_movk_i32 s2, 0xff
	s_waitcnt vmcnt(1)
	v_mov_b32_e32 v4, 0xff
	s_waitcnt vmcnt(0)
	v_bfe_u32 v6, v5, 23, 8
	v_cmp_ne_u32_e32 vcc, s2, v6
	s_and_saveexec_b64 s[4:5], vcc
; %bb.1235:
	s_mov_b32 s2, 0x3fffff
	v_lshrrev_b32_e32 v4, 23, v5
	v_and_b32_e32 v7, 0x400000, v5
	v_and_or_b32 v5, v5, s2, v6
	v_cmp_ne_u32_e32 vcc, 0, v7
	v_cmp_ne_u32_e64 s[2:3], 0, v5
	s_and_b64 s[2:3], vcc, s[2:3]
	v_cndmask_b32_e64 v5, 0, 1, s[2:3]
	v_add_u32_e32 v4, v4, v5
; %bb.1236:
	s_or_b64 exec, exec, s[4:5]
.LBB315_1237:
	s_mov_b64 s[2:3], 0
.LBB315_1238:
	s_andn2_b64 vcc, exec, s[2:3]
	s_cbranch_vccnz .LBB315_1242
; %bb.1239:
	global_load_dword v4, v[0:1], off
	s_movk_i32 s2, 0xff
	s_waitcnt vmcnt(0)
	v_cvt_f32_f16_e32 v5, v4
	v_mov_b32_e32 v4, 0xff
	v_bfe_u32 v6, v5, 23, 8
	v_cmp_ne_u32_e32 vcc, s2, v6
	s_and_saveexec_b64 s[4:5], vcc
; %bb.1240:
	s_mov_b32 s2, 0x3fffff
	v_lshrrev_b32_e32 v4, 23, v5
	v_and_b32_e32 v7, 0x400000, v5
	v_and_or_b32 v5, v5, s2, v6
	v_cmp_ne_u32_e32 vcc, 0, v7
	v_cmp_ne_u32_e64 s[2:3], 0, v5
	s_and_b64 s[2:3], vcc, s[2:3]
	v_cndmask_b32_e64 v5, 0, 1, s[2:3]
	v_add_u32_e32 v4, v4, v5
; %bb.1241:
	s_or_b64 exec, exec, s[4:5]
.LBB315_1242:
	s_mov_b64 s[2:3], 0
.LBB315_1243:
	s_andn2_b64 vcc, exec, s[2:3]
	s_cbranch_vccnz .LBB315_1260
; %bb.1244:
	s_cmp_lt_i32 s44, 6
	s_cbranch_scc1 .LBB315_1249
; %bb.1245:
	s_cmp_gt_i32 s44, 6
	s_cbranch_scc0 .LBB315_1250
; %bb.1246:
	global_load_dwordx2 v[4:5], v[0:1], off
	s_movk_i32 s2, 0xff
	s_waitcnt vmcnt(0)
	v_cvt_f32_f64_e32 v5, v[4:5]
	v_mov_b32_e32 v4, 0xff
	v_bfe_u32 v6, v5, 23, 8
	v_cmp_ne_u32_e32 vcc, s2, v6
	s_and_saveexec_b64 s[4:5], vcc
; %bb.1247:
	s_mov_b32 s2, 0x3fffff
	v_lshrrev_b32_e32 v4, 23, v5
	v_and_b32_e32 v7, 0x400000, v5
	v_and_or_b32 v5, v5, s2, v6
	v_cmp_ne_u32_e32 vcc, 0, v7
	v_cmp_ne_u32_e64 s[2:3], 0, v5
	s_and_b64 s[2:3], vcc, s[2:3]
	v_cndmask_b32_e64 v5, 0, 1, s[2:3]
	v_add_u32_e32 v4, v4, v5
; %bb.1248:
	s_or_b64 exec, exec, s[4:5]
	s_mov_b64 s[2:3], 0
	s_branch .LBB315_1251
.LBB315_1249:
	s_mov_b64 s[2:3], -1
                                        ; implicit-def: $vgpr4
	s_branch .LBB315_1256
.LBB315_1250:
	s_mov_b64 s[2:3], -1
                                        ; implicit-def: $vgpr4
.LBB315_1251:
	s_andn2_b64 vcc, exec, s[2:3]
	s_cbranch_vccnz .LBB315_1255
; %bb.1252:
	global_load_dword v5, v[0:1], off
	s_movk_i32 s2, 0xff
	s_waitcnt vmcnt(1)
	v_mov_b32_e32 v4, 0xff
	s_waitcnt vmcnt(0)
	v_bfe_u32 v6, v5, 23, 8
	v_cmp_ne_u32_e32 vcc, s2, v6
	s_and_saveexec_b64 s[4:5], vcc
; %bb.1253:
	s_mov_b32 s2, 0x3fffff
	v_lshrrev_b32_e32 v4, 23, v5
	v_and_b32_e32 v7, 0x400000, v5
	v_and_or_b32 v5, v5, s2, v6
	v_cmp_ne_u32_e32 vcc, 0, v7
	v_cmp_ne_u32_e64 s[2:3], 0, v5
	s_and_b64 s[2:3], vcc, s[2:3]
	v_cndmask_b32_e64 v5, 0, 1, s[2:3]
	v_add_u32_e32 v4, v4, v5
; %bb.1254:
	s_or_b64 exec, exec, s[4:5]
.LBB315_1255:
	s_mov_b64 s[2:3], 0
.LBB315_1256:
	s_andn2_b64 vcc, exec, s[2:3]
	s_cbranch_vccnz .LBB315_1260
; %bb.1257:
	global_load_ushort v4, v[0:1], off
	s_movk_i32 s2, 0xff
	s_waitcnt vmcnt(0)
	v_cvt_f32_f16_e32 v5, v4
	v_mov_b32_e32 v4, 0xff
	v_bfe_u32 v6, v5, 23, 8
	v_cmp_ne_u32_e32 vcc, s2, v6
	s_and_saveexec_b64 s[4:5], vcc
; %bb.1258:
	s_mov_b32 s2, 0x3fffff
	v_lshrrev_b32_e32 v4, 23, v5
	v_and_b32_e32 v7, 0x400000, v5
	v_and_or_b32 v5, v5, s2, v6
	v_cmp_ne_u32_e32 vcc, 0, v7
	v_cmp_ne_u32_e64 s[2:3], 0, v5
	s_and_b64 s[2:3], vcc, s[2:3]
	v_cndmask_b32_e64 v5, 0, 1, s[2:3]
	v_add_u32_e32 v4, v4, v5
; %bb.1259:
	s_or_b64 exec, exec, s[4:5]
.LBB315_1260:
	s_mov_b64 s[2:3], 0
.LBB315_1261:
	s_andn2_b64 vcc, exec, s[2:3]
	s_cbranch_vccnz .LBB315_1291
; %bb.1262:
	s_cmp_lt_i32 s44, 2
	s_cbranch_scc1 .LBB315_1268
; %bb.1263:
	s_cmp_lt_i32 s44, 3
	s_cbranch_scc1 .LBB315_1269
; %bb.1264:
	s_cmp_gt_i32 s44, 3
	s_cbranch_scc0 .LBB315_1270
; %bb.1265:
	global_load_dwordx2 v[4:5], v[0:1], off
	s_movk_i32 s2, 0xff
	s_waitcnt vmcnt(0)
	v_xor_b32_e32 v7, v4, v5
	v_ffbh_i32_e32 v6, v5
	v_ashrrev_i32_e32 v7, 31, v7
	v_add_u32_e32 v6, -1, v6
	v_add_u32_e32 v7, 32, v7
	v_min_u32_e32 v6, v6, v7
	v_lshlrev_b64 v[4:5], v6, v[4:5]
	v_min_u32_e32 v4, 1, v4
	v_or_b32_e32 v4, v5, v4
	v_cvt_f32_i32_e32 v4, v4
	v_sub_u32_e32 v5, 32, v6
	v_ldexp_f32 v5, v4, v5
	v_bfe_u32 v6, v5, 23, 8
	v_cmp_ne_u32_e32 vcc, s2, v6
	v_mov_b32_e32 v4, 0xff
	s_and_saveexec_b64 s[4:5], vcc
; %bb.1266:
	s_mov_b32 s2, 0x3fffff
	v_lshrrev_b32_e32 v4, 23, v5
	v_and_b32_e32 v7, 0x400000, v5
	v_and_or_b32 v5, v5, s2, v6
	v_cmp_ne_u32_e32 vcc, 0, v7
	v_cmp_ne_u32_e64 s[2:3], 0, v5
	s_and_b64 s[2:3], vcc, s[2:3]
	v_cndmask_b32_e64 v5, 0, 1, s[2:3]
	v_add_u32_e32 v4, v4, v5
; %bb.1267:
	s_or_b64 exec, exec, s[4:5]
	s_mov_b64 s[2:3], 0
	s_branch .LBB315_1271
.LBB315_1268:
	s_mov_b64 s[2:3], -1
                                        ; implicit-def: $vgpr4
	s_branch .LBB315_1281
.LBB315_1269:
	s_mov_b64 s[2:3], -1
                                        ; implicit-def: $vgpr4
	s_branch .LBB315_1276
.LBB315_1270:
	s_mov_b64 s[2:3], -1
                                        ; implicit-def: $vgpr4
.LBB315_1271:
	s_andn2_b64 vcc, exec, s[2:3]
	s_cbranch_vccnz .LBB315_1275
; %bb.1272:
	global_load_dword v4, v[0:1], off
	s_movk_i32 s2, 0xff
	s_waitcnt vmcnt(0)
	v_cvt_f32_i32_e32 v5, v4
	v_mov_b32_e32 v4, 0xff
	v_bfe_u32 v6, v5, 23, 8
	v_cmp_ne_u32_e32 vcc, s2, v6
	s_and_saveexec_b64 s[4:5], vcc
; %bb.1273:
	s_mov_b32 s2, 0x3fffff
	v_lshrrev_b32_e32 v4, 23, v5
	v_and_b32_e32 v7, 0x400000, v5
	v_and_or_b32 v5, v5, s2, v6
	v_cmp_ne_u32_e32 vcc, 0, v7
	v_cmp_ne_u32_e64 s[2:3], 0, v5
	s_and_b64 s[2:3], vcc, s[2:3]
	v_cndmask_b32_e64 v5, 0, 1, s[2:3]
	v_add_u32_e32 v4, v4, v5
; %bb.1274:
	s_or_b64 exec, exec, s[4:5]
.LBB315_1275:
	s_mov_b64 s[2:3], 0
.LBB315_1276:
	s_andn2_b64 vcc, exec, s[2:3]
	s_cbranch_vccnz .LBB315_1280
; %bb.1277:
	global_load_sshort v4, v[0:1], off
	s_movk_i32 s2, 0xff
	s_waitcnt vmcnt(0)
	v_cvt_f32_i32_e32 v5, v4
	v_mov_b32_e32 v4, 0xff
	v_bfe_u32 v6, v5, 23, 8
	v_cmp_ne_u32_e32 vcc, s2, v6
	s_and_saveexec_b64 s[4:5], vcc
; %bb.1278:
	s_mov_b32 s2, 0x3fffff
	v_lshrrev_b32_e32 v4, 23, v5
	v_and_b32_e32 v7, 0x400000, v5
	v_and_or_b32 v5, v5, s2, v6
	v_cmp_ne_u32_e32 vcc, 0, v7
	v_cmp_ne_u32_e64 s[2:3], 0, v5
	s_and_b64 s[2:3], vcc, s[2:3]
	v_cndmask_b32_e64 v5, 0, 1, s[2:3]
	v_add_u32_e32 v4, v4, v5
; %bb.1279:
	s_or_b64 exec, exec, s[4:5]
.LBB315_1280:
	s_mov_b64 s[2:3], 0
.LBB315_1281:
	s_andn2_b64 vcc, exec, s[2:3]
	s_cbranch_vccnz .LBB315_1291
; %bb.1282:
	s_cmp_gt_i32 s44, 0
	s_cbranch_scc0 .LBB315_1286
; %bb.1283:
	global_load_sbyte v4, v[0:1], off
	s_movk_i32 s2, 0xff
	s_waitcnt vmcnt(0)
	v_cvt_f32_i32_e32 v5, v4
	v_mov_b32_e32 v4, 0xff
	v_bfe_u32 v6, v5, 23, 8
	v_cmp_ne_u32_e32 vcc, s2, v6
	s_and_saveexec_b64 s[4:5], vcc
; %bb.1284:
	s_mov_b32 s2, 0x3fffff
	v_lshrrev_b32_e32 v4, 23, v5
	v_and_b32_e32 v7, 0x400000, v5
	v_and_or_b32 v5, v5, s2, v6
	v_cmp_ne_u32_e32 vcc, 0, v7
	v_cmp_ne_u32_e64 s[2:3], 0, v5
	s_and_b64 s[2:3], vcc, s[2:3]
	v_cndmask_b32_e64 v5, 0, 1, s[2:3]
	v_add_u32_e32 v4, v4, v5
; %bb.1285:
	s_or_b64 exec, exec, s[4:5]
	s_mov_b64 s[2:3], 0
	s_branch .LBB315_1287
.LBB315_1286:
	s_mov_b64 s[2:3], -1
                                        ; implicit-def: $vgpr4
.LBB315_1287:
	s_andn2_b64 vcc, exec, s[2:3]
	s_cbranch_vccnz .LBB315_1291
; %bb.1288:
	global_load_ubyte v0, v[0:1], off
	s_movk_i32 s2, 0xff
	s_waitcnt vmcnt(1)
	v_mov_b32_e32 v4, 0xff
	s_waitcnt vmcnt(0)
	v_cvt_f32_ubyte0_e32 v1, v0
	v_lshrrev_b32_e32 v0, 23, v1
	v_cmp_ne_u32_e32 vcc, s2, v0
	s_and_saveexec_b64 s[4:5], vcc
; %bb.1289:
	s_mov_b32 s2, 0x3fffff
	v_and_b32_e32 v4, 0x400000, v1
	v_and_or_b32 v1, v1, s2, v0
	v_cmp_ne_u32_e32 vcc, 0, v4
	v_cmp_ne_u32_e64 s[2:3], 0, v1
	s_and_b64 s[2:3], vcc, s[2:3]
	v_cndmask_b32_e64 v1, 0, 1, s[2:3]
	v_add_u32_e32 v4, v0, v1
; %bb.1290:
	s_or_b64 exec, exec, s[4:5]
.LBB315_1291:
	s_mov_b64 s[2:3], -1
.LBB315_1292:
	s_andn2_b64 vcc, exec, s[2:3]
	s_cbranch_vccnz .LBB315_1300
; %bb.1293:
	s_movk_i32 s2, 0xff
	v_mov_b32_e32 v0, 23
	s_waitcnt vmcnt(0)
	v_lshlrev_b32_sdwa v1, v0, v3 dst_sel:DWORD dst_unused:UNUSED_PAD src0_sel:DWORD src1_sel:BYTE_0
	v_mov_b32_e32 v5, 0x7f800001
	v_cmp_ne_u16_sdwa vcc, v3, s2 src0_sel:BYTE_0 src1_sel:DWORD
	v_mov_b32_e32 v6, 0
	v_cndmask_b32_e32 v1, v5, v1, vcc
	v_mov_b32_e32 v7, 0x400000
	v_cmp_ne_u16_sdwa vcc, v3, v6 src0_sel:BYTE_0 src1_sel:DWORD
	v_cndmask_b32_e32 v1, v7, v1, vcc
	v_lshlrev_b32_sdwa v0, v0, v4 dst_sel:DWORD dst_unused:UNUSED_PAD src0_sel:DWORD src1_sel:BYTE_0
	v_cmp_ne_u16_sdwa vcc, v4, s2 src0_sel:BYTE_0 src1_sel:DWORD
	v_cndmask_b32_e32 v0, v5, v0, vcc
	v_cmp_ne_u16_sdwa vcc, v4, v6 src0_sel:BYTE_0 src1_sel:DWORD
	v_cndmask_b32_e32 v0, v7, v0, vcc
	v_cmp_eq_f32_e32 vcc, v1, v0
	v_cndmask_b32_e64 v3, 0, 1, vcc
	v_cmp_neq_f32_e32 vcc, v1, v0
	v_mul_lo_u32 v1, v2, s12
	v_cndmask_b32_e64 v0, 0, 1, vcc
	v_cndmask_b32_e64 v0, v0, v3, s[0:1]
	v_and_b32_e32 v0, 1, v0
	v_cmp_eq_u32_e64 s[2:3], 1, v0
	v_ashrrev_i32_e32 v3, 31, v1
	v_mov_b32_e32 v4, s9
	s_and_b32 s51, s33, 0xff
	v_add_co_u32_e32 v0, vcc, s8, v1
	s_cmp_lt_i32 s51, 11
	v_addc_co_u32_e32 v1, vcc, v4, v3, vcc
	s_cbranch_scc1 .LBB315_1301
; %bb.1294:
	s_and_b32 s52, 0xffff, s51
	s_cmp_gt_i32 s52, 25
	s_cbranch_scc0 .LBB315_1302
; %bb.1295:
	s_cmp_gt_i32 s52, 28
	s_cbranch_scc0 .LBB315_1303
; %bb.1296:
	;; [unrolled: 3-line block ×4, first 2 shown]
	s_mov_b64 s[46:47], 0
	s_mov_b64 s[4:5], -1
	s_cmp_eq_u32 s52, 46
	s_mov_b64 s[44:45], 0
	s_cbranch_scc0 .LBB315_1306
; %bb.1299:
	v_cndmask_b32_e64 v3, 0, 1.0, s[2:3]
	v_bfe_u32 v4, v3, 16, 1
	s_movk_i32 s4, 0x7fff
	v_add3_u32 v3, v3, v4, s4
	v_lshrrev_b32_e32 v3, 16, v3
	global_store_dword v[0:1], v3, off
	s_mov_b64 s[44:45], -1
	s_mov_b64 s[4:5], 0
	s_branch .LBB315_1306
.LBB315_1300:
	s_mov_b64 s[2:3], 0
                                        ; implicit-def: $vgpr2
	s_mov_b64 s[4:5], s[34:35]
	s_branch .LBB315_1416
.LBB315_1301:
	s_mov_b64 s[46:47], -1
	s_mov_b64 s[44:45], 0
	s_mov_b64 s[4:5], s[34:35]
	s_branch .LBB315_1375
.LBB315_1302:
	s_mov_b64 s[46:47], -1
	s_mov_b64 s[44:45], 0
	s_mov_b64 s[4:5], s[34:35]
	s_branch .LBB315_1333
.LBB315_1303:
	s_mov_b64 s[46:47], -1
	s_mov_b64 s[44:45], 0
	s_mov_b64 s[4:5], s[34:35]
	s_branch .LBB315_1316
.LBB315_1304:
	s_mov_b64 s[46:47], -1
	s_mov_b64 s[44:45], 0
	s_mov_b64 s[4:5], s[34:35]
	s_branch .LBB315_1312
.LBB315_1305:
	s_mov_b64 s[46:47], -1
	s_mov_b64 s[44:45], 0
	s_mov_b64 s[4:5], s[34:35]
.LBB315_1306:
	s_and_b64 vcc, exec, s[46:47]
	s_cbranch_vccz .LBB315_1311
; %bb.1307:
	s_cmp_eq_u32 s52, 44
	s_mov_b64 s[4:5], -1
	s_cbranch_scc0 .LBB315_1311
; %bb.1308:
	v_cndmask_b32_e64 v4, 0, 1.0, s[2:3]
	v_lshrrev_b32_e32 v3, 23, v4
	s_movk_i32 s4, 0xff
	v_cmp_ne_u32_e32 vcc, s4, v3
	v_mov_b32_e32 v5, 0xff
	s_and_saveexec_b64 s[44:45], vcc
; %bb.1309:
	s_mov_b32 s4, 0x3fffff
	v_and_b32_e32 v5, 0x400000, v4
	v_and_or_b32 v4, v4, s4, v3
	v_cmp_ne_u32_e32 vcc, 0, v5
	v_cmp_ne_u32_e64 s[4:5], 0, v4
	s_and_b64 s[4:5], vcc, s[4:5]
	v_cndmask_b32_e64 v4, 0, 1, s[4:5]
	v_add_u32_e32 v5, v3, v4
; %bb.1310:
	s_or_b64 exec, exec, s[44:45]
	s_mov_b64 s[44:45], -1
	s_mov_b64 s[4:5], 0
	global_store_byte v[0:1], v5, off
.LBB315_1311:
	s_mov_b64 s[46:47], 0
.LBB315_1312:
	s_and_b64 vcc, exec, s[46:47]
	s_cbranch_vccz .LBB315_1315
; %bb.1313:
	s_cmp_eq_u32 s52, 29
	s_mov_b64 s[4:5], -1
	s_cbranch_scc0 .LBB315_1315
; %bb.1314:
	s_mov_b32 s4, 0
	v_cndmask_b32_e64 v3, 0, 1, s[2:3]
	v_mov_b32_e32 v4, s4
	global_store_dwordx2 v[0:1], v[3:4], off
	s_mov_b64 s[44:45], -1
	s_mov_b64 s[4:5], 0
.LBB315_1315:
	s_mov_b64 s[46:47], 0
.LBB315_1316:
	s_and_b64 vcc, exec, s[46:47]
	s_cbranch_vccz .LBB315_1332
; %bb.1317:
	s_cmp_lt_i32 s52, 27
	s_mov_b64 s[44:45], -1
	s_cbranch_scc1 .LBB315_1323
; %bb.1318:
	s_cmp_gt_i32 s52, 27
	s_cbranch_scc0 .LBB315_1320
; %bb.1319:
	v_cndmask_b32_e64 v3, 0, 1, s[2:3]
	s_mov_b64 s[44:45], 0
	global_store_dword v[0:1], v3, off
.LBB315_1320:
	s_andn2_b64 vcc, exec, s[44:45]
	s_cbranch_vccnz .LBB315_1322
; %bb.1321:
	v_cndmask_b32_e64 v3, 0, 1, s[2:3]
	global_store_short v[0:1], v3, off
.LBB315_1322:
	s_mov_b64 s[44:45], 0
.LBB315_1323:
	s_andn2_b64 vcc, exec, s[44:45]
	s_cbranch_vccnz .LBB315_1331
; %bb.1324:
	v_cndmask_b32_e64 v4, 0, 1.0, s[2:3]
	s_mov_b32 s44, 0x43800000
	v_cmp_gt_u32_e32 vcc, s44, v4
	v_mov_b32_e32 v5, 0x80
	s_and_saveexec_b64 s[44:45], vcc
	s_cbranch_execz .LBB315_1330
; %bb.1325:
	s_mov_b32 s46, 0x3bffffff
	v_cmp_lt_u32_e32 vcc, s46, v4
	s_mov_b64 s[46:47], 0
                                        ; implicit-def: $vgpr3
	s_and_saveexec_b64 s[48:49], vcc
	s_xor_b64 s[48:49], exec, s[48:49]
	s_cbranch_execz .LBB315_1434
; %bb.1326:
	v_bfe_u32 v3, v4, 20, 1
	s_mov_b32 s53, 0x487ffff
	v_add3_u32 v3, v4, v3, s53
	s_mov_b64 s[46:47], exec
	v_lshrrev_b32_e32 v3, 20, v3
                                        ; implicit-def: $vgpr4
	s_andn2_saveexec_b64 s[48:49], s[48:49]
	s_cbranch_execnz .LBB315_1435
.LBB315_1327:
	s_or_b64 exec, exec, s[48:49]
	v_mov_b32_e32 v5, 0
	s_and_saveexec_b64 s[48:49], s[46:47]
.LBB315_1328:
	v_mov_b32_e32 v5, v3
.LBB315_1329:
	s_or_b64 exec, exec, s[48:49]
.LBB315_1330:
	s_or_b64 exec, exec, s[44:45]
	global_store_byte v[0:1], v5, off
.LBB315_1331:
	s_mov_b64 s[44:45], -1
.LBB315_1332:
	s_mov_b64 s[46:47], 0
.LBB315_1333:
	s_and_b64 vcc, exec, s[46:47]
	s_cbranch_vccz .LBB315_1374
; %bb.1334:
	s_cmp_gt_i32 s52, 22
	s_mov_b64 s[46:47], -1
	s_cbranch_scc0 .LBB315_1366
; %bb.1335:
	s_cmp_lt_i32 s52, 24
	s_mov_b64 s[44:45], -1
	s_cbranch_scc1 .LBB315_1355
; %bb.1336:
	s_cmp_gt_i32 s52, 24
	s_cbranch_scc0 .LBB315_1344
; %bb.1337:
	v_cndmask_b32_e64 v4, 0, 1.0, s[2:3]
	s_mov_b32 s44, 0x47800000
	v_cmp_gt_u32_e32 vcc, s44, v4
	v_mov_b32_e32 v5, 0x80
	s_and_saveexec_b64 s[44:45], vcc
	s_cbranch_execz .LBB315_1343
; %bb.1338:
	s_mov_b32 s46, 0x37ffffff
	v_cmp_lt_u32_e32 vcc, s46, v4
	s_mov_b64 s[46:47], 0
                                        ; implicit-def: $vgpr3
	s_and_saveexec_b64 s[48:49], vcc
	s_xor_b64 s[48:49], exec, s[48:49]
	s_cbranch_execz .LBB315_2752
; %bb.1339:
	v_bfe_u32 v3, v4, 21, 1
	s_mov_b32 s53, 0x88fffff
	v_add3_u32 v3, v4, v3, s53
	s_mov_b64 s[46:47], exec
	v_lshrrev_b32_e32 v3, 21, v3
                                        ; implicit-def: $vgpr4
	s_andn2_saveexec_b64 s[48:49], s[48:49]
	s_cbranch_execnz .LBB315_2753
.LBB315_1340:
	s_or_b64 exec, exec, s[48:49]
	v_mov_b32_e32 v5, 0
	s_and_saveexec_b64 s[48:49], s[46:47]
.LBB315_1341:
	v_mov_b32_e32 v5, v3
.LBB315_1342:
	s_or_b64 exec, exec, s[48:49]
.LBB315_1343:
	s_or_b64 exec, exec, s[44:45]
	s_mov_b64 s[44:45], 0
	global_store_byte v[0:1], v5, off
.LBB315_1344:
	s_and_b64 vcc, exec, s[44:45]
	s_cbranch_vccz .LBB315_1354
; %bb.1345:
	v_cndmask_b32_e64 v3, 0, 1.0, s[2:3]
	s_mov_b32 s44, 0x43f00000
	v_cmp_gt_u32_e32 vcc, s44, v3
                                        ; implicit-def: $vgpr4
	s_and_saveexec_b64 s[44:45], vcc
	s_xor_b64 s[44:45], exec, s[44:45]
	s_cbranch_execz .LBB315_1351
; %bb.1346:
	s_mov_b32 s46, 0x3c7fffff
	v_cmp_lt_u32_e32 vcc, s46, v3
                                        ; implicit-def: $vgpr4
	s_and_saveexec_b64 s[46:47], vcc
	s_xor_b64 s[46:47], exec, s[46:47]
; %bb.1347:
	v_bfe_u32 v4, v3, 20, 1
	s_mov_b32 s48, 0x407ffff
	v_add3_u32 v3, v3, v4, s48
	v_lshrrev_b32_e32 v4, 20, v3
	v_and_b32_e32 v3, 0xff00000, v3
	s_mov_b32 s48, 0x7f00000
	v_mov_b32_e32 v5, 0x7e
	v_cmp_ne_u32_e32 vcc, s48, v3
	v_cndmask_b32_e32 v4, v5, v4, vcc
                                        ; implicit-def: $vgpr3
; %bb.1348:
	s_andn2_saveexec_b64 s[46:47], s[46:47]
; %bb.1349:
	v_add_f32_e32 v4, 0x46800000, v3
; %bb.1350:
	s_or_b64 exec, exec, s[46:47]
                                        ; implicit-def: $vgpr3
.LBB315_1351:
	s_andn2_saveexec_b64 s[44:45], s[44:45]
; %bb.1352:
	s_mov_b32 s46, 0x7f800000
	v_mov_b32_e32 v4, 0x7e
	v_mov_b32_e32 v5, 0x7f
	v_cmp_lt_u32_e32 vcc, s46, v3
	v_cndmask_b32_e32 v4, v4, v5, vcc
; %bb.1353:
	s_or_b64 exec, exec, s[44:45]
	global_store_byte v[0:1], v4, off
.LBB315_1354:
	s_mov_b64 s[44:45], 0
.LBB315_1355:
	s_andn2_b64 vcc, exec, s[44:45]
	s_cbranch_vccnz .LBB315_1365
; %bb.1356:
	v_cndmask_b32_e64 v3, 0, 1.0, s[2:3]
	s_mov_b32 s44, 0x47800000
	v_cmp_gt_u32_e32 vcc, s44, v3
                                        ; implicit-def: $vgpr4
	s_and_saveexec_b64 s[44:45], vcc
	s_xor_b64 s[44:45], exec, s[44:45]
	s_cbranch_execz .LBB315_1362
; %bb.1357:
	s_mov_b32 s46, 0x387fffff
	v_cmp_lt_u32_e32 vcc, s46, v3
                                        ; implicit-def: $vgpr4
	s_and_saveexec_b64 s[46:47], vcc
	s_xor_b64 s[46:47], exec, s[46:47]
; %bb.1358:
	v_bfe_u32 v4, v3, 21, 1
	s_mov_b32 s48, 0x80fffff
	v_add3_u32 v3, v3, v4, s48
	v_lshrrev_b32_e32 v4, 21, v3
                                        ; implicit-def: $vgpr3
; %bb.1359:
	s_andn2_saveexec_b64 s[46:47], s[46:47]
; %bb.1360:
	v_add_f32_e32 v4, 0x43000000, v3
; %bb.1361:
	s_or_b64 exec, exec, s[46:47]
                                        ; implicit-def: $vgpr3
.LBB315_1362:
	s_andn2_saveexec_b64 s[44:45], s[44:45]
; %bb.1363:
	s_mov_b32 s46, 0x7f800000
	v_mov_b32_e32 v4, 0x7c
	v_mov_b32_e32 v5, 0x7f
	v_cmp_lt_u32_e32 vcc, s46, v3
	v_cndmask_b32_e32 v4, v4, v5, vcc
; %bb.1364:
	s_or_b64 exec, exec, s[44:45]
	global_store_byte v[0:1], v4, off
.LBB315_1365:
	s_mov_b64 s[46:47], 0
	s_mov_b64 s[44:45], -1
.LBB315_1366:
	s_andn2_b64 vcc, exec, s[46:47]
	s_cbranch_vccnz .LBB315_1374
; %bb.1367:
	s_cmp_gt_i32 s52, 14
	s_mov_b64 s[46:47], -1
	s_cbranch_scc0 .LBB315_1371
; %bb.1368:
	s_cmp_eq_u32 s52, 15
	s_mov_b64 s[4:5], -1
	s_cbranch_scc0 .LBB315_1370
; %bb.1369:
	v_cndmask_b32_e64 v3, 0, 1.0, s[2:3]
	v_bfe_u32 v4, v3, 16, 1
	s_movk_i32 s4, 0x7fff
	v_add3_u32 v3, v3, v4, s4
	global_store_short_d16_hi v[0:1], v3, off
	s_mov_b64 s[44:45], -1
	s_mov_b64 s[4:5], 0
.LBB315_1370:
	s_mov_b64 s[46:47], 0
.LBB315_1371:
	s_and_b64 vcc, exec, s[46:47]
	s_cbranch_vccz .LBB315_1374
; %bb.1372:
	s_cmp_eq_u32 s52, 11
	s_mov_b64 s[4:5], -1
	s_cbranch_scc0 .LBB315_1374
; %bb.1373:
	v_cndmask_b32_e64 v3, 0, 1, s[2:3]
	s_mov_b64 s[44:45], -1
	s_mov_b64 s[4:5], 0
	global_store_byte v[0:1], v3, off
.LBB315_1374:
	s_mov_b64 s[46:47], 0
.LBB315_1375:
	s_and_b64 vcc, exec, s[46:47]
	s_cbranch_vccz .LBB315_1414
; %bb.1376:
	s_and_b32 s46, 0xffff, s51
	s_cmp_lt_i32 s46, 5
	s_mov_b64 s[44:45], -1
	s_cbranch_scc1 .LBB315_1397
; %bb.1377:
	s_cmp_lt_i32 s46, 8
	s_cbranch_scc1 .LBB315_1387
; %bb.1378:
	s_cmp_lt_i32 s46, 9
	s_cbranch_scc1 .LBB315_1384
; %bb.1379:
	s_cmp_gt_i32 s46, 9
	s_cbranch_scc0 .LBB315_1381
; %bb.1380:
	v_cndmask_b32_e64 v3, 0, 1, s[2:3]
	v_cvt_f64_u32_e32 v[3:4], v3
	v_mov_b32_e32 v5, 0
	v_mov_b32_e32 v6, v5
	s_mov_b64 s[44:45], 0
	global_store_dwordx4 v[0:1], v[3:6], off
.LBB315_1381:
	s_andn2_b64 vcc, exec, s[44:45]
	s_cbranch_vccnz .LBB315_1383
; %bb.1382:
	v_cndmask_b32_e64 v3, 0, 1.0, s[2:3]
	v_mov_b32_e32 v4, 0
	global_store_dwordx2 v[0:1], v[3:4], off
.LBB315_1383:
	s_mov_b64 s[44:45], 0
.LBB315_1384:
	s_andn2_b64 vcc, exec, s[44:45]
	s_cbranch_vccnz .LBB315_1386
; %bb.1385:
	v_cndmask_b32_e64 v3, 0, 1.0, s[2:3]
	v_cvt_f16_f32_e32 v3, v3
	global_store_dword v[0:1], v3, off
.LBB315_1386:
	s_mov_b64 s[44:45], 0
.LBB315_1387:
	s_andn2_b64 vcc, exec, s[44:45]
	s_cbranch_vccnz .LBB315_1396
; %bb.1388:
	s_cmp_lt_i32 s46, 6
	s_mov_b64 s[44:45], -1
	s_cbranch_scc1 .LBB315_1394
; %bb.1389:
	s_cmp_gt_i32 s46, 6
	s_cbranch_scc0 .LBB315_1391
; %bb.1390:
	v_cndmask_b32_e64 v3, 0, 1, s[2:3]
	v_cvt_f64_u32_e32 v[3:4], v3
	s_mov_b64 s[44:45], 0
	global_store_dwordx2 v[0:1], v[3:4], off
.LBB315_1391:
	s_andn2_b64 vcc, exec, s[44:45]
	s_cbranch_vccnz .LBB315_1393
; %bb.1392:
	v_cndmask_b32_e64 v3, 0, 1.0, s[2:3]
	global_store_dword v[0:1], v3, off
.LBB315_1393:
	s_mov_b64 s[44:45], 0
.LBB315_1394:
	s_andn2_b64 vcc, exec, s[44:45]
	s_cbranch_vccnz .LBB315_1396
; %bb.1395:
	v_cndmask_b32_e64 v3, 0, 1.0, s[2:3]
	v_cvt_f16_f32_e32 v3, v3
	global_store_short v[0:1], v3, off
.LBB315_1396:
	s_mov_b64 s[44:45], 0
.LBB315_1397:
	s_andn2_b64 vcc, exec, s[44:45]
	s_cbranch_vccnz .LBB315_1413
; %bb.1398:
	s_cmp_lt_i32 s46, 2
	s_mov_b64 s[44:45], -1
	s_cbranch_scc1 .LBB315_1408
; %bb.1399:
	s_cmp_lt_i32 s46, 3
	s_cbranch_scc1 .LBB315_1405
; %bb.1400:
	s_cmp_gt_i32 s46, 3
	s_cbranch_scc0 .LBB315_1402
; %bb.1401:
	s_mov_b32 s44, 0
	v_cndmask_b32_e64 v3, 0, 1, s[2:3]
	v_mov_b32_e32 v4, s44
	s_mov_b64 s[44:45], 0
	global_store_dwordx2 v[0:1], v[3:4], off
.LBB315_1402:
	s_andn2_b64 vcc, exec, s[44:45]
	s_cbranch_vccnz .LBB315_1404
; %bb.1403:
	v_cndmask_b32_e64 v3, 0, 1, s[2:3]
	global_store_dword v[0:1], v3, off
.LBB315_1404:
	s_mov_b64 s[44:45], 0
.LBB315_1405:
	s_andn2_b64 vcc, exec, s[44:45]
	s_cbranch_vccnz .LBB315_1407
; %bb.1406:
	v_cndmask_b32_e64 v3, 0, 1, s[2:3]
	global_store_short v[0:1], v3, off
.LBB315_1407:
	s_mov_b64 s[44:45], 0
.LBB315_1408:
	s_andn2_b64 vcc, exec, s[44:45]
	s_cbranch_vccnz .LBB315_1413
; %bb.1409:
	s_mov_b64 s[44:45], -1
	s_cmp_gt_i32 s46, 0
	v_cndmask_b32_e64 v3, 0, 1, s[2:3]
	s_cbranch_scc0 .LBB315_1411
; %bb.1410:
	s_mov_b64 s[44:45], 0
	global_store_byte v[0:1], v3, off
.LBB315_1411:
	s_andn2_b64 vcc, exec, s[44:45]
	s_cbranch_vccnz .LBB315_1413
; %bb.1412:
	global_store_byte v[0:1], v3, off
.LBB315_1413:
	s_mov_b64 s[44:45], -1
.LBB315_1414:
	s_andn2_b64 vcc, exec, s[44:45]
	s_cbranch_vccnz .LBB315_1429
; %bb.1415:
	v_add_u32_e32 v2, 0x80, v2
	s_mov_b64 s[2:3], -1
.LBB315_1416:
	s_andn2_b64 s[44:45], s[34:35], exec
	s_and_b64 s[4:5], s[4:5], exec
	s_or_b64 s[44:45], s[44:45], s[4:5]
	s_andn2_b64 s[4:5], s[30:31], exec
	s_and_b64 s[42:43], s[42:43], exec
	s_or_b64 s[42:43], s[4:5], s[42:43]
	;; [unrolled: 3-line block ×3, first 2 shown]
	s_orn2_b64 s[48:49], s[2:3], exec
.LBB315_1417:
	s_or_b64 exec, exec, s[38:39]
	s_mov_b64 s[2:3], 0
	s_mov_b64 s[46:47], 0
	;; [unrolled: 1-line block ×3, first 2 shown]
                                        ; implicit-def: $sgpr56
                                        ; implicit-def: $vgpr0_vgpr1
                                        ; implicit-def: $vgpr3
	s_and_saveexec_b64 s[38:39], s[48:49]
	s_cbranch_execz .LBB315_1519
; %bb.1418:
	v_cmp_gt_i32_e32 vcc, s50, v2
	s_mov_b64 s[48:49], s[4:5]
	s_mov_b64 s[50:51], 0
	;; [unrolled: 1-line block ×3, first 2 shown]
                                        ; implicit-def: $sgpr56
                                        ; implicit-def: $vgpr0_vgpr1
                                        ; implicit-def: $vgpr3
	s_and_saveexec_b64 s[40:41], vcc
	s_cbranch_execz .LBB315_1518
; %bb.1419:
	v_mul_lo_u32 v0, v2, s13
	v_mov_b32_e32 v1, s11
	s_and_b32 s56, s55, 0xff
	s_cmp_lt_i32 s56, 11
	s_waitcnt vmcnt(0)
	v_ashrrev_i32_e32 v3, 31, v0
	v_add_co_u32_e32 v0, vcc, s10, v0
	v_addc_co_u32_e32 v1, vcc, v1, v3, vcc
	s_cbranch_scc1 .LBB315_1428
; %bb.1420:
	s_and_b32 s57, 0xffff, s56
	s_cmp_gt_i32 s57, 25
	s_mov_b64 s[48:49], 0
	s_cbranch_scc0 .LBB315_1430
; %bb.1421:
	s_cmp_gt_i32 s57, 28
	s_cbranch_scc0 .LBB315_1431
; %bb.1422:
	s_cmp_gt_i32 s57, 43
	;; [unrolled: 3-line block ×3, first 2 shown]
	s_cbranch_scc0 .LBB315_1433
; %bb.1424:
	s_cmp_eq_u32 s57, 46
	s_cbranch_scc0 .LBB315_1436
; %bb.1425:
	global_load_dword v4, v[0:1], off
	s_movk_i32 s2, 0xff
	v_mov_b32_e32 v3, 0xff
	s_waitcnt vmcnt(0)
	v_lshlrev_b32_e32 v5, 16, v4
	v_bfe_u32 v6, v5, 23, 8
	v_cmp_ne_u32_e32 vcc, s2, v6
	s_and_saveexec_b64 s[46:47], vcc
; %bb.1426:
	v_bfe_u32 v3, v4, 7, 9
	v_and_b32_e32 v4, 64, v4
	s_mov_b32 s2, 0x3f0000
	v_cmp_ne_u32_e32 vcc, 0, v4
	v_and_or_b32 v4, v5, s2, v6
	v_cmp_ne_u32_e64 s[2:3], 0, v4
	s_and_b64 s[2:3], vcc, s[2:3]
	v_cndmask_b32_e64 v4, 0, 1, s[2:3]
	v_add_u32_e32 v3, v3, v4
; %bb.1427:
	s_or_b64 exec, exec, s[46:47]
	s_mov_b64 s[46:47], 0
	s_mov_b64 s[2:3], -1
	s_branch .LBB315_1438
.LBB315_1428:
	s_mov_b64 s[50:51], -1
                                        ; implicit-def: $vgpr3
	s_mov_b64 s[48:49], 0
	s_mov_b64 s[46:47], s[4:5]
	s_branch .LBB315_1517
.LBB315_1429:
	s_mov_b64 s[2:3], 0
	s_branch .LBB315_1129
.LBB315_1430:
	s_mov_b64 s[50:51], -1
	s_mov_b64 s[46:47], s[4:5]
                                        ; implicit-def: $vgpr3
	s_branch .LBB315_1475
.LBB315_1431:
	s_mov_b64 s[50:51], -1
	s_mov_b64 s[46:47], s[4:5]
                                        ; implicit-def: $vgpr3
	s_branch .LBB315_1450
.LBB315_1432:
	s_mov_b64 s[50:51], -1
	s_mov_b64 s[46:47], s[4:5]
                                        ; implicit-def: $vgpr3
	s_branch .LBB315_1443
.LBB315_1433:
	s_mov_b64 s[50:51], -1
	s_mov_b64 s[46:47], s[4:5]
	s_branch .LBB315_1437
.LBB315_1434:
	s_andn2_saveexec_b64 s[48:49], s[48:49]
	s_cbranch_execz .LBB315_1327
.LBB315_1435:
	v_add_f32_e32 v3, 0x46000000, v4
	v_and_b32_e32 v3, 0xff, v3
	v_cmp_ne_u32_e32 vcc, 0, v3
	s_andn2_b64 s[46:47], s[46:47], exec
	s_and_b64 s[56:57], vcc, exec
	s_or_b64 s[46:47], s[46:47], s[56:57]
	s_or_b64 exec, exec, s[48:49]
	v_mov_b32_e32 v5, 0
	s_and_saveexec_b64 s[48:49], s[46:47]
	s_cbranch_execnz .LBB315_1328
	s_branch .LBB315_1329
.LBB315_1436:
	s_mov_b64 s[46:47], -1
.LBB315_1437:
                                        ; implicit-def: $vgpr3
.LBB315_1438:
	s_and_b64 vcc, exec, s[50:51]
	s_cbranch_vccz .LBB315_1442
; %bb.1439:
	s_cmp_eq_u32 s57, 44
	s_cbranch_scc0 .LBB315_1441
; %bb.1440:
	global_load_ubyte v3, v[0:1], off
	s_mov_b64 s[46:47], 0
	s_mov_b64 s[2:3], -1
	s_branch .LBB315_1442
.LBB315_1441:
	s_mov_b64 s[46:47], -1
                                        ; implicit-def: $vgpr3
.LBB315_1442:
	s_mov_b64 s[50:51], 0
.LBB315_1443:
	s_and_b64 vcc, exec, s[50:51]
	s_cbranch_vccz .LBB315_1449
; %bb.1444:
	s_cmp_eq_u32 s57, 29
	s_cbranch_scc0 .LBB315_1448
; %bb.1445:
	global_load_dwordx2 v[3:4], v[0:1], off
	s_movk_i32 s2, 0xff
	s_waitcnt vmcnt(0)
	v_ffbh_u32_e32 v5, v4
	v_min_u32_e32 v5, 32, v5
	v_lshlrev_b64 v[3:4], v5, v[3:4]
	v_min_u32_e32 v3, 1, v3
	v_or_b32_e32 v3, v4, v3
	v_cvt_f32_u32_e32 v3, v3
	v_sub_u32_e32 v4, 32, v5
	v_ldexp_f32 v5, v3, v4
	v_lshrrev_b32_e32 v4, 23, v5
	v_cmp_ne_u32_e32 vcc, s2, v4
	v_mov_b32_e32 v3, 0xff
	s_and_saveexec_b64 s[46:47], vcc
; %bb.1446:
	v_and_b32_e32 v3, 0x400000, v5
	s_mov_b32 s2, 0x3fffff
	v_cmp_ne_u32_e32 vcc, 0, v3
	v_and_or_b32 v3, v5, s2, v4
	v_cmp_ne_u32_e64 s[2:3], 0, v3
	s_and_b64 s[2:3], vcc, s[2:3]
	v_cndmask_b32_e64 v3, 0, 1, s[2:3]
	v_add_u32_e32 v3, v4, v3
; %bb.1447:
	s_or_b64 exec, exec, s[46:47]
	s_mov_b64 s[46:47], 0
	s_mov_b64 s[2:3], -1
	s_branch .LBB315_1449
.LBB315_1448:
	s_mov_b64 s[46:47], -1
                                        ; implicit-def: $vgpr3
.LBB315_1449:
	s_mov_b64 s[50:51], 0
.LBB315_1450:
	s_and_b64 vcc, exec, s[50:51]
	s_cbranch_vccz .LBB315_1474
; %bb.1451:
	s_cmp_lt_i32 s57, 27
	s_cbranch_scc1 .LBB315_1456
; %bb.1452:
	s_cmp_gt_i32 s57, 27
	s_cbranch_scc0 .LBB315_1457
; %bb.1453:
	global_load_dword v3, v[0:1], off
	s_movk_i32 s2, 0xff
	s_waitcnt vmcnt(0)
	v_cvt_f32_u32_e32 v5, v3
	v_mov_b32_e32 v3, 0xff
	v_lshrrev_b32_e32 v4, 23, v5
	v_cmp_ne_u32_e32 vcc, s2, v4
	s_and_saveexec_b64 s[50:51], vcc
; %bb.1454:
	v_and_b32_e32 v3, 0x400000, v5
	s_mov_b32 s2, 0x3fffff
	v_cmp_ne_u32_e32 vcc, 0, v3
	v_and_or_b32 v3, v5, s2, v4
	v_cmp_ne_u32_e64 s[2:3], 0, v3
	s_and_b64 s[2:3], vcc, s[2:3]
	v_cndmask_b32_e64 v3, 0, 1, s[2:3]
	v_add_u32_e32 v3, v4, v3
; %bb.1455:
	s_or_b64 exec, exec, s[50:51]
	s_mov_b64 s[2:3], 0
	s_branch .LBB315_1458
.LBB315_1456:
	s_mov_b64 s[2:3], -1
                                        ; implicit-def: $vgpr3
	s_branch .LBB315_1463
.LBB315_1457:
	s_mov_b64 s[2:3], -1
                                        ; implicit-def: $vgpr3
.LBB315_1458:
	s_andn2_b64 vcc, exec, s[2:3]
	s_cbranch_vccnz .LBB315_1462
; %bb.1459:
	global_load_ushort v3, v[0:1], off
	s_movk_i32 s2, 0xff
	s_waitcnt vmcnt(0)
	v_cvt_f32_u32_e32 v5, v3
	v_mov_b32_e32 v3, 0xff
	v_lshrrev_b32_e32 v4, 23, v5
	v_cmp_ne_u32_e32 vcc, s2, v4
	s_and_saveexec_b64 s[50:51], vcc
; %bb.1460:
	v_and_b32_e32 v3, 0x400000, v5
	s_mov_b32 s2, 0x3fffff
	v_cmp_ne_u32_e32 vcc, 0, v3
	v_and_or_b32 v3, v5, s2, v4
	v_cmp_ne_u32_e64 s[2:3], 0, v3
	s_and_b64 s[2:3], vcc, s[2:3]
	v_cndmask_b32_e64 v3, 0, 1, s[2:3]
	v_add_u32_e32 v3, v4, v3
; %bb.1461:
	s_or_b64 exec, exec, s[50:51]
.LBB315_1462:
	s_mov_b64 s[2:3], 0
.LBB315_1463:
	s_andn2_b64 vcc, exec, s[2:3]
	s_cbranch_vccnz .LBB315_1473
; %bb.1464:
	global_load_ubyte v3, v[0:1], off
	s_movk_i32 s2, 0x7f
	s_waitcnt vmcnt(0)
	v_cmp_lt_i16_e32 vcc, s2, v3
	s_mov_b64 s[2:3], 0
	s_and_saveexec_b64 s[50:51], vcc
	s_xor_b64 s[50:51], exec, s[50:51]
	s_cbranch_execz .LBB315_1489
; %bb.1465:
	s_movk_i32 s2, 0x80
	v_cmp_eq_u16_e32 vcc, s2, v3
	s_mov_b64 s[2:3], -1
	s_and_saveexec_b64 s[52:53], vcc
; %bb.1466:
	s_xor_b64 s[2:3], exec, -1
; %bb.1467:
	s_or_b64 exec, exec, s[52:53]
	s_and_b64 s[2:3], s[2:3], exec
	s_or_saveexec_b64 s[50:51], s[50:51]
	v_mov_b32_e32 v4, 0x7f800001
	s_xor_b64 exec, exec, s[50:51]
	s_cbranch_execnz .LBB315_1490
.LBB315_1468:
	s_or_b64 exec, exec, s[50:51]
	s_and_saveexec_b64 s[50:51], s[2:3]
	s_cbranch_execz .LBB315_1470
.LBB315_1469:
	v_and_b32_e32 v3, 0xffff, v3
	v_and_b32_e32 v4, 7, v3
	v_ffbh_u32_e32 v6, v4
	v_min_u32_e32 v6, 32, v6
	v_subrev_u32_e32 v7, 28, v6
	v_bfe_u32 v5, v3, 3, 4
	v_lshlrev_b32_e32 v3, v7, v3
	v_and_b32_e32 v3, 7, v3
	v_cmp_eq_u32_e32 vcc, 0, v5
	v_sub_u32_e32 v6, 29, v6
	v_cndmask_b32_e32 v3, v4, v3, vcc
	v_cndmask_b32_e32 v5, v5, v6, vcc
	v_lshlrev_b32_e32 v3, 20, v3
	v_lshl_or_b32 v3, v5, 23, v3
	v_add_u32_e32 v4, 0x3b800000, v3
.LBB315_1470:
	s_or_b64 exec, exec, s[50:51]
	v_lshrrev_b32_e32 v5, 23, v4
	s_movk_i32 s2, 0xff
	v_cmp_ne_u32_e32 vcc, s2, v5
	v_mov_b32_e32 v3, 0xff
	s_and_saveexec_b64 s[50:51], vcc
; %bb.1471:
	v_and_b32_e32 v3, 0x400000, v4
	s_mov_b32 s2, 0x3fffff
	v_cmp_ne_u32_e32 vcc, 0, v3
	v_and_or_b32 v3, v4, s2, v5
	v_cmp_ne_u32_e64 s[2:3], 0, v3
	s_and_b64 s[2:3], vcc, s[2:3]
	v_cndmask_b32_e64 v3, 0, 1, s[2:3]
	v_add_u32_e32 v3, v5, v3
; %bb.1472:
	s_or_b64 exec, exec, s[50:51]
.LBB315_1473:
	s_mov_b64 s[2:3], -1
.LBB315_1474:
	s_mov_b64 s[50:51], 0
.LBB315_1475:
	s_and_b64 vcc, exec, s[50:51]
	s_cbranch_vccz .LBB315_1516
; %bb.1476:
	s_cmp_gt_i32 s57, 22
	s_cbranch_scc0 .LBB315_1488
; %bb.1477:
	s_cmp_lt_i32 s57, 24
	s_cbranch_scc1 .LBB315_1491
; %bb.1478:
	s_cmp_gt_i32 s57, 24
	s_cbranch_scc0 .LBB315_1492
; %bb.1479:
	global_load_ubyte v3, v[0:1], off
	s_movk_i32 s2, 0x7f
	s_waitcnt vmcnt(0)
	v_cmp_lt_i16_e32 vcc, s2, v3
	s_mov_b64 s[2:3], 0
	s_and_saveexec_b64 s[48:49], vcc
	s_xor_b64 s[48:49], exec, s[48:49]
	s_cbranch_execz .LBB315_1510
; %bb.1480:
	s_movk_i32 s2, 0x80
	v_cmp_eq_u16_e32 vcc, s2, v3
	s_mov_b64 s[2:3], -1
	s_and_saveexec_b64 s[50:51], vcc
; %bb.1481:
	s_xor_b64 s[2:3], exec, -1
; %bb.1482:
	s_or_b64 exec, exec, s[50:51]
	s_and_b64 s[2:3], s[2:3], exec
	s_or_saveexec_b64 s[48:49], s[48:49]
	v_mov_b32_e32 v4, 0x7f800001
	s_xor_b64 exec, exec, s[48:49]
	s_cbranch_execnz .LBB315_1511
.LBB315_1483:
	s_or_b64 exec, exec, s[48:49]
	s_and_saveexec_b64 s[48:49], s[2:3]
	s_cbranch_execz .LBB315_1485
.LBB315_1484:
	v_and_b32_e32 v3, 0xffff, v3
	v_and_b32_e32 v4, 3, v3
	v_ffbh_u32_e32 v6, v4
	v_min_u32_e32 v6, 32, v6
	v_subrev_u32_e32 v7, 29, v6
	v_bfe_u32 v5, v3, 2, 5
	v_lshlrev_b32_e32 v3, v7, v3
	v_and_b32_e32 v3, 3, v3
	v_cmp_eq_u32_e32 vcc, 0, v5
	v_sub_u32_e32 v6, 30, v6
	v_cndmask_b32_e32 v3, v4, v3, vcc
	v_cndmask_b32_e32 v5, v5, v6, vcc
	v_lshlrev_b32_e32 v3, 21, v3
	v_lshl_or_b32 v3, v5, 23, v3
	v_add_u32_e32 v4, 0x37800000, v3
.LBB315_1485:
	s_or_b64 exec, exec, s[48:49]
	v_lshrrev_b32_e32 v5, 23, v4
	s_movk_i32 s2, 0xff
	v_cmp_ne_u32_e32 vcc, s2, v5
	v_mov_b32_e32 v3, 0xff
	s_and_saveexec_b64 s[48:49], vcc
; %bb.1486:
	v_and_b32_e32 v3, 0x400000, v4
	s_mov_b32 s2, 0x3fffff
	v_cmp_ne_u32_e32 vcc, 0, v3
	v_and_or_b32 v3, v4, s2, v5
	v_cmp_ne_u32_e64 s[2:3], 0, v3
	s_and_b64 s[2:3], vcc, s[2:3]
	v_cndmask_b32_e64 v3, 0, 1, s[2:3]
	v_add_u32_e32 v3, v5, v3
; %bb.1487:
	s_or_b64 exec, exec, s[48:49]
	s_mov_b64 s[2:3], 0
	s_branch .LBB315_1493
.LBB315_1488:
	s_mov_b64 s[48:49], -1
                                        ; implicit-def: $vgpr3
	s_branch .LBB315_1503
.LBB315_1489:
	s_or_saveexec_b64 s[50:51], s[50:51]
	v_mov_b32_e32 v4, 0x7f800001
	s_xor_b64 exec, exec, s[50:51]
	s_cbranch_execz .LBB315_1468
.LBB315_1490:
	v_cmp_ne_u16_e32 vcc, 0, v3
	s_andn2_b64 s[2:3], s[2:3], exec
	s_and_b64 s[52:53], vcc, exec
	v_and_b32_e32 v4, 0xffff, v3
	s_or_b64 s[2:3], s[2:3], s[52:53]
	s_or_b64 exec, exec, s[50:51]
	s_and_saveexec_b64 s[50:51], s[2:3]
	s_cbranch_execnz .LBB315_1469
	s_branch .LBB315_1470
.LBB315_1491:
	s_mov_b64 s[2:3], -1
                                        ; implicit-def: $vgpr3
	s_branch .LBB315_1498
.LBB315_1492:
	s_mov_b64 s[2:3], -1
                                        ; implicit-def: $vgpr3
.LBB315_1493:
	s_and_b64 vcc, exec, s[2:3]
	s_cbranch_vccz .LBB315_1497
; %bb.1494:
	global_load_ubyte v3, v[0:1], off
	s_mov_b32 s2, 0x7f800000
	s_movk_i32 s3, 0xff
	s_waitcnt vmcnt(0)
	v_lshlrev_b32_e32 v3, 24, v3
	v_and_b32_e32 v3, 0x7f000000, v3
	v_ffbh_u32_e32 v4, v3
	v_min_u32_e32 v4, 32, v4
	v_sub_u32_e64 v4, v4, 4 clamp
	v_lshlrev_b32_e32 v6, v4, v3
	v_lshlrev_b32_e32 v4, 23, v4
	v_lshrrev_b32_e32 v6, 4, v6
	v_add_u32_e32 v5, 0x1000000, v3
	v_sub_u32_e32 v4, v6, v4
	v_ashrrev_i32_e32 v5, 8, v5
	v_add_u32_e32 v4, 0x3c000000, v4
	v_and_or_b32 v4, v5, s2, v4
	v_cmp_ne_u32_e32 vcc, 0, v3
	v_cndmask_b32_e32 v5, 0, v4, vcc
	v_lshrrev_b32_e32 v4, 23, v5
	v_cmp_ne_u32_e32 vcc, s3, v4
	v_mov_b32_e32 v3, 0xff
	s_and_saveexec_b64 s[48:49], vcc
; %bb.1495:
	v_and_b32_e32 v3, 0x400000, v5
	s_mov_b32 s2, 0x3fffff
	v_cmp_ne_u32_e32 vcc, 0, v3
	v_and_or_b32 v3, v5, s2, v4
	v_cmp_ne_u32_e64 s[2:3], 0, v3
	s_and_b64 s[2:3], vcc, s[2:3]
	v_cndmask_b32_e64 v3, 0, 1, s[2:3]
	v_add_u32_e32 v3, v4, v3
; %bb.1496:
	s_or_b64 exec, exec, s[48:49]
.LBB315_1497:
	s_mov_b64 s[2:3], 0
.LBB315_1498:
	s_andn2_b64 vcc, exec, s[2:3]
	s_cbranch_vccnz .LBB315_1502
; %bb.1499:
	global_load_ubyte v3, v[0:1], off
	s_movk_i32 s2, 0x7f00
	s_brev_b32 s3, 16
	s_movk_i32 s48, 0xff
	s_waitcnt vmcnt(0)
	v_lshlrev_b32_e32 v4, 8, v3
	v_lshlrev_b32_e32 v3, 25, v3
	v_lshrrev_b32_e32 v5, 4, v3
	v_and_or_b32 v4, v4, s2, 0.5
	v_or_b32_e32 v5, 0x70000000, v5
	v_add_f32_e32 v4, -0.5, v4
	v_mul_f32_e32 v5, 0x7800000, v5
	v_cmp_gt_u32_e32 vcc, s3, v3
	v_cndmask_b32_e32 v4, v5, v4, vcc
	v_bfe_u32 v5, v4, 23, 8
	v_cmp_ne_u32_e32 vcc, s48, v5
	v_mov_b32_e32 v3, 0xff
	s_and_saveexec_b64 s[48:49], vcc
; %bb.1500:
	s_mov_b32 s2, 0x3fffff
	v_lshrrev_b32_e32 v3, 23, v4
	v_and_b32_e32 v6, 0x400000, v4
	v_and_or_b32 v4, v4, s2, v5
	v_cmp_ne_u32_e32 vcc, 0, v6
	v_cmp_ne_u32_e64 s[2:3], 0, v4
	s_and_b64 s[2:3], vcc, s[2:3]
	v_cndmask_b32_e64 v4, 0, 1, s[2:3]
	v_add_u32_e32 v3, v3, v4
; %bb.1501:
	s_or_b64 exec, exec, s[48:49]
.LBB315_1502:
	s_mov_b64 s[48:49], 0
	s_mov_b64 s[2:3], -1
.LBB315_1503:
	s_andn2_b64 vcc, exec, s[48:49]
	s_mov_b64 s[48:49], 0
	s_cbranch_vccnz .LBB315_1516
; %bb.1504:
	s_cmp_gt_i32 s57, 14
	s_cbranch_scc0 .LBB315_1509
; %bb.1505:
	s_cmp_eq_u32 s57, 15
	s_cbranch_scc0 .LBB315_1512
; %bb.1506:
	global_load_ushort v4, v[0:1], off
	s_movk_i32 s2, 0xff
	s_waitcnt vmcnt(1)
	v_mov_b32_e32 v3, 0xff
	s_waitcnt vmcnt(0)
	v_bfe_u32 v5, v4, 7, 8
	v_cmp_ne_u32_e32 vcc, s2, v5
	s_and_saveexec_b64 s[46:47], vcc
	s_cbranch_execz .LBB315_1508
; %bb.1507:
	v_lshrrev_b32_e32 v3, 7, v4
	v_lshlrev_b32_e32 v6, 16, v4
	v_and_b32_e32 v4, 64, v4
	s_mov_b32 s2, 0x3f0000
	v_cmp_ne_u32_e32 vcc, 0, v4
	v_and_or_b32 v4, v6, s2, v5
	v_cmp_ne_u32_e64 s[2:3], 0, v4
	s_and_b64 s[2:3], vcc, s[2:3]
	v_cndmask_b32_e64 v4, 0, 1, s[2:3]
	v_add_u32_e32 v3, v3, v4
.LBB315_1508:
	s_or_b64 exec, exec, s[46:47]
	s_mov_b64 s[46:47], 0
	s_mov_b64 s[2:3], -1
	s_branch .LBB315_1513
.LBB315_1509:
	s_mov_b64 s[50:51], -1
                                        ; implicit-def: $vgpr3
	s_branch .LBB315_1514
.LBB315_1510:
	s_or_saveexec_b64 s[48:49], s[48:49]
	v_mov_b32_e32 v4, 0x7f800001
	s_xor_b64 exec, exec, s[48:49]
	s_cbranch_execz .LBB315_1483
.LBB315_1511:
	v_cmp_ne_u16_e32 vcc, 0, v3
	s_andn2_b64 s[2:3], s[2:3], exec
	s_and_b64 s[50:51], vcc, exec
	v_and_b32_e32 v4, 0xffff, v3
	s_or_b64 s[2:3], s[2:3], s[50:51]
	s_or_b64 exec, exec, s[48:49]
	s_and_saveexec_b64 s[48:49], s[2:3]
	s_cbranch_execnz .LBB315_1484
	s_branch .LBB315_1485
.LBB315_1512:
	s_mov_b64 s[46:47], -1
                                        ; implicit-def: $vgpr3
.LBB315_1513:
	s_mov_b64 s[50:51], 0
.LBB315_1514:
	s_and_b64 vcc, exec, s[50:51]
	s_cbranch_vccz .LBB315_1516
; %bb.1515:
	s_cmp_lg_u32 s57, 11
	s_cselect_b64 s[50:51], -1, 0
	s_andn2_b64 s[46:47], s[46:47], exec
	s_and_b64 s[50:51], s[50:51], exec
	s_mov_b64 s[48:49], -1
	s_or_b64 s[46:47], s[46:47], s[50:51]
.LBB315_1516:
	s_mov_b64 s[50:51], 0
.LBB315_1517:
	s_and_b64 s[52:53], s[2:3], exec
	s_and_b64 s[2:3], s[48:49], exec
	s_andn2_b64 s[48:49], s[4:5], exec
	s_and_b64 s[46:47], s[46:47], exec
	s_and_b64 s[50:51], s[50:51], exec
	s_or_b64 s[48:49], s[48:49], s[46:47]
.LBB315_1518:
	s_or_b64 exec, exec, s[40:41]
	s_andn2_b64 s[4:5], s[4:5], exec
	s_and_b64 s[48:49], s[48:49], exec
	s_and_b64 s[40:41], s[52:53], exec
	;; [unrolled: 1-line block ×4, first 2 shown]
	s_or_b64 s[4:5], s[4:5], s[48:49]
.LBB315_1519:
	s_or_b64 exec, exec, s[38:39]
	s_andn2_b64 s[34:35], s[34:35], exec
	s_and_b64 s[38:39], s[44:45], exec
	s_or_b64 s[34:35], s[34:35], s[38:39]
	s_andn2_b64 s[30:31], s[30:31], exec
	s_and_b64 s[38:39], s[42:43], exec
	s_andn2_b64 s[28:29], s[28:29], exec
	s_and_b64 s[4:5], s[4:5], exec
	s_or_b64 s[30:31], s[30:31], s[38:39]
	s_and_b64 s[40:41], s[40:41], exec
	s_and_b64 s[38:39], s[46:47], exec
	;; [unrolled: 1-line block ×3, first 2 shown]
	s_or_b64 s[28:29], s[28:29], s[4:5]
.LBB315_1520:
	s_or_b64 exec, exec, s[36:37]
	s_andn2_b64 s[4:5], s[20:21], exec
	s_and_b64 s[20:21], s[34:35], exec
	s_or_b64 s[20:21], s[4:5], s[20:21]
	s_andn2_b64 s[4:5], s[22:23], exec
	s_and_b64 s[22:23], s[30:31], exec
	s_or_b64 s[22:23], s[4:5], s[22:23]
	s_and_b64 s[30:31], s[2:3], exec
	s_andn2_b64 s[2:3], s[24:25], exec
	s_and_b64 s[4:5], s[28:29], exec
	s_and_b64 s[34:35], s[40:41], exec
	;; [unrolled: 1-line block ×3, first 2 shown]
	s_or_b64 s[24:25], s[2:3], s[4:5]
	s_or_b64 exec, exec, s[26:27]
	s_mov_b64 s[4:5], 0
	s_and_saveexec_b64 s[2:3], s[24:25]
	s_cbranch_execz .LBB315_479
.LBB315_1521:
	s_mov_b64 s[4:5], exec
	s_andn2_b64 s[30:31], s[30:31], exec
	s_trap 2
	s_or_b64 exec, exec, s[2:3]
	s_and_saveexec_b64 s[2:3], s[30:31]
	s_xor_b64 s[24:25], exec, s[2:3]
	s_cbranch_execnz .LBB315_480
.LBB315_1522:
	s_or_b64 exec, exec, s[24:25]
	s_and_saveexec_b64 s[24:25], s[36:37]
	s_cbranch_execz .LBB315_1590
.LBB315_1523:
	s_sext_i32_i16 s2, s56
	s_cmp_lt_i32 s2, 5
	s_cbranch_scc1 .LBB315_1530
; %bb.1524:
	s_cmp_lt_i32 s2, 8
	s_cbranch_scc1 .LBB315_1531
; %bb.1525:
	;; [unrolled: 3-line block ×3, first 2 shown]
	s_cmp_gt_i32 s2, 9
	s_cbranch_scc0 .LBB315_1533
; %bb.1527:
	global_load_dwordx2 v[3:4], v[0:1], off
	s_movk_i32 s2, 0xff
	s_waitcnt vmcnt(0)
	v_cvt_f32_f64_e32 v4, v[3:4]
	v_mov_b32_e32 v3, 0xff
	v_bfe_u32 v5, v4, 23, 8
	v_cmp_ne_u32_e32 vcc, s2, v5
	s_and_saveexec_b64 s[26:27], vcc
; %bb.1528:
	s_mov_b32 s2, 0x3fffff
	v_lshrrev_b32_e32 v3, 23, v4
	v_and_b32_e32 v6, 0x400000, v4
	v_and_or_b32 v4, v4, s2, v5
	v_cmp_ne_u32_e32 vcc, 0, v6
	v_cmp_ne_u32_e64 s[2:3], 0, v4
	s_and_b64 s[2:3], vcc, s[2:3]
	v_cndmask_b32_e64 v4, 0, 1, s[2:3]
	v_add_u32_e32 v3, v3, v4
; %bb.1529:
	s_or_b64 exec, exec, s[26:27]
	s_mov_b64 s[2:3], 0
	s_branch .LBB315_1534
.LBB315_1530:
                                        ; implicit-def: $vgpr3
	s_branch .LBB315_1561
.LBB315_1531:
                                        ; implicit-def: $vgpr3
	s_branch .LBB315_1544
.LBB315_1532:
	s_mov_b64 s[2:3], -1
                                        ; implicit-def: $vgpr3
	s_branch .LBB315_1539
.LBB315_1533:
	s_mov_b64 s[2:3], -1
                                        ; implicit-def: $vgpr3
.LBB315_1534:
	s_andn2_b64 vcc, exec, s[2:3]
	s_cbranch_vccnz .LBB315_1538
; %bb.1535:
	global_load_dword v4, v[0:1], off
	s_movk_i32 s2, 0xff
	s_waitcnt vmcnt(1)
	v_mov_b32_e32 v3, 0xff
	s_waitcnt vmcnt(0)
	v_bfe_u32 v5, v4, 23, 8
	v_cmp_ne_u32_e32 vcc, s2, v5
	s_and_saveexec_b64 s[26:27], vcc
; %bb.1536:
	s_mov_b32 s2, 0x3fffff
	v_lshrrev_b32_e32 v3, 23, v4
	v_and_b32_e32 v6, 0x400000, v4
	v_and_or_b32 v4, v4, s2, v5
	v_cmp_ne_u32_e32 vcc, 0, v6
	v_cmp_ne_u32_e64 s[2:3], 0, v4
	s_and_b64 s[2:3], vcc, s[2:3]
	v_cndmask_b32_e64 v4, 0, 1, s[2:3]
	v_add_u32_e32 v3, v3, v4
; %bb.1537:
	s_or_b64 exec, exec, s[26:27]
.LBB315_1538:
	s_mov_b64 s[2:3], 0
.LBB315_1539:
	s_andn2_b64 vcc, exec, s[2:3]
	s_cbranch_vccnz .LBB315_1543
; %bb.1540:
	global_load_dword v3, v[0:1], off
	s_movk_i32 s2, 0xff
	s_waitcnt vmcnt(0)
	v_cvt_f32_f16_e32 v4, v3
	v_mov_b32_e32 v3, 0xff
	v_bfe_u32 v5, v4, 23, 8
	v_cmp_ne_u32_e32 vcc, s2, v5
	s_and_saveexec_b64 s[26:27], vcc
; %bb.1541:
	s_mov_b32 s2, 0x3fffff
	v_lshrrev_b32_e32 v3, 23, v4
	v_and_b32_e32 v6, 0x400000, v4
	v_and_or_b32 v4, v4, s2, v5
	v_cmp_ne_u32_e32 vcc, 0, v6
	v_cmp_ne_u32_e64 s[2:3], 0, v4
	s_and_b64 s[2:3], vcc, s[2:3]
	v_cndmask_b32_e64 v4, 0, 1, s[2:3]
	v_add_u32_e32 v3, v3, v4
; %bb.1542:
	s_or_b64 exec, exec, s[26:27]
.LBB315_1543:
	s_cbranch_execnz .LBB315_1560
.LBB315_1544:
	s_sext_i32_i16 s2, s56
	s_cmp_lt_i32 s2, 6
	s_cbranch_scc1 .LBB315_1549
; %bb.1545:
	s_cmp_gt_i32 s2, 6
	s_cbranch_scc0 .LBB315_1550
; %bb.1546:
	global_load_dwordx2 v[3:4], v[0:1], off
	s_movk_i32 s2, 0xff
	s_waitcnt vmcnt(0)
	v_cvt_f32_f64_e32 v4, v[3:4]
	v_mov_b32_e32 v3, 0xff
	v_bfe_u32 v5, v4, 23, 8
	v_cmp_ne_u32_e32 vcc, s2, v5
	s_and_saveexec_b64 s[26:27], vcc
; %bb.1547:
	s_mov_b32 s2, 0x3fffff
	v_lshrrev_b32_e32 v3, 23, v4
	v_and_b32_e32 v6, 0x400000, v4
	v_and_or_b32 v4, v4, s2, v5
	v_cmp_ne_u32_e32 vcc, 0, v6
	v_cmp_ne_u32_e64 s[2:3], 0, v4
	s_and_b64 s[2:3], vcc, s[2:3]
	v_cndmask_b32_e64 v4, 0, 1, s[2:3]
	v_add_u32_e32 v3, v3, v4
; %bb.1548:
	s_or_b64 exec, exec, s[26:27]
	s_mov_b64 s[2:3], 0
	s_branch .LBB315_1551
.LBB315_1549:
	s_mov_b64 s[2:3], -1
                                        ; implicit-def: $vgpr3
	s_branch .LBB315_1556
.LBB315_1550:
	s_mov_b64 s[2:3], -1
                                        ; implicit-def: $vgpr3
.LBB315_1551:
	s_andn2_b64 vcc, exec, s[2:3]
	s_cbranch_vccnz .LBB315_1555
; %bb.1552:
	global_load_dword v4, v[0:1], off
	s_movk_i32 s2, 0xff
	s_waitcnt vmcnt(1)
	v_mov_b32_e32 v3, 0xff
	s_waitcnt vmcnt(0)
	v_bfe_u32 v5, v4, 23, 8
	v_cmp_ne_u32_e32 vcc, s2, v5
	s_and_saveexec_b64 s[26:27], vcc
; %bb.1553:
	s_mov_b32 s2, 0x3fffff
	v_lshrrev_b32_e32 v3, 23, v4
	v_and_b32_e32 v6, 0x400000, v4
	v_and_or_b32 v4, v4, s2, v5
	v_cmp_ne_u32_e32 vcc, 0, v6
	v_cmp_ne_u32_e64 s[2:3], 0, v4
	s_and_b64 s[2:3], vcc, s[2:3]
	v_cndmask_b32_e64 v4, 0, 1, s[2:3]
	v_add_u32_e32 v3, v3, v4
; %bb.1554:
	s_or_b64 exec, exec, s[26:27]
.LBB315_1555:
	s_mov_b64 s[2:3], 0
.LBB315_1556:
	s_andn2_b64 vcc, exec, s[2:3]
	s_cbranch_vccnz .LBB315_1560
; %bb.1557:
	global_load_ushort v3, v[0:1], off
	s_movk_i32 s2, 0xff
	s_waitcnt vmcnt(0)
	v_cvt_f32_f16_e32 v4, v3
	v_mov_b32_e32 v3, 0xff
	v_bfe_u32 v5, v4, 23, 8
	v_cmp_ne_u32_e32 vcc, s2, v5
	s_and_saveexec_b64 s[26:27], vcc
; %bb.1558:
	s_mov_b32 s2, 0x3fffff
	v_lshrrev_b32_e32 v3, 23, v4
	v_and_b32_e32 v6, 0x400000, v4
	v_and_or_b32 v4, v4, s2, v5
	v_cmp_ne_u32_e32 vcc, 0, v6
	v_cmp_ne_u32_e64 s[2:3], 0, v4
	s_and_b64 s[2:3], vcc, s[2:3]
	v_cndmask_b32_e64 v4, 0, 1, s[2:3]
	v_add_u32_e32 v3, v3, v4
; %bb.1559:
	s_or_b64 exec, exec, s[26:27]
.LBB315_1560:
	s_cbranch_execnz .LBB315_1589
.LBB315_1561:
	s_sext_i32_i16 s2, s56
	s_cmp_lt_i32 s2, 2
	s_cbranch_scc1 .LBB315_1567
; %bb.1562:
	s_cmp_lt_i32 s2, 3
	s_cbranch_scc1 .LBB315_1568
; %bb.1563:
	s_cmp_gt_i32 s2, 3
	s_cbranch_scc0 .LBB315_1569
; %bb.1564:
	global_load_dwordx2 v[3:4], v[0:1], off
	s_movk_i32 s2, 0xff
	s_waitcnt vmcnt(0)
	v_xor_b32_e32 v6, v3, v4
	v_ffbh_i32_e32 v5, v4
	v_ashrrev_i32_e32 v6, 31, v6
	v_add_u32_e32 v5, -1, v5
	v_add_u32_e32 v6, 32, v6
	v_min_u32_e32 v5, v5, v6
	v_lshlrev_b64 v[3:4], v5, v[3:4]
	v_min_u32_e32 v3, 1, v3
	v_or_b32_e32 v3, v4, v3
	v_cvt_f32_i32_e32 v3, v3
	v_sub_u32_e32 v4, 32, v5
	v_ldexp_f32 v4, v3, v4
	v_bfe_u32 v5, v4, 23, 8
	v_cmp_ne_u32_e32 vcc, s2, v5
	v_mov_b32_e32 v3, 0xff
	s_and_saveexec_b64 s[26:27], vcc
; %bb.1565:
	s_mov_b32 s2, 0x3fffff
	v_lshrrev_b32_e32 v3, 23, v4
	v_and_b32_e32 v6, 0x400000, v4
	v_and_or_b32 v4, v4, s2, v5
	v_cmp_ne_u32_e32 vcc, 0, v6
	v_cmp_ne_u32_e64 s[2:3], 0, v4
	s_and_b64 s[2:3], vcc, s[2:3]
	v_cndmask_b32_e64 v4, 0, 1, s[2:3]
	v_add_u32_e32 v3, v3, v4
; %bb.1566:
	s_or_b64 exec, exec, s[26:27]
	s_mov_b64 s[2:3], 0
	s_branch .LBB315_1570
.LBB315_1567:
                                        ; implicit-def: $vgpr3
	s_branch .LBB315_1580
.LBB315_1568:
	s_mov_b64 s[2:3], -1
                                        ; implicit-def: $vgpr3
	s_branch .LBB315_1575
.LBB315_1569:
	s_mov_b64 s[2:3], -1
                                        ; implicit-def: $vgpr3
.LBB315_1570:
	s_andn2_b64 vcc, exec, s[2:3]
	s_cbranch_vccnz .LBB315_1574
; %bb.1571:
	global_load_dword v3, v[0:1], off
	s_movk_i32 s2, 0xff
	s_waitcnt vmcnt(0)
	v_cvt_f32_i32_e32 v4, v3
	v_mov_b32_e32 v3, 0xff
	v_bfe_u32 v5, v4, 23, 8
	v_cmp_ne_u32_e32 vcc, s2, v5
	s_and_saveexec_b64 s[26:27], vcc
; %bb.1572:
	s_mov_b32 s2, 0x3fffff
	v_lshrrev_b32_e32 v3, 23, v4
	v_and_b32_e32 v6, 0x400000, v4
	v_and_or_b32 v4, v4, s2, v5
	v_cmp_ne_u32_e32 vcc, 0, v6
	v_cmp_ne_u32_e64 s[2:3], 0, v4
	s_and_b64 s[2:3], vcc, s[2:3]
	v_cndmask_b32_e64 v4, 0, 1, s[2:3]
	v_add_u32_e32 v3, v3, v4
; %bb.1573:
	s_or_b64 exec, exec, s[26:27]
.LBB315_1574:
	s_mov_b64 s[2:3], 0
.LBB315_1575:
	s_andn2_b64 vcc, exec, s[2:3]
	s_cbranch_vccnz .LBB315_1579
; %bb.1576:
	global_load_sshort v3, v[0:1], off
	s_movk_i32 s2, 0xff
	s_waitcnt vmcnt(0)
	v_cvt_f32_i32_e32 v4, v3
	v_mov_b32_e32 v3, 0xff
	v_bfe_u32 v5, v4, 23, 8
	v_cmp_ne_u32_e32 vcc, s2, v5
	s_and_saveexec_b64 s[26:27], vcc
; %bb.1577:
	s_mov_b32 s2, 0x3fffff
	v_lshrrev_b32_e32 v3, 23, v4
	v_and_b32_e32 v6, 0x400000, v4
	v_and_or_b32 v4, v4, s2, v5
	v_cmp_ne_u32_e32 vcc, 0, v6
	v_cmp_ne_u32_e64 s[2:3], 0, v4
	s_and_b64 s[2:3], vcc, s[2:3]
	v_cndmask_b32_e64 v4, 0, 1, s[2:3]
	v_add_u32_e32 v3, v3, v4
; %bb.1578:
	s_or_b64 exec, exec, s[26:27]
.LBB315_1579:
	s_cbranch_execnz .LBB315_1589
.LBB315_1580:
	s_sext_i32_i16 s2, s56
	s_cmp_gt_i32 s2, 0
	s_cbranch_scc0 .LBB315_1584
; %bb.1581:
	global_load_sbyte v3, v[0:1], off
	s_movk_i32 s2, 0xff
	s_waitcnt vmcnt(0)
	v_cvt_f32_i32_e32 v4, v3
	v_mov_b32_e32 v3, 0xff
	v_bfe_u32 v5, v4, 23, 8
	v_cmp_ne_u32_e32 vcc, s2, v5
	s_and_saveexec_b64 s[26:27], vcc
; %bb.1582:
	s_mov_b32 s2, 0x3fffff
	v_lshrrev_b32_e32 v3, 23, v4
	v_and_b32_e32 v6, 0x400000, v4
	v_and_or_b32 v4, v4, s2, v5
	v_cmp_ne_u32_e32 vcc, 0, v6
	v_cmp_ne_u32_e64 s[2:3], 0, v4
	s_and_b64 s[2:3], vcc, s[2:3]
	v_cndmask_b32_e64 v4, 0, 1, s[2:3]
	v_add_u32_e32 v3, v3, v4
; %bb.1583:
	s_or_b64 exec, exec, s[26:27]
	s_mov_b64 s[2:3], 0
	s_branch .LBB315_1585
.LBB315_1584:
	s_mov_b64 s[2:3], -1
                                        ; implicit-def: $vgpr3
.LBB315_1585:
	s_andn2_b64 vcc, exec, s[2:3]
	s_cbranch_vccnz .LBB315_1589
; %bb.1586:
	global_load_ubyte v0, v[0:1], off
	s_movk_i32 s2, 0xff
	s_waitcnt vmcnt(1)
	v_mov_b32_e32 v3, 0xff
	s_waitcnt vmcnt(0)
	v_cvt_f32_ubyte0_e32 v1, v0
	v_lshrrev_b32_e32 v0, 23, v1
	v_cmp_ne_u32_e32 vcc, s2, v0
	s_and_saveexec_b64 s[26:27], vcc
; %bb.1587:
	s_mov_b32 s2, 0x3fffff
	v_and_b32_e32 v3, 0x400000, v1
	v_and_or_b32 v1, v1, s2, v0
	v_cmp_ne_u32_e32 vcc, 0, v3
	v_cmp_ne_u32_e64 s[2:3], 0, v1
	s_and_b64 s[2:3], vcc, s[2:3]
	v_cndmask_b32_e64 v1, 0, 1, s[2:3]
	v_add_u32_e32 v3, v0, v1
; %bb.1588:
	s_or_b64 exec, exec, s[26:27]
.LBB315_1589:
	s_or_b64 s[34:35], s[34:35], exec
.LBB315_1590:
	s_or_b64 exec, exec, s[24:25]
	s_mov_b64 s[2:3], 0
	s_mov_b64 s[36:37], 0
	;; [unrolled: 1-line block ×3, first 2 shown]
                                        ; implicit-def: $sgpr38
                                        ; implicit-def: $vgpr0_vgpr1
                                        ; implicit-def: $vgpr4
	s_and_saveexec_b64 s[24:25], s[34:35]
	s_cbranch_execz .LBB315_1600
; %bb.1591:
	v_mul_lo_u32 v0, v2, s14
	v_mov_b32_e32 v1, s17
	s_and_b32 s38, s54, 0xff
	s_cmp_lt_i32 s38, 11
	s_waitcnt vmcnt(0)
	v_ashrrev_i32_e32 v4, 31, v0
	v_add_co_u32_e32 v0, vcc, s16, v0
	v_addc_co_u32_e32 v1, vcc, v1, v4, vcc
	s_cbranch_scc1 .LBB315_1605
; %bb.1592:
	s_and_b32 s36, 0xffff, s38
	s_cmp_gt_i32 s36, 25
	s_mov_b64 s[30:31], 0
	s_cbranch_scc0 .LBB315_1606
; %bb.1593:
	s_cmp_gt_i32 s36, 28
	s_cbranch_scc0 .LBB315_1607
; %bb.1594:
	s_cmp_gt_i32 s36, 43
	;; [unrolled: 3-line block ×3, first 2 shown]
	s_cbranch_scc0 .LBB315_1609
; %bb.1596:
	s_cmp_eq_u32 s36, 46
	s_cbranch_scc0 .LBB315_1610
; %bb.1597:
	global_load_dword v5, v[0:1], off
	s_movk_i32 s2, 0xff
	v_mov_b32_e32 v4, 0xff
	s_waitcnt vmcnt(0)
	v_lshlrev_b32_e32 v6, 16, v5
	v_bfe_u32 v7, v6, 23, 8
	v_cmp_ne_u32_e32 vcc, s2, v7
	s_and_saveexec_b64 s[26:27], vcc
; %bb.1598:
	v_bfe_u32 v4, v5, 7, 9
	v_and_b32_e32 v5, 64, v5
	s_mov_b32 s2, 0x3f0000
	v_cmp_ne_u32_e32 vcc, 0, v5
	v_and_or_b32 v5, v6, s2, v7
	v_cmp_ne_u32_e64 s[2:3], 0, v5
	s_and_b64 s[2:3], vcc, s[2:3]
	v_cndmask_b32_e64 v5, 0, 1, s[2:3]
	v_add_u32_e32 v4, v4, v5
; %bb.1599:
	s_or_b64 exec, exec, s[26:27]
	s_mov_b64 s[26:27], 0
	s_mov_b64 s[2:3], -1
	s_branch .LBB315_1612
.LBB315_1600:
	s_or_b64 exec, exec, s[24:25]
	s_and_saveexec_b64 s[24:25], s[22:23]
	s_cbranch_execnz .LBB315_1691
.LBB315_1601:
	s_or_b64 exec, exec, s[24:25]
	s_and_saveexec_b64 s[22:23], s[2:3]
	s_xor_b64 s[22:23], exec, s[22:23]
	s_cbranch_execz .LBB315_1692
.LBB315_1602:
	global_load_ubyte v4, v[0:1], off
	s_movk_i32 s2, 0xff
	s_waitcnt vmcnt(0)
	v_cmp_ne_u16_e32 vcc, 0, v4
	v_cndmask_b32_e64 v6, 0, 1.0, vcc
	v_lshrrev_b32_e32 v5, 23, v6
	v_cmp_ne_u32_e32 vcc, s2, v5
	v_mov_b32_e32 v4, 0xff
	s_and_saveexec_b64 s[24:25], vcc
; %bb.1603:
	v_and_b32_e32 v4, 0x400000, v6
	s_mov_b32 s2, 0x3fffff
	v_cmp_ne_u32_e32 vcc, 0, v4
	v_and_or_b32 v4, v6, s2, v5
	v_cmp_ne_u32_e64 s[2:3], 0, v4
	s_and_b64 s[2:3], vcc, s[2:3]
	v_cndmask_b32_e64 v4, 0, 1, s[2:3]
	v_add_u32_e32 v4, v5, v4
; %bb.1604:
	s_or_b64 exec, exec, s[24:25]
	s_or_b64 s[28:29], s[28:29], exec
	s_or_b64 exec, exec, s[22:23]
	s_and_saveexec_b64 s[22:23], s[36:37]
	s_cbranch_execz .LBB315_1760
	s_branch .LBB315_1693
.LBB315_1605:
	s_mov_b64 s[34:35], -1
                                        ; implicit-def: $vgpr4
	s_mov_b64 s[30:31], 0
	s_mov_b64 s[26:27], s[22:23]
	s_branch .LBB315_1690
.LBB315_1606:
	s_mov_b64 s[26:27], s[22:23]
                                        ; implicit-def: $vgpr4
	s_cbranch_execnz .LBB315_1649
	s_branch .LBB315_1689
.LBB315_1607:
	s_mov_b64 s[28:29], -1
	s_mov_b64 s[26:27], s[22:23]
                                        ; implicit-def: $vgpr4
	s_branch .LBB315_1624
.LBB315_1608:
	s_mov_b64 s[28:29], -1
	s_mov_b64 s[26:27], s[22:23]
                                        ; implicit-def: $vgpr4
	s_branch .LBB315_1617
.LBB315_1609:
	s_mov_b64 s[28:29], -1
	s_mov_b64 s[26:27], s[22:23]
	s_branch .LBB315_1611
.LBB315_1610:
	s_mov_b64 s[26:27], -1
.LBB315_1611:
                                        ; implicit-def: $vgpr4
.LBB315_1612:
	s_and_b64 vcc, exec, s[28:29]
	s_cbranch_vccz .LBB315_1616
; %bb.1613:
	s_cmp_eq_u32 s36, 44
	s_cbranch_scc0 .LBB315_1615
; %bb.1614:
	global_load_ubyte v4, v[0:1], off
	s_mov_b64 s[26:27], 0
	s_mov_b64 s[2:3], -1
	s_branch .LBB315_1616
.LBB315_1615:
	s_mov_b64 s[26:27], -1
                                        ; implicit-def: $vgpr4
.LBB315_1616:
	s_mov_b64 s[28:29], 0
.LBB315_1617:
	s_and_b64 vcc, exec, s[28:29]
	s_cbranch_vccz .LBB315_1623
; %bb.1618:
	s_cmp_eq_u32 s36, 29
	s_cbranch_scc0 .LBB315_1622
; %bb.1619:
	global_load_dwordx2 v[4:5], v[0:1], off
	s_movk_i32 s2, 0xff
	s_waitcnt vmcnt(0)
	v_ffbh_u32_e32 v6, v5
	v_min_u32_e32 v6, 32, v6
	v_lshlrev_b64 v[4:5], v6, v[4:5]
	v_min_u32_e32 v4, 1, v4
	v_or_b32_e32 v4, v5, v4
	v_cvt_f32_u32_e32 v4, v4
	v_sub_u32_e32 v5, 32, v6
	v_ldexp_f32 v6, v4, v5
	v_lshrrev_b32_e32 v5, 23, v6
	v_cmp_ne_u32_e32 vcc, s2, v5
	v_mov_b32_e32 v4, 0xff
	s_and_saveexec_b64 s[26:27], vcc
; %bb.1620:
	v_and_b32_e32 v4, 0x400000, v6
	s_mov_b32 s2, 0x3fffff
	v_cmp_ne_u32_e32 vcc, 0, v4
	v_and_or_b32 v4, v6, s2, v5
	v_cmp_ne_u32_e64 s[2:3], 0, v4
	s_and_b64 s[2:3], vcc, s[2:3]
	v_cndmask_b32_e64 v4, 0, 1, s[2:3]
	v_add_u32_e32 v4, v5, v4
; %bb.1621:
	s_or_b64 exec, exec, s[26:27]
	s_mov_b64 s[26:27], 0
	s_mov_b64 s[2:3], -1
	s_branch .LBB315_1623
.LBB315_1622:
	s_mov_b64 s[26:27], -1
                                        ; implicit-def: $vgpr4
.LBB315_1623:
	s_mov_b64 s[28:29], 0
.LBB315_1624:
	s_and_b64 vcc, exec, s[28:29]
	s_cbranch_vccz .LBB315_1648
; %bb.1625:
	s_cmp_lt_i32 s36, 27
	s_cbranch_scc1 .LBB315_1630
; %bb.1626:
	s_cmp_gt_i32 s36, 27
	s_cbranch_scc0 .LBB315_1631
; %bb.1627:
	global_load_dword v4, v[0:1], off
	s_movk_i32 s2, 0xff
	s_waitcnt vmcnt(0)
	v_cvt_f32_u32_e32 v6, v4
	v_mov_b32_e32 v4, 0xff
	v_lshrrev_b32_e32 v5, 23, v6
	v_cmp_ne_u32_e32 vcc, s2, v5
	s_and_saveexec_b64 s[28:29], vcc
; %bb.1628:
	v_and_b32_e32 v4, 0x400000, v6
	s_mov_b32 s2, 0x3fffff
	v_cmp_ne_u32_e32 vcc, 0, v4
	v_and_or_b32 v4, v6, s2, v5
	v_cmp_ne_u32_e64 s[2:3], 0, v4
	s_and_b64 s[2:3], vcc, s[2:3]
	v_cndmask_b32_e64 v4, 0, 1, s[2:3]
	v_add_u32_e32 v4, v5, v4
; %bb.1629:
	s_or_b64 exec, exec, s[28:29]
	s_mov_b64 s[2:3], 0
	s_branch .LBB315_1632
.LBB315_1630:
	s_mov_b64 s[2:3], -1
                                        ; implicit-def: $vgpr4
	s_branch .LBB315_1637
.LBB315_1631:
	s_mov_b64 s[2:3], -1
                                        ; implicit-def: $vgpr4
.LBB315_1632:
	s_andn2_b64 vcc, exec, s[2:3]
	s_cbranch_vccnz .LBB315_1636
; %bb.1633:
	global_load_ushort v4, v[0:1], off
	s_movk_i32 s2, 0xff
	s_waitcnt vmcnt(0)
	v_cvt_f32_u32_e32 v6, v4
	v_mov_b32_e32 v4, 0xff
	v_lshrrev_b32_e32 v5, 23, v6
	v_cmp_ne_u32_e32 vcc, s2, v5
	s_and_saveexec_b64 s[28:29], vcc
; %bb.1634:
	v_and_b32_e32 v4, 0x400000, v6
	s_mov_b32 s2, 0x3fffff
	v_cmp_ne_u32_e32 vcc, 0, v4
	v_and_or_b32 v4, v6, s2, v5
	v_cmp_ne_u32_e64 s[2:3], 0, v4
	s_and_b64 s[2:3], vcc, s[2:3]
	v_cndmask_b32_e64 v4, 0, 1, s[2:3]
	v_add_u32_e32 v4, v5, v4
; %bb.1635:
	s_or_b64 exec, exec, s[28:29]
.LBB315_1636:
	s_mov_b64 s[2:3], 0
.LBB315_1637:
	s_andn2_b64 vcc, exec, s[2:3]
	s_cbranch_vccnz .LBB315_1647
; %bb.1638:
	global_load_ubyte v4, v[0:1], off
	s_movk_i32 s2, 0x7f
	s_waitcnt vmcnt(0)
	v_cmp_lt_i16_e32 vcc, s2, v4
	s_mov_b64 s[2:3], 0
	s_and_saveexec_b64 s[28:29], vcc
	s_xor_b64 s[28:29], exec, s[28:29]
	s_cbranch_execz .LBB315_1662
; %bb.1639:
	s_movk_i32 s2, 0x80
	v_cmp_eq_u16_e32 vcc, s2, v4
	s_mov_b64 s[2:3], -1
	s_and_saveexec_b64 s[34:35], vcc
; %bb.1640:
	s_xor_b64 s[2:3], exec, -1
; %bb.1641:
	s_or_b64 exec, exec, s[34:35]
	s_and_b64 s[2:3], s[2:3], exec
	s_or_saveexec_b64 s[28:29], s[28:29]
	v_mov_b32_e32 v5, 0x7f800001
	s_xor_b64 exec, exec, s[28:29]
	s_cbranch_execnz .LBB315_1663
.LBB315_1642:
	s_or_b64 exec, exec, s[28:29]
	s_and_saveexec_b64 s[28:29], s[2:3]
	s_cbranch_execz .LBB315_1644
.LBB315_1643:
	v_and_b32_e32 v4, 0xffff, v4
	v_and_b32_e32 v5, 7, v4
	v_ffbh_u32_e32 v7, v5
	v_min_u32_e32 v7, 32, v7
	v_subrev_u32_e32 v8, 28, v7
	v_bfe_u32 v6, v4, 3, 4
	v_lshlrev_b32_e32 v4, v8, v4
	v_and_b32_e32 v4, 7, v4
	v_cmp_eq_u32_e32 vcc, 0, v6
	v_sub_u32_e32 v7, 29, v7
	v_cndmask_b32_e32 v4, v5, v4, vcc
	v_cndmask_b32_e32 v6, v6, v7, vcc
	v_lshlrev_b32_e32 v4, 20, v4
	v_lshl_or_b32 v4, v6, 23, v4
	v_add_u32_e32 v5, 0x3b800000, v4
.LBB315_1644:
	s_or_b64 exec, exec, s[28:29]
	v_lshrrev_b32_e32 v6, 23, v5
	s_movk_i32 s2, 0xff
	v_cmp_ne_u32_e32 vcc, s2, v6
	v_mov_b32_e32 v4, 0xff
	s_and_saveexec_b64 s[28:29], vcc
; %bb.1645:
	v_and_b32_e32 v4, 0x400000, v5
	s_mov_b32 s2, 0x3fffff
	v_cmp_ne_u32_e32 vcc, 0, v4
	v_and_or_b32 v4, v5, s2, v6
	v_cmp_ne_u32_e64 s[2:3], 0, v4
	s_and_b64 s[2:3], vcc, s[2:3]
	v_cndmask_b32_e64 v4, 0, 1, s[2:3]
	v_add_u32_e32 v4, v6, v4
; %bb.1646:
	s_or_b64 exec, exec, s[28:29]
.LBB315_1647:
	s_mov_b64 s[2:3], -1
.LBB315_1648:
	s_branch .LBB315_1689
.LBB315_1649:
	s_cmp_gt_i32 s36, 22
	s_cbranch_scc0 .LBB315_1661
; %bb.1650:
	s_cmp_lt_i32 s36, 24
	s_cbranch_scc1 .LBB315_1664
; %bb.1651:
	s_cmp_gt_i32 s36, 24
	s_cbranch_scc0 .LBB315_1665
; %bb.1652:
	global_load_ubyte v4, v[0:1], off
	s_movk_i32 s2, 0x7f
	s_waitcnt vmcnt(0)
	v_cmp_lt_i16_e32 vcc, s2, v4
	s_mov_b64 s[2:3], 0
	s_and_saveexec_b64 s[28:29], vcc
	s_xor_b64 s[28:29], exec, s[28:29]
	s_cbranch_execz .LBB315_1683
; %bb.1653:
	s_movk_i32 s2, 0x80
	v_cmp_eq_u16_e32 vcc, s2, v4
	s_mov_b64 s[2:3], -1
	s_and_saveexec_b64 s[30:31], vcc
; %bb.1654:
	s_xor_b64 s[2:3], exec, -1
; %bb.1655:
	s_or_b64 exec, exec, s[30:31]
	s_and_b64 s[2:3], s[2:3], exec
	s_or_saveexec_b64 s[28:29], s[28:29]
	v_mov_b32_e32 v5, 0x7f800001
	s_xor_b64 exec, exec, s[28:29]
	s_cbranch_execnz .LBB315_1684
.LBB315_1656:
	s_or_b64 exec, exec, s[28:29]
	s_and_saveexec_b64 s[28:29], s[2:3]
	s_cbranch_execz .LBB315_1658
.LBB315_1657:
	v_and_b32_e32 v4, 0xffff, v4
	v_and_b32_e32 v5, 3, v4
	v_ffbh_u32_e32 v7, v5
	v_min_u32_e32 v7, 32, v7
	v_subrev_u32_e32 v8, 29, v7
	v_bfe_u32 v6, v4, 2, 5
	v_lshlrev_b32_e32 v4, v8, v4
	v_and_b32_e32 v4, 3, v4
	v_cmp_eq_u32_e32 vcc, 0, v6
	v_sub_u32_e32 v7, 30, v7
	v_cndmask_b32_e32 v4, v5, v4, vcc
	v_cndmask_b32_e32 v6, v6, v7, vcc
	v_lshlrev_b32_e32 v4, 21, v4
	v_lshl_or_b32 v4, v6, 23, v4
	v_add_u32_e32 v5, 0x37800000, v4
.LBB315_1658:
	s_or_b64 exec, exec, s[28:29]
	v_lshrrev_b32_e32 v6, 23, v5
	s_movk_i32 s2, 0xff
	v_cmp_ne_u32_e32 vcc, s2, v6
	v_mov_b32_e32 v4, 0xff
	s_and_saveexec_b64 s[28:29], vcc
; %bb.1659:
	v_and_b32_e32 v4, 0x400000, v5
	s_mov_b32 s2, 0x3fffff
	v_cmp_ne_u32_e32 vcc, 0, v4
	v_and_or_b32 v4, v5, s2, v6
	v_cmp_ne_u32_e64 s[2:3], 0, v4
	s_and_b64 s[2:3], vcc, s[2:3]
	v_cndmask_b32_e64 v4, 0, 1, s[2:3]
	v_add_u32_e32 v4, v6, v4
; %bb.1660:
	s_or_b64 exec, exec, s[28:29]
	s_mov_b64 s[2:3], 0
	s_branch .LBB315_1666
.LBB315_1661:
	s_mov_b64 s[28:29], -1
                                        ; implicit-def: $vgpr4
	s_branch .LBB315_1676
.LBB315_1662:
	s_or_saveexec_b64 s[28:29], s[28:29]
	v_mov_b32_e32 v5, 0x7f800001
	s_xor_b64 exec, exec, s[28:29]
	s_cbranch_execz .LBB315_1642
.LBB315_1663:
	v_cmp_ne_u16_e32 vcc, 0, v4
	s_andn2_b64 s[2:3], s[2:3], exec
	s_and_b64 s[34:35], vcc, exec
	v_and_b32_e32 v5, 0xffff, v4
	s_or_b64 s[2:3], s[2:3], s[34:35]
	s_or_b64 exec, exec, s[28:29]
	s_and_saveexec_b64 s[28:29], s[2:3]
	s_cbranch_execnz .LBB315_1643
	s_branch .LBB315_1644
.LBB315_1664:
	s_mov_b64 s[2:3], -1
                                        ; implicit-def: $vgpr4
	s_branch .LBB315_1671
.LBB315_1665:
	s_mov_b64 s[2:3], -1
                                        ; implicit-def: $vgpr4
.LBB315_1666:
	s_and_b64 vcc, exec, s[2:3]
	s_cbranch_vccz .LBB315_1670
; %bb.1667:
	global_load_ubyte v4, v[0:1], off
	s_mov_b32 s2, 0x7f800000
	s_movk_i32 s3, 0xff
	s_waitcnt vmcnt(0)
	v_lshlrev_b32_e32 v4, 24, v4
	v_and_b32_e32 v4, 0x7f000000, v4
	v_ffbh_u32_e32 v5, v4
	v_min_u32_e32 v5, 32, v5
	v_sub_u32_e64 v5, v5, 4 clamp
	v_lshlrev_b32_e32 v7, v5, v4
	v_lshlrev_b32_e32 v5, 23, v5
	v_lshrrev_b32_e32 v7, 4, v7
	v_add_u32_e32 v6, 0x1000000, v4
	v_sub_u32_e32 v5, v7, v5
	v_ashrrev_i32_e32 v6, 8, v6
	v_add_u32_e32 v5, 0x3c000000, v5
	v_and_or_b32 v5, v6, s2, v5
	v_cmp_ne_u32_e32 vcc, 0, v4
	v_cndmask_b32_e32 v6, 0, v5, vcc
	v_lshrrev_b32_e32 v5, 23, v6
	v_cmp_ne_u32_e32 vcc, s3, v5
	v_mov_b32_e32 v4, 0xff
	s_and_saveexec_b64 s[28:29], vcc
; %bb.1668:
	v_and_b32_e32 v4, 0x400000, v6
	s_mov_b32 s2, 0x3fffff
	v_cmp_ne_u32_e32 vcc, 0, v4
	v_and_or_b32 v4, v6, s2, v5
	v_cmp_ne_u32_e64 s[2:3], 0, v4
	s_and_b64 s[2:3], vcc, s[2:3]
	v_cndmask_b32_e64 v4, 0, 1, s[2:3]
	v_add_u32_e32 v4, v5, v4
; %bb.1669:
	s_or_b64 exec, exec, s[28:29]
.LBB315_1670:
	s_mov_b64 s[2:3], 0
.LBB315_1671:
	s_andn2_b64 vcc, exec, s[2:3]
	s_cbranch_vccnz .LBB315_1675
; %bb.1672:
	global_load_ubyte v4, v[0:1], off
	s_movk_i32 s2, 0x7f00
	s_brev_b32 s3, 16
	s_movk_i32 s28, 0xff
	s_waitcnt vmcnt(0)
	v_lshlrev_b32_e32 v5, 8, v4
	v_lshlrev_b32_e32 v4, 25, v4
	v_lshrrev_b32_e32 v6, 4, v4
	v_and_or_b32 v5, v5, s2, 0.5
	v_or_b32_e32 v6, 0x70000000, v6
	v_add_f32_e32 v5, -0.5, v5
	v_mul_f32_e32 v6, 0x7800000, v6
	v_cmp_gt_u32_e32 vcc, s3, v4
	v_cndmask_b32_e32 v5, v6, v5, vcc
	v_bfe_u32 v6, v5, 23, 8
	v_cmp_ne_u32_e32 vcc, s28, v6
	v_mov_b32_e32 v4, 0xff
	s_and_saveexec_b64 s[28:29], vcc
; %bb.1673:
	s_mov_b32 s2, 0x3fffff
	v_lshrrev_b32_e32 v4, 23, v5
	v_and_b32_e32 v7, 0x400000, v5
	v_and_or_b32 v5, v5, s2, v6
	v_cmp_ne_u32_e32 vcc, 0, v7
	v_cmp_ne_u32_e64 s[2:3], 0, v5
	s_and_b64 s[2:3], vcc, s[2:3]
	v_cndmask_b32_e64 v5, 0, 1, s[2:3]
	v_add_u32_e32 v4, v4, v5
; %bb.1674:
	s_or_b64 exec, exec, s[28:29]
.LBB315_1675:
	s_mov_b64 s[28:29], 0
	s_mov_b64 s[2:3], -1
.LBB315_1676:
	s_andn2_b64 vcc, exec, s[28:29]
	s_mov_b64 s[30:31], 0
	s_cbranch_vccnz .LBB315_1689
; %bb.1677:
	s_cmp_gt_i32 s36, 14
	s_cbranch_scc0 .LBB315_1682
; %bb.1678:
	s_cmp_eq_u32 s36, 15
	s_cbranch_scc0 .LBB315_1685
; %bb.1679:
	global_load_ushort v5, v[0:1], off
	s_movk_i32 s2, 0xff
	s_waitcnt vmcnt(1)
	v_mov_b32_e32 v4, 0xff
	s_waitcnt vmcnt(0)
	v_bfe_u32 v6, v5, 7, 8
	v_cmp_ne_u32_e32 vcc, s2, v6
	s_and_saveexec_b64 s[26:27], vcc
	s_cbranch_execz .LBB315_1681
; %bb.1680:
	v_lshrrev_b32_e32 v4, 7, v5
	v_lshlrev_b32_e32 v7, 16, v5
	v_and_b32_e32 v5, 64, v5
	s_mov_b32 s2, 0x3f0000
	v_cmp_ne_u32_e32 vcc, 0, v5
	v_and_or_b32 v5, v7, s2, v6
	v_cmp_ne_u32_e64 s[2:3], 0, v5
	s_and_b64 s[2:3], vcc, s[2:3]
	v_cndmask_b32_e64 v5, 0, 1, s[2:3]
	v_add_u32_e32 v4, v4, v5
.LBB315_1681:
	s_or_b64 exec, exec, s[26:27]
	s_mov_b64 s[26:27], 0
	s_mov_b64 s[2:3], -1
	s_branch .LBB315_1686
.LBB315_1682:
	s_mov_b64 s[28:29], -1
                                        ; implicit-def: $vgpr4
	s_branch .LBB315_1687
.LBB315_1683:
	s_or_saveexec_b64 s[28:29], s[28:29]
	v_mov_b32_e32 v5, 0x7f800001
	s_xor_b64 exec, exec, s[28:29]
	s_cbranch_execz .LBB315_1656
.LBB315_1684:
	v_cmp_ne_u16_e32 vcc, 0, v4
	s_andn2_b64 s[2:3], s[2:3], exec
	s_and_b64 s[30:31], vcc, exec
	v_and_b32_e32 v5, 0xffff, v4
	s_or_b64 s[2:3], s[2:3], s[30:31]
	s_or_b64 exec, exec, s[28:29]
	s_and_saveexec_b64 s[28:29], s[2:3]
	s_cbranch_execnz .LBB315_1657
	s_branch .LBB315_1658
.LBB315_1685:
	s_mov_b64 s[26:27], -1
                                        ; implicit-def: $vgpr4
.LBB315_1686:
	s_mov_b64 s[28:29], 0
.LBB315_1687:
	s_and_b64 vcc, exec, s[28:29]
	s_cbranch_vccz .LBB315_1689
; %bb.1688:
	s_cmp_lg_u32 s36, 11
	s_cselect_b64 s[28:29], -1, 0
	s_andn2_b64 s[26:27], s[26:27], exec
	s_and_b64 s[28:29], s[28:29], exec
	s_mov_b64 s[30:31], -1
	s_or_b64 s[26:27], s[26:27], s[28:29]
.LBB315_1689:
	s_mov_b64 s[34:35], 0
.LBB315_1690:
	s_andn2_b64 s[22:23], s[22:23], exec
	s_and_b64 s[26:27], s[26:27], exec
	s_and_b64 s[28:29], s[2:3], exec
	s_and_b64 s[36:37], s[34:35], exec
	s_and_b64 s[2:3], s[30:31], exec
	s_or_b64 s[22:23], s[22:23], s[26:27]
	s_or_b64 exec, exec, s[24:25]
	s_and_saveexec_b64 s[24:25], s[22:23]
	s_cbranch_execz .LBB315_1601
.LBB315_1691:
	s_or_b64 s[4:5], s[4:5], exec
	s_andn2_b64 s[2:3], s[2:3], exec
	s_trap 2
	s_or_b64 exec, exec, s[24:25]
	s_and_saveexec_b64 s[22:23], s[2:3]
	s_xor_b64 s[22:23], exec, s[22:23]
	s_cbranch_execnz .LBB315_1602
.LBB315_1692:
	s_or_b64 exec, exec, s[22:23]
	s_and_saveexec_b64 s[22:23], s[36:37]
	s_cbranch_execz .LBB315_1760
.LBB315_1693:
	s_sext_i32_i16 s2, s38
	s_cmp_lt_i32 s2, 5
	s_cbranch_scc1 .LBB315_1700
; %bb.1694:
	s_cmp_lt_i32 s2, 8
	s_cbranch_scc1 .LBB315_1701
; %bb.1695:
	;; [unrolled: 3-line block ×3, first 2 shown]
	s_cmp_gt_i32 s2, 9
	s_cbranch_scc0 .LBB315_1703
; %bb.1697:
	global_load_dwordx2 v[4:5], v[0:1], off
	s_movk_i32 s2, 0xff
	s_waitcnt vmcnt(0)
	v_cvt_f32_f64_e32 v5, v[4:5]
	v_mov_b32_e32 v4, 0xff
	v_bfe_u32 v6, v5, 23, 8
	v_cmp_ne_u32_e32 vcc, s2, v6
	s_and_saveexec_b64 s[24:25], vcc
; %bb.1698:
	s_mov_b32 s2, 0x3fffff
	v_lshrrev_b32_e32 v4, 23, v5
	v_and_b32_e32 v7, 0x400000, v5
	v_and_or_b32 v5, v5, s2, v6
	v_cmp_ne_u32_e32 vcc, 0, v7
	v_cmp_ne_u32_e64 s[2:3], 0, v5
	s_and_b64 s[2:3], vcc, s[2:3]
	v_cndmask_b32_e64 v5, 0, 1, s[2:3]
	v_add_u32_e32 v4, v4, v5
; %bb.1699:
	s_or_b64 exec, exec, s[24:25]
	s_mov_b64 s[2:3], 0
	s_branch .LBB315_1704
.LBB315_1700:
                                        ; implicit-def: $vgpr4
	s_branch .LBB315_1731
.LBB315_1701:
                                        ; implicit-def: $vgpr4
	s_branch .LBB315_1714
.LBB315_1702:
	s_mov_b64 s[2:3], -1
                                        ; implicit-def: $vgpr4
	s_branch .LBB315_1709
.LBB315_1703:
	s_mov_b64 s[2:3], -1
                                        ; implicit-def: $vgpr4
.LBB315_1704:
	s_andn2_b64 vcc, exec, s[2:3]
	s_cbranch_vccnz .LBB315_1708
; %bb.1705:
	global_load_dword v5, v[0:1], off
	s_movk_i32 s2, 0xff
	s_waitcnt vmcnt(1)
	v_mov_b32_e32 v4, 0xff
	s_waitcnt vmcnt(0)
	v_bfe_u32 v6, v5, 23, 8
	v_cmp_ne_u32_e32 vcc, s2, v6
	s_and_saveexec_b64 s[24:25], vcc
; %bb.1706:
	s_mov_b32 s2, 0x3fffff
	v_lshrrev_b32_e32 v4, 23, v5
	v_and_b32_e32 v7, 0x400000, v5
	v_and_or_b32 v5, v5, s2, v6
	v_cmp_ne_u32_e32 vcc, 0, v7
	v_cmp_ne_u32_e64 s[2:3], 0, v5
	s_and_b64 s[2:3], vcc, s[2:3]
	v_cndmask_b32_e64 v5, 0, 1, s[2:3]
	v_add_u32_e32 v4, v4, v5
; %bb.1707:
	s_or_b64 exec, exec, s[24:25]
.LBB315_1708:
	s_mov_b64 s[2:3], 0
.LBB315_1709:
	s_andn2_b64 vcc, exec, s[2:3]
	s_cbranch_vccnz .LBB315_1713
; %bb.1710:
	global_load_dword v4, v[0:1], off
	s_movk_i32 s2, 0xff
	s_waitcnt vmcnt(0)
	v_cvt_f32_f16_e32 v5, v4
	v_mov_b32_e32 v4, 0xff
	v_bfe_u32 v6, v5, 23, 8
	v_cmp_ne_u32_e32 vcc, s2, v6
	s_and_saveexec_b64 s[24:25], vcc
; %bb.1711:
	s_mov_b32 s2, 0x3fffff
	v_lshrrev_b32_e32 v4, 23, v5
	v_and_b32_e32 v7, 0x400000, v5
	v_and_or_b32 v5, v5, s2, v6
	v_cmp_ne_u32_e32 vcc, 0, v7
	v_cmp_ne_u32_e64 s[2:3], 0, v5
	s_and_b64 s[2:3], vcc, s[2:3]
	v_cndmask_b32_e64 v5, 0, 1, s[2:3]
	v_add_u32_e32 v4, v4, v5
; %bb.1712:
	s_or_b64 exec, exec, s[24:25]
.LBB315_1713:
	s_cbranch_execnz .LBB315_1730
.LBB315_1714:
	s_sext_i32_i16 s2, s38
	s_cmp_lt_i32 s2, 6
	s_cbranch_scc1 .LBB315_1719
; %bb.1715:
	s_cmp_gt_i32 s2, 6
	s_cbranch_scc0 .LBB315_1720
; %bb.1716:
	global_load_dwordx2 v[4:5], v[0:1], off
	s_movk_i32 s2, 0xff
	s_waitcnt vmcnt(0)
	v_cvt_f32_f64_e32 v5, v[4:5]
	v_mov_b32_e32 v4, 0xff
	v_bfe_u32 v6, v5, 23, 8
	v_cmp_ne_u32_e32 vcc, s2, v6
	s_and_saveexec_b64 s[24:25], vcc
; %bb.1717:
	s_mov_b32 s2, 0x3fffff
	v_lshrrev_b32_e32 v4, 23, v5
	v_and_b32_e32 v7, 0x400000, v5
	v_and_or_b32 v5, v5, s2, v6
	v_cmp_ne_u32_e32 vcc, 0, v7
	v_cmp_ne_u32_e64 s[2:3], 0, v5
	s_and_b64 s[2:3], vcc, s[2:3]
	v_cndmask_b32_e64 v5, 0, 1, s[2:3]
	v_add_u32_e32 v4, v4, v5
; %bb.1718:
	s_or_b64 exec, exec, s[24:25]
	s_mov_b64 s[2:3], 0
	s_branch .LBB315_1721
.LBB315_1719:
	s_mov_b64 s[2:3], -1
                                        ; implicit-def: $vgpr4
	s_branch .LBB315_1726
.LBB315_1720:
	s_mov_b64 s[2:3], -1
                                        ; implicit-def: $vgpr4
.LBB315_1721:
	s_andn2_b64 vcc, exec, s[2:3]
	s_cbranch_vccnz .LBB315_1725
; %bb.1722:
	global_load_dword v5, v[0:1], off
	s_movk_i32 s2, 0xff
	s_waitcnt vmcnt(1)
	v_mov_b32_e32 v4, 0xff
	s_waitcnt vmcnt(0)
	v_bfe_u32 v6, v5, 23, 8
	v_cmp_ne_u32_e32 vcc, s2, v6
	s_and_saveexec_b64 s[24:25], vcc
; %bb.1723:
	s_mov_b32 s2, 0x3fffff
	v_lshrrev_b32_e32 v4, 23, v5
	v_and_b32_e32 v7, 0x400000, v5
	v_and_or_b32 v5, v5, s2, v6
	v_cmp_ne_u32_e32 vcc, 0, v7
	v_cmp_ne_u32_e64 s[2:3], 0, v5
	s_and_b64 s[2:3], vcc, s[2:3]
	v_cndmask_b32_e64 v5, 0, 1, s[2:3]
	v_add_u32_e32 v4, v4, v5
; %bb.1724:
	s_or_b64 exec, exec, s[24:25]
.LBB315_1725:
	s_mov_b64 s[2:3], 0
.LBB315_1726:
	s_andn2_b64 vcc, exec, s[2:3]
	s_cbranch_vccnz .LBB315_1730
; %bb.1727:
	global_load_ushort v4, v[0:1], off
	s_movk_i32 s2, 0xff
	s_waitcnt vmcnt(0)
	v_cvt_f32_f16_e32 v5, v4
	v_mov_b32_e32 v4, 0xff
	v_bfe_u32 v6, v5, 23, 8
	v_cmp_ne_u32_e32 vcc, s2, v6
	s_and_saveexec_b64 s[24:25], vcc
; %bb.1728:
	s_mov_b32 s2, 0x3fffff
	v_lshrrev_b32_e32 v4, 23, v5
	v_and_b32_e32 v7, 0x400000, v5
	v_and_or_b32 v5, v5, s2, v6
	v_cmp_ne_u32_e32 vcc, 0, v7
	v_cmp_ne_u32_e64 s[2:3], 0, v5
	s_and_b64 s[2:3], vcc, s[2:3]
	v_cndmask_b32_e64 v5, 0, 1, s[2:3]
	v_add_u32_e32 v4, v4, v5
; %bb.1729:
	s_or_b64 exec, exec, s[24:25]
.LBB315_1730:
	s_cbranch_execnz .LBB315_1759
.LBB315_1731:
	s_sext_i32_i16 s2, s38
	s_cmp_lt_i32 s2, 2
	s_cbranch_scc1 .LBB315_1737
; %bb.1732:
	s_cmp_lt_i32 s2, 3
	s_cbranch_scc1 .LBB315_1738
; %bb.1733:
	s_cmp_gt_i32 s2, 3
	s_cbranch_scc0 .LBB315_1739
; %bb.1734:
	global_load_dwordx2 v[4:5], v[0:1], off
	s_movk_i32 s2, 0xff
	s_waitcnt vmcnt(0)
	v_xor_b32_e32 v7, v4, v5
	v_ffbh_i32_e32 v6, v5
	v_ashrrev_i32_e32 v7, 31, v7
	v_add_u32_e32 v6, -1, v6
	v_add_u32_e32 v7, 32, v7
	v_min_u32_e32 v6, v6, v7
	v_lshlrev_b64 v[4:5], v6, v[4:5]
	v_min_u32_e32 v4, 1, v4
	v_or_b32_e32 v4, v5, v4
	v_cvt_f32_i32_e32 v4, v4
	v_sub_u32_e32 v5, 32, v6
	v_ldexp_f32 v5, v4, v5
	v_bfe_u32 v6, v5, 23, 8
	v_cmp_ne_u32_e32 vcc, s2, v6
	v_mov_b32_e32 v4, 0xff
	s_and_saveexec_b64 s[24:25], vcc
; %bb.1735:
	s_mov_b32 s2, 0x3fffff
	v_lshrrev_b32_e32 v4, 23, v5
	v_and_b32_e32 v7, 0x400000, v5
	v_and_or_b32 v5, v5, s2, v6
	v_cmp_ne_u32_e32 vcc, 0, v7
	v_cmp_ne_u32_e64 s[2:3], 0, v5
	s_and_b64 s[2:3], vcc, s[2:3]
	v_cndmask_b32_e64 v5, 0, 1, s[2:3]
	v_add_u32_e32 v4, v4, v5
; %bb.1736:
	s_or_b64 exec, exec, s[24:25]
	s_mov_b64 s[2:3], 0
	s_branch .LBB315_1740
.LBB315_1737:
                                        ; implicit-def: $vgpr4
	s_branch .LBB315_1750
.LBB315_1738:
	s_mov_b64 s[2:3], -1
                                        ; implicit-def: $vgpr4
	s_branch .LBB315_1745
.LBB315_1739:
	s_mov_b64 s[2:3], -1
                                        ; implicit-def: $vgpr4
.LBB315_1740:
	s_andn2_b64 vcc, exec, s[2:3]
	s_cbranch_vccnz .LBB315_1744
; %bb.1741:
	global_load_dword v4, v[0:1], off
	s_movk_i32 s2, 0xff
	s_waitcnt vmcnt(0)
	v_cvt_f32_i32_e32 v5, v4
	v_mov_b32_e32 v4, 0xff
	v_bfe_u32 v6, v5, 23, 8
	v_cmp_ne_u32_e32 vcc, s2, v6
	s_and_saveexec_b64 s[24:25], vcc
; %bb.1742:
	s_mov_b32 s2, 0x3fffff
	v_lshrrev_b32_e32 v4, 23, v5
	v_and_b32_e32 v7, 0x400000, v5
	v_and_or_b32 v5, v5, s2, v6
	v_cmp_ne_u32_e32 vcc, 0, v7
	v_cmp_ne_u32_e64 s[2:3], 0, v5
	s_and_b64 s[2:3], vcc, s[2:3]
	v_cndmask_b32_e64 v5, 0, 1, s[2:3]
	v_add_u32_e32 v4, v4, v5
; %bb.1743:
	s_or_b64 exec, exec, s[24:25]
.LBB315_1744:
	s_mov_b64 s[2:3], 0
.LBB315_1745:
	s_andn2_b64 vcc, exec, s[2:3]
	s_cbranch_vccnz .LBB315_1749
; %bb.1746:
	global_load_sshort v4, v[0:1], off
	s_movk_i32 s2, 0xff
	s_waitcnt vmcnt(0)
	v_cvt_f32_i32_e32 v5, v4
	v_mov_b32_e32 v4, 0xff
	v_bfe_u32 v6, v5, 23, 8
	v_cmp_ne_u32_e32 vcc, s2, v6
	s_and_saveexec_b64 s[24:25], vcc
; %bb.1747:
	s_mov_b32 s2, 0x3fffff
	v_lshrrev_b32_e32 v4, 23, v5
	v_and_b32_e32 v7, 0x400000, v5
	v_and_or_b32 v5, v5, s2, v6
	v_cmp_ne_u32_e32 vcc, 0, v7
	v_cmp_ne_u32_e64 s[2:3], 0, v5
	s_and_b64 s[2:3], vcc, s[2:3]
	v_cndmask_b32_e64 v5, 0, 1, s[2:3]
	v_add_u32_e32 v4, v4, v5
; %bb.1748:
	s_or_b64 exec, exec, s[24:25]
.LBB315_1749:
	s_cbranch_execnz .LBB315_1759
.LBB315_1750:
	s_sext_i32_i16 s2, s38
	s_cmp_gt_i32 s2, 0
	s_cbranch_scc0 .LBB315_1754
; %bb.1751:
	global_load_sbyte v4, v[0:1], off
	s_movk_i32 s2, 0xff
	s_waitcnt vmcnt(0)
	v_cvt_f32_i32_e32 v5, v4
	v_mov_b32_e32 v4, 0xff
	v_bfe_u32 v6, v5, 23, 8
	v_cmp_ne_u32_e32 vcc, s2, v6
	s_and_saveexec_b64 s[24:25], vcc
; %bb.1752:
	s_mov_b32 s2, 0x3fffff
	v_lshrrev_b32_e32 v4, 23, v5
	v_and_b32_e32 v7, 0x400000, v5
	v_and_or_b32 v5, v5, s2, v6
	v_cmp_ne_u32_e32 vcc, 0, v7
	v_cmp_ne_u32_e64 s[2:3], 0, v5
	s_and_b64 s[2:3], vcc, s[2:3]
	v_cndmask_b32_e64 v5, 0, 1, s[2:3]
	v_add_u32_e32 v4, v4, v5
; %bb.1753:
	s_or_b64 exec, exec, s[24:25]
	s_mov_b64 s[2:3], 0
	s_branch .LBB315_1755
.LBB315_1754:
	s_mov_b64 s[2:3], -1
                                        ; implicit-def: $vgpr4
.LBB315_1755:
	s_andn2_b64 vcc, exec, s[2:3]
	s_cbranch_vccnz .LBB315_1759
; %bb.1756:
	global_load_ubyte v0, v[0:1], off
	s_movk_i32 s2, 0xff
	s_waitcnt vmcnt(1)
	v_mov_b32_e32 v4, 0xff
	s_waitcnt vmcnt(0)
	v_cvt_f32_ubyte0_e32 v1, v0
	v_lshrrev_b32_e32 v0, 23, v1
	v_cmp_ne_u32_e32 vcc, s2, v0
	s_and_saveexec_b64 s[24:25], vcc
; %bb.1757:
	s_mov_b32 s2, 0x3fffff
	v_and_b32_e32 v4, 0x400000, v1
	v_and_or_b32 v1, v1, s2, v0
	v_cmp_ne_u32_e32 vcc, 0, v4
	v_cmp_ne_u32_e64 s[2:3], 0, v1
	s_and_b64 s[2:3], vcc, s[2:3]
	v_cndmask_b32_e64 v1, 0, 1, s[2:3]
	v_add_u32_e32 v4, v0, v1
; %bb.1758:
	s_or_b64 exec, exec, s[24:25]
.LBB315_1759:
	s_or_b64 s[28:29], s[28:29], exec
.LBB315_1760:
	s_or_b64 exec, exec, s[22:23]
	s_mov_b64 s[26:27], 0
	s_mov_b64 s[24:25], 0
                                        ; implicit-def: $sgpr2_sgpr3
                                        ; implicit-def: $sgpr34
                                        ; implicit-def: $vgpr0_vgpr1
	s_and_saveexec_b64 s[22:23], s[28:29]
	s_cbranch_execz .LBB315_1835
; %bb.1761:
	s_movk_i32 s2, 0xff
	v_mov_b32_e32 v0, 23
	s_waitcnt vmcnt(0)
	v_lshlrev_b32_sdwa v1, v0, v3 dst_sel:DWORD dst_unused:UNUSED_PAD src0_sel:DWORD src1_sel:BYTE_0
	v_mov_b32_e32 v5, 0x7f800001
	v_cmp_ne_u16_sdwa vcc, v3, s2 src0_sel:BYTE_0 src1_sel:DWORD
	v_mov_b32_e32 v6, 0
	v_cndmask_b32_e32 v1, v5, v1, vcc
	v_mov_b32_e32 v7, 0x400000
	v_cmp_ne_u16_sdwa vcc, v3, v6 src0_sel:BYTE_0 src1_sel:DWORD
	v_cndmask_b32_e32 v1, v7, v1, vcc
	v_lshlrev_b32_sdwa v0, v0, v4 dst_sel:DWORD dst_unused:UNUSED_PAD src0_sel:DWORD src1_sel:BYTE_0
	v_cmp_ne_u16_sdwa vcc, v4, s2 src0_sel:BYTE_0 src1_sel:DWORD
	v_cndmask_b32_e32 v0, v5, v0, vcc
	v_cmp_ne_u16_sdwa vcc, v4, v6 src0_sel:BYTE_0 src1_sel:DWORD
	v_cndmask_b32_e32 v0, v7, v0, vcc
	v_cmp_eq_f32_e32 vcc, v1, v0
	v_cndmask_b32_e64 v3, 0, 1, vcc
	v_cmp_neq_f32_e32 vcc, v1, v0
	v_mul_lo_u32 v1, v2, s12
	v_cndmask_b32_e64 v0, 0, 1, vcc
	v_cndmask_b32_e64 v0, v0, v3, s[0:1]
	v_and_b32_e32 v0, 1, v0
	v_cmp_eq_u32_e64 s[2:3], 1, v0
	v_ashrrev_i32_e32 v2, 31, v1
	v_mov_b32_e32 v3, s9
	s_and_b32 s34, s33, 0xff
	v_add_co_u32_e32 v0, vcc, s8, v1
	s_cmp_lt_i32 s34, 11
	v_addc_co_u32_e32 v1, vcc, v3, v2, vcc
	s_cbranch_scc1 .LBB315_1838
; %bb.1762:
	s_and_b32 s35, 0xffff, s34
	s_mov_b64 s[26:27], -1
	s_cmp_gt_i32 s35, 25
	s_mov_b64 s[0:1], s[20:21]
	s_cbranch_scc0 .LBB315_1795
; %bb.1763:
	s_mov_b64 s[24:25], -1
	s_cmp_gt_i32 s35, 28
	s_mov_b64 s[0:1], s[20:21]
	s_cbranch_scc0 .LBB315_1779
; %bb.1764:
	s_cmp_gt_i32 s35, 43
	s_mov_b64 s[0:1], s[20:21]
	s_cbranch_scc0 .LBB315_1775
; %bb.1765:
	s_cmp_gt_i32 s35, 45
	s_mov_b64 s[0:1], s[20:21]
	s_cbranch_scc0 .LBB315_1769
; %bb.1766:
	s_cmp_eq_u32 s35, 46
	s_mov_b64 s[0:1], -1
	s_cbranch_scc0 .LBB315_1768
; %bb.1767:
	v_cndmask_b32_e64 v2, 0, 1.0, s[2:3]
	v_bfe_u32 v3, v2, 16, 1
	s_movk_i32 s0, 0x7fff
	v_add3_u32 v2, v2, v3, s0
	v_lshrrev_b32_e32 v2, 16, v2
	global_store_dword v[0:1], v2, off
	s_mov_b64 s[0:1], 0
.LBB315_1768:
	s_mov_b64 s[24:25], 0
.LBB315_1769:
	s_and_b64 vcc, exec, s[24:25]
	s_cbranch_vccz .LBB315_1774
; %bb.1770:
	s_cmp_eq_u32 s35, 44
	s_mov_b64 s[0:1], -1
	s_cbranch_scc0 .LBB315_1774
; %bb.1771:
	v_cndmask_b32_e64 v3, 0, 1.0, s[2:3]
	v_lshrrev_b32_e32 v2, 23, v3
	s_movk_i32 s0, 0xff
	v_cmp_ne_u32_e32 vcc, s0, v2
	v_mov_b32_e32 v4, 0xff
	s_and_saveexec_b64 s[24:25], vcc
; %bb.1772:
	s_mov_b32 s0, 0x3fffff
	v_and_b32_e32 v4, 0x400000, v3
	v_and_or_b32 v3, v3, s0, v2
	v_cmp_ne_u32_e32 vcc, 0, v4
	v_cmp_ne_u32_e64 s[0:1], 0, v3
	s_and_b64 s[0:1], vcc, s[0:1]
	v_cndmask_b32_e64 v3, 0, 1, s[0:1]
	v_add_u32_e32 v4, v2, v3
; %bb.1773:
	s_or_b64 exec, exec, s[24:25]
	s_mov_b64 s[0:1], 0
	global_store_byte v[0:1], v4, off
.LBB315_1774:
	s_mov_b64 s[24:25], 0
.LBB315_1775:
	s_and_b64 vcc, exec, s[24:25]
	s_cbranch_vccz .LBB315_1778
; %bb.1776:
	s_cmp_eq_u32 s35, 29
	s_mov_b64 s[0:1], -1
	s_cbranch_scc0 .LBB315_1778
; %bb.1777:
	s_mov_b32 s0, 0
	v_cndmask_b32_e64 v2, 0, 1, s[2:3]
	v_mov_b32_e32 v3, s0
	global_store_dwordx2 v[0:1], v[2:3], off
	s_mov_b64 s[0:1], 0
.LBB315_1778:
	s_mov_b64 s[24:25], 0
.LBB315_1779:
	s_and_b64 vcc, exec, s[24:25]
	s_cbranch_vccz .LBB315_1794
; %bb.1780:
	s_cmp_lt_i32 s35, 27
	s_mov_b64 s[24:25], -1
	s_cbranch_scc1 .LBB315_1786
; %bb.1781:
	s_cmp_gt_i32 s35, 27
	v_cndmask_b32_e64 v2, 0, 1, s[2:3]
	s_cbranch_scc0 .LBB315_1783
; %bb.1782:
	s_mov_b64 s[24:25], 0
	global_store_dword v[0:1], v2, off
.LBB315_1783:
	s_andn2_b64 vcc, exec, s[24:25]
	s_cbranch_vccnz .LBB315_1785
; %bb.1784:
	global_store_short v[0:1], v2, off
.LBB315_1785:
	s_mov_b64 s[24:25], 0
.LBB315_1786:
	s_andn2_b64 vcc, exec, s[24:25]
	s_cbranch_vccnz .LBB315_1794
; %bb.1787:
	v_cndmask_b32_e64 v3, 0, 1.0, s[2:3]
	s_mov_b32 s24, 0x43800000
	v_cmp_gt_u32_e32 vcc, s24, v3
	v_mov_b32_e32 v4, 0x80
	s_and_saveexec_b64 s[24:25], vcc
	s_cbranch_execz .LBB315_1793
; %bb.1788:
	s_mov_b32 s26, 0x3bffffff
	v_cmp_lt_u32_e32 vcc, s26, v3
	s_mov_b64 s[26:27], 0
                                        ; implicit-def: $vgpr2
	s_and_saveexec_b64 s[28:29], vcc
	s_xor_b64 s[28:29], exec, s[28:29]
	s_cbranch_execz .LBB315_1900
; %bb.1789:
	v_bfe_u32 v2, v3, 20, 1
	s_mov_b32 s30, 0x487ffff
	v_add3_u32 v2, v3, v2, s30
	s_mov_b64 s[26:27], exec
	v_lshrrev_b32_e32 v2, 20, v2
                                        ; implicit-def: $vgpr3
	s_andn2_saveexec_b64 s[28:29], s[28:29]
	s_cbranch_execnz .LBB315_1901
.LBB315_1790:
	s_or_b64 exec, exec, s[28:29]
	v_mov_b32_e32 v4, 0
	s_and_saveexec_b64 s[28:29], s[26:27]
.LBB315_1791:
	v_mov_b32_e32 v4, v2
.LBB315_1792:
	s_or_b64 exec, exec, s[28:29]
.LBB315_1793:
	s_or_b64 exec, exec, s[24:25]
	global_store_byte v[0:1], v4, off
.LBB315_1794:
	s_mov_b64 s[26:27], 0
.LBB315_1795:
	s_mov_b64 s[24:25], 0
	s_and_b64 vcc, exec, s[26:27]
	s_cbranch_vccz .LBB315_1839
; %bb.1796:
	s_cmp_gt_i32 s35, 22
	s_mov_b64 s[26:27], -1
	s_cbranch_scc0 .LBB315_1828
; %bb.1797:
	s_cmp_lt_i32 s35, 24
	s_cbranch_scc1 .LBB315_1817
; %bb.1798:
	s_cmp_gt_i32 s35, 24
	s_cbranch_scc0 .LBB315_1806
; %bb.1799:
	v_cndmask_b32_e64 v3, 0, 1.0, s[2:3]
	s_mov_b32 s26, 0x47800000
	v_cmp_gt_u32_e32 vcc, s26, v3
	v_mov_b32_e32 v4, 0x80
	s_and_saveexec_b64 s[26:27], vcc
	s_cbranch_execz .LBB315_1805
; %bb.1800:
	s_mov_b32 s28, 0x37ffffff
	v_cmp_lt_u32_e32 vcc, s28, v3
	s_mov_b64 s[28:29], 0
                                        ; implicit-def: $vgpr2
	s_and_saveexec_b64 s[30:31], vcc
	s_xor_b64 s[30:31], exec, s[30:31]
	s_cbranch_execz .LBB315_2067
; %bb.1801:
	v_bfe_u32 v2, v3, 21, 1
	s_mov_b32 s36, 0x88fffff
	v_add3_u32 v2, v3, v2, s36
	s_mov_b64 s[28:29], exec
	v_lshrrev_b32_e32 v2, 21, v2
                                        ; implicit-def: $vgpr3
	s_andn2_saveexec_b64 s[30:31], s[30:31]
	s_cbranch_execnz .LBB315_2068
.LBB315_1802:
	s_or_b64 exec, exec, s[30:31]
	v_mov_b32_e32 v4, 0
	s_and_saveexec_b64 s[30:31], s[28:29]
.LBB315_1803:
	v_mov_b32_e32 v4, v2
.LBB315_1804:
	s_or_b64 exec, exec, s[30:31]
.LBB315_1805:
	s_or_b64 exec, exec, s[26:27]
	s_mov_b64 s[26:27], 0
	global_store_byte v[0:1], v4, off
.LBB315_1806:
	s_and_b64 vcc, exec, s[26:27]
	s_cbranch_vccz .LBB315_1816
; %bb.1807:
	v_cndmask_b32_e64 v2, 0, 1.0, s[2:3]
	s_mov_b32 s26, 0x43f00000
	v_cmp_gt_u32_e32 vcc, s26, v2
                                        ; implicit-def: $vgpr3
	s_and_saveexec_b64 s[26:27], vcc
	s_xor_b64 s[26:27], exec, s[26:27]
	s_cbranch_execz .LBB315_1813
; %bb.1808:
	s_mov_b32 s28, 0x3c7fffff
	v_cmp_lt_u32_e32 vcc, s28, v2
                                        ; implicit-def: $vgpr3
	s_and_saveexec_b64 s[28:29], vcc
	s_xor_b64 s[28:29], exec, s[28:29]
; %bb.1809:
	v_bfe_u32 v3, v2, 20, 1
	s_mov_b32 s30, 0x407ffff
	v_add3_u32 v2, v2, v3, s30
	v_lshrrev_b32_e32 v3, 20, v2
	v_and_b32_e32 v2, 0xff00000, v2
	s_mov_b32 s30, 0x7f00000
	v_mov_b32_e32 v4, 0x7e
	v_cmp_ne_u32_e32 vcc, s30, v2
	v_cndmask_b32_e32 v3, v4, v3, vcc
                                        ; implicit-def: $vgpr2
; %bb.1810:
	s_andn2_saveexec_b64 s[28:29], s[28:29]
; %bb.1811:
	v_add_f32_e32 v3, 0x46800000, v2
; %bb.1812:
	s_or_b64 exec, exec, s[28:29]
                                        ; implicit-def: $vgpr2
.LBB315_1813:
	s_andn2_saveexec_b64 s[26:27], s[26:27]
; %bb.1814:
	s_mov_b32 s28, 0x7f800000
	v_mov_b32_e32 v3, 0x7e
	v_mov_b32_e32 v4, 0x7f
	v_cmp_lt_u32_e32 vcc, s28, v2
	v_cndmask_b32_e32 v3, v3, v4, vcc
; %bb.1815:
	s_or_b64 exec, exec, s[26:27]
	global_store_byte v[0:1], v3, off
.LBB315_1816:
	s_mov_b64 s[26:27], 0
.LBB315_1817:
	s_andn2_b64 vcc, exec, s[26:27]
	s_cbranch_vccnz .LBB315_1827
; %bb.1818:
	v_cndmask_b32_e64 v2, 0, 1.0, s[2:3]
	s_mov_b32 s26, 0x47800000
	v_cmp_gt_u32_e32 vcc, s26, v2
                                        ; implicit-def: $vgpr3
	s_and_saveexec_b64 s[26:27], vcc
	s_xor_b64 s[26:27], exec, s[26:27]
	s_cbranch_execz .LBB315_1824
; %bb.1819:
	s_mov_b32 s28, 0x387fffff
	v_cmp_lt_u32_e32 vcc, s28, v2
                                        ; implicit-def: $vgpr3
	s_and_saveexec_b64 s[28:29], vcc
	s_xor_b64 s[28:29], exec, s[28:29]
; %bb.1820:
	v_bfe_u32 v3, v2, 21, 1
	s_mov_b32 s30, 0x80fffff
	v_add3_u32 v2, v2, v3, s30
	v_lshrrev_b32_e32 v3, 21, v2
                                        ; implicit-def: $vgpr2
; %bb.1821:
	s_andn2_saveexec_b64 s[28:29], s[28:29]
; %bb.1822:
	v_add_f32_e32 v3, 0x43000000, v2
; %bb.1823:
	s_or_b64 exec, exec, s[28:29]
                                        ; implicit-def: $vgpr2
.LBB315_1824:
	s_andn2_saveexec_b64 s[26:27], s[26:27]
; %bb.1825:
	s_mov_b32 s28, 0x7f800000
	v_mov_b32_e32 v3, 0x7c
	v_mov_b32_e32 v4, 0x7f
	v_cmp_lt_u32_e32 vcc, s28, v2
	v_cndmask_b32_e32 v3, v3, v4, vcc
; %bb.1826:
	s_or_b64 exec, exec, s[26:27]
	global_store_byte v[0:1], v3, off
.LBB315_1827:
	s_mov_b64 s[26:27], 0
.LBB315_1828:
	s_andn2_b64 vcc, exec, s[26:27]
	s_mov_b64 s[26:27], 0
	s_cbranch_vccnz .LBB315_1840
; %bb.1829:
	s_cmp_gt_i32 s35, 14
	s_mov_b64 s[28:29], -1
	s_cbranch_scc0 .LBB315_1833
; %bb.1830:
	s_cmp_eq_u32 s35, 15
	s_mov_b64 s[0:1], -1
	s_cbranch_scc0 .LBB315_1832
; %bb.1831:
	v_cndmask_b32_e64 v2, 0, 1.0, s[2:3]
	v_bfe_u32 v3, v2, 16, 1
	s_movk_i32 s0, 0x7fff
	v_add3_u32 v2, v2, v3, s0
	global_store_short_d16_hi v[0:1], v2, off
	s_mov_b64 s[0:1], 0
.LBB315_1832:
	s_mov_b64 s[28:29], 0
.LBB315_1833:
	s_and_b64 vcc, exec, s[28:29]
	s_cbranch_vccz .LBB315_1840
; %bb.1834:
	s_cmp_lg_u32 s35, 11
	s_cselect_b64 s[28:29], -1, 0
	s_andn2_b64 s[0:1], s[0:1], exec
	s_and_b64 s[28:29], s[28:29], exec
	s_mov_b64 s[26:27], -1
	s_or_b64 s[0:1], s[0:1], s[28:29]
	s_branch .LBB315_1840
.LBB315_1835:
	s_or_b64 exec, exec, s[22:23]
	s_and_saveexec_b64 s[0:1], s[20:21]
	s_cbranch_execnz .LBB315_1841
.LBB315_1836:
	s_or_b64 exec, exec, s[0:1]
	s_and_saveexec_b64 s[0:1], s[26:27]
	s_xor_b64 s[0:1], exec, s[0:1]
	s_cbranch_execz .LBB315_1842
.LBB315_1837:
	v_cndmask_b32_e64 v2, 0, 1, s[2:3]
	global_store_byte v[0:1], v2, off
	s_or_b64 exec, exec, s[0:1]
	s_and_saveexec_b64 s[0:1], s[24:25]
	s_xor_b64 s[0:1], exec, s[0:1]
	s_cbranch_execz .LBB315_1880
	s_branch .LBB315_1843
.LBB315_1838:
	s_mov_b64 s[24:25], -1
	s_mov_b64 s[0:1], s[20:21]
	s_branch .LBB315_1840
.LBB315_1839:
	s_mov_b64 s[26:27], 0
.LBB315_1840:
	s_andn2_b64 s[20:21], s[20:21], exec
	s_and_b64 s[0:1], s[0:1], exec
	s_and_b64 s[24:25], s[24:25], exec
	;; [unrolled: 1-line block ×3, first 2 shown]
	s_or_b64 s[20:21], s[20:21], s[0:1]
	s_or_b64 exec, exec, s[22:23]
	s_and_saveexec_b64 s[0:1], s[20:21]
	s_cbranch_execz .LBB315_1836
.LBB315_1841:
	s_or_b64 s[4:5], s[4:5], exec
	s_andn2_b64 s[26:27], s[26:27], exec
	s_trap 2
	s_or_b64 exec, exec, s[0:1]
	s_and_saveexec_b64 s[0:1], s[26:27]
	s_xor_b64 s[0:1], exec, s[0:1]
	s_cbranch_execnz .LBB315_1837
.LBB315_1842:
	s_or_b64 exec, exec, s[0:1]
	s_and_saveexec_b64 s[0:1], s[24:25]
	s_xor_b64 s[0:1], exec, s[0:1]
	s_cbranch_execz .LBB315_1880
.LBB315_1843:
	s_sext_i32_i16 s22, s34
	s_cmp_lt_i32 s22, 5
	s_mov_b64 s[20:21], -1
	s_cbranch_scc1 .LBB315_1864
; %bb.1844:
	s_cmp_lt_i32 s22, 8
	s_cbranch_scc1 .LBB315_1854
; %bb.1845:
	s_cmp_lt_i32 s22, 9
	s_cbranch_scc1 .LBB315_1851
; %bb.1846:
	s_cmp_gt_i32 s22, 9
	s_cbranch_scc0 .LBB315_1848
; %bb.1847:
	v_cndmask_b32_e64 v2, 0, 1, s[2:3]
	s_waitcnt vmcnt(0)
	v_cvt_f64_u32_e32 v[2:3], v2
	v_mov_b32_e32 v4, 0
	v_mov_b32_e32 v5, v4
	s_mov_b64 s[20:21], 0
	global_store_dwordx4 v[0:1], v[2:5], off
.LBB315_1848:
	s_andn2_b64 vcc, exec, s[20:21]
	s_cbranch_vccnz .LBB315_1850
; %bb.1849:
	v_cndmask_b32_e64 v2, 0, 1.0, s[2:3]
	s_waitcnt vmcnt(0)
	v_mov_b32_e32 v3, 0
	global_store_dwordx2 v[0:1], v[2:3], off
.LBB315_1850:
	s_mov_b64 s[20:21], 0
.LBB315_1851:
	s_andn2_b64 vcc, exec, s[20:21]
	s_cbranch_vccnz .LBB315_1853
; %bb.1852:
	v_cndmask_b32_e64 v2, 0, 1.0, s[2:3]
	v_cvt_f16_f32_e32 v2, v2
	global_store_dword v[0:1], v2, off
.LBB315_1853:
	s_mov_b64 s[20:21], 0
.LBB315_1854:
	s_andn2_b64 vcc, exec, s[20:21]
	s_cbranch_vccnz .LBB315_1863
; %bb.1855:
	s_sext_i32_i16 s22, s34
	s_cmp_lt_i32 s22, 6
	s_mov_b64 s[20:21], -1
	s_cbranch_scc1 .LBB315_1861
; %bb.1856:
	s_cmp_gt_i32 s22, 6
	s_cbranch_scc0 .LBB315_1858
; %bb.1857:
	v_cndmask_b32_e64 v2, 0, 1, s[2:3]
	s_waitcnt vmcnt(0)
	v_cvt_f64_u32_e32 v[2:3], v2
	s_mov_b64 s[20:21], 0
	global_store_dwordx2 v[0:1], v[2:3], off
.LBB315_1858:
	s_andn2_b64 vcc, exec, s[20:21]
	s_cbranch_vccnz .LBB315_1860
; %bb.1859:
	v_cndmask_b32_e64 v2, 0, 1.0, s[2:3]
	global_store_dword v[0:1], v2, off
.LBB315_1860:
	s_mov_b64 s[20:21], 0
.LBB315_1861:
	s_andn2_b64 vcc, exec, s[20:21]
	s_cbranch_vccnz .LBB315_1863
; %bb.1862:
	v_cndmask_b32_e64 v2, 0, 1.0, s[2:3]
	v_cvt_f16_f32_e32 v2, v2
	global_store_short v[0:1], v2, off
.LBB315_1863:
	s_mov_b64 s[20:21], 0
.LBB315_1864:
	s_andn2_b64 vcc, exec, s[20:21]
	s_cbranch_vccnz .LBB315_1880
; %bb.1865:
	s_sext_i32_i16 s22, s34
	s_cmp_lt_i32 s22, 2
	s_mov_b64 s[20:21], -1
	s_cbranch_scc1 .LBB315_1875
; %bb.1866:
	s_cmp_lt_i32 s22, 3
	s_cbranch_scc1 .LBB315_1872
; %bb.1867:
	s_cmp_gt_i32 s22, 3
	s_cbranch_scc0 .LBB315_1869
; %bb.1868:
	s_mov_b32 s20, 0
	v_cndmask_b32_e64 v2, 0, 1, s[2:3]
	s_waitcnt vmcnt(0)
	v_mov_b32_e32 v3, s20
	s_mov_b64 s[20:21], 0
	global_store_dwordx2 v[0:1], v[2:3], off
.LBB315_1869:
	s_andn2_b64 vcc, exec, s[20:21]
	s_cbranch_vccnz .LBB315_1871
; %bb.1870:
	v_cndmask_b32_e64 v2, 0, 1, s[2:3]
	global_store_dword v[0:1], v2, off
.LBB315_1871:
	s_mov_b64 s[20:21], 0
.LBB315_1872:
	s_andn2_b64 vcc, exec, s[20:21]
	s_cbranch_vccnz .LBB315_1874
; %bb.1873:
	v_cndmask_b32_e64 v2, 0, 1, s[2:3]
	global_store_short v[0:1], v2, off
.LBB315_1874:
	s_mov_b64 s[20:21], 0
.LBB315_1875:
	s_andn2_b64 vcc, exec, s[20:21]
	s_cbranch_vccnz .LBB315_1880
; %bb.1876:
	s_sext_i32_i16 s22, s34
	s_mov_b64 s[20:21], -1
	s_cmp_gt_i32 s22, 0
	v_cndmask_b32_e64 v2, 0, 1, s[2:3]
	s_cbranch_scc0 .LBB315_1878
; %bb.1877:
	s_mov_b64 s[20:21], 0
	global_store_byte v[0:1], v2, off
.LBB315_1878:
	s_andn2_b64 vcc, exec, s[20:21]
	s_cbranch_vccnz .LBB315_1880
; %bb.1879:
	global_store_byte v[0:1], v2, off
.LBB315_1880:
	s_or_b64 exec, exec, s[0:1]
	s_and_b64 s[20:21], s[4:5], exec
                                        ; implicit-def: $vgpr2
.LBB315_1881:
	s_or_saveexec_b64 s[18:19], s[18:19]
	s_mov_b64 s[0:1], 0
                                        ; implicit-def: $sgpr2_sgpr3
                                        ; implicit-def: $sgpr24
                                        ; implicit-def: $vgpr0_vgpr1
	s_xor_b64 exec, exec, s[18:19]
	s_cbranch_execz .LBB315_1891
; %bb.1882:
	v_mul_lo_u32 v5, s13, v2
	v_mov_b32_e32 v1, s11
	s_and_b32 s26, s55, 0xff
	s_cmp_lt_i32 s26, 11
	s_waitcnt vmcnt(0)
	v_ashrrev_i32_e32 v3, 31, v5
	v_add_co_u32_e32 v0, vcc, s10, v5
	v_addc_co_u32_e32 v1, vcc, v1, v3, vcc
	s_cbranch_scc1 .LBB315_1894
; %bb.1883:
	s_and_b32 s24, 0xffff, s26
	s_cmp_gt_i32 s24, 25
	s_mov_b64 s[4:5], 0
	s_cbranch_scc0 .LBB315_1896
; %bb.1884:
	s_cmp_gt_i32 s24, 28
	s_cbranch_scc0 .LBB315_1897
; %bb.1885:
	s_cmp_gt_i32 s24, 43
	;; [unrolled: 3-line block ×3, first 2 shown]
	s_cbranch_scc0 .LBB315_1899
; %bb.1887:
	s_cmp_eq_u32 s24, 46
	s_cbranch_scc0 .LBB315_1902
; %bb.1888:
	global_load_dword v4, v[0:1], off
	s_movk_i32 s0, 0xff
	v_mov_b32_e32 v3, 0xff
	s_waitcnt vmcnt(0)
	v_lshlrev_b32_e32 v6, 16, v4
	v_bfe_u32 v7, v6, 23, 8
	v_cmp_ne_u32_e32 vcc, s0, v7
	s_and_saveexec_b64 s[2:3], vcc
; %bb.1889:
	v_bfe_u32 v3, v4, 7, 9
	v_and_b32_e32 v4, 64, v4
	s_mov_b32 s0, 0x3f0000
	v_cmp_ne_u32_e32 vcc, 0, v4
	v_and_or_b32 v4, v6, s0, v7
	v_cmp_ne_u32_e64 s[0:1], 0, v4
	s_and_b64 s[0:1], vcc, s[0:1]
	v_cndmask_b32_e64 v4, 0, 1, s[0:1]
	v_add_u32_e32 v3, v3, v4
; %bb.1890:
	s_or_b64 exec, exec, s[2:3]
	s_mov_b64 s[2:3], 0
	s_mov_b64 s[0:1], -1
	s_branch .LBB315_1904
.LBB315_1891:
	s_or_b64 exec, exec, s[18:19]
	s_and_saveexec_b64 s[4:5], s[20:21]
	s_cbranch_execz .LBB315_3690
.LBB315_1892:
	; divergent unreachable
	s_or_b64 exec, exec, s[4:5]
	s_and_saveexec_b64 s[4:5], s[6:7]
	s_xor_b64 s[4:5], exec, s[4:5]
	s_cbranch_execnz .LBB315_3691
.LBB315_1893:
	s_or_b64 exec, exec, s[4:5]
	s_and_saveexec_b64 s[4:5], s[0:1]
	s_cbranch_execnz .LBB315_3692
	s_branch .LBB315_3729
.LBB315_1894:
                                        ; implicit-def: $vgpr3
	s_mov_b64 s[22:23], s[20:21]
	s_cbranch_execnz .LBB315_1984
.LBB315_1895:
	s_andn2_b64 vcc, exec, s[0:1]
	s_cbranch_vccz .LBB315_2051
	s_branch .LBB315_3688
.LBB315_1896:
	s_mov_b64 s[2:3], 0
                                        ; implicit-def: $vgpr3
	s_cbranch_execnz .LBB315_1939
	s_branch .LBB315_1978
.LBB315_1897:
	s_mov_b64 s[2:3], 0
                                        ; implicit-def: $vgpr3
	s_cbranch_execz .LBB315_1938
	s_branch .LBB315_1915
.LBB315_1898:
	s_mov_b64 s[2:3], 0
                                        ; implicit-def: $vgpr3
	s_cbranch_execnz .LBB315_1909
	s_branch .LBB315_1914
.LBB315_1899:
	s_mov_b64 s[6:7], -1
	s_mov_b64 s[2:3], 0
	s_branch .LBB315_1903
.LBB315_1900:
	s_andn2_saveexec_b64 s[28:29], s[28:29]
	s_cbranch_execz .LBB315_1790
.LBB315_1901:
	v_add_f32_e32 v2, 0x46000000, v3
	v_and_b32_e32 v2, 0xff, v2
	v_cmp_ne_u32_e32 vcc, 0, v2
	s_andn2_b64 s[26:27], s[26:27], exec
	s_and_b64 s[30:31], vcc, exec
	s_or_b64 s[26:27], s[26:27], s[30:31]
	s_or_b64 exec, exec, s[28:29]
	v_mov_b32_e32 v4, 0
	s_and_saveexec_b64 s[28:29], s[26:27]
	s_cbranch_execnz .LBB315_1791
	s_branch .LBB315_1792
.LBB315_1902:
	s_mov_b64 s[2:3], -1
.LBB315_1903:
                                        ; implicit-def: $vgpr3
.LBB315_1904:
	s_and_b64 vcc, exec, s[6:7]
	s_cbranch_vccz .LBB315_1907
; %bb.1905:
	s_cmp_eq_u32 s24, 44
	s_cbranch_scc0 .LBB315_1908
; %bb.1906:
	global_load_ubyte v3, v[0:1], off
	s_mov_b64 s[2:3], 0
	s_mov_b64 s[0:1], -1
.LBB315_1907:
	s_branch .LBB315_1914
.LBB315_1908:
	s_mov_b64 s[2:3], -1
                                        ; implicit-def: $vgpr3
	s_branch .LBB315_1914
.LBB315_1909:
	s_cmp_eq_u32 s24, 29
	s_cbranch_scc0 .LBB315_1913
; %bb.1910:
	global_load_dwordx2 v[3:4], v[0:1], off
	s_movk_i32 s0, 0xff
	s_waitcnt vmcnt(0)
	v_ffbh_u32_e32 v6, v4
	v_min_u32_e32 v6, 32, v6
	v_lshlrev_b64 v[3:4], v6, v[3:4]
	v_min_u32_e32 v3, 1, v3
	v_or_b32_e32 v3, v4, v3
	v_cvt_f32_u32_e32 v3, v3
	v_sub_u32_e32 v4, 32, v6
	v_ldexp_f32 v6, v3, v4
	v_lshrrev_b32_e32 v4, 23, v6
	v_cmp_ne_u32_e32 vcc, s0, v4
	v_mov_b32_e32 v3, 0xff
	s_and_saveexec_b64 s[2:3], vcc
; %bb.1911:
	v_and_b32_e32 v3, 0x400000, v6
	s_mov_b32 s0, 0x3fffff
	v_cmp_ne_u32_e32 vcc, 0, v3
	v_and_or_b32 v3, v6, s0, v4
	v_cmp_ne_u32_e64 s[0:1], 0, v3
	s_and_b64 s[0:1], vcc, s[0:1]
	v_cndmask_b32_e64 v3, 0, 1, s[0:1]
	v_add_u32_e32 v3, v4, v3
; %bb.1912:
	s_or_b64 exec, exec, s[2:3]
	s_mov_b64 s[2:3], 0
	s_mov_b64 s[0:1], -1
	s_branch .LBB315_1914
.LBB315_1913:
	s_mov_b64 s[2:3], -1
                                        ; implicit-def: $vgpr3
.LBB315_1914:
	s_branch .LBB315_1938
.LBB315_1915:
	s_cmp_lt_i32 s24, 27
	s_cbranch_scc1 .LBB315_1920
; %bb.1916:
	s_cmp_gt_i32 s24, 27
	s_cbranch_scc0 .LBB315_1921
; %bb.1917:
	global_load_dword v3, v[0:1], off
	s_movk_i32 s0, 0xff
	s_waitcnt vmcnt(0)
	v_cvt_f32_u32_e32 v6, v3
	v_mov_b32_e32 v3, 0xff
	v_lshrrev_b32_e32 v4, 23, v6
	v_cmp_ne_u32_e32 vcc, s0, v4
	s_and_saveexec_b64 s[6:7], vcc
; %bb.1918:
	v_and_b32_e32 v3, 0x400000, v6
	s_mov_b32 s0, 0x3fffff
	v_cmp_ne_u32_e32 vcc, 0, v3
	v_and_or_b32 v3, v6, s0, v4
	v_cmp_ne_u32_e64 s[0:1], 0, v3
	s_and_b64 s[0:1], vcc, s[0:1]
	v_cndmask_b32_e64 v3, 0, 1, s[0:1]
	v_add_u32_e32 v3, v4, v3
; %bb.1919:
	s_or_b64 exec, exec, s[6:7]
	s_mov_b64 s[0:1], 0
	s_branch .LBB315_1922
.LBB315_1920:
	s_mov_b64 s[0:1], -1
                                        ; implicit-def: $vgpr3
	s_branch .LBB315_1927
.LBB315_1921:
	s_mov_b64 s[0:1], -1
                                        ; implicit-def: $vgpr3
.LBB315_1922:
	s_andn2_b64 vcc, exec, s[0:1]
	s_cbranch_vccnz .LBB315_1926
; %bb.1923:
	global_load_ushort v3, v[0:1], off
	s_movk_i32 s0, 0xff
	s_waitcnt vmcnt(0)
	v_cvt_f32_u32_e32 v6, v3
	v_mov_b32_e32 v3, 0xff
	v_lshrrev_b32_e32 v4, 23, v6
	v_cmp_ne_u32_e32 vcc, s0, v4
	s_and_saveexec_b64 s[6:7], vcc
; %bb.1924:
	v_and_b32_e32 v3, 0x400000, v6
	s_mov_b32 s0, 0x3fffff
	v_cmp_ne_u32_e32 vcc, 0, v3
	v_and_or_b32 v3, v6, s0, v4
	v_cmp_ne_u32_e64 s[0:1], 0, v3
	s_and_b64 s[0:1], vcc, s[0:1]
	v_cndmask_b32_e64 v3, 0, 1, s[0:1]
	v_add_u32_e32 v3, v4, v3
; %bb.1925:
	s_or_b64 exec, exec, s[6:7]
.LBB315_1926:
	s_mov_b64 s[0:1], 0
.LBB315_1927:
	s_andn2_b64 vcc, exec, s[0:1]
	s_cbranch_vccnz .LBB315_1937
; %bb.1928:
	global_load_ubyte v3, v[0:1], off
	s_movk_i32 s0, 0x7f
	s_waitcnt vmcnt(0)
	v_cmp_lt_i16_e32 vcc, s0, v3
	s_mov_b64 s[0:1], 0
	s_and_saveexec_b64 s[6:7], vcc
	s_xor_b64 s[6:7], exec, s[6:7]
	s_cbranch_execz .LBB315_1952
; %bb.1929:
	s_movk_i32 s0, 0x80
	v_cmp_eq_u16_e32 vcc, s0, v3
	s_mov_b64 s[0:1], -1
	s_and_saveexec_b64 s[22:23], vcc
; %bb.1930:
	s_xor_b64 s[0:1], exec, -1
; %bb.1931:
	s_or_b64 exec, exec, s[22:23]
	s_and_b64 s[0:1], s[0:1], exec
	s_or_saveexec_b64 s[6:7], s[6:7]
	v_mov_b32_e32 v4, 0x7f800001
	s_xor_b64 exec, exec, s[6:7]
	s_cbranch_execnz .LBB315_1953
.LBB315_1932:
	s_or_b64 exec, exec, s[6:7]
	s_and_saveexec_b64 s[6:7], s[0:1]
	s_cbranch_execz .LBB315_1934
.LBB315_1933:
	v_and_b32_e32 v3, 0xffff, v3
	v_and_b32_e32 v4, 7, v3
	v_ffbh_u32_e32 v7, v4
	v_min_u32_e32 v7, 32, v7
	v_subrev_u32_e32 v8, 28, v7
	v_bfe_u32 v6, v3, 3, 4
	v_lshlrev_b32_e32 v3, v8, v3
	v_and_b32_e32 v3, 7, v3
	v_cmp_eq_u32_e32 vcc, 0, v6
	v_sub_u32_e32 v7, 29, v7
	v_cndmask_b32_e32 v3, v4, v3, vcc
	v_cndmask_b32_e32 v6, v6, v7, vcc
	v_lshlrev_b32_e32 v3, 20, v3
	v_lshl_or_b32 v3, v6, 23, v3
	v_add_u32_e32 v4, 0x3b800000, v3
.LBB315_1934:
	s_or_b64 exec, exec, s[6:7]
	v_lshrrev_b32_e32 v6, 23, v4
	s_movk_i32 s0, 0xff
	v_cmp_ne_u32_e32 vcc, s0, v6
	v_mov_b32_e32 v3, 0xff
	s_and_saveexec_b64 s[6:7], vcc
; %bb.1935:
	v_and_b32_e32 v3, 0x400000, v4
	s_mov_b32 s0, 0x3fffff
	v_cmp_ne_u32_e32 vcc, 0, v3
	v_and_or_b32 v3, v4, s0, v6
	v_cmp_ne_u32_e64 s[0:1], 0, v3
	s_and_b64 s[0:1], vcc, s[0:1]
	v_cndmask_b32_e64 v3, 0, 1, s[0:1]
	v_add_u32_e32 v3, v6, v3
; %bb.1936:
	s_or_b64 exec, exec, s[6:7]
.LBB315_1937:
	s_mov_b64 s[0:1], -1
.LBB315_1938:
	s_branch .LBB315_1978
.LBB315_1939:
	s_cmp_gt_i32 s24, 22
	s_cbranch_scc0 .LBB315_1951
; %bb.1940:
	s_cmp_lt_i32 s24, 24
	s_cbranch_scc1 .LBB315_1954
; %bb.1941:
	s_cmp_gt_i32 s24, 24
	s_cbranch_scc0 .LBB315_1955
; %bb.1942:
	global_load_ubyte v3, v[0:1], off
	s_movk_i32 s0, 0x7f
	s_waitcnt vmcnt(0)
	v_cmp_lt_i16_e32 vcc, s0, v3
	s_mov_b64 s[0:1], 0
	s_and_saveexec_b64 s[4:5], vcc
	s_xor_b64 s[4:5], exec, s[4:5]
	s_cbranch_execz .LBB315_1972
; %bb.1943:
	s_movk_i32 s0, 0x80
	v_cmp_eq_u16_e32 vcc, s0, v3
	s_mov_b64 s[0:1], -1
	s_and_saveexec_b64 s[6:7], vcc
; %bb.1944:
	s_xor_b64 s[0:1], exec, -1
; %bb.1945:
	s_or_b64 exec, exec, s[6:7]
	s_and_b64 s[0:1], s[0:1], exec
	s_or_saveexec_b64 s[4:5], s[4:5]
	v_mov_b32_e32 v4, 0x7f800001
	s_xor_b64 exec, exec, s[4:5]
	s_cbranch_execnz .LBB315_1973
.LBB315_1946:
	s_or_b64 exec, exec, s[4:5]
	s_and_saveexec_b64 s[4:5], s[0:1]
	s_cbranch_execz .LBB315_1948
.LBB315_1947:
	v_and_b32_e32 v3, 0xffff, v3
	v_and_b32_e32 v4, 3, v3
	v_ffbh_u32_e32 v7, v4
	v_min_u32_e32 v7, 32, v7
	v_subrev_u32_e32 v8, 29, v7
	v_bfe_u32 v6, v3, 2, 5
	v_lshlrev_b32_e32 v3, v8, v3
	v_and_b32_e32 v3, 3, v3
	v_cmp_eq_u32_e32 vcc, 0, v6
	v_sub_u32_e32 v7, 30, v7
	v_cndmask_b32_e32 v3, v4, v3, vcc
	v_cndmask_b32_e32 v6, v6, v7, vcc
	v_lshlrev_b32_e32 v3, 21, v3
	v_lshl_or_b32 v3, v6, 23, v3
	v_add_u32_e32 v4, 0x37800000, v3
.LBB315_1948:
	s_or_b64 exec, exec, s[4:5]
	v_lshrrev_b32_e32 v6, 23, v4
	s_movk_i32 s0, 0xff
	v_cmp_ne_u32_e32 vcc, s0, v6
	v_mov_b32_e32 v3, 0xff
	s_and_saveexec_b64 s[4:5], vcc
; %bb.1949:
	v_and_b32_e32 v3, 0x400000, v4
	s_mov_b32 s0, 0x3fffff
	v_cmp_ne_u32_e32 vcc, 0, v3
	v_and_or_b32 v3, v4, s0, v6
	v_cmp_ne_u32_e64 s[0:1], 0, v3
	s_and_b64 s[0:1], vcc, s[0:1]
	v_cndmask_b32_e64 v3, 0, 1, s[0:1]
	v_add_u32_e32 v3, v6, v3
; %bb.1950:
	s_or_b64 exec, exec, s[4:5]
	s_mov_b64 s[0:1], 0
	s_branch .LBB315_1956
.LBB315_1951:
                                        ; implicit-def: $vgpr3
	s_mov_b64 s[4:5], 0
	s_branch .LBB315_1966
.LBB315_1952:
	s_or_saveexec_b64 s[6:7], s[6:7]
	v_mov_b32_e32 v4, 0x7f800001
	s_xor_b64 exec, exec, s[6:7]
	s_cbranch_execz .LBB315_1932
.LBB315_1953:
	v_cmp_ne_u16_e32 vcc, 0, v3
	s_andn2_b64 s[0:1], s[0:1], exec
	s_and_b64 s[22:23], vcc, exec
	v_and_b32_e32 v4, 0xffff, v3
	s_or_b64 s[0:1], s[0:1], s[22:23]
	s_or_b64 exec, exec, s[6:7]
	s_and_saveexec_b64 s[6:7], s[0:1]
	s_cbranch_execnz .LBB315_1933
	s_branch .LBB315_1934
.LBB315_1954:
	s_mov_b64 s[0:1], -1
                                        ; implicit-def: $vgpr3
	s_branch .LBB315_1961
.LBB315_1955:
	s_mov_b64 s[0:1], -1
                                        ; implicit-def: $vgpr3
.LBB315_1956:
	s_and_b64 vcc, exec, s[0:1]
	s_cbranch_vccz .LBB315_1960
; %bb.1957:
	global_load_ubyte v3, v[0:1], off
	s_mov_b32 s0, 0x7f800000
	s_movk_i32 s1, 0xff
	s_waitcnt vmcnt(0)
	v_lshlrev_b32_e32 v3, 24, v3
	v_and_b32_e32 v3, 0x7f000000, v3
	v_ffbh_u32_e32 v4, v3
	v_min_u32_e32 v4, 32, v4
	v_sub_u32_e64 v4, v4, 4 clamp
	v_lshlrev_b32_e32 v7, v4, v3
	v_lshlrev_b32_e32 v4, 23, v4
	v_lshrrev_b32_e32 v7, 4, v7
	v_add_u32_e32 v6, 0x1000000, v3
	v_sub_u32_e32 v4, v7, v4
	v_ashrrev_i32_e32 v6, 8, v6
	v_add_u32_e32 v4, 0x3c000000, v4
	v_and_or_b32 v4, v6, s0, v4
	v_cmp_ne_u32_e32 vcc, 0, v3
	v_cndmask_b32_e32 v6, 0, v4, vcc
	v_lshrrev_b32_e32 v4, 23, v6
	v_cmp_ne_u32_e32 vcc, s1, v4
	v_mov_b32_e32 v3, 0xff
	s_and_saveexec_b64 s[4:5], vcc
; %bb.1958:
	v_and_b32_e32 v3, 0x400000, v6
	s_mov_b32 s0, 0x3fffff
	v_cmp_ne_u32_e32 vcc, 0, v3
	v_and_or_b32 v3, v6, s0, v4
	v_cmp_ne_u32_e64 s[0:1], 0, v3
	s_and_b64 s[0:1], vcc, s[0:1]
	v_cndmask_b32_e64 v3, 0, 1, s[0:1]
	v_add_u32_e32 v3, v4, v3
; %bb.1959:
	s_or_b64 exec, exec, s[4:5]
.LBB315_1960:
	s_mov_b64 s[0:1], 0
.LBB315_1961:
	s_andn2_b64 vcc, exec, s[0:1]
	s_cbranch_vccnz .LBB315_1965
; %bb.1962:
	global_load_ubyte v3, v[0:1], off
	s_movk_i32 s0, 0x7f00
	s_brev_b32 s1, 16
	s_movk_i32 s4, 0xff
	s_waitcnt vmcnt(0)
	v_lshlrev_b32_e32 v4, 8, v3
	v_lshlrev_b32_e32 v3, 25, v3
	v_lshrrev_b32_e32 v6, 4, v3
	v_and_or_b32 v4, v4, s0, 0.5
	v_or_b32_e32 v6, 0x70000000, v6
	v_add_f32_e32 v4, -0.5, v4
	v_mul_f32_e32 v6, 0x7800000, v6
	v_cmp_gt_u32_e32 vcc, s1, v3
	v_cndmask_b32_e32 v4, v6, v4, vcc
	v_bfe_u32 v6, v4, 23, 8
	v_cmp_ne_u32_e32 vcc, s4, v6
	v_mov_b32_e32 v3, 0xff
	s_and_saveexec_b64 s[4:5], vcc
; %bb.1963:
	s_mov_b32 s0, 0x3fffff
	v_lshrrev_b32_e32 v3, 23, v4
	v_and_b32_e32 v7, 0x400000, v4
	v_and_or_b32 v4, v4, s0, v6
	v_cmp_ne_u32_e32 vcc, 0, v7
	v_cmp_ne_u32_e64 s[0:1], 0, v4
	s_and_b64 s[0:1], vcc, s[0:1]
	v_cndmask_b32_e64 v4, 0, 1, s[0:1]
	v_add_u32_e32 v3, v3, v4
; %bb.1964:
	s_or_b64 exec, exec, s[4:5]
.LBB315_1965:
	s_mov_b64 s[0:1], -1
	s_mov_b64 s[4:5], 0
	s_cbranch_execnz .LBB315_1978
.LBB315_1966:
	s_cmp_gt_i32 s24, 14
	s_cbranch_scc0 .LBB315_1971
; %bb.1967:
	s_cmp_eq_u32 s24, 15
	s_cbranch_scc0 .LBB315_1974
; %bb.1968:
	global_load_ushort v4, v[0:1], off
	s_movk_i32 s0, 0xff
	s_waitcnt vmcnt(1)
	v_mov_b32_e32 v3, 0xff
	s_waitcnt vmcnt(0)
	v_bfe_u32 v6, v4, 7, 8
	v_cmp_ne_u32_e32 vcc, s0, v6
	s_and_saveexec_b64 s[2:3], vcc
	s_cbranch_execz .LBB315_1970
; %bb.1969:
	v_lshrrev_b32_e32 v3, 7, v4
	v_lshlrev_b32_e32 v7, 16, v4
	v_and_b32_e32 v4, 64, v4
	s_mov_b32 s0, 0x3f0000
	v_cmp_ne_u32_e32 vcc, 0, v4
	v_and_or_b32 v4, v7, s0, v6
	v_cmp_ne_u32_e64 s[0:1], 0, v4
	s_and_b64 s[0:1], vcc, s[0:1]
	v_cndmask_b32_e64 v4, 0, 1, s[0:1]
	v_add_u32_e32 v3, v3, v4
.LBB315_1970:
	s_or_b64 exec, exec, s[2:3]
	s_mov_b64 s[2:3], 0
	s_mov_b64 s[0:1], -1
	s_branch .LBB315_1975
.LBB315_1971:
	s_mov_b64 s[6:7], -1
                                        ; implicit-def: $vgpr3
	s_branch .LBB315_1976
.LBB315_1972:
	s_or_saveexec_b64 s[4:5], s[4:5]
	v_mov_b32_e32 v4, 0x7f800001
	s_xor_b64 exec, exec, s[4:5]
	s_cbranch_execz .LBB315_1946
.LBB315_1973:
	v_cmp_ne_u16_e32 vcc, 0, v3
	s_andn2_b64 s[0:1], s[0:1], exec
	s_and_b64 s[6:7], vcc, exec
	v_and_b32_e32 v4, 0xffff, v3
	s_or_b64 s[0:1], s[0:1], s[6:7]
	s_or_b64 exec, exec, s[4:5]
	s_and_saveexec_b64 s[4:5], s[0:1]
	s_cbranch_execnz .LBB315_1947
	s_branch .LBB315_1948
.LBB315_1974:
	s_mov_b64 s[2:3], -1
                                        ; implicit-def: $vgpr3
.LBB315_1975:
	s_mov_b64 s[6:7], 0
.LBB315_1976:
	s_and_b64 vcc, exec, s[6:7]
	s_cbranch_vccz .LBB315_1978
; %bb.1977:
	s_cmp_lg_u32 s24, 11
	s_mov_b64 s[4:5], -1
	s_cselect_b64 s[2:3], -1, 0
.LBB315_1978:
	s_and_b64 vcc, exec, s[2:3]
	s_mov_b64 s[22:23], s[20:21]
	s_cbranch_vccnz .LBB315_2065
; %bb.1979:
	s_andn2_b64 vcc, exec, s[4:5]
	s_cbranch_vccnz .LBB315_1983
.LBB315_1980:
	global_load_ubyte v3, v[0:1], off
	s_movk_i32 s0, 0xff
	s_waitcnt vmcnt(0)
	v_cmp_ne_u16_e32 vcc, 0, v3
	v_cndmask_b32_e64 v6, 0, 1.0, vcc
	v_lshrrev_b32_e32 v4, 23, v6
	v_cmp_ne_u32_e32 vcc, s0, v4
	v_mov_b32_e32 v3, 0xff
	s_and_saveexec_b64 s[2:3], vcc
; %bb.1981:
	v_and_b32_e32 v3, 0x400000, v6
	s_mov_b32 s0, 0x3fffff
	v_cmp_ne_u32_e32 vcc, 0, v3
	v_and_or_b32 v3, v6, s0, v4
	v_cmp_ne_u32_e64 s[0:1], 0, v3
	s_and_b64 s[0:1], vcc, s[0:1]
	v_cndmask_b32_e64 v3, 0, 1, s[0:1]
	v_add_u32_e32 v3, v4, v3
; %bb.1982:
	s_or_b64 exec, exec, s[2:3]
	s_mov_b64 s[0:1], -1
.LBB315_1983:
	s_branch .LBB315_1895
.LBB315_1984:
	s_and_b32 s4, 0xffff, s26
	s_cmp_lt_i32 s4, 5
	s_cbranch_scc1 .LBB315_1991
; %bb.1985:
	s_cmp_lt_i32 s4, 8
	s_cbranch_scc1 .LBB315_1992
; %bb.1986:
	;; [unrolled: 3-line block ×3, first 2 shown]
	s_cmp_gt_i32 s4, 9
	s_cbranch_scc0 .LBB315_1994
; %bb.1988:
	global_load_dwordx2 v[3:4], v[0:1], off
	s_movk_i32 s0, 0xff
	s_waitcnt vmcnt(0)
	v_cvt_f32_f64_e32 v4, v[3:4]
	v_mov_b32_e32 v3, 0xff
	v_bfe_u32 v6, v4, 23, 8
	v_cmp_ne_u32_e32 vcc, s0, v6
	s_and_saveexec_b64 s[2:3], vcc
; %bb.1989:
	s_mov_b32 s0, 0x3fffff
	v_lshrrev_b32_e32 v3, 23, v4
	v_and_b32_e32 v7, 0x400000, v4
	v_and_or_b32 v4, v4, s0, v6
	v_cmp_ne_u32_e32 vcc, 0, v7
	v_cmp_ne_u32_e64 s[0:1], 0, v4
	s_and_b64 s[0:1], vcc, s[0:1]
	v_cndmask_b32_e64 v4, 0, 1, s[0:1]
	v_add_u32_e32 v3, v3, v4
; %bb.1990:
	s_or_b64 exec, exec, s[2:3]
	s_mov_b64 s[0:1], 0
	s_branch .LBB315_1995
.LBB315_1991:
                                        ; implicit-def: $vgpr3
	s_branch .LBB315_2022
.LBB315_1992:
                                        ; implicit-def: $vgpr3
	s_branch .LBB315_2005
.LBB315_1993:
	s_mov_b64 s[0:1], -1
                                        ; implicit-def: $vgpr3
	s_branch .LBB315_2000
.LBB315_1994:
	s_mov_b64 s[0:1], -1
                                        ; implicit-def: $vgpr3
.LBB315_1995:
	s_andn2_b64 vcc, exec, s[0:1]
	s_cbranch_vccnz .LBB315_1999
; %bb.1996:
	global_load_dword v4, v[0:1], off
	s_movk_i32 s0, 0xff
	s_waitcnt vmcnt(1)
	v_mov_b32_e32 v3, 0xff
	s_waitcnt vmcnt(0)
	v_bfe_u32 v6, v4, 23, 8
	v_cmp_ne_u32_e32 vcc, s0, v6
	s_and_saveexec_b64 s[2:3], vcc
; %bb.1997:
	s_mov_b32 s0, 0x3fffff
	v_lshrrev_b32_e32 v3, 23, v4
	v_and_b32_e32 v7, 0x400000, v4
	v_and_or_b32 v4, v4, s0, v6
	v_cmp_ne_u32_e32 vcc, 0, v7
	v_cmp_ne_u32_e64 s[0:1], 0, v4
	s_and_b64 s[0:1], vcc, s[0:1]
	v_cndmask_b32_e64 v4, 0, 1, s[0:1]
	v_add_u32_e32 v3, v3, v4
; %bb.1998:
	s_or_b64 exec, exec, s[2:3]
.LBB315_1999:
	s_mov_b64 s[0:1], 0
.LBB315_2000:
	s_andn2_b64 vcc, exec, s[0:1]
	s_cbranch_vccnz .LBB315_2004
; %bb.2001:
	global_load_dword v3, v[0:1], off
	s_movk_i32 s0, 0xff
	s_waitcnt vmcnt(0)
	v_cvt_f32_f16_e32 v4, v3
	v_mov_b32_e32 v3, 0xff
	v_bfe_u32 v6, v4, 23, 8
	v_cmp_ne_u32_e32 vcc, s0, v6
	s_and_saveexec_b64 s[2:3], vcc
; %bb.2002:
	s_mov_b32 s0, 0x3fffff
	v_lshrrev_b32_e32 v3, 23, v4
	v_and_b32_e32 v7, 0x400000, v4
	v_and_or_b32 v4, v4, s0, v6
	v_cmp_ne_u32_e32 vcc, 0, v7
	v_cmp_ne_u32_e64 s[0:1], 0, v4
	s_and_b64 s[0:1], vcc, s[0:1]
	v_cndmask_b32_e64 v4, 0, 1, s[0:1]
	v_add_u32_e32 v3, v3, v4
; %bb.2003:
	s_or_b64 exec, exec, s[2:3]
.LBB315_2004:
	s_cbranch_execnz .LBB315_2021
.LBB315_2005:
	s_cmp_lt_i32 s4, 6
	s_cbranch_scc1 .LBB315_2010
; %bb.2006:
	s_cmp_gt_i32 s4, 6
	s_cbranch_scc0 .LBB315_2011
; %bb.2007:
	global_load_dwordx2 v[3:4], v[0:1], off
	s_movk_i32 s0, 0xff
	s_waitcnt vmcnt(0)
	v_cvt_f32_f64_e32 v4, v[3:4]
	v_mov_b32_e32 v3, 0xff
	v_bfe_u32 v6, v4, 23, 8
	v_cmp_ne_u32_e32 vcc, s0, v6
	s_and_saveexec_b64 s[2:3], vcc
; %bb.2008:
	s_mov_b32 s0, 0x3fffff
	v_lshrrev_b32_e32 v3, 23, v4
	v_and_b32_e32 v7, 0x400000, v4
	v_and_or_b32 v4, v4, s0, v6
	v_cmp_ne_u32_e32 vcc, 0, v7
	v_cmp_ne_u32_e64 s[0:1], 0, v4
	s_and_b64 s[0:1], vcc, s[0:1]
	v_cndmask_b32_e64 v4, 0, 1, s[0:1]
	v_add_u32_e32 v3, v3, v4
; %bb.2009:
	s_or_b64 exec, exec, s[2:3]
	s_mov_b64 s[0:1], 0
	s_branch .LBB315_2012
.LBB315_2010:
	s_mov_b64 s[0:1], -1
                                        ; implicit-def: $vgpr3
	s_branch .LBB315_2017
.LBB315_2011:
	s_mov_b64 s[0:1], -1
                                        ; implicit-def: $vgpr3
.LBB315_2012:
	s_andn2_b64 vcc, exec, s[0:1]
	s_cbranch_vccnz .LBB315_2016
; %bb.2013:
	global_load_dword v4, v[0:1], off
	s_movk_i32 s0, 0xff
	s_waitcnt vmcnt(1)
	v_mov_b32_e32 v3, 0xff
	s_waitcnt vmcnt(0)
	v_bfe_u32 v6, v4, 23, 8
	v_cmp_ne_u32_e32 vcc, s0, v6
	s_and_saveexec_b64 s[2:3], vcc
; %bb.2014:
	s_mov_b32 s0, 0x3fffff
	v_lshrrev_b32_e32 v3, 23, v4
	v_and_b32_e32 v7, 0x400000, v4
	v_and_or_b32 v4, v4, s0, v6
	v_cmp_ne_u32_e32 vcc, 0, v7
	v_cmp_ne_u32_e64 s[0:1], 0, v4
	s_and_b64 s[0:1], vcc, s[0:1]
	v_cndmask_b32_e64 v4, 0, 1, s[0:1]
	v_add_u32_e32 v3, v3, v4
; %bb.2015:
	s_or_b64 exec, exec, s[2:3]
.LBB315_2016:
	s_mov_b64 s[0:1], 0
.LBB315_2017:
	s_andn2_b64 vcc, exec, s[0:1]
	s_cbranch_vccnz .LBB315_2021
; %bb.2018:
	global_load_ushort v3, v[0:1], off
	s_movk_i32 s0, 0xff
	s_waitcnt vmcnt(0)
	v_cvt_f32_f16_e32 v4, v3
	v_mov_b32_e32 v3, 0xff
	v_bfe_u32 v6, v4, 23, 8
	v_cmp_ne_u32_e32 vcc, s0, v6
	s_and_saveexec_b64 s[2:3], vcc
; %bb.2019:
	s_mov_b32 s0, 0x3fffff
	v_lshrrev_b32_e32 v3, 23, v4
	v_and_b32_e32 v7, 0x400000, v4
	v_and_or_b32 v4, v4, s0, v6
	v_cmp_ne_u32_e32 vcc, 0, v7
	v_cmp_ne_u32_e64 s[0:1], 0, v4
	s_and_b64 s[0:1], vcc, s[0:1]
	v_cndmask_b32_e64 v4, 0, 1, s[0:1]
	v_add_u32_e32 v3, v3, v4
; %bb.2020:
	s_or_b64 exec, exec, s[2:3]
.LBB315_2021:
	s_cbranch_execnz .LBB315_2050
.LBB315_2022:
	s_cmp_lt_i32 s4, 2
	s_cbranch_scc1 .LBB315_2028
; %bb.2023:
	s_cmp_lt_i32 s4, 3
	s_cbranch_scc1 .LBB315_2029
; %bb.2024:
	s_cmp_gt_i32 s4, 3
	s_cbranch_scc0 .LBB315_2030
; %bb.2025:
	global_load_dwordx2 v[3:4], v[0:1], off
	s_movk_i32 s0, 0xff
	s_waitcnt vmcnt(0)
	v_xor_b32_e32 v7, v3, v4
	v_ffbh_i32_e32 v6, v4
	v_ashrrev_i32_e32 v7, 31, v7
	v_add_u32_e32 v6, -1, v6
	v_add_u32_e32 v7, 32, v7
	v_min_u32_e32 v6, v6, v7
	v_lshlrev_b64 v[3:4], v6, v[3:4]
	v_min_u32_e32 v3, 1, v3
	v_or_b32_e32 v3, v4, v3
	v_cvt_f32_i32_e32 v3, v3
	v_sub_u32_e32 v4, 32, v6
	v_ldexp_f32 v4, v3, v4
	v_bfe_u32 v6, v4, 23, 8
	v_cmp_ne_u32_e32 vcc, s0, v6
	v_mov_b32_e32 v3, 0xff
	s_and_saveexec_b64 s[2:3], vcc
; %bb.2026:
	s_mov_b32 s0, 0x3fffff
	v_lshrrev_b32_e32 v3, 23, v4
	v_and_b32_e32 v7, 0x400000, v4
	v_and_or_b32 v4, v4, s0, v6
	v_cmp_ne_u32_e32 vcc, 0, v7
	v_cmp_ne_u32_e64 s[0:1], 0, v4
	s_and_b64 s[0:1], vcc, s[0:1]
	v_cndmask_b32_e64 v4, 0, 1, s[0:1]
	v_add_u32_e32 v3, v3, v4
; %bb.2027:
	s_or_b64 exec, exec, s[2:3]
	s_mov_b64 s[0:1], 0
	s_branch .LBB315_2031
.LBB315_2028:
                                        ; implicit-def: $vgpr3
	s_branch .LBB315_2041
.LBB315_2029:
	s_mov_b64 s[0:1], -1
                                        ; implicit-def: $vgpr3
	s_branch .LBB315_2036
.LBB315_2030:
	s_mov_b64 s[0:1], -1
                                        ; implicit-def: $vgpr3
.LBB315_2031:
	s_andn2_b64 vcc, exec, s[0:1]
	s_cbranch_vccnz .LBB315_2035
; %bb.2032:
	global_load_dword v3, v[0:1], off
	s_movk_i32 s0, 0xff
	s_waitcnt vmcnt(0)
	v_cvt_f32_i32_e32 v4, v3
	v_mov_b32_e32 v3, 0xff
	v_bfe_u32 v6, v4, 23, 8
	v_cmp_ne_u32_e32 vcc, s0, v6
	s_and_saveexec_b64 s[2:3], vcc
; %bb.2033:
	s_mov_b32 s0, 0x3fffff
	v_lshrrev_b32_e32 v3, 23, v4
	v_and_b32_e32 v7, 0x400000, v4
	v_and_or_b32 v4, v4, s0, v6
	v_cmp_ne_u32_e32 vcc, 0, v7
	v_cmp_ne_u32_e64 s[0:1], 0, v4
	s_and_b64 s[0:1], vcc, s[0:1]
	v_cndmask_b32_e64 v4, 0, 1, s[0:1]
	v_add_u32_e32 v3, v3, v4
; %bb.2034:
	s_or_b64 exec, exec, s[2:3]
.LBB315_2035:
	s_mov_b64 s[0:1], 0
.LBB315_2036:
	s_andn2_b64 vcc, exec, s[0:1]
	s_cbranch_vccnz .LBB315_2040
; %bb.2037:
	global_load_sshort v3, v[0:1], off
	s_movk_i32 s0, 0xff
	s_waitcnt vmcnt(0)
	v_cvt_f32_i32_e32 v4, v3
	v_mov_b32_e32 v3, 0xff
	v_bfe_u32 v6, v4, 23, 8
	v_cmp_ne_u32_e32 vcc, s0, v6
	s_and_saveexec_b64 s[2:3], vcc
; %bb.2038:
	s_mov_b32 s0, 0x3fffff
	v_lshrrev_b32_e32 v3, 23, v4
	v_and_b32_e32 v7, 0x400000, v4
	v_and_or_b32 v4, v4, s0, v6
	v_cmp_ne_u32_e32 vcc, 0, v7
	v_cmp_ne_u32_e64 s[0:1], 0, v4
	s_and_b64 s[0:1], vcc, s[0:1]
	v_cndmask_b32_e64 v4, 0, 1, s[0:1]
	v_add_u32_e32 v3, v3, v4
; %bb.2039:
	s_or_b64 exec, exec, s[2:3]
.LBB315_2040:
	s_cbranch_execnz .LBB315_2050
.LBB315_2041:
	s_cmp_gt_i32 s4, 0
	s_cbranch_scc0 .LBB315_2045
; %bb.2042:
	global_load_sbyte v3, v[0:1], off
	s_movk_i32 s0, 0xff
	s_waitcnt vmcnt(0)
	v_cvt_f32_i32_e32 v4, v3
	v_mov_b32_e32 v3, 0xff
	v_bfe_u32 v6, v4, 23, 8
	v_cmp_ne_u32_e32 vcc, s0, v6
	s_and_saveexec_b64 s[2:3], vcc
; %bb.2043:
	s_mov_b32 s0, 0x3fffff
	v_lshrrev_b32_e32 v3, 23, v4
	v_and_b32_e32 v7, 0x400000, v4
	v_and_or_b32 v4, v4, s0, v6
	v_cmp_ne_u32_e32 vcc, 0, v7
	v_cmp_ne_u32_e64 s[0:1], 0, v4
	s_and_b64 s[0:1], vcc, s[0:1]
	v_cndmask_b32_e64 v4, 0, 1, s[0:1]
	v_add_u32_e32 v3, v3, v4
; %bb.2044:
	s_or_b64 exec, exec, s[2:3]
	s_mov_b64 s[0:1], 0
	s_branch .LBB315_2046
.LBB315_2045:
	s_mov_b64 s[0:1], -1
                                        ; implicit-def: $vgpr3
.LBB315_2046:
	s_andn2_b64 vcc, exec, s[0:1]
	s_cbranch_vccnz .LBB315_2050
; %bb.2047:
	global_load_ubyte v0, v[0:1], off
	s_movk_i32 s0, 0xff
	s_waitcnt vmcnt(1)
	v_mov_b32_e32 v3, 0xff
	s_waitcnt vmcnt(0)
	v_cvt_f32_ubyte0_e32 v1, v0
	v_lshrrev_b32_e32 v0, 23, v1
	v_cmp_ne_u32_e32 vcc, s0, v0
	s_and_saveexec_b64 s[2:3], vcc
; %bb.2048:
	s_mov_b32 s0, 0x3fffff
	v_and_b32_e32 v3, 0x400000, v1
	v_and_or_b32 v1, v1, s0, v0
	v_cmp_ne_u32_e32 vcc, 0, v3
	v_cmp_ne_u32_e64 s[0:1], 0, v1
	s_and_b64 s[0:1], vcc, s[0:1]
	v_cndmask_b32_e64 v1, 0, 1, s[0:1]
	v_add_u32_e32 v3, v0, v1
; %bb.2049:
	s_or_b64 exec, exec, s[2:3]
.LBB315_2050:
.LBB315_2051:
	v_mul_lo_u32 v6, s14, v2
	v_mov_b32_e32 v1, s17
	s_and_b32 s27, s54, 0xff
	s_cmp_lt_i32 s27, 11
	v_ashrrev_i32_e32 v4, 31, v6
	v_add_co_u32_e32 v0, vcc, s16, v6
	v_addc_co_u32_e32 v1, vcc, v1, v4, vcc
	s_cbranch_scc1 .LBB315_2060
; %bb.2052:
	s_and_b32 s28, 0xffff, s27
	s_cmp_gt_i32 s28, 25
	s_mov_b64 s[4:5], 0
	s_cbranch_scc0 .LBB315_2062
; %bb.2053:
	s_cmp_gt_i32 s28, 28
	s_cbranch_scc0 .LBB315_2063
; %bb.2054:
	s_cmp_gt_i32 s28, 43
	;; [unrolled: 3-line block ×3, first 2 shown]
	s_cbranch_scc0 .LBB315_2066
; %bb.2056:
	s_cmp_eq_u32 s28, 46
	s_mov_b64 s[6:7], 0
	s_cbranch_scc0 .LBB315_2069
; %bb.2057:
	global_load_dword v7, v[0:1], off
	s_movk_i32 s0, 0xff
	v_mov_b32_e32 v4, 0xff
	s_waitcnt vmcnt(0)
	v_lshlrev_b32_e32 v8, 16, v7
	v_bfe_u32 v9, v8, 23, 8
	v_cmp_ne_u32_e32 vcc, s0, v9
	s_and_saveexec_b64 s[2:3], vcc
; %bb.2058:
	v_bfe_u32 v4, v7, 7, 9
	v_and_b32_e32 v7, 64, v7
	s_mov_b32 s0, 0x3f0000
	v_cmp_ne_u32_e32 vcc, 0, v7
	v_and_or_b32 v7, v8, s0, v9
	v_cmp_ne_u32_e64 s[0:1], 0, v7
	s_and_b64 s[0:1], vcc, s[0:1]
	v_cndmask_b32_e64 v7, 0, 1, s[0:1]
	v_add_u32_e32 v4, v4, v7
; %bb.2059:
	s_or_b64 exec, exec, s[2:3]
	s_mov_b64 s[2:3], 0
	s_mov_b64 s[0:1], -1
	s_branch .LBB315_2070
.LBB315_2060:
	s_mov_b64 s[0:1], 0
                                        ; implicit-def: $vgpr4
	s_cbranch_execnz .LBB315_2153
.LBB315_2061:
	s_andn2_b64 vcc, exec, s[0:1]
	s_cbranch_vccnz .LBB315_3688
	s_branch .LBB315_2222
.LBB315_2062:
	s_mov_b64 s[0:1], 0
	s_mov_b64 s[2:3], 0
                                        ; implicit-def: $vgpr4
	s_cbranch_execnz .LBB315_2107
	s_branch .LBB315_2147
.LBB315_2063:
	s_mov_b64 s[6:7], -1
	s_mov_b64 s[0:1], 0
	s_mov_b64 s[2:3], 0
                                        ; implicit-def: $vgpr4
	s_branch .LBB315_2082
.LBB315_2064:
	s_mov_b64 s[6:7], -1
	s_mov_b64 s[0:1], 0
	s_mov_b64 s[2:3], 0
                                        ; implicit-def: $vgpr4
	s_branch .LBB315_2075
.LBB315_2065:
	s_or_b64 s[22:23], s[20:21], exec
	s_trap 2
	s_cbranch_execz .LBB315_1980
	s_branch .LBB315_1983
.LBB315_2066:
	s_mov_b64 s[6:7], -1
	s_mov_b64 s[0:1], 0
	s_mov_b64 s[2:3], 0
                                        ; implicit-def: $vgpr4
	s_branch .LBB315_2070
.LBB315_2067:
	s_andn2_saveexec_b64 s[30:31], s[30:31]
	s_cbranch_execz .LBB315_1802
.LBB315_2068:
	v_add_f32_e32 v2, 0x42800000, v3
	v_and_b32_e32 v2, 0xff, v2
	v_cmp_ne_u32_e32 vcc, 0, v2
	s_andn2_b64 s[28:29], s[28:29], exec
	s_and_b64 s[36:37], vcc, exec
	s_or_b64 s[28:29], s[28:29], s[36:37]
	s_or_b64 exec, exec, s[30:31]
	v_mov_b32_e32 v4, 0
	s_and_saveexec_b64 s[30:31], s[28:29]
	s_cbranch_execnz .LBB315_1803
	s_branch .LBB315_1804
.LBB315_2069:
	s_mov_b64 s[2:3], -1
                                        ; implicit-def: $vgpr4
	s_mov_b64 s[0:1], 0
.LBB315_2070:
	s_and_b64 vcc, exec, s[6:7]
	s_cbranch_vccz .LBB315_2074
; %bb.2071:
	s_cmp_eq_u32 s28, 44
	s_cbranch_scc0 .LBB315_2073
; %bb.2072:
	global_load_ubyte v4, v[0:1], off
	s_mov_b64 s[2:3], 0
	s_mov_b64 s[0:1], -1
	s_branch .LBB315_2074
.LBB315_2073:
	s_mov_b64 s[2:3], -1
                                        ; implicit-def: $vgpr4
.LBB315_2074:
	s_mov_b64 s[6:7], 0
.LBB315_2075:
	s_and_b64 vcc, exec, s[6:7]
	s_cbranch_vccz .LBB315_2081
; %bb.2076:
	s_cmp_eq_u32 s28, 29
	s_cbranch_scc0 .LBB315_2080
; %bb.2077:
	global_load_dwordx2 v[7:8], v[0:1], off
	s_movk_i32 s0, 0xff
	s_waitcnt vmcnt(0)
	v_ffbh_u32_e32 v4, v8
	v_min_u32_e32 v4, 32, v4
	v_lshlrev_b64 v[7:8], v4, v[7:8]
	v_sub_u32_e32 v4, 32, v4
	v_min_u32_e32 v7, 1, v7
	v_or_b32_e32 v7, v8, v7
	v_cvt_f32_u32_e32 v7, v7
	v_ldexp_f32 v8, v7, v4
	v_lshrrev_b32_e32 v7, 23, v8
	v_cmp_ne_u32_e32 vcc, s0, v7
	v_mov_b32_e32 v4, 0xff
	s_and_saveexec_b64 s[2:3], vcc
; %bb.2078:
	v_and_b32_e32 v4, 0x400000, v8
	s_mov_b32 s0, 0x3fffff
	v_cmp_ne_u32_e32 vcc, 0, v4
	v_and_or_b32 v4, v8, s0, v7
	v_cmp_ne_u32_e64 s[0:1], 0, v4
	s_and_b64 s[0:1], vcc, s[0:1]
	v_cndmask_b32_e64 v4, 0, 1, s[0:1]
	v_add_u32_e32 v4, v7, v4
; %bb.2079:
	s_or_b64 exec, exec, s[2:3]
	s_mov_b64 s[2:3], 0
	s_mov_b64 s[0:1], -1
	s_branch .LBB315_2081
.LBB315_2080:
	s_mov_b64 s[2:3], -1
                                        ; implicit-def: $vgpr4
.LBB315_2081:
	s_mov_b64 s[6:7], 0
.LBB315_2082:
	s_and_b64 vcc, exec, s[6:7]
	s_cbranch_vccz .LBB315_2106
; %bb.2083:
	s_cmp_lt_i32 s28, 27
	s_cbranch_scc1 .LBB315_2088
; %bb.2084:
	s_cmp_gt_i32 s28, 27
	s_cbranch_scc0 .LBB315_2089
; %bb.2085:
	global_load_dword v4, v[0:1], off
	s_movk_i32 s0, 0xff
	s_waitcnt vmcnt(0)
	v_cvt_f32_u32_e32 v8, v4
	v_mov_b32_e32 v4, 0xff
	v_lshrrev_b32_e32 v7, 23, v8
	v_cmp_ne_u32_e32 vcc, s0, v7
	s_and_saveexec_b64 s[6:7], vcc
; %bb.2086:
	v_and_b32_e32 v4, 0x400000, v8
	s_mov_b32 s0, 0x3fffff
	v_cmp_ne_u32_e32 vcc, 0, v4
	v_and_or_b32 v4, v8, s0, v7
	v_cmp_ne_u32_e64 s[0:1], 0, v4
	s_and_b64 s[0:1], vcc, s[0:1]
	v_cndmask_b32_e64 v4, 0, 1, s[0:1]
	v_add_u32_e32 v4, v7, v4
; %bb.2087:
	s_or_b64 exec, exec, s[6:7]
	s_mov_b64 s[0:1], 0
	s_branch .LBB315_2090
.LBB315_2088:
	s_mov_b64 s[0:1], -1
                                        ; implicit-def: $vgpr4
	s_branch .LBB315_2095
.LBB315_2089:
	s_mov_b64 s[0:1], -1
                                        ; implicit-def: $vgpr4
.LBB315_2090:
	s_andn2_b64 vcc, exec, s[0:1]
	s_cbranch_vccnz .LBB315_2094
; %bb.2091:
	global_load_ushort v4, v[0:1], off
	s_movk_i32 s0, 0xff
	s_waitcnt vmcnt(0)
	v_cvt_f32_u32_e32 v8, v4
	v_mov_b32_e32 v4, 0xff
	v_lshrrev_b32_e32 v7, 23, v8
	v_cmp_ne_u32_e32 vcc, s0, v7
	s_and_saveexec_b64 s[6:7], vcc
; %bb.2092:
	v_and_b32_e32 v4, 0x400000, v8
	s_mov_b32 s0, 0x3fffff
	v_cmp_ne_u32_e32 vcc, 0, v4
	v_and_or_b32 v4, v8, s0, v7
	v_cmp_ne_u32_e64 s[0:1], 0, v4
	s_and_b64 s[0:1], vcc, s[0:1]
	v_cndmask_b32_e64 v4, 0, 1, s[0:1]
	v_add_u32_e32 v4, v7, v4
; %bb.2093:
	s_or_b64 exec, exec, s[6:7]
.LBB315_2094:
	s_mov_b64 s[0:1], 0
.LBB315_2095:
	s_andn2_b64 vcc, exec, s[0:1]
	s_cbranch_vccnz .LBB315_2105
; %bb.2096:
	global_load_ubyte v4, v[0:1], off
	s_movk_i32 s0, 0x7f
	s_waitcnt vmcnt(0)
	v_cmp_lt_i16_e32 vcc, s0, v4
	s_mov_b64 s[0:1], 0
	s_and_saveexec_b64 s[6:7], vcc
	s_xor_b64 s[6:7], exec, s[6:7]
	s_cbranch_execz .LBB315_2120
; %bb.2097:
	s_movk_i32 s0, 0x80
	v_cmp_eq_u16_e32 vcc, s0, v4
	s_mov_b64 s[0:1], -1
	s_and_saveexec_b64 s[24:25], vcc
; %bb.2098:
	s_xor_b64 s[0:1], exec, -1
; %bb.2099:
	s_or_b64 exec, exec, s[24:25]
	s_and_b64 s[0:1], s[0:1], exec
	s_or_saveexec_b64 s[6:7], s[6:7]
	v_mov_b32_e32 v7, 0x7f800001
	s_xor_b64 exec, exec, s[6:7]
	s_cbranch_execnz .LBB315_2121
.LBB315_2100:
	s_or_b64 exec, exec, s[6:7]
	s_and_saveexec_b64 s[6:7], s[0:1]
	s_cbranch_execz .LBB315_2102
.LBB315_2101:
	v_and_b32_e32 v4, 0xffff, v4
	v_and_b32_e32 v7, 7, v4
	v_ffbh_u32_e32 v9, v7
	v_min_u32_e32 v9, 32, v9
	v_subrev_u32_e32 v10, 28, v9
	v_bfe_u32 v8, v4, 3, 4
	v_lshlrev_b32_e32 v4, v10, v4
	v_and_b32_e32 v4, 7, v4
	v_cmp_eq_u32_e32 vcc, 0, v8
	v_sub_u32_e32 v9, 29, v9
	v_cndmask_b32_e32 v4, v7, v4, vcc
	v_cndmask_b32_e32 v8, v8, v9, vcc
	v_lshlrev_b32_e32 v4, 20, v4
	v_lshl_or_b32 v4, v8, 23, v4
	v_add_u32_e32 v7, 0x3b800000, v4
.LBB315_2102:
	s_or_b64 exec, exec, s[6:7]
	v_lshrrev_b32_e32 v8, 23, v7
	s_movk_i32 s0, 0xff
	v_cmp_ne_u32_e32 vcc, s0, v8
	v_mov_b32_e32 v4, 0xff
	s_and_saveexec_b64 s[6:7], vcc
; %bb.2103:
	v_and_b32_e32 v4, 0x400000, v7
	s_mov_b32 s0, 0x3fffff
	v_cmp_ne_u32_e32 vcc, 0, v4
	v_and_or_b32 v4, v7, s0, v8
	v_cmp_ne_u32_e64 s[0:1], 0, v4
	s_and_b64 s[0:1], vcc, s[0:1]
	v_cndmask_b32_e64 v4, 0, 1, s[0:1]
	v_add_u32_e32 v4, v8, v4
; %bb.2104:
	s_or_b64 exec, exec, s[6:7]
.LBB315_2105:
	s_mov_b64 s[0:1], -1
.LBB315_2106:
	s_branch .LBB315_2147
.LBB315_2107:
	s_cmp_gt_i32 s28, 22
	s_cbranch_scc0 .LBB315_2119
; %bb.2108:
	s_cmp_lt_i32 s28, 24
	s_cbranch_scc1 .LBB315_2122
; %bb.2109:
	s_cmp_gt_i32 s28, 24
	s_cbranch_scc0 .LBB315_2123
; %bb.2110:
	global_load_ubyte v4, v[0:1], off
	s_movk_i32 s0, 0x7f
	s_waitcnt vmcnt(0)
	v_cmp_lt_i16_e32 vcc, s0, v4
	s_mov_b64 s[0:1], 0
	s_and_saveexec_b64 s[4:5], vcc
	s_xor_b64 s[4:5], exec, s[4:5]
	s_cbranch_execz .LBB315_2141
; %bb.2111:
	s_movk_i32 s0, 0x80
	v_cmp_eq_u16_e32 vcc, s0, v4
	s_mov_b64 s[0:1], -1
	s_and_saveexec_b64 s[6:7], vcc
; %bb.2112:
	s_xor_b64 s[0:1], exec, -1
; %bb.2113:
	s_or_b64 exec, exec, s[6:7]
	s_and_b64 s[0:1], s[0:1], exec
	s_or_saveexec_b64 s[4:5], s[4:5]
	v_mov_b32_e32 v7, 0x7f800001
	s_xor_b64 exec, exec, s[4:5]
	s_cbranch_execnz .LBB315_2142
.LBB315_2114:
	s_or_b64 exec, exec, s[4:5]
	s_and_saveexec_b64 s[4:5], s[0:1]
	s_cbranch_execz .LBB315_2116
.LBB315_2115:
	v_and_b32_e32 v4, 0xffff, v4
	v_and_b32_e32 v7, 3, v4
	v_ffbh_u32_e32 v9, v7
	v_min_u32_e32 v9, 32, v9
	v_subrev_u32_e32 v10, 29, v9
	v_bfe_u32 v8, v4, 2, 5
	v_lshlrev_b32_e32 v4, v10, v4
	v_and_b32_e32 v4, 3, v4
	v_cmp_eq_u32_e32 vcc, 0, v8
	v_sub_u32_e32 v9, 30, v9
	v_cndmask_b32_e32 v4, v7, v4, vcc
	v_cndmask_b32_e32 v8, v8, v9, vcc
	v_lshlrev_b32_e32 v4, 21, v4
	v_lshl_or_b32 v4, v8, 23, v4
	v_add_u32_e32 v7, 0x37800000, v4
.LBB315_2116:
	s_or_b64 exec, exec, s[4:5]
	v_lshrrev_b32_e32 v8, 23, v7
	s_movk_i32 s0, 0xff
	v_cmp_ne_u32_e32 vcc, s0, v8
	v_mov_b32_e32 v4, 0xff
	s_and_saveexec_b64 s[4:5], vcc
; %bb.2117:
	v_and_b32_e32 v4, 0x400000, v7
	s_mov_b32 s0, 0x3fffff
	v_cmp_ne_u32_e32 vcc, 0, v4
	v_and_or_b32 v4, v7, s0, v8
	v_cmp_ne_u32_e64 s[0:1], 0, v4
	s_and_b64 s[0:1], vcc, s[0:1]
	v_cndmask_b32_e64 v4, 0, 1, s[0:1]
	v_add_u32_e32 v4, v8, v4
; %bb.2118:
	s_or_b64 exec, exec, s[4:5]
	s_mov_b64 s[0:1], 0
	s_branch .LBB315_2124
.LBB315_2119:
	s_mov_b64 s[4:5], -1
                                        ; implicit-def: $vgpr4
	s_branch .LBB315_2134
.LBB315_2120:
	s_or_saveexec_b64 s[6:7], s[6:7]
	v_mov_b32_e32 v7, 0x7f800001
	s_xor_b64 exec, exec, s[6:7]
	s_cbranch_execz .LBB315_2100
.LBB315_2121:
	v_cmp_ne_u16_e32 vcc, 0, v4
	s_andn2_b64 s[0:1], s[0:1], exec
	s_and_b64 s[24:25], vcc, exec
	v_and_b32_e32 v7, 0xffff, v4
	s_or_b64 s[0:1], s[0:1], s[24:25]
	s_or_b64 exec, exec, s[6:7]
	s_and_saveexec_b64 s[6:7], s[0:1]
	s_cbranch_execnz .LBB315_2101
	s_branch .LBB315_2102
.LBB315_2122:
	s_mov_b64 s[0:1], -1
                                        ; implicit-def: $vgpr4
	s_branch .LBB315_2129
.LBB315_2123:
	s_mov_b64 s[0:1], -1
                                        ; implicit-def: $vgpr4
.LBB315_2124:
	s_and_b64 vcc, exec, s[0:1]
	s_cbranch_vccz .LBB315_2128
; %bb.2125:
	global_load_ubyte v4, v[0:1], off
	s_mov_b32 s0, 0x7f800000
	s_movk_i32 s1, 0xff
	s_waitcnt vmcnt(0)
	v_lshlrev_b32_e32 v4, 24, v4
	v_and_b32_e32 v4, 0x7f000000, v4
	v_ffbh_u32_e32 v7, v4
	v_min_u32_e32 v7, 32, v7
	v_sub_u32_e64 v7, v7, 4 clamp
	v_lshlrev_b32_e32 v9, v7, v4
	v_lshlrev_b32_e32 v7, 23, v7
	v_lshrrev_b32_e32 v9, 4, v9
	v_add_u32_e32 v8, 0x1000000, v4
	v_sub_u32_e32 v7, v9, v7
	v_ashrrev_i32_e32 v8, 8, v8
	v_add_u32_e32 v7, 0x3c000000, v7
	v_and_or_b32 v7, v8, s0, v7
	v_cmp_ne_u32_e32 vcc, 0, v4
	v_cndmask_b32_e32 v8, 0, v7, vcc
	v_lshrrev_b32_e32 v7, 23, v8
	v_cmp_ne_u32_e32 vcc, s1, v7
	v_mov_b32_e32 v4, 0xff
	s_and_saveexec_b64 s[4:5], vcc
; %bb.2126:
	v_and_b32_e32 v4, 0x400000, v8
	s_mov_b32 s0, 0x3fffff
	v_cmp_ne_u32_e32 vcc, 0, v4
	v_and_or_b32 v4, v8, s0, v7
	v_cmp_ne_u32_e64 s[0:1], 0, v4
	s_and_b64 s[0:1], vcc, s[0:1]
	v_cndmask_b32_e64 v4, 0, 1, s[0:1]
	v_add_u32_e32 v4, v7, v4
; %bb.2127:
	s_or_b64 exec, exec, s[4:5]
.LBB315_2128:
	s_mov_b64 s[0:1], 0
.LBB315_2129:
	s_andn2_b64 vcc, exec, s[0:1]
	s_cbranch_vccnz .LBB315_2133
; %bb.2130:
	global_load_ubyte v4, v[0:1], off
	s_movk_i32 s0, 0x7f00
	s_brev_b32 s1, 16
	s_movk_i32 s4, 0xff
	s_waitcnt vmcnt(0)
	v_lshlrev_b32_e32 v7, 8, v4
	v_lshlrev_b32_e32 v4, 25, v4
	v_lshrrev_b32_e32 v8, 4, v4
	v_and_or_b32 v7, v7, s0, 0.5
	v_or_b32_e32 v8, 0x70000000, v8
	v_add_f32_e32 v7, -0.5, v7
	v_mul_f32_e32 v8, 0x7800000, v8
	v_cmp_gt_u32_e32 vcc, s1, v4
	v_cndmask_b32_e32 v7, v8, v7, vcc
	v_bfe_u32 v8, v7, 23, 8
	v_cmp_ne_u32_e32 vcc, s4, v8
	v_mov_b32_e32 v4, 0xff
	s_and_saveexec_b64 s[4:5], vcc
; %bb.2131:
	s_mov_b32 s0, 0x3fffff
	v_lshrrev_b32_e32 v4, 23, v7
	v_and_b32_e32 v9, 0x400000, v7
	v_and_or_b32 v7, v7, s0, v8
	v_cmp_ne_u32_e32 vcc, 0, v9
	v_cmp_ne_u32_e64 s[0:1], 0, v7
	s_and_b64 s[0:1], vcc, s[0:1]
	v_cndmask_b32_e64 v7, 0, 1, s[0:1]
	v_add_u32_e32 v4, v4, v7
; %bb.2132:
	s_or_b64 exec, exec, s[4:5]
.LBB315_2133:
	s_mov_b64 s[4:5], 0
	s_mov_b64 s[0:1], -1
.LBB315_2134:
	s_andn2_b64 vcc, exec, s[4:5]
	s_mov_b64 s[4:5], 0
	s_cbranch_vccnz .LBB315_2147
; %bb.2135:
	s_cmp_gt_i32 s28, 14
	s_cbranch_scc0 .LBB315_2140
; %bb.2136:
	s_cmp_eq_u32 s28, 15
	s_cbranch_scc0 .LBB315_2143
; %bb.2137:
	global_load_ushort v7, v[0:1], off
	s_movk_i32 s0, 0xff
	s_waitcnt vmcnt(1)
	v_mov_b32_e32 v4, 0xff
	s_waitcnt vmcnt(0)
	v_bfe_u32 v8, v7, 7, 8
	v_cmp_ne_u32_e32 vcc, s0, v8
	s_and_saveexec_b64 s[2:3], vcc
	s_cbranch_execz .LBB315_2139
; %bb.2138:
	v_lshrrev_b32_e32 v4, 7, v7
	v_lshlrev_b32_e32 v9, 16, v7
	v_and_b32_e32 v7, 64, v7
	s_mov_b32 s0, 0x3f0000
	v_cmp_ne_u32_e32 vcc, 0, v7
	v_and_or_b32 v7, v9, s0, v8
	v_cmp_ne_u32_e64 s[0:1], 0, v7
	s_and_b64 s[0:1], vcc, s[0:1]
	v_cndmask_b32_e64 v7, 0, 1, s[0:1]
	v_add_u32_e32 v4, v4, v7
.LBB315_2139:
	s_or_b64 exec, exec, s[2:3]
	s_mov_b64 s[2:3], 0
	s_mov_b64 s[0:1], -1
	s_branch .LBB315_2144
.LBB315_2140:
	s_mov_b64 s[6:7], -1
                                        ; implicit-def: $vgpr4
	s_branch .LBB315_2145
.LBB315_2141:
	s_or_saveexec_b64 s[4:5], s[4:5]
	v_mov_b32_e32 v7, 0x7f800001
	s_xor_b64 exec, exec, s[4:5]
	s_cbranch_execz .LBB315_2114
.LBB315_2142:
	v_cmp_ne_u16_e32 vcc, 0, v4
	s_andn2_b64 s[0:1], s[0:1], exec
	s_and_b64 s[6:7], vcc, exec
	v_and_b32_e32 v7, 0xffff, v4
	s_or_b64 s[0:1], s[0:1], s[6:7]
	s_or_b64 exec, exec, s[4:5]
	s_and_saveexec_b64 s[4:5], s[0:1]
	s_cbranch_execnz .LBB315_2115
	s_branch .LBB315_2116
.LBB315_2143:
	s_mov_b64 s[2:3], -1
                                        ; implicit-def: $vgpr4
.LBB315_2144:
	s_mov_b64 s[6:7], 0
.LBB315_2145:
	s_and_b64 vcc, exec, s[6:7]
	s_cbranch_vccz .LBB315_2147
; %bb.2146:
	s_cmp_lg_u32 s28, 11
	s_mov_b64 s[4:5], -1
	s_cselect_b64 s[2:3], -1, 0
.LBB315_2147:
	s_and_b64 vcc, exec, s[2:3]
	s_cbranch_vccnz .LBB315_2236
; %bb.2148:
	s_andn2_b64 vcc, exec, s[4:5]
	s_cbranch_vccnz .LBB315_2152
.LBB315_2149:
	global_load_ubyte v4, v[0:1], off
	s_movk_i32 s0, 0xff
	s_waitcnt vmcnt(0)
	v_cmp_ne_u16_e32 vcc, 0, v4
	v_cndmask_b32_e64 v8, 0, 1.0, vcc
	v_lshrrev_b32_e32 v7, 23, v8
	v_cmp_ne_u32_e32 vcc, s0, v7
	v_mov_b32_e32 v4, 0xff
	s_and_saveexec_b64 s[2:3], vcc
; %bb.2150:
	v_and_b32_e32 v4, 0x400000, v8
	s_mov_b32 s0, 0x3fffff
	v_cmp_ne_u32_e32 vcc, 0, v4
	v_and_or_b32 v4, v8, s0, v7
	v_cmp_ne_u32_e64 s[0:1], 0, v4
	s_and_b64 s[0:1], vcc, s[0:1]
	v_cndmask_b32_e64 v4, 0, 1, s[0:1]
	v_add_u32_e32 v4, v7, v4
; %bb.2151:
	s_or_b64 exec, exec, s[2:3]
	s_mov_b64 s[0:1], -1
.LBB315_2152:
	s_branch .LBB315_2061
.LBB315_2153:
	s_and_b32 s4, 0xffff, s27
	s_cmp_lt_i32 s4, 5
	s_cbranch_scc1 .LBB315_2160
; %bb.2154:
	s_cmp_lt_i32 s4, 8
	s_cbranch_scc1 .LBB315_2161
; %bb.2155:
	;; [unrolled: 3-line block ×3, first 2 shown]
	s_cmp_gt_i32 s4, 9
	s_cbranch_scc0 .LBB315_2163
; %bb.2157:
	global_load_dwordx2 v[7:8], v[0:1], off
	s_movk_i32 s0, 0xff
	s_waitcnt vmcnt(1)
	v_mov_b32_e32 v4, 0xff
	s_waitcnt vmcnt(0)
	v_cvt_f32_f64_e32 v7, v[7:8]
	v_bfe_u32 v8, v7, 23, 8
	v_cmp_ne_u32_e32 vcc, s0, v8
	s_and_saveexec_b64 s[2:3], vcc
; %bb.2158:
	s_mov_b32 s0, 0x3fffff
	v_lshrrev_b32_e32 v4, 23, v7
	v_and_b32_e32 v9, 0x400000, v7
	v_and_or_b32 v7, v7, s0, v8
	v_cmp_ne_u32_e32 vcc, 0, v9
	v_cmp_ne_u32_e64 s[0:1], 0, v7
	s_and_b64 s[0:1], vcc, s[0:1]
	v_cndmask_b32_e64 v7, 0, 1, s[0:1]
	v_add_u32_e32 v4, v4, v7
; %bb.2159:
	s_or_b64 exec, exec, s[2:3]
	s_mov_b64 s[0:1], 0
	s_branch .LBB315_2164
.LBB315_2160:
                                        ; implicit-def: $vgpr4
	s_branch .LBB315_2192
.LBB315_2161:
	s_mov_b64 s[0:1], -1
                                        ; implicit-def: $vgpr4
	s_branch .LBB315_2174
.LBB315_2162:
	s_mov_b64 s[0:1], -1
                                        ; implicit-def: $vgpr4
	s_branch .LBB315_2169
.LBB315_2163:
	s_mov_b64 s[0:1], -1
                                        ; implicit-def: $vgpr4
.LBB315_2164:
	s_andn2_b64 vcc, exec, s[0:1]
	s_cbranch_vccnz .LBB315_2168
; %bb.2165:
	global_load_dword v7, v[0:1], off
	s_movk_i32 s0, 0xff
	s_waitcnt vmcnt(1)
	v_mov_b32_e32 v4, 0xff
	s_waitcnt vmcnt(0)
	v_bfe_u32 v8, v7, 23, 8
	v_cmp_ne_u32_e32 vcc, s0, v8
	s_and_saveexec_b64 s[2:3], vcc
; %bb.2166:
	s_mov_b32 s0, 0x3fffff
	v_lshrrev_b32_e32 v4, 23, v7
	v_and_b32_e32 v9, 0x400000, v7
	v_and_or_b32 v7, v7, s0, v8
	v_cmp_ne_u32_e32 vcc, 0, v9
	v_cmp_ne_u32_e64 s[0:1], 0, v7
	s_and_b64 s[0:1], vcc, s[0:1]
	v_cndmask_b32_e64 v7, 0, 1, s[0:1]
	v_add_u32_e32 v4, v4, v7
; %bb.2167:
	s_or_b64 exec, exec, s[2:3]
.LBB315_2168:
	s_mov_b64 s[0:1], 0
.LBB315_2169:
	s_andn2_b64 vcc, exec, s[0:1]
	s_cbranch_vccnz .LBB315_2173
; %bb.2170:
	global_load_dword v4, v[0:1], off
	s_movk_i32 s0, 0xff
	s_waitcnt vmcnt(0)
	v_cvt_f32_f16_e32 v7, v4
	v_mov_b32_e32 v4, 0xff
	v_bfe_u32 v8, v7, 23, 8
	v_cmp_ne_u32_e32 vcc, s0, v8
	s_and_saveexec_b64 s[2:3], vcc
; %bb.2171:
	s_mov_b32 s0, 0x3fffff
	v_lshrrev_b32_e32 v4, 23, v7
	v_and_b32_e32 v9, 0x400000, v7
	v_and_or_b32 v7, v7, s0, v8
	v_cmp_ne_u32_e32 vcc, 0, v9
	v_cmp_ne_u32_e64 s[0:1], 0, v7
	s_and_b64 s[0:1], vcc, s[0:1]
	v_cndmask_b32_e64 v7, 0, 1, s[0:1]
	v_add_u32_e32 v4, v4, v7
; %bb.2172:
	s_or_b64 exec, exec, s[2:3]
.LBB315_2173:
	s_mov_b64 s[0:1], 0
.LBB315_2174:
	s_andn2_b64 vcc, exec, s[0:1]
	s_cbranch_vccnz .LBB315_2191
; %bb.2175:
	s_cmp_lt_i32 s4, 6
	s_cbranch_scc1 .LBB315_2180
; %bb.2176:
	s_cmp_gt_i32 s4, 6
	s_cbranch_scc0 .LBB315_2181
; %bb.2177:
	global_load_dwordx2 v[7:8], v[0:1], off
	s_movk_i32 s0, 0xff
	s_waitcnt vmcnt(1)
	v_mov_b32_e32 v4, 0xff
	s_waitcnt vmcnt(0)
	v_cvt_f32_f64_e32 v7, v[7:8]
	v_bfe_u32 v8, v7, 23, 8
	v_cmp_ne_u32_e32 vcc, s0, v8
	s_and_saveexec_b64 s[2:3], vcc
; %bb.2178:
	s_mov_b32 s0, 0x3fffff
	v_lshrrev_b32_e32 v4, 23, v7
	v_and_b32_e32 v9, 0x400000, v7
	v_and_or_b32 v7, v7, s0, v8
	v_cmp_ne_u32_e32 vcc, 0, v9
	v_cmp_ne_u32_e64 s[0:1], 0, v7
	s_and_b64 s[0:1], vcc, s[0:1]
	v_cndmask_b32_e64 v7, 0, 1, s[0:1]
	v_add_u32_e32 v4, v4, v7
; %bb.2179:
	s_or_b64 exec, exec, s[2:3]
	s_mov_b64 s[0:1], 0
	s_branch .LBB315_2182
.LBB315_2180:
	s_mov_b64 s[0:1], -1
                                        ; implicit-def: $vgpr4
	s_branch .LBB315_2187
.LBB315_2181:
	s_mov_b64 s[0:1], -1
                                        ; implicit-def: $vgpr4
.LBB315_2182:
	s_andn2_b64 vcc, exec, s[0:1]
	s_cbranch_vccnz .LBB315_2186
; %bb.2183:
	global_load_dword v7, v[0:1], off
	s_movk_i32 s0, 0xff
	s_waitcnt vmcnt(1)
	v_mov_b32_e32 v4, 0xff
	s_waitcnt vmcnt(0)
	v_bfe_u32 v8, v7, 23, 8
	v_cmp_ne_u32_e32 vcc, s0, v8
	s_and_saveexec_b64 s[2:3], vcc
; %bb.2184:
	s_mov_b32 s0, 0x3fffff
	v_lshrrev_b32_e32 v4, 23, v7
	v_and_b32_e32 v9, 0x400000, v7
	v_and_or_b32 v7, v7, s0, v8
	v_cmp_ne_u32_e32 vcc, 0, v9
	v_cmp_ne_u32_e64 s[0:1], 0, v7
	s_and_b64 s[0:1], vcc, s[0:1]
	v_cndmask_b32_e64 v7, 0, 1, s[0:1]
	v_add_u32_e32 v4, v4, v7
; %bb.2185:
	s_or_b64 exec, exec, s[2:3]
.LBB315_2186:
	s_mov_b64 s[0:1], 0
.LBB315_2187:
	s_andn2_b64 vcc, exec, s[0:1]
	s_cbranch_vccnz .LBB315_2191
; %bb.2188:
	global_load_ushort v4, v[0:1], off
	s_movk_i32 s0, 0xff
	s_waitcnt vmcnt(0)
	v_cvt_f32_f16_e32 v7, v4
	v_mov_b32_e32 v4, 0xff
	v_bfe_u32 v8, v7, 23, 8
	v_cmp_ne_u32_e32 vcc, s0, v8
	s_and_saveexec_b64 s[2:3], vcc
; %bb.2189:
	s_mov_b32 s0, 0x3fffff
	v_lshrrev_b32_e32 v4, 23, v7
	v_and_b32_e32 v9, 0x400000, v7
	v_and_or_b32 v7, v7, s0, v8
	v_cmp_ne_u32_e32 vcc, 0, v9
	v_cmp_ne_u32_e64 s[0:1], 0, v7
	s_and_b64 s[0:1], vcc, s[0:1]
	v_cndmask_b32_e64 v7, 0, 1, s[0:1]
	v_add_u32_e32 v4, v4, v7
; %bb.2190:
	s_or_b64 exec, exec, s[2:3]
.LBB315_2191:
	s_cbranch_execnz .LBB315_2221
.LBB315_2192:
	s_cmp_lt_i32 s4, 2
	s_cbranch_scc1 .LBB315_2198
; %bb.2193:
	s_cmp_lt_i32 s4, 3
	s_cbranch_scc1 .LBB315_2199
; %bb.2194:
	s_cmp_gt_i32 s4, 3
	s_cbranch_scc0 .LBB315_2200
; %bb.2195:
	global_load_dwordx2 v[7:8], v[0:1], off
	s_movk_i32 s0, 0xff
	s_waitcnt vmcnt(0)
	v_xor_b32_e32 v9, v7, v8
	v_ffbh_i32_e32 v4, v8
	v_ashrrev_i32_e32 v9, 31, v9
	v_add_u32_e32 v4, -1, v4
	v_add_u32_e32 v9, 32, v9
	v_min_u32_e32 v4, v4, v9
	v_lshlrev_b64 v[7:8], v4, v[7:8]
	v_sub_u32_e32 v4, 32, v4
	v_min_u32_e32 v7, 1, v7
	v_or_b32_e32 v7, v8, v7
	v_cvt_f32_i32_e32 v7, v7
	v_ldexp_f32 v7, v7, v4
	v_bfe_u32 v8, v7, 23, 8
	v_cmp_ne_u32_e32 vcc, s0, v8
	v_mov_b32_e32 v4, 0xff
	s_and_saveexec_b64 s[2:3], vcc
; %bb.2196:
	s_mov_b32 s0, 0x3fffff
	v_lshrrev_b32_e32 v4, 23, v7
	v_and_b32_e32 v9, 0x400000, v7
	v_and_or_b32 v7, v7, s0, v8
	v_cmp_ne_u32_e32 vcc, 0, v9
	v_cmp_ne_u32_e64 s[0:1], 0, v7
	s_and_b64 s[0:1], vcc, s[0:1]
	v_cndmask_b32_e64 v7, 0, 1, s[0:1]
	v_add_u32_e32 v4, v4, v7
; %bb.2197:
	s_or_b64 exec, exec, s[2:3]
	s_mov_b64 s[0:1], 0
	s_branch .LBB315_2201
.LBB315_2198:
	s_mov_b64 s[0:1], -1
                                        ; implicit-def: $vgpr4
	s_branch .LBB315_2211
.LBB315_2199:
	s_mov_b64 s[0:1], -1
                                        ; implicit-def: $vgpr4
	s_branch .LBB315_2206
.LBB315_2200:
	s_mov_b64 s[0:1], -1
                                        ; implicit-def: $vgpr4
.LBB315_2201:
	s_andn2_b64 vcc, exec, s[0:1]
	s_cbranch_vccnz .LBB315_2205
; %bb.2202:
	global_load_dword v4, v[0:1], off
	s_movk_i32 s0, 0xff
	s_waitcnt vmcnt(0)
	v_cvt_f32_i32_e32 v7, v4
	v_mov_b32_e32 v4, 0xff
	v_bfe_u32 v8, v7, 23, 8
	v_cmp_ne_u32_e32 vcc, s0, v8
	s_and_saveexec_b64 s[2:3], vcc
; %bb.2203:
	s_mov_b32 s0, 0x3fffff
	v_lshrrev_b32_e32 v4, 23, v7
	v_and_b32_e32 v9, 0x400000, v7
	v_and_or_b32 v7, v7, s0, v8
	v_cmp_ne_u32_e32 vcc, 0, v9
	v_cmp_ne_u32_e64 s[0:1], 0, v7
	s_and_b64 s[0:1], vcc, s[0:1]
	v_cndmask_b32_e64 v7, 0, 1, s[0:1]
	v_add_u32_e32 v4, v4, v7
; %bb.2204:
	s_or_b64 exec, exec, s[2:3]
.LBB315_2205:
	s_mov_b64 s[0:1], 0
.LBB315_2206:
	s_andn2_b64 vcc, exec, s[0:1]
	s_cbranch_vccnz .LBB315_2210
; %bb.2207:
	global_load_sshort v4, v[0:1], off
	s_movk_i32 s0, 0xff
	s_waitcnt vmcnt(0)
	v_cvt_f32_i32_e32 v7, v4
	v_mov_b32_e32 v4, 0xff
	v_bfe_u32 v8, v7, 23, 8
	v_cmp_ne_u32_e32 vcc, s0, v8
	s_and_saveexec_b64 s[2:3], vcc
; %bb.2208:
	s_mov_b32 s0, 0x3fffff
	v_lshrrev_b32_e32 v4, 23, v7
	v_and_b32_e32 v9, 0x400000, v7
	v_and_or_b32 v7, v7, s0, v8
	v_cmp_ne_u32_e32 vcc, 0, v9
	v_cmp_ne_u32_e64 s[0:1], 0, v7
	s_and_b64 s[0:1], vcc, s[0:1]
	v_cndmask_b32_e64 v7, 0, 1, s[0:1]
	v_add_u32_e32 v4, v4, v7
; %bb.2209:
	s_or_b64 exec, exec, s[2:3]
.LBB315_2210:
	s_mov_b64 s[0:1], 0
.LBB315_2211:
	s_andn2_b64 vcc, exec, s[0:1]
	s_cbranch_vccnz .LBB315_2221
; %bb.2212:
	s_cmp_gt_i32 s4, 0
	s_cbranch_scc0 .LBB315_2216
; %bb.2213:
	global_load_sbyte v4, v[0:1], off
	s_movk_i32 s0, 0xff
	s_waitcnt vmcnt(0)
	v_cvt_f32_i32_e32 v7, v4
	v_mov_b32_e32 v4, 0xff
	v_bfe_u32 v8, v7, 23, 8
	v_cmp_ne_u32_e32 vcc, s0, v8
	s_and_saveexec_b64 s[2:3], vcc
; %bb.2214:
	s_mov_b32 s0, 0x3fffff
	v_lshrrev_b32_e32 v4, 23, v7
	v_and_b32_e32 v9, 0x400000, v7
	v_and_or_b32 v7, v7, s0, v8
	v_cmp_ne_u32_e32 vcc, 0, v9
	v_cmp_ne_u32_e64 s[0:1], 0, v7
	s_and_b64 s[0:1], vcc, s[0:1]
	v_cndmask_b32_e64 v7, 0, 1, s[0:1]
	v_add_u32_e32 v4, v4, v7
; %bb.2215:
	s_or_b64 exec, exec, s[2:3]
	s_mov_b64 s[0:1], 0
	s_branch .LBB315_2217
.LBB315_2216:
	s_mov_b64 s[0:1], -1
                                        ; implicit-def: $vgpr4
.LBB315_2217:
	s_andn2_b64 vcc, exec, s[0:1]
	s_cbranch_vccnz .LBB315_2221
; %bb.2218:
	global_load_ubyte v0, v[0:1], off
	s_movk_i32 s0, 0xff
	s_waitcnt vmcnt(1)
	v_mov_b32_e32 v4, 0xff
	s_waitcnt vmcnt(0)
	v_cvt_f32_ubyte0_e32 v1, v0
	v_lshrrev_b32_e32 v0, 23, v1
	v_cmp_ne_u32_e32 vcc, s0, v0
	s_and_saveexec_b64 s[2:3], vcc
; %bb.2219:
	s_mov_b32 s0, 0x3fffff
	v_and_b32_e32 v4, 0x400000, v1
	v_and_or_b32 v1, v1, s0, v0
	v_cmp_ne_u32_e32 vcc, 0, v4
	v_cmp_ne_u32_e64 s[0:1], 0, v1
	s_and_b64 s[0:1], vcc, s[0:1]
	v_cndmask_b32_e64 v1, 0, 1, s[0:1]
	v_add_u32_e32 v4, v0, v1
; %bb.2220:
	s_or_b64 exec, exec, s[2:3]
.LBB315_2221:
.LBB315_2222:
	s_lshl_b32 s13, s13, 7
	v_add_u32_e32 v7, s13, v5
	v_ashrrev_i32_e32 v1, 31, v7
	v_mov_b32_e32 v5, s11
	v_add_co_u32_e32 v0, vcc, s10, v7
	s_cmp_lt_i32 s26, 11
	v_addc_co_u32_e32 v1, vcc, v5, v1, vcc
	s_cbranch_scc1 .LBB315_2231
; %bb.2223:
	s_and_b32 s28, 0xffff, s26
	s_cmp_gt_i32 s28, 25
	s_mov_b64 s[4:5], 0
	s_cbranch_scc0 .LBB315_2233
; %bb.2224:
	s_cmp_gt_i32 s28, 28
	s_cbranch_scc0 .LBB315_2234
; %bb.2225:
	s_cmp_gt_i32 s28, 43
	;; [unrolled: 3-line block ×3, first 2 shown]
	s_cbranch_scc0 .LBB315_2237
; %bb.2227:
	s_cmp_eq_u32 s28, 46
	s_mov_b64 s[6:7], 0
	s_cbranch_scc0 .LBB315_2238
; %bb.2228:
	global_load_dword v8, v[0:1], off
	s_movk_i32 s0, 0xff
	v_mov_b32_e32 v5, 0xff
	s_waitcnt vmcnt(0)
	v_lshlrev_b32_e32 v9, 16, v8
	v_bfe_u32 v10, v9, 23, 8
	v_cmp_ne_u32_e32 vcc, s0, v10
	s_and_saveexec_b64 s[2:3], vcc
; %bb.2229:
	v_bfe_u32 v5, v8, 7, 9
	v_and_b32_e32 v8, 64, v8
	s_mov_b32 s0, 0x3f0000
	v_cmp_ne_u32_e32 vcc, 0, v8
	v_and_or_b32 v8, v9, s0, v10
	v_cmp_ne_u32_e64 s[0:1], 0, v8
	s_and_b64 s[0:1], vcc, s[0:1]
	v_cndmask_b32_e64 v8, 0, 1, s[0:1]
	v_add_u32_e32 v5, v5, v8
; %bb.2230:
	s_or_b64 exec, exec, s[2:3]
	s_mov_b64 s[2:3], 0
	s_mov_b64 s[0:1], -1
	s_branch .LBB315_2239
.LBB315_2231:
	s_mov_b64 s[0:1], 0
                                        ; implicit-def: $vgpr5
	s_cbranch_execnz .LBB315_2323
.LBB315_2232:
	s_andn2_b64 vcc, exec, s[0:1]
	s_cbranch_vccnz .LBB315_3688
	s_branch .LBB315_2393
.LBB315_2233:
	s_mov_b64 s[6:7], -1
	s_mov_b64 s[0:1], 0
	s_mov_b64 s[2:3], 0
                                        ; implicit-def: $vgpr5
	s_branch .LBB315_2276
.LBB315_2234:
	s_mov_b64 s[6:7], -1
	s_mov_b64 s[0:1], 0
	s_mov_b64 s[2:3], 0
                                        ; implicit-def: $vgpr5
	s_branch .LBB315_2251
.LBB315_2235:
	s_mov_b64 s[6:7], -1
	s_mov_b64 s[0:1], 0
	s_mov_b64 s[2:3], 0
                                        ; implicit-def: $vgpr5
	s_branch .LBB315_2244
.LBB315_2236:
	s_trap 2
	s_or_b64 s[22:23], s[22:23], exec
	s_cbranch_execz .LBB315_2149
	s_branch .LBB315_2152
.LBB315_2237:
	s_mov_b64 s[6:7], -1
	s_mov_b64 s[0:1], 0
	s_mov_b64 s[2:3], 0
                                        ; implicit-def: $vgpr5
	s_branch .LBB315_2239
.LBB315_2238:
	s_mov_b64 s[2:3], -1
                                        ; implicit-def: $vgpr5
	s_mov_b64 s[0:1], 0
.LBB315_2239:
	s_and_b64 vcc, exec, s[6:7]
	s_cbranch_vccz .LBB315_2243
; %bb.2240:
	s_cmp_eq_u32 s28, 44
	s_cbranch_scc0 .LBB315_2242
; %bb.2241:
	global_load_ubyte v5, v[0:1], off
	s_mov_b64 s[2:3], 0
	s_mov_b64 s[0:1], -1
	s_branch .LBB315_2243
.LBB315_2242:
	s_mov_b64 s[2:3], -1
                                        ; implicit-def: $vgpr5
.LBB315_2243:
	s_mov_b64 s[6:7], 0
.LBB315_2244:
	s_and_b64 vcc, exec, s[6:7]
	s_cbranch_vccz .LBB315_2250
; %bb.2245:
	s_cmp_eq_u32 s28, 29
	s_cbranch_scc0 .LBB315_2249
; %bb.2246:
	global_load_dwordx2 v[8:9], v[0:1], off
	s_movk_i32 s0, 0xff
	s_waitcnt vmcnt(0)
	v_ffbh_u32_e32 v5, v9
	v_min_u32_e32 v5, 32, v5
	v_lshlrev_b64 v[8:9], v5, v[8:9]
	v_sub_u32_e32 v5, 32, v5
	v_min_u32_e32 v8, 1, v8
	v_or_b32_e32 v8, v9, v8
	v_cvt_f32_u32_e32 v8, v8
	v_ldexp_f32 v9, v8, v5
	v_lshrrev_b32_e32 v8, 23, v9
	v_cmp_ne_u32_e32 vcc, s0, v8
	v_mov_b32_e32 v5, 0xff
	s_and_saveexec_b64 s[2:3], vcc
; %bb.2247:
	v_and_b32_e32 v5, 0x400000, v9
	s_mov_b32 s0, 0x3fffff
	v_cmp_ne_u32_e32 vcc, 0, v5
	v_and_or_b32 v5, v9, s0, v8
	v_cmp_ne_u32_e64 s[0:1], 0, v5
	s_and_b64 s[0:1], vcc, s[0:1]
	v_cndmask_b32_e64 v5, 0, 1, s[0:1]
	v_add_u32_e32 v5, v8, v5
; %bb.2248:
	s_or_b64 exec, exec, s[2:3]
	s_mov_b64 s[2:3], 0
	s_mov_b64 s[0:1], -1
	s_branch .LBB315_2250
.LBB315_2249:
	s_mov_b64 s[2:3], -1
                                        ; implicit-def: $vgpr5
.LBB315_2250:
	s_mov_b64 s[6:7], 0
.LBB315_2251:
	s_and_b64 vcc, exec, s[6:7]
	s_cbranch_vccz .LBB315_2275
; %bb.2252:
	s_cmp_lt_i32 s28, 27
	s_cbranch_scc1 .LBB315_2257
; %bb.2253:
	s_cmp_gt_i32 s28, 27
	s_cbranch_scc0 .LBB315_2258
; %bb.2254:
	global_load_dword v5, v[0:1], off
	s_movk_i32 s0, 0xff
	s_waitcnt vmcnt(0)
	v_cvt_f32_u32_e32 v9, v5
	v_mov_b32_e32 v5, 0xff
	v_lshrrev_b32_e32 v8, 23, v9
	v_cmp_ne_u32_e32 vcc, s0, v8
	s_and_saveexec_b64 s[6:7], vcc
; %bb.2255:
	v_and_b32_e32 v5, 0x400000, v9
	s_mov_b32 s0, 0x3fffff
	v_cmp_ne_u32_e32 vcc, 0, v5
	v_and_or_b32 v5, v9, s0, v8
	v_cmp_ne_u32_e64 s[0:1], 0, v5
	s_and_b64 s[0:1], vcc, s[0:1]
	v_cndmask_b32_e64 v5, 0, 1, s[0:1]
	v_add_u32_e32 v5, v8, v5
; %bb.2256:
	s_or_b64 exec, exec, s[6:7]
	s_mov_b64 s[0:1], 0
	s_branch .LBB315_2259
.LBB315_2257:
	s_mov_b64 s[0:1], -1
                                        ; implicit-def: $vgpr5
	s_branch .LBB315_2264
.LBB315_2258:
	s_mov_b64 s[0:1], -1
                                        ; implicit-def: $vgpr5
.LBB315_2259:
	s_andn2_b64 vcc, exec, s[0:1]
	s_cbranch_vccnz .LBB315_2263
; %bb.2260:
	global_load_ushort v5, v[0:1], off
	s_movk_i32 s0, 0xff
	s_waitcnt vmcnt(0)
	v_cvt_f32_u32_e32 v9, v5
	v_mov_b32_e32 v5, 0xff
	v_lshrrev_b32_e32 v8, 23, v9
	v_cmp_ne_u32_e32 vcc, s0, v8
	s_and_saveexec_b64 s[6:7], vcc
; %bb.2261:
	v_and_b32_e32 v5, 0x400000, v9
	s_mov_b32 s0, 0x3fffff
	v_cmp_ne_u32_e32 vcc, 0, v5
	v_and_or_b32 v5, v9, s0, v8
	v_cmp_ne_u32_e64 s[0:1], 0, v5
	s_and_b64 s[0:1], vcc, s[0:1]
	v_cndmask_b32_e64 v5, 0, 1, s[0:1]
	v_add_u32_e32 v5, v8, v5
; %bb.2262:
	s_or_b64 exec, exec, s[6:7]
.LBB315_2263:
	s_mov_b64 s[0:1], 0
.LBB315_2264:
	s_andn2_b64 vcc, exec, s[0:1]
	s_cbranch_vccnz .LBB315_2274
; %bb.2265:
	global_load_ubyte v5, v[0:1], off
	s_movk_i32 s0, 0x7f
	s_waitcnt vmcnt(0)
	v_cmp_lt_i16_e32 vcc, s0, v5
	s_mov_b64 s[0:1], 0
	s_and_saveexec_b64 s[6:7], vcc
	s_xor_b64 s[6:7], exec, s[6:7]
	s_cbranch_execz .LBB315_2290
; %bb.2266:
	s_movk_i32 s0, 0x80
	v_cmp_eq_u16_e32 vcc, s0, v5
	s_mov_b64 s[0:1], -1
	s_and_saveexec_b64 s[24:25], vcc
; %bb.2267:
	s_xor_b64 s[0:1], exec, -1
; %bb.2268:
	s_or_b64 exec, exec, s[24:25]
	s_and_b64 s[0:1], s[0:1], exec
	s_or_saveexec_b64 s[6:7], s[6:7]
	v_mov_b32_e32 v8, 0x7f800001
	s_xor_b64 exec, exec, s[6:7]
	s_cbranch_execnz .LBB315_2291
.LBB315_2269:
	s_or_b64 exec, exec, s[6:7]
	s_and_saveexec_b64 s[6:7], s[0:1]
	s_cbranch_execz .LBB315_2271
.LBB315_2270:
	v_and_b32_e32 v5, 0xffff, v5
	v_and_b32_e32 v8, 7, v5
	v_ffbh_u32_e32 v10, v8
	v_min_u32_e32 v10, 32, v10
	v_subrev_u32_e32 v11, 28, v10
	v_bfe_u32 v9, v5, 3, 4
	v_lshlrev_b32_e32 v5, v11, v5
	v_and_b32_e32 v5, 7, v5
	v_cmp_eq_u32_e32 vcc, 0, v9
	v_sub_u32_e32 v10, 29, v10
	v_cndmask_b32_e32 v5, v8, v5, vcc
	v_cndmask_b32_e32 v9, v9, v10, vcc
	v_lshlrev_b32_e32 v5, 20, v5
	v_lshl_or_b32 v5, v9, 23, v5
	v_add_u32_e32 v8, 0x3b800000, v5
.LBB315_2271:
	s_or_b64 exec, exec, s[6:7]
	v_lshrrev_b32_e32 v9, 23, v8
	s_movk_i32 s0, 0xff
	v_cmp_ne_u32_e32 vcc, s0, v9
	v_mov_b32_e32 v5, 0xff
	s_and_saveexec_b64 s[6:7], vcc
; %bb.2272:
	v_and_b32_e32 v5, 0x400000, v8
	s_mov_b32 s0, 0x3fffff
	v_cmp_ne_u32_e32 vcc, 0, v5
	v_and_or_b32 v5, v8, s0, v9
	v_cmp_ne_u32_e64 s[0:1], 0, v5
	s_and_b64 s[0:1], vcc, s[0:1]
	v_cndmask_b32_e64 v5, 0, 1, s[0:1]
	v_add_u32_e32 v5, v9, v5
; %bb.2273:
	s_or_b64 exec, exec, s[6:7]
.LBB315_2274:
	s_mov_b64 s[0:1], -1
.LBB315_2275:
	s_mov_b64 s[6:7], 0
.LBB315_2276:
	s_and_b64 vcc, exec, s[6:7]
	s_cbranch_vccz .LBB315_2317
; %bb.2277:
	s_cmp_gt_i32 s28, 22
	s_cbranch_scc0 .LBB315_2289
; %bb.2278:
	s_cmp_lt_i32 s28, 24
	s_cbranch_scc1 .LBB315_2292
; %bb.2279:
	s_cmp_gt_i32 s28, 24
	s_cbranch_scc0 .LBB315_2293
; %bb.2280:
	global_load_ubyte v5, v[0:1], off
	s_movk_i32 s0, 0x7f
	s_waitcnt vmcnt(0)
	v_cmp_lt_i16_e32 vcc, s0, v5
	s_mov_b64 s[0:1], 0
	s_and_saveexec_b64 s[4:5], vcc
	s_xor_b64 s[4:5], exec, s[4:5]
	s_cbranch_execz .LBB315_2311
; %bb.2281:
	s_movk_i32 s0, 0x80
	v_cmp_eq_u16_e32 vcc, s0, v5
	s_mov_b64 s[0:1], -1
	s_and_saveexec_b64 s[6:7], vcc
; %bb.2282:
	s_xor_b64 s[0:1], exec, -1
; %bb.2283:
	s_or_b64 exec, exec, s[6:7]
	s_and_b64 s[0:1], s[0:1], exec
	s_or_saveexec_b64 s[4:5], s[4:5]
	v_mov_b32_e32 v8, 0x7f800001
	s_xor_b64 exec, exec, s[4:5]
	s_cbranch_execnz .LBB315_2312
.LBB315_2284:
	s_or_b64 exec, exec, s[4:5]
	s_and_saveexec_b64 s[4:5], s[0:1]
	s_cbranch_execz .LBB315_2286
.LBB315_2285:
	v_and_b32_e32 v5, 0xffff, v5
	v_and_b32_e32 v8, 3, v5
	v_ffbh_u32_e32 v10, v8
	v_min_u32_e32 v10, 32, v10
	v_subrev_u32_e32 v11, 29, v10
	v_bfe_u32 v9, v5, 2, 5
	v_lshlrev_b32_e32 v5, v11, v5
	v_and_b32_e32 v5, 3, v5
	v_cmp_eq_u32_e32 vcc, 0, v9
	v_sub_u32_e32 v10, 30, v10
	v_cndmask_b32_e32 v5, v8, v5, vcc
	v_cndmask_b32_e32 v9, v9, v10, vcc
	v_lshlrev_b32_e32 v5, 21, v5
	v_lshl_or_b32 v5, v9, 23, v5
	v_add_u32_e32 v8, 0x37800000, v5
.LBB315_2286:
	s_or_b64 exec, exec, s[4:5]
	v_lshrrev_b32_e32 v9, 23, v8
	s_movk_i32 s0, 0xff
	v_cmp_ne_u32_e32 vcc, s0, v9
	v_mov_b32_e32 v5, 0xff
	s_and_saveexec_b64 s[4:5], vcc
; %bb.2287:
	v_and_b32_e32 v5, 0x400000, v8
	s_mov_b32 s0, 0x3fffff
	v_cmp_ne_u32_e32 vcc, 0, v5
	v_and_or_b32 v5, v8, s0, v9
	v_cmp_ne_u32_e64 s[0:1], 0, v5
	s_and_b64 s[0:1], vcc, s[0:1]
	v_cndmask_b32_e64 v5, 0, 1, s[0:1]
	v_add_u32_e32 v5, v9, v5
; %bb.2288:
	s_or_b64 exec, exec, s[4:5]
	s_mov_b64 s[0:1], 0
	s_branch .LBB315_2294
.LBB315_2289:
	s_mov_b64 s[4:5], -1
                                        ; implicit-def: $vgpr5
	s_branch .LBB315_2304
.LBB315_2290:
	s_or_saveexec_b64 s[6:7], s[6:7]
	v_mov_b32_e32 v8, 0x7f800001
	s_xor_b64 exec, exec, s[6:7]
	s_cbranch_execz .LBB315_2269
.LBB315_2291:
	v_cmp_ne_u16_e32 vcc, 0, v5
	s_andn2_b64 s[0:1], s[0:1], exec
	s_and_b64 s[24:25], vcc, exec
	v_and_b32_e32 v8, 0xffff, v5
	s_or_b64 s[0:1], s[0:1], s[24:25]
	s_or_b64 exec, exec, s[6:7]
	s_and_saveexec_b64 s[6:7], s[0:1]
	s_cbranch_execnz .LBB315_2270
	s_branch .LBB315_2271
.LBB315_2292:
	s_mov_b64 s[0:1], -1
                                        ; implicit-def: $vgpr5
	s_branch .LBB315_2299
.LBB315_2293:
	s_mov_b64 s[0:1], -1
                                        ; implicit-def: $vgpr5
.LBB315_2294:
	s_and_b64 vcc, exec, s[0:1]
	s_cbranch_vccz .LBB315_2298
; %bb.2295:
	global_load_ubyte v5, v[0:1], off
	s_mov_b32 s0, 0x7f800000
	s_movk_i32 s1, 0xff
	s_waitcnt vmcnt(0)
	v_lshlrev_b32_e32 v5, 24, v5
	v_and_b32_e32 v5, 0x7f000000, v5
	v_ffbh_u32_e32 v8, v5
	v_min_u32_e32 v8, 32, v8
	v_sub_u32_e64 v8, v8, 4 clamp
	v_lshlrev_b32_e32 v10, v8, v5
	v_lshlrev_b32_e32 v8, 23, v8
	v_lshrrev_b32_e32 v10, 4, v10
	v_add_u32_e32 v9, 0x1000000, v5
	v_sub_u32_e32 v8, v10, v8
	v_ashrrev_i32_e32 v9, 8, v9
	v_add_u32_e32 v8, 0x3c000000, v8
	v_and_or_b32 v8, v9, s0, v8
	v_cmp_ne_u32_e32 vcc, 0, v5
	v_cndmask_b32_e32 v9, 0, v8, vcc
	v_lshrrev_b32_e32 v8, 23, v9
	v_cmp_ne_u32_e32 vcc, s1, v8
	v_mov_b32_e32 v5, 0xff
	s_and_saveexec_b64 s[4:5], vcc
; %bb.2296:
	v_and_b32_e32 v5, 0x400000, v9
	s_mov_b32 s0, 0x3fffff
	v_cmp_ne_u32_e32 vcc, 0, v5
	v_and_or_b32 v5, v9, s0, v8
	v_cmp_ne_u32_e64 s[0:1], 0, v5
	s_and_b64 s[0:1], vcc, s[0:1]
	v_cndmask_b32_e64 v5, 0, 1, s[0:1]
	v_add_u32_e32 v5, v8, v5
; %bb.2297:
	s_or_b64 exec, exec, s[4:5]
.LBB315_2298:
	s_mov_b64 s[0:1], 0
.LBB315_2299:
	s_andn2_b64 vcc, exec, s[0:1]
	s_cbranch_vccnz .LBB315_2303
; %bb.2300:
	global_load_ubyte v5, v[0:1], off
	s_movk_i32 s0, 0x7f00
	s_brev_b32 s1, 16
	s_movk_i32 s4, 0xff
	s_waitcnt vmcnt(0)
	v_lshlrev_b32_e32 v8, 8, v5
	v_lshlrev_b32_e32 v5, 25, v5
	v_lshrrev_b32_e32 v9, 4, v5
	v_and_or_b32 v8, v8, s0, 0.5
	v_or_b32_e32 v9, 0x70000000, v9
	v_add_f32_e32 v8, -0.5, v8
	v_mul_f32_e32 v9, 0x7800000, v9
	v_cmp_gt_u32_e32 vcc, s1, v5
	v_cndmask_b32_e32 v8, v9, v8, vcc
	v_bfe_u32 v9, v8, 23, 8
	v_cmp_ne_u32_e32 vcc, s4, v9
	v_mov_b32_e32 v5, 0xff
	s_and_saveexec_b64 s[4:5], vcc
; %bb.2301:
	s_mov_b32 s0, 0x3fffff
	v_lshrrev_b32_e32 v5, 23, v8
	v_and_b32_e32 v10, 0x400000, v8
	v_and_or_b32 v8, v8, s0, v9
	v_cmp_ne_u32_e32 vcc, 0, v10
	v_cmp_ne_u32_e64 s[0:1], 0, v8
	s_and_b64 s[0:1], vcc, s[0:1]
	v_cndmask_b32_e64 v8, 0, 1, s[0:1]
	v_add_u32_e32 v5, v5, v8
; %bb.2302:
	s_or_b64 exec, exec, s[4:5]
.LBB315_2303:
	s_mov_b64 s[4:5], 0
	s_mov_b64 s[0:1], -1
.LBB315_2304:
	s_andn2_b64 vcc, exec, s[4:5]
	s_mov_b64 s[4:5], 0
	s_cbranch_vccnz .LBB315_2317
; %bb.2305:
	s_cmp_gt_i32 s28, 14
	s_cbranch_scc0 .LBB315_2310
; %bb.2306:
	s_cmp_eq_u32 s28, 15
	s_cbranch_scc0 .LBB315_2313
; %bb.2307:
	global_load_ushort v8, v[0:1], off
	s_movk_i32 s0, 0xff
	s_waitcnt vmcnt(1)
	v_mov_b32_e32 v5, 0xff
	s_waitcnt vmcnt(0)
	v_bfe_u32 v9, v8, 7, 8
	v_cmp_ne_u32_e32 vcc, s0, v9
	s_and_saveexec_b64 s[2:3], vcc
	s_cbranch_execz .LBB315_2309
; %bb.2308:
	v_lshrrev_b32_e32 v5, 7, v8
	v_lshlrev_b32_e32 v10, 16, v8
	v_and_b32_e32 v8, 64, v8
	s_mov_b32 s0, 0x3f0000
	v_cmp_ne_u32_e32 vcc, 0, v8
	v_and_or_b32 v8, v10, s0, v9
	v_cmp_ne_u32_e64 s[0:1], 0, v8
	s_and_b64 s[0:1], vcc, s[0:1]
	v_cndmask_b32_e64 v8, 0, 1, s[0:1]
	v_add_u32_e32 v5, v5, v8
.LBB315_2309:
	s_or_b64 exec, exec, s[2:3]
	s_mov_b64 s[2:3], 0
	s_mov_b64 s[0:1], -1
	s_branch .LBB315_2314
.LBB315_2310:
	s_mov_b64 s[6:7], -1
                                        ; implicit-def: $vgpr5
	s_branch .LBB315_2315
.LBB315_2311:
	s_or_saveexec_b64 s[4:5], s[4:5]
	v_mov_b32_e32 v8, 0x7f800001
	s_xor_b64 exec, exec, s[4:5]
	s_cbranch_execz .LBB315_2284
.LBB315_2312:
	v_cmp_ne_u16_e32 vcc, 0, v5
	s_andn2_b64 s[0:1], s[0:1], exec
	s_and_b64 s[6:7], vcc, exec
	v_and_b32_e32 v8, 0xffff, v5
	s_or_b64 s[0:1], s[0:1], s[6:7]
	s_or_b64 exec, exec, s[4:5]
	s_and_saveexec_b64 s[4:5], s[0:1]
	s_cbranch_execnz .LBB315_2285
	s_branch .LBB315_2286
.LBB315_2313:
	s_mov_b64 s[2:3], -1
                                        ; implicit-def: $vgpr5
.LBB315_2314:
	s_mov_b64 s[6:7], 0
.LBB315_2315:
	s_and_b64 vcc, exec, s[6:7]
	s_cbranch_vccz .LBB315_2317
; %bb.2316:
	s_cmp_lg_u32 s28, 11
	s_mov_b64 s[4:5], -1
	s_cselect_b64 s[2:3], -1, 0
.LBB315_2317:
	s_and_b64 vcc, exec, s[2:3]
	s_cbranch_vccnz .LBB315_2406
; %bb.2318:
	s_andn2_b64 vcc, exec, s[4:5]
	s_cbranch_vccnz .LBB315_2322
.LBB315_2319:
	global_load_ubyte v5, v[0:1], off
	s_movk_i32 s0, 0xff
	s_waitcnt vmcnt(0)
	v_cmp_ne_u16_e32 vcc, 0, v5
	v_cndmask_b32_e64 v9, 0, 1.0, vcc
	v_lshrrev_b32_e32 v8, 23, v9
	v_cmp_ne_u32_e32 vcc, s0, v8
	v_mov_b32_e32 v5, 0xff
	s_and_saveexec_b64 s[2:3], vcc
; %bb.2320:
	v_and_b32_e32 v5, 0x400000, v9
	s_mov_b32 s0, 0x3fffff
	v_cmp_ne_u32_e32 vcc, 0, v5
	v_and_or_b32 v5, v9, s0, v8
	v_cmp_ne_u32_e64 s[0:1], 0, v5
	s_and_b64 s[0:1], vcc, s[0:1]
	v_cndmask_b32_e64 v5, 0, 1, s[0:1]
	v_add_u32_e32 v5, v8, v5
; %bb.2321:
	s_or_b64 exec, exec, s[2:3]
	s_mov_b64 s[0:1], -1
.LBB315_2322:
	s_branch .LBB315_2232
.LBB315_2323:
	s_and_b32 s4, 0xffff, s26
	s_cmp_lt_i32 s4, 5
	s_cbranch_scc1 .LBB315_2330
; %bb.2324:
	s_cmp_lt_i32 s4, 8
	s_cbranch_scc1 .LBB315_2331
; %bb.2325:
	;; [unrolled: 3-line block ×3, first 2 shown]
	s_cmp_gt_i32 s4, 9
	s_cbranch_scc0 .LBB315_2333
; %bb.2327:
	global_load_dwordx2 v[8:9], v[0:1], off
	s_movk_i32 s0, 0xff
	s_waitcnt vmcnt(1)
	v_mov_b32_e32 v5, 0xff
	s_waitcnt vmcnt(0)
	v_cvt_f32_f64_e32 v8, v[8:9]
	v_bfe_u32 v9, v8, 23, 8
	v_cmp_ne_u32_e32 vcc, s0, v9
	s_and_saveexec_b64 s[2:3], vcc
; %bb.2328:
	s_mov_b32 s0, 0x3fffff
	v_lshrrev_b32_e32 v5, 23, v8
	v_and_b32_e32 v10, 0x400000, v8
	v_and_or_b32 v8, v8, s0, v9
	v_cmp_ne_u32_e32 vcc, 0, v10
	v_cmp_ne_u32_e64 s[0:1], 0, v8
	s_and_b64 s[0:1], vcc, s[0:1]
	v_cndmask_b32_e64 v8, 0, 1, s[0:1]
	v_add_u32_e32 v5, v5, v8
; %bb.2329:
	s_or_b64 exec, exec, s[2:3]
	s_mov_b64 s[0:1], 0
	s_branch .LBB315_2334
.LBB315_2330:
	s_mov_b64 s[0:1], -1
                                        ; implicit-def: $vgpr5
	s_branch .LBB315_2362
.LBB315_2331:
	s_mov_b64 s[0:1], -1
                                        ; implicit-def: $vgpr5
	s_branch .LBB315_2344
.LBB315_2332:
	s_mov_b64 s[0:1], -1
                                        ; implicit-def: $vgpr5
	s_branch .LBB315_2339
.LBB315_2333:
	s_mov_b64 s[0:1], -1
                                        ; implicit-def: $vgpr5
.LBB315_2334:
	s_andn2_b64 vcc, exec, s[0:1]
	s_cbranch_vccnz .LBB315_2338
; %bb.2335:
	global_load_dword v8, v[0:1], off
	s_movk_i32 s0, 0xff
	s_waitcnt vmcnt(1)
	v_mov_b32_e32 v5, 0xff
	s_waitcnt vmcnt(0)
	v_bfe_u32 v9, v8, 23, 8
	v_cmp_ne_u32_e32 vcc, s0, v9
	s_and_saveexec_b64 s[2:3], vcc
; %bb.2336:
	s_mov_b32 s0, 0x3fffff
	v_lshrrev_b32_e32 v5, 23, v8
	v_and_b32_e32 v10, 0x400000, v8
	v_and_or_b32 v8, v8, s0, v9
	v_cmp_ne_u32_e32 vcc, 0, v10
	v_cmp_ne_u32_e64 s[0:1], 0, v8
	s_and_b64 s[0:1], vcc, s[0:1]
	v_cndmask_b32_e64 v8, 0, 1, s[0:1]
	v_add_u32_e32 v5, v5, v8
; %bb.2337:
	s_or_b64 exec, exec, s[2:3]
.LBB315_2338:
	s_mov_b64 s[0:1], 0
.LBB315_2339:
	s_andn2_b64 vcc, exec, s[0:1]
	s_cbranch_vccnz .LBB315_2343
; %bb.2340:
	global_load_dword v5, v[0:1], off
	s_movk_i32 s0, 0xff
	s_waitcnt vmcnt(0)
	v_cvt_f32_f16_e32 v8, v5
	v_mov_b32_e32 v5, 0xff
	v_bfe_u32 v9, v8, 23, 8
	v_cmp_ne_u32_e32 vcc, s0, v9
	s_and_saveexec_b64 s[2:3], vcc
; %bb.2341:
	s_mov_b32 s0, 0x3fffff
	v_lshrrev_b32_e32 v5, 23, v8
	v_and_b32_e32 v10, 0x400000, v8
	v_and_or_b32 v8, v8, s0, v9
	v_cmp_ne_u32_e32 vcc, 0, v10
	v_cmp_ne_u32_e64 s[0:1], 0, v8
	s_and_b64 s[0:1], vcc, s[0:1]
	v_cndmask_b32_e64 v8, 0, 1, s[0:1]
	v_add_u32_e32 v5, v5, v8
; %bb.2342:
	s_or_b64 exec, exec, s[2:3]
.LBB315_2343:
	s_mov_b64 s[0:1], 0
.LBB315_2344:
	s_andn2_b64 vcc, exec, s[0:1]
	s_cbranch_vccnz .LBB315_2361
; %bb.2345:
	s_cmp_lt_i32 s4, 6
	s_cbranch_scc1 .LBB315_2350
; %bb.2346:
	s_cmp_gt_i32 s4, 6
	s_cbranch_scc0 .LBB315_2351
; %bb.2347:
	global_load_dwordx2 v[8:9], v[0:1], off
	s_movk_i32 s0, 0xff
	s_waitcnt vmcnt(1)
	v_mov_b32_e32 v5, 0xff
	s_waitcnt vmcnt(0)
	v_cvt_f32_f64_e32 v8, v[8:9]
	v_bfe_u32 v9, v8, 23, 8
	v_cmp_ne_u32_e32 vcc, s0, v9
	s_and_saveexec_b64 s[2:3], vcc
; %bb.2348:
	s_mov_b32 s0, 0x3fffff
	v_lshrrev_b32_e32 v5, 23, v8
	v_and_b32_e32 v10, 0x400000, v8
	v_and_or_b32 v8, v8, s0, v9
	v_cmp_ne_u32_e32 vcc, 0, v10
	v_cmp_ne_u32_e64 s[0:1], 0, v8
	s_and_b64 s[0:1], vcc, s[0:1]
	v_cndmask_b32_e64 v8, 0, 1, s[0:1]
	v_add_u32_e32 v5, v5, v8
; %bb.2349:
	s_or_b64 exec, exec, s[2:3]
	s_mov_b64 s[0:1], 0
	s_branch .LBB315_2352
.LBB315_2350:
	s_mov_b64 s[0:1], -1
                                        ; implicit-def: $vgpr5
	s_branch .LBB315_2357
.LBB315_2351:
	s_mov_b64 s[0:1], -1
                                        ; implicit-def: $vgpr5
.LBB315_2352:
	s_andn2_b64 vcc, exec, s[0:1]
	s_cbranch_vccnz .LBB315_2356
; %bb.2353:
	global_load_dword v8, v[0:1], off
	s_movk_i32 s0, 0xff
	s_waitcnt vmcnt(1)
	v_mov_b32_e32 v5, 0xff
	s_waitcnt vmcnt(0)
	v_bfe_u32 v9, v8, 23, 8
	v_cmp_ne_u32_e32 vcc, s0, v9
	s_and_saveexec_b64 s[2:3], vcc
; %bb.2354:
	s_mov_b32 s0, 0x3fffff
	v_lshrrev_b32_e32 v5, 23, v8
	v_and_b32_e32 v10, 0x400000, v8
	v_and_or_b32 v8, v8, s0, v9
	v_cmp_ne_u32_e32 vcc, 0, v10
	v_cmp_ne_u32_e64 s[0:1], 0, v8
	s_and_b64 s[0:1], vcc, s[0:1]
	v_cndmask_b32_e64 v8, 0, 1, s[0:1]
	v_add_u32_e32 v5, v5, v8
; %bb.2355:
	s_or_b64 exec, exec, s[2:3]
.LBB315_2356:
	s_mov_b64 s[0:1], 0
.LBB315_2357:
	s_andn2_b64 vcc, exec, s[0:1]
	s_cbranch_vccnz .LBB315_2361
; %bb.2358:
	global_load_ushort v5, v[0:1], off
	s_movk_i32 s0, 0xff
	s_waitcnt vmcnt(0)
	v_cvt_f32_f16_e32 v8, v5
	v_mov_b32_e32 v5, 0xff
	v_bfe_u32 v9, v8, 23, 8
	v_cmp_ne_u32_e32 vcc, s0, v9
	s_and_saveexec_b64 s[2:3], vcc
; %bb.2359:
	s_mov_b32 s0, 0x3fffff
	v_lshrrev_b32_e32 v5, 23, v8
	v_and_b32_e32 v10, 0x400000, v8
	v_and_or_b32 v8, v8, s0, v9
	v_cmp_ne_u32_e32 vcc, 0, v10
	v_cmp_ne_u32_e64 s[0:1], 0, v8
	s_and_b64 s[0:1], vcc, s[0:1]
	v_cndmask_b32_e64 v8, 0, 1, s[0:1]
	v_add_u32_e32 v5, v5, v8
; %bb.2360:
	s_or_b64 exec, exec, s[2:3]
.LBB315_2361:
	s_mov_b64 s[0:1], 0
.LBB315_2362:
	s_andn2_b64 vcc, exec, s[0:1]
	s_cbranch_vccnz .LBB315_2392
; %bb.2363:
	s_cmp_lt_i32 s4, 2
	s_cbranch_scc1 .LBB315_2369
; %bb.2364:
	s_cmp_lt_i32 s4, 3
	s_cbranch_scc1 .LBB315_2370
; %bb.2365:
	s_cmp_gt_i32 s4, 3
	s_cbranch_scc0 .LBB315_2371
; %bb.2366:
	global_load_dwordx2 v[8:9], v[0:1], off
	s_movk_i32 s0, 0xff
	s_waitcnt vmcnt(0)
	v_xor_b32_e32 v10, v8, v9
	v_ffbh_i32_e32 v5, v9
	v_ashrrev_i32_e32 v10, 31, v10
	v_add_u32_e32 v5, -1, v5
	v_add_u32_e32 v10, 32, v10
	v_min_u32_e32 v5, v5, v10
	v_lshlrev_b64 v[8:9], v5, v[8:9]
	v_sub_u32_e32 v5, 32, v5
	v_min_u32_e32 v8, 1, v8
	v_or_b32_e32 v8, v9, v8
	v_cvt_f32_i32_e32 v8, v8
	v_ldexp_f32 v8, v8, v5
	v_bfe_u32 v9, v8, 23, 8
	v_cmp_ne_u32_e32 vcc, s0, v9
	v_mov_b32_e32 v5, 0xff
	s_and_saveexec_b64 s[2:3], vcc
; %bb.2367:
	s_mov_b32 s0, 0x3fffff
	v_lshrrev_b32_e32 v5, 23, v8
	v_and_b32_e32 v10, 0x400000, v8
	v_and_or_b32 v8, v8, s0, v9
	v_cmp_ne_u32_e32 vcc, 0, v10
	v_cmp_ne_u32_e64 s[0:1], 0, v8
	s_and_b64 s[0:1], vcc, s[0:1]
	v_cndmask_b32_e64 v8, 0, 1, s[0:1]
	v_add_u32_e32 v5, v5, v8
; %bb.2368:
	s_or_b64 exec, exec, s[2:3]
	s_mov_b64 s[0:1], 0
	s_branch .LBB315_2372
.LBB315_2369:
	s_mov_b64 s[0:1], -1
                                        ; implicit-def: $vgpr5
	s_branch .LBB315_2382
.LBB315_2370:
	s_mov_b64 s[0:1], -1
                                        ; implicit-def: $vgpr5
	s_branch .LBB315_2377
.LBB315_2371:
	s_mov_b64 s[0:1], -1
                                        ; implicit-def: $vgpr5
.LBB315_2372:
	s_andn2_b64 vcc, exec, s[0:1]
	s_cbranch_vccnz .LBB315_2376
; %bb.2373:
	global_load_dword v5, v[0:1], off
	s_movk_i32 s0, 0xff
	s_waitcnt vmcnt(0)
	v_cvt_f32_i32_e32 v8, v5
	v_mov_b32_e32 v5, 0xff
	v_bfe_u32 v9, v8, 23, 8
	v_cmp_ne_u32_e32 vcc, s0, v9
	s_and_saveexec_b64 s[2:3], vcc
; %bb.2374:
	s_mov_b32 s0, 0x3fffff
	v_lshrrev_b32_e32 v5, 23, v8
	v_and_b32_e32 v10, 0x400000, v8
	v_and_or_b32 v8, v8, s0, v9
	v_cmp_ne_u32_e32 vcc, 0, v10
	v_cmp_ne_u32_e64 s[0:1], 0, v8
	s_and_b64 s[0:1], vcc, s[0:1]
	v_cndmask_b32_e64 v8, 0, 1, s[0:1]
	v_add_u32_e32 v5, v5, v8
; %bb.2375:
	s_or_b64 exec, exec, s[2:3]
.LBB315_2376:
	s_mov_b64 s[0:1], 0
.LBB315_2377:
	s_andn2_b64 vcc, exec, s[0:1]
	s_cbranch_vccnz .LBB315_2381
; %bb.2378:
	global_load_sshort v5, v[0:1], off
	s_movk_i32 s0, 0xff
	s_waitcnt vmcnt(0)
	v_cvt_f32_i32_e32 v8, v5
	v_mov_b32_e32 v5, 0xff
	v_bfe_u32 v9, v8, 23, 8
	v_cmp_ne_u32_e32 vcc, s0, v9
	s_and_saveexec_b64 s[2:3], vcc
; %bb.2379:
	s_mov_b32 s0, 0x3fffff
	v_lshrrev_b32_e32 v5, 23, v8
	v_and_b32_e32 v10, 0x400000, v8
	v_and_or_b32 v8, v8, s0, v9
	v_cmp_ne_u32_e32 vcc, 0, v10
	v_cmp_ne_u32_e64 s[0:1], 0, v8
	s_and_b64 s[0:1], vcc, s[0:1]
	v_cndmask_b32_e64 v8, 0, 1, s[0:1]
	v_add_u32_e32 v5, v5, v8
; %bb.2380:
	s_or_b64 exec, exec, s[2:3]
.LBB315_2381:
	s_mov_b64 s[0:1], 0
.LBB315_2382:
	s_andn2_b64 vcc, exec, s[0:1]
	s_cbranch_vccnz .LBB315_2392
; %bb.2383:
	s_cmp_gt_i32 s4, 0
	s_cbranch_scc0 .LBB315_2387
; %bb.2384:
	global_load_sbyte v5, v[0:1], off
	s_movk_i32 s0, 0xff
	s_waitcnt vmcnt(0)
	v_cvt_f32_i32_e32 v8, v5
	v_mov_b32_e32 v5, 0xff
	v_bfe_u32 v9, v8, 23, 8
	v_cmp_ne_u32_e32 vcc, s0, v9
	s_and_saveexec_b64 s[2:3], vcc
; %bb.2385:
	s_mov_b32 s0, 0x3fffff
	v_lshrrev_b32_e32 v5, 23, v8
	v_and_b32_e32 v10, 0x400000, v8
	v_and_or_b32 v8, v8, s0, v9
	v_cmp_ne_u32_e32 vcc, 0, v10
	v_cmp_ne_u32_e64 s[0:1], 0, v8
	s_and_b64 s[0:1], vcc, s[0:1]
	v_cndmask_b32_e64 v8, 0, 1, s[0:1]
	v_add_u32_e32 v5, v5, v8
; %bb.2386:
	s_or_b64 exec, exec, s[2:3]
	s_mov_b64 s[0:1], 0
	s_branch .LBB315_2388
.LBB315_2387:
	s_mov_b64 s[0:1], -1
                                        ; implicit-def: $vgpr5
.LBB315_2388:
	s_andn2_b64 vcc, exec, s[0:1]
	s_cbranch_vccnz .LBB315_2392
; %bb.2389:
	global_load_ubyte v0, v[0:1], off
	s_movk_i32 s0, 0xff
	s_waitcnt vmcnt(1)
	v_mov_b32_e32 v5, 0xff
	s_waitcnt vmcnt(0)
	v_cvt_f32_ubyte0_e32 v1, v0
	v_lshrrev_b32_e32 v0, 23, v1
	v_cmp_ne_u32_e32 vcc, s0, v0
	s_and_saveexec_b64 s[2:3], vcc
; %bb.2390:
	s_mov_b32 s0, 0x3fffff
	v_and_b32_e32 v5, 0x400000, v1
	v_and_or_b32 v1, v1, s0, v0
	v_cmp_ne_u32_e32 vcc, 0, v5
	v_cmp_ne_u32_e64 s[0:1], 0, v1
	s_and_b64 s[0:1], vcc, s[0:1]
	v_cndmask_b32_e64 v1, 0, 1, s[0:1]
	v_add_u32_e32 v5, v0, v1
; %bb.2391:
	s_or_b64 exec, exec, s[2:3]
.LBB315_2392:
.LBB315_2393:
	s_lshl_b32 s14, s14, 7
	v_add_u32_e32 v8, s14, v6
	v_ashrrev_i32_e32 v1, 31, v8
	v_mov_b32_e32 v6, s17
	v_add_co_u32_e32 v0, vcc, s16, v8
	s_cmp_lt_i32 s27, 11
	v_addc_co_u32_e32 v1, vcc, v6, v1, vcc
	s_cbranch_scc1 .LBB315_2402
; %bb.2394:
	s_and_b32 s28, 0xffff, s27
	s_cmp_gt_i32 s28, 25
	s_mov_b64 s[4:5], 0
	s_cbranch_scc0 .LBB315_2403
; %bb.2395:
	s_cmp_gt_i32 s28, 28
	s_cbranch_scc0 .LBB315_2404
; %bb.2396:
	s_cmp_gt_i32 s28, 43
	;; [unrolled: 3-line block ×3, first 2 shown]
	s_cbranch_scc0 .LBB315_2407
; %bb.2398:
	s_cmp_eq_u32 s28, 46
	s_mov_b64 s[6:7], 0
	s_cbranch_scc0 .LBB315_2408
; %bb.2399:
	global_load_dword v9, v[0:1], off
	s_movk_i32 s0, 0xff
	v_mov_b32_e32 v6, 0xff
	s_waitcnt vmcnt(0)
	v_lshlrev_b32_e32 v10, 16, v9
	v_bfe_u32 v11, v10, 23, 8
	v_cmp_ne_u32_e32 vcc, s0, v11
	s_and_saveexec_b64 s[2:3], vcc
; %bb.2400:
	v_bfe_u32 v6, v9, 7, 9
	v_and_b32_e32 v9, 64, v9
	s_mov_b32 s0, 0x3f0000
	v_cmp_ne_u32_e32 vcc, 0, v9
	v_and_or_b32 v9, v10, s0, v11
	v_cmp_ne_u32_e64 s[0:1], 0, v9
	s_and_b64 s[0:1], vcc, s[0:1]
	v_cndmask_b32_e64 v9, 0, 1, s[0:1]
	v_add_u32_e32 v6, v6, v9
; %bb.2401:
	s_or_b64 exec, exec, s[2:3]
	s_mov_b64 s[2:3], 0
	s_mov_b64 s[0:1], -1
	s_branch .LBB315_2409
.LBB315_2402:
	s_mov_b64 s[2:3], -1
	s_mov_b64 s[0:1], 0
                                        ; implicit-def: $vgpr6
	s_branch .LBB315_2493
.LBB315_2403:
	s_mov_b64 s[6:7], -1
	s_mov_b64 s[0:1], 0
	s_mov_b64 s[2:3], 0
                                        ; implicit-def: $vgpr6
	s_branch .LBB315_2446
.LBB315_2404:
	s_mov_b64 s[6:7], -1
	s_mov_b64 s[0:1], 0
	s_mov_b64 s[2:3], 0
                                        ; implicit-def: $vgpr6
	s_branch .LBB315_2421
.LBB315_2405:
	s_mov_b64 s[6:7], -1
	s_mov_b64 s[0:1], 0
	s_mov_b64 s[2:3], 0
                                        ; implicit-def: $vgpr6
	s_branch .LBB315_2414
.LBB315_2406:
	s_trap 2
	s_or_b64 s[22:23], s[22:23], exec
	s_cbranch_execz .LBB315_2319
	s_branch .LBB315_2322
.LBB315_2407:
	s_mov_b64 s[6:7], -1
	s_mov_b64 s[0:1], 0
	s_mov_b64 s[2:3], 0
                                        ; implicit-def: $vgpr6
	s_branch .LBB315_2409
.LBB315_2408:
	s_mov_b64 s[2:3], -1
                                        ; implicit-def: $vgpr6
	s_mov_b64 s[0:1], 0
.LBB315_2409:
	s_and_b64 vcc, exec, s[6:7]
	s_cbranch_vccz .LBB315_2413
; %bb.2410:
	s_cmp_eq_u32 s28, 44
	s_cbranch_scc0 .LBB315_2412
; %bb.2411:
	global_load_ubyte v6, v[0:1], off
	s_mov_b64 s[2:3], 0
	s_mov_b64 s[0:1], -1
	s_branch .LBB315_2413
.LBB315_2412:
	s_mov_b64 s[2:3], -1
                                        ; implicit-def: $vgpr6
.LBB315_2413:
	s_mov_b64 s[6:7], 0
.LBB315_2414:
	s_and_b64 vcc, exec, s[6:7]
	s_cbranch_vccz .LBB315_2420
; %bb.2415:
	s_cmp_eq_u32 s28, 29
	s_cbranch_scc0 .LBB315_2419
; %bb.2416:
	global_load_dwordx2 v[9:10], v[0:1], off
	s_movk_i32 s0, 0xff
	s_waitcnt vmcnt(0)
	v_ffbh_u32_e32 v6, v10
	v_min_u32_e32 v6, 32, v6
	v_lshlrev_b64 v[9:10], v6, v[9:10]
	v_sub_u32_e32 v6, 32, v6
	v_min_u32_e32 v9, 1, v9
	v_or_b32_e32 v9, v10, v9
	v_cvt_f32_u32_e32 v9, v9
	v_ldexp_f32 v10, v9, v6
	v_lshrrev_b32_e32 v9, 23, v10
	v_cmp_ne_u32_e32 vcc, s0, v9
	v_mov_b32_e32 v6, 0xff
	s_and_saveexec_b64 s[2:3], vcc
; %bb.2417:
	v_and_b32_e32 v6, 0x400000, v10
	s_mov_b32 s0, 0x3fffff
	v_cmp_ne_u32_e32 vcc, 0, v6
	v_and_or_b32 v6, v10, s0, v9
	v_cmp_ne_u32_e64 s[0:1], 0, v6
	s_and_b64 s[0:1], vcc, s[0:1]
	v_cndmask_b32_e64 v6, 0, 1, s[0:1]
	v_add_u32_e32 v6, v9, v6
; %bb.2418:
	s_or_b64 exec, exec, s[2:3]
	s_mov_b64 s[2:3], 0
	s_mov_b64 s[0:1], -1
	s_branch .LBB315_2420
.LBB315_2419:
	s_mov_b64 s[2:3], -1
                                        ; implicit-def: $vgpr6
.LBB315_2420:
	s_mov_b64 s[6:7], 0
.LBB315_2421:
	s_and_b64 vcc, exec, s[6:7]
	s_cbranch_vccz .LBB315_2445
; %bb.2422:
	s_cmp_lt_i32 s28, 27
	s_cbranch_scc1 .LBB315_2427
; %bb.2423:
	s_cmp_gt_i32 s28, 27
	s_cbranch_scc0 .LBB315_2428
; %bb.2424:
	global_load_dword v6, v[0:1], off
	s_movk_i32 s0, 0xff
	s_waitcnt vmcnt(0)
	v_cvt_f32_u32_e32 v10, v6
	v_mov_b32_e32 v6, 0xff
	v_lshrrev_b32_e32 v9, 23, v10
	v_cmp_ne_u32_e32 vcc, s0, v9
	s_and_saveexec_b64 s[6:7], vcc
; %bb.2425:
	v_and_b32_e32 v6, 0x400000, v10
	s_mov_b32 s0, 0x3fffff
	v_cmp_ne_u32_e32 vcc, 0, v6
	v_and_or_b32 v6, v10, s0, v9
	v_cmp_ne_u32_e64 s[0:1], 0, v6
	s_and_b64 s[0:1], vcc, s[0:1]
	v_cndmask_b32_e64 v6, 0, 1, s[0:1]
	v_add_u32_e32 v6, v9, v6
; %bb.2426:
	s_or_b64 exec, exec, s[6:7]
	s_mov_b64 s[0:1], 0
	s_branch .LBB315_2429
.LBB315_2427:
	s_mov_b64 s[0:1], -1
                                        ; implicit-def: $vgpr6
	s_branch .LBB315_2434
.LBB315_2428:
	s_mov_b64 s[0:1], -1
                                        ; implicit-def: $vgpr6
.LBB315_2429:
	s_andn2_b64 vcc, exec, s[0:1]
	s_cbranch_vccnz .LBB315_2433
; %bb.2430:
	global_load_ushort v6, v[0:1], off
	s_movk_i32 s0, 0xff
	s_waitcnt vmcnt(0)
	v_cvt_f32_u32_e32 v10, v6
	v_mov_b32_e32 v6, 0xff
	v_lshrrev_b32_e32 v9, 23, v10
	v_cmp_ne_u32_e32 vcc, s0, v9
	s_and_saveexec_b64 s[6:7], vcc
; %bb.2431:
	v_and_b32_e32 v6, 0x400000, v10
	s_mov_b32 s0, 0x3fffff
	v_cmp_ne_u32_e32 vcc, 0, v6
	v_and_or_b32 v6, v10, s0, v9
	v_cmp_ne_u32_e64 s[0:1], 0, v6
	s_and_b64 s[0:1], vcc, s[0:1]
	v_cndmask_b32_e64 v6, 0, 1, s[0:1]
	v_add_u32_e32 v6, v9, v6
; %bb.2432:
	s_or_b64 exec, exec, s[6:7]
.LBB315_2433:
	s_mov_b64 s[0:1], 0
.LBB315_2434:
	s_andn2_b64 vcc, exec, s[0:1]
	s_cbranch_vccnz .LBB315_2444
; %bb.2435:
	global_load_ubyte v6, v[0:1], off
	s_movk_i32 s0, 0x7f
	s_waitcnt vmcnt(0)
	v_cmp_lt_i16_e32 vcc, s0, v6
	s_mov_b64 s[0:1], 0
	s_and_saveexec_b64 s[6:7], vcc
	s_xor_b64 s[6:7], exec, s[6:7]
	s_cbranch_execz .LBB315_2460
; %bb.2436:
	s_movk_i32 s0, 0x80
	v_cmp_eq_u16_e32 vcc, s0, v6
	s_mov_b64 s[0:1], -1
	s_and_saveexec_b64 s[24:25], vcc
; %bb.2437:
	s_xor_b64 s[0:1], exec, -1
; %bb.2438:
	s_or_b64 exec, exec, s[24:25]
	s_and_b64 s[0:1], s[0:1], exec
	s_or_saveexec_b64 s[6:7], s[6:7]
	v_mov_b32_e32 v9, 0x7f800001
	s_xor_b64 exec, exec, s[6:7]
	s_cbranch_execnz .LBB315_2461
.LBB315_2439:
	s_or_b64 exec, exec, s[6:7]
	s_and_saveexec_b64 s[6:7], s[0:1]
	s_cbranch_execz .LBB315_2441
.LBB315_2440:
	v_and_b32_e32 v6, 0xffff, v6
	v_and_b32_e32 v9, 7, v6
	v_ffbh_u32_e32 v11, v9
	v_min_u32_e32 v11, 32, v11
	v_subrev_u32_e32 v12, 28, v11
	v_bfe_u32 v10, v6, 3, 4
	v_lshlrev_b32_e32 v6, v12, v6
	v_and_b32_e32 v6, 7, v6
	v_cmp_eq_u32_e32 vcc, 0, v10
	v_sub_u32_e32 v11, 29, v11
	v_cndmask_b32_e32 v6, v9, v6, vcc
	v_cndmask_b32_e32 v10, v10, v11, vcc
	v_lshlrev_b32_e32 v6, 20, v6
	v_lshl_or_b32 v6, v10, 23, v6
	v_add_u32_e32 v9, 0x3b800000, v6
.LBB315_2441:
	s_or_b64 exec, exec, s[6:7]
	v_lshrrev_b32_e32 v10, 23, v9
	s_movk_i32 s0, 0xff
	v_cmp_ne_u32_e32 vcc, s0, v10
	v_mov_b32_e32 v6, 0xff
	s_and_saveexec_b64 s[6:7], vcc
; %bb.2442:
	v_and_b32_e32 v6, 0x400000, v9
	s_mov_b32 s0, 0x3fffff
	v_cmp_ne_u32_e32 vcc, 0, v6
	v_and_or_b32 v6, v9, s0, v10
	v_cmp_ne_u32_e64 s[0:1], 0, v6
	s_and_b64 s[0:1], vcc, s[0:1]
	v_cndmask_b32_e64 v6, 0, 1, s[0:1]
	v_add_u32_e32 v6, v10, v6
; %bb.2443:
	s_or_b64 exec, exec, s[6:7]
.LBB315_2444:
	s_mov_b64 s[0:1], -1
.LBB315_2445:
	s_mov_b64 s[6:7], 0
.LBB315_2446:
	s_and_b64 vcc, exec, s[6:7]
	s_cbranch_vccz .LBB315_2487
; %bb.2447:
	s_cmp_gt_i32 s28, 22
	s_cbranch_scc0 .LBB315_2459
; %bb.2448:
	s_cmp_lt_i32 s28, 24
	s_cbranch_scc1 .LBB315_2462
; %bb.2449:
	s_cmp_gt_i32 s28, 24
	s_cbranch_scc0 .LBB315_2463
; %bb.2450:
	global_load_ubyte v6, v[0:1], off
	s_movk_i32 s0, 0x7f
	s_waitcnt vmcnt(0)
	v_cmp_lt_i16_e32 vcc, s0, v6
	s_mov_b64 s[0:1], 0
	s_and_saveexec_b64 s[4:5], vcc
	s_xor_b64 s[4:5], exec, s[4:5]
	s_cbranch_execz .LBB315_2481
; %bb.2451:
	s_movk_i32 s0, 0x80
	v_cmp_eq_u16_e32 vcc, s0, v6
	s_mov_b64 s[0:1], -1
	s_and_saveexec_b64 s[6:7], vcc
; %bb.2452:
	s_xor_b64 s[0:1], exec, -1
; %bb.2453:
	s_or_b64 exec, exec, s[6:7]
	s_and_b64 s[0:1], s[0:1], exec
	s_or_saveexec_b64 s[4:5], s[4:5]
	v_mov_b32_e32 v9, 0x7f800001
	s_xor_b64 exec, exec, s[4:5]
	s_cbranch_execnz .LBB315_2482
.LBB315_2454:
	s_or_b64 exec, exec, s[4:5]
	s_and_saveexec_b64 s[4:5], s[0:1]
	s_cbranch_execz .LBB315_2456
.LBB315_2455:
	v_and_b32_e32 v6, 0xffff, v6
	v_and_b32_e32 v9, 3, v6
	v_ffbh_u32_e32 v11, v9
	v_min_u32_e32 v11, 32, v11
	v_subrev_u32_e32 v12, 29, v11
	v_bfe_u32 v10, v6, 2, 5
	v_lshlrev_b32_e32 v6, v12, v6
	v_and_b32_e32 v6, 3, v6
	v_cmp_eq_u32_e32 vcc, 0, v10
	v_sub_u32_e32 v11, 30, v11
	v_cndmask_b32_e32 v6, v9, v6, vcc
	v_cndmask_b32_e32 v10, v10, v11, vcc
	v_lshlrev_b32_e32 v6, 21, v6
	v_lshl_or_b32 v6, v10, 23, v6
	v_add_u32_e32 v9, 0x37800000, v6
.LBB315_2456:
	s_or_b64 exec, exec, s[4:5]
	v_lshrrev_b32_e32 v10, 23, v9
	s_movk_i32 s0, 0xff
	v_cmp_ne_u32_e32 vcc, s0, v10
	v_mov_b32_e32 v6, 0xff
	s_and_saveexec_b64 s[4:5], vcc
; %bb.2457:
	v_and_b32_e32 v6, 0x400000, v9
	s_mov_b32 s0, 0x3fffff
	v_cmp_ne_u32_e32 vcc, 0, v6
	v_and_or_b32 v6, v9, s0, v10
	v_cmp_ne_u32_e64 s[0:1], 0, v6
	s_and_b64 s[0:1], vcc, s[0:1]
	v_cndmask_b32_e64 v6, 0, 1, s[0:1]
	v_add_u32_e32 v6, v10, v6
; %bb.2458:
	s_or_b64 exec, exec, s[4:5]
	s_mov_b64 s[0:1], 0
	s_branch .LBB315_2464
.LBB315_2459:
	s_mov_b64 s[4:5], -1
                                        ; implicit-def: $vgpr6
	s_branch .LBB315_2474
.LBB315_2460:
	s_or_saveexec_b64 s[6:7], s[6:7]
	v_mov_b32_e32 v9, 0x7f800001
	s_xor_b64 exec, exec, s[6:7]
	s_cbranch_execz .LBB315_2439
.LBB315_2461:
	v_cmp_ne_u16_e32 vcc, 0, v6
	s_andn2_b64 s[0:1], s[0:1], exec
	s_and_b64 s[24:25], vcc, exec
	v_and_b32_e32 v9, 0xffff, v6
	s_or_b64 s[0:1], s[0:1], s[24:25]
	s_or_b64 exec, exec, s[6:7]
	s_and_saveexec_b64 s[6:7], s[0:1]
	s_cbranch_execnz .LBB315_2440
	s_branch .LBB315_2441
.LBB315_2462:
	s_mov_b64 s[0:1], -1
                                        ; implicit-def: $vgpr6
	s_branch .LBB315_2469
.LBB315_2463:
	s_mov_b64 s[0:1], -1
                                        ; implicit-def: $vgpr6
.LBB315_2464:
	s_and_b64 vcc, exec, s[0:1]
	s_cbranch_vccz .LBB315_2468
; %bb.2465:
	global_load_ubyte v6, v[0:1], off
	s_mov_b32 s0, 0x7f800000
	s_movk_i32 s1, 0xff
	s_waitcnt vmcnt(0)
	v_lshlrev_b32_e32 v6, 24, v6
	v_and_b32_e32 v6, 0x7f000000, v6
	v_ffbh_u32_e32 v9, v6
	v_min_u32_e32 v9, 32, v9
	v_sub_u32_e64 v9, v9, 4 clamp
	v_lshlrev_b32_e32 v11, v9, v6
	v_lshlrev_b32_e32 v9, 23, v9
	v_lshrrev_b32_e32 v11, 4, v11
	v_add_u32_e32 v10, 0x1000000, v6
	v_sub_u32_e32 v9, v11, v9
	v_ashrrev_i32_e32 v10, 8, v10
	v_add_u32_e32 v9, 0x3c000000, v9
	v_and_or_b32 v9, v10, s0, v9
	v_cmp_ne_u32_e32 vcc, 0, v6
	v_cndmask_b32_e32 v10, 0, v9, vcc
	v_lshrrev_b32_e32 v9, 23, v10
	v_cmp_ne_u32_e32 vcc, s1, v9
	v_mov_b32_e32 v6, 0xff
	s_and_saveexec_b64 s[4:5], vcc
; %bb.2466:
	v_and_b32_e32 v6, 0x400000, v10
	s_mov_b32 s0, 0x3fffff
	v_cmp_ne_u32_e32 vcc, 0, v6
	v_and_or_b32 v6, v10, s0, v9
	v_cmp_ne_u32_e64 s[0:1], 0, v6
	s_and_b64 s[0:1], vcc, s[0:1]
	v_cndmask_b32_e64 v6, 0, 1, s[0:1]
	v_add_u32_e32 v6, v9, v6
; %bb.2467:
	s_or_b64 exec, exec, s[4:5]
.LBB315_2468:
	s_mov_b64 s[0:1], 0
.LBB315_2469:
	s_andn2_b64 vcc, exec, s[0:1]
	s_cbranch_vccnz .LBB315_2473
; %bb.2470:
	global_load_ubyte v6, v[0:1], off
	s_movk_i32 s0, 0x7f00
	s_brev_b32 s1, 16
	s_movk_i32 s4, 0xff
	s_waitcnt vmcnt(0)
	v_lshlrev_b32_e32 v9, 8, v6
	v_lshlrev_b32_e32 v6, 25, v6
	v_lshrrev_b32_e32 v10, 4, v6
	v_and_or_b32 v9, v9, s0, 0.5
	v_or_b32_e32 v10, 0x70000000, v10
	v_add_f32_e32 v9, -0.5, v9
	v_mul_f32_e32 v10, 0x7800000, v10
	v_cmp_gt_u32_e32 vcc, s1, v6
	v_cndmask_b32_e32 v9, v10, v9, vcc
	v_bfe_u32 v10, v9, 23, 8
	v_cmp_ne_u32_e32 vcc, s4, v10
	v_mov_b32_e32 v6, 0xff
	s_and_saveexec_b64 s[4:5], vcc
; %bb.2471:
	s_mov_b32 s0, 0x3fffff
	v_lshrrev_b32_e32 v6, 23, v9
	v_and_b32_e32 v11, 0x400000, v9
	v_and_or_b32 v9, v9, s0, v10
	v_cmp_ne_u32_e32 vcc, 0, v11
	v_cmp_ne_u32_e64 s[0:1], 0, v9
	s_and_b64 s[0:1], vcc, s[0:1]
	v_cndmask_b32_e64 v9, 0, 1, s[0:1]
	v_add_u32_e32 v6, v6, v9
; %bb.2472:
	s_or_b64 exec, exec, s[4:5]
.LBB315_2473:
	s_mov_b64 s[4:5], 0
	s_mov_b64 s[0:1], -1
.LBB315_2474:
	s_andn2_b64 vcc, exec, s[4:5]
	s_mov_b64 s[4:5], 0
	s_cbranch_vccnz .LBB315_2487
; %bb.2475:
	s_cmp_gt_i32 s28, 14
	s_cbranch_scc0 .LBB315_2480
; %bb.2476:
	s_cmp_eq_u32 s28, 15
	s_cbranch_scc0 .LBB315_2483
; %bb.2477:
	global_load_ushort v9, v[0:1], off
	s_movk_i32 s0, 0xff
	s_waitcnt vmcnt(1)
	v_mov_b32_e32 v6, 0xff
	s_waitcnt vmcnt(0)
	v_bfe_u32 v10, v9, 7, 8
	v_cmp_ne_u32_e32 vcc, s0, v10
	s_and_saveexec_b64 s[2:3], vcc
	s_cbranch_execz .LBB315_2479
; %bb.2478:
	v_lshrrev_b32_e32 v6, 7, v9
	v_lshlrev_b32_e32 v11, 16, v9
	v_and_b32_e32 v9, 64, v9
	s_mov_b32 s0, 0x3f0000
	v_cmp_ne_u32_e32 vcc, 0, v9
	v_and_or_b32 v9, v11, s0, v10
	v_cmp_ne_u32_e64 s[0:1], 0, v9
	s_and_b64 s[0:1], vcc, s[0:1]
	v_cndmask_b32_e64 v9, 0, 1, s[0:1]
	v_add_u32_e32 v6, v6, v9
.LBB315_2479:
	s_or_b64 exec, exec, s[2:3]
	s_mov_b64 s[2:3], 0
	s_mov_b64 s[0:1], -1
	s_branch .LBB315_2484
.LBB315_2480:
	s_mov_b64 s[6:7], -1
                                        ; implicit-def: $vgpr6
	s_branch .LBB315_2485
.LBB315_2481:
	s_or_saveexec_b64 s[4:5], s[4:5]
	v_mov_b32_e32 v9, 0x7f800001
	s_xor_b64 exec, exec, s[4:5]
	s_cbranch_execz .LBB315_2454
.LBB315_2482:
	v_cmp_ne_u16_e32 vcc, 0, v6
	s_andn2_b64 s[0:1], s[0:1], exec
	s_and_b64 s[6:7], vcc, exec
	v_and_b32_e32 v9, 0xffff, v6
	s_or_b64 s[0:1], s[0:1], s[6:7]
	s_or_b64 exec, exec, s[4:5]
	s_and_saveexec_b64 s[4:5], s[0:1]
	s_cbranch_execnz .LBB315_2455
	s_branch .LBB315_2456
.LBB315_2483:
	s_mov_b64 s[2:3], -1
                                        ; implicit-def: $vgpr6
.LBB315_2484:
	s_mov_b64 s[6:7], 0
.LBB315_2485:
	s_and_b64 vcc, exec, s[6:7]
	s_cbranch_vccz .LBB315_2487
; %bb.2486:
	s_cmp_lg_u32 s28, 11
	s_mov_b64 s[4:5], -1
	s_cselect_b64 s[2:3], -1, 0
.LBB315_2487:
	s_and_b64 vcc, exec, s[2:3]
	s_cbranch_vccnz .LBB315_2578
; %bb.2488:
	s_andn2_b64 vcc, exec, s[4:5]
	s_cbranch_vccnz .LBB315_2492
.LBB315_2489:
	global_load_ubyte v6, v[0:1], off
	s_movk_i32 s0, 0xff
	s_waitcnt vmcnt(0)
	v_cmp_ne_u16_e32 vcc, 0, v6
	v_cndmask_b32_e64 v10, 0, 1.0, vcc
	v_lshrrev_b32_e32 v9, 23, v10
	v_cmp_ne_u32_e32 vcc, s0, v9
	v_mov_b32_e32 v6, 0xff
	s_and_saveexec_b64 s[2:3], vcc
; %bb.2490:
	v_and_b32_e32 v6, 0x400000, v10
	s_mov_b32 s0, 0x3fffff
	v_cmp_ne_u32_e32 vcc, 0, v6
	v_and_or_b32 v6, v10, s0, v9
	v_cmp_ne_u32_e64 s[0:1], 0, v6
	s_and_b64 s[0:1], vcc, s[0:1]
	v_cndmask_b32_e64 v6, 0, 1, s[0:1]
	v_add_u32_e32 v6, v9, v6
; %bb.2491:
	s_or_b64 exec, exec, s[2:3]
	s_mov_b64 s[0:1], -1
.LBB315_2492:
	s_mov_b64 s[2:3], 0
.LBB315_2493:
	s_and_b64 vcc, exec, s[2:3]
	s_cbranch_vccz .LBB315_2564
; %bb.2494:
	s_and_b32 s4, 0xffff, s27
	s_cmp_lt_i32 s4, 5
	s_cbranch_scc1 .LBB315_2501
; %bb.2495:
	s_cmp_lt_i32 s4, 8
	s_cbranch_scc1 .LBB315_2502
; %bb.2496:
	;; [unrolled: 3-line block ×3, first 2 shown]
	s_cmp_gt_i32 s4, 9
	s_cbranch_scc0 .LBB315_2504
; %bb.2498:
	global_load_dwordx2 v[9:10], v[0:1], off
	s_movk_i32 s0, 0xff
	s_waitcnt vmcnt(1)
	v_mov_b32_e32 v6, 0xff
	s_waitcnt vmcnt(0)
	v_cvt_f32_f64_e32 v9, v[9:10]
	v_bfe_u32 v10, v9, 23, 8
	v_cmp_ne_u32_e32 vcc, s0, v10
	s_and_saveexec_b64 s[2:3], vcc
; %bb.2499:
	s_mov_b32 s0, 0x3fffff
	v_lshrrev_b32_e32 v6, 23, v9
	v_and_b32_e32 v11, 0x400000, v9
	v_and_or_b32 v9, v9, s0, v10
	v_cmp_ne_u32_e32 vcc, 0, v11
	v_cmp_ne_u32_e64 s[0:1], 0, v9
	s_and_b64 s[0:1], vcc, s[0:1]
	v_cndmask_b32_e64 v9, 0, 1, s[0:1]
	v_add_u32_e32 v6, v6, v9
; %bb.2500:
	s_or_b64 exec, exec, s[2:3]
	s_mov_b64 s[0:1], 0
	s_branch .LBB315_2505
.LBB315_2501:
	s_mov_b64 s[0:1], -1
                                        ; implicit-def: $vgpr6
	s_branch .LBB315_2533
.LBB315_2502:
	s_mov_b64 s[0:1], -1
                                        ; implicit-def: $vgpr6
	s_branch .LBB315_2515
.LBB315_2503:
	s_mov_b64 s[0:1], -1
                                        ; implicit-def: $vgpr6
	s_branch .LBB315_2510
.LBB315_2504:
	s_mov_b64 s[0:1], -1
                                        ; implicit-def: $vgpr6
.LBB315_2505:
	s_andn2_b64 vcc, exec, s[0:1]
	s_cbranch_vccnz .LBB315_2509
; %bb.2506:
	global_load_dword v9, v[0:1], off
	s_movk_i32 s0, 0xff
	s_waitcnt vmcnt(1)
	v_mov_b32_e32 v6, 0xff
	s_waitcnt vmcnt(0)
	v_bfe_u32 v10, v9, 23, 8
	v_cmp_ne_u32_e32 vcc, s0, v10
	s_and_saveexec_b64 s[2:3], vcc
; %bb.2507:
	s_mov_b32 s0, 0x3fffff
	v_lshrrev_b32_e32 v6, 23, v9
	v_and_b32_e32 v11, 0x400000, v9
	v_and_or_b32 v9, v9, s0, v10
	v_cmp_ne_u32_e32 vcc, 0, v11
	v_cmp_ne_u32_e64 s[0:1], 0, v9
	s_and_b64 s[0:1], vcc, s[0:1]
	v_cndmask_b32_e64 v9, 0, 1, s[0:1]
	v_add_u32_e32 v6, v6, v9
; %bb.2508:
	s_or_b64 exec, exec, s[2:3]
.LBB315_2509:
	s_mov_b64 s[0:1], 0
.LBB315_2510:
	s_andn2_b64 vcc, exec, s[0:1]
	s_cbranch_vccnz .LBB315_2514
; %bb.2511:
	global_load_dword v6, v[0:1], off
	s_movk_i32 s0, 0xff
	s_waitcnt vmcnt(0)
	v_cvt_f32_f16_e32 v9, v6
	v_mov_b32_e32 v6, 0xff
	v_bfe_u32 v10, v9, 23, 8
	v_cmp_ne_u32_e32 vcc, s0, v10
	s_and_saveexec_b64 s[2:3], vcc
; %bb.2512:
	s_mov_b32 s0, 0x3fffff
	v_lshrrev_b32_e32 v6, 23, v9
	v_and_b32_e32 v11, 0x400000, v9
	v_and_or_b32 v9, v9, s0, v10
	v_cmp_ne_u32_e32 vcc, 0, v11
	v_cmp_ne_u32_e64 s[0:1], 0, v9
	s_and_b64 s[0:1], vcc, s[0:1]
	v_cndmask_b32_e64 v9, 0, 1, s[0:1]
	v_add_u32_e32 v6, v6, v9
; %bb.2513:
	s_or_b64 exec, exec, s[2:3]
.LBB315_2514:
	s_mov_b64 s[0:1], 0
.LBB315_2515:
	s_andn2_b64 vcc, exec, s[0:1]
	s_cbranch_vccnz .LBB315_2532
; %bb.2516:
	s_cmp_lt_i32 s4, 6
	s_cbranch_scc1 .LBB315_2521
; %bb.2517:
	s_cmp_gt_i32 s4, 6
	s_cbranch_scc0 .LBB315_2522
; %bb.2518:
	global_load_dwordx2 v[9:10], v[0:1], off
	s_movk_i32 s0, 0xff
	s_waitcnt vmcnt(1)
	v_mov_b32_e32 v6, 0xff
	s_waitcnt vmcnt(0)
	v_cvt_f32_f64_e32 v9, v[9:10]
	v_bfe_u32 v10, v9, 23, 8
	v_cmp_ne_u32_e32 vcc, s0, v10
	s_and_saveexec_b64 s[2:3], vcc
; %bb.2519:
	s_mov_b32 s0, 0x3fffff
	v_lshrrev_b32_e32 v6, 23, v9
	v_and_b32_e32 v11, 0x400000, v9
	v_and_or_b32 v9, v9, s0, v10
	v_cmp_ne_u32_e32 vcc, 0, v11
	v_cmp_ne_u32_e64 s[0:1], 0, v9
	s_and_b64 s[0:1], vcc, s[0:1]
	v_cndmask_b32_e64 v9, 0, 1, s[0:1]
	v_add_u32_e32 v6, v6, v9
; %bb.2520:
	s_or_b64 exec, exec, s[2:3]
	s_mov_b64 s[0:1], 0
	s_branch .LBB315_2523
.LBB315_2521:
	s_mov_b64 s[0:1], -1
                                        ; implicit-def: $vgpr6
	s_branch .LBB315_2528
.LBB315_2522:
	s_mov_b64 s[0:1], -1
                                        ; implicit-def: $vgpr6
.LBB315_2523:
	s_andn2_b64 vcc, exec, s[0:1]
	s_cbranch_vccnz .LBB315_2527
; %bb.2524:
	global_load_dword v9, v[0:1], off
	s_movk_i32 s0, 0xff
	s_waitcnt vmcnt(1)
	v_mov_b32_e32 v6, 0xff
	s_waitcnt vmcnt(0)
	v_bfe_u32 v10, v9, 23, 8
	v_cmp_ne_u32_e32 vcc, s0, v10
	s_and_saveexec_b64 s[2:3], vcc
; %bb.2525:
	s_mov_b32 s0, 0x3fffff
	v_lshrrev_b32_e32 v6, 23, v9
	v_and_b32_e32 v11, 0x400000, v9
	v_and_or_b32 v9, v9, s0, v10
	v_cmp_ne_u32_e32 vcc, 0, v11
	v_cmp_ne_u32_e64 s[0:1], 0, v9
	s_and_b64 s[0:1], vcc, s[0:1]
	v_cndmask_b32_e64 v9, 0, 1, s[0:1]
	v_add_u32_e32 v6, v6, v9
; %bb.2526:
	s_or_b64 exec, exec, s[2:3]
.LBB315_2527:
	s_mov_b64 s[0:1], 0
.LBB315_2528:
	s_andn2_b64 vcc, exec, s[0:1]
	s_cbranch_vccnz .LBB315_2532
; %bb.2529:
	global_load_ushort v6, v[0:1], off
	s_movk_i32 s0, 0xff
	s_waitcnt vmcnt(0)
	v_cvt_f32_f16_e32 v9, v6
	v_mov_b32_e32 v6, 0xff
	v_bfe_u32 v10, v9, 23, 8
	v_cmp_ne_u32_e32 vcc, s0, v10
	s_and_saveexec_b64 s[2:3], vcc
; %bb.2530:
	s_mov_b32 s0, 0x3fffff
	v_lshrrev_b32_e32 v6, 23, v9
	v_and_b32_e32 v11, 0x400000, v9
	v_and_or_b32 v9, v9, s0, v10
	v_cmp_ne_u32_e32 vcc, 0, v11
	v_cmp_ne_u32_e64 s[0:1], 0, v9
	s_and_b64 s[0:1], vcc, s[0:1]
	v_cndmask_b32_e64 v9, 0, 1, s[0:1]
	v_add_u32_e32 v6, v6, v9
; %bb.2531:
	s_or_b64 exec, exec, s[2:3]
.LBB315_2532:
	s_mov_b64 s[0:1], 0
.LBB315_2533:
	s_andn2_b64 vcc, exec, s[0:1]
	s_cbranch_vccnz .LBB315_2563
; %bb.2534:
	s_cmp_lt_i32 s4, 2
	s_cbranch_scc1 .LBB315_2540
; %bb.2535:
	s_cmp_lt_i32 s4, 3
	s_cbranch_scc1 .LBB315_2541
; %bb.2536:
	s_cmp_gt_i32 s4, 3
	s_cbranch_scc0 .LBB315_2542
; %bb.2537:
	global_load_dwordx2 v[9:10], v[0:1], off
	s_movk_i32 s0, 0xff
	s_waitcnt vmcnt(0)
	v_xor_b32_e32 v11, v9, v10
	v_ffbh_i32_e32 v6, v10
	v_ashrrev_i32_e32 v11, 31, v11
	v_add_u32_e32 v6, -1, v6
	v_add_u32_e32 v11, 32, v11
	v_min_u32_e32 v6, v6, v11
	v_lshlrev_b64 v[9:10], v6, v[9:10]
	v_sub_u32_e32 v6, 32, v6
	v_min_u32_e32 v9, 1, v9
	v_or_b32_e32 v9, v10, v9
	v_cvt_f32_i32_e32 v9, v9
	v_ldexp_f32 v9, v9, v6
	v_bfe_u32 v10, v9, 23, 8
	v_cmp_ne_u32_e32 vcc, s0, v10
	v_mov_b32_e32 v6, 0xff
	s_and_saveexec_b64 s[2:3], vcc
; %bb.2538:
	s_mov_b32 s0, 0x3fffff
	v_lshrrev_b32_e32 v6, 23, v9
	v_and_b32_e32 v11, 0x400000, v9
	v_and_or_b32 v9, v9, s0, v10
	v_cmp_ne_u32_e32 vcc, 0, v11
	v_cmp_ne_u32_e64 s[0:1], 0, v9
	s_and_b64 s[0:1], vcc, s[0:1]
	v_cndmask_b32_e64 v9, 0, 1, s[0:1]
	v_add_u32_e32 v6, v6, v9
; %bb.2539:
	s_or_b64 exec, exec, s[2:3]
	s_mov_b64 s[0:1], 0
	s_branch .LBB315_2543
.LBB315_2540:
	s_mov_b64 s[0:1], -1
                                        ; implicit-def: $vgpr6
	s_branch .LBB315_2553
.LBB315_2541:
	s_mov_b64 s[0:1], -1
                                        ; implicit-def: $vgpr6
	s_branch .LBB315_2548
.LBB315_2542:
	s_mov_b64 s[0:1], -1
                                        ; implicit-def: $vgpr6
.LBB315_2543:
	s_andn2_b64 vcc, exec, s[0:1]
	s_cbranch_vccnz .LBB315_2547
; %bb.2544:
	global_load_dword v6, v[0:1], off
	s_movk_i32 s0, 0xff
	s_waitcnt vmcnt(0)
	v_cvt_f32_i32_e32 v9, v6
	v_mov_b32_e32 v6, 0xff
	v_bfe_u32 v10, v9, 23, 8
	v_cmp_ne_u32_e32 vcc, s0, v10
	s_and_saveexec_b64 s[2:3], vcc
; %bb.2545:
	s_mov_b32 s0, 0x3fffff
	v_lshrrev_b32_e32 v6, 23, v9
	v_and_b32_e32 v11, 0x400000, v9
	v_and_or_b32 v9, v9, s0, v10
	v_cmp_ne_u32_e32 vcc, 0, v11
	v_cmp_ne_u32_e64 s[0:1], 0, v9
	s_and_b64 s[0:1], vcc, s[0:1]
	v_cndmask_b32_e64 v9, 0, 1, s[0:1]
	v_add_u32_e32 v6, v6, v9
; %bb.2546:
	s_or_b64 exec, exec, s[2:3]
.LBB315_2547:
	s_mov_b64 s[0:1], 0
.LBB315_2548:
	s_andn2_b64 vcc, exec, s[0:1]
	s_cbranch_vccnz .LBB315_2552
; %bb.2549:
	global_load_sshort v6, v[0:1], off
	s_movk_i32 s0, 0xff
	s_waitcnt vmcnt(0)
	v_cvt_f32_i32_e32 v9, v6
	v_mov_b32_e32 v6, 0xff
	v_bfe_u32 v10, v9, 23, 8
	v_cmp_ne_u32_e32 vcc, s0, v10
	s_and_saveexec_b64 s[2:3], vcc
; %bb.2550:
	s_mov_b32 s0, 0x3fffff
	v_lshrrev_b32_e32 v6, 23, v9
	v_and_b32_e32 v11, 0x400000, v9
	v_and_or_b32 v9, v9, s0, v10
	v_cmp_ne_u32_e32 vcc, 0, v11
	v_cmp_ne_u32_e64 s[0:1], 0, v9
	s_and_b64 s[0:1], vcc, s[0:1]
	v_cndmask_b32_e64 v9, 0, 1, s[0:1]
	v_add_u32_e32 v6, v6, v9
; %bb.2551:
	s_or_b64 exec, exec, s[2:3]
.LBB315_2552:
	s_mov_b64 s[0:1], 0
.LBB315_2553:
	s_andn2_b64 vcc, exec, s[0:1]
	s_cbranch_vccnz .LBB315_2563
; %bb.2554:
	s_cmp_gt_i32 s4, 0
	s_cbranch_scc0 .LBB315_2558
; %bb.2555:
	global_load_sbyte v6, v[0:1], off
	s_movk_i32 s0, 0xff
	s_waitcnt vmcnt(0)
	v_cvt_f32_i32_e32 v9, v6
	v_mov_b32_e32 v6, 0xff
	v_bfe_u32 v10, v9, 23, 8
	v_cmp_ne_u32_e32 vcc, s0, v10
	s_and_saveexec_b64 s[2:3], vcc
; %bb.2556:
	s_mov_b32 s0, 0x3fffff
	v_lshrrev_b32_e32 v6, 23, v9
	v_and_b32_e32 v11, 0x400000, v9
	v_and_or_b32 v9, v9, s0, v10
	v_cmp_ne_u32_e32 vcc, 0, v11
	v_cmp_ne_u32_e64 s[0:1], 0, v9
	s_and_b64 s[0:1], vcc, s[0:1]
	v_cndmask_b32_e64 v9, 0, 1, s[0:1]
	v_add_u32_e32 v6, v6, v9
; %bb.2557:
	s_or_b64 exec, exec, s[2:3]
	s_mov_b64 s[0:1], 0
	s_branch .LBB315_2559
.LBB315_2558:
	s_mov_b64 s[0:1], -1
                                        ; implicit-def: $vgpr6
.LBB315_2559:
	s_andn2_b64 vcc, exec, s[0:1]
	s_cbranch_vccnz .LBB315_2563
; %bb.2560:
	global_load_ubyte v0, v[0:1], off
	s_movk_i32 s0, 0xff
	s_waitcnt vmcnt(1)
	v_mov_b32_e32 v6, 0xff
	s_waitcnt vmcnt(0)
	v_cvt_f32_ubyte0_e32 v1, v0
	v_lshrrev_b32_e32 v0, 23, v1
	v_cmp_ne_u32_e32 vcc, s0, v0
	s_and_saveexec_b64 s[2:3], vcc
; %bb.2561:
	s_mov_b32 s0, 0x3fffff
	v_and_b32_e32 v6, 0x400000, v1
	v_and_or_b32 v1, v1, s0, v0
	v_cmp_ne_u32_e32 vcc, 0, v6
	v_cmp_ne_u32_e64 s[0:1], 0, v1
	s_and_b64 s[0:1], vcc, s[0:1]
	v_cndmask_b32_e64 v1, 0, 1, s[0:1]
	v_add_u32_e32 v6, v0, v1
; %bb.2562:
	s_or_b64 exec, exec, s[2:3]
.LBB315_2563:
	s_mov_b64 s[0:1], -1
.LBB315_2564:
	s_andn2_b64 vcc, exec, s[0:1]
	s_cbranch_vccnz .LBB315_3688
; %bb.2565:
	v_add_u32_e32 v9, s13, v7
	v_ashrrev_i32_e32 v1, 31, v9
	v_mov_b32_e32 v7, s11
	v_add_co_u32_e32 v0, vcc, s10, v9
	s_cmp_lt_i32 s26, 11
	v_addc_co_u32_e32 v1, vcc, v7, v1, vcc
	s_cbranch_scc1 .LBB315_2574
; %bb.2566:
	s_and_b32 s28, 0xffff, s26
	s_cmp_gt_i32 s28, 25
	s_mov_b64 s[4:5], 0
	s_cbranch_scc0 .LBB315_2575
; %bb.2567:
	s_cmp_gt_i32 s28, 28
	s_cbranch_scc0 .LBB315_2576
; %bb.2568:
	s_cmp_gt_i32 s28, 43
	;; [unrolled: 3-line block ×3, first 2 shown]
	s_cbranch_scc0 .LBB315_2579
; %bb.2570:
	s_cmp_eq_u32 s28, 46
	s_mov_b64 s[6:7], 0
	s_cbranch_scc0 .LBB315_2580
; %bb.2571:
	global_load_dword v10, v[0:1], off
	s_movk_i32 s0, 0xff
	v_mov_b32_e32 v7, 0xff
	s_waitcnt vmcnt(0)
	v_lshlrev_b32_e32 v11, 16, v10
	v_bfe_u32 v12, v11, 23, 8
	v_cmp_ne_u32_e32 vcc, s0, v12
	s_and_saveexec_b64 s[2:3], vcc
; %bb.2572:
	v_bfe_u32 v7, v10, 7, 9
	v_and_b32_e32 v10, 64, v10
	s_mov_b32 s0, 0x3f0000
	v_cmp_ne_u32_e32 vcc, 0, v10
	v_and_or_b32 v10, v11, s0, v12
	v_cmp_ne_u32_e64 s[0:1], 0, v10
	s_and_b64 s[0:1], vcc, s[0:1]
	v_cndmask_b32_e64 v10, 0, 1, s[0:1]
	v_add_u32_e32 v7, v7, v10
; %bb.2573:
	s_or_b64 exec, exec, s[2:3]
	s_mov_b64 s[2:3], 0
	s_mov_b64 s[0:1], -1
	s_branch .LBB315_2581
.LBB315_2574:
	s_mov_b64 s[2:3], -1
	s_mov_b64 s[0:1], 0
                                        ; implicit-def: $vgpr7
	s_branch .LBB315_2665
.LBB315_2575:
	s_mov_b64 s[6:7], -1
	s_mov_b64 s[0:1], 0
	s_mov_b64 s[2:3], 0
                                        ; implicit-def: $vgpr7
	s_branch .LBB315_2618
.LBB315_2576:
	s_mov_b64 s[6:7], -1
	s_mov_b64 s[0:1], 0
	s_mov_b64 s[2:3], 0
                                        ; implicit-def: $vgpr7
	s_branch .LBB315_2593
.LBB315_2577:
	s_mov_b64 s[6:7], -1
	s_mov_b64 s[0:1], 0
	s_mov_b64 s[2:3], 0
                                        ; implicit-def: $vgpr7
	s_branch .LBB315_2586
.LBB315_2578:
	s_trap 2
	s_or_b64 s[22:23], s[22:23], exec
	s_cbranch_execz .LBB315_2489
	s_branch .LBB315_2492
.LBB315_2579:
	s_mov_b64 s[6:7], -1
	s_mov_b64 s[0:1], 0
	s_mov_b64 s[2:3], 0
                                        ; implicit-def: $vgpr7
	s_branch .LBB315_2581
.LBB315_2580:
	s_mov_b64 s[2:3], -1
                                        ; implicit-def: $vgpr7
	s_mov_b64 s[0:1], 0
.LBB315_2581:
	s_and_b64 vcc, exec, s[6:7]
	s_cbranch_vccz .LBB315_2585
; %bb.2582:
	s_cmp_eq_u32 s28, 44
	s_cbranch_scc0 .LBB315_2584
; %bb.2583:
	global_load_ubyte v7, v[0:1], off
	s_mov_b64 s[2:3], 0
	s_mov_b64 s[0:1], -1
	s_branch .LBB315_2585
.LBB315_2584:
	s_mov_b64 s[2:3], -1
                                        ; implicit-def: $vgpr7
.LBB315_2585:
	s_mov_b64 s[6:7], 0
.LBB315_2586:
	s_and_b64 vcc, exec, s[6:7]
	s_cbranch_vccz .LBB315_2592
; %bb.2587:
	s_cmp_eq_u32 s28, 29
	s_cbranch_scc0 .LBB315_2591
; %bb.2588:
	global_load_dwordx2 v[10:11], v[0:1], off
	s_movk_i32 s0, 0xff
	s_waitcnt vmcnt(0)
	v_ffbh_u32_e32 v7, v11
	v_min_u32_e32 v7, 32, v7
	v_lshlrev_b64 v[10:11], v7, v[10:11]
	v_sub_u32_e32 v7, 32, v7
	v_min_u32_e32 v10, 1, v10
	v_or_b32_e32 v10, v11, v10
	v_cvt_f32_u32_e32 v10, v10
	v_ldexp_f32 v11, v10, v7
	v_lshrrev_b32_e32 v10, 23, v11
	v_cmp_ne_u32_e32 vcc, s0, v10
	v_mov_b32_e32 v7, 0xff
	s_and_saveexec_b64 s[2:3], vcc
; %bb.2589:
	v_and_b32_e32 v7, 0x400000, v11
	s_mov_b32 s0, 0x3fffff
	v_cmp_ne_u32_e32 vcc, 0, v7
	v_and_or_b32 v7, v11, s0, v10
	v_cmp_ne_u32_e64 s[0:1], 0, v7
	s_and_b64 s[0:1], vcc, s[0:1]
	v_cndmask_b32_e64 v7, 0, 1, s[0:1]
	v_add_u32_e32 v7, v10, v7
; %bb.2590:
	s_or_b64 exec, exec, s[2:3]
	s_mov_b64 s[2:3], 0
	s_mov_b64 s[0:1], -1
	s_branch .LBB315_2592
.LBB315_2591:
	s_mov_b64 s[2:3], -1
                                        ; implicit-def: $vgpr7
.LBB315_2592:
	s_mov_b64 s[6:7], 0
.LBB315_2593:
	s_and_b64 vcc, exec, s[6:7]
	s_cbranch_vccz .LBB315_2617
; %bb.2594:
	s_cmp_lt_i32 s28, 27
	s_cbranch_scc1 .LBB315_2599
; %bb.2595:
	s_cmp_gt_i32 s28, 27
	s_cbranch_scc0 .LBB315_2600
; %bb.2596:
	global_load_dword v7, v[0:1], off
	s_movk_i32 s0, 0xff
	s_waitcnt vmcnt(0)
	v_cvt_f32_u32_e32 v11, v7
	v_mov_b32_e32 v7, 0xff
	v_lshrrev_b32_e32 v10, 23, v11
	v_cmp_ne_u32_e32 vcc, s0, v10
	s_and_saveexec_b64 s[6:7], vcc
; %bb.2597:
	v_and_b32_e32 v7, 0x400000, v11
	s_mov_b32 s0, 0x3fffff
	v_cmp_ne_u32_e32 vcc, 0, v7
	v_and_or_b32 v7, v11, s0, v10
	v_cmp_ne_u32_e64 s[0:1], 0, v7
	s_and_b64 s[0:1], vcc, s[0:1]
	v_cndmask_b32_e64 v7, 0, 1, s[0:1]
	v_add_u32_e32 v7, v10, v7
; %bb.2598:
	s_or_b64 exec, exec, s[6:7]
	s_mov_b64 s[0:1], 0
	s_branch .LBB315_2601
.LBB315_2599:
	s_mov_b64 s[0:1], -1
                                        ; implicit-def: $vgpr7
	s_branch .LBB315_2606
.LBB315_2600:
	s_mov_b64 s[0:1], -1
                                        ; implicit-def: $vgpr7
.LBB315_2601:
	s_andn2_b64 vcc, exec, s[0:1]
	s_cbranch_vccnz .LBB315_2605
; %bb.2602:
	global_load_ushort v7, v[0:1], off
	s_movk_i32 s0, 0xff
	s_waitcnt vmcnt(0)
	v_cvt_f32_u32_e32 v11, v7
	v_mov_b32_e32 v7, 0xff
	v_lshrrev_b32_e32 v10, 23, v11
	v_cmp_ne_u32_e32 vcc, s0, v10
	s_and_saveexec_b64 s[6:7], vcc
; %bb.2603:
	v_and_b32_e32 v7, 0x400000, v11
	s_mov_b32 s0, 0x3fffff
	v_cmp_ne_u32_e32 vcc, 0, v7
	v_and_or_b32 v7, v11, s0, v10
	v_cmp_ne_u32_e64 s[0:1], 0, v7
	s_and_b64 s[0:1], vcc, s[0:1]
	v_cndmask_b32_e64 v7, 0, 1, s[0:1]
	v_add_u32_e32 v7, v10, v7
; %bb.2604:
	s_or_b64 exec, exec, s[6:7]
.LBB315_2605:
	s_mov_b64 s[0:1], 0
.LBB315_2606:
	s_andn2_b64 vcc, exec, s[0:1]
	s_cbranch_vccnz .LBB315_2616
; %bb.2607:
	global_load_ubyte v7, v[0:1], off
	s_movk_i32 s0, 0x7f
	s_waitcnt vmcnt(0)
	v_cmp_lt_i16_e32 vcc, s0, v7
	s_mov_b64 s[0:1], 0
	s_and_saveexec_b64 s[6:7], vcc
	s_xor_b64 s[6:7], exec, s[6:7]
	s_cbranch_execz .LBB315_2632
; %bb.2608:
	s_movk_i32 s0, 0x80
	v_cmp_eq_u16_e32 vcc, s0, v7
	s_mov_b64 s[0:1], -1
	s_and_saveexec_b64 s[24:25], vcc
; %bb.2609:
	s_xor_b64 s[0:1], exec, -1
; %bb.2610:
	s_or_b64 exec, exec, s[24:25]
	s_and_b64 s[0:1], s[0:1], exec
	s_or_saveexec_b64 s[6:7], s[6:7]
	v_mov_b32_e32 v10, 0x7f800001
	s_xor_b64 exec, exec, s[6:7]
	s_cbranch_execnz .LBB315_2633
.LBB315_2611:
	s_or_b64 exec, exec, s[6:7]
	s_and_saveexec_b64 s[6:7], s[0:1]
	s_cbranch_execz .LBB315_2613
.LBB315_2612:
	v_and_b32_e32 v7, 0xffff, v7
	v_and_b32_e32 v10, 7, v7
	v_ffbh_u32_e32 v12, v10
	v_min_u32_e32 v12, 32, v12
	v_subrev_u32_e32 v13, 28, v12
	v_bfe_u32 v11, v7, 3, 4
	v_lshlrev_b32_e32 v7, v13, v7
	v_and_b32_e32 v7, 7, v7
	v_cmp_eq_u32_e32 vcc, 0, v11
	v_sub_u32_e32 v12, 29, v12
	v_cndmask_b32_e32 v7, v10, v7, vcc
	v_cndmask_b32_e32 v11, v11, v12, vcc
	v_lshlrev_b32_e32 v7, 20, v7
	v_lshl_or_b32 v7, v11, 23, v7
	v_add_u32_e32 v10, 0x3b800000, v7
.LBB315_2613:
	s_or_b64 exec, exec, s[6:7]
	v_lshrrev_b32_e32 v11, 23, v10
	s_movk_i32 s0, 0xff
	v_cmp_ne_u32_e32 vcc, s0, v11
	v_mov_b32_e32 v7, 0xff
	s_and_saveexec_b64 s[6:7], vcc
; %bb.2614:
	v_and_b32_e32 v7, 0x400000, v10
	s_mov_b32 s0, 0x3fffff
	v_cmp_ne_u32_e32 vcc, 0, v7
	v_and_or_b32 v7, v10, s0, v11
	v_cmp_ne_u32_e64 s[0:1], 0, v7
	s_and_b64 s[0:1], vcc, s[0:1]
	v_cndmask_b32_e64 v7, 0, 1, s[0:1]
	v_add_u32_e32 v7, v11, v7
; %bb.2615:
	s_or_b64 exec, exec, s[6:7]
.LBB315_2616:
	s_mov_b64 s[0:1], -1
.LBB315_2617:
	s_mov_b64 s[6:7], 0
.LBB315_2618:
	s_and_b64 vcc, exec, s[6:7]
	s_cbranch_vccz .LBB315_2659
; %bb.2619:
	s_cmp_gt_i32 s28, 22
	s_cbranch_scc0 .LBB315_2631
; %bb.2620:
	s_cmp_lt_i32 s28, 24
	s_cbranch_scc1 .LBB315_2634
; %bb.2621:
	s_cmp_gt_i32 s28, 24
	s_cbranch_scc0 .LBB315_2635
; %bb.2622:
	global_load_ubyte v7, v[0:1], off
	s_movk_i32 s0, 0x7f
	s_waitcnt vmcnt(0)
	v_cmp_lt_i16_e32 vcc, s0, v7
	s_mov_b64 s[0:1], 0
	s_and_saveexec_b64 s[4:5], vcc
	s_xor_b64 s[4:5], exec, s[4:5]
	s_cbranch_execz .LBB315_2653
; %bb.2623:
	s_movk_i32 s0, 0x80
	v_cmp_eq_u16_e32 vcc, s0, v7
	s_mov_b64 s[0:1], -1
	s_and_saveexec_b64 s[6:7], vcc
; %bb.2624:
	s_xor_b64 s[0:1], exec, -1
; %bb.2625:
	s_or_b64 exec, exec, s[6:7]
	s_and_b64 s[0:1], s[0:1], exec
	s_or_saveexec_b64 s[4:5], s[4:5]
	v_mov_b32_e32 v10, 0x7f800001
	s_xor_b64 exec, exec, s[4:5]
	s_cbranch_execnz .LBB315_2654
.LBB315_2626:
	s_or_b64 exec, exec, s[4:5]
	s_and_saveexec_b64 s[4:5], s[0:1]
	s_cbranch_execz .LBB315_2628
.LBB315_2627:
	v_and_b32_e32 v7, 0xffff, v7
	v_and_b32_e32 v10, 3, v7
	v_ffbh_u32_e32 v12, v10
	v_min_u32_e32 v12, 32, v12
	v_subrev_u32_e32 v13, 29, v12
	v_bfe_u32 v11, v7, 2, 5
	v_lshlrev_b32_e32 v7, v13, v7
	v_and_b32_e32 v7, 3, v7
	v_cmp_eq_u32_e32 vcc, 0, v11
	v_sub_u32_e32 v12, 30, v12
	v_cndmask_b32_e32 v7, v10, v7, vcc
	v_cndmask_b32_e32 v11, v11, v12, vcc
	v_lshlrev_b32_e32 v7, 21, v7
	v_lshl_or_b32 v7, v11, 23, v7
	v_add_u32_e32 v10, 0x37800000, v7
.LBB315_2628:
	s_or_b64 exec, exec, s[4:5]
	v_lshrrev_b32_e32 v11, 23, v10
	s_movk_i32 s0, 0xff
	v_cmp_ne_u32_e32 vcc, s0, v11
	v_mov_b32_e32 v7, 0xff
	s_and_saveexec_b64 s[4:5], vcc
; %bb.2629:
	v_and_b32_e32 v7, 0x400000, v10
	s_mov_b32 s0, 0x3fffff
	v_cmp_ne_u32_e32 vcc, 0, v7
	v_and_or_b32 v7, v10, s0, v11
	v_cmp_ne_u32_e64 s[0:1], 0, v7
	s_and_b64 s[0:1], vcc, s[0:1]
	v_cndmask_b32_e64 v7, 0, 1, s[0:1]
	v_add_u32_e32 v7, v11, v7
; %bb.2630:
	s_or_b64 exec, exec, s[4:5]
	s_mov_b64 s[0:1], 0
	s_branch .LBB315_2636
.LBB315_2631:
	s_mov_b64 s[4:5], -1
                                        ; implicit-def: $vgpr7
	s_branch .LBB315_2646
.LBB315_2632:
	s_or_saveexec_b64 s[6:7], s[6:7]
	v_mov_b32_e32 v10, 0x7f800001
	s_xor_b64 exec, exec, s[6:7]
	s_cbranch_execz .LBB315_2611
.LBB315_2633:
	v_cmp_ne_u16_e32 vcc, 0, v7
	s_andn2_b64 s[0:1], s[0:1], exec
	s_and_b64 s[24:25], vcc, exec
	v_and_b32_e32 v10, 0xffff, v7
	s_or_b64 s[0:1], s[0:1], s[24:25]
	s_or_b64 exec, exec, s[6:7]
	s_and_saveexec_b64 s[6:7], s[0:1]
	s_cbranch_execnz .LBB315_2612
	s_branch .LBB315_2613
.LBB315_2634:
	s_mov_b64 s[0:1], -1
                                        ; implicit-def: $vgpr7
	s_branch .LBB315_2641
.LBB315_2635:
	s_mov_b64 s[0:1], -1
                                        ; implicit-def: $vgpr7
.LBB315_2636:
	s_and_b64 vcc, exec, s[0:1]
	s_cbranch_vccz .LBB315_2640
; %bb.2637:
	global_load_ubyte v7, v[0:1], off
	s_mov_b32 s0, 0x7f800000
	s_movk_i32 s1, 0xff
	s_waitcnt vmcnt(0)
	v_lshlrev_b32_e32 v7, 24, v7
	v_and_b32_e32 v7, 0x7f000000, v7
	v_ffbh_u32_e32 v10, v7
	v_min_u32_e32 v10, 32, v10
	v_sub_u32_e64 v10, v10, 4 clamp
	v_lshlrev_b32_e32 v12, v10, v7
	v_lshlrev_b32_e32 v10, 23, v10
	v_lshrrev_b32_e32 v12, 4, v12
	v_add_u32_e32 v11, 0x1000000, v7
	v_sub_u32_e32 v10, v12, v10
	v_ashrrev_i32_e32 v11, 8, v11
	v_add_u32_e32 v10, 0x3c000000, v10
	v_and_or_b32 v10, v11, s0, v10
	v_cmp_ne_u32_e32 vcc, 0, v7
	v_cndmask_b32_e32 v11, 0, v10, vcc
	v_lshrrev_b32_e32 v10, 23, v11
	v_cmp_ne_u32_e32 vcc, s1, v10
	v_mov_b32_e32 v7, 0xff
	s_and_saveexec_b64 s[4:5], vcc
; %bb.2638:
	v_and_b32_e32 v7, 0x400000, v11
	s_mov_b32 s0, 0x3fffff
	v_cmp_ne_u32_e32 vcc, 0, v7
	v_and_or_b32 v7, v11, s0, v10
	v_cmp_ne_u32_e64 s[0:1], 0, v7
	s_and_b64 s[0:1], vcc, s[0:1]
	v_cndmask_b32_e64 v7, 0, 1, s[0:1]
	v_add_u32_e32 v7, v10, v7
; %bb.2639:
	s_or_b64 exec, exec, s[4:5]
.LBB315_2640:
	s_mov_b64 s[0:1], 0
.LBB315_2641:
	s_andn2_b64 vcc, exec, s[0:1]
	s_cbranch_vccnz .LBB315_2645
; %bb.2642:
	global_load_ubyte v7, v[0:1], off
	s_movk_i32 s0, 0x7f00
	s_brev_b32 s1, 16
	s_movk_i32 s4, 0xff
	s_waitcnt vmcnt(0)
	v_lshlrev_b32_e32 v10, 8, v7
	v_lshlrev_b32_e32 v7, 25, v7
	v_lshrrev_b32_e32 v11, 4, v7
	v_and_or_b32 v10, v10, s0, 0.5
	v_or_b32_e32 v11, 0x70000000, v11
	v_add_f32_e32 v10, -0.5, v10
	v_mul_f32_e32 v11, 0x7800000, v11
	v_cmp_gt_u32_e32 vcc, s1, v7
	v_cndmask_b32_e32 v10, v11, v10, vcc
	v_bfe_u32 v11, v10, 23, 8
	v_cmp_ne_u32_e32 vcc, s4, v11
	v_mov_b32_e32 v7, 0xff
	s_and_saveexec_b64 s[4:5], vcc
; %bb.2643:
	s_mov_b32 s0, 0x3fffff
	v_lshrrev_b32_e32 v7, 23, v10
	v_and_b32_e32 v12, 0x400000, v10
	v_and_or_b32 v10, v10, s0, v11
	v_cmp_ne_u32_e32 vcc, 0, v12
	v_cmp_ne_u32_e64 s[0:1], 0, v10
	s_and_b64 s[0:1], vcc, s[0:1]
	v_cndmask_b32_e64 v10, 0, 1, s[0:1]
	v_add_u32_e32 v7, v7, v10
; %bb.2644:
	s_or_b64 exec, exec, s[4:5]
.LBB315_2645:
	s_mov_b64 s[4:5], 0
	s_mov_b64 s[0:1], -1
.LBB315_2646:
	s_andn2_b64 vcc, exec, s[4:5]
	s_mov_b64 s[4:5], 0
	s_cbranch_vccnz .LBB315_2659
; %bb.2647:
	s_cmp_gt_i32 s28, 14
	s_cbranch_scc0 .LBB315_2652
; %bb.2648:
	s_cmp_eq_u32 s28, 15
	s_cbranch_scc0 .LBB315_2655
; %bb.2649:
	global_load_ushort v10, v[0:1], off
	s_movk_i32 s0, 0xff
	s_waitcnt vmcnt(1)
	v_mov_b32_e32 v7, 0xff
	s_waitcnt vmcnt(0)
	v_bfe_u32 v11, v10, 7, 8
	v_cmp_ne_u32_e32 vcc, s0, v11
	s_and_saveexec_b64 s[2:3], vcc
	s_cbranch_execz .LBB315_2651
; %bb.2650:
	v_lshrrev_b32_e32 v7, 7, v10
	v_lshlrev_b32_e32 v12, 16, v10
	v_and_b32_e32 v10, 64, v10
	s_mov_b32 s0, 0x3f0000
	v_cmp_ne_u32_e32 vcc, 0, v10
	v_and_or_b32 v10, v12, s0, v11
	v_cmp_ne_u32_e64 s[0:1], 0, v10
	s_and_b64 s[0:1], vcc, s[0:1]
	v_cndmask_b32_e64 v10, 0, 1, s[0:1]
	v_add_u32_e32 v7, v7, v10
.LBB315_2651:
	s_or_b64 exec, exec, s[2:3]
	s_mov_b64 s[2:3], 0
	s_mov_b64 s[0:1], -1
	s_branch .LBB315_2656
.LBB315_2652:
	s_mov_b64 s[6:7], -1
                                        ; implicit-def: $vgpr7
	s_branch .LBB315_2657
.LBB315_2653:
	s_or_saveexec_b64 s[4:5], s[4:5]
	v_mov_b32_e32 v10, 0x7f800001
	s_xor_b64 exec, exec, s[4:5]
	s_cbranch_execz .LBB315_2626
.LBB315_2654:
	v_cmp_ne_u16_e32 vcc, 0, v7
	s_andn2_b64 s[0:1], s[0:1], exec
	s_and_b64 s[6:7], vcc, exec
	v_and_b32_e32 v10, 0xffff, v7
	s_or_b64 s[0:1], s[0:1], s[6:7]
	s_or_b64 exec, exec, s[4:5]
	s_and_saveexec_b64 s[4:5], s[0:1]
	s_cbranch_execnz .LBB315_2627
	s_branch .LBB315_2628
.LBB315_2655:
	s_mov_b64 s[2:3], -1
                                        ; implicit-def: $vgpr7
.LBB315_2656:
	s_mov_b64 s[6:7], 0
.LBB315_2657:
	s_and_b64 vcc, exec, s[6:7]
	s_cbranch_vccz .LBB315_2659
; %bb.2658:
	s_cmp_lg_u32 s28, 11
	s_mov_b64 s[4:5], -1
	s_cselect_b64 s[2:3], -1, 0
.LBB315_2659:
	s_and_b64 vcc, exec, s[2:3]
	s_cbranch_vccnz .LBB315_2750
; %bb.2660:
	s_andn2_b64 vcc, exec, s[4:5]
	s_cbranch_vccnz .LBB315_2664
.LBB315_2661:
	global_load_ubyte v7, v[0:1], off
	s_movk_i32 s0, 0xff
	s_waitcnt vmcnt(0)
	v_cmp_ne_u16_e32 vcc, 0, v7
	v_cndmask_b32_e64 v11, 0, 1.0, vcc
	v_lshrrev_b32_e32 v10, 23, v11
	v_cmp_ne_u32_e32 vcc, s0, v10
	v_mov_b32_e32 v7, 0xff
	s_and_saveexec_b64 s[2:3], vcc
; %bb.2662:
	v_and_b32_e32 v7, 0x400000, v11
	s_mov_b32 s0, 0x3fffff
	v_cmp_ne_u32_e32 vcc, 0, v7
	v_and_or_b32 v7, v11, s0, v10
	v_cmp_ne_u32_e64 s[0:1], 0, v7
	s_and_b64 s[0:1], vcc, s[0:1]
	v_cndmask_b32_e64 v7, 0, 1, s[0:1]
	v_add_u32_e32 v7, v10, v7
; %bb.2663:
	s_or_b64 exec, exec, s[2:3]
	s_mov_b64 s[0:1], -1
.LBB315_2664:
	s_mov_b64 s[2:3], 0
.LBB315_2665:
	s_and_b64 vcc, exec, s[2:3]
	s_cbranch_vccz .LBB315_2736
; %bb.2666:
	s_and_b32 s4, 0xffff, s26
	s_cmp_lt_i32 s4, 5
	s_cbranch_scc1 .LBB315_2673
; %bb.2667:
	s_cmp_lt_i32 s4, 8
	s_cbranch_scc1 .LBB315_2674
; %bb.2668:
	;; [unrolled: 3-line block ×3, first 2 shown]
	s_cmp_gt_i32 s4, 9
	s_cbranch_scc0 .LBB315_2676
; %bb.2670:
	global_load_dwordx2 v[10:11], v[0:1], off
	s_movk_i32 s0, 0xff
	s_waitcnt vmcnt(1)
	v_mov_b32_e32 v7, 0xff
	s_waitcnt vmcnt(0)
	v_cvt_f32_f64_e32 v10, v[10:11]
	v_bfe_u32 v11, v10, 23, 8
	v_cmp_ne_u32_e32 vcc, s0, v11
	s_and_saveexec_b64 s[2:3], vcc
; %bb.2671:
	s_mov_b32 s0, 0x3fffff
	v_lshrrev_b32_e32 v7, 23, v10
	v_and_b32_e32 v12, 0x400000, v10
	v_and_or_b32 v10, v10, s0, v11
	v_cmp_ne_u32_e32 vcc, 0, v12
	v_cmp_ne_u32_e64 s[0:1], 0, v10
	s_and_b64 s[0:1], vcc, s[0:1]
	v_cndmask_b32_e64 v10, 0, 1, s[0:1]
	v_add_u32_e32 v7, v7, v10
; %bb.2672:
	s_or_b64 exec, exec, s[2:3]
	s_mov_b64 s[0:1], 0
	s_branch .LBB315_2677
.LBB315_2673:
	s_mov_b64 s[0:1], -1
                                        ; implicit-def: $vgpr7
	s_branch .LBB315_2705
.LBB315_2674:
	s_mov_b64 s[0:1], -1
                                        ; implicit-def: $vgpr7
	s_branch .LBB315_2687
.LBB315_2675:
	s_mov_b64 s[0:1], -1
                                        ; implicit-def: $vgpr7
	s_branch .LBB315_2682
.LBB315_2676:
	s_mov_b64 s[0:1], -1
                                        ; implicit-def: $vgpr7
.LBB315_2677:
	s_andn2_b64 vcc, exec, s[0:1]
	s_cbranch_vccnz .LBB315_2681
; %bb.2678:
	global_load_dword v10, v[0:1], off
	s_movk_i32 s0, 0xff
	s_waitcnt vmcnt(1)
	v_mov_b32_e32 v7, 0xff
	s_waitcnt vmcnt(0)
	v_bfe_u32 v11, v10, 23, 8
	v_cmp_ne_u32_e32 vcc, s0, v11
	s_and_saveexec_b64 s[2:3], vcc
; %bb.2679:
	s_mov_b32 s0, 0x3fffff
	v_lshrrev_b32_e32 v7, 23, v10
	v_and_b32_e32 v12, 0x400000, v10
	v_and_or_b32 v10, v10, s0, v11
	v_cmp_ne_u32_e32 vcc, 0, v12
	v_cmp_ne_u32_e64 s[0:1], 0, v10
	s_and_b64 s[0:1], vcc, s[0:1]
	v_cndmask_b32_e64 v10, 0, 1, s[0:1]
	v_add_u32_e32 v7, v7, v10
; %bb.2680:
	s_or_b64 exec, exec, s[2:3]
.LBB315_2681:
	s_mov_b64 s[0:1], 0
.LBB315_2682:
	s_andn2_b64 vcc, exec, s[0:1]
	s_cbranch_vccnz .LBB315_2686
; %bb.2683:
	global_load_dword v7, v[0:1], off
	s_movk_i32 s0, 0xff
	s_waitcnt vmcnt(0)
	v_cvt_f32_f16_e32 v10, v7
	v_mov_b32_e32 v7, 0xff
	v_bfe_u32 v11, v10, 23, 8
	v_cmp_ne_u32_e32 vcc, s0, v11
	s_and_saveexec_b64 s[2:3], vcc
; %bb.2684:
	s_mov_b32 s0, 0x3fffff
	v_lshrrev_b32_e32 v7, 23, v10
	v_and_b32_e32 v12, 0x400000, v10
	v_and_or_b32 v10, v10, s0, v11
	v_cmp_ne_u32_e32 vcc, 0, v12
	v_cmp_ne_u32_e64 s[0:1], 0, v10
	s_and_b64 s[0:1], vcc, s[0:1]
	v_cndmask_b32_e64 v10, 0, 1, s[0:1]
	v_add_u32_e32 v7, v7, v10
; %bb.2685:
	s_or_b64 exec, exec, s[2:3]
.LBB315_2686:
	s_mov_b64 s[0:1], 0
.LBB315_2687:
	s_andn2_b64 vcc, exec, s[0:1]
	s_cbranch_vccnz .LBB315_2704
; %bb.2688:
	s_cmp_lt_i32 s4, 6
	s_cbranch_scc1 .LBB315_2693
; %bb.2689:
	s_cmp_gt_i32 s4, 6
	s_cbranch_scc0 .LBB315_2694
; %bb.2690:
	global_load_dwordx2 v[10:11], v[0:1], off
	s_movk_i32 s0, 0xff
	s_waitcnt vmcnt(1)
	v_mov_b32_e32 v7, 0xff
	s_waitcnt vmcnt(0)
	v_cvt_f32_f64_e32 v10, v[10:11]
	v_bfe_u32 v11, v10, 23, 8
	v_cmp_ne_u32_e32 vcc, s0, v11
	s_and_saveexec_b64 s[2:3], vcc
; %bb.2691:
	s_mov_b32 s0, 0x3fffff
	v_lshrrev_b32_e32 v7, 23, v10
	v_and_b32_e32 v12, 0x400000, v10
	v_and_or_b32 v10, v10, s0, v11
	v_cmp_ne_u32_e32 vcc, 0, v12
	v_cmp_ne_u32_e64 s[0:1], 0, v10
	s_and_b64 s[0:1], vcc, s[0:1]
	v_cndmask_b32_e64 v10, 0, 1, s[0:1]
	v_add_u32_e32 v7, v7, v10
; %bb.2692:
	s_or_b64 exec, exec, s[2:3]
	s_mov_b64 s[0:1], 0
	s_branch .LBB315_2695
.LBB315_2693:
	s_mov_b64 s[0:1], -1
                                        ; implicit-def: $vgpr7
	s_branch .LBB315_2700
.LBB315_2694:
	s_mov_b64 s[0:1], -1
                                        ; implicit-def: $vgpr7
.LBB315_2695:
	s_andn2_b64 vcc, exec, s[0:1]
	s_cbranch_vccnz .LBB315_2699
; %bb.2696:
	global_load_dword v10, v[0:1], off
	s_movk_i32 s0, 0xff
	s_waitcnt vmcnt(1)
	v_mov_b32_e32 v7, 0xff
	s_waitcnt vmcnt(0)
	v_bfe_u32 v11, v10, 23, 8
	v_cmp_ne_u32_e32 vcc, s0, v11
	s_and_saveexec_b64 s[2:3], vcc
; %bb.2697:
	s_mov_b32 s0, 0x3fffff
	v_lshrrev_b32_e32 v7, 23, v10
	v_and_b32_e32 v12, 0x400000, v10
	v_and_or_b32 v10, v10, s0, v11
	v_cmp_ne_u32_e32 vcc, 0, v12
	v_cmp_ne_u32_e64 s[0:1], 0, v10
	s_and_b64 s[0:1], vcc, s[0:1]
	v_cndmask_b32_e64 v10, 0, 1, s[0:1]
	v_add_u32_e32 v7, v7, v10
; %bb.2698:
	s_or_b64 exec, exec, s[2:3]
.LBB315_2699:
	s_mov_b64 s[0:1], 0
.LBB315_2700:
	s_andn2_b64 vcc, exec, s[0:1]
	s_cbranch_vccnz .LBB315_2704
; %bb.2701:
	global_load_ushort v7, v[0:1], off
	s_movk_i32 s0, 0xff
	s_waitcnt vmcnt(0)
	v_cvt_f32_f16_e32 v10, v7
	v_mov_b32_e32 v7, 0xff
	v_bfe_u32 v11, v10, 23, 8
	v_cmp_ne_u32_e32 vcc, s0, v11
	s_and_saveexec_b64 s[2:3], vcc
; %bb.2702:
	s_mov_b32 s0, 0x3fffff
	v_lshrrev_b32_e32 v7, 23, v10
	v_and_b32_e32 v12, 0x400000, v10
	v_and_or_b32 v10, v10, s0, v11
	v_cmp_ne_u32_e32 vcc, 0, v12
	v_cmp_ne_u32_e64 s[0:1], 0, v10
	s_and_b64 s[0:1], vcc, s[0:1]
	v_cndmask_b32_e64 v10, 0, 1, s[0:1]
	v_add_u32_e32 v7, v7, v10
; %bb.2703:
	s_or_b64 exec, exec, s[2:3]
.LBB315_2704:
	s_mov_b64 s[0:1], 0
.LBB315_2705:
	s_andn2_b64 vcc, exec, s[0:1]
	s_cbranch_vccnz .LBB315_2735
; %bb.2706:
	s_cmp_lt_i32 s4, 2
	s_cbranch_scc1 .LBB315_2712
; %bb.2707:
	s_cmp_lt_i32 s4, 3
	s_cbranch_scc1 .LBB315_2713
; %bb.2708:
	s_cmp_gt_i32 s4, 3
	s_cbranch_scc0 .LBB315_2714
; %bb.2709:
	global_load_dwordx2 v[10:11], v[0:1], off
	s_movk_i32 s0, 0xff
	s_waitcnt vmcnt(0)
	v_xor_b32_e32 v12, v10, v11
	v_ffbh_i32_e32 v7, v11
	v_ashrrev_i32_e32 v12, 31, v12
	v_add_u32_e32 v7, -1, v7
	v_add_u32_e32 v12, 32, v12
	v_min_u32_e32 v7, v7, v12
	v_lshlrev_b64 v[10:11], v7, v[10:11]
	v_sub_u32_e32 v7, 32, v7
	v_min_u32_e32 v10, 1, v10
	v_or_b32_e32 v10, v11, v10
	v_cvt_f32_i32_e32 v10, v10
	v_ldexp_f32 v10, v10, v7
	v_bfe_u32 v11, v10, 23, 8
	v_cmp_ne_u32_e32 vcc, s0, v11
	v_mov_b32_e32 v7, 0xff
	s_and_saveexec_b64 s[2:3], vcc
; %bb.2710:
	s_mov_b32 s0, 0x3fffff
	v_lshrrev_b32_e32 v7, 23, v10
	v_and_b32_e32 v12, 0x400000, v10
	v_and_or_b32 v10, v10, s0, v11
	v_cmp_ne_u32_e32 vcc, 0, v12
	v_cmp_ne_u32_e64 s[0:1], 0, v10
	s_and_b64 s[0:1], vcc, s[0:1]
	v_cndmask_b32_e64 v10, 0, 1, s[0:1]
	v_add_u32_e32 v7, v7, v10
; %bb.2711:
	s_or_b64 exec, exec, s[2:3]
	s_mov_b64 s[0:1], 0
	s_branch .LBB315_2715
.LBB315_2712:
	s_mov_b64 s[0:1], -1
                                        ; implicit-def: $vgpr7
	s_branch .LBB315_2725
.LBB315_2713:
	s_mov_b64 s[0:1], -1
                                        ; implicit-def: $vgpr7
	s_branch .LBB315_2720
.LBB315_2714:
	s_mov_b64 s[0:1], -1
                                        ; implicit-def: $vgpr7
.LBB315_2715:
	s_andn2_b64 vcc, exec, s[0:1]
	s_cbranch_vccnz .LBB315_2719
; %bb.2716:
	global_load_dword v7, v[0:1], off
	s_movk_i32 s0, 0xff
	s_waitcnt vmcnt(0)
	v_cvt_f32_i32_e32 v10, v7
	v_mov_b32_e32 v7, 0xff
	v_bfe_u32 v11, v10, 23, 8
	v_cmp_ne_u32_e32 vcc, s0, v11
	s_and_saveexec_b64 s[2:3], vcc
; %bb.2717:
	s_mov_b32 s0, 0x3fffff
	v_lshrrev_b32_e32 v7, 23, v10
	v_and_b32_e32 v12, 0x400000, v10
	v_and_or_b32 v10, v10, s0, v11
	v_cmp_ne_u32_e32 vcc, 0, v12
	v_cmp_ne_u32_e64 s[0:1], 0, v10
	s_and_b64 s[0:1], vcc, s[0:1]
	v_cndmask_b32_e64 v10, 0, 1, s[0:1]
	v_add_u32_e32 v7, v7, v10
; %bb.2718:
	s_or_b64 exec, exec, s[2:3]
.LBB315_2719:
	s_mov_b64 s[0:1], 0
.LBB315_2720:
	s_andn2_b64 vcc, exec, s[0:1]
	s_cbranch_vccnz .LBB315_2724
; %bb.2721:
	global_load_sshort v7, v[0:1], off
	s_movk_i32 s0, 0xff
	s_waitcnt vmcnt(0)
	v_cvt_f32_i32_e32 v10, v7
	v_mov_b32_e32 v7, 0xff
	v_bfe_u32 v11, v10, 23, 8
	v_cmp_ne_u32_e32 vcc, s0, v11
	s_and_saveexec_b64 s[2:3], vcc
; %bb.2722:
	s_mov_b32 s0, 0x3fffff
	v_lshrrev_b32_e32 v7, 23, v10
	v_and_b32_e32 v12, 0x400000, v10
	v_and_or_b32 v10, v10, s0, v11
	v_cmp_ne_u32_e32 vcc, 0, v12
	v_cmp_ne_u32_e64 s[0:1], 0, v10
	s_and_b64 s[0:1], vcc, s[0:1]
	v_cndmask_b32_e64 v10, 0, 1, s[0:1]
	v_add_u32_e32 v7, v7, v10
; %bb.2723:
	s_or_b64 exec, exec, s[2:3]
.LBB315_2724:
	s_mov_b64 s[0:1], 0
.LBB315_2725:
	s_andn2_b64 vcc, exec, s[0:1]
	s_cbranch_vccnz .LBB315_2735
; %bb.2726:
	s_cmp_gt_i32 s4, 0
	s_cbranch_scc0 .LBB315_2730
; %bb.2727:
	global_load_sbyte v7, v[0:1], off
	s_movk_i32 s0, 0xff
	s_waitcnt vmcnt(0)
	v_cvt_f32_i32_e32 v10, v7
	v_mov_b32_e32 v7, 0xff
	v_bfe_u32 v11, v10, 23, 8
	v_cmp_ne_u32_e32 vcc, s0, v11
	s_and_saveexec_b64 s[2:3], vcc
; %bb.2728:
	s_mov_b32 s0, 0x3fffff
	v_lshrrev_b32_e32 v7, 23, v10
	v_and_b32_e32 v12, 0x400000, v10
	v_and_or_b32 v10, v10, s0, v11
	v_cmp_ne_u32_e32 vcc, 0, v12
	v_cmp_ne_u32_e64 s[0:1], 0, v10
	s_and_b64 s[0:1], vcc, s[0:1]
	v_cndmask_b32_e64 v10, 0, 1, s[0:1]
	v_add_u32_e32 v7, v7, v10
; %bb.2729:
	s_or_b64 exec, exec, s[2:3]
	s_mov_b64 s[0:1], 0
	s_branch .LBB315_2731
.LBB315_2730:
	s_mov_b64 s[0:1], -1
                                        ; implicit-def: $vgpr7
.LBB315_2731:
	s_andn2_b64 vcc, exec, s[0:1]
	s_cbranch_vccnz .LBB315_2735
; %bb.2732:
	global_load_ubyte v0, v[0:1], off
	s_movk_i32 s0, 0xff
	s_waitcnt vmcnt(1)
	v_mov_b32_e32 v7, 0xff
	s_waitcnt vmcnt(0)
	v_cvt_f32_ubyte0_e32 v1, v0
	v_lshrrev_b32_e32 v0, 23, v1
	v_cmp_ne_u32_e32 vcc, s0, v0
	s_and_saveexec_b64 s[2:3], vcc
; %bb.2733:
	s_mov_b32 s0, 0x3fffff
	v_and_b32_e32 v7, 0x400000, v1
	v_and_or_b32 v1, v1, s0, v0
	v_cmp_ne_u32_e32 vcc, 0, v7
	v_cmp_ne_u32_e64 s[0:1], 0, v1
	s_and_b64 s[0:1], vcc, s[0:1]
	v_cndmask_b32_e64 v1, 0, 1, s[0:1]
	v_add_u32_e32 v7, v0, v1
; %bb.2734:
	s_or_b64 exec, exec, s[2:3]
.LBB315_2735:
	s_mov_b64 s[0:1], -1
.LBB315_2736:
	s_andn2_b64 vcc, exec, s[0:1]
	s_cbranch_vccnz .LBB315_3688
; %bb.2737:
	v_add_u32_e32 v10, s14, v8
	v_ashrrev_i32_e32 v1, 31, v10
	v_mov_b32_e32 v8, s17
	v_add_co_u32_e32 v0, vcc, s16, v10
	s_cmp_lt_i32 s27, 11
	v_addc_co_u32_e32 v1, vcc, v8, v1, vcc
	s_cbranch_scc1 .LBB315_2746
; %bb.2738:
	s_and_b32 s28, 0xffff, s27
	s_cmp_gt_i32 s28, 25
	s_mov_b64 s[4:5], 0
	s_cbranch_scc0 .LBB315_2747
; %bb.2739:
	s_cmp_gt_i32 s28, 28
	s_cbranch_scc0 .LBB315_2748
; %bb.2740:
	s_cmp_gt_i32 s28, 43
	;; [unrolled: 3-line block ×3, first 2 shown]
	s_cbranch_scc0 .LBB315_2751
; %bb.2742:
	s_cmp_eq_u32 s28, 46
	s_mov_b64 s[6:7], 0
	s_cbranch_scc0 .LBB315_2754
; %bb.2743:
	global_load_dword v11, v[0:1], off
	s_movk_i32 s0, 0xff
	v_mov_b32_e32 v8, 0xff
	s_waitcnt vmcnt(0)
	v_lshlrev_b32_e32 v12, 16, v11
	v_bfe_u32 v13, v12, 23, 8
	v_cmp_ne_u32_e32 vcc, s0, v13
	s_and_saveexec_b64 s[2:3], vcc
; %bb.2744:
	v_bfe_u32 v8, v11, 7, 9
	v_and_b32_e32 v11, 64, v11
	s_mov_b32 s0, 0x3f0000
	v_cmp_ne_u32_e32 vcc, 0, v11
	v_and_or_b32 v11, v12, s0, v13
	v_cmp_ne_u32_e64 s[0:1], 0, v11
	s_and_b64 s[0:1], vcc, s[0:1]
	v_cndmask_b32_e64 v11, 0, 1, s[0:1]
	v_add_u32_e32 v8, v8, v11
; %bb.2745:
	s_or_b64 exec, exec, s[2:3]
	s_mov_b64 s[2:3], 0
	s_mov_b64 s[0:1], -1
	s_branch .LBB315_2755
.LBB315_2746:
	s_mov_b64 s[2:3], -1
	s_mov_b64 s[0:1], 0
                                        ; implicit-def: $vgpr8
	s_branch .LBB315_2839
.LBB315_2747:
	s_mov_b64 s[6:7], -1
	s_mov_b64 s[0:1], 0
	s_mov_b64 s[2:3], 0
                                        ; implicit-def: $vgpr8
	s_branch .LBB315_2792
.LBB315_2748:
	s_mov_b64 s[6:7], -1
	s_mov_b64 s[0:1], 0
	s_mov_b64 s[2:3], 0
                                        ; implicit-def: $vgpr8
	s_branch .LBB315_2767
.LBB315_2749:
	s_mov_b64 s[6:7], -1
	s_mov_b64 s[0:1], 0
	s_mov_b64 s[2:3], 0
                                        ; implicit-def: $vgpr8
	s_branch .LBB315_2760
.LBB315_2750:
	s_trap 2
	s_or_b64 s[22:23], s[22:23], exec
	s_cbranch_execz .LBB315_2661
	s_branch .LBB315_2664
.LBB315_2751:
	s_mov_b64 s[6:7], -1
	s_mov_b64 s[0:1], 0
	s_mov_b64 s[2:3], 0
                                        ; implicit-def: $vgpr8
	s_branch .LBB315_2755
.LBB315_2752:
	s_andn2_saveexec_b64 s[48:49], s[48:49]
	s_cbranch_execz .LBB315_1340
.LBB315_2753:
	v_add_f32_e32 v3, 0x42800000, v4
	v_and_b32_e32 v3, 0xff, v3
	v_cmp_ne_u32_e32 vcc, 0, v3
	s_andn2_b64 s[46:47], s[46:47], exec
	s_and_b64 s[56:57], vcc, exec
	s_or_b64 s[46:47], s[46:47], s[56:57]
	s_or_b64 exec, exec, s[48:49]
	v_mov_b32_e32 v5, 0
	s_and_saveexec_b64 s[48:49], s[46:47]
	s_cbranch_execnz .LBB315_1341
	s_branch .LBB315_1342
.LBB315_2754:
	s_mov_b64 s[2:3], -1
                                        ; implicit-def: $vgpr8
	s_mov_b64 s[0:1], 0
.LBB315_2755:
	s_and_b64 vcc, exec, s[6:7]
	s_cbranch_vccz .LBB315_2759
; %bb.2756:
	s_cmp_eq_u32 s28, 44
	s_cbranch_scc0 .LBB315_2758
; %bb.2757:
	global_load_ubyte v8, v[0:1], off
	s_mov_b64 s[2:3], 0
	s_mov_b64 s[0:1], -1
	s_branch .LBB315_2759
.LBB315_2758:
	s_mov_b64 s[2:3], -1
                                        ; implicit-def: $vgpr8
.LBB315_2759:
	s_mov_b64 s[6:7], 0
.LBB315_2760:
	s_and_b64 vcc, exec, s[6:7]
	s_cbranch_vccz .LBB315_2766
; %bb.2761:
	s_cmp_eq_u32 s28, 29
	s_cbranch_scc0 .LBB315_2765
; %bb.2762:
	global_load_dwordx2 v[11:12], v[0:1], off
	s_movk_i32 s0, 0xff
	s_waitcnt vmcnt(0)
	v_ffbh_u32_e32 v8, v12
	v_min_u32_e32 v8, 32, v8
	v_lshlrev_b64 v[11:12], v8, v[11:12]
	v_sub_u32_e32 v8, 32, v8
	v_min_u32_e32 v11, 1, v11
	v_or_b32_e32 v11, v12, v11
	v_cvt_f32_u32_e32 v11, v11
	v_ldexp_f32 v12, v11, v8
	v_lshrrev_b32_e32 v11, 23, v12
	v_cmp_ne_u32_e32 vcc, s0, v11
	v_mov_b32_e32 v8, 0xff
	s_and_saveexec_b64 s[2:3], vcc
; %bb.2763:
	v_and_b32_e32 v8, 0x400000, v12
	s_mov_b32 s0, 0x3fffff
	v_cmp_ne_u32_e32 vcc, 0, v8
	v_and_or_b32 v8, v12, s0, v11
	v_cmp_ne_u32_e64 s[0:1], 0, v8
	s_and_b64 s[0:1], vcc, s[0:1]
	v_cndmask_b32_e64 v8, 0, 1, s[0:1]
	v_add_u32_e32 v8, v11, v8
; %bb.2764:
	s_or_b64 exec, exec, s[2:3]
	s_mov_b64 s[2:3], 0
	s_mov_b64 s[0:1], -1
	s_branch .LBB315_2766
.LBB315_2765:
	s_mov_b64 s[2:3], -1
                                        ; implicit-def: $vgpr8
.LBB315_2766:
	s_mov_b64 s[6:7], 0
.LBB315_2767:
	s_and_b64 vcc, exec, s[6:7]
	s_cbranch_vccz .LBB315_2791
; %bb.2768:
	s_cmp_lt_i32 s28, 27
	s_cbranch_scc1 .LBB315_2773
; %bb.2769:
	s_cmp_gt_i32 s28, 27
	s_cbranch_scc0 .LBB315_2774
; %bb.2770:
	global_load_dword v8, v[0:1], off
	s_movk_i32 s0, 0xff
	s_waitcnt vmcnt(0)
	v_cvt_f32_u32_e32 v12, v8
	v_mov_b32_e32 v8, 0xff
	v_lshrrev_b32_e32 v11, 23, v12
	v_cmp_ne_u32_e32 vcc, s0, v11
	s_and_saveexec_b64 s[6:7], vcc
; %bb.2771:
	v_and_b32_e32 v8, 0x400000, v12
	s_mov_b32 s0, 0x3fffff
	v_cmp_ne_u32_e32 vcc, 0, v8
	v_and_or_b32 v8, v12, s0, v11
	v_cmp_ne_u32_e64 s[0:1], 0, v8
	s_and_b64 s[0:1], vcc, s[0:1]
	v_cndmask_b32_e64 v8, 0, 1, s[0:1]
	v_add_u32_e32 v8, v11, v8
; %bb.2772:
	s_or_b64 exec, exec, s[6:7]
	s_mov_b64 s[0:1], 0
	s_branch .LBB315_2775
.LBB315_2773:
	s_mov_b64 s[0:1], -1
                                        ; implicit-def: $vgpr8
	s_branch .LBB315_2780
.LBB315_2774:
	s_mov_b64 s[0:1], -1
                                        ; implicit-def: $vgpr8
.LBB315_2775:
	s_andn2_b64 vcc, exec, s[0:1]
	s_cbranch_vccnz .LBB315_2779
; %bb.2776:
	global_load_ushort v8, v[0:1], off
	s_movk_i32 s0, 0xff
	s_waitcnt vmcnt(0)
	v_cvt_f32_u32_e32 v12, v8
	v_mov_b32_e32 v8, 0xff
	v_lshrrev_b32_e32 v11, 23, v12
	v_cmp_ne_u32_e32 vcc, s0, v11
	s_and_saveexec_b64 s[6:7], vcc
; %bb.2777:
	v_and_b32_e32 v8, 0x400000, v12
	s_mov_b32 s0, 0x3fffff
	v_cmp_ne_u32_e32 vcc, 0, v8
	v_and_or_b32 v8, v12, s0, v11
	v_cmp_ne_u32_e64 s[0:1], 0, v8
	s_and_b64 s[0:1], vcc, s[0:1]
	v_cndmask_b32_e64 v8, 0, 1, s[0:1]
	v_add_u32_e32 v8, v11, v8
; %bb.2778:
	s_or_b64 exec, exec, s[6:7]
.LBB315_2779:
	s_mov_b64 s[0:1], 0
.LBB315_2780:
	s_andn2_b64 vcc, exec, s[0:1]
	s_cbranch_vccnz .LBB315_2790
; %bb.2781:
	global_load_ubyte v8, v[0:1], off
	s_movk_i32 s0, 0x7f
	s_waitcnt vmcnt(0)
	v_cmp_lt_i16_e32 vcc, s0, v8
	s_mov_b64 s[0:1], 0
	s_and_saveexec_b64 s[6:7], vcc
	s_xor_b64 s[6:7], exec, s[6:7]
	s_cbranch_execz .LBB315_2806
; %bb.2782:
	s_movk_i32 s0, 0x80
	v_cmp_eq_u16_e32 vcc, s0, v8
	s_mov_b64 s[0:1], -1
	s_and_saveexec_b64 s[24:25], vcc
; %bb.2783:
	s_xor_b64 s[0:1], exec, -1
; %bb.2784:
	s_or_b64 exec, exec, s[24:25]
	s_and_b64 s[0:1], s[0:1], exec
	s_or_saveexec_b64 s[6:7], s[6:7]
	v_mov_b32_e32 v11, 0x7f800001
	s_xor_b64 exec, exec, s[6:7]
	s_cbranch_execnz .LBB315_2807
.LBB315_2785:
	s_or_b64 exec, exec, s[6:7]
	s_and_saveexec_b64 s[6:7], s[0:1]
	s_cbranch_execz .LBB315_2787
.LBB315_2786:
	v_and_b32_e32 v8, 0xffff, v8
	v_and_b32_e32 v11, 7, v8
	v_ffbh_u32_e32 v13, v11
	v_min_u32_e32 v13, 32, v13
	v_subrev_u32_e32 v14, 28, v13
	v_bfe_u32 v12, v8, 3, 4
	v_lshlrev_b32_e32 v8, v14, v8
	v_and_b32_e32 v8, 7, v8
	v_cmp_eq_u32_e32 vcc, 0, v12
	v_sub_u32_e32 v13, 29, v13
	v_cndmask_b32_e32 v8, v11, v8, vcc
	v_cndmask_b32_e32 v12, v12, v13, vcc
	v_lshlrev_b32_e32 v8, 20, v8
	v_lshl_or_b32 v8, v12, 23, v8
	v_add_u32_e32 v11, 0x3b800000, v8
.LBB315_2787:
	s_or_b64 exec, exec, s[6:7]
	v_lshrrev_b32_e32 v12, 23, v11
	s_movk_i32 s0, 0xff
	v_cmp_ne_u32_e32 vcc, s0, v12
	v_mov_b32_e32 v8, 0xff
	s_and_saveexec_b64 s[6:7], vcc
; %bb.2788:
	v_and_b32_e32 v8, 0x400000, v11
	s_mov_b32 s0, 0x3fffff
	v_cmp_ne_u32_e32 vcc, 0, v8
	v_and_or_b32 v8, v11, s0, v12
	v_cmp_ne_u32_e64 s[0:1], 0, v8
	s_and_b64 s[0:1], vcc, s[0:1]
	v_cndmask_b32_e64 v8, 0, 1, s[0:1]
	v_add_u32_e32 v8, v12, v8
; %bb.2789:
	s_or_b64 exec, exec, s[6:7]
.LBB315_2790:
	s_mov_b64 s[0:1], -1
.LBB315_2791:
	s_mov_b64 s[6:7], 0
.LBB315_2792:
	s_and_b64 vcc, exec, s[6:7]
	s_cbranch_vccz .LBB315_2833
; %bb.2793:
	s_cmp_gt_i32 s28, 22
	s_cbranch_scc0 .LBB315_2805
; %bb.2794:
	s_cmp_lt_i32 s28, 24
	s_cbranch_scc1 .LBB315_2808
; %bb.2795:
	s_cmp_gt_i32 s28, 24
	s_cbranch_scc0 .LBB315_2809
; %bb.2796:
	global_load_ubyte v8, v[0:1], off
	s_movk_i32 s0, 0x7f
	s_waitcnt vmcnt(0)
	v_cmp_lt_i16_e32 vcc, s0, v8
	s_mov_b64 s[0:1], 0
	s_and_saveexec_b64 s[4:5], vcc
	s_xor_b64 s[4:5], exec, s[4:5]
	s_cbranch_execz .LBB315_2827
; %bb.2797:
	s_movk_i32 s0, 0x80
	v_cmp_eq_u16_e32 vcc, s0, v8
	s_mov_b64 s[0:1], -1
	s_and_saveexec_b64 s[6:7], vcc
; %bb.2798:
	s_xor_b64 s[0:1], exec, -1
; %bb.2799:
	s_or_b64 exec, exec, s[6:7]
	s_and_b64 s[0:1], s[0:1], exec
	s_or_saveexec_b64 s[4:5], s[4:5]
	v_mov_b32_e32 v11, 0x7f800001
	s_xor_b64 exec, exec, s[4:5]
	s_cbranch_execnz .LBB315_2828
.LBB315_2800:
	s_or_b64 exec, exec, s[4:5]
	s_and_saveexec_b64 s[4:5], s[0:1]
	s_cbranch_execz .LBB315_2802
.LBB315_2801:
	v_and_b32_e32 v8, 0xffff, v8
	v_and_b32_e32 v11, 3, v8
	v_ffbh_u32_e32 v13, v11
	v_min_u32_e32 v13, 32, v13
	v_subrev_u32_e32 v14, 29, v13
	v_bfe_u32 v12, v8, 2, 5
	v_lshlrev_b32_e32 v8, v14, v8
	v_and_b32_e32 v8, 3, v8
	v_cmp_eq_u32_e32 vcc, 0, v12
	v_sub_u32_e32 v13, 30, v13
	v_cndmask_b32_e32 v8, v11, v8, vcc
	v_cndmask_b32_e32 v12, v12, v13, vcc
	v_lshlrev_b32_e32 v8, 21, v8
	v_lshl_or_b32 v8, v12, 23, v8
	v_add_u32_e32 v11, 0x37800000, v8
.LBB315_2802:
	s_or_b64 exec, exec, s[4:5]
	v_lshrrev_b32_e32 v12, 23, v11
	s_movk_i32 s0, 0xff
	v_cmp_ne_u32_e32 vcc, s0, v12
	v_mov_b32_e32 v8, 0xff
	s_and_saveexec_b64 s[4:5], vcc
; %bb.2803:
	v_and_b32_e32 v8, 0x400000, v11
	s_mov_b32 s0, 0x3fffff
	v_cmp_ne_u32_e32 vcc, 0, v8
	v_and_or_b32 v8, v11, s0, v12
	v_cmp_ne_u32_e64 s[0:1], 0, v8
	s_and_b64 s[0:1], vcc, s[0:1]
	v_cndmask_b32_e64 v8, 0, 1, s[0:1]
	v_add_u32_e32 v8, v12, v8
; %bb.2804:
	s_or_b64 exec, exec, s[4:5]
	s_mov_b64 s[0:1], 0
	s_branch .LBB315_2810
.LBB315_2805:
	s_mov_b64 s[4:5], -1
                                        ; implicit-def: $vgpr8
	s_branch .LBB315_2820
.LBB315_2806:
	s_or_saveexec_b64 s[6:7], s[6:7]
	v_mov_b32_e32 v11, 0x7f800001
	s_xor_b64 exec, exec, s[6:7]
	s_cbranch_execz .LBB315_2785
.LBB315_2807:
	v_cmp_ne_u16_e32 vcc, 0, v8
	s_andn2_b64 s[0:1], s[0:1], exec
	s_and_b64 s[24:25], vcc, exec
	v_and_b32_e32 v11, 0xffff, v8
	s_or_b64 s[0:1], s[0:1], s[24:25]
	s_or_b64 exec, exec, s[6:7]
	s_and_saveexec_b64 s[6:7], s[0:1]
	s_cbranch_execnz .LBB315_2786
	s_branch .LBB315_2787
.LBB315_2808:
	s_mov_b64 s[0:1], -1
                                        ; implicit-def: $vgpr8
	s_branch .LBB315_2815
.LBB315_2809:
	s_mov_b64 s[0:1], -1
                                        ; implicit-def: $vgpr8
.LBB315_2810:
	s_and_b64 vcc, exec, s[0:1]
	s_cbranch_vccz .LBB315_2814
; %bb.2811:
	global_load_ubyte v8, v[0:1], off
	s_mov_b32 s0, 0x7f800000
	s_movk_i32 s1, 0xff
	s_waitcnt vmcnt(0)
	v_lshlrev_b32_e32 v8, 24, v8
	v_and_b32_e32 v8, 0x7f000000, v8
	v_ffbh_u32_e32 v11, v8
	v_min_u32_e32 v11, 32, v11
	v_sub_u32_e64 v11, v11, 4 clamp
	v_lshlrev_b32_e32 v13, v11, v8
	v_lshlrev_b32_e32 v11, 23, v11
	v_lshrrev_b32_e32 v13, 4, v13
	v_add_u32_e32 v12, 0x1000000, v8
	v_sub_u32_e32 v11, v13, v11
	v_ashrrev_i32_e32 v12, 8, v12
	v_add_u32_e32 v11, 0x3c000000, v11
	v_and_or_b32 v11, v12, s0, v11
	v_cmp_ne_u32_e32 vcc, 0, v8
	v_cndmask_b32_e32 v12, 0, v11, vcc
	v_lshrrev_b32_e32 v11, 23, v12
	v_cmp_ne_u32_e32 vcc, s1, v11
	v_mov_b32_e32 v8, 0xff
	s_and_saveexec_b64 s[4:5], vcc
; %bb.2812:
	v_and_b32_e32 v8, 0x400000, v12
	s_mov_b32 s0, 0x3fffff
	v_cmp_ne_u32_e32 vcc, 0, v8
	v_and_or_b32 v8, v12, s0, v11
	v_cmp_ne_u32_e64 s[0:1], 0, v8
	s_and_b64 s[0:1], vcc, s[0:1]
	v_cndmask_b32_e64 v8, 0, 1, s[0:1]
	v_add_u32_e32 v8, v11, v8
; %bb.2813:
	s_or_b64 exec, exec, s[4:5]
.LBB315_2814:
	s_mov_b64 s[0:1], 0
.LBB315_2815:
	s_andn2_b64 vcc, exec, s[0:1]
	s_cbranch_vccnz .LBB315_2819
; %bb.2816:
	global_load_ubyte v8, v[0:1], off
	s_movk_i32 s0, 0x7f00
	s_brev_b32 s1, 16
	s_movk_i32 s4, 0xff
	s_waitcnt vmcnt(0)
	v_lshlrev_b32_e32 v11, 8, v8
	v_lshlrev_b32_e32 v8, 25, v8
	v_lshrrev_b32_e32 v12, 4, v8
	v_and_or_b32 v11, v11, s0, 0.5
	v_or_b32_e32 v12, 0x70000000, v12
	v_add_f32_e32 v11, -0.5, v11
	v_mul_f32_e32 v12, 0x7800000, v12
	v_cmp_gt_u32_e32 vcc, s1, v8
	v_cndmask_b32_e32 v11, v12, v11, vcc
	v_bfe_u32 v12, v11, 23, 8
	v_cmp_ne_u32_e32 vcc, s4, v12
	v_mov_b32_e32 v8, 0xff
	s_and_saveexec_b64 s[4:5], vcc
; %bb.2817:
	s_mov_b32 s0, 0x3fffff
	v_lshrrev_b32_e32 v8, 23, v11
	v_and_b32_e32 v13, 0x400000, v11
	v_and_or_b32 v11, v11, s0, v12
	v_cmp_ne_u32_e32 vcc, 0, v13
	v_cmp_ne_u32_e64 s[0:1], 0, v11
	s_and_b64 s[0:1], vcc, s[0:1]
	v_cndmask_b32_e64 v11, 0, 1, s[0:1]
	v_add_u32_e32 v8, v8, v11
; %bb.2818:
	s_or_b64 exec, exec, s[4:5]
.LBB315_2819:
	s_mov_b64 s[4:5], 0
	s_mov_b64 s[0:1], -1
.LBB315_2820:
	s_andn2_b64 vcc, exec, s[4:5]
	s_mov_b64 s[4:5], 0
	s_cbranch_vccnz .LBB315_2833
; %bb.2821:
	s_cmp_gt_i32 s28, 14
	s_cbranch_scc0 .LBB315_2826
; %bb.2822:
	s_cmp_eq_u32 s28, 15
	s_cbranch_scc0 .LBB315_2829
; %bb.2823:
	global_load_ushort v11, v[0:1], off
	s_movk_i32 s0, 0xff
	s_waitcnt vmcnt(1)
	v_mov_b32_e32 v8, 0xff
	s_waitcnt vmcnt(0)
	v_bfe_u32 v12, v11, 7, 8
	v_cmp_ne_u32_e32 vcc, s0, v12
	s_and_saveexec_b64 s[2:3], vcc
	s_cbranch_execz .LBB315_2825
; %bb.2824:
	v_lshrrev_b32_e32 v8, 7, v11
	v_lshlrev_b32_e32 v13, 16, v11
	v_and_b32_e32 v11, 64, v11
	s_mov_b32 s0, 0x3f0000
	v_cmp_ne_u32_e32 vcc, 0, v11
	v_and_or_b32 v11, v13, s0, v12
	v_cmp_ne_u32_e64 s[0:1], 0, v11
	s_and_b64 s[0:1], vcc, s[0:1]
	v_cndmask_b32_e64 v11, 0, 1, s[0:1]
	v_add_u32_e32 v8, v8, v11
.LBB315_2825:
	s_or_b64 exec, exec, s[2:3]
	s_mov_b64 s[2:3], 0
	s_mov_b64 s[0:1], -1
	s_branch .LBB315_2830
.LBB315_2826:
	s_mov_b64 s[6:7], -1
                                        ; implicit-def: $vgpr8
	s_branch .LBB315_2831
.LBB315_2827:
	s_or_saveexec_b64 s[4:5], s[4:5]
	v_mov_b32_e32 v11, 0x7f800001
	s_xor_b64 exec, exec, s[4:5]
	s_cbranch_execz .LBB315_2800
.LBB315_2828:
	v_cmp_ne_u16_e32 vcc, 0, v8
	s_andn2_b64 s[0:1], s[0:1], exec
	s_and_b64 s[6:7], vcc, exec
	v_and_b32_e32 v11, 0xffff, v8
	s_or_b64 s[0:1], s[0:1], s[6:7]
	s_or_b64 exec, exec, s[4:5]
	s_and_saveexec_b64 s[4:5], s[0:1]
	s_cbranch_execnz .LBB315_2801
	s_branch .LBB315_2802
.LBB315_2829:
	s_mov_b64 s[2:3], -1
                                        ; implicit-def: $vgpr8
.LBB315_2830:
	s_mov_b64 s[6:7], 0
.LBB315_2831:
	s_and_b64 vcc, exec, s[6:7]
	s_cbranch_vccz .LBB315_2833
; %bb.2832:
	s_cmp_lg_u32 s28, 11
	s_mov_b64 s[4:5], -1
	s_cselect_b64 s[2:3], -1, 0
.LBB315_2833:
	s_and_b64 vcc, exec, s[2:3]
	s_cbranch_vccnz .LBB315_2924
; %bb.2834:
	s_andn2_b64 vcc, exec, s[4:5]
	s_cbranch_vccnz .LBB315_2838
.LBB315_2835:
	global_load_ubyte v8, v[0:1], off
	s_movk_i32 s0, 0xff
	s_waitcnt vmcnt(0)
	v_cmp_ne_u16_e32 vcc, 0, v8
	v_cndmask_b32_e64 v12, 0, 1.0, vcc
	v_lshrrev_b32_e32 v11, 23, v12
	v_cmp_ne_u32_e32 vcc, s0, v11
	v_mov_b32_e32 v8, 0xff
	s_and_saveexec_b64 s[2:3], vcc
; %bb.2836:
	v_and_b32_e32 v8, 0x400000, v12
	s_mov_b32 s0, 0x3fffff
	v_cmp_ne_u32_e32 vcc, 0, v8
	v_and_or_b32 v8, v12, s0, v11
	v_cmp_ne_u32_e64 s[0:1], 0, v8
	s_and_b64 s[0:1], vcc, s[0:1]
	v_cndmask_b32_e64 v8, 0, 1, s[0:1]
	v_add_u32_e32 v8, v11, v8
; %bb.2837:
	s_or_b64 exec, exec, s[2:3]
	s_mov_b64 s[0:1], -1
.LBB315_2838:
	s_mov_b64 s[2:3], 0
.LBB315_2839:
	s_and_b64 vcc, exec, s[2:3]
	s_cbranch_vccz .LBB315_2910
; %bb.2840:
	s_and_b32 s4, 0xffff, s27
	s_cmp_lt_i32 s4, 5
	s_cbranch_scc1 .LBB315_2847
; %bb.2841:
	s_cmp_lt_i32 s4, 8
	s_cbranch_scc1 .LBB315_2848
; %bb.2842:
	;; [unrolled: 3-line block ×3, first 2 shown]
	s_cmp_gt_i32 s4, 9
	s_cbranch_scc0 .LBB315_2850
; %bb.2844:
	global_load_dwordx2 v[11:12], v[0:1], off
	s_movk_i32 s0, 0xff
	s_waitcnt vmcnt(1)
	v_mov_b32_e32 v8, 0xff
	s_waitcnt vmcnt(0)
	v_cvt_f32_f64_e32 v11, v[11:12]
	v_bfe_u32 v12, v11, 23, 8
	v_cmp_ne_u32_e32 vcc, s0, v12
	s_and_saveexec_b64 s[2:3], vcc
; %bb.2845:
	s_mov_b32 s0, 0x3fffff
	v_lshrrev_b32_e32 v8, 23, v11
	v_and_b32_e32 v13, 0x400000, v11
	v_and_or_b32 v11, v11, s0, v12
	v_cmp_ne_u32_e32 vcc, 0, v13
	v_cmp_ne_u32_e64 s[0:1], 0, v11
	s_and_b64 s[0:1], vcc, s[0:1]
	v_cndmask_b32_e64 v11, 0, 1, s[0:1]
	v_add_u32_e32 v8, v8, v11
; %bb.2846:
	s_or_b64 exec, exec, s[2:3]
	s_mov_b64 s[0:1], 0
	s_branch .LBB315_2851
.LBB315_2847:
	s_mov_b64 s[0:1], -1
                                        ; implicit-def: $vgpr8
	s_branch .LBB315_2879
.LBB315_2848:
	s_mov_b64 s[0:1], -1
                                        ; implicit-def: $vgpr8
	s_branch .LBB315_2861
.LBB315_2849:
	s_mov_b64 s[0:1], -1
                                        ; implicit-def: $vgpr8
	s_branch .LBB315_2856
.LBB315_2850:
	s_mov_b64 s[0:1], -1
                                        ; implicit-def: $vgpr8
.LBB315_2851:
	s_andn2_b64 vcc, exec, s[0:1]
	s_cbranch_vccnz .LBB315_2855
; %bb.2852:
	global_load_dword v11, v[0:1], off
	s_movk_i32 s0, 0xff
	s_waitcnt vmcnt(1)
	v_mov_b32_e32 v8, 0xff
	s_waitcnt vmcnt(0)
	v_bfe_u32 v12, v11, 23, 8
	v_cmp_ne_u32_e32 vcc, s0, v12
	s_and_saveexec_b64 s[2:3], vcc
; %bb.2853:
	s_mov_b32 s0, 0x3fffff
	v_lshrrev_b32_e32 v8, 23, v11
	v_and_b32_e32 v13, 0x400000, v11
	v_and_or_b32 v11, v11, s0, v12
	v_cmp_ne_u32_e32 vcc, 0, v13
	v_cmp_ne_u32_e64 s[0:1], 0, v11
	s_and_b64 s[0:1], vcc, s[0:1]
	v_cndmask_b32_e64 v11, 0, 1, s[0:1]
	v_add_u32_e32 v8, v8, v11
; %bb.2854:
	s_or_b64 exec, exec, s[2:3]
.LBB315_2855:
	s_mov_b64 s[0:1], 0
.LBB315_2856:
	s_andn2_b64 vcc, exec, s[0:1]
	s_cbranch_vccnz .LBB315_2860
; %bb.2857:
	global_load_dword v8, v[0:1], off
	s_movk_i32 s0, 0xff
	s_waitcnt vmcnt(0)
	v_cvt_f32_f16_e32 v11, v8
	v_mov_b32_e32 v8, 0xff
	v_bfe_u32 v12, v11, 23, 8
	v_cmp_ne_u32_e32 vcc, s0, v12
	s_and_saveexec_b64 s[2:3], vcc
; %bb.2858:
	s_mov_b32 s0, 0x3fffff
	v_lshrrev_b32_e32 v8, 23, v11
	v_and_b32_e32 v13, 0x400000, v11
	v_and_or_b32 v11, v11, s0, v12
	v_cmp_ne_u32_e32 vcc, 0, v13
	v_cmp_ne_u32_e64 s[0:1], 0, v11
	s_and_b64 s[0:1], vcc, s[0:1]
	v_cndmask_b32_e64 v11, 0, 1, s[0:1]
	v_add_u32_e32 v8, v8, v11
; %bb.2859:
	s_or_b64 exec, exec, s[2:3]
.LBB315_2860:
	s_mov_b64 s[0:1], 0
.LBB315_2861:
	s_andn2_b64 vcc, exec, s[0:1]
	s_cbranch_vccnz .LBB315_2878
; %bb.2862:
	s_cmp_lt_i32 s4, 6
	s_cbranch_scc1 .LBB315_2867
; %bb.2863:
	s_cmp_gt_i32 s4, 6
	s_cbranch_scc0 .LBB315_2868
; %bb.2864:
	global_load_dwordx2 v[11:12], v[0:1], off
	s_movk_i32 s0, 0xff
	s_waitcnt vmcnt(1)
	v_mov_b32_e32 v8, 0xff
	s_waitcnt vmcnt(0)
	v_cvt_f32_f64_e32 v11, v[11:12]
	v_bfe_u32 v12, v11, 23, 8
	v_cmp_ne_u32_e32 vcc, s0, v12
	s_and_saveexec_b64 s[2:3], vcc
; %bb.2865:
	s_mov_b32 s0, 0x3fffff
	v_lshrrev_b32_e32 v8, 23, v11
	v_and_b32_e32 v13, 0x400000, v11
	v_and_or_b32 v11, v11, s0, v12
	v_cmp_ne_u32_e32 vcc, 0, v13
	v_cmp_ne_u32_e64 s[0:1], 0, v11
	s_and_b64 s[0:1], vcc, s[0:1]
	v_cndmask_b32_e64 v11, 0, 1, s[0:1]
	v_add_u32_e32 v8, v8, v11
; %bb.2866:
	s_or_b64 exec, exec, s[2:3]
	s_mov_b64 s[0:1], 0
	s_branch .LBB315_2869
.LBB315_2867:
	s_mov_b64 s[0:1], -1
                                        ; implicit-def: $vgpr8
	s_branch .LBB315_2874
.LBB315_2868:
	s_mov_b64 s[0:1], -1
                                        ; implicit-def: $vgpr8
.LBB315_2869:
	s_andn2_b64 vcc, exec, s[0:1]
	s_cbranch_vccnz .LBB315_2873
; %bb.2870:
	global_load_dword v11, v[0:1], off
	s_movk_i32 s0, 0xff
	s_waitcnt vmcnt(1)
	v_mov_b32_e32 v8, 0xff
	s_waitcnt vmcnt(0)
	v_bfe_u32 v12, v11, 23, 8
	v_cmp_ne_u32_e32 vcc, s0, v12
	s_and_saveexec_b64 s[2:3], vcc
; %bb.2871:
	s_mov_b32 s0, 0x3fffff
	v_lshrrev_b32_e32 v8, 23, v11
	v_and_b32_e32 v13, 0x400000, v11
	v_and_or_b32 v11, v11, s0, v12
	v_cmp_ne_u32_e32 vcc, 0, v13
	v_cmp_ne_u32_e64 s[0:1], 0, v11
	s_and_b64 s[0:1], vcc, s[0:1]
	v_cndmask_b32_e64 v11, 0, 1, s[0:1]
	v_add_u32_e32 v8, v8, v11
; %bb.2872:
	s_or_b64 exec, exec, s[2:3]
.LBB315_2873:
	s_mov_b64 s[0:1], 0
.LBB315_2874:
	s_andn2_b64 vcc, exec, s[0:1]
	s_cbranch_vccnz .LBB315_2878
; %bb.2875:
	global_load_ushort v8, v[0:1], off
	s_movk_i32 s0, 0xff
	s_waitcnt vmcnt(0)
	v_cvt_f32_f16_e32 v11, v8
	v_mov_b32_e32 v8, 0xff
	v_bfe_u32 v12, v11, 23, 8
	v_cmp_ne_u32_e32 vcc, s0, v12
	s_and_saveexec_b64 s[2:3], vcc
; %bb.2876:
	s_mov_b32 s0, 0x3fffff
	v_lshrrev_b32_e32 v8, 23, v11
	v_and_b32_e32 v13, 0x400000, v11
	v_and_or_b32 v11, v11, s0, v12
	v_cmp_ne_u32_e32 vcc, 0, v13
	v_cmp_ne_u32_e64 s[0:1], 0, v11
	s_and_b64 s[0:1], vcc, s[0:1]
	v_cndmask_b32_e64 v11, 0, 1, s[0:1]
	v_add_u32_e32 v8, v8, v11
; %bb.2877:
	s_or_b64 exec, exec, s[2:3]
.LBB315_2878:
	s_mov_b64 s[0:1], 0
.LBB315_2879:
	s_andn2_b64 vcc, exec, s[0:1]
	s_cbranch_vccnz .LBB315_2909
; %bb.2880:
	s_cmp_lt_i32 s4, 2
	s_cbranch_scc1 .LBB315_2886
; %bb.2881:
	s_cmp_lt_i32 s4, 3
	s_cbranch_scc1 .LBB315_2887
; %bb.2882:
	s_cmp_gt_i32 s4, 3
	s_cbranch_scc0 .LBB315_2888
; %bb.2883:
	global_load_dwordx2 v[11:12], v[0:1], off
	s_movk_i32 s0, 0xff
	s_waitcnt vmcnt(0)
	v_xor_b32_e32 v13, v11, v12
	v_ffbh_i32_e32 v8, v12
	v_ashrrev_i32_e32 v13, 31, v13
	v_add_u32_e32 v8, -1, v8
	v_add_u32_e32 v13, 32, v13
	v_min_u32_e32 v8, v8, v13
	v_lshlrev_b64 v[11:12], v8, v[11:12]
	v_sub_u32_e32 v8, 32, v8
	v_min_u32_e32 v11, 1, v11
	v_or_b32_e32 v11, v12, v11
	v_cvt_f32_i32_e32 v11, v11
	v_ldexp_f32 v11, v11, v8
	v_bfe_u32 v12, v11, 23, 8
	v_cmp_ne_u32_e32 vcc, s0, v12
	v_mov_b32_e32 v8, 0xff
	s_and_saveexec_b64 s[2:3], vcc
; %bb.2884:
	s_mov_b32 s0, 0x3fffff
	v_lshrrev_b32_e32 v8, 23, v11
	v_and_b32_e32 v13, 0x400000, v11
	v_and_or_b32 v11, v11, s0, v12
	v_cmp_ne_u32_e32 vcc, 0, v13
	v_cmp_ne_u32_e64 s[0:1], 0, v11
	s_and_b64 s[0:1], vcc, s[0:1]
	v_cndmask_b32_e64 v11, 0, 1, s[0:1]
	v_add_u32_e32 v8, v8, v11
; %bb.2885:
	s_or_b64 exec, exec, s[2:3]
	s_mov_b64 s[0:1], 0
	s_branch .LBB315_2889
.LBB315_2886:
	s_mov_b64 s[0:1], -1
                                        ; implicit-def: $vgpr8
	s_branch .LBB315_2899
.LBB315_2887:
	s_mov_b64 s[0:1], -1
                                        ; implicit-def: $vgpr8
	s_branch .LBB315_2894
.LBB315_2888:
	s_mov_b64 s[0:1], -1
                                        ; implicit-def: $vgpr8
.LBB315_2889:
	s_andn2_b64 vcc, exec, s[0:1]
	s_cbranch_vccnz .LBB315_2893
; %bb.2890:
	global_load_dword v8, v[0:1], off
	s_movk_i32 s0, 0xff
	s_waitcnt vmcnt(0)
	v_cvt_f32_i32_e32 v11, v8
	v_mov_b32_e32 v8, 0xff
	v_bfe_u32 v12, v11, 23, 8
	v_cmp_ne_u32_e32 vcc, s0, v12
	s_and_saveexec_b64 s[2:3], vcc
; %bb.2891:
	s_mov_b32 s0, 0x3fffff
	v_lshrrev_b32_e32 v8, 23, v11
	v_and_b32_e32 v13, 0x400000, v11
	v_and_or_b32 v11, v11, s0, v12
	v_cmp_ne_u32_e32 vcc, 0, v13
	v_cmp_ne_u32_e64 s[0:1], 0, v11
	s_and_b64 s[0:1], vcc, s[0:1]
	v_cndmask_b32_e64 v11, 0, 1, s[0:1]
	v_add_u32_e32 v8, v8, v11
; %bb.2892:
	s_or_b64 exec, exec, s[2:3]
.LBB315_2893:
	s_mov_b64 s[0:1], 0
.LBB315_2894:
	s_andn2_b64 vcc, exec, s[0:1]
	s_cbranch_vccnz .LBB315_2898
; %bb.2895:
	global_load_sshort v8, v[0:1], off
	s_movk_i32 s0, 0xff
	s_waitcnt vmcnt(0)
	v_cvt_f32_i32_e32 v11, v8
	v_mov_b32_e32 v8, 0xff
	v_bfe_u32 v12, v11, 23, 8
	v_cmp_ne_u32_e32 vcc, s0, v12
	s_and_saveexec_b64 s[2:3], vcc
; %bb.2896:
	s_mov_b32 s0, 0x3fffff
	v_lshrrev_b32_e32 v8, 23, v11
	v_and_b32_e32 v13, 0x400000, v11
	v_and_or_b32 v11, v11, s0, v12
	v_cmp_ne_u32_e32 vcc, 0, v13
	v_cmp_ne_u32_e64 s[0:1], 0, v11
	s_and_b64 s[0:1], vcc, s[0:1]
	v_cndmask_b32_e64 v11, 0, 1, s[0:1]
	v_add_u32_e32 v8, v8, v11
; %bb.2897:
	s_or_b64 exec, exec, s[2:3]
.LBB315_2898:
	s_mov_b64 s[0:1], 0
.LBB315_2899:
	s_andn2_b64 vcc, exec, s[0:1]
	s_cbranch_vccnz .LBB315_2909
; %bb.2900:
	s_cmp_gt_i32 s4, 0
	s_cbranch_scc0 .LBB315_2904
; %bb.2901:
	global_load_sbyte v8, v[0:1], off
	s_movk_i32 s0, 0xff
	s_waitcnt vmcnt(0)
	v_cvt_f32_i32_e32 v11, v8
	v_mov_b32_e32 v8, 0xff
	v_bfe_u32 v12, v11, 23, 8
	v_cmp_ne_u32_e32 vcc, s0, v12
	s_and_saveexec_b64 s[2:3], vcc
; %bb.2902:
	s_mov_b32 s0, 0x3fffff
	v_lshrrev_b32_e32 v8, 23, v11
	v_and_b32_e32 v13, 0x400000, v11
	v_and_or_b32 v11, v11, s0, v12
	v_cmp_ne_u32_e32 vcc, 0, v13
	v_cmp_ne_u32_e64 s[0:1], 0, v11
	s_and_b64 s[0:1], vcc, s[0:1]
	v_cndmask_b32_e64 v11, 0, 1, s[0:1]
	v_add_u32_e32 v8, v8, v11
; %bb.2903:
	s_or_b64 exec, exec, s[2:3]
	s_mov_b64 s[0:1], 0
	s_branch .LBB315_2905
.LBB315_2904:
	s_mov_b64 s[0:1], -1
                                        ; implicit-def: $vgpr8
.LBB315_2905:
	s_andn2_b64 vcc, exec, s[0:1]
	s_cbranch_vccnz .LBB315_2909
; %bb.2906:
	global_load_ubyte v0, v[0:1], off
	s_movk_i32 s0, 0xff
	s_waitcnt vmcnt(1)
	v_mov_b32_e32 v8, 0xff
	s_waitcnt vmcnt(0)
	v_cvt_f32_ubyte0_e32 v1, v0
	v_lshrrev_b32_e32 v0, 23, v1
	v_cmp_ne_u32_e32 vcc, s0, v0
	s_and_saveexec_b64 s[2:3], vcc
; %bb.2907:
	s_mov_b32 s0, 0x3fffff
	v_and_b32_e32 v8, 0x400000, v1
	v_and_or_b32 v1, v1, s0, v0
	v_cmp_ne_u32_e32 vcc, 0, v8
	v_cmp_ne_u32_e64 s[0:1], 0, v1
	s_and_b64 s[0:1], vcc, s[0:1]
	v_cndmask_b32_e64 v1, 0, 1, s[0:1]
	v_add_u32_e32 v8, v0, v1
; %bb.2908:
	s_or_b64 exec, exec, s[2:3]
.LBB315_2909:
	s_mov_b64 s[0:1], -1
.LBB315_2910:
	s_andn2_b64 vcc, exec, s[0:1]
	s_cbranch_vccnz .LBB315_3688
; %bb.2911:
	v_add_u32_e32 v0, s13, v9
	v_ashrrev_i32_e32 v1, 31, v0
	v_mov_b32_e32 v9, s11
	v_add_co_u32_e32 v0, vcc, s10, v0
	s_cmp_lt_i32 s26, 11
	v_addc_co_u32_e32 v1, vcc, v9, v1, vcc
	s_cbranch_scc1 .LBB315_2920
; %bb.2912:
	s_and_b32 s13, 0xffff, s26
	s_cmp_gt_i32 s13, 25
	s_mov_b64 s[4:5], 0
	s_cbranch_scc0 .LBB315_2921
; %bb.2913:
	s_cmp_gt_i32 s13, 28
	s_cbranch_scc0 .LBB315_2922
; %bb.2914:
	s_cmp_gt_i32 s13, 43
	;; [unrolled: 3-line block ×3, first 2 shown]
	s_cbranch_scc0 .LBB315_2925
; %bb.2916:
	s_cmp_eq_u32 s13, 46
	s_mov_b64 s[6:7], 0
	s_cbranch_scc0 .LBB315_2926
; %bb.2917:
	global_load_dword v11, v[0:1], off
	s_movk_i32 s0, 0xff
	v_mov_b32_e32 v9, 0xff
	s_waitcnt vmcnt(0)
	v_lshlrev_b32_e32 v12, 16, v11
	v_bfe_u32 v13, v12, 23, 8
	v_cmp_ne_u32_e32 vcc, s0, v13
	s_and_saveexec_b64 s[2:3], vcc
; %bb.2918:
	v_bfe_u32 v9, v11, 7, 9
	v_and_b32_e32 v11, 64, v11
	s_mov_b32 s0, 0x3f0000
	v_cmp_ne_u32_e32 vcc, 0, v11
	v_and_or_b32 v11, v12, s0, v13
	v_cmp_ne_u32_e64 s[0:1], 0, v11
	s_and_b64 s[0:1], vcc, s[0:1]
	v_cndmask_b32_e64 v11, 0, 1, s[0:1]
	v_add_u32_e32 v9, v9, v11
; %bb.2919:
	s_or_b64 exec, exec, s[2:3]
	s_mov_b64 s[2:3], 0
	s_mov_b64 s[0:1], -1
	s_branch .LBB315_2927
.LBB315_2920:
	s_mov_b64 s[2:3], -1
	s_mov_b64 s[0:1], 0
                                        ; implicit-def: $vgpr9
	s_branch .LBB315_3011
.LBB315_2921:
	s_mov_b64 s[6:7], -1
	s_mov_b64 s[0:1], 0
	s_mov_b64 s[2:3], 0
                                        ; implicit-def: $vgpr9
	s_branch .LBB315_2964
.LBB315_2922:
	s_mov_b64 s[6:7], -1
	s_mov_b64 s[0:1], 0
	s_mov_b64 s[2:3], 0
                                        ; implicit-def: $vgpr9
	s_branch .LBB315_2939
.LBB315_2923:
	s_mov_b64 s[6:7], -1
	s_mov_b64 s[0:1], 0
	s_mov_b64 s[2:3], 0
                                        ; implicit-def: $vgpr9
	s_branch .LBB315_2932
.LBB315_2924:
	s_trap 2
	s_or_b64 s[22:23], s[22:23], exec
	s_cbranch_execz .LBB315_2835
	s_branch .LBB315_2838
.LBB315_2925:
	s_mov_b64 s[6:7], -1
	s_mov_b64 s[0:1], 0
	s_mov_b64 s[2:3], 0
                                        ; implicit-def: $vgpr9
	s_branch .LBB315_2927
.LBB315_2926:
	s_mov_b64 s[2:3], -1
                                        ; implicit-def: $vgpr9
	s_mov_b64 s[0:1], 0
.LBB315_2927:
	s_and_b64 vcc, exec, s[6:7]
	s_cbranch_vccz .LBB315_2931
; %bb.2928:
	s_cmp_eq_u32 s13, 44
	s_cbranch_scc0 .LBB315_2930
; %bb.2929:
	global_load_ubyte v9, v[0:1], off
	s_mov_b64 s[2:3], 0
	s_mov_b64 s[0:1], -1
	s_branch .LBB315_2931
.LBB315_2930:
	s_mov_b64 s[2:3], -1
                                        ; implicit-def: $vgpr9
.LBB315_2931:
	s_mov_b64 s[6:7], 0
.LBB315_2932:
	s_and_b64 vcc, exec, s[6:7]
	s_cbranch_vccz .LBB315_2938
; %bb.2933:
	s_cmp_eq_u32 s13, 29
	s_cbranch_scc0 .LBB315_2937
; %bb.2934:
	global_load_dwordx2 v[11:12], v[0:1], off
	s_movk_i32 s0, 0xff
	s_waitcnt vmcnt(0)
	v_ffbh_u32_e32 v9, v12
	v_min_u32_e32 v9, 32, v9
	v_lshlrev_b64 v[11:12], v9, v[11:12]
	v_sub_u32_e32 v9, 32, v9
	v_min_u32_e32 v11, 1, v11
	v_or_b32_e32 v11, v12, v11
	v_cvt_f32_u32_e32 v11, v11
	v_ldexp_f32 v12, v11, v9
	v_lshrrev_b32_e32 v11, 23, v12
	v_cmp_ne_u32_e32 vcc, s0, v11
	v_mov_b32_e32 v9, 0xff
	s_and_saveexec_b64 s[2:3], vcc
; %bb.2935:
	v_and_b32_e32 v9, 0x400000, v12
	s_mov_b32 s0, 0x3fffff
	v_cmp_ne_u32_e32 vcc, 0, v9
	v_and_or_b32 v9, v12, s0, v11
	v_cmp_ne_u32_e64 s[0:1], 0, v9
	s_and_b64 s[0:1], vcc, s[0:1]
	v_cndmask_b32_e64 v9, 0, 1, s[0:1]
	v_add_u32_e32 v9, v11, v9
; %bb.2936:
	s_or_b64 exec, exec, s[2:3]
	s_mov_b64 s[2:3], 0
	s_mov_b64 s[0:1], -1
	s_branch .LBB315_2938
.LBB315_2937:
	s_mov_b64 s[2:3], -1
                                        ; implicit-def: $vgpr9
.LBB315_2938:
	s_mov_b64 s[6:7], 0
.LBB315_2939:
	s_and_b64 vcc, exec, s[6:7]
	s_cbranch_vccz .LBB315_2963
; %bb.2940:
	s_cmp_lt_i32 s13, 27
	s_cbranch_scc1 .LBB315_2945
; %bb.2941:
	s_cmp_gt_i32 s13, 27
	s_cbranch_scc0 .LBB315_2946
; %bb.2942:
	global_load_dword v9, v[0:1], off
	s_movk_i32 s0, 0xff
	s_waitcnt vmcnt(0)
	v_cvt_f32_u32_e32 v12, v9
	v_mov_b32_e32 v9, 0xff
	v_lshrrev_b32_e32 v11, 23, v12
	v_cmp_ne_u32_e32 vcc, s0, v11
	s_and_saveexec_b64 s[6:7], vcc
; %bb.2943:
	v_and_b32_e32 v9, 0x400000, v12
	s_mov_b32 s0, 0x3fffff
	v_cmp_ne_u32_e32 vcc, 0, v9
	v_and_or_b32 v9, v12, s0, v11
	v_cmp_ne_u32_e64 s[0:1], 0, v9
	s_and_b64 s[0:1], vcc, s[0:1]
	v_cndmask_b32_e64 v9, 0, 1, s[0:1]
	v_add_u32_e32 v9, v11, v9
; %bb.2944:
	s_or_b64 exec, exec, s[6:7]
	s_mov_b64 s[0:1], 0
	s_branch .LBB315_2947
.LBB315_2945:
	s_mov_b64 s[0:1], -1
                                        ; implicit-def: $vgpr9
	s_branch .LBB315_2952
.LBB315_2946:
	s_mov_b64 s[0:1], -1
                                        ; implicit-def: $vgpr9
.LBB315_2947:
	s_andn2_b64 vcc, exec, s[0:1]
	s_cbranch_vccnz .LBB315_2951
; %bb.2948:
	global_load_ushort v9, v[0:1], off
	s_movk_i32 s0, 0xff
	s_waitcnt vmcnt(0)
	v_cvt_f32_u32_e32 v12, v9
	v_mov_b32_e32 v9, 0xff
	v_lshrrev_b32_e32 v11, 23, v12
	v_cmp_ne_u32_e32 vcc, s0, v11
	s_and_saveexec_b64 s[6:7], vcc
; %bb.2949:
	v_and_b32_e32 v9, 0x400000, v12
	s_mov_b32 s0, 0x3fffff
	v_cmp_ne_u32_e32 vcc, 0, v9
	v_and_or_b32 v9, v12, s0, v11
	v_cmp_ne_u32_e64 s[0:1], 0, v9
	s_and_b64 s[0:1], vcc, s[0:1]
	v_cndmask_b32_e64 v9, 0, 1, s[0:1]
	v_add_u32_e32 v9, v11, v9
; %bb.2950:
	s_or_b64 exec, exec, s[6:7]
.LBB315_2951:
	s_mov_b64 s[0:1], 0
.LBB315_2952:
	s_andn2_b64 vcc, exec, s[0:1]
	s_cbranch_vccnz .LBB315_2962
; %bb.2953:
	global_load_ubyte v9, v[0:1], off
	s_movk_i32 s0, 0x7f
	s_waitcnt vmcnt(0)
	v_cmp_lt_i16_e32 vcc, s0, v9
	s_mov_b64 s[0:1], 0
	s_and_saveexec_b64 s[6:7], vcc
	s_xor_b64 s[6:7], exec, s[6:7]
	s_cbranch_execz .LBB315_2978
; %bb.2954:
	s_movk_i32 s0, 0x80
	v_cmp_eq_u16_e32 vcc, s0, v9
	s_mov_b64 s[0:1], -1
	s_and_saveexec_b64 s[10:11], vcc
; %bb.2955:
	s_xor_b64 s[0:1], exec, -1
; %bb.2956:
	s_or_b64 exec, exec, s[10:11]
	s_and_b64 s[0:1], s[0:1], exec
	s_or_saveexec_b64 s[6:7], s[6:7]
	v_mov_b32_e32 v11, 0x7f800001
	s_xor_b64 exec, exec, s[6:7]
	s_cbranch_execnz .LBB315_2979
.LBB315_2957:
	s_or_b64 exec, exec, s[6:7]
	s_and_saveexec_b64 s[6:7], s[0:1]
	s_cbranch_execz .LBB315_2959
.LBB315_2958:
	v_and_b32_e32 v9, 0xffff, v9
	v_and_b32_e32 v11, 7, v9
	v_ffbh_u32_e32 v13, v11
	v_min_u32_e32 v13, 32, v13
	v_subrev_u32_e32 v14, 28, v13
	v_bfe_u32 v12, v9, 3, 4
	v_lshlrev_b32_e32 v9, v14, v9
	v_and_b32_e32 v9, 7, v9
	v_cmp_eq_u32_e32 vcc, 0, v12
	v_sub_u32_e32 v13, 29, v13
	v_cndmask_b32_e32 v9, v11, v9, vcc
	v_cndmask_b32_e32 v12, v12, v13, vcc
	v_lshlrev_b32_e32 v9, 20, v9
	v_lshl_or_b32 v9, v12, 23, v9
	v_add_u32_e32 v11, 0x3b800000, v9
.LBB315_2959:
	s_or_b64 exec, exec, s[6:7]
	v_lshrrev_b32_e32 v12, 23, v11
	s_movk_i32 s0, 0xff
	v_cmp_ne_u32_e32 vcc, s0, v12
	v_mov_b32_e32 v9, 0xff
	s_and_saveexec_b64 s[6:7], vcc
; %bb.2960:
	v_and_b32_e32 v9, 0x400000, v11
	s_mov_b32 s0, 0x3fffff
	v_cmp_ne_u32_e32 vcc, 0, v9
	v_and_or_b32 v9, v11, s0, v12
	v_cmp_ne_u32_e64 s[0:1], 0, v9
	s_and_b64 s[0:1], vcc, s[0:1]
	v_cndmask_b32_e64 v9, 0, 1, s[0:1]
	v_add_u32_e32 v9, v12, v9
; %bb.2961:
	s_or_b64 exec, exec, s[6:7]
.LBB315_2962:
	s_mov_b64 s[0:1], -1
.LBB315_2963:
	s_mov_b64 s[6:7], 0
.LBB315_2964:
	s_and_b64 vcc, exec, s[6:7]
	s_cbranch_vccz .LBB315_3005
; %bb.2965:
	s_cmp_gt_i32 s13, 22
	s_cbranch_scc0 .LBB315_2977
; %bb.2966:
	s_cmp_lt_i32 s13, 24
	s_cbranch_scc1 .LBB315_2980
; %bb.2967:
	s_cmp_gt_i32 s13, 24
	s_cbranch_scc0 .LBB315_2981
; %bb.2968:
	global_load_ubyte v9, v[0:1], off
	s_movk_i32 s0, 0x7f
	s_waitcnt vmcnt(0)
	v_cmp_lt_i16_e32 vcc, s0, v9
	s_mov_b64 s[0:1], 0
	s_and_saveexec_b64 s[4:5], vcc
	s_xor_b64 s[4:5], exec, s[4:5]
	s_cbranch_execz .LBB315_2999
; %bb.2969:
	s_movk_i32 s0, 0x80
	v_cmp_eq_u16_e32 vcc, s0, v9
	s_mov_b64 s[0:1], -1
	s_and_saveexec_b64 s[6:7], vcc
; %bb.2970:
	s_xor_b64 s[0:1], exec, -1
; %bb.2971:
	s_or_b64 exec, exec, s[6:7]
	s_and_b64 s[0:1], s[0:1], exec
	s_or_saveexec_b64 s[4:5], s[4:5]
	v_mov_b32_e32 v11, 0x7f800001
	s_xor_b64 exec, exec, s[4:5]
	s_cbranch_execnz .LBB315_3000
.LBB315_2972:
	s_or_b64 exec, exec, s[4:5]
	s_and_saveexec_b64 s[4:5], s[0:1]
	s_cbranch_execz .LBB315_2974
.LBB315_2973:
	v_and_b32_e32 v9, 0xffff, v9
	v_and_b32_e32 v11, 3, v9
	v_ffbh_u32_e32 v13, v11
	v_min_u32_e32 v13, 32, v13
	v_subrev_u32_e32 v14, 29, v13
	v_bfe_u32 v12, v9, 2, 5
	v_lshlrev_b32_e32 v9, v14, v9
	v_and_b32_e32 v9, 3, v9
	v_cmp_eq_u32_e32 vcc, 0, v12
	v_sub_u32_e32 v13, 30, v13
	v_cndmask_b32_e32 v9, v11, v9, vcc
	v_cndmask_b32_e32 v12, v12, v13, vcc
	v_lshlrev_b32_e32 v9, 21, v9
	v_lshl_or_b32 v9, v12, 23, v9
	v_add_u32_e32 v11, 0x37800000, v9
.LBB315_2974:
	s_or_b64 exec, exec, s[4:5]
	v_lshrrev_b32_e32 v12, 23, v11
	s_movk_i32 s0, 0xff
	v_cmp_ne_u32_e32 vcc, s0, v12
	v_mov_b32_e32 v9, 0xff
	s_and_saveexec_b64 s[4:5], vcc
; %bb.2975:
	v_and_b32_e32 v9, 0x400000, v11
	s_mov_b32 s0, 0x3fffff
	v_cmp_ne_u32_e32 vcc, 0, v9
	v_and_or_b32 v9, v11, s0, v12
	v_cmp_ne_u32_e64 s[0:1], 0, v9
	s_and_b64 s[0:1], vcc, s[0:1]
	v_cndmask_b32_e64 v9, 0, 1, s[0:1]
	v_add_u32_e32 v9, v12, v9
; %bb.2976:
	s_or_b64 exec, exec, s[4:5]
	s_mov_b64 s[0:1], 0
	s_branch .LBB315_2982
.LBB315_2977:
	s_mov_b64 s[4:5], -1
                                        ; implicit-def: $vgpr9
	s_branch .LBB315_2992
.LBB315_2978:
	s_or_saveexec_b64 s[6:7], s[6:7]
	v_mov_b32_e32 v11, 0x7f800001
	s_xor_b64 exec, exec, s[6:7]
	s_cbranch_execz .LBB315_2957
.LBB315_2979:
	v_cmp_ne_u16_e32 vcc, 0, v9
	s_andn2_b64 s[0:1], s[0:1], exec
	s_and_b64 s[10:11], vcc, exec
	v_and_b32_e32 v11, 0xffff, v9
	s_or_b64 s[0:1], s[0:1], s[10:11]
	s_or_b64 exec, exec, s[6:7]
	s_and_saveexec_b64 s[6:7], s[0:1]
	s_cbranch_execnz .LBB315_2958
	s_branch .LBB315_2959
.LBB315_2980:
	s_mov_b64 s[0:1], -1
                                        ; implicit-def: $vgpr9
	s_branch .LBB315_2987
.LBB315_2981:
	s_mov_b64 s[0:1], -1
                                        ; implicit-def: $vgpr9
.LBB315_2982:
	s_and_b64 vcc, exec, s[0:1]
	s_cbranch_vccz .LBB315_2986
; %bb.2983:
	global_load_ubyte v9, v[0:1], off
	s_mov_b32 s0, 0x7f800000
	s_movk_i32 s1, 0xff
	s_waitcnt vmcnt(0)
	v_lshlrev_b32_e32 v9, 24, v9
	v_and_b32_e32 v9, 0x7f000000, v9
	v_ffbh_u32_e32 v11, v9
	v_min_u32_e32 v11, 32, v11
	v_sub_u32_e64 v11, v11, 4 clamp
	v_lshlrev_b32_e32 v13, v11, v9
	v_lshlrev_b32_e32 v11, 23, v11
	v_lshrrev_b32_e32 v13, 4, v13
	v_add_u32_e32 v12, 0x1000000, v9
	v_sub_u32_e32 v11, v13, v11
	v_ashrrev_i32_e32 v12, 8, v12
	v_add_u32_e32 v11, 0x3c000000, v11
	v_and_or_b32 v11, v12, s0, v11
	v_cmp_ne_u32_e32 vcc, 0, v9
	v_cndmask_b32_e32 v12, 0, v11, vcc
	v_lshrrev_b32_e32 v11, 23, v12
	v_cmp_ne_u32_e32 vcc, s1, v11
	v_mov_b32_e32 v9, 0xff
	s_and_saveexec_b64 s[4:5], vcc
; %bb.2984:
	v_and_b32_e32 v9, 0x400000, v12
	s_mov_b32 s0, 0x3fffff
	v_cmp_ne_u32_e32 vcc, 0, v9
	v_and_or_b32 v9, v12, s0, v11
	v_cmp_ne_u32_e64 s[0:1], 0, v9
	s_and_b64 s[0:1], vcc, s[0:1]
	v_cndmask_b32_e64 v9, 0, 1, s[0:1]
	v_add_u32_e32 v9, v11, v9
; %bb.2985:
	s_or_b64 exec, exec, s[4:5]
.LBB315_2986:
	s_mov_b64 s[0:1], 0
.LBB315_2987:
	s_andn2_b64 vcc, exec, s[0:1]
	s_cbranch_vccnz .LBB315_2991
; %bb.2988:
	global_load_ubyte v9, v[0:1], off
	s_movk_i32 s0, 0x7f00
	s_brev_b32 s1, 16
	s_movk_i32 s4, 0xff
	s_waitcnt vmcnt(0)
	v_lshlrev_b32_e32 v11, 8, v9
	v_lshlrev_b32_e32 v9, 25, v9
	v_lshrrev_b32_e32 v12, 4, v9
	v_and_or_b32 v11, v11, s0, 0.5
	v_or_b32_e32 v12, 0x70000000, v12
	v_add_f32_e32 v11, -0.5, v11
	v_mul_f32_e32 v12, 0x7800000, v12
	v_cmp_gt_u32_e32 vcc, s1, v9
	v_cndmask_b32_e32 v11, v12, v11, vcc
	v_bfe_u32 v12, v11, 23, 8
	v_cmp_ne_u32_e32 vcc, s4, v12
	v_mov_b32_e32 v9, 0xff
	s_and_saveexec_b64 s[4:5], vcc
; %bb.2989:
	s_mov_b32 s0, 0x3fffff
	v_lshrrev_b32_e32 v9, 23, v11
	v_and_b32_e32 v13, 0x400000, v11
	v_and_or_b32 v11, v11, s0, v12
	v_cmp_ne_u32_e32 vcc, 0, v13
	v_cmp_ne_u32_e64 s[0:1], 0, v11
	s_and_b64 s[0:1], vcc, s[0:1]
	v_cndmask_b32_e64 v11, 0, 1, s[0:1]
	v_add_u32_e32 v9, v9, v11
; %bb.2990:
	s_or_b64 exec, exec, s[4:5]
.LBB315_2991:
	s_mov_b64 s[4:5], 0
	s_mov_b64 s[0:1], -1
.LBB315_2992:
	s_andn2_b64 vcc, exec, s[4:5]
	s_mov_b64 s[4:5], 0
	s_cbranch_vccnz .LBB315_3005
; %bb.2993:
	s_cmp_gt_i32 s13, 14
	s_cbranch_scc0 .LBB315_2998
; %bb.2994:
	s_cmp_eq_u32 s13, 15
	s_cbranch_scc0 .LBB315_3001
; %bb.2995:
	global_load_ushort v11, v[0:1], off
	s_movk_i32 s0, 0xff
	s_waitcnt vmcnt(1)
	v_mov_b32_e32 v9, 0xff
	s_waitcnt vmcnt(0)
	v_bfe_u32 v12, v11, 7, 8
	v_cmp_ne_u32_e32 vcc, s0, v12
	s_and_saveexec_b64 s[2:3], vcc
	s_cbranch_execz .LBB315_2997
; %bb.2996:
	v_lshrrev_b32_e32 v9, 7, v11
	v_lshlrev_b32_e32 v13, 16, v11
	v_and_b32_e32 v11, 64, v11
	s_mov_b32 s0, 0x3f0000
	v_cmp_ne_u32_e32 vcc, 0, v11
	v_and_or_b32 v11, v13, s0, v12
	v_cmp_ne_u32_e64 s[0:1], 0, v11
	s_and_b64 s[0:1], vcc, s[0:1]
	v_cndmask_b32_e64 v11, 0, 1, s[0:1]
	v_add_u32_e32 v9, v9, v11
.LBB315_2997:
	s_or_b64 exec, exec, s[2:3]
	s_mov_b64 s[2:3], 0
	s_mov_b64 s[0:1], -1
	s_branch .LBB315_3002
.LBB315_2998:
	s_mov_b64 s[6:7], -1
                                        ; implicit-def: $vgpr9
	s_branch .LBB315_3003
.LBB315_2999:
	s_or_saveexec_b64 s[4:5], s[4:5]
	v_mov_b32_e32 v11, 0x7f800001
	s_xor_b64 exec, exec, s[4:5]
	s_cbranch_execz .LBB315_2972
.LBB315_3000:
	v_cmp_ne_u16_e32 vcc, 0, v9
	s_andn2_b64 s[0:1], s[0:1], exec
	s_and_b64 s[6:7], vcc, exec
	v_and_b32_e32 v11, 0xffff, v9
	s_or_b64 s[0:1], s[0:1], s[6:7]
	s_or_b64 exec, exec, s[4:5]
	s_and_saveexec_b64 s[4:5], s[0:1]
	s_cbranch_execnz .LBB315_2973
	s_branch .LBB315_2974
.LBB315_3001:
	s_mov_b64 s[2:3], -1
                                        ; implicit-def: $vgpr9
.LBB315_3002:
	s_mov_b64 s[6:7], 0
.LBB315_3003:
	s_and_b64 vcc, exec, s[6:7]
	s_cbranch_vccz .LBB315_3005
; %bb.3004:
	s_cmp_lg_u32 s13, 11
	s_mov_b64 s[4:5], -1
	s_cselect_b64 s[2:3], -1, 0
.LBB315_3005:
	s_and_b64 vcc, exec, s[2:3]
	s_cbranch_vccnz .LBB315_3096
; %bb.3006:
	s_andn2_b64 vcc, exec, s[4:5]
	s_cbranch_vccnz .LBB315_3010
.LBB315_3007:
	global_load_ubyte v9, v[0:1], off
	s_movk_i32 s0, 0xff
	s_waitcnt vmcnt(0)
	v_cmp_ne_u16_e32 vcc, 0, v9
	v_cndmask_b32_e64 v12, 0, 1.0, vcc
	v_lshrrev_b32_e32 v11, 23, v12
	v_cmp_ne_u32_e32 vcc, s0, v11
	v_mov_b32_e32 v9, 0xff
	s_and_saveexec_b64 s[2:3], vcc
; %bb.3008:
	v_and_b32_e32 v9, 0x400000, v12
	s_mov_b32 s0, 0x3fffff
	v_cmp_ne_u32_e32 vcc, 0, v9
	v_and_or_b32 v9, v12, s0, v11
	v_cmp_ne_u32_e64 s[0:1], 0, v9
	s_and_b64 s[0:1], vcc, s[0:1]
	v_cndmask_b32_e64 v9, 0, 1, s[0:1]
	v_add_u32_e32 v9, v11, v9
; %bb.3009:
	s_or_b64 exec, exec, s[2:3]
	s_mov_b64 s[0:1], -1
.LBB315_3010:
	s_mov_b64 s[2:3], 0
.LBB315_3011:
	s_and_b64 vcc, exec, s[2:3]
	s_cbranch_vccz .LBB315_3082
; %bb.3012:
	s_and_b32 s4, 0xffff, s26
	s_cmp_lt_i32 s4, 5
	s_cbranch_scc1 .LBB315_3019
; %bb.3013:
	s_cmp_lt_i32 s4, 8
	s_cbranch_scc1 .LBB315_3020
; %bb.3014:
	;; [unrolled: 3-line block ×3, first 2 shown]
	s_cmp_gt_i32 s4, 9
	s_cbranch_scc0 .LBB315_3022
; %bb.3016:
	global_load_dwordx2 v[11:12], v[0:1], off
	s_movk_i32 s0, 0xff
	s_waitcnt vmcnt(1)
	v_mov_b32_e32 v9, 0xff
	s_waitcnt vmcnt(0)
	v_cvt_f32_f64_e32 v11, v[11:12]
	v_bfe_u32 v12, v11, 23, 8
	v_cmp_ne_u32_e32 vcc, s0, v12
	s_and_saveexec_b64 s[2:3], vcc
; %bb.3017:
	s_mov_b32 s0, 0x3fffff
	v_lshrrev_b32_e32 v9, 23, v11
	v_and_b32_e32 v13, 0x400000, v11
	v_and_or_b32 v11, v11, s0, v12
	v_cmp_ne_u32_e32 vcc, 0, v13
	v_cmp_ne_u32_e64 s[0:1], 0, v11
	s_and_b64 s[0:1], vcc, s[0:1]
	v_cndmask_b32_e64 v11, 0, 1, s[0:1]
	v_add_u32_e32 v9, v9, v11
; %bb.3018:
	s_or_b64 exec, exec, s[2:3]
	s_mov_b64 s[0:1], 0
	s_branch .LBB315_3023
.LBB315_3019:
	s_mov_b64 s[0:1], -1
                                        ; implicit-def: $vgpr9
	s_branch .LBB315_3051
.LBB315_3020:
	s_mov_b64 s[0:1], -1
                                        ; implicit-def: $vgpr9
	s_branch .LBB315_3033
.LBB315_3021:
	s_mov_b64 s[0:1], -1
                                        ; implicit-def: $vgpr9
	s_branch .LBB315_3028
.LBB315_3022:
	s_mov_b64 s[0:1], -1
                                        ; implicit-def: $vgpr9
.LBB315_3023:
	s_andn2_b64 vcc, exec, s[0:1]
	s_cbranch_vccnz .LBB315_3027
; %bb.3024:
	global_load_dword v11, v[0:1], off
	s_movk_i32 s0, 0xff
	s_waitcnt vmcnt(1)
	v_mov_b32_e32 v9, 0xff
	s_waitcnt vmcnt(0)
	v_bfe_u32 v12, v11, 23, 8
	v_cmp_ne_u32_e32 vcc, s0, v12
	s_and_saveexec_b64 s[2:3], vcc
; %bb.3025:
	s_mov_b32 s0, 0x3fffff
	v_lshrrev_b32_e32 v9, 23, v11
	v_and_b32_e32 v13, 0x400000, v11
	v_and_or_b32 v11, v11, s0, v12
	v_cmp_ne_u32_e32 vcc, 0, v13
	v_cmp_ne_u32_e64 s[0:1], 0, v11
	s_and_b64 s[0:1], vcc, s[0:1]
	v_cndmask_b32_e64 v11, 0, 1, s[0:1]
	v_add_u32_e32 v9, v9, v11
; %bb.3026:
	s_or_b64 exec, exec, s[2:3]
.LBB315_3027:
	s_mov_b64 s[0:1], 0
.LBB315_3028:
	s_andn2_b64 vcc, exec, s[0:1]
	s_cbranch_vccnz .LBB315_3032
; %bb.3029:
	global_load_dword v9, v[0:1], off
	s_movk_i32 s0, 0xff
	s_waitcnt vmcnt(0)
	v_cvt_f32_f16_e32 v11, v9
	v_mov_b32_e32 v9, 0xff
	v_bfe_u32 v12, v11, 23, 8
	v_cmp_ne_u32_e32 vcc, s0, v12
	s_and_saveexec_b64 s[2:3], vcc
; %bb.3030:
	s_mov_b32 s0, 0x3fffff
	v_lshrrev_b32_e32 v9, 23, v11
	v_and_b32_e32 v13, 0x400000, v11
	v_and_or_b32 v11, v11, s0, v12
	v_cmp_ne_u32_e32 vcc, 0, v13
	v_cmp_ne_u32_e64 s[0:1], 0, v11
	s_and_b64 s[0:1], vcc, s[0:1]
	v_cndmask_b32_e64 v11, 0, 1, s[0:1]
	v_add_u32_e32 v9, v9, v11
; %bb.3031:
	s_or_b64 exec, exec, s[2:3]
.LBB315_3032:
	s_mov_b64 s[0:1], 0
.LBB315_3033:
	s_andn2_b64 vcc, exec, s[0:1]
	s_cbranch_vccnz .LBB315_3050
; %bb.3034:
	s_cmp_lt_i32 s4, 6
	s_cbranch_scc1 .LBB315_3039
; %bb.3035:
	s_cmp_gt_i32 s4, 6
	s_cbranch_scc0 .LBB315_3040
; %bb.3036:
	global_load_dwordx2 v[11:12], v[0:1], off
	s_movk_i32 s0, 0xff
	s_waitcnt vmcnt(1)
	v_mov_b32_e32 v9, 0xff
	s_waitcnt vmcnt(0)
	v_cvt_f32_f64_e32 v11, v[11:12]
	v_bfe_u32 v12, v11, 23, 8
	v_cmp_ne_u32_e32 vcc, s0, v12
	s_and_saveexec_b64 s[2:3], vcc
; %bb.3037:
	s_mov_b32 s0, 0x3fffff
	v_lshrrev_b32_e32 v9, 23, v11
	v_and_b32_e32 v13, 0x400000, v11
	v_and_or_b32 v11, v11, s0, v12
	v_cmp_ne_u32_e32 vcc, 0, v13
	v_cmp_ne_u32_e64 s[0:1], 0, v11
	s_and_b64 s[0:1], vcc, s[0:1]
	v_cndmask_b32_e64 v11, 0, 1, s[0:1]
	v_add_u32_e32 v9, v9, v11
; %bb.3038:
	s_or_b64 exec, exec, s[2:3]
	s_mov_b64 s[0:1], 0
	s_branch .LBB315_3041
.LBB315_3039:
	s_mov_b64 s[0:1], -1
                                        ; implicit-def: $vgpr9
	s_branch .LBB315_3046
.LBB315_3040:
	s_mov_b64 s[0:1], -1
                                        ; implicit-def: $vgpr9
.LBB315_3041:
	s_andn2_b64 vcc, exec, s[0:1]
	s_cbranch_vccnz .LBB315_3045
; %bb.3042:
	global_load_dword v11, v[0:1], off
	s_movk_i32 s0, 0xff
	s_waitcnt vmcnt(1)
	v_mov_b32_e32 v9, 0xff
	s_waitcnt vmcnt(0)
	v_bfe_u32 v12, v11, 23, 8
	v_cmp_ne_u32_e32 vcc, s0, v12
	s_and_saveexec_b64 s[2:3], vcc
; %bb.3043:
	s_mov_b32 s0, 0x3fffff
	v_lshrrev_b32_e32 v9, 23, v11
	v_and_b32_e32 v13, 0x400000, v11
	v_and_or_b32 v11, v11, s0, v12
	v_cmp_ne_u32_e32 vcc, 0, v13
	v_cmp_ne_u32_e64 s[0:1], 0, v11
	s_and_b64 s[0:1], vcc, s[0:1]
	v_cndmask_b32_e64 v11, 0, 1, s[0:1]
	v_add_u32_e32 v9, v9, v11
; %bb.3044:
	s_or_b64 exec, exec, s[2:3]
.LBB315_3045:
	s_mov_b64 s[0:1], 0
.LBB315_3046:
	s_andn2_b64 vcc, exec, s[0:1]
	s_cbranch_vccnz .LBB315_3050
; %bb.3047:
	global_load_ushort v9, v[0:1], off
	s_movk_i32 s0, 0xff
	s_waitcnt vmcnt(0)
	v_cvt_f32_f16_e32 v11, v9
	v_mov_b32_e32 v9, 0xff
	v_bfe_u32 v12, v11, 23, 8
	v_cmp_ne_u32_e32 vcc, s0, v12
	s_and_saveexec_b64 s[2:3], vcc
; %bb.3048:
	s_mov_b32 s0, 0x3fffff
	v_lshrrev_b32_e32 v9, 23, v11
	v_and_b32_e32 v13, 0x400000, v11
	v_and_or_b32 v11, v11, s0, v12
	v_cmp_ne_u32_e32 vcc, 0, v13
	v_cmp_ne_u32_e64 s[0:1], 0, v11
	s_and_b64 s[0:1], vcc, s[0:1]
	v_cndmask_b32_e64 v11, 0, 1, s[0:1]
	v_add_u32_e32 v9, v9, v11
; %bb.3049:
	s_or_b64 exec, exec, s[2:3]
.LBB315_3050:
	s_mov_b64 s[0:1], 0
.LBB315_3051:
	s_andn2_b64 vcc, exec, s[0:1]
	s_cbranch_vccnz .LBB315_3081
; %bb.3052:
	s_cmp_lt_i32 s4, 2
	s_cbranch_scc1 .LBB315_3058
; %bb.3053:
	s_cmp_lt_i32 s4, 3
	s_cbranch_scc1 .LBB315_3059
; %bb.3054:
	s_cmp_gt_i32 s4, 3
	s_cbranch_scc0 .LBB315_3060
; %bb.3055:
	global_load_dwordx2 v[11:12], v[0:1], off
	s_movk_i32 s0, 0xff
	s_waitcnt vmcnt(0)
	v_xor_b32_e32 v13, v11, v12
	v_ffbh_i32_e32 v9, v12
	v_ashrrev_i32_e32 v13, 31, v13
	v_add_u32_e32 v9, -1, v9
	v_add_u32_e32 v13, 32, v13
	v_min_u32_e32 v9, v9, v13
	v_lshlrev_b64 v[11:12], v9, v[11:12]
	v_sub_u32_e32 v9, 32, v9
	v_min_u32_e32 v11, 1, v11
	v_or_b32_e32 v11, v12, v11
	v_cvt_f32_i32_e32 v11, v11
	v_ldexp_f32 v11, v11, v9
	v_bfe_u32 v12, v11, 23, 8
	v_cmp_ne_u32_e32 vcc, s0, v12
	v_mov_b32_e32 v9, 0xff
	s_and_saveexec_b64 s[2:3], vcc
; %bb.3056:
	s_mov_b32 s0, 0x3fffff
	v_lshrrev_b32_e32 v9, 23, v11
	v_and_b32_e32 v13, 0x400000, v11
	v_and_or_b32 v11, v11, s0, v12
	v_cmp_ne_u32_e32 vcc, 0, v13
	v_cmp_ne_u32_e64 s[0:1], 0, v11
	s_and_b64 s[0:1], vcc, s[0:1]
	v_cndmask_b32_e64 v11, 0, 1, s[0:1]
	v_add_u32_e32 v9, v9, v11
; %bb.3057:
	s_or_b64 exec, exec, s[2:3]
	s_mov_b64 s[0:1], 0
	s_branch .LBB315_3061
.LBB315_3058:
	s_mov_b64 s[0:1], -1
                                        ; implicit-def: $vgpr9
	s_branch .LBB315_3071
.LBB315_3059:
	s_mov_b64 s[0:1], -1
                                        ; implicit-def: $vgpr9
	s_branch .LBB315_3066
.LBB315_3060:
	s_mov_b64 s[0:1], -1
                                        ; implicit-def: $vgpr9
.LBB315_3061:
	s_andn2_b64 vcc, exec, s[0:1]
	s_cbranch_vccnz .LBB315_3065
; %bb.3062:
	global_load_dword v9, v[0:1], off
	s_movk_i32 s0, 0xff
	s_waitcnt vmcnt(0)
	v_cvt_f32_i32_e32 v11, v9
	v_mov_b32_e32 v9, 0xff
	v_bfe_u32 v12, v11, 23, 8
	v_cmp_ne_u32_e32 vcc, s0, v12
	s_and_saveexec_b64 s[2:3], vcc
; %bb.3063:
	s_mov_b32 s0, 0x3fffff
	v_lshrrev_b32_e32 v9, 23, v11
	v_and_b32_e32 v13, 0x400000, v11
	v_and_or_b32 v11, v11, s0, v12
	v_cmp_ne_u32_e32 vcc, 0, v13
	v_cmp_ne_u32_e64 s[0:1], 0, v11
	s_and_b64 s[0:1], vcc, s[0:1]
	v_cndmask_b32_e64 v11, 0, 1, s[0:1]
	v_add_u32_e32 v9, v9, v11
; %bb.3064:
	s_or_b64 exec, exec, s[2:3]
.LBB315_3065:
	s_mov_b64 s[0:1], 0
.LBB315_3066:
	s_andn2_b64 vcc, exec, s[0:1]
	s_cbranch_vccnz .LBB315_3070
; %bb.3067:
	global_load_sshort v9, v[0:1], off
	s_movk_i32 s0, 0xff
	s_waitcnt vmcnt(0)
	v_cvt_f32_i32_e32 v11, v9
	v_mov_b32_e32 v9, 0xff
	v_bfe_u32 v12, v11, 23, 8
	v_cmp_ne_u32_e32 vcc, s0, v12
	s_and_saveexec_b64 s[2:3], vcc
; %bb.3068:
	s_mov_b32 s0, 0x3fffff
	v_lshrrev_b32_e32 v9, 23, v11
	v_and_b32_e32 v13, 0x400000, v11
	v_and_or_b32 v11, v11, s0, v12
	v_cmp_ne_u32_e32 vcc, 0, v13
	v_cmp_ne_u32_e64 s[0:1], 0, v11
	s_and_b64 s[0:1], vcc, s[0:1]
	v_cndmask_b32_e64 v11, 0, 1, s[0:1]
	v_add_u32_e32 v9, v9, v11
; %bb.3069:
	s_or_b64 exec, exec, s[2:3]
.LBB315_3070:
	s_mov_b64 s[0:1], 0
.LBB315_3071:
	s_andn2_b64 vcc, exec, s[0:1]
	s_cbranch_vccnz .LBB315_3081
; %bb.3072:
	s_cmp_gt_i32 s4, 0
	s_cbranch_scc0 .LBB315_3076
; %bb.3073:
	global_load_sbyte v9, v[0:1], off
	s_movk_i32 s0, 0xff
	s_waitcnt vmcnt(0)
	v_cvt_f32_i32_e32 v11, v9
	v_mov_b32_e32 v9, 0xff
	v_bfe_u32 v12, v11, 23, 8
	v_cmp_ne_u32_e32 vcc, s0, v12
	s_and_saveexec_b64 s[2:3], vcc
; %bb.3074:
	s_mov_b32 s0, 0x3fffff
	v_lshrrev_b32_e32 v9, 23, v11
	v_and_b32_e32 v13, 0x400000, v11
	v_and_or_b32 v11, v11, s0, v12
	v_cmp_ne_u32_e32 vcc, 0, v13
	v_cmp_ne_u32_e64 s[0:1], 0, v11
	s_and_b64 s[0:1], vcc, s[0:1]
	v_cndmask_b32_e64 v11, 0, 1, s[0:1]
	v_add_u32_e32 v9, v9, v11
; %bb.3075:
	s_or_b64 exec, exec, s[2:3]
	s_mov_b64 s[0:1], 0
	s_branch .LBB315_3077
.LBB315_3076:
	s_mov_b64 s[0:1], -1
                                        ; implicit-def: $vgpr9
.LBB315_3077:
	s_andn2_b64 vcc, exec, s[0:1]
	s_cbranch_vccnz .LBB315_3081
; %bb.3078:
	global_load_ubyte v0, v[0:1], off
	s_movk_i32 s0, 0xff
	s_waitcnt vmcnt(1)
	v_mov_b32_e32 v9, 0xff
	s_waitcnt vmcnt(0)
	v_cvt_f32_ubyte0_e32 v1, v0
	v_lshrrev_b32_e32 v0, 23, v1
	v_cmp_ne_u32_e32 vcc, s0, v0
	s_and_saveexec_b64 s[2:3], vcc
; %bb.3079:
	s_mov_b32 s0, 0x3fffff
	v_and_b32_e32 v9, 0x400000, v1
	v_and_or_b32 v1, v1, s0, v0
	v_cmp_ne_u32_e32 vcc, 0, v9
	v_cmp_ne_u32_e64 s[0:1], 0, v1
	s_and_b64 s[0:1], vcc, s[0:1]
	v_cndmask_b32_e64 v1, 0, 1, s[0:1]
	v_add_u32_e32 v9, v0, v1
; %bb.3080:
	s_or_b64 exec, exec, s[2:3]
.LBB315_3081:
	s_mov_b64 s[0:1], -1
.LBB315_3082:
	s_andn2_b64 vcc, exec, s[0:1]
	s_cbranch_vccnz .LBB315_3688
; %bb.3083:
	v_add_u32_e32 v0, s14, v10
	v_ashrrev_i32_e32 v1, 31, v0
	v_mov_b32_e32 v10, s17
	v_add_co_u32_e32 v0, vcc, s16, v0
	s_cmp_lt_i32 s27, 11
	v_addc_co_u32_e32 v1, vcc, v10, v1, vcc
	s_cbranch_scc1 .LBB315_3092
; %bb.3084:
	s_and_b32 s13, 0xffff, s27
	s_cmp_gt_i32 s13, 25
	s_mov_b64 s[4:5], 0
	s_cbranch_scc0 .LBB315_3093
; %bb.3085:
	s_cmp_gt_i32 s13, 28
	s_cbranch_scc0 .LBB315_3094
; %bb.3086:
	s_cmp_gt_i32 s13, 43
	;; [unrolled: 3-line block ×3, first 2 shown]
	s_cbranch_scc0 .LBB315_3097
; %bb.3088:
	s_cmp_eq_u32 s13, 46
	s_mov_b64 s[6:7], 0
	s_cbranch_scc0 .LBB315_3098
; %bb.3089:
	global_load_dword v11, v[0:1], off
	s_movk_i32 s0, 0xff
	v_mov_b32_e32 v10, 0xff
	s_waitcnt vmcnt(0)
	v_lshlrev_b32_e32 v12, 16, v11
	v_bfe_u32 v13, v12, 23, 8
	v_cmp_ne_u32_e32 vcc, s0, v13
	s_and_saveexec_b64 s[2:3], vcc
; %bb.3090:
	v_bfe_u32 v10, v11, 7, 9
	v_and_b32_e32 v11, 64, v11
	s_mov_b32 s0, 0x3f0000
	v_cmp_ne_u32_e32 vcc, 0, v11
	v_and_or_b32 v11, v12, s0, v13
	v_cmp_ne_u32_e64 s[0:1], 0, v11
	s_and_b64 s[0:1], vcc, s[0:1]
	v_cndmask_b32_e64 v11, 0, 1, s[0:1]
	v_add_u32_e32 v10, v10, v11
; %bb.3091:
	s_or_b64 exec, exec, s[2:3]
	s_mov_b64 s[2:3], 0
	s_mov_b64 s[0:1], -1
	s_branch .LBB315_3099
.LBB315_3092:
	s_mov_b64 s[2:3], -1
	s_mov_b64 s[0:1], 0
                                        ; implicit-def: $vgpr10
	s_branch .LBB315_3183
.LBB315_3093:
	s_mov_b64 s[6:7], -1
	s_mov_b64 s[0:1], 0
	s_mov_b64 s[2:3], 0
                                        ; implicit-def: $vgpr10
	s_branch .LBB315_3136
.LBB315_3094:
	s_mov_b64 s[6:7], -1
	s_mov_b64 s[0:1], 0
	s_mov_b64 s[2:3], 0
                                        ; implicit-def: $vgpr10
	s_branch .LBB315_3111
.LBB315_3095:
	s_mov_b64 s[6:7], -1
	s_mov_b64 s[0:1], 0
	s_mov_b64 s[2:3], 0
                                        ; implicit-def: $vgpr10
	s_branch .LBB315_3104
.LBB315_3096:
	s_trap 2
	s_or_b64 s[22:23], s[22:23], exec
	s_cbranch_execz .LBB315_3007
	s_branch .LBB315_3010
.LBB315_3097:
	s_mov_b64 s[6:7], -1
	s_mov_b64 s[0:1], 0
	s_mov_b64 s[2:3], 0
                                        ; implicit-def: $vgpr10
	s_branch .LBB315_3099
.LBB315_3098:
	s_mov_b64 s[2:3], -1
                                        ; implicit-def: $vgpr10
	s_mov_b64 s[0:1], 0
.LBB315_3099:
	s_and_b64 vcc, exec, s[6:7]
	s_cbranch_vccz .LBB315_3103
; %bb.3100:
	s_cmp_eq_u32 s13, 44
	s_cbranch_scc0 .LBB315_3102
; %bb.3101:
	global_load_ubyte v10, v[0:1], off
	s_mov_b64 s[2:3], 0
	s_mov_b64 s[0:1], -1
	s_branch .LBB315_3103
.LBB315_3102:
	s_mov_b64 s[2:3], -1
                                        ; implicit-def: $vgpr10
.LBB315_3103:
	s_mov_b64 s[6:7], 0
.LBB315_3104:
	s_and_b64 vcc, exec, s[6:7]
	s_cbranch_vccz .LBB315_3110
; %bb.3105:
	s_cmp_eq_u32 s13, 29
	s_cbranch_scc0 .LBB315_3109
; %bb.3106:
	global_load_dwordx2 v[10:11], v[0:1], off
	s_movk_i32 s0, 0xff
	s_waitcnt vmcnt(0)
	v_ffbh_u32_e32 v12, v11
	v_min_u32_e32 v12, 32, v12
	v_lshlrev_b64 v[10:11], v12, v[10:11]
	v_min_u32_e32 v10, 1, v10
	v_or_b32_e32 v10, v11, v10
	v_cvt_f32_u32_e32 v10, v10
	v_sub_u32_e32 v11, 32, v12
	v_ldexp_f32 v12, v10, v11
	v_lshrrev_b32_e32 v11, 23, v12
	v_cmp_ne_u32_e32 vcc, s0, v11
	v_mov_b32_e32 v10, 0xff
	s_and_saveexec_b64 s[2:3], vcc
; %bb.3107:
	v_and_b32_e32 v10, 0x400000, v12
	s_mov_b32 s0, 0x3fffff
	v_cmp_ne_u32_e32 vcc, 0, v10
	v_and_or_b32 v10, v12, s0, v11
	v_cmp_ne_u32_e64 s[0:1], 0, v10
	s_and_b64 s[0:1], vcc, s[0:1]
	v_cndmask_b32_e64 v10, 0, 1, s[0:1]
	v_add_u32_e32 v10, v11, v10
; %bb.3108:
	s_or_b64 exec, exec, s[2:3]
	s_mov_b64 s[2:3], 0
	s_mov_b64 s[0:1], -1
	s_branch .LBB315_3110
.LBB315_3109:
	s_mov_b64 s[2:3], -1
                                        ; implicit-def: $vgpr10
.LBB315_3110:
	s_mov_b64 s[6:7], 0
.LBB315_3111:
	s_and_b64 vcc, exec, s[6:7]
	s_cbranch_vccz .LBB315_3135
; %bb.3112:
	s_cmp_lt_i32 s13, 27
	s_cbranch_scc1 .LBB315_3117
; %bb.3113:
	s_cmp_gt_i32 s13, 27
	s_cbranch_scc0 .LBB315_3118
; %bb.3114:
	global_load_dword v10, v[0:1], off
	s_movk_i32 s0, 0xff
	s_waitcnt vmcnt(0)
	v_cvt_f32_u32_e32 v12, v10
	v_mov_b32_e32 v10, 0xff
	v_lshrrev_b32_e32 v11, 23, v12
	v_cmp_ne_u32_e32 vcc, s0, v11
	s_and_saveexec_b64 s[6:7], vcc
; %bb.3115:
	v_and_b32_e32 v10, 0x400000, v12
	s_mov_b32 s0, 0x3fffff
	v_cmp_ne_u32_e32 vcc, 0, v10
	v_and_or_b32 v10, v12, s0, v11
	v_cmp_ne_u32_e64 s[0:1], 0, v10
	s_and_b64 s[0:1], vcc, s[0:1]
	v_cndmask_b32_e64 v10, 0, 1, s[0:1]
	v_add_u32_e32 v10, v11, v10
; %bb.3116:
	s_or_b64 exec, exec, s[6:7]
	s_mov_b64 s[0:1], 0
	s_branch .LBB315_3119
.LBB315_3117:
	s_mov_b64 s[0:1], -1
                                        ; implicit-def: $vgpr10
	s_branch .LBB315_3124
.LBB315_3118:
	s_mov_b64 s[0:1], -1
                                        ; implicit-def: $vgpr10
.LBB315_3119:
	s_andn2_b64 vcc, exec, s[0:1]
	s_cbranch_vccnz .LBB315_3123
; %bb.3120:
	global_load_ushort v10, v[0:1], off
	s_movk_i32 s0, 0xff
	s_waitcnt vmcnt(0)
	v_cvt_f32_u32_e32 v12, v10
	v_mov_b32_e32 v10, 0xff
	v_lshrrev_b32_e32 v11, 23, v12
	v_cmp_ne_u32_e32 vcc, s0, v11
	s_and_saveexec_b64 s[6:7], vcc
; %bb.3121:
	v_and_b32_e32 v10, 0x400000, v12
	s_mov_b32 s0, 0x3fffff
	v_cmp_ne_u32_e32 vcc, 0, v10
	v_and_or_b32 v10, v12, s0, v11
	v_cmp_ne_u32_e64 s[0:1], 0, v10
	s_and_b64 s[0:1], vcc, s[0:1]
	v_cndmask_b32_e64 v10, 0, 1, s[0:1]
	v_add_u32_e32 v10, v11, v10
; %bb.3122:
	s_or_b64 exec, exec, s[6:7]
.LBB315_3123:
	s_mov_b64 s[0:1], 0
.LBB315_3124:
	s_andn2_b64 vcc, exec, s[0:1]
	s_cbranch_vccnz .LBB315_3134
; %bb.3125:
	global_load_ubyte v10, v[0:1], off
	s_movk_i32 s0, 0x7f
	s_waitcnt vmcnt(0)
	v_cmp_lt_i16_e32 vcc, s0, v10
	s_mov_b64 s[0:1], 0
	s_and_saveexec_b64 s[6:7], vcc
	s_xor_b64 s[6:7], exec, s[6:7]
	s_cbranch_execz .LBB315_3150
; %bb.3126:
	s_movk_i32 s0, 0x80
	v_cmp_eq_u16_e32 vcc, s0, v10
	s_mov_b64 s[0:1], -1
	s_and_saveexec_b64 s[10:11], vcc
; %bb.3127:
	s_xor_b64 s[0:1], exec, -1
; %bb.3128:
	s_or_b64 exec, exec, s[10:11]
	s_and_b64 s[0:1], s[0:1], exec
	s_or_saveexec_b64 s[6:7], s[6:7]
	v_mov_b32_e32 v11, 0x7f800001
	s_xor_b64 exec, exec, s[6:7]
	s_cbranch_execnz .LBB315_3151
.LBB315_3129:
	s_or_b64 exec, exec, s[6:7]
	s_and_saveexec_b64 s[6:7], s[0:1]
	s_cbranch_execz .LBB315_3131
.LBB315_3130:
	v_and_b32_e32 v10, 0xffff, v10
	v_and_b32_e32 v11, 7, v10
	v_ffbh_u32_e32 v13, v11
	v_min_u32_e32 v13, 32, v13
	v_subrev_u32_e32 v14, 28, v13
	v_bfe_u32 v12, v10, 3, 4
	v_lshlrev_b32_e32 v10, v14, v10
	v_and_b32_e32 v10, 7, v10
	v_cmp_eq_u32_e32 vcc, 0, v12
	v_sub_u32_e32 v13, 29, v13
	v_cndmask_b32_e32 v10, v11, v10, vcc
	v_cndmask_b32_e32 v12, v12, v13, vcc
	v_lshlrev_b32_e32 v10, 20, v10
	v_lshl_or_b32 v10, v12, 23, v10
	v_add_u32_e32 v11, 0x3b800000, v10
.LBB315_3131:
	s_or_b64 exec, exec, s[6:7]
	v_lshrrev_b32_e32 v12, 23, v11
	s_movk_i32 s0, 0xff
	v_cmp_ne_u32_e32 vcc, s0, v12
	v_mov_b32_e32 v10, 0xff
	s_and_saveexec_b64 s[6:7], vcc
; %bb.3132:
	v_and_b32_e32 v10, 0x400000, v11
	s_mov_b32 s0, 0x3fffff
	v_cmp_ne_u32_e32 vcc, 0, v10
	v_and_or_b32 v10, v11, s0, v12
	v_cmp_ne_u32_e64 s[0:1], 0, v10
	s_and_b64 s[0:1], vcc, s[0:1]
	v_cndmask_b32_e64 v10, 0, 1, s[0:1]
	v_add_u32_e32 v10, v12, v10
; %bb.3133:
	s_or_b64 exec, exec, s[6:7]
.LBB315_3134:
	s_mov_b64 s[0:1], -1
.LBB315_3135:
	s_mov_b64 s[6:7], 0
.LBB315_3136:
	s_and_b64 vcc, exec, s[6:7]
	s_cbranch_vccz .LBB315_3177
; %bb.3137:
	s_cmp_gt_i32 s13, 22
	s_cbranch_scc0 .LBB315_3149
; %bb.3138:
	s_cmp_lt_i32 s13, 24
	s_cbranch_scc1 .LBB315_3152
; %bb.3139:
	s_cmp_gt_i32 s13, 24
	s_cbranch_scc0 .LBB315_3153
; %bb.3140:
	global_load_ubyte v10, v[0:1], off
	s_movk_i32 s0, 0x7f
	s_waitcnt vmcnt(0)
	v_cmp_lt_i16_e32 vcc, s0, v10
	s_mov_b64 s[0:1], 0
	s_and_saveexec_b64 s[4:5], vcc
	s_xor_b64 s[4:5], exec, s[4:5]
	s_cbranch_execz .LBB315_3171
; %bb.3141:
	s_movk_i32 s0, 0x80
	v_cmp_eq_u16_e32 vcc, s0, v10
	s_mov_b64 s[0:1], -1
	s_and_saveexec_b64 s[6:7], vcc
; %bb.3142:
	s_xor_b64 s[0:1], exec, -1
; %bb.3143:
	s_or_b64 exec, exec, s[6:7]
	s_and_b64 s[0:1], s[0:1], exec
	s_or_saveexec_b64 s[4:5], s[4:5]
	v_mov_b32_e32 v11, 0x7f800001
	s_xor_b64 exec, exec, s[4:5]
	s_cbranch_execnz .LBB315_3172
.LBB315_3144:
	s_or_b64 exec, exec, s[4:5]
	s_and_saveexec_b64 s[4:5], s[0:1]
	s_cbranch_execz .LBB315_3146
.LBB315_3145:
	v_and_b32_e32 v10, 0xffff, v10
	v_and_b32_e32 v11, 3, v10
	v_ffbh_u32_e32 v13, v11
	v_min_u32_e32 v13, 32, v13
	v_subrev_u32_e32 v14, 29, v13
	v_bfe_u32 v12, v10, 2, 5
	v_lshlrev_b32_e32 v10, v14, v10
	v_and_b32_e32 v10, 3, v10
	v_cmp_eq_u32_e32 vcc, 0, v12
	v_sub_u32_e32 v13, 30, v13
	v_cndmask_b32_e32 v10, v11, v10, vcc
	v_cndmask_b32_e32 v12, v12, v13, vcc
	v_lshlrev_b32_e32 v10, 21, v10
	v_lshl_or_b32 v10, v12, 23, v10
	v_add_u32_e32 v11, 0x37800000, v10
.LBB315_3146:
	s_or_b64 exec, exec, s[4:5]
	v_lshrrev_b32_e32 v12, 23, v11
	s_movk_i32 s0, 0xff
	v_cmp_ne_u32_e32 vcc, s0, v12
	v_mov_b32_e32 v10, 0xff
	s_and_saveexec_b64 s[4:5], vcc
; %bb.3147:
	v_and_b32_e32 v10, 0x400000, v11
	s_mov_b32 s0, 0x3fffff
	v_cmp_ne_u32_e32 vcc, 0, v10
	v_and_or_b32 v10, v11, s0, v12
	v_cmp_ne_u32_e64 s[0:1], 0, v10
	s_and_b64 s[0:1], vcc, s[0:1]
	v_cndmask_b32_e64 v10, 0, 1, s[0:1]
	v_add_u32_e32 v10, v12, v10
; %bb.3148:
	s_or_b64 exec, exec, s[4:5]
	s_mov_b64 s[0:1], 0
	s_branch .LBB315_3154
.LBB315_3149:
	s_mov_b64 s[4:5], -1
                                        ; implicit-def: $vgpr10
	s_branch .LBB315_3164
.LBB315_3150:
	s_or_saveexec_b64 s[6:7], s[6:7]
	v_mov_b32_e32 v11, 0x7f800001
	s_xor_b64 exec, exec, s[6:7]
	s_cbranch_execz .LBB315_3129
.LBB315_3151:
	v_cmp_ne_u16_e32 vcc, 0, v10
	s_andn2_b64 s[0:1], s[0:1], exec
	s_and_b64 s[10:11], vcc, exec
	v_and_b32_e32 v11, 0xffff, v10
	s_or_b64 s[0:1], s[0:1], s[10:11]
	s_or_b64 exec, exec, s[6:7]
	s_and_saveexec_b64 s[6:7], s[0:1]
	s_cbranch_execnz .LBB315_3130
	s_branch .LBB315_3131
.LBB315_3152:
	s_mov_b64 s[0:1], -1
                                        ; implicit-def: $vgpr10
	s_branch .LBB315_3159
.LBB315_3153:
	s_mov_b64 s[0:1], -1
                                        ; implicit-def: $vgpr10
.LBB315_3154:
	s_and_b64 vcc, exec, s[0:1]
	s_cbranch_vccz .LBB315_3158
; %bb.3155:
	global_load_ubyte v10, v[0:1], off
	s_mov_b32 s0, 0x7f800000
	s_movk_i32 s1, 0xff
	s_waitcnt vmcnt(0)
	v_lshlrev_b32_e32 v10, 24, v10
	v_and_b32_e32 v10, 0x7f000000, v10
	v_ffbh_u32_e32 v11, v10
	v_min_u32_e32 v11, 32, v11
	v_sub_u32_e64 v11, v11, 4 clamp
	v_lshlrev_b32_e32 v13, v11, v10
	v_lshlrev_b32_e32 v11, 23, v11
	v_lshrrev_b32_e32 v13, 4, v13
	v_add_u32_e32 v12, 0x1000000, v10
	v_sub_u32_e32 v11, v13, v11
	v_ashrrev_i32_e32 v12, 8, v12
	v_add_u32_e32 v11, 0x3c000000, v11
	v_and_or_b32 v11, v12, s0, v11
	v_cmp_ne_u32_e32 vcc, 0, v10
	v_cndmask_b32_e32 v12, 0, v11, vcc
	v_lshrrev_b32_e32 v11, 23, v12
	v_cmp_ne_u32_e32 vcc, s1, v11
	v_mov_b32_e32 v10, 0xff
	s_and_saveexec_b64 s[4:5], vcc
; %bb.3156:
	v_and_b32_e32 v10, 0x400000, v12
	s_mov_b32 s0, 0x3fffff
	v_cmp_ne_u32_e32 vcc, 0, v10
	v_and_or_b32 v10, v12, s0, v11
	v_cmp_ne_u32_e64 s[0:1], 0, v10
	s_and_b64 s[0:1], vcc, s[0:1]
	v_cndmask_b32_e64 v10, 0, 1, s[0:1]
	v_add_u32_e32 v10, v11, v10
; %bb.3157:
	s_or_b64 exec, exec, s[4:5]
.LBB315_3158:
	s_mov_b64 s[0:1], 0
.LBB315_3159:
	s_andn2_b64 vcc, exec, s[0:1]
	s_cbranch_vccnz .LBB315_3163
; %bb.3160:
	global_load_ubyte v10, v[0:1], off
	s_movk_i32 s0, 0x7f00
	s_brev_b32 s1, 16
	s_movk_i32 s4, 0xff
	s_waitcnt vmcnt(0)
	v_lshlrev_b32_e32 v11, 8, v10
	v_lshlrev_b32_e32 v10, 25, v10
	v_lshrrev_b32_e32 v12, 4, v10
	v_and_or_b32 v11, v11, s0, 0.5
	v_or_b32_e32 v12, 0x70000000, v12
	v_add_f32_e32 v11, -0.5, v11
	v_mul_f32_e32 v12, 0x7800000, v12
	v_cmp_gt_u32_e32 vcc, s1, v10
	v_cndmask_b32_e32 v11, v12, v11, vcc
	v_bfe_u32 v12, v11, 23, 8
	v_cmp_ne_u32_e32 vcc, s4, v12
	v_mov_b32_e32 v10, 0xff
	s_and_saveexec_b64 s[4:5], vcc
; %bb.3161:
	s_mov_b32 s0, 0x3fffff
	v_lshrrev_b32_e32 v10, 23, v11
	v_and_b32_e32 v13, 0x400000, v11
	v_and_or_b32 v11, v11, s0, v12
	v_cmp_ne_u32_e32 vcc, 0, v13
	v_cmp_ne_u32_e64 s[0:1], 0, v11
	s_and_b64 s[0:1], vcc, s[0:1]
	v_cndmask_b32_e64 v11, 0, 1, s[0:1]
	v_add_u32_e32 v10, v10, v11
; %bb.3162:
	s_or_b64 exec, exec, s[4:5]
.LBB315_3163:
	s_mov_b64 s[4:5], 0
	s_mov_b64 s[0:1], -1
.LBB315_3164:
	s_andn2_b64 vcc, exec, s[4:5]
	s_mov_b64 s[4:5], 0
	s_cbranch_vccnz .LBB315_3177
; %bb.3165:
	s_cmp_gt_i32 s13, 14
	s_cbranch_scc0 .LBB315_3170
; %bb.3166:
	s_cmp_eq_u32 s13, 15
	s_cbranch_scc0 .LBB315_3173
; %bb.3167:
	global_load_ushort v11, v[0:1], off
	s_movk_i32 s0, 0xff
	s_waitcnt vmcnt(1)
	v_mov_b32_e32 v10, 0xff
	s_waitcnt vmcnt(0)
	v_bfe_u32 v12, v11, 7, 8
	v_cmp_ne_u32_e32 vcc, s0, v12
	s_and_saveexec_b64 s[2:3], vcc
	s_cbranch_execz .LBB315_3169
; %bb.3168:
	v_lshrrev_b32_e32 v10, 7, v11
	v_lshlrev_b32_e32 v13, 16, v11
	v_and_b32_e32 v11, 64, v11
	s_mov_b32 s0, 0x3f0000
	v_cmp_ne_u32_e32 vcc, 0, v11
	v_and_or_b32 v11, v13, s0, v12
	v_cmp_ne_u32_e64 s[0:1], 0, v11
	s_and_b64 s[0:1], vcc, s[0:1]
	v_cndmask_b32_e64 v11, 0, 1, s[0:1]
	v_add_u32_e32 v10, v10, v11
.LBB315_3169:
	s_or_b64 exec, exec, s[2:3]
	s_mov_b64 s[2:3], 0
	s_mov_b64 s[0:1], -1
	s_branch .LBB315_3174
.LBB315_3170:
	s_mov_b64 s[6:7], -1
                                        ; implicit-def: $vgpr10
	s_branch .LBB315_3175
.LBB315_3171:
	s_or_saveexec_b64 s[4:5], s[4:5]
	v_mov_b32_e32 v11, 0x7f800001
	s_xor_b64 exec, exec, s[4:5]
	s_cbranch_execz .LBB315_3144
.LBB315_3172:
	v_cmp_ne_u16_e32 vcc, 0, v10
	s_andn2_b64 s[0:1], s[0:1], exec
	s_and_b64 s[6:7], vcc, exec
	v_and_b32_e32 v11, 0xffff, v10
	s_or_b64 s[0:1], s[0:1], s[6:7]
	s_or_b64 exec, exec, s[4:5]
	s_and_saveexec_b64 s[4:5], s[0:1]
	s_cbranch_execnz .LBB315_3145
	s_branch .LBB315_3146
.LBB315_3173:
	s_mov_b64 s[2:3], -1
                                        ; implicit-def: $vgpr10
.LBB315_3174:
	s_mov_b64 s[6:7], 0
.LBB315_3175:
	s_and_b64 vcc, exec, s[6:7]
	s_cbranch_vccz .LBB315_3177
; %bb.3176:
	s_cmp_lg_u32 s13, 11
	s_mov_b64 s[4:5], -1
	s_cselect_b64 s[2:3], -1, 0
.LBB315_3177:
	s_and_b64 vcc, exec, s[2:3]
	s_cbranch_vccnz .LBB315_3731
; %bb.3178:
	s_andn2_b64 vcc, exec, s[4:5]
	s_cbranch_vccnz .LBB315_3182
.LBB315_3179:
	global_load_ubyte v10, v[0:1], off
	s_movk_i32 s0, 0xff
	s_waitcnt vmcnt(0)
	v_cmp_ne_u16_e32 vcc, 0, v10
	v_cndmask_b32_e64 v12, 0, 1.0, vcc
	v_lshrrev_b32_e32 v11, 23, v12
	v_cmp_ne_u32_e32 vcc, s0, v11
	v_mov_b32_e32 v10, 0xff
	s_and_saveexec_b64 s[2:3], vcc
; %bb.3180:
	v_and_b32_e32 v10, 0x400000, v12
	s_mov_b32 s0, 0x3fffff
	v_cmp_ne_u32_e32 vcc, 0, v10
	v_and_or_b32 v10, v12, s0, v11
	v_cmp_ne_u32_e64 s[0:1], 0, v10
	s_and_b64 s[0:1], vcc, s[0:1]
	v_cndmask_b32_e64 v10, 0, 1, s[0:1]
	v_add_u32_e32 v10, v11, v10
; %bb.3181:
	s_or_b64 exec, exec, s[2:3]
	s_mov_b64 s[0:1], -1
.LBB315_3182:
	s_mov_b64 s[2:3], 0
.LBB315_3183:
	s_and_b64 vcc, exec, s[2:3]
	s_cbranch_vccz .LBB315_3254
; %bb.3184:
	s_and_b32 s4, 0xffff, s27
	s_cmp_lt_i32 s4, 5
	s_cbranch_scc1 .LBB315_3191
; %bb.3185:
	s_cmp_lt_i32 s4, 8
	s_cbranch_scc1 .LBB315_3192
; %bb.3186:
	;; [unrolled: 3-line block ×3, first 2 shown]
	s_cmp_gt_i32 s4, 9
	s_cbranch_scc0 .LBB315_3194
; %bb.3188:
	global_load_dwordx2 v[10:11], v[0:1], off
	s_movk_i32 s0, 0xff
	s_waitcnt vmcnt(0)
	v_cvt_f32_f64_e32 v11, v[10:11]
	v_mov_b32_e32 v10, 0xff
	v_bfe_u32 v12, v11, 23, 8
	v_cmp_ne_u32_e32 vcc, s0, v12
	s_and_saveexec_b64 s[2:3], vcc
; %bb.3189:
	s_mov_b32 s0, 0x3fffff
	v_lshrrev_b32_e32 v10, 23, v11
	v_and_b32_e32 v13, 0x400000, v11
	v_and_or_b32 v11, v11, s0, v12
	v_cmp_ne_u32_e32 vcc, 0, v13
	v_cmp_ne_u32_e64 s[0:1], 0, v11
	s_and_b64 s[0:1], vcc, s[0:1]
	v_cndmask_b32_e64 v11, 0, 1, s[0:1]
	v_add_u32_e32 v10, v10, v11
; %bb.3190:
	s_or_b64 exec, exec, s[2:3]
	s_mov_b64 s[0:1], 0
	s_branch .LBB315_3195
.LBB315_3191:
	s_mov_b64 s[0:1], -1
                                        ; implicit-def: $vgpr10
	s_branch .LBB315_3223
.LBB315_3192:
	s_mov_b64 s[0:1], -1
                                        ; implicit-def: $vgpr10
	s_branch .LBB315_3205
.LBB315_3193:
	s_mov_b64 s[0:1], -1
                                        ; implicit-def: $vgpr10
	s_branch .LBB315_3200
.LBB315_3194:
	s_mov_b64 s[0:1], -1
                                        ; implicit-def: $vgpr10
.LBB315_3195:
	s_andn2_b64 vcc, exec, s[0:1]
	s_cbranch_vccnz .LBB315_3199
; %bb.3196:
	global_load_dword v11, v[0:1], off
	s_movk_i32 s0, 0xff
	s_waitcnt vmcnt(1)
	v_mov_b32_e32 v10, 0xff
	s_waitcnt vmcnt(0)
	v_bfe_u32 v12, v11, 23, 8
	v_cmp_ne_u32_e32 vcc, s0, v12
	s_and_saveexec_b64 s[2:3], vcc
; %bb.3197:
	s_mov_b32 s0, 0x3fffff
	v_lshrrev_b32_e32 v10, 23, v11
	v_and_b32_e32 v13, 0x400000, v11
	v_and_or_b32 v11, v11, s0, v12
	v_cmp_ne_u32_e32 vcc, 0, v13
	v_cmp_ne_u32_e64 s[0:1], 0, v11
	s_and_b64 s[0:1], vcc, s[0:1]
	v_cndmask_b32_e64 v11, 0, 1, s[0:1]
	v_add_u32_e32 v10, v10, v11
; %bb.3198:
	s_or_b64 exec, exec, s[2:3]
.LBB315_3199:
	s_mov_b64 s[0:1], 0
.LBB315_3200:
	s_andn2_b64 vcc, exec, s[0:1]
	s_cbranch_vccnz .LBB315_3204
; %bb.3201:
	global_load_dword v10, v[0:1], off
	s_movk_i32 s0, 0xff
	s_waitcnt vmcnt(0)
	v_cvt_f32_f16_e32 v11, v10
	v_mov_b32_e32 v10, 0xff
	v_bfe_u32 v12, v11, 23, 8
	v_cmp_ne_u32_e32 vcc, s0, v12
	s_and_saveexec_b64 s[2:3], vcc
; %bb.3202:
	s_mov_b32 s0, 0x3fffff
	v_lshrrev_b32_e32 v10, 23, v11
	v_and_b32_e32 v13, 0x400000, v11
	v_and_or_b32 v11, v11, s0, v12
	v_cmp_ne_u32_e32 vcc, 0, v13
	v_cmp_ne_u32_e64 s[0:1], 0, v11
	s_and_b64 s[0:1], vcc, s[0:1]
	v_cndmask_b32_e64 v11, 0, 1, s[0:1]
	v_add_u32_e32 v10, v10, v11
; %bb.3203:
	s_or_b64 exec, exec, s[2:3]
.LBB315_3204:
	s_mov_b64 s[0:1], 0
.LBB315_3205:
	s_andn2_b64 vcc, exec, s[0:1]
	s_cbranch_vccnz .LBB315_3222
; %bb.3206:
	s_cmp_lt_i32 s4, 6
	s_cbranch_scc1 .LBB315_3211
; %bb.3207:
	s_cmp_gt_i32 s4, 6
	s_cbranch_scc0 .LBB315_3212
; %bb.3208:
	global_load_dwordx2 v[10:11], v[0:1], off
	s_movk_i32 s0, 0xff
	s_waitcnt vmcnt(0)
	v_cvt_f32_f64_e32 v11, v[10:11]
	v_mov_b32_e32 v10, 0xff
	v_bfe_u32 v12, v11, 23, 8
	v_cmp_ne_u32_e32 vcc, s0, v12
	s_and_saveexec_b64 s[2:3], vcc
; %bb.3209:
	s_mov_b32 s0, 0x3fffff
	v_lshrrev_b32_e32 v10, 23, v11
	v_and_b32_e32 v13, 0x400000, v11
	v_and_or_b32 v11, v11, s0, v12
	v_cmp_ne_u32_e32 vcc, 0, v13
	v_cmp_ne_u32_e64 s[0:1], 0, v11
	s_and_b64 s[0:1], vcc, s[0:1]
	v_cndmask_b32_e64 v11, 0, 1, s[0:1]
	v_add_u32_e32 v10, v10, v11
; %bb.3210:
	s_or_b64 exec, exec, s[2:3]
	s_mov_b64 s[0:1], 0
	s_branch .LBB315_3213
.LBB315_3211:
	s_mov_b64 s[0:1], -1
                                        ; implicit-def: $vgpr10
	s_branch .LBB315_3218
.LBB315_3212:
	s_mov_b64 s[0:1], -1
                                        ; implicit-def: $vgpr10
.LBB315_3213:
	s_andn2_b64 vcc, exec, s[0:1]
	s_cbranch_vccnz .LBB315_3217
; %bb.3214:
	global_load_dword v11, v[0:1], off
	s_movk_i32 s0, 0xff
	s_waitcnt vmcnt(1)
	v_mov_b32_e32 v10, 0xff
	s_waitcnt vmcnt(0)
	v_bfe_u32 v12, v11, 23, 8
	v_cmp_ne_u32_e32 vcc, s0, v12
	s_and_saveexec_b64 s[2:3], vcc
; %bb.3215:
	s_mov_b32 s0, 0x3fffff
	v_lshrrev_b32_e32 v10, 23, v11
	v_and_b32_e32 v13, 0x400000, v11
	v_and_or_b32 v11, v11, s0, v12
	v_cmp_ne_u32_e32 vcc, 0, v13
	v_cmp_ne_u32_e64 s[0:1], 0, v11
	s_and_b64 s[0:1], vcc, s[0:1]
	v_cndmask_b32_e64 v11, 0, 1, s[0:1]
	v_add_u32_e32 v10, v10, v11
; %bb.3216:
	s_or_b64 exec, exec, s[2:3]
.LBB315_3217:
	s_mov_b64 s[0:1], 0
.LBB315_3218:
	s_andn2_b64 vcc, exec, s[0:1]
	s_cbranch_vccnz .LBB315_3222
; %bb.3219:
	global_load_ushort v10, v[0:1], off
	s_movk_i32 s0, 0xff
	s_waitcnt vmcnt(0)
	v_cvt_f32_f16_e32 v11, v10
	v_mov_b32_e32 v10, 0xff
	v_bfe_u32 v12, v11, 23, 8
	v_cmp_ne_u32_e32 vcc, s0, v12
	s_and_saveexec_b64 s[2:3], vcc
; %bb.3220:
	s_mov_b32 s0, 0x3fffff
	v_lshrrev_b32_e32 v10, 23, v11
	v_and_b32_e32 v13, 0x400000, v11
	v_and_or_b32 v11, v11, s0, v12
	v_cmp_ne_u32_e32 vcc, 0, v13
	v_cmp_ne_u32_e64 s[0:1], 0, v11
	s_and_b64 s[0:1], vcc, s[0:1]
	v_cndmask_b32_e64 v11, 0, 1, s[0:1]
	v_add_u32_e32 v10, v10, v11
; %bb.3221:
	s_or_b64 exec, exec, s[2:3]
.LBB315_3222:
	s_mov_b64 s[0:1], 0
.LBB315_3223:
	s_andn2_b64 vcc, exec, s[0:1]
	s_cbranch_vccnz .LBB315_3253
; %bb.3224:
	s_cmp_lt_i32 s4, 2
	s_cbranch_scc1 .LBB315_3230
; %bb.3225:
	s_cmp_lt_i32 s4, 3
	s_cbranch_scc1 .LBB315_3231
; %bb.3226:
	s_cmp_gt_i32 s4, 3
	s_cbranch_scc0 .LBB315_3232
; %bb.3227:
	global_load_dwordx2 v[10:11], v[0:1], off
	s_movk_i32 s0, 0xff
	s_waitcnt vmcnt(0)
	v_xor_b32_e32 v13, v10, v11
	v_ffbh_i32_e32 v12, v11
	v_ashrrev_i32_e32 v13, 31, v13
	v_add_u32_e32 v12, -1, v12
	v_add_u32_e32 v13, 32, v13
	v_min_u32_e32 v12, v12, v13
	v_lshlrev_b64 v[10:11], v12, v[10:11]
	v_min_u32_e32 v10, 1, v10
	v_or_b32_e32 v10, v11, v10
	v_cvt_f32_i32_e32 v10, v10
	v_sub_u32_e32 v11, 32, v12
	v_ldexp_f32 v11, v10, v11
	v_bfe_u32 v12, v11, 23, 8
	v_cmp_ne_u32_e32 vcc, s0, v12
	v_mov_b32_e32 v10, 0xff
	s_and_saveexec_b64 s[2:3], vcc
; %bb.3228:
	s_mov_b32 s0, 0x3fffff
	v_lshrrev_b32_e32 v10, 23, v11
	v_and_b32_e32 v13, 0x400000, v11
	v_and_or_b32 v11, v11, s0, v12
	v_cmp_ne_u32_e32 vcc, 0, v13
	v_cmp_ne_u32_e64 s[0:1], 0, v11
	s_and_b64 s[0:1], vcc, s[0:1]
	v_cndmask_b32_e64 v11, 0, 1, s[0:1]
	v_add_u32_e32 v10, v10, v11
; %bb.3229:
	s_or_b64 exec, exec, s[2:3]
	s_mov_b64 s[0:1], 0
	s_branch .LBB315_3233
.LBB315_3230:
	s_mov_b64 s[0:1], -1
                                        ; implicit-def: $vgpr10
	s_branch .LBB315_3243
.LBB315_3231:
	s_mov_b64 s[0:1], -1
                                        ; implicit-def: $vgpr10
	s_branch .LBB315_3238
.LBB315_3232:
	s_mov_b64 s[0:1], -1
                                        ; implicit-def: $vgpr10
.LBB315_3233:
	s_andn2_b64 vcc, exec, s[0:1]
	s_cbranch_vccnz .LBB315_3237
; %bb.3234:
	global_load_dword v10, v[0:1], off
	s_movk_i32 s0, 0xff
	s_waitcnt vmcnt(0)
	v_cvt_f32_i32_e32 v11, v10
	v_mov_b32_e32 v10, 0xff
	v_bfe_u32 v12, v11, 23, 8
	v_cmp_ne_u32_e32 vcc, s0, v12
	s_and_saveexec_b64 s[2:3], vcc
; %bb.3235:
	s_mov_b32 s0, 0x3fffff
	v_lshrrev_b32_e32 v10, 23, v11
	v_and_b32_e32 v13, 0x400000, v11
	v_and_or_b32 v11, v11, s0, v12
	v_cmp_ne_u32_e32 vcc, 0, v13
	v_cmp_ne_u32_e64 s[0:1], 0, v11
	s_and_b64 s[0:1], vcc, s[0:1]
	v_cndmask_b32_e64 v11, 0, 1, s[0:1]
	v_add_u32_e32 v10, v10, v11
; %bb.3236:
	s_or_b64 exec, exec, s[2:3]
.LBB315_3237:
	s_mov_b64 s[0:1], 0
.LBB315_3238:
	s_andn2_b64 vcc, exec, s[0:1]
	s_cbranch_vccnz .LBB315_3242
; %bb.3239:
	global_load_sshort v10, v[0:1], off
	s_movk_i32 s0, 0xff
	s_waitcnt vmcnt(0)
	v_cvt_f32_i32_e32 v11, v10
	v_mov_b32_e32 v10, 0xff
	v_bfe_u32 v12, v11, 23, 8
	v_cmp_ne_u32_e32 vcc, s0, v12
	s_and_saveexec_b64 s[2:3], vcc
; %bb.3240:
	s_mov_b32 s0, 0x3fffff
	v_lshrrev_b32_e32 v10, 23, v11
	v_and_b32_e32 v13, 0x400000, v11
	v_and_or_b32 v11, v11, s0, v12
	v_cmp_ne_u32_e32 vcc, 0, v13
	v_cmp_ne_u32_e64 s[0:1], 0, v11
	s_and_b64 s[0:1], vcc, s[0:1]
	v_cndmask_b32_e64 v11, 0, 1, s[0:1]
	v_add_u32_e32 v10, v10, v11
; %bb.3241:
	s_or_b64 exec, exec, s[2:3]
.LBB315_3242:
	s_mov_b64 s[0:1], 0
.LBB315_3243:
	s_andn2_b64 vcc, exec, s[0:1]
	s_cbranch_vccnz .LBB315_3253
; %bb.3244:
	s_cmp_gt_i32 s4, 0
	s_cbranch_scc0 .LBB315_3248
; %bb.3245:
	global_load_sbyte v10, v[0:1], off
	s_movk_i32 s0, 0xff
	s_waitcnt vmcnt(0)
	v_cvt_f32_i32_e32 v11, v10
	v_mov_b32_e32 v10, 0xff
	v_bfe_u32 v12, v11, 23, 8
	v_cmp_ne_u32_e32 vcc, s0, v12
	s_and_saveexec_b64 s[2:3], vcc
; %bb.3246:
	s_mov_b32 s0, 0x3fffff
	v_lshrrev_b32_e32 v10, 23, v11
	v_and_b32_e32 v13, 0x400000, v11
	v_and_or_b32 v11, v11, s0, v12
	v_cmp_ne_u32_e32 vcc, 0, v13
	v_cmp_ne_u32_e64 s[0:1], 0, v11
	s_and_b64 s[0:1], vcc, s[0:1]
	v_cndmask_b32_e64 v11, 0, 1, s[0:1]
	v_add_u32_e32 v10, v10, v11
; %bb.3247:
	s_or_b64 exec, exec, s[2:3]
	s_mov_b64 s[0:1], 0
	s_branch .LBB315_3249
.LBB315_3248:
	s_mov_b64 s[0:1], -1
                                        ; implicit-def: $vgpr10
.LBB315_3249:
	s_andn2_b64 vcc, exec, s[0:1]
	s_cbranch_vccnz .LBB315_3253
; %bb.3250:
	global_load_ubyte v0, v[0:1], off
	s_movk_i32 s0, 0xff
	s_waitcnt vmcnt(1)
	v_mov_b32_e32 v10, 0xff
	s_waitcnt vmcnt(0)
	v_cvt_f32_ubyte0_e32 v1, v0
	v_lshrrev_b32_e32 v0, 23, v1
	v_cmp_ne_u32_e32 vcc, s0, v0
	s_and_saveexec_b64 s[2:3], vcc
; %bb.3251:
	s_mov_b32 s0, 0x3fffff
	v_and_b32_e32 v10, 0x400000, v1
	v_and_or_b32 v1, v1, s0, v0
	v_cmp_ne_u32_e32 vcc, 0, v10
	v_cmp_ne_u32_e64 s[0:1], 0, v1
	s_and_b64 s[0:1], vcc, s[0:1]
	v_cndmask_b32_e64 v1, 0, 1, s[0:1]
	v_add_u32_e32 v10, v0, v1
; %bb.3252:
	s_or_b64 exec, exec, s[2:3]
.LBB315_3253:
	s_mov_b64 s[0:1], -1
.LBB315_3254:
	s_andn2_b64 vcc, exec, s[0:1]
	s_cbranch_vccnz .LBB315_3688
; %bb.3255:
	s_movk_i32 s0, 0xff
	v_mov_b32_e32 v0, 23
	s_waitcnt vmcnt(0)
	v_lshlrev_b32_sdwa v1, v0, v3 dst_sel:DWORD dst_unused:UNUSED_PAD src0_sel:DWORD src1_sel:BYTE_0
	v_mov_b32_e32 v11, 0x7f800001
	v_cmp_ne_u16_sdwa vcc, v3, s0 src0_sel:BYTE_0 src1_sel:DWORD
	v_mov_b32_e32 v12, 0
	v_cndmask_b32_e32 v1, v11, v1, vcc
	v_mov_b32_e32 v13, 0x400000
	v_cmp_ne_u16_sdwa vcc, v3, v12 src0_sel:BYTE_0 src1_sel:DWORD
	v_cndmask_b32_e32 v1, v13, v1, vcc
	v_lshlrev_b32_sdwa v0, v0, v4 dst_sel:DWORD dst_unused:UNUSED_PAD src0_sel:DWORD src1_sel:BYTE_0
	v_cmp_ne_u16_sdwa vcc, v4, s0 src0_sel:BYTE_0 src1_sel:DWORD
	v_cndmask_b32_e32 v0, v11, v0, vcc
	v_cmp_ne_u16_sdwa vcc, v4, v12 src0_sel:BYTE_0 src1_sel:DWORD
	v_cndmask_b32_e32 v0, v13, v0, vcc
	v_cmp_eq_f32_e32 vcc, v1, v0
	s_cmp_eq_u32 s15, 0
	v_cndmask_b32_e64 v3, 0, 1, vcc
	v_cmp_neq_f32_e32 vcc, v1, v0
	v_mul_lo_u32 v2, s12, v2
	v_cndmask_b32_e64 v0, 0, 1, vcc
	s_cselect_b64 s[0:1], -1, 0
	v_cndmask_b32_e64 v0, v0, v3, s[0:1]
	v_and_b32_e32 v0, 1, v0
	v_cmp_eq_u32_e64 s[2:3], 1, v0
	v_ashrrev_i32_e32 v1, 31, v2
	v_mov_b32_e32 v3, s9
	s_and_b32 s24, s33, 0xff
	v_add_co_u32_e32 v0, vcc, s8, v2
	s_cmp_lt_i32 s24, 11
	v_addc_co_u32_e32 v1, vcc, v3, v1, vcc
	s_cbranch_scc1 .LBB315_3333
; %bb.3256:
	s_and_b32 s13, 0xffff, s24
	s_mov_b64 s[14:15], -1
	s_mov_b64 s[6:7], 0
	s_cmp_gt_i32 s13, 25
	s_mov_b64 s[10:11], 0
	s_mov_b64 s[4:5], 0
	s_cbranch_scc0 .LBB315_3289
; %bb.3257:
	s_cmp_gt_i32 s13, 28
	s_cbranch_scc0 .LBB315_3272
; %bb.3258:
	s_cmp_gt_i32 s13, 43
	;; [unrolled: 3-line block ×3, first 2 shown]
	s_cbranch_scc0 .LBB315_3262
; %bb.3260:
	s_mov_b64 s[4:5], -1
	s_mov_b64 s[14:15], 0
	s_cmp_eq_u32 s13, 46
	s_cbranch_scc0 .LBB315_3262
; %bb.3261:
	v_cndmask_b32_e64 v3, 0, 1.0, s[2:3]
	v_bfe_u32 v4, v3, 16, 1
	s_movk_i32 s4, 0x7fff
	v_add3_u32 v3, v3, v4, s4
	v_lshrrev_b32_e32 v3, 16, v3
	global_store_dword v[0:1], v3, off
	s_mov_b64 s[4:5], 0
	s_mov_b64 s[10:11], -1
.LBB315_3262:
	s_and_b64 vcc, exec, s[14:15]
	s_cbranch_vccz .LBB315_3267
; %bb.3263:
	s_cmp_eq_u32 s13, 44
	s_mov_b64 s[4:5], -1
	s_cbranch_scc0 .LBB315_3267
; %bb.3264:
	v_cndmask_b32_e64 v4, 0, 1.0, s[2:3]
	v_lshrrev_b32_e32 v3, 23, v4
	s_movk_i32 s4, 0xff
	v_cmp_ne_u32_e32 vcc, s4, v3
	v_mov_b32_e32 v11, 0xff
	s_and_saveexec_b64 s[10:11], vcc
; %bb.3265:
	s_mov_b32 s4, 0x3fffff
	v_and_b32_e32 v11, 0x400000, v4
	v_and_or_b32 v4, v4, s4, v3
	v_cmp_ne_u32_e32 vcc, 0, v11
	v_cmp_ne_u32_e64 s[4:5], 0, v4
	s_and_b64 s[4:5], vcc, s[4:5]
	v_cndmask_b32_e64 v4, 0, 1, s[4:5]
	v_add_u32_e32 v11, v3, v4
; %bb.3266:
	s_or_b64 exec, exec, s[10:11]
	s_mov_b64 s[4:5], 0
	s_mov_b64 s[10:11], -1
	global_store_byte v[0:1], v11, off
.LBB315_3267:
	s_mov_b64 s[14:15], 0
.LBB315_3268:
	s_and_b64 vcc, exec, s[14:15]
	s_cbranch_vccz .LBB315_3271
; %bb.3269:
	s_cmp_eq_u32 s13, 29
	s_mov_b64 s[4:5], -1
	s_cbranch_scc0 .LBB315_3271
; %bb.3270:
	s_mov_b32 s4, 0
	v_cndmask_b32_e64 v3, 0, 1, s[2:3]
	v_mov_b32_e32 v4, s4
	global_store_dwordx2 v[0:1], v[3:4], off
	s_mov_b64 s[4:5], 0
	s_mov_b64 s[10:11], -1
.LBB315_3271:
	s_mov_b64 s[14:15], 0
.LBB315_3272:
	s_and_b64 vcc, exec, s[14:15]
	s_cbranch_vccz .LBB315_3288
; %bb.3273:
	s_cmp_lt_i32 s13, 27
	s_mov_b64 s[10:11], -1
	s_cbranch_scc1 .LBB315_3279
; %bb.3274:
	s_cmp_gt_i32 s13, 27
	s_cbranch_scc0 .LBB315_3276
; %bb.3275:
	v_cndmask_b32_e64 v3, 0, 1, s[2:3]
	s_mov_b64 s[10:11], 0
	global_store_dword v[0:1], v3, off
.LBB315_3276:
	s_andn2_b64 vcc, exec, s[10:11]
	s_cbranch_vccnz .LBB315_3278
; %bb.3277:
	v_cndmask_b32_e64 v3, 0, 1, s[2:3]
	global_store_short v[0:1], v3, off
.LBB315_3278:
	s_mov_b64 s[10:11], 0
.LBB315_3279:
	s_andn2_b64 vcc, exec, s[10:11]
	s_cbranch_vccnz .LBB315_3287
; %bb.3280:
	v_cndmask_b32_e64 v4, 0, 1.0, s[2:3]
	s_mov_b32 s10, 0x43800000
	v_cmp_gt_u32_e32 vcc, s10, v4
	v_mov_b32_e32 v11, 0x80
	s_and_saveexec_b64 s[10:11], vcc
	s_cbranch_execz .LBB315_3286
; %bb.3281:
	s_mov_b32 s14, 0x3bffffff
	v_cmp_lt_u32_e32 vcc, s14, v4
	s_mov_b64 s[14:15], 0
                                        ; implicit-def: $vgpr3
	s_and_saveexec_b64 s[16:17], vcc
	s_xor_b64 s[16:17], exec, s[16:17]
	s_cbranch_execz .LBB315_3732
; %bb.3282:
	v_bfe_u32 v3, v4, 20, 1
	s_mov_b32 s25, 0x487ffff
	v_add3_u32 v3, v4, v3, s25
	s_mov_b64 s[14:15], exec
	v_lshrrev_b32_e32 v3, 20, v3
                                        ; implicit-def: $vgpr4
	s_andn2_saveexec_b64 s[16:17], s[16:17]
	s_cbranch_execnz .LBB315_3733
.LBB315_3283:
	s_or_b64 exec, exec, s[16:17]
	v_mov_b32_e32 v11, 0
	s_and_saveexec_b64 s[16:17], s[14:15]
.LBB315_3284:
	v_mov_b32_e32 v11, v3
.LBB315_3285:
	s_or_b64 exec, exec, s[16:17]
.LBB315_3286:
	s_or_b64 exec, exec, s[10:11]
	global_store_byte v[0:1], v11, off
.LBB315_3287:
	s_mov_b64 s[10:11], -1
.LBB315_3288:
	s_mov_b64 s[14:15], 0
.LBB315_3289:
	s_and_b64 vcc, exec, s[14:15]
	s_cbranch_vccz .LBB315_3329
; %bb.3290:
	s_cmp_gt_i32 s13, 22
	s_mov_b64 s[6:7], -1
	s_cbranch_scc0 .LBB315_3322
; %bb.3291:
	s_cmp_lt_i32 s13, 24
	s_cbranch_scc1 .LBB315_3311
; %bb.3292:
	s_cmp_gt_i32 s13, 24
	s_cbranch_scc0 .LBB315_3300
; %bb.3293:
	v_cndmask_b32_e64 v4, 0, 1.0, s[2:3]
	s_mov_b32 s6, 0x47800000
	v_cmp_gt_u32_e32 vcc, s6, v4
	v_mov_b32_e32 v11, 0x80
	s_and_saveexec_b64 s[6:7], vcc
	s_cbranch_execz .LBB315_3299
; %bb.3294:
	s_mov_b32 s10, 0x37ffffff
	v_cmp_lt_u32_e32 vcc, s10, v4
	s_mov_b64 s[10:11], 0
                                        ; implicit-def: $vgpr3
	s_and_saveexec_b64 s[14:15], vcc
	s_xor_b64 s[14:15], exec, s[14:15]
	s_cbranch_execz .LBB315_3735
; %bb.3295:
	v_bfe_u32 v3, v4, 21, 1
	s_mov_b32 s16, 0x88fffff
	v_add3_u32 v3, v4, v3, s16
	s_mov_b64 s[10:11], exec
	v_lshrrev_b32_e32 v3, 21, v3
                                        ; implicit-def: $vgpr4
	s_andn2_saveexec_b64 s[14:15], s[14:15]
	s_cbranch_execnz .LBB315_3736
.LBB315_3296:
	s_or_b64 exec, exec, s[14:15]
	v_mov_b32_e32 v11, 0
	s_and_saveexec_b64 s[14:15], s[10:11]
.LBB315_3297:
	v_mov_b32_e32 v11, v3
.LBB315_3298:
	s_or_b64 exec, exec, s[14:15]
.LBB315_3299:
	s_or_b64 exec, exec, s[6:7]
	s_mov_b64 s[6:7], 0
	global_store_byte v[0:1], v11, off
.LBB315_3300:
	s_and_b64 vcc, exec, s[6:7]
	s_cbranch_vccz .LBB315_3310
; %bb.3301:
	v_cndmask_b32_e64 v3, 0, 1.0, s[2:3]
	s_mov_b32 s6, 0x43f00000
	v_cmp_gt_u32_e32 vcc, s6, v3
                                        ; implicit-def: $vgpr4
	s_and_saveexec_b64 s[6:7], vcc
	s_xor_b64 s[6:7], exec, s[6:7]
	s_cbranch_execz .LBB315_3307
; %bb.3302:
	s_mov_b32 s10, 0x3c7fffff
	v_cmp_lt_u32_e32 vcc, s10, v3
                                        ; implicit-def: $vgpr4
	s_and_saveexec_b64 s[10:11], vcc
	s_xor_b64 s[10:11], exec, s[10:11]
; %bb.3303:
	v_bfe_u32 v4, v3, 20, 1
	s_mov_b32 s14, 0x407ffff
	v_add3_u32 v3, v3, v4, s14
	v_lshrrev_b32_e32 v4, 20, v3
	v_and_b32_e32 v3, 0xff00000, v3
	s_mov_b32 s14, 0x7f00000
	v_mov_b32_e32 v11, 0x7e
	v_cmp_ne_u32_e32 vcc, s14, v3
	v_cndmask_b32_e32 v4, v11, v4, vcc
                                        ; implicit-def: $vgpr3
; %bb.3304:
	s_andn2_saveexec_b64 s[10:11], s[10:11]
; %bb.3305:
	v_add_f32_e32 v4, 0x46800000, v3
; %bb.3306:
	s_or_b64 exec, exec, s[10:11]
                                        ; implicit-def: $vgpr3
.LBB315_3307:
	s_andn2_saveexec_b64 s[6:7], s[6:7]
; %bb.3308:
	s_mov_b32 s10, 0x7f800000
	v_mov_b32_e32 v4, 0x7e
	v_mov_b32_e32 v11, 0x7f
	v_cmp_lt_u32_e32 vcc, s10, v3
	v_cndmask_b32_e32 v4, v4, v11, vcc
; %bb.3309:
	s_or_b64 exec, exec, s[6:7]
	global_store_byte v[0:1], v4, off
.LBB315_3310:
	s_mov_b64 s[6:7], 0
.LBB315_3311:
	s_andn2_b64 vcc, exec, s[6:7]
	s_cbranch_vccnz .LBB315_3321
; %bb.3312:
	v_cndmask_b32_e64 v3, 0, 1.0, s[2:3]
	s_mov_b32 s6, 0x47800000
	v_cmp_gt_u32_e32 vcc, s6, v3
                                        ; implicit-def: $vgpr4
	s_and_saveexec_b64 s[6:7], vcc
	s_xor_b64 s[6:7], exec, s[6:7]
	s_cbranch_execz .LBB315_3318
; %bb.3313:
	s_mov_b32 s10, 0x387fffff
	v_cmp_lt_u32_e32 vcc, s10, v3
                                        ; implicit-def: $vgpr4
	s_and_saveexec_b64 s[10:11], vcc
	s_xor_b64 s[10:11], exec, s[10:11]
; %bb.3314:
	v_bfe_u32 v4, v3, 21, 1
	s_mov_b32 s14, 0x80fffff
	v_add3_u32 v3, v3, v4, s14
	v_lshrrev_b32_e32 v4, 21, v3
                                        ; implicit-def: $vgpr3
; %bb.3315:
	s_andn2_saveexec_b64 s[10:11], s[10:11]
; %bb.3316:
	v_add_f32_e32 v4, 0x43000000, v3
; %bb.3317:
	s_or_b64 exec, exec, s[10:11]
                                        ; implicit-def: $vgpr3
.LBB315_3318:
	s_andn2_saveexec_b64 s[6:7], s[6:7]
; %bb.3319:
	s_mov_b32 s10, 0x7f800000
	v_mov_b32_e32 v4, 0x7c
	v_mov_b32_e32 v11, 0x7f
	v_cmp_lt_u32_e32 vcc, s10, v3
	v_cndmask_b32_e32 v4, v4, v11, vcc
; %bb.3320:
	s_or_b64 exec, exec, s[6:7]
	global_store_byte v[0:1], v4, off
.LBB315_3321:
	s_mov_b64 s[6:7], 0
	s_mov_b64 s[10:11], -1
.LBB315_3322:
	s_andn2_b64 vcc, exec, s[6:7]
	s_mov_b64 s[6:7], 0
	s_cbranch_vccnz .LBB315_3329
; %bb.3323:
	s_cmp_gt_i32 s13, 14
	s_mov_b64 s[14:15], -1
	s_cbranch_scc0 .LBB315_3327
; %bb.3324:
	s_cmp_eq_u32 s13, 15
	s_mov_b64 s[4:5], -1
	s_cbranch_scc0 .LBB315_3326
; %bb.3325:
	v_cndmask_b32_e64 v3, 0, 1.0, s[2:3]
	v_bfe_u32 v4, v3, 16, 1
	s_movk_i32 s4, 0x7fff
	v_add3_u32 v3, v3, v4, s4
	global_store_short_d16_hi v[0:1], v3, off
	s_mov_b64 s[4:5], 0
	s_mov_b64 s[10:11], -1
.LBB315_3326:
	s_mov_b64 s[14:15], 0
.LBB315_3327:
	s_and_b64 vcc, exec, s[14:15]
	s_cbranch_vccz .LBB315_3329
; %bb.3328:
	s_cmp_lg_u32 s13, 11
	s_mov_b64 s[6:7], -1
	s_cselect_b64 s[4:5], -1, 0
.LBB315_3329:
	s_and_b64 vcc, exec, s[4:5]
	s_cbranch_vccnz .LBB315_3734
; %bb.3330:
	s_andn2_b64 vcc, exec, s[6:7]
	s_cbranch_vccnz .LBB315_3332
.LBB315_3331:
	v_cndmask_b32_e64 v3, 0, 1, s[2:3]
	s_mov_b64 s[10:11], -1
	global_store_byte v[0:1], v3, off
.LBB315_3332:
	s_mov_b64 s[4:5], 0
	s_branch .LBB315_3334
.LBB315_3333:
	s_mov_b64 s[4:5], -1
	s_mov_b64 s[10:11], 0
.LBB315_3334:
	s_and_b64 vcc, exec, s[4:5]
	s_cbranch_vccz .LBB315_3373
; %bb.3335:
	s_and_b32 s6, 0xffff, s24
	s_cmp_lt_i32 s6, 5
	s_mov_b64 s[4:5], -1
	s_cbranch_scc1 .LBB315_3356
; %bb.3336:
	s_cmp_lt_i32 s6, 8
	s_cbranch_scc1 .LBB315_3346
; %bb.3337:
	s_cmp_lt_i32 s6, 9
	s_cbranch_scc1 .LBB315_3343
; %bb.3338:
	s_cmp_gt_i32 s6, 9
	s_cbranch_scc0 .LBB315_3340
; %bb.3339:
	v_cndmask_b32_e64 v3, 0, 1, s[2:3]
	v_cvt_f64_u32_e32 v[11:12], v3
	v_mov_b32_e32 v13, 0
	v_mov_b32_e32 v14, v13
	s_mov_b64 s[4:5], 0
	global_store_dwordx4 v[0:1], v[11:14], off
.LBB315_3340:
	s_andn2_b64 vcc, exec, s[4:5]
	s_cbranch_vccnz .LBB315_3342
; %bb.3341:
	v_cndmask_b32_e64 v3, 0, 1.0, s[2:3]
	v_mov_b32_e32 v4, 0
	global_store_dwordx2 v[0:1], v[3:4], off
.LBB315_3342:
	s_mov_b64 s[4:5], 0
.LBB315_3343:
	s_andn2_b64 vcc, exec, s[4:5]
	s_cbranch_vccnz .LBB315_3345
; %bb.3344:
	v_cndmask_b32_e64 v3, 0, 1.0, s[2:3]
	v_cvt_f16_f32_e32 v3, v3
	global_store_dword v[0:1], v3, off
.LBB315_3345:
	s_mov_b64 s[4:5], 0
.LBB315_3346:
	s_andn2_b64 vcc, exec, s[4:5]
	s_cbranch_vccnz .LBB315_3355
; %bb.3347:
	s_cmp_lt_i32 s6, 6
	s_mov_b64 s[4:5], -1
	s_cbranch_scc1 .LBB315_3353
; %bb.3348:
	s_cmp_gt_i32 s6, 6
	s_cbranch_scc0 .LBB315_3350
; %bb.3349:
	v_cndmask_b32_e64 v3, 0, 1, s[2:3]
	v_cvt_f64_u32_e32 v[3:4], v3
	s_mov_b64 s[4:5], 0
	global_store_dwordx2 v[0:1], v[3:4], off
.LBB315_3350:
	s_andn2_b64 vcc, exec, s[4:5]
	s_cbranch_vccnz .LBB315_3352
; %bb.3351:
	v_cndmask_b32_e64 v3, 0, 1.0, s[2:3]
	global_store_dword v[0:1], v3, off
.LBB315_3352:
	s_mov_b64 s[4:5], 0
.LBB315_3353:
	s_andn2_b64 vcc, exec, s[4:5]
	s_cbranch_vccnz .LBB315_3355
; %bb.3354:
	v_cndmask_b32_e64 v3, 0, 1.0, s[2:3]
	v_cvt_f16_f32_e32 v3, v3
	global_store_short v[0:1], v3, off
.LBB315_3355:
	s_mov_b64 s[4:5], 0
.LBB315_3356:
	s_andn2_b64 vcc, exec, s[4:5]
	s_cbranch_vccnz .LBB315_3372
; %bb.3357:
	s_cmp_lt_i32 s6, 2
	s_mov_b64 s[4:5], -1
	s_cbranch_scc1 .LBB315_3367
; %bb.3358:
	s_cmp_lt_i32 s6, 3
	s_cbranch_scc1 .LBB315_3364
; %bb.3359:
	s_cmp_gt_i32 s6, 3
	s_cbranch_scc0 .LBB315_3361
; %bb.3360:
	s_mov_b32 s4, 0
	v_cndmask_b32_e64 v3, 0, 1, s[2:3]
	v_mov_b32_e32 v4, s4
	global_store_dwordx2 v[0:1], v[3:4], off
	s_mov_b64 s[4:5], 0
.LBB315_3361:
	s_andn2_b64 vcc, exec, s[4:5]
	s_cbranch_vccnz .LBB315_3363
; %bb.3362:
	v_cndmask_b32_e64 v3, 0, 1, s[2:3]
	global_store_dword v[0:1], v3, off
.LBB315_3363:
	s_mov_b64 s[4:5], 0
.LBB315_3364:
	s_andn2_b64 vcc, exec, s[4:5]
	s_cbranch_vccnz .LBB315_3366
; %bb.3365:
	v_cndmask_b32_e64 v3, 0, 1, s[2:3]
	global_store_short v[0:1], v3, off
.LBB315_3366:
	s_mov_b64 s[4:5], 0
.LBB315_3367:
	s_andn2_b64 vcc, exec, s[4:5]
	s_cbranch_vccnz .LBB315_3372
; %bb.3368:
	s_mov_b64 s[4:5], -1
	s_cmp_gt_i32 s6, 0
	v_cndmask_b32_e64 v3, 0, 1, s[2:3]
	s_cbranch_scc0 .LBB315_3370
; %bb.3369:
	global_store_byte v[0:1], v3, off
	s_mov_b64 s[4:5], 0
.LBB315_3370:
	s_andn2_b64 vcc, exec, s[4:5]
	s_cbranch_vccnz .LBB315_3372
; %bb.3371:
	global_store_byte v[0:1], v3, off
.LBB315_3372:
	s_mov_b64 s[10:11], -1
.LBB315_3373:
	s_andn2_b64 vcc, exec, s[10:11]
	s_cbranch_vccnz .LBB315_3688
; %bb.3374:
	s_movk_i32 s2, 0xff
	v_mov_b32_e32 v0, 23
	v_lshlrev_b32_sdwa v1, v0, v5 dst_sel:DWORD dst_unused:UNUSED_PAD src0_sel:DWORD src1_sel:BYTE_0
	v_mov_b32_e32 v3, 0x7f800001
	v_cmp_ne_u16_sdwa vcc, v5, s2 src0_sel:BYTE_0 src1_sel:DWORD
	v_mov_b32_e32 v4, 0
	v_cndmask_b32_e32 v1, v3, v1, vcc
	v_mov_b32_e32 v11, 0x400000
	v_cmp_ne_u16_sdwa vcc, v5, v4 src0_sel:BYTE_0 src1_sel:DWORD
	v_cndmask_b32_e32 v1, v11, v1, vcc
	v_lshlrev_b32_sdwa v0, v0, v6 dst_sel:DWORD dst_unused:UNUSED_PAD src0_sel:DWORD src1_sel:BYTE_0
	v_cmp_ne_u16_sdwa vcc, v6, s2 src0_sel:BYTE_0 src1_sel:DWORD
	v_cndmask_b32_e32 v0, v3, v0, vcc
	v_cmp_ne_u16_sdwa vcc, v6, v4 src0_sel:BYTE_0 src1_sel:DWORD
	v_cndmask_b32_e32 v0, v11, v0, vcc
	v_cmp_eq_f32_e32 vcc, v1, v0
	v_cndmask_b32_e64 v3, 0, 1, vcc
	v_cmp_neq_f32_e32 vcc, v1, v0
	v_cndmask_b32_e64 v0, 0, 1, vcc
	v_cndmask_b32_e64 v0, v0, v3, s[0:1]
	s_lshl_b32 s16, s12, 7
	v_and_b32_e32 v0, 1, v0
	v_add_u32_e32 v2, s16, v2
	v_cmp_eq_u32_e64 s[2:3], 1, v0
	v_ashrrev_i32_e32 v1, 31, v2
	v_mov_b32_e32 v3, s9
	v_add_co_u32_e32 v0, vcc, s8, v2
	s_cmp_lt_i32 s24, 11
	v_addc_co_u32_e32 v1, vcc, v3, v1, vcc
	s_cbranch_scc1 .LBB315_3452
; %bb.3375:
	s_and_b32 s17, 0xffff, s24
	s_mov_b64 s[12:13], -1
	s_mov_b64 s[6:7], 0
	s_cmp_gt_i32 s17, 25
	s_mov_b64 s[10:11], 0
	s_mov_b64 s[4:5], 0
	s_cbranch_scc0 .LBB315_3408
; %bb.3376:
	s_cmp_gt_i32 s17, 28
	s_cbranch_scc0 .LBB315_3391
; %bb.3377:
	s_cmp_gt_i32 s17, 43
	;; [unrolled: 3-line block ×3, first 2 shown]
	s_cbranch_scc0 .LBB315_3381
; %bb.3379:
	s_mov_b64 s[4:5], -1
	s_mov_b64 s[12:13], 0
	s_cmp_eq_u32 s17, 46
	s_cbranch_scc0 .LBB315_3381
; %bb.3380:
	v_cndmask_b32_e64 v3, 0, 1.0, s[2:3]
	v_bfe_u32 v4, v3, 16, 1
	s_movk_i32 s4, 0x7fff
	v_add3_u32 v3, v3, v4, s4
	v_lshrrev_b32_e32 v3, 16, v3
	global_store_dword v[0:1], v3, off
	s_mov_b64 s[4:5], 0
	s_mov_b64 s[10:11], -1
.LBB315_3381:
	s_and_b64 vcc, exec, s[12:13]
	s_cbranch_vccz .LBB315_3386
; %bb.3382:
	s_cmp_eq_u32 s17, 44
	s_mov_b64 s[4:5], -1
	s_cbranch_scc0 .LBB315_3386
; %bb.3383:
	v_cndmask_b32_e64 v4, 0, 1.0, s[2:3]
	v_lshrrev_b32_e32 v3, 23, v4
	s_movk_i32 s4, 0xff
	v_cmp_ne_u32_e32 vcc, s4, v3
	v_mov_b32_e32 v5, 0xff
	s_and_saveexec_b64 s[10:11], vcc
; %bb.3384:
	s_mov_b32 s4, 0x3fffff
	v_and_b32_e32 v5, 0x400000, v4
	v_and_or_b32 v4, v4, s4, v3
	v_cmp_ne_u32_e32 vcc, 0, v5
	v_cmp_ne_u32_e64 s[4:5], 0, v4
	s_and_b64 s[4:5], vcc, s[4:5]
	v_cndmask_b32_e64 v4, 0, 1, s[4:5]
	v_add_u32_e32 v5, v3, v4
; %bb.3385:
	s_or_b64 exec, exec, s[10:11]
	s_mov_b64 s[4:5], 0
	s_mov_b64 s[10:11], -1
	global_store_byte v[0:1], v5, off
.LBB315_3386:
	s_mov_b64 s[12:13], 0
.LBB315_3387:
	s_and_b64 vcc, exec, s[12:13]
	s_cbranch_vccz .LBB315_3390
; %bb.3388:
	s_cmp_eq_u32 s17, 29
	s_mov_b64 s[4:5], -1
	s_cbranch_scc0 .LBB315_3390
; %bb.3389:
	s_mov_b32 s4, 0
	v_cndmask_b32_e64 v3, 0, 1, s[2:3]
	v_mov_b32_e32 v4, s4
	global_store_dwordx2 v[0:1], v[3:4], off
	s_mov_b64 s[4:5], 0
	s_mov_b64 s[10:11], -1
.LBB315_3390:
	s_mov_b64 s[12:13], 0
.LBB315_3391:
	s_and_b64 vcc, exec, s[12:13]
	s_cbranch_vccz .LBB315_3407
; %bb.3392:
	s_cmp_lt_i32 s17, 27
	s_mov_b64 s[10:11], -1
	s_cbranch_scc1 .LBB315_3398
; %bb.3393:
	s_cmp_gt_i32 s17, 27
	s_cbranch_scc0 .LBB315_3395
; %bb.3394:
	v_cndmask_b32_e64 v3, 0, 1, s[2:3]
	s_mov_b64 s[10:11], 0
	global_store_dword v[0:1], v3, off
.LBB315_3395:
	s_andn2_b64 vcc, exec, s[10:11]
	s_cbranch_vccnz .LBB315_3397
; %bb.3396:
	v_cndmask_b32_e64 v3, 0, 1, s[2:3]
	global_store_short v[0:1], v3, off
.LBB315_3397:
	s_mov_b64 s[10:11], 0
.LBB315_3398:
	s_andn2_b64 vcc, exec, s[10:11]
	s_cbranch_vccnz .LBB315_3406
; %bb.3399:
	v_cndmask_b32_e64 v4, 0, 1.0, s[2:3]
	s_mov_b32 s10, 0x43800000
	v_cmp_gt_u32_e32 vcc, s10, v4
	v_mov_b32_e32 v5, 0x80
	s_and_saveexec_b64 s[10:11], vcc
	s_cbranch_execz .LBB315_3405
; %bb.3400:
	s_mov_b32 s12, 0x3bffffff
	v_cmp_lt_u32_e32 vcc, s12, v4
	s_mov_b64 s[12:13], 0
                                        ; implicit-def: $vgpr3
	s_and_saveexec_b64 s[14:15], vcc
	s_xor_b64 s[14:15], exec, s[14:15]
	s_cbranch_execz .LBB315_3737
; %bb.3401:
	v_bfe_u32 v3, v4, 20, 1
	s_mov_b32 s25, 0x487ffff
	v_add3_u32 v3, v4, v3, s25
	s_mov_b64 s[12:13], exec
	v_lshrrev_b32_e32 v3, 20, v3
                                        ; implicit-def: $vgpr4
	s_andn2_saveexec_b64 s[14:15], s[14:15]
	s_cbranch_execnz .LBB315_3738
.LBB315_3402:
	s_or_b64 exec, exec, s[14:15]
	v_mov_b32_e32 v5, 0
	s_and_saveexec_b64 s[14:15], s[12:13]
.LBB315_3403:
	v_mov_b32_e32 v5, v3
.LBB315_3404:
	s_or_b64 exec, exec, s[14:15]
.LBB315_3405:
	s_or_b64 exec, exec, s[10:11]
	global_store_byte v[0:1], v5, off
.LBB315_3406:
	s_mov_b64 s[10:11], -1
.LBB315_3407:
	s_mov_b64 s[12:13], 0
.LBB315_3408:
	s_and_b64 vcc, exec, s[12:13]
	s_cbranch_vccz .LBB315_3448
; %bb.3409:
	s_cmp_gt_i32 s17, 22
	s_mov_b64 s[6:7], -1
	s_cbranch_scc0 .LBB315_3441
; %bb.3410:
	s_cmp_lt_i32 s17, 24
	s_cbranch_scc1 .LBB315_3430
; %bb.3411:
	s_cmp_gt_i32 s17, 24
	s_cbranch_scc0 .LBB315_3419
; %bb.3412:
	v_cndmask_b32_e64 v4, 0, 1.0, s[2:3]
	s_mov_b32 s6, 0x47800000
	v_cmp_gt_u32_e32 vcc, s6, v4
	v_mov_b32_e32 v5, 0x80
	s_and_saveexec_b64 s[6:7], vcc
	s_cbranch_execz .LBB315_3418
; %bb.3413:
	s_mov_b32 s10, 0x37ffffff
	v_cmp_lt_u32_e32 vcc, s10, v4
	s_mov_b64 s[10:11], 0
                                        ; implicit-def: $vgpr3
	s_and_saveexec_b64 s[12:13], vcc
	s_xor_b64 s[12:13], exec, s[12:13]
	s_cbranch_execz .LBB315_3740
; %bb.3414:
	v_bfe_u32 v3, v4, 21, 1
	s_mov_b32 s14, 0x88fffff
	v_add3_u32 v3, v4, v3, s14
	s_mov_b64 s[10:11], exec
	v_lshrrev_b32_e32 v3, 21, v3
                                        ; implicit-def: $vgpr4
	s_andn2_saveexec_b64 s[12:13], s[12:13]
	s_cbranch_execnz .LBB315_3741
.LBB315_3415:
	s_or_b64 exec, exec, s[12:13]
	v_mov_b32_e32 v5, 0
	s_and_saveexec_b64 s[12:13], s[10:11]
.LBB315_3416:
	v_mov_b32_e32 v5, v3
.LBB315_3417:
	s_or_b64 exec, exec, s[12:13]
.LBB315_3418:
	s_or_b64 exec, exec, s[6:7]
	s_mov_b64 s[6:7], 0
	global_store_byte v[0:1], v5, off
.LBB315_3419:
	s_and_b64 vcc, exec, s[6:7]
	s_cbranch_vccz .LBB315_3429
; %bb.3420:
	v_cndmask_b32_e64 v3, 0, 1.0, s[2:3]
	s_mov_b32 s6, 0x43f00000
	v_cmp_gt_u32_e32 vcc, s6, v3
                                        ; implicit-def: $vgpr4
	s_and_saveexec_b64 s[6:7], vcc
	s_xor_b64 s[6:7], exec, s[6:7]
	s_cbranch_execz .LBB315_3426
; %bb.3421:
	s_mov_b32 s10, 0x3c7fffff
	v_cmp_lt_u32_e32 vcc, s10, v3
                                        ; implicit-def: $vgpr4
	s_and_saveexec_b64 s[10:11], vcc
	s_xor_b64 s[10:11], exec, s[10:11]
; %bb.3422:
	v_bfe_u32 v4, v3, 20, 1
	s_mov_b32 s12, 0x407ffff
	v_add3_u32 v3, v3, v4, s12
	v_lshrrev_b32_e32 v4, 20, v3
	v_and_b32_e32 v3, 0xff00000, v3
	s_mov_b32 s12, 0x7f00000
	v_mov_b32_e32 v5, 0x7e
	v_cmp_ne_u32_e32 vcc, s12, v3
	v_cndmask_b32_e32 v4, v5, v4, vcc
                                        ; implicit-def: $vgpr3
; %bb.3423:
	s_andn2_saveexec_b64 s[10:11], s[10:11]
; %bb.3424:
	v_add_f32_e32 v4, 0x46800000, v3
; %bb.3425:
	s_or_b64 exec, exec, s[10:11]
                                        ; implicit-def: $vgpr3
.LBB315_3426:
	s_andn2_saveexec_b64 s[6:7], s[6:7]
; %bb.3427:
	s_mov_b32 s10, 0x7f800000
	v_mov_b32_e32 v4, 0x7e
	v_mov_b32_e32 v5, 0x7f
	v_cmp_lt_u32_e32 vcc, s10, v3
	v_cndmask_b32_e32 v4, v4, v5, vcc
; %bb.3428:
	s_or_b64 exec, exec, s[6:7]
	global_store_byte v[0:1], v4, off
.LBB315_3429:
	s_mov_b64 s[6:7], 0
.LBB315_3430:
	s_andn2_b64 vcc, exec, s[6:7]
	s_cbranch_vccnz .LBB315_3440
; %bb.3431:
	v_cndmask_b32_e64 v3, 0, 1.0, s[2:3]
	s_mov_b32 s6, 0x47800000
	v_cmp_gt_u32_e32 vcc, s6, v3
                                        ; implicit-def: $vgpr4
	s_and_saveexec_b64 s[6:7], vcc
	s_xor_b64 s[6:7], exec, s[6:7]
	s_cbranch_execz .LBB315_3437
; %bb.3432:
	s_mov_b32 s10, 0x387fffff
	v_cmp_lt_u32_e32 vcc, s10, v3
                                        ; implicit-def: $vgpr4
	s_and_saveexec_b64 s[10:11], vcc
	s_xor_b64 s[10:11], exec, s[10:11]
; %bb.3433:
	v_bfe_u32 v4, v3, 21, 1
	s_mov_b32 s12, 0x80fffff
	v_add3_u32 v3, v3, v4, s12
	v_lshrrev_b32_e32 v4, 21, v3
                                        ; implicit-def: $vgpr3
; %bb.3434:
	s_andn2_saveexec_b64 s[10:11], s[10:11]
; %bb.3435:
	v_add_f32_e32 v4, 0x43000000, v3
; %bb.3436:
	s_or_b64 exec, exec, s[10:11]
                                        ; implicit-def: $vgpr3
.LBB315_3437:
	s_andn2_saveexec_b64 s[6:7], s[6:7]
; %bb.3438:
	s_mov_b32 s10, 0x7f800000
	v_mov_b32_e32 v4, 0x7c
	v_mov_b32_e32 v5, 0x7f
	v_cmp_lt_u32_e32 vcc, s10, v3
	v_cndmask_b32_e32 v4, v4, v5, vcc
; %bb.3439:
	s_or_b64 exec, exec, s[6:7]
	global_store_byte v[0:1], v4, off
.LBB315_3440:
	s_mov_b64 s[6:7], 0
	s_mov_b64 s[10:11], -1
.LBB315_3441:
	s_andn2_b64 vcc, exec, s[6:7]
	s_mov_b64 s[6:7], 0
	s_cbranch_vccnz .LBB315_3448
; %bb.3442:
	s_cmp_gt_i32 s17, 14
	s_mov_b64 s[12:13], -1
	s_cbranch_scc0 .LBB315_3446
; %bb.3443:
	s_cmp_eq_u32 s17, 15
	s_mov_b64 s[4:5], -1
	s_cbranch_scc0 .LBB315_3445
; %bb.3444:
	v_cndmask_b32_e64 v3, 0, 1.0, s[2:3]
	v_bfe_u32 v4, v3, 16, 1
	s_movk_i32 s4, 0x7fff
	v_add3_u32 v3, v3, v4, s4
	global_store_short_d16_hi v[0:1], v3, off
	s_mov_b64 s[4:5], 0
	s_mov_b64 s[10:11], -1
.LBB315_3445:
	s_mov_b64 s[12:13], 0
.LBB315_3446:
	s_and_b64 vcc, exec, s[12:13]
	s_cbranch_vccz .LBB315_3448
; %bb.3447:
	s_cmp_lg_u32 s17, 11
	s_mov_b64 s[6:7], -1
	s_cselect_b64 s[4:5], -1, 0
.LBB315_3448:
	s_and_b64 vcc, exec, s[4:5]
	s_cbranch_vccnz .LBB315_3739
; %bb.3449:
	s_andn2_b64 vcc, exec, s[6:7]
	s_cbranch_vccnz .LBB315_3451
.LBB315_3450:
	v_cndmask_b32_e64 v3, 0, 1, s[2:3]
	s_mov_b64 s[10:11], -1
	global_store_byte v[0:1], v3, off
.LBB315_3451:
	s_mov_b64 s[4:5], 0
	s_branch .LBB315_3453
.LBB315_3452:
	s_mov_b64 s[4:5], -1
	s_mov_b64 s[10:11], 0
.LBB315_3453:
	s_and_b64 vcc, exec, s[4:5]
	s_cbranch_vccz .LBB315_3492
; %bb.3454:
	s_and_b32 s6, 0xffff, s24
	s_cmp_lt_i32 s6, 5
	s_mov_b64 s[4:5], -1
	s_cbranch_scc1 .LBB315_3475
; %bb.3455:
	s_cmp_lt_i32 s6, 8
	s_cbranch_scc1 .LBB315_3465
; %bb.3456:
	s_cmp_lt_i32 s6, 9
	s_cbranch_scc1 .LBB315_3462
; %bb.3457:
	s_cmp_gt_i32 s6, 9
	s_cbranch_scc0 .LBB315_3459
; %bb.3458:
	v_cndmask_b32_e64 v3, 0, 1, s[2:3]
	v_cvt_f64_u32_e32 v[3:4], v3
	v_mov_b32_e32 v5, 0
	v_mov_b32_e32 v6, v5
	s_mov_b64 s[4:5], 0
	global_store_dwordx4 v[0:1], v[3:6], off
.LBB315_3459:
	s_andn2_b64 vcc, exec, s[4:5]
	s_cbranch_vccnz .LBB315_3461
; %bb.3460:
	v_cndmask_b32_e64 v3, 0, 1.0, s[2:3]
	v_mov_b32_e32 v4, 0
	global_store_dwordx2 v[0:1], v[3:4], off
.LBB315_3461:
	s_mov_b64 s[4:5], 0
.LBB315_3462:
	s_andn2_b64 vcc, exec, s[4:5]
	s_cbranch_vccnz .LBB315_3464
; %bb.3463:
	v_cndmask_b32_e64 v3, 0, 1.0, s[2:3]
	v_cvt_f16_f32_e32 v3, v3
	global_store_dword v[0:1], v3, off
.LBB315_3464:
	s_mov_b64 s[4:5], 0
.LBB315_3465:
	s_andn2_b64 vcc, exec, s[4:5]
	s_cbranch_vccnz .LBB315_3474
; %bb.3466:
	s_cmp_lt_i32 s6, 6
	s_mov_b64 s[4:5], -1
	s_cbranch_scc1 .LBB315_3472
; %bb.3467:
	s_cmp_gt_i32 s6, 6
	s_cbranch_scc0 .LBB315_3469
; %bb.3468:
	v_cndmask_b32_e64 v3, 0, 1, s[2:3]
	v_cvt_f64_u32_e32 v[3:4], v3
	s_mov_b64 s[4:5], 0
	global_store_dwordx2 v[0:1], v[3:4], off
.LBB315_3469:
	s_andn2_b64 vcc, exec, s[4:5]
	s_cbranch_vccnz .LBB315_3471
; %bb.3470:
	v_cndmask_b32_e64 v3, 0, 1.0, s[2:3]
	global_store_dword v[0:1], v3, off
.LBB315_3471:
	s_mov_b64 s[4:5], 0
.LBB315_3472:
	s_andn2_b64 vcc, exec, s[4:5]
	s_cbranch_vccnz .LBB315_3474
; %bb.3473:
	v_cndmask_b32_e64 v3, 0, 1.0, s[2:3]
	v_cvt_f16_f32_e32 v3, v3
	global_store_short v[0:1], v3, off
.LBB315_3474:
	s_mov_b64 s[4:5], 0
.LBB315_3475:
	s_andn2_b64 vcc, exec, s[4:5]
	s_cbranch_vccnz .LBB315_3491
; %bb.3476:
	s_cmp_lt_i32 s6, 2
	s_mov_b64 s[4:5], -1
	s_cbranch_scc1 .LBB315_3486
; %bb.3477:
	s_cmp_lt_i32 s6, 3
	s_cbranch_scc1 .LBB315_3483
; %bb.3478:
	s_cmp_gt_i32 s6, 3
	s_cbranch_scc0 .LBB315_3480
; %bb.3479:
	s_mov_b32 s4, 0
	v_cndmask_b32_e64 v3, 0, 1, s[2:3]
	v_mov_b32_e32 v4, s4
	global_store_dwordx2 v[0:1], v[3:4], off
	s_mov_b64 s[4:5], 0
.LBB315_3480:
	s_andn2_b64 vcc, exec, s[4:5]
	s_cbranch_vccnz .LBB315_3482
; %bb.3481:
	v_cndmask_b32_e64 v3, 0, 1, s[2:3]
	global_store_dword v[0:1], v3, off
.LBB315_3482:
	s_mov_b64 s[4:5], 0
.LBB315_3483:
	s_andn2_b64 vcc, exec, s[4:5]
	s_cbranch_vccnz .LBB315_3485
; %bb.3484:
	v_cndmask_b32_e64 v3, 0, 1, s[2:3]
	global_store_short v[0:1], v3, off
.LBB315_3485:
	s_mov_b64 s[4:5], 0
.LBB315_3486:
	s_andn2_b64 vcc, exec, s[4:5]
	s_cbranch_vccnz .LBB315_3491
; %bb.3487:
	s_mov_b64 s[4:5], -1
	s_cmp_gt_i32 s6, 0
	v_cndmask_b32_e64 v3, 0, 1, s[2:3]
	s_cbranch_scc0 .LBB315_3489
; %bb.3488:
	global_store_byte v[0:1], v3, off
	s_mov_b64 s[4:5], 0
.LBB315_3489:
	s_andn2_b64 vcc, exec, s[4:5]
	s_cbranch_vccnz .LBB315_3491
; %bb.3490:
	global_store_byte v[0:1], v3, off
.LBB315_3491:
	s_mov_b64 s[10:11], -1
.LBB315_3492:
	s_andn2_b64 vcc, exec, s[10:11]
	s_cbranch_vccnz .LBB315_3688
; %bb.3493:
	s_movk_i32 s2, 0xff
	v_mov_b32_e32 v0, 23
	v_lshlrev_b32_sdwa v1, v0, v7 dst_sel:DWORD dst_unused:UNUSED_PAD src0_sel:DWORD src1_sel:BYTE_0
	v_mov_b32_e32 v3, 0x7f800001
	v_cmp_ne_u16_sdwa vcc, v7, s2 src0_sel:BYTE_0 src1_sel:DWORD
	v_mov_b32_e32 v4, 0
	v_cndmask_b32_e32 v1, v3, v1, vcc
	v_mov_b32_e32 v5, 0x400000
	v_cmp_ne_u16_sdwa vcc, v7, v4 src0_sel:BYTE_0 src1_sel:DWORD
	v_cndmask_b32_e32 v1, v5, v1, vcc
	v_lshlrev_b32_sdwa v0, v0, v8 dst_sel:DWORD dst_unused:UNUSED_PAD src0_sel:DWORD src1_sel:BYTE_0
	v_cmp_ne_u16_sdwa vcc, v8, s2 src0_sel:BYTE_0 src1_sel:DWORD
	v_cndmask_b32_e32 v0, v3, v0, vcc
	v_cmp_ne_u16_sdwa vcc, v8, v4 src0_sel:BYTE_0 src1_sel:DWORD
	v_cndmask_b32_e32 v0, v5, v0, vcc
	v_cmp_eq_f32_e32 vcc, v1, v0
	v_cndmask_b32_e64 v3, 0, 1, vcc
	v_cmp_neq_f32_e32 vcc, v1, v0
	v_cndmask_b32_e64 v0, 0, 1, vcc
	v_cndmask_b32_e64 v0, v0, v3, s[0:1]
	v_and_b32_e32 v0, 1, v0
	v_add_u32_e32 v2, s16, v2
	v_cmp_eq_u32_e64 s[2:3], 1, v0
	v_ashrrev_i32_e32 v1, 31, v2
	v_mov_b32_e32 v3, s9
	v_add_co_u32_e32 v0, vcc, s8, v2
	s_cmp_lt_i32 s24, 11
	v_addc_co_u32_e32 v1, vcc, v3, v1, vcc
	s_cbranch_scc1 .LBB315_3571
; %bb.3494:
	s_and_b32 s17, 0xffff, s24
	s_mov_b64 s[12:13], -1
	s_mov_b64 s[6:7], 0
	s_cmp_gt_i32 s17, 25
	s_mov_b64 s[10:11], 0
	s_mov_b64 s[4:5], 0
	s_cbranch_scc0 .LBB315_3527
; %bb.3495:
	s_cmp_gt_i32 s17, 28
	s_cbranch_scc0 .LBB315_3510
; %bb.3496:
	s_cmp_gt_i32 s17, 43
	;; [unrolled: 3-line block ×3, first 2 shown]
	s_cbranch_scc0 .LBB315_3500
; %bb.3498:
	s_mov_b64 s[4:5], -1
	s_mov_b64 s[12:13], 0
	s_cmp_eq_u32 s17, 46
	s_cbranch_scc0 .LBB315_3500
; %bb.3499:
	v_cndmask_b32_e64 v3, 0, 1.0, s[2:3]
	v_bfe_u32 v4, v3, 16, 1
	s_movk_i32 s4, 0x7fff
	v_add3_u32 v3, v3, v4, s4
	v_lshrrev_b32_e32 v3, 16, v3
	global_store_dword v[0:1], v3, off
	s_mov_b64 s[4:5], 0
	s_mov_b64 s[10:11], -1
.LBB315_3500:
	s_and_b64 vcc, exec, s[12:13]
	s_cbranch_vccz .LBB315_3505
; %bb.3501:
	s_cmp_eq_u32 s17, 44
	s_mov_b64 s[4:5], -1
	s_cbranch_scc0 .LBB315_3505
; %bb.3502:
	v_cndmask_b32_e64 v4, 0, 1.0, s[2:3]
	v_lshrrev_b32_e32 v3, 23, v4
	s_movk_i32 s4, 0xff
	v_cmp_ne_u32_e32 vcc, s4, v3
	v_mov_b32_e32 v5, 0xff
	s_and_saveexec_b64 s[10:11], vcc
; %bb.3503:
	s_mov_b32 s4, 0x3fffff
	v_and_b32_e32 v5, 0x400000, v4
	v_and_or_b32 v4, v4, s4, v3
	v_cmp_ne_u32_e32 vcc, 0, v5
	v_cmp_ne_u32_e64 s[4:5], 0, v4
	s_and_b64 s[4:5], vcc, s[4:5]
	v_cndmask_b32_e64 v4, 0, 1, s[4:5]
	v_add_u32_e32 v5, v3, v4
; %bb.3504:
	s_or_b64 exec, exec, s[10:11]
	s_mov_b64 s[4:5], 0
	s_mov_b64 s[10:11], -1
	global_store_byte v[0:1], v5, off
.LBB315_3505:
	s_mov_b64 s[12:13], 0
.LBB315_3506:
	s_and_b64 vcc, exec, s[12:13]
	s_cbranch_vccz .LBB315_3509
; %bb.3507:
	s_cmp_eq_u32 s17, 29
	s_mov_b64 s[4:5], -1
	s_cbranch_scc0 .LBB315_3509
; %bb.3508:
	s_mov_b32 s4, 0
	v_cndmask_b32_e64 v3, 0, 1, s[2:3]
	v_mov_b32_e32 v4, s4
	global_store_dwordx2 v[0:1], v[3:4], off
	s_mov_b64 s[4:5], 0
	s_mov_b64 s[10:11], -1
.LBB315_3509:
	s_mov_b64 s[12:13], 0
.LBB315_3510:
	s_and_b64 vcc, exec, s[12:13]
	s_cbranch_vccz .LBB315_3526
; %bb.3511:
	s_cmp_lt_i32 s17, 27
	s_mov_b64 s[10:11], -1
	s_cbranch_scc1 .LBB315_3517
; %bb.3512:
	s_cmp_gt_i32 s17, 27
	s_cbranch_scc0 .LBB315_3514
; %bb.3513:
	v_cndmask_b32_e64 v3, 0, 1, s[2:3]
	s_mov_b64 s[10:11], 0
	global_store_dword v[0:1], v3, off
.LBB315_3514:
	s_andn2_b64 vcc, exec, s[10:11]
	s_cbranch_vccnz .LBB315_3516
; %bb.3515:
	v_cndmask_b32_e64 v3, 0, 1, s[2:3]
	global_store_short v[0:1], v3, off
.LBB315_3516:
	s_mov_b64 s[10:11], 0
.LBB315_3517:
	s_andn2_b64 vcc, exec, s[10:11]
	s_cbranch_vccnz .LBB315_3525
; %bb.3518:
	v_cndmask_b32_e64 v4, 0, 1.0, s[2:3]
	s_mov_b32 s10, 0x43800000
	v_cmp_gt_u32_e32 vcc, s10, v4
	v_mov_b32_e32 v5, 0x80
	s_and_saveexec_b64 s[10:11], vcc
	s_cbranch_execz .LBB315_3524
; %bb.3519:
	s_mov_b32 s12, 0x3bffffff
	v_cmp_lt_u32_e32 vcc, s12, v4
	s_mov_b64 s[12:13], 0
                                        ; implicit-def: $vgpr3
	s_and_saveexec_b64 s[14:15], vcc
	s_xor_b64 s[14:15], exec, s[14:15]
	s_cbranch_execz .LBB315_3742
; %bb.3520:
	v_bfe_u32 v3, v4, 20, 1
	s_mov_b32 s25, 0x487ffff
	v_add3_u32 v3, v4, v3, s25
	s_mov_b64 s[12:13], exec
	v_lshrrev_b32_e32 v3, 20, v3
                                        ; implicit-def: $vgpr4
	s_andn2_saveexec_b64 s[14:15], s[14:15]
	s_cbranch_execnz .LBB315_3743
.LBB315_3521:
	s_or_b64 exec, exec, s[14:15]
	v_mov_b32_e32 v5, 0
	s_and_saveexec_b64 s[14:15], s[12:13]
.LBB315_3522:
	v_mov_b32_e32 v5, v3
.LBB315_3523:
	s_or_b64 exec, exec, s[14:15]
.LBB315_3524:
	s_or_b64 exec, exec, s[10:11]
	global_store_byte v[0:1], v5, off
.LBB315_3525:
	s_mov_b64 s[10:11], -1
.LBB315_3526:
	s_mov_b64 s[12:13], 0
.LBB315_3527:
	s_and_b64 vcc, exec, s[12:13]
	s_cbranch_vccz .LBB315_3567
; %bb.3528:
	s_cmp_gt_i32 s17, 22
	s_mov_b64 s[6:7], -1
	s_cbranch_scc0 .LBB315_3560
; %bb.3529:
	s_cmp_lt_i32 s17, 24
	s_cbranch_scc1 .LBB315_3549
; %bb.3530:
	s_cmp_gt_i32 s17, 24
	s_cbranch_scc0 .LBB315_3538
; %bb.3531:
	v_cndmask_b32_e64 v4, 0, 1.0, s[2:3]
	s_mov_b32 s6, 0x47800000
	v_cmp_gt_u32_e32 vcc, s6, v4
	v_mov_b32_e32 v5, 0x80
	s_and_saveexec_b64 s[6:7], vcc
	s_cbranch_execz .LBB315_3537
; %bb.3532:
	s_mov_b32 s10, 0x37ffffff
	v_cmp_lt_u32_e32 vcc, s10, v4
	s_mov_b64 s[10:11], 0
                                        ; implicit-def: $vgpr3
	s_and_saveexec_b64 s[12:13], vcc
	s_xor_b64 s[12:13], exec, s[12:13]
	s_cbranch_execz .LBB315_3745
; %bb.3533:
	v_bfe_u32 v3, v4, 21, 1
	s_mov_b32 s14, 0x88fffff
	v_add3_u32 v3, v4, v3, s14
	s_mov_b64 s[10:11], exec
	v_lshrrev_b32_e32 v3, 21, v3
                                        ; implicit-def: $vgpr4
	s_andn2_saveexec_b64 s[12:13], s[12:13]
	s_cbranch_execnz .LBB315_3746
.LBB315_3534:
	s_or_b64 exec, exec, s[12:13]
	v_mov_b32_e32 v5, 0
	s_and_saveexec_b64 s[12:13], s[10:11]
.LBB315_3535:
	v_mov_b32_e32 v5, v3
.LBB315_3536:
	s_or_b64 exec, exec, s[12:13]
.LBB315_3537:
	s_or_b64 exec, exec, s[6:7]
	s_mov_b64 s[6:7], 0
	global_store_byte v[0:1], v5, off
.LBB315_3538:
	s_and_b64 vcc, exec, s[6:7]
	s_cbranch_vccz .LBB315_3548
; %bb.3539:
	v_cndmask_b32_e64 v3, 0, 1.0, s[2:3]
	s_mov_b32 s6, 0x43f00000
	v_cmp_gt_u32_e32 vcc, s6, v3
                                        ; implicit-def: $vgpr4
	s_and_saveexec_b64 s[6:7], vcc
	s_xor_b64 s[6:7], exec, s[6:7]
	s_cbranch_execz .LBB315_3545
; %bb.3540:
	s_mov_b32 s10, 0x3c7fffff
	v_cmp_lt_u32_e32 vcc, s10, v3
                                        ; implicit-def: $vgpr4
	s_and_saveexec_b64 s[10:11], vcc
	s_xor_b64 s[10:11], exec, s[10:11]
; %bb.3541:
	v_bfe_u32 v4, v3, 20, 1
	s_mov_b32 s12, 0x407ffff
	v_add3_u32 v3, v3, v4, s12
	v_lshrrev_b32_e32 v4, 20, v3
	v_and_b32_e32 v3, 0xff00000, v3
	s_mov_b32 s12, 0x7f00000
	v_mov_b32_e32 v5, 0x7e
	v_cmp_ne_u32_e32 vcc, s12, v3
	v_cndmask_b32_e32 v4, v5, v4, vcc
                                        ; implicit-def: $vgpr3
; %bb.3542:
	s_andn2_saveexec_b64 s[10:11], s[10:11]
; %bb.3543:
	v_add_f32_e32 v4, 0x46800000, v3
; %bb.3544:
	s_or_b64 exec, exec, s[10:11]
                                        ; implicit-def: $vgpr3
.LBB315_3545:
	s_andn2_saveexec_b64 s[6:7], s[6:7]
; %bb.3546:
	s_mov_b32 s10, 0x7f800000
	v_mov_b32_e32 v4, 0x7e
	v_mov_b32_e32 v5, 0x7f
	v_cmp_lt_u32_e32 vcc, s10, v3
	v_cndmask_b32_e32 v4, v4, v5, vcc
; %bb.3547:
	s_or_b64 exec, exec, s[6:7]
	global_store_byte v[0:1], v4, off
.LBB315_3548:
	s_mov_b64 s[6:7], 0
.LBB315_3549:
	s_andn2_b64 vcc, exec, s[6:7]
	s_cbranch_vccnz .LBB315_3559
; %bb.3550:
	v_cndmask_b32_e64 v3, 0, 1.0, s[2:3]
	s_mov_b32 s6, 0x47800000
	v_cmp_gt_u32_e32 vcc, s6, v3
                                        ; implicit-def: $vgpr4
	s_and_saveexec_b64 s[6:7], vcc
	s_xor_b64 s[6:7], exec, s[6:7]
	s_cbranch_execz .LBB315_3556
; %bb.3551:
	s_mov_b32 s10, 0x387fffff
	v_cmp_lt_u32_e32 vcc, s10, v3
                                        ; implicit-def: $vgpr4
	s_and_saveexec_b64 s[10:11], vcc
	s_xor_b64 s[10:11], exec, s[10:11]
; %bb.3552:
	v_bfe_u32 v4, v3, 21, 1
	s_mov_b32 s12, 0x80fffff
	v_add3_u32 v3, v3, v4, s12
	v_lshrrev_b32_e32 v4, 21, v3
                                        ; implicit-def: $vgpr3
; %bb.3553:
	s_andn2_saveexec_b64 s[10:11], s[10:11]
; %bb.3554:
	v_add_f32_e32 v4, 0x43000000, v3
; %bb.3555:
	s_or_b64 exec, exec, s[10:11]
                                        ; implicit-def: $vgpr3
.LBB315_3556:
	s_andn2_saveexec_b64 s[6:7], s[6:7]
; %bb.3557:
	s_mov_b32 s10, 0x7f800000
	v_mov_b32_e32 v4, 0x7c
	v_mov_b32_e32 v5, 0x7f
	v_cmp_lt_u32_e32 vcc, s10, v3
	v_cndmask_b32_e32 v4, v4, v5, vcc
; %bb.3558:
	s_or_b64 exec, exec, s[6:7]
	global_store_byte v[0:1], v4, off
.LBB315_3559:
	s_mov_b64 s[6:7], 0
	s_mov_b64 s[10:11], -1
.LBB315_3560:
	s_andn2_b64 vcc, exec, s[6:7]
	s_mov_b64 s[6:7], 0
	s_cbranch_vccnz .LBB315_3567
; %bb.3561:
	s_cmp_gt_i32 s17, 14
	s_mov_b64 s[12:13], -1
	s_cbranch_scc0 .LBB315_3565
; %bb.3562:
	s_cmp_eq_u32 s17, 15
	s_mov_b64 s[4:5], -1
	s_cbranch_scc0 .LBB315_3564
; %bb.3563:
	v_cndmask_b32_e64 v3, 0, 1.0, s[2:3]
	v_bfe_u32 v4, v3, 16, 1
	s_movk_i32 s4, 0x7fff
	v_add3_u32 v3, v3, v4, s4
	global_store_short_d16_hi v[0:1], v3, off
	s_mov_b64 s[4:5], 0
	s_mov_b64 s[10:11], -1
.LBB315_3564:
	s_mov_b64 s[12:13], 0
.LBB315_3565:
	s_and_b64 vcc, exec, s[12:13]
	s_cbranch_vccz .LBB315_3567
; %bb.3566:
	s_cmp_lg_u32 s17, 11
	s_mov_b64 s[6:7], -1
	s_cselect_b64 s[4:5], -1, 0
.LBB315_3567:
	s_and_b64 vcc, exec, s[4:5]
	s_cbranch_vccnz .LBB315_3744
; %bb.3568:
	s_andn2_b64 vcc, exec, s[6:7]
	s_cbranch_vccnz .LBB315_3570
.LBB315_3569:
	v_cndmask_b32_e64 v3, 0, 1, s[2:3]
	s_mov_b64 s[10:11], -1
	global_store_byte v[0:1], v3, off
.LBB315_3570:
	s_mov_b64 s[4:5], 0
	s_branch .LBB315_3572
.LBB315_3571:
	s_mov_b64 s[4:5], -1
	s_mov_b64 s[10:11], 0
.LBB315_3572:
	s_and_b64 vcc, exec, s[4:5]
	s_cbranch_vccz .LBB315_3611
; %bb.3573:
	s_and_b32 s6, 0xffff, s24
	s_cmp_lt_i32 s6, 5
	s_mov_b64 s[4:5], -1
	s_cbranch_scc1 .LBB315_3594
; %bb.3574:
	s_cmp_lt_i32 s6, 8
	s_cbranch_scc1 .LBB315_3584
; %bb.3575:
	s_cmp_lt_i32 s6, 9
	s_cbranch_scc1 .LBB315_3581
; %bb.3576:
	s_cmp_gt_i32 s6, 9
	s_cbranch_scc0 .LBB315_3578
; %bb.3577:
	v_cndmask_b32_e64 v3, 0, 1, s[2:3]
	v_cvt_f64_u32_e32 v[3:4], v3
	v_mov_b32_e32 v5, 0
	v_mov_b32_e32 v6, v5
	s_mov_b64 s[4:5], 0
	global_store_dwordx4 v[0:1], v[3:6], off
.LBB315_3578:
	s_andn2_b64 vcc, exec, s[4:5]
	s_cbranch_vccnz .LBB315_3580
; %bb.3579:
	v_cndmask_b32_e64 v3, 0, 1.0, s[2:3]
	v_mov_b32_e32 v4, 0
	global_store_dwordx2 v[0:1], v[3:4], off
.LBB315_3580:
	s_mov_b64 s[4:5], 0
.LBB315_3581:
	s_andn2_b64 vcc, exec, s[4:5]
	s_cbranch_vccnz .LBB315_3583
; %bb.3582:
	v_cndmask_b32_e64 v3, 0, 1.0, s[2:3]
	v_cvt_f16_f32_e32 v3, v3
	global_store_dword v[0:1], v3, off
.LBB315_3583:
	s_mov_b64 s[4:5], 0
.LBB315_3584:
	s_andn2_b64 vcc, exec, s[4:5]
	s_cbranch_vccnz .LBB315_3593
; %bb.3585:
	s_cmp_lt_i32 s6, 6
	s_mov_b64 s[4:5], -1
	s_cbranch_scc1 .LBB315_3591
; %bb.3586:
	s_cmp_gt_i32 s6, 6
	s_cbranch_scc0 .LBB315_3588
; %bb.3587:
	v_cndmask_b32_e64 v3, 0, 1, s[2:3]
	v_cvt_f64_u32_e32 v[3:4], v3
	s_mov_b64 s[4:5], 0
	global_store_dwordx2 v[0:1], v[3:4], off
.LBB315_3588:
	s_andn2_b64 vcc, exec, s[4:5]
	s_cbranch_vccnz .LBB315_3590
; %bb.3589:
	v_cndmask_b32_e64 v3, 0, 1.0, s[2:3]
	global_store_dword v[0:1], v3, off
.LBB315_3590:
	s_mov_b64 s[4:5], 0
.LBB315_3591:
	s_andn2_b64 vcc, exec, s[4:5]
	s_cbranch_vccnz .LBB315_3593
; %bb.3592:
	v_cndmask_b32_e64 v3, 0, 1.0, s[2:3]
	v_cvt_f16_f32_e32 v3, v3
	global_store_short v[0:1], v3, off
.LBB315_3593:
	s_mov_b64 s[4:5], 0
.LBB315_3594:
	s_andn2_b64 vcc, exec, s[4:5]
	s_cbranch_vccnz .LBB315_3610
; %bb.3595:
	s_cmp_lt_i32 s6, 2
	s_mov_b64 s[4:5], -1
	s_cbranch_scc1 .LBB315_3605
; %bb.3596:
	s_cmp_lt_i32 s6, 3
	s_cbranch_scc1 .LBB315_3602
; %bb.3597:
	s_cmp_gt_i32 s6, 3
	s_cbranch_scc0 .LBB315_3599
; %bb.3598:
	s_mov_b32 s4, 0
	v_cndmask_b32_e64 v3, 0, 1, s[2:3]
	v_mov_b32_e32 v4, s4
	global_store_dwordx2 v[0:1], v[3:4], off
	s_mov_b64 s[4:5], 0
.LBB315_3599:
	s_andn2_b64 vcc, exec, s[4:5]
	s_cbranch_vccnz .LBB315_3601
; %bb.3600:
	v_cndmask_b32_e64 v3, 0, 1, s[2:3]
	global_store_dword v[0:1], v3, off
.LBB315_3601:
	s_mov_b64 s[4:5], 0
.LBB315_3602:
	s_andn2_b64 vcc, exec, s[4:5]
	s_cbranch_vccnz .LBB315_3604
; %bb.3603:
	v_cndmask_b32_e64 v3, 0, 1, s[2:3]
	global_store_short v[0:1], v3, off
.LBB315_3604:
	s_mov_b64 s[4:5], 0
.LBB315_3605:
	s_andn2_b64 vcc, exec, s[4:5]
	s_cbranch_vccnz .LBB315_3610
; %bb.3606:
	s_mov_b64 s[4:5], -1
	s_cmp_gt_i32 s6, 0
	v_cndmask_b32_e64 v3, 0, 1, s[2:3]
	s_cbranch_scc0 .LBB315_3608
; %bb.3607:
	global_store_byte v[0:1], v3, off
	s_mov_b64 s[4:5], 0
.LBB315_3608:
	s_andn2_b64 vcc, exec, s[4:5]
	s_cbranch_vccnz .LBB315_3610
; %bb.3609:
	global_store_byte v[0:1], v3, off
.LBB315_3610:
	s_mov_b64 s[10:11], -1
.LBB315_3611:
	s_andn2_b64 vcc, exec, s[10:11]
	s_cbranch_vccnz .LBB315_3688
; %bb.3612:
	s_movk_i32 s2, 0xff
	v_mov_b32_e32 v0, 23
	v_lshlrev_b32_sdwa v1, v0, v9 dst_sel:DWORD dst_unused:UNUSED_PAD src0_sel:DWORD src1_sel:BYTE_0
	v_mov_b32_e32 v3, 0x7f800001
	v_cmp_ne_u16_sdwa vcc, v9, s2 src0_sel:BYTE_0 src1_sel:DWORD
	v_mov_b32_e32 v4, 0
	v_cndmask_b32_e32 v1, v3, v1, vcc
	v_mov_b32_e32 v5, 0x400000
	v_cmp_ne_u16_sdwa vcc, v9, v4 src0_sel:BYTE_0 src1_sel:DWORD
	v_cndmask_b32_e32 v1, v5, v1, vcc
	v_lshlrev_b32_sdwa v0, v0, v10 dst_sel:DWORD dst_unused:UNUSED_PAD src0_sel:DWORD src1_sel:BYTE_0
	v_cmp_ne_u16_sdwa vcc, v10, s2 src0_sel:BYTE_0 src1_sel:DWORD
	v_cndmask_b32_e32 v0, v3, v0, vcc
	v_cmp_ne_u16_sdwa vcc, v10, v4 src0_sel:BYTE_0 src1_sel:DWORD
	v_cndmask_b32_e32 v0, v5, v0, vcc
	v_cmp_eq_f32_e32 vcc, v1, v0
	v_cndmask_b32_e64 v3, 0, 1, vcc
	v_cmp_neq_f32_e32 vcc, v1, v0
	v_cndmask_b32_e64 v0, 0, 1, vcc
	v_cndmask_b32_e64 v0, v0, v3, s[0:1]
	v_and_b32_e32 v0, 1, v0
	v_cmp_eq_u32_e64 s[2:3], 1, v0
	v_add_u32_e32 v0, s16, v2
	v_ashrrev_i32_e32 v1, 31, v0
	v_mov_b32_e32 v2, s9
	v_add_co_u32_e32 v0, vcc, s8, v0
	s_cmp_lt_i32 s24, 11
	v_addc_co_u32_e32 v1, vcc, v2, v1, vcc
	s_cbranch_scc1 .LBB315_3730
; %bb.3613:
	s_and_b32 s12, 0xffff, s24
	s_mov_b64 s[6:7], -1
	s_mov_b64 s[4:5], 0
	s_cmp_gt_i32 s12, 25
	s_mov_b64 s[0:1], 0
	s_cbranch_scc0 .LBB315_3646
; %bb.3614:
	s_cmp_gt_i32 s12, 28
	s_cbranch_scc0 .LBB315_3630
; %bb.3615:
	s_cmp_gt_i32 s12, 43
	;; [unrolled: 3-line block ×3, first 2 shown]
	s_cbranch_scc0 .LBB315_3620
; %bb.3617:
	s_cmp_eq_u32 s12, 46
	s_mov_b64 s[0:1], -1
	s_cbranch_scc0 .LBB315_3619
; %bb.3618:
	v_cndmask_b32_e64 v2, 0, 1.0, s[2:3]
	v_bfe_u32 v3, v2, 16, 1
	s_movk_i32 s0, 0x7fff
	v_add3_u32 v2, v2, v3, s0
	v_lshrrev_b32_e32 v2, 16, v2
	global_store_dword v[0:1], v2, off
	s_mov_b64 s[0:1], 0
.LBB315_3619:
	s_mov_b64 s[6:7], 0
.LBB315_3620:
	s_and_b64 vcc, exec, s[6:7]
	s_cbranch_vccz .LBB315_3625
; %bb.3621:
	s_cmp_eq_u32 s12, 44
	s_mov_b64 s[0:1], -1
	s_cbranch_scc0 .LBB315_3625
; %bb.3622:
	v_cndmask_b32_e64 v3, 0, 1.0, s[2:3]
	v_lshrrev_b32_e32 v2, 23, v3
	s_movk_i32 s0, 0xff
	v_cmp_ne_u32_e32 vcc, s0, v2
	v_mov_b32_e32 v4, 0xff
	s_and_saveexec_b64 s[6:7], vcc
; %bb.3623:
	s_mov_b32 s0, 0x3fffff
	v_and_b32_e32 v4, 0x400000, v3
	v_and_or_b32 v3, v3, s0, v2
	v_cmp_ne_u32_e32 vcc, 0, v4
	v_cmp_ne_u32_e64 s[0:1], 0, v3
	s_and_b64 s[0:1], vcc, s[0:1]
	v_cndmask_b32_e64 v3, 0, 1, s[0:1]
	v_add_u32_e32 v4, v2, v3
; %bb.3624:
	s_or_b64 exec, exec, s[6:7]
	s_mov_b64 s[0:1], 0
	global_store_byte v[0:1], v4, off
.LBB315_3625:
	s_mov_b64 s[6:7], 0
.LBB315_3626:
	s_and_b64 vcc, exec, s[6:7]
	s_cbranch_vccz .LBB315_3629
; %bb.3627:
	s_cmp_eq_u32 s12, 29
	s_mov_b64 s[0:1], -1
	s_cbranch_scc0 .LBB315_3629
; %bb.3628:
	s_mov_b32 s0, 0
	v_cndmask_b32_e64 v2, 0, 1, s[2:3]
	v_mov_b32_e32 v3, s0
	global_store_dwordx2 v[0:1], v[2:3], off
	s_mov_b64 s[0:1], 0
.LBB315_3629:
	s_mov_b64 s[6:7], 0
.LBB315_3630:
	s_and_b64 vcc, exec, s[6:7]
	s_cbranch_vccz .LBB315_3645
; %bb.3631:
	s_cmp_lt_i32 s12, 27
	s_mov_b64 s[6:7], -1
	s_cbranch_scc1 .LBB315_3637
; %bb.3632:
	s_cmp_gt_i32 s12, 27
	v_cndmask_b32_e64 v2, 0, 1, s[2:3]
	s_cbranch_scc0 .LBB315_3634
; %bb.3633:
	global_store_dword v[0:1], v2, off
	s_mov_b64 s[6:7], 0
.LBB315_3634:
	s_andn2_b64 vcc, exec, s[6:7]
	s_cbranch_vccnz .LBB315_3636
; %bb.3635:
	global_store_short v[0:1], v2, off
.LBB315_3636:
	s_mov_b64 s[6:7], 0
.LBB315_3637:
	s_andn2_b64 vcc, exec, s[6:7]
	s_cbranch_vccnz .LBB315_3645
; %bb.3638:
	v_cndmask_b32_e64 v3, 0, 1.0, s[2:3]
	s_mov_b32 s6, 0x43800000
	v_cmp_gt_u32_e32 vcc, s6, v3
	v_mov_b32_e32 v4, 0x80
	s_and_saveexec_b64 s[6:7], vcc
	s_cbranch_execz .LBB315_3644
; %bb.3639:
	s_mov_b32 s8, 0x3bffffff
	v_cmp_lt_u32_e32 vcc, s8, v3
	s_mov_b64 s[8:9], 0
                                        ; implicit-def: $vgpr2
	s_and_saveexec_b64 s[10:11], vcc
	s_xor_b64 s[10:11], exec, s[10:11]
	s_cbranch_execz .LBB315_3747
; %bb.3640:
	v_bfe_u32 v2, v3, 20, 1
	s_mov_b32 s13, 0x487ffff
	v_add3_u32 v2, v3, v2, s13
	s_mov_b64 s[8:9], exec
	v_lshrrev_b32_e32 v2, 20, v2
                                        ; implicit-def: $vgpr3
	s_andn2_saveexec_b64 s[10:11], s[10:11]
	s_cbranch_execnz .LBB315_3748
.LBB315_3641:
	s_or_b64 exec, exec, s[10:11]
	v_mov_b32_e32 v4, 0
	s_and_saveexec_b64 s[10:11], s[8:9]
.LBB315_3642:
	v_mov_b32_e32 v4, v2
.LBB315_3643:
	s_or_b64 exec, exec, s[10:11]
.LBB315_3644:
	s_or_b64 exec, exec, s[6:7]
	global_store_byte v[0:1], v4, off
.LBB315_3645:
	s_mov_b64 s[6:7], 0
.LBB315_3646:
	s_and_b64 vcc, exec, s[6:7]
	s_cbranch_vccz .LBB315_3686
; %bb.3647:
	s_cmp_gt_i32 s12, 22
	s_mov_b64 s[4:5], -1
	s_cbranch_scc0 .LBB315_3679
; %bb.3648:
	s_cmp_lt_i32 s12, 24
	s_cbranch_scc1 .LBB315_3668
; %bb.3649:
	s_cmp_gt_i32 s12, 24
	s_cbranch_scc0 .LBB315_3657
; %bb.3650:
	v_cndmask_b32_e64 v3, 0, 1.0, s[2:3]
	s_mov_b32 s4, 0x47800000
	v_cmp_gt_u32_e32 vcc, s4, v3
	v_mov_b32_e32 v4, 0x80
	s_and_saveexec_b64 s[4:5], vcc
	s_cbranch_execz .LBB315_3656
; %bb.3651:
	s_mov_b32 s6, 0x37ffffff
	v_cmp_lt_u32_e32 vcc, s6, v3
	s_mov_b64 s[6:7], 0
                                        ; implicit-def: $vgpr2
	s_and_saveexec_b64 s[8:9], vcc
	s_xor_b64 s[8:9], exec, s[8:9]
	s_cbranch_execz .LBB315_3750
; %bb.3652:
	v_bfe_u32 v2, v3, 21, 1
	s_mov_b32 s10, 0x88fffff
	v_add3_u32 v2, v3, v2, s10
	s_mov_b64 s[6:7], exec
	v_lshrrev_b32_e32 v2, 21, v2
                                        ; implicit-def: $vgpr3
	s_andn2_saveexec_b64 s[8:9], s[8:9]
	s_cbranch_execnz .LBB315_3751
.LBB315_3653:
	s_or_b64 exec, exec, s[8:9]
	v_mov_b32_e32 v4, 0
	s_and_saveexec_b64 s[8:9], s[6:7]
.LBB315_3654:
	v_mov_b32_e32 v4, v2
.LBB315_3655:
	s_or_b64 exec, exec, s[8:9]
.LBB315_3656:
	s_or_b64 exec, exec, s[4:5]
	s_mov_b64 s[4:5], 0
	global_store_byte v[0:1], v4, off
.LBB315_3657:
	s_and_b64 vcc, exec, s[4:5]
	s_cbranch_vccz .LBB315_3667
; %bb.3658:
	v_cndmask_b32_e64 v2, 0, 1.0, s[2:3]
	s_mov_b32 s4, 0x43f00000
	v_cmp_gt_u32_e32 vcc, s4, v2
                                        ; implicit-def: $vgpr3
	s_and_saveexec_b64 s[4:5], vcc
	s_xor_b64 s[4:5], exec, s[4:5]
	s_cbranch_execz .LBB315_3664
; %bb.3659:
	s_mov_b32 s6, 0x3c7fffff
	v_cmp_lt_u32_e32 vcc, s6, v2
                                        ; implicit-def: $vgpr3
	s_and_saveexec_b64 s[6:7], vcc
	s_xor_b64 s[6:7], exec, s[6:7]
; %bb.3660:
	v_bfe_u32 v3, v2, 20, 1
	s_mov_b32 s8, 0x407ffff
	v_add3_u32 v2, v2, v3, s8
	v_lshrrev_b32_e32 v3, 20, v2
	v_and_b32_e32 v2, 0xff00000, v2
	s_mov_b32 s8, 0x7f00000
	v_mov_b32_e32 v4, 0x7e
	v_cmp_ne_u32_e32 vcc, s8, v2
	v_cndmask_b32_e32 v3, v4, v3, vcc
                                        ; implicit-def: $vgpr2
; %bb.3661:
	s_andn2_saveexec_b64 s[6:7], s[6:7]
; %bb.3662:
	v_add_f32_e32 v3, 0x46800000, v2
; %bb.3663:
	s_or_b64 exec, exec, s[6:7]
                                        ; implicit-def: $vgpr2
.LBB315_3664:
	s_andn2_saveexec_b64 s[4:5], s[4:5]
; %bb.3665:
	s_mov_b32 s6, 0x7f800000
	v_mov_b32_e32 v3, 0x7e
	v_mov_b32_e32 v4, 0x7f
	v_cmp_lt_u32_e32 vcc, s6, v2
	v_cndmask_b32_e32 v3, v3, v4, vcc
; %bb.3666:
	s_or_b64 exec, exec, s[4:5]
	global_store_byte v[0:1], v3, off
.LBB315_3667:
	s_mov_b64 s[4:5], 0
.LBB315_3668:
	s_andn2_b64 vcc, exec, s[4:5]
	s_cbranch_vccnz .LBB315_3678
; %bb.3669:
	v_cndmask_b32_e64 v2, 0, 1.0, s[2:3]
	s_mov_b32 s4, 0x47800000
	v_cmp_gt_u32_e32 vcc, s4, v2
                                        ; implicit-def: $vgpr3
	s_and_saveexec_b64 s[4:5], vcc
	s_xor_b64 s[4:5], exec, s[4:5]
	s_cbranch_execz .LBB315_3675
; %bb.3670:
	s_mov_b32 s6, 0x387fffff
	v_cmp_lt_u32_e32 vcc, s6, v2
                                        ; implicit-def: $vgpr3
	s_and_saveexec_b64 s[6:7], vcc
	s_xor_b64 s[6:7], exec, s[6:7]
; %bb.3671:
	v_bfe_u32 v3, v2, 21, 1
	s_mov_b32 s8, 0x80fffff
	v_add3_u32 v2, v2, v3, s8
	v_lshrrev_b32_e32 v3, 21, v2
                                        ; implicit-def: $vgpr2
; %bb.3672:
	s_andn2_saveexec_b64 s[6:7], s[6:7]
; %bb.3673:
	v_add_f32_e32 v3, 0x43000000, v2
; %bb.3674:
	s_or_b64 exec, exec, s[6:7]
                                        ; implicit-def: $vgpr2
.LBB315_3675:
	s_andn2_saveexec_b64 s[4:5], s[4:5]
; %bb.3676:
	s_mov_b32 s6, 0x7f800000
	v_mov_b32_e32 v3, 0x7c
	v_mov_b32_e32 v4, 0x7f
	v_cmp_lt_u32_e32 vcc, s6, v2
	v_cndmask_b32_e32 v3, v3, v4, vcc
; %bb.3677:
	s_or_b64 exec, exec, s[4:5]
	global_store_byte v[0:1], v3, off
.LBB315_3678:
	s_mov_b64 s[4:5], 0
.LBB315_3679:
	s_andn2_b64 vcc, exec, s[4:5]
	s_mov_b64 s[4:5], 0
	s_cbranch_vccnz .LBB315_3686
; %bb.3680:
	s_cmp_gt_i32 s12, 14
	s_mov_b64 s[6:7], -1
	s_cbranch_scc0 .LBB315_3684
; %bb.3681:
	s_cmp_eq_u32 s12, 15
	s_mov_b64 s[0:1], -1
	s_cbranch_scc0 .LBB315_3683
; %bb.3682:
	v_cndmask_b32_e64 v2, 0, 1.0, s[2:3]
	v_bfe_u32 v3, v2, 16, 1
	s_movk_i32 s0, 0x7fff
	v_add3_u32 v2, v2, v3, s0
	global_store_short_d16_hi v[0:1], v2, off
	s_mov_b64 s[0:1], 0
.LBB315_3683:
	s_mov_b64 s[6:7], 0
.LBB315_3684:
	s_and_b64 vcc, exec, s[6:7]
	s_cbranch_vccz .LBB315_3686
; %bb.3685:
	s_cmp_lg_u32 s12, 11
	s_mov_b64 s[4:5], -1
	s_cselect_b64 s[0:1], -1, 0
.LBB315_3686:
	s_and_b64 vcc, exec, s[0:1]
	s_cbranch_vccnz .LBB315_3749
.LBB315_3687:
	s_mov_b64 s[0:1], 0
	s_branch .LBB315_3689
.LBB315_3688:
	s_mov_b64 s[0:1], 0
	s_mov_b64 s[4:5], 0
                                        ; implicit-def: $sgpr2_sgpr3
                                        ; implicit-def: $sgpr24
                                        ; implicit-def: $vgpr0_vgpr1
.LBB315_3689:
	s_and_b64 s[6:7], s[4:5], exec
	s_andn2_b64 s[4:5], s[20:21], exec
	s_and_b64 s[8:9], s[22:23], exec
	s_and_b64 s[0:1], s[0:1], exec
	s_or_b64 s[20:21], s[4:5], s[8:9]
	s_or_b64 exec, exec, s[18:19]
	s_and_saveexec_b64 s[4:5], s[20:21]
	s_cbranch_execnz .LBB315_1892
.LBB315_3690:
	s_or_b64 exec, exec, s[4:5]
	s_and_saveexec_b64 s[4:5], s[6:7]
	s_xor_b64 s[4:5], exec, s[4:5]
	s_cbranch_execz .LBB315_1893
.LBB315_3691:
	v_cndmask_b32_e64 v2, 0, 1, s[2:3]
	global_store_byte v[0:1], v2, off
	s_or_b64 exec, exec, s[4:5]
	s_and_saveexec_b64 s[4:5], s[0:1]
	s_cbranch_execz .LBB315_3729
.LBB315_3692:
	s_sext_i32_i16 s4, s24
	s_cmp_lt_i32 s4, 5
	s_mov_b64 s[0:1], -1
	s_cbranch_scc1 .LBB315_3713
; %bb.3693:
	s_cmp_lt_i32 s4, 8
	s_cbranch_scc1 .LBB315_3703
; %bb.3694:
	s_cmp_lt_i32 s4, 9
	s_cbranch_scc1 .LBB315_3700
; %bb.3695:
	s_cmp_gt_i32 s4, 9
	s_cbranch_scc0 .LBB315_3697
; %bb.3696:
	v_cndmask_b32_e64 v2, 0, 1, s[2:3]
	s_waitcnt vmcnt(0)
	v_cvt_f64_u32_e32 v[2:3], v2
	v_mov_b32_e32 v4, 0
	v_mov_b32_e32 v5, v4
	s_mov_b64 s[0:1], 0
	global_store_dwordx4 v[0:1], v[2:5], off
.LBB315_3697:
	s_andn2_b64 vcc, exec, s[0:1]
	s_cbranch_vccnz .LBB315_3699
; %bb.3698:
	v_cndmask_b32_e64 v2, 0, 1.0, s[2:3]
	s_waitcnt vmcnt(0)
	v_mov_b32_e32 v3, 0
	global_store_dwordx2 v[0:1], v[2:3], off
.LBB315_3699:
	s_mov_b64 s[0:1], 0
.LBB315_3700:
	s_andn2_b64 vcc, exec, s[0:1]
	s_cbranch_vccnz .LBB315_3702
; %bb.3701:
	v_cndmask_b32_e64 v2, 0, 1.0, s[2:3]
	v_cvt_f16_f32_e32 v2, v2
	global_store_dword v[0:1], v2, off
.LBB315_3702:
	s_mov_b64 s[0:1], 0
.LBB315_3703:
	s_andn2_b64 vcc, exec, s[0:1]
	s_cbranch_vccnz .LBB315_3712
; %bb.3704:
	s_sext_i32_i16 s4, s24
	s_cmp_lt_i32 s4, 6
	s_mov_b64 s[0:1], -1
	s_cbranch_scc1 .LBB315_3710
; %bb.3705:
	s_cmp_gt_i32 s4, 6
	s_cbranch_scc0 .LBB315_3707
; %bb.3706:
	v_cndmask_b32_e64 v2, 0, 1, s[2:3]
	s_waitcnt vmcnt(0)
	v_cvt_f64_u32_e32 v[2:3], v2
	s_mov_b64 s[0:1], 0
	global_store_dwordx2 v[0:1], v[2:3], off
.LBB315_3707:
	s_andn2_b64 vcc, exec, s[0:1]
	s_cbranch_vccnz .LBB315_3709
; %bb.3708:
	v_cndmask_b32_e64 v2, 0, 1.0, s[2:3]
	global_store_dword v[0:1], v2, off
.LBB315_3709:
	s_mov_b64 s[0:1], 0
.LBB315_3710:
	s_andn2_b64 vcc, exec, s[0:1]
	s_cbranch_vccnz .LBB315_3712
; %bb.3711:
	v_cndmask_b32_e64 v2, 0, 1.0, s[2:3]
	v_cvt_f16_f32_e32 v2, v2
	global_store_short v[0:1], v2, off
.LBB315_3712:
	s_mov_b64 s[0:1], 0
.LBB315_3713:
	s_andn2_b64 vcc, exec, s[0:1]
	s_cbranch_vccnz .LBB315_3729
; %bb.3714:
	s_sext_i32_i16 s4, s24
	s_cmp_lt_i32 s4, 2
	s_mov_b64 s[0:1], -1
	s_cbranch_scc1 .LBB315_3724
; %bb.3715:
	s_cmp_lt_i32 s4, 3
	s_cbranch_scc1 .LBB315_3721
; %bb.3716:
	s_cmp_gt_i32 s4, 3
	s_cbranch_scc0 .LBB315_3718
; %bb.3717:
	s_mov_b32 s0, 0
	v_cndmask_b32_e64 v2, 0, 1, s[2:3]
	s_waitcnt vmcnt(0)
	v_mov_b32_e32 v3, s0
	global_store_dwordx2 v[0:1], v[2:3], off
	s_mov_b64 s[0:1], 0
.LBB315_3718:
	s_andn2_b64 vcc, exec, s[0:1]
	s_cbranch_vccnz .LBB315_3720
; %bb.3719:
	v_cndmask_b32_e64 v2, 0, 1, s[2:3]
	global_store_dword v[0:1], v2, off
.LBB315_3720:
	s_mov_b64 s[0:1], 0
.LBB315_3721:
	s_andn2_b64 vcc, exec, s[0:1]
	s_cbranch_vccnz .LBB315_3723
; %bb.3722:
	v_cndmask_b32_e64 v2, 0, 1, s[2:3]
	global_store_short v[0:1], v2, off
.LBB315_3723:
	s_mov_b64 s[0:1], 0
.LBB315_3724:
	s_andn2_b64 vcc, exec, s[0:1]
	s_cbranch_vccnz .LBB315_3729
; %bb.3725:
	s_sext_i32_i16 s4, s24
	s_mov_b64 s[0:1], -1
	s_cmp_gt_i32 s4, 0
	v_cndmask_b32_e64 v2, 0, 1, s[2:3]
	s_cbranch_scc0 .LBB315_3727
; %bb.3726:
	global_store_byte v[0:1], v2, off
	s_mov_b64 s[0:1], 0
.LBB315_3727:
	s_andn2_b64 vcc, exec, s[0:1]
	s_cbranch_vccnz .LBB315_3729
; %bb.3728:
	global_store_byte v[0:1], v2, off
	s_endpgm
.LBB315_3729:
	s_endpgm
.LBB315_3730:
	s_mov_b64 s[4:5], 0
	s_mov_b64 s[0:1], -1
	s_branch .LBB315_3689
.LBB315_3731:
	s_trap 2
	s_or_b64 s[22:23], s[22:23], exec
	s_cbranch_execz .LBB315_3179
	s_branch .LBB315_3182
.LBB315_3732:
	s_andn2_saveexec_b64 s[16:17], s[16:17]
	s_cbranch_execz .LBB315_3283
.LBB315_3733:
	v_add_f32_e32 v3, 0x46000000, v4
	v_and_b32_e32 v3, 0xff, v3
	v_cmp_ne_u32_e32 vcc, 0, v3
	s_andn2_b64 s[14:15], s[14:15], exec
	s_and_b64 s[26:27], vcc, exec
	s_or_b64 s[14:15], s[14:15], s[26:27]
	s_or_b64 exec, exec, s[16:17]
	v_mov_b32_e32 v11, 0
	s_and_saveexec_b64 s[16:17], s[14:15]
	s_cbranch_execnz .LBB315_3284
	s_branch .LBB315_3285
.LBB315_3734:
	s_trap 2
	s_or_b64 s[22:23], s[22:23], exec
	s_cbranch_execz .LBB315_3331
	s_branch .LBB315_3332
.LBB315_3735:
	s_andn2_saveexec_b64 s[14:15], s[14:15]
	s_cbranch_execz .LBB315_3296
.LBB315_3736:
	v_add_f32_e32 v3, 0x42800000, v4
	v_and_b32_e32 v3, 0xff, v3
	v_cmp_ne_u32_e32 vcc, 0, v3
	s_andn2_b64 s[10:11], s[10:11], exec
	s_and_b64 s[16:17], vcc, exec
	s_or_b64 s[10:11], s[10:11], s[16:17]
	s_or_b64 exec, exec, s[14:15]
	v_mov_b32_e32 v11, 0
	s_and_saveexec_b64 s[14:15], s[10:11]
	s_cbranch_execnz .LBB315_3297
	s_branch .LBB315_3298
.LBB315_3737:
	s_andn2_saveexec_b64 s[14:15], s[14:15]
	s_cbranch_execz .LBB315_3402
.LBB315_3738:
	v_add_f32_e32 v3, 0x46000000, v4
	v_and_b32_e32 v3, 0xff, v3
	v_cmp_ne_u32_e32 vcc, 0, v3
	s_andn2_b64 s[12:13], s[12:13], exec
	s_and_b64 s[26:27], vcc, exec
	s_or_b64 s[12:13], s[12:13], s[26:27]
	s_or_b64 exec, exec, s[14:15]
	v_mov_b32_e32 v5, 0
	s_and_saveexec_b64 s[14:15], s[12:13]
	s_cbranch_execnz .LBB315_3403
	s_branch .LBB315_3404
.LBB315_3739:
	s_trap 2
	s_or_b64 s[22:23], s[22:23], exec
	s_cbranch_execz .LBB315_3450
	s_branch .LBB315_3451
.LBB315_3740:
	s_andn2_saveexec_b64 s[12:13], s[12:13]
	s_cbranch_execz .LBB315_3415
.LBB315_3741:
	v_add_f32_e32 v3, 0x42800000, v4
	v_and_b32_e32 v3, 0xff, v3
	v_cmp_ne_u32_e32 vcc, 0, v3
	s_andn2_b64 s[10:11], s[10:11], exec
	s_and_b64 s[14:15], vcc, exec
	s_or_b64 s[10:11], s[10:11], s[14:15]
	s_or_b64 exec, exec, s[12:13]
	v_mov_b32_e32 v5, 0
	s_and_saveexec_b64 s[12:13], s[10:11]
	s_cbranch_execnz .LBB315_3416
	s_branch .LBB315_3417
.LBB315_3742:
	s_andn2_saveexec_b64 s[14:15], s[14:15]
	s_cbranch_execz .LBB315_3521
.LBB315_3743:
	v_add_f32_e32 v3, 0x46000000, v4
	v_and_b32_e32 v3, 0xff, v3
	v_cmp_ne_u32_e32 vcc, 0, v3
	s_andn2_b64 s[12:13], s[12:13], exec
	s_and_b64 s[26:27], vcc, exec
	s_or_b64 s[12:13], s[12:13], s[26:27]
	s_or_b64 exec, exec, s[14:15]
	v_mov_b32_e32 v5, 0
	s_and_saveexec_b64 s[14:15], s[12:13]
	s_cbranch_execnz .LBB315_3522
	s_branch .LBB315_3523
.LBB315_3744:
	s_trap 2
	s_or_b64 s[22:23], s[22:23], exec
	s_cbranch_execz .LBB315_3569
	s_branch .LBB315_3570
.LBB315_3745:
	s_andn2_saveexec_b64 s[12:13], s[12:13]
	s_cbranch_execz .LBB315_3534
.LBB315_3746:
	v_add_f32_e32 v3, 0x42800000, v4
	v_and_b32_e32 v3, 0xff, v3
	v_cmp_ne_u32_e32 vcc, 0, v3
	s_andn2_b64 s[10:11], s[10:11], exec
	s_and_b64 s[14:15], vcc, exec
	s_or_b64 s[10:11], s[10:11], s[14:15]
	s_or_b64 exec, exec, s[12:13]
	v_mov_b32_e32 v5, 0
	s_and_saveexec_b64 s[12:13], s[10:11]
	s_cbranch_execnz .LBB315_3535
	s_branch .LBB315_3536
.LBB315_3747:
	s_andn2_saveexec_b64 s[10:11], s[10:11]
	s_cbranch_execz .LBB315_3641
.LBB315_3748:
	v_add_f32_e32 v2, 0x46000000, v3
	v_and_b32_e32 v2, 0xff, v2
	v_cmp_ne_u32_e32 vcc, 0, v2
	s_andn2_b64 s[8:9], s[8:9], exec
	s_and_b64 s[14:15], vcc, exec
	s_or_b64 s[8:9], s[8:9], s[14:15]
	s_or_b64 exec, exec, s[10:11]
	v_mov_b32_e32 v4, 0
	s_and_saveexec_b64 s[10:11], s[8:9]
	s_cbranch_execnz .LBB315_3642
	s_branch .LBB315_3643
.LBB315_3749:
	s_mov_b64 s[4:5], 0
	s_or_b64 s[22:23], s[22:23], exec
	s_trap 2
	s_branch .LBB315_3687
.LBB315_3750:
	s_andn2_saveexec_b64 s[8:9], s[8:9]
	s_cbranch_execz .LBB315_3653
.LBB315_3751:
	v_add_f32_e32 v2, 0x42800000, v3
	v_and_b32_e32 v2, 0xff, v2
	v_cmp_ne_u32_e32 vcc, 0, v2
	s_andn2_b64 s[6:7], s[6:7], exec
	s_and_b64 s[10:11], vcc, exec
	s_or_b64 s[6:7], s[6:7], s[10:11]
	s_or_b64 exec, exec, s[8:9]
	v_mov_b32_e32 v4, 0
	s_and_saveexec_b64 s[8:9], s[6:7]
	s_cbranch_execnz .LBB315_3654
	s_branch .LBB315_3655
	.section	.rodata,"a",@progbits
	.p2align	6, 0x0
	.amdhsa_kernel _ZN2at6native32elementwise_kernel_manual_unrollILi128ELi4EZNS0_15gpu_kernel_implINS0_13BinaryFunctorIN3c1014Float8_e8m0fnuES5_bNS0_12_GLOBAL__N_116CompareEqFunctorIS5_EEEEEEvRNS_18TensorIteratorBaseERKT_EUlibE_EEviT1_
		.amdhsa_group_segment_fixed_size 0
		.amdhsa_private_segment_fixed_size 0
		.amdhsa_kernarg_size 56
		.amdhsa_user_sgpr_count 6
		.amdhsa_user_sgpr_private_segment_buffer 1
		.amdhsa_user_sgpr_dispatch_ptr 0
		.amdhsa_user_sgpr_queue_ptr 0
		.amdhsa_user_sgpr_kernarg_segment_ptr 1
		.amdhsa_user_sgpr_dispatch_id 0
		.amdhsa_user_sgpr_flat_scratch_init 0
		.amdhsa_user_sgpr_private_segment_size 0
		.amdhsa_uses_dynamic_stack 0
		.amdhsa_system_sgpr_private_segment_wavefront_offset 0
		.amdhsa_system_sgpr_workgroup_id_x 1
		.amdhsa_system_sgpr_workgroup_id_y 0
		.amdhsa_system_sgpr_workgroup_id_z 0
		.amdhsa_system_sgpr_workgroup_info 0
		.amdhsa_system_vgpr_workitem_id 0
		.amdhsa_next_free_vgpr 15
		.amdhsa_next_free_sgpr 58
		.amdhsa_reserve_vcc 1
		.amdhsa_reserve_flat_scratch 0
		.amdhsa_float_round_mode_32 0
		.amdhsa_float_round_mode_16_64 0
		.amdhsa_float_denorm_mode_32 3
		.amdhsa_float_denorm_mode_16_64 3
		.amdhsa_dx10_clamp 1
		.amdhsa_ieee_mode 1
		.amdhsa_fp16_overflow 0
		.amdhsa_exception_fp_ieee_invalid_op 0
		.amdhsa_exception_fp_denorm_src 0
		.amdhsa_exception_fp_ieee_div_zero 0
		.amdhsa_exception_fp_ieee_overflow 0
		.amdhsa_exception_fp_ieee_underflow 0
		.amdhsa_exception_fp_ieee_inexact 0
		.amdhsa_exception_int_div_zero 0
	.end_amdhsa_kernel
	.section	.text._ZN2at6native32elementwise_kernel_manual_unrollILi128ELi4EZNS0_15gpu_kernel_implINS0_13BinaryFunctorIN3c1014Float8_e8m0fnuES5_bNS0_12_GLOBAL__N_116CompareEqFunctorIS5_EEEEEEvRNS_18TensorIteratorBaseERKT_EUlibE_EEviT1_,"axG",@progbits,_ZN2at6native32elementwise_kernel_manual_unrollILi128ELi4EZNS0_15gpu_kernel_implINS0_13BinaryFunctorIN3c1014Float8_e8m0fnuES5_bNS0_12_GLOBAL__N_116CompareEqFunctorIS5_EEEEEEvRNS_18TensorIteratorBaseERKT_EUlibE_EEviT1_,comdat
.Lfunc_end315:
	.size	_ZN2at6native32elementwise_kernel_manual_unrollILi128ELi4EZNS0_15gpu_kernel_implINS0_13BinaryFunctorIN3c1014Float8_e8m0fnuES5_bNS0_12_GLOBAL__N_116CompareEqFunctorIS5_EEEEEEvRNS_18TensorIteratorBaseERKT_EUlibE_EEviT1_, .Lfunc_end315-_ZN2at6native32elementwise_kernel_manual_unrollILi128ELi4EZNS0_15gpu_kernel_implINS0_13BinaryFunctorIN3c1014Float8_e8m0fnuES5_bNS0_12_GLOBAL__N_116CompareEqFunctorIS5_EEEEEEvRNS_18TensorIteratorBaseERKT_EUlibE_EEviT1_
                                        ; -- End function
	.set _ZN2at6native32elementwise_kernel_manual_unrollILi128ELi4EZNS0_15gpu_kernel_implINS0_13BinaryFunctorIN3c1014Float8_e8m0fnuES5_bNS0_12_GLOBAL__N_116CompareEqFunctorIS5_EEEEEEvRNS_18TensorIteratorBaseERKT_EUlibE_EEviT1_.num_vgpr, 15
	.set _ZN2at6native32elementwise_kernel_manual_unrollILi128ELi4EZNS0_15gpu_kernel_implINS0_13BinaryFunctorIN3c1014Float8_e8m0fnuES5_bNS0_12_GLOBAL__N_116CompareEqFunctorIS5_EEEEEEvRNS_18TensorIteratorBaseERKT_EUlibE_EEviT1_.num_agpr, 0
	.set _ZN2at6native32elementwise_kernel_manual_unrollILi128ELi4EZNS0_15gpu_kernel_implINS0_13BinaryFunctorIN3c1014Float8_e8m0fnuES5_bNS0_12_GLOBAL__N_116CompareEqFunctorIS5_EEEEEEvRNS_18TensorIteratorBaseERKT_EUlibE_EEviT1_.numbered_sgpr, 58
	.set _ZN2at6native32elementwise_kernel_manual_unrollILi128ELi4EZNS0_15gpu_kernel_implINS0_13BinaryFunctorIN3c1014Float8_e8m0fnuES5_bNS0_12_GLOBAL__N_116CompareEqFunctorIS5_EEEEEEvRNS_18TensorIteratorBaseERKT_EUlibE_EEviT1_.num_named_barrier, 0
	.set _ZN2at6native32elementwise_kernel_manual_unrollILi128ELi4EZNS0_15gpu_kernel_implINS0_13BinaryFunctorIN3c1014Float8_e8m0fnuES5_bNS0_12_GLOBAL__N_116CompareEqFunctorIS5_EEEEEEvRNS_18TensorIteratorBaseERKT_EUlibE_EEviT1_.private_seg_size, 0
	.set _ZN2at6native32elementwise_kernel_manual_unrollILi128ELi4EZNS0_15gpu_kernel_implINS0_13BinaryFunctorIN3c1014Float8_e8m0fnuES5_bNS0_12_GLOBAL__N_116CompareEqFunctorIS5_EEEEEEvRNS_18TensorIteratorBaseERKT_EUlibE_EEviT1_.uses_vcc, 1
	.set _ZN2at6native32elementwise_kernel_manual_unrollILi128ELi4EZNS0_15gpu_kernel_implINS0_13BinaryFunctorIN3c1014Float8_e8m0fnuES5_bNS0_12_GLOBAL__N_116CompareEqFunctorIS5_EEEEEEvRNS_18TensorIteratorBaseERKT_EUlibE_EEviT1_.uses_flat_scratch, 0
	.set _ZN2at6native32elementwise_kernel_manual_unrollILi128ELi4EZNS0_15gpu_kernel_implINS0_13BinaryFunctorIN3c1014Float8_e8m0fnuES5_bNS0_12_GLOBAL__N_116CompareEqFunctorIS5_EEEEEEvRNS_18TensorIteratorBaseERKT_EUlibE_EEviT1_.has_dyn_sized_stack, 0
	.set _ZN2at6native32elementwise_kernel_manual_unrollILi128ELi4EZNS0_15gpu_kernel_implINS0_13BinaryFunctorIN3c1014Float8_e8m0fnuES5_bNS0_12_GLOBAL__N_116CompareEqFunctorIS5_EEEEEEvRNS_18TensorIteratorBaseERKT_EUlibE_EEviT1_.has_recursion, 0
	.set _ZN2at6native32elementwise_kernel_manual_unrollILi128ELi4EZNS0_15gpu_kernel_implINS0_13BinaryFunctorIN3c1014Float8_e8m0fnuES5_bNS0_12_GLOBAL__N_116CompareEqFunctorIS5_EEEEEEvRNS_18TensorIteratorBaseERKT_EUlibE_EEviT1_.has_indirect_call, 0
	.section	.AMDGPU.csdata,"",@progbits
; Kernel info:
; codeLenInByte = 74872
; TotalNumSgprs: 62
; NumVgprs: 15
; ScratchSize: 0
; MemoryBound: 0
; FloatMode: 240
; IeeeMode: 1
; LDSByteSize: 0 bytes/workgroup (compile time only)
; SGPRBlocks: 7
; VGPRBlocks: 3
; NumSGPRsForWavesPerEU: 62
; NumVGPRsForWavesPerEU: 15
; Occupancy: 10
; WaveLimiterHint : 0
; COMPUTE_PGM_RSRC2:SCRATCH_EN: 0
; COMPUTE_PGM_RSRC2:USER_SGPR: 6
; COMPUTE_PGM_RSRC2:TRAP_HANDLER: 0
; COMPUTE_PGM_RSRC2:TGID_X_EN: 1
; COMPUTE_PGM_RSRC2:TGID_Y_EN: 0
; COMPUTE_PGM_RSRC2:TGID_Z_EN: 0
; COMPUTE_PGM_RSRC2:TIDIG_COMP_CNT: 0
	.section	.text._ZN2at6native32elementwise_kernel_manual_unrollILi128ELi4EZNS0_15gpu_kernel_implINS0_13BinaryFunctorIN3c1014Float8_e8m0fnuES5_bNS0_12_GLOBAL__N_116CompareEqFunctorIS5_EEEEEEvRNS_18TensorIteratorBaseERKT_EUlibE0_EEviT1_,"axG",@progbits,_ZN2at6native32elementwise_kernel_manual_unrollILi128ELi4EZNS0_15gpu_kernel_implINS0_13BinaryFunctorIN3c1014Float8_e8m0fnuES5_bNS0_12_GLOBAL__N_116CompareEqFunctorIS5_EEEEEEvRNS_18TensorIteratorBaseERKT_EUlibE0_EEviT1_,comdat
	.globl	_ZN2at6native32elementwise_kernel_manual_unrollILi128ELi4EZNS0_15gpu_kernel_implINS0_13BinaryFunctorIN3c1014Float8_e8m0fnuES5_bNS0_12_GLOBAL__N_116CompareEqFunctorIS5_EEEEEEvRNS_18TensorIteratorBaseERKT_EUlibE0_EEviT1_ ; -- Begin function _ZN2at6native32elementwise_kernel_manual_unrollILi128ELi4EZNS0_15gpu_kernel_implINS0_13BinaryFunctorIN3c1014Float8_e8m0fnuES5_bNS0_12_GLOBAL__N_116CompareEqFunctorIS5_EEEEEEvRNS_18TensorIteratorBaseERKT_EUlibE0_EEviT1_
	.p2align	8
	.type	_ZN2at6native32elementwise_kernel_manual_unrollILi128ELi4EZNS0_15gpu_kernel_implINS0_13BinaryFunctorIN3c1014Float8_e8m0fnuES5_bNS0_12_GLOBAL__N_116CompareEqFunctorIS5_EEEEEEvRNS_18TensorIteratorBaseERKT_EUlibE0_EEviT1_,@function
_ZN2at6native32elementwise_kernel_manual_unrollILi128ELi4EZNS0_15gpu_kernel_implINS0_13BinaryFunctorIN3c1014Float8_e8m0fnuES5_bNS0_12_GLOBAL__N_116CompareEqFunctorIS5_EEEEEEvRNS_18TensorIteratorBaseERKT_EUlibE0_EEviT1_: ; @_ZN2at6native32elementwise_kernel_manual_unrollILi128ELi4EZNS0_15gpu_kernel_implINS0_13BinaryFunctorIN3c1014Float8_e8m0fnuES5_bNS0_12_GLOBAL__N_116CompareEqFunctorIS5_EEEEEEvRNS_18TensorIteratorBaseERKT_EUlibE0_EEviT1_
; %bb.0:
	s_load_dword s70, s[4:5], 0x0
	s_load_dword s33, s[4:5], 0x8
	s_add_u32 s24, s4, 8
	s_addc_u32 s25, s5, 0
	v_lshl_or_b32 v8, s6, 9, v0
	v_or_b32_e32 v23, 0x180, v8
	s_waitcnt lgkmcnt(0)
	s_add_i32 s72, s33, -1
	s_cmp_gt_u32 s72, 1
	v_cmp_le_i32_e32 vcc, s70, v23
	s_cselect_b64 s[28:29], -1, 0
	s_mov_b64 s[26:27], 0
	s_mov_b64 s[6:7], 0
	s_and_saveexec_b64 s[0:1], vcc
	s_xor_b64 s[30:31], exec, s[0:1]
	s_cbranch_execz .LBB316_1925
; %bb.1:
	s_cmp_lg_u32 s33, 0
	s_load_dwordx4 s[16:19], s[24:25], 0x4
	s_load_dwordx2 s[36:37], s[24:25], 0x14
	s_load_dwordx8 s[8:15], s[24:25], 0x188
	s_load_dwordx4 s[20:23], s[24:25], 0xc4
	s_load_dwordx2 s[34:35], s[24:25], 0xd4
	s_cselect_b64 s[40:41], -1, 0
	s_min_u32 s75, s72, 15
	s_cmp_gt_u32 s33, 1
	s_cselect_b64 s[38:39], -1, 0
	s_waitcnt lgkmcnt(0)
	s_lshr_b32 s74, s15, 8
	s_lshr_b32 s73, s15, 16
	s_cmp_eq_u32 s14, 0
	s_cselect_b64 s[0:1], -1, 0
	v_cmp_gt_i32_e32 vcc, s70, v8
	s_mov_b64 s[2:3], -1
	s_mov_b64 s[52:53], 0
	s_mov_b64 s[46:47], 0
	s_mov_b64 s[44:45], 0
	s_mov_b64 s[42:43], 0
	s_and_saveexec_b64 s[48:49], vcc
	s_cbranch_execz .LBB316_478
; %bb.2:
	s_andn2_b64 vcc, exec, s[28:29]
	s_cbranch_vccnz .LBB316_8
; %bb.3:
	s_andn2_b64 vcc, exec, s[40:41]
	s_cbranch_vccnz .LBB316_9
; %bb.4:
	s_add_i32 s2, s75, 1
	s_and_b32 s6, s2, 30
	s_add_u32 s2, s24, 0xffffffe8
	s_addc_u32 s3, s25, -1
	v_mov_b32_e32 v2, 0
	v_mov_b32_e32 v4, 0
	;; [unrolled: 1-line block ×4, first 2 shown]
.LBB316_5:                              ; =>This Inner Loop Header: Depth=1
	s_load_dwordx4 s[44:47], s[2:3], 0x1c
	s_load_dwordx2 s[42:43], s[2:3], 0x2c
	s_load_dwordx2 s[50:51], s[2:3], 0xec
	s_load_dwordx4 s[56:59], s[2:3], 0xdc
	s_add_u32 s2, s2, 24
	s_waitcnt lgkmcnt(0)
	v_mul_hi_u32 v3, s45, v1
	s_addc_u32 s3, s3, 0
	s_add_i32 s6, s6, -2
	s_cmp_lg_u32 s6, 0
	v_add_u32_e32 v3, v1, v3
	v_lshrrev_b32_e32 v3, s46, v3
	v_mul_lo_u32 v5, v3, s44
	v_mul_hi_u32 v6, s42, v3
	v_sub_u32_e32 v5, v1, v5
	v_add_u32_e32 v1, v3, v6
	v_lshrrev_b32_e32 v1, s43, v1
	v_mul_lo_u32 v9, v1, s47
	v_mul_lo_u32 v6, v5, s56
	;; [unrolled: 1-line block ×4, first 2 shown]
	v_sub_u32_e32 v3, v3, v9
	v_mul_lo_u32 v9, v3, s59
	v_mul_lo_u32 v10, v3, s50
	;; [unrolled: 1-line block ×3, first 2 shown]
	v_add3_u32 v0, v6, v0, v9
	v_add3_u32 v4, v7, v4, v10
	;; [unrolled: 1-line block ×3, first 2 shown]
	s_cbranch_scc1 .LBB316_5
; %bb.6:
	s_bitcmp1_b32 s75, 0
	s_cselect_b64 s[6:7], -1, 0
	s_and_b64 vcc, exec, s[6:7]
	s_cbranch_vccnz .LBB316_10
; %bb.7:
	s_load_dwordx2 s[6:7], s[2:3], 0x1c
	s_load_dword s14, s[2:3], 0x24
	s_load_dwordx2 s[42:43], s[2:3], 0xdc
	s_waitcnt lgkmcnt(0)
	v_mul_hi_u32 v3, s7, v1
	v_add_u32_e32 v3, v1, v3
	v_lshrrev_b32_e32 v3, s14, v3
	v_mul_lo_u32 v3, v3, s6
	s_load_dword s6, s[2:3], 0xe4
	v_sub_u32_e32 v3, v1, v3
	v_mad_u64_u32 v[0:1], s[2:3], v3, s42, v[0:1]
	v_mad_u64_u32 v[4:5], s[2:3], v3, s43, v[4:5]
	s_waitcnt lgkmcnt(0)
	v_mad_u64_u32 v[2:3], s[2:3], v3, s6, v[2:3]
	s_cbranch_execz .LBB316_11
	s_branch .LBB316_13
.LBB316_8:
                                        ; implicit-def: $vgpr0
                                        ; implicit-def: $vgpr4
                                        ; implicit-def: $vgpr2
	s_andn2_b64 vcc, exec, s[2:3]
	s_cbranch_vccz .LBB316_11
	s_branch .LBB316_13
.LBB316_9:
	v_mov_b32_e32 v0, 0
	v_mov_b32_e32 v4, 0
	v_mov_b32_e32 v2, 0
.LBB316_10:
	s_cbranch_execnz .LBB316_13
.LBB316_11:
	v_mul_hi_u32 v0, s17, v8
	s_andn2_b64 vcc, exec, s[38:39]
	v_add_u32_e32 v0, v8, v0
	v_lshrrev_b32_e32 v1, s18, v0
	v_mul_lo_u32 v0, v1, s16
	v_sub_u32_e32 v2, v8, v0
	v_mul_lo_u32 v0, v2, s20
	v_mul_lo_u32 v4, v2, s21
	;; [unrolled: 1-line block ×3, first 2 shown]
	s_cbranch_vccnz .LBB316_13
; %bb.12:
	v_mul_hi_u32 v3, s36, v1
	v_add_u32_e32 v3, v1, v3
	v_lshrrev_b32_e32 v3, s37, v3
	v_mul_lo_u32 v3, v3, s19
	v_sub_u32_e32 v3, v1, v3
	v_mad_u64_u32 v[0:1], s[2:3], v3, s23, v[0:1]
	v_mad_u64_u32 v[4:5], s[2:3], v3, s34, v[4:5]
	v_mad_u64_u32 v[2:3], s[2:3], v3, s35, v[2:3]
.LBB316_13:
	v_mov_b32_e32 v1, s11
	s_and_b32 s14, s74, 0xff
	v_add_co_u32_e32 v3, vcc, s10, v4
	s_cmp_lt_i32 s14, 11
	v_addc_co_u32_e32 v4, vcc, 0, v1, vcc
	s_cbranch_scc1 .LBB316_22
; %bb.14:
	s_and_b32 s44, 0xffff, s14
	s_cmp_gt_i32 s44, 25
	s_cbranch_scc0 .LBB316_33
; %bb.15:
	s_cmp_gt_i32 s44, 28
	s_cbranch_scc0 .LBB316_43
; %bb.16:
	;; [unrolled: 3-line block ×4, first 2 shown]
	s_cmp_eq_u32 s44, 46
	s_mov_b64 s[6:7], 0
	s_cbranch_scc0 .LBB316_52
; %bb.19:
	global_load_dword v1, v[3:4], off
	s_movk_i32 s2, 0xff
	v_mov_b32_e32 v5, 0xff
	s_waitcnt vmcnt(0)
	v_lshlrev_b32_e32 v6, 16, v1
	v_bfe_u32 v7, v6, 23, 8
	v_cmp_ne_u32_e32 vcc, s2, v7
	s_and_saveexec_b64 s[42:43], vcc
; %bb.20:
	v_bfe_u32 v5, v1, 7, 9
	v_and_b32_e32 v1, 64, v1
	s_mov_b32 s2, 0x3f0000
	v_cmp_ne_u32_e32 vcc, 0, v1
	v_and_or_b32 v1, v6, s2, v7
	v_cmp_ne_u32_e64 s[2:3], 0, v1
	s_and_b64 s[2:3], vcc, s[2:3]
	v_cndmask_b32_e64 v1, 0, 1, s[2:3]
	v_add_u32_e32 v5, v5, v1
; %bb.21:
	s_or_b64 exec, exec, s[42:43]
	s_mov_b64 s[2:3], -1
	s_mov_b64 s[46:47], 0
	s_branch .LBB316_54
.LBB316_22:
	s_mov_b64 s[46:47], 0
                                        ; implicit-def: $vgpr5
	s_mov_b64 s[2:3], 0
	s_cbranch_execnz .LBB316_138
.LBB316_23:
	s_andn2_b64 vcc, exec, s[2:3]
	s_cbranch_vccnz .LBB316_207
.LBB316_24:
	v_mov_b32_e32 v3, s13
	s_and_b32 s14, s73, 0xff
	v_add_co_u32_e32 v1, vcc, s12, v2
	s_cmp_lt_i32 s14, 11
	v_addc_co_u32_e32 v2, vcc, 0, v3, vcc
	s_cbranch_scc1 .LBB316_34
; %bb.25:
	s_and_b32 s50, 0xffff, s14
	s_cmp_gt_i32 s50, 25
	s_cbranch_scc0 .LBB316_44
; %bb.26:
	s_cmp_gt_i32 s50, 28
	s_cbranch_scc0 .LBB316_47
; %bb.27:
	;; [unrolled: 3-line block ×4, first 2 shown]
	s_cmp_eq_u32 s50, 46
	s_mov_b64 s[6:7], 0
	s_cbranch_scc0 .LBB316_208
; %bb.30:
	global_load_dword v4, v[1:2], off
	s_movk_i32 s2, 0xff
	v_mov_b32_e32 v3, 0xff
	s_waitcnt vmcnt(0)
	v_lshlrev_b32_e32 v6, 16, v4
	v_bfe_u32 v7, v6, 23, 8
	v_cmp_ne_u32_e32 vcc, s2, v7
	s_and_saveexec_b64 s[42:43], vcc
; %bb.31:
	v_bfe_u32 v3, v4, 7, 9
	v_and_b32_e32 v4, 64, v4
	s_mov_b32 s2, 0x3f0000
	v_cmp_ne_u32_e32 vcc, 0, v4
	v_and_or_b32 v4, v6, s2, v7
	v_cmp_ne_u32_e64 s[2:3], 0, v4
	s_and_b64 s[2:3], vcc, s[2:3]
	v_cndmask_b32_e64 v4, 0, 1, s[2:3]
	v_add_u32_e32 v3, v3, v4
; %bb.32:
	s_or_b64 exec, exec, s[42:43]
	s_mov_b64 s[2:3], -1
	s_mov_b64 s[44:45], 0
	s_branch .LBB316_210
.LBB316_33:
	s_mov_b64 s[46:47], 0
	s_mov_b64 s[2:3], 0
                                        ; implicit-def: $vgpr5
	s_cbranch_execnz .LBB316_93
	s_branch .LBB316_137
.LBB316_34:
	s_mov_b64 s[44:45], 0
                                        ; implicit-def: $vgpr3
	s_mov_b64 s[2:3], 0
	s_cbranch_execnz .LBB316_405
.LBB316_35:
	s_andn2_b64 vcc, exec, s[2:3]
	s_cbranch_vccnz .LBB316_475
.LBB316_36:
	s_movk_i32 s2, 0xff
	v_mov_b32_e32 v1, 23
	s_waitcnt vmcnt(0)
	v_lshlrev_b32_sdwa v2, v1, v5 dst_sel:DWORD dst_unused:UNUSED_PAD src0_sel:DWORD src1_sel:BYTE_0
	v_mov_b32_e32 v4, 0x7f800001
	v_cmp_ne_u16_sdwa vcc, v5, s2 src0_sel:BYTE_0 src1_sel:DWORD
	v_mov_b32_e32 v6, 0
	v_cndmask_b32_e32 v2, v4, v2, vcc
	v_mov_b32_e32 v7, 0x400000
	v_cmp_ne_u16_sdwa vcc, v5, v6 src0_sel:BYTE_0 src1_sel:DWORD
	v_cndmask_b32_e32 v2, v7, v2, vcc
	v_lshlrev_b32_sdwa v1, v1, v3 dst_sel:DWORD dst_unused:UNUSED_PAD src0_sel:DWORD src1_sel:BYTE_0
	v_cmp_ne_u16_sdwa vcc, v3, s2 src0_sel:BYTE_0 src1_sel:DWORD
	v_cndmask_b32_e32 v1, v4, v1, vcc
	v_cmp_ne_u16_sdwa vcc, v3, v6 src0_sel:BYTE_0 src1_sel:DWORD
	v_cndmask_b32_e32 v1, v7, v1, vcc
	v_cmp_eq_f32_e32 vcc, v2, v1
	v_cndmask_b32_e64 v3, 0, 1, vcc
	v_cmp_neq_f32_e32 vcc, v2, v1
	v_cndmask_b32_e64 v1, 0, 1, vcc
	v_cndmask_b32_e64 v1, v1, v3, s[0:1]
	v_and_b32_e32 v1, 1, v1
	v_cmp_eq_u32_e64 s[2:3], 1, v1
	v_mov_b32_e32 v1, s9
	s_and_b32 s14, s15, 0xff
	v_add_co_u32_e32 v0, vcc, s8, v0
	s_cmp_lt_i32 s14, 11
	v_addc_co_u32_e32 v1, vcc, 0, v1, vcc
	s_cbranch_scc1 .LBB316_45
; %bb.37:
	s_and_b32 s56, 0xffff, s14
	s_cmp_gt_i32 s56, 25
	s_cbranch_scc0 .LBB316_48
; %bb.38:
	s_cmp_gt_i32 s56, 28
	s_cbranch_scc0 .LBB316_51
; %bb.39:
	;; [unrolled: 3-line block ×4, first 2 shown]
	s_mov_b64 s[50:51], 0
	s_mov_b64 s[6:7], -1
	s_cmp_eq_u32 s56, 46
	s_mov_b64 s[42:43], 0
	s_cbranch_scc0 .LBB316_214
; %bb.42:
	v_cndmask_b32_e64 v2, 0, 1.0, s[2:3]
	v_bfe_u32 v3, v2, 16, 1
	s_movk_i32 s6, 0x7fff
	v_add3_u32 v2, v2, v3, s6
	v_lshrrev_b32_e32 v2, 16, v2
	global_store_dword v[0:1], v2, off
	s_mov_b64 s[42:43], -1
	s_mov_b64 s[6:7], 0
	s_branch .LBB316_214
.LBB316_43:
	s_mov_b64 s[6:7], -1
	s_mov_b64 s[46:47], 0
	s_mov_b64 s[2:3], 0
                                        ; implicit-def: $vgpr5
	s_branch .LBB316_68
.LBB316_44:
	s_mov_b64 s[6:7], -1
	s_mov_b64 s[44:45], 0
	s_mov_b64 s[2:3], 0
                                        ; implicit-def: $vgpr3
	s_branch .LBB316_359
.LBB316_45:
	s_mov_b64 s[50:51], -1
	s_mov_b64 s[6:7], 0
	s_mov_b64 s[42:43], 0
	s_branch .LBB316_283
.LBB316_46:
	s_mov_b64 s[6:7], -1
	s_mov_b64 s[46:47], 0
	s_mov_b64 s[2:3], 0
                                        ; implicit-def: $vgpr5
	s_branch .LBB316_61
.LBB316_47:
	s_mov_b64 s[6:7], -1
	s_mov_b64 s[44:45], 0
	s_mov_b64 s[2:3], 0
                                        ; implicit-def: $vgpr3
	s_branch .LBB316_334
.LBB316_48:
	s_mov_b64 s[50:51], -1
	s_mov_b64 s[6:7], 0
	s_mov_b64 s[42:43], 0
	s_branch .LBB316_241
.LBB316_49:
	s_mov_b64 s[6:7], -1
	s_mov_b64 s[46:47], 0
	s_branch .LBB316_53
.LBB316_50:
	s_mov_b64 s[6:7], -1
	s_mov_b64 s[44:45], 0
	s_mov_b64 s[2:3], 0
                                        ; implicit-def: $vgpr3
	s_branch .LBB316_327
.LBB316_51:
	s_mov_b64 s[50:51], -1
	s_mov_b64 s[6:7], 0
	s_mov_b64 s[42:43], 0
	s_branch .LBB316_224
.LBB316_52:
	s_mov_b64 s[46:47], -1
.LBB316_53:
	s_mov_b64 s[2:3], 0
                                        ; implicit-def: $vgpr5
.LBB316_54:
	s_and_b64 vcc, exec, s[6:7]
	s_cbranch_vccz .LBB316_60
; %bb.55:
	s_cmp_eq_u32 s44, 44
	s_cbranch_scc0 .LBB316_59
; %bb.56:
	global_load_ubyte v5, v[3:4], off
	s_mov_b64 s[2:3], -1
	s_mov_b64 s[46:47], 0
	s_branch .LBB316_60
.LBB316_57:
	s_mov_b64 s[6:7], -1
	s_mov_b64 s[44:45], 0
	s_branch .LBB316_209
.LBB316_58:
	s_mov_b64 s[50:51], -1
	s_mov_b64 s[6:7], 0
	s_mov_b64 s[42:43], 0
	s_branch .LBB316_220
.LBB316_59:
	s_mov_b64 s[46:47], -1
                                        ; implicit-def: $vgpr5
.LBB316_60:
	s_mov_b64 s[6:7], 0
.LBB316_61:
	s_and_b64 vcc, exec, s[6:7]
	s_cbranch_vccz .LBB316_67
; %bb.62:
	s_cmp_eq_u32 s44, 29
	s_cbranch_scc0 .LBB316_66
; %bb.63:
	global_load_dwordx2 v[5:6], v[3:4], off
	s_movk_i32 s2, 0xff
	s_waitcnt vmcnt(0)
	v_ffbh_u32_e32 v1, v6
	v_min_u32_e32 v1, 32, v1
	v_lshlrev_b64 v[5:6], v1, v[5:6]
	v_sub_u32_e32 v1, 32, v1
	v_min_u32_e32 v5, 1, v5
	v_or_b32_e32 v5, v6, v5
	v_cvt_f32_u32_e32 v5, v5
	v_ldexp_f32 v6, v5, v1
	v_lshrrev_b32_e32 v1, 23, v6
	v_cmp_ne_u32_e32 vcc, s2, v1
	v_mov_b32_e32 v5, 0xff
	s_and_saveexec_b64 s[6:7], vcc
; %bb.64:
	v_and_b32_e32 v5, 0x400000, v6
	s_mov_b32 s2, 0x3fffff
	v_cmp_ne_u32_e32 vcc, 0, v5
	v_and_or_b32 v5, v6, s2, v1
	v_cmp_ne_u32_e64 s[2:3], 0, v5
	s_and_b64 s[2:3], vcc, s[2:3]
	v_cndmask_b32_e64 v5, 0, 1, s[2:3]
	v_add_u32_e32 v5, v1, v5
; %bb.65:
	s_or_b64 exec, exec, s[6:7]
	s_mov_b64 s[2:3], -1
	s_mov_b64 s[46:47], 0
	s_branch .LBB316_67
.LBB316_66:
	s_mov_b64 s[46:47], -1
                                        ; implicit-def: $vgpr5
.LBB316_67:
	s_mov_b64 s[6:7], 0
.LBB316_68:
	s_and_b64 vcc, exec, s[6:7]
	s_cbranch_vccz .LBB316_92
; %bb.69:
	s_cmp_lt_i32 s44, 27
	s_cbranch_scc1 .LBB316_74
; %bb.70:
	s_cmp_gt_i32 s44, 27
	s_cbranch_scc0 .LBB316_75
; %bb.71:
	global_load_dword v1, v[3:4], off
	s_movk_i32 s2, 0xff
	s_waitcnt vmcnt(1)
	v_mov_b32_e32 v5, 0xff
	s_waitcnt vmcnt(0)
	v_cvt_f32_u32_e32 v6, v1
	v_lshrrev_b32_e32 v1, 23, v6
	v_cmp_ne_u32_e32 vcc, s2, v1
	s_and_saveexec_b64 s[6:7], vcc
; %bb.72:
	v_and_b32_e32 v5, 0x400000, v6
	s_mov_b32 s2, 0x3fffff
	v_cmp_ne_u32_e32 vcc, 0, v5
	v_and_or_b32 v5, v6, s2, v1
	v_cmp_ne_u32_e64 s[2:3], 0, v5
	s_and_b64 s[2:3], vcc, s[2:3]
	v_cndmask_b32_e64 v5, 0, 1, s[2:3]
	v_add_u32_e32 v5, v1, v5
; %bb.73:
	s_or_b64 exec, exec, s[6:7]
	s_mov_b64 s[2:3], 0
	s_branch .LBB316_76
.LBB316_74:
	s_mov_b64 s[2:3], -1
                                        ; implicit-def: $vgpr5
	s_branch .LBB316_81
.LBB316_75:
	s_mov_b64 s[2:3], -1
                                        ; implicit-def: $vgpr5
.LBB316_76:
	s_andn2_b64 vcc, exec, s[2:3]
	s_cbranch_vccnz .LBB316_80
; %bb.77:
	global_load_ushort v1, v[3:4], off
	s_movk_i32 s2, 0xff
	s_waitcnt vmcnt(1)
	v_mov_b32_e32 v5, 0xff
	s_waitcnt vmcnt(0)
	v_cvt_f32_u32_e32 v6, v1
	v_lshrrev_b32_e32 v1, 23, v6
	v_cmp_ne_u32_e32 vcc, s2, v1
	s_and_saveexec_b64 s[6:7], vcc
; %bb.78:
	v_and_b32_e32 v5, 0x400000, v6
	s_mov_b32 s2, 0x3fffff
	v_cmp_ne_u32_e32 vcc, 0, v5
	v_and_or_b32 v5, v6, s2, v1
	v_cmp_ne_u32_e64 s[2:3], 0, v5
	s_and_b64 s[2:3], vcc, s[2:3]
	v_cndmask_b32_e64 v5, 0, 1, s[2:3]
	v_add_u32_e32 v5, v1, v5
; %bb.79:
	s_or_b64 exec, exec, s[6:7]
.LBB316_80:
	s_mov_b64 s[2:3], 0
.LBB316_81:
	s_andn2_b64 vcc, exec, s[2:3]
	s_cbranch_vccnz .LBB316_91
; %bb.82:
	global_load_ubyte v1, v[3:4], off
	s_movk_i32 s2, 0x7f
	s_waitcnt vmcnt(0)
	v_cmp_lt_i16_e32 vcc, s2, v1
	s_mov_b64 s[2:3], 0
	s_and_saveexec_b64 s[6:7], vcc
	s_xor_b64 s[6:7], exec, s[6:7]
	s_cbranch_execz .LBB316_106
; %bb.83:
	s_movk_i32 s2, 0x80
	v_cmp_eq_u16_e32 vcc, s2, v1
	s_mov_b64 s[2:3], -1
	s_and_saveexec_b64 s[42:43], vcc
; %bb.84:
	s_xor_b64 s[2:3], exec, -1
; %bb.85:
	s_or_b64 exec, exec, s[42:43]
	s_and_b64 s[2:3], s[2:3], exec
	s_or_saveexec_b64 s[6:7], s[6:7]
	v_mov_b32_e32 v6, 0x7f800001
	s_xor_b64 exec, exec, s[6:7]
	s_cbranch_execnz .LBB316_107
.LBB316_86:
	s_or_b64 exec, exec, s[6:7]
	s_and_saveexec_b64 s[6:7], s[2:3]
	s_cbranch_execz .LBB316_88
.LBB316_87:
	v_and_b32_e32 v1, 0xffff, v1
	v_and_b32_e32 v5, 7, v1
	v_ffbh_u32_e32 v7, v5
	v_min_u32_e32 v7, 32, v7
	v_subrev_u32_e32 v9, 28, v7
	v_bfe_u32 v6, v1, 3, 4
	v_lshlrev_b32_e32 v1, v9, v1
	v_and_b32_e32 v1, 7, v1
	v_cmp_eq_u32_e32 vcc, 0, v6
	v_sub_u32_e32 v7, 29, v7
	v_cndmask_b32_e32 v1, v5, v1, vcc
	v_cndmask_b32_e32 v6, v6, v7, vcc
	v_lshlrev_b32_e32 v1, 20, v1
	v_lshl_or_b32 v1, v6, 23, v1
	v_add_u32_e32 v6, 0x3b800000, v1
.LBB316_88:
	s_or_b64 exec, exec, s[6:7]
	v_lshrrev_b32_e32 v1, 23, v6
	s_movk_i32 s2, 0xff
	v_cmp_ne_u32_e32 vcc, s2, v1
	v_mov_b32_e32 v5, 0xff
	s_and_saveexec_b64 s[6:7], vcc
; %bb.89:
	v_and_b32_e32 v5, 0x400000, v6
	s_mov_b32 s2, 0x3fffff
	v_cmp_ne_u32_e32 vcc, 0, v5
	v_and_or_b32 v5, v6, s2, v1
	v_cmp_ne_u32_e64 s[2:3], 0, v5
	s_and_b64 s[2:3], vcc, s[2:3]
	v_cndmask_b32_e64 v5, 0, 1, s[2:3]
	v_add_u32_e32 v5, v1, v5
; %bb.90:
	s_or_b64 exec, exec, s[6:7]
.LBB316_91:
	s_mov_b64 s[2:3], -1
.LBB316_92:
	s_branch .LBB316_137
.LBB316_93:
	s_cmp_gt_i32 s44, 22
	s_cbranch_scc0 .LBB316_105
; %bb.94:
	s_cmp_lt_i32 s44, 24
	s_cbranch_scc1 .LBB316_108
; %bb.95:
	s_cmp_gt_i32 s44, 24
	s_cbranch_scc0 .LBB316_109
; %bb.96:
	global_load_ubyte v1, v[3:4], off
	s_movk_i32 s2, 0x7f
	s_waitcnt vmcnt(0)
	v_cmp_lt_i16_e32 vcc, s2, v1
	s_mov_b64 s[2:3], 0
	s_and_saveexec_b64 s[6:7], vcc
	s_xor_b64 s[6:7], exec, s[6:7]
	s_cbranch_execz .LBB316_127
; %bb.97:
	s_movk_i32 s2, 0x80
	v_cmp_eq_u16_e32 vcc, s2, v1
	s_mov_b64 s[2:3], -1
	s_and_saveexec_b64 s[42:43], vcc
; %bb.98:
	s_xor_b64 s[2:3], exec, -1
; %bb.99:
	s_or_b64 exec, exec, s[42:43]
	s_and_b64 s[2:3], s[2:3], exec
	s_or_saveexec_b64 s[6:7], s[6:7]
	v_mov_b32_e32 v6, 0x7f800001
	s_xor_b64 exec, exec, s[6:7]
	s_cbranch_execnz .LBB316_128
.LBB316_100:
	s_or_b64 exec, exec, s[6:7]
	s_and_saveexec_b64 s[6:7], s[2:3]
	s_cbranch_execz .LBB316_102
.LBB316_101:
	v_and_b32_e32 v1, 0xffff, v1
	v_and_b32_e32 v5, 3, v1
	v_ffbh_u32_e32 v7, v5
	v_min_u32_e32 v7, 32, v7
	v_subrev_u32_e32 v9, 29, v7
	v_bfe_u32 v6, v1, 2, 5
	v_lshlrev_b32_e32 v1, v9, v1
	v_and_b32_e32 v1, 3, v1
	v_cmp_eq_u32_e32 vcc, 0, v6
	v_sub_u32_e32 v7, 30, v7
	v_cndmask_b32_e32 v1, v5, v1, vcc
	v_cndmask_b32_e32 v6, v6, v7, vcc
	v_lshlrev_b32_e32 v1, 21, v1
	v_lshl_or_b32 v1, v6, 23, v1
	v_add_u32_e32 v6, 0x37800000, v1
.LBB316_102:
	s_or_b64 exec, exec, s[6:7]
	v_lshrrev_b32_e32 v1, 23, v6
	s_movk_i32 s2, 0xff
	v_cmp_ne_u32_e32 vcc, s2, v1
	v_mov_b32_e32 v5, 0xff
	s_and_saveexec_b64 s[6:7], vcc
; %bb.103:
	v_and_b32_e32 v5, 0x400000, v6
	s_mov_b32 s2, 0x3fffff
	v_cmp_ne_u32_e32 vcc, 0, v5
	v_and_or_b32 v5, v6, s2, v1
	v_cmp_ne_u32_e64 s[2:3], 0, v5
	s_and_b64 s[2:3], vcc, s[2:3]
	v_cndmask_b32_e64 v5, 0, 1, s[2:3]
	v_add_u32_e32 v5, v1, v5
; %bb.104:
	s_or_b64 exec, exec, s[6:7]
	s_mov_b64 s[2:3], 0
	s_branch .LBB316_110
.LBB316_105:
	s_mov_b64 s[6:7], -1
                                        ; implicit-def: $vgpr5
	s_branch .LBB316_120
.LBB316_106:
	s_or_saveexec_b64 s[6:7], s[6:7]
	v_mov_b32_e32 v6, 0x7f800001
	s_xor_b64 exec, exec, s[6:7]
	s_cbranch_execz .LBB316_86
.LBB316_107:
	v_cmp_ne_u16_e32 vcc, 0, v1
	s_andn2_b64 s[2:3], s[2:3], exec
	s_and_b64 s[42:43], vcc, exec
	v_and_b32_e32 v6, 0xffff, v1
	s_or_b64 s[2:3], s[2:3], s[42:43]
	s_or_b64 exec, exec, s[6:7]
	s_and_saveexec_b64 s[6:7], s[2:3]
	s_cbranch_execnz .LBB316_87
	s_branch .LBB316_88
.LBB316_108:
	s_mov_b64 s[2:3], -1
                                        ; implicit-def: $vgpr5
	s_branch .LBB316_115
.LBB316_109:
	s_mov_b64 s[2:3], -1
                                        ; implicit-def: $vgpr5
.LBB316_110:
	s_and_b64 vcc, exec, s[2:3]
	s_cbranch_vccz .LBB316_114
; %bb.111:
	global_load_ubyte v1, v[3:4], off
	s_mov_b32 s2, 0x7f800000
	s_movk_i32 s3, 0xff
	s_waitcnt vmcnt(0)
	v_lshlrev_b32_e32 v1, 24, v1
	v_and_b32_e32 v1, 0x7f000000, v1
	v_ffbh_u32_e32 v5, v1
	v_min_u32_e32 v5, 32, v5
	v_sub_u32_e64 v5, v5, 4 clamp
	v_lshlrev_b32_e32 v7, v5, v1
	v_lshlrev_b32_e32 v5, 23, v5
	v_lshrrev_b32_e32 v7, 4, v7
	v_add_u32_e32 v6, 0x1000000, v1
	v_sub_u32_e32 v5, v7, v5
	v_ashrrev_i32_e32 v6, 8, v6
	v_add_u32_e32 v5, 0x3c000000, v5
	v_and_or_b32 v5, v6, s2, v5
	v_cmp_ne_u32_e32 vcc, 0, v1
	v_cndmask_b32_e32 v6, 0, v5, vcc
	v_lshrrev_b32_e32 v1, 23, v6
	v_cmp_ne_u32_e32 vcc, s3, v1
	v_mov_b32_e32 v5, 0xff
	s_and_saveexec_b64 s[6:7], vcc
; %bb.112:
	v_and_b32_e32 v5, 0x400000, v6
	s_mov_b32 s2, 0x3fffff
	v_cmp_ne_u32_e32 vcc, 0, v5
	v_and_or_b32 v5, v6, s2, v1
	v_cmp_ne_u32_e64 s[2:3], 0, v5
	s_and_b64 s[2:3], vcc, s[2:3]
	v_cndmask_b32_e64 v5, 0, 1, s[2:3]
	v_add_u32_e32 v5, v1, v5
; %bb.113:
	s_or_b64 exec, exec, s[6:7]
.LBB316_114:
	s_mov_b64 s[2:3], 0
.LBB316_115:
	s_andn2_b64 vcc, exec, s[2:3]
	s_cbranch_vccnz .LBB316_119
; %bb.116:
	global_load_ubyte v1, v[3:4], off
	s_movk_i32 s2, 0x7f00
	s_brev_b32 s3, 16
	s_movk_i32 s6, 0xff
	s_waitcnt vmcnt(0)
	v_lshlrev_b32_e32 v5, 8, v1
	v_lshlrev_b32_e32 v1, 25, v1
	v_lshrrev_b32_e32 v6, 4, v1
	v_and_or_b32 v5, v5, s2, 0.5
	v_or_b32_e32 v6, 0x70000000, v6
	v_add_f32_e32 v5, -0.5, v5
	v_mul_f32_e32 v6, 0x7800000, v6
	v_cmp_gt_u32_e32 vcc, s3, v1
	v_cndmask_b32_e32 v1, v6, v5, vcc
	v_bfe_u32 v6, v1, 23, 8
	v_cmp_ne_u32_e32 vcc, s6, v6
	v_mov_b32_e32 v5, 0xff
	s_and_saveexec_b64 s[6:7], vcc
; %bb.117:
	s_mov_b32 s2, 0x3fffff
	v_lshrrev_b32_e32 v5, 23, v1
	v_and_b32_e32 v7, 0x400000, v1
	v_and_or_b32 v1, v1, s2, v6
	v_cmp_ne_u32_e32 vcc, 0, v7
	v_cmp_ne_u32_e64 s[2:3], 0, v1
	s_and_b64 s[2:3], vcc, s[2:3]
	v_cndmask_b32_e64 v1, 0, 1, s[2:3]
	v_add_u32_e32 v5, v5, v1
; %bb.118:
	s_or_b64 exec, exec, s[6:7]
.LBB316_119:
	s_mov_b64 s[6:7], 0
	s_mov_b64 s[2:3], -1
.LBB316_120:
	s_andn2_b64 vcc, exec, s[6:7]
	s_cbranch_vccnz .LBB316_137
; %bb.121:
	s_cmp_gt_i32 s44, 14
	s_cbranch_scc0 .LBB316_126
; %bb.122:
	s_cmp_eq_u32 s44, 15
	s_cbranch_scc0 .LBB316_129
; %bb.123:
	global_load_ushort v1, v[3:4], off
	s_movk_i32 s2, 0xff
	s_waitcnt vmcnt(1)
	v_mov_b32_e32 v5, 0xff
	s_waitcnt vmcnt(0)
	v_bfe_u32 v6, v1, 7, 8
	v_cmp_ne_u32_e32 vcc, s2, v6
	s_and_saveexec_b64 s[6:7], vcc
	s_cbranch_execz .LBB316_125
; %bb.124:
	v_lshrrev_b32_e32 v5, 7, v1
	v_lshlrev_b32_e32 v7, 16, v1
	v_and_b32_e32 v1, 64, v1
	s_mov_b32 s2, 0x3f0000
	v_cmp_ne_u32_e32 vcc, 0, v1
	v_and_or_b32 v1, v7, s2, v6
	v_cmp_ne_u32_e64 s[2:3], 0, v1
	s_and_b64 s[2:3], vcc, s[2:3]
	v_cndmask_b32_e64 v1, 0, 1, s[2:3]
	v_add_u32_e32 v5, v5, v1
.LBB316_125:
	s_or_b64 exec, exec, s[6:7]
	s_mov_b64 s[2:3], -1
	s_mov_b64 s[46:47], 0
	s_branch .LBB316_130
.LBB316_126:
	s_mov_b64 s[6:7], -1
                                        ; implicit-def: $vgpr5
	s_branch .LBB316_131
.LBB316_127:
	s_or_saveexec_b64 s[6:7], s[6:7]
	v_mov_b32_e32 v6, 0x7f800001
	s_xor_b64 exec, exec, s[6:7]
	s_cbranch_execz .LBB316_100
.LBB316_128:
	v_cmp_ne_u16_e32 vcc, 0, v1
	s_andn2_b64 s[2:3], s[2:3], exec
	s_and_b64 s[42:43], vcc, exec
	v_and_b32_e32 v6, 0xffff, v1
	s_or_b64 s[2:3], s[2:3], s[42:43]
	s_or_b64 exec, exec, s[6:7]
	s_and_saveexec_b64 s[6:7], s[2:3]
	s_cbranch_execnz .LBB316_101
	s_branch .LBB316_102
.LBB316_129:
	s_mov_b64 s[46:47], -1
                                        ; implicit-def: $vgpr5
.LBB316_130:
	s_mov_b64 s[6:7], 0
.LBB316_131:
	s_and_b64 vcc, exec, s[6:7]
	s_cbranch_vccz .LBB316_137
; %bb.132:
	s_cmp_eq_u32 s44, 11
	s_cbranch_scc0 .LBB316_136
; %bb.133:
	global_load_ubyte v1, v[3:4], off
	s_movk_i32 s2, 0xff
	s_waitcnt vmcnt(1)
	v_mov_b32_e32 v5, 0xff
	s_waitcnt vmcnt(0)
	v_cmp_ne_u16_e32 vcc, 0, v1
	v_cndmask_b32_e64 v6, 0, 1.0, vcc
	v_lshrrev_b32_e32 v1, 23, v6
	v_cmp_ne_u32_e32 vcc, s2, v1
	s_and_saveexec_b64 s[6:7], vcc
; %bb.134:
	v_and_b32_e32 v5, 0x400000, v6
	s_mov_b32 s2, 0x3fffff
	v_cmp_ne_u32_e32 vcc, 0, v5
	v_and_or_b32 v5, v6, s2, v1
	v_cmp_ne_u32_e64 s[2:3], 0, v5
	s_and_b64 s[2:3], vcc, s[2:3]
	v_cndmask_b32_e64 v5, 0, 1, s[2:3]
	v_add_u32_e32 v5, v1, v5
; %bb.135:
	s_or_b64 exec, exec, s[6:7]
	s_mov_b64 s[2:3], -1
	s_mov_b64 s[46:47], 0
	s_branch .LBB316_137
.LBB316_136:
	s_mov_b64 s[46:47], -1
                                        ; implicit-def: $vgpr5
.LBB316_137:
	s_branch .LBB316_23
.LBB316_138:
	s_and_b32 s14, 0xffff, s14
	s_cmp_lt_i32 s14, 5
	s_cbranch_scc1 .LBB316_145
; %bb.139:
	s_cmp_lt_i32 s14, 8
	s_cbranch_scc1 .LBB316_146
; %bb.140:
	;; [unrolled: 3-line block ×3, first 2 shown]
	s_cmp_gt_i32 s14, 9
	s_cbranch_scc0 .LBB316_148
; %bb.142:
	global_load_dwordx2 v[5:6], v[3:4], off
	s_movk_i32 s2, 0xff
	s_waitcnt vmcnt(0)
	v_cvt_f32_f64_e32 v1, v[5:6]
	v_mov_b32_e32 v5, 0xff
	v_bfe_u32 v6, v1, 23, 8
	v_cmp_ne_u32_e32 vcc, s2, v6
	s_and_saveexec_b64 s[6:7], vcc
; %bb.143:
	s_mov_b32 s2, 0x3fffff
	v_lshrrev_b32_e32 v5, 23, v1
	v_and_b32_e32 v7, 0x400000, v1
	v_and_or_b32 v1, v1, s2, v6
	v_cmp_ne_u32_e32 vcc, 0, v7
	v_cmp_ne_u32_e64 s[2:3], 0, v1
	s_and_b64 s[2:3], vcc, s[2:3]
	v_cndmask_b32_e64 v1, 0, 1, s[2:3]
	v_add_u32_e32 v5, v5, v1
; %bb.144:
	s_or_b64 exec, exec, s[6:7]
	s_mov_b64 s[2:3], 0
	s_branch .LBB316_149
.LBB316_145:
                                        ; implicit-def: $vgpr5
	s_branch .LBB316_177
.LBB316_146:
	s_mov_b64 s[2:3], -1
                                        ; implicit-def: $vgpr5
	s_branch .LBB316_159
.LBB316_147:
	s_mov_b64 s[2:3], -1
                                        ; implicit-def: $vgpr5
	s_branch .LBB316_154
.LBB316_148:
	s_mov_b64 s[2:3], -1
                                        ; implicit-def: $vgpr5
.LBB316_149:
	s_andn2_b64 vcc, exec, s[2:3]
	s_cbranch_vccnz .LBB316_153
; %bb.150:
	global_load_dword v1, v[3:4], off
	s_movk_i32 s2, 0xff
	s_waitcnt vmcnt(1)
	v_mov_b32_e32 v5, 0xff
	s_waitcnt vmcnt(0)
	v_bfe_u32 v6, v1, 23, 8
	v_cmp_ne_u32_e32 vcc, s2, v6
	s_and_saveexec_b64 s[6:7], vcc
; %bb.151:
	s_mov_b32 s2, 0x3fffff
	v_lshrrev_b32_e32 v5, 23, v1
	v_and_b32_e32 v7, 0x400000, v1
	v_and_or_b32 v1, v1, s2, v6
	v_cmp_ne_u32_e32 vcc, 0, v7
	v_cmp_ne_u32_e64 s[2:3], 0, v1
	s_and_b64 s[2:3], vcc, s[2:3]
	v_cndmask_b32_e64 v1, 0, 1, s[2:3]
	v_add_u32_e32 v5, v5, v1
; %bb.152:
	s_or_b64 exec, exec, s[6:7]
.LBB316_153:
	s_mov_b64 s[2:3], 0
.LBB316_154:
	s_andn2_b64 vcc, exec, s[2:3]
	s_cbranch_vccnz .LBB316_158
; %bb.155:
	global_load_dword v1, v[3:4], off
	s_movk_i32 s2, 0xff
	s_waitcnt vmcnt(1)
	v_mov_b32_e32 v5, 0xff
	s_waitcnt vmcnt(0)
	v_cvt_f32_f16_e32 v1, v1
	v_bfe_u32 v6, v1, 23, 8
	v_cmp_ne_u32_e32 vcc, s2, v6
	s_and_saveexec_b64 s[6:7], vcc
; %bb.156:
	s_mov_b32 s2, 0x3fffff
	v_lshrrev_b32_e32 v5, 23, v1
	v_and_b32_e32 v7, 0x400000, v1
	v_and_or_b32 v1, v1, s2, v6
	v_cmp_ne_u32_e32 vcc, 0, v7
	v_cmp_ne_u32_e64 s[2:3], 0, v1
	s_and_b64 s[2:3], vcc, s[2:3]
	v_cndmask_b32_e64 v1, 0, 1, s[2:3]
	v_add_u32_e32 v5, v5, v1
; %bb.157:
	s_or_b64 exec, exec, s[6:7]
.LBB316_158:
	s_mov_b64 s[2:3], 0
.LBB316_159:
	s_andn2_b64 vcc, exec, s[2:3]
	s_cbranch_vccnz .LBB316_176
; %bb.160:
	s_cmp_lt_i32 s14, 6
	s_cbranch_scc1 .LBB316_165
; %bb.161:
	s_cmp_gt_i32 s14, 6
	s_cbranch_scc0 .LBB316_166
; %bb.162:
	global_load_dwordx2 v[5:6], v[3:4], off
	s_movk_i32 s2, 0xff
	s_waitcnt vmcnt(0)
	v_cvt_f32_f64_e32 v1, v[5:6]
	v_mov_b32_e32 v5, 0xff
	v_bfe_u32 v6, v1, 23, 8
	v_cmp_ne_u32_e32 vcc, s2, v6
	s_and_saveexec_b64 s[6:7], vcc
; %bb.163:
	s_mov_b32 s2, 0x3fffff
	v_lshrrev_b32_e32 v5, 23, v1
	v_and_b32_e32 v7, 0x400000, v1
	v_and_or_b32 v1, v1, s2, v6
	v_cmp_ne_u32_e32 vcc, 0, v7
	v_cmp_ne_u32_e64 s[2:3], 0, v1
	s_and_b64 s[2:3], vcc, s[2:3]
	v_cndmask_b32_e64 v1, 0, 1, s[2:3]
	v_add_u32_e32 v5, v5, v1
; %bb.164:
	s_or_b64 exec, exec, s[6:7]
	s_mov_b64 s[2:3], 0
	s_branch .LBB316_167
.LBB316_165:
	s_mov_b64 s[2:3], -1
                                        ; implicit-def: $vgpr5
	s_branch .LBB316_172
.LBB316_166:
	s_mov_b64 s[2:3], -1
                                        ; implicit-def: $vgpr5
.LBB316_167:
	s_andn2_b64 vcc, exec, s[2:3]
	s_cbranch_vccnz .LBB316_171
; %bb.168:
	global_load_dword v1, v[3:4], off
	s_movk_i32 s2, 0xff
	s_waitcnt vmcnt(1)
	v_mov_b32_e32 v5, 0xff
	s_waitcnt vmcnt(0)
	v_bfe_u32 v6, v1, 23, 8
	v_cmp_ne_u32_e32 vcc, s2, v6
	s_and_saveexec_b64 s[6:7], vcc
; %bb.169:
	s_mov_b32 s2, 0x3fffff
	v_lshrrev_b32_e32 v5, 23, v1
	v_and_b32_e32 v7, 0x400000, v1
	v_and_or_b32 v1, v1, s2, v6
	v_cmp_ne_u32_e32 vcc, 0, v7
	v_cmp_ne_u32_e64 s[2:3], 0, v1
	s_and_b64 s[2:3], vcc, s[2:3]
	v_cndmask_b32_e64 v1, 0, 1, s[2:3]
	v_add_u32_e32 v5, v5, v1
; %bb.170:
	s_or_b64 exec, exec, s[6:7]
.LBB316_171:
	s_mov_b64 s[2:3], 0
.LBB316_172:
	s_andn2_b64 vcc, exec, s[2:3]
	s_cbranch_vccnz .LBB316_176
; %bb.173:
	global_load_ushort v1, v[3:4], off
	s_movk_i32 s2, 0xff
	s_waitcnt vmcnt(1)
	v_mov_b32_e32 v5, 0xff
	s_waitcnt vmcnt(0)
	v_cvt_f32_f16_e32 v1, v1
	v_bfe_u32 v6, v1, 23, 8
	v_cmp_ne_u32_e32 vcc, s2, v6
	s_and_saveexec_b64 s[6:7], vcc
; %bb.174:
	s_mov_b32 s2, 0x3fffff
	v_lshrrev_b32_e32 v5, 23, v1
	v_and_b32_e32 v7, 0x400000, v1
	v_and_or_b32 v1, v1, s2, v6
	v_cmp_ne_u32_e32 vcc, 0, v7
	v_cmp_ne_u32_e64 s[2:3], 0, v1
	s_and_b64 s[2:3], vcc, s[2:3]
	v_cndmask_b32_e64 v1, 0, 1, s[2:3]
	v_add_u32_e32 v5, v5, v1
; %bb.175:
	s_or_b64 exec, exec, s[6:7]
.LBB316_176:
	s_cbranch_execnz .LBB316_206
.LBB316_177:
	s_cmp_lt_i32 s14, 2
	s_cbranch_scc1 .LBB316_183
; %bb.178:
	s_cmp_lt_i32 s14, 3
	s_cbranch_scc1 .LBB316_184
; %bb.179:
	s_cmp_gt_i32 s14, 3
	s_cbranch_scc0 .LBB316_185
; %bb.180:
	global_load_dwordx2 v[5:6], v[3:4], off
	s_movk_i32 s2, 0xff
	s_waitcnt vmcnt(0)
	v_xor_b32_e32 v7, v5, v6
	v_ffbh_i32_e32 v1, v6
	v_ashrrev_i32_e32 v7, 31, v7
	v_add_u32_e32 v1, -1, v1
	v_add_u32_e32 v7, 32, v7
	v_min_u32_e32 v1, v1, v7
	v_lshlrev_b64 v[5:6], v1, v[5:6]
	v_sub_u32_e32 v1, 32, v1
	v_min_u32_e32 v5, 1, v5
	v_or_b32_e32 v5, v6, v5
	v_cvt_f32_i32_e32 v5, v5
	v_ldexp_f32 v1, v5, v1
	v_bfe_u32 v6, v1, 23, 8
	v_cmp_ne_u32_e32 vcc, s2, v6
	v_mov_b32_e32 v5, 0xff
	s_and_saveexec_b64 s[6:7], vcc
; %bb.181:
	s_mov_b32 s2, 0x3fffff
	v_lshrrev_b32_e32 v5, 23, v1
	v_and_b32_e32 v7, 0x400000, v1
	v_and_or_b32 v1, v1, s2, v6
	v_cmp_ne_u32_e32 vcc, 0, v7
	v_cmp_ne_u32_e64 s[2:3], 0, v1
	s_and_b64 s[2:3], vcc, s[2:3]
	v_cndmask_b32_e64 v1, 0, 1, s[2:3]
	v_add_u32_e32 v5, v5, v1
; %bb.182:
	s_or_b64 exec, exec, s[6:7]
	s_mov_b64 s[2:3], 0
	s_branch .LBB316_186
.LBB316_183:
	s_mov_b64 s[2:3], -1
                                        ; implicit-def: $vgpr5
	s_branch .LBB316_196
.LBB316_184:
	s_mov_b64 s[2:3], -1
                                        ; implicit-def: $vgpr5
	s_branch .LBB316_191
.LBB316_185:
	s_mov_b64 s[2:3], -1
                                        ; implicit-def: $vgpr5
.LBB316_186:
	s_andn2_b64 vcc, exec, s[2:3]
	s_cbranch_vccnz .LBB316_190
; %bb.187:
	global_load_dword v1, v[3:4], off
	s_movk_i32 s2, 0xff
	s_waitcnt vmcnt(1)
	v_mov_b32_e32 v5, 0xff
	s_waitcnt vmcnt(0)
	v_cvt_f32_i32_e32 v1, v1
	v_bfe_u32 v6, v1, 23, 8
	v_cmp_ne_u32_e32 vcc, s2, v6
	s_and_saveexec_b64 s[6:7], vcc
; %bb.188:
	s_mov_b32 s2, 0x3fffff
	v_lshrrev_b32_e32 v5, 23, v1
	v_and_b32_e32 v7, 0x400000, v1
	v_and_or_b32 v1, v1, s2, v6
	v_cmp_ne_u32_e32 vcc, 0, v7
	v_cmp_ne_u32_e64 s[2:3], 0, v1
	s_and_b64 s[2:3], vcc, s[2:3]
	v_cndmask_b32_e64 v1, 0, 1, s[2:3]
	v_add_u32_e32 v5, v5, v1
; %bb.189:
	s_or_b64 exec, exec, s[6:7]
.LBB316_190:
	s_mov_b64 s[2:3], 0
.LBB316_191:
	s_andn2_b64 vcc, exec, s[2:3]
	s_cbranch_vccnz .LBB316_195
; %bb.192:
	global_load_sshort v1, v[3:4], off
	s_movk_i32 s2, 0xff
	s_waitcnt vmcnt(1)
	v_mov_b32_e32 v5, 0xff
	s_waitcnt vmcnt(0)
	v_cvt_f32_i32_e32 v1, v1
	v_bfe_u32 v6, v1, 23, 8
	v_cmp_ne_u32_e32 vcc, s2, v6
	s_and_saveexec_b64 s[6:7], vcc
; %bb.193:
	s_mov_b32 s2, 0x3fffff
	v_lshrrev_b32_e32 v5, 23, v1
	v_and_b32_e32 v7, 0x400000, v1
	v_and_or_b32 v1, v1, s2, v6
	v_cmp_ne_u32_e32 vcc, 0, v7
	v_cmp_ne_u32_e64 s[2:3], 0, v1
	s_and_b64 s[2:3], vcc, s[2:3]
	v_cndmask_b32_e64 v1, 0, 1, s[2:3]
	v_add_u32_e32 v5, v5, v1
; %bb.194:
	s_or_b64 exec, exec, s[6:7]
.LBB316_195:
	s_mov_b64 s[2:3], 0
.LBB316_196:
	s_andn2_b64 vcc, exec, s[2:3]
	s_cbranch_vccnz .LBB316_206
; %bb.197:
	s_cmp_gt_i32 s14, 0
	s_cbranch_scc0 .LBB316_201
; %bb.198:
	global_load_sbyte v1, v[3:4], off
	s_movk_i32 s2, 0xff
	s_waitcnt vmcnt(1)
	v_mov_b32_e32 v5, 0xff
	s_waitcnt vmcnt(0)
	v_cvt_f32_i32_e32 v1, v1
	v_bfe_u32 v6, v1, 23, 8
	v_cmp_ne_u32_e32 vcc, s2, v6
	s_and_saveexec_b64 s[6:7], vcc
; %bb.199:
	s_mov_b32 s2, 0x3fffff
	v_lshrrev_b32_e32 v5, 23, v1
	v_and_b32_e32 v7, 0x400000, v1
	v_and_or_b32 v1, v1, s2, v6
	v_cmp_ne_u32_e32 vcc, 0, v7
	v_cmp_ne_u32_e64 s[2:3], 0, v1
	s_and_b64 s[2:3], vcc, s[2:3]
	v_cndmask_b32_e64 v1, 0, 1, s[2:3]
	v_add_u32_e32 v5, v5, v1
; %bb.200:
	s_or_b64 exec, exec, s[6:7]
	s_mov_b64 s[2:3], 0
	s_branch .LBB316_202
.LBB316_201:
	s_mov_b64 s[2:3], -1
                                        ; implicit-def: $vgpr5
.LBB316_202:
	s_andn2_b64 vcc, exec, s[2:3]
	s_cbranch_vccnz .LBB316_206
; %bb.203:
	global_load_ubyte v1, v[3:4], off
	s_movk_i32 s2, 0xff
	s_waitcnt vmcnt(1)
	v_mov_b32_e32 v5, 0xff
	s_waitcnt vmcnt(0)
	v_cvt_f32_ubyte0_e32 v3, v1
	v_lshrrev_b32_e32 v1, 23, v3
	v_cmp_ne_u32_e32 vcc, s2, v1
	s_and_saveexec_b64 s[6:7], vcc
; %bb.204:
	s_mov_b32 s2, 0x3fffff
	v_and_b32_e32 v4, 0x400000, v3
	v_and_or_b32 v3, v3, s2, v1
	v_cmp_ne_u32_e32 vcc, 0, v4
	v_cmp_ne_u32_e64 s[2:3], 0, v3
	s_and_b64 s[2:3], vcc, s[2:3]
	v_cndmask_b32_e64 v3, 0, 1, s[2:3]
	v_add_u32_e32 v5, v1, v3
; %bb.205:
	s_or_b64 exec, exec, s[6:7]
.LBB316_206:
	s_branch .LBB316_24
.LBB316_207:
	s_mov_b64 s[6:7], 0
	s_mov_b64 s[44:45], 0
	s_branch .LBB316_476
.LBB316_208:
	s_mov_b64 s[44:45], -1
.LBB316_209:
	s_mov_b64 s[2:3], 0
                                        ; implicit-def: $vgpr3
.LBB316_210:
	s_and_b64 vcc, exec, s[6:7]
	s_cbranch_vccz .LBB316_326
; %bb.211:
	s_cmp_eq_u32 s50, 44
	s_cbranch_scc0 .LBB316_325
; %bb.212:
	global_load_ubyte v3, v[1:2], off
	s_mov_b64 s[2:3], -1
	s_mov_b64 s[44:45], 0
	s_branch .LBB316_326
.LBB316_213:
	s_mov_b64 s[50:51], -1
	s_mov_b64 s[6:7], 0
	s_mov_b64 s[42:43], 0
.LBB316_214:
	s_and_b64 vcc, exec, s[50:51]
	s_cbranch_vccz .LBB316_219
; %bb.215:
	s_cmp_eq_u32 s56, 44
	s_mov_b64 s[6:7], -1
	s_cbranch_scc0 .LBB316_219
; %bb.216:
	v_cndmask_b32_e64 v3, 0, 1.0, s[2:3]
	v_lshrrev_b32_e32 v2, 23, v3
	s_movk_i32 s6, 0xff
	v_cmp_ne_u32_e32 vcc, s6, v2
	v_mov_b32_e32 v4, 0xff
	s_and_saveexec_b64 s[42:43], vcc
; %bb.217:
	s_mov_b32 s6, 0x3fffff
	v_and_b32_e32 v4, 0x400000, v3
	v_and_or_b32 v3, v3, s6, v2
	v_cmp_ne_u32_e32 vcc, 0, v4
	v_cmp_ne_u32_e64 s[6:7], 0, v3
	s_and_b64 s[6:7], vcc, s[6:7]
	v_cndmask_b32_e64 v3, 0, 1, s[6:7]
	v_add_u32_e32 v4, v2, v3
; %bb.218:
	s_or_b64 exec, exec, s[42:43]
	s_mov_b64 s[42:43], -1
	s_mov_b64 s[6:7], 0
	global_store_byte v[0:1], v4, off
.LBB316_219:
	s_mov_b64 s[50:51], 0
.LBB316_220:
	s_and_b64 vcc, exec, s[50:51]
	s_cbranch_vccz .LBB316_223
; %bb.221:
	s_cmp_eq_u32 s56, 29
	s_mov_b64 s[6:7], -1
	s_cbranch_scc0 .LBB316_223
; %bb.222:
	s_mov_b32 s6, 0
	v_cndmask_b32_e64 v2, 0, 1, s[2:3]
	v_mov_b32_e32 v3, s6
	global_store_dwordx2 v[0:1], v[2:3], off
	s_mov_b64 s[42:43], -1
	s_mov_b64 s[6:7], 0
.LBB316_223:
	s_mov_b64 s[50:51], 0
.LBB316_224:
	s_and_b64 vcc, exec, s[50:51]
	s_cbranch_vccz .LBB316_240
; %bb.225:
	s_cmp_lt_i32 s56, 27
	s_mov_b64 s[42:43], -1
	s_cbranch_scc1 .LBB316_231
; %bb.226:
	s_cmp_gt_i32 s56, 27
	s_cbranch_scc0 .LBB316_228
; %bb.227:
	v_cndmask_b32_e64 v2, 0, 1, s[2:3]
	s_mov_b64 s[42:43], 0
	global_store_dword v[0:1], v2, off
.LBB316_228:
	s_andn2_b64 vcc, exec, s[42:43]
	s_cbranch_vccnz .LBB316_230
; %bb.229:
	v_cndmask_b32_e64 v2, 0, 1, s[2:3]
	global_store_short v[0:1], v2, off
.LBB316_230:
	s_mov_b64 s[42:43], 0
.LBB316_231:
	s_andn2_b64 vcc, exec, s[42:43]
	s_cbranch_vccnz .LBB316_239
; %bb.232:
	v_cndmask_b32_e64 v3, 0, 1.0, s[2:3]
	s_mov_b32 s42, 0x43800000
	v_cmp_gt_u32_e32 vcc, s42, v3
	v_mov_b32_e32 v4, 0x80
	s_and_saveexec_b64 s[42:43], vcc
	s_cbranch_execz .LBB316_238
; %bb.233:
	s_mov_b32 s50, 0x3bffffff
	v_cmp_lt_u32_e32 vcc, s50, v3
	s_mov_b64 s[50:51], 0
                                        ; implicit-def: $vgpr2
	s_and_saveexec_b64 s[54:55], vcc
	s_xor_b64 s[54:55], exec, s[54:55]
	s_cbranch_execz .LBB316_524
; %bb.234:
	v_bfe_u32 v2, v3, 20, 1
	s_mov_b32 s57, 0x487ffff
	v_add3_u32 v2, v3, v2, s57
	s_mov_b64 s[50:51], exec
	v_lshrrev_b32_e32 v2, 20, v2
                                        ; implicit-def: $vgpr3
	s_andn2_saveexec_b64 s[54:55], s[54:55]
	s_cbranch_execnz .LBB316_525
.LBB316_235:
	s_or_b64 exec, exec, s[54:55]
	v_mov_b32_e32 v4, 0
	s_and_saveexec_b64 s[54:55], s[50:51]
.LBB316_236:
	v_mov_b32_e32 v4, v2
.LBB316_237:
	s_or_b64 exec, exec, s[54:55]
.LBB316_238:
	s_or_b64 exec, exec, s[42:43]
	global_store_byte v[0:1], v4, off
.LBB316_239:
	s_mov_b64 s[42:43], -1
.LBB316_240:
	s_mov_b64 s[50:51], 0
.LBB316_241:
	s_and_b64 vcc, exec, s[50:51]
	s_cbranch_vccz .LBB316_282
; %bb.242:
	s_cmp_gt_i32 s56, 22
	s_mov_b64 s[50:51], -1
	s_cbranch_scc0 .LBB316_274
; %bb.243:
	s_cmp_lt_i32 s56, 24
	s_mov_b64 s[42:43], -1
	s_cbranch_scc1 .LBB316_263
; %bb.244:
	s_cmp_gt_i32 s56, 24
	s_cbranch_scc0 .LBB316_252
; %bb.245:
	v_cndmask_b32_e64 v3, 0, 1.0, s[2:3]
	s_mov_b32 s42, 0x47800000
	v_cmp_gt_u32_e32 vcc, s42, v3
	v_mov_b32_e32 v4, 0x80
	s_and_saveexec_b64 s[42:43], vcc
	s_cbranch_execz .LBB316_251
; %bb.246:
	s_mov_b32 s50, 0x37ffffff
	v_cmp_lt_u32_e32 vcc, s50, v3
	s_mov_b64 s[50:51], 0
                                        ; implicit-def: $vgpr2
	s_and_saveexec_b64 s[54:55], vcc
	s_xor_b64 s[54:55], exec, s[54:55]
	s_cbranch_execz .LBB316_683
; %bb.247:
	v_bfe_u32 v2, v3, 21, 1
	s_mov_b32 s57, 0x88fffff
	v_add3_u32 v2, v3, v2, s57
	s_mov_b64 s[50:51], exec
	v_lshrrev_b32_e32 v2, 21, v2
                                        ; implicit-def: $vgpr3
	s_andn2_saveexec_b64 s[54:55], s[54:55]
	s_cbranch_execnz .LBB316_684
.LBB316_248:
	s_or_b64 exec, exec, s[54:55]
	v_mov_b32_e32 v4, 0
	s_and_saveexec_b64 s[54:55], s[50:51]
.LBB316_249:
	v_mov_b32_e32 v4, v2
.LBB316_250:
	s_or_b64 exec, exec, s[54:55]
.LBB316_251:
	s_or_b64 exec, exec, s[42:43]
	s_mov_b64 s[42:43], 0
	global_store_byte v[0:1], v4, off
.LBB316_252:
	s_and_b64 vcc, exec, s[42:43]
	s_cbranch_vccz .LBB316_262
; %bb.253:
	v_cndmask_b32_e64 v2, 0, 1.0, s[2:3]
	s_mov_b32 s42, 0x43f00000
	v_cmp_gt_u32_e32 vcc, s42, v2
                                        ; implicit-def: $vgpr3
	s_and_saveexec_b64 s[42:43], vcc
	s_xor_b64 s[42:43], exec, s[42:43]
	s_cbranch_execz .LBB316_259
; %bb.254:
	s_mov_b32 s50, 0x3c7fffff
	v_cmp_lt_u32_e32 vcc, s50, v2
                                        ; implicit-def: $vgpr3
	s_and_saveexec_b64 s[50:51], vcc
	s_xor_b64 s[50:51], exec, s[50:51]
; %bb.255:
	v_bfe_u32 v3, v2, 20, 1
	s_mov_b32 s54, 0x407ffff
	v_add3_u32 v2, v2, v3, s54
	v_lshrrev_b32_e32 v3, 20, v2
	v_and_b32_e32 v2, 0xff00000, v2
	s_mov_b32 s54, 0x7f00000
	v_mov_b32_e32 v4, 0x7e
	v_cmp_ne_u32_e32 vcc, s54, v2
	v_cndmask_b32_e32 v3, v4, v3, vcc
                                        ; implicit-def: $vgpr2
; %bb.256:
	s_andn2_saveexec_b64 s[50:51], s[50:51]
; %bb.257:
	v_add_f32_e32 v3, 0x46800000, v2
; %bb.258:
	s_or_b64 exec, exec, s[50:51]
                                        ; implicit-def: $vgpr2
.LBB316_259:
	s_andn2_saveexec_b64 s[42:43], s[42:43]
; %bb.260:
	s_mov_b32 s50, 0x7f800000
	v_mov_b32_e32 v3, 0x7e
	v_mov_b32_e32 v4, 0x7f
	v_cmp_lt_u32_e32 vcc, s50, v2
	v_cndmask_b32_e32 v3, v3, v4, vcc
; %bb.261:
	s_or_b64 exec, exec, s[42:43]
	global_store_byte v[0:1], v3, off
.LBB316_262:
	s_mov_b64 s[42:43], 0
.LBB316_263:
	s_andn2_b64 vcc, exec, s[42:43]
	s_cbranch_vccnz .LBB316_273
; %bb.264:
	v_cndmask_b32_e64 v2, 0, 1.0, s[2:3]
	s_mov_b32 s42, 0x47800000
	v_cmp_gt_u32_e32 vcc, s42, v2
                                        ; implicit-def: $vgpr3
	s_and_saveexec_b64 s[42:43], vcc
	s_xor_b64 s[42:43], exec, s[42:43]
	s_cbranch_execz .LBB316_270
; %bb.265:
	s_mov_b32 s50, 0x387fffff
	v_cmp_lt_u32_e32 vcc, s50, v2
                                        ; implicit-def: $vgpr3
	s_and_saveexec_b64 s[50:51], vcc
	s_xor_b64 s[50:51], exec, s[50:51]
; %bb.266:
	v_bfe_u32 v3, v2, 21, 1
	s_mov_b32 s54, 0x80fffff
	v_add3_u32 v2, v2, v3, s54
	v_lshrrev_b32_e32 v3, 21, v2
                                        ; implicit-def: $vgpr2
; %bb.267:
	s_andn2_saveexec_b64 s[50:51], s[50:51]
; %bb.268:
	v_add_f32_e32 v3, 0x43000000, v2
; %bb.269:
	s_or_b64 exec, exec, s[50:51]
                                        ; implicit-def: $vgpr2
.LBB316_270:
	s_andn2_saveexec_b64 s[42:43], s[42:43]
; %bb.271:
	s_mov_b32 s50, 0x7f800000
	v_mov_b32_e32 v3, 0x7c
	v_mov_b32_e32 v4, 0x7f
	v_cmp_lt_u32_e32 vcc, s50, v2
	v_cndmask_b32_e32 v3, v3, v4, vcc
; %bb.272:
	s_or_b64 exec, exec, s[42:43]
	global_store_byte v[0:1], v3, off
.LBB316_273:
	s_mov_b64 s[50:51], 0
	s_mov_b64 s[42:43], -1
.LBB316_274:
	s_andn2_b64 vcc, exec, s[50:51]
	s_cbranch_vccnz .LBB316_282
; %bb.275:
	s_cmp_gt_i32 s56, 14
	s_mov_b64 s[50:51], -1
	s_cbranch_scc0 .LBB316_279
; %bb.276:
	s_cmp_eq_u32 s56, 15
	s_mov_b64 s[6:7], -1
	s_cbranch_scc0 .LBB316_278
; %bb.277:
	v_cndmask_b32_e64 v2, 0, 1.0, s[2:3]
	v_bfe_u32 v3, v2, 16, 1
	s_movk_i32 s6, 0x7fff
	v_add3_u32 v2, v2, v3, s6
	global_store_short_d16_hi v[0:1], v2, off
	s_mov_b64 s[42:43], -1
	s_mov_b64 s[6:7], 0
.LBB316_278:
	s_mov_b64 s[50:51], 0
.LBB316_279:
	s_and_b64 vcc, exec, s[50:51]
	s_cbranch_vccz .LBB316_282
; %bb.280:
	s_cmp_eq_u32 s56, 11
	s_mov_b64 s[6:7], -1
	s_cbranch_scc0 .LBB316_282
; %bb.281:
	v_cndmask_b32_e64 v2, 0, 1, s[2:3]
	s_mov_b64 s[42:43], -1
	s_mov_b64 s[6:7], 0
	global_store_byte v[0:1], v2, off
.LBB316_282:
	s_mov_b64 s[50:51], 0
.LBB316_283:
	s_and_b64 vcc, exec, s[50:51]
	s_cbranch_vccz .LBB316_322
; %bb.284:
	s_and_b32 s14, 0xffff, s14
	s_cmp_lt_i32 s14, 5
	s_mov_b64 s[42:43], -1
	s_cbranch_scc1 .LBB316_305
; %bb.285:
	s_cmp_lt_i32 s14, 8
	s_cbranch_scc1 .LBB316_295
; %bb.286:
	s_cmp_lt_i32 s14, 9
	s_cbranch_scc1 .LBB316_292
; %bb.287:
	s_cmp_gt_i32 s14, 9
	s_cbranch_scc0 .LBB316_289
; %bb.288:
	v_cndmask_b32_e64 v2, 0, 1, s[2:3]
	v_cvt_f64_u32_e32 v[2:3], v2
	v_mov_b32_e32 v4, 0
	v_mov_b32_e32 v5, v4
	s_mov_b64 s[42:43], 0
	global_store_dwordx4 v[0:1], v[2:5], off
.LBB316_289:
	s_andn2_b64 vcc, exec, s[42:43]
	s_cbranch_vccnz .LBB316_291
; %bb.290:
	v_cndmask_b32_e64 v2, 0, 1.0, s[2:3]
	v_mov_b32_e32 v3, 0
	global_store_dwordx2 v[0:1], v[2:3], off
.LBB316_291:
	s_mov_b64 s[42:43], 0
.LBB316_292:
	s_andn2_b64 vcc, exec, s[42:43]
	s_cbranch_vccnz .LBB316_294
; %bb.293:
	v_cndmask_b32_e64 v2, 0, 1.0, s[2:3]
	v_cvt_f16_f32_e32 v2, v2
	global_store_dword v[0:1], v2, off
.LBB316_294:
	s_mov_b64 s[42:43], 0
.LBB316_295:
	s_andn2_b64 vcc, exec, s[42:43]
	s_cbranch_vccnz .LBB316_304
; %bb.296:
	s_cmp_lt_i32 s14, 6
	s_mov_b64 s[42:43], -1
	s_cbranch_scc1 .LBB316_302
; %bb.297:
	s_cmp_gt_i32 s14, 6
	s_cbranch_scc0 .LBB316_299
; %bb.298:
	v_cndmask_b32_e64 v2, 0, 1, s[2:3]
	v_cvt_f64_u32_e32 v[2:3], v2
	s_mov_b64 s[42:43], 0
	global_store_dwordx2 v[0:1], v[2:3], off
.LBB316_299:
	s_andn2_b64 vcc, exec, s[42:43]
	s_cbranch_vccnz .LBB316_301
; %bb.300:
	v_cndmask_b32_e64 v2, 0, 1.0, s[2:3]
	global_store_dword v[0:1], v2, off
.LBB316_301:
	s_mov_b64 s[42:43], 0
.LBB316_302:
	s_andn2_b64 vcc, exec, s[42:43]
	s_cbranch_vccnz .LBB316_304
; %bb.303:
	v_cndmask_b32_e64 v2, 0, 1.0, s[2:3]
	v_cvt_f16_f32_e32 v2, v2
	global_store_short v[0:1], v2, off
.LBB316_304:
	s_mov_b64 s[42:43], 0
.LBB316_305:
	s_andn2_b64 vcc, exec, s[42:43]
	s_cbranch_vccnz .LBB316_321
; %bb.306:
	s_cmp_lt_i32 s14, 2
	s_mov_b64 s[42:43], -1
	s_cbranch_scc1 .LBB316_316
; %bb.307:
	s_cmp_lt_i32 s14, 3
	s_cbranch_scc1 .LBB316_313
; %bb.308:
	s_cmp_gt_i32 s14, 3
	s_cbranch_scc0 .LBB316_310
; %bb.309:
	s_mov_b32 s42, 0
	v_cndmask_b32_e64 v2, 0, 1, s[2:3]
	v_mov_b32_e32 v3, s42
	global_store_dwordx2 v[0:1], v[2:3], off
	s_mov_b64 s[42:43], 0
.LBB316_310:
	s_andn2_b64 vcc, exec, s[42:43]
	s_cbranch_vccnz .LBB316_312
; %bb.311:
	v_cndmask_b32_e64 v2, 0, 1, s[2:3]
	global_store_dword v[0:1], v2, off
.LBB316_312:
	s_mov_b64 s[42:43], 0
.LBB316_313:
	s_andn2_b64 vcc, exec, s[42:43]
	s_cbranch_vccnz .LBB316_315
; %bb.314:
	v_cndmask_b32_e64 v2, 0, 1, s[2:3]
	global_store_short v[0:1], v2, off
.LBB316_315:
	s_mov_b64 s[42:43], 0
.LBB316_316:
	s_andn2_b64 vcc, exec, s[42:43]
	s_cbranch_vccnz .LBB316_321
; %bb.317:
	s_cmp_gt_i32 s14, 0
	s_mov_b64 s[42:43], -1
	s_cbranch_scc0 .LBB316_319
; %bb.318:
	v_cndmask_b32_e64 v2, 0, 1, s[2:3]
	global_store_byte v[0:1], v2, off
	s_mov_b64 s[42:43], 0
.LBB316_319:
	s_andn2_b64 vcc, exec, s[42:43]
	s_cbranch_vccnz .LBB316_321
; %bb.320:
	v_cndmask_b32_e64 v2, 0, 1, s[2:3]
	global_store_byte v[0:1], v2, off
.LBB316_321:
	s_mov_b64 s[42:43], -1
.LBB316_322:
	s_andn2_b64 vcc, exec, s[42:43]
	s_cbranch_vccnz .LBB316_324
; %bb.323:
	v_add_u32_e32 v8, 0x80, v8
	s_mov_b64 s[2:3], -1
	s_branch .LBB316_477
.LBB316_324:
	s_mov_b64 s[2:3], 0
                                        ; implicit-def: $vgpr8
	s_branch .LBB316_477
.LBB316_325:
	s_mov_b64 s[44:45], -1
                                        ; implicit-def: $vgpr3
.LBB316_326:
	s_mov_b64 s[6:7], 0
.LBB316_327:
	s_and_b64 vcc, exec, s[6:7]
	s_cbranch_vccz .LBB316_333
; %bb.328:
	s_cmp_eq_u32 s50, 29
	s_cbranch_scc0 .LBB316_332
; %bb.329:
	global_load_dwordx2 v[3:4], v[1:2], off
	s_movk_i32 s2, 0xff
	s_waitcnt vmcnt(0)
	v_ffbh_u32_e32 v6, v4
	v_min_u32_e32 v6, 32, v6
	v_lshlrev_b64 v[3:4], v6, v[3:4]
	v_min_u32_e32 v3, 1, v3
	v_or_b32_e32 v3, v4, v3
	v_cvt_f32_u32_e32 v3, v3
	v_sub_u32_e32 v4, 32, v6
	v_ldexp_f32 v6, v3, v4
	v_lshrrev_b32_e32 v4, 23, v6
	v_cmp_ne_u32_e32 vcc, s2, v4
	v_mov_b32_e32 v3, 0xff
	s_and_saveexec_b64 s[6:7], vcc
; %bb.330:
	v_and_b32_e32 v3, 0x400000, v6
	s_mov_b32 s2, 0x3fffff
	v_cmp_ne_u32_e32 vcc, 0, v3
	v_and_or_b32 v3, v6, s2, v4
	v_cmp_ne_u32_e64 s[2:3], 0, v3
	s_and_b64 s[2:3], vcc, s[2:3]
	v_cndmask_b32_e64 v3, 0, 1, s[2:3]
	v_add_u32_e32 v3, v4, v3
; %bb.331:
	s_or_b64 exec, exec, s[6:7]
	s_mov_b64 s[2:3], -1
	s_mov_b64 s[44:45], 0
	s_branch .LBB316_333
.LBB316_332:
	s_mov_b64 s[44:45], -1
                                        ; implicit-def: $vgpr3
.LBB316_333:
	s_mov_b64 s[6:7], 0
.LBB316_334:
	s_and_b64 vcc, exec, s[6:7]
	s_cbranch_vccz .LBB316_358
; %bb.335:
	s_cmp_lt_i32 s50, 27
	s_cbranch_scc1 .LBB316_340
; %bb.336:
	s_cmp_gt_i32 s50, 27
	s_cbranch_scc0 .LBB316_341
; %bb.337:
	global_load_dword v3, v[1:2], off
	s_movk_i32 s2, 0xff
	s_waitcnt vmcnt(0)
	v_cvt_f32_u32_e32 v6, v3
	v_mov_b32_e32 v3, 0xff
	v_lshrrev_b32_e32 v4, 23, v6
	v_cmp_ne_u32_e32 vcc, s2, v4
	s_and_saveexec_b64 s[6:7], vcc
; %bb.338:
	v_and_b32_e32 v3, 0x400000, v6
	s_mov_b32 s2, 0x3fffff
	v_cmp_ne_u32_e32 vcc, 0, v3
	v_and_or_b32 v3, v6, s2, v4
	v_cmp_ne_u32_e64 s[2:3], 0, v3
	s_and_b64 s[2:3], vcc, s[2:3]
	v_cndmask_b32_e64 v3, 0, 1, s[2:3]
	v_add_u32_e32 v3, v4, v3
; %bb.339:
	s_or_b64 exec, exec, s[6:7]
	s_mov_b64 s[2:3], 0
	s_branch .LBB316_342
.LBB316_340:
	s_mov_b64 s[2:3], -1
                                        ; implicit-def: $vgpr3
	s_branch .LBB316_347
.LBB316_341:
	s_mov_b64 s[2:3], -1
                                        ; implicit-def: $vgpr3
.LBB316_342:
	s_andn2_b64 vcc, exec, s[2:3]
	s_cbranch_vccnz .LBB316_346
; %bb.343:
	global_load_ushort v3, v[1:2], off
	s_movk_i32 s2, 0xff
	s_waitcnt vmcnt(0)
	v_cvt_f32_u32_e32 v6, v3
	v_mov_b32_e32 v3, 0xff
	v_lshrrev_b32_e32 v4, 23, v6
	v_cmp_ne_u32_e32 vcc, s2, v4
	s_and_saveexec_b64 s[6:7], vcc
; %bb.344:
	v_and_b32_e32 v3, 0x400000, v6
	s_mov_b32 s2, 0x3fffff
	v_cmp_ne_u32_e32 vcc, 0, v3
	v_and_or_b32 v3, v6, s2, v4
	v_cmp_ne_u32_e64 s[2:3], 0, v3
	s_and_b64 s[2:3], vcc, s[2:3]
	v_cndmask_b32_e64 v3, 0, 1, s[2:3]
	v_add_u32_e32 v3, v4, v3
; %bb.345:
	s_or_b64 exec, exec, s[6:7]
.LBB316_346:
	s_mov_b64 s[2:3], 0
.LBB316_347:
	s_andn2_b64 vcc, exec, s[2:3]
	s_cbranch_vccnz .LBB316_357
; %bb.348:
	global_load_ubyte v3, v[1:2], off
	s_movk_i32 s2, 0x7f
	s_waitcnt vmcnt(0)
	v_cmp_lt_i16_e32 vcc, s2, v3
	s_mov_b64 s[2:3], 0
	s_and_saveexec_b64 s[6:7], vcc
	s_xor_b64 s[6:7], exec, s[6:7]
	s_cbranch_execz .LBB316_373
; %bb.349:
	s_movk_i32 s2, 0x80
	v_cmp_eq_u16_e32 vcc, s2, v3
	s_mov_b64 s[2:3], -1
	s_and_saveexec_b64 s[42:43], vcc
; %bb.350:
	s_xor_b64 s[2:3], exec, -1
; %bb.351:
	s_or_b64 exec, exec, s[42:43]
	s_and_b64 s[2:3], s[2:3], exec
	s_or_saveexec_b64 s[6:7], s[6:7]
	v_mov_b32_e32 v4, 0x7f800001
	s_xor_b64 exec, exec, s[6:7]
	s_cbranch_execnz .LBB316_374
.LBB316_352:
	s_or_b64 exec, exec, s[6:7]
	s_and_saveexec_b64 s[6:7], s[2:3]
	s_cbranch_execz .LBB316_354
.LBB316_353:
	v_and_b32_e32 v3, 0xffff, v3
	v_and_b32_e32 v4, 7, v3
	v_ffbh_u32_e32 v7, v4
	v_min_u32_e32 v7, 32, v7
	v_subrev_u32_e32 v9, 28, v7
	v_bfe_u32 v6, v3, 3, 4
	v_lshlrev_b32_e32 v3, v9, v3
	v_and_b32_e32 v3, 7, v3
	v_cmp_eq_u32_e32 vcc, 0, v6
	v_sub_u32_e32 v7, 29, v7
	v_cndmask_b32_e32 v3, v4, v3, vcc
	v_cndmask_b32_e32 v6, v6, v7, vcc
	v_lshlrev_b32_e32 v3, 20, v3
	v_lshl_or_b32 v3, v6, 23, v3
	v_add_u32_e32 v4, 0x3b800000, v3
.LBB316_354:
	s_or_b64 exec, exec, s[6:7]
	v_lshrrev_b32_e32 v6, 23, v4
	s_movk_i32 s2, 0xff
	v_cmp_ne_u32_e32 vcc, s2, v6
	v_mov_b32_e32 v3, 0xff
	s_and_saveexec_b64 s[6:7], vcc
; %bb.355:
	v_and_b32_e32 v3, 0x400000, v4
	s_mov_b32 s2, 0x3fffff
	v_cmp_ne_u32_e32 vcc, 0, v3
	v_and_or_b32 v3, v4, s2, v6
	v_cmp_ne_u32_e64 s[2:3], 0, v3
	s_and_b64 s[2:3], vcc, s[2:3]
	v_cndmask_b32_e64 v3, 0, 1, s[2:3]
	v_add_u32_e32 v3, v6, v3
; %bb.356:
	s_or_b64 exec, exec, s[6:7]
.LBB316_357:
	s_mov_b64 s[2:3], -1
.LBB316_358:
	s_mov_b64 s[6:7], 0
.LBB316_359:
	s_and_b64 vcc, exec, s[6:7]
	s_cbranch_vccz .LBB316_404
; %bb.360:
	s_cmp_gt_i32 s50, 22
	s_cbranch_scc0 .LBB316_372
; %bb.361:
	s_cmp_lt_i32 s50, 24
	s_cbranch_scc1 .LBB316_375
; %bb.362:
	s_cmp_gt_i32 s50, 24
	s_cbranch_scc0 .LBB316_376
; %bb.363:
	global_load_ubyte v3, v[1:2], off
	s_movk_i32 s2, 0x7f
	s_waitcnt vmcnt(0)
	v_cmp_lt_i16_e32 vcc, s2, v3
	s_mov_b64 s[2:3], 0
	s_and_saveexec_b64 s[6:7], vcc
	s_xor_b64 s[6:7], exec, s[6:7]
	s_cbranch_execz .LBB316_394
; %bb.364:
	s_movk_i32 s2, 0x80
	v_cmp_eq_u16_e32 vcc, s2, v3
	s_mov_b64 s[2:3], -1
	s_and_saveexec_b64 s[42:43], vcc
; %bb.365:
	s_xor_b64 s[2:3], exec, -1
; %bb.366:
	s_or_b64 exec, exec, s[42:43]
	s_and_b64 s[2:3], s[2:3], exec
	s_or_saveexec_b64 s[6:7], s[6:7]
	v_mov_b32_e32 v4, 0x7f800001
	s_xor_b64 exec, exec, s[6:7]
	s_cbranch_execnz .LBB316_395
.LBB316_367:
	s_or_b64 exec, exec, s[6:7]
	s_and_saveexec_b64 s[6:7], s[2:3]
	s_cbranch_execz .LBB316_369
.LBB316_368:
	v_and_b32_e32 v3, 0xffff, v3
	v_and_b32_e32 v4, 3, v3
	v_ffbh_u32_e32 v7, v4
	v_min_u32_e32 v7, 32, v7
	v_subrev_u32_e32 v9, 29, v7
	v_bfe_u32 v6, v3, 2, 5
	v_lshlrev_b32_e32 v3, v9, v3
	v_and_b32_e32 v3, 3, v3
	v_cmp_eq_u32_e32 vcc, 0, v6
	v_sub_u32_e32 v7, 30, v7
	v_cndmask_b32_e32 v3, v4, v3, vcc
	v_cndmask_b32_e32 v6, v6, v7, vcc
	v_lshlrev_b32_e32 v3, 21, v3
	v_lshl_or_b32 v3, v6, 23, v3
	v_add_u32_e32 v4, 0x37800000, v3
.LBB316_369:
	s_or_b64 exec, exec, s[6:7]
	v_lshrrev_b32_e32 v6, 23, v4
	s_movk_i32 s2, 0xff
	v_cmp_ne_u32_e32 vcc, s2, v6
	v_mov_b32_e32 v3, 0xff
	s_and_saveexec_b64 s[6:7], vcc
; %bb.370:
	v_and_b32_e32 v3, 0x400000, v4
	s_mov_b32 s2, 0x3fffff
	v_cmp_ne_u32_e32 vcc, 0, v3
	v_and_or_b32 v3, v4, s2, v6
	v_cmp_ne_u32_e64 s[2:3], 0, v3
	s_and_b64 s[2:3], vcc, s[2:3]
	v_cndmask_b32_e64 v3, 0, 1, s[2:3]
	v_add_u32_e32 v3, v6, v3
; %bb.371:
	s_or_b64 exec, exec, s[6:7]
	s_mov_b64 s[2:3], 0
	s_branch .LBB316_377
.LBB316_372:
	s_mov_b64 s[6:7], -1
                                        ; implicit-def: $vgpr3
	s_branch .LBB316_387
.LBB316_373:
	s_or_saveexec_b64 s[6:7], s[6:7]
	v_mov_b32_e32 v4, 0x7f800001
	s_xor_b64 exec, exec, s[6:7]
	s_cbranch_execz .LBB316_352
.LBB316_374:
	v_cmp_ne_u16_e32 vcc, 0, v3
	s_andn2_b64 s[2:3], s[2:3], exec
	s_and_b64 s[42:43], vcc, exec
	v_and_b32_e32 v4, 0xffff, v3
	s_or_b64 s[2:3], s[2:3], s[42:43]
	s_or_b64 exec, exec, s[6:7]
	s_and_saveexec_b64 s[6:7], s[2:3]
	s_cbranch_execnz .LBB316_353
	s_branch .LBB316_354
.LBB316_375:
	s_mov_b64 s[2:3], -1
                                        ; implicit-def: $vgpr3
	s_branch .LBB316_382
.LBB316_376:
	s_mov_b64 s[2:3], -1
                                        ; implicit-def: $vgpr3
.LBB316_377:
	s_and_b64 vcc, exec, s[2:3]
	s_cbranch_vccz .LBB316_381
; %bb.378:
	global_load_ubyte v3, v[1:2], off
	s_mov_b32 s2, 0x7f800000
	s_movk_i32 s3, 0xff
	s_waitcnt vmcnt(0)
	v_lshlrev_b32_e32 v3, 24, v3
	v_and_b32_e32 v3, 0x7f000000, v3
	v_ffbh_u32_e32 v4, v3
	v_min_u32_e32 v4, 32, v4
	v_sub_u32_e64 v4, v4, 4 clamp
	v_lshlrev_b32_e32 v7, v4, v3
	v_lshlrev_b32_e32 v4, 23, v4
	v_lshrrev_b32_e32 v7, 4, v7
	v_add_u32_e32 v6, 0x1000000, v3
	v_sub_u32_e32 v4, v7, v4
	v_ashrrev_i32_e32 v6, 8, v6
	v_add_u32_e32 v4, 0x3c000000, v4
	v_and_or_b32 v4, v6, s2, v4
	v_cmp_ne_u32_e32 vcc, 0, v3
	v_cndmask_b32_e32 v6, 0, v4, vcc
	v_lshrrev_b32_e32 v4, 23, v6
	v_cmp_ne_u32_e32 vcc, s3, v4
	v_mov_b32_e32 v3, 0xff
	s_and_saveexec_b64 s[6:7], vcc
; %bb.379:
	v_and_b32_e32 v3, 0x400000, v6
	s_mov_b32 s2, 0x3fffff
	v_cmp_ne_u32_e32 vcc, 0, v3
	v_and_or_b32 v3, v6, s2, v4
	v_cmp_ne_u32_e64 s[2:3], 0, v3
	s_and_b64 s[2:3], vcc, s[2:3]
	v_cndmask_b32_e64 v3, 0, 1, s[2:3]
	v_add_u32_e32 v3, v4, v3
; %bb.380:
	s_or_b64 exec, exec, s[6:7]
.LBB316_381:
	s_mov_b64 s[2:3], 0
.LBB316_382:
	s_andn2_b64 vcc, exec, s[2:3]
	s_cbranch_vccnz .LBB316_386
; %bb.383:
	global_load_ubyte v3, v[1:2], off
	s_movk_i32 s2, 0x7f00
	s_brev_b32 s3, 16
	s_movk_i32 s6, 0xff
	s_waitcnt vmcnt(0)
	v_lshlrev_b32_e32 v4, 8, v3
	v_lshlrev_b32_e32 v3, 25, v3
	v_lshrrev_b32_e32 v6, 4, v3
	v_and_or_b32 v4, v4, s2, 0.5
	v_or_b32_e32 v6, 0x70000000, v6
	v_add_f32_e32 v4, -0.5, v4
	v_mul_f32_e32 v6, 0x7800000, v6
	v_cmp_gt_u32_e32 vcc, s3, v3
	v_cndmask_b32_e32 v4, v6, v4, vcc
	v_bfe_u32 v6, v4, 23, 8
	v_cmp_ne_u32_e32 vcc, s6, v6
	v_mov_b32_e32 v3, 0xff
	s_and_saveexec_b64 s[6:7], vcc
; %bb.384:
	s_mov_b32 s2, 0x3fffff
	v_lshrrev_b32_e32 v3, 23, v4
	v_and_b32_e32 v7, 0x400000, v4
	v_and_or_b32 v4, v4, s2, v6
	v_cmp_ne_u32_e32 vcc, 0, v7
	v_cmp_ne_u32_e64 s[2:3], 0, v4
	s_and_b64 s[2:3], vcc, s[2:3]
	v_cndmask_b32_e64 v4, 0, 1, s[2:3]
	v_add_u32_e32 v3, v3, v4
; %bb.385:
	s_or_b64 exec, exec, s[6:7]
.LBB316_386:
	s_mov_b64 s[6:7], 0
	s_mov_b64 s[2:3], -1
.LBB316_387:
	s_andn2_b64 vcc, exec, s[6:7]
	s_cbranch_vccnz .LBB316_404
; %bb.388:
	s_cmp_gt_i32 s50, 14
	s_cbranch_scc0 .LBB316_393
; %bb.389:
	s_cmp_eq_u32 s50, 15
	s_cbranch_scc0 .LBB316_396
; %bb.390:
	global_load_ushort v4, v[1:2], off
	s_movk_i32 s2, 0xff
	s_waitcnt vmcnt(1)
	v_mov_b32_e32 v3, 0xff
	s_waitcnt vmcnt(0)
	v_bfe_u32 v6, v4, 7, 8
	v_cmp_ne_u32_e32 vcc, s2, v6
	s_and_saveexec_b64 s[6:7], vcc
	s_cbranch_execz .LBB316_392
; %bb.391:
	v_lshrrev_b32_e32 v3, 7, v4
	v_lshlrev_b32_e32 v7, 16, v4
	v_and_b32_e32 v4, 64, v4
	s_mov_b32 s2, 0x3f0000
	v_cmp_ne_u32_e32 vcc, 0, v4
	v_and_or_b32 v4, v7, s2, v6
	v_cmp_ne_u32_e64 s[2:3], 0, v4
	s_and_b64 s[2:3], vcc, s[2:3]
	v_cndmask_b32_e64 v4, 0, 1, s[2:3]
	v_add_u32_e32 v3, v3, v4
.LBB316_392:
	s_or_b64 exec, exec, s[6:7]
	s_mov_b64 s[2:3], -1
	s_mov_b64 s[44:45], 0
	s_branch .LBB316_397
.LBB316_393:
	s_mov_b64 s[6:7], -1
                                        ; implicit-def: $vgpr3
	s_branch .LBB316_398
.LBB316_394:
	s_or_saveexec_b64 s[6:7], s[6:7]
	v_mov_b32_e32 v4, 0x7f800001
	s_xor_b64 exec, exec, s[6:7]
	s_cbranch_execz .LBB316_367
.LBB316_395:
	v_cmp_ne_u16_e32 vcc, 0, v3
	s_andn2_b64 s[2:3], s[2:3], exec
	s_and_b64 s[42:43], vcc, exec
	v_and_b32_e32 v4, 0xffff, v3
	s_or_b64 s[2:3], s[2:3], s[42:43]
	s_or_b64 exec, exec, s[6:7]
	s_and_saveexec_b64 s[6:7], s[2:3]
	s_cbranch_execnz .LBB316_368
	s_branch .LBB316_369
.LBB316_396:
	s_mov_b64 s[44:45], -1
                                        ; implicit-def: $vgpr3
.LBB316_397:
	s_mov_b64 s[6:7], 0
.LBB316_398:
	s_and_b64 vcc, exec, s[6:7]
	s_cbranch_vccz .LBB316_404
; %bb.399:
	s_cmp_eq_u32 s50, 11
	s_cbranch_scc0 .LBB316_403
; %bb.400:
	global_load_ubyte v3, v[1:2], off
	s_movk_i32 s2, 0xff
	s_waitcnt vmcnt(0)
	v_cmp_ne_u16_e32 vcc, 0, v3
	v_cndmask_b32_e64 v6, 0, 1.0, vcc
	v_lshrrev_b32_e32 v4, 23, v6
	v_cmp_ne_u32_e32 vcc, s2, v4
	v_mov_b32_e32 v3, 0xff
	s_and_saveexec_b64 s[6:7], vcc
; %bb.401:
	v_and_b32_e32 v3, 0x400000, v6
	s_mov_b32 s2, 0x3fffff
	v_cmp_ne_u32_e32 vcc, 0, v3
	v_and_or_b32 v3, v6, s2, v4
	v_cmp_ne_u32_e64 s[2:3], 0, v3
	s_and_b64 s[2:3], vcc, s[2:3]
	v_cndmask_b32_e64 v3, 0, 1, s[2:3]
	v_add_u32_e32 v3, v4, v3
; %bb.402:
	s_or_b64 exec, exec, s[6:7]
	s_mov_b64 s[2:3], -1
	s_mov_b64 s[44:45], 0
	s_branch .LBB316_404
.LBB316_403:
	s_mov_b64 s[44:45], -1
                                        ; implicit-def: $vgpr3
.LBB316_404:
	s_branch .LBB316_35
.LBB316_405:
	s_and_b32 s14, 0xffff, s14
	s_cmp_lt_i32 s14, 5
	s_cbranch_scc1 .LBB316_412
; %bb.406:
	s_cmp_lt_i32 s14, 8
	s_cbranch_scc1 .LBB316_413
; %bb.407:
	;; [unrolled: 3-line block ×3, first 2 shown]
	s_cmp_gt_i32 s14, 9
	s_cbranch_scc0 .LBB316_415
; %bb.409:
	global_load_dwordx2 v[3:4], v[1:2], off
	s_movk_i32 s2, 0xff
	s_waitcnt vmcnt(0)
	v_cvt_f32_f64_e32 v4, v[3:4]
	v_mov_b32_e32 v3, 0xff
	v_bfe_u32 v6, v4, 23, 8
	v_cmp_ne_u32_e32 vcc, s2, v6
	s_and_saveexec_b64 s[6:7], vcc
; %bb.410:
	s_mov_b32 s2, 0x3fffff
	v_lshrrev_b32_e32 v3, 23, v4
	v_and_b32_e32 v7, 0x400000, v4
	v_and_or_b32 v4, v4, s2, v6
	v_cmp_ne_u32_e32 vcc, 0, v7
	v_cmp_ne_u32_e64 s[2:3], 0, v4
	s_and_b64 s[2:3], vcc, s[2:3]
	v_cndmask_b32_e64 v4, 0, 1, s[2:3]
	v_add_u32_e32 v3, v3, v4
; %bb.411:
	s_or_b64 exec, exec, s[6:7]
	s_mov_b64 s[2:3], 0
	s_branch .LBB316_416
.LBB316_412:
	s_mov_b64 s[2:3], -1
                                        ; implicit-def: $vgpr3
	s_branch .LBB316_444
.LBB316_413:
	s_mov_b64 s[2:3], -1
                                        ; implicit-def: $vgpr3
	s_branch .LBB316_426
.LBB316_414:
	s_mov_b64 s[2:3], -1
                                        ; implicit-def: $vgpr3
	s_branch .LBB316_421
.LBB316_415:
	s_mov_b64 s[2:3], -1
                                        ; implicit-def: $vgpr3
.LBB316_416:
	s_andn2_b64 vcc, exec, s[2:3]
	s_cbranch_vccnz .LBB316_420
; %bb.417:
	global_load_dword v4, v[1:2], off
	s_movk_i32 s2, 0xff
	s_waitcnt vmcnt(1)
	v_mov_b32_e32 v3, 0xff
	s_waitcnt vmcnt(0)
	v_bfe_u32 v6, v4, 23, 8
	v_cmp_ne_u32_e32 vcc, s2, v6
	s_and_saveexec_b64 s[6:7], vcc
; %bb.418:
	s_mov_b32 s2, 0x3fffff
	v_lshrrev_b32_e32 v3, 23, v4
	v_and_b32_e32 v7, 0x400000, v4
	v_and_or_b32 v4, v4, s2, v6
	v_cmp_ne_u32_e32 vcc, 0, v7
	v_cmp_ne_u32_e64 s[2:3], 0, v4
	s_and_b64 s[2:3], vcc, s[2:3]
	v_cndmask_b32_e64 v4, 0, 1, s[2:3]
	v_add_u32_e32 v3, v3, v4
; %bb.419:
	s_or_b64 exec, exec, s[6:7]
.LBB316_420:
	s_mov_b64 s[2:3], 0
.LBB316_421:
	s_andn2_b64 vcc, exec, s[2:3]
	s_cbranch_vccnz .LBB316_425
; %bb.422:
	global_load_dword v3, v[1:2], off
	s_movk_i32 s2, 0xff
	s_waitcnt vmcnt(0)
	v_cvt_f32_f16_e32 v4, v3
	v_mov_b32_e32 v3, 0xff
	v_bfe_u32 v6, v4, 23, 8
	v_cmp_ne_u32_e32 vcc, s2, v6
	s_and_saveexec_b64 s[6:7], vcc
; %bb.423:
	s_mov_b32 s2, 0x3fffff
	v_lshrrev_b32_e32 v3, 23, v4
	v_and_b32_e32 v7, 0x400000, v4
	v_and_or_b32 v4, v4, s2, v6
	v_cmp_ne_u32_e32 vcc, 0, v7
	v_cmp_ne_u32_e64 s[2:3], 0, v4
	s_and_b64 s[2:3], vcc, s[2:3]
	v_cndmask_b32_e64 v4, 0, 1, s[2:3]
	v_add_u32_e32 v3, v3, v4
; %bb.424:
	s_or_b64 exec, exec, s[6:7]
.LBB316_425:
	s_mov_b64 s[2:3], 0
.LBB316_426:
	s_andn2_b64 vcc, exec, s[2:3]
	s_cbranch_vccnz .LBB316_443
; %bb.427:
	s_cmp_lt_i32 s14, 6
	s_cbranch_scc1 .LBB316_432
; %bb.428:
	s_cmp_gt_i32 s14, 6
	s_cbranch_scc0 .LBB316_433
; %bb.429:
	global_load_dwordx2 v[3:4], v[1:2], off
	s_movk_i32 s2, 0xff
	s_waitcnt vmcnt(0)
	v_cvt_f32_f64_e32 v4, v[3:4]
	v_mov_b32_e32 v3, 0xff
	v_bfe_u32 v6, v4, 23, 8
	v_cmp_ne_u32_e32 vcc, s2, v6
	s_and_saveexec_b64 s[6:7], vcc
; %bb.430:
	s_mov_b32 s2, 0x3fffff
	v_lshrrev_b32_e32 v3, 23, v4
	v_and_b32_e32 v7, 0x400000, v4
	v_and_or_b32 v4, v4, s2, v6
	v_cmp_ne_u32_e32 vcc, 0, v7
	v_cmp_ne_u32_e64 s[2:3], 0, v4
	s_and_b64 s[2:3], vcc, s[2:3]
	v_cndmask_b32_e64 v4, 0, 1, s[2:3]
	v_add_u32_e32 v3, v3, v4
; %bb.431:
	s_or_b64 exec, exec, s[6:7]
	s_mov_b64 s[2:3], 0
	s_branch .LBB316_434
.LBB316_432:
	s_mov_b64 s[2:3], -1
                                        ; implicit-def: $vgpr3
	s_branch .LBB316_439
.LBB316_433:
	s_mov_b64 s[2:3], -1
                                        ; implicit-def: $vgpr3
.LBB316_434:
	s_andn2_b64 vcc, exec, s[2:3]
	s_cbranch_vccnz .LBB316_438
; %bb.435:
	global_load_dword v4, v[1:2], off
	s_movk_i32 s2, 0xff
	s_waitcnt vmcnt(1)
	v_mov_b32_e32 v3, 0xff
	s_waitcnt vmcnt(0)
	v_bfe_u32 v6, v4, 23, 8
	v_cmp_ne_u32_e32 vcc, s2, v6
	s_and_saveexec_b64 s[6:7], vcc
; %bb.436:
	s_mov_b32 s2, 0x3fffff
	v_lshrrev_b32_e32 v3, 23, v4
	v_and_b32_e32 v7, 0x400000, v4
	v_and_or_b32 v4, v4, s2, v6
	v_cmp_ne_u32_e32 vcc, 0, v7
	v_cmp_ne_u32_e64 s[2:3], 0, v4
	s_and_b64 s[2:3], vcc, s[2:3]
	v_cndmask_b32_e64 v4, 0, 1, s[2:3]
	v_add_u32_e32 v3, v3, v4
; %bb.437:
	s_or_b64 exec, exec, s[6:7]
.LBB316_438:
	s_mov_b64 s[2:3], 0
.LBB316_439:
	s_andn2_b64 vcc, exec, s[2:3]
	s_cbranch_vccnz .LBB316_443
; %bb.440:
	global_load_ushort v3, v[1:2], off
	s_movk_i32 s2, 0xff
	s_waitcnt vmcnt(0)
	v_cvt_f32_f16_e32 v4, v3
	v_mov_b32_e32 v3, 0xff
	v_bfe_u32 v6, v4, 23, 8
	v_cmp_ne_u32_e32 vcc, s2, v6
	s_and_saveexec_b64 s[6:7], vcc
; %bb.441:
	s_mov_b32 s2, 0x3fffff
	v_lshrrev_b32_e32 v3, 23, v4
	v_and_b32_e32 v7, 0x400000, v4
	v_and_or_b32 v4, v4, s2, v6
	v_cmp_ne_u32_e32 vcc, 0, v7
	v_cmp_ne_u32_e64 s[2:3], 0, v4
	s_and_b64 s[2:3], vcc, s[2:3]
	v_cndmask_b32_e64 v4, 0, 1, s[2:3]
	v_add_u32_e32 v3, v3, v4
; %bb.442:
	s_or_b64 exec, exec, s[6:7]
.LBB316_443:
	s_mov_b64 s[2:3], 0
.LBB316_444:
	s_andn2_b64 vcc, exec, s[2:3]
	s_cbranch_vccnz .LBB316_474
; %bb.445:
	s_cmp_lt_i32 s14, 2
	s_cbranch_scc1 .LBB316_451
; %bb.446:
	s_cmp_lt_i32 s14, 3
	s_cbranch_scc1 .LBB316_452
; %bb.447:
	s_cmp_gt_i32 s14, 3
	s_cbranch_scc0 .LBB316_453
; %bb.448:
	global_load_dwordx2 v[3:4], v[1:2], off
	s_movk_i32 s2, 0xff
	s_waitcnt vmcnt(0)
	v_xor_b32_e32 v7, v3, v4
	v_ffbh_i32_e32 v6, v4
	v_ashrrev_i32_e32 v7, 31, v7
	v_add_u32_e32 v6, -1, v6
	v_add_u32_e32 v7, 32, v7
	v_min_u32_e32 v6, v6, v7
	v_lshlrev_b64 v[3:4], v6, v[3:4]
	v_min_u32_e32 v3, 1, v3
	v_or_b32_e32 v3, v4, v3
	v_cvt_f32_i32_e32 v3, v3
	v_sub_u32_e32 v4, 32, v6
	v_ldexp_f32 v4, v3, v4
	v_bfe_u32 v6, v4, 23, 8
	v_cmp_ne_u32_e32 vcc, s2, v6
	v_mov_b32_e32 v3, 0xff
	s_and_saveexec_b64 s[6:7], vcc
; %bb.449:
	s_mov_b32 s2, 0x3fffff
	v_lshrrev_b32_e32 v3, 23, v4
	v_and_b32_e32 v7, 0x400000, v4
	v_and_or_b32 v4, v4, s2, v6
	v_cmp_ne_u32_e32 vcc, 0, v7
	v_cmp_ne_u32_e64 s[2:3], 0, v4
	s_and_b64 s[2:3], vcc, s[2:3]
	v_cndmask_b32_e64 v4, 0, 1, s[2:3]
	v_add_u32_e32 v3, v3, v4
; %bb.450:
	s_or_b64 exec, exec, s[6:7]
	s_mov_b64 s[2:3], 0
	s_branch .LBB316_454
.LBB316_451:
	s_mov_b64 s[2:3], -1
                                        ; implicit-def: $vgpr3
	s_branch .LBB316_464
.LBB316_452:
	s_mov_b64 s[2:3], -1
                                        ; implicit-def: $vgpr3
	s_branch .LBB316_459
.LBB316_453:
	s_mov_b64 s[2:3], -1
                                        ; implicit-def: $vgpr3
.LBB316_454:
	s_andn2_b64 vcc, exec, s[2:3]
	s_cbranch_vccnz .LBB316_458
; %bb.455:
	global_load_dword v3, v[1:2], off
	s_movk_i32 s2, 0xff
	s_waitcnt vmcnt(0)
	v_cvt_f32_i32_e32 v4, v3
	v_mov_b32_e32 v3, 0xff
	v_bfe_u32 v6, v4, 23, 8
	v_cmp_ne_u32_e32 vcc, s2, v6
	s_and_saveexec_b64 s[6:7], vcc
; %bb.456:
	s_mov_b32 s2, 0x3fffff
	v_lshrrev_b32_e32 v3, 23, v4
	v_and_b32_e32 v7, 0x400000, v4
	v_and_or_b32 v4, v4, s2, v6
	v_cmp_ne_u32_e32 vcc, 0, v7
	v_cmp_ne_u32_e64 s[2:3], 0, v4
	s_and_b64 s[2:3], vcc, s[2:3]
	v_cndmask_b32_e64 v4, 0, 1, s[2:3]
	v_add_u32_e32 v3, v3, v4
; %bb.457:
	s_or_b64 exec, exec, s[6:7]
.LBB316_458:
	s_mov_b64 s[2:3], 0
.LBB316_459:
	s_andn2_b64 vcc, exec, s[2:3]
	s_cbranch_vccnz .LBB316_463
; %bb.460:
	global_load_sshort v3, v[1:2], off
	s_movk_i32 s2, 0xff
	s_waitcnt vmcnt(0)
	v_cvt_f32_i32_e32 v4, v3
	v_mov_b32_e32 v3, 0xff
	v_bfe_u32 v6, v4, 23, 8
	v_cmp_ne_u32_e32 vcc, s2, v6
	s_and_saveexec_b64 s[6:7], vcc
; %bb.461:
	s_mov_b32 s2, 0x3fffff
	v_lshrrev_b32_e32 v3, 23, v4
	v_and_b32_e32 v7, 0x400000, v4
	v_and_or_b32 v4, v4, s2, v6
	v_cmp_ne_u32_e32 vcc, 0, v7
	v_cmp_ne_u32_e64 s[2:3], 0, v4
	s_and_b64 s[2:3], vcc, s[2:3]
	v_cndmask_b32_e64 v4, 0, 1, s[2:3]
	v_add_u32_e32 v3, v3, v4
; %bb.462:
	s_or_b64 exec, exec, s[6:7]
.LBB316_463:
	s_mov_b64 s[2:3], 0
.LBB316_464:
	s_andn2_b64 vcc, exec, s[2:3]
	s_cbranch_vccnz .LBB316_474
; %bb.465:
	s_cmp_gt_i32 s14, 0
	s_cbranch_scc0 .LBB316_469
; %bb.466:
	global_load_sbyte v3, v[1:2], off
	s_movk_i32 s2, 0xff
	s_waitcnt vmcnt(0)
	v_cvt_f32_i32_e32 v4, v3
	v_mov_b32_e32 v3, 0xff
	v_bfe_u32 v6, v4, 23, 8
	v_cmp_ne_u32_e32 vcc, s2, v6
	s_and_saveexec_b64 s[6:7], vcc
; %bb.467:
	s_mov_b32 s2, 0x3fffff
	v_lshrrev_b32_e32 v3, 23, v4
	v_and_b32_e32 v7, 0x400000, v4
	v_and_or_b32 v4, v4, s2, v6
	v_cmp_ne_u32_e32 vcc, 0, v7
	v_cmp_ne_u32_e64 s[2:3], 0, v4
	s_and_b64 s[2:3], vcc, s[2:3]
	v_cndmask_b32_e64 v4, 0, 1, s[2:3]
	v_add_u32_e32 v3, v3, v4
; %bb.468:
	s_or_b64 exec, exec, s[6:7]
	s_mov_b64 s[2:3], 0
	s_branch .LBB316_470
.LBB316_469:
	s_mov_b64 s[2:3], -1
                                        ; implicit-def: $vgpr3
.LBB316_470:
	s_andn2_b64 vcc, exec, s[2:3]
	s_cbranch_vccnz .LBB316_474
; %bb.471:
	global_load_ubyte v1, v[1:2], off
	s_movk_i32 s2, 0xff
	s_waitcnt vmcnt(1)
	v_mov_b32_e32 v3, 0xff
	s_waitcnt vmcnt(0)
	v_cvt_f32_ubyte0_e32 v2, v1
	v_lshrrev_b32_e32 v1, 23, v2
	v_cmp_ne_u32_e32 vcc, s2, v1
	s_and_saveexec_b64 s[6:7], vcc
; %bb.472:
	s_mov_b32 s2, 0x3fffff
	v_and_b32_e32 v3, 0x400000, v2
	v_and_or_b32 v2, v2, s2, v1
	v_cmp_ne_u32_e32 vcc, 0, v3
	v_cmp_ne_u32_e64 s[2:3], 0, v2
	s_and_b64 s[2:3], vcc, s[2:3]
	v_cndmask_b32_e64 v2, 0, 1, s[2:3]
	v_add_u32_e32 v3, v1, v2
; %bb.473:
	s_or_b64 exec, exec, s[6:7]
.LBB316_474:
	s_branch .LBB316_36
.LBB316_475:
	s_mov_b64 s[6:7], 0
.LBB316_476:
                                        ; implicit-def: $vgpr8
	s_mov_b64 s[2:3], 0
.LBB316_477:
	s_and_b64 s[42:43], s[6:7], exec
	s_and_b64 s[44:45], s[44:45], exec
	;; [unrolled: 1-line block ×3, first 2 shown]
	s_orn2_b64 s[2:3], s[2:3], exec
.LBB316_478:
	s_or_b64 exec, exec, s[48:49]
	s_mov_b64 s[56:57], 0
	s_mov_b64 s[54:55], 0
                                        ; implicit-def: $sgpr14
                                        ; implicit-def: $vgpr3_vgpr4
                                        ; implicit-def: $vgpr0
                                        ; implicit-def: $vgpr2
                                        ; implicit-def: $vgpr5
	s_and_saveexec_b64 s[48:49], s[2:3]
	s_cbranch_execz .LBB316_486
; %bb.479:
	v_cmp_gt_i32_e32 vcc, s70, v8
	s_mov_b64 s[6:7], -1
	s_mov_b64 s[50:51], s[46:47]
	s_mov_b64 s[52:53], s[44:45]
	;; [unrolled: 1-line block ×3, first 2 shown]
	s_and_saveexec_b64 s[56:57], vcc
	s_cbranch_execz .LBB316_965
; %bb.480:
	s_andn2_b64 vcc, exec, s[28:29]
	s_cbranch_vccnz .LBB316_491
; %bb.481:
	s_andn2_b64 vcc, exec, s[40:41]
	s_cbranch_vccnz .LBB316_492
; %bb.482:
	s_add_i32 s2, s75, 1
	s_and_b32 s6, s2, 30
	s_add_u32 s2, s24, 0xffffffe8
	s_addc_u32 s3, s25, -1
	v_mov_b32_e32 v2, 0
	v_mov_b32_e32 v4, 0
	;; [unrolled: 1-line block ×4, first 2 shown]
.LBB316_483:                            ; =>This Inner Loop Header: Depth=1
	s_load_dwordx4 s[52:55], s[2:3], 0x1c
	s_load_dwordx2 s[50:51], s[2:3], 0x2c
	s_load_dwordx2 s[58:59], s[2:3], 0xec
	s_load_dwordx4 s[60:63], s[2:3], 0xdc
	s_add_u32 s2, s2, 24
	s_waitcnt vmcnt(0) lgkmcnt(0)
	v_mul_hi_u32 v3, s53, v1
	s_addc_u32 s3, s3, 0
	s_add_i32 s6, s6, -2
	s_cmp_eq_u32 s6, 0
	v_add_u32_e32 v3, v1, v3
	v_lshrrev_b32_e32 v3, s54, v3
	v_mul_lo_u32 v5, v3, s52
	v_mul_hi_u32 v6, s50, v3
	v_sub_u32_e32 v5, v1, v5
	v_add_u32_e32 v1, v3, v6
	v_lshrrev_b32_e32 v1, s51, v1
	v_mul_lo_u32 v9, v1, s55
	v_mul_lo_u32 v6, v5, s60
	;; [unrolled: 1-line block ×4, first 2 shown]
	v_sub_u32_e32 v3, v3, v9
	v_mul_lo_u32 v9, v3, s63
	v_mul_lo_u32 v10, v3, s58
	;; [unrolled: 1-line block ×3, first 2 shown]
	v_add3_u32 v0, v6, v0, v9
	v_add3_u32 v4, v7, v4, v10
	;; [unrolled: 1-line block ×3, first 2 shown]
	s_cbranch_scc0 .LBB316_483
; %bb.484:
	s_bitcmp1_b32 s75, 0
	s_cselect_b64 s[6:7], -1, 0
	s_and_b64 vcc, exec, s[6:7]
	s_cbranch_vccnz .LBB316_493
; %bb.485:
	s_load_dwordx2 s[6:7], s[2:3], 0x1c
	s_load_dword s14, s[2:3], 0x24
	s_load_dwordx2 s[50:51], s[2:3], 0xdc
	s_waitcnt lgkmcnt(0)
	v_mul_hi_u32 v3, s7, v1
	v_add_u32_e32 v3, v1, v3
	v_lshrrev_b32_e32 v3, s14, v3
	v_mul_lo_u32 v3, v3, s6
	s_load_dword s6, s[2:3], 0xe4
	v_sub_u32_e32 v3, v1, v3
	v_mad_u64_u32 v[0:1], s[2:3], v3, s50, v[0:1]
	v_mad_u64_u32 v[4:5], s[2:3], v3, s51, v[4:5]
	s_waitcnt lgkmcnt(0)
	v_mad_u64_u32 v[2:3], s[2:3], v3, s6, v[2:3]
	s_branch .LBB316_493
.LBB316_486:
	s_or_b64 exec, exec, s[48:49]
	s_mov_b64 s[6:7], 0
	s_and_saveexec_b64 s[2:3], s[46:47]
	s_cbranch_execnz .LBB316_1565
.LBB316_487:
	s_or_b64 exec, exec, s[2:3]
	s_and_saveexec_b64 s[2:3], s[52:53]
	s_xor_b64 s[10:11], exec, s[2:3]
	s_cbranch_execz .LBB316_1566
.LBB316_488:
	s_waitcnt vmcnt(0)
	global_load_ubyte v1, v[3:4], off
	s_movk_i32 s2, 0xff
	v_mov_b32_e32 v5, 0xff
	s_waitcnt vmcnt(0)
	v_cmp_ne_u16_e32 vcc, 0, v1
	v_cndmask_b32_e64 v6, 0, 1.0, vcc
	v_lshrrev_b32_e32 v1, 23, v6
	v_cmp_ne_u32_e32 vcc, s2, v1
	s_and_saveexec_b64 s[16:17], vcc
; %bb.489:
	v_and_b32_e32 v5, 0x400000, v6
	s_mov_b32 s2, 0x3fffff
	v_cmp_ne_u32_e32 vcc, 0, v5
	v_and_or_b32 v5, v6, s2, v1
	v_cmp_ne_u32_e64 s[2:3], 0, v5
	s_and_b64 s[2:3], vcc, s[2:3]
	v_cndmask_b32_e64 v5, 0, 1, s[2:3]
	v_add_u32_e32 v5, v1, v5
; %bb.490:
	s_or_b64 exec, exec, s[16:17]
	s_or_b64 s[54:55], s[54:55], exec
	s_or_b64 exec, exec, s[10:11]
	s_and_saveexec_b64 s[10:11], s[56:57]
	s_cbranch_execz .LBB316_1634
	s_branch .LBB316_1567
.LBB316_491:
                                        ; implicit-def: $vgpr0
                                        ; implicit-def: $vgpr4
                                        ; implicit-def: $vgpr2
	s_branch .LBB316_494
.LBB316_492:
	v_mov_b32_e32 v0, 0
	v_mov_b32_e32 v4, 0
	v_mov_b32_e32 v2, 0
.LBB316_493:
	s_cbranch_execnz .LBB316_496
.LBB316_494:
	v_mul_hi_u32 v0, s17, v8
	s_andn2_b64 vcc, exec, s[38:39]
	v_add_u32_e32 v0, v8, v0
	v_lshrrev_b32_e32 v1, s18, v0
	v_mul_lo_u32 v0, v1, s16
	v_sub_u32_e32 v2, v8, v0
	v_mul_lo_u32 v0, v2, s20
	v_mul_lo_u32 v4, v2, s21
	;; [unrolled: 1-line block ×3, first 2 shown]
	s_cbranch_vccnz .LBB316_496
; %bb.495:
	s_waitcnt vmcnt(0)
	v_mul_hi_u32 v3, s36, v1
	v_add_u32_e32 v3, v1, v3
	v_lshrrev_b32_e32 v3, s37, v3
	v_mul_lo_u32 v3, v3, s19
	v_sub_u32_e32 v3, v1, v3
	v_mad_u64_u32 v[0:1], s[2:3], v3, s23, v[0:1]
	v_mad_u64_u32 v[4:5], s[2:3], v3, s34, v[4:5]
	;; [unrolled: 1-line block ×3, first 2 shown]
.LBB316_496:
	v_mov_b32_e32 v1, s11
	s_and_b32 s14, s74, 0xff
	s_waitcnt vmcnt(0)
	v_add_co_u32_e32 v3, vcc, s10, v4
	s_cmp_lt_i32 s14, 11
	v_addc_co_u32_e32 v4, vcc, 0, v1, vcc
	s_cbranch_scc1 .LBB316_505
; %bb.497:
	s_and_b32 s54, 0xffff, s14
	s_cmp_gt_i32 s54, 25
	s_cbranch_scc0 .LBB316_516
; %bb.498:
	s_cmp_gt_i32 s54, 28
	s_cbranch_scc0 .LBB316_518
; %bb.499:
	;; [unrolled: 3-line block ×4, first 2 shown]
	s_cmp_eq_u32 s54, 46
	s_mov_b64 s[6:7], 0
	s_cbranch_scc0 .LBB316_526
; %bb.502:
	global_load_dword v1, v[3:4], off
	s_movk_i32 s2, 0xff
	v_mov_b32_e32 v5, 0xff
	s_waitcnt vmcnt(0)
	v_lshlrev_b32_e32 v6, 16, v1
	v_bfe_u32 v7, v6, 23, 8
	v_cmp_ne_u32_e32 vcc, s2, v7
	s_and_saveexec_b64 s[50:51], vcc
; %bb.503:
	v_bfe_u32 v5, v1, 7, 9
	v_and_b32_e32 v1, 64, v1
	s_mov_b32 s2, 0x3f0000
	v_cmp_ne_u32_e32 vcc, 0, v1
	v_and_or_b32 v1, v6, s2, v7
	v_cmp_ne_u32_e64 s[2:3], 0, v1
	s_and_b64 s[2:3], vcc, s[2:3]
	v_cndmask_b32_e64 v1, 0, 1, s[2:3]
	v_add_u32_e32 v5, v5, v1
; %bb.504:
	s_or_b64 exec, exec, s[50:51]
	s_mov_b64 s[2:3], -1
	s_mov_b64 s[50:51], 0
	s_branch .LBB316_527
.LBB316_505:
	s_mov_b64 s[2:3], 0
                                        ; implicit-def: $vgpr5
	s_mov_b64 s[50:51], s[46:47]
	s_cbranch_execnz .LBB316_611
.LBB316_506:
	s_andn2_b64 vcc, exec, s[2:3]
	s_cbranch_vccnz .LBB316_681
.LBB316_507:
	v_mov_b32_e32 v3, s13
	s_and_b32 s14, s73, 0xff
	v_add_co_u32_e32 v1, vcc, s12, v2
	s_cmp_lt_i32 s14, 11
	v_addc_co_u32_e32 v2, vcc, 0, v3, vcc
	s_cbranch_scc1 .LBB316_517
; %bb.508:
	s_and_b32 s58, 0xffff, s14
	s_cmp_gt_i32 s58, 25
	s_cbranch_scc0 .LBB316_519
; %bb.509:
	s_cmp_gt_i32 s58, 28
	s_cbranch_scc0 .LBB316_521
; %bb.510:
	;; [unrolled: 3-line block ×4, first 2 shown]
	s_cmp_eq_u32 s58, 46
	s_mov_b64 s[6:7], 0
	s_cbranch_scc0 .LBB316_685
; %bb.513:
	global_load_dword v4, v[1:2], off
	s_movk_i32 s2, 0xff
	v_mov_b32_e32 v3, 0xff
	s_waitcnt vmcnt(0)
	v_lshlrev_b32_e32 v6, 16, v4
	v_bfe_u32 v7, v6, 23, 8
	v_cmp_ne_u32_e32 vcc, s2, v7
	s_and_saveexec_b64 s[52:53], vcc
; %bb.514:
	v_bfe_u32 v3, v4, 7, 9
	v_and_b32_e32 v4, 64, v4
	s_mov_b32 s2, 0x3f0000
	v_cmp_ne_u32_e32 vcc, 0, v4
	v_and_or_b32 v4, v6, s2, v7
	v_cmp_ne_u32_e64 s[2:3], 0, v4
	s_and_b64 s[2:3], vcc, s[2:3]
	v_cndmask_b32_e64 v4, 0, 1, s[2:3]
	v_add_u32_e32 v3, v3, v4
; %bb.515:
	s_or_b64 exec, exec, s[52:53]
	s_mov_b64 s[2:3], -1
	s_mov_b64 s[52:53], 0
	s_branch .LBB316_686
.LBB316_516:
	s_mov_b64 s[6:7], -1
	s_mov_b64 s[2:3], 0
	s_mov_b64 s[50:51], s[46:47]
                                        ; implicit-def: $vgpr5
	s_branch .LBB316_565
.LBB316_517:
	s_mov_b64 s[6:7], -1
	s_mov_b64 s[2:3], 0
                                        ; implicit-def: $vgpr3
	s_mov_b64 s[52:53], s[44:45]
	s_branch .LBB316_769
.LBB316_518:
	s_mov_b64 s[6:7], -1
	s_mov_b64 s[2:3], 0
	s_mov_b64 s[50:51], s[46:47]
                                        ; implicit-def: $vgpr5
	s_branch .LBB316_540
.LBB316_519:
	s_mov_b64 s[6:7], -1
	s_mov_b64 s[2:3], 0
	s_mov_b64 s[52:53], s[44:45]
                                        ; implicit-def: $vgpr3
	s_branch .LBB316_723
.LBB316_520:
	s_mov_b64 s[6:7], -1
	s_mov_b64 s[2:3], 0
	s_mov_b64 s[50:51], s[46:47]
                                        ; implicit-def: $vgpr5
	s_branch .LBB316_533
.LBB316_521:
	s_mov_b64 s[6:7], -1
	s_mov_b64 s[2:3], 0
	s_mov_b64 s[52:53], s[44:45]
                                        ; implicit-def: $vgpr3
	s_branch .LBB316_698
.LBB316_522:
	s_mov_b64 s[6:7], -1
	s_mov_b64 s[2:3], 0
	s_mov_b64 s[50:51], s[46:47]
                                        ; implicit-def: $vgpr5
	s_branch .LBB316_527
.LBB316_523:
	s_mov_b64 s[6:7], -1
	s_mov_b64 s[2:3], 0
	s_mov_b64 s[52:53], s[44:45]
                                        ; implicit-def: $vgpr3
	s_branch .LBB316_691
.LBB316_524:
	s_andn2_saveexec_b64 s[54:55], s[54:55]
	s_cbranch_execz .LBB316_235
.LBB316_525:
	v_add_f32_e32 v2, 0x46000000, v3
	v_and_b32_e32 v2, 0xff, v2
	v_cmp_ne_u32_e32 vcc, 0, v2
	s_andn2_b64 s[50:51], s[50:51], exec
	s_and_b64 s[58:59], vcc, exec
	s_or_b64 s[50:51], s[50:51], s[58:59]
	s_or_b64 exec, exec, s[54:55]
	v_mov_b32_e32 v4, 0
	s_and_saveexec_b64 s[54:55], s[50:51]
	s_cbranch_execnz .LBB316_236
	s_branch .LBB316_237
.LBB316_526:
	s_mov_b64 s[50:51], -1
                                        ; implicit-def: $vgpr5
	s_mov_b64 s[2:3], 0
.LBB316_527:
	s_and_b64 vcc, exec, s[6:7]
	s_cbranch_vccz .LBB316_532
; %bb.528:
	s_cmp_eq_u32 s54, 44
	s_cbranch_scc0 .LBB316_531
; %bb.529:
	global_load_ubyte v5, v[3:4], off
	s_mov_b64 s[2:3], -1
	s_mov_b64 s[50:51], 0
	s_branch .LBB316_532
.LBB316_530:
	s_mov_b64 s[6:7], -1
	s_mov_b64 s[2:3], 0
	s_mov_b64 s[52:53], s[44:45]
                                        ; implicit-def: $vgpr3
	s_branch .LBB316_686
.LBB316_531:
	s_mov_b64 s[50:51], -1
                                        ; implicit-def: $vgpr5
.LBB316_532:
	s_mov_b64 s[6:7], 0
.LBB316_533:
	s_and_b64 vcc, exec, s[6:7]
	s_cbranch_vccz .LBB316_539
; %bb.534:
	s_cmp_eq_u32 s54, 29
	s_cbranch_scc0 .LBB316_538
; %bb.535:
	global_load_dwordx2 v[5:6], v[3:4], off
	s_movk_i32 s2, 0xff
	s_waitcnt vmcnt(0)
	v_ffbh_u32_e32 v1, v6
	v_min_u32_e32 v1, 32, v1
	v_lshlrev_b64 v[5:6], v1, v[5:6]
	v_sub_u32_e32 v1, 32, v1
	v_min_u32_e32 v5, 1, v5
	v_or_b32_e32 v5, v6, v5
	v_cvt_f32_u32_e32 v5, v5
	v_ldexp_f32 v6, v5, v1
	v_lshrrev_b32_e32 v1, 23, v6
	v_cmp_ne_u32_e32 vcc, s2, v1
	v_mov_b32_e32 v5, 0xff
	s_and_saveexec_b64 s[6:7], vcc
; %bb.536:
	v_and_b32_e32 v5, 0x400000, v6
	s_mov_b32 s2, 0x3fffff
	v_cmp_ne_u32_e32 vcc, 0, v5
	v_and_or_b32 v5, v6, s2, v1
	v_cmp_ne_u32_e64 s[2:3], 0, v5
	s_and_b64 s[2:3], vcc, s[2:3]
	v_cndmask_b32_e64 v5, 0, 1, s[2:3]
	v_add_u32_e32 v5, v1, v5
; %bb.537:
	s_or_b64 exec, exec, s[6:7]
	s_mov_b64 s[2:3], -1
	s_mov_b64 s[50:51], 0
	s_branch .LBB316_539
.LBB316_538:
	s_mov_b64 s[50:51], -1
                                        ; implicit-def: $vgpr5
.LBB316_539:
	s_mov_b64 s[6:7], 0
.LBB316_540:
	s_and_b64 vcc, exec, s[6:7]
	s_cbranch_vccz .LBB316_564
; %bb.541:
	s_cmp_lt_i32 s54, 27
	s_cbranch_scc1 .LBB316_546
; %bb.542:
	s_cmp_gt_i32 s54, 27
	s_cbranch_scc0 .LBB316_547
; %bb.543:
	global_load_dword v1, v[3:4], off
	s_movk_i32 s2, 0xff
	s_waitcnt vmcnt(1)
	v_mov_b32_e32 v5, 0xff
	s_waitcnt vmcnt(0)
	v_cvt_f32_u32_e32 v6, v1
	v_lshrrev_b32_e32 v1, 23, v6
	v_cmp_ne_u32_e32 vcc, s2, v1
	s_and_saveexec_b64 s[6:7], vcc
; %bb.544:
	v_and_b32_e32 v5, 0x400000, v6
	s_mov_b32 s2, 0x3fffff
	v_cmp_ne_u32_e32 vcc, 0, v5
	v_and_or_b32 v5, v6, s2, v1
	v_cmp_ne_u32_e64 s[2:3], 0, v5
	s_and_b64 s[2:3], vcc, s[2:3]
	v_cndmask_b32_e64 v5, 0, 1, s[2:3]
	v_add_u32_e32 v5, v1, v5
; %bb.545:
	s_or_b64 exec, exec, s[6:7]
	s_mov_b64 s[2:3], 0
	s_branch .LBB316_548
.LBB316_546:
	s_mov_b64 s[2:3], -1
                                        ; implicit-def: $vgpr5
	s_branch .LBB316_553
.LBB316_547:
	s_mov_b64 s[2:3], -1
                                        ; implicit-def: $vgpr5
.LBB316_548:
	s_andn2_b64 vcc, exec, s[2:3]
	s_cbranch_vccnz .LBB316_552
; %bb.549:
	global_load_ushort v1, v[3:4], off
	s_movk_i32 s2, 0xff
	s_waitcnt vmcnt(1)
	v_mov_b32_e32 v5, 0xff
	s_waitcnt vmcnt(0)
	v_cvt_f32_u32_e32 v6, v1
	v_lshrrev_b32_e32 v1, 23, v6
	v_cmp_ne_u32_e32 vcc, s2, v1
	s_and_saveexec_b64 s[6:7], vcc
; %bb.550:
	v_and_b32_e32 v5, 0x400000, v6
	s_mov_b32 s2, 0x3fffff
	v_cmp_ne_u32_e32 vcc, 0, v5
	v_and_or_b32 v5, v6, s2, v1
	v_cmp_ne_u32_e64 s[2:3], 0, v5
	s_and_b64 s[2:3], vcc, s[2:3]
	v_cndmask_b32_e64 v5, 0, 1, s[2:3]
	v_add_u32_e32 v5, v1, v5
; %bb.551:
	s_or_b64 exec, exec, s[6:7]
.LBB316_552:
	s_mov_b64 s[2:3], 0
.LBB316_553:
	s_andn2_b64 vcc, exec, s[2:3]
	s_cbranch_vccnz .LBB316_563
; %bb.554:
	global_load_ubyte v1, v[3:4], off
	s_movk_i32 s2, 0x7f
	s_waitcnt vmcnt(0)
	v_cmp_lt_i16_e32 vcc, s2, v1
	s_mov_b64 s[2:3], 0
	s_and_saveexec_b64 s[6:7], vcc
	s_xor_b64 s[6:7], exec, s[6:7]
	s_cbranch_execz .LBB316_579
; %bb.555:
	s_movk_i32 s2, 0x80
	v_cmp_eq_u16_e32 vcc, s2, v1
	s_mov_b64 s[2:3], -1
	s_and_saveexec_b64 s[52:53], vcc
; %bb.556:
	s_xor_b64 s[2:3], exec, -1
; %bb.557:
	s_or_b64 exec, exec, s[52:53]
	s_and_b64 s[2:3], s[2:3], exec
	s_or_saveexec_b64 s[6:7], s[6:7]
	v_mov_b32_e32 v6, 0x7f800001
	s_xor_b64 exec, exec, s[6:7]
	s_cbranch_execnz .LBB316_580
.LBB316_558:
	s_or_b64 exec, exec, s[6:7]
	s_and_saveexec_b64 s[6:7], s[2:3]
	s_cbranch_execz .LBB316_560
.LBB316_559:
	v_and_b32_e32 v1, 0xffff, v1
	v_and_b32_e32 v5, 7, v1
	v_ffbh_u32_e32 v7, v5
	v_min_u32_e32 v7, 32, v7
	v_subrev_u32_e32 v9, 28, v7
	v_bfe_u32 v6, v1, 3, 4
	v_lshlrev_b32_e32 v1, v9, v1
	v_and_b32_e32 v1, 7, v1
	v_cmp_eq_u32_e32 vcc, 0, v6
	v_sub_u32_e32 v7, 29, v7
	v_cndmask_b32_e32 v1, v5, v1, vcc
	v_cndmask_b32_e32 v6, v6, v7, vcc
	v_lshlrev_b32_e32 v1, 20, v1
	v_lshl_or_b32 v1, v6, 23, v1
	v_add_u32_e32 v6, 0x3b800000, v1
.LBB316_560:
	s_or_b64 exec, exec, s[6:7]
	v_lshrrev_b32_e32 v1, 23, v6
	s_movk_i32 s2, 0xff
	v_cmp_ne_u32_e32 vcc, s2, v1
	v_mov_b32_e32 v5, 0xff
	s_and_saveexec_b64 s[6:7], vcc
; %bb.561:
	v_and_b32_e32 v5, 0x400000, v6
	s_mov_b32 s2, 0x3fffff
	v_cmp_ne_u32_e32 vcc, 0, v5
	v_and_or_b32 v5, v6, s2, v1
	v_cmp_ne_u32_e64 s[2:3], 0, v5
	s_and_b64 s[2:3], vcc, s[2:3]
	v_cndmask_b32_e64 v5, 0, 1, s[2:3]
	v_add_u32_e32 v5, v1, v5
; %bb.562:
	s_or_b64 exec, exec, s[6:7]
.LBB316_563:
	s_mov_b64 s[2:3], -1
.LBB316_564:
	s_mov_b64 s[6:7], 0
.LBB316_565:
	s_and_b64 vcc, exec, s[6:7]
	s_cbranch_vccz .LBB316_610
; %bb.566:
	s_cmp_gt_i32 s54, 22
	s_cbranch_scc0 .LBB316_578
; %bb.567:
	s_cmp_lt_i32 s54, 24
	s_cbranch_scc1 .LBB316_581
; %bb.568:
	s_cmp_gt_i32 s54, 24
	s_cbranch_scc0 .LBB316_582
; %bb.569:
	global_load_ubyte v1, v[3:4], off
	s_movk_i32 s2, 0x7f
	s_waitcnt vmcnt(0)
	v_cmp_lt_i16_e32 vcc, s2, v1
	s_mov_b64 s[2:3], 0
	s_and_saveexec_b64 s[6:7], vcc
	s_xor_b64 s[6:7], exec, s[6:7]
	s_cbranch_execz .LBB316_600
; %bb.570:
	s_movk_i32 s2, 0x80
	v_cmp_eq_u16_e32 vcc, s2, v1
	s_mov_b64 s[2:3], -1
	s_and_saveexec_b64 s[52:53], vcc
; %bb.571:
	s_xor_b64 s[2:3], exec, -1
; %bb.572:
	s_or_b64 exec, exec, s[52:53]
	s_and_b64 s[2:3], s[2:3], exec
	s_or_saveexec_b64 s[6:7], s[6:7]
	v_mov_b32_e32 v6, 0x7f800001
	s_xor_b64 exec, exec, s[6:7]
	s_cbranch_execnz .LBB316_601
.LBB316_573:
	s_or_b64 exec, exec, s[6:7]
	s_and_saveexec_b64 s[6:7], s[2:3]
	s_cbranch_execz .LBB316_575
.LBB316_574:
	v_and_b32_e32 v1, 0xffff, v1
	v_and_b32_e32 v5, 3, v1
	v_ffbh_u32_e32 v7, v5
	v_min_u32_e32 v7, 32, v7
	v_subrev_u32_e32 v9, 29, v7
	v_bfe_u32 v6, v1, 2, 5
	v_lshlrev_b32_e32 v1, v9, v1
	v_and_b32_e32 v1, 3, v1
	v_cmp_eq_u32_e32 vcc, 0, v6
	v_sub_u32_e32 v7, 30, v7
	v_cndmask_b32_e32 v1, v5, v1, vcc
	v_cndmask_b32_e32 v6, v6, v7, vcc
	v_lshlrev_b32_e32 v1, 21, v1
	v_lshl_or_b32 v1, v6, 23, v1
	v_add_u32_e32 v6, 0x37800000, v1
.LBB316_575:
	s_or_b64 exec, exec, s[6:7]
	v_lshrrev_b32_e32 v1, 23, v6
	s_movk_i32 s2, 0xff
	v_cmp_ne_u32_e32 vcc, s2, v1
	v_mov_b32_e32 v5, 0xff
	s_and_saveexec_b64 s[6:7], vcc
; %bb.576:
	v_and_b32_e32 v5, 0x400000, v6
	s_mov_b32 s2, 0x3fffff
	v_cmp_ne_u32_e32 vcc, 0, v5
	v_and_or_b32 v5, v6, s2, v1
	v_cmp_ne_u32_e64 s[2:3], 0, v5
	s_and_b64 s[2:3], vcc, s[2:3]
	v_cndmask_b32_e64 v5, 0, 1, s[2:3]
	v_add_u32_e32 v5, v1, v5
; %bb.577:
	s_or_b64 exec, exec, s[6:7]
	s_mov_b64 s[2:3], 0
	s_branch .LBB316_583
.LBB316_578:
	s_mov_b64 s[6:7], -1
                                        ; implicit-def: $vgpr5
	s_branch .LBB316_593
.LBB316_579:
	s_or_saveexec_b64 s[6:7], s[6:7]
	v_mov_b32_e32 v6, 0x7f800001
	s_xor_b64 exec, exec, s[6:7]
	s_cbranch_execz .LBB316_558
.LBB316_580:
	v_cmp_ne_u16_e32 vcc, 0, v1
	s_andn2_b64 s[2:3], s[2:3], exec
	s_and_b64 s[52:53], vcc, exec
	v_and_b32_e32 v6, 0xffff, v1
	s_or_b64 s[2:3], s[2:3], s[52:53]
	s_or_b64 exec, exec, s[6:7]
	s_and_saveexec_b64 s[6:7], s[2:3]
	s_cbranch_execnz .LBB316_559
	s_branch .LBB316_560
.LBB316_581:
	s_mov_b64 s[2:3], -1
                                        ; implicit-def: $vgpr5
	s_branch .LBB316_588
.LBB316_582:
	s_mov_b64 s[2:3], -1
                                        ; implicit-def: $vgpr5
.LBB316_583:
	s_and_b64 vcc, exec, s[2:3]
	s_cbranch_vccz .LBB316_587
; %bb.584:
	global_load_ubyte v1, v[3:4], off
	s_mov_b32 s2, 0x7f800000
	s_movk_i32 s3, 0xff
	s_waitcnt vmcnt(0)
	v_lshlrev_b32_e32 v1, 24, v1
	v_and_b32_e32 v1, 0x7f000000, v1
	v_ffbh_u32_e32 v5, v1
	v_min_u32_e32 v5, 32, v5
	v_sub_u32_e64 v5, v5, 4 clamp
	v_lshlrev_b32_e32 v7, v5, v1
	v_lshlrev_b32_e32 v5, 23, v5
	v_lshrrev_b32_e32 v7, 4, v7
	v_add_u32_e32 v6, 0x1000000, v1
	v_sub_u32_e32 v5, v7, v5
	v_ashrrev_i32_e32 v6, 8, v6
	v_add_u32_e32 v5, 0x3c000000, v5
	v_and_or_b32 v5, v6, s2, v5
	v_cmp_ne_u32_e32 vcc, 0, v1
	v_cndmask_b32_e32 v6, 0, v5, vcc
	v_lshrrev_b32_e32 v1, 23, v6
	v_cmp_ne_u32_e32 vcc, s3, v1
	v_mov_b32_e32 v5, 0xff
	s_and_saveexec_b64 s[6:7], vcc
; %bb.585:
	v_and_b32_e32 v5, 0x400000, v6
	s_mov_b32 s2, 0x3fffff
	v_cmp_ne_u32_e32 vcc, 0, v5
	v_and_or_b32 v5, v6, s2, v1
	v_cmp_ne_u32_e64 s[2:3], 0, v5
	s_and_b64 s[2:3], vcc, s[2:3]
	v_cndmask_b32_e64 v5, 0, 1, s[2:3]
	v_add_u32_e32 v5, v1, v5
; %bb.586:
	s_or_b64 exec, exec, s[6:7]
.LBB316_587:
	s_mov_b64 s[2:3], 0
.LBB316_588:
	s_andn2_b64 vcc, exec, s[2:3]
	s_cbranch_vccnz .LBB316_592
; %bb.589:
	global_load_ubyte v1, v[3:4], off
	s_movk_i32 s2, 0x7f00
	s_brev_b32 s3, 16
	s_movk_i32 s6, 0xff
	s_waitcnt vmcnt(0)
	v_lshlrev_b32_e32 v5, 8, v1
	v_lshlrev_b32_e32 v1, 25, v1
	v_lshrrev_b32_e32 v6, 4, v1
	v_and_or_b32 v5, v5, s2, 0.5
	v_or_b32_e32 v6, 0x70000000, v6
	v_add_f32_e32 v5, -0.5, v5
	v_mul_f32_e32 v6, 0x7800000, v6
	v_cmp_gt_u32_e32 vcc, s3, v1
	v_cndmask_b32_e32 v1, v6, v5, vcc
	v_bfe_u32 v6, v1, 23, 8
	v_cmp_ne_u32_e32 vcc, s6, v6
	v_mov_b32_e32 v5, 0xff
	s_and_saveexec_b64 s[6:7], vcc
; %bb.590:
	s_mov_b32 s2, 0x3fffff
	v_lshrrev_b32_e32 v5, 23, v1
	v_and_b32_e32 v7, 0x400000, v1
	v_and_or_b32 v1, v1, s2, v6
	v_cmp_ne_u32_e32 vcc, 0, v7
	v_cmp_ne_u32_e64 s[2:3], 0, v1
	s_and_b64 s[2:3], vcc, s[2:3]
	v_cndmask_b32_e64 v1, 0, 1, s[2:3]
	v_add_u32_e32 v5, v5, v1
; %bb.591:
	s_or_b64 exec, exec, s[6:7]
.LBB316_592:
	s_mov_b64 s[6:7], 0
	s_mov_b64 s[2:3], -1
.LBB316_593:
	s_andn2_b64 vcc, exec, s[6:7]
	s_cbranch_vccnz .LBB316_610
; %bb.594:
	s_cmp_gt_i32 s54, 14
	s_cbranch_scc0 .LBB316_599
; %bb.595:
	s_cmp_eq_u32 s54, 15
	s_cbranch_scc0 .LBB316_602
; %bb.596:
	global_load_ushort v1, v[3:4], off
	s_movk_i32 s2, 0xff
	s_waitcnt vmcnt(1)
	v_mov_b32_e32 v5, 0xff
	s_waitcnt vmcnt(0)
	v_bfe_u32 v6, v1, 7, 8
	v_cmp_ne_u32_e32 vcc, s2, v6
	s_and_saveexec_b64 s[6:7], vcc
	s_cbranch_execz .LBB316_598
; %bb.597:
	v_lshrrev_b32_e32 v5, 7, v1
	v_lshlrev_b32_e32 v7, 16, v1
	v_and_b32_e32 v1, 64, v1
	s_mov_b32 s2, 0x3f0000
	v_cmp_ne_u32_e32 vcc, 0, v1
	v_and_or_b32 v1, v7, s2, v6
	v_cmp_ne_u32_e64 s[2:3], 0, v1
	s_and_b64 s[2:3], vcc, s[2:3]
	v_cndmask_b32_e64 v1, 0, 1, s[2:3]
	v_add_u32_e32 v5, v5, v1
.LBB316_598:
	s_or_b64 exec, exec, s[6:7]
	s_mov_b64 s[2:3], -1
	s_mov_b64 s[50:51], 0
	s_branch .LBB316_603
.LBB316_599:
	s_mov_b64 s[6:7], -1
                                        ; implicit-def: $vgpr5
	s_branch .LBB316_604
.LBB316_600:
	s_or_saveexec_b64 s[6:7], s[6:7]
	v_mov_b32_e32 v6, 0x7f800001
	s_xor_b64 exec, exec, s[6:7]
	s_cbranch_execz .LBB316_573
.LBB316_601:
	v_cmp_ne_u16_e32 vcc, 0, v1
	s_andn2_b64 s[2:3], s[2:3], exec
	s_and_b64 s[52:53], vcc, exec
	v_and_b32_e32 v6, 0xffff, v1
	s_or_b64 s[2:3], s[2:3], s[52:53]
	s_or_b64 exec, exec, s[6:7]
	s_and_saveexec_b64 s[6:7], s[2:3]
	s_cbranch_execnz .LBB316_574
	s_branch .LBB316_575
.LBB316_602:
	s_mov_b64 s[50:51], -1
                                        ; implicit-def: $vgpr5
.LBB316_603:
	s_mov_b64 s[6:7], 0
.LBB316_604:
	s_and_b64 vcc, exec, s[6:7]
	s_cbranch_vccz .LBB316_610
; %bb.605:
	s_cmp_eq_u32 s54, 11
	s_cbranch_scc0 .LBB316_609
; %bb.606:
	global_load_ubyte v1, v[3:4], off
	s_movk_i32 s2, 0xff
	s_waitcnt vmcnt(1)
	v_mov_b32_e32 v5, 0xff
	s_waitcnt vmcnt(0)
	v_cmp_ne_u16_e32 vcc, 0, v1
	v_cndmask_b32_e64 v6, 0, 1.0, vcc
	v_lshrrev_b32_e32 v1, 23, v6
	v_cmp_ne_u32_e32 vcc, s2, v1
	s_and_saveexec_b64 s[6:7], vcc
; %bb.607:
	v_and_b32_e32 v5, 0x400000, v6
	s_mov_b32 s2, 0x3fffff
	v_cmp_ne_u32_e32 vcc, 0, v5
	v_and_or_b32 v5, v6, s2, v1
	v_cmp_ne_u32_e64 s[2:3], 0, v5
	s_and_b64 s[2:3], vcc, s[2:3]
	v_cndmask_b32_e64 v5, 0, 1, s[2:3]
	v_add_u32_e32 v5, v1, v5
; %bb.608:
	s_or_b64 exec, exec, s[6:7]
	s_mov_b64 s[2:3], -1
	s_mov_b64 s[50:51], 0
	s_branch .LBB316_610
.LBB316_609:
	s_mov_b64 s[50:51], -1
                                        ; implicit-def: $vgpr5
.LBB316_610:
	s_branch .LBB316_506
.LBB316_611:
	s_and_b32 s14, 0xffff, s14
	s_cmp_lt_i32 s14, 5
	s_cbranch_scc1 .LBB316_618
; %bb.612:
	s_cmp_lt_i32 s14, 8
	s_cbranch_scc1 .LBB316_619
; %bb.613:
	;; [unrolled: 3-line block ×3, first 2 shown]
	s_cmp_gt_i32 s14, 9
	s_cbranch_scc0 .LBB316_621
; %bb.615:
	global_load_dwordx2 v[5:6], v[3:4], off
	s_movk_i32 s2, 0xff
	s_waitcnt vmcnt(0)
	v_cvt_f32_f64_e32 v1, v[5:6]
	v_mov_b32_e32 v5, 0xff
	v_bfe_u32 v6, v1, 23, 8
	v_cmp_ne_u32_e32 vcc, s2, v6
	s_and_saveexec_b64 s[6:7], vcc
; %bb.616:
	s_mov_b32 s2, 0x3fffff
	v_lshrrev_b32_e32 v5, 23, v1
	v_and_b32_e32 v7, 0x400000, v1
	v_and_or_b32 v1, v1, s2, v6
	v_cmp_ne_u32_e32 vcc, 0, v7
	v_cmp_ne_u32_e64 s[2:3], 0, v1
	s_and_b64 s[2:3], vcc, s[2:3]
	v_cndmask_b32_e64 v1, 0, 1, s[2:3]
	v_add_u32_e32 v5, v5, v1
; %bb.617:
	s_or_b64 exec, exec, s[6:7]
	s_mov_b64 s[2:3], 0
	s_branch .LBB316_622
.LBB316_618:
	s_mov_b64 s[2:3], -1
                                        ; implicit-def: $vgpr5
	s_branch .LBB316_650
.LBB316_619:
	s_mov_b64 s[2:3], -1
                                        ; implicit-def: $vgpr5
	s_branch .LBB316_632
.LBB316_620:
	s_mov_b64 s[2:3], -1
                                        ; implicit-def: $vgpr5
	s_branch .LBB316_627
.LBB316_621:
	s_mov_b64 s[2:3], -1
                                        ; implicit-def: $vgpr5
.LBB316_622:
	s_andn2_b64 vcc, exec, s[2:3]
	s_cbranch_vccnz .LBB316_626
; %bb.623:
	global_load_dword v1, v[3:4], off
	s_movk_i32 s2, 0xff
	s_waitcnt vmcnt(1)
	v_mov_b32_e32 v5, 0xff
	s_waitcnt vmcnt(0)
	v_bfe_u32 v6, v1, 23, 8
	v_cmp_ne_u32_e32 vcc, s2, v6
	s_and_saveexec_b64 s[6:7], vcc
; %bb.624:
	s_mov_b32 s2, 0x3fffff
	v_lshrrev_b32_e32 v5, 23, v1
	v_and_b32_e32 v7, 0x400000, v1
	v_and_or_b32 v1, v1, s2, v6
	v_cmp_ne_u32_e32 vcc, 0, v7
	v_cmp_ne_u32_e64 s[2:3], 0, v1
	s_and_b64 s[2:3], vcc, s[2:3]
	v_cndmask_b32_e64 v1, 0, 1, s[2:3]
	v_add_u32_e32 v5, v5, v1
; %bb.625:
	s_or_b64 exec, exec, s[6:7]
.LBB316_626:
	s_mov_b64 s[2:3], 0
.LBB316_627:
	s_andn2_b64 vcc, exec, s[2:3]
	s_cbranch_vccnz .LBB316_631
; %bb.628:
	global_load_dword v1, v[3:4], off
	s_movk_i32 s2, 0xff
	s_waitcnt vmcnt(1)
	v_mov_b32_e32 v5, 0xff
	s_waitcnt vmcnt(0)
	v_cvt_f32_f16_e32 v1, v1
	v_bfe_u32 v6, v1, 23, 8
	v_cmp_ne_u32_e32 vcc, s2, v6
	s_and_saveexec_b64 s[6:7], vcc
; %bb.629:
	s_mov_b32 s2, 0x3fffff
	v_lshrrev_b32_e32 v5, 23, v1
	v_and_b32_e32 v7, 0x400000, v1
	v_and_or_b32 v1, v1, s2, v6
	v_cmp_ne_u32_e32 vcc, 0, v7
	v_cmp_ne_u32_e64 s[2:3], 0, v1
	s_and_b64 s[2:3], vcc, s[2:3]
	v_cndmask_b32_e64 v1, 0, 1, s[2:3]
	v_add_u32_e32 v5, v5, v1
; %bb.630:
	s_or_b64 exec, exec, s[6:7]
.LBB316_631:
	s_mov_b64 s[2:3], 0
.LBB316_632:
	s_andn2_b64 vcc, exec, s[2:3]
	s_cbranch_vccnz .LBB316_649
; %bb.633:
	s_cmp_lt_i32 s14, 6
	s_cbranch_scc1 .LBB316_638
; %bb.634:
	s_cmp_gt_i32 s14, 6
	s_cbranch_scc0 .LBB316_639
; %bb.635:
	global_load_dwordx2 v[5:6], v[3:4], off
	s_movk_i32 s2, 0xff
	s_waitcnt vmcnt(0)
	v_cvt_f32_f64_e32 v1, v[5:6]
	v_mov_b32_e32 v5, 0xff
	v_bfe_u32 v6, v1, 23, 8
	v_cmp_ne_u32_e32 vcc, s2, v6
	s_and_saveexec_b64 s[6:7], vcc
; %bb.636:
	s_mov_b32 s2, 0x3fffff
	v_lshrrev_b32_e32 v5, 23, v1
	v_and_b32_e32 v7, 0x400000, v1
	v_and_or_b32 v1, v1, s2, v6
	v_cmp_ne_u32_e32 vcc, 0, v7
	v_cmp_ne_u32_e64 s[2:3], 0, v1
	s_and_b64 s[2:3], vcc, s[2:3]
	v_cndmask_b32_e64 v1, 0, 1, s[2:3]
	v_add_u32_e32 v5, v5, v1
; %bb.637:
	s_or_b64 exec, exec, s[6:7]
	s_mov_b64 s[2:3], 0
	s_branch .LBB316_640
.LBB316_638:
	s_mov_b64 s[2:3], -1
                                        ; implicit-def: $vgpr5
	s_branch .LBB316_645
.LBB316_639:
	s_mov_b64 s[2:3], -1
                                        ; implicit-def: $vgpr5
.LBB316_640:
	s_andn2_b64 vcc, exec, s[2:3]
	s_cbranch_vccnz .LBB316_644
; %bb.641:
	global_load_dword v1, v[3:4], off
	s_movk_i32 s2, 0xff
	s_waitcnt vmcnt(1)
	v_mov_b32_e32 v5, 0xff
	s_waitcnt vmcnt(0)
	v_bfe_u32 v6, v1, 23, 8
	v_cmp_ne_u32_e32 vcc, s2, v6
	s_and_saveexec_b64 s[6:7], vcc
; %bb.642:
	s_mov_b32 s2, 0x3fffff
	v_lshrrev_b32_e32 v5, 23, v1
	v_and_b32_e32 v7, 0x400000, v1
	v_and_or_b32 v1, v1, s2, v6
	v_cmp_ne_u32_e32 vcc, 0, v7
	v_cmp_ne_u32_e64 s[2:3], 0, v1
	s_and_b64 s[2:3], vcc, s[2:3]
	v_cndmask_b32_e64 v1, 0, 1, s[2:3]
	v_add_u32_e32 v5, v5, v1
; %bb.643:
	s_or_b64 exec, exec, s[6:7]
.LBB316_644:
	s_mov_b64 s[2:3], 0
.LBB316_645:
	s_andn2_b64 vcc, exec, s[2:3]
	s_cbranch_vccnz .LBB316_649
; %bb.646:
	global_load_ushort v1, v[3:4], off
	s_movk_i32 s2, 0xff
	s_waitcnt vmcnt(1)
	v_mov_b32_e32 v5, 0xff
	s_waitcnt vmcnt(0)
	v_cvt_f32_f16_e32 v1, v1
	v_bfe_u32 v6, v1, 23, 8
	v_cmp_ne_u32_e32 vcc, s2, v6
	s_and_saveexec_b64 s[6:7], vcc
; %bb.647:
	s_mov_b32 s2, 0x3fffff
	v_lshrrev_b32_e32 v5, 23, v1
	v_and_b32_e32 v7, 0x400000, v1
	v_and_or_b32 v1, v1, s2, v6
	v_cmp_ne_u32_e32 vcc, 0, v7
	v_cmp_ne_u32_e64 s[2:3], 0, v1
	s_and_b64 s[2:3], vcc, s[2:3]
	v_cndmask_b32_e64 v1, 0, 1, s[2:3]
	v_add_u32_e32 v5, v5, v1
; %bb.648:
	s_or_b64 exec, exec, s[6:7]
.LBB316_649:
	s_mov_b64 s[2:3], 0
.LBB316_650:
	s_andn2_b64 vcc, exec, s[2:3]
	s_cbranch_vccnz .LBB316_680
; %bb.651:
	s_cmp_lt_i32 s14, 2
	s_cbranch_scc1 .LBB316_657
; %bb.652:
	s_cmp_lt_i32 s14, 3
	s_cbranch_scc1 .LBB316_658
; %bb.653:
	s_cmp_gt_i32 s14, 3
	s_cbranch_scc0 .LBB316_659
; %bb.654:
	global_load_dwordx2 v[5:6], v[3:4], off
	s_movk_i32 s2, 0xff
	s_waitcnt vmcnt(0)
	v_xor_b32_e32 v7, v5, v6
	v_ffbh_i32_e32 v1, v6
	v_ashrrev_i32_e32 v7, 31, v7
	v_add_u32_e32 v1, -1, v1
	v_add_u32_e32 v7, 32, v7
	v_min_u32_e32 v1, v1, v7
	v_lshlrev_b64 v[5:6], v1, v[5:6]
	v_sub_u32_e32 v1, 32, v1
	v_min_u32_e32 v5, 1, v5
	v_or_b32_e32 v5, v6, v5
	v_cvt_f32_i32_e32 v5, v5
	v_ldexp_f32 v1, v5, v1
	v_bfe_u32 v6, v1, 23, 8
	v_cmp_ne_u32_e32 vcc, s2, v6
	v_mov_b32_e32 v5, 0xff
	s_and_saveexec_b64 s[6:7], vcc
; %bb.655:
	s_mov_b32 s2, 0x3fffff
	v_lshrrev_b32_e32 v5, 23, v1
	v_and_b32_e32 v7, 0x400000, v1
	v_and_or_b32 v1, v1, s2, v6
	v_cmp_ne_u32_e32 vcc, 0, v7
	v_cmp_ne_u32_e64 s[2:3], 0, v1
	s_and_b64 s[2:3], vcc, s[2:3]
	v_cndmask_b32_e64 v1, 0, 1, s[2:3]
	v_add_u32_e32 v5, v5, v1
; %bb.656:
	s_or_b64 exec, exec, s[6:7]
	s_mov_b64 s[2:3], 0
	s_branch .LBB316_660
.LBB316_657:
	s_mov_b64 s[2:3], -1
                                        ; implicit-def: $vgpr5
	s_branch .LBB316_670
.LBB316_658:
	s_mov_b64 s[2:3], -1
                                        ; implicit-def: $vgpr5
	s_branch .LBB316_665
.LBB316_659:
	s_mov_b64 s[2:3], -1
                                        ; implicit-def: $vgpr5
.LBB316_660:
	s_andn2_b64 vcc, exec, s[2:3]
	s_cbranch_vccnz .LBB316_664
; %bb.661:
	global_load_dword v1, v[3:4], off
	s_movk_i32 s2, 0xff
	s_waitcnt vmcnt(1)
	v_mov_b32_e32 v5, 0xff
	s_waitcnt vmcnt(0)
	v_cvt_f32_i32_e32 v1, v1
	v_bfe_u32 v6, v1, 23, 8
	v_cmp_ne_u32_e32 vcc, s2, v6
	s_and_saveexec_b64 s[6:7], vcc
; %bb.662:
	s_mov_b32 s2, 0x3fffff
	v_lshrrev_b32_e32 v5, 23, v1
	v_and_b32_e32 v7, 0x400000, v1
	v_and_or_b32 v1, v1, s2, v6
	v_cmp_ne_u32_e32 vcc, 0, v7
	v_cmp_ne_u32_e64 s[2:3], 0, v1
	s_and_b64 s[2:3], vcc, s[2:3]
	v_cndmask_b32_e64 v1, 0, 1, s[2:3]
	v_add_u32_e32 v5, v5, v1
; %bb.663:
	s_or_b64 exec, exec, s[6:7]
.LBB316_664:
	s_mov_b64 s[2:3], 0
.LBB316_665:
	s_andn2_b64 vcc, exec, s[2:3]
	s_cbranch_vccnz .LBB316_669
; %bb.666:
	global_load_sshort v1, v[3:4], off
	s_movk_i32 s2, 0xff
	s_waitcnt vmcnt(1)
	v_mov_b32_e32 v5, 0xff
	s_waitcnt vmcnt(0)
	v_cvt_f32_i32_e32 v1, v1
	v_bfe_u32 v6, v1, 23, 8
	v_cmp_ne_u32_e32 vcc, s2, v6
	s_and_saveexec_b64 s[6:7], vcc
; %bb.667:
	s_mov_b32 s2, 0x3fffff
	v_lshrrev_b32_e32 v5, 23, v1
	v_and_b32_e32 v7, 0x400000, v1
	v_and_or_b32 v1, v1, s2, v6
	v_cmp_ne_u32_e32 vcc, 0, v7
	v_cmp_ne_u32_e64 s[2:3], 0, v1
	s_and_b64 s[2:3], vcc, s[2:3]
	v_cndmask_b32_e64 v1, 0, 1, s[2:3]
	v_add_u32_e32 v5, v5, v1
; %bb.668:
	s_or_b64 exec, exec, s[6:7]
.LBB316_669:
	s_mov_b64 s[2:3], 0
.LBB316_670:
	s_andn2_b64 vcc, exec, s[2:3]
	s_cbranch_vccnz .LBB316_680
; %bb.671:
	s_cmp_gt_i32 s14, 0
	s_cbranch_scc0 .LBB316_675
; %bb.672:
	global_load_sbyte v1, v[3:4], off
	s_movk_i32 s2, 0xff
	s_waitcnt vmcnt(1)
	v_mov_b32_e32 v5, 0xff
	s_waitcnt vmcnt(0)
	v_cvt_f32_i32_e32 v1, v1
	v_bfe_u32 v6, v1, 23, 8
	v_cmp_ne_u32_e32 vcc, s2, v6
	s_and_saveexec_b64 s[6:7], vcc
; %bb.673:
	s_mov_b32 s2, 0x3fffff
	v_lshrrev_b32_e32 v5, 23, v1
	v_and_b32_e32 v7, 0x400000, v1
	v_and_or_b32 v1, v1, s2, v6
	v_cmp_ne_u32_e32 vcc, 0, v7
	v_cmp_ne_u32_e64 s[2:3], 0, v1
	s_and_b64 s[2:3], vcc, s[2:3]
	v_cndmask_b32_e64 v1, 0, 1, s[2:3]
	v_add_u32_e32 v5, v5, v1
; %bb.674:
	s_or_b64 exec, exec, s[6:7]
	s_mov_b64 s[2:3], 0
	s_branch .LBB316_676
.LBB316_675:
	s_mov_b64 s[2:3], -1
                                        ; implicit-def: $vgpr5
.LBB316_676:
	s_andn2_b64 vcc, exec, s[2:3]
	s_cbranch_vccnz .LBB316_680
; %bb.677:
	global_load_ubyte v1, v[3:4], off
	s_movk_i32 s2, 0xff
	s_waitcnt vmcnt(1)
	v_mov_b32_e32 v5, 0xff
	s_waitcnt vmcnt(0)
	v_cvt_f32_ubyte0_e32 v3, v1
	v_lshrrev_b32_e32 v1, 23, v3
	v_cmp_ne_u32_e32 vcc, s2, v1
	s_and_saveexec_b64 s[6:7], vcc
; %bb.678:
	s_mov_b32 s2, 0x3fffff
	v_and_b32_e32 v4, 0x400000, v3
	v_and_or_b32 v3, v3, s2, v1
	v_cmp_ne_u32_e32 vcc, 0, v4
	v_cmp_ne_u32_e64 s[2:3], 0, v3
	s_and_b64 s[2:3], vcc, s[2:3]
	v_cndmask_b32_e64 v3, 0, 1, s[2:3]
	v_add_u32_e32 v5, v1, v3
; %bb.679:
	s_or_b64 exec, exec, s[6:7]
.LBB316_680:
	s_branch .LBB316_507
.LBB316_681:
	s_mov_b64 s[2:3], 0
	s_mov_b64 s[6:7], s[42:43]
	;; [unrolled: 1-line block ×3, first 2 shown]
.LBB316_682:
                                        ; implicit-def: $vgpr8
	s_branch .LBB316_964
.LBB316_683:
	s_andn2_saveexec_b64 s[54:55], s[54:55]
	s_cbranch_execz .LBB316_248
.LBB316_684:
	v_add_f32_e32 v2, 0x42800000, v3
	v_and_b32_e32 v2, 0xff, v2
	v_cmp_ne_u32_e32 vcc, 0, v2
	s_andn2_b64 s[50:51], s[50:51], exec
	s_and_b64 s[58:59], vcc, exec
	s_or_b64 s[50:51], s[50:51], s[58:59]
	s_or_b64 exec, exec, s[54:55]
	v_mov_b32_e32 v4, 0
	s_and_saveexec_b64 s[54:55], s[50:51]
	s_cbranch_execnz .LBB316_249
	s_branch .LBB316_250
.LBB316_685:
	s_mov_b64 s[52:53], -1
                                        ; implicit-def: $vgpr3
	s_mov_b64 s[2:3], 0
.LBB316_686:
	s_and_b64 vcc, exec, s[6:7]
	s_cbranch_vccz .LBB316_690
; %bb.687:
	s_cmp_eq_u32 s58, 44
	s_cbranch_scc0 .LBB316_689
; %bb.688:
	global_load_ubyte v3, v[1:2], off
	s_mov_b64 s[2:3], -1
	s_mov_b64 s[52:53], 0
	s_branch .LBB316_690
.LBB316_689:
	s_mov_b64 s[52:53], -1
                                        ; implicit-def: $vgpr3
.LBB316_690:
	s_mov_b64 s[6:7], 0
.LBB316_691:
	s_and_b64 vcc, exec, s[6:7]
	s_cbranch_vccz .LBB316_697
; %bb.692:
	s_cmp_eq_u32 s58, 29
	s_cbranch_scc0 .LBB316_696
; %bb.693:
	global_load_dwordx2 v[3:4], v[1:2], off
	s_movk_i32 s2, 0xff
	s_waitcnt vmcnt(0)
	v_ffbh_u32_e32 v6, v4
	v_min_u32_e32 v6, 32, v6
	v_lshlrev_b64 v[3:4], v6, v[3:4]
	v_min_u32_e32 v3, 1, v3
	v_or_b32_e32 v3, v4, v3
	v_cvt_f32_u32_e32 v3, v3
	v_sub_u32_e32 v4, 32, v6
	v_ldexp_f32 v6, v3, v4
	v_lshrrev_b32_e32 v4, 23, v6
	v_cmp_ne_u32_e32 vcc, s2, v4
	v_mov_b32_e32 v3, 0xff
	s_and_saveexec_b64 s[6:7], vcc
; %bb.694:
	v_and_b32_e32 v3, 0x400000, v6
	s_mov_b32 s2, 0x3fffff
	v_cmp_ne_u32_e32 vcc, 0, v3
	v_and_or_b32 v3, v6, s2, v4
	v_cmp_ne_u32_e64 s[2:3], 0, v3
	s_and_b64 s[2:3], vcc, s[2:3]
	v_cndmask_b32_e64 v3, 0, 1, s[2:3]
	v_add_u32_e32 v3, v4, v3
; %bb.695:
	s_or_b64 exec, exec, s[6:7]
	s_mov_b64 s[2:3], -1
	s_mov_b64 s[52:53], 0
	s_branch .LBB316_697
.LBB316_696:
	s_mov_b64 s[52:53], -1
                                        ; implicit-def: $vgpr3
.LBB316_697:
	s_mov_b64 s[6:7], 0
.LBB316_698:
	s_and_b64 vcc, exec, s[6:7]
	s_cbranch_vccz .LBB316_722
; %bb.699:
	s_cmp_lt_i32 s58, 27
	s_cbranch_scc1 .LBB316_704
; %bb.700:
	s_cmp_gt_i32 s58, 27
	s_cbranch_scc0 .LBB316_705
; %bb.701:
	global_load_dword v3, v[1:2], off
	s_movk_i32 s2, 0xff
	s_waitcnt vmcnt(0)
	v_cvt_f32_u32_e32 v6, v3
	v_mov_b32_e32 v3, 0xff
	v_lshrrev_b32_e32 v4, 23, v6
	v_cmp_ne_u32_e32 vcc, s2, v4
	s_and_saveexec_b64 s[6:7], vcc
; %bb.702:
	v_and_b32_e32 v3, 0x400000, v6
	s_mov_b32 s2, 0x3fffff
	v_cmp_ne_u32_e32 vcc, 0, v3
	v_and_or_b32 v3, v6, s2, v4
	v_cmp_ne_u32_e64 s[2:3], 0, v3
	s_and_b64 s[2:3], vcc, s[2:3]
	v_cndmask_b32_e64 v3, 0, 1, s[2:3]
	v_add_u32_e32 v3, v4, v3
; %bb.703:
	s_or_b64 exec, exec, s[6:7]
	s_mov_b64 s[2:3], 0
	s_branch .LBB316_706
.LBB316_704:
	s_mov_b64 s[2:3], -1
                                        ; implicit-def: $vgpr3
	s_branch .LBB316_711
.LBB316_705:
	s_mov_b64 s[2:3], -1
                                        ; implicit-def: $vgpr3
.LBB316_706:
	s_andn2_b64 vcc, exec, s[2:3]
	s_cbranch_vccnz .LBB316_710
; %bb.707:
	global_load_ushort v3, v[1:2], off
	s_movk_i32 s2, 0xff
	s_waitcnt vmcnt(0)
	v_cvt_f32_u32_e32 v6, v3
	v_mov_b32_e32 v3, 0xff
	v_lshrrev_b32_e32 v4, 23, v6
	v_cmp_ne_u32_e32 vcc, s2, v4
	s_and_saveexec_b64 s[6:7], vcc
; %bb.708:
	v_and_b32_e32 v3, 0x400000, v6
	s_mov_b32 s2, 0x3fffff
	v_cmp_ne_u32_e32 vcc, 0, v3
	v_and_or_b32 v3, v6, s2, v4
	v_cmp_ne_u32_e64 s[2:3], 0, v3
	s_and_b64 s[2:3], vcc, s[2:3]
	v_cndmask_b32_e64 v3, 0, 1, s[2:3]
	v_add_u32_e32 v3, v4, v3
; %bb.709:
	s_or_b64 exec, exec, s[6:7]
.LBB316_710:
	s_mov_b64 s[2:3], 0
.LBB316_711:
	s_andn2_b64 vcc, exec, s[2:3]
	s_cbranch_vccnz .LBB316_721
; %bb.712:
	global_load_ubyte v3, v[1:2], off
	s_movk_i32 s2, 0x7f
	s_waitcnt vmcnt(0)
	v_cmp_lt_i16_e32 vcc, s2, v3
	s_mov_b64 s[2:3], 0
	s_and_saveexec_b64 s[6:7], vcc
	s_xor_b64 s[6:7], exec, s[6:7]
	s_cbranch_execz .LBB316_737
; %bb.713:
	s_movk_i32 s2, 0x80
	v_cmp_eq_u16_e32 vcc, s2, v3
	s_mov_b64 s[2:3], -1
	s_and_saveexec_b64 s[54:55], vcc
; %bb.714:
	s_xor_b64 s[2:3], exec, -1
; %bb.715:
	s_or_b64 exec, exec, s[54:55]
	s_and_b64 s[2:3], s[2:3], exec
	s_or_saveexec_b64 s[6:7], s[6:7]
	v_mov_b32_e32 v4, 0x7f800001
	s_xor_b64 exec, exec, s[6:7]
	s_cbranch_execnz .LBB316_738
.LBB316_716:
	s_or_b64 exec, exec, s[6:7]
	s_and_saveexec_b64 s[6:7], s[2:3]
	s_cbranch_execz .LBB316_718
.LBB316_717:
	v_and_b32_e32 v3, 0xffff, v3
	v_and_b32_e32 v4, 7, v3
	v_ffbh_u32_e32 v7, v4
	v_min_u32_e32 v7, 32, v7
	v_subrev_u32_e32 v9, 28, v7
	v_bfe_u32 v6, v3, 3, 4
	v_lshlrev_b32_e32 v3, v9, v3
	v_and_b32_e32 v3, 7, v3
	v_cmp_eq_u32_e32 vcc, 0, v6
	v_sub_u32_e32 v7, 29, v7
	v_cndmask_b32_e32 v3, v4, v3, vcc
	v_cndmask_b32_e32 v6, v6, v7, vcc
	v_lshlrev_b32_e32 v3, 20, v3
	v_lshl_or_b32 v3, v6, 23, v3
	v_add_u32_e32 v4, 0x3b800000, v3
.LBB316_718:
	s_or_b64 exec, exec, s[6:7]
	v_lshrrev_b32_e32 v6, 23, v4
	s_movk_i32 s2, 0xff
	v_cmp_ne_u32_e32 vcc, s2, v6
	v_mov_b32_e32 v3, 0xff
	s_and_saveexec_b64 s[6:7], vcc
; %bb.719:
	v_and_b32_e32 v3, 0x400000, v4
	s_mov_b32 s2, 0x3fffff
	v_cmp_ne_u32_e32 vcc, 0, v3
	v_and_or_b32 v3, v4, s2, v6
	v_cmp_ne_u32_e64 s[2:3], 0, v3
	s_and_b64 s[2:3], vcc, s[2:3]
	v_cndmask_b32_e64 v3, 0, 1, s[2:3]
	v_add_u32_e32 v3, v6, v3
; %bb.720:
	s_or_b64 exec, exec, s[6:7]
.LBB316_721:
	s_mov_b64 s[2:3], -1
.LBB316_722:
	s_mov_b64 s[6:7], 0
.LBB316_723:
	s_and_b64 vcc, exec, s[6:7]
	s_cbranch_vccz .LBB316_768
; %bb.724:
	s_cmp_gt_i32 s58, 22
	s_cbranch_scc0 .LBB316_736
; %bb.725:
	s_cmp_lt_i32 s58, 24
	s_cbranch_scc1 .LBB316_739
; %bb.726:
	s_cmp_gt_i32 s58, 24
	s_cbranch_scc0 .LBB316_740
; %bb.727:
	global_load_ubyte v3, v[1:2], off
	s_movk_i32 s2, 0x7f
	s_waitcnt vmcnt(0)
	v_cmp_lt_i16_e32 vcc, s2, v3
	s_mov_b64 s[2:3], 0
	s_and_saveexec_b64 s[6:7], vcc
	s_xor_b64 s[6:7], exec, s[6:7]
	s_cbranch_execz .LBB316_758
; %bb.728:
	s_movk_i32 s2, 0x80
	v_cmp_eq_u16_e32 vcc, s2, v3
	s_mov_b64 s[2:3], -1
	s_and_saveexec_b64 s[54:55], vcc
; %bb.729:
	s_xor_b64 s[2:3], exec, -1
; %bb.730:
	s_or_b64 exec, exec, s[54:55]
	s_and_b64 s[2:3], s[2:3], exec
	s_or_saveexec_b64 s[6:7], s[6:7]
	v_mov_b32_e32 v4, 0x7f800001
	s_xor_b64 exec, exec, s[6:7]
	s_cbranch_execnz .LBB316_759
.LBB316_731:
	s_or_b64 exec, exec, s[6:7]
	s_and_saveexec_b64 s[6:7], s[2:3]
	s_cbranch_execz .LBB316_733
.LBB316_732:
	v_and_b32_e32 v3, 0xffff, v3
	v_and_b32_e32 v4, 3, v3
	v_ffbh_u32_e32 v7, v4
	v_min_u32_e32 v7, 32, v7
	v_subrev_u32_e32 v9, 29, v7
	v_bfe_u32 v6, v3, 2, 5
	v_lshlrev_b32_e32 v3, v9, v3
	v_and_b32_e32 v3, 3, v3
	v_cmp_eq_u32_e32 vcc, 0, v6
	v_sub_u32_e32 v7, 30, v7
	v_cndmask_b32_e32 v3, v4, v3, vcc
	v_cndmask_b32_e32 v6, v6, v7, vcc
	v_lshlrev_b32_e32 v3, 21, v3
	v_lshl_or_b32 v3, v6, 23, v3
	v_add_u32_e32 v4, 0x37800000, v3
.LBB316_733:
	s_or_b64 exec, exec, s[6:7]
	v_lshrrev_b32_e32 v6, 23, v4
	s_movk_i32 s2, 0xff
	v_cmp_ne_u32_e32 vcc, s2, v6
	v_mov_b32_e32 v3, 0xff
	s_and_saveexec_b64 s[6:7], vcc
; %bb.734:
	v_and_b32_e32 v3, 0x400000, v4
	s_mov_b32 s2, 0x3fffff
	v_cmp_ne_u32_e32 vcc, 0, v3
	v_and_or_b32 v3, v4, s2, v6
	v_cmp_ne_u32_e64 s[2:3], 0, v3
	s_and_b64 s[2:3], vcc, s[2:3]
	v_cndmask_b32_e64 v3, 0, 1, s[2:3]
	v_add_u32_e32 v3, v6, v3
; %bb.735:
	s_or_b64 exec, exec, s[6:7]
	s_mov_b64 s[2:3], 0
	s_branch .LBB316_741
.LBB316_736:
	s_mov_b64 s[6:7], -1
                                        ; implicit-def: $vgpr3
	s_branch .LBB316_751
.LBB316_737:
	s_or_saveexec_b64 s[6:7], s[6:7]
	v_mov_b32_e32 v4, 0x7f800001
	s_xor_b64 exec, exec, s[6:7]
	s_cbranch_execz .LBB316_716
.LBB316_738:
	v_cmp_ne_u16_e32 vcc, 0, v3
	s_andn2_b64 s[2:3], s[2:3], exec
	s_and_b64 s[54:55], vcc, exec
	v_and_b32_e32 v4, 0xffff, v3
	s_or_b64 s[2:3], s[2:3], s[54:55]
	s_or_b64 exec, exec, s[6:7]
	s_and_saveexec_b64 s[6:7], s[2:3]
	s_cbranch_execnz .LBB316_717
	s_branch .LBB316_718
.LBB316_739:
	s_mov_b64 s[2:3], -1
                                        ; implicit-def: $vgpr3
	s_branch .LBB316_746
.LBB316_740:
	s_mov_b64 s[2:3], -1
                                        ; implicit-def: $vgpr3
.LBB316_741:
	s_and_b64 vcc, exec, s[2:3]
	s_cbranch_vccz .LBB316_745
; %bb.742:
	global_load_ubyte v3, v[1:2], off
	s_mov_b32 s2, 0x7f800000
	s_movk_i32 s3, 0xff
	s_waitcnt vmcnt(0)
	v_lshlrev_b32_e32 v3, 24, v3
	v_and_b32_e32 v3, 0x7f000000, v3
	v_ffbh_u32_e32 v4, v3
	v_min_u32_e32 v4, 32, v4
	v_sub_u32_e64 v4, v4, 4 clamp
	v_lshlrev_b32_e32 v7, v4, v3
	v_lshlrev_b32_e32 v4, 23, v4
	v_lshrrev_b32_e32 v7, 4, v7
	v_add_u32_e32 v6, 0x1000000, v3
	v_sub_u32_e32 v4, v7, v4
	v_ashrrev_i32_e32 v6, 8, v6
	v_add_u32_e32 v4, 0x3c000000, v4
	v_and_or_b32 v4, v6, s2, v4
	v_cmp_ne_u32_e32 vcc, 0, v3
	v_cndmask_b32_e32 v6, 0, v4, vcc
	v_lshrrev_b32_e32 v4, 23, v6
	v_cmp_ne_u32_e32 vcc, s3, v4
	v_mov_b32_e32 v3, 0xff
	s_and_saveexec_b64 s[6:7], vcc
; %bb.743:
	v_and_b32_e32 v3, 0x400000, v6
	s_mov_b32 s2, 0x3fffff
	v_cmp_ne_u32_e32 vcc, 0, v3
	v_and_or_b32 v3, v6, s2, v4
	v_cmp_ne_u32_e64 s[2:3], 0, v3
	s_and_b64 s[2:3], vcc, s[2:3]
	v_cndmask_b32_e64 v3, 0, 1, s[2:3]
	v_add_u32_e32 v3, v4, v3
; %bb.744:
	s_or_b64 exec, exec, s[6:7]
.LBB316_745:
	s_mov_b64 s[2:3], 0
.LBB316_746:
	s_andn2_b64 vcc, exec, s[2:3]
	s_cbranch_vccnz .LBB316_750
; %bb.747:
	global_load_ubyte v3, v[1:2], off
	s_movk_i32 s2, 0x7f00
	s_brev_b32 s3, 16
	s_movk_i32 s6, 0xff
	s_waitcnt vmcnt(0)
	v_lshlrev_b32_e32 v4, 8, v3
	v_lshlrev_b32_e32 v3, 25, v3
	v_lshrrev_b32_e32 v6, 4, v3
	v_and_or_b32 v4, v4, s2, 0.5
	v_or_b32_e32 v6, 0x70000000, v6
	v_add_f32_e32 v4, -0.5, v4
	v_mul_f32_e32 v6, 0x7800000, v6
	v_cmp_gt_u32_e32 vcc, s3, v3
	v_cndmask_b32_e32 v4, v6, v4, vcc
	v_bfe_u32 v6, v4, 23, 8
	v_cmp_ne_u32_e32 vcc, s6, v6
	v_mov_b32_e32 v3, 0xff
	s_and_saveexec_b64 s[6:7], vcc
; %bb.748:
	s_mov_b32 s2, 0x3fffff
	v_lshrrev_b32_e32 v3, 23, v4
	v_and_b32_e32 v7, 0x400000, v4
	v_and_or_b32 v4, v4, s2, v6
	v_cmp_ne_u32_e32 vcc, 0, v7
	v_cmp_ne_u32_e64 s[2:3], 0, v4
	s_and_b64 s[2:3], vcc, s[2:3]
	v_cndmask_b32_e64 v4, 0, 1, s[2:3]
	v_add_u32_e32 v3, v3, v4
; %bb.749:
	s_or_b64 exec, exec, s[6:7]
.LBB316_750:
	s_mov_b64 s[6:7], 0
	s_mov_b64 s[2:3], -1
.LBB316_751:
	s_andn2_b64 vcc, exec, s[6:7]
	s_cbranch_vccnz .LBB316_768
; %bb.752:
	s_cmp_gt_i32 s58, 14
	s_cbranch_scc0 .LBB316_757
; %bb.753:
	s_cmp_eq_u32 s58, 15
	s_cbranch_scc0 .LBB316_760
; %bb.754:
	global_load_ushort v4, v[1:2], off
	s_movk_i32 s2, 0xff
	s_waitcnt vmcnt(1)
	v_mov_b32_e32 v3, 0xff
	s_waitcnt vmcnt(0)
	v_bfe_u32 v6, v4, 7, 8
	v_cmp_ne_u32_e32 vcc, s2, v6
	s_and_saveexec_b64 s[6:7], vcc
	s_cbranch_execz .LBB316_756
; %bb.755:
	v_lshrrev_b32_e32 v3, 7, v4
	v_lshlrev_b32_e32 v7, 16, v4
	v_and_b32_e32 v4, 64, v4
	s_mov_b32 s2, 0x3f0000
	v_cmp_ne_u32_e32 vcc, 0, v4
	v_and_or_b32 v4, v7, s2, v6
	v_cmp_ne_u32_e64 s[2:3], 0, v4
	s_and_b64 s[2:3], vcc, s[2:3]
	v_cndmask_b32_e64 v4, 0, 1, s[2:3]
	v_add_u32_e32 v3, v3, v4
.LBB316_756:
	s_or_b64 exec, exec, s[6:7]
	s_mov_b64 s[2:3], -1
	s_mov_b64 s[52:53], 0
	s_branch .LBB316_761
.LBB316_757:
	s_mov_b64 s[6:7], -1
                                        ; implicit-def: $vgpr3
	s_branch .LBB316_762
.LBB316_758:
	s_or_saveexec_b64 s[6:7], s[6:7]
	v_mov_b32_e32 v4, 0x7f800001
	s_xor_b64 exec, exec, s[6:7]
	s_cbranch_execz .LBB316_731
.LBB316_759:
	v_cmp_ne_u16_e32 vcc, 0, v3
	s_andn2_b64 s[2:3], s[2:3], exec
	s_and_b64 s[54:55], vcc, exec
	v_and_b32_e32 v4, 0xffff, v3
	s_or_b64 s[2:3], s[2:3], s[54:55]
	s_or_b64 exec, exec, s[6:7]
	s_and_saveexec_b64 s[6:7], s[2:3]
	s_cbranch_execnz .LBB316_732
	s_branch .LBB316_733
.LBB316_760:
	s_mov_b64 s[52:53], -1
                                        ; implicit-def: $vgpr3
.LBB316_761:
	s_mov_b64 s[6:7], 0
.LBB316_762:
	s_and_b64 vcc, exec, s[6:7]
	s_cbranch_vccz .LBB316_768
; %bb.763:
	s_cmp_eq_u32 s58, 11
	s_cbranch_scc0 .LBB316_767
; %bb.764:
	global_load_ubyte v3, v[1:2], off
	s_movk_i32 s2, 0xff
	s_waitcnt vmcnt(0)
	v_cmp_ne_u16_e32 vcc, 0, v3
	v_cndmask_b32_e64 v6, 0, 1.0, vcc
	v_lshrrev_b32_e32 v4, 23, v6
	v_cmp_ne_u32_e32 vcc, s2, v4
	v_mov_b32_e32 v3, 0xff
	s_and_saveexec_b64 s[6:7], vcc
; %bb.765:
	v_and_b32_e32 v3, 0x400000, v6
	s_mov_b32 s2, 0x3fffff
	v_cmp_ne_u32_e32 vcc, 0, v3
	v_and_or_b32 v3, v6, s2, v4
	v_cmp_ne_u32_e64 s[2:3], 0, v3
	s_and_b64 s[2:3], vcc, s[2:3]
	v_cndmask_b32_e64 v3, 0, 1, s[2:3]
	v_add_u32_e32 v3, v4, v3
; %bb.766:
	s_or_b64 exec, exec, s[6:7]
	s_mov_b64 s[2:3], -1
	s_mov_b64 s[52:53], 0
	s_branch .LBB316_768
.LBB316_767:
	s_mov_b64 s[52:53], -1
                                        ; implicit-def: $vgpr3
.LBB316_768:
	s_mov_b64 s[6:7], 0
.LBB316_769:
	s_and_b64 vcc, exec, s[6:7]
	s_cbranch_vccz .LBB316_840
; %bb.770:
	s_and_b32 s14, 0xffff, s14
	s_cmp_lt_i32 s14, 5
	s_cbranch_scc1 .LBB316_777
; %bb.771:
	s_cmp_lt_i32 s14, 8
	s_cbranch_scc1 .LBB316_778
; %bb.772:
	s_cmp_lt_i32 s14, 9
	s_cbranch_scc1 .LBB316_779
; %bb.773:
	s_cmp_gt_i32 s14, 9
	s_cbranch_scc0 .LBB316_780
; %bb.774:
	global_load_dwordx2 v[3:4], v[1:2], off
	s_movk_i32 s2, 0xff
	s_waitcnt vmcnt(0)
	v_cvt_f32_f64_e32 v4, v[3:4]
	v_mov_b32_e32 v3, 0xff
	v_bfe_u32 v6, v4, 23, 8
	v_cmp_ne_u32_e32 vcc, s2, v6
	s_and_saveexec_b64 s[6:7], vcc
; %bb.775:
	s_mov_b32 s2, 0x3fffff
	v_lshrrev_b32_e32 v3, 23, v4
	v_and_b32_e32 v7, 0x400000, v4
	v_and_or_b32 v4, v4, s2, v6
	v_cmp_ne_u32_e32 vcc, 0, v7
	v_cmp_ne_u32_e64 s[2:3], 0, v4
	s_and_b64 s[2:3], vcc, s[2:3]
	v_cndmask_b32_e64 v4, 0, 1, s[2:3]
	v_add_u32_e32 v3, v3, v4
; %bb.776:
	s_or_b64 exec, exec, s[6:7]
	s_mov_b64 s[2:3], 0
	s_branch .LBB316_781
.LBB316_777:
	s_mov_b64 s[2:3], -1
                                        ; implicit-def: $vgpr3
	s_branch .LBB316_809
.LBB316_778:
	s_mov_b64 s[2:3], -1
                                        ; implicit-def: $vgpr3
	s_branch .LBB316_791
.LBB316_779:
	s_mov_b64 s[2:3], -1
                                        ; implicit-def: $vgpr3
	s_branch .LBB316_786
.LBB316_780:
	s_mov_b64 s[2:3], -1
                                        ; implicit-def: $vgpr3
.LBB316_781:
	s_andn2_b64 vcc, exec, s[2:3]
	s_cbranch_vccnz .LBB316_785
; %bb.782:
	global_load_dword v4, v[1:2], off
	s_movk_i32 s2, 0xff
	s_waitcnt vmcnt(1)
	v_mov_b32_e32 v3, 0xff
	s_waitcnt vmcnt(0)
	v_bfe_u32 v6, v4, 23, 8
	v_cmp_ne_u32_e32 vcc, s2, v6
	s_and_saveexec_b64 s[6:7], vcc
; %bb.783:
	s_mov_b32 s2, 0x3fffff
	v_lshrrev_b32_e32 v3, 23, v4
	v_and_b32_e32 v7, 0x400000, v4
	v_and_or_b32 v4, v4, s2, v6
	v_cmp_ne_u32_e32 vcc, 0, v7
	v_cmp_ne_u32_e64 s[2:3], 0, v4
	s_and_b64 s[2:3], vcc, s[2:3]
	v_cndmask_b32_e64 v4, 0, 1, s[2:3]
	v_add_u32_e32 v3, v3, v4
; %bb.784:
	s_or_b64 exec, exec, s[6:7]
.LBB316_785:
	s_mov_b64 s[2:3], 0
.LBB316_786:
	s_andn2_b64 vcc, exec, s[2:3]
	s_cbranch_vccnz .LBB316_790
; %bb.787:
	global_load_dword v3, v[1:2], off
	s_movk_i32 s2, 0xff
	s_waitcnt vmcnt(0)
	v_cvt_f32_f16_e32 v4, v3
	v_mov_b32_e32 v3, 0xff
	v_bfe_u32 v6, v4, 23, 8
	v_cmp_ne_u32_e32 vcc, s2, v6
	s_and_saveexec_b64 s[6:7], vcc
; %bb.788:
	s_mov_b32 s2, 0x3fffff
	v_lshrrev_b32_e32 v3, 23, v4
	v_and_b32_e32 v7, 0x400000, v4
	v_and_or_b32 v4, v4, s2, v6
	v_cmp_ne_u32_e32 vcc, 0, v7
	v_cmp_ne_u32_e64 s[2:3], 0, v4
	s_and_b64 s[2:3], vcc, s[2:3]
	v_cndmask_b32_e64 v4, 0, 1, s[2:3]
	v_add_u32_e32 v3, v3, v4
; %bb.789:
	s_or_b64 exec, exec, s[6:7]
.LBB316_790:
	s_mov_b64 s[2:3], 0
.LBB316_791:
	s_andn2_b64 vcc, exec, s[2:3]
	s_cbranch_vccnz .LBB316_808
; %bb.792:
	s_cmp_lt_i32 s14, 6
	s_cbranch_scc1 .LBB316_797
; %bb.793:
	s_cmp_gt_i32 s14, 6
	s_cbranch_scc0 .LBB316_798
; %bb.794:
	global_load_dwordx2 v[3:4], v[1:2], off
	s_movk_i32 s2, 0xff
	s_waitcnt vmcnt(0)
	v_cvt_f32_f64_e32 v4, v[3:4]
	v_mov_b32_e32 v3, 0xff
	v_bfe_u32 v6, v4, 23, 8
	v_cmp_ne_u32_e32 vcc, s2, v6
	s_and_saveexec_b64 s[6:7], vcc
; %bb.795:
	s_mov_b32 s2, 0x3fffff
	v_lshrrev_b32_e32 v3, 23, v4
	v_and_b32_e32 v7, 0x400000, v4
	v_and_or_b32 v4, v4, s2, v6
	v_cmp_ne_u32_e32 vcc, 0, v7
	v_cmp_ne_u32_e64 s[2:3], 0, v4
	s_and_b64 s[2:3], vcc, s[2:3]
	v_cndmask_b32_e64 v4, 0, 1, s[2:3]
	v_add_u32_e32 v3, v3, v4
; %bb.796:
	s_or_b64 exec, exec, s[6:7]
	s_mov_b64 s[2:3], 0
	s_branch .LBB316_799
.LBB316_797:
	s_mov_b64 s[2:3], -1
                                        ; implicit-def: $vgpr3
	s_branch .LBB316_804
.LBB316_798:
	s_mov_b64 s[2:3], -1
                                        ; implicit-def: $vgpr3
.LBB316_799:
	s_andn2_b64 vcc, exec, s[2:3]
	s_cbranch_vccnz .LBB316_803
; %bb.800:
	global_load_dword v4, v[1:2], off
	s_movk_i32 s2, 0xff
	s_waitcnt vmcnt(1)
	v_mov_b32_e32 v3, 0xff
	s_waitcnt vmcnt(0)
	v_bfe_u32 v6, v4, 23, 8
	v_cmp_ne_u32_e32 vcc, s2, v6
	s_and_saveexec_b64 s[6:7], vcc
; %bb.801:
	s_mov_b32 s2, 0x3fffff
	v_lshrrev_b32_e32 v3, 23, v4
	v_and_b32_e32 v7, 0x400000, v4
	v_and_or_b32 v4, v4, s2, v6
	v_cmp_ne_u32_e32 vcc, 0, v7
	v_cmp_ne_u32_e64 s[2:3], 0, v4
	s_and_b64 s[2:3], vcc, s[2:3]
	v_cndmask_b32_e64 v4, 0, 1, s[2:3]
	v_add_u32_e32 v3, v3, v4
; %bb.802:
	s_or_b64 exec, exec, s[6:7]
.LBB316_803:
	s_mov_b64 s[2:3], 0
.LBB316_804:
	s_andn2_b64 vcc, exec, s[2:3]
	s_cbranch_vccnz .LBB316_808
; %bb.805:
	global_load_ushort v3, v[1:2], off
	s_movk_i32 s2, 0xff
	s_waitcnt vmcnt(0)
	v_cvt_f32_f16_e32 v4, v3
	v_mov_b32_e32 v3, 0xff
	v_bfe_u32 v6, v4, 23, 8
	v_cmp_ne_u32_e32 vcc, s2, v6
	s_and_saveexec_b64 s[6:7], vcc
; %bb.806:
	s_mov_b32 s2, 0x3fffff
	v_lshrrev_b32_e32 v3, 23, v4
	v_and_b32_e32 v7, 0x400000, v4
	v_and_or_b32 v4, v4, s2, v6
	v_cmp_ne_u32_e32 vcc, 0, v7
	v_cmp_ne_u32_e64 s[2:3], 0, v4
	s_and_b64 s[2:3], vcc, s[2:3]
	v_cndmask_b32_e64 v4, 0, 1, s[2:3]
	v_add_u32_e32 v3, v3, v4
; %bb.807:
	s_or_b64 exec, exec, s[6:7]
.LBB316_808:
	s_mov_b64 s[2:3], 0
.LBB316_809:
	s_andn2_b64 vcc, exec, s[2:3]
	s_cbranch_vccnz .LBB316_839
; %bb.810:
	s_cmp_lt_i32 s14, 2
	s_cbranch_scc1 .LBB316_816
; %bb.811:
	s_cmp_lt_i32 s14, 3
	s_cbranch_scc1 .LBB316_817
; %bb.812:
	s_cmp_gt_i32 s14, 3
	s_cbranch_scc0 .LBB316_818
; %bb.813:
	global_load_dwordx2 v[3:4], v[1:2], off
	s_movk_i32 s2, 0xff
	s_waitcnt vmcnt(0)
	v_xor_b32_e32 v7, v3, v4
	v_ffbh_i32_e32 v6, v4
	v_ashrrev_i32_e32 v7, 31, v7
	v_add_u32_e32 v6, -1, v6
	v_add_u32_e32 v7, 32, v7
	v_min_u32_e32 v6, v6, v7
	v_lshlrev_b64 v[3:4], v6, v[3:4]
	v_min_u32_e32 v3, 1, v3
	v_or_b32_e32 v3, v4, v3
	v_cvt_f32_i32_e32 v3, v3
	v_sub_u32_e32 v4, 32, v6
	v_ldexp_f32 v4, v3, v4
	v_bfe_u32 v6, v4, 23, 8
	v_cmp_ne_u32_e32 vcc, s2, v6
	v_mov_b32_e32 v3, 0xff
	s_and_saveexec_b64 s[6:7], vcc
; %bb.814:
	s_mov_b32 s2, 0x3fffff
	v_lshrrev_b32_e32 v3, 23, v4
	v_and_b32_e32 v7, 0x400000, v4
	v_and_or_b32 v4, v4, s2, v6
	v_cmp_ne_u32_e32 vcc, 0, v7
	v_cmp_ne_u32_e64 s[2:3], 0, v4
	s_and_b64 s[2:3], vcc, s[2:3]
	v_cndmask_b32_e64 v4, 0, 1, s[2:3]
	v_add_u32_e32 v3, v3, v4
; %bb.815:
	s_or_b64 exec, exec, s[6:7]
	s_mov_b64 s[2:3], 0
	s_branch .LBB316_819
.LBB316_816:
	s_mov_b64 s[2:3], -1
                                        ; implicit-def: $vgpr3
	s_branch .LBB316_829
.LBB316_817:
	s_mov_b64 s[2:3], -1
                                        ; implicit-def: $vgpr3
	s_branch .LBB316_824
.LBB316_818:
	s_mov_b64 s[2:3], -1
                                        ; implicit-def: $vgpr3
.LBB316_819:
	s_andn2_b64 vcc, exec, s[2:3]
	s_cbranch_vccnz .LBB316_823
; %bb.820:
	global_load_dword v3, v[1:2], off
	s_movk_i32 s2, 0xff
	s_waitcnt vmcnt(0)
	v_cvt_f32_i32_e32 v4, v3
	v_mov_b32_e32 v3, 0xff
	v_bfe_u32 v6, v4, 23, 8
	v_cmp_ne_u32_e32 vcc, s2, v6
	s_and_saveexec_b64 s[6:7], vcc
; %bb.821:
	s_mov_b32 s2, 0x3fffff
	v_lshrrev_b32_e32 v3, 23, v4
	v_and_b32_e32 v7, 0x400000, v4
	v_and_or_b32 v4, v4, s2, v6
	v_cmp_ne_u32_e32 vcc, 0, v7
	v_cmp_ne_u32_e64 s[2:3], 0, v4
	s_and_b64 s[2:3], vcc, s[2:3]
	v_cndmask_b32_e64 v4, 0, 1, s[2:3]
	v_add_u32_e32 v3, v3, v4
; %bb.822:
	s_or_b64 exec, exec, s[6:7]
.LBB316_823:
	s_mov_b64 s[2:3], 0
.LBB316_824:
	s_andn2_b64 vcc, exec, s[2:3]
	s_cbranch_vccnz .LBB316_828
; %bb.825:
	global_load_sshort v3, v[1:2], off
	s_movk_i32 s2, 0xff
	s_waitcnt vmcnt(0)
	v_cvt_f32_i32_e32 v4, v3
	v_mov_b32_e32 v3, 0xff
	v_bfe_u32 v6, v4, 23, 8
	v_cmp_ne_u32_e32 vcc, s2, v6
	s_and_saveexec_b64 s[6:7], vcc
; %bb.826:
	s_mov_b32 s2, 0x3fffff
	v_lshrrev_b32_e32 v3, 23, v4
	v_and_b32_e32 v7, 0x400000, v4
	v_and_or_b32 v4, v4, s2, v6
	v_cmp_ne_u32_e32 vcc, 0, v7
	v_cmp_ne_u32_e64 s[2:3], 0, v4
	s_and_b64 s[2:3], vcc, s[2:3]
	v_cndmask_b32_e64 v4, 0, 1, s[2:3]
	v_add_u32_e32 v3, v3, v4
; %bb.827:
	s_or_b64 exec, exec, s[6:7]
.LBB316_828:
	s_mov_b64 s[2:3], 0
.LBB316_829:
	s_andn2_b64 vcc, exec, s[2:3]
	s_cbranch_vccnz .LBB316_839
; %bb.830:
	s_cmp_gt_i32 s14, 0
	s_cbranch_scc0 .LBB316_834
; %bb.831:
	global_load_sbyte v3, v[1:2], off
	s_movk_i32 s2, 0xff
	s_waitcnt vmcnt(0)
	v_cvt_f32_i32_e32 v4, v3
	v_mov_b32_e32 v3, 0xff
	v_bfe_u32 v6, v4, 23, 8
	v_cmp_ne_u32_e32 vcc, s2, v6
	s_and_saveexec_b64 s[6:7], vcc
; %bb.832:
	s_mov_b32 s2, 0x3fffff
	v_lshrrev_b32_e32 v3, 23, v4
	v_and_b32_e32 v7, 0x400000, v4
	v_and_or_b32 v4, v4, s2, v6
	v_cmp_ne_u32_e32 vcc, 0, v7
	v_cmp_ne_u32_e64 s[2:3], 0, v4
	s_and_b64 s[2:3], vcc, s[2:3]
	v_cndmask_b32_e64 v4, 0, 1, s[2:3]
	v_add_u32_e32 v3, v3, v4
; %bb.833:
	s_or_b64 exec, exec, s[6:7]
	s_mov_b64 s[2:3], 0
	s_branch .LBB316_835
.LBB316_834:
	s_mov_b64 s[2:3], -1
                                        ; implicit-def: $vgpr3
.LBB316_835:
	s_andn2_b64 vcc, exec, s[2:3]
	s_cbranch_vccnz .LBB316_839
; %bb.836:
	global_load_ubyte v1, v[1:2], off
	s_movk_i32 s2, 0xff
	s_waitcnt vmcnt(1)
	v_mov_b32_e32 v3, 0xff
	s_waitcnt vmcnt(0)
	v_cvt_f32_ubyte0_e32 v2, v1
	v_lshrrev_b32_e32 v1, 23, v2
	v_cmp_ne_u32_e32 vcc, s2, v1
	s_and_saveexec_b64 s[6:7], vcc
; %bb.837:
	s_mov_b32 s2, 0x3fffff
	v_and_b32_e32 v3, 0x400000, v2
	v_and_or_b32 v2, v2, s2, v1
	v_cmp_ne_u32_e32 vcc, 0, v3
	v_cmp_ne_u32_e64 s[2:3], 0, v2
	s_and_b64 s[2:3], vcc, s[2:3]
	v_cndmask_b32_e64 v2, 0, 1, s[2:3]
	v_add_u32_e32 v3, v1, v2
; %bb.838:
	s_or_b64 exec, exec, s[6:7]
.LBB316_839:
	s_mov_b64 s[2:3], -1
.LBB316_840:
	s_andn2_b64 vcc, exec, s[2:3]
	s_cbranch_vccnz .LBB316_848
; %bb.841:
	s_movk_i32 s2, 0xff
	v_mov_b32_e32 v1, 23
	s_waitcnt vmcnt(0)
	v_lshlrev_b32_sdwa v2, v1, v5 dst_sel:DWORD dst_unused:UNUSED_PAD src0_sel:DWORD src1_sel:BYTE_0
	v_mov_b32_e32 v4, 0x7f800001
	v_cmp_ne_u16_sdwa vcc, v5, s2 src0_sel:BYTE_0 src1_sel:DWORD
	v_mov_b32_e32 v6, 0
	v_cndmask_b32_e32 v2, v4, v2, vcc
	v_mov_b32_e32 v7, 0x400000
	v_cmp_ne_u16_sdwa vcc, v5, v6 src0_sel:BYTE_0 src1_sel:DWORD
	v_cndmask_b32_e32 v2, v7, v2, vcc
	v_lshlrev_b32_sdwa v1, v1, v3 dst_sel:DWORD dst_unused:UNUSED_PAD src0_sel:DWORD src1_sel:BYTE_0
	v_cmp_ne_u16_sdwa vcc, v3, s2 src0_sel:BYTE_0 src1_sel:DWORD
	v_cndmask_b32_e32 v1, v4, v1, vcc
	v_cmp_ne_u16_sdwa vcc, v3, v6 src0_sel:BYTE_0 src1_sel:DWORD
	v_cndmask_b32_e32 v1, v7, v1, vcc
	v_cmp_eq_f32_e32 vcc, v2, v1
	v_cndmask_b32_e64 v3, 0, 1, vcc
	v_cmp_neq_f32_e32 vcc, v2, v1
	v_cndmask_b32_e64 v1, 0, 1, vcc
	v_cndmask_b32_e64 v1, v1, v3, s[0:1]
	v_and_b32_e32 v1, 1, v1
	v_cmp_eq_u32_e64 s[2:3], 1, v1
	v_mov_b32_e32 v1, s9
	s_and_b32 s14, s15, 0xff
	v_add_co_u32_e32 v0, vcc, s8, v0
	s_cmp_lt_i32 s14, 11
	v_addc_co_u32_e32 v1, vcc, 0, v1, vcc
	s_cbranch_scc1 .LBB316_849
; %bb.842:
	s_and_b32 s62, 0xffff, s14
	s_cmp_gt_i32 s62, 25
	s_cbranch_scc0 .LBB316_850
; %bb.843:
	s_cmp_gt_i32 s62, 28
	s_cbranch_scc0 .LBB316_851
; %bb.844:
	;; [unrolled: 3-line block ×4, first 2 shown]
	s_mov_b64 s[58:59], 0
	s_mov_b64 s[6:7], -1
	s_cmp_eq_u32 s62, 46
	s_mov_b64 s[54:55], 0
	s_cbranch_scc0 .LBB316_854
; %bb.847:
	v_cndmask_b32_e64 v2, 0, 1.0, s[2:3]
	v_bfe_u32 v3, v2, 16, 1
	s_movk_i32 s6, 0x7fff
	v_add3_u32 v2, v2, v3, s6
	v_lshrrev_b32_e32 v2, 16, v2
	global_store_dword v[0:1], v2, off
	s_mov_b64 s[54:55], -1
	s_mov_b64 s[6:7], 0
	s_branch .LBB316_854
.LBB316_848:
	s_mov_b64 s[2:3], 0
                                        ; implicit-def: $vgpr8
	s_mov_b64 s[6:7], s[42:43]
	s_branch .LBB316_964
.LBB316_849:
	s_mov_b64 s[58:59], -1
	s_mov_b64 s[54:55], 0
	s_mov_b64 s[6:7], s[42:43]
	s_branch .LBB316_923
.LBB316_850:
	s_mov_b64 s[58:59], -1
	s_mov_b64 s[54:55], 0
	s_mov_b64 s[6:7], s[42:43]
	s_branch .LBB316_881
.LBB316_851:
	s_mov_b64 s[58:59], -1
	s_mov_b64 s[54:55], 0
	s_mov_b64 s[6:7], s[42:43]
	s_branch .LBB316_864
.LBB316_852:
	s_mov_b64 s[58:59], -1
	s_mov_b64 s[54:55], 0
	s_mov_b64 s[6:7], s[42:43]
	s_branch .LBB316_860
.LBB316_853:
	s_mov_b64 s[58:59], -1
	s_mov_b64 s[54:55], 0
	s_mov_b64 s[6:7], s[42:43]
.LBB316_854:
	s_and_b64 vcc, exec, s[58:59]
	s_cbranch_vccz .LBB316_859
; %bb.855:
	s_cmp_eq_u32 s62, 44
	s_mov_b64 s[6:7], -1
	s_cbranch_scc0 .LBB316_859
; %bb.856:
	v_cndmask_b32_e64 v3, 0, 1.0, s[2:3]
	v_lshrrev_b32_e32 v2, 23, v3
	s_movk_i32 s6, 0xff
	v_cmp_ne_u32_e32 vcc, s6, v2
	v_mov_b32_e32 v4, 0xff
	s_and_saveexec_b64 s[54:55], vcc
; %bb.857:
	s_mov_b32 s6, 0x3fffff
	v_and_b32_e32 v4, 0x400000, v3
	v_and_or_b32 v3, v3, s6, v2
	v_cmp_ne_u32_e32 vcc, 0, v4
	v_cmp_ne_u32_e64 s[6:7], 0, v3
	s_and_b64 s[6:7], vcc, s[6:7]
	v_cndmask_b32_e64 v3, 0, 1, s[6:7]
	v_add_u32_e32 v4, v2, v3
; %bb.858:
	s_or_b64 exec, exec, s[54:55]
	s_mov_b64 s[54:55], -1
	s_mov_b64 s[6:7], 0
	global_store_byte v[0:1], v4, off
.LBB316_859:
	s_mov_b64 s[58:59], 0
.LBB316_860:
	s_and_b64 vcc, exec, s[58:59]
	s_cbranch_vccz .LBB316_863
; %bb.861:
	s_cmp_eq_u32 s62, 29
	s_mov_b64 s[6:7], -1
	s_cbranch_scc0 .LBB316_863
; %bb.862:
	s_mov_b32 s6, 0
	v_cndmask_b32_e64 v2, 0, 1, s[2:3]
	v_mov_b32_e32 v3, s6
	global_store_dwordx2 v[0:1], v[2:3], off
	s_mov_b64 s[54:55], -1
	s_mov_b64 s[6:7], 0
.LBB316_863:
	s_mov_b64 s[58:59], 0
.LBB316_864:
	s_and_b64 vcc, exec, s[58:59]
	s_cbranch_vccz .LBB316_880
; %bb.865:
	s_cmp_lt_i32 s62, 27
	s_mov_b64 s[54:55], -1
	s_cbranch_scc1 .LBB316_871
; %bb.866:
	s_cmp_gt_i32 s62, 27
	s_cbranch_scc0 .LBB316_868
; %bb.867:
	v_cndmask_b32_e64 v2, 0, 1, s[2:3]
	s_mov_b64 s[54:55], 0
	global_store_dword v[0:1], v2, off
.LBB316_868:
	s_andn2_b64 vcc, exec, s[54:55]
	s_cbranch_vccnz .LBB316_870
; %bb.869:
	v_cndmask_b32_e64 v2, 0, 1, s[2:3]
	global_store_short v[0:1], v2, off
.LBB316_870:
	s_mov_b64 s[54:55], 0
.LBB316_871:
	s_andn2_b64 vcc, exec, s[54:55]
	s_cbranch_vccnz .LBB316_879
; %bb.872:
	v_cndmask_b32_e64 v3, 0, 1.0, s[2:3]
	s_mov_b32 s54, 0x43800000
	v_cmp_gt_u32_e32 vcc, s54, v3
	v_mov_b32_e32 v4, 0x80
	s_and_saveexec_b64 s[54:55], vcc
	s_cbranch_execz .LBB316_878
; %bb.873:
	s_mov_b32 s58, 0x3bffffff
	v_cmp_lt_u32_e32 vcc, s58, v3
	s_mov_b64 s[58:59], 0
                                        ; implicit-def: $vgpr2
	s_and_saveexec_b64 s[60:61], vcc
	s_xor_b64 s[60:61], exec, s[60:61]
	s_cbranch_execz .LBB316_994
; %bb.874:
	v_bfe_u32 v2, v3, 20, 1
	s_mov_b32 s63, 0x487ffff
	v_add3_u32 v2, v3, v2, s63
	s_mov_b64 s[58:59], exec
	v_lshrrev_b32_e32 v2, 20, v2
                                        ; implicit-def: $vgpr3
	s_andn2_saveexec_b64 s[60:61], s[60:61]
	s_cbranch_execnz .LBB316_995
.LBB316_875:
	s_or_b64 exec, exec, s[60:61]
	v_mov_b32_e32 v4, 0
	s_and_saveexec_b64 s[60:61], s[58:59]
.LBB316_876:
	v_mov_b32_e32 v4, v2
.LBB316_877:
	s_or_b64 exec, exec, s[60:61]
.LBB316_878:
	s_or_b64 exec, exec, s[54:55]
	global_store_byte v[0:1], v4, off
.LBB316_879:
	s_mov_b64 s[54:55], -1
.LBB316_880:
	s_mov_b64 s[58:59], 0
.LBB316_881:
	s_and_b64 vcc, exec, s[58:59]
	s_cbranch_vccz .LBB316_922
; %bb.882:
	s_cmp_gt_i32 s62, 22
	s_mov_b64 s[58:59], -1
	s_cbranch_scc0 .LBB316_914
; %bb.883:
	s_cmp_lt_i32 s62, 24
	s_mov_b64 s[54:55], -1
	s_cbranch_scc1 .LBB316_903
; %bb.884:
	s_cmp_gt_i32 s62, 24
	s_cbranch_scc0 .LBB316_892
; %bb.885:
	v_cndmask_b32_e64 v3, 0, 1.0, s[2:3]
	s_mov_b32 s54, 0x47800000
	v_cmp_gt_u32_e32 vcc, s54, v3
	v_mov_b32_e32 v4, 0x80
	s_and_saveexec_b64 s[54:55], vcc
	s_cbranch_execz .LBB316_891
; %bb.886:
	s_mov_b32 s58, 0x37ffffff
	v_cmp_lt_u32_e32 vcc, s58, v3
	s_mov_b64 s[58:59], 0
                                        ; implicit-def: $vgpr2
	s_and_saveexec_b64 s[60:61], vcc
	s_xor_b64 s[60:61], exec, s[60:61]
	s_cbranch_execz .LBB316_1168
; %bb.887:
	v_bfe_u32 v2, v3, 21, 1
	s_mov_b32 s63, 0x88fffff
	v_add3_u32 v2, v3, v2, s63
	s_mov_b64 s[58:59], exec
	v_lshrrev_b32_e32 v2, 21, v2
                                        ; implicit-def: $vgpr3
	s_andn2_saveexec_b64 s[60:61], s[60:61]
	s_cbranch_execnz .LBB316_1169
.LBB316_888:
	s_or_b64 exec, exec, s[60:61]
	v_mov_b32_e32 v4, 0
	s_and_saveexec_b64 s[60:61], s[58:59]
.LBB316_889:
	v_mov_b32_e32 v4, v2
.LBB316_890:
	s_or_b64 exec, exec, s[60:61]
.LBB316_891:
	s_or_b64 exec, exec, s[54:55]
	s_mov_b64 s[54:55], 0
	global_store_byte v[0:1], v4, off
.LBB316_892:
	s_and_b64 vcc, exec, s[54:55]
	s_cbranch_vccz .LBB316_902
; %bb.893:
	v_cndmask_b32_e64 v2, 0, 1.0, s[2:3]
	s_mov_b32 s54, 0x43f00000
	v_cmp_gt_u32_e32 vcc, s54, v2
                                        ; implicit-def: $vgpr3
	s_and_saveexec_b64 s[54:55], vcc
	s_xor_b64 s[54:55], exec, s[54:55]
	s_cbranch_execz .LBB316_899
; %bb.894:
	s_mov_b32 s58, 0x3c7fffff
	v_cmp_lt_u32_e32 vcc, s58, v2
                                        ; implicit-def: $vgpr3
	s_and_saveexec_b64 s[58:59], vcc
	s_xor_b64 s[58:59], exec, s[58:59]
; %bb.895:
	v_bfe_u32 v3, v2, 20, 1
	s_mov_b32 s60, 0x407ffff
	v_add3_u32 v2, v2, v3, s60
	v_lshrrev_b32_e32 v3, 20, v2
	v_and_b32_e32 v2, 0xff00000, v2
	s_mov_b32 s60, 0x7f00000
	v_mov_b32_e32 v4, 0x7e
	v_cmp_ne_u32_e32 vcc, s60, v2
	v_cndmask_b32_e32 v3, v4, v3, vcc
                                        ; implicit-def: $vgpr2
; %bb.896:
	s_andn2_saveexec_b64 s[58:59], s[58:59]
; %bb.897:
	v_add_f32_e32 v3, 0x46800000, v2
; %bb.898:
	s_or_b64 exec, exec, s[58:59]
                                        ; implicit-def: $vgpr2
.LBB316_899:
	s_andn2_saveexec_b64 s[54:55], s[54:55]
; %bb.900:
	s_mov_b32 s58, 0x7f800000
	v_mov_b32_e32 v3, 0x7e
	v_mov_b32_e32 v4, 0x7f
	v_cmp_lt_u32_e32 vcc, s58, v2
	v_cndmask_b32_e32 v3, v3, v4, vcc
; %bb.901:
	s_or_b64 exec, exec, s[54:55]
	global_store_byte v[0:1], v3, off
.LBB316_902:
	s_mov_b64 s[54:55], 0
.LBB316_903:
	s_andn2_b64 vcc, exec, s[54:55]
	s_cbranch_vccnz .LBB316_913
; %bb.904:
	v_cndmask_b32_e64 v2, 0, 1.0, s[2:3]
	s_mov_b32 s54, 0x47800000
	v_cmp_gt_u32_e32 vcc, s54, v2
                                        ; implicit-def: $vgpr3
	s_and_saveexec_b64 s[54:55], vcc
	s_xor_b64 s[54:55], exec, s[54:55]
	s_cbranch_execz .LBB316_910
; %bb.905:
	s_mov_b32 s58, 0x387fffff
	v_cmp_lt_u32_e32 vcc, s58, v2
                                        ; implicit-def: $vgpr3
	s_and_saveexec_b64 s[58:59], vcc
	s_xor_b64 s[58:59], exec, s[58:59]
; %bb.906:
	v_bfe_u32 v3, v2, 21, 1
	s_mov_b32 s60, 0x80fffff
	v_add3_u32 v2, v2, v3, s60
	v_lshrrev_b32_e32 v3, 21, v2
                                        ; implicit-def: $vgpr2
; %bb.907:
	s_andn2_saveexec_b64 s[58:59], s[58:59]
; %bb.908:
	v_add_f32_e32 v3, 0x43000000, v2
; %bb.909:
	s_or_b64 exec, exec, s[58:59]
                                        ; implicit-def: $vgpr2
.LBB316_910:
	s_andn2_saveexec_b64 s[54:55], s[54:55]
; %bb.911:
	s_mov_b32 s58, 0x7f800000
	v_mov_b32_e32 v3, 0x7c
	v_mov_b32_e32 v4, 0x7f
	v_cmp_lt_u32_e32 vcc, s58, v2
	v_cndmask_b32_e32 v3, v3, v4, vcc
; %bb.912:
	s_or_b64 exec, exec, s[54:55]
	global_store_byte v[0:1], v3, off
.LBB316_913:
	s_mov_b64 s[58:59], 0
	s_mov_b64 s[54:55], -1
.LBB316_914:
	s_andn2_b64 vcc, exec, s[58:59]
	s_cbranch_vccnz .LBB316_922
; %bb.915:
	s_cmp_gt_i32 s62, 14
	s_mov_b64 s[58:59], -1
	s_cbranch_scc0 .LBB316_919
; %bb.916:
	s_cmp_eq_u32 s62, 15
	s_mov_b64 s[6:7], -1
	s_cbranch_scc0 .LBB316_918
; %bb.917:
	v_cndmask_b32_e64 v2, 0, 1.0, s[2:3]
	v_bfe_u32 v3, v2, 16, 1
	s_movk_i32 s6, 0x7fff
	v_add3_u32 v2, v2, v3, s6
	global_store_short_d16_hi v[0:1], v2, off
	s_mov_b64 s[54:55], -1
	s_mov_b64 s[6:7], 0
.LBB316_918:
	s_mov_b64 s[58:59], 0
.LBB316_919:
	s_and_b64 vcc, exec, s[58:59]
	s_cbranch_vccz .LBB316_922
; %bb.920:
	s_cmp_eq_u32 s62, 11
	s_mov_b64 s[6:7], -1
	s_cbranch_scc0 .LBB316_922
; %bb.921:
	v_cndmask_b32_e64 v2, 0, 1, s[2:3]
	s_mov_b64 s[54:55], -1
	s_mov_b64 s[6:7], 0
	global_store_byte v[0:1], v2, off
.LBB316_922:
	s_mov_b64 s[58:59], 0
.LBB316_923:
	s_and_b64 vcc, exec, s[58:59]
	s_cbranch_vccz .LBB316_962
; %bb.924:
	s_and_b32 s14, 0xffff, s14
	s_cmp_lt_i32 s14, 5
	s_mov_b64 s[54:55], -1
	s_cbranch_scc1 .LBB316_945
; %bb.925:
	s_cmp_lt_i32 s14, 8
	s_cbranch_scc1 .LBB316_935
; %bb.926:
	s_cmp_lt_i32 s14, 9
	s_cbranch_scc1 .LBB316_932
; %bb.927:
	s_cmp_gt_i32 s14, 9
	s_cbranch_scc0 .LBB316_929
; %bb.928:
	v_cndmask_b32_e64 v2, 0, 1, s[2:3]
	v_cvt_f64_u32_e32 v[2:3], v2
	v_mov_b32_e32 v4, 0
	v_mov_b32_e32 v5, v4
	s_mov_b64 s[54:55], 0
	global_store_dwordx4 v[0:1], v[2:5], off
.LBB316_929:
	s_andn2_b64 vcc, exec, s[54:55]
	s_cbranch_vccnz .LBB316_931
; %bb.930:
	v_cndmask_b32_e64 v2, 0, 1.0, s[2:3]
	v_mov_b32_e32 v3, 0
	global_store_dwordx2 v[0:1], v[2:3], off
.LBB316_931:
	s_mov_b64 s[54:55], 0
.LBB316_932:
	s_andn2_b64 vcc, exec, s[54:55]
	s_cbranch_vccnz .LBB316_934
; %bb.933:
	v_cndmask_b32_e64 v2, 0, 1.0, s[2:3]
	v_cvt_f16_f32_e32 v2, v2
	global_store_dword v[0:1], v2, off
.LBB316_934:
	s_mov_b64 s[54:55], 0
.LBB316_935:
	s_andn2_b64 vcc, exec, s[54:55]
	s_cbranch_vccnz .LBB316_944
; %bb.936:
	s_cmp_lt_i32 s14, 6
	s_mov_b64 s[54:55], -1
	s_cbranch_scc1 .LBB316_942
; %bb.937:
	s_cmp_gt_i32 s14, 6
	s_cbranch_scc0 .LBB316_939
; %bb.938:
	v_cndmask_b32_e64 v2, 0, 1, s[2:3]
	v_cvt_f64_u32_e32 v[2:3], v2
	s_mov_b64 s[54:55], 0
	global_store_dwordx2 v[0:1], v[2:3], off
.LBB316_939:
	s_andn2_b64 vcc, exec, s[54:55]
	s_cbranch_vccnz .LBB316_941
; %bb.940:
	v_cndmask_b32_e64 v2, 0, 1.0, s[2:3]
	global_store_dword v[0:1], v2, off
.LBB316_941:
	s_mov_b64 s[54:55], 0
.LBB316_942:
	s_andn2_b64 vcc, exec, s[54:55]
	s_cbranch_vccnz .LBB316_944
; %bb.943:
	v_cndmask_b32_e64 v2, 0, 1.0, s[2:3]
	v_cvt_f16_f32_e32 v2, v2
	global_store_short v[0:1], v2, off
.LBB316_944:
	s_mov_b64 s[54:55], 0
.LBB316_945:
	s_andn2_b64 vcc, exec, s[54:55]
	s_cbranch_vccnz .LBB316_961
; %bb.946:
	s_cmp_lt_i32 s14, 2
	s_mov_b64 s[54:55], -1
	s_cbranch_scc1 .LBB316_956
; %bb.947:
	s_cmp_lt_i32 s14, 3
	s_cbranch_scc1 .LBB316_953
; %bb.948:
	s_cmp_gt_i32 s14, 3
	s_cbranch_scc0 .LBB316_950
; %bb.949:
	s_mov_b32 s54, 0
	v_cndmask_b32_e64 v2, 0, 1, s[2:3]
	v_mov_b32_e32 v3, s54
	s_mov_b64 s[54:55], 0
	global_store_dwordx2 v[0:1], v[2:3], off
.LBB316_950:
	s_andn2_b64 vcc, exec, s[54:55]
	s_cbranch_vccnz .LBB316_952
; %bb.951:
	v_cndmask_b32_e64 v2, 0, 1, s[2:3]
	global_store_dword v[0:1], v2, off
.LBB316_952:
	s_mov_b64 s[54:55], 0
.LBB316_953:
	s_andn2_b64 vcc, exec, s[54:55]
	s_cbranch_vccnz .LBB316_955
; %bb.954:
	v_cndmask_b32_e64 v2, 0, 1, s[2:3]
	global_store_short v[0:1], v2, off
.LBB316_955:
	s_mov_b64 s[54:55], 0
.LBB316_956:
	s_andn2_b64 vcc, exec, s[54:55]
	s_cbranch_vccnz .LBB316_961
; %bb.957:
	s_mov_b64 s[54:55], -1
	s_cmp_gt_i32 s14, 0
	v_cndmask_b32_e64 v2, 0, 1, s[2:3]
	s_cbranch_scc0 .LBB316_959
; %bb.958:
	s_mov_b64 s[54:55], 0
	global_store_byte v[0:1], v2, off
.LBB316_959:
	s_andn2_b64 vcc, exec, s[54:55]
	s_cbranch_vccnz .LBB316_961
; %bb.960:
	global_store_byte v[0:1], v2, off
.LBB316_961:
	s_mov_b64 s[54:55], -1
.LBB316_962:
	s_andn2_b64 vcc, exec, s[54:55]
	s_cbranch_vccnz .LBB316_974
; %bb.963:
	v_add_u32_e32 v8, 0x80, v8
	s_mov_b64 s[2:3], -1
.LBB316_964:
	s_andn2_b64 s[54:55], s[42:43], exec
	s_and_b64 s[6:7], s[6:7], exec
	s_or_b64 s[54:55], s[54:55], s[6:7]
	s_andn2_b64 s[6:7], s[44:45], exec
	s_and_b64 s[52:53], s[52:53], exec
	s_or_b64 s[52:53], s[6:7], s[52:53]
	;; [unrolled: 3-line block ×3, first 2 shown]
	s_orn2_b64 s[6:7], s[2:3], exec
.LBB316_965:
	s_or_b64 exec, exec, s[56:57]
	s_mov_b64 s[2:3], 0
	s_mov_b64 s[58:59], 0
	;; [unrolled: 1-line block ×3, first 2 shown]
                                        ; implicit-def: $sgpr14
                                        ; implicit-def: $vgpr3_vgpr4
                                        ; implicit-def: $vgpr0
                                        ; implicit-def: $vgpr2
                                        ; implicit-def: $vgpr5
	s_and_saveexec_b64 s[56:57], s[6:7]
	s_cbranch_execz .LBB316_1564
; %bb.966:
	v_cmp_gt_i32_e32 vcc, s70, v8
	s_mov_b64 s[68:69], -1
	s_mov_b64 s[6:7], s[50:51]
	s_mov_b64 s[62:63], s[52:53]
	;; [unrolled: 1-line block ×3, first 2 shown]
	s_and_saveexec_b64 s[58:59], vcc
	s_cbranch_execz .LBB316_1450
; %bb.967:
	s_andn2_b64 vcc, exec, s[28:29]
	s_cbranch_vccnz .LBB316_973
; %bb.968:
	s_andn2_b64 vcc, exec, s[40:41]
	s_cbranch_vccnz .LBB316_975
; %bb.969:
	s_add_i32 s2, s75, 1
	s_and_b32 s6, s2, 30
	s_add_u32 s2, s24, 0xffffffe8
	s_addc_u32 s3, s25, -1
	v_mov_b32_e32 v2, 0
	v_mov_b32_e32 v4, 0
	;; [unrolled: 1-line block ×4, first 2 shown]
.LBB316_970:                            ; =>This Inner Loop Header: Depth=1
	s_load_dwordx4 s[60:63], s[2:3], 0x1c
	s_load_dwordx2 s[68:69], s[2:3], 0x2c
	s_load_dwordx2 s[76:77], s[2:3], 0xec
	s_load_dwordx4 s[64:67], s[2:3], 0xdc
	s_add_u32 s2, s2, 24
	s_waitcnt vmcnt(0) lgkmcnt(0)
	v_mul_hi_u32 v3, s61, v1
	s_addc_u32 s3, s3, 0
	s_add_i32 s6, s6, -2
	s_cmp_eq_u32 s6, 0
	v_add_u32_e32 v3, v1, v3
	v_lshrrev_b32_e32 v3, s62, v3
	v_mul_lo_u32 v5, v3, s60
	v_mul_hi_u32 v6, s68, v3
	v_sub_u32_e32 v5, v1, v5
	v_add_u32_e32 v1, v3, v6
	v_lshrrev_b32_e32 v1, s69, v1
	v_mul_lo_u32 v9, v1, s63
	v_mul_lo_u32 v6, v5, s64
	;; [unrolled: 1-line block ×4, first 2 shown]
	v_sub_u32_e32 v3, v3, v9
	v_mul_lo_u32 v9, v3, s67
	v_mul_lo_u32 v10, v3, s76
	;; [unrolled: 1-line block ×3, first 2 shown]
	v_add3_u32 v0, v6, v0, v9
	v_add3_u32 v4, v7, v4, v10
	;; [unrolled: 1-line block ×3, first 2 shown]
	s_cbranch_scc0 .LBB316_970
; %bb.971:
	s_bitcmp1_b32 s75, 0
	s_cselect_b64 s[6:7], -1, 0
	s_and_b64 vcc, exec, s[6:7]
	s_cbranch_vccnz .LBB316_976
; %bb.972:
	s_load_dwordx2 s[6:7], s[2:3], 0x1c
	s_load_dword s14, s[2:3], 0x24
	s_load_dwordx2 s[60:61], s[2:3], 0xdc
	s_waitcnt lgkmcnt(0)
	v_mul_hi_u32 v3, s7, v1
	v_add_u32_e32 v3, v1, v3
	v_lshrrev_b32_e32 v3, s14, v3
	v_mul_lo_u32 v3, v3, s6
	s_load_dword s6, s[2:3], 0xe4
	v_sub_u32_e32 v3, v1, v3
	v_mad_u64_u32 v[0:1], s[2:3], v3, s60, v[0:1]
	v_mad_u64_u32 v[4:5], s[2:3], v3, s61, v[4:5]
	s_waitcnt lgkmcnt(0)
	v_mad_u64_u32 v[2:3], s[2:3], v3, s6, v[2:3]
	s_branch .LBB316_976
.LBB316_973:
	s_mov_b64 s[2:3], -1
                                        ; implicit-def: $vgpr0
                                        ; implicit-def: $vgpr4
                                        ; implicit-def: $vgpr2
	s_branch .LBB316_977
.LBB316_974:
	s_mov_b64 s[2:3], 0
	s_branch .LBB316_682
.LBB316_975:
	v_mov_b32_e32 v0, 0
	v_mov_b32_e32 v4, 0
	;; [unrolled: 1-line block ×3, first 2 shown]
.LBB316_976:
	s_mov_b64 s[2:3], 0
.LBB316_977:
	s_andn2_b64 vcc, exec, s[2:3]
	s_cbranch_vccnz .LBB316_980
; %bb.978:
	v_mul_hi_u32 v0, s17, v8
	s_andn2_b64 vcc, exec, s[38:39]
	v_add_u32_e32 v0, v8, v0
	v_lshrrev_b32_e32 v1, s18, v0
	v_mul_lo_u32 v0, v1, s16
	v_sub_u32_e32 v2, v8, v0
	v_mul_lo_u32 v0, v2, s20
	v_mul_lo_u32 v4, v2, s21
	;; [unrolled: 1-line block ×3, first 2 shown]
	s_cbranch_vccnz .LBB316_980
; %bb.979:
	s_waitcnt vmcnt(0)
	v_mul_hi_u32 v3, s36, v1
	v_add_u32_e32 v3, v1, v3
	v_lshrrev_b32_e32 v3, s37, v3
	v_mul_lo_u32 v3, v3, s19
	v_sub_u32_e32 v3, v1, v3
	v_mad_u64_u32 v[0:1], s[2:3], v3, s23, v[0:1]
	v_mad_u64_u32 v[4:5], s[2:3], v3, s34, v[4:5]
	;; [unrolled: 1-line block ×3, first 2 shown]
.LBB316_980:
	v_mov_b32_e32 v1, s11
	s_and_b32 s14, s74, 0xff
	s_waitcnt vmcnt(0)
	v_add_co_u32_e32 v3, vcc, s10, v4
	s_cmp_lt_i32 s14, 11
	v_addc_co_u32_e32 v4, vcc, 0, v1, vcc
	s_cbranch_scc1 .LBB316_989
; %bb.981:
	s_and_b32 s64, 0xffff, s14
	s_cmp_gt_i32 s64, 25
	s_cbranch_scc0 .LBB316_990
; %bb.982:
	s_cmp_gt_i32 s64, 28
	s_cbranch_scc0 .LBB316_991
; %bb.983:
	s_cmp_gt_i32 s64, 43
	s_cbranch_scc0 .LBB316_992
; %bb.984:
	s_cmp_gt_i32 s64, 45
	s_cbranch_scc0 .LBB316_993
; %bb.985:
	s_cmp_eq_u32 s64, 46
	s_mov_b64 s[6:7], 0
	s_cbranch_scc0 .LBB316_996
; %bb.986:
	global_load_dword v1, v[3:4], off
	s_movk_i32 s2, 0xff
	v_mov_b32_e32 v5, 0xff
	s_waitcnt vmcnt(0)
	v_lshlrev_b32_e32 v6, 16, v1
	v_bfe_u32 v7, v6, 23, 8
	v_cmp_ne_u32_e32 vcc, s2, v7
	s_and_saveexec_b64 s[60:61], vcc
; %bb.987:
	v_bfe_u32 v5, v1, 7, 9
	v_and_b32_e32 v1, 64, v1
	s_mov_b32 s2, 0x3f0000
	v_cmp_ne_u32_e32 vcc, 0, v1
	v_and_or_b32 v1, v6, s2, v7
	v_cmp_ne_u32_e64 s[2:3], 0, v1
	s_and_b64 s[2:3], vcc, s[2:3]
	v_cndmask_b32_e64 v1, 0, 1, s[2:3]
	v_add_u32_e32 v5, v5, v1
; %bb.988:
	s_or_b64 exec, exec, s[60:61]
	s_mov_b64 s[2:3], -1
	s_mov_b64 s[60:61], 0
	s_branch .LBB316_997
.LBB316_989:
	s_mov_b64 s[6:7], -1
	s_mov_b64 s[2:3], 0
                                        ; implicit-def: $vgpr5
	s_mov_b64 s[60:61], s[50:51]
	s_branch .LBB316_1080
.LBB316_990:
	s_mov_b64 s[6:7], -1
	s_mov_b64 s[2:3], 0
	s_mov_b64 s[60:61], s[50:51]
                                        ; implicit-def: $vgpr5
	s_branch .LBB316_1034
.LBB316_991:
	s_mov_b64 s[6:7], -1
	s_mov_b64 s[2:3], 0
	s_mov_b64 s[60:61], s[50:51]
                                        ; implicit-def: $vgpr5
	s_branch .LBB316_1009
.LBB316_992:
	s_mov_b64 s[6:7], -1
	s_mov_b64 s[2:3], 0
	s_mov_b64 s[60:61], s[50:51]
                                        ; implicit-def: $vgpr5
	s_branch .LBB316_1002
.LBB316_993:
	s_mov_b64 s[6:7], -1
	s_mov_b64 s[2:3], 0
	s_mov_b64 s[60:61], s[50:51]
                                        ; implicit-def: $vgpr5
	s_branch .LBB316_997
.LBB316_994:
	s_andn2_saveexec_b64 s[60:61], s[60:61]
	s_cbranch_execz .LBB316_875
.LBB316_995:
	v_add_f32_e32 v2, 0x46000000, v3
	v_and_b32_e32 v2, 0xff, v2
	v_cmp_ne_u32_e32 vcc, 0, v2
	s_andn2_b64 s[58:59], s[58:59], exec
	s_and_b64 s[64:65], vcc, exec
	s_or_b64 s[58:59], s[58:59], s[64:65]
	s_or_b64 exec, exec, s[60:61]
	v_mov_b32_e32 v4, 0
	s_and_saveexec_b64 s[60:61], s[58:59]
	s_cbranch_execnz .LBB316_876
	s_branch .LBB316_877
.LBB316_996:
	s_mov_b64 s[60:61], -1
                                        ; implicit-def: $vgpr5
	s_mov_b64 s[2:3], 0
.LBB316_997:
	s_and_b64 vcc, exec, s[6:7]
	s_cbranch_vccz .LBB316_1001
; %bb.998:
	s_cmp_eq_u32 s64, 44
	s_cbranch_scc0 .LBB316_1000
; %bb.999:
	global_load_ubyte v5, v[3:4], off
	s_mov_b64 s[2:3], -1
	s_mov_b64 s[60:61], 0
	s_branch .LBB316_1001
.LBB316_1000:
	s_mov_b64 s[60:61], -1
                                        ; implicit-def: $vgpr5
.LBB316_1001:
	s_mov_b64 s[6:7], 0
.LBB316_1002:
	s_and_b64 vcc, exec, s[6:7]
	s_cbranch_vccz .LBB316_1008
; %bb.1003:
	s_cmp_eq_u32 s64, 29
	s_cbranch_scc0 .LBB316_1007
; %bb.1004:
	global_load_dwordx2 v[5:6], v[3:4], off
	s_movk_i32 s2, 0xff
	s_waitcnt vmcnt(0)
	v_ffbh_u32_e32 v1, v6
	v_min_u32_e32 v1, 32, v1
	v_lshlrev_b64 v[5:6], v1, v[5:6]
	v_sub_u32_e32 v1, 32, v1
	v_min_u32_e32 v5, 1, v5
	v_or_b32_e32 v5, v6, v5
	v_cvt_f32_u32_e32 v5, v5
	v_ldexp_f32 v6, v5, v1
	v_lshrrev_b32_e32 v1, 23, v6
	v_cmp_ne_u32_e32 vcc, s2, v1
	v_mov_b32_e32 v5, 0xff
	s_and_saveexec_b64 s[6:7], vcc
; %bb.1005:
	v_and_b32_e32 v5, 0x400000, v6
	s_mov_b32 s2, 0x3fffff
	v_cmp_ne_u32_e32 vcc, 0, v5
	v_and_or_b32 v5, v6, s2, v1
	v_cmp_ne_u32_e64 s[2:3], 0, v5
	s_and_b64 s[2:3], vcc, s[2:3]
	v_cndmask_b32_e64 v5, 0, 1, s[2:3]
	v_add_u32_e32 v5, v1, v5
; %bb.1006:
	s_or_b64 exec, exec, s[6:7]
	s_mov_b64 s[2:3], -1
	s_mov_b64 s[60:61], 0
	s_branch .LBB316_1008
.LBB316_1007:
	s_mov_b64 s[60:61], -1
                                        ; implicit-def: $vgpr5
.LBB316_1008:
	s_mov_b64 s[6:7], 0
.LBB316_1009:
	s_and_b64 vcc, exec, s[6:7]
	s_cbranch_vccz .LBB316_1033
; %bb.1010:
	s_cmp_lt_i32 s64, 27
	s_cbranch_scc1 .LBB316_1015
; %bb.1011:
	s_cmp_gt_i32 s64, 27
	s_cbranch_scc0 .LBB316_1016
; %bb.1012:
	global_load_dword v1, v[3:4], off
	s_movk_i32 s2, 0xff
	s_waitcnt vmcnt(1)
	v_mov_b32_e32 v5, 0xff
	s_waitcnt vmcnt(0)
	v_cvt_f32_u32_e32 v6, v1
	v_lshrrev_b32_e32 v1, 23, v6
	v_cmp_ne_u32_e32 vcc, s2, v1
	s_and_saveexec_b64 s[6:7], vcc
; %bb.1013:
	v_and_b32_e32 v5, 0x400000, v6
	s_mov_b32 s2, 0x3fffff
	v_cmp_ne_u32_e32 vcc, 0, v5
	v_and_or_b32 v5, v6, s2, v1
	v_cmp_ne_u32_e64 s[2:3], 0, v5
	s_and_b64 s[2:3], vcc, s[2:3]
	v_cndmask_b32_e64 v5, 0, 1, s[2:3]
	v_add_u32_e32 v5, v1, v5
; %bb.1014:
	s_or_b64 exec, exec, s[6:7]
	s_mov_b64 s[2:3], 0
	s_branch .LBB316_1017
.LBB316_1015:
	s_mov_b64 s[2:3], -1
                                        ; implicit-def: $vgpr5
	s_branch .LBB316_1022
.LBB316_1016:
	s_mov_b64 s[2:3], -1
                                        ; implicit-def: $vgpr5
.LBB316_1017:
	s_andn2_b64 vcc, exec, s[2:3]
	s_cbranch_vccnz .LBB316_1021
; %bb.1018:
	global_load_ushort v1, v[3:4], off
	s_movk_i32 s2, 0xff
	s_waitcnt vmcnt(1)
	v_mov_b32_e32 v5, 0xff
	s_waitcnt vmcnt(0)
	v_cvt_f32_u32_e32 v6, v1
	v_lshrrev_b32_e32 v1, 23, v6
	v_cmp_ne_u32_e32 vcc, s2, v1
	s_and_saveexec_b64 s[6:7], vcc
; %bb.1019:
	v_and_b32_e32 v5, 0x400000, v6
	s_mov_b32 s2, 0x3fffff
	v_cmp_ne_u32_e32 vcc, 0, v5
	v_and_or_b32 v5, v6, s2, v1
	v_cmp_ne_u32_e64 s[2:3], 0, v5
	s_and_b64 s[2:3], vcc, s[2:3]
	v_cndmask_b32_e64 v5, 0, 1, s[2:3]
	v_add_u32_e32 v5, v1, v5
; %bb.1020:
	s_or_b64 exec, exec, s[6:7]
.LBB316_1021:
	s_mov_b64 s[2:3], 0
.LBB316_1022:
	s_andn2_b64 vcc, exec, s[2:3]
	s_cbranch_vccnz .LBB316_1032
; %bb.1023:
	global_load_ubyte v1, v[3:4], off
	s_movk_i32 s2, 0x7f
	s_waitcnt vmcnt(0)
	v_cmp_lt_i16_e32 vcc, s2, v1
	s_mov_b64 s[2:3], 0
	s_and_saveexec_b64 s[6:7], vcc
	s_xor_b64 s[6:7], exec, s[6:7]
	s_cbranch_execz .LBB316_1048
; %bb.1024:
	s_movk_i32 s2, 0x80
	v_cmp_eq_u16_e32 vcc, s2, v1
	s_mov_b64 s[2:3], -1
	s_and_saveexec_b64 s[62:63], vcc
; %bb.1025:
	s_xor_b64 s[2:3], exec, -1
; %bb.1026:
	s_or_b64 exec, exec, s[62:63]
	s_and_b64 s[2:3], s[2:3], exec
	s_or_saveexec_b64 s[6:7], s[6:7]
	v_mov_b32_e32 v6, 0x7f800001
	s_xor_b64 exec, exec, s[6:7]
	s_cbranch_execnz .LBB316_1049
.LBB316_1027:
	s_or_b64 exec, exec, s[6:7]
	s_and_saveexec_b64 s[6:7], s[2:3]
	s_cbranch_execz .LBB316_1029
.LBB316_1028:
	v_and_b32_e32 v1, 0xffff, v1
	v_and_b32_e32 v5, 7, v1
	v_ffbh_u32_e32 v7, v5
	v_min_u32_e32 v7, 32, v7
	v_subrev_u32_e32 v9, 28, v7
	v_bfe_u32 v6, v1, 3, 4
	v_lshlrev_b32_e32 v1, v9, v1
	v_and_b32_e32 v1, 7, v1
	v_cmp_eq_u32_e32 vcc, 0, v6
	v_sub_u32_e32 v7, 29, v7
	v_cndmask_b32_e32 v1, v5, v1, vcc
	v_cndmask_b32_e32 v6, v6, v7, vcc
	v_lshlrev_b32_e32 v1, 20, v1
	v_lshl_or_b32 v1, v6, 23, v1
	v_add_u32_e32 v6, 0x3b800000, v1
.LBB316_1029:
	s_or_b64 exec, exec, s[6:7]
	v_lshrrev_b32_e32 v1, 23, v6
	s_movk_i32 s2, 0xff
	v_cmp_ne_u32_e32 vcc, s2, v1
	v_mov_b32_e32 v5, 0xff
	s_and_saveexec_b64 s[6:7], vcc
; %bb.1030:
	v_and_b32_e32 v5, 0x400000, v6
	s_mov_b32 s2, 0x3fffff
	v_cmp_ne_u32_e32 vcc, 0, v5
	v_and_or_b32 v5, v6, s2, v1
	v_cmp_ne_u32_e64 s[2:3], 0, v5
	s_and_b64 s[2:3], vcc, s[2:3]
	v_cndmask_b32_e64 v5, 0, 1, s[2:3]
	v_add_u32_e32 v5, v1, v5
; %bb.1031:
	s_or_b64 exec, exec, s[6:7]
.LBB316_1032:
	s_mov_b64 s[2:3], -1
.LBB316_1033:
	s_mov_b64 s[6:7], 0
.LBB316_1034:
	s_and_b64 vcc, exec, s[6:7]
	s_cbranch_vccz .LBB316_1079
; %bb.1035:
	s_cmp_gt_i32 s64, 22
	s_cbranch_scc0 .LBB316_1047
; %bb.1036:
	s_cmp_lt_i32 s64, 24
	s_cbranch_scc1 .LBB316_1050
; %bb.1037:
	s_cmp_gt_i32 s64, 24
	s_cbranch_scc0 .LBB316_1051
; %bb.1038:
	global_load_ubyte v1, v[3:4], off
	s_movk_i32 s2, 0x7f
	s_waitcnt vmcnt(0)
	v_cmp_lt_i16_e32 vcc, s2, v1
	s_mov_b64 s[2:3], 0
	s_and_saveexec_b64 s[6:7], vcc
	s_xor_b64 s[6:7], exec, s[6:7]
	s_cbranch_execz .LBB316_1069
; %bb.1039:
	s_movk_i32 s2, 0x80
	v_cmp_eq_u16_e32 vcc, s2, v1
	s_mov_b64 s[2:3], -1
	s_and_saveexec_b64 s[62:63], vcc
; %bb.1040:
	s_xor_b64 s[2:3], exec, -1
; %bb.1041:
	s_or_b64 exec, exec, s[62:63]
	s_and_b64 s[2:3], s[2:3], exec
	s_or_saveexec_b64 s[6:7], s[6:7]
	v_mov_b32_e32 v6, 0x7f800001
	s_xor_b64 exec, exec, s[6:7]
	s_cbranch_execnz .LBB316_1070
.LBB316_1042:
	s_or_b64 exec, exec, s[6:7]
	s_and_saveexec_b64 s[6:7], s[2:3]
	s_cbranch_execz .LBB316_1044
.LBB316_1043:
	v_and_b32_e32 v1, 0xffff, v1
	v_and_b32_e32 v5, 3, v1
	v_ffbh_u32_e32 v7, v5
	v_min_u32_e32 v7, 32, v7
	v_subrev_u32_e32 v9, 29, v7
	v_bfe_u32 v6, v1, 2, 5
	v_lshlrev_b32_e32 v1, v9, v1
	v_and_b32_e32 v1, 3, v1
	v_cmp_eq_u32_e32 vcc, 0, v6
	v_sub_u32_e32 v7, 30, v7
	v_cndmask_b32_e32 v1, v5, v1, vcc
	v_cndmask_b32_e32 v6, v6, v7, vcc
	v_lshlrev_b32_e32 v1, 21, v1
	v_lshl_or_b32 v1, v6, 23, v1
	v_add_u32_e32 v6, 0x37800000, v1
.LBB316_1044:
	s_or_b64 exec, exec, s[6:7]
	v_lshrrev_b32_e32 v1, 23, v6
	s_movk_i32 s2, 0xff
	v_cmp_ne_u32_e32 vcc, s2, v1
	v_mov_b32_e32 v5, 0xff
	s_and_saveexec_b64 s[6:7], vcc
; %bb.1045:
	v_and_b32_e32 v5, 0x400000, v6
	s_mov_b32 s2, 0x3fffff
	v_cmp_ne_u32_e32 vcc, 0, v5
	v_and_or_b32 v5, v6, s2, v1
	v_cmp_ne_u32_e64 s[2:3], 0, v5
	s_and_b64 s[2:3], vcc, s[2:3]
	v_cndmask_b32_e64 v5, 0, 1, s[2:3]
	v_add_u32_e32 v5, v1, v5
; %bb.1046:
	s_or_b64 exec, exec, s[6:7]
	s_mov_b64 s[2:3], 0
	s_branch .LBB316_1052
.LBB316_1047:
	s_mov_b64 s[6:7], -1
                                        ; implicit-def: $vgpr5
	s_branch .LBB316_1062
.LBB316_1048:
	s_or_saveexec_b64 s[6:7], s[6:7]
	v_mov_b32_e32 v6, 0x7f800001
	s_xor_b64 exec, exec, s[6:7]
	s_cbranch_execz .LBB316_1027
.LBB316_1049:
	v_cmp_ne_u16_e32 vcc, 0, v1
	s_andn2_b64 s[2:3], s[2:3], exec
	s_and_b64 s[62:63], vcc, exec
	v_and_b32_e32 v6, 0xffff, v1
	s_or_b64 s[2:3], s[2:3], s[62:63]
	s_or_b64 exec, exec, s[6:7]
	s_and_saveexec_b64 s[6:7], s[2:3]
	s_cbranch_execnz .LBB316_1028
	s_branch .LBB316_1029
.LBB316_1050:
	s_mov_b64 s[2:3], -1
                                        ; implicit-def: $vgpr5
	s_branch .LBB316_1057
.LBB316_1051:
	s_mov_b64 s[2:3], -1
                                        ; implicit-def: $vgpr5
.LBB316_1052:
	s_and_b64 vcc, exec, s[2:3]
	s_cbranch_vccz .LBB316_1056
; %bb.1053:
	global_load_ubyte v1, v[3:4], off
	s_mov_b32 s2, 0x7f800000
	s_movk_i32 s3, 0xff
	s_waitcnt vmcnt(0)
	v_lshlrev_b32_e32 v1, 24, v1
	v_and_b32_e32 v1, 0x7f000000, v1
	v_ffbh_u32_e32 v5, v1
	v_min_u32_e32 v5, 32, v5
	v_sub_u32_e64 v5, v5, 4 clamp
	v_lshlrev_b32_e32 v7, v5, v1
	v_lshlrev_b32_e32 v5, 23, v5
	v_lshrrev_b32_e32 v7, 4, v7
	v_add_u32_e32 v6, 0x1000000, v1
	v_sub_u32_e32 v5, v7, v5
	v_ashrrev_i32_e32 v6, 8, v6
	v_add_u32_e32 v5, 0x3c000000, v5
	v_and_or_b32 v5, v6, s2, v5
	v_cmp_ne_u32_e32 vcc, 0, v1
	v_cndmask_b32_e32 v6, 0, v5, vcc
	v_lshrrev_b32_e32 v1, 23, v6
	v_cmp_ne_u32_e32 vcc, s3, v1
	v_mov_b32_e32 v5, 0xff
	s_and_saveexec_b64 s[6:7], vcc
; %bb.1054:
	v_and_b32_e32 v5, 0x400000, v6
	s_mov_b32 s2, 0x3fffff
	v_cmp_ne_u32_e32 vcc, 0, v5
	v_and_or_b32 v5, v6, s2, v1
	v_cmp_ne_u32_e64 s[2:3], 0, v5
	s_and_b64 s[2:3], vcc, s[2:3]
	v_cndmask_b32_e64 v5, 0, 1, s[2:3]
	v_add_u32_e32 v5, v1, v5
; %bb.1055:
	s_or_b64 exec, exec, s[6:7]
.LBB316_1056:
	s_mov_b64 s[2:3], 0
.LBB316_1057:
	s_andn2_b64 vcc, exec, s[2:3]
	s_cbranch_vccnz .LBB316_1061
; %bb.1058:
	global_load_ubyte v1, v[3:4], off
	s_movk_i32 s2, 0x7f00
	s_brev_b32 s3, 16
	s_movk_i32 s6, 0xff
	s_waitcnt vmcnt(0)
	v_lshlrev_b32_e32 v5, 8, v1
	v_lshlrev_b32_e32 v1, 25, v1
	v_lshrrev_b32_e32 v6, 4, v1
	v_and_or_b32 v5, v5, s2, 0.5
	v_or_b32_e32 v6, 0x70000000, v6
	v_add_f32_e32 v5, -0.5, v5
	v_mul_f32_e32 v6, 0x7800000, v6
	v_cmp_gt_u32_e32 vcc, s3, v1
	v_cndmask_b32_e32 v1, v6, v5, vcc
	v_bfe_u32 v6, v1, 23, 8
	v_cmp_ne_u32_e32 vcc, s6, v6
	v_mov_b32_e32 v5, 0xff
	s_and_saveexec_b64 s[6:7], vcc
; %bb.1059:
	s_mov_b32 s2, 0x3fffff
	v_lshrrev_b32_e32 v5, 23, v1
	v_and_b32_e32 v7, 0x400000, v1
	v_and_or_b32 v1, v1, s2, v6
	v_cmp_ne_u32_e32 vcc, 0, v7
	v_cmp_ne_u32_e64 s[2:3], 0, v1
	s_and_b64 s[2:3], vcc, s[2:3]
	v_cndmask_b32_e64 v1, 0, 1, s[2:3]
	v_add_u32_e32 v5, v5, v1
; %bb.1060:
	s_or_b64 exec, exec, s[6:7]
.LBB316_1061:
	s_mov_b64 s[6:7], 0
	s_mov_b64 s[2:3], -1
.LBB316_1062:
	s_andn2_b64 vcc, exec, s[6:7]
	s_cbranch_vccnz .LBB316_1079
; %bb.1063:
	s_cmp_gt_i32 s64, 14
	s_cbranch_scc0 .LBB316_1068
; %bb.1064:
	s_cmp_eq_u32 s64, 15
	s_cbranch_scc0 .LBB316_1071
; %bb.1065:
	global_load_ushort v1, v[3:4], off
	s_movk_i32 s2, 0xff
	s_waitcnt vmcnt(1)
	v_mov_b32_e32 v5, 0xff
	s_waitcnt vmcnt(0)
	v_bfe_u32 v6, v1, 7, 8
	v_cmp_ne_u32_e32 vcc, s2, v6
	s_and_saveexec_b64 s[6:7], vcc
	s_cbranch_execz .LBB316_1067
; %bb.1066:
	v_lshrrev_b32_e32 v5, 7, v1
	v_lshlrev_b32_e32 v7, 16, v1
	v_and_b32_e32 v1, 64, v1
	s_mov_b32 s2, 0x3f0000
	v_cmp_ne_u32_e32 vcc, 0, v1
	v_and_or_b32 v1, v7, s2, v6
	v_cmp_ne_u32_e64 s[2:3], 0, v1
	s_and_b64 s[2:3], vcc, s[2:3]
	v_cndmask_b32_e64 v1, 0, 1, s[2:3]
	v_add_u32_e32 v5, v5, v1
.LBB316_1067:
	s_or_b64 exec, exec, s[6:7]
	s_mov_b64 s[2:3], -1
	s_mov_b64 s[60:61], 0
	s_branch .LBB316_1072
.LBB316_1068:
	s_mov_b64 s[6:7], -1
                                        ; implicit-def: $vgpr5
	s_branch .LBB316_1073
.LBB316_1069:
	s_or_saveexec_b64 s[6:7], s[6:7]
	v_mov_b32_e32 v6, 0x7f800001
	s_xor_b64 exec, exec, s[6:7]
	s_cbranch_execz .LBB316_1042
.LBB316_1070:
	v_cmp_ne_u16_e32 vcc, 0, v1
	s_andn2_b64 s[2:3], s[2:3], exec
	s_and_b64 s[62:63], vcc, exec
	v_and_b32_e32 v6, 0xffff, v1
	s_or_b64 s[2:3], s[2:3], s[62:63]
	s_or_b64 exec, exec, s[6:7]
	s_and_saveexec_b64 s[6:7], s[2:3]
	s_cbranch_execnz .LBB316_1043
	s_branch .LBB316_1044
.LBB316_1071:
	s_mov_b64 s[60:61], -1
                                        ; implicit-def: $vgpr5
.LBB316_1072:
	s_mov_b64 s[6:7], 0
.LBB316_1073:
	s_and_b64 vcc, exec, s[6:7]
	s_cbranch_vccz .LBB316_1079
; %bb.1074:
	s_cmp_eq_u32 s64, 11
	s_cbranch_scc0 .LBB316_1078
; %bb.1075:
	global_load_ubyte v1, v[3:4], off
	s_movk_i32 s2, 0xff
	s_waitcnt vmcnt(1)
	v_mov_b32_e32 v5, 0xff
	s_waitcnt vmcnt(0)
	v_cmp_ne_u16_e32 vcc, 0, v1
	v_cndmask_b32_e64 v6, 0, 1.0, vcc
	v_lshrrev_b32_e32 v1, 23, v6
	v_cmp_ne_u32_e32 vcc, s2, v1
	s_and_saveexec_b64 s[6:7], vcc
; %bb.1076:
	v_and_b32_e32 v5, 0x400000, v6
	s_mov_b32 s2, 0x3fffff
	v_cmp_ne_u32_e32 vcc, 0, v5
	v_and_or_b32 v5, v6, s2, v1
	v_cmp_ne_u32_e64 s[2:3], 0, v5
	s_and_b64 s[2:3], vcc, s[2:3]
	v_cndmask_b32_e64 v5, 0, 1, s[2:3]
	v_add_u32_e32 v5, v1, v5
; %bb.1077:
	s_or_b64 exec, exec, s[6:7]
	s_mov_b64 s[2:3], -1
	s_mov_b64 s[60:61], 0
	s_branch .LBB316_1079
.LBB316_1078:
	s_mov_b64 s[60:61], -1
                                        ; implicit-def: $vgpr5
.LBB316_1079:
	s_mov_b64 s[6:7], 0
.LBB316_1080:
	s_and_b64 vcc, exec, s[6:7]
	s_cbranch_vccz .LBB316_1151
; %bb.1081:
	s_and_b32 s14, 0xffff, s14
	s_cmp_lt_i32 s14, 5
	s_cbranch_scc1 .LBB316_1088
; %bb.1082:
	s_cmp_lt_i32 s14, 8
	s_cbranch_scc1 .LBB316_1089
; %bb.1083:
	;; [unrolled: 3-line block ×3, first 2 shown]
	s_cmp_gt_i32 s14, 9
	s_cbranch_scc0 .LBB316_1091
; %bb.1085:
	global_load_dwordx2 v[5:6], v[3:4], off
	s_movk_i32 s2, 0xff
	s_waitcnt vmcnt(0)
	v_cvt_f32_f64_e32 v1, v[5:6]
	v_mov_b32_e32 v5, 0xff
	v_bfe_u32 v6, v1, 23, 8
	v_cmp_ne_u32_e32 vcc, s2, v6
	s_and_saveexec_b64 s[6:7], vcc
; %bb.1086:
	s_mov_b32 s2, 0x3fffff
	v_lshrrev_b32_e32 v5, 23, v1
	v_and_b32_e32 v7, 0x400000, v1
	v_and_or_b32 v1, v1, s2, v6
	v_cmp_ne_u32_e32 vcc, 0, v7
	v_cmp_ne_u32_e64 s[2:3], 0, v1
	s_and_b64 s[2:3], vcc, s[2:3]
	v_cndmask_b32_e64 v1, 0, 1, s[2:3]
	v_add_u32_e32 v5, v5, v1
; %bb.1087:
	s_or_b64 exec, exec, s[6:7]
	s_mov_b64 s[2:3], 0
	s_branch .LBB316_1092
.LBB316_1088:
	s_mov_b64 s[2:3], -1
                                        ; implicit-def: $vgpr5
	s_branch .LBB316_1120
.LBB316_1089:
	s_mov_b64 s[2:3], -1
                                        ; implicit-def: $vgpr5
	s_branch .LBB316_1102
.LBB316_1090:
	s_mov_b64 s[2:3], -1
                                        ; implicit-def: $vgpr5
	s_branch .LBB316_1097
.LBB316_1091:
	s_mov_b64 s[2:3], -1
                                        ; implicit-def: $vgpr5
.LBB316_1092:
	s_andn2_b64 vcc, exec, s[2:3]
	s_cbranch_vccnz .LBB316_1096
; %bb.1093:
	global_load_dword v1, v[3:4], off
	s_movk_i32 s2, 0xff
	s_waitcnt vmcnt(1)
	v_mov_b32_e32 v5, 0xff
	s_waitcnt vmcnt(0)
	v_bfe_u32 v6, v1, 23, 8
	v_cmp_ne_u32_e32 vcc, s2, v6
	s_and_saveexec_b64 s[6:7], vcc
; %bb.1094:
	s_mov_b32 s2, 0x3fffff
	v_lshrrev_b32_e32 v5, 23, v1
	v_and_b32_e32 v7, 0x400000, v1
	v_and_or_b32 v1, v1, s2, v6
	v_cmp_ne_u32_e32 vcc, 0, v7
	v_cmp_ne_u32_e64 s[2:3], 0, v1
	s_and_b64 s[2:3], vcc, s[2:3]
	v_cndmask_b32_e64 v1, 0, 1, s[2:3]
	v_add_u32_e32 v5, v5, v1
; %bb.1095:
	s_or_b64 exec, exec, s[6:7]
.LBB316_1096:
	s_mov_b64 s[2:3], 0
.LBB316_1097:
	s_andn2_b64 vcc, exec, s[2:3]
	s_cbranch_vccnz .LBB316_1101
; %bb.1098:
	global_load_dword v1, v[3:4], off
	s_movk_i32 s2, 0xff
	s_waitcnt vmcnt(1)
	v_mov_b32_e32 v5, 0xff
	s_waitcnt vmcnt(0)
	v_cvt_f32_f16_e32 v1, v1
	v_bfe_u32 v6, v1, 23, 8
	v_cmp_ne_u32_e32 vcc, s2, v6
	s_and_saveexec_b64 s[6:7], vcc
; %bb.1099:
	s_mov_b32 s2, 0x3fffff
	v_lshrrev_b32_e32 v5, 23, v1
	v_and_b32_e32 v7, 0x400000, v1
	v_and_or_b32 v1, v1, s2, v6
	v_cmp_ne_u32_e32 vcc, 0, v7
	v_cmp_ne_u32_e64 s[2:3], 0, v1
	s_and_b64 s[2:3], vcc, s[2:3]
	v_cndmask_b32_e64 v1, 0, 1, s[2:3]
	v_add_u32_e32 v5, v5, v1
; %bb.1100:
	s_or_b64 exec, exec, s[6:7]
.LBB316_1101:
	s_mov_b64 s[2:3], 0
.LBB316_1102:
	s_andn2_b64 vcc, exec, s[2:3]
	s_cbranch_vccnz .LBB316_1119
; %bb.1103:
	s_cmp_lt_i32 s14, 6
	s_cbranch_scc1 .LBB316_1108
; %bb.1104:
	s_cmp_gt_i32 s14, 6
	s_cbranch_scc0 .LBB316_1109
; %bb.1105:
	global_load_dwordx2 v[5:6], v[3:4], off
	s_movk_i32 s2, 0xff
	s_waitcnt vmcnt(0)
	v_cvt_f32_f64_e32 v1, v[5:6]
	v_mov_b32_e32 v5, 0xff
	v_bfe_u32 v6, v1, 23, 8
	v_cmp_ne_u32_e32 vcc, s2, v6
	s_and_saveexec_b64 s[6:7], vcc
; %bb.1106:
	s_mov_b32 s2, 0x3fffff
	v_lshrrev_b32_e32 v5, 23, v1
	v_and_b32_e32 v7, 0x400000, v1
	v_and_or_b32 v1, v1, s2, v6
	v_cmp_ne_u32_e32 vcc, 0, v7
	v_cmp_ne_u32_e64 s[2:3], 0, v1
	s_and_b64 s[2:3], vcc, s[2:3]
	v_cndmask_b32_e64 v1, 0, 1, s[2:3]
	v_add_u32_e32 v5, v5, v1
; %bb.1107:
	s_or_b64 exec, exec, s[6:7]
	s_mov_b64 s[2:3], 0
	s_branch .LBB316_1110
.LBB316_1108:
	s_mov_b64 s[2:3], -1
                                        ; implicit-def: $vgpr5
	s_branch .LBB316_1115
.LBB316_1109:
	s_mov_b64 s[2:3], -1
                                        ; implicit-def: $vgpr5
.LBB316_1110:
	s_andn2_b64 vcc, exec, s[2:3]
	s_cbranch_vccnz .LBB316_1114
; %bb.1111:
	global_load_dword v1, v[3:4], off
	s_movk_i32 s2, 0xff
	s_waitcnt vmcnt(1)
	v_mov_b32_e32 v5, 0xff
	s_waitcnt vmcnt(0)
	v_bfe_u32 v6, v1, 23, 8
	v_cmp_ne_u32_e32 vcc, s2, v6
	s_and_saveexec_b64 s[6:7], vcc
; %bb.1112:
	s_mov_b32 s2, 0x3fffff
	v_lshrrev_b32_e32 v5, 23, v1
	v_and_b32_e32 v7, 0x400000, v1
	v_and_or_b32 v1, v1, s2, v6
	v_cmp_ne_u32_e32 vcc, 0, v7
	v_cmp_ne_u32_e64 s[2:3], 0, v1
	s_and_b64 s[2:3], vcc, s[2:3]
	v_cndmask_b32_e64 v1, 0, 1, s[2:3]
	v_add_u32_e32 v5, v5, v1
; %bb.1113:
	s_or_b64 exec, exec, s[6:7]
.LBB316_1114:
	s_mov_b64 s[2:3], 0
.LBB316_1115:
	s_andn2_b64 vcc, exec, s[2:3]
	s_cbranch_vccnz .LBB316_1119
; %bb.1116:
	global_load_ushort v1, v[3:4], off
	s_movk_i32 s2, 0xff
	s_waitcnt vmcnt(1)
	v_mov_b32_e32 v5, 0xff
	s_waitcnt vmcnt(0)
	v_cvt_f32_f16_e32 v1, v1
	v_bfe_u32 v6, v1, 23, 8
	v_cmp_ne_u32_e32 vcc, s2, v6
	s_and_saveexec_b64 s[6:7], vcc
; %bb.1117:
	s_mov_b32 s2, 0x3fffff
	v_lshrrev_b32_e32 v5, 23, v1
	v_and_b32_e32 v7, 0x400000, v1
	v_and_or_b32 v1, v1, s2, v6
	v_cmp_ne_u32_e32 vcc, 0, v7
	v_cmp_ne_u32_e64 s[2:3], 0, v1
	s_and_b64 s[2:3], vcc, s[2:3]
	v_cndmask_b32_e64 v1, 0, 1, s[2:3]
	v_add_u32_e32 v5, v5, v1
; %bb.1118:
	s_or_b64 exec, exec, s[6:7]
.LBB316_1119:
	s_mov_b64 s[2:3], 0
.LBB316_1120:
	s_andn2_b64 vcc, exec, s[2:3]
	s_cbranch_vccnz .LBB316_1150
; %bb.1121:
	s_cmp_lt_i32 s14, 2
	s_cbranch_scc1 .LBB316_1127
; %bb.1122:
	s_cmp_lt_i32 s14, 3
	s_cbranch_scc1 .LBB316_1128
; %bb.1123:
	s_cmp_gt_i32 s14, 3
	s_cbranch_scc0 .LBB316_1129
; %bb.1124:
	global_load_dwordx2 v[5:6], v[3:4], off
	s_movk_i32 s2, 0xff
	s_waitcnt vmcnt(0)
	v_xor_b32_e32 v7, v5, v6
	v_ffbh_i32_e32 v1, v6
	v_ashrrev_i32_e32 v7, 31, v7
	v_add_u32_e32 v1, -1, v1
	v_add_u32_e32 v7, 32, v7
	v_min_u32_e32 v1, v1, v7
	v_lshlrev_b64 v[5:6], v1, v[5:6]
	v_sub_u32_e32 v1, 32, v1
	v_min_u32_e32 v5, 1, v5
	v_or_b32_e32 v5, v6, v5
	v_cvt_f32_i32_e32 v5, v5
	v_ldexp_f32 v1, v5, v1
	v_bfe_u32 v6, v1, 23, 8
	v_cmp_ne_u32_e32 vcc, s2, v6
	v_mov_b32_e32 v5, 0xff
	s_and_saveexec_b64 s[6:7], vcc
; %bb.1125:
	s_mov_b32 s2, 0x3fffff
	v_lshrrev_b32_e32 v5, 23, v1
	v_and_b32_e32 v7, 0x400000, v1
	v_and_or_b32 v1, v1, s2, v6
	v_cmp_ne_u32_e32 vcc, 0, v7
	v_cmp_ne_u32_e64 s[2:3], 0, v1
	s_and_b64 s[2:3], vcc, s[2:3]
	v_cndmask_b32_e64 v1, 0, 1, s[2:3]
	v_add_u32_e32 v5, v5, v1
; %bb.1126:
	s_or_b64 exec, exec, s[6:7]
	s_mov_b64 s[2:3], 0
	s_branch .LBB316_1130
.LBB316_1127:
	s_mov_b64 s[2:3], -1
                                        ; implicit-def: $vgpr5
	s_branch .LBB316_1140
.LBB316_1128:
	s_mov_b64 s[2:3], -1
                                        ; implicit-def: $vgpr5
	s_branch .LBB316_1135
.LBB316_1129:
	s_mov_b64 s[2:3], -1
                                        ; implicit-def: $vgpr5
.LBB316_1130:
	s_andn2_b64 vcc, exec, s[2:3]
	s_cbranch_vccnz .LBB316_1134
; %bb.1131:
	global_load_dword v1, v[3:4], off
	s_movk_i32 s2, 0xff
	s_waitcnt vmcnt(1)
	v_mov_b32_e32 v5, 0xff
	s_waitcnt vmcnt(0)
	v_cvt_f32_i32_e32 v1, v1
	v_bfe_u32 v6, v1, 23, 8
	v_cmp_ne_u32_e32 vcc, s2, v6
	s_and_saveexec_b64 s[6:7], vcc
; %bb.1132:
	s_mov_b32 s2, 0x3fffff
	v_lshrrev_b32_e32 v5, 23, v1
	v_and_b32_e32 v7, 0x400000, v1
	v_and_or_b32 v1, v1, s2, v6
	v_cmp_ne_u32_e32 vcc, 0, v7
	v_cmp_ne_u32_e64 s[2:3], 0, v1
	s_and_b64 s[2:3], vcc, s[2:3]
	v_cndmask_b32_e64 v1, 0, 1, s[2:3]
	v_add_u32_e32 v5, v5, v1
; %bb.1133:
	s_or_b64 exec, exec, s[6:7]
.LBB316_1134:
	s_mov_b64 s[2:3], 0
.LBB316_1135:
	s_andn2_b64 vcc, exec, s[2:3]
	s_cbranch_vccnz .LBB316_1139
; %bb.1136:
	global_load_sshort v1, v[3:4], off
	s_movk_i32 s2, 0xff
	s_waitcnt vmcnt(1)
	v_mov_b32_e32 v5, 0xff
	s_waitcnt vmcnt(0)
	v_cvt_f32_i32_e32 v1, v1
	v_bfe_u32 v6, v1, 23, 8
	v_cmp_ne_u32_e32 vcc, s2, v6
	s_and_saveexec_b64 s[6:7], vcc
; %bb.1137:
	s_mov_b32 s2, 0x3fffff
	v_lshrrev_b32_e32 v5, 23, v1
	v_and_b32_e32 v7, 0x400000, v1
	v_and_or_b32 v1, v1, s2, v6
	v_cmp_ne_u32_e32 vcc, 0, v7
	v_cmp_ne_u32_e64 s[2:3], 0, v1
	s_and_b64 s[2:3], vcc, s[2:3]
	v_cndmask_b32_e64 v1, 0, 1, s[2:3]
	v_add_u32_e32 v5, v5, v1
; %bb.1138:
	s_or_b64 exec, exec, s[6:7]
.LBB316_1139:
	s_mov_b64 s[2:3], 0
.LBB316_1140:
	s_andn2_b64 vcc, exec, s[2:3]
	s_cbranch_vccnz .LBB316_1150
; %bb.1141:
	s_cmp_gt_i32 s14, 0
	s_cbranch_scc0 .LBB316_1145
; %bb.1142:
	global_load_sbyte v1, v[3:4], off
	s_movk_i32 s2, 0xff
	s_waitcnt vmcnt(1)
	v_mov_b32_e32 v5, 0xff
	s_waitcnt vmcnt(0)
	v_cvt_f32_i32_e32 v1, v1
	v_bfe_u32 v6, v1, 23, 8
	v_cmp_ne_u32_e32 vcc, s2, v6
	s_and_saveexec_b64 s[6:7], vcc
; %bb.1143:
	s_mov_b32 s2, 0x3fffff
	v_lshrrev_b32_e32 v5, 23, v1
	v_and_b32_e32 v7, 0x400000, v1
	v_and_or_b32 v1, v1, s2, v6
	v_cmp_ne_u32_e32 vcc, 0, v7
	v_cmp_ne_u32_e64 s[2:3], 0, v1
	s_and_b64 s[2:3], vcc, s[2:3]
	v_cndmask_b32_e64 v1, 0, 1, s[2:3]
	v_add_u32_e32 v5, v5, v1
; %bb.1144:
	s_or_b64 exec, exec, s[6:7]
	s_mov_b64 s[2:3], 0
	s_branch .LBB316_1146
.LBB316_1145:
	s_mov_b64 s[2:3], -1
                                        ; implicit-def: $vgpr5
.LBB316_1146:
	s_andn2_b64 vcc, exec, s[2:3]
	s_cbranch_vccnz .LBB316_1150
; %bb.1147:
	global_load_ubyte v1, v[3:4], off
	s_movk_i32 s2, 0xff
	s_waitcnt vmcnt(1)
	v_mov_b32_e32 v5, 0xff
	s_waitcnt vmcnt(0)
	v_cvt_f32_ubyte0_e32 v3, v1
	v_lshrrev_b32_e32 v1, 23, v3
	v_cmp_ne_u32_e32 vcc, s2, v1
	s_and_saveexec_b64 s[6:7], vcc
; %bb.1148:
	s_mov_b32 s2, 0x3fffff
	v_and_b32_e32 v4, 0x400000, v3
	v_and_or_b32 v3, v3, s2, v1
	v_cmp_ne_u32_e32 vcc, 0, v4
	v_cmp_ne_u32_e64 s[2:3], 0, v3
	s_and_b64 s[2:3], vcc, s[2:3]
	v_cndmask_b32_e64 v3, 0, 1, s[2:3]
	v_add_u32_e32 v5, v1, v3
; %bb.1149:
	s_or_b64 exec, exec, s[6:7]
.LBB316_1150:
	s_mov_b64 s[2:3], -1
.LBB316_1151:
	s_andn2_b64 vcc, exec, s[2:3]
	s_cbranch_vccnz .LBB316_1161
; %bb.1152:
	v_mov_b32_e32 v3, s13
	s_and_b32 s14, s73, 0xff
	v_add_co_u32_e32 v1, vcc, s12, v2
	s_cmp_lt_i32 s14, 11
	v_addc_co_u32_e32 v2, vcc, 0, v3, vcc
	s_cbranch_scc1 .LBB316_1163
; %bb.1153:
	s_and_b32 s66, 0xffff, s14
	s_cmp_gt_i32 s66, 25
	s_cbranch_scc0 .LBB316_1164
; %bb.1154:
	s_cmp_gt_i32 s66, 28
	s_cbranch_scc0 .LBB316_1165
; %bb.1155:
	;; [unrolled: 3-line block ×4, first 2 shown]
	s_cmp_eq_u32 s66, 46
	s_mov_b64 s[6:7], 0
	s_cbranch_scc0 .LBB316_1170
; %bb.1158:
	global_load_dword v4, v[1:2], off
	s_movk_i32 s2, 0xff
	v_mov_b32_e32 v3, 0xff
	s_waitcnt vmcnt(0)
	v_lshlrev_b32_e32 v6, 16, v4
	v_bfe_u32 v7, v6, 23, 8
	v_cmp_ne_u32_e32 vcc, s2, v7
	s_and_saveexec_b64 s[62:63], vcc
; %bb.1159:
	v_bfe_u32 v3, v4, 7, 9
	v_and_b32_e32 v4, 64, v4
	s_mov_b32 s2, 0x3f0000
	v_cmp_ne_u32_e32 vcc, 0, v4
	v_and_or_b32 v4, v6, s2, v7
	v_cmp_ne_u32_e64 s[2:3], 0, v4
	s_and_b64 s[2:3], vcc, s[2:3]
	v_cndmask_b32_e64 v4, 0, 1, s[2:3]
	v_add_u32_e32 v3, v3, v4
; %bb.1160:
	s_or_b64 exec, exec, s[62:63]
	s_mov_b64 s[2:3], -1
	s_mov_b64 s[62:63], 0
	s_branch .LBB316_1171
.LBB316_1161:
	s_mov_b64 s[2:3], 0
	s_mov_b64 s[6:7], s[54:55]
	;; [unrolled: 1-line block ×3, first 2 shown]
.LBB316_1162:
                                        ; implicit-def: $vgpr8
	s_branch .LBB316_1449
.LBB316_1163:
	s_mov_b64 s[6:7], -1
	s_mov_b64 s[2:3], 0
                                        ; implicit-def: $vgpr3
	s_mov_b64 s[62:63], s[52:53]
	s_branch .LBB316_1254
.LBB316_1164:
	s_mov_b64 s[6:7], -1
	s_mov_b64 s[2:3], 0
	s_mov_b64 s[62:63], s[52:53]
                                        ; implicit-def: $vgpr3
	s_branch .LBB316_1208
.LBB316_1165:
	s_mov_b64 s[6:7], -1
	s_mov_b64 s[2:3], 0
	s_mov_b64 s[62:63], s[52:53]
                                        ; implicit-def: $vgpr3
	s_branch .LBB316_1183
.LBB316_1166:
	s_mov_b64 s[6:7], -1
	s_mov_b64 s[2:3], 0
	s_mov_b64 s[62:63], s[52:53]
                                        ; implicit-def: $vgpr3
	s_branch .LBB316_1176
.LBB316_1167:
	s_mov_b64 s[6:7], -1
	s_mov_b64 s[2:3], 0
	s_mov_b64 s[62:63], s[52:53]
                                        ; implicit-def: $vgpr3
	s_branch .LBB316_1171
.LBB316_1168:
	s_andn2_saveexec_b64 s[60:61], s[60:61]
	s_cbranch_execz .LBB316_888
.LBB316_1169:
	v_add_f32_e32 v2, 0x42800000, v3
	v_and_b32_e32 v2, 0xff, v2
	v_cmp_ne_u32_e32 vcc, 0, v2
	s_andn2_b64 s[58:59], s[58:59], exec
	s_and_b64 s[64:65], vcc, exec
	s_or_b64 s[58:59], s[58:59], s[64:65]
	s_or_b64 exec, exec, s[60:61]
	v_mov_b32_e32 v4, 0
	s_and_saveexec_b64 s[60:61], s[58:59]
	s_cbranch_execnz .LBB316_889
	s_branch .LBB316_890
.LBB316_1170:
	s_mov_b64 s[62:63], -1
                                        ; implicit-def: $vgpr3
	s_mov_b64 s[2:3], 0
.LBB316_1171:
	s_and_b64 vcc, exec, s[6:7]
	s_cbranch_vccz .LBB316_1175
; %bb.1172:
	s_cmp_eq_u32 s66, 44
	s_cbranch_scc0 .LBB316_1174
; %bb.1173:
	global_load_ubyte v3, v[1:2], off
	s_mov_b64 s[2:3], -1
	s_mov_b64 s[62:63], 0
	s_branch .LBB316_1175
.LBB316_1174:
	s_mov_b64 s[62:63], -1
                                        ; implicit-def: $vgpr3
.LBB316_1175:
	s_mov_b64 s[6:7], 0
.LBB316_1176:
	s_and_b64 vcc, exec, s[6:7]
	s_cbranch_vccz .LBB316_1182
; %bb.1177:
	s_cmp_eq_u32 s66, 29
	s_cbranch_scc0 .LBB316_1181
; %bb.1178:
	global_load_dwordx2 v[3:4], v[1:2], off
	s_movk_i32 s2, 0xff
	s_waitcnt vmcnt(0)
	v_ffbh_u32_e32 v6, v4
	v_min_u32_e32 v6, 32, v6
	v_lshlrev_b64 v[3:4], v6, v[3:4]
	v_min_u32_e32 v3, 1, v3
	v_or_b32_e32 v3, v4, v3
	v_cvt_f32_u32_e32 v3, v3
	v_sub_u32_e32 v4, 32, v6
	v_ldexp_f32 v6, v3, v4
	v_lshrrev_b32_e32 v4, 23, v6
	v_cmp_ne_u32_e32 vcc, s2, v4
	v_mov_b32_e32 v3, 0xff
	s_and_saveexec_b64 s[6:7], vcc
; %bb.1179:
	v_and_b32_e32 v3, 0x400000, v6
	s_mov_b32 s2, 0x3fffff
	v_cmp_ne_u32_e32 vcc, 0, v3
	v_and_or_b32 v3, v6, s2, v4
	v_cmp_ne_u32_e64 s[2:3], 0, v3
	s_and_b64 s[2:3], vcc, s[2:3]
	v_cndmask_b32_e64 v3, 0, 1, s[2:3]
	v_add_u32_e32 v3, v4, v3
; %bb.1180:
	s_or_b64 exec, exec, s[6:7]
	s_mov_b64 s[2:3], -1
	s_mov_b64 s[62:63], 0
	s_branch .LBB316_1182
.LBB316_1181:
	s_mov_b64 s[62:63], -1
                                        ; implicit-def: $vgpr3
.LBB316_1182:
	s_mov_b64 s[6:7], 0
.LBB316_1183:
	s_and_b64 vcc, exec, s[6:7]
	s_cbranch_vccz .LBB316_1207
; %bb.1184:
	s_cmp_lt_i32 s66, 27
	s_cbranch_scc1 .LBB316_1189
; %bb.1185:
	s_cmp_gt_i32 s66, 27
	s_cbranch_scc0 .LBB316_1190
; %bb.1186:
	global_load_dword v3, v[1:2], off
	s_movk_i32 s2, 0xff
	s_waitcnt vmcnt(0)
	v_cvt_f32_u32_e32 v6, v3
	v_mov_b32_e32 v3, 0xff
	v_lshrrev_b32_e32 v4, 23, v6
	v_cmp_ne_u32_e32 vcc, s2, v4
	s_and_saveexec_b64 s[6:7], vcc
; %bb.1187:
	v_and_b32_e32 v3, 0x400000, v6
	s_mov_b32 s2, 0x3fffff
	v_cmp_ne_u32_e32 vcc, 0, v3
	v_and_or_b32 v3, v6, s2, v4
	v_cmp_ne_u32_e64 s[2:3], 0, v3
	s_and_b64 s[2:3], vcc, s[2:3]
	v_cndmask_b32_e64 v3, 0, 1, s[2:3]
	v_add_u32_e32 v3, v4, v3
; %bb.1188:
	s_or_b64 exec, exec, s[6:7]
	s_mov_b64 s[2:3], 0
	s_branch .LBB316_1191
.LBB316_1189:
	s_mov_b64 s[2:3], -1
                                        ; implicit-def: $vgpr3
	s_branch .LBB316_1196
.LBB316_1190:
	s_mov_b64 s[2:3], -1
                                        ; implicit-def: $vgpr3
.LBB316_1191:
	s_andn2_b64 vcc, exec, s[2:3]
	s_cbranch_vccnz .LBB316_1195
; %bb.1192:
	global_load_ushort v3, v[1:2], off
	s_movk_i32 s2, 0xff
	s_waitcnt vmcnt(0)
	v_cvt_f32_u32_e32 v6, v3
	v_mov_b32_e32 v3, 0xff
	v_lshrrev_b32_e32 v4, 23, v6
	v_cmp_ne_u32_e32 vcc, s2, v4
	s_and_saveexec_b64 s[6:7], vcc
; %bb.1193:
	v_and_b32_e32 v3, 0x400000, v6
	s_mov_b32 s2, 0x3fffff
	v_cmp_ne_u32_e32 vcc, 0, v3
	v_and_or_b32 v3, v6, s2, v4
	v_cmp_ne_u32_e64 s[2:3], 0, v3
	s_and_b64 s[2:3], vcc, s[2:3]
	v_cndmask_b32_e64 v3, 0, 1, s[2:3]
	v_add_u32_e32 v3, v4, v3
; %bb.1194:
	s_or_b64 exec, exec, s[6:7]
.LBB316_1195:
	s_mov_b64 s[2:3], 0
.LBB316_1196:
	s_andn2_b64 vcc, exec, s[2:3]
	s_cbranch_vccnz .LBB316_1206
; %bb.1197:
	global_load_ubyte v3, v[1:2], off
	s_movk_i32 s2, 0x7f
	s_waitcnt vmcnt(0)
	v_cmp_lt_i16_e32 vcc, s2, v3
	s_mov_b64 s[2:3], 0
	s_and_saveexec_b64 s[6:7], vcc
	s_xor_b64 s[6:7], exec, s[6:7]
	s_cbranch_execz .LBB316_1222
; %bb.1198:
	s_movk_i32 s2, 0x80
	v_cmp_eq_u16_e32 vcc, s2, v3
	s_mov_b64 s[2:3], -1
	s_and_saveexec_b64 s[64:65], vcc
; %bb.1199:
	s_xor_b64 s[2:3], exec, -1
; %bb.1200:
	s_or_b64 exec, exec, s[64:65]
	s_and_b64 s[2:3], s[2:3], exec
	s_or_saveexec_b64 s[6:7], s[6:7]
	v_mov_b32_e32 v4, 0x7f800001
	s_xor_b64 exec, exec, s[6:7]
	s_cbranch_execnz .LBB316_1223
.LBB316_1201:
	s_or_b64 exec, exec, s[6:7]
	s_and_saveexec_b64 s[6:7], s[2:3]
	s_cbranch_execz .LBB316_1203
.LBB316_1202:
	v_and_b32_e32 v3, 0xffff, v3
	v_and_b32_e32 v4, 7, v3
	v_ffbh_u32_e32 v7, v4
	v_min_u32_e32 v7, 32, v7
	v_subrev_u32_e32 v9, 28, v7
	v_bfe_u32 v6, v3, 3, 4
	v_lshlrev_b32_e32 v3, v9, v3
	v_and_b32_e32 v3, 7, v3
	v_cmp_eq_u32_e32 vcc, 0, v6
	v_sub_u32_e32 v7, 29, v7
	v_cndmask_b32_e32 v3, v4, v3, vcc
	v_cndmask_b32_e32 v6, v6, v7, vcc
	v_lshlrev_b32_e32 v3, 20, v3
	v_lshl_or_b32 v3, v6, 23, v3
	v_add_u32_e32 v4, 0x3b800000, v3
.LBB316_1203:
	s_or_b64 exec, exec, s[6:7]
	v_lshrrev_b32_e32 v6, 23, v4
	s_movk_i32 s2, 0xff
	v_cmp_ne_u32_e32 vcc, s2, v6
	v_mov_b32_e32 v3, 0xff
	s_and_saveexec_b64 s[6:7], vcc
; %bb.1204:
	v_and_b32_e32 v3, 0x400000, v4
	s_mov_b32 s2, 0x3fffff
	v_cmp_ne_u32_e32 vcc, 0, v3
	v_and_or_b32 v3, v4, s2, v6
	v_cmp_ne_u32_e64 s[2:3], 0, v3
	s_and_b64 s[2:3], vcc, s[2:3]
	v_cndmask_b32_e64 v3, 0, 1, s[2:3]
	v_add_u32_e32 v3, v6, v3
; %bb.1205:
	s_or_b64 exec, exec, s[6:7]
.LBB316_1206:
	s_mov_b64 s[2:3], -1
.LBB316_1207:
	s_mov_b64 s[6:7], 0
.LBB316_1208:
	s_and_b64 vcc, exec, s[6:7]
	s_cbranch_vccz .LBB316_1253
; %bb.1209:
	s_cmp_gt_i32 s66, 22
	s_cbranch_scc0 .LBB316_1221
; %bb.1210:
	s_cmp_lt_i32 s66, 24
	s_cbranch_scc1 .LBB316_1224
; %bb.1211:
	s_cmp_gt_i32 s66, 24
	s_cbranch_scc0 .LBB316_1225
; %bb.1212:
	global_load_ubyte v3, v[1:2], off
	s_movk_i32 s2, 0x7f
	s_waitcnt vmcnt(0)
	v_cmp_lt_i16_e32 vcc, s2, v3
	s_mov_b64 s[2:3], 0
	s_and_saveexec_b64 s[6:7], vcc
	s_xor_b64 s[6:7], exec, s[6:7]
	s_cbranch_execz .LBB316_1243
; %bb.1213:
	s_movk_i32 s2, 0x80
	v_cmp_eq_u16_e32 vcc, s2, v3
	s_mov_b64 s[2:3], -1
	s_and_saveexec_b64 s[64:65], vcc
; %bb.1214:
	s_xor_b64 s[2:3], exec, -1
; %bb.1215:
	s_or_b64 exec, exec, s[64:65]
	s_and_b64 s[2:3], s[2:3], exec
	s_or_saveexec_b64 s[6:7], s[6:7]
	v_mov_b32_e32 v4, 0x7f800001
	s_xor_b64 exec, exec, s[6:7]
	s_cbranch_execnz .LBB316_1244
.LBB316_1216:
	s_or_b64 exec, exec, s[6:7]
	s_and_saveexec_b64 s[6:7], s[2:3]
	s_cbranch_execz .LBB316_1218
.LBB316_1217:
	v_and_b32_e32 v3, 0xffff, v3
	v_and_b32_e32 v4, 3, v3
	v_ffbh_u32_e32 v7, v4
	v_min_u32_e32 v7, 32, v7
	v_subrev_u32_e32 v9, 29, v7
	v_bfe_u32 v6, v3, 2, 5
	v_lshlrev_b32_e32 v3, v9, v3
	v_and_b32_e32 v3, 3, v3
	v_cmp_eq_u32_e32 vcc, 0, v6
	v_sub_u32_e32 v7, 30, v7
	v_cndmask_b32_e32 v3, v4, v3, vcc
	v_cndmask_b32_e32 v6, v6, v7, vcc
	v_lshlrev_b32_e32 v3, 21, v3
	v_lshl_or_b32 v3, v6, 23, v3
	v_add_u32_e32 v4, 0x37800000, v3
.LBB316_1218:
	s_or_b64 exec, exec, s[6:7]
	v_lshrrev_b32_e32 v6, 23, v4
	s_movk_i32 s2, 0xff
	v_cmp_ne_u32_e32 vcc, s2, v6
	v_mov_b32_e32 v3, 0xff
	s_and_saveexec_b64 s[6:7], vcc
; %bb.1219:
	v_and_b32_e32 v3, 0x400000, v4
	s_mov_b32 s2, 0x3fffff
	v_cmp_ne_u32_e32 vcc, 0, v3
	v_and_or_b32 v3, v4, s2, v6
	v_cmp_ne_u32_e64 s[2:3], 0, v3
	s_and_b64 s[2:3], vcc, s[2:3]
	v_cndmask_b32_e64 v3, 0, 1, s[2:3]
	v_add_u32_e32 v3, v6, v3
; %bb.1220:
	s_or_b64 exec, exec, s[6:7]
	s_mov_b64 s[2:3], 0
	s_branch .LBB316_1226
.LBB316_1221:
	s_mov_b64 s[6:7], -1
                                        ; implicit-def: $vgpr3
	s_branch .LBB316_1236
.LBB316_1222:
	s_or_saveexec_b64 s[6:7], s[6:7]
	v_mov_b32_e32 v4, 0x7f800001
	s_xor_b64 exec, exec, s[6:7]
	s_cbranch_execz .LBB316_1201
.LBB316_1223:
	v_cmp_ne_u16_e32 vcc, 0, v3
	s_andn2_b64 s[2:3], s[2:3], exec
	s_and_b64 s[64:65], vcc, exec
	v_and_b32_e32 v4, 0xffff, v3
	s_or_b64 s[2:3], s[2:3], s[64:65]
	s_or_b64 exec, exec, s[6:7]
	s_and_saveexec_b64 s[6:7], s[2:3]
	s_cbranch_execnz .LBB316_1202
	s_branch .LBB316_1203
.LBB316_1224:
	s_mov_b64 s[2:3], -1
                                        ; implicit-def: $vgpr3
	s_branch .LBB316_1231
.LBB316_1225:
	s_mov_b64 s[2:3], -1
                                        ; implicit-def: $vgpr3
.LBB316_1226:
	s_and_b64 vcc, exec, s[2:3]
	s_cbranch_vccz .LBB316_1230
; %bb.1227:
	global_load_ubyte v3, v[1:2], off
	s_mov_b32 s2, 0x7f800000
	s_movk_i32 s3, 0xff
	s_waitcnt vmcnt(0)
	v_lshlrev_b32_e32 v3, 24, v3
	v_and_b32_e32 v3, 0x7f000000, v3
	v_ffbh_u32_e32 v4, v3
	v_min_u32_e32 v4, 32, v4
	v_sub_u32_e64 v4, v4, 4 clamp
	v_lshlrev_b32_e32 v7, v4, v3
	v_lshlrev_b32_e32 v4, 23, v4
	v_lshrrev_b32_e32 v7, 4, v7
	v_add_u32_e32 v6, 0x1000000, v3
	v_sub_u32_e32 v4, v7, v4
	v_ashrrev_i32_e32 v6, 8, v6
	v_add_u32_e32 v4, 0x3c000000, v4
	v_and_or_b32 v4, v6, s2, v4
	v_cmp_ne_u32_e32 vcc, 0, v3
	v_cndmask_b32_e32 v6, 0, v4, vcc
	v_lshrrev_b32_e32 v4, 23, v6
	v_cmp_ne_u32_e32 vcc, s3, v4
	v_mov_b32_e32 v3, 0xff
	s_and_saveexec_b64 s[6:7], vcc
; %bb.1228:
	v_and_b32_e32 v3, 0x400000, v6
	s_mov_b32 s2, 0x3fffff
	v_cmp_ne_u32_e32 vcc, 0, v3
	v_and_or_b32 v3, v6, s2, v4
	v_cmp_ne_u32_e64 s[2:3], 0, v3
	s_and_b64 s[2:3], vcc, s[2:3]
	v_cndmask_b32_e64 v3, 0, 1, s[2:3]
	v_add_u32_e32 v3, v4, v3
; %bb.1229:
	s_or_b64 exec, exec, s[6:7]
.LBB316_1230:
	s_mov_b64 s[2:3], 0
.LBB316_1231:
	s_andn2_b64 vcc, exec, s[2:3]
	s_cbranch_vccnz .LBB316_1235
; %bb.1232:
	global_load_ubyte v3, v[1:2], off
	s_movk_i32 s2, 0x7f00
	s_brev_b32 s3, 16
	s_movk_i32 s6, 0xff
	s_waitcnt vmcnt(0)
	v_lshlrev_b32_e32 v4, 8, v3
	v_lshlrev_b32_e32 v3, 25, v3
	v_lshrrev_b32_e32 v6, 4, v3
	v_and_or_b32 v4, v4, s2, 0.5
	v_or_b32_e32 v6, 0x70000000, v6
	v_add_f32_e32 v4, -0.5, v4
	v_mul_f32_e32 v6, 0x7800000, v6
	v_cmp_gt_u32_e32 vcc, s3, v3
	v_cndmask_b32_e32 v4, v6, v4, vcc
	v_bfe_u32 v6, v4, 23, 8
	v_cmp_ne_u32_e32 vcc, s6, v6
	v_mov_b32_e32 v3, 0xff
	s_and_saveexec_b64 s[6:7], vcc
; %bb.1233:
	s_mov_b32 s2, 0x3fffff
	v_lshrrev_b32_e32 v3, 23, v4
	v_and_b32_e32 v7, 0x400000, v4
	v_and_or_b32 v4, v4, s2, v6
	v_cmp_ne_u32_e32 vcc, 0, v7
	v_cmp_ne_u32_e64 s[2:3], 0, v4
	s_and_b64 s[2:3], vcc, s[2:3]
	v_cndmask_b32_e64 v4, 0, 1, s[2:3]
	v_add_u32_e32 v3, v3, v4
; %bb.1234:
	s_or_b64 exec, exec, s[6:7]
.LBB316_1235:
	s_mov_b64 s[6:7], 0
	s_mov_b64 s[2:3], -1
.LBB316_1236:
	s_andn2_b64 vcc, exec, s[6:7]
	s_cbranch_vccnz .LBB316_1253
; %bb.1237:
	s_cmp_gt_i32 s66, 14
	s_cbranch_scc0 .LBB316_1242
; %bb.1238:
	s_cmp_eq_u32 s66, 15
	s_cbranch_scc0 .LBB316_1245
; %bb.1239:
	global_load_ushort v4, v[1:2], off
	s_movk_i32 s2, 0xff
	s_waitcnt vmcnt(1)
	v_mov_b32_e32 v3, 0xff
	s_waitcnt vmcnt(0)
	v_bfe_u32 v6, v4, 7, 8
	v_cmp_ne_u32_e32 vcc, s2, v6
	s_and_saveexec_b64 s[6:7], vcc
	s_cbranch_execz .LBB316_1241
; %bb.1240:
	v_lshrrev_b32_e32 v3, 7, v4
	v_lshlrev_b32_e32 v7, 16, v4
	v_and_b32_e32 v4, 64, v4
	s_mov_b32 s2, 0x3f0000
	v_cmp_ne_u32_e32 vcc, 0, v4
	v_and_or_b32 v4, v7, s2, v6
	v_cmp_ne_u32_e64 s[2:3], 0, v4
	s_and_b64 s[2:3], vcc, s[2:3]
	v_cndmask_b32_e64 v4, 0, 1, s[2:3]
	v_add_u32_e32 v3, v3, v4
.LBB316_1241:
	s_or_b64 exec, exec, s[6:7]
	s_mov_b64 s[2:3], -1
	s_mov_b64 s[62:63], 0
	s_branch .LBB316_1246
.LBB316_1242:
	s_mov_b64 s[6:7], -1
                                        ; implicit-def: $vgpr3
	s_branch .LBB316_1247
.LBB316_1243:
	s_or_saveexec_b64 s[6:7], s[6:7]
	v_mov_b32_e32 v4, 0x7f800001
	s_xor_b64 exec, exec, s[6:7]
	s_cbranch_execz .LBB316_1216
.LBB316_1244:
	v_cmp_ne_u16_e32 vcc, 0, v3
	s_andn2_b64 s[2:3], s[2:3], exec
	s_and_b64 s[64:65], vcc, exec
	v_and_b32_e32 v4, 0xffff, v3
	s_or_b64 s[2:3], s[2:3], s[64:65]
	s_or_b64 exec, exec, s[6:7]
	s_and_saveexec_b64 s[6:7], s[2:3]
	s_cbranch_execnz .LBB316_1217
	s_branch .LBB316_1218
.LBB316_1245:
	s_mov_b64 s[62:63], -1
                                        ; implicit-def: $vgpr3
.LBB316_1246:
	s_mov_b64 s[6:7], 0
.LBB316_1247:
	s_and_b64 vcc, exec, s[6:7]
	s_cbranch_vccz .LBB316_1253
; %bb.1248:
	s_cmp_eq_u32 s66, 11
	s_cbranch_scc0 .LBB316_1252
; %bb.1249:
	global_load_ubyte v3, v[1:2], off
	s_movk_i32 s2, 0xff
	s_waitcnt vmcnt(0)
	v_cmp_ne_u16_e32 vcc, 0, v3
	v_cndmask_b32_e64 v6, 0, 1.0, vcc
	v_lshrrev_b32_e32 v4, 23, v6
	v_cmp_ne_u32_e32 vcc, s2, v4
	v_mov_b32_e32 v3, 0xff
	s_and_saveexec_b64 s[6:7], vcc
; %bb.1250:
	v_and_b32_e32 v3, 0x400000, v6
	s_mov_b32 s2, 0x3fffff
	v_cmp_ne_u32_e32 vcc, 0, v3
	v_and_or_b32 v3, v6, s2, v4
	v_cmp_ne_u32_e64 s[2:3], 0, v3
	s_and_b64 s[2:3], vcc, s[2:3]
	v_cndmask_b32_e64 v3, 0, 1, s[2:3]
	v_add_u32_e32 v3, v4, v3
; %bb.1251:
	s_or_b64 exec, exec, s[6:7]
	s_mov_b64 s[2:3], -1
	s_mov_b64 s[62:63], 0
	s_branch .LBB316_1253
.LBB316_1252:
	s_mov_b64 s[62:63], -1
                                        ; implicit-def: $vgpr3
.LBB316_1253:
	s_mov_b64 s[6:7], 0
.LBB316_1254:
	s_and_b64 vcc, exec, s[6:7]
	s_cbranch_vccz .LBB316_1325
; %bb.1255:
	s_and_b32 s14, 0xffff, s14
	s_cmp_lt_i32 s14, 5
	s_cbranch_scc1 .LBB316_1262
; %bb.1256:
	s_cmp_lt_i32 s14, 8
	s_cbranch_scc1 .LBB316_1263
; %bb.1257:
	;; [unrolled: 3-line block ×3, first 2 shown]
	s_cmp_gt_i32 s14, 9
	s_cbranch_scc0 .LBB316_1265
; %bb.1259:
	global_load_dwordx2 v[3:4], v[1:2], off
	s_movk_i32 s2, 0xff
	s_waitcnt vmcnt(0)
	v_cvt_f32_f64_e32 v4, v[3:4]
	v_mov_b32_e32 v3, 0xff
	v_bfe_u32 v6, v4, 23, 8
	v_cmp_ne_u32_e32 vcc, s2, v6
	s_and_saveexec_b64 s[6:7], vcc
; %bb.1260:
	s_mov_b32 s2, 0x3fffff
	v_lshrrev_b32_e32 v3, 23, v4
	v_and_b32_e32 v7, 0x400000, v4
	v_and_or_b32 v4, v4, s2, v6
	v_cmp_ne_u32_e32 vcc, 0, v7
	v_cmp_ne_u32_e64 s[2:3], 0, v4
	s_and_b64 s[2:3], vcc, s[2:3]
	v_cndmask_b32_e64 v4, 0, 1, s[2:3]
	v_add_u32_e32 v3, v3, v4
; %bb.1261:
	s_or_b64 exec, exec, s[6:7]
	s_mov_b64 s[2:3], 0
	s_branch .LBB316_1266
.LBB316_1262:
	s_mov_b64 s[2:3], -1
                                        ; implicit-def: $vgpr3
	s_branch .LBB316_1294
.LBB316_1263:
	s_mov_b64 s[2:3], -1
                                        ; implicit-def: $vgpr3
	s_branch .LBB316_1276
.LBB316_1264:
	s_mov_b64 s[2:3], -1
                                        ; implicit-def: $vgpr3
	s_branch .LBB316_1271
.LBB316_1265:
	s_mov_b64 s[2:3], -1
                                        ; implicit-def: $vgpr3
.LBB316_1266:
	s_andn2_b64 vcc, exec, s[2:3]
	s_cbranch_vccnz .LBB316_1270
; %bb.1267:
	global_load_dword v4, v[1:2], off
	s_movk_i32 s2, 0xff
	s_waitcnt vmcnt(1)
	v_mov_b32_e32 v3, 0xff
	s_waitcnt vmcnt(0)
	v_bfe_u32 v6, v4, 23, 8
	v_cmp_ne_u32_e32 vcc, s2, v6
	s_and_saveexec_b64 s[6:7], vcc
; %bb.1268:
	s_mov_b32 s2, 0x3fffff
	v_lshrrev_b32_e32 v3, 23, v4
	v_and_b32_e32 v7, 0x400000, v4
	v_and_or_b32 v4, v4, s2, v6
	v_cmp_ne_u32_e32 vcc, 0, v7
	v_cmp_ne_u32_e64 s[2:3], 0, v4
	s_and_b64 s[2:3], vcc, s[2:3]
	v_cndmask_b32_e64 v4, 0, 1, s[2:3]
	v_add_u32_e32 v3, v3, v4
; %bb.1269:
	s_or_b64 exec, exec, s[6:7]
.LBB316_1270:
	s_mov_b64 s[2:3], 0
.LBB316_1271:
	s_andn2_b64 vcc, exec, s[2:3]
	s_cbranch_vccnz .LBB316_1275
; %bb.1272:
	global_load_dword v3, v[1:2], off
	s_movk_i32 s2, 0xff
	s_waitcnt vmcnt(0)
	v_cvt_f32_f16_e32 v4, v3
	v_mov_b32_e32 v3, 0xff
	v_bfe_u32 v6, v4, 23, 8
	v_cmp_ne_u32_e32 vcc, s2, v6
	s_and_saveexec_b64 s[6:7], vcc
; %bb.1273:
	s_mov_b32 s2, 0x3fffff
	v_lshrrev_b32_e32 v3, 23, v4
	v_and_b32_e32 v7, 0x400000, v4
	v_and_or_b32 v4, v4, s2, v6
	v_cmp_ne_u32_e32 vcc, 0, v7
	v_cmp_ne_u32_e64 s[2:3], 0, v4
	s_and_b64 s[2:3], vcc, s[2:3]
	v_cndmask_b32_e64 v4, 0, 1, s[2:3]
	v_add_u32_e32 v3, v3, v4
; %bb.1274:
	s_or_b64 exec, exec, s[6:7]
.LBB316_1275:
	s_mov_b64 s[2:3], 0
.LBB316_1276:
	s_andn2_b64 vcc, exec, s[2:3]
	s_cbranch_vccnz .LBB316_1293
; %bb.1277:
	s_cmp_lt_i32 s14, 6
	s_cbranch_scc1 .LBB316_1282
; %bb.1278:
	s_cmp_gt_i32 s14, 6
	s_cbranch_scc0 .LBB316_1283
; %bb.1279:
	global_load_dwordx2 v[3:4], v[1:2], off
	s_movk_i32 s2, 0xff
	s_waitcnt vmcnt(0)
	v_cvt_f32_f64_e32 v4, v[3:4]
	v_mov_b32_e32 v3, 0xff
	v_bfe_u32 v6, v4, 23, 8
	v_cmp_ne_u32_e32 vcc, s2, v6
	s_and_saveexec_b64 s[6:7], vcc
; %bb.1280:
	s_mov_b32 s2, 0x3fffff
	v_lshrrev_b32_e32 v3, 23, v4
	v_and_b32_e32 v7, 0x400000, v4
	v_and_or_b32 v4, v4, s2, v6
	v_cmp_ne_u32_e32 vcc, 0, v7
	v_cmp_ne_u32_e64 s[2:3], 0, v4
	s_and_b64 s[2:3], vcc, s[2:3]
	v_cndmask_b32_e64 v4, 0, 1, s[2:3]
	v_add_u32_e32 v3, v3, v4
; %bb.1281:
	s_or_b64 exec, exec, s[6:7]
	s_mov_b64 s[2:3], 0
	s_branch .LBB316_1284
.LBB316_1282:
	s_mov_b64 s[2:3], -1
                                        ; implicit-def: $vgpr3
	s_branch .LBB316_1289
.LBB316_1283:
	s_mov_b64 s[2:3], -1
                                        ; implicit-def: $vgpr3
.LBB316_1284:
	s_andn2_b64 vcc, exec, s[2:3]
	s_cbranch_vccnz .LBB316_1288
; %bb.1285:
	global_load_dword v4, v[1:2], off
	s_movk_i32 s2, 0xff
	s_waitcnt vmcnt(1)
	v_mov_b32_e32 v3, 0xff
	s_waitcnt vmcnt(0)
	v_bfe_u32 v6, v4, 23, 8
	v_cmp_ne_u32_e32 vcc, s2, v6
	s_and_saveexec_b64 s[6:7], vcc
; %bb.1286:
	s_mov_b32 s2, 0x3fffff
	v_lshrrev_b32_e32 v3, 23, v4
	v_and_b32_e32 v7, 0x400000, v4
	v_and_or_b32 v4, v4, s2, v6
	v_cmp_ne_u32_e32 vcc, 0, v7
	v_cmp_ne_u32_e64 s[2:3], 0, v4
	s_and_b64 s[2:3], vcc, s[2:3]
	v_cndmask_b32_e64 v4, 0, 1, s[2:3]
	v_add_u32_e32 v3, v3, v4
; %bb.1287:
	s_or_b64 exec, exec, s[6:7]
.LBB316_1288:
	s_mov_b64 s[2:3], 0
.LBB316_1289:
	s_andn2_b64 vcc, exec, s[2:3]
	s_cbranch_vccnz .LBB316_1293
; %bb.1290:
	global_load_ushort v3, v[1:2], off
	s_movk_i32 s2, 0xff
	s_waitcnt vmcnt(0)
	v_cvt_f32_f16_e32 v4, v3
	v_mov_b32_e32 v3, 0xff
	v_bfe_u32 v6, v4, 23, 8
	v_cmp_ne_u32_e32 vcc, s2, v6
	s_and_saveexec_b64 s[6:7], vcc
; %bb.1291:
	s_mov_b32 s2, 0x3fffff
	v_lshrrev_b32_e32 v3, 23, v4
	v_and_b32_e32 v7, 0x400000, v4
	v_and_or_b32 v4, v4, s2, v6
	v_cmp_ne_u32_e32 vcc, 0, v7
	v_cmp_ne_u32_e64 s[2:3], 0, v4
	s_and_b64 s[2:3], vcc, s[2:3]
	v_cndmask_b32_e64 v4, 0, 1, s[2:3]
	v_add_u32_e32 v3, v3, v4
; %bb.1292:
	s_or_b64 exec, exec, s[6:7]
.LBB316_1293:
	s_mov_b64 s[2:3], 0
.LBB316_1294:
	s_andn2_b64 vcc, exec, s[2:3]
	s_cbranch_vccnz .LBB316_1324
; %bb.1295:
	s_cmp_lt_i32 s14, 2
	s_cbranch_scc1 .LBB316_1301
; %bb.1296:
	s_cmp_lt_i32 s14, 3
	s_cbranch_scc1 .LBB316_1302
; %bb.1297:
	s_cmp_gt_i32 s14, 3
	s_cbranch_scc0 .LBB316_1303
; %bb.1298:
	global_load_dwordx2 v[3:4], v[1:2], off
	s_movk_i32 s2, 0xff
	s_waitcnt vmcnt(0)
	v_xor_b32_e32 v7, v3, v4
	v_ffbh_i32_e32 v6, v4
	v_ashrrev_i32_e32 v7, 31, v7
	v_add_u32_e32 v6, -1, v6
	v_add_u32_e32 v7, 32, v7
	v_min_u32_e32 v6, v6, v7
	v_lshlrev_b64 v[3:4], v6, v[3:4]
	v_min_u32_e32 v3, 1, v3
	v_or_b32_e32 v3, v4, v3
	v_cvt_f32_i32_e32 v3, v3
	v_sub_u32_e32 v4, 32, v6
	v_ldexp_f32 v4, v3, v4
	v_bfe_u32 v6, v4, 23, 8
	v_cmp_ne_u32_e32 vcc, s2, v6
	v_mov_b32_e32 v3, 0xff
	s_and_saveexec_b64 s[6:7], vcc
; %bb.1299:
	s_mov_b32 s2, 0x3fffff
	v_lshrrev_b32_e32 v3, 23, v4
	v_and_b32_e32 v7, 0x400000, v4
	v_and_or_b32 v4, v4, s2, v6
	v_cmp_ne_u32_e32 vcc, 0, v7
	v_cmp_ne_u32_e64 s[2:3], 0, v4
	s_and_b64 s[2:3], vcc, s[2:3]
	v_cndmask_b32_e64 v4, 0, 1, s[2:3]
	v_add_u32_e32 v3, v3, v4
; %bb.1300:
	s_or_b64 exec, exec, s[6:7]
	s_mov_b64 s[2:3], 0
	s_branch .LBB316_1304
.LBB316_1301:
	s_mov_b64 s[2:3], -1
                                        ; implicit-def: $vgpr3
	s_branch .LBB316_1314
.LBB316_1302:
	s_mov_b64 s[2:3], -1
                                        ; implicit-def: $vgpr3
	s_branch .LBB316_1309
.LBB316_1303:
	s_mov_b64 s[2:3], -1
                                        ; implicit-def: $vgpr3
.LBB316_1304:
	s_andn2_b64 vcc, exec, s[2:3]
	s_cbranch_vccnz .LBB316_1308
; %bb.1305:
	global_load_dword v3, v[1:2], off
	s_movk_i32 s2, 0xff
	s_waitcnt vmcnt(0)
	v_cvt_f32_i32_e32 v4, v3
	v_mov_b32_e32 v3, 0xff
	v_bfe_u32 v6, v4, 23, 8
	v_cmp_ne_u32_e32 vcc, s2, v6
	s_and_saveexec_b64 s[6:7], vcc
; %bb.1306:
	s_mov_b32 s2, 0x3fffff
	v_lshrrev_b32_e32 v3, 23, v4
	v_and_b32_e32 v7, 0x400000, v4
	v_and_or_b32 v4, v4, s2, v6
	v_cmp_ne_u32_e32 vcc, 0, v7
	v_cmp_ne_u32_e64 s[2:3], 0, v4
	s_and_b64 s[2:3], vcc, s[2:3]
	v_cndmask_b32_e64 v4, 0, 1, s[2:3]
	v_add_u32_e32 v3, v3, v4
; %bb.1307:
	s_or_b64 exec, exec, s[6:7]
.LBB316_1308:
	s_mov_b64 s[2:3], 0
.LBB316_1309:
	s_andn2_b64 vcc, exec, s[2:3]
	s_cbranch_vccnz .LBB316_1313
; %bb.1310:
	global_load_sshort v3, v[1:2], off
	s_movk_i32 s2, 0xff
	s_waitcnt vmcnt(0)
	v_cvt_f32_i32_e32 v4, v3
	v_mov_b32_e32 v3, 0xff
	v_bfe_u32 v6, v4, 23, 8
	v_cmp_ne_u32_e32 vcc, s2, v6
	s_and_saveexec_b64 s[6:7], vcc
; %bb.1311:
	s_mov_b32 s2, 0x3fffff
	v_lshrrev_b32_e32 v3, 23, v4
	v_and_b32_e32 v7, 0x400000, v4
	v_and_or_b32 v4, v4, s2, v6
	v_cmp_ne_u32_e32 vcc, 0, v7
	v_cmp_ne_u32_e64 s[2:3], 0, v4
	s_and_b64 s[2:3], vcc, s[2:3]
	v_cndmask_b32_e64 v4, 0, 1, s[2:3]
	v_add_u32_e32 v3, v3, v4
; %bb.1312:
	s_or_b64 exec, exec, s[6:7]
.LBB316_1313:
	s_mov_b64 s[2:3], 0
.LBB316_1314:
	s_andn2_b64 vcc, exec, s[2:3]
	s_cbranch_vccnz .LBB316_1324
; %bb.1315:
	s_cmp_gt_i32 s14, 0
	s_cbranch_scc0 .LBB316_1319
; %bb.1316:
	global_load_sbyte v3, v[1:2], off
	s_movk_i32 s2, 0xff
	s_waitcnt vmcnt(0)
	v_cvt_f32_i32_e32 v4, v3
	v_mov_b32_e32 v3, 0xff
	v_bfe_u32 v6, v4, 23, 8
	v_cmp_ne_u32_e32 vcc, s2, v6
	s_and_saveexec_b64 s[6:7], vcc
; %bb.1317:
	s_mov_b32 s2, 0x3fffff
	v_lshrrev_b32_e32 v3, 23, v4
	v_and_b32_e32 v7, 0x400000, v4
	v_and_or_b32 v4, v4, s2, v6
	v_cmp_ne_u32_e32 vcc, 0, v7
	v_cmp_ne_u32_e64 s[2:3], 0, v4
	s_and_b64 s[2:3], vcc, s[2:3]
	v_cndmask_b32_e64 v4, 0, 1, s[2:3]
	v_add_u32_e32 v3, v3, v4
; %bb.1318:
	s_or_b64 exec, exec, s[6:7]
	s_mov_b64 s[2:3], 0
	s_branch .LBB316_1320
.LBB316_1319:
	s_mov_b64 s[2:3], -1
                                        ; implicit-def: $vgpr3
.LBB316_1320:
	s_andn2_b64 vcc, exec, s[2:3]
	s_cbranch_vccnz .LBB316_1324
; %bb.1321:
	global_load_ubyte v1, v[1:2], off
	s_movk_i32 s2, 0xff
	s_waitcnt vmcnt(1)
	v_mov_b32_e32 v3, 0xff
	s_waitcnt vmcnt(0)
	v_cvt_f32_ubyte0_e32 v2, v1
	v_lshrrev_b32_e32 v1, 23, v2
	v_cmp_ne_u32_e32 vcc, s2, v1
	s_and_saveexec_b64 s[6:7], vcc
; %bb.1322:
	s_mov_b32 s2, 0x3fffff
	v_and_b32_e32 v3, 0x400000, v2
	v_and_or_b32 v2, v2, s2, v1
	v_cmp_ne_u32_e32 vcc, 0, v3
	v_cmp_ne_u32_e64 s[2:3], 0, v2
	s_and_b64 s[2:3], vcc, s[2:3]
	v_cndmask_b32_e64 v2, 0, 1, s[2:3]
	v_add_u32_e32 v3, v1, v2
; %bb.1323:
	s_or_b64 exec, exec, s[6:7]
.LBB316_1324:
	s_mov_b64 s[2:3], -1
.LBB316_1325:
	s_andn2_b64 vcc, exec, s[2:3]
	s_cbranch_vccnz .LBB316_1333
; %bb.1326:
	s_movk_i32 s2, 0xff
	v_mov_b32_e32 v1, 23
	s_waitcnt vmcnt(0)
	v_lshlrev_b32_sdwa v2, v1, v5 dst_sel:DWORD dst_unused:UNUSED_PAD src0_sel:DWORD src1_sel:BYTE_0
	v_mov_b32_e32 v4, 0x7f800001
	v_cmp_ne_u16_sdwa vcc, v5, s2 src0_sel:BYTE_0 src1_sel:DWORD
	v_mov_b32_e32 v6, 0
	v_cndmask_b32_e32 v2, v4, v2, vcc
	v_mov_b32_e32 v7, 0x400000
	v_cmp_ne_u16_sdwa vcc, v5, v6 src0_sel:BYTE_0 src1_sel:DWORD
	v_cndmask_b32_e32 v2, v7, v2, vcc
	v_lshlrev_b32_sdwa v1, v1, v3 dst_sel:DWORD dst_unused:UNUSED_PAD src0_sel:DWORD src1_sel:BYTE_0
	v_cmp_ne_u16_sdwa vcc, v3, s2 src0_sel:BYTE_0 src1_sel:DWORD
	v_cndmask_b32_e32 v1, v4, v1, vcc
	v_cmp_ne_u16_sdwa vcc, v3, v6 src0_sel:BYTE_0 src1_sel:DWORD
	v_cndmask_b32_e32 v1, v7, v1, vcc
	v_cmp_eq_f32_e32 vcc, v2, v1
	v_cndmask_b32_e64 v3, 0, 1, vcc
	v_cmp_neq_f32_e32 vcc, v2, v1
	v_cndmask_b32_e64 v1, 0, 1, vcc
	v_cndmask_b32_e64 v1, v1, v3, s[0:1]
	v_and_b32_e32 v1, 1, v1
	v_cmp_eq_u32_e64 s[2:3], 1, v1
	v_mov_b32_e32 v1, s9
	s_and_b32 s14, s15, 0xff
	v_add_co_u32_e32 v0, vcc, s8, v0
	s_cmp_lt_i32 s14, 11
	v_addc_co_u32_e32 v1, vcc, 0, v1, vcc
	s_cbranch_scc1 .LBB316_1334
; %bb.1327:
	s_and_b32 s71, 0xffff, s14
	s_cmp_gt_i32 s71, 25
	s_cbranch_scc0 .LBB316_1335
; %bb.1328:
	s_cmp_gt_i32 s71, 28
	s_cbranch_scc0 .LBB316_1336
; %bb.1329:
	;; [unrolled: 3-line block ×4, first 2 shown]
	s_mov_b64 s[66:67], 0
	s_mov_b64 s[6:7], -1
	s_cmp_eq_u32 s71, 46
	s_mov_b64 s[64:65], 0
	s_cbranch_scc0 .LBB316_1339
; %bb.1332:
	v_cndmask_b32_e64 v2, 0, 1.0, s[2:3]
	v_bfe_u32 v3, v2, 16, 1
	s_movk_i32 s6, 0x7fff
	v_add3_u32 v2, v2, v3, s6
	v_lshrrev_b32_e32 v2, 16, v2
	global_store_dword v[0:1], v2, off
	s_mov_b64 s[64:65], -1
	s_mov_b64 s[6:7], 0
	s_branch .LBB316_1339
.LBB316_1333:
	s_mov_b64 s[2:3], 0
                                        ; implicit-def: $vgpr8
	s_mov_b64 s[6:7], s[54:55]
	s_branch .LBB316_1449
.LBB316_1334:
	s_mov_b64 s[66:67], -1
	s_mov_b64 s[64:65], 0
	s_mov_b64 s[6:7], s[54:55]
	s_branch .LBB316_1408
.LBB316_1335:
	s_mov_b64 s[66:67], -1
	s_mov_b64 s[64:65], 0
	s_mov_b64 s[6:7], s[54:55]
	s_branch .LBB316_1366
.LBB316_1336:
	s_mov_b64 s[66:67], -1
	s_mov_b64 s[64:65], 0
	s_mov_b64 s[6:7], s[54:55]
	s_branch .LBB316_1349
.LBB316_1337:
	s_mov_b64 s[66:67], -1
	s_mov_b64 s[64:65], 0
	s_mov_b64 s[6:7], s[54:55]
	s_branch .LBB316_1345
.LBB316_1338:
	s_mov_b64 s[66:67], -1
	s_mov_b64 s[64:65], 0
	s_mov_b64 s[6:7], s[54:55]
.LBB316_1339:
	s_and_b64 vcc, exec, s[66:67]
	s_cbranch_vccz .LBB316_1344
; %bb.1340:
	s_cmp_eq_u32 s71, 44
	s_mov_b64 s[6:7], -1
	s_cbranch_scc0 .LBB316_1344
; %bb.1341:
	v_cndmask_b32_e64 v3, 0, 1.0, s[2:3]
	v_lshrrev_b32_e32 v2, 23, v3
	s_movk_i32 s6, 0xff
	v_cmp_ne_u32_e32 vcc, s6, v2
	v_mov_b32_e32 v4, 0xff
	s_and_saveexec_b64 s[64:65], vcc
; %bb.1342:
	s_mov_b32 s6, 0x3fffff
	v_and_b32_e32 v4, 0x400000, v3
	v_and_or_b32 v3, v3, s6, v2
	v_cmp_ne_u32_e32 vcc, 0, v4
	v_cmp_ne_u32_e64 s[6:7], 0, v3
	s_and_b64 s[6:7], vcc, s[6:7]
	v_cndmask_b32_e64 v3, 0, 1, s[6:7]
	v_add_u32_e32 v4, v2, v3
; %bb.1343:
	s_or_b64 exec, exec, s[64:65]
	s_mov_b64 s[64:65], -1
	s_mov_b64 s[6:7], 0
	global_store_byte v[0:1], v4, off
.LBB316_1344:
	s_mov_b64 s[66:67], 0
.LBB316_1345:
	s_and_b64 vcc, exec, s[66:67]
	s_cbranch_vccz .LBB316_1348
; %bb.1346:
	s_cmp_eq_u32 s71, 29
	s_mov_b64 s[6:7], -1
	s_cbranch_scc0 .LBB316_1348
; %bb.1347:
	s_mov_b32 s6, 0
	v_cndmask_b32_e64 v2, 0, 1, s[2:3]
	v_mov_b32_e32 v3, s6
	global_store_dwordx2 v[0:1], v[2:3], off
	s_mov_b64 s[64:65], -1
	s_mov_b64 s[6:7], 0
.LBB316_1348:
	s_mov_b64 s[66:67], 0
.LBB316_1349:
	s_and_b64 vcc, exec, s[66:67]
	s_cbranch_vccz .LBB316_1365
; %bb.1350:
	s_cmp_lt_i32 s71, 27
	s_mov_b64 s[64:65], -1
	s_cbranch_scc1 .LBB316_1356
; %bb.1351:
	s_cmp_gt_i32 s71, 27
	s_cbranch_scc0 .LBB316_1353
; %bb.1352:
	v_cndmask_b32_e64 v2, 0, 1, s[2:3]
	s_mov_b64 s[64:65], 0
	global_store_dword v[0:1], v2, off
.LBB316_1353:
	s_andn2_b64 vcc, exec, s[64:65]
	s_cbranch_vccnz .LBB316_1355
; %bb.1354:
	v_cndmask_b32_e64 v2, 0, 1, s[2:3]
	global_store_short v[0:1], v2, off
.LBB316_1355:
	s_mov_b64 s[64:65], 0
.LBB316_1356:
	s_andn2_b64 vcc, exec, s[64:65]
	s_cbranch_vccnz .LBB316_1364
; %bb.1357:
	v_cndmask_b32_e64 v3, 0, 1.0, s[2:3]
	s_mov_b32 s64, 0x43800000
	v_cmp_gt_u32_e32 vcc, s64, v3
	v_mov_b32_e32 v4, 0x80
	s_and_saveexec_b64 s[64:65], vcc
	s_cbranch_execz .LBB316_1363
; %bb.1358:
	s_mov_b32 s66, 0x3bffffff
	v_cmp_lt_u32_e32 vcc, s66, v3
	s_mov_b64 s[66:67], 0
                                        ; implicit-def: $vgpr2
	s_and_saveexec_b64 s[68:69], vcc
	s_xor_b64 s[68:69], exec, s[68:69]
	s_cbranch_execz .LBB316_1479
; %bb.1359:
	v_bfe_u32 v2, v3, 20, 1
	s_mov_b32 s76, 0x487ffff
	v_add3_u32 v2, v3, v2, s76
	s_mov_b64 s[66:67], exec
	v_lshrrev_b32_e32 v2, 20, v2
                                        ; implicit-def: $vgpr3
	s_andn2_saveexec_b64 s[68:69], s[68:69]
	s_cbranch_execnz .LBB316_1480
.LBB316_1360:
	s_or_b64 exec, exec, s[68:69]
	v_mov_b32_e32 v4, 0
	s_and_saveexec_b64 s[68:69], s[66:67]
.LBB316_1361:
	v_mov_b32_e32 v4, v2
.LBB316_1362:
	s_or_b64 exec, exec, s[68:69]
.LBB316_1363:
	s_or_b64 exec, exec, s[64:65]
	global_store_byte v[0:1], v4, off
.LBB316_1364:
	s_mov_b64 s[64:65], -1
.LBB316_1365:
	s_mov_b64 s[66:67], 0
.LBB316_1366:
	s_and_b64 vcc, exec, s[66:67]
	s_cbranch_vccz .LBB316_1407
; %bb.1367:
	s_cmp_gt_i32 s71, 22
	s_mov_b64 s[66:67], -1
	s_cbranch_scc0 .LBB316_1399
; %bb.1368:
	s_cmp_lt_i32 s71, 24
	s_mov_b64 s[64:65], -1
	s_cbranch_scc1 .LBB316_1388
; %bb.1369:
	s_cmp_gt_i32 s71, 24
	s_cbranch_scc0 .LBB316_1377
; %bb.1370:
	v_cndmask_b32_e64 v3, 0, 1.0, s[2:3]
	s_mov_b32 s64, 0x47800000
	v_cmp_gt_u32_e32 vcc, s64, v3
	v_mov_b32_e32 v4, 0x80
	s_and_saveexec_b64 s[64:65], vcc
	s_cbranch_execz .LBB316_1376
; %bb.1371:
	s_mov_b32 s66, 0x37ffffff
	v_cmp_lt_u32_e32 vcc, s66, v3
	s_mov_b64 s[66:67], 0
                                        ; implicit-def: $vgpr2
	s_and_saveexec_b64 s[68:69], vcc
	s_xor_b64 s[68:69], exec, s[68:69]
	s_cbranch_execz .LBB316_2836
; %bb.1372:
	v_bfe_u32 v2, v3, 21, 1
	s_mov_b32 s76, 0x88fffff
	v_add3_u32 v2, v3, v2, s76
	s_mov_b64 s[66:67], exec
	v_lshrrev_b32_e32 v2, 21, v2
                                        ; implicit-def: $vgpr3
	s_andn2_saveexec_b64 s[68:69], s[68:69]
	s_cbranch_execnz .LBB316_2837
.LBB316_1373:
	s_or_b64 exec, exec, s[68:69]
	v_mov_b32_e32 v4, 0
	s_and_saveexec_b64 s[68:69], s[66:67]
.LBB316_1374:
	v_mov_b32_e32 v4, v2
.LBB316_1375:
	s_or_b64 exec, exec, s[68:69]
.LBB316_1376:
	s_or_b64 exec, exec, s[64:65]
	s_mov_b64 s[64:65], 0
	global_store_byte v[0:1], v4, off
.LBB316_1377:
	s_and_b64 vcc, exec, s[64:65]
	s_cbranch_vccz .LBB316_1387
; %bb.1378:
	v_cndmask_b32_e64 v2, 0, 1.0, s[2:3]
	s_mov_b32 s64, 0x43f00000
	v_cmp_gt_u32_e32 vcc, s64, v2
                                        ; implicit-def: $vgpr3
	s_and_saveexec_b64 s[64:65], vcc
	s_xor_b64 s[64:65], exec, s[64:65]
	s_cbranch_execz .LBB316_1384
; %bb.1379:
	s_mov_b32 s66, 0x3c7fffff
	v_cmp_lt_u32_e32 vcc, s66, v2
                                        ; implicit-def: $vgpr3
	s_and_saveexec_b64 s[66:67], vcc
	s_xor_b64 s[66:67], exec, s[66:67]
; %bb.1380:
	v_bfe_u32 v3, v2, 20, 1
	s_mov_b32 s68, 0x407ffff
	v_add3_u32 v2, v2, v3, s68
	v_lshrrev_b32_e32 v3, 20, v2
	v_and_b32_e32 v2, 0xff00000, v2
	s_mov_b32 s68, 0x7f00000
	v_mov_b32_e32 v4, 0x7e
	v_cmp_ne_u32_e32 vcc, s68, v2
	v_cndmask_b32_e32 v3, v4, v3, vcc
                                        ; implicit-def: $vgpr2
; %bb.1381:
	s_andn2_saveexec_b64 s[66:67], s[66:67]
; %bb.1382:
	v_add_f32_e32 v3, 0x46800000, v2
; %bb.1383:
	s_or_b64 exec, exec, s[66:67]
                                        ; implicit-def: $vgpr2
.LBB316_1384:
	s_andn2_saveexec_b64 s[64:65], s[64:65]
; %bb.1385:
	s_mov_b32 s66, 0x7f800000
	v_mov_b32_e32 v3, 0x7e
	v_mov_b32_e32 v4, 0x7f
	v_cmp_lt_u32_e32 vcc, s66, v2
	v_cndmask_b32_e32 v3, v3, v4, vcc
; %bb.1386:
	s_or_b64 exec, exec, s[64:65]
	global_store_byte v[0:1], v3, off
.LBB316_1387:
	s_mov_b64 s[64:65], 0
.LBB316_1388:
	s_andn2_b64 vcc, exec, s[64:65]
	s_cbranch_vccnz .LBB316_1398
; %bb.1389:
	v_cndmask_b32_e64 v2, 0, 1.0, s[2:3]
	s_mov_b32 s64, 0x47800000
	v_cmp_gt_u32_e32 vcc, s64, v2
                                        ; implicit-def: $vgpr3
	s_and_saveexec_b64 s[64:65], vcc
	s_xor_b64 s[64:65], exec, s[64:65]
	s_cbranch_execz .LBB316_1395
; %bb.1390:
	s_mov_b32 s66, 0x387fffff
	v_cmp_lt_u32_e32 vcc, s66, v2
                                        ; implicit-def: $vgpr3
	s_and_saveexec_b64 s[66:67], vcc
	s_xor_b64 s[66:67], exec, s[66:67]
; %bb.1391:
	v_bfe_u32 v3, v2, 21, 1
	s_mov_b32 s68, 0x80fffff
	v_add3_u32 v2, v2, v3, s68
	v_lshrrev_b32_e32 v3, 21, v2
                                        ; implicit-def: $vgpr2
; %bb.1392:
	s_andn2_saveexec_b64 s[66:67], s[66:67]
; %bb.1393:
	v_add_f32_e32 v3, 0x43000000, v2
; %bb.1394:
	s_or_b64 exec, exec, s[66:67]
                                        ; implicit-def: $vgpr2
.LBB316_1395:
	s_andn2_saveexec_b64 s[64:65], s[64:65]
; %bb.1396:
	s_mov_b32 s66, 0x7f800000
	v_mov_b32_e32 v3, 0x7c
	v_mov_b32_e32 v4, 0x7f
	v_cmp_lt_u32_e32 vcc, s66, v2
	v_cndmask_b32_e32 v3, v3, v4, vcc
; %bb.1397:
	s_or_b64 exec, exec, s[64:65]
	global_store_byte v[0:1], v3, off
.LBB316_1398:
	s_mov_b64 s[66:67], 0
	s_mov_b64 s[64:65], -1
.LBB316_1399:
	s_andn2_b64 vcc, exec, s[66:67]
	s_cbranch_vccnz .LBB316_1407
; %bb.1400:
	s_cmp_gt_i32 s71, 14
	s_mov_b64 s[66:67], -1
	s_cbranch_scc0 .LBB316_1404
; %bb.1401:
	s_cmp_eq_u32 s71, 15
	s_mov_b64 s[6:7], -1
	s_cbranch_scc0 .LBB316_1403
; %bb.1402:
	v_cndmask_b32_e64 v2, 0, 1.0, s[2:3]
	v_bfe_u32 v3, v2, 16, 1
	s_movk_i32 s6, 0x7fff
	v_add3_u32 v2, v2, v3, s6
	global_store_short_d16_hi v[0:1], v2, off
	s_mov_b64 s[64:65], -1
	s_mov_b64 s[6:7], 0
.LBB316_1403:
	s_mov_b64 s[66:67], 0
.LBB316_1404:
	s_and_b64 vcc, exec, s[66:67]
	s_cbranch_vccz .LBB316_1407
; %bb.1405:
	s_cmp_eq_u32 s71, 11
	s_mov_b64 s[6:7], -1
	s_cbranch_scc0 .LBB316_1407
; %bb.1406:
	v_cndmask_b32_e64 v2, 0, 1, s[2:3]
	s_mov_b64 s[64:65], -1
	s_mov_b64 s[6:7], 0
	global_store_byte v[0:1], v2, off
.LBB316_1407:
	s_mov_b64 s[66:67], 0
.LBB316_1408:
	s_and_b64 vcc, exec, s[66:67]
	s_cbranch_vccz .LBB316_1447
; %bb.1409:
	s_and_b32 s14, 0xffff, s14
	s_cmp_lt_i32 s14, 5
	s_mov_b64 s[64:65], -1
	s_cbranch_scc1 .LBB316_1430
; %bb.1410:
	s_cmp_lt_i32 s14, 8
	s_cbranch_scc1 .LBB316_1420
; %bb.1411:
	s_cmp_lt_i32 s14, 9
	s_cbranch_scc1 .LBB316_1417
; %bb.1412:
	s_cmp_gt_i32 s14, 9
	s_cbranch_scc0 .LBB316_1414
; %bb.1413:
	v_cndmask_b32_e64 v2, 0, 1, s[2:3]
	v_cvt_f64_u32_e32 v[2:3], v2
	v_mov_b32_e32 v4, 0
	v_mov_b32_e32 v5, v4
	s_mov_b64 s[64:65], 0
	global_store_dwordx4 v[0:1], v[2:5], off
.LBB316_1414:
	s_andn2_b64 vcc, exec, s[64:65]
	s_cbranch_vccnz .LBB316_1416
; %bb.1415:
	v_cndmask_b32_e64 v2, 0, 1.0, s[2:3]
	v_mov_b32_e32 v3, 0
	global_store_dwordx2 v[0:1], v[2:3], off
.LBB316_1416:
	s_mov_b64 s[64:65], 0
.LBB316_1417:
	s_andn2_b64 vcc, exec, s[64:65]
	s_cbranch_vccnz .LBB316_1419
; %bb.1418:
	v_cndmask_b32_e64 v2, 0, 1.0, s[2:3]
	v_cvt_f16_f32_e32 v2, v2
	global_store_dword v[0:1], v2, off
.LBB316_1419:
	s_mov_b64 s[64:65], 0
.LBB316_1420:
	s_andn2_b64 vcc, exec, s[64:65]
	s_cbranch_vccnz .LBB316_1429
; %bb.1421:
	s_cmp_lt_i32 s14, 6
	s_mov_b64 s[64:65], -1
	s_cbranch_scc1 .LBB316_1427
; %bb.1422:
	s_cmp_gt_i32 s14, 6
	s_cbranch_scc0 .LBB316_1424
; %bb.1423:
	v_cndmask_b32_e64 v2, 0, 1, s[2:3]
	v_cvt_f64_u32_e32 v[2:3], v2
	s_mov_b64 s[64:65], 0
	global_store_dwordx2 v[0:1], v[2:3], off
.LBB316_1424:
	s_andn2_b64 vcc, exec, s[64:65]
	s_cbranch_vccnz .LBB316_1426
; %bb.1425:
	v_cndmask_b32_e64 v2, 0, 1.0, s[2:3]
	global_store_dword v[0:1], v2, off
.LBB316_1426:
	s_mov_b64 s[64:65], 0
.LBB316_1427:
	s_andn2_b64 vcc, exec, s[64:65]
	s_cbranch_vccnz .LBB316_1429
; %bb.1428:
	v_cndmask_b32_e64 v2, 0, 1.0, s[2:3]
	v_cvt_f16_f32_e32 v2, v2
	global_store_short v[0:1], v2, off
.LBB316_1429:
	s_mov_b64 s[64:65], 0
.LBB316_1430:
	s_andn2_b64 vcc, exec, s[64:65]
	s_cbranch_vccnz .LBB316_1446
; %bb.1431:
	s_cmp_lt_i32 s14, 2
	s_mov_b64 s[64:65], -1
	s_cbranch_scc1 .LBB316_1441
; %bb.1432:
	s_cmp_lt_i32 s14, 3
	s_cbranch_scc1 .LBB316_1438
; %bb.1433:
	s_cmp_gt_i32 s14, 3
	s_cbranch_scc0 .LBB316_1435
; %bb.1434:
	s_mov_b32 s64, 0
	v_cndmask_b32_e64 v2, 0, 1, s[2:3]
	v_mov_b32_e32 v3, s64
	s_mov_b64 s[64:65], 0
	global_store_dwordx2 v[0:1], v[2:3], off
.LBB316_1435:
	s_andn2_b64 vcc, exec, s[64:65]
	s_cbranch_vccnz .LBB316_1437
; %bb.1436:
	v_cndmask_b32_e64 v2, 0, 1, s[2:3]
	global_store_dword v[0:1], v2, off
.LBB316_1437:
	s_mov_b64 s[64:65], 0
.LBB316_1438:
	s_andn2_b64 vcc, exec, s[64:65]
	s_cbranch_vccnz .LBB316_1440
; %bb.1439:
	v_cndmask_b32_e64 v2, 0, 1, s[2:3]
	global_store_short v[0:1], v2, off
.LBB316_1440:
	s_mov_b64 s[64:65], 0
.LBB316_1441:
	s_andn2_b64 vcc, exec, s[64:65]
	s_cbranch_vccnz .LBB316_1446
; %bb.1442:
	s_mov_b64 s[64:65], -1
	s_cmp_gt_i32 s14, 0
	v_cndmask_b32_e64 v2, 0, 1, s[2:3]
	s_cbranch_scc0 .LBB316_1444
; %bb.1443:
	s_mov_b64 s[64:65], 0
	global_store_byte v[0:1], v2, off
.LBB316_1444:
	s_andn2_b64 vcc, exec, s[64:65]
	s_cbranch_vccnz .LBB316_1446
; %bb.1445:
	global_store_byte v[0:1], v2, off
.LBB316_1446:
	s_mov_b64 s[64:65], -1
.LBB316_1447:
	s_andn2_b64 vcc, exec, s[64:65]
	s_cbranch_vccnz .LBB316_1459
; %bb.1448:
	v_add_u32_e32 v8, 0x80, v8
	s_mov_b64 s[2:3], -1
.LBB316_1449:
	s_andn2_b64 s[64:65], s[54:55], exec
	s_and_b64 s[6:7], s[6:7], exec
	s_or_b64 s[64:65], s[64:65], s[6:7]
	s_andn2_b64 s[6:7], s[52:53], exec
	s_and_b64 s[62:63], s[62:63], exec
	s_or_b64 s[62:63], s[6:7], s[62:63]
	;; [unrolled: 3-line block ×3, first 2 shown]
	s_orn2_b64 s[68:69], s[2:3], exec
.LBB316_1450:
	s_or_b64 exec, exec, s[58:59]
	s_mov_b64 s[2:3], 0
	s_mov_b64 s[66:67], 0
	;; [unrolled: 1-line block ×3, first 2 shown]
                                        ; implicit-def: $sgpr14
                                        ; implicit-def: $vgpr3_vgpr4
                                        ; implicit-def: $vgpr0
                                        ; implicit-def: $vgpr2
                                        ; implicit-def: $vgpr5
	s_and_saveexec_b64 s[58:59], s[68:69]
	s_cbranch_execz .LBB316_1563
; %bb.1451:
	v_cmp_gt_i32_e32 vcc, s70, v8
	s_mov_b64 s[68:69], s[6:7]
	s_mov_b64 s[70:71], 0
                                        ; implicit-def: $sgpr14
                                        ; implicit-def: $vgpr3_vgpr4
                                        ; implicit-def: $vgpr0
                                        ; implicit-def: $vgpr2
                                        ; implicit-def: $vgpr5
	s_and_saveexec_b64 s[60:61], vcc
	s_cbranch_execz .LBB316_1562
; %bb.1452:
	s_andn2_b64 vcc, exec, s[28:29]
	s_cbranch_vccnz .LBB316_1458
; %bb.1453:
	s_andn2_b64 vcc, exec, s[40:41]
	s_cbranch_vccnz .LBB316_1460
; %bb.1454:
	s_add_i32 s2, s75, 1
	s_and_b32 s14, s2, 30
	s_add_u32 s2, s24, 0xffffffe8
	s_addc_u32 s3, s25, -1
	v_mov_b32_e32 v2, 0
	v_mov_b32_e32 v4, 0
	;; [unrolled: 1-line block ×4, first 2 shown]
.LBB316_1455:                           ; =>This Inner Loop Header: Depth=1
	s_load_dwordx4 s[68:71], s[2:3], 0x1c
	s_load_dwordx2 s[40:41], s[2:3], 0x2c
	s_load_dwordx2 s[66:67], s[2:3], 0xec
	s_load_dwordx4 s[76:79], s[2:3], 0xdc
	s_add_u32 s2, s2, 24
	s_waitcnt vmcnt(0) lgkmcnt(0)
	v_mul_hi_u32 v3, s69, v1
	s_addc_u32 s3, s3, 0
	s_add_i32 s14, s14, -2
	s_cmp_eq_u32 s14, 0
	v_add_u32_e32 v3, v1, v3
	v_lshrrev_b32_e32 v3, s70, v3
	v_mul_lo_u32 v5, v3, s68
	v_mul_hi_u32 v6, s40, v3
	v_sub_u32_e32 v5, v1, v5
	v_add_u32_e32 v1, v3, v6
	v_lshrrev_b32_e32 v1, s41, v1
	v_mul_lo_u32 v9, v1, s71
	v_mul_lo_u32 v6, v5, s76
	;; [unrolled: 1-line block ×4, first 2 shown]
	v_sub_u32_e32 v3, v3, v9
	v_mul_lo_u32 v9, v3, s79
	v_mul_lo_u32 v10, v3, s66
	;; [unrolled: 1-line block ×3, first 2 shown]
	v_add3_u32 v0, v6, v0, v9
	v_add3_u32 v4, v7, v4, v10
	;; [unrolled: 1-line block ×3, first 2 shown]
	s_cbranch_scc0 .LBB316_1455
; %bb.1456:
	s_bitcmp1_b32 s75, 0
	s_cselect_b64 s[40:41], -1, 0
	s_and_b64 vcc, exec, s[40:41]
	s_cbranch_vccnz .LBB316_1461
; %bb.1457:
	s_load_dwordx2 s[40:41], s[2:3], 0x1c
	s_load_dword s14, s[2:3], 0x24
	s_load_dwordx2 s[66:67], s[2:3], 0xdc
	s_waitcnt lgkmcnt(0)
	v_mul_hi_u32 v3, s41, v1
	v_add_u32_e32 v3, v1, v3
	v_lshrrev_b32_e32 v3, s14, v3
	v_mul_lo_u32 v3, v3, s40
	s_load_dword s14, s[2:3], 0xe4
	v_sub_u32_e32 v3, v1, v3
	v_mad_u64_u32 v[0:1], s[2:3], v3, s66, v[0:1]
	v_mad_u64_u32 v[4:5], s[2:3], v3, s67, v[4:5]
	s_waitcnt lgkmcnt(0)
	v_mad_u64_u32 v[2:3], s[2:3], v3, s14, v[2:3]
	s_branch .LBB316_1461
.LBB316_1458:
	s_mov_b64 s[2:3], -1
                                        ; implicit-def: $vgpr0
                                        ; implicit-def: $vgpr4
                                        ; implicit-def: $vgpr2
	s_branch .LBB316_1462
.LBB316_1459:
	s_mov_b64 s[2:3], 0
	s_branch .LBB316_1162
.LBB316_1460:
	v_mov_b32_e32 v0, 0
	v_mov_b32_e32 v4, 0
	;; [unrolled: 1-line block ×3, first 2 shown]
.LBB316_1461:
	s_mov_b64 s[2:3], 0
.LBB316_1462:
	s_andn2_b64 vcc, exec, s[2:3]
	s_cbranch_vccnz .LBB316_1465
; %bb.1463:
	v_mul_hi_u32 v0, s17, v8
	s_andn2_b64 vcc, exec, s[38:39]
	v_add_u32_e32 v0, v8, v0
	v_lshrrev_b32_e32 v1, s18, v0
	v_mul_lo_u32 v0, v1, s16
	v_sub_u32_e32 v2, v8, v0
	v_mul_lo_u32 v0, v2, s20
	v_mul_lo_u32 v4, v2, s21
	;; [unrolled: 1-line block ×3, first 2 shown]
	s_cbranch_vccnz .LBB316_1465
; %bb.1464:
	s_waitcnt vmcnt(0)
	v_mul_hi_u32 v3, s36, v1
	v_add_u32_e32 v3, v1, v3
	v_lshrrev_b32_e32 v3, s37, v3
	v_mul_lo_u32 v3, v3, s19
	v_sub_u32_e32 v3, v1, v3
	v_mad_u64_u32 v[0:1], s[2:3], v3, s23, v[0:1]
	v_mad_u64_u32 v[4:5], s[2:3], v3, s34, v[4:5]
	;; [unrolled: 1-line block ×3, first 2 shown]
.LBB316_1465:
	v_mov_b32_e32 v1, s11
	s_and_b32 s14, s74, 0xff
	s_waitcnt vmcnt(0)
	v_add_co_u32_e32 v3, vcc, s10, v4
	s_cmp_lt_i32 s14, 11
	v_addc_co_u32_e32 v4, vcc, 0, v1, vcc
	s_cbranch_scc1 .LBB316_1474
; %bb.1466:
	s_and_b32 s22, 0xffff, s14
	s_cmp_gt_i32 s22, 25
	s_mov_b64 s[16:17], 0
	s_cbranch_scc0 .LBB316_1475
; %bb.1467:
	s_cmp_gt_i32 s22, 28
	s_cbranch_scc0 .LBB316_1476
; %bb.1468:
	s_cmp_gt_i32 s22, 43
	;; [unrolled: 3-line block ×3, first 2 shown]
	s_cbranch_scc0 .LBB316_1478
; %bb.1470:
	s_cmp_eq_u32 s22, 46
	s_mov_b64 s[18:19], 0
	s_cbranch_scc0 .LBB316_1481
; %bb.1471:
	global_load_dword v1, v[3:4], off
	s_movk_i32 s2, 0xff
	v_mov_b32_e32 v5, 0xff
	s_waitcnt vmcnt(0)
	v_lshlrev_b32_e32 v6, 16, v1
	v_bfe_u32 v7, v6, 23, 8
	v_cmp_ne_u32_e32 vcc, s2, v7
	s_and_saveexec_b64 s[10:11], vcc
; %bb.1472:
	v_bfe_u32 v5, v1, 7, 9
	v_and_b32_e32 v1, 64, v1
	s_mov_b32 s2, 0x3f0000
	v_cmp_ne_u32_e32 vcc, 0, v1
	v_and_or_b32 v1, v6, s2, v7
	v_cmp_ne_u32_e64 s[2:3], 0, v1
	s_and_b64 s[2:3], vcc, s[2:3]
	v_cndmask_b32_e64 v1, 0, 1, s[2:3]
	v_add_u32_e32 v5, v5, v1
; %bb.1473:
	s_or_b64 exec, exec, s[10:11]
	s_mov_b64 s[10:11], 0
	s_mov_b64 s[2:3], -1
	s_branch .LBB316_1482
.LBB316_1474:
	s_mov_b64 s[18:19], -1
	s_mov_b64 s[2:3], 0
	s_mov_b64 s[16:17], 0
	;; [unrolled: 1-line block ×3, first 2 shown]
                                        ; implicit-def: $vgpr5
	s_branch .LBB316_1561
.LBB316_1475:
	s_mov_b64 s[18:19], -1
	s_mov_b64 s[2:3], 0
	s_mov_b64 s[10:11], s[6:7]
                                        ; implicit-def: $vgpr5
	s_branch .LBB316_1519
.LBB316_1476:
	s_mov_b64 s[18:19], -1
	s_mov_b64 s[2:3], 0
	s_mov_b64 s[10:11], s[6:7]
                                        ; implicit-def: $vgpr5
	s_branch .LBB316_1494
.LBB316_1477:
	s_mov_b64 s[18:19], -1
	s_mov_b64 s[2:3], 0
	s_mov_b64 s[10:11], s[6:7]
                                        ; implicit-def: $vgpr5
	s_branch .LBB316_1487
.LBB316_1478:
	s_mov_b64 s[18:19], -1
	s_mov_b64 s[2:3], 0
	s_mov_b64 s[10:11], s[6:7]
                                        ; implicit-def: $vgpr5
	s_branch .LBB316_1482
.LBB316_1479:
	s_andn2_saveexec_b64 s[68:69], s[68:69]
	s_cbranch_execz .LBB316_1360
.LBB316_1480:
	v_add_f32_e32 v2, 0x46000000, v3
	v_and_b32_e32 v2, 0xff, v2
	v_cmp_ne_u32_e32 vcc, 0, v2
	s_andn2_b64 s[66:67], s[66:67], exec
	s_and_b64 s[76:77], vcc, exec
	s_or_b64 s[66:67], s[66:67], s[76:77]
	s_or_b64 exec, exec, s[68:69]
	v_mov_b32_e32 v4, 0
	s_and_saveexec_b64 s[68:69], s[66:67]
	s_cbranch_execnz .LBB316_1361
	s_branch .LBB316_1362
.LBB316_1481:
	s_mov_b64 s[10:11], -1
                                        ; implicit-def: $vgpr5
	s_mov_b64 s[2:3], 0
.LBB316_1482:
	s_and_b64 vcc, exec, s[18:19]
	s_cbranch_vccz .LBB316_1486
; %bb.1483:
	s_cmp_eq_u32 s22, 44
	s_cbranch_scc0 .LBB316_1485
; %bb.1484:
	global_load_ubyte v5, v[3:4], off
	s_mov_b64 s[10:11], 0
	s_mov_b64 s[2:3], -1
	s_branch .LBB316_1486
.LBB316_1485:
	s_mov_b64 s[10:11], -1
                                        ; implicit-def: $vgpr5
.LBB316_1486:
	s_mov_b64 s[18:19], 0
.LBB316_1487:
	s_and_b64 vcc, exec, s[18:19]
	s_cbranch_vccz .LBB316_1493
; %bb.1488:
	s_cmp_eq_u32 s22, 29
	s_cbranch_scc0 .LBB316_1492
; %bb.1489:
	global_load_dwordx2 v[5:6], v[3:4], off
	s_movk_i32 s2, 0xff
	s_waitcnt vmcnt(0)
	v_ffbh_u32_e32 v1, v6
	v_min_u32_e32 v1, 32, v1
	v_lshlrev_b64 v[5:6], v1, v[5:6]
	v_sub_u32_e32 v1, 32, v1
	v_min_u32_e32 v5, 1, v5
	v_or_b32_e32 v5, v6, v5
	v_cvt_f32_u32_e32 v5, v5
	v_ldexp_f32 v6, v5, v1
	v_lshrrev_b32_e32 v1, 23, v6
	v_cmp_ne_u32_e32 vcc, s2, v1
	v_mov_b32_e32 v5, 0xff
	s_and_saveexec_b64 s[10:11], vcc
; %bb.1490:
	v_and_b32_e32 v5, 0x400000, v6
	s_mov_b32 s2, 0x3fffff
	v_cmp_ne_u32_e32 vcc, 0, v5
	v_and_or_b32 v5, v6, s2, v1
	v_cmp_ne_u32_e64 s[2:3], 0, v5
	s_and_b64 s[2:3], vcc, s[2:3]
	v_cndmask_b32_e64 v5, 0, 1, s[2:3]
	v_add_u32_e32 v5, v1, v5
; %bb.1491:
	s_or_b64 exec, exec, s[10:11]
	s_mov_b64 s[10:11], 0
	s_mov_b64 s[2:3], -1
	s_branch .LBB316_1493
.LBB316_1492:
	s_mov_b64 s[10:11], -1
                                        ; implicit-def: $vgpr5
.LBB316_1493:
	s_mov_b64 s[18:19], 0
.LBB316_1494:
	s_and_b64 vcc, exec, s[18:19]
	s_cbranch_vccz .LBB316_1518
; %bb.1495:
	s_cmp_lt_i32 s22, 27
	s_cbranch_scc1 .LBB316_1500
; %bb.1496:
	s_cmp_gt_i32 s22, 27
	s_cbranch_scc0 .LBB316_1501
; %bb.1497:
	global_load_dword v1, v[3:4], off
	s_movk_i32 s2, 0xff
	s_waitcnt vmcnt(1)
	v_mov_b32_e32 v5, 0xff
	s_waitcnt vmcnt(0)
	v_cvt_f32_u32_e32 v6, v1
	v_lshrrev_b32_e32 v1, 23, v6
	v_cmp_ne_u32_e32 vcc, s2, v1
	s_and_saveexec_b64 s[18:19], vcc
; %bb.1498:
	v_and_b32_e32 v5, 0x400000, v6
	s_mov_b32 s2, 0x3fffff
	v_cmp_ne_u32_e32 vcc, 0, v5
	v_and_or_b32 v5, v6, s2, v1
	v_cmp_ne_u32_e64 s[2:3], 0, v5
	s_and_b64 s[2:3], vcc, s[2:3]
	v_cndmask_b32_e64 v5, 0, 1, s[2:3]
	v_add_u32_e32 v5, v1, v5
; %bb.1499:
	s_or_b64 exec, exec, s[18:19]
	s_mov_b64 s[2:3], 0
	s_branch .LBB316_1502
.LBB316_1500:
	s_mov_b64 s[2:3], -1
                                        ; implicit-def: $vgpr5
	s_branch .LBB316_1507
.LBB316_1501:
	s_mov_b64 s[2:3], -1
                                        ; implicit-def: $vgpr5
.LBB316_1502:
	s_andn2_b64 vcc, exec, s[2:3]
	s_cbranch_vccnz .LBB316_1506
; %bb.1503:
	global_load_ushort v1, v[3:4], off
	s_movk_i32 s2, 0xff
	s_waitcnt vmcnt(1)
	v_mov_b32_e32 v5, 0xff
	s_waitcnt vmcnt(0)
	v_cvt_f32_u32_e32 v6, v1
	v_lshrrev_b32_e32 v1, 23, v6
	v_cmp_ne_u32_e32 vcc, s2, v1
	s_and_saveexec_b64 s[18:19], vcc
; %bb.1504:
	v_and_b32_e32 v5, 0x400000, v6
	s_mov_b32 s2, 0x3fffff
	v_cmp_ne_u32_e32 vcc, 0, v5
	v_and_or_b32 v5, v6, s2, v1
	v_cmp_ne_u32_e64 s[2:3], 0, v5
	s_and_b64 s[2:3], vcc, s[2:3]
	v_cndmask_b32_e64 v5, 0, 1, s[2:3]
	v_add_u32_e32 v5, v1, v5
; %bb.1505:
	s_or_b64 exec, exec, s[18:19]
.LBB316_1506:
	s_mov_b64 s[2:3], 0
.LBB316_1507:
	s_andn2_b64 vcc, exec, s[2:3]
	s_cbranch_vccnz .LBB316_1517
; %bb.1508:
	global_load_ubyte v1, v[3:4], off
	s_movk_i32 s2, 0x7f
	s_waitcnt vmcnt(0)
	v_cmp_lt_i16_e32 vcc, s2, v1
	s_mov_b64 s[2:3], 0
	s_and_saveexec_b64 s[18:19], vcc
	s_xor_b64 s[18:19], exec, s[18:19]
	s_cbranch_execz .LBB316_1533
; %bb.1509:
	s_movk_i32 s2, 0x80
	v_cmp_eq_u16_e32 vcc, s2, v1
	s_mov_b64 s[2:3], -1
	s_and_saveexec_b64 s[20:21], vcc
; %bb.1510:
	s_xor_b64 s[2:3], exec, -1
; %bb.1511:
	s_or_b64 exec, exec, s[20:21]
	s_and_b64 s[2:3], s[2:3], exec
	s_or_saveexec_b64 s[18:19], s[18:19]
	v_mov_b32_e32 v6, 0x7f800001
	s_xor_b64 exec, exec, s[18:19]
	s_cbranch_execnz .LBB316_1534
.LBB316_1512:
	s_or_b64 exec, exec, s[18:19]
	s_and_saveexec_b64 s[18:19], s[2:3]
	s_cbranch_execz .LBB316_1514
.LBB316_1513:
	v_and_b32_e32 v1, 0xffff, v1
	v_and_b32_e32 v5, 7, v1
	v_ffbh_u32_e32 v7, v5
	v_min_u32_e32 v7, 32, v7
	v_subrev_u32_e32 v8, 28, v7
	v_bfe_u32 v6, v1, 3, 4
	v_lshlrev_b32_e32 v1, v8, v1
	v_and_b32_e32 v1, 7, v1
	v_cmp_eq_u32_e32 vcc, 0, v6
	v_sub_u32_e32 v7, 29, v7
	v_cndmask_b32_e32 v1, v5, v1, vcc
	v_cndmask_b32_e32 v6, v6, v7, vcc
	v_lshlrev_b32_e32 v1, 20, v1
	v_lshl_or_b32 v1, v6, 23, v1
	v_add_u32_e32 v6, 0x3b800000, v1
.LBB316_1514:
	s_or_b64 exec, exec, s[18:19]
	v_lshrrev_b32_e32 v1, 23, v6
	s_movk_i32 s2, 0xff
	v_cmp_ne_u32_e32 vcc, s2, v1
	v_mov_b32_e32 v5, 0xff
	s_and_saveexec_b64 s[18:19], vcc
; %bb.1515:
	v_and_b32_e32 v5, 0x400000, v6
	s_mov_b32 s2, 0x3fffff
	v_cmp_ne_u32_e32 vcc, 0, v5
	v_and_or_b32 v5, v6, s2, v1
	v_cmp_ne_u32_e64 s[2:3], 0, v5
	s_and_b64 s[2:3], vcc, s[2:3]
	v_cndmask_b32_e64 v5, 0, 1, s[2:3]
	v_add_u32_e32 v5, v1, v5
; %bb.1516:
	s_or_b64 exec, exec, s[18:19]
.LBB316_1517:
	s_mov_b64 s[2:3], -1
.LBB316_1518:
	s_mov_b64 s[18:19], 0
.LBB316_1519:
	s_and_b64 vcc, exec, s[18:19]
	s_cbranch_vccz .LBB316_1560
; %bb.1520:
	s_cmp_gt_i32 s22, 22
	s_cbranch_scc0 .LBB316_1532
; %bb.1521:
	s_cmp_lt_i32 s22, 24
	s_cbranch_scc1 .LBB316_1535
; %bb.1522:
	s_cmp_gt_i32 s22, 24
	s_cbranch_scc0 .LBB316_1536
; %bb.1523:
	global_load_ubyte v1, v[3:4], off
	s_movk_i32 s2, 0x7f
	s_waitcnt vmcnt(0)
	v_cmp_lt_i16_e32 vcc, s2, v1
	s_mov_b64 s[2:3], 0
	s_and_saveexec_b64 s[16:17], vcc
	s_xor_b64 s[16:17], exec, s[16:17]
	s_cbranch_execz .LBB316_1554
; %bb.1524:
	s_movk_i32 s2, 0x80
	v_cmp_eq_u16_e32 vcc, s2, v1
	s_mov_b64 s[2:3], -1
	s_and_saveexec_b64 s[18:19], vcc
; %bb.1525:
	s_xor_b64 s[2:3], exec, -1
; %bb.1526:
	s_or_b64 exec, exec, s[18:19]
	s_and_b64 s[2:3], s[2:3], exec
	s_or_saveexec_b64 s[16:17], s[16:17]
	v_mov_b32_e32 v6, 0x7f800001
	s_xor_b64 exec, exec, s[16:17]
	s_cbranch_execnz .LBB316_1555
.LBB316_1527:
	s_or_b64 exec, exec, s[16:17]
	s_and_saveexec_b64 s[16:17], s[2:3]
	s_cbranch_execz .LBB316_1529
.LBB316_1528:
	v_and_b32_e32 v1, 0xffff, v1
	v_and_b32_e32 v5, 3, v1
	v_ffbh_u32_e32 v7, v5
	v_min_u32_e32 v7, 32, v7
	v_subrev_u32_e32 v8, 29, v7
	v_bfe_u32 v6, v1, 2, 5
	v_lshlrev_b32_e32 v1, v8, v1
	v_and_b32_e32 v1, 3, v1
	v_cmp_eq_u32_e32 vcc, 0, v6
	v_sub_u32_e32 v7, 30, v7
	v_cndmask_b32_e32 v1, v5, v1, vcc
	v_cndmask_b32_e32 v6, v6, v7, vcc
	v_lshlrev_b32_e32 v1, 21, v1
	v_lshl_or_b32 v1, v6, 23, v1
	v_add_u32_e32 v6, 0x37800000, v1
.LBB316_1529:
	s_or_b64 exec, exec, s[16:17]
	v_lshrrev_b32_e32 v1, 23, v6
	s_movk_i32 s2, 0xff
	v_cmp_ne_u32_e32 vcc, s2, v1
	v_mov_b32_e32 v5, 0xff
	s_and_saveexec_b64 s[16:17], vcc
; %bb.1530:
	v_and_b32_e32 v5, 0x400000, v6
	s_mov_b32 s2, 0x3fffff
	v_cmp_ne_u32_e32 vcc, 0, v5
	v_and_or_b32 v5, v6, s2, v1
	v_cmp_ne_u32_e64 s[2:3], 0, v5
	s_and_b64 s[2:3], vcc, s[2:3]
	v_cndmask_b32_e64 v5, 0, 1, s[2:3]
	v_add_u32_e32 v5, v1, v5
; %bb.1531:
	s_or_b64 exec, exec, s[16:17]
	s_mov_b64 s[2:3], 0
	s_branch .LBB316_1537
.LBB316_1532:
	s_mov_b64 s[16:17], -1
                                        ; implicit-def: $vgpr5
	s_branch .LBB316_1547
.LBB316_1533:
	s_or_saveexec_b64 s[18:19], s[18:19]
	v_mov_b32_e32 v6, 0x7f800001
	s_xor_b64 exec, exec, s[18:19]
	s_cbranch_execz .LBB316_1512
.LBB316_1534:
	v_cmp_ne_u16_e32 vcc, 0, v1
	s_andn2_b64 s[2:3], s[2:3], exec
	s_and_b64 s[20:21], vcc, exec
	v_and_b32_e32 v6, 0xffff, v1
	s_or_b64 s[2:3], s[2:3], s[20:21]
	s_or_b64 exec, exec, s[18:19]
	s_and_saveexec_b64 s[18:19], s[2:3]
	s_cbranch_execnz .LBB316_1513
	s_branch .LBB316_1514
.LBB316_1535:
	s_mov_b64 s[2:3], -1
                                        ; implicit-def: $vgpr5
	s_branch .LBB316_1542
.LBB316_1536:
	s_mov_b64 s[2:3], -1
                                        ; implicit-def: $vgpr5
.LBB316_1537:
	s_and_b64 vcc, exec, s[2:3]
	s_cbranch_vccz .LBB316_1541
; %bb.1538:
	global_load_ubyte v1, v[3:4], off
	s_mov_b32 s2, 0x7f800000
	s_movk_i32 s3, 0xff
	s_waitcnt vmcnt(0)
	v_lshlrev_b32_e32 v1, 24, v1
	v_and_b32_e32 v1, 0x7f000000, v1
	v_ffbh_u32_e32 v5, v1
	v_min_u32_e32 v5, 32, v5
	v_sub_u32_e64 v5, v5, 4 clamp
	v_lshlrev_b32_e32 v7, v5, v1
	v_lshlrev_b32_e32 v5, 23, v5
	v_lshrrev_b32_e32 v7, 4, v7
	v_add_u32_e32 v6, 0x1000000, v1
	v_sub_u32_e32 v5, v7, v5
	v_ashrrev_i32_e32 v6, 8, v6
	v_add_u32_e32 v5, 0x3c000000, v5
	v_and_or_b32 v5, v6, s2, v5
	v_cmp_ne_u32_e32 vcc, 0, v1
	v_cndmask_b32_e32 v6, 0, v5, vcc
	v_lshrrev_b32_e32 v1, 23, v6
	v_cmp_ne_u32_e32 vcc, s3, v1
	v_mov_b32_e32 v5, 0xff
	s_and_saveexec_b64 s[16:17], vcc
; %bb.1539:
	v_and_b32_e32 v5, 0x400000, v6
	s_mov_b32 s2, 0x3fffff
	v_cmp_ne_u32_e32 vcc, 0, v5
	v_and_or_b32 v5, v6, s2, v1
	v_cmp_ne_u32_e64 s[2:3], 0, v5
	s_and_b64 s[2:3], vcc, s[2:3]
	v_cndmask_b32_e64 v5, 0, 1, s[2:3]
	v_add_u32_e32 v5, v1, v5
; %bb.1540:
	s_or_b64 exec, exec, s[16:17]
.LBB316_1541:
	s_mov_b64 s[2:3], 0
.LBB316_1542:
	s_andn2_b64 vcc, exec, s[2:3]
	s_cbranch_vccnz .LBB316_1546
; %bb.1543:
	global_load_ubyte v1, v[3:4], off
	s_movk_i32 s2, 0x7f00
	s_brev_b32 s3, 16
	s_movk_i32 s16, 0xff
	s_waitcnt vmcnt(0)
	v_lshlrev_b32_e32 v5, 8, v1
	v_lshlrev_b32_e32 v1, 25, v1
	v_lshrrev_b32_e32 v6, 4, v1
	v_and_or_b32 v5, v5, s2, 0.5
	v_or_b32_e32 v6, 0x70000000, v6
	v_add_f32_e32 v5, -0.5, v5
	v_mul_f32_e32 v6, 0x7800000, v6
	v_cmp_gt_u32_e32 vcc, s3, v1
	v_cndmask_b32_e32 v1, v6, v5, vcc
	v_bfe_u32 v6, v1, 23, 8
	v_cmp_ne_u32_e32 vcc, s16, v6
	v_mov_b32_e32 v5, 0xff
	s_and_saveexec_b64 s[16:17], vcc
; %bb.1544:
	s_mov_b32 s2, 0x3fffff
	v_lshrrev_b32_e32 v5, 23, v1
	v_and_b32_e32 v7, 0x400000, v1
	v_and_or_b32 v1, v1, s2, v6
	v_cmp_ne_u32_e32 vcc, 0, v7
	v_cmp_ne_u32_e64 s[2:3], 0, v1
	s_and_b64 s[2:3], vcc, s[2:3]
	v_cndmask_b32_e64 v1, 0, 1, s[2:3]
	v_add_u32_e32 v5, v5, v1
; %bb.1545:
	s_or_b64 exec, exec, s[16:17]
.LBB316_1546:
	s_mov_b64 s[16:17], 0
	s_mov_b64 s[2:3], -1
.LBB316_1547:
	s_andn2_b64 vcc, exec, s[16:17]
	s_mov_b64 s[16:17], 0
	s_cbranch_vccnz .LBB316_1560
; %bb.1548:
	s_cmp_gt_i32 s22, 14
	s_cbranch_scc0 .LBB316_1553
; %bb.1549:
	s_cmp_eq_u32 s22, 15
	s_cbranch_scc0 .LBB316_1556
; %bb.1550:
	global_load_ushort v1, v[3:4], off
	s_movk_i32 s2, 0xff
	s_waitcnt vmcnt(1)
	v_mov_b32_e32 v5, 0xff
	s_waitcnt vmcnt(0)
	v_bfe_u32 v6, v1, 7, 8
	v_cmp_ne_u32_e32 vcc, s2, v6
	s_and_saveexec_b64 s[10:11], vcc
	s_cbranch_execz .LBB316_1552
; %bb.1551:
	v_lshrrev_b32_e32 v5, 7, v1
	v_lshlrev_b32_e32 v7, 16, v1
	v_and_b32_e32 v1, 64, v1
	s_mov_b32 s2, 0x3f0000
	v_cmp_ne_u32_e32 vcc, 0, v1
	v_and_or_b32 v1, v7, s2, v6
	v_cmp_ne_u32_e64 s[2:3], 0, v1
	s_and_b64 s[2:3], vcc, s[2:3]
	v_cndmask_b32_e64 v1, 0, 1, s[2:3]
	v_add_u32_e32 v5, v5, v1
.LBB316_1552:
	s_or_b64 exec, exec, s[10:11]
	s_mov_b64 s[10:11], 0
	s_mov_b64 s[2:3], -1
	s_branch .LBB316_1557
.LBB316_1553:
	s_mov_b64 s[18:19], -1
                                        ; implicit-def: $vgpr5
	s_branch .LBB316_1558
.LBB316_1554:
	s_or_saveexec_b64 s[16:17], s[16:17]
	v_mov_b32_e32 v6, 0x7f800001
	s_xor_b64 exec, exec, s[16:17]
	s_cbranch_execz .LBB316_1527
.LBB316_1555:
	v_cmp_ne_u16_e32 vcc, 0, v1
	s_andn2_b64 s[2:3], s[2:3], exec
	s_and_b64 s[18:19], vcc, exec
	v_and_b32_e32 v6, 0xffff, v1
	s_or_b64 s[2:3], s[2:3], s[18:19]
	s_or_b64 exec, exec, s[16:17]
	s_and_saveexec_b64 s[16:17], s[2:3]
	s_cbranch_execnz .LBB316_1528
	s_branch .LBB316_1529
.LBB316_1556:
	s_mov_b64 s[10:11], -1
                                        ; implicit-def: $vgpr5
.LBB316_1557:
	s_mov_b64 s[18:19], 0
.LBB316_1558:
	s_and_b64 vcc, exec, s[18:19]
	s_cbranch_vccz .LBB316_1560
; %bb.1559:
	s_cmp_lg_u32 s22, 11
	s_cselect_b64 s[18:19], -1, 0
	s_andn2_b64 s[10:11], s[10:11], exec
	s_and_b64 s[18:19], s[18:19], exec
	s_mov_b64 s[16:17], -1
	s_or_b64 s[10:11], s[10:11], s[18:19]
.LBB316_1560:
	s_mov_b64 s[18:19], 0
.LBB316_1561:
	s_and_b64 s[70:71], s[2:3], exec
	s_and_b64 s[2:3], s[16:17], exec
	s_andn2_b64 s[16:17], s[6:7], exec
	s_and_b64 s[10:11], s[10:11], exec
	s_and_b64 s[66:67], s[18:19], exec
	s_or_b64 s[68:69], s[16:17], s[10:11]
.LBB316_1562:
	s_or_b64 exec, exec, s[60:61]
	s_andn2_b64 s[6:7], s[6:7], exec
	s_and_b64 s[10:11], s[68:69], exec
	s_and_b64 s[60:61], s[70:71], exec
	;; [unrolled: 1-line block ×4, first 2 shown]
	s_or_b64 s[6:7], s[6:7], s[10:11]
.LBB316_1563:
	s_or_b64 exec, exec, s[58:59]
	s_andn2_b64 s[10:11], s[54:55], exec
	s_and_b64 s[16:17], s[64:65], exec
	s_or_b64 s[54:55], s[10:11], s[16:17]
	s_andn2_b64 s[10:11], s[52:53], exec
	s_and_b64 s[16:17], s[62:63], exec
	s_or_b64 s[52:53], s[10:11], s[16:17]
	s_andn2_b64 s[10:11], s[50:51], exec
	s_and_b64 s[6:7], s[6:7], exec
	s_and_b64 s[60:61], s[60:61], exec
	;; [unrolled: 1-line block ×4, first 2 shown]
	s_or_b64 s[50:51], s[10:11], s[6:7]
.LBB316_1564:
	s_or_b64 exec, exec, s[56:57]
	s_andn2_b64 s[6:7], s[42:43], exec
	s_and_b64 s[10:11], s[54:55], exec
	s_or_b64 s[42:43], s[6:7], s[10:11]
	s_andn2_b64 s[6:7], s[44:45], exec
	s_and_b64 s[10:11], s[52:53], exec
	s_or_b64 s[44:45], s[6:7], s[10:11]
	s_and_b64 s[52:53], s[2:3], exec
	s_andn2_b64 s[2:3], s[46:47], exec
	s_and_b64 s[6:7], s[50:51], exec
	s_and_b64 s[54:55], s[60:61], exec
	;; [unrolled: 1-line block ×3, first 2 shown]
	s_or_b64 s[46:47], s[2:3], s[6:7]
	s_or_b64 exec, exec, s[48:49]
	s_mov_b64 s[6:7], 0
	s_and_saveexec_b64 s[2:3], s[46:47]
	s_cbranch_execz .LBB316_487
.LBB316_1565:
	s_mov_b64 s[6:7], exec
	s_andn2_b64 s[52:53], s[52:53], exec
	s_trap 2
	s_or_b64 exec, exec, s[2:3]
	s_and_saveexec_b64 s[2:3], s[52:53]
	s_xor_b64 s[10:11], exec, s[2:3]
	s_cbranch_execnz .LBB316_488
.LBB316_1566:
	s_or_b64 exec, exec, s[10:11]
	s_and_saveexec_b64 s[10:11], s[56:57]
	s_cbranch_execz .LBB316_1634
.LBB316_1567:
	s_sext_i32_i16 s2, s14
	s_cmp_lt_i32 s2, 5
	s_cbranch_scc1 .LBB316_1574
; %bb.1568:
	s_cmp_lt_i32 s2, 8
	s_cbranch_scc1 .LBB316_1575
; %bb.1569:
	;; [unrolled: 3-line block ×3, first 2 shown]
	s_cmp_gt_i32 s2, 9
	s_cbranch_scc0 .LBB316_1577
; %bb.1571:
	s_waitcnt vmcnt(0)
	global_load_dwordx2 v[5:6], v[3:4], off
	s_movk_i32 s2, 0xff
	s_waitcnt vmcnt(0)
	v_cvt_f32_f64_e32 v1, v[5:6]
	v_mov_b32_e32 v5, 0xff
	v_bfe_u32 v6, v1, 23, 8
	v_cmp_ne_u32_e32 vcc, s2, v6
	s_and_saveexec_b64 s[16:17], vcc
; %bb.1572:
	s_mov_b32 s2, 0x3fffff
	v_lshrrev_b32_e32 v5, 23, v1
	v_and_b32_e32 v7, 0x400000, v1
	v_and_or_b32 v1, v1, s2, v6
	v_cmp_ne_u32_e32 vcc, 0, v7
	v_cmp_ne_u32_e64 s[2:3], 0, v1
	s_and_b64 s[2:3], vcc, s[2:3]
	v_cndmask_b32_e64 v1, 0, 1, s[2:3]
	v_add_u32_e32 v5, v5, v1
; %bb.1573:
	s_or_b64 exec, exec, s[16:17]
	s_mov_b64 s[2:3], 0
	s_branch .LBB316_1578
.LBB316_1574:
                                        ; implicit-def: $vgpr5
	s_branch .LBB316_1605
.LBB316_1575:
                                        ; implicit-def: $vgpr5
	s_branch .LBB316_1588
.LBB316_1576:
	s_mov_b64 s[2:3], -1
                                        ; implicit-def: $vgpr5
	s_branch .LBB316_1583
.LBB316_1577:
	s_mov_b64 s[2:3], -1
                                        ; implicit-def: $vgpr5
.LBB316_1578:
	s_andn2_b64 vcc, exec, s[2:3]
	s_cbranch_vccnz .LBB316_1582
; %bb.1579:
	s_waitcnt vmcnt(0)
	global_load_dword v1, v[3:4], off
	s_movk_i32 s2, 0xff
	v_mov_b32_e32 v5, 0xff
	s_waitcnt vmcnt(0)
	v_bfe_u32 v6, v1, 23, 8
	v_cmp_ne_u32_e32 vcc, s2, v6
	s_and_saveexec_b64 s[16:17], vcc
; %bb.1580:
	s_mov_b32 s2, 0x3fffff
	v_lshrrev_b32_e32 v5, 23, v1
	v_and_b32_e32 v7, 0x400000, v1
	v_and_or_b32 v1, v1, s2, v6
	v_cmp_ne_u32_e32 vcc, 0, v7
	v_cmp_ne_u32_e64 s[2:3], 0, v1
	s_and_b64 s[2:3], vcc, s[2:3]
	v_cndmask_b32_e64 v1, 0, 1, s[2:3]
	v_add_u32_e32 v5, v5, v1
; %bb.1581:
	s_or_b64 exec, exec, s[16:17]
.LBB316_1582:
	s_mov_b64 s[2:3], 0
.LBB316_1583:
	s_andn2_b64 vcc, exec, s[2:3]
	s_cbranch_vccnz .LBB316_1587
; %bb.1584:
	s_waitcnt vmcnt(0)
	global_load_dword v1, v[3:4], off
	s_movk_i32 s2, 0xff
	v_mov_b32_e32 v5, 0xff
	s_waitcnt vmcnt(0)
	v_cvt_f32_f16_e32 v1, v1
	v_bfe_u32 v6, v1, 23, 8
	v_cmp_ne_u32_e32 vcc, s2, v6
	s_and_saveexec_b64 s[16:17], vcc
; %bb.1585:
	s_mov_b32 s2, 0x3fffff
	v_lshrrev_b32_e32 v5, 23, v1
	v_and_b32_e32 v7, 0x400000, v1
	v_and_or_b32 v1, v1, s2, v6
	v_cmp_ne_u32_e32 vcc, 0, v7
	v_cmp_ne_u32_e64 s[2:3], 0, v1
	s_and_b64 s[2:3], vcc, s[2:3]
	v_cndmask_b32_e64 v1, 0, 1, s[2:3]
	v_add_u32_e32 v5, v5, v1
; %bb.1586:
	s_or_b64 exec, exec, s[16:17]
.LBB316_1587:
	s_cbranch_execnz .LBB316_1604
.LBB316_1588:
	s_sext_i32_i16 s2, s14
	s_cmp_lt_i32 s2, 6
	s_cbranch_scc1 .LBB316_1593
; %bb.1589:
	s_cmp_gt_i32 s2, 6
	s_cbranch_scc0 .LBB316_1594
; %bb.1590:
	s_waitcnt vmcnt(0)
	global_load_dwordx2 v[5:6], v[3:4], off
	s_movk_i32 s2, 0xff
	s_waitcnt vmcnt(0)
	v_cvt_f32_f64_e32 v1, v[5:6]
	v_mov_b32_e32 v5, 0xff
	v_bfe_u32 v6, v1, 23, 8
	v_cmp_ne_u32_e32 vcc, s2, v6
	s_and_saveexec_b64 s[16:17], vcc
; %bb.1591:
	s_mov_b32 s2, 0x3fffff
	v_lshrrev_b32_e32 v5, 23, v1
	v_and_b32_e32 v7, 0x400000, v1
	v_and_or_b32 v1, v1, s2, v6
	v_cmp_ne_u32_e32 vcc, 0, v7
	v_cmp_ne_u32_e64 s[2:3], 0, v1
	s_and_b64 s[2:3], vcc, s[2:3]
	v_cndmask_b32_e64 v1, 0, 1, s[2:3]
	v_add_u32_e32 v5, v5, v1
; %bb.1592:
	s_or_b64 exec, exec, s[16:17]
	s_mov_b64 s[2:3], 0
	s_branch .LBB316_1595
.LBB316_1593:
	s_mov_b64 s[2:3], -1
                                        ; implicit-def: $vgpr5
	s_branch .LBB316_1600
.LBB316_1594:
	s_mov_b64 s[2:3], -1
                                        ; implicit-def: $vgpr5
.LBB316_1595:
	s_andn2_b64 vcc, exec, s[2:3]
	s_cbranch_vccnz .LBB316_1599
; %bb.1596:
	s_waitcnt vmcnt(0)
	global_load_dword v1, v[3:4], off
	s_movk_i32 s2, 0xff
	v_mov_b32_e32 v5, 0xff
	s_waitcnt vmcnt(0)
	v_bfe_u32 v6, v1, 23, 8
	v_cmp_ne_u32_e32 vcc, s2, v6
	s_and_saveexec_b64 s[16:17], vcc
; %bb.1597:
	s_mov_b32 s2, 0x3fffff
	v_lshrrev_b32_e32 v5, 23, v1
	v_and_b32_e32 v7, 0x400000, v1
	v_and_or_b32 v1, v1, s2, v6
	v_cmp_ne_u32_e32 vcc, 0, v7
	v_cmp_ne_u32_e64 s[2:3], 0, v1
	s_and_b64 s[2:3], vcc, s[2:3]
	v_cndmask_b32_e64 v1, 0, 1, s[2:3]
	v_add_u32_e32 v5, v5, v1
; %bb.1598:
	s_or_b64 exec, exec, s[16:17]
.LBB316_1599:
	s_mov_b64 s[2:3], 0
.LBB316_1600:
	s_andn2_b64 vcc, exec, s[2:3]
	s_cbranch_vccnz .LBB316_1604
; %bb.1601:
	s_waitcnt vmcnt(0)
	global_load_ushort v1, v[3:4], off
	s_movk_i32 s2, 0xff
	v_mov_b32_e32 v5, 0xff
	s_waitcnt vmcnt(0)
	v_cvt_f32_f16_e32 v1, v1
	v_bfe_u32 v6, v1, 23, 8
	v_cmp_ne_u32_e32 vcc, s2, v6
	s_and_saveexec_b64 s[16:17], vcc
; %bb.1602:
	s_mov_b32 s2, 0x3fffff
	v_lshrrev_b32_e32 v5, 23, v1
	v_and_b32_e32 v7, 0x400000, v1
	v_and_or_b32 v1, v1, s2, v6
	v_cmp_ne_u32_e32 vcc, 0, v7
	v_cmp_ne_u32_e64 s[2:3], 0, v1
	s_and_b64 s[2:3], vcc, s[2:3]
	v_cndmask_b32_e64 v1, 0, 1, s[2:3]
	v_add_u32_e32 v5, v5, v1
; %bb.1603:
	s_or_b64 exec, exec, s[16:17]
.LBB316_1604:
	s_cbranch_execnz .LBB316_1633
.LBB316_1605:
	s_sext_i32_i16 s2, s14
	s_cmp_lt_i32 s2, 2
	s_cbranch_scc1 .LBB316_1611
; %bb.1606:
	s_cmp_lt_i32 s2, 3
	s_cbranch_scc1 .LBB316_1612
; %bb.1607:
	s_cmp_gt_i32 s2, 3
	s_cbranch_scc0 .LBB316_1613
; %bb.1608:
	s_waitcnt vmcnt(0)
	global_load_dwordx2 v[5:6], v[3:4], off
	s_movk_i32 s2, 0xff
	s_waitcnt vmcnt(0)
	v_xor_b32_e32 v7, v5, v6
	v_ffbh_i32_e32 v1, v6
	v_ashrrev_i32_e32 v7, 31, v7
	v_add_u32_e32 v1, -1, v1
	v_add_u32_e32 v7, 32, v7
	v_min_u32_e32 v1, v1, v7
	v_lshlrev_b64 v[5:6], v1, v[5:6]
	v_sub_u32_e32 v1, 32, v1
	v_min_u32_e32 v5, 1, v5
	v_or_b32_e32 v5, v6, v5
	v_cvt_f32_i32_e32 v5, v5
	v_ldexp_f32 v1, v5, v1
	v_bfe_u32 v6, v1, 23, 8
	v_cmp_ne_u32_e32 vcc, s2, v6
	v_mov_b32_e32 v5, 0xff
	s_and_saveexec_b64 s[16:17], vcc
; %bb.1609:
	s_mov_b32 s2, 0x3fffff
	v_lshrrev_b32_e32 v5, 23, v1
	v_and_b32_e32 v7, 0x400000, v1
	v_and_or_b32 v1, v1, s2, v6
	v_cmp_ne_u32_e32 vcc, 0, v7
	v_cmp_ne_u32_e64 s[2:3], 0, v1
	s_and_b64 s[2:3], vcc, s[2:3]
	v_cndmask_b32_e64 v1, 0, 1, s[2:3]
	v_add_u32_e32 v5, v5, v1
; %bb.1610:
	s_or_b64 exec, exec, s[16:17]
	s_mov_b64 s[2:3], 0
	s_branch .LBB316_1614
.LBB316_1611:
                                        ; implicit-def: $vgpr5
	s_branch .LBB316_1624
.LBB316_1612:
	s_mov_b64 s[2:3], -1
                                        ; implicit-def: $vgpr5
	s_branch .LBB316_1619
.LBB316_1613:
	s_mov_b64 s[2:3], -1
                                        ; implicit-def: $vgpr5
.LBB316_1614:
	s_andn2_b64 vcc, exec, s[2:3]
	s_cbranch_vccnz .LBB316_1618
; %bb.1615:
	s_waitcnt vmcnt(0)
	global_load_dword v1, v[3:4], off
	s_movk_i32 s2, 0xff
	v_mov_b32_e32 v5, 0xff
	s_waitcnt vmcnt(0)
	v_cvt_f32_i32_e32 v1, v1
	v_bfe_u32 v6, v1, 23, 8
	v_cmp_ne_u32_e32 vcc, s2, v6
	s_and_saveexec_b64 s[16:17], vcc
; %bb.1616:
	s_mov_b32 s2, 0x3fffff
	v_lshrrev_b32_e32 v5, 23, v1
	v_and_b32_e32 v7, 0x400000, v1
	v_and_or_b32 v1, v1, s2, v6
	v_cmp_ne_u32_e32 vcc, 0, v7
	v_cmp_ne_u32_e64 s[2:3], 0, v1
	s_and_b64 s[2:3], vcc, s[2:3]
	v_cndmask_b32_e64 v1, 0, 1, s[2:3]
	v_add_u32_e32 v5, v5, v1
; %bb.1617:
	s_or_b64 exec, exec, s[16:17]
.LBB316_1618:
	s_mov_b64 s[2:3], 0
.LBB316_1619:
	s_andn2_b64 vcc, exec, s[2:3]
	s_cbranch_vccnz .LBB316_1623
; %bb.1620:
	s_waitcnt vmcnt(0)
	global_load_sshort v1, v[3:4], off
	s_movk_i32 s2, 0xff
	v_mov_b32_e32 v5, 0xff
	s_waitcnt vmcnt(0)
	v_cvt_f32_i32_e32 v1, v1
	v_bfe_u32 v6, v1, 23, 8
	v_cmp_ne_u32_e32 vcc, s2, v6
	s_and_saveexec_b64 s[16:17], vcc
; %bb.1621:
	s_mov_b32 s2, 0x3fffff
	v_lshrrev_b32_e32 v5, 23, v1
	v_and_b32_e32 v7, 0x400000, v1
	v_and_or_b32 v1, v1, s2, v6
	v_cmp_ne_u32_e32 vcc, 0, v7
	v_cmp_ne_u32_e64 s[2:3], 0, v1
	s_and_b64 s[2:3], vcc, s[2:3]
	v_cndmask_b32_e64 v1, 0, 1, s[2:3]
	v_add_u32_e32 v5, v5, v1
; %bb.1622:
	s_or_b64 exec, exec, s[16:17]
.LBB316_1623:
	s_cbranch_execnz .LBB316_1633
.LBB316_1624:
	s_sext_i32_i16 s2, s14
	s_cmp_gt_i32 s2, 0
	s_cbranch_scc0 .LBB316_1628
; %bb.1625:
	s_waitcnt vmcnt(0)
	global_load_sbyte v1, v[3:4], off
	s_movk_i32 s2, 0xff
	v_mov_b32_e32 v5, 0xff
	s_waitcnt vmcnt(0)
	v_cvt_f32_i32_e32 v1, v1
	v_bfe_u32 v6, v1, 23, 8
	v_cmp_ne_u32_e32 vcc, s2, v6
	s_and_saveexec_b64 s[16:17], vcc
; %bb.1626:
	s_mov_b32 s2, 0x3fffff
	v_lshrrev_b32_e32 v5, 23, v1
	v_and_b32_e32 v7, 0x400000, v1
	v_and_or_b32 v1, v1, s2, v6
	v_cmp_ne_u32_e32 vcc, 0, v7
	v_cmp_ne_u32_e64 s[2:3], 0, v1
	s_and_b64 s[2:3], vcc, s[2:3]
	v_cndmask_b32_e64 v1, 0, 1, s[2:3]
	v_add_u32_e32 v5, v5, v1
; %bb.1627:
	s_or_b64 exec, exec, s[16:17]
	s_mov_b64 s[2:3], 0
	s_branch .LBB316_1629
.LBB316_1628:
	s_mov_b64 s[2:3], -1
                                        ; implicit-def: $vgpr5
.LBB316_1629:
	s_andn2_b64 vcc, exec, s[2:3]
	s_cbranch_vccnz .LBB316_1633
; %bb.1630:
	s_waitcnt vmcnt(0)
	global_load_ubyte v1, v[3:4], off
	s_movk_i32 s2, 0xff
	v_mov_b32_e32 v5, 0xff
	s_waitcnt vmcnt(0)
	v_cvt_f32_ubyte0_e32 v3, v1
	v_lshrrev_b32_e32 v1, 23, v3
	v_cmp_ne_u32_e32 vcc, s2, v1
	s_and_saveexec_b64 s[16:17], vcc
; %bb.1631:
	s_mov_b32 s2, 0x3fffff
	v_and_b32_e32 v4, 0x400000, v3
	v_and_or_b32 v3, v3, s2, v1
	v_cmp_ne_u32_e32 vcc, 0, v4
	v_cmp_ne_u32_e64 s[2:3], 0, v3
	s_and_b64 s[2:3], vcc, s[2:3]
	v_cndmask_b32_e64 v3, 0, 1, s[2:3]
	v_add_u32_e32 v5, v1, v3
; %bb.1632:
	s_or_b64 exec, exec, s[16:17]
.LBB316_1633:
	s_or_b64 s[54:55], s[54:55], exec
.LBB316_1634:
	s_or_b64 exec, exec, s[10:11]
	s_mov_b64 s[2:3], 0
	s_mov_b64 s[20:21], 0
	;; [unrolled: 1-line block ×3, first 2 shown]
                                        ; implicit-def: $sgpr14
                                        ; implicit-def: $vgpr3_vgpr4
                                        ; implicit-def: $vgpr6
	s_and_saveexec_b64 s[10:11], s[54:55]
	s_cbranch_execz .LBB316_1644
; %bb.1635:
	v_mov_b32_e32 v1, s13
	s_and_b32 s14, s73, 0xff
	s_waitcnt vmcnt(0)
	v_add_co_u32_e32 v3, vcc, s12, v2
	s_cmp_lt_i32 s14, 11
	v_addc_co_u32_e32 v4, vcc, 0, v1, vcc
	s_cbranch_scc1 .LBB316_1649
; %bb.1636:
	s_and_b32 s22, 0xffff, s14
	s_cmp_gt_i32 s22, 25
	s_mov_b64 s[18:19], 0
	s_cbranch_scc0 .LBB316_1650
; %bb.1637:
	s_cmp_gt_i32 s22, 28
	s_cbranch_scc0 .LBB316_1651
; %bb.1638:
	s_cmp_gt_i32 s22, 43
	;; [unrolled: 3-line block ×3, first 2 shown]
	s_cbranch_scc0 .LBB316_1653
; %bb.1640:
	s_cmp_eq_u32 s22, 46
	s_cbranch_scc0 .LBB316_1654
; %bb.1641:
	global_load_dword v1, v[3:4], off
	s_movk_i32 s2, 0xff
	v_mov_b32_e32 v6, 0xff
	s_waitcnt vmcnt(0)
	v_lshlrev_b32_e32 v2, 16, v1
	v_bfe_u32 v7, v2, 23, 8
	v_cmp_ne_u32_e32 vcc, s2, v7
	s_and_saveexec_b64 s[12:13], vcc
; %bb.1642:
	v_bfe_u32 v6, v1, 7, 9
	v_and_b32_e32 v1, 64, v1
	s_mov_b32 s2, 0x3f0000
	v_cmp_ne_u32_e32 vcc, 0, v1
	v_and_or_b32 v1, v2, s2, v7
	v_cmp_ne_u32_e64 s[2:3], 0, v1
	s_and_b64 s[2:3], vcc, s[2:3]
	v_cndmask_b32_e64 v1, 0, 1, s[2:3]
	v_add_u32_e32 v6, v6, v1
; %bb.1643:
	s_or_b64 exec, exec, s[12:13]
	s_mov_b64 s[12:13], 0
	s_mov_b64 s[2:3], -1
	s_branch .LBB316_1656
.LBB316_1644:
	s_or_b64 exec, exec, s[10:11]
	s_and_saveexec_b64 s[10:11], s[44:45]
	s_cbranch_execnz .LBB316_1735
.LBB316_1645:
	s_or_b64 exec, exec, s[10:11]
	s_and_saveexec_b64 s[10:11], s[2:3]
	s_xor_b64 s[10:11], exec, s[10:11]
	s_cbranch_execz .LBB316_1736
.LBB316_1646:
	s_waitcnt vmcnt(0)
	global_load_ubyte v1, v[3:4], off
	s_movk_i32 s2, 0xff
	v_mov_b32_e32 v6, 0xff
	s_waitcnt vmcnt(0)
	v_cmp_ne_u16_e32 vcc, 0, v1
	v_cndmask_b32_e64 v2, 0, 1.0, vcc
	v_lshrrev_b32_e32 v1, 23, v2
	v_cmp_ne_u32_e32 vcc, s2, v1
	s_and_saveexec_b64 s[12:13], vcc
; %bb.1647:
	s_mov_b32 s2, 0x3fffff
	v_and_b32_e32 v6, 0x400000, v2
	v_and_or_b32 v2, v2, s2, v1
	v_cmp_ne_u32_e32 vcc, 0, v6
	v_cmp_ne_u32_e64 s[2:3], 0, v2
	s_and_b64 s[2:3], vcc, s[2:3]
	v_cndmask_b32_e64 v2, 0, 1, s[2:3]
	v_add_u32_e32 v6, v1, v2
; %bb.1648:
	s_or_b64 exec, exec, s[12:13]
	s_or_b64 s[16:17], s[16:17], exec
	s_or_b64 exec, exec, s[10:11]
	s_and_saveexec_b64 s[10:11], s[20:21]
	s_cbranch_execz .LBB316_1804
	s_branch .LBB316_1737
.LBB316_1649:
	s_mov_b64 s[20:21], -1
                                        ; implicit-def: $vgpr6
	s_mov_b64 s[18:19], 0
	s_mov_b64 s[12:13], s[44:45]
	s_branch .LBB316_1734
.LBB316_1650:
	s_mov_b64 s[12:13], s[44:45]
                                        ; implicit-def: $vgpr6
	s_cbranch_execnz .LBB316_1693
	s_branch .LBB316_1733
.LBB316_1651:
	s_mov_b64 s[16:17], -1
	s_mov_b64 s[12:13], s[44:45]
                                        ; implicit-def: $vgpr6
	s_branch .LBB316_1668
.LBB316_1652:
	s_mov_b64 s[16:17], -1
	s_mov_b64 s[12:13], s[44:45]
                                        ; implicit-def: $vgpr6
	s_branch .LBB316_1661
.LBB316_1653:
	s_mov_b64 s[16:17], -1
	s_mov_b64 s[12:13], s[44:45]
	s_branch .LBB316_1655
.LBB316_1654:
	s_mov_b64 s[12:13], -1
.LBB316_1655:
                                        ; implicit-def: $vgpr6
.LBB316_1656:
	s_and_b64 vcc, exec, s[16:17]
	s_cbranch_vccz .LBB316_1660
; %bb.1657:
	s_cmp_eq_u32 s22, 44
	s_cbranch_scc0 .LBB316_1659
; %bb.1658:
	global_load_ubyte v6, v[3:4], off
	s_mov_b64 s[12:13], 0
	s_mov_b64 s[2:3], -1
	s_branch .LBB316_1660
.LBB316_1659:
	s_mov_b64 s[12:13], -1
                                        ; implicit-def: $vgpr6
.LBB316_1660:
	s_mov_b64 s[16:17], 0
.LBB316_1661:
	s_and_b64 vcc, exec, s[16:17]
	s_cbranch_vccz .LBB316_1667
; %bb.1662:
	s_cmp_eq_u32 s22, 29
	s_cbranch_scc0 .LBB316_1666
; %bb.1663:
	global_load_dwordx2 v[1:2], v[3:4], off
	s_movk_i32 s2, 0xff
	s_waitcnt vmcnt(0)
	v_ffbh_u32_e32 v6, v2
	v_min_u32_e32 v6, 32, v6
	v_lshlrev_b64 v[1:2], v6, v[1:2]
	v_min_u32_e32 v1, 1, v1
	v_or_b32_e32 v1, v2, v1
	v_cvt_f32_u32_e32 v1, v1
	v_sub_u32_e32 v2, 32, v6
	v_mov_b32_e32 v6, 0xff
	v_ldexp_f32 v2, v1, v2
	v_lshrrev_b32_e32 v1, 23, v2
	v_cmp_ne_u32_e32 vcc, s2, v1
	s_and_saveexec_b64 s[12:13], vcc
; %bb.1664:
	s_mov_b32 s2, 0x3fffff
	v_and_b32_e32 v6, 0x400000, v2
	v_and_or_b32 v2, v2, s2, v1
	v_cmp_ne_u32_e32 vcc, 0, v6
	v_cmp_ne_u32_e64 s[2:3], 0, v2
	s_and_b64 s[2:3], vcc, s[2:3]
	v_cndmask_b32_e64 v2, 0, 1, s[2:3]
	v_add_u32_e32 v6, v1, v2
; %bb.1665:
	s_or_b64 exec, exec, s[12:13]
	s_mov_b64 s[12:13], 0
	s_mov_b64 s[2:3], -1
	s_branch .LBB316_1667
.LBB316_1666:
	s_mov_b64 s[12:13], -1
                                        ; implicit-def: $vgpr6
.LBB316_1667:
	s_mov_b64 s[16:17], 0
.LBB316_1668:
	s_and_b64 vcc, exec, s[16:17]
	s_cbranch_vccz .LBB316_1692
; %bb.1669:
	s_cmp_lt_i32 s22, 27
	s_cbranch_scc1 .LBB316_1674
; %bb.1670:
	s_cmp_gt_i32 s22, 27
	s_cbranch_scc0 .LBB316_1675
; %bb.1671:
	global_load_dword v1, v[3:4], off
	s_movk_i32 s2, 0xff
	s_waitcnt vmcnt(1)
	v_mov_b32_e32 v6, 0xff
	s_waitcnt vmcnt(0)
	v_cvt_f32_u32_e32 v2, v1
	v_lshrrev_b32_e32 v1, 23, v2
	v_cmp_ne_u32_e32 vcc, s2, v1
	s_and_saveexec_b64 s[16:17], vcc
; %bb.1672:
	s_mov_b32 s2, 0x3fffff
	v_and_b32_e32 v6, 0x400000, v2
	v_and_or_b32 v2, v2, s2, v1
	v_cmp_ne_u32_e32 vcc, 0, v6
	v_cmp_ne_u32_e64 s[2:3], 0, v2
	s_and_b64 s[2:3], vcc, s[2:3]
	v_cndmask_b32_e64 v2, 0, 1, s[2:3]
	v_add_u32_e32 v6, v1, v2
; %bb.1673:
	s_or_b64 exec, exec, s[16:17]
	s_mov_b64 s[2:3], 0
	s_branch .LBB316_1676
.LBB316_1674:
	s_mov_b64 s[2:3], -1
                                        ; implicit-def: $vgpr6
	s_branch .LBB316_1681
.LBB316_1675:
	s_mov_b64 s[2:3], -1
                                        ; implicit-def: $vgpr6
.LBB316_1676:
	s_andn2_b64 vcc, exec, s[2:3]
	s_cbranch_vccnz .LBB316_1680
; %bb.1677:
	global_load_ushort v1, v[3:4], off
	s_movk_i32 s2, 0xff
	s_waitcnt vmcnt(1)
	v_mov_b32_e32 v6, 0xff
	s_waitcnt vmcnt(0)
	v_cvt_f32_u32_e32 v2, v1
	v_lshrrev_b32_e32 v1, 23, v2
	v_cmp_ne_u32_e32 vcc, s2, v1
	s_and_saveexec_b64 s[16:17], vcc
; %bb.1678:
	s_mov_b32 s2, 0x3fffff
	v_and_b32_e32 v6, 0x400000, v2
	v_and_or_b32 v2, v2, s2, v1
	v_cmp_ne_u32_e32 vcc, 0, v6
	v_cmp_ne_u32_e64 s[2:3], 0, v2
	s_and_b64 s[2:3], vcc, s[2:3]
	v_cndmask_b32_e64 v2, 0, 1, s[2:3]
	v_add_u32_e32 v6, v1, v2
; %bb.1679:
	s_or_b64 exec, exec, s[16:17]
.LBB316_1680:
	s_mov_b64 s[2:3], 0
.LBB316_1681:
	s_andn2_b64 vcc, exec, s[2:3]
	s_cbranch_vccnz .LBB316_1691
; %bb.1682:
	global_load_ubyte v1, v[3:4], off
	s_movk_i32 s2, 0x7f
	s_waitcnt vmcnt(0)
	v_cmp_lt_i16_e32 vcc, s2, v1
	s_mov_b64 s[2:3], 0
	s_and_saveexec_b64 s[16:17], vcc
	s_xor_b64 s[16:17], exec, s[16:17]
	s_cbranch_execz .LBB316_1706
; %bb.1683:
	s_movk_i32 s2, 0x80
	v_cmp_eq_u16_e32 vcc, s2, v1
	s_mov_b64 s[2:3], -1
	s_and_saveexec_b64 s[20:21], vcc
; %bb.1684:
	s_xor_b64 s[2:3], exec, -1
; %bb.1685:
	s_or_b64 exec, exec, s[20:21]
	s_and_b64 s[2:3], s[2:3], exec
	s_or_saveexec_b64 s[16:17], s[16:17]
	v_mov_b32_e32 v2, 0x7f800001
	s_xor_b64 exec, exec, s[16:17]
	s_cbranch_execnz .LBB316_1707
.LBB316_1686:
	s_or_b64 exec, exec, s[16:17]
	s_and_saveexec_b64 s[16:17], s[2:3]
	s_cbranch_execz .LBB316_1688
.LBB316_1687:
	v_and_b32_e32 v1, 0xffff, v1
	v_and_b32_e32 v2, 7, v1
	v_ffbh_u32_e32 v7, v2
	v_min_u32_e32 v7, 32, v7
	v_subrev_u32_e32 v8, 28, v7
	v_bfe_u32 v6, v1, 3, 4
	v_lshlrev_b32_e32 v1, v8, v1
	v_and_b32_e32 v1, 7, v1
	v_cmp_eq_u32_e32 vcc, 0, v6
	v_sub_u32_e32 v7, 29, v7
	v_cndmask_b32_e32 v1, v2, v1, vcc
	v_cndmask_b32_e32 v6, v6, v7, vcc
	v_lshlrev_b32_e32 v1, 20, v1
	v_lshl_or_b32 v1, v6, 23, v1
	v_add_u32_e32 v2, 0x3b800000, v1
.LBB316_1688:
	s_or_b64 exec, exec, s[16:17]
	v_lshrrev_b32_e32 v1, 23, v2
	s_movk_i32 s2, 0xff
	v_cmp_ne_u32_e32 vcc, s2, v1
	v_mov_b32_e32 v6, 0xff
	s_and_saveexec_b64 s[16:17], vcc
; %bb.1689:
	s_mov_b32 s2, 0x3fffff
	v_and_b32_e32 v6, 0x400000, v2
	v_and_or_b32 v2, v2, s2, v1
	v_cmp_ne_u32_e32 vcc, 0, v6
	v_cmp_ne_u32_e64 s[2:3], 0, v2
	s_and_b64 s[2:3], vcc, s[2:3]
	v_cndmask_b32_e64 v2, 0, 1, s[2:3]
	v_add_u32_e32 v6, v1, v2
; %bb.1690:
	s_or_b64 exec, exec, s[16:17]
.LBB316_1691:
	s_mov_b64 s[2:3], -1
.LBB316_1692:
	s_branch .LBB316_1733
.LBB316_1693:
	s_cmp_gt_i32 s22, 22
	s_cbranch_scc0 .LBB316_1705
; %bb.1694:
	s_cmp_lt_i32 s22, 24
	s_cbranch_scc1 .LBB316_1708
; %bb.1695:
	s_cmp_gt_i32 s22, 24
	s_cbranch_scc0 .LBB316_1709
; %bb.1696:
	global_load_ubyte v1, v[3:4], off
	s_movk_i32 s2, 0x7f
	s_waitcnt vmcnt(0)
	v_cmp_lt_i16_e32 vcc, s2, v1
	s_mov_b64 s[2:3], 0
	s_and_saveexec_b64 s[16:17], vcc
	s_xor_b64 s[16:17], exec, s[16:17]
	s_cbranch_execz .LBB316_1727
; %bb.1697:
	s_movk_i32 s2, 0x80
	v_cmp_eq_u16_e32 vcc, s2, v1
	s_mov_b64 s[2:3], -1
	s_and_saveexec_b64 s[18:19], vcc
; %bb.1698:
	s_xor_b64 s[2:3], exec, -1
; %bb.1699:
	s_or_b64 exec, exec, s[18:19]
	s_and_b64 s[2:3], s[2:3], exec
	s_or_saveexec_b64 s[16:17], s[16:17]
	v_mov_b32_e32 v2, 0x7f800001
	s_xor_b64 exec, exec, s[16:17]
	s_cbranch_execnz .LBB316_1728
.LBB316_1700:
	s_or_b64 exec, exec, s[16:17]
	s_and_saveexec_b64 s[16:17], s[2:3]
	s_cbranch_execz .LBB316_1702
.LBB316_1701:
	v_and_b32_e32 v1, 0xffff, v1
	v_and_b32_e32 v2, 3, v1
	v_ffbh_u32_e32 v7, v2
	v_min_u32_e32 v7, 32, v7
	v_subrev_u32_e32 v8, 29, v7
	v_bfe_u32 v6, v1, 2, 5
	v_lshlrev_b32_e32 v1, v8, v1
	v_and_b32_e32 v1, 3, v1
	v_cmp_eq_u32_e32 vcc, 0, v6
	v_sub_u32_e32 v7, 30, v7
	v_cndmask_b32_e32 v1, v2, v1, vcc
	v_cndmask_b32_e32 v6, v6, v7, vcc
	v_lshlrev_b32_e32 v1, 21, v1
	v_lshl_or_b32 v1, v6, 23, v1
	v_add_u32_e32 v2, 0x37800000, v1
.LBB316_1702:
	s_or_b64 exec, exec, s[16:17]
	v_lshrrev_b32_e32 v1, 23, v2
	s_movk_i32 s2, 0xff
	v_cmp_ne_u32_e32 vcc, s2, v1
	v_mov_b32_e32 v6, 0xff
	s_and_saveexec_b64 s[16:17], vcc
; %bb.1703:
	s_mov_b32 s2, 0x3fffff
	v_and_b32_e32 v6, 0x400000, v2
	v_and_or_b32 v2, v2, s2, v1
	v_cmp_ne_u32_e32 vcc, 0, v6
	v_cmp_ne_u32_e64 s[2:3], 0, v2
	s_and_b64 s[2:3], vcc, s[2:3]
	v_cndmask_b32_e64 v2, 0, 1, s[2:3]
	v_add_u32_e32 v6, v1, v2
; %bb.1704:
	s_or_b64 exec, exec, s[16:17]
	s_mov_b64 s[2:3], 0
	s_branch .LBB316_1710
.LBB316_1705:
	s_mov_b64 s[16:17], -1
                                        ; implicit-def: $vgpr6
	s_branch .LBB316_1720
.LBB316_1706:
	s_or_saveexec_b64 s[16:17], s[16:17]
	v_mov_b32_e32 v2, 0x7f800001
	s_xor_b64 exec, exec, s[16:17]
	s_cbranch_execz .LBB316_1686
.LBB316_1707:
	v_cmp_ne_u16_e32 vcc, 0, v1
	s_andn2_b64 s[2:3], s[2:3], exec
	s_and_b64 s[20:21], vcc, exec
	v_and_b32_e32 v2, 0xffff, v1
	s_or_b64 s[2:3], s[2:3], s[20:21]
	s_or_b64 exec, exec, s[16:17]
	s_and_saveexec_b64 s[16:17], s[2:3]
	s_cbranch_execnz .LBB316_1687
	s_branch .LBB316_1688
.LBB316_1708:
	s_mov_b64 s[2:3], -1
                                        ; implicit-def: $vgpr6
	s_branch .LBB316_1715
.LBB316_1709:
	s_mov_b64 s[2:3], -1
                                        ; implicit-def: $vgpr6
.LBB316_1710:
	s_and_b64 vcc, exec, s[2:3]
	s_cbranch_vccz .LBB316_1714
; %bb.1711:
	global_load_ubyte v1, v[3:4], off
	s_mov_b32 s2, 0x7f800000
	s_movk_i32 s3, 0xff
	s_waitcnt vmcnt(0)
	v_lshlrev_b32_e32 v1, 24, v1
	v_and_b32_e32 v1, 0x7f000000, v1
	v_ffbh_u32_e32 v2, v1
	v_min_u32_e32 v2, 32, v2
	v_sub_u32_e64 v2, v2, 4 clamp
	v_lshlrev_b32_e32 v7, v2, v1
	v_lshlrev_b32_e32 v2, 23, v2
	v_lshrrev_b32_e32 v7, 4, v7
	v_add_u32_e32 v6, 0x1000000, v1
	v_sub_u32_e32 v2, v7, v2
	v_ashrrev_i32_e32 v6, 8, v6
	v_add_u32_e32 v2, 0x3c000000, v2
	v_and_or_b32 v2, v6, s2, v2
	v_cmp_ne_u32_e32 vcc, 0, v1
	v_cndmask_b32_e32 v2, 0, v2, vcc
	v_lshrrev_b32_e32 v1, 23, v2
	v_cmp_ne_u32_e32 vcc, s3, v1
	v_mov_b32_e32 v6, 0xff
	s_and_saveexec_b64 s[16:17], vcc
; %bb.1712:
	s_mov_b32 s2, 0x3fffff
	v_and_b32_e32 v6, 0x400000, v2
	v_and_or_b32 v2, v2, s2, v1
	v_cmp_ne_u32_e32 vcc, 0, v6
	v_cmp_ne_u32_e64 s[2:3], 0, v2
	s_and_b64 s[2:3], vcc, s[2:3]
	v_cndmask_b32_e64 v2, 0, 1, s[2:3]
	v_add_u32_e32 v6, v1, v2
; %bb.1713:
	s_or_b64 exec, exec, s[16:17]
.LBB316_1714:
	s_mov_b64 s[2:3], 0
.LBB316_1715:
	s_andn2_b64 vcc, exec, s[2:3]
	s_cbranch_vccnz .LBB316_1719
; %bb.1716:
	global_load_ubyte v1, v[3:4], off
	s_movk_i32 s2, 0x7f00
	s_brev_b32 s3, 16
	s_movk_i32 s16, 0xff
	s_waitcnt vmcnt(0)
	v_lshlrev_b32_e32 v2, 8, v1
	v_lshlrev_b32_e32 v1, 25, v1
	v_lshrrev_b32_e32 v6, 4, v1
	v_and_or_b32 v2, v2, s2, 0.5
	v_or_b32_e32 v6, 0x70000000, v6
	v_add_f32_e32 v2, -0.5, v2
	v_mul_f32_e32 v6, 0x7800000, v6
	v_cmp_gt_u32_e32 vcc, s3, v1
	v_cndmask_b32_e32 v1, v6, v2, vcc
	v_bfe_u32 v2, v1, 23, 8
	v_cmp_ne_u32_e32 vcc, s16, v2
	v_mov_b32_e32 v6, 0xff
	s_and_saveexec_b64 s[16:17], vcc
; %bb.1717:
	s_mov_b32 s2, 0x3fffff
	v_lshrrev_b32_e32 v6, 23, v1
	v_and_b32_e32 v7, 0x400000, v1
	v_and_or_b32 v1, v1, s2, v2
	v_cmp_ne_u32_e32 vcc, 0, v7
	v_cmp_ne_u32_e64 s[2:3], 0, v1
	s_and_b64 s[2:3], vcc, s[2:3]
	v_cndmask_b32_e64 v1, 0, 1, s[2:3]
	v_add_u32_e32 v6, v6, v1
; %bb.1718:
	s_or_b64 exec, exec, s[16:17]
.LBB316_1719:
	s_mov_b64 s[16:17], 0
	s_mov_b64 s[2:3], -1
.LBB316_1720:
	s_andn2_b64 vcc, exec, s[16:17]
	s_mov_b64 s[18:19], 0
	s_cbranch_vccnz .LBB316_1733
; %bb.1721:
	s_cmp_gt_i32 s22, 14
	s_cbranch_scc0 .LBB316_1726
; %bb.1722:
	s_cmp_eq_u32 s22, 15
	s_cbranch_scc0 .LBB316_1729
; %bb.1723:
	global_load_ushort v1, v[3:4], off
	s_movk_i32 s2, 0xff
	s_waitcnt vmcnt(1)
	v_mov_b32_e32 v6, 0xff
	s_waitcnt vmcnt(0)
	v_bfe_u32 v2, v1, 7, 8
	v_cmp_ne_u32_e32 vcc, s2, v2
	s_and_saveexec_b64 s[12:13], vcc
	s_cbranch_execz .LBB316_1725
; %bb.1724:
	v_lshrrev_b32_e32 v6, 7, v1
	v_lshlrev_b32_e32 v7, 16, v1
	v_and_b32_e32 v1, 64, v1
	s_mov_b32 s2, 0x3f0000
	v_cmp_ne_u32_e32 vcc, 0, v1
	v_and_or_b32 v1, v7, s2, v2
	v_cmp_ne_u32_e64 s[2:3], 0, v1
	s_and_b64 s[2:3], vcc, s[2:3]
	v_cndmask_b32_e64 v1, 0, 1, s[2:3]
	v_add_u32_e32 v6, v6, v1
.LBB316_1725:
	s_or_b64 exec, exec, s[12:13]
	s_mov_b64 s[12:13], 0
	s_mov_b64 s[2:3], -1
	s_branch .LBB316_1730
.LBB316_1726:
	s_mov_b64 s[16:17], -1
                                        ; implicit-def: $vgpr6
	s_branch .LBB316_1731
.LBB316_1727:
	s_or_saveexec_b64 s[16:17], s[16:17]
	v_mov_b32_e32 v2, 0x7f800001
	s_xor_b64 exec, exec, s[16:17]
	s_cbranch_execz .LBB316_1700
.LBB316_1728:
	v_cmp_ne_u16_e32 vcc, 0, v1
	s_andn2_b64 s[2:3], s[2:3], exec
	s_and_b64 s[18:19], vcc, exec
	v_and_b32_e32 v2, 0xffff, v1
	s_or_b64 s[2:3], s[2:3], s[18:19]
	s_or_b64 exec, exec, s[16:17]
	s_and_saveexec_b64 s[16:17], s[2:3]
	s_cbranch_execnz .LBB316_1701
	s_branch .LBB316_1702
.LBB316_1729:
	s_mov_b64 s[12:13], -1
                                        ; implicit-def: $vgpr6
.LBB316_1730:
	s_mov_b64 s[16:17], 0
.LBB316_1731:
	s_and_b64 vcc, exec, s[16:17]
	s_cbranch_vccz .LBB316_1733
; %bb.1732:
	s_cmp_lg_u32 s22, 11
	s_cselect_b64 s[16:17], -1, 0
	s_andn2_b64 s[12:13], s[12:13], exec
	s_and_b64 s[16:17], s[16:17], exec
	s_mov_b64 s[18:19], -1
	s_or_b64 s[12:13], s[12:13], s[16:17]
.LBB316_1733:
	s_mov_b64 s[20:21], 0
.LBB316_1734:
	s_and_b64 s[16:17], s[2:3], exec
	s_and_b64 s[2:3], s[18:19], exec
	s_andn2_b64 s[18:19], s[44:45], exec
	s_and_b64 s[12:13], s[12:13], exec
	s_and_b64 s[20:21], s[20:21], exec
	s_or_b64 s[44:45], s[18:19], s[12:13]
	s_or_b64 exec, exec, s[10:11]
	s_and_saveexec_b64 s[10:11], s[44:45]
	s_cbranch_execz .LBB316_1645
.LBB316_1735:
	s_or_b64 s[6:7], s[6:7], exec
	s_andn2_b64 s[2:3], s[2:3], exec
	s_trap 2
	s_or_b64 exec, exec, s[10:11]
	s_and_saveexec_b64 s[10:11], s[2:3]
	s_xor_b64 s[10:11], exec, s[10:11]
	s_cbranch_execnz .LBB316_1646
.LBB316_1736:
	s_or_b64 exec, exec, s[10:11]
	s_and_saveexec_b64 s[10:11], s[20:21]
	s_cbranch_execz .LBB316_1804
.LBB316_1737:
	s_sext_i32_i16 s2, s14
	s_cmp_lt_i32 s2, 5
	s_cbranch_scc1 .LBB316_1744
; %bb.1738:
	s_cmp_lt_i32 s2, 8
	s_cbranch_scc1 .LBB316_1745
; %bb.1739:
	;; [unrolled: 3-line block ×3, first 2 shown]
	s_cmp_gt_i32 s2, 9
	s_cbranch_scc0 .LBB316_1747
; %bb.1741:
	s_waitcnt vmcnt(0)
	global_load_dwordx2 v[1:2], v[3:4], off
	s_movk_i32 s2, 0xff
	v_mov_b32_e32 v6, 0xff
	s_waitcnt vmcnt(0)
	v_cvt_f32_f64_e32 v1, v[1:2]
	v_bfe_u32 v2, v1, 23, 8
	v_cmp_ne_u32_e32 vcc, s2, v2
	s_and_saveexec_b64 s[12:13], vcc
; %bb.1742:
	s_mov_b32 s2, 0x3fffff
	v_lshrrev_b32_e32 v6, 23, v1
	v_and_b32_e32 v7, 0x400000, v1
	v_and_or_b32 v1, v1, s2, v2
	v_cmp_ne_u32_e32 vcc, 0, v7
	v_cmp_ne_u32_e64 s[2:3], 0, v1
	s_and_b64 s[2:3], vcc, s[2:3]
	v_cndmask_b32_e64 v1, 0, 1, s[2:3]
	v_add_u32_e32 v6, v6, v1
; %bb.1743:
	s_or_b64 exec, exec, s[12:13]
	s_mov_b64 s[2:3], 0
	s_branch .LBB316_1748
.LBB316_1744:
                                        ; implicit-def: $vgpr6
	s_branch .LBB316_1775
.LBB316_1745:
                                        ; implicit-def: $vgpr6
	s_branch .LBB316_1758
.LBB316_1746:
	s_mov_b64 s[2:3], -1
                                        ; implicit-def: $vgpr6
	s_branch .LBB316_1753
.LBB316_1747:
	s_mov_b64 s[2:3], -1
                                        ; implicit-def: $vgpr6
.LBB316_1748:
	s_andn2_b64 vcc, exec, s[2:3]
	s_cbranch_vccnz .LBB316_1752
; %bb.1749:
	s_waitcnt vmcnt(0)
	global_load_dword v1, v[3:4], off
	s_movk_i32 s2, 0xff
	v_mov_b32_e32 v6, 0xff
	s_waitcnt vmcnt(0)
	v_bfe_u32 v2, v1, 23, 8
	v_cmp_ne_u32_e32 vcc, s2, v2
	s_and_saveexec_b64 s[12:13], vcc
; %bb.1750:
	s_mov_b32 s2, 0x3fffff
	v_lshrrev_b32_e32 v6, 23, v1
	v_and_b32_e32 v7, 0x400000, v1
	v_and_or_b32 v1, v1, s2, v2
	v_cmp_ne_u32_e32 vcc, 0, v7
	v_cmp_ne_u32_e64 s[2:3], 0, v1
	s_and_b64 s[2:3], vcc, s[2:3]
	v_cndmask_b32_e64 v1, 0, 1, s[2:3]
	v_add_u32_e32 v6, v6, v1
; %bb.1751:
	s_or_b64 exec, exec, s[12:13]
.LBB316_1752:
	s_mov_b64 s[2:3], 0
.LBB316_1753:
	s_andn2_b64 vcc, exec, s[2:3]
	s_cbranch_vccnz .LBB316_1757
; %bb.1754:
	s_waitcnt vmcnt(0)
	global_load_dword v1, v[3:4], off
	s_movk_i32 s2, 0xff
	v_mov_b32_e32 v6, 0xff
	s_waitcnt vmcnt(0)
	v_cvt_f32_f16_e32 v1, v1
	v_bfe_u32 v2, v1, 23, 8
	v_cmp_ne_u32_e32 vcc, s2, v2
	s_and_saveexec_b64 s[12:13], vcc
; %bb.1755:
	s_mov_b32 s2, 0x3fffff
	v_lshrrev_b32_e32 v6, 23, v1
	v_and_b32_e32 v7, 0x400000, v1
	v_and_or_b32 v1, v1, s2, v2
	v_cmp_ne_u32_e32 vcc, 0, v7
	v_cmp_ne_u32_e64 s[2:3], 0, v1
	s_and_b64 s[2:3], vcc, s[2:3]
	v_cndmask_b32_e64 v1, 0, 1, s[2:3]
	v_add_u32_e32 v6, v6, v1
; %bb.1756:
	s_or_b64 exec, exec, s[12:13]
.LBB316_1757:
	s_cbranch_execnz .LBB316_1774
.LBB316_1758:
	s_sext_i32_i16 s2, s14
	s_cmp_lt_i32 s2, 6
	s_cbranch_scc1 .LBB316_1763
; %bb.1759:
	s_cmp_gt_i32 s2, 6
	s_cbranch_scc0 .LBB316_1764
; %bb.1760:
	s_waitcnt vmcnt(0)
	global_load_dwordx2 v[1:2], v[3:4], off
	s_movk_i32 s2, 0xff
	v_mov_b32_e32 v6, 0xff
	s_waitcnt vmcnt(0)
	v_cvt_f32_f64_e32 v1, v[1:2]
	v_bfe_u32 v2, v1, 23, 8
	v_cmp_ne_u32_e32 vcc, s2, v2
	s_and_saveexec_b64 s[12:13], vcc
; %bb.1761:
	s_mov_b32 s2, 0x3fffff
	v_lshrrev_b32_e32 v6, 23, v1
	v_and_b32_e32 v7, 0x400000, v1
	v_and_or_b32 v1, v1, s2, v2
	v_cmp_ne_u32_e32 vcc, 0, v7
	v_cmp_ne_u32_e64 s[2:3], 0, v1
	s_and_b64 s[2:3], vcc, s[2:3]
	v_cndmask_b32_e64 v1, 0, 1, s[2:3]
	v_add_u32_e32 v6, v6, v1
; %bb.1762:
	s_or_b64 exec, exec, s[12:13]
	s_mov_b64 s[2:3], 0
	s_branch .LBB316_1765
.LBB316_1763:
	s_mov_b64 s[2:3], -1
                                        ; implicit-def: $vgpr6
	s_branch .LBB316_1770
.LBB316_1764:
	s_mov_b64 s[2:3], -1
                                        ; implicit-def: $vgpr6
.LBB316_1765:
	s_andn2_b64 vcc, exec, s[2:3]
	s_cbranch_vccnz .LBB316_1769
; %bb.1766:
	s_waitcnt vmcnt(0)
	global_load_dword v1, v[3:4], off
	s_movk_i32 s2, 0xff
	v_mov_b32_e32 v6, 0xff
	s_waitcnt vmcnt(0)
	v_bfe_u32 v2, v1, 23, 8
	v_cmp_ne_u32_e32 vcc, s2, v2
	s_and_saveexec_b64 s[12:13], vcc
; %bb.1767:
	s_mov_b32 s2, 0x3fffff
	v_lshrrev_b32_e32 v6, 23, v1
	v_and_b32_e32 v7, 0x400000, v1
	v_and_or_b32 v1, v1, s2, v2
	v_cmp_ne_u32_e32 vcc, 0, v7
	v_cmp_ne_u32_e64 s[2:3], 0, v1
	s_and_b64 s[2:3], vcc, s[2:3]
	v_cndmask_b32_e64 v1, 0, 1, s[2:3]
	v_add_u32_e32 v6, v6, v1
; %bb.1768:
	s_or_b64 exec, exec, s[12:13]
.LBB316_1769:
	s_mov_b64 s[2:3], 0
.LBB316_1770:
	s_andn2_b64 vcc, exec, s[2:3]
	s_cbranch_vccnz .LBB316_1774
; %bb.1771:
	s_waitcnt vmcnt(0)
	global_load_ushort v1, v[3:4], off
	s_movk_i32 s2, 0xff
	v_mov_b32_e32 v6, 0xff
	s_waitcnt vmcnt(0)
	v_cvt_f32_f16_e32 v1, v1
	v_bfe_u32 v2, v1, 23, 8
	v_cmp_ne_u32_e32 vcc, s2, v2
	s_and_saveexec_b64 s[12:13], vcc
; %bb.1772:
	s_mov_b32 s2, 0x3fffff
	v_lshrrev_b32_e32 v6, 23, v1
	v_and_b32_e32 v7, 0x400000, v1
	v_and_or_b32 v1, v1, s2, v2
	v_cmp_ne_u32_e32 vcc, 0, v7
	v_cmp_ne_u32_e64 s[2:3], 0, v1
	s_and_b64 s[2:3], vcc, s[2:3]
	v_cndmask_b32_e64 v1, 0, 1, s[2:3]
	v_add_u32_e32 v6, v6, v1
; %bb.1773:
	s_or_b64 exec, exec, s[12:13]
.LBB316_1774:
	s_cbranch_execnz .LBB316_1803
.LBB316_1775:
	s_sext_i32_i16 s2, s14
	s_cmp_lt_i32 s2, 2
	s_cbranch_scc1 .LBB316_1781
; %bb.1776:
	s_cmp_lt_i32 s2, 3
	s_cbranch_scc1 .LBB316_1782
; %bb.1777:
	s_cmp_gt_i32 s2, 3
	s_cbranch_scc0 .LBB316_1783
; %bb.1778:
	s_waitcnt vmcnt(0)
	global_load_dwordx2 v[1:2], v[3:4], off
	s_movk_i32 s2, 0xff
	s_waitcnt vmcnt(0)
	v_xor_b32_e32 v7, v1, v2
	v_ffbh_i32_e32 v6, v2
	v_ashrrev_i32_e32 v7, 31, v7
	v_add_u32_e32 v6, -1, v6
	v_add_u32_e32 v7, 32, v7
	v_min_u32_e32 v6, v6, v7
	v_lshlrev_b64 v[1:2], v6, v[1:2]
	v_min_u32_e32 v1, 1, v1
	v_or_b32_e32 v1, v2, v1
	v_cvt_f32_i32_e32 v1, v1
	v_sub_u32_e32 v2, 32, v6
	v_mov_b32_e32 v6, 0xff
	v_ldexp_f32 v1, v1, v2
	v_bfe_u32 v2, v1, 23, 8
	v_cmp_ne_u32_e32 vcc, s2, v2
	s_and_saveexec_b64 s[12:13], vcc
; %bb.1779:
	s_mov_b32 s2, 0x3fffff
	v_lshrrev_b32_e32 v6, 23, v1
	v_and_b32_e32 v7, 0x400000, v1
	v_and_or_b32 v1, v1, s2, v2
	v_cmp_ne_u32_e32 vcc, 0, v7
	v_cmp_ne_u32_e64 s[2:3], 0, v1
	s_and_b64 s[2:3], vcc, s[2:3]
	v_cndmask_b32_e64 v1, 0, 1, s[2:3]
	v_add_u32_e32 v6, v6, v1
; %bb.1780:
	s_or_b64 exec, exec, s[12:13]
	s_mov_b64 s[2:3], 0
	s_branch .LBB316_1784
.LBB316_1781:
                                        ; implicit-def: $vgpr6
	s_branch .LBB316_1794
.LBB316_1782:
	s_mov_b64 s[2:3], -1
                                        ; implicit-def: $vgpr6
	s_branch .LBB316_1789
.LBB316_1783:
	s_mov_b64 s[2:3], -1
                                        ; implicit-def: $vgpr6
.LBB316_1784:
	s_andn2_b64 vcc, exec, s[2:3]
	s_cbranch_vccnz .LBB316_1788
; %bb.1785:
	s_waitcnt vmcnt(0)
	global_load_dword v1, v[3:4], off
	s_movk_i32 s2, 0xff
	v_mov_b32_e32 v6, 0xff
	s_waitcnt vmcnt(0)
	v_cvt_f32_i32_e32 v1, v1
	v_bfe_u32 v2, v1, 23, 8
	v_cmp_ne_u32_e32 vcc, s2, v2
	s_and_saveexec_b64 s[12:13], vcc
; %bb.1786:
	s_mov_b32 s2, 0x3fffff
	v_lshrrev_b32_e32 v6, 23, v1
	v_and_b32_e32 v7, 0x400000, v1
	v_and_or_b32 v1, v1, s2, v2
	v_cmp_ne_u32_e32 vcc, 0, v7
	v_cmp_ne_u32_e64 s[2:3], 0, v1
	s_and_b64 s[2:3], vcc, s[2:3]
	v_cndmask_b32_e64 v1, 0, 1, s[2:3]
	v_add_u32_e32 v6, v6, v1
; %bb.1787:
	s_or_b64 exec, exec, s[12:13]
.LBB316_1788:
	s_mov_b64 s[2:3], 0
.LBB316_1789:
	s_andn2_b64 vcc, exec, s[2:3]
	s_cbranch_vccnz .LBB316_1793
; %bb.1790:
	s_waitcnt vmcnt(0)
	global_load_sshort v1, v[3:4], off
	s_movk_i32 s2, 0xff
	v_mov_b32_e32 v6, 0xff
	s_waitcnt vmcnt(0)
	v_cvt_f32_i32_e32 v1, v1
	v_bfe_u32 v2, v1, 23, 8
	v_cmp_ne_u32_e32 vcc, s2, v2
	s_and_saveexec_b64 s[12:13], vcc
; %bb.1791:
	s_mov_b32 s2, 0x3fffff
	v_lshrrev_b32_e32 v6, 23, v1
	v_and_b32_e32 v7, 0x400000, v1
	v_and_or_b32 v1, v1, s2, v2
	v_cmp_ne_u32_e32 vcc, 0, v7
	v_cmp_ne_u32_e64 s[2:3], 0, v1
	s_and_b64 s[2:3], vcc, s[2:3]
	v_cndmask_b32_e64 v1, 0, 1, s[2:3]
	v_add_u32_e32 v6, v6, v1
; %bb.1792:
	s_or_b64 exec, exec, s[12:13]
.LBB316_1793:
	s_cbranch_execnz .LBB316_1803
.LBB316_1794:
	s_sext_i32_i16 s2, s14
	s_cmp_gt_i32 s2, 0
	s_cbranch_scc0 .LBB316_1798
; %bb.1795:
	s_waitcnt vmcnt(0)
	global_load_sbyte v1, v[3:4], off
	s_movk_i32 s2, 0xff
	v_mov_b32_e32 v6, 0xff
	s_waitcnt vmcnt(0)
	v_cvt_f32_i32_e32 v1, v1
	v_bfe_u32 v2, v1, 23, 8
	v_cmp_ne_u32_e32 vcc, s2, v2
	s_and_saveexec_b64 s[12:13], vcc
; %bb.1796:
	s_mov_b32 s2, 0x3fffff
	v_lshrrev_b32_e32 v6, 23, v1
	v_and_b32_e32 v7, 0x400000, v1
	v_and_or_b32 v1, v1, s2, v2
	v_cmp_ne_u32_e32 vcc, 0, v7
	v_cmp_ne_u32_e64 s[2:3], 0, v1
	s_and_b64 s[2:3], vcc, s[2:3]
	v_cndmask_b32_e64 v1, 0, 1, s[2:3]
	v_add_u32_e32 v6, v6, v1
; %bb.1797:
	s_or_b64 exec, exec, s[12:13]
	s_mov_b64 s[2:3], 0
	s_branch .LBB316_1799
.LBB316_1798:
	s_mov_b64 s[2:3], -1
                                        ; implicit-def: $vgpr6
.LBB316_1799:
	s_andn2_b64 vcc, exec, s[2:3]
	s_cbranch_vccnz .LBB316_1803
; %bb.1800:
	s_waitcnt vmcnt(0)
	global_load_ubyte v1, v[3:4], off
	s_movk_i32 s2, 0xff
	v_mov_b32_e32 v6, 0xff
	s_waitcnt vmcnt(0)
	v_cvt_f32_ubyte0_e32 v2, v1
	v_lshrrev_b32_e32 v1, 23, v2
	v_cmp_ne_u32_e32 vcc, s2, v1
	s_and_saveexec_b64 s[12:13], vcc
; %bb.1801:
	s_mov_b32 s2, 0x3fffff
	v_and_b32_e32 v3, 0x400000, v2
	v_and_or_b32 v2, v2, s2, v1
	v_cmp_ne_u32_e32 vcc, 0, v3
	v_cmp_ne_u32_e64 s[2:3], 0, v2
	s_and_b64 s[2:3], vcc, s[2:3]
	v_cndmask_b32_e64 v2, 0, 1, s[2:3]
	v_add_u32_e32 v6, v1, v2
; %bb.1802:
	s_or_b64 exec, exec, s[12:13]
.LBB316_1803:
	s_or_b64 s[16:17], s[16:17], exec
.LBB316_1804:
	s_or_b64 exec, exec, s[10:11]
	s_mov_b64 s[18:19], 0
	s_mov_b64 s[12:13], 0
                                        ; implicit-def: $sgpr2_sgpr3
                                        ; implicit-def: $sgpr20
                                        ; implicit-def: $vgpr1_vgpr2
	s_and_saveexec_b64 s[10:11], s[16:17]
	s_cbranch_execz .LBB316_1879
; %bb.1805:
	s_movk_i32 s2, 0xff
	v_mov_b32_e32 v1, 23
	s_waitcnt vmcnt(0)
	v_lshlrev_b32_sdwa v2, v1, v5 dst_sel:DWORD dst_unused:UNUSED_PAD src0_sel:DWORD src1_sel:BYTE_0
	v_mov_b32_e32 v3, 0x7f800001
	v_cmp_ne_u16_sdwa vcc, v5, s2 src0_sel:BYTE_0 src1_sel:DWORD
	v_mov_b32_e32 v4, 0
	v_cndmask_b32_e32 v2, v3, v2, vcc
	v_mov_b32_e32 v7, 0x400000
	v_cmp_ne_u16_sdwa vcc, v5, v4 src0_sel:BYTE_0 src1_sel:DWORD
	v_cndmask_b32_e32 v2, v7, v2, vcc
	v_lshlrev_b32_sdwa v1, v1, v6 dst_sel:DWORD dst_unused:UNUSED_PAD src0_sel:DWORD src1_sel:BYTE_0
	v_cmp_ne_u16_sdwa vcc, v6, s2 src0_sel:BYTE_0 src1_sel:DWORD
	v_cndmask_b32_e32 v1, v3, v1, vcc
	v_cmp_ne_u16_sdwa vcc, v6, v4 src0_sel:BYTE_0 src1_sel:DWORD
	v_cndmask_b32_e32 v1, v7, v1, vcc
	v_cmp_eq_f32_e32 vcc, v2, v1
	v_cndmask_b32_e64 v3, 0, 1, vcc
	v_cmp_neq_f32_e32 vcc, v2, v1
	v_cndmask_b32_e64 v1, 0, 1, vcc
	v_cndmask_b32_e64 v1, v1, v3, s[0:1]
	v_and_b32_e32 v1, 1, v1
	v_cmp_eq_u32_e64 s[2:3], 1, v1
	v_mov_b32_e32 v2, s9
	s_and_b32 s20, s15, 0xff
	v_add_co_u32_e32 v1, vcc, s8, v0
	s_cmp_lt_i32 s20, 11
	v_addc_co_u32_e32 v2, vcc, 0, v2, vcc
	s_cbranch_scc1 .LBB316_1882
; %bb.1806:
	s_and_b32 s18, 0xffff, s20
	s_mov_b64 s[12:13], -1
	s_cmp_gt_i32 s18, 25
	s_mov_b64 s[0:1], s[42:43]
	s_cbranch_scc0 .LBB316_1839
; %bb.1807:
	s_mov_b64 s[8:9], -1
	s_cmp_gt_i32 s18, 28
	s_mov_b64 s[0:1], s[42:43]
	s_cbranch_scc0 .LBB316_1823
; %bb.1808:
	s_cmp_gt_i32 s18, 43
	s_mov_b64 s[0:1], s[42:43]
	s_cbranch_scc0 .LBB316_1819
; %bb.1809:
	;; [unrolled: 4-line block ×3, first 2 shown]
	s_cmp_eq_u32 s18, 46
	s_mov_b64 s[0:1], -1
	s_cbranch_scc0 .LBB316_1812
; %bb.1811:
	v_cndmask_b32_e64 v0, 0, 1.0, s[2:3]
	v_bfe_u32 v3, v0, 16, 1
	s_movk_i32 s0, 0x7fff
	v_add3_u32 v0, v0, v3, s0
	v_lshrrev_b32_e32 v0, 16, v0
	global_store_dword v[1:2], v0, off
	s_mov_b64 s[0:1], 0
.LBB316_1812:
	s_mov_b64 s[8:9], 0
.LBB316_1813:
	s_and_b64 vcc, exec, s[8:9]
	s_cbranch_vccz .LBB316_1818
; %bb.1814:
	s_cmp_eq_u32 s18, 44
	s_mov_b64 s[0:1], -1
	s_cbranch_scc0 .LBB316_1818
; %bb.1815:
	v_cndmask_b32_e64 v3, 0, 1.0, s[2:3]
	v_lshrrev_b32_e32 v0, 23, v3
	s_movk_i32 s0, 0xff
	v_cmp_ne_u32_e32 vcc, s0, v0
	v_mov_b32_e32 v4, 0xff
	s_and_saveexec_b64 s[8:9], vcc
; %bb.1816:
	s_mov_b32 s0, 0x3fffff
	v_and_b32_e32 v4, 0x400000, v3
	v_and_or_b32 v3, v3, s0, v0
	v_cmp_ne_u32_e32 vcc, 0, v4
	v_cmp_ne_u32_e64 s[0:1], 0, v3
	s_and_b64 s[0:1], vcc, s[0:1]
	v_cndmask_b32_e64 v3, 0, 1, s[0:1]
	v_add_u32_e32 v4, v0, v3
; %bb.1817:
	s_or_b64 exec, exec, s[8:9]
	s_mov_b64 s[0:1], 0
	global_store_byte v[1:2], v4, off
.LBB316_1818:
	s_mov_b64 s[8:9], 0
.LBB316_1819:
	s_and_b64 vcc, exec, s[8:9]
	s_cbranch_vccz .LBB316_1822
; %bb.1820:
	s_cmp_eq_u32 s18, 29
	s_mov_b64 s[0:1], -1
	s_cbranch_scc0 .LBB316_1822
; %bb.1821:
	s_mov_b32 s0, 0
	v_cndmask_b32_e64 v3, 0, 1, s[2:3]
	v_mov_b32_e32 v4, s0
	global_store_dwordx2 v[1:2], v[3:4], off
	s_mov_b64 s[0:1], 0
.LBB316_1822:
	s_mov_b64 s[8:9], 0
.LBB316_1823:
	s_and_b64 vcc, exec, s[8:9]
	s_cbranch_vccz .LBB316_1838
; %bb.1824:
	s_cmp_lt_i32 s18, 27
	s_mov_b64 s[8:9], -1
	s_cbranch_scc1 .LBB316_1830
; %bb.1825:
	s_cmp_gt_i32 s18, 27
	s_cbranch_scc0 .LBB316_1827
; %bb.1826:
	v_cndmask_b32_e64 v0, 0, 1, s[2:3]
	s_mov_b64 s[8:9], 0
	global_store_dword v[1:2], v0, off
.LBB316_1827:
	s_andn2_b64 vcc, exec, s[8:9]
	s_cbranch_vccnz .LBB316_1829
; %bb.1828:
	v_cndmask_b32_e64 v0, 0, 1, s[2:3]
	global_store_short v[1:2], v0, off
.LBB316_1829:
	s_mov_b64 s[8:9], 0
.LBB316_1830:
	s_andn2_b64 vcc, exec, s[8:9]
	s_cbranch_vccnz .LBB316_1838
; %bb.1831:
	v_cndmask_b32_e64 v3, 0, 1.0, s[2:3]
	s_mov_b32 s8, 0x43800000
	v_cmp_gt_u32_e32 vcc, s8, v3
	v_mov_b32_e32 v4, 0x80
	s_and_saveexec_b64 s[8:9], vcc
	s_cbranch_execz .LBB316_1837
; %bb.1832:
	s_mov_b32 s12, 0x3bffffff
	v_cmp_lt_u32_e32 vcc, s12, v3
	s_mov_b64 s[12:13], 0
                                        ; implicit-def: $vgpr0
	s_and_saveexec_b64 s[14:15], vcc
	s_xor_b64 s[14:15], exec, s[14:15]
	s_cbranch_execz .LBB316_1985
; %bb.1833:
	v_bfe_u32 v0, v3, 20, 1
	s_mov_b32 s16, 0x487ffff
	v_add3_u32 v0, v3, v0, s16
	s_mov_b64 s[12:13], exec
	v_lshrrev_b32_e32 v0, 20, v0
                                        ; implicit-def: $vgpr3
	s_andn2_saveexec_b64 s[14:15], s[14:15]
	s_cbranch_execnz .LBB316_1986
.LBB316_1834:
	s_or_b64 exec, exec, s[14:15]
	v_mov_b32_e32 v4, 0
	s_and_saveexec_b64 s[14:15], s[12:13]
.LBB316_1835:
	v_mov_b32_e32 v4, v0
.LBB316_1836:
	s_or_b64 exec, exec, s[14:15]
.LBB316_1837:
	s_or_b64 exec, exec, s[8:9]
	global_store_byte v[1:2], v4, off
.LBB316_1838:
	s_mov_b64 s[12:13], 0
.LBB316_1839:
	s_mov_b64 s[8:9], 0
	s_and_b64 vcc, exec, s[12:13]
	s_cbranch_vccz .LBB316_1883
; %bb.1840:
	s_cmp_gt_i32 s18, 22
	s_mov_b64 s[12:13], -1
	s_cbranch_scc0 .LBB316_1872
; %bb.1841:
	s_cmp_lt_i32 s18, 24
	s_cbranch_scc1 .LBB316_1861
; %bb.1842:
	s_cmp_gt_i32 s18, 24
	s_cbranch_scc0 .LBB316_1850
; %bb.1843:
	v_cndmask_b32_e64 v3, 0, 1.0, s[2:3]
	s_mov_b32 s12, 0x47800000
	v_cmp_gt_u32_e32 vcc, s12, v3
	v_mov_b32_e32 v4, 0x80
	s_and_saveexec_b64 s[12:13], vcc
	s_cbranch_execz .LBB316_1849
; %bb.1844:
	s_mov_b32 s14, 0x37ffffff
	v_cmp_lt_u32_e32 vcc, s14, v3
	s_mov_b64 s[14:15], 0
                                        ; implicit-def: $vgpr0
	s_and_saveexec_b64 s[16:17], vcc
	s_xor_b64 s[16:17], exec, s[16:17]
	s_cbranch_execz .LBB316_2151
; %bb.1845:
	v_bfe_u32 v0, v3, 21, 1
	s_mov_b32 s19, 0x88fffff
	v_add3_u32 v0, v3, v0, s19
	s_mov_b64 s[14:15], exec
	v_lshrrev_b32_e32 v0, 21, v0
                                        ; implicit-def: $vgpr3
	s_andn2_saveexec_b64 s[16:17], s[16:17]
	s_cbranch_execnz .LBB316_2152
.LBB316_1846:
	s_or_b64 exec, exec, s[16:17]
	v_mov_b32_e32 v4, 0
	s_and_saveexec_b64 s[16:17], s[14:15]
.LBB316_1847:
	v_mov_b32_e32 v4, v0
.LBB316_1848:
	s_or_b64 exec, exec, s[16:17]
.LBB316_1849:
	s_or_b64 exec, exec, s[12:13]
	s_mov_b64 s[12:13], 0
	global_store_byte v[1:2], v4, off
.LBB316_1850:
	s_and_b64 vcc, exec, s[12:13]
	s_cbranch_vccz .LBB316_1860
; %bb.1851:
	v_cndmask_b32_e64 v0, 0, 1.0, s[2:3]
	s_mov_b32 s12, 0x43f00000
	v_cmp_gt_u32_e32 vcc, s12, v0
                                        ; implicit-def: $vgpr3
	s_and_saveexec_b64 s[12:13], vcc
	s_xor_b64 s[12:13], exec, s[12:13]
	s_cbranch_execz .LBB316_1857
; %bb.1852:
	s_mov_b32 s14, 0x3c7fffff
	v_cmp_lt_u32_e32 vcc, s14, v0
                                        ; implicit-def: $vgpr3
	s_and_saveexec_b64 s[14:15], vcc
	s_xor_b64 s[14:15], exec, s[14:15]
; %bb.1853:
	v_bfe_u32 v3, v0, 20, 1
	s_mov_b32 s16, 0x407ffff
	v_add3_u32 v0, v0, v3, s16
	v_lshrrev_b32_e32 v3, 20, v0
	v_and_b32_e32 v0, 0xff00000, v0
	s_mov_b32 s16, 0x7f00000
	v_mov_b32_e32 v4, 0x7e
	v_cmp_ne_u32_e32 vcc, s16, v0
	v_cndmask_b32_e32 v3, v4, v3, vcc
                                        ; implicit-def: $vgpr0
; %bb.1854:
	s_andn2_saveexec_b64 s[14:15], s[14:15]
; %bb.1855:
	v_add_f32_e32 v3, 0x46800000, v0
; %bb.1856:
	s_or_b64 exec, exec, s[14:15]
                                        ; implicit-def: $vgpr0
.LBB316_1857:
	s_andn2_saveexec_b64 s[12:13], s[12:13]
; %bb.1858:
	s_mov_b32 s14, 0x7f800000
	v_mov_b32_e32 v3, 0x7e
	v_mov_b32_e32 v4, 0x7f
	v_cmp_lt_u32_e32 vcc, s14, v0
	v_cndmask_b32_e32 v3, v3, v4, vcc
; %bb.1859:
	s_or_b64 exec, exec, s[12:13]
	global_store_byte v[1:2], v3, off
.LBB316_1860:
	s_mov_b64 s[12:13], 0
.LBB316_1861:
	s_andn2_b64 vcc, exec, s[12:13]
	s_cbranch_vccnz .LBB316_1871
; %bb.1862:
	v_cndmask_b32_e64 v0, 0, 1.0, s[2:3]
	s_mov_b32 s12, 0x47800000
	v_cmp_gt_u32_e32 vcc, s12, v0
                                        ; implicit-def: $vgpr3
	s_and_saveexec_b64 s[12:13], vcc
	s_xor_b64 s[12:13], exec, s[12:13]
	s_cbranch_execz .LBB316_1868
; %bb.1863:
	s_mov_b32 s14, 0x387fffff
	v_cmp_lt_u32_e32 vcc, s14, v0
                                        ; implicit-def: $vgpr3
	s_and_saveexec_b64 s[14:15], vcc
	s_xor_b64 s[14:15], exec, s[14:15]
; %bb.1864:
	v_bfe_u32 v3, v0, 21, 1
	s_mov_b32 s16, 0x80fffff
	v_add3_u32 v0, v0, v3, s16
	v_lshrrev_b32_e32 v3, 21, v0
                                        ; implicit-def: $vgpr0
; %bb.1865:
	s_andn2_saveexec_b64 s[14:15], s[14:15]
; %bb.1866:
	v_add_f32_e32 v3, 0x43000000, v0
; %bb.1867:
	s_or_b64 exec, exec, s[14:15]
                                        ; implicit-def: $vgpr0
.LBB316_1868:
	s_andn2_saveexec_b64 s[12:13], s[12:13]
; %bb.1869:
	s_mov_b32 s14, 0x7f800000
	v_mov_b32_e32 v3, 0x7c
	v_mov_b32_e32 v4, 0x7f
	v_cmp_lt_u32_e32 vcc, s14, v0
	v_cndmask_b32_e32 v3, v3, v4, vcc
; %bb.1870:
	s_or_b64 exec, exec, s[12:13]
	global_store_byte v[1:2], v3, off
.LBB316_1871:
	s_mov_b64 s[12:13], 0
.LBB316_1872:
	s_andn2_b64 vcc, exec, s[12:13]
	s_mov_b64 s[14:15], 0
	s_cbranch_vccnz .LBB316_1884
; %bb.1873:
	s_cmp_gt_i32 s18, 14
	s_mov_b64 s[12:13], -1
	s_cbranch_scc0 .LBB316_1877
; %bb.1874:
	s_cmp_eq_u32 s18, 15
	s_mov_b64 s[0:1], -1
	s_cbranch_scc0 .LBB316_1876
; %bb.1875:
	v_cndmask_b32_e64 v0, 0, 1.0, s[2:3]
	v_bfe_u32 v3, v0, 16, 1
	s_movk_i32 s0, 0x7fff
	v_add3_u32 v0, v0, v3, s0
	global_store_short_d16_hi v[1:2], v0, off
	s_mov_b64 s[0:1], 0
.LBB316_1876:
	s_mov_b64 s[12:13], 0
.LBB316_1877:
	s_and_b64 vcc, exec, s[12:13]
	s_cbranch_vccz .LBB316_1884
; %bb.1878:
	s_cmp_lg_u32 s18, 11
	s_cselect_b64 s[12:13], -1, 0
	s_andn2_b64 s[0:1], s[0:1], exec
	s_and_b64 s[12:13], s[12:13], exec
	s_mov_b64 s[14:15], -1
	s_or_b64 s[0:1], s[0:1], s[12:13]
	s_branch .LBB316_1884
.LBB316_1879:
	s_or_b64 exec, exec, s[10:11]
	s_and_saveexec_b64 s[0:1], s[42:43]
	s_cbranch_execnz .LBB316_1885
.LBB316_1880:
	s_or_b64 exec, exec, s[0:1]
	s_and_saveexec_b64 s[0:1], s[18:19]
	s_xor_b64 s[0:1], exec, s[0:1]
	s_cbranch_execz .LBB316_1886
.LBB316_1881:
	v_cndmask_b32_e64 v0, 0, 1, s[2:3]
	global_store_byte v[1:2], v0, off
	s_or_b64 exec, exec, s[0:1]
	s_and_saveexec_b64 s[0:1], s[12:13]
	s_xor_b64 s[0:1], exec, s[0:1]
	s_cbranch_execz .LBB316_1924
	s_branch .LBB316_1887
.LBB316_1882:
	s_mov_b64 s[14:15], 0
	s_mov_b64 s[8:9], -1
	s_mov_b64 s[0:1], s[42:43]
	s_branch .LBB316_1884
.LBB316_1883:
	s_mov_b64 s[14:15], 0
.LBB316_1884:
	s_and_b64 s[12:13], s[8:9], exec
	s_andn2_b64 s[8:9], s[42:43], exec
	s_and_b64 s[0:1], s[0:1], exec
	s_and_b64 s[18:19], s[14:15], exec
	s_or_b64 s[42:43], s[8:9], s[0:1]
	s_or_b64 exec, exec, s[10:11]
	s_and_saveexec_b64 s[0:1], s[42:43]
	s_cbranch_execz .LBB316_1880
.LBB316_1885:
	s_or_b64 s[6:7], s[6:7], exec
	s_andn2_b64 s[18:19], s[18:19], exec
	s_trap 2
	s_or_b64 exec, exec, s[0:1]
	s_and_saveexec_b64 s[0:1], s[18:19]
	s_xor_b64 s[0:1], exec, s[0:1]
	s_cbranch_execnz .LBB316_1881
.LBB316_1886:
	s_or_b64 exec, exec, s[0:1]
	s_and_saveexec_b64 s[0:1], s[12:13]
	s_xor_b64 s[0:1], exec, s[0:1]
	s_cbranch_execz .LBB316_1924
.LBB316_1887:
	s_sext_i32_i16 s10, s20
	s_cmp_lt_i32 s10, 5
	s_mov_b64 s[8:9], -1
	s_cbranch_scc1 .LBB316_1908
; %bb.1888:
	s_cmp_lt_i32 s10, 8
	s_cbranch_scc1 .LBB316_1898
; %bb.1889:
	s_cmp_lt_i32 s10, 9
	s_cbranch_scc1 .LBB316_1895
; %bb.1890:
	s_cmp_gt_i32 s10, 9
	s_cbranch_scc0 .LBB316_1892
; %bb.1891:
	v_cndmask_b32_e64 v0, 0, 1, s[2:3]
	s_waitcnt vmcnt(0)
	v_cvt_f64_u32_e32 v[3:4], v0
	v_mov_b32_e32 v5, 0
	v_mov_b32_e32 v6, v5
	s_mov_b64 s[8:9], 0
	global_store_dwordx4 v[1:2], v[3:6], off
.LBB316_1892:
	s_andn2_b64 vcc, exec, s[8:9]
	s_cbranch_vccnz .LBB316_1894
; %bb.1893:
	s_waitcnt vmcnt(0)
	v_cndmask_b32_e64 v3, 0, 1.0, s[2:3]
	v_mov_b32_e32 v4, 0
	global_store_dwordx2 v[1:2], v[3:4], off
.LBB316_1894:
	s_mov_b64 s[8:9], 0
.LBB316_1895:
	s_andn2_b64 vcc, exec, s[8:9]
	s_cbranch_vccnz .LBB316_1897
; %bb.1896:
	v_cndmask_b32_e64 v0, 0, 1.0, s[2:3]
	v_cvt_f16_f32_e32 v0, v0
	global_store_dword v[1:2], v0, off
.LBB316_1897:
	s_mov_b64 s[8:9], 0
.LBB316_1898:
	s_andn2_b64 vcc, exec, s[8:9]
	s_cbranch_vccnz .LBB316_1907
; %bb.1899:
	s_sext_i32_i16 s10, s20
	s_cmp_lt_i32 s10, 6
	s_mov_b64 s[8:9], -1
	s_cbranch_scc1 .LBB316_1905
; %bb.1900:
	s_cmp_gt_i32 s10, 6
	s_cbranch_scc0 .LBB316_1902
; %bb.1901:
	v_cndmask_b32_e64 v0, 0, 1, s[2:3]
	s_waitcnt vmcnt(0)
	v_cvt_f64_u32_e32 v[3:4], v0
	s_mov_b64 s[8:9], 0
	global_store_dwordx2 v[1:2], v[3:4], off
.LBB316_1902:
	s_andn2_b64 vcc, exec, s[8:9]
	s_cbranch_vccnz .LBB316_1904
; %bb.1903:
	v_cndmask_b32_e64 v0, 0, 1.0, s[2:3]
	global_store_dword v[1:2], v0, off
.LBB316_1904:
	s_mov_b64 s[8:9], 0
.LBB316_1905:
	s_andn2_b64 vcc, exec, s[8:9]
	s_cbranch_vccnz .LBB316_1907
; %bb.1906:
	v_cndmask_b32_e64 v0, 0, 1.0, s[2:3]
	v_cvt_f16_f32_e32 v0, v0
	global_store_short v[1:2], v0, off
.LBB316_1907:
	s_mov_b64 s[8:9], 0
.LBB316_1908:
	s_andn2_b64 vcc, exec, s[8:9]
	s_cbranch_vccnz .LBB316_1924
; %bb.1909:
	s_sext_i32_i16 s10, s20
	s_cmp_lt_i32 s10, 2
	s_mov_b64 s[8:9], -1
	s_cbranch_scc1 .LBB316_1919
; %bb.1910:
	s_cmp_lt_i32 s10, 3
	s_cbranch_scc1 .LBB316_1916
; %bb.1911:
	s_cmp_gt_i32 s10, 3
	s_cbranch_scc0 .LBB316_1913
; %bb.1912:
	s_mov_b32 s8, 0
	s_waitcnt vmcnt(0)
	v_cndmask_b32_e64 v3, 0, 1, s[2:3]
	v_mov_b32_e32 v4, s8
	s_mov_b64 s[8:9], 0
	global_store_dwordx2 v[1:2], v[3:4], off
.LBB316_1913:
	s_andn2_b64 vcc, exec, s[8:9]
	s_cbranch_vccnz .LBB316_1915
; %bb.1914:
	v_cndmask_b32_e64 v0, 0, 1, s[2:3]
	global_store_dword v[1:2], v0, off
.LBB316_1915:
	s_mov_b64 s[8:9], 0
.LBB316_1916:
	s_andn2_b64 vcc, exec, s[8:9]
	s_cbranch_vccnz .LBB316_1918
; %bb.1917:
	v_cndmask_b32_e64 v0, 0, 1, s[2:3]
	global_store_short v[1:2], v0, off
.LBB316_1918:
	s_mov_b64 s[8:9], 0
.LBB316_1919:
	s_andn2_b64 vcc, exec, s[8:9]
	s_cbranch_vccnz .LBB316_1924
; %bb.1920:
	s_sext_i32_i16 s10, s20
	s_mov_b64 s[8:9], -1
	s_cmp_gt_i32 s10, 0
	v_cndmask_b32_e64 v0, 0, 1, s[2:3]
	s_cbranch_scc0 .LBB316_1922
; %bb.1921:
	s_mov_b64 s[8:9], 0
	global_store_byte v[1:2], v0, off
.LBB316_1922:
	s_andn2_b64 vcc, exec, s[8:9]
	s_cbranch_vccnz .LBB316_1924
; %bb.1923:
	global_store_byte v[1:2], v0, off
.LBB316_1924:
	s_or_b64 exec, exec, s[0:1]
	s_and_b64 s[6:7], s[6:7], exec
                                        ; implicit-def: $vgpr23
                                        ; implicit-def: $vgpr8
.LBB316_1925:
	s_or_saveexec_b64 s[12:13], s[30:31]
	s_mov_b64 s[0:1], 0
                                        ; implicit-def: $sgpr2_sgpr3
                                        ; implicit-def: $vgpr0_vgpr1
                                        ; implicit-def: $sgpr22
	s_xor_b64 exec, exec, s[12:13]
	s_cbranch_execz .LBB316_3774
; %bb.1926:
	v_cndmask_b32_e64 v0, 0, 1, s[28:29]
	v_cmp_ne_u32_e64 s[0:1], 1, v0
	s_andn2_b64 vcc, exec, s[28:29]
	s_cbranch_vccnz .LBB316_1932
; %bb.1927:
	s_cmp_lg_u32 s33, 0
	s_cbranch_scc0 .LBB316_1933
; %bb.1928:
	s_min_u32 s8, s72, 15
	s_add_i32 s2, s8, 1
	s_and_b32 s9, s2, 30
	s_add_u32 s2, s24, 0xffffffe8
	s_addc_u32 s3, s25, -1
	v_mov_b32_e32 v19, 0
	v_mov_b32_e32 v21, 0
	s_waitcnt vmcnt(0)
	v_mov_b32_e32 v6, 0
	v_mov_b32_e32 v0, v8
.LBB316_1929:                           ; =>This Inner Loop Header: Depth=1
	s_load_dwordx4 s[16:19], s[2:3], 0x1c
	s_load_dwordx2 s[10:11], s[2:3], 0x2c
	s_load_dwordx2 s[14:15], s[2:3], 0xec
	s_load_dwordx4 s[20:23], s[2:3], 0xdc
	s_add_u32 s2, s2, 24
	s_waitcnt lgkmcnt(0)
	v_mul_hi_u32 v1, s17, v0
	s_addc_u32 s3, s3, 0
	s_add_i32 s9, s9, -2
	s_cmp_lg_u32 s9, 0
	v_add_u32_e32 v1, v0, v1
	v_lshrrev_b32_e32 v1, s18, v1
	v_mul_lo_u32 v2, v1, s16
	v_mul_hi_u32 v3, s10, v1
	v_sub_u32_e32 v2, v0, v2
	v_add_u32_e32 v0, v1, v3
	v_lshrrev_b32_e32 v0, s11, v0
	v_mul_lo_u32 v5, v0, s19
	v_mul_lo_u32 v3, v2, s20
	v_mul_lo_u32 v4, v2, s21
	v_mul_lo_u32 v2, v2, s22
	v_sub_u32_e32 v1, v1, v5
	v_mul_lo_u32 v5, v1, s23
	v_mul_lo_u32 v7, v1, s14
	;; [unrolled: 1-line block ×3, first 2 shown]
	v_add3_u32 v6, v3, v6, v5
	v_add3_u32 v21, v4, v21, v7
	;; [unrolled: 1-line block ×3, first 2 shown]
	s_cbranch_scc1 .LBB316_1929
; %bb.1930:
	s_bitcmp1_b32 s8, 0
	s_cselect_b64 s[8:9], -1, 0
	s_and_b64 vcc, exec, s[8:9]
	s_cbranch_vccnz .LBB316_1934
; %bb.1931:
	s_load_dwordx2 s[8:9], s[2:3], 0x1c
	s_load_dword s14, s[2:3], 0x24
	s_load_dwordx2 s[10:11], s[2:3], 0xdc
	s_waitcnt lgkmcnt(0)
	v_mul_hi_u32 v1, s9, v0
	v_add_u32_e32 v1, v0, v1
	v_lshrrev_b32_e32 v1, s14, v1
	v_mul_lo_u32 v1, v1, s8
	s_load_dword s8, s[2:3], 0xe4
	v_sub_u32_e32 v0, v0, v1
	v_mad_u64_u32 v[6:7], s[2:3], v0, s10, v[6:7]
	v_mad_u64_u32 v[21:22], s[2:3], v0, s11, v[21:22]
	s_waitcnt lgkmcnt(0)
	v_mad_u64_u32 v[19:20], s[2:3], v0, s8, v[19:20]
	s_cbranch_execz .LBB316_1935
	s_branch .LBB316_1937
.LBB316_1932:
                                        ; implicit-def: $vgpr6
                                        ; implicit-def: $vgpr21
                                        ; implicit-def: $vgpr19
	s_branch .LBB316_1935
.LBB316_1933:
	s_waitcnt vmcnt(0)
	v_mov_b32_e32 v6, 0
	v_mov_b32_e32 v21, 0
	;; [unrolled: 1-line block ×3, first 2 shown]
.LBB316_1934:
	s_cbranch_execnz .LBB316_1937
.LBB316_1935:
	s_load_dwordx4 s[8:11], s[24:25], 0x4
	s_load_dwordx4 s[16:19], s[24:25], 0xc4
	s_cmp_lt_u32 s33, 2
	s_waitcnt lgkmcnt(0)
	v_mul_hi_u32 v0, s9, v8
	v_add_u32_e32 v0, v8, v0
	v_lshrrev_b32_e32 v0, s10, v0
	v_mul_lo_u32 v1, v0, s8
	v_sub_u32_e32 v1, v8, v1
	s_waitcnt vmcnt(0)
	v_mul_lo_u32 v6, v1, s16
	v_mul_lo_u32 v21, v1, s17
	;; [unrolled: 1-line block ×3, first 2 shown]
	s_cbranch_scc1 .LBB316_1937
; %bb.1936:
	s_load_dwordx4 s[8:11], s[24:25], 0x10
	s_load_dwordx4 s[16:19], s[24:25], 0xd0
	s_waitcnt lgkmcnt(0)
	v_mul_hi_u32 v1, s9, v0
	v_add_u32_e32 v1, v0, v1
	v_lshrrev_b32_e32 v1, s10, v1
	v_mul_lo_u32 v1, v1, s8
	v_sub_u32_e32 v0, v0, v1
	v_mad_u64_u32 v[6:7], s[2:3], v0, s16, v[6:7]
	v_mad_u64_u32 v[21:22], s[2:3], v0, s17, v[21:22]
	;; [unrolled: 1-line block ×3, first 2 shown]
.LBB316_1937:
	s_and_b64 vcc, exec, s[0:1]
	v_add_u32_e32 v0, 0x80, v8
	s_cbranch_vccnz .LBB316_1943
; %bb.1938:
	s_cmp_lg_u32 s33, 0
	s_cbranch_scc0 .LBB316_1944
; %bb.1939:
	s_min_u32 s8, s72, 15
	s_add_i32 s2, s8, 1
	s_and_b32 s9, s2, 30
	s_add_u32 s2, s24, 0xffffffe8
	s_addc_u32 s3, s25, -1
	v_mov_b32_e32 v15, 0
	v_mov_b32_e32 v17, 0
	;; [unrolled: 1-line block ×4, first 2 shown]
.LBB316_1940:                           ; =>This Inner Loop Header: Depth=1
	s_load_dwordx4 s[16:19], s[2:3], 0x1c
	s_load_dwordx2 s[10:11], s[2:3], 0x2c
	s_load_dwordx2 s[14:15], s[2:3], 0xec
	s_load_dwordx4 s[20:23], s[2:3], 0xdc
	s_add_u32 s2, s2, 24
	s_waitcnt lgkmcnt(0)
	v_mul_hi_u32 v2, s17, v1
	s_addc_u32 s3, s3, 0
	s_add_i32 s9, s9, -2
	s_cmp_lg_u32 s9, 0
	v_add_u32_e32 v2, v1, v2
	v_lshrrev_b32_e32 v2, s18, v2
	s_waitcnt vmcnt(0)
	v_mul_lo_u32 v3, v2, s16
	v_mul_hi_u32 v5, s10, v2
	v_sub_u32_e32 v3, v1, v3
	v_add_u32_e32 v1, v2, v5
	v_lshrrev_b32_e32 v1, s11, v1
	v_mul_lo_u32 v9, v1, s19
	v_mul_lo_u32 v5, v3, s20
	;; [unrolled: 1-line block ×4, first 2 shown]
	v_sub_u32_e32 v2, v2, v9
	v_mul_lo_u32 v9, v2, s23
	v_mul_lo_u32 v10, v2, s14
	;; [unrolled: 1-line block ×3, first 2 shown]
	v_add3_u32 v4, v5, v4, v9
	v_add3_u32 v17, v7, v17, v10
	;; [unrolled: 1-line block ×3, first 2 shown]
	s_cbranch_scc1 .LBB316_1940
; %bb.1941:
	s_bitcmp1_b32 s8, 0
	s_cselect_b64 s[8:9], -1, 0
	s_and_b64 vcc, exec, s[8:9]
	s_cbranch_vccnz .LBB316_1945
; %bb.1942:
	s_load_dwordx2 s[8:9], s[2:3], 0x1c
	s_load_dword s14, s[2:3], 0x24
	s_load_dwordx2 s[10:11], s[2:3], 0xdc
	s_waitcnt lgkmcnt(0)
	v_mul_hi_u32 v2, s9, v1
	v_add_u32_e32 v2, v1, v2
	v_lshrrev_b32_e32 v2, s14, v2
	v_mul_lo_u32 v2, v2, s8
	s_load_dword s8, s[2:3], 0xe4
	v_sub_u32_e32 v1, v1, v2
	v_mad_u64_u32 v[4:5], s[2:3], v1, s10, v[4:5]
	v_mad_u64_u32 v[17:18], s[2:3], v1, s11, v[17:18]
	s_waitcnt lgkmcnt(0)
	v_mad_u64_u32 v[15:16], s[2:3], v1, s8, v[15:16]
	s_cbranch_execz .LBB316_1946
	s_branch .LBB316_1948
.LBB316_1943:
                                        ; implicit-def: $vgpr4
                                        ; implicit-def: $vgpr17
                                        ; implicit-def: $vgpr15
	s_branch .LBB316_1946
.LBB316_1944:
	v_mov_b32_e32 v4, 0
	v_mov_b32_e32 v17, 0
	;; [unrolled: 1-line block ×3, first 2 shown]
.LBB316_1945:
	s_cbranch_execnz .LBB316_1948
.LBB316_1946:
	s_load_dwordx4 s[8:11], s[24:25], 0x4
	s_load_dwordx4 s[16:19], s[24:25], 0xc4
	s_cmp_lt_u32 s33, 2
	s_waitcnt lgkmcnt(0)
	v_mul_hi_u32 v1, s9, v0
	v_add_u32_e32 v1, v0, v1
	v_lshrrev_b32_e32 v1, s10, v1
	v_mul_lo_u32 v2, v1, s8
	v_sub_u32_e32 v0, v0, v2
	v_mul_lo_u32 v4, v0, s16
	v_mul_lo_u32 v17, v0, s17
	;; [unrolled: 1-line block ×3, first 2 shown]
	s_cbranch_scc1 .LBB316_1948
; %bb.1947:
	s_load_dwordx4 s[8:11], s[24:25], 0x10
	s_load_dwordx4 s[16:19], s[24:25], 0xd0
	s_waitcnt lgkmcnt(0)
	v_mul_hi_u32 v0, s9, v1
	v_add_u32_e32 v0, v1, v0
	v_lshrrev_b32_e32 v0, s10, v0
	v_mul_lo_u32 v0, v0, s8
	v_sub_u32_e32 v0, v1, v0
	s_waitcnt vmcnt(0)
	v_mad_u64_u32 v[4:5], s[2:3], v0, s16, v[4:5]
	v_mad_u64_u32 v[17:18], s[2:3], v0, s17, v[17:18]
	;; [unrolled: 1-line block ×3, first 2 shown]
.LBB316_1948:
	s_and_b64 vcc, exec, s[0:1]
	v_add_u32_e32 v0, 0x100, v8
	s_cbranch_vccnz .LBB316_1954
; %bb.1949:
	s_cmp_lg_u32 s33, 0
	s_cbranch_scc0 .LBB316_1955
; %bb.1950:
	s_min_u32 s8, s72, 15
	s_add_i32 s2, s8, 1
	s_and_b32 s9, s2, 30
	s_add_u32 s2, s24, 0xffffffe8
	s_addc_u32 s3, s25, -1
	v_mov_b32_e32 v11, 0
	v_mov_b32_e32 v13, 0
	;; [unrolled: 1-line block ×4, first 2 shown]
.LBB316_1951:                           ; =>This Inner Loop Header: Depth=1
	s_load_dwordx4 s[16:19], s[2:3], 0x1c
	s_load_dwordx2 s[10:11], s[2:3], 0x2c
	s_load_dwordx2 s[14:15], s[2:3], 0xec
	s_load_dwordx4 s[20:23], s[2:3], 0xdc
	s_add_u32 s2, s2, 24
	s_waitcnt vmcnt(0) lgkmcnt(0)
	v_mul_hi_u32 v3, s17, v1
	s_addc_u32 s3, s3, 0
	s_add_i32 s9, s9, -2
	s_cmp_lg_u32 s9, 0
	v_add_u32_e32 v3, v1, v3
	v_lshrrev_b32_e32 v3, s18, v3
	v_mul_lo_u32 v5, v3, s16
	v_mul_hi_u32 v7, s10, v3
	v_sub_u32_e32 v5, v1, v5
	v_add_u32_e32 v1, v3, v7
	v_lshrrev_b32_e32 v1, s11, v1
	v_mul_lo_u32 v9, v1, s19
	v_mul_lo_u32 v7, v5, s20
	;; [unrolled: 1-line block ×4, first 2 shown]
	v_sub_u32_e32 v3, v3, v9
	v_mul_lo_u32 v9, v3, s23
	v_mul_lo_u32 v10, v3, s14
	v_mul_lo_u32 v3, v3, s15
	v_add3_u32 v2, v7, v2, v9
	v_add3_u32 v13, v8, v13, v10
	;; [unrolled: 1-line block ×3, first 2 shown]
	s_cbranch_scc1 .LBB316_1951
; %bb.1952:
	s_bitcmp1_b32 s8, 0
	s_cselect_b64 s[8:9], -1, 0
	s_and_b64 vcc, exec, s[8:9]
	s_cbranch_vccnz .LBB316_1956
; %bb.1953:
	s_load_dwordx2 s[8:9], s[2:3], 0x1c
	s_load_dword s14, s[2:3], 0x24
	s_load_dwordx2 s[10:11], s[2:3], 0xdc
	s_waitcnt lgkmcnt(0)
	v_mul_hi_u32 v3, s9, v1
	v_add_u32_e32 v3, v1, v3
	v_lshrrev_b32_e32 v3, s14, v3
	v_mul_lo_u32 v3, v3, s8
	s_load_dword s8, s[2:3], 0xe4
	v_sub_u32_e32 v1, v1, v3
	v_mad_u64_u32 v[2:3], s[2:3], v1, s10, v[2:3]
	v_mad_u64_u32 v[13:14], s[2:3], v1, s11, v[13:14]
	s_waitcnt lgkmcnt(0)
	v_mad_u64_u32 v[11:12], s[2:3], v1, s8, v[11:12]
	s_cbranch_execz .LBB316_1957
	s_branch .LBB316_1959
.LBB316_1954:
                                        ; implicit-def: $vgpr2
                                        ; implicit-def: $vgpr13
                                        ; implicit-def: $vgpr11
	s_branch .LBB316_1957
.LBB316_1955:
	v_mov_b32_e32 v2, 0
	v_mov_b32_e32 v13, 0
	v_mov_b32_e32 v11, 0
.LBB316_1956:
	s_cbranch_execnz .LBB316_1959
.LBB316_1957:
	s_load_dwordx4 s[8:11], s[24:25], 0x4
	s_load_dwordx4 s[16:19], s[24:25], 0xc4
	s_cmp_lt_u32 s33, 2
	s_waitcnt lgkmcnt(0)
	v_mul_hi_u32 v1, s9, v0
	v_add_u32_e32 v1, v0, v1
	v_lshrrev_b32_e32 v1, s10, v1
	v_mul_lo_u32 v2, v1, s8
	v_sub_u32_e32 v0, v0, v2
	v_mul_lo_u32 v2, v0, s16
	v_mul_lo_u32 v13, v0, s17
	;; [unrolled: 1-line block ×3, first 2 shown]
	s_cbranch_scc1 .LBB316_1959
; %bb.1958:
	s_load_dwordx4 s[8:11], s[24:25], 0x10
	s_load_dwordx4 s[16:19], s[24:25], 0xd0
	s_waitcnt lgkmcnt(0)
	v_mul_hi_u32 v0, s9, v1
	v_add_u32_e32 v0, v1, v0
	v_lshrrev_b32_e32 v0, s10, v0
	v_mul_lo_u32 v0, v0, s8
	v_sub_u32_e32 v0, v1, v0
	s_waitcnt vmcnt(0)
	v_mad_u64_u32 v[2:3], s[2:3], v0, s16, v[2:3]
	v_mad_u64_u32 v[13:14], s[2:3], v0, s17, v[13:14]
	;; [unrolled: 1-line block ×3, first 2 shown]
.LBB316_1959:
	s_and_b64 vcc, exec, s[0:1]
	s_cbranch_vccnz .LBB316_1965
; %bb.1960:
	s_cmp_lg_u32 s33, 0
	s_cbranch_scc0 .LBB316_1966
; %bb.1961:
	s_min_u32 s2, s72, 15
	s_add_i32 s0, s2, 1
	s_and_b32 s3, s0, 30
	s_add_u32 s0, s24, 0xffffffe8
	s_addc_u32 s1, s25, -1
	v_mov_b32_e32 v7, 0
	v_mov_b32_e32 v9, 0
	;; [unrolled: 1-line block ×4, first 2 shown]
.LBB316_1962:                           ; =>This Inner Loop Header: Depth=1
	s_load_dwordx4 s[8:11], s[0:1], 0x1c
	s_load_dwordx2 s[14:15], s[0:1], 0x2c
	s_load_dwordx2 s[20:21], s[0:1], 0xec
	s_load_dwordx4 s[16:19], s[0:1], 0xdc
	s_add_u32 s0, s0, 24
	s_waitcnt vmcnt(0) lgkmcnt(0)
	v_mul_hi_u32 v3, s9, v1
	s_addc_u32 s1, s1, 0
	s_add_i32 s3, s3, -2
	s_cmp_lg_u32 s3, 0
	v_add_u32_e32 v3, v1, v3
	v_lshrrev_b32_e32 v3, s10, v3
	v_mul_lo_u32 v5, v3, s8
	v_mul_hi_u32 v8, s14, v3
	v_sub_u32_e32 v5, v1, v5
	v_add_u32_e32 v1, v3, v8
	v_lshrrev_b32_e32 v1, s15, v1
	v_mul_lo_u32 v12, v1, s11
	v_mul_lo_u32 v8, v5, s16
	;; [unrolled: 1-line block ×4, first 2 shown]
	v_sub_u32_e32 v3, v3, v12
	v_mul_lo_u32 v12, v3, s19
	v_mul_lo_u32 v14, v3, s20
	;; [unrolled: 1-line block ×3, first 2 shown]
	v_add3_u32 v0, v8, v0, v12
	v_add3_u32 v9, v10, v9, v14
	;; [unrolled: 1-line block ×3, first 2 shown]
	s_cbranch_scc1 .LBB316_1962
; %bb.1963:
	s_bitcmp1_b32 s2, 0
	s_cselect_b64 s[2:3], -1, 0
	s_and_b64 vcc, exec, s[2:3]
	s_cbranch_vccnz .LBB316_1967
; %bb.1964:
	s_load_dwordx2 s[2:3], s[0:1], 0x1c
	s_load_dword s10, s[0:1], 0x24
	s_load_dwordx2 s[8:9], s[0:1], 0xdc
	s_waitcnt lgkmcnt(0)
	v_mul_hi_u32 v3, s3, v1
	v_add_u32_e32 v3, v1, v3
	v_lshrrev_b32_e32 v3, s10, v3
	v_mul_lo_u32 v3, v3, s2
	s_load_dword s2, s[0:1], 0xe4
	v_sub_u32_e32 v3, v1, v3
	v_mad_u64_u32 v[0:1], s[0:1], v3, s8, v[0:1]
	v_mad_u64_u32 v[9:10], s[0:1], v3, s9, v[9:10]
	s_waitcnt lgkmcnt(0)
	v_mad_u64_u32 v[7:8], s[0:1], v3, s2, v[7:8]
	s_cbranch_execz .LBB316_1968
	s_branch .LBB316_1970
.LBB316_1965:
                                        ; implicit-def: $vgpr0
                                        ; implicit-def: $vgpr9
                                        ; implicit-def: $vgpr7
	s_branch .LBB316_1968
.LBB316_1966:
	v_mov_b32_e32 v0, 0
	v_mov_b32_e32 v9, 0
	;; [unrolled: 1-line block ×3, first 2 shown]
.LBB316_1967:
	s_cbranch_execnz .LBB316_1970
.LBB316_1968:
	s_load_dwordx4 s[0:3], s[24:25], 0x4
	s_load_dwordx4 s[8:11], s[24:25], 0xc4
	s_cmp_lt_u32 s33, 2
	s_waitcnt lgkmcnt(0)
	v_mul_hi_u32 v0, s1, v23
	v_add_u32_e32 v0, v23, v0
	v_lshrrev_b32_e32 v1, s2, v0
	v_mul_lo_u32 v0, v1, s0
	s_waitcnt vmcnt(0)
	v_sub_u32_e32 v3, v23, v0
	v_mul_lo_u32 v0, v3, s8
	v_mul_lo_u32 v9, v3, s9
	;; [unrolled: 1-line block ×3, first 2 shown]
	s_cbranch_scc1 .LBB316_1970
; %bb.1969:
	s_load_dwordx4 s[0:3], s[24:25], 0x10
	s_load_dwordx4 s[8:11], s[24:25], 0xd0
	s_waitcnt lgkmcnt(0)
	v_mul_hi_u32 v3, s1, v1
	v_add_u32_e32 v3, v1, v3
	v_lshrrev_b32_e32 v3, s2, v3
	v_mul_lo_u32 v3, v3, s0
	v_sub_u32_e32 v3, v1, v3
	v_mad_u64_u32 v[0:1], s[0:1], v3, s8, v[0:1]
	v_mad_u64_u32 v[9:10], s[0:1], v3, s9, v[9:10]
	v_mad_u64_u32 v[7:8], s[0:1], v3, s10, v[7:8]
.LBB316_1970:
	s_load_dwordx4 s[8:11], s[24:25], 0x188
	s_load_dword s23, s[4:5], 0x1ac
	s_waitcnt lgkmcnt(0)
	v_mov_b32_e32 v1, s11
	s_bfe_u32 s18, s23, 0x80008
	v_add_co_u32_e32 v20, vcc, s10, v21
	s_cmp_lt_i32 s18, 11
	v_addc_co_u32_e32 v21, vcc, 0, v1, vcc
	s_cbranch_scc1 .LBB316_1979
; %bb.1971:
	s_and_b32 s19, 0xffff, s18
	s_cmp_gt_i32 s19, 25
	s_mov_b64 s[4:5], 0
	s_cbranch_scc0 .LBB316_1981
; %bb.1972:
	s_cmp_gt_i32 s19, 28
	s_cbranch_scc0 .LBB316_1982
; %bb.1973:
	s_cmp_gt_i32 s19, 43
	;; [unrolled: 3-line block ×3, first 2 shown]
	s_cbranch_scc0 .LBB316_1984
; %bb.1975:
	s_cmp_eq_u32 s19, 46
	s_mov_b64 s[14:15], 0
	s_cbranch_scc0 .LBB316_1987
; %bb.1976:
	global_load_dword v3, v[20:21], off
	s_movk_i32 s0, 0xff
	v_mov_b32_e32 v1, 0xff
	s_waitcnt vmcnt(0)
	v_lshlrev_b32_e32 v5, 16, v3
	v_bfe_u32 v8, v5, 23, 8
	v_cmp_ne_u32_e32 vcc, s0, v8
	s_and_saveexec_b64 s[2:3], vcc
; %bb.1977:
	v_bfe_u32 v1, v3, 7, 9
	v_and_b32_e32 v3, 64, v3
	s_mov_b32 s0, 0x3f0000
	v_cmp_ne_u32_e32 vcc, 0, v3
	v_and_or_b32 v3, v5, s0, v8
	v_cmp_ne_u32_e64 s[0:1], 0, v3
	s_and_b64 s[0:1], vcc, s[0:1]
	v_cndmask_b32_e64 v3, 0, 1, s[0:1]
	v_add_u32_e32 v1, v1, v3
; %bb.1978:
	s_or_b64 exec, exec, s[2:3]
	s_mov_b64 s[2:3], 0
	s_mov_b64 s[0:1], -1
	s_branch .LBB316_1988
.LBB316_1979:
	s_mov_b64 s[0:1], 0
                                        ; implicit-def: $vgpr1
	s_mov_b64 s[14:15], s[6:7]
	s_cbranch_execnz .LBB316_2068
.LBB316_1980:
	s_andn2_b64 vcc, exec, s[0:1]
	s_cbranch_vccz .LBB316_2135
	s_branch .LBB316_3772
.LBB316_1981:
	s_mov_b64 s[0:1], 0
	s_mov_b64 s[2:3], 0
                                        ; implicit-def: $vgpr1
	s_cbranch_execnz .LBB316_2023
	s_branch .LBB316_2062
.LBB316_1982:
	s_mov_b64 s[0:1], 0
	s_mov_b64 s[2:3], 0
                                        ; implicit-def: $vgpr1
	s_cbranch_execz .LBB316_2022
	s_branch .LBB316_1999
.LBB316_1983:
	s_mov_b64 s[0:1], 0
	s_mov_b64 s[2:3], 0
                                        ; implicit-def: $vgpr1
	s_cbranch_execnz .LBB316_1993
	s_branch .LBB316_1998
.LBB316_1984:
	s_mov_b64 s[14:15], -1
	s_mov_b64 s[0:1], 0
	s_mov_b64 s[2:3], 0
                                        ; implicit-def: $vgpr1
	s_branch .LBB316_1988
.LBB316_1985:
	s_andn2_saveexec_b64 s[14:15], s[14:15]
	s_cbranch_execz .LBB316_1834
.LBB316_1986:
	v_add_f32_e32 v0, 0x46000000, v3
	v_and_b32_e32 v0, 0xff, v0
	v_cmp_ne_u32_e32 vcc, 0, v0
	s_andn2_b64 s[12:13], s[12:13], exec
	s_and_b64 s[16:17], vcc, exec
	s_or_b64 s[12:13], s[12:13], s[16:17]
	s_or_b64 exec, exec, s[14:15]
	v_mov_b32_e32 v4, 0
	s_and_saveexec_b64 s[14:15], s[12:13]
	s_cbranch_execnz .LBB316_1835
	s_branch .LBB316_1836
.LBB316_1987:
	s_mov_b64 s[2:3], -1
                                        ; implicit-def: $vgpr1
	s_mov_b64 s[0:1], 0
.LBB316_1988:
	s_and_b64 vcc, exec, s[14:15]
	s_cbranch_vccz .LBB316_1991
; %bb.1989:
	s_cmp_eq_u32 s19, 44
	s_cbranch_scc0 .LBB316_1992
; %bb.1990:
	global_load_ubyte v1, v[20:21], off
	s_mov_b64 s[2:3], 0
	s_mov_b64 s[0:1], -1
.LBB316_1991:
	s_branch .LBB316_1998
.LBB316_1992:
	s_mov_b64 s[2:3], -1
                                        ; implicit-def: $vgpr1
	s_branch .LBB316_1998
.LBB316_1993:
	s_cmp_eq_u32 s19, 29
	s_cbranch_scc0 .LBB316_1997
; %bb.1994:
	global_load_dwordx2 v[22:23], v[20:21], off
	s_movk_i32 s0, 0xff
	s_waitcnt vmcnt(0)
	v_ffbh_u32_e32 v1, v23
	v_min_u32_e32 v1, 32, v1
	v_lshlrev_b64 v[22:23], v1, v[22:23]
	v_sub_u32_e32 v1, 32, v1
	v_min_u32_e32 v3, 1, v22
	v_or_b32_e32 v3, v23, v3
	v_cvt_f32_u32_e32 v3, v3
	v_ldexp_f32 v5, v3, v1
	v_lshrrev_b32_e32 v3, 23, v5
	v_cmp_ne_u32_e32 vcc, s0, v3
	v_mov_b32_e32 v1, 0xff
	s_and_saveexec_b64 s[2:3], vcc
; %bb.1995:
	v_and_b32_e32 v1, 0x400000, v5
	s_mov_b32 s0, 0x3fffff
	v_cmp_ne_u32_e32 vcc, 0, v1
	v_and_or_b32 v1, v5, s0, v3
	v_cmp_ne_u32_e64 s[0:1], 0, v1
	s_and_b64 s[0:1], vcc, s[0:1]
	v_cndmask_b32_e64 v1, 0, 1, s[0:1]
	v_add_u32_e32 v1, v3, v1
; %bb.1996:
	s_or_b64 exec, exec, s[2:3]
	s_mov_b64 s[2:3], 0
	s_mov_b64 s[0:1], -1
	s_branch .LBB316_1998
.LBB316_1997:
	s_mov_b64 s[2:3], -1
                                        ; implicit-def: $vgpr1
.LBB316_1998:
	s_branch .LBB316_2022
.LBB316_1999:
	s_cmp_lt_i32 s19, 27
	s_cbranch_scc1 .LBB316_2004
; %bb.2000:
	s_cmp_gt_i32 s19, 27
	s_cbranch_scc0 .LBB316_2005
; %bb.2001:
	global_load_dword v1, v[20:21], off
	s_movk_i32 s0, 0xff
	s_waitcnt vmcnt(0)
	v_cvt_f32_u32_e32 v5, v1
	v_mov_b32_e32 v1, 0xff
	v_lshrrev_b32_e32 v3, 23, v5
	v_cmp_ne_u32_e32 vcc, s0, v3
	s_and_saveexec_b64 s[14:15], vcc
; %bb.2002:
	v_and_b32_e32 v1, 0x400000, v5
	s_mov_b32 s0, 0x3fffff
	v_cmp_ne_u32_e32 vcc, 0, v1
	v_and_or_b32 v1, v5, s0, v3
	v_cmp_ne_u32_e64 s[0:1], 0, v1
	s_and_b64 s[0:1], vcc, s[0:1]
	v_cndmask_b32_e64 v1, 0, 1, s[0:1]
	v_add_u32_e32 v1, v3, v1
; %bb.2003:
	s_or_b64 exec, exec, s[14:15]
	s_mov_b64 s[0:1], 0
	s_branch .LBB316_2006
.LBB316_2004:
	s_mov_b64 s[0:1], -1
                                        ; implicit-def: $vgpr1
	s_branch .LBB316_2011
.LBB316_2005:
	s_mov_b64 s[0:1], -1
                                        ; implicit-def: $vgpr1
.LBB316_2006:
	s_andn2_b64 vcc, exec, s[0:1]
	s_cbranch_vccnz .LBB316_2010
; %bb.2007:
	global_load_ushort v1, v[20:21], off
	s_movk_i32 s0, 0xff
	s_waitcnt vmcnt(0)
	v_cvt_f32_u32_e32 v5, v1
	v_mov_b32_e32 v1, 0xff
	v_lshrrev_b32_e32 v3, 23, v5
	v_cmp_ne_u32_e32 vcc, s0, v3
	s_and_saveexec_b64 s[14:15], vcc
; %bb.2008:
	v_and_b32_e32 v1, 0x400000, v5
	s_mov_b32 s0, 0x3fffff
	v_cmp_ne_u32_e32 vcc, 0, v1
	v_and_or_b32 v1, v5, s0, v3
	v_cmp_ne_u32_e64 s[0:1], 0, v1
	s_and_b64 s[0:1], vcc, s[0:1]
	v_cndmask_b32_e64 v1, 0, 1, s[0:1]
	v_add_u32_e32 v1, v3, v1
; %bb.2009:
	s_or_b64 exec, exec, s[14:15]
.LBB316_2010:
	s_mov_b64 s[0:1], 0
.LBB316_2011:
	s_andn2_b64 vcc, exec, s[0:1]
	s_cbranch_vccnz .LBB316_2021
; %bb.2012:
	global_load_ubyte v1, v[20:21], off
	s_movk_i32 s0, 0x7f
	s_waitcnt vmcnt(0)
	v_cmp_lt_i16_e32 vcc, s0, v1
	s_mov_b64 s[0:1], 0
	s_and_saveexec_b64 s[14:15], vcc
	s_xor_b64 s[14:15], exec, s[14:15]
	s_cbranch_execz .LBB316_2036
; %bb.2013:
	s_movk_i32 s0, 0x80
	v_cmp_eq_u16_e32 vcc, s0, v1
	s_mov_b64 s[0:1], -1
	s_and_saveexec_b64 s[16:17], vcc
; %bb.2014:
	s_xor_b64 s[0:1], exec, -1
; %bb.2015:
	s_or_b64 exec, exec, s[16:17]
	s_and_b64 s[0:1], s[0:1], exec
	s_or_saveexec_b64 s[14:15], s[14:15]
	v_mov_b32_e32 v3, 0x7f800001
	s_xor_b64 exec, exec, s[14:15]
	s_cbranch_execnz .LBB316_2037
.LBB316_2016:
	s_or_b64 exec, exec, s[14:15]
	s_and_saveexec_b64 s[14:15], s[0:1]
	s_cbranch_execz .LBB316_2018
.LBB316_2017:
	v_and_b32_e32 v1, 0xffff, v1
	v_and_b32_e32 v3, 7, v1
	v_ffbh_u32_e32 v8, v3
	v_min_u32_e32 v8, 32, v8
	v_subrev_u32_e32 v10, 28, v8
	v_bfe_u32 v5, v1, 3, 4
	v_lshlrev_b32_e32 v1, v10, v1
	v_and_b32_e32 v1, 7, v1
	v_cmp_eq_u32_e32 vcc, 0, v5
	v_sub_u32_e32 v8, 29, v8
	v_cndmask_b32_e32 v1, v3, v1, vcc
	v_cndmask_b32_e32 v5, v5, v8, vcc
	v_lshlrev_b32_e32 v1, 20, v1
	v_lshl_or_b32 v1, v5, 23, v1
	v_add_u32_e32 v3, 0x3b800000, v1
.LBB316_2018:
	s_or_b64 exec, exec, s[14:15]
	v_lshrrev_b32_e32 v5, 23, v3
	s_movk_i32 s0, 0xff
	v_cmp_ne_u32_e32 vcc, s0, v5
	v_mov_b32_e32 v1, 0xff
	s_and_saveexec_b64 s[14:15], vcc
; %bb.2019:
	v_and_b32_e32 v1, 0x400000, v3
	s_mov_b32 s0, 0x3fffff
	v_cmp_ne_u32_e32 vcc, 0, v1
	v_and_or_b32 v1, v3, s0, v5
	v_cmp_ne_u32_e64 s[0:1], 0, v1
	s_and_b64 s[0:1], vcc, s[0:1]
	v_cndmask_b32_e64 v1, 0, 1, s[0:1]
	v_add_u32_e32 v1, v5, v1
; %bb.2020:
	s_or_b64 exec, exec, s[14:15]
.LBB316_2021:
	s_mov_b64 s[0:1], -1
.LBB316_2022:
	s_branch .LBB316_2062
.LBB316_2023:
	s_cmp_gt_i32 s19, 22
	s_cbranch_scc0 .LBB316_2035
; %bb.2024:
	s_cmp_lt_i32 s19, 24
	s_cbranch_scc1 .LBB316_2038
; %bb.2025:
	s_cmp_gt_i32 s19, 24
	s_cbranch_scc0 .LBB316_2039
; %bb.2026:
	global_load_ubyte v1, v[20:21], off
	s_movk_i32 s0, 0x7f
	s_waitcnt vmcnt(0)
	v_cmp_lt_i16_e32 vcc, s0, v1
	s_mov_b64 s[0:1], 0
	s_and_saveexec_b64 s[4:5], vcc
	s_xor_b64 s[4:5], exec, s[4:5]
	s_cbranch_execz .LBB316_2056
; %bb.2027:
	s_movk_i32 s0, 0x80
	v_cmp_eq_u16_e32 vcc, s0, v1
	s_mov_b64 s[0:1], -1
	s_and_saveexec_b64 s[14:15], vcc
; %bb.2028:
	s_xor_b64 s[0:1], exec, -1
; %bb.2029:
	s_or_b64 exec, exec, s[14:15]
	s_and_b64 s[0:1], s[0:1], exec
	s_or_saveexec_b64 s[4:5], s[4:5]
	v_mov_b32_e32 v3, 0x7f800001
	s_xor_b64 exec, exec, s[4:5]
	s_cbranch_execnz .LBB316_2057
.LBB316_2030:
	s_or_b64 exec, exec, s[4:5]
	s_and_saveexec_b64 s[4:5], s[0:1]
	s_cbranch_execz .LBB316_2032
.LBB316_2031:
	v_and_b32_e32 v1, 0xffff, v1
	v_and_b32_e32 v3, 3, v1
	v_ffbh_u32_e32 v8, v3
	v_min_u32_e32 v8, 32, v8
	v_subrev_u32_e32 v10, 29, v8
	v_bfe_u32 v5, v1, 2, 5
	v_lshlrev_b32_e32 v1, v10, v1
	v_and_b32_e32 v1, 3, v1
	v_cmp_eq_u32_e32 vcc, 0, v5
	v_sub_u32_e32 v8, 30, v8
	v_cndmask_b32_e32 v1, v3, v1, vcc
	v_cndmask_b32_e32 v5, v5, v8, vcc
	v_lshlrev_b32_e32 v1, 21, v1
	v_lshl_or_b32 v1, v5, 23, v1
	v_add_u32_e32 v3, 0x37800000, v1
.LBB316_2032:
	s_or_b64 exec, exec, s[4:5]
	v_lshrrev_b32_e32 v5, 23, v3
	s_movk_i32 s0, 0xff
	v_cmp_ne_u32_e32 vcc, s0, v5
	v_mov_b32_e32 v1, 0xff
	s_and_saveexec_b64 s[4:5], vcc
; %bb.2033:
	v_and_b32_e32 v1, 0x400000, v3
	s_mov_b32 s0, 0x3fffff
	v_cmp_ne_u32_e32 vcc, 0, v1
	v_and_or_b32 v1, v3, s0, v5
	v_cmp_ne_u32_e64 s[0:1], 0, v1
	s_and_b64 s[0:1], vcc, s[0:1]
	v_cndmask_b32_e64 v1, 0, 1, s[0:1]
	v_add_u32_e32 v1, v5, v1
; %bb.2034:
	s_or_b64 exec, exec, s[4:5]
	s_mov_b64 s[0:1], 0
	s_branch .LBB316_2040
.LBB316_2035:
                                        ; implicit-def: $vgpr1
	s_mov_b64 s[4:5], 0
	s_branch .LBB316_2050
.LBB316_2036:
	s_or_saveexec_b64 s[14:15], s[14:15]
	v_mov_b32_e32 v3, 0x7f800001
	s_xor_b64 exec, exec, s[14:15]
	s_cbranch_execz .LBB316_2016
.LBB316_2037:
	v_cmp_ne_u16_e32 vcc, 0, v1
	s_andn2_b64 s[0:1], s[0:1], exec
	s_and_b64 s[16:17], vcc, exec
	v_and_b32_e32 v3, 0xffff, v1
	s_or_b64 s[0:1], s[0:1], s[16:17]
	s_or_b64 exec, exec, s[14:15]
	s_and_saveexec_b64 s[14:15], s[0:1]
	s_cbranch_execnz .LBB316_2017
	s_branch .LBB316_2018
.LBB316_2038:
	s_mov_b64 s[0:1], -1
                                        ; implicit-def: $vgpr1
	s_branch .LBB316_2045
.LBB316_2039:
	s_mov_b64 s[0:1], -1
                                        ; implicit-def: $vgpr1
.LBB316_2040:
	s_and_b64 vcc, exec, s[0:1]
	s_cbranch_vccz .LBB316_2044
; %bb.2041:
	global_load_ubyte v1, v[20:21], off
	s_mov_b32 s0, 0x7f800000
	s_movk_i32 s1, 0xff
	s_waitcnt vmcnt(0)
	v_lshlrev_b32_e32 v1, 24, v1
	v_and_b32_e32 v1, 0x7f000000, v1
	v_ffbh_u32_e32 v3, v1
	v_min_u32_e32 v3, 32, v3
	v_sub_u32_e64 v3, v3, 4 clamp
	v_lshlrev_b32_e32 v8, v3, v1
	v_lshlrev_b32_e32 v3, 23, v3
	v_lshrrev_b32_e32 v8, 4, v8
	v_add_u32_e32 v5, 0x1000000, v1
	v_sub_u32_e32 v3, v8, v3
	v_ashrrev_i32_e32 v5, 8, v5
	v_add_u32_e32 v3, 0x3c000000, v3
	v_and_or_b32 v3, v5, s0, v3
	v_cmp_ne_u32_e32 vcc, 0, v1
	v_cndmask_b32_e32 v5, 0, v3, vcc
	v_lshrrev_b32_e32 v3, 23, v5
	v_cmp_ne_u32_e32 vcc, s1, v3
	v_mov_b32_e32 v1, 0xff
	s_and_saveexec_b64 s[4:5], vcc
; %bb.2042:
	v_and_b32_e32 v1, 0x400000, v5
	s_mov_b32 s0, 0x3fffff
	v_cmp_ne_u32_e32 vcc, 0, v1
	v_and_or_b32 v1, v5, s0, v3
	v_cmp_ne_u32_e64 s[0:1], 0, v1
	s_and_b64 s[0:1], vcc, s[0:1]
	v_cndmask_b32_e64 v1, 0, 1, s[0:1]
	v_add_u32_e32 v1, v3, v1
; %bb.2043:
	s_or_b64 exec, exec, s[4:5]
.LBB316_2044:
	s_mov_b64 s[0:1], 0
.LBB316_2045:
	s_andn2_b64 vcc, exec, s[0:1]
	s_cbranch_vccnz .LBB316_2049
; %bb.2046:
	global_load_ubyte v1, v[20:21], off
	s_movk_i32 s0, 0x7f00
	s_brev_b32 s1, 16
	s_movk_i32 s4, 0xff
	s_waitcnt vmcnt(0)
	v_lshlrev_b32_e32 v3, 8, v1
	v_lshlrev_b32_e32 v1, 25, v1
	v_lshrrev_b32_e32 v5, 4, v1
	v_and_or_b32 v3, v3, s0, 0.5
	v_or_b32_e32 v5, 0x70000000, v5
	v_add_f32_e32 v3, -0.5, v3
	v_mul_f32_e32 v5, 0x7800000, v5
	v_cmp_gt_u32_e32 vcc, s1, v1
	v_cndmask_b32_e32 v3, v5, v3, vcc
	v_bfe_u32 v5, v3, 23, 8
	v_cmp_ne_u32_e32 vcc, s4, v5
	v_mov_b32_e32 v1, 0xff
	s_and_saveexec_b64 s[4:5], vcc
; %bb.2047:
	s_mov_b32 s0, 0x3fffff
	v_lshrrev_b32_e32 v1, 23, v3
	v_and_b32_e32 v8, 0x400000, v3
	v_and_or_b32 v3, v3, s0, v5
	v_cmp_ne_u32_e32 vcc, 0, v8
	v_cmp_ne_u32_e64 s[0:1], 0, v3
	s_and_b64 s[0:1], vcc, s[0:1]
	v_cndmask_b32_e64 v3, 0, 1, s[0:1]
	v_add_u32_e32 v1, v1, v3
; %bb.2048:
	s_or_b64 exec, exec, s[4:5]
.LBB316_2049:
	s_mov_b64 s[0:1], -1
	s_mov_b64 s[4:5], 0
	s_cbranch_execnz .LBB316_2062
.LBB316_2050:
	s_cmp_gt_i32 s19, 14
	s_cbranch_scc0 .LBB316_2055
; %bb.2051:
	s_cmp_eq_u32 s19, 15
	s_cbranch_scc0 .LBB316_2058
; %bb.2052:
	global_load_ushort v3, v[20:21], off
	s_movk_i32 s0, 0xff
	s_waitcnt vmcnt(1)
	v_mov_b32_e32 v1, 0xff
	s_waitcnt vmcnt(0)
	v_bfe_u32 v5, v3, 7, 8
	v_cmp_ne_u32_e32 vcc, s0, v5
	s_and_saveexec_b64 s[2:3], vcc
	s_cbranch_execz .LBB316_2054
; %bb.2053:
	v_lshrrev_b32_e32 v1, 7, v3
	v_lshlrev_b32_e32 v8, 16, v3
	v_and_b32_e32 v3, 64, v3
	s_mov_b32 s0, 0x3f0000
	v_cmp_ne_u32_e32 vcc, 0, v3
	v_and_or_b32 v3, v8, s0, v5
	v_cmp_ne_u32_e64 s[0:1], 0, v3
	s_and_b64 s[0:1], vcc, s[0:1]
	v_cndmask_b32_e64 v3, 0, 1, s[0:1]
	v_add_u32_e32 v1, v1, v3
.LBB316_2054:
	s_or_b64 exec, exec, s[2:3]
	s_mov_b64 s[2:3], 0
	s_mov_b64 s[0:1], -1
	s_branch .LBB316_2059
.LBB316_2055:
	s_mov_b64 s[14:15], -1
                                        ; implicit-def: $vgpr1
	s_branch .LBB316_2060
.LBB316_2056:
	s_or_saveexec_b64 s[4:5], s[4:5]
	v_mov_b32_e32 v3, 0x7f800001
	s_xor_b64 exec, exec, s[4:5]
	s_cbranch_execz .LBB316_2030
.LBB316_2057:
	v_cmp_ne_u16_e32 vcc, 0, v1
	s_andn2_b64 s[0:1], s[0:1], exec
	s_and_b64 s[14:15], vcc, exec
	v_and_b32_e32 v3, 0xffff, v1
	s_or_b64 s[0:1], s[0:1], s[14:15]
	s_or_b64 exec, exec, s[4:5]
	s_and_saveexec_b64 s[4:5], s[0:1]
	s_cbranch_execnz .LBB316_2031
	s_branch .LBB316_2032
.LBB316_2058:
	s_mov_b64 s[2:3], -1
                                        ; implicit-def: $vgpr1
.LBB316_2059:
	s_mov_b64 s[14:15], 0
.LBB316_2060:
	s_and_b64 vcc, exec, s[14:15]
	s_cbranch_vccz .LBB316_2062
; %bb.2061:
	s_cmp_lg_u32 s19, 11
	s_mov_b64 s[4:5], -1
	s_cselect_b64 s[2:3], -1, 0
.LBB316_2062:
	s_and_b64 vcc, exec, s[2:3]
	s_mov_b64 s[14:15], s[6:7]
	s_cbranch_vccnz .LBB316_2149
; %bb.2063:
	s_andn2_b64 vcc, exec, s[4:5]
	s_cbranch_vccnz .LBB316_2067
.LBB316_2064:
	global_load_ubyte v1, v[20:21], off
	s_movk_i32 s0, 0xff
	s_waitcnt vmcnt(0)
	v_cmp_ne_u16_e32 vcc, 0, v1
	v_cndmask_b32_e64 v5, 0, 1.0, vcc
	v_lshrrev_b32_e32 v3, 23, v5
	v_cmp_ne_u32_e32 vcc, s0, v3
	v_mov_b32_e32 v1, 0xff
	s_and_saveexec_b64 s[2:3], vcc
; %bb.2065:
	v_and_b32_e32 v1, 0x400000, v5
	s_mov_b32 s0, 0x3fffff
	v_cmp_ne_u32_e32 vcc, 0, v1
	v_and_or_b32 v1, v5, s0, v3
	v_cmp_ne_u32_e64 s[0:1], 0, v1
	s_and_b64 s[0:1], vcc, s[0:1]
	v_cndmask_b32_e64 v1, 0, 1, s[0:1]
	v_add_u32_e32 v1, v3, v1
; %bb.2066:
	s_or_b64 exec, exec, s[2:3]
	s_mov_b64 s[0:1], -1
.LBB316_2067:
	s_branch .LBB316_1980
.LBB316_2068:
	s_and_b32 s4, 0xffff, s18
	s_cmp_lt_i32 s4, 5
	s_cbranch_scc1 .LBB316_2075
; %bb.2069:
	s_cmp_lt_i32 s4, 8
	s_cbranch_scc1 .LBB316_2076
; %bb.2070:
	;; [unrolled: 3-line block ×3, first 2 shown]
	s_cmp_gt_i32 s4, 9
	s_cbranch_scc0 .LBB316_2078
; %bb.2072:
	global_load_dwordx2 v[22:23], v[20:21], off
	s_movk_i32 s0, 0xff
	s_waitcnt vmcnt(1)
	v_mov_b32_e32 v1, 0xff
	s_waitcnt vmcnt(0)
	v_cvt_f32_f64_e32 v3, v[22:23]
	v_bfe_u32 v5, v3, 23, 8
	v_cmp_ne_u32_e32 vcc, s0, v5
	s_and_saveexec_b64 s[2:3], vcc
; %bb.2073:
	s_mov_b32 s0, 0x3fffff
	v_lshrrev_b32_e32 v1, 23, v3
	v_and_b32_e32 v8, 0x400000, v3
	v_and_or_b32 v3, v3, s0, v5
	v_cmp_ne_u32_e32 vcc, 0, v8
	v_cmp_ne_u32_e64 s[0:1], 0, v3
	s_and_b64 s[0:1], vcc, s[0:1]
	v_cndmask_b32_e64 v3, 0, 1, s[0:1]
	v_add_u32_e32 v1, v1, v3
; %bb.2074:
	s_or_b64 exec, exec, s[2:3]
	s_mov_b64 s[0:1], 0
	s_branch .LBB316_2079
.LBB316_2075:
                                        ; implicit-def: $vgpr1
	s_branch .LBB316_2106
.LBB316_2076:
                                        ; implicit-def: $vgpr1
	s_branch .LBB316_2089
.LBB316_2077:
	s_mov_b64 s[0:1], -1
                                        ; implicit-def: $vgpr1
	s_branch .LBB316_2084
.LBB316_2078:
	s_mov_b64 s[0:1], -1
                                        ; implicit-def: $vgpr1
.LBB316_2079:
	s_andn2_b64 vcc, exec, s[0:1]
	s_cbranch_vccnz .LBB316_2083
; %bb.2080:
	global_load_dword v3, v[20:21], off
	s_movk_i32 s0, 0xff
	s_waitcnt vmcnt(1)
	v_mov_b32_e32 v1, 0xff
	s_waitcnt vmcnt(0)
	v_bfe_u32 v5, v3, 23, 8
	v_cmp_ne_u32_e32 vcc, s0, v5
	s_and_saveexec_b64 s[2:3], vcc
; %bb.2081:
	s_mov_b32 s0, 0x3fffff
	v_lshrrev_b32_e32 v1, 23, v3
	v_and_b32_e32 v8, 0x400000, v3
	v_and_or_b32 v3, v3, s0, v5
	v_cmp_ne_u32_e32 vcc, 0, v8
	v_cmp_ne_u32_e64 s[0:1], 0, v3
	s_and_b64 s[0:1], vcc, s[0:1]
	v_cndmask_b32_e64 v3, 0, 1, s[0:1]
	v_add_u32_e32 v1, v1, v3
; %bb.2082:
	s_or_b64 exec, exec, s[2:3]
.LBB316_2083:
	s_mov_b64 s[0:1], 0
.LBB316_2084:
	s_andn2_b64 vcc, exec, s[0:1]
	s_cbranch_vccnz .LBB316_2088
; %bb.2085:
	global_load_dword v1, v[20:21], off
	s_movk_i32 s0, 0xff
	s_waitcnt vmcnt(0)
	v_cvt_f32_f16_e32 v3, v1
	v_mov_b32_e32 v1, 0xff
	v_bfe_u32 v5, v3, 23, 8
	v_cmp_ne_u32_e32 vcc, s0, v5
	s_and_saveexec_b64 s[2:3], vcc
; %bb.2086:
	s_mov_b32 s0, 0x3fffff
	v_lshrrev_b32_e32 v1, 23, v3
	v_and_b32_e32 v8, 0x400000, v3
	v_and_or_b32 v3, v3, s0, v5
	v_cmp_ne_u32_e32 vcc, 0, v8
	v_cmp_ne_u32_e64 s[0:1], 0, v3
	s_and_b64 s[0:1], vcc, s[0:1]
	v_cndmask_b32_e64 v3, 0, 1, s[0:1]
	v_add_u32_e32 v1, v1, v3
; %bb.2087:
	s_or_b64 exec, exec, s[2:3]
.LBB316_2088:
	s_cbranch_execnz .LBB316_2105
.LBB316_2089:
	s_cmp_lt_i32 s4, 6
	s_cbranch_scc1 .LBB316_2094
; %bb.2090:
	s_cmp_gt_i32 s4, 6
	s_cbranch_scc0 .LBB316_2095
; %bb.2091:
	global_load_dwordx2 v[22:23], v[20:21], off
	s_movk_i32 s0, 0xff
	s_waitcnt vmcnt(1)
	v_mov_b32_e32 v1, 0xff
	s_waitcnt vmcnt(0)
	v_cvt_f32_f64_e32 v3, v[22:23]
	v_bfe_u32 v5, v3, 23, 8
	v_cmp_ne_u32_e32 vcc, s0, v5
	s_and_saveexec_b64 s[2:3], vcc
; %bb.2092:
	s_mov_b32 s0, 0x3fffff
	v_lshrrev_b32_e32 v1, 23, v3
	v_and_b32_e32 v8, 0x400000, v3
	v_and_or_b32 v3, v3, s0, v5
	v_cmp_ne_u32_e32 vcc, 0, v8
	v_cmp_ne_u32_e64 s[0:1], 0, v3
	s_and_b64 s[0:1], vcc, s[0:1]
	v_cndmask_b32_e64 v3, 0, 1, s[0:1]
	v_add_u32_e32 v1, v1, v3
; %bb.2093:
	s_or_b64 exec, exec, s[2:3]
	s_mov_b64 s[0:1], 0
	s_branch .LBB316_2096
.LBB316_2094:
	s_mov_b64 s[0:1], -1
                                        ; implicit-def: $vgpr1
	s_branch .LBB316_2101
.LBB316_2095:
	s_mov_b64 s[0:1], -1
                                        ; implicit-def: $vgpr1
.LBB316_2096:
	s_andn2_b64 vcc, exec, s[0:1]
	s_cbranch_vccnz .LBB316_2100
; %bb.2097:
	global_load_dword v3, v[20:21], off
	s_movk_i32 s0, 0xff
	s_waitcnt vmcnt(1)
	v_mov_b32_e32 v1, 0xff
	s_waitcnt vmcnt(0)
	v_bfe_u32 v5, v3, 23, 8
	v_cmp_ne_u32_e32 vcc, s0, v5
	s_and_saveexec_b64 s[2:3], vcc
; %bb.2098:
	s_mov_b32 s0, 0x3fffff
	v_lshrrev_b32_e32 v1, 23, v3
	v_and_b32_e32 v8, 0x400000, v3
	v_and_or_b32 v3, v3, s0, v5
	v_cmp_ne_u32_e32 vcc, 0, v8
	v_cmp_ne_u32_e64 s[0:1], 0, v3
	s_and_b64 s[0:1], vcc, s[0:1]
	v_cndmask_b32_e64 v3, 0, 1, s[0:1]
	v_add_u32_e32 v1, v1, v3
; %bb.2099:
	s_or_b64 exec, exec, s[2:3]
.LBB316_2100:
	s_mov_b64 s[0:1], 0
.LBB316_2101:
	s_andn2_b64 vcc, exec, s[0:1]
	s_cbranch_vccnz .LBB316_2105
; %bb.2102:
	global_load_ushort v1, v[20:21], off
	s_movk_i32 s0, 0xff
	s_waitcnt vmcnt(0)
	v_cvt_f32_f16_e32 v3, v1
	v_mov_b32_e32 v1, 0xff
	v_bfe_u32 v5, v3, 23, 8
	v_cmp_ne_u32_e32 vcc, s0, v5
	s_and_saveexec_b64 s[2:3], vcc
; %bb.2103:
	s_mov_b32 s0, 0x3fffff
	v_lshrrev_b32_e32 v1, 23, v3
	v_and_b32_e32 v8, 0x400000, v3
	v_and_or_b32 v3, v3, s0, v5
	v_cmp_ne_u32_e32 vcc, 0, v8
	v_cmp_ne_u32_e64 s[0:1], 0, v3
	s_and_b64 s[0:1], vcc, s[0:1]
	v_cndmask_b32_e64 v3, 0, 1, s[0:1]
	v_add_u32_e32 v1, v1, v3
; %bb.2104:
	s_or_b64 exec, exec, s[2:3]
.LBB316_2105:
	s_cbranch_execnz .LBB316_2134
.LBB316_2106:
	s_cmp_lt_i32 s4, 2
	s_cbranch_scc1 .LBB316_2112
; %bb.2107:
	s_cmp_lt_i32 s4, 3
	s_cbranch_scc1 .LBB316_2113
; %bb.2108:
	s_cmp_gt_i32 s4, 3
	s_cbranch_scc0 .LBB316_2114
; %bb.2109:
	global_load_dwordx2 v[22:23], v[20:21], off
	s_movk_i32 s0, 0xff
	s_waitcnt vmcnt(0)
	v_xor_b32_e32 v3, v22, v23
	v_ffbh_i32_e32 v1, v23
	v_ashrrev_i32_e32 v3, 31, v3
	v_add_u32_e32 v1, -1, v1
	v_add_u32_e32 v3, 32, v3
	v_min_u32_e32 v1, v1, v3
	v_lshlrev_b64 v[22:23], v1, v[22:23]
	v_sub_u32_e32 v1, 32, v1
	v_min_u32_e32 v3, 1, v22
	v_or_b32_e32 v3, v23, v3
	v_cvt_f32_i32_e32 v3, v3
	v_ldexp_f32 v3, v3, v1
	v_bfe_u32 v5, v3, 23, 8
	v_cmp_ne_u32_e32 vcc, s0, v5
	v_mov_b32_e32 v1, 0xff
	s_and_saveexec_b64 s[2:3], vcc
; %bb.2110:
	s_mov_b32 s0, 0x3fffff
	v_lshrrev_b32_e32 v1, 23, v3
	v_and_b32_e32 v8, 0x400000, v3
	v_and_or_b32 v3, v3, s0, v5
	v_cmp_ne_u32_e32 vcc, 0, v8
	v_cmp_ne_u32_e64 s[0:1], 0, v3
	s_and_b64 s[0:1], vcc, s[0:1]
	v_cndmask_b32_e64 v3, 0, 1, s[0:1]
	v_add_u32_e32 v1, v1, v3
; %bb.2111:
	s_or_b64 exec, exec, s[2:3]
	s_mov_b64 s[0:1], 0
	s_branch .LBB316_2115
.LBB316_2112:
                                        ; implicit-def: $vgpr1
	s_branch .LBB316_2125
.LBB316_2113:
	s_mov_b64 s[0:1], -1
                                        ; implicit-def: $vgpr1
	s_branch .LBB316_2120
.LBB316_2114:
	s_mov_b64 s[0:1], -1
                                        ; implicit-def: $vgpr1
.LBB316_2115:
	s_andn2_b64 vcc, exec, s[0:1]
	s_cbranch_vccnz .LBB316_2119
; %bb.2116:
	global_load_dword v1, v[20:21], off
	s_movk_i32 s0, 0xff
	s_waitcnt vmcnt(0)
	v_cvt_f32_i32_e32 v3, v1
	v_mov_b32_e32 v1, 0xff
	v_bfe_u32 v5, v3, 23, 8
	v_cmp_ne_u32_e32 vcc, s0, v5
	s_and_saveexec_b64 s[2:3], vcc
; %bb.2117:
	s_mov_b32 s0, 0x3fffff
	v_lshrrev_b32_e32 v1, 23, v3
	v_and_b32_e32 v8, 0x400000, v3
	v_and_or_b32 v3, v3, s0, v5
	v_cmp_ne_u32_e32 vcc, 0, v8
	v_cmp_ne_u32_e64 s[0:1], 0, v3
	s_and_b64 s[0:1], vcc, s[0:1]
	v_cndmask_b32_e64 v3, 0, 1, s[0:1]
	v_add_u32_e32 v1, v1, v3
; %bb.2118:
	s_or_b64 exec, exec, s[2:3]
.LBB316_2119:
	s_mov_b64 s[0:1], 0
.LBB316_2120:
	s_andn2_b64 vcc, exec, s[0:1]
	s_cbranch_vccnz .LBB316_2124
; %bb.2121:
	global_load_sshort v1, v[20:21], off
	s_movk_i32 s0, 0xff
	s_waitcnt vmcnt(0)
	v_cvt_f32_i32_e32 v3, v1
	v_mov_b32_e32 v1, 0xff
	v_bfe_u32 v5, v3, 23, 8
	v_cmp_ne_u32_e32 vcc, s0, v5
	s_and_saveexec_b64 s[2:3], vcc
; %bb.2122:
	s_mov_b32 s0, 0x3fffff
	v_lshrrev_b32_e32 v1, 23, v3
	v_and_b32_e32 v8, 0x400000, v3
	v_and_or_b32 v3, v3, s0, v5
	v_cmp_ne_u32_e32 vcc, 0, v8
	v_cmp_ne_u32_e64 s[0:1], 0, v3
	s_and_b64 s[0:1], vcc, s[0:1]
	v_cndmask_b32_e64 v3, 0, 1, s[0:1]
	v_add_u32_e32 v1, v1, v3
; %bb.2123:
	s_or_b64 exec, exec, s[2:3]
.LBB316_2124:
	s_cbranch_execnz .LBB316_2134
.LBB316_2125:
	s_cmp_gt_i32 s4, 0
	s_cbranch_scc0 .LBB316_2129
; %bb.2126:
	global_load_sbyte v1, v[20:21], off
	s_movk_i32 s0, 0xff
	s_waitcnt vmcnt(0)
	v_cvt_f32_i32_e32 v3, v1
	v_mov_b32_e32 v1, 0xff
	v_bfe_u32 v5, v3, 23, 8
	v_cmp_ne_u32_e32 vcc, s0, v5
	s_and_saveexec_b64 s[2:3], vcc
; %bb.2127:
	s_mov_b32 s0, 0x3fffff
	v_lshrrev_b32_e32 v1, 23, v3
	v_and_b32_e32 v8, 0x400000, v3
	v_and_or_b32 v3, v3, s0, v5
	v_cmp_ne_u32_e32 vcc, 0, v8
	v_cmp_ne_u32_e64 s[0:1], 0, v3
	s_and_b64 s[0:1], vcc, s[0:1]
	v_cndmask_b32_e64 v3, 0, 1, s[0:1]
	v_add_u32_e32 v1, v1, v3
; %bb.2128:
	s_or_b64 exec, exec, s[2:3]
	s_mov_b64 s[0:1], 0
	s_branch .LBB316_2130
.LBB316_2129:
	s_mov_b64 s[0:1], -1
                                        ; implicit-def: $vgpr1
.LBB316_2130:
	s_andn2_b64 vcc, exec, s[0:1]
	s_cbranch_vccnz .LBB316_2134
; %bb.2131:
	global_load_ubyte v1, v[20:21], off
	s_movk_i32 s0, 0xff
	s_waitcnt vmcnt(0)
	v_cvt_f32_ubyte0_e32 v5, v1
	v_lshrrev_b32_e32 v3, 23, v5
	v_cmp_ne_u32_e32 vcc, s0, v3
	v_mov_b32_e32 v1, 0xff
	s_and_saveexec_b64 s[2:3], vcc
; %bb.2132:
	v_and_b32_e32 v1, 0x400000, v5
	s_mov_b32 s0, 0x3fffff
	v_cmp_ne_u32_e32 vcc, 0, v1
	v_and_or_b32 v1, v5, s0, v3
	v_cmp_ne_u32_e64 s[0:1], 0, v1
	s_and_b64 s[0:1], vcc, s[0:1]
	v_cndmask_b32_e64 v1, 0, 1, s[0:1]
	v_add_u32_e32 v1, v3, v1
; %bb.2133:
	s_or_b64 exec, exec, s[2:3]
.LBB316_2134:
.LBB316_2135:
	s_load_dwordx2 s[2:3], s[24:25], 0x198
	s_bfe_u32 s22, s23, 0x80010
	s_cmp_lt_i32 s22, 11
	s_waitcnt vmcnt(0) lgkmcnt(0)
	v_mov_b32_e32 v3, s3
	v_add_co_u32_e32 v18, vcc, s2, v19
	v_addc_co_u32_e32 v19, vcc, 0, v3, vcc
	s_cbranch_scc1 .LBB316_2144
; %bb.2136:
	s_and_b32 s26, 0xffff, s22
	s_cmp_gt_i32 s26, 25
	s_mov_b64 s[16:17], 0
	s_cbranch_scc0 .LBB316_2146
; %bb.2137:
	s_cmp_gt_i32 s26, 28
	s_cbranch_scc0 .LBB316_2147
; %bb.2138:
	s_cmp_gt_i32 s26, 43
	;; [unrolled: 3-line block ×3, first 2 shown]
	s_cbranch_scc0 .LBB316_2150
; %bb.2140:
	s_cmp_eq_u32 s26, 46
	s_mov_b64 s[18:19], 0
	s_cbranch_scc0 .LBB316_2153
; %bb.2141:
	global_load_dword v5, v[18:19], off
	s_movk_i32 s0, 0xff
	v_mov_b32_e32 v3, 0xff
	s_waitcnt vmcnt(0)
	v_lshlrev_b32_e32 v8, 16, v5
	v_bfe_u32 v10, v8, 23, 8
	v_cmp_ne_u32_e32 vcc, s0, v10
	s_and_saveexec_b64 s[4:5], vcc
; %bb.2142:
	v_bfe_u32 v3, v5, 7, 9
	v_and_b32_e32 v5, 64, v5
	s_mov_b32 s0, 0x3f0000
	v_cmp_ne_u32_e32 vcc, 0, v5
	v_and_or_b32 v5, v8, s0, v10
	v_cmp_ne_u32_e64 s[0:1], 0, v5
	s_and_b64 s[0:1], vcc, s[0:1]
	v_cndmask_b32_e64 v5, 0, 1, s[0:1]
	v_add_u32_e32 v3, v3, v5
; %bb.2143:
	s_or_b64 exec, exec, s[4:5]
	s_mov_b64 s[4:5], 0
	s_mov_b64 s[0:1], -1
	s_branch .LBB316_2154
.LBB316_2144:
	s_mov_b64 s[0:1], 0
                                        ; implicit-def: $vgpr3
	s_cbranch_execnz .LBB316_2237
.LBB316_2145:
	s_andn2_b64 vcc, exec, s[0:1]
	s_cbranch_vccnz .LBB316_3772
	s_branch .LBB316_2306
.LBB316_2146:
	s_mov_b64 s[0:1], 0
	s_mov_b64 s[4:5], 0
                                        ; implicit-def: $vgpr3
	s_cbranch_execnz .LBB316_2191
	s_branch .LBB316_2231
.LBB316_2147:
	s_mov_b64 s[18:19], -1
	s_mov_b64 s[0:1], 0
	s_mov_b64 s[4:5], 0
                                        ; implicit-def: $vgpr3
	s_branch .LBB316_2166
.LBB316_2148:
	s_mov_b64 s[18:19], -1
	s_mov_b64 s[0:1], 0
	s_mov_b64 s[4:5], 0
                                        ; implicit-def: $vgpr3
	s_branch .LBB316_2159
.LBB316_2149:
	s_or_b64 s[14:15], s[6:7], exec
	s_trap 2
	s_cbranch_execz .LBB316_2064
	s_branch .LBB316_2067
.LBB316_2150:
	s_mov_b64 s[18:19], -1
	s_mov_b64 s[0:1], 0
	s_mov_b64 s[4:5], 0
                                        ; implicit-def: $vgpr3
	s_branch .LBB316_2154
.LBB316_2151:
	s_andn2_saveexec_b64 s[16:17], s[16:17]
	s_cbranch_execz .LBB316_1846
.LBB316_2152:
	v_add_f32_e32 v0, 0x42800000, v3
	v_and_b32_e32 v0, 0xff, v0
	v_cmp_ne_u32_e32 vcc, 0, v0
	s_andn2_b64 s[14:15], s[14:15], exec
	s_and_b64 s[22:23], vcc, exec
	s_or_b64 s[14:15], s[14:15], s[22:23]
	s_or_b64 exec, exec, s[16:17]
	v_mov_b32_e32 v4, 0
	s_and_saveexec_b64 s[16:17], s[14:15]
	s_cbranch_execnz .LBB316_1847
	s_branch .LBB316_1848
.LBB316_2153:
	s_mov_b64 s[4:5], -1
                                        ; implicit-def: $vgpr3
	s_mov_b64 s[0:1], 0
.LBB316_2154:
	s_and_b64 vcc, exec, s[18:19]
	s_cbranch_vccz .LBB316_2158
; %bb.2155:
	s_cmp_eq_u32 s26, 44
	s_cbranch_scc0 .LBB316_2157
; %bb.2156:
	global_load_ubyte v3, v[18:19], off
	s_mov_b64 s[4:5], 0
	s_mov_b64 s[0:1], -1
	s_branch .LBB316_2158
.LBB316_2157:
	s_mov_b64 s[4:5], -1
                                        ; implicit-def: $vgpr3
.LBB316_2158:
	s_mov_b64 s[18:19], 0
.LBB316_2159:
	s_and_b64 vcc, exec, s[18:19]
	s_cbranch_vccz .LBB316_2165
; %bb.2160:
	s_cmp_eq_u32 s26, 29
	s_cbranch_scc0 .LBB316_2164
; %bb.2161:
	global_load_dwordx2 v[20:21], v[18:19], off
	s_movk_i32 s0, 0xff
	s_waitcnt vmcnt(0)
	v_ffbh_u32_e32 v3, v21
	v_min_u32_e32 v3, 32, v3
	v_lshlrev_b64 v[20:21], v3, v[20:21]
	v_sub_u32_e32 v3, 32, v3
	v_min_u32_e32 v5, 1, v20
	v_or_b32_e32 v5, v21, v5
	v_cvt_f32_u32_e32 v5, v5
	v_ldexp_f32 v8, v5, v3
	v_lshrrev_b32_e32 v5, 23, v8
	v_cmp_ne_u32_e32 vcc, s0, v5
	v_mov_b32_e32 v3, 0xff
	s_and_saveexec_b64 s[4:5], vcc
; %bb.2162:
	v_and_b32_e32 v3, 0x400000, v8
	s_mov_b32 s0, 0x3fffff
	v_cmp_ne_u32_e32 vcc, 0, v3
	v_and_or_b32 v3, v8, s0, v5
	v_cmp_ne_u32_e64 s[0:1], 0, v3
	s_and_b64 s[0:1], vcc, s[0:1]
	v_cndmask_b32_e64 v3, 0, 1, s[0:1]
	v_add_u32_e32 v3, v5, v3
; %bb.2163:
	s_or_b64 exec, exec, s[4:5]
	s_mov_b64 s[4:5], 0
	s_mov_b64 s[0:1], -1
	s_branch .LBB316_2165
.LBB316_2164:
	s_mov_b64 s[4:5], -1
                                        ; implicit-def: $vgpr3
.LBB316_2165:
	s_mov_b64 s[18:19], 0
.LBB316_2166:
	s_and_b64 vcc, exec, s[18:19]
	s_cbranch_vccz .LBB316_2190
; %bb.2167:
	s_cmp_lt_i32 s26, 27
	s_cbranch_scc1 .LBB316_2172
; %bb.2168:
	s_cmp_gt_i32 s26, 27
	s_cbranch_scc0 .LBB316_2173
; %bb.2169:
	global_load_dword v3, v[18:19], off
	s_movk_i32 s0, 0xff
	s_waitcnt vmcnt(0)
	v_cvt_f32_u32_e32 v8, v3
	v_mov_b32_e32 v3, 0xff
	v_lshrrev_b32_e32 v5, 23, v8
	v_cmp_ne_u32_e32 vcc, s0, v5
	s_and_saveexec_b64 s[18:19], vcc
; %bb.2170:
	v_and_b32_e32 v3, 0x400000, v8
	s_mov_b32 s0, 0x3fffff
	v_cmp_ne_u32_e32 vcc, 0, v3
	v_and_or_b32 v3, v8, s0, v5
	v_cmp_ne_u32_e64 s[0:1], 0, v3
	s_and_b64 s[0:1], vcc, s[0:1]
	v_cndmask_b32_e64 v3, 0, 1, s[0:1]
	v_add_u32_e32 v3, v5, v3
; %bb.2171:
	s_or_b64 exec, exec, s[18:19]
	s_mov_b64 s[0:1], 0
	s_branch .LBB316_2174
.LBB316_2172:
	s_mov_b64 s[0:1], -1
                                        ; implicit-def: $vgpr3
	s_branch .LBB316_2179
.LBB316_2173:
	s_mov_b64 s[0:1], -1
                                        ; implicit-def: $vgpr3
.LBB316_2174:
	s_andn2_b64 vcc, exec, s[0:1]
	s_cbranch_vccnz .LBB316_2178
; %bb.2175:
	global_load_ushort v3, v[18:19], off
	s_movk_i32 s0, 0xff
	s_waitcnt vmcnt(0)
	v_cvt_f32_u32_e32 v8, v3
	v_mov_b32_e32 v3, 0xff
	v_lshrrev_b32_e32 v5, 23, v8
	v_cmp_ne_u32_e32 vcc, s0, v5
	s_and_saveexec_b64 s[18:19], vcc
; %bb.2176:
	v_and_b32_e32 v3, 0x400000, v8
	s_mov_b32 s0, 0x3fffff
	v_cmp_ne_u32_e32 vcc, 0, v3
	v_and_or_b32 v3, v8, s0, v5
	v_cmp_ne_u32_e64 s[0:1], 0, v3
	s_and_b64 s[0:1], vcc, s[0:1]
	v_cndmask_b32_e64 v3, 0, 1, s[0:1]
	v_add_u32_e32 v3, v5, v3
; %bb.2177:
	s_or_b64 exec, exec, s[18:19]
.LBB316_2178:
	s_mov_b64 s[0:1], 0
.LBB316_2179:
	s_andn2_b64 vcc, exec, s[0:1]
	s_cbranch_vccnz .LBB316_2189
; %bb.2180:
	global_load_ubyte v3, v[18:19], off
	s_movk_i32 s0, 0x7f
	s_waitcnt vmcnt(0)
	v_cmp_lt_i16_e32 vcc, s0, v3
	s_mov_b64 s[0:1], 0
	s_and_saveexec_b64 s[18:19], vcc
	s_xor_b64 s[18:19], exec, s[18:19]
	s_cbranch_execz .LBB316_2204
; %bb.2181:
	s_movk_i32 s0, 0x80
	v_cmp_eq_u16_e32 vcc, s0, v3
	s_mov_b64 s[0:1], -1
	s_and_saveexec_b64 s[20:21], vcc
; %bb.2182:
	s_xor_b64 s[0:1], exec, -1
; %bb.2183:
	s_or_b64 exec, exec, s[20:21]
	s_and_b64 s[0:1], s[0:1], exec
	s_or_saveexec_b64 s[18:19], s[18:19]
	v_mov_b32_e32 v5, 0x7f800001
	s_xor_b64 exec, exec, s[18:19]
	s_cbranch_execnz .LBB316_2205
.LBB316_2184:
	s_or_b64 exec, exec, s[18:19]
	s_and_saveexec_b64 s[18:19], s[0:1]
	s_cbranch_execz .LBB316_2186
.LBB316_2185:
	v_and_b32_e32 v3, 0xffff, v3
	v_and_b32_e32 v5, 7, v3
	v_ffbh_u32_e32 v10, v5
	v_min_u32_e32 v10, 32, v10
	v_subrev_u32_e32 v12, 28, v10
	v_bfe_u32 v8, v3, 3, 4
	v_lshlrev_b32_e32 v3, v12, v3
	v_and_b32_e32 v3, 7, v3
	v_cmp_eq_u32_e32 vcc, 0, v8
	v_sub_u32_e32 v10, 29, v10
	v_cndmask_b32_e32 v3, v5, v3, vcc
	v_cndmask_b32_e32 v8, v8, v10, vcc
	v_lshlrev_b32_e32 v3, 20, v3
	v_lshl_or_b32 v3, v8, 23, v3
	v_add_u32_e32 v5, 0x3b800000, v3
.LBB316_2186:
	s_or_b64 exec, exec, s[18:19]
	v_lshrrev_b32_e32 v8, 23, v5
	s_movk_i32 s0, 0xff
	v_cmp_ne_u32_e32 vcc, s0, v8
	v_mov_b32_e32 v3, 0xff
	s_and_saveexec_b64 s[18:19], vcc
; %bb.2187:
	v_and_b32_e32 v3, 0x400000, v5
	s_mov_b32 s0, 0x3fffff
	v_cmp_ne_u32_e32 vcc, 0, v3
	v_and_or_b32 v3, v5, s0, v8
	v_cmp_ne_u32_e64 s[0:1], 0, v3
	s_and_b64 s[0:1], vcc, s[0:1]
	v_cndmask_b32_e64 v3, 0, 1, s[0:1]
	v_add_u32_e32 v3, v8, v3
; %bb.2188:
	s_or_b64 exec, exec, s[18:19]
.LBB316_2189:
	s_mov_b64 s[0:1], -1
.LBB316_2190:
	s_branch .LBB316_2231
.LBB316_2191:
	s_cmp_gt_i32 s26, 22
	s_cbranch_scc0 .LBB316_2203
; %bb.2192:
	s_cmp_lt_i32 s26, 24
	s_cbranch_scc1 .LBB316_2206
; %bb.2193:
	s_cmp_gt_i32 s26, 24
	s_cbranch_scc0 .LBB316_2207
; %bb.2194:
	global_load_ubyte v3, v[18:19], off
	s_movk_i32 s0, 0x7f
	s_waitcnt vmcnt(0)
	v_cmp_lt_i16_e32 vcc, s0, v3
	s_mov_b64 s[0:1], 0
	s_and_saveexec_b64 s[16:17], vcc
	s_xor_b64 s[16:17], exec, s[16:17]
	s_cbranch_execz .LBB316_2225
; %bb.2195:
	s_movk_i32 s0, 0x80
	v_cmp_eq_u16_e32 vcc, s0, v3
	s_mov_b64 s[0:1], -1
	s_and_saveexec_b64 s[18:19], vcc
; %bb.2196:
	s_xor_b64 s[0:1], exec, -1
; %bb.2197:
	s_or_b64 exec, exec, s[18:19]
	s_and_b64 s[0:1], s[0:1], exec
	s_or_saveexec_b64 s[16:17], s[16:17]
	v_mov_b32_e32 v5, 0x7f800001
	s_xor_b64 exec, exec, s[16:17]
	s_cbranch_execnz .LBB316_2226
.LBB316_2198:
	s_or_b64 exec, exec, s[16:17]
	s_and_saveexec_b64 s[16:17], s[0:1]
	s_cbranch_execz .LBB316_2200
.LBB316_2199:
	v_and_b32_e32 v3, 0xffff, v3
	v_and_b32_e32 v5, 3, v3
	v_ffbh_u32_e32 v10, v5
	v_min_u32_e32 v10, 32, v10
	v_subrev_u32_e32 v12, 29, v10
	v_bfe_u32 v8, v3, 2, 5
	v_lshlrev_b32_e32 v3, v12, v3
	v_and_b32_e32 v3, 3, v3
	v_cmp_eq_u32_e32 vcc, 0, v8
	v_sub_u32_e32 v10, 30, v10
	v_cndmask_b32_e32 v3, v5, v3, vcc
	v_cndmask_b32_e32 v8, v8, v10, vcc
	v_lshlrev_b32_e32 v3, 21, v3
	v_lshl_or_b32 v3, v8, 23, v3
	v_add_u32_e32 v5, 0x37800000, v3
.LBB316_2200:
	s_or_b64 exec, exec, s[16:17]
	v_lshrrev_b32_e32 v8, 23, v5
	s_movk_i32 s0, 0xff
	v_cmp_ne_u32_e32 vcc, s0, v8
	v_mov_b32_e32 v3, 0xff
	s_and_saveexec_b64 s[16:17], vcc
; %bb.2201:
	v_and_b32_e32 v3, 0x400000, v5
	s_mov_b32 s0, 0x3fffff
	v_cmp_ne_u32_e32 vcc, 0, v3
	v_and_or_b32 v3, v5, s0, v8
	v_cmp_ne_u32_e64 s[0:1], 0, v3
	s_and_b64 s[0:1], vcc, s[0:1]
	v_cndmask_b32_e64 v3, 0, 1, s[0:1]
	v_add_u32_e32 v3, v8, v3
; %bb.2202:
	s_or_b64 exec, exec, s[16:17]
	s_mov_b64 s[0:1], 0
	s_branch .LBB316_2208
.LBB316_2203:
	s_mov_b64 s[16:17], -1
                                        ; implicit-def: $vgpr3
	s_branch .LBB316_2218
.LBB316_2204:
	s_or_saveexec_b64 s[18:19], s[18:19]
	v_mov_b32_e32 v5, 0x7f800001
	s_xor_b64 exec, exec, s[18:19]
	s_cbranch_execz .LBB316_2184
.LBB316_2205:
	v_cmp_ne_u16_e32 vcc, 0, v3
	s_andn2_b64 s[0:1], s[0:1], exec
	s_and_b64 s[20:21], vcc, exec
	v_and_b32_e32 v5, 0xffff, v3
	s_or_b64 s[0:1], s[0:1], s[20:21]
	s_or_b64 exec, exec, s[18:19]
	s_and_saveexec_b64 s[18:19], s[0:1]
	s_cbranch_execnz .LBB316_2185
	s_branch .LBB316_2186
.LBB316_2206:
	s_mov_b64 s[0:1], -1
                                        ; implicit-def: $vgpr3
	s_branch .LBB316_2213
.LBB316_2207:
	s_mov_b64 s[0:1], -1
                                        ; implicit-def: $vgpr3
.LBB316_2208:
	s_and_b64 vcc, exec, s[0:1]
	s_cbranch_vccz .LBB316_2212
; %bb.2209:
	global_load_ubyte v3, v[18:19], off
	s_mov_b32 s0, 0x7f800000
	s_movk_i32 s1, 0xff
	s_waitcnt vmcnt(0)
	v_lshlrev_b32_e32 v3, 24, v3
	v_and_b32_e32 v3, 0x7f000000, v3
	v_ffbh_u32_e32 v5, v3
	v_min_u32_e32 v5, 32, v5
	v_sub_u32_e64 v5, v5, 4 clamp
	v_lshlrev_b32_e32 v10, v5, v3
	v_lshlrev_b32_e32 v5, 23, v5
	v_lshrrev_b32_e32 v10, 4, v10
	v_add_u32_e32 v8, 0x1000000, v3
	v_sub_u32_e32 v5, v10, v5
	v_ashrrev_i32_e32 v8, 8, v8
	v_add_u32_e32 v5, 0x3c000000, v5
	v_and_or_b32 v5, v8, s0, v5
	v_cmp_ne_u32_e32 vcc, 0, v3
	v_cndmask_b32_e32 v8, 0, v5, vcc
	v_lshrrev_b32_e32 v5, 23, v8
	v_cmp_ne_u32_e32 vcc, s1, v5
	v_mov_b32_e32 v3, 0xff
	s_and_saveexec_b64 s[16:17], vcc
; %bb.2210:
	v_and_b32_e32 v3, 0x400000, v8
	s_mov_b32 s0, 0x3fffff
	v_cmp_ne_u32_e32 vcc, 0, v3
	v_and_or_b32 v3, v8, s0, v5
	v_cmp_ne_u32_e64 s[0:1], 0, v3
	s_and_b64 s[0:1], vcc, s[0:1]
	v_cndmask_b32_e64 v3, 0, 1, s[0:1]
	v_add_u32_e32 v3, v5, v3
; %bb.2211:
	s_or_b64 exec, exec, s[16:17]
.LBB316_2212:
	s_mov_b64 s[0:1], 0
.LBB316_2213:
	s_andn2_b64 vcc, exec, s[0:1]
	s_cbranch_vccnz .LBB316_2217
; %bb.2214:
	global_load_ubyte v3, v[18:19], off
	s_movk_i32 s0, 0x7f00
	s_brev_b32 s1, 16
	s_movk_i32 s16, 0xff
	s_waitcnt vmcnt(0)
	v_lshlrev_b32_e32 v5, 8, v3
	v_lshlrev_b32_e32 v3, 25, v3
	v_lshrrev_b32_e32 v8, 4, v3
	v_and_or_b32 v5, v5, s0, 0.5
	v_or_b32_e32 v8, 0x70000000, v8
	v_add_f32_e32 v5, -0.5, v5
	v_mul_f32_e32 v8, 0x7800000, v8
	v_cmp_gt_u32_e32 vcc, s1, v3
	v_cndmask_b32_e32 v5, v8, v5, vcc
	v_bfe_u32 v8, v5, 23, 8
	v_cmp_ne_u32_e32 vcc, s16, v8
	v_mov_b32_e32 v3, 0xff
	s_and_saveexec_b64 s[16:17], vcc
; %bb.2215:
	s_mov_b32 s0, 0x3fffff
	v_lshrrev_b32_e32 v3, 23, v5
	v_and_b32_e32 v10, 0x400000, v5
	v_and_or_b32 v5, v5, s0, v8
	v_cmp_ne_u32_e32 vcc, 0, v10
	v_cmp_ne_u32_e64 s[0:1], 0, v5
	s_and_b64 s[0:1], vcc, s[0:1]
	v_cndmask_b32_e64 v5, 0, 1, s[0:1]
	v_add_u32_e32 v3, v3, v5
; %bb.2216:
	s_or_b64 exec, exec, s[16:17]
.LBB316_2217:
	s_mov_b64 s[16:17], 0
	s_mov_b64 s[0:1], -1
.LBB316_2218:
	s_andn2_b64 vcc, exec, s[16:17]
	s_mov_b64 s[16:17], 0
	s_cbranch_vccnz .LBB316_2231
; %bb.2219:
	s_cmp_gt_i32 s26, 14
	s_cbranch_scc0 .LBB316_2224
; %bb.2220:
	s_cmp_eq_u32 s26, 15
	s_cbranch_scc0 .LBB316_2227
; %bb.2221:
	global_load_ushort v5, v[18:19], off
	s_movk_i32 s0, 0xff
	s_waitcnt vmcnt(1)
	v_mov_b32_e32 v3, 0xff
	s_waitcnt vmcnt(0)
	v_bfe_u32 v8, v5, 7, 8
	v_cmp_ne_u32_e32 vcc, s0, v8
	s_and_saveexec_b64 s[4:5], vcc
	s_cbranch_execz .LBB316_2223
; %bb.2222:
	v_lshrrev_b32_e32 v3, 7, v5
	v_lshlrev_b32_e32 v10, 16, v5
	v_and_b32_e32 v5, 64, v5
	s_mov_b32 s0, 0x3f0000
	v_cmp_ne_u32_e32 vcc, 0, v5
	v_and_or_b32 v5, v10, s0, v8
	v_cmp_ne_u32_e64 s[0:1], 0, v5
	s_and_b64 s[0:1], vcc, s[0:1]
	v_cndmask_b32_e64 v5, 0, 1, s[0:1]
	v_add_u32_e32 v3, v3, v5
.LBB316_2223:
	s_or_b64 exec, exec, s[4:5]
	s_mov_b64 s[4:5], 0
	s_mov_b64 s[0:1], -1
	s_branch .LBB316_2228
.LBB316_2224:
	s_mov_b64 s[18:19], -1
                                        ; implicit-def: $vgpr3
	s_branch .LBB316_2229
.LBB316_2225:
	s_or_saveexec_b64 s[16:17], s[16:17]
	v_mov_b32_e32 v5, 0x7f800001
	s_xor_b64 exec, exec, s[16:17]
	s_cbranch_execz .LBB316_2198
.LBB316_2226:
	v_cmp_ne_u16_e32 vcc, 0, v3
	s_andn2_b64 s[0:1], s[0:1], exec
	s_and_b64 s[18:19], vcc, exec
	v_and_b32_e32 v5, 0xffff, v3
	s_or_b64 s[0:1], s[0:1], s[18:19]
	s_or_b64 exec, exec, s[16:17]
	s_and_saveexec_b64 s[16:17], s[0:1]
	s_cbranch_execnz .LBB316_2199
	s_branch .LBB316_2200
.LBB316_2227:
	s_mov_b64 s[4:5], -1
                                        ; implicit-def: $vgpr3
.LBB316_2228:
	s_mov_b64 s[18:19], 0
.LBB316_2229:
	s_and_b64 vcc, exec, s[18:19]
	s_cbranch_vccz .LBB316_2231
; %bb.2230:
	s_cmp_lg_u32 s26, 11
	s_mov_b64 s[16:17], -1
	s_cselect_b64 s[4:5], -1, 0
.LBB316_2231:
	s_and_b64 vcc, exec, s[4:5]
	s_cbranch_vccnz .LBB316_2320
; %bb.2232:
	s_andn2_b64 vcc, exec, s[16:17]
	s_cbranch_vccnz .LBB316_2236
.LBB316_2233:
	global_load_ubyte v3, v[18:19], off
	s_movk_i32 s0, 0xff
	s_waitcnt vmcnt(0)
	v_cmp_ne_u16_e32 vcc, 0, v3
	v_cndmask_b32_e64 v8, 0, 1.0, vcc
	v_lshrrev_b32_e32 v5, 23, v8
	v_cmp_ne_u32_e32 vcc, s0, v5
	v_mov_b32_e32 v3, 0xff
	s_and_saveexec_b64 s[4:5], vcc
; %bb.2234:
	v_and_b32_e32 v3, 0x400000, v8
	s_mov_b32 s0, 0x3fffff
	v_cmp_ne_u32_e32 vcc, 0, v3
	v_and_or_b32 v3, v8, s0, v5
	v_cmp_ne_u32_e64 s[0:1], 0, v3
	s_and_b64 s[0:1], vcc, s[0:1]
	v_cndmask_b32_e64 v3, 0, 1, s[0:1]
	v_add_u32_e32 v3, v5, v3
; %bb.2235:
	s_or_b64 exec, exec, s[4:5]
	s_mov_b64 s[0:1], -1
.LBB316_2236:
	s_branch .LBB316_2145
.LBB316_2237:
	s_and_b32 s16, 0xffff, s22
	s_cmp_lt_i32 s16, 5
	s_cbranch_scc1 .LBB316_2244
; %bb.2238:
	s_cmp_lt_i32 s16, 8
	s_cbranch_scc1 .LBB316_2245
; %bb.2239:
	;; [unrolled: 3-line block ×3, first 2 shown]
	s_cmp_gt_i32 s16, 9
	s_cbranch_scc0 .LBB316_2247
; %bb.2241:
	global_load_dwordx2 v[20:21], v[18:19], off
	s_movk_i32 s0, 0xff
	s_waitcnt vmcnt(1)
	v_mov_b32_e32 v3, 0xff
	s_waitcnt vmcnt(0)
	v_cvt_f32_f64_e32 v5, v[20:21]
	v_bfe_u32 v8, v5, 23, 8
	v_cmp_ne_u32_e32 vcc, s0, v8
	s_and_saveexec_b64 s[4:5], vcc
; %bb.2242:
	s_mov_b32 s0, 0x3fffff
	v_lshrrev_b32_e32 v3, 23, v5
	v_and_b32_e32 v10, 0x400000, v5
	v_and_or_b32 v5, v5, s0, v8
	v_cmp_ne_u32_e32 vcc, 0, v10
	v_cmp_ne_u32_e64 s[0:1], 0, v5
	s_and_b64 s[0:1], vcc, s[0:1]
	v_cndmask_b32_e64 v5, 0, 1, s[0:1]
	v_add_u32_e32 v3, v3, v5
; %bb.2243:
	s_or_b64 exec, exec, s[4:5]
	s_mov_b64 s[0:1], 0
	s_branch .LBB316_2248
.LBB316_2244:
                                        ; implicit-def: $vgpr3
	s_branch .LBB316_2276
.LBB316_2245:
	s_mov_b64 s[0:1], -1
                                        ; implicit-def: $vgpr3
	s_branch .LBB316_2258
.LBB316_2246:
	s_mov_b64 s[0:1], -1
                                        ; implicit-def: $vgpr3
	s_branch .LBB316_2253
.LBB316_2247:
	s_mov_b64 s[0:1], -1
                                        ; implicit-def: $vgpr3
.LBB316_2248:
	s_andn2_b64 vcc, exec, s[0:1]
	s_cbranch_vccnz .LBB316_2252
; %bb.2249:
	global_load_dword v5, v[18:19], off
	s_movk_i32 s0, 0xff
	s_waitcnt vmcnt(1)
	v_mov_b32_e32 v3, 0xff
	s_waitcnt vmcnt(0)
	v_bfe_u32 v8, v5, 23, 8
	v_cmp_ne_u32_e32 vcc, s0, v8
	s_and_saveexec_b64 s[4:5], vcc
; %bb.2250:
	s_mov_b32 s0, 0x3fffff
	v_lshrrev_b32_e32 v3, 23, v5
	v_and_b32_e32 v10, 0x400000, v5
	v_and_or_b32 v5, v5, s0, v8
	v_cmp_ne_u32_e32 vcc, 0, v10
	v_cmp_ne_u32_e64 s[0:1], 0, v5
	s_and_b64 s[0:1], vcc, s[0:1]
	v_cndmask_b32_e64 v5, 0, 1, s[0:1]
	v_add_u32_e32 v3, v3, v5
; %bb.2251:
	s_or_b64 exec, exec, s[4:5]
.LBB316_2252:
	s_mov_b64 s[0:1], 0
.LBB316_2253:
	s_andn2_b64 vcc, exec, s[0:1]
	s_cbranch_vccnz .LBB316_2257
; %bb.2254:
	global_load_dword v3, v[18:19], off
	s_movk_i32 s0, 0xff
	s_waitcnt vmcnt(0)
	v_cvt_f32_f16_e32 v5, v3
	v_mov_b32_e32 v3, 0xff
	v_bfe_u32 v8, v5, 23, 8
	v_cmp_ne_u32_e32 vcc, s0, v8
	s_and_saveexec_b64 s[4:5], vcc
; %bb.2255:
	s_mov_b32 s0, 0x3fffff
	v_lshrrev_b32_e32 v3, 23, v5
	v_and_b32_e32 v10, 0x400000, v5
	v_and_or_b32 v5, v5, s0, v8
	v_cmp_ne_u32_e32 vcc, 0, v10
	v_cmp_ne_u32_e64 s[0:1], 0, v5
	s_and_b64 s[0:1], vcc, s[0:1]
	v_cndmask_b32_e64 v5, 0, 1, s[0:1]
	v_add_u32_e32 v3, v3, v5
; %bb.2256:
	s_or_b64 exec, exec, s[4:5]
.LBB316_2257:
	s_mov_b64 s[0:1], 0
.LBB316_2258:
	s_andn2_b64 vcc, exec, s[0:1]
	s_cbranch_vccnz .LBB316_2275
; %bb.2259:
	s_cmp_lt_i32 s16, 6
	s_cbranch_scc1 .LBB316_2264
; %bb.2260:
	s_cmp_gt_i32 s16, 6
	s_cbranch_scc0 .LBB316_2265
; %bb.2261:
	global_load_dwordx2 v[20:21], v[18:19], off
	s_movk_i32 s0, 0xff
	s_waitcnt vmcnt(1)
	v_mov_b32_e32 v3, 0xff
	s_waitcnt vmcnt(0)
	v_cvt_f32_f64_e32 v5, v[20:21]
	v_bfe_u32 v8, v5, 23, 8
	v_cmp_ne_u32_e32 vcc, s0, v8
	s_and_saveexec_b64 s[4:5], vcc
; %bb.2262:
	s_mov_b32 s0, 0x3fffff
	v_lshrrev_b32_e32 v3, 23, v5
	v_and_b32_e32 v10, 0x400000, v5
	v_and_or_b32 v5, v5, s0, v8
	v_cmp_ne_u32_e32 vcc, 0, v10
	v_cmp_ne_u32_e64 s[0:1], 0, v5
	s_and_b64 s[0:1], vcc, s[0:1]
	v_cndmask_b32_e64 v5, 0, 1, s[0:1]
	v_add_u32_e32 v3, v3, v5
; %bb.2263:
	s_or_b64 exec, exec, s[4:5]
	s_mov_b64 s[0:1], 0
	s_branch .LBB316_2266
.LBB316_2264:
	s_mov_b64 s[0:1], -1
                                        ; implicit-def: $vgpr3
	s_branch .LBB316_2271
.LBB316_2265:
	s_mov_b64 s[0:1], -1
                                        ; implicit-def: $vgpr3
.LBB316_2266:
	s_andn2_b64 vcc, exec, s[0:1]
	s_cbranch_vccnz .LBB316_2270
; %bb.2267:
	global_load_dword v5, v[18:19], off
	s_movk_i32 s0, 0xff
	s_waitcnt vmcnt(1)
	v_mov_b32_e32 v3, 0xff
	s_waitcnt vmcnt(0)
	v_bfe_u32 v8, v5, 23, 8
	v_cmp_ne_u32_e32 vcc, s0, v8
	s_and_saveexec_b64 s[4:5], vcc
; %bb.2268:
	s_mov_b32 s0, 0x3fffff
	v_lshrrev_b32_e32 v3, 23, v5
	v_and_b32_e32 v10, 0x400000, v5
	v_and_or_b32 v5, v5, s0, v8
	v_cmp_ne_u32_e32 vcc, 0, v10
	v_cmp_ne_u32_e64 s[0:1], 0, v5
	s_and_b64 s[0:1], vcc, s[0:1]
	v_cndmask_b32_e64 v5, 0, 1, s[0:1]
	v_add_u32_e32 v3, v3, v5
; %bb.2269:
	s_or_b64 exec, exec, s[4:5]
.LBB316_2270:
	s_mov_b64 s[0:1], 0
.LBB316_2271:
	s_andn2_b64 vcc, exec, s[0:1]
	s_cbranch_vccnz .LBB316_2275
; %bb.2272:
	global_load_ushort v3, v[18:19], off
	s_movk_i32 s0, 0xff
	s_waitcnt vmcnt(0)
	v_cvt_f32_f16_e32 v5, v3
	v_mov_b32_e32 v3, 0xff
	v_bfe_u32 v8, v5, 23, 8
	v_cmp_ne_u32_e32 vcc, s0, v8
	s_and_saveexec_b64 s[4:5], vcc
; %bb.2273:
	s_mov_b32 s0, 0x3fffff
	v_lshrrev_b32_e32 v3, 23, v5
	v_and_b32_e32 v10, 0x400000, v5
	v_and_or_b32 v5, v5, s0, v8
	v_cmp_ne_u32_e32 vcc, 0, v10
	v_cmp_ne_u32_e64 s[0:1], 0, v5
	s_and_b64 s[0:1], vcc, s[0:1]
	v_cndmask_b32_e64 v5, 0, 1, s[0:1]
	v_add_u32_e32 v3, v3, v5
; %bb.2274:
	s_or_b64 exec, exec, s[4:5]
.LBB316_2275:
	s_cbranch_execnz .LBB316_2305
.LBB316_2276:
	s_cmp_lt_i32 s16, 2
	s_cbranch_scc1 .LBB316_2282
; %bb.2277:
	s_cmp_lt_i32 s16, 3
	s_cbranch_scc1 .LBB316_2283
; %bb.2278:
	s_cmp_gt_i32 s16, 3
	s_cbranch_scc0 .LBB316_2284
; %bb.2279:
	global_load_dwordx2 v[20:21], v[18:19], off
	s_movk_i32 s0, 0xff
	s_waitcnt vmcnt(0)
	v_xor_b32_e32 v5, v20, v21
	v_ffbh_i32_e32 v3, v21
	v_ashrrev_i32_e32 v5, 31, v5
	v_add_u32_e32 v3, -1, v3
	v_add_u32_e32 v5, 32, v5
	v_min_u32_e32 v3, v3, v5
	v_lshlrev_b64 v[20:21], v3, v[20:21]
	v_sub_u32_e32 v3, 32, v3
	v_min_u32_e32 v5, 1, v20
	v_or_b32_e32 v5, v21, v5
	v_cvt_f32_i32_e32 v5, v5
	v_ldexp_f32 v5, v5, v3
	v_bfe_u32 v8, v5, 23, 8
	v_cmp_ne_u32_e32 vcc, s0, v8
	v_mov_b32_e32 v3, 0xff
	s_and_saveexec_b64 s[4:5], vcc
; %bb.2280:
	s_mov_b32 s0, 0x3fffff
	v_lshrrev_b32_e32 v3, 23, v5
	v_and_b32_e32 v10, 0x400000, v5
	v_and_or_b32 v5, v5, s0, v8
	v_cmp_ne_u32_e32 vcc, 0, v10
	v_cmp_ne_u32_e64 s[0:1], 0, v5
	s_and_b64 s[0:1], vcc, s[0:1]
	v_cndmask_b32_e64 v5, 0, 1, s[0:1]
	v_add_u32_e32 v3, v3, v5
; %bb.2281:
	s_or_b64 exec, exec, s[4:5]
	s_mov_b64 s[0:1], 0
	s_branch .LBB316_2285
.LBB316_2282:
	s_mov_b64 s[0:1], -1
                                        ; implicit-def: $vgpr3
	s_branch .LBB316_2295
.LBB316_2283:
	s_mov_b64 s[0:1], -1
                                        ; implicit-def: $vgpr3
	s_branch .LBB316_2290
.LBB316_2284:
	s_mov_b64 s[0:1], -1
                                        ; implicit-def: $vgpr3
.LBB316_2285:
	s_andn2_b64 vcc, exec, s[0:1]
	s_cbranch_vccnz .LBB316_2289
; %bb.2286:
	global_load_dword v3, v[18:19], off
	s_movk_i32 s0, 0xff
	s_waitcnt vmcnt(0)
	v_cvt_f32_i32_e32 v5, v3
	v_mov_b32_e32 v3, 0xff
	v_bfe_u32 v8, v5, 23, 8
	v_cmp_ne_u32_e32 vcc, s0, v8
	s_and_saveexec_b64 s[4:5], vcc
; %bb.2287:
	s_mov_b32 s0, 0x3fffff
	v_lshrrev_b32_e32 v3, 23, v5
	v_and_b32_e32 v10, 0x400000, v5
	v_and_or_b32 v5, v5, s0, v8
	v_cmp_ne_u32_e32 vcc, 0, v10
	v_cmp_ne_u32_e64 s[0:1], 0, v5
	s_and_b64 s[0:1], vcc, s[0:1]
	v_cndmask_b32_e64 v5, 0, 1, s[0:1]
	v_add_u32_e32 v3, v3, v5
; %bb.2288:
	s_or_b64 exec, exec, s[4:5]
.LBB316_2289:
	s_mov_b64 s[0:1], 0
.LBB316_2290:
	s_andn2_b64 vcc, exec, s[0:1]
	s_cbranch_vccnz .LBB316_2294
; %bb.2291:
	global_load_sshort v3, v[18:19], off
	s_movk_i32 s0, 0xff
	s_waitcnt vmcnt(0)
	v_cvt_f32_i32_e32 v5, v3
	v_mov_b32_e32 v3, 0xff
	v_bfe_u32 v8, v5, 23, 8
	v_cmp_ne_u32_e32 vcc, s0, v8
	s_and_saveexec_b64 s[4:5], vcc
; %bb.2292:
	s_mov_b32 s0, 0x3fffff
	v_lshrrev_b32_e32 v3, 23, v5
	v_and_b32_e32 v10, 0x400000, v5
	v_and_or_b32 v5, v5, s0, v8
	v_cmp_ne_u32_e32 vcc, 0, v10
	v_cmp_ne_u32_e64 s[0:1], 0, v5
	s_and_b64 s[0:1], vcc, s[0:1]
	v_cndmask_b32_e64 v5, 0, 1, s[0:1]
	v_add_u32_e32 v3, v3, v5
; %bb.2293:
	s_or_b64 exec, exec, s[4:5]
.LBB316_2294:
	s_mov_b64 s[0:1], 0
.LBB316_2295:
	s_andn2_b64 vcc, exec, s[0:1]
	s_cbranch_vccnz .LBB316_2305
; %bb.2296:
	s_cmp_gt_i32 s16, 0
	s_cbranch_scc0 .LBB316_2300
; %bb.2297:
	global_load_sbyte v3, v[18:19], off
	s_movk_i32 s0, 0xff
	s_waitcnt vmcnt(0)
	v_cvt_f32_i32_e32 v5, v3
	v_mov_b32_e32 v3, 0xff
	v_bfe_u32 v8, v5, 23, 8
	v_cmp_ne_u32_e32 vcc, s0, v8
	s_and_saveexec_b64 s[4:5], vcc
; %bb.2298:
	s_mov_b32 s0, 0x3fffff
	v_lshrrev_b32_e32 v3, 23, v5
	v_and_b32_e32 v10, 0x400000, v5
	v_and_or_b32 v5, v5, s0, v8
	v_cmp_ne_u32_e32 vcc, 0, v10
	v_cmp_ne_u32_e64 s[0:1], 0, v5
	s_and_b64 s[0:1], vcc, s[0:1]
	v_cndmask_b32_e64 v5, 0, 1, s[0:1]
	v_add_u32_e32 v3, v3, v5
; %bb.2299:
	s_or_b64 exec, exec, s[4:5]
	s_mov_b64 s[0:1], 0
	s_branch .LBB316_2301
.LBB316_2300:
	s_mov_b64 s[0:1], -1
                                        ; implicit-def: $vgpr3
.LBB316_2301:
	s_andn2_b64 vcc, exec, s[0:1]
	s_cbranch_vccnz .LBB316_2305
; %bb.2302:
	global_load_ubyte v3, v[18:19], off
	s_movk_i32 s0, 0xff
	s_waitcnt vmcnt(0)
	v_cvt_f32_ubyte0_e32 v8, v3
	v_lshrrev_b32_e32 v5, 23, v8
	v_cmp_ne_u32_e32 vcc, s0, v5
	v_mov_b32_e32 v3, 0xff
	s_and_saveexec_b64 s[4:5], vcc
; %bb.2303:
	v_and_b32_e32 v3, 0x400000, v8
	s_mov_b32 s0, 0x3fffff
	v_cmp_ne_u32_e32 vcc, 0, v3
	v_and_or_b32 v3, v8, s0, v5
	v_cmp_ne_u32_e64 s[0:1], 0, v3
	s_and_b64 s[0:1], vcc, s[0:1]
	v_cndmask_b32_e64 v3, 0, 1, s[0:1]
	v_add_u32_e32 v3, v5, v3
; %bb.2304:
	s_or_b64 exec, exec, s[4:5]
.LBB316_2305:
.LBB316_2306:
	s_lshr_b32 s0, s23, 8
	v_mov_b32_e32 v5, s11
	s_and_b32 s22, s0, 0xff
	v_add_co_u32_e32 v16, vcc, s10, v17
	s_cmp_lt_i32 s22, 11
	v_addc_co_u32_e32 v17, vcc, 0, v5, vcc
	s_cbranch_scc1 .LBB316_2315
; %bb.2307:
	s_and_b32 s26, 0xffff, s22
	s_cmp_gt_i32 s26, 25
	s_mov_b64 s[16:17], 0
	s_cbranch_scc0 .LBB316_2317
; %bb.2308:
	s_cmp_gt_i32 s26, 28
	s_cbranch_scc0 .LBB316_2318
; %bb.2309:
	s_cmp_gt_i32 s26, 43
	s_cbranch_scc0 .LBB316_2319
; %bb.2310:
	s_cmp_gt_i32 s26, 45
	s_cbranch_scc0 .LBB316_2321
; %bb.2311:
	s_cmp_eq_u32 s26, 46
	s_mov_b64 s[18:19], 0
	s_cbranch_scc0 .LBB316_2322
; %bb.2312:
	global_load_dword v5, v[16:17], off
	s_movk_i32 s0, 0xff
	v_mov_b32_e32 v18, 0xff
	s_waitcnt vmcnt(0)
	v_lshlrev_b32_e32 v8, 16, v5
	v_bfe_u32 v10, v8, 23, 8
	v_cmp_ne_u32_e32 vcc, s0, v10
	s_and_saveexec_b64 s[4:5], vcc
; %bb.2313:
	v_bfe_u32 v12, v5, 7, 9
	v_and_b32_e32 v5, 64, v5
	s_mov_b32 s0, 0x3f0000
	v_cmp_ne_u32_e32 vcc, 0, v5
	v_and_or_b32 v5, v8, s0, v10
	v_cmp_ne_u32_e64 s[0:1], 0, v5
	s_and_b64 s[0:1], vcc, s[0:1]
	v_cndmask_b32_e64 v5, 0, 1, s[0:1]
	v_add_u32_e32 v18, v12, v5
; %bb.2314:
	s_or_b64 exec, exec, s[4:5]
	s_mov_b64 s[4:5], 0
	s_mov_b64 s[0:1], -1
	s_branch .LBB316_2323
.LBB316_2315:
	s_mov_b64 s[0:1], 0
                                        ; implicit-def: $vgpr18
	s_cbranch_execnz .LBB316_2407
.LBB316_2316:
	s_andn2_b64 vcc, exec, s[0:1]
	s_cbranch_vccnz .LBB316_3772
	s_branch .LBB316_2477
.LBB316_2317:
	s_mov_b64 s[18:19], -1
	s_mov_b64 s[0:1], 0
	s_mov_b64 s[4:5], 0
                                        ; implicit-def: $vgpr18
	s_branch .LBB316_2360
.LBB316_2318:
	s_mov_b64 s[18:19], -1
	s_mov_b64 s[0:1], 0
	s_mov_b64 s[4:5], 0
                                        ; implicit-def: $vgpr18
	s_branch .LBB316_2335
.LBB316_2319:
	s_mov_b64 s[18:19], -1
	s_mov_b64 s[0:1], 0
	s_mov_b64 s[4:5], 0
                                        ; implicit-def: $vgpr18
	s_branch .LBB316_2328
.LBB316_2320:
	s_trap 2
	s_or_b64 s[14:15], s[14:15], exec
	s_cbranch_execz .LBB316_2233
	s_branch .LBB316_2236
.LBB316_2321:
	s_mov_b64 s[18:19], -1
	s_mov_b64 s[0:1], 0
	s_mov_b64 s[4:5], 0
                                        ; implicit-def: $vgpr18
	s_branch .LBB316_2323
.LBB316_2322:
	s_mov_b64 s[4:5], -1
                                        ; implicit-def: $vgpr18
	s_mov_b64 s[0:1], 0
.LBB316_2323:
	s_and_b64 vcc, exec, s[18:19]
	s_cbranch_vccz .LBB316_2327
; %bb.2324:
	s_cmp_eq_u32 s26, 44
	s_cbranch_scc0 .LBB316_2326
; %bb.2325:
	global_load_ubyte v18, v[16:17], off
	s_mov_b64 s[4:5], 0
	s_mov_b64 s[0:1], -1
	s_branch .LBB316_2327
.LBB316_2326:
	s_mov_b64 s[4:5], -1
                                        ; implicit-def: $vgpr18
.LBB316_2327:
	s_mov_b64 s[18:19], 0
.LBB316_2328:
	s_and_b64 vcc, exec, s[18:19]
	s_cbranch_vccz .LBB316_2334
; %bb.2329:
	s_cmp_eq_u32 s26, 29
	s_cbranch_scc0 .LBB316_2333
; %bb.2330:
	global_load_dwordx2 v[18:19], v[16:17], off
	s_movk_i32 s0, 0xff
	s_waitcnt vmcnt(0)
	v_ffbh_u32_e32 v5, v19
	v_min_u32_e32 v5, 32, v5
	v_lshlrev_b64 v[18:19], v5, v[18:19]
	v_sub_u32_e32 v5, 32, v5
	v_min_u32_e32 v8, 1, v18
	v_or_b32_e32 v8, v19, v8
	v_cvt_f32_u32_e32 v8, v8
	v_mov_b32_e32 v18, 0xff
	v_ldexp_f32 v8, v8, v5
	v_lshrrev_b32_e32 v5, 23, v8
	v_cmp_ne_u32_e32 vcc, s0, v5
	s_and_saveexec_b64 s[4:5], vcc
; %bb.2331:
	s_mov_b32 s0, 0x3fffff
	v_and_b32_e32 v10, 0x400000, v8
	v_and_or_b32 v8, v8, s0, v5
	v_cmp_ne_u32_e32 vcc, 0, v10
	v_cmp_ne_u32_e64 s[0:1], 0, v8
	s_and_b64 s[0:1], vcc, s[0:1]
	v_cndmask_b32_e64 v8, 0, 1, s[0:1]
	v_add_u32_e32 v18, v5, v8
; %bb.2332:
	s_or_b64 exec, exec, s[4:5]
	s_mov_b64 s[4:5], 0
	s_mov_b64 s[0:1], -1
	s_branch .LBB316_2334
.LBB316_2333:
	s_mov_b64 s[4:5], -1
                                        ; implicit-def: $vgpr18
.LBB316_2334:
	s_mov_b64 s[18:19], 0
.LBB316_2335:
	s_and_b64 vcc, exec, s[18:19]
	s_cbranch_vccz .LBB316_2359
; %bb.2336:
	s_cmp_lt_i32 s26, 27
	s_cbranch_scc1 .LBB316_2341
; %bb.2337:
	s_cmp_gt_i32 s26, 27
	s_cbranch_scc0 .LBB316_2342
; %bb.2338:
	global_load_dword v5, v[16:17], off
	s_movk_i32 s0, 0xff
	s_waitcnt vmcnt(1)
	v_mov_b32_e32 v18, 0xff
	s_waitcnt vmcnt(0)
	v_cvt_f32_u32_e32 v8, v5
	v_lshrrev_b32_e32 v5, 23, v8
	v_cmp_ne_u32_e32 vcc, s0, v5
	s_and_saveexec_b64 s[18:19], vcc
; %bb.2339:
	s_mov_b32 s0, 0x3fffff
	v_and_b32_e32 v10, 0x400000, v8
	v_and_or_b32 v8, v8, s0, v5
	v_cmp_ne_u32_e32 vcc, 0, v10
	v_cmp_ne_u32_e64 s[0:1], 0, v8
	s_and_b64 s[0:1], vcc, s[0:1]
	v_cndmask_b32_e64 v8, 0, 1, s[0:1]
	v_add_u32_e32 v18, v5, v8
; %bb.2340:
	s_or_b64 exec, exec, s[18:19]
	s_mov_b64 s[0:1], 0
	s_branch .LBB316_2343
.LBB316_2341:
	s_mov_b64 s[0:1], -1
                                        ; implicit-def: $vgpr18
	s_branch .LBB316_2348
.LBB316_2342:
	s_mov_b64 s[0:1], -1
                                        ; implicit-def: $vgpr18
.LBB316_2343:
	s_andn2_b64 vcc, exec, s[0:1]
	s_cbranch_vccnz .LBB316_2347
; %bb.2344:
	global_load_ushort v5, v[16:17], off
	s_movk_i32 s0, 0xff
	s_waitcnt vmcnt(1)
	v_mov_b32_e32 v18, 0xff
	s_waitcnt vmcnt(0)
	v_cvt_f32_u32_e32 v8, v5
	v_lshrrev_b32_e32 v5, 23, v8
	v_cmp_ne_u32_e32 vcc, s0, v5
	s_and_saveexec_b64 s[18:19], vcc
; %bb.2345:
	s_mov_b32 s0, 0x3fffff
	v_and_b32_e32 v10, 0x400000, v8
	v_and_or_b32 v8, v8, s0, v5
	v_cmp_ne_u32_e32 vcc, 0, v10
	v_cmp_ne_u32_e64 s[0:1], 0, v8
	s_and_b64 s[0:1], vcc, s[0:1]
	v_cndmask_b32_e64 v8, 0, 1, s[0:1]
	v_add_u32_e32 v18, v5, v8
; %bb.2346:
	s_or_b64 exec, exec, s[18:19]
.LBB316_2347:
	s_mov_b64 s[0:1], 0
.LBB316_2348:
	s_andn2_b64 vcc, exec, s[0:1]
	s_cbranch_vccnz .LBB316_2358
; %bb.2349:
	global_load_ubyte v5, v[16:17], off
	s_movk_i32 s0, 0x7f
	s_waitcnt vmcnt(0)
	v_cmp_lt_i16_e32 vcc, s0, v5
	s_mov_b64 s[0:1], 0
	s_and_saveexec_b64 s[18:19], vcc
	s_xor_b64 s[18:19], exec, s[18:19]
	s_cbranch_execz .LBB316_2374
; %bb.2350:
	s_movk_i32 s0, 0x80
	v_cmp_eq_u16_e32 vcc, s0, v5
	s_mov_b64 s[0:1], -1
	s_and_saveexec_b64 s[20:21], vcc
; %bb.2351:
	s_xor_b64 s[0:1], exec, -1
; %bb.2352:
	s_or_b64 exec, exec, s[20:21]
	s_and_b64 s[0:1], s[0:1], exec
	s_or_saveexec_b64 s[18:19], s[18:19]
	v_mov_b32_e32 v8, 0x7f800001
	s_xor_b64 exec, exec, s[18:19]
	s_cbranch_execnz .LBB316_2375
.LBB316_2353:
	s_or_b64 exec, exec, s[18:19]
	s_and_saveexec_b64 s[18:19], s[0:1]
	s_cbranch_execz .LBB316_2355
.LBB316_2354:
	v_and_b32_e32 v5, 0xffff, v5
	v_and_b32_e32 v8, 7, v5
	v_ffbh_u32_e32 v12, v8
	v_min_u32_e32 v12, 32, v12
	v_subrev_u32_e32 v14, 28, v12
	v_bfe_u32 v10, v5, 3, 4
	v_lshlrev_b32_e32 v5, v14, v5
	v_and_b32_e32 v5, 7, v5
	v_cmp_eq_u32_e32 vcc, 0, v10
	v_sub_u32_e32 v12, 29, v12
	v_cndmask_b32_e32 v5, v8, v5, vcc
	v_cndmask_b32_e32 v10, v10, v12, vcc
	v_lshlrev_b32_e32 v5, 20, v5
	v_lshl_or_b32 v5, v10, 23, v5
	v_add_u32_e32 v8, 0x3b800000, v5
.LBB316_2355:
	s_or_b64 exec, exec, s[18:19]
	v_lshrrev_b32_e32 v5, 23, v8
	s_movk_i32 s0, 0xff
	v_cmp_ne_u32_e32 vcc, s0, v5
	v_mov_b32_e32 v18, 0xff
	s_and_saveexec_b64 s[18:19], vcc
; %bb.2356:
	s_mov_b32 s0, 0x3fffff
	v_and_b32_e32 v10, 0x400000, v8
	v_and_or_b32 v8, v8, s0, v5
	v_cmp_ne_u32_e32 vcc, 0, v10
	v_cmp_ne_u32_e64 s[0:1], 0, v8
	s_and_b64 s[0:1], vcc, s[0:1]
	v_cndmask_b32_e64 v8, 0, 1, s[0:1]
	v_add_u32_e32 v18, v5, v8
; %bb.2357:
	s_or_b64 exec, exec, s[18:19]
.LBB316_2358:
	s_mov_b64 s[0:1], -1
.LBB316_2359:
	s_mov_b64 s[18:19], 0
.LBB316_2360:
	s_and_b64 vcc, exec, s[18:19]
	s_cbranch_vccz .LBB316_2401
; %bb.2361:
	s_cmp_gt_i32 s26, 22
	s_cbranch_scc0 .LBB316_2373
; %bb.2362:
	s_cmp_lt_i32 s26, 24
	s_cbranch_scc1 .LBB316_2376
; %bb.2363:
	s_cmp_gt_i32 s26, 24
	s_cbranch_scc0 .LBB316_2377
; %bb.2364:
	global_load_ubyte v5, v[16:17], off
	s_movk_i32 s0, 0x7f
	s_waitcnt vmcnt(0)
	v_cmp_lt_i16_e32 vcc, s0, v5
	s_mov_b64 s[0:1], 0
	s_and_saveexec_b64 s[16:17], vcc
	s_xor_b64 s[16:17], exec, s[16:17]
	s_cbranch_execz .LBB316_2395
; %bb.2365:
	s_movk_i32 s0, 0x80
	v_cmp_eq_u16_e32 vcc, s0, v5
	s_mov_b64 s[0:1], -1
	s_and_saveexec_b64 s[18:19], vcc
; %bb.2366:
	s_xor_b64 s[0:1], exec, -1
; %bb.2367:
	s_or_b64 exec, exec, s[18:19]
	s_and_b64 s[0:1], s[0:1], exec
	s_or_saveexec_b64 s[16:17], s[16:17]
	v_mov_b32_e32 v8, 0x7f800001
	s_xor_b64 exec, exec, s[16:17]
	s_cbranch_execnz .LBB316_2396
.LBB316_2368:
	s_or_b64 exec, exec, s[16:17]
	s_and_saveexec_b64 s[16:17], s[0:1]
	s_cbranch_execz .LBB316_2370
.LBB316_2369:
	v_and_b32_e32 v5, 0xffff, v5
	v_and_b32_e32 v8, 3, v5
	v_ffbh_u32_e32 v12, v8
	v_min_u32_e32 v12, 32, v12
	v_subrev_u32_e32 v14, 29, v12
	v_bfe_u32 v10, v5, 2, 5
	v_lshlrev_b32_e32 v5, v14, v5
	v_and_b32_e32 v5, 3, v5
	v_cmp_eq_u32_e32 vcc, 0, v10
	v_sub_u32_e32 v12, 30, v12
	v_cndmask_b32_e32 v5, v8, v5, vcc
	v_cndmask_b32_e32 v10, v10, v12, vcc
	v_lshlrev_b32_e32 v5, 21, v5
	v_lshl_or_b32 v5, v10, 23, v5
	v_add_u32_e32 v8, 0x37800000, v5
.LBB316_2370:
	s_or_b64 exec, exec, s[16:17]
	v_lshrrev_b32_e32 v5, 23, v8
	s_movk_i32 s0, 0xff
	v_cmp_ne_u32_e32 vcc, s0, v5
	v_mov_b32_e32 v18, 0xff
	s_and_saveexec_b64 s[16:17], vcc
; %bb.2371:
	s_mov_b32 s0, 0x3fffff
	v_and_b32_e32 v10, 0x400000, v8
	v_and_or_b32 v8, v8, s0, v5
	v_cmp_ne_u32_e32 vcc, 0, v10
	v_cmp_ne_u32_e64 s[0:1], 0, v8
	s_and_b64 s[0:1], vcc, s[0:1]
	v_cndmask_b32_e64 v8, 0, 1, s[0:1]
	v_add_u32_e32 v18, v5, v8
; %bb.2372:
	s_or_b64 exec, exec, s[16:17]
	s_mov_b64 s[0:1], 0
	s_branch .LBB316_2378
.LBB316_2373:
	s_mov_b64 s[16:17], -1
                                        ; implicit-def: $vgpr18
	s_branch .LBB316_2388
.LBB316_2374:
	s_or_saveexec_b64 s[18:19], s[18:19]
	v_mov_b32_e32 v8, 0x7f800001
	s_xor_b64 exec, exec, s[18:19]
	s_cbranch_execz .LBB316_2353
.LBB316_2375:
	v_cmp_ne_u16_e32 vcc, 0, v5
	s_andn2_b64 s[0:1], s[0:1], exec
	s_and_b64 s[20:21], vcc, exec
	v_and_b32_e32 v8, 0xffff, v5
	s_or_b64 s[0:1], s[0:1], s[20:21]
	s_or_b64 exec, exec, s[18:19]
	s_and_saveexec_b64 s[18:19], s[0:1]
	s_cbranch_execnz .LBB316_2354
	s_branch .LBB316_2355
.LBB316_2376:
	s_mov_b64 s[0:1], -1
                                        ; implicit-def: $vgpr18
	s_branch .LBB316_2383
.LBB316_2377:
	s_mov_b64 s[0:1], -1
                                        ; implicit-def: $vgpr18
.LBB316_2378:
	s_and_b64 vcc, exec, s[0:1]
	s_cbranch_vccz .LBB316_2382
; %bb.2379:
	global_load_ubyte v5, v[16:17], off
	s_mov_b32 s0, 0x7f800000
	s_movk_i32 s1, 0xff
	s_waitcnt vmcnt(1)
	v_mov_b32_e32 v18, 0xff
	s_waitcnt vmcnt(0)
	v_lshlrev_b32_e32 v5, 24, v5
	v_and_b32_e32 v5, 0x7f000000, v5
	v_ffbh_u32_e32 v8, v5
	v_min_u32_e32 v8, 32, v8
	v_sub_u32_e64 v8, v8, 4 clamp
	v_lshlrev_b32_e32 v12, v8, v5
	v_lshlrev_b32_e32 v8, 23, v8
	v_lshrrev_b32_e32 v12, 4, v12
	v_add_u32_e32 v10, 0x1000000, v5
	v_sub_u32_e32 v8, v12, v8
	v_ashrrev_i32_e32 v10, 8, v10
	v_add_u32_e32 v8, 0x3c000000, v8
	v_and_or_b32 v8, v10, s0, v8
	v_cmp_ne_u32_e32 vcc, 0, v5
	v_cndmask_b32_e32 v8, 0, v8, vcc
	v_lshrrev_b32_e32 v5, 23, v8
	v_cmp_ne_u32_e32 vcc, s1, v5
	s_and_saveexec_b64 s[16:17], vcc
; %bb.2380:
	s_mov_b32 s0, 0x3fffff
	v_and_b32_e32 v10, 0x400000, v8
	v_and_or_b32 v8, v8, s0, v5
	v_cmp_ne_u32_e32 vcc, 0, v10
	v_cmp_ne_u32_e64 s[0:1], 0, v8
	s_and_b64 s[0:1], vcc, s[0:1]
	v_cndmask_b32_e64 v8, 0, 1, s[0:1]
	v_add_u32_e32 v18, v5, v8
; %bb.2381:
	s_or_b64 exec, exec, s[16:17]
.LBB316_2382:
	s_mov_b64 s[0:1], 0
.LBB316_2383:
	s_andn2_b64 vcc, exec, s[0:1]
	s_cbranch_vccnz .LBB316_2387
; %bb.2384:
	global_load_ubyte v5, v[16:17], off
	s_movk_i32 s0, 0x7f00
	s_brev_b32 s1, 16
	s_movk_i32 s16, 0xff
	s_waitcnt vmcnt(1)
	v_mov_b32_e32 v18, 0xff
	s_waitcnt vmcnt(0)
	v_lshlrev_b32_e32 v8, 8, v5
	v_lshlrev_b32_e32 v5, 25, v5
	v_lshrrev_b32_e32 v10, 4, v5
	v_and_or_b32 v8, v8, s0, 0.5
	v_or_b32_e32 v10, 0x70000000, v10
	v_add_f32_e32 v8, -0.5, v8
	v_mul_f32_e32 v10, 0x7800000, v10
	v_cmp_gt_u32_e32 vcc, s1, v5
	v_cndmask_b32_e32 v5, v10, v8, vcc
	v_bfe_u32 v8, v5, 23, 8
	v_cmp_ne_u32_e32 vcc, s16, v8
	s_and_saveexec_b64 s[16:17], vcc
; %bb.2385:
	s_mov_b32 s0, 0x3fffff
	v_lshrrev_b32_e32 v10, 23, v5
	v_and_b32_e32 v12, 0x400000, v5
	v_and_or_b32 v5, v5, s0, v8
	v_cmp_ne_u32_e32 vcc, 0, v12
	v_cmp_ne_u32_e64 s[0:1], 0, v5
	s_and_b64 s[0:1], vcc, s[0:1]
	v_cndmask_b32_e64 v5, 0, 1, s[0:1]
	v_add_u32_e32 v18, v10, v5
; %bb.2386:
	s_or_b64 exec, exec, s[16:17]
.LBB316_2387:
	s_mov_b64 s[16:17], 0
	s_mov_b64 s[0:1], -1
.LBB316_2388:
	s_andn2_b64 vcc, exec, s[16:17]
	s_mov_b64 s[16:17], 0
	s_cbranch_vccnz .LBB316_2401
; %bb.2389:
	s_cmp_gt_i32 s26, 14
	s_cbranch_scc0 .LBB316_2394
; %bb.2390:
	s_cmp_eq_u32 s26, 15
	s_cbranch_scc0 .LBB316_2397
; %bb.2391:
	global_load_ushort v5, v[16:17], off
	s_movk_i32 s0, 0xff
	s_waitcnt vmcnt(1)
	v_mov_b32_e32 v18, 0xff
	s_waitcnt vmcnt(0)
	v_bfe_u32 v8, v5, 7, 8
	v_cmp_ne_u32_e32 vcc, s0, v8
	s_and_saveexec_b64 s[4:5], vcc
	s_cbranch_execz .LBB316_2393
; %bb.2392:
	v_lshrrev_b32_e32 v10, 7, v5
	v_lshlrev_b32_e32 v12, 16, v5
	v_and_b32_e32 v5, 64, v5
	s_mov_b32 s0, 0x3f0000
	v_cmp_ne_u32_e32 vcc, 0, v5
	v_and_or_b32 v5, v12, s0, v8
	v_cmp_ne_u32_e64 s[0:1], 0, v5
	s_and_b64 s[0:1], vcc, s[0:1]
	v_cndmask_b32_e64 v5, 0, 1, s[0:1]
	v_add_u32_e32 v18, v10, v5
.LBB316_2393:
	s_or_b64 exec, exec, s[4:5]
	s_mov_b64 s[4:5], 0
	s_mov_b64 s[0:1], -1
	s_branch .LBB316_2398
.LBB316_2394:
	s_mov_b64 s[18:19], -1
                                        ; implicit-def: $vgpr18
	s_branch .LBB316_2399
.LBB316_2395:
	s_or_saveexec_b64 s[16:17], s[16:17]
	v_mov_b32_e32 v8, 0x7f800001
	s_xor_b64 exec, exec, s[16:17]
	s_cbranch_execz .LBB316_2368
.LBB316_2396:
	v_cmp_ne_u16_e32 vcc, 0, v5
	s_andn2_b64 s[0:1], s[0:1], exec
	s_and_b64 s[18:19], vcc, exec
	v_and_b32_e32 v8, 0xffff, v5
	s_or_b64 s[0:1], s[0:1], s[18:19]
	s_or_b64 exec, exec, s[16:17]
	s_and_saveexec_b64 s[16:17], s[0:1]
	s_cbranch_execnz .LBB316_2369
	s_branch .LBB316_2370
.LBB316_2397:
	s_mov_b64 s[4:5], -1
                                        ; implicit-def: $vgpr18
.LBB316_2398:
	s_mov_b64 s[18:19], 0
.LBB316_2399:
	s_and_b64 vcc, exec, s[18:19]
	s_cbranch_vccz .LBB316_2401
; %bb.2400:
	s_cmp_lg_u32 s26, 11
	s_mov_b64 s[16:17], -1
	s_cselect_b64 s[4:5], -1, 0
.LBB316_2401:
	s_and_b64 vcc, exec, s[4:5]
	s_cbranch_vccnz .LBB316_2490
; %bb.2402:
	s_andn2_b64 vcc, exec, s[16:17]
	s_cbranch_vccnz .LBB316_2406
.LBB316_2403:
	global_load_ubyte v5, v[16:17], off
	s_movk_i32 s0, 0xff
	s_waitcnt vmcnt(1)
	v_mov_b32_e32 v18, 0xff
	s_waitcnt vmcnt(0)
	v_cmp_ne_u16_e32 vcc, 0, v5
	v_cndmask_b32_e64 v8, 0, 1.0, vcc
	v_lshrrev_b32_e32 v5, 23, v8
	v_cmp_ne_u32_e32 vcc, s0, v5
	s_and_saveexec_b64 s[4:5], vcc
; %bb.2404:
	s_mov_b32 s0, 0x3fffff
	v_and_b32_e32 v10, 0x400000, v8
	v_and_or_b32 v8, v8, s0, v5
	v_cmp_ne_u32_e32 vcc, 0, v10
	v_cmp_ne_u32_e64 s[0:1], 0, v8
	s_and_b64 s[0:1], vcc, s[0:1]
	v_cndmask_b32_e64 v8, 0, 1, s[0:1]
	v_add_u32_e32 v18, v5, v8
; %bb.2405:
	s_or_b64 exec, exec, s[4:5]
	s_mov_b64 s[0:1], -1
.LBB316_2406:
	s_branch .LBB316_2316
.LBB316_2407:
	s_and_b32 s16, 0xffff, s22
	s_cmp_lt_i32 s16, 5
	s_cbranch_scc1 .LBB316_2414
; %bb.2408:
	s_cmp_lt_i32 s16, 8
	s_cbranch_scc1 .LBB316_2415
; %bb.2409:
	;; [unrolled: 3-line block ×3, first 2 shown]
	s_cmp_gt_i32 s16, 9
	s_cbranch_scc0 .LBB316_2417
; %bb.2411:
	global_load_dwordx2 v[18:19], v[16:17], off
	s_movk_i32 s0, 0xff
	s_waitcnt vmcnt(0)
	v_cvt_f32_f64_e32 v5, v[18:19]
	v_mov_b32_e32 v18, 0xff
	v_bfe_u32 v8, v5, 23, 8
	v_cmp_ne_u32_e32 vcc, s0, v8
	s_and_saveexec_b64 s[4:5], vcc
; %bb.2412:
	s_mov_b32 s0, 0x3fffff
	v_lshrrev_b32_e32 v10, 23, v5
	v_and_b32_e32 v12, 0x400000, v5
	v_and_or_b32 v5, v5, s0, v8
	v_cmp_ne_u32_e32 vcc, 0, v12
	v_cmp_ne_u32_e64 s[0:1], 0, v5
	s_and_b64 s[0:1], vcc, s[0:1]
	v_cndmask_b32_e64 v5, 0, 1, s[0:1]
	v_add_u32_e32 v18, v10, v5
; %bb.2413:
	s_or_b64 exec, exec, s[4:5]
	s_mov_b64 s[0:1], 0
	s_branch .LBB316_2418
.LBB316_2414:
	s_mov_b64 s[0:1], -1
                                        ; implicit-def: $vgpr18
	s_branch .LBB316_2446
.LBB316_2415:
	s_mov_b64 s[0:1], -1
                                        ; implicit-def: $vgpr18
	s_branch .LBB316_2428
.LBB316_2416:
	s_mov_b64 s[0:1], -1
                                        ; implicit-def: $vgpr18
	s_branch .LBB316_2423
.LBB316_2417:
	s_mov_b64 s[0:1], -1
                                        ; implicit-def: $vgpr18
.LBB316_2418:
	s_andn2_b64 vcc, exec, s[0:1]
	s_cbranch_vccnz .LBB316_2422
; %bb.2419:
	global_load_dword v5, v[16:17], off
	s_movk_i32 s0, 0xff
	s_waitcnt vmcnt(1)
	v_mov_b32_e32 v18, 0xff
	s_waitcnt vmcnt(0)
	v_bfe_u32 v8, v5, 23, 8
	v_cmp_ne_u32_e32 vcc, s0, v8
	s_and_saveexec_b64 s[4:5], vcc
; %bb.2420:
	s_mov_b32 s0, 0x3fffff
	v_lshrrev_b32_e32 v10, 23, v5
	v_and_b32_e32 v12, 0x400000, v5
	v_and_or_b32 v5, v5, s0, v8
	v_cmp_ne_u32_e32 vcc, 0, v12
	v_cmp_ne_u32_e64 s[0:1], 0, v5
	s_and_b64 s[0:1], vcc, s[0:1]
	v_cndmask_b32_e64 v5, 0, 1, s[0:1]
	v_add_u32_e32 v18, v10, v5
; %bb.2421:
	s_or_b64 exec, exec, s[4:5]
.LBB316_2422:
	s_mov_b64 s[0:1], 0
.LBB316_2423:
	s_andn2_b64 vcc, exec, s[0:1]
	s_cbranch_vccnz .LBB316_2427
; %bb.2424:
	global_load_dword v5, v[16:17], off
	s_movk_i32 s0, 0xff
	s_waitcnt vmcnt(1)
	v_mov_b32_e32 v18, 0xff
	s_waitcnt vmcnt(0)
	v_cvt_f32_f16_e32 v5, v5
	v_bfe_u32 v8, v5, 23, 8
	v_cmp_ne_u32_e32 vcc, s0, v8
	s_and_saveexec_b64 s[4:5], vcc
; %bb.2425:
	s_mov_b32 s0, 0x3fffff
	v_lshrrev_b32_e32 v10, 23, v5
	v_and_b32_e32 v12, 0x400000, v5
	v_and_or_b32 v5, v5, s0, v8
	v_cmp_ne_u32_e32 vcc, 0, v12
	v_cmp_ne_u32_e64 s[0:1], 0, v5
	s_and_b64 s[0:1], vcc, s[0:1]
	v_cndmask_b32_e64 v5, 0, 1, s[0:1]
	v_add_u32_e32 v18, v10, v5
; %bb.2426:
	s_or_b64 exec, exec, s[4:5]
.LBB316_2427:
	s_mov_b64 s[0:1], 0
.LBB316_2428:
	s_andn2_b64 vcc, exec, s[0:1]
	s_cbranch_vccnz .LBB316_2445
; %bb.2429:
	s_cmp_lt_i32 s16, 6
	s_cbranch_scc1 .LBB316_2434
; %bb.2430:
	s_cmp_gt_i32 s16, 6
	s_cbranch_scc0 .LBB316_2435
; %bb.2431:
	global_load_dwordx2 v[18:19], v[16:17], off
	s_movk_i32 s0, 0xff
	s_waitcnt vmcnt(0)
	v_cvt_f32_f64_e32 v5, v[18:19]
	v_mov_b32_e32 v18, 0xff
	v_bfe_u32 v8, v5, 23, 8
	v_cmp_ne_u32_e32 vcc, s0, v8
	s_and_saveexec_b64 s[4:5], vcc
; %bb.2432:
	s_mov_b32 s0, 0x3fffff
	v_lshrrev_b32_e32 v10, 23, v5
	v_and_b32_e32 v12, 0x400000, v5
	v_and_or_b32 v5, v5, s0, v8
	v_cmp_ne_u32_e32 vcc, 0, v12
	v_cmp_ne_u32_e64 s[0:1], 0, v5
	s_and_b64 s[0:1], vcc, s[0:1]
	v_cndmask_b32_e64 v5, 0, 1, s[0:1]
	v_add_u32_e32 v18, v10, v5
; %bb.2433:
	s_or_b64 exec, exec, s[4:5]
	s_mov_b64 s[0:1], 0
	s_branch .LBB316_2436
.LBB316_2434:
	s_mov_b64 s[0:1], -1
                                        ; implicit-def: $vgpr18
	s_branch .LBB316_2441
.LBB316_2435:
	s_mov_b64 s[0:1], -1
                                        ; implicit-def: $vgpr18
.LBB316_2436:
	s_andn2_b64 vcc, exec, s[0:1]
	s_cbranch_vccnz .LBB316_2440
; %bb.2437:
	global_load_dword v5, v[16:17], off
	s_movk_i32 s0, 0xff
	s_waitcnt vmcnt(1)
	v_mov_b32_e32 v18, 0xff
	s_waitcnt vmcnt(0)
	v_bfe_u32 v8, v5, 23, 8
	v_cmp_ne_u32_e32 vcc, s0, v8
	s_and_saveexec_b64 s[4:5], vcc
; %bb.2438:
	s_mov_b32 s0, 0x3fffff
	v_lshrrev_b32_e32 v10, 23, v5
	v_and_b32_e32 v12, 0x400000, v5
	v_and_or_b32 v5, v5, s0, v8
	v_cmp_ne_u32_e32 vcc, 0, v12
	v_cmp_ne_u32_e64 s[0:1], 0, v5
	s_and_b64 s[0:1], vcc, s[0:1]
	v_cndmask_b32_e64 v5, 0, 1, s[0:1]
	v_add_u32_e32 v18, v10, v5
; %bb.2439:
	s_or_b64 exec, exec, s[4:5]
.LBB316_2440:
	s_mov_b64 s[0:1], 0
.LBB316_2441:
	s_andn2_b64 vcc, exec, s[0:1]
	s_cbranch_vccnz .LBB316_2445
; %bb.2442:
	global_load_ushort v5, v[16:17], off
	s_movk_i32 s0, 0xff
	s_waitcnt vmcnt(1)
	v_mov_b32_e32 v18, 0xff
	s_waitcnt vmcnt(0)
	v_cvt_f32_f16_e32 v5, v5
	v_bfe_u32 v8, v5, 23, 8
	v_cmp_ne_u32_e32 vcc, s0, v8
	s_and_saveexec_b64 s[4:5], vcc
; %bb.2443:
	s_mov_b32 s0, 0x3fffff
	v_lshrrev_b32_e32 v10, 23, v5
	v_and_b32_e32 v12, 0x400000, v5
	v_and_or_b32 v5, v5, s0, v8
	v_cmp_ne_u32_e32 vcc, 0, v12
	v_cmp_ne_u32_e64 s[0:1], 0, v5
	s_and_b64 s[0:1], vcc, s[0:1]
	v_cndmask_b32_e64 v5, 0, 1, s[0:1]
	v_add_u32_e32 v18, v10, v5
; %bb.2444:
	s_or_b64 exec, exec, s[4:5]
.LBB316_2445:
	s_mov_b64 s[0:1], 0
.LBB316_2446:
	s_andn2_b64 vcc, exec, s[0:1]
	s_cbranch_vccnz .LBB316_2476
; %bb.2447:
	s_cmp_lt_i32 s16, 2
	s_cbranch_scc1 .LBB316_2453
; %bb.2448:
	s_cmp_lt_i32 s16, 3
	s_cbranch_scc1 .LBB316_2454
; %bb.2449:
	s_cmp_gt_i32 s16, 3
	s_cbranch_scc0 .LBB316_2455
; %bb.2450:
	global_load_dwordx2 v[18:19], v[16:17], off
	s_movk_i32 s0, 0xff
	s_waitcnt vmcnt(0)
	v_xor_b32_e32 v8, v18, v19
	v_ffbh_i32_e32 v5, v19
	v_ashrrev_i32_e32 v8, 31, v8
	v_add_u32_e32 v5, -1, v5
	v_add_u32_e32 v8, 32, v8
	v_min_u32_e32 v5, v5, v8
	v_lshlrev_b64 v[18:19], v5, v[18:19]
	v_sub_u32_e32 v5, 32, v5
	v_min_u32_e32 v8, 1, v18
	v_or_b32_e32 v8, v19, v8
	v_cvt_f32_i32_e32 v8, v8
	v_mov_b32_e32 v18, 0xff
	v_ldexp_f32 v5, v8, v5
	v_bfe_u32 v8, v5, 23, 8
	v_cmp_ne_u32_e32 vcc, s0, v8
	s_and_saveexec_b64 s[4:5], vcc
; %bb.2451:
	s_mov_b32 s0, 0x3fffff
	v_lshrrev_b32_e32 v10, 23, v5
	v_and_b32_e32 v12, 0x400000, v5
	v_and_or_b32 v5, v5, s0, v8
	v_cmp_ne_u32_e32 vcc, 0, v12
	v_cmp_ne_u32_e64 s[0:1], 0, v5
	s_and_b64 s[0:1], vcc, s[0:1]
	v_cndmask_b32_e64 v5, 0, 1, s[0:1]
	v_add_u32_e32 v18, v10, v5
; %bb.2452:
	s_or_b64 exec, exec, s[4:5]
	s_mov_b64 s[0:1], 0
	s_branch .LBB316_2456
.LBB316_2453:
	s_mov_b64 s[0:1], -1
                                        ; implicit-def: $vgpr18
	s_branch .LBB316_2466
.LBB316_2454:
	s_mov_b64 s[0:1], -1
                                        ; implicit-def: $vgpr18
	s_branch .LBB316_2461
.LBB316_2455:
	s_mov_b64 s[0:1], -1
                                        ; implicit-def: $vgpr18
.LBB316_2456:
	s_andn2_b64 vcc, exec, s[0:1]
	s_cbranch_vccnz .LBB316_2460
; %bb.2457:
	global_load_dword v5, v[16:17], off
	s_movk_i32 s0, 0xff
	s_waitcnt vmcnt(1)
	v_mov_b32_e32 v18, 0xff
	s_waitcnt vmcnt(0)
	v_cvt_f32_i32_e32 v5, v5
	v_bfe_u32 v8, v5, 23, 8
	v_cmp_ne_u32_e32 vcc, s0, v8
	s_and_saveexec_b64 s[4:5], vcc
; %bb.2458:
	s_mov_b32 s0, 0x3fffff
	v_lshrrev_b32_e32 v10, 23, v5
	v_and_b32_e32 v12, 0x400000, v5
	v_and_or_b32 v5, v5, s0, v8
	v_cmp_ne_u32_e32 vcc, 0, v12
	v_cmp_ne_u32_e64 s[0:1], 0, v5
	s_and_b64 s[0:1], vcc, s[0:1]
	v_cndmask_b32_e64 v5, 0, 1, s[0:1]
	v_add_u32_e32 v18, v10, v5
; %bb.2459:
	s_or_b64 exec, exec, s[4:5]
.LBB316_2460:
	s_mov_b64 s[0:1], 0
.LBB316_2461:
	s_andn2_b64 vcc, exec, s[0:1]
	s_cbranch_vccnz .LBB316_2465
; %bb.2462:
	global_load_sshort v5, v[16:17], off
	s_movk_i32 s0, 0xff
	s_waitcnt vmcnt(1)
	v_mov_b32_e32 v18, 0xff
	s_waitcnt vmcnt(0)
	v_cvt_f32_i32_e32 v5, v5
	v_bfe_u32 v8, v5, 23, 8
	v_cmp_ne_u32_e32 vcc, s0, v8
	s_and_saveexec_b64 s[4:5], vcc
; %bb.2463:
	s_mov_b32 s0, 0x3fffff
	v_lshrrev_b32_e32 v10, 23, v5
	v_and_b32_e32 v12, 0x400000, v5
	v_and_or_b32 v5, v5, s0, v8
	v_cmp_ne_u32_e32 vcc, 0, v12
	v_cmp_ne_u32_e64 s[0:1], 0, v5
	s_and_b64 s[0:1], vcc, s[0:1]
	v_cndmask_b32_e64 v5, 0, 1, s[0:1]
	v_add_u32_e32 v18, v10, v5
; %bb.2464:
	s_or_b64 exec, exec, s[4:5]
.LBB316_2465:
	s_mov_b64 s[0:1], 0
.LBB316_2466:
	s_andn2_b64 vcc, exec, s[0:1]
	s_cbranch_vccnz .LBB316_2476
; %bb.2467:
	s_cmp_gt_i32 s16, 0
	s_cbranch_scc0 .LBB316_2471
; %bb.2468:
	global_load_sbyte v5, v[16:17], off
	s_movk_i32 s0, 0xff
	s_waitcnt vmcnt(1)
	v_mov_b32_e32 v18, 0xff
	s_waitcnt vmcnt(0)
	v_cvt_f32_i32_e32 v5, v5
	v_bfe_u32 v8, v5, 23, 8
	v_cmp_ne_u32_e32 vcc, s0, v8
	s_and_saveexec_b64 s[4:5], vcc
; %bb.2469:
	s_mov_b32 s0, 0x3fffff
	v_lshrrev_b32_e32 v10, 23, v5
	v_and_b32_e32 v12, 0x400000, v5
	v_and_or_b32 v5, v5, s0, v8
	v_cmp_ne_u32_e32 vcc, 0, v12
	v_cmp_ne_u32_e64 s[0:1], 0, v5
	s_and_b64 s[0:1], vcc, s[0:1]
	v_cndmask_b32_e64 v5, 0, 1, s[0:1]
	v_add_u32_e32 v18, v10, v5
; %bb.2470:
	s_or_b64 exec, exec, s[4:5]
	s_mov_b64 s[0:1], 0
	s_branch .LBB316_2472
.LBB316_2471:
	s_mov_b64 s[0:1], -1
                                        ; implicit-def: $vgpr18
.LBB316_2472:
	s_andn2_b64 vcc, exec, s[0:1]
	s_cbranch_vccnz .LBB316_2476
; %bb.2473:
	global_load_ubyte v5, v[16:17], off
	s_movk_i32 s0, 0xff
	s_waitcnt vmcnt(1)
	v_mov_b32_e32 v18, 0xff
	s_waitcnt vmcnt(0)
	v_cvt_f32_ubyte0_e32 v8, v5
	v_lshrrev_b32_e32 v5, 23, v8
	v_cmp_ne_u32_e32 vcc, s0, v5
	s_and_saveexec_b64 s[4:5], vcc
; %bb.2474:
	s_mov_b32 s0, 0x3fffff
	v_and_b32_e32 v10, 0x400000, v8
	v_and_or_b32 v8, v8, s0, v5
	v_cmp_ne_u32_e32 vcc, 0, v10
	v_cmp_ne_u32_e64 s[0:1], 0, v8
	s_and_b64 s[0:1], vcc, s[0:1]
	v_cndmask_b32_e64 v8, 0, 1, s[0:1]
	v_add_u32_e32 v18, v5, v8
; %bb.2475:
	s_or_b64 exec, exec, s[4:5]
.LBB316_2476:
.LBB316_2477:
	s_lshr_b32 s0, s23, 16
	v_mov_b32_e32 v5, s3
	s_and_b32 s23, s0, 0xff
	v_add_co_u32_e32 v14, vcc, s2, v15
	s_cmp_lt_i32 s23, 11
	v_addc_co_u32_e32 v15, vcc, 0, v5, vcc
	s_cbranch_scc1 .LBB316_2486
; %bb.2478:
	s_and_b32 s26, 0xffff, s23
	s_cmp_gt_i32 s26, 25
	s_mov_b64 s[16:17], 0
	s_cbranch_scc0 .LBB316_2487
; %bb.2479:
	s_cmp_gt_i32 s26, 28
	s_cbranch_scc0 .LBB316_2488
; %bb.2480:
	s_cmp_gt_i32 s26, 43
	;; [unrolled: 3-line block ×3, first 2 shown]
	s_cbranch_scc0 .LBB316_2491
; %bb.2482:
	s_cmp_eq_u32 s26, 46
	s_mov_b64 s[18:19], 0
	s_cbranch_scc0 .LBB316_2492
; %bb.2483:
	global_load_dword v5, v[14:15], off
	s_movk_i32 s0, 0xff
	v_mov_b32_e32 v16, 0xff
	s_waitcnt vmcnt(0)
	v_lshlrev_b32_e32 v8, 16, v5
	v_bfe_u32 v10, v8, 23, 8
	v_cmp_ne_u32_e32 vcc, s0, v10
	s_and_saveexec_b64 s[4:5], vcc
; %bb.2484:
	v_bfe_u32 v12, v5, 7, 9
	v_and_b32_e32 v5, 64, v5
	s_mov_b32 s0, 0x3f0000
	v_cmp_ne_u32_e32 vcc, 0, v5
	v_and_or_b32 v5, v8, s0, v10
	v_cmp_ne_u32_e64 s[0:1], 0, v5
	s_and_b64 s[0:1], vcc, s[0:1]
	v_cndmask_b32_e64 v5, 0, 1, s[0:1]
	v_add_u32_e32 v16, v12, v5
; %bb.2485:
	s_or_b64 exec, exec, s[4:5]
	s_mov_b64 s[4:5], 0
	s_mov_b64 s[0:1], -1
	s_branch .LBB316_2493
.LBB316_2486:
	s_mov_b64 s[4:5], -1
	s_mov_b64 s[0:1], 0
                                        ; implicit-def: $vgpr16
	s_branch .LBB316_2577
.LBB316_2487:
	s_mov_b64 s[18:19], -1
	s_mov_b64 s[0:1], 0
	s_mov_b64 s[4:5], 0
                                        ; implicit-def: $vgpr16
	s_branch .LBB316_2530
.LBB316_2488:
	s_mov_b64 s[18:19], -1
	s_mov_b64 s[0:1], 0
	s_mov_b64 s[4:5], 0
                                        ; implicit-def: $vgpr16
	s_branch .LBB316_2505
.LBB316_2489:
	s_mov_b64 s[18:19], -1
	s_mov_b64 s[0:1], 0
	s_mov_b64 s[4:5], 0
                                        ; implicit-def: $vgpr16
	s_branch .LBB316_2498
.LBB316_2490:
	s_trap 2
	s_or_b64 s[14:15], s[14:15], exec
	s_cbranch_execz .LBB316_2403
	s_branch .LBB316_2406
.LBB316_2491:
	s_mov_b64 s[18:19], -1
	s_mov_b64 s[0:1], 0
	s_mov_b64 s[4:5], 0
                                        ; implicit-def: $vgpr16
	s_branch .LBB316_2493
.LBB316_2492:
	s_mov_b64 s[4:5], -1
                                        ; implicit-def: $vgpr16
	s_mov_b64 s[0:1], 0
.LBB316_2493:
	s_and_b64 vcc, exec, s[18:19]
	s_cbranch_vccz .LBB316_2497
; %bb.2494:
	s_cmp_eq_u32 s26, 44
	s_cbranch_scc0 .LBB316_2496
; %bb.2495:
	global_load_ubyte v16, v[14:15], off
	s_mov_b64 s[4:5], 0
	s_mov_b64 s[0:1], -1
	s_branch .LBB316_2497
.LBB316_2496:
	s_mov_b64 s[4:5], -1
                                        ; implicit-def: $vgpr16
.LBB316_2497:
	s_mov_b64 s[18:19], 0
.LBB316_2498:
	s_and_b64 vcc, exec, s[18:19]
	s_cbranch_vccz .LBB316_2504
; %bb.2499:
	s_cmp_eq_u32 s26, 29
	s_cbranch_scc0 .LBB316_2503
; %bb.2500:
	global_load_dwordx2 v[16:17], v[14:15], off
	s_movk_i32 s0, 0xff
	s_waitcnt vmcnt(0)
	v_ffbh_u32_e32 v5, v17
	v_min_u32_e32 v5, 32, v5
	v_lshlrev_b64 v[16:17], v5, v[16:17]
	v_sub_u32_e32 v5, 32, v5
	v_min_u32_e32 v8, 1, v16
	v_or_b32_e32 v8, v17, v8
	v_cvt_f32_u32_e32 v8, v8
	v_mov_b32_e32 v16, 0xff
	v_ldexp_f32 v8, v8, v5
	v_lshrrev_b32_e32 v5, 23, v8
	v_cmp_ne_u32_e32 vcc, s0, v5
	s_and_saveexec_b64 s[4:5], vcc
; %bb.2501:
	s_mov_b32 s0, 0x3fffff
	v_and_b32_e32 v10, 0x400000, v8
	v_and_or_b32 v8, v8, s0, v5
	v_cmp_ne_u32_e32 vcc, 0, v10
	v_cmp_ne_u32_e64 s[0:1], 0, v8
	s_and_b64 s[0:1], vcc, s[0:1]
	v_cndmask_b32_e64 v8, 0, 1, s[0:1]
	v_add_u32_e32 v16, v5, v8
; %bb.2502:
	s_or_b64 exec, exec, s[4:5]
	s_mov_b64 s[4:5], 0
	s_mov_b64 s[0:1], -1
	s_branch .LBB316_2504
.LBB316_2503:
	s_mov_b64 s[4:5], -1
                                        ; implicit-def: $vgpr16
.LBB316_2504:
	s_mov_b64 s[18:19], 0
.LBB316_2505:
	s_and_b64 vcc, exec, s[18:19]
	s_cbranch_vccz .LBB316_2529
; %bb.2506:
	s_cmp_lt_i32 s26, 27
	s_cbranch_scc1 .LBB316_2511
; %bb.2507:
	s_cmp_gt_i32 s26, 27
	s_cbranch_scc0 .LBB316_2512
; %bb.2508:
	global_load_dword v5, v[14:15], off
	s_movk_i32 s0, 0xff
	s_waitcnt vmcnt(1)
	v_mov_b32_e32 v16, 0xff
	s_waitcnt vmcnt(0)
	v_cvt_f32_u32_e32 v8, v5
	v_lshrrev_b32_e32 v5, 23, v8
	v_cmp_ne_u32_e32 vcc, s0, v5
	s_and_saveexec_b64 s[18:19], vcc
; %bb.2509:
	s_mov_b32 s0, 0x3fffff
	v_and_b32_e32 v10, 0x400000, v8
	v_and_or_b32 v8, v8, s0, v5
	v_cmp_ne_u32_e32 vcc, 0, v10
	v_cmp_ne_u32_e64 s[0:1], 0, v8
	s_and_b64 s[0:1], vcc, s[0:1]
	v_cndmask_b32_e64 v8, 0, 1, s[0:1]
	v_add_u32_e32 v16, v5, v8
; %bb.2510:
	s_or_b64 exec, exec, s[18:19]
	s_mov_b64 s[0:1], 0
	s_branch .LBB316_2513
.LBB316_2511:
	s_mov_b64 s[0:1], -1
                                        ; implicit-def: $vgpr16
	s_branch .LBB316_2518
.LBB316_2512:
	s_mov_b64 s[0:1], -1
                                        ; implicit-def: $vgpr16
.LBB316_2513:
	s_andn2_b64 vcc, exec, s[0:1]
	s_cbranch_vccnz .LBB316_2517
; %bb.2514:
	global_load_ushort v5, v[14:15], off
	s_movk_i32 s0, 0xff
	s_waitcnt vmcnt(1)
	v_mov_b32_e32 v16, 0xff
	s_waitcnt vmcnt(0)
	v_cvt_f32_u32_e32 v8, v5
	v_lshrrev_b32_e32 v5, 23, v8
	v_cmp_ne_u32_e32 vcc, s0, v5
	s_and_saveexec_b64 s[18:19], vcc
; %bb.2515:
	s_mov_b32 s0, 0x3fffff
	v_and_b32_e32 v10, 0x400000, v8
	v_and_or_b32 v8, v8, s0, v5
	v_cmp_ne_u32_e32 vcc, 0, v10
	v_cmp_ne_u32_e64 s[0:1], 0, v8
	s_and_b64 s[0:1], vcc, s[0:1]
	v_cndmask_b32_e64 v8, 0, 1, s[0:1]
	v_add_u32_e32 v16, v5, v8
; %bb.2516:
	s_or_b64 exec, exec, s[18:19]
.LBB316_2517:
	s_mov_b64 s[0:1], 0
.LBB316_2518:
	s_andn2_b64 vcc, exec, s[0:1]
	s_cbranch_vccnz .LBB316_2528
; %bb.2519:
	global_load_ubyte v5, v[14:15], off
	s_movk_i32 s0, 0x7f
	s_waitcnt vmcnt(0)
	v_cmp_lt_i16_e32 vcc, s0, v5
	s_mov_b64 s[0:1], 0
	s_and_saveexec_b64 s[18:19], vcc
	s_xor_b64 s[18:19], exec, s[18:19]
	s_cbranch_execz .LBB316_2544
; %bb.2520:
	s_movk_i32 s0, 0x80
	v_cmp_eq_u16_e32 vcc, s0, v5
	s_mov_b64 s[0:1], -1
	s_and_saveexec_b64 s[20:21], vcc
; %bb.2521:
	s_xor_b64 s[0:1], exec, -1
; %bb.2522:
	s_or_b64 exec, exec, s[20:21]
	s_and_b64 s[0:1], s[0:1], exec
	s_or_saveexec_b64 s[18:19], s[18:19]
	v_mov_b32_e32 v8, 0x7f800001
	s_xor_b64 exec, exec, s[18:19]
	s_cbranch_execnz .LBB316_2545
.LBB316_2523:
	s_or_b64 exec, exec, s[18:19]
	s_and_saveexec_b64 s[18:19], s[0:1]
	s_cbranch_execz .LBB316_2525
.LBB316_2524:
	v_and_b32_e32 v5, 0xffff, v5
	v_and_b32_e32 v8, 7, v5
	v_ffbh_u32_e32 v12, v8
	v_min_u32_e32 v12, 32, v12
	v_subrev_u32_e32 v16, 28, v12
	v_bfe_u32 v10, v5, 3, 4
	v_lshlrev_b32_e32 v5, v16, v5
	v_and_b32_e32 v5, 7, v5
	v_cmp_eq_u32_e32 vcc, 0, v10
	v_sub_u32_e32 v12, 29, v12
	v_cndmask_b32_e32 v5, v8, v5, vcc
	v_cndmask_b32_e32 v10, v10, v12, vcc
	v_lshlrev_b32_e32 v5, 20, v5
	v_lshl_or_b32 v5, v10, 23, v5
	v_add_u32_e32 v8, 0x3b800000, v5
.LBB316_2525:
	s_or_b64 exec, exec, s[18:19]
	v_lshrrev_b32_e32 v5, 23, v8
	s_movk_i32 s0, 0xff
	v_cmp_ne_u32_e32 vcc, s0, v5
	v_mov_b32_e32 v16, 0xff
	s_and_saveexec_b64 s[18:19], vcc
; %bb.2526:
	s_mov_b32 s0, 0x3fffff
	v_and_b32_e32 v10, 0x400000, v8
	v_and_or_b32 v8, v8, s0, v5
	v_cmp_ne_u32_e32 vcc, 0, v10
	v_cmp_ne_u32_e64 s[0:1], 0, v8
	s_and_b64 s[0:1], vcc, s[0:1]
	v_cndmask_b32_e64 v8, 0, 1, s[0:1]
	v_add_u32_e32 v16, v5, v8
; %bb.2527:
	s_or_b64 exec, exec, s[18:19]
.LBB316_2528:
	s_mov_b64 s[0:1], -1
.LBB316_2529:
	s_mov_b64 s[18:19], 0
.LBB316_2530:
	s_and_b64 vcc, exec, s[18:19]
	s_cbranch_vccz .LBB316_2571
; %bb.2531:
	s_cmp_gt_i32 s26, 22
	s_cbranch_scc0 .LBB316_2543
; %bb.2532:
	s_cmp_lt_i32 s26, 24
	s_cbranch_scc1 .LBB316_2546
; %bb.2533:
	s_cmp_gt_i32 s26, 24
	s_cbranch_scc0 .LBB316_2547
; %bb.2534:
	global_load_ubyte v5, v[14:15], off
	s_movk_i32 s0, 0x7f
	s_waitcnt vmcnt(0)
	v_cmp_lt_i16_e32 vcc, s0, v5
	s_mov_b64 s[0:1], 0
	s_and_saveexec_b64 s[16:17], vcc
	s_xor_b64 s[16:17], exec, s[16:17]
	s_cbranch_execz .LBB316_2565
; %bb.2535:
	s_movk_i32 s0, 0x80
	v_cmp_eq_u16_e32 vcc, s0, v5
	s_mov_b64 s[0:1], -1
	s_and_saveexec_b64 s[18:19], vcc
; %bb.2536:
	s_xor_b64 s[0:1], exec, -1
; %bb.2537:
	s_or_b64 exec, exec, s[18:19]
	s_and_b64 s[0:1], s[0:1], exec
	s_or_saveexec_b64 s[16:17], s[16:17]
	v_mov_b32_e32 v8, 0x7f800001
	s_xor_b64 exec, exec, s[16:17]
	s_cbranch_execnz .LBB316_2566
.LBB316_2538:
	s_or_b64 exec, exec, s[16:17]
	s_and_saveexec_b64 s[16:17], s[0:1]
	s_cbranch_execz .LBB316_2540
.LBB316_2539:
	v_and_b32_e32 v5, 0xffff, v5
	v_and_b32_e32 v8, 3, v5
	v_ffbh_u32_e32 v12, v8
	v_min_u32_e32 v12, 32, v12
	v_subrev_u32_e32 v16, 29, v12
	v_bfe_u32 v10, v5, 2, 5
	v_lshlrev_b32_e32 v5, v16, v5
	v_and_b32_e32 v5, 3, v5
	v_cmp_eq_u32_e32 vcc, 0, v10
	v_sub_u32_e32 v12, 30, v12
	v_cndmask_b32_e32 v5, v8, v5, vcc
	v_cndmask_b32_e32 v10, v10, v12, vcc
	v_lshlrev_b32_e32 v5, 21, v5
	v_lshl_or_b32 v5, v10, 23, v5
	v_add_u32_e32 v8, 0x37800000, v5
.LBB316_2540:
	s_or_b64 exec, exec, s[16:17]
	v_lshrrev_b32_e32 v5, 23, v8
	s_movk_i32 s0, 0xff
	v_cmp_ne_u32_e32 vcc, s0, v5
	v_mov_b32_e32 v16, 0xff
	s_and_saveexec_b64 s[16:17], vcc
; %bb.2541:
	s_mov_b32 s0, 0x3fffff
	v_and_b32_e32 v10, 0x400000, v8
	v_and_or_b32 v8, v8, s0, v5
	v_cmp_ne_u32_e32 vcc, 0, v10
	v_cmp_ne_u32_e64 s[0:1], 0, v8
	s_and_b64 s[0:1], vcc, s[0:1]
	v_cndmask_b32_e64 v8, 0, 1, s[0:1]
	v_add_u32_e32 v16, v5, v8
; %bb.2542:
	s_or_b64 exec, exec, s[16:17]
	s_mov_b64 s[0:1], 0
	s_branch .LBB316_2548
.LBB316_2543:
	s_mov_b64 s[16:17], -1
                                        ; implicit-def: $vgpr16
	s_branch .LBB316_2558
.LBB316_2544:
	s_or_saveexec_b64 s[18:19], s[18:19]
	v_mov_b32_e32 v8, 0x7f800001
	s_xor_b64 exec, exec, s[18:19]
	s_cbranch_execz .LBB316_2523
.LBB316_2545:
	v_cmp_ne_u16_e32 vcc, 0, v5
	s_andn2_b64 s[0:1], s[0:1], exec
	s_and_b64 s[20:21], vcc, exec
	v_and_b32_e32 v8, 0xffff, v5
	s_or_b64 s[0:1], s[0:1], s[20:21]
	s_or_b64 exec, exec, s[18:19]
	s_and_saveexec_b64 s[18:19], s[0:1]
	s_cbranch_execnz .LBB316_2524
	s_branch .LBB316_2525
.LBB316_2546:
	s_mov_b64 s[0:1], -1
                                        ; implicit-def: $vgpr16
	s_branch .LBB316_2553
.LBB316_2547:
	s_mov_b64 s[0:1], -1
                                        ; implicit-def: $vgpr16
.LBB316_2548:
	s_and_b64 vcc, exec, s[0:1]
	s_cbranch_vccz .LBB316_2552
; %bb.2549:
	global_load_ubyte v5, v[14:15], off
	s_mov_b32 s0, 0x7f800000
	s_movk_i32 s1, 0xff
	s_waitcnt vmcnt(1)
	v_mov_b32_e32 v16, 0xff
	s_waitcnt vmcnt(0)
	v_lshlrev_b32_e32 v5, 24, v5
	v_and_b32_e32 v5, 0x7f000000, v5
	v_ffbh_u32_e32 v8, v5
	v_min_u32_e32 v8, 32, v8
	v_sub_u32_e64 v8, v8, 4 clamp
	v_lshlrev_b32_e32 v12, v8, v5
	v_lshlrev_b32_e32 v8, 23, v8
	v_lshrrev_b32_e32 v12, 4, v12
	v_add_u32_e32 v10, 0x1000000, v5
	v_sub_u32_e32 v8, v12, v8
	v_ashrrev_i32_e32 v10, 8, v10
	v_add_u32_e32 v8, 0x3c000000, v8
	v_and_or_b32 v8, v10, s0, v8
	v_cmp_ne_u32_e32 vcc, 0, v5
	v_cndmask_b32_e32 v8, 0, v8, vcc
	v_lshrrev_b32_e32 v5, 23, v8
	v_cmp_ne_u32_e32 vcc, s1, v5
	s_and_saveexec_b64 s[16:17], vcc
; %bb.2550:
	s_mov_b32 s0, 0x3fffff
	v_and_b32_e32 v10, 0x400000, v8
	v_and_or_b32 v8, v8, s0, v5
	v_cmp_ne_u32_e32 vcc, 0, v10
	v_cmp_ne_u32_e64 s[0:1], 0, v8
	s_and_b64 s[0:1], vcc, s[0:1]
	v_cndmask_b32_e64 v8, 0, 1, s[0:1]
	v_add_u32_e32 v16, v5, v8
; %bb.2551:
	s_or_b64 exec, exec, s[16:17]
.LBB316_2552:
	s_mov_b64 s[0:1], 0
.LBB316_2553:
	s_andn2_b64 vcc, exec, s[0:1]
	s_cbranch_vccnz .LBB316_2557
; %bb.2554:
	global_load_ubyte v5, v[14:15], off
	s_movk_i32 s0, 0x7f00
	s_brev_b32 s1, 16
	s_movk_i32 s16, 0xff
	s_waitcnt vmcnt(1)
	v_mov_b32_e32 v16, 0xff
	s_waitcnt vmcnt(0)
	v_lshlrev_b32_e32 v8, 8, v5
	v_lshlrev_b32_e32 v5, 25, v5
	v_lshrrev_b32_e32 v10, 4, v5
	v_and_or_b32 v8, v8, s0, 0.5
	v_or_b32_e32 v10, 0x70000000, v10
	v_add_f32_e32 v8, -0.5, v8
	v_mul_f32_e32 v10, 0x7800000, v10
	v_cmp_gt_u32_e32 vcc, s1, v5
	v_cndmask_b32_e32 v5, v10, v8, vcc
	v_bfe_u32 v8, v5, 23, 8
	v_cmp_ne_u32_e32 vcc, s16, v8
	s_and_saveexec_b64 s[16:17], vcc
; %bb.2555:
	s_mov_b32 s0, 0x3fffff
	v_lshrrev_b32_e32 v10, 23, v5
	v_and_b32_e32 v12, 0x400000, v5
	v_and_or_b32 v5, v5, s0, v8
	v_cmp_ne_u32_e32 vcc, 0, v12
	v_cmp_ne_u32_e64 s[0:1], 0, v5
	s_and_b64 s[0:1], vcc, s[0:1]
	v_cndmask_b32_e64 v5, 0, 1, s[0:1]
	v_add_u32_e32 v16, v10, v5
; %bb.2556:
	s_or_b64 exec, exec, s[16:17]
.LBB316_2557:
	s_mov_b64 s[16:17], 0
	s_mov_b64 s[0:1], -1
.LBB316_2558:
	s_andn2_b64 vcc, exec, s[16:17]
	s_mov_b64 s[16:17], 0
	s_cbranch_vccnz .LBB316_2571
; %bb.2559:
	s_cmp_gt_i32 s26, 14
	s_cbranch_scc0 .LBB316_2564
; %bb.2560:
	s_cmp_eq_u32 s26, 15
	s_cbranch_scc0 .LBB316_2567
; %bb.2561:
	global_load_ushort v5, v[14:15], off
	s_movk_i32 s0, 0xff
	s_waitcnt vmcnt(1)
	v_mov_b32_e32 v16, 0xff
	s_waitcnt vmcnt(0)
	v_bfe_u32 v8, v5, 7, 8
	v_cmp_ne_u32_e32 vcc, s0, v8
	s_and_saveexec_b64 s[4:5], vcc
	s_cbranch_execz .LBB316_2563
; %bb.2562:
	v_lshrrev_b32_e32 v10, 7, v5
	v_lshlrev_b32_e32 v12, 16, v5
	v_and_b32_e32 v5, 64, v5
	s_mov_b32 s0, 0x3f0000
	v_cmp_ne_u32_e32 vcc, 0, v5
	v_and_or_b32 v5, v12, s0, v8
	v_cmp_ne_u32_e64 s[0:1], 0, v5
	s_and_b64 s[0:1], vcc, s[0:1]
	v_cndmask_b32_e64 v5, 0, 1, s[0:1]
	v_add_u32_e32 v16, v10, v5
.LBB316_2563:
	s_or_b64 exec, exec, s[4:5]
	s_mov_b64 s[4:5], 0
	s_mov_b64 s[0:1], -1
	s_branch .LBB316_2568
.LBB316_2564:
	s_mov_b64 s[18:19], -1
                                        ; implicit-def: $vgpr16
	s_branch .LBB316_2569
.LBB316_2565:
	s_or_saveexec_b64 s[16:17], s[16:17]
	v_mov_b32_e32 v8, 0x7f800001
	s_xor_b64 exec, exec, s[16:17]
	s_cbranch_execz .LBB316_2538
.LBB316_2566:
	v_cmp_ne_u16_e32 vcc, 0, v5
	s_andn2_b64 s[0:1], s[0:1], exec
	s_and_b64 s[18:19], vcc, exec
	v_and_b32_e32 v8, 0xffff, v5
	s_or_b64 s[0:1], s[0:1], s[18:19]
	s_or_b64 exec, exec, s[16:17]
	s_and_saveexec_b64 s[16:17], s[0:1]
	s_cbranch_execnz .LBB316_2539
	s_branch .LBB316_2540
.LBB316_2567:
	s_mov_b64 s[4:5], -1
                                        ; implicit-def: $vgpr16
.LBB316_2568:
	s_mov_b64 s[18:19], 0
.LBB316_2569:
	s_and_b64 vcc, exec, s[18:19]
	s_cbranch_vccz .LBB316_2571
; %bb.2570:
	s_cmp_lg_u32 s26, 11
	s_mov_b64 s[16:17], -1
	s_cselect_b64 s[4:5], -1, 0
.LBB316_2571:
	s_and_b64 vcc, exec, s[4:5]
	s_cbranch_vccnz .LBB316_2662
; %bb.2572:
	s_andn2_b64 vcc, exec, s[16:17]
	s_cbranch_vccnz .LBB316_2576
.LBB316_2573:
	global_load_ubyte v5, v[14:15], off
	s_movk_i32 s0, 0xff
	s_waitcnt vmcnt(1)
	v_mov_b32_e32 v16, 0xff
	s_waitcnt vmcnt(0)
	v_cmp_ne_u16_e32 vcc, 0, v5
	v_cndmask_b32_e64 v8, 0, 1.0, vcc
	v_lshrrev_b32_e32 v5, 23, v8
	v_cmp_ne_u32_e32 vcc, s0, v5
	s_and_saveexec_b64 s[4:5], vcc
; %bb.2574:
	s_mov_b32 s0, 0x3fffff
	v_and_b32_e32 v10, 0x400000, v8
	v_and_or_b32 v8, v8, s0, v5
	v_cmp_ne_u32_e32 vcc, 0, v10
	v_cmp_ne_u32_e64 s[0:1], 0, v8
	s_and_b64 s[0:1], vcc, s[0:1]
	v_cndmask_b32_e64 v8, 0, 1, s[0:1]
	v_add_u32_e32 v16, v5, v8
; %bb.2575:
	s_or_b64 exec, exec, s[4:5]
	s_mov_b64 s[0:1], -1
.LBB316_2576:
	s_mov_b64 s[4:5], 0
.LBB316_2577:
	s_and_b64 vcc, exec, s[4:5]
	s_cbranch_vccz .LBB316_2648
; %bb.2578:
	s_and_b32 s16, 0xffff, s23
	s_cmp_lt_i32 s16, 5
	s_cbranch_scc1 .LBB316_2585
; %bb.2579:
	s_cmp_lt_i32 s16, 8
	s_cbranch_scc1 .LBB316_2586
; %bb.2580:
	;; [unrolled: 3-line block ×3, first 2 shown]
	s_cmp_gt_i32 s16, 9
	s_cbranch_scc0 .LBB316_2588
; %bb.2582:
	global_load_dwordx2 v[16:17], v[14:15], off
	s_movk_i32 s0, 0xff
	s_waitcnt vmcnt(0)
	v_cvt_f32_f64_e32 v5, v[16:17]
	v_mov_b32_e32 v16, 0xff
	v_bfe_u32 v8, v5, 23, 8
	v_cmp_ne_u32_e32 vcc, s0, v8
	s_and_saveexec_b64 s[4:5], vcc
; %bb.2583:
	s_mov_b32 s0, 0x3fffff
	v_lshrrev_b32_e32 v10, 23, v5
	v_and_b32_e32 v12, 0x400000, v5
	v_and_or_b32 v5, v5, s0, v8
	v_cmp_ne_u32_e32 vcc, 0, v12
	v_cmp_ne_u32_e64 s[0:1], 0, v5
	s_and_b64 s[0:1], vcc, s[0:1]
	v_cndmask_b32_e64 v5, 0, 1, s[0:1]
	v_add_u32_e32 v16, v10, v5
; %bb.2584:
	s_or_b64 exec, exec, s[4:5]
	s_mov_b64 s[0:1], 0
	s_branch .LBB316_2589
.LBB316_2585:
	s_mov_b64 s[0:1], -1
                                        ; implicit-def: $vgpr16
	s_branch .LBB316_2617
.LBB316_2586:
	s_mov_b64 s[0:1], -1
                                        ; implicit-def: $vgpr16
	s_branch .LBB316_2599
.LBB316_2587:
	s_mov_b64 s[0:1], -1
                                        ; implicit-def: $vgpr16
	s_branch .LBB316_2594
.LBB316_2588:
	s_mov_b64 s[0:1], -1
                                        ; implicit-def: $vgpr16
.LBB316_2589:
	s_andn2_b64 vcc, exec, s[0:1]
	s_cbranch_vccnz .LBB316_2593
; %bb.2590:
	global_load_dword v5, v[14:15], off
	s_movk_i32 s0, 0xff
	s_waitcnt vmcnt(1)
	v_mov_b32_e32 v16, 0xff
	s_waitcnt vmcnt(0)
	v_bfe_u32 v8, v5, 23, 8
	v_cmp_ne_u32_e32 vcc, s0, v8
	s_and_saveexec_b64 s[4:5], vcc
; %bb.2591:
	s_mov_b32 s0, 0x3fffff
	v_lshrrev_b32_e32 v10, 23, v5
	v_and_b32_e32 v12, 0x400000, v5
	v_and_or_b32 v5, v5, s0, v8
	v_cmp_ne_u32_e32 vcc, 0, v12
	v_cmp_ne_u32_e64 s[0:1], 0, v5
	s_and_b64 s[0:1], vcc, s[0:1]
	v_cndmask_b32_e64 v5, 0, 1, s[0:1]
	v_add_u32_e32 v16, v10, v5
; %bb.2592:
	s_or_b64 exec, exec, s[4:5]
.LBB316_2593:
	s_mov_b64 s[0:1], 0
.LBB316_2594:
	s_andn2_b64 vcc, exec, s[0:1]
	s_cbranch_vccnz .LBB316_2598
; %bb.2595:
	global_load_dword v5, v[14:15], off
	s_movk_i32 s0, 0xff
	s_waitcnt vmcnt(1)
	v_mov_b32_e32 v16, 0xff
	s_waitcnt vmcnt(0)
	v_cvt_f32_f16_e32 v5, v5
	v_bfe_u32 v8, v5, 23, 8
	v_cmp_ne_u32_e32 vcc, s0, v8
	s_and_saveexec_b64 s[4:5], vcc
; %bb.2596:
	s_mov_b32 s0, 0x3fffff
	v_lshrrev_b32_e32 v10, 23, v5
	v_and_b32_e32 v12, 0x400000, v5
	v_and_or_b32 v5, v5, s0, v8
	v_cmp_ne_u32_e32 vcc, 0, v12
	v_cmp_ne_u32_e64 s[0:1], 0, v5
	s_and_b64 s[0:1], vcc, s[0:1]
	v_cndmask_b32_e64 v5, 0, 1, s[0:1]
	v_add_u32_e32 v16, v10, v5
; %bb.2597:
	s_or_b64 exec, exec, s[4:5]
.LBB316_2598:
	s_mov_b64 s[0:1], 0
.LBB316_2599:
	s_andn2_b64 vcc, exec, s[0:1]
	s_cbranch_vccnz .LBB316_2616
; %bb.2600:
	s_cmp_lt_i32 s16, 6
	s_cbranch_scc1 .LBB316_2605
; %bb.2601:
	s_cmp_gt_i32 s16, 6
	s_cbranch_scc0 .LBB316_2606
; %bb.2602:
	global_load_dwordx2 v[16:17], v[14:15], off
	s_movk_i32 s0, 0xff
	s_waitcnt vmcnt(0)
	v_cvt_f32_f64_e32 v5, v[16:17]
	v_mov_b32_e32 v16, 0xff
	v_bfe_u32 v8, v5, 23, 8
	v_cmp_ne_u32_e32 vcc, s0, v8
	s_and_saveexec_b64 s[4:5], vcc
; %bb.2603:
	s_mov_b32 s0, 0x3fffff
	v_lshrrev_b32_e32 v10, 23, v5
	v_and_b32_e32 v12, 0x400000, v5
	v_and_or_b32 v5, v5, s0, v8
	v_cmp_ne_u32_e32 vcc, 0, v12
	v_cmp_ne_u32_e64 s[0:1], 0, v5
	s_and_b64 s[0:1], vcc, s[0:1]
	v_cndmask_b32_e64 v5, 0, 1, s[0:1]
	v_add_u32_e32 v16, v10, v5
; %bb.2604:
	s_or_b64 exec, exec, s[4:5]
	s_mov_b64 s[0:1], 0
	s_branch .LBB316_2607
.LBB316_2605:
	s_mov_b64 s[0:1], -1
                                        ; implicit-def: $vgpr16
	s_branch .LBB316_2612
.LBB316_2606:
	s_mov_b64 s[0:1], -1
                                        ; implicit-def: $vgpr16
.LBB316_2607:
	s_andn2_b64 vcc, exec, s[0:1]
	s_cbranch_vccnz .LBB316_2611
; %bb.2608:
	global_load_dword v5, v[14:15], off
	s_movk_i32 s0, 0xff
	s_waitcnt vmcnt(1)
	v_mov_b32_e32 v16, 0xff
	s_waitcnt vmcnt(0)
	v_bfe_u32 v8, v5, 23, 8
	v_cmp_ne_u32_e32 vcc, s0, v8
	s_and_saveexec_b64 s[4:5], vcc
; %bb.2609:
	s_mov_b32 s0, 0x3fffff
	v_lshrrev_b32_e32 v10, 23, v5
	v_and_b32_e32 v12, 0x400000, v5
	v_and_or_b32 v5, v5, s0, v8
	v_cmp_ne_u32_e32 vcc, 0, v12
	v_cmp_ne_u32_e64 s[0:1], 0, v5
	s_and_b64 s[0:1], vcc, s[0:1]
	v_cndmask_b32_e64 v5, 0, 1, s[0:1]
	v_add_u32_e32 v16, v10, v5
; %bb.2610:
	s_or_b64 exec, exec, s[4:5]
.LBB316_2611:
	s_mov_b64 s[0:1], 0
.LBB316_2612:
	s_andn2_b64 vcc, exec, s[0:1]
	s_cbranch_vccnz .LBB316_2616
; %bb.2613:
	global_load_ushort v5, v[14:15], off
	s_movk_i32 s0, 0xff
	s_waitcnt vmcnt(1)
	v_mov_b32_e32 v16, 0xff
	s_waitcnt vmcnt(0)
	v_cvt_f32_f16_e32 v5, v5
	v_bfe_u32 v8, v5, 23, 8
	v_cmp_ne_u32_e32 vcc, s0, v8
	s_and_saveexec_b64 s[4:5], vcc
; %bb.2614:
	s_mov_b32 s0, 0x3fffff
	v_lshrrev_b32_e32 v10, 23, v5
	v_and_b32_e32 v12, 0x400000, v5
	v_and_or_b32 v5, v5, s0, v8
	v_cmp_ne_u32_e32 vcc, 0, v12
	v_cmp_ne_u32_e64 s[0:1], 0, v5
	s_and_b64 s[0:1], vcc, s[0:1]
	v_cndmask_b32_e64 v5, 0, 1, s[0:1]
	v_add_u32_e32 v16, v10, v5
; %bb.2615:
	s_or_b64 exec, exec, s[4:5]
.LBB316_2616:
	s_mov_b64 s[0:1], 0
.LBB316_2617:
	s_andn2_b64 vcc, exec, s[0:1]
	s_cbranch_vccnz .LBB316_2647
; %bb.2618:
	s_cmp_lt_i32 s16, 2
	s_cbranch_scc1 .LBB316_2624
; %bb.2619:
	s_cmp_lt_i32 s16, 3
	s_cbranch_scc1 .LBB316_2625
; %bb.2620:
	s_cmp_gt_i32 s16, 3
	s_cbranch_scc0 .LBB316_2626
; %bb.2621:
	global_load_dwordx2 v[16:17], v[14:15], off
	s_movk_i32 s0, 0xff
	s_waitcnt vmcnt(0)
	v_xor_b32_e32 v8, v16, v17
	v_ffbh_i32_e32 v5, v17
	v_ashrrev_i32_e32 v8, 31, v8
	v_add_u32_e32 v5, -1, v5
	v_add_u32_e32 v8, 32, v8
	v_min_u32_e32 v5, v5, v8
	v_lshlrev_b64 v[16:17], v5, v[16:17]
	v_sub_u32_e32 v5, 32, v5
	v_min_u32_e32 v8, 1, v16
	v_or_b32_e32 v8, v17, v8
	v_cvt_f32_i32_e32 v8, v8
	v_mov_b32_e32 v16, 0xff
	v_ldexp_f32 v5, v8, v5
	v_bfe_u32 v8, v5, 23, 8
	v_cmp_ne_u32_e32 vcc, s0, v8
	s_and_saveexec_b64 s[4:5], vcc
; %bb.2622:
	s_mov_b32 s0, 0x3fffff
	v_lshrrev_b32_e32 v10, 23, v5
	v_and_b32_e32 v12, 0x400000, v5
	v_and_or_b32 v5, v5, s0, v8
	v_cmp_ne_u32_e32 vcc, 0, v12
	v_cmp_ne_u32_e64 s[0:1], 0, v5
	s_and_b64 s[0:1], vcc, s[0:1]
	v_cndmask_b32_e64 v5, 0, 1, s[0:1]
	v_add_u32_e32 v16, v10, v5
; %bb.2623:
	s_or_b64 exec, exec, s[4:5]
	s_mov_b64 s[0:1], 0
	s_branch .LBB316_2627
.LBB316_2624:
	s_mov_b64 s[0:1], -1
                                        ; implicit-def: $vgpr16
	s_branch .LBB316_2637
.LBB316_2625:
	s_mov_b64 s[0:1], -1
                                        ; implicit-def: $vgpr16
	s_branch .LBB316_2632
.LBB316_2626:
	s_mov_b64 s[0:1], -1
                                        ; implicit-def: $vgpr16
.LBB316_2627:
	s_andn2_b64 vcc, exec, s[0:1]
	s_cbranch_vccnz .LBB316_2631
; %bb.2628:
	global_load_dword v5, v[14:15], off
	s_movk_i32 s0, 0xff
	s_waitcnt vmcnt(1)
	v_mov_b32_e32 v16, 0xff
	s_waitcnt vmcnt(0)
	v_cvt_f32_i32_e32 v5, v5
	v_bfe_u32 v8, v5, 23, 8
	v_cmp_ne_u32_e32 vcc, s0, v8
	s_and_saveexec_b64 s[4:5], vcc
; %bb.2629:
	s_mov_b32 s0, 0x3fffff
	v_lshrrev_b32_e32 v10, 23, v5
	v_and_b32_e32 v12, 0x400000, v5
	v_and_or_b32 v5, v5, s0, v8
	v_cmp_ne_u32_e32 vcc, 0, v12
	v_cmp_ne_u32_e64 s[0:1], 0, v5
	s_and_b64 s[0:1], vcc, s[0:1]
	v_cndmask_b32_e64 v5, 0, 1, s[0:1]
	v_add_u32_e32 v16, v10, v5
; %bb.2630:
	s_or_b64 exec, exec, s[4:5]
.LBB316_2631:
	s_mov_b64 s[0:1], 0
.LBB316_2632:
	s_andn2_b64 vcc, exec, s[0:1]
	s_cbranch_vccnz .LBB316_2636
; %bb.2633:
	global_load_sshort v5, v[14:15], off
	s_movk_i32 s0, 0xff
	s_waitcnt vmcnt(1)
	v_mov_b32_e32 v16, 0xff
	s_waitcnt vmcnt(0)
	v_cvt_f32_i32_e32 v5, v5
	v_bfe_u32 v8, v5, 23, 8
	v_cmp_ne_u32_e32 vcc, s0, v8
	s_and_saveexec_b64 s[4:5], vcc
; %bb.2634:
	s_mov_b32 s0, 0x3fffff
	v_lshrrev_b32_e32 v10, 23, v5
	v_and_b32_e32 v12, 0x400000, v5
	v_and_or_b32 v5, v5, s0, v8
	v_cmp_ne_u32_e32 vcc, 0, v12
	v_cmp_ne_u32_e64 s[0:1], 0, v5
	s_and_b64 s[0:1], vcc, s[0:1]
	v_cndmask_b32_e64 v5, 0, 1, s[0:1]
	v_add_u32_e32 v16, v10, v5
; %bb.2635:
	s_or_b64 exec, exec, s[4:5]
.LBB316_2636:
	s_mov_b64 s[0:1], 0
.LBB316_2637:
	s_andn2_b64 vcc, exec, s[0:1]
	s_cbranch_vccnz .LBB316_2647
; %bb.2638:
	s_cmp_gt_i32 s16, 0
	s_cbranch_scc0 .LBB316_2642
; %bb.2639:
	global_load_sbyte v5, v[14:15], off
	s_movk_i32 s0, 0xff
	s_waitcnt vmcnt(1)
	v_mov_b32_e32 v16, 0xff
	s_waitcnt vmcnt(0)
	v_cvt_f32_i32_e32 v5, v5
	v_bfe_u32 v8, v5, 23, 8
	v_cmp_ne_u32_e32 vcc, s0, v8
	s_and_saveexec_b64 s[4:5], vcc
; %bb.2640:
	s_mov_b32 s0, 0x3fffff
	v_lshrrev_b32_e32 v10, 23, v5
	v_and_b32_e32 v12, 0x400000, v5
	v_and_or_b32 v5, v5, s0, v8
	v_cmp_ne_u32_e32 vcc, 0, v12
	v_cmp_ne_u32_e64 s[0:1], 0, v5
	s_and_b64 s[0:1], vcc, s[0:1]
	v_cndmask_b32_e64 v5, 0, 1, s[0:1]
	v_add_u32_e32 v16, v10, v5
; %bb.2641:
	s_or_b64 exec, exec, s[4:5]
	s_mov_b64 s[0:1], 0
	s_branch .LBB316_2643
.LBB316_2642:
	s_mov_b64 s[0:1], -1
                                        ; implicit-def: $vgpr16
.LBB316_2643:
	s_andn2_b64 vcc, exec, s[0:1]
	s_cbranch_vccnz .LBB316_2647
; %bb.2644:
	global_load_ubyte v5, v[14:15], off
	s_movk_i32 s0, 0xff
	s_waitcnt vmcnt(1)
	v_mov_b32_e32 v16, 0xff
	s_waitcnt vmcnt(0)
	v_cvt_f32_ubyte0_e32 v8, v5
	v_lshrrev_b32_e32 v5, 23, v8
	v_cmp_ne_u32_e32 vcc, s0, v5
	s_and_saveexec_b64 s[4:5], vcc
; %bb.2645:
	s_mov_b32 s0, 0x3fffff
	v_and_b32_e32 v10, 0x400000, v8
	v_and_or_b32 v8, v8, s0, v5
	v_cmp_ne_u32_e32 vcc, 0, v10
	v_cmp_ne_u32_e64 s[0:1], 0, v8
	s_and_b64 s[0:1], vcc, s[0:1]
	v_cndmask_b32_e64 v8, 0, 1, s[0:1]
	v_add_u32_e32 v16, v5, v8
; %bb.2646:
	s_or_b64 exec, exec, s[4:5]
.LBB316_2647:
	s_mov_b64 s[0:1], -1
.LBB316_2648:
	s_andn2_b64 vcc, exec, s[0:1]
	s_cbranch_vccnz .LBB316_3772
; %bb.2649:
	v_mov_b32_e32 v5, s11
	v_add_co_u32_e32 v12, vcc, s10, v13
	s_cmp_lt_i32 s22, 11
	v_addc_co_u32_e32 v13, vcc, 0, v5, vcc
	s_cbranch_scc1 .LBB316_2658
; %bb.2650:
	s_and_b32 s26, 0xffff, s22
	s_cmp_gt_i32 s26, 25
	s_mov_b64 s[16:17], 0
	s_cbranch_scc0 .LBB316_2659
; %bb.2651:
	s_cmp_gt_i32 s26, 28
	s_cbranch_scc0 .LBB316_2660
; %bb.2652:
	s_cmp_gt_i32 s26, 43
	;; [unrolled: 3-line block ×3, first 2 shown]
	s_cbranch_scc0 .LBB316_2663
; %bb.2654:
	s_cmp_eq_u32 s26, 46
	s_mov_b64 s[18:19], 0
	s_cbranch_scc0 .LBB316_2664
; %bb.2655:
	global_load_dword v5, v[12:13], off
	s_movk_i32 s0, 0xff
	v_mov_b32_e32 v14, 0xff
	s_waitcnt vmcnt(0)
	v_lshlrev_b32_e32 v8, 16, v5
	v_bfe_u32 v10, v8, 23, 8
	v_cmp_ne_u32_e32 vcc, s0, v10
	s_and_saveexec_b64 s[4:5], vcc
; %bb.2656:
	v_bfe_u32 v14, v5, 7, 9
	v_and_b32_e32 v5, 64, v5
	s_mov_b32 s0, 0x3f0000
	v_cmp_ne_u32_e32 vcc, 0, v5
	v_and_or_b32 v5, v8, s0, v10
	v_cmp_ne_u32_e64 s[0:1], 0, v5
	s_and_b64 s[0:1], vcc, s[0:1]
	v_cndmask_b32_e64 v5, 0, 1, s[0:1]
	v_add_u32_e32 v14, v14, v5
; %bb.2657:
	s_or_b64 exec, exec, s[4:5]
	s_mov_b64 s[4:5], 0
	s_mov_b64 s[0:1], -1
	s_branch .LBB316_2665
.LBB316_2658:
	s_mov_b64 s[4:5], -1
	s_mov_b64 s[0:1], 0
                                        ; implicit-def: $vgpr14
	s_branch .LBB316_2749
.LBB316_2659:
	s_mov_b64 s[18:19], -1
	s_mov_b64 s[0:1], 0
	s_mov_b64 s[4:5], 0
                                        ; implicit-def: $vgpr14
	s_branch .LBB316_2702
.LBB316_2660:
	s_mov_b64 s[18:19], -1
	s_mov_b64 s[0:1], 0
	s_mov_b64 s[4:5], 0
                                        ; implicit-def: $vgpr14
	s_branch .LBB316_2677
.LBB316_2661:
	s_mov_b64 s[18:19], -1
	s_mov_b64 s[0:1], 0
	s_mov_b64 s[4:5], 0
                                        ; implicit-def: $vgpr14
	s_branch .LBB316_2670
.LBB316_2662:
	s_trap 2
	s_or_b64 s[14:15], s[14:15], exec
	s_cbranch_execz .LBB316_2573
	s_branch .LBB316_2576
.LBB316_2663:
	s_mov_b64 s[18:19], -1
	s_mov_b64 s[0:1], 0
	s_mov_b64 s[4:5], 0
                                        ; implicit-def: $vgpr14
	s_branch .LBB316_2665
.LBB316_2664:
	s_mov_b64 s[4:5], -1
                                        ; implicit-def: $vgpr14
	s_mov_b64 s[0:1], 0
.LBB316_2665:
	s_and_b64 vcc, exec, s[18:19]
	s_cbranch_vccz .LBB316_2669
; %bb.2666:
	s_cmp_eq_u32 s26, 44
	s_cbranch_scc0 .LBB316_2668
; %bb.2667:
	global_load_ubyte v14, v[12:13], off
	s_mov_b64 s[4:5], 0
	s_mov_b64 s[0:1], -1
	s_branch .LBB316_2669
.LBB316_2668:
	s_mov_b64 s[4:5], -1
                                        ; implicit-def: $vgpr14
.LBB316_2669:
	s_mov_b64 s[18:19], 0
.LBB316_2670:
	s_and_b64 vcc, exec, s[18:19]
	s_cbranch_vccz .LBB316_2676
; %bb.2671:
	s_cmp_eq_u32 s26, 29
	s_cbranch_scc0 .LBB316_2675
; %bb.2672:
	global_load_dwordx2 v[14:15], v[12:13], off
	s_movk_i32 s0, 0xff
	s_waitcnt vmcnt(0)
	v_ffbh_u32_e32 v5, v15
	v_min_u32_e32 v5, 32, v5
	v_lshlrev_b64 v[14:15], v5, v[14:15]
	v_sub_u32_e32 v5, 32, v5
	v_min_u32_e32 v8, 1, v14
	v_or_b32_e32 v8, v15, v8
	v_cvt_f32_u32_e32 v8, v8
	v_mov_b32_e32 v14, 0xff
	v_ldexp_f32 v8, v8, v5
	v_lshrrev_b32_e32 v5, 23, v8
	v_cmp_ne_u32_e32 vcc, s0, v5
	s_and_saveexec_b64 s[4:5], vcc
; %bb.2673:
	s_mov_b32 s0, 0x3fffff
	v_and_b32_e32 v10, 0x400000, v8
	v_and_or_b32 v8, v8, s0, v5
	v_cmp_ne_u32_e32 vcc, 0, v10
	v_cmp_ne_u32_e64 s[0:1], 0, v8
	s_and_b64 s[0:1], vcc, s[0:1]
	v_cndmask_b32_e64 v8, 0, 1, s[0:1]
	v_add_u32_e32 v14, v5, v8
; %bb.2674:
	s_or_b64 exec, exec, s[4:5]
	s_mov_b64 s[4:5], 0
	s_mov_b64 s[0:1], -1
	s_branch .LBB316_2676
.LBB316_2675:
	s_mov_b64 s[4:5], -1
                                        ; implicit-def: $vgpr14
.LBB316_2676:
	s_mov_b64 s[18:19], 0
.LBB316_2677:
	s_and_b64 vcc, exec, s[18:19]
	s_cbranch_vccz .LBB316_2701
; %bb.2678:
	s_cmp_lt_i32 s26, 27
	s_cbranch_scc1 .LBB316_2683
; %bb.2679:
	s_cmp_gt_i32 s26, 27
	s_cbranch_scc0 .LBB316_2684
; %bb.2680:
	global_load_dword v5, v[12:13], off
	s_movk_i32 s0, 0xff
	s_waitcnt vmcnt(1)
	v_mov_b32_e32 v14, 0xff
	s_waitcnt vmcnt(0)
	v_cvt_f32_u32_e32 v8, v5
	v_lshrrev_b32_e32 v5, 23, v8
	v_cmp_ne_u32_e32 vcc, s0, v5
	s_and_saveexec_b64 s[18:19], vcc
; %bb.2681:
	s_mov_b32 s0, 0x3fffff
	v_and_b32_e32 v10, 0x400000, v8
	v_and_or_b32 v8, v8, s0, v5
	v_cmp_ne_u32_e32 vcc, 0, v10
	v_cmp_ne_u32_e64 s[0:1], 0, v8
	s_and_b64 s[0:1], vcc, s[0:1]
	v_cndmask_b32_e64 v8, 0, 1, s[0:1]
	v_add_u32_e32 v14, v5, v8
; %bb.2682:
	s_or_b64 exec, exec, s[18:19]
	s_mov_b64 s[0:1], 0
	s_branch .LBB316_2685
.LBB316_2683:
	s_mov_b64 s[0:1], -1
                                        ; implicit-def: $vgpr14
	s_branch .LBB316_2690
.LBB316_2684:
	s_mov_b64 s[0:1], -1
                                        ; implicit-def: $vgpr14
.LBB316_2685:
	s_andn2_b64 vcc, exec, s[0:1]
	s_cbranch_vccnz .LBB316_2689
; %bb.2686:
	global_load_ushort v5, v[12:13], off
	s_movk_i32 s0, 0xff
	s_waitcnt vmcnt(1)
	v_mov_b32_e32 v14, 0xff
	s_waitcnt vmcnt(0)
	v_cvt_f32_u32_e32 v8, v5
	v_lshrrev_b32_e32 v5, 23, v8
	v_cmp_ne_u32_e32 vcc, s0, v5
	s_and_saveexec_b64 s[18:19], vcc
; %bb.2687:
	s_mov_b32 s0, 0x3fffff
	v_and_b32_e32 v10, 0x400000, v8
	v_and_or_b32 v8, v8, s0, v5
	v_cmp_ne_u32_e32 vcc, 0, v10
	v_cmp_ne_u32_e64 s[0:1], 0, v8
	s_and_b64 s[0:1], vcc, s[0:1]
	v_cndmask_b32_e64 v8, 0, 1, s[0:1]
	v_add_u32_e32 v14, v5, v8
; %bb.2688:
	s_or_b64 exec, exec, s[18:19]
.LBB316_2689:
	s_mov_b64 s[0:1], 0
.LBB316_2690:
	s_andn2_b64 vcc, exec, s[0:1]
	s_cbranch_vccnz .LBB316_2700
; %bb.2691:
	global_load_ubyte v5, v[12:13], off
	s_movk_i32 s0, 0x7f
	s_waitcnt vmcnt(0)
	v_cmp_lt_i16_e32 vcc, s0, v5
	s_mov_b64 s[0:1], 0
	s_and_saveexec_b64 s[18:19], vcc
	s_xor_b64 s[18:19], exec, s[18:19]
	s_cbranch_execz .LBB316_2716
; %bb.2692:
	s_movk_i32 s0, 0x80
	v_cmp_eq_u16_e32 vcc, s0, v5
	s_mov_b64 s[0:1], -1
	s_and_saveexec_b64 s[20:21], vcc
; %bb.2693:
	s_xor_b64 s[0:1], exec, -1
; %bb.2694:
	s_or_b64 exec, exec, s[20:21]
	s_and_b64 s[0:1], s[0:1], exec
	s_or_saveexec_b64 s[18:19], s[18:19]
	v_mov_b32_e32 v8, 0x7f800001
	s_xor_b64 exec, exec, s[18:19]
	s_cbranch_execnz .LBB316_2717
.LBB316_2695:
	s_or_b64 exec, exec, s[18:19]
	s_and_saveexec_b64 s[18:19], s[0:1]
	s_cbranch_execz .LBB316_2697
.LBB316_2696:
	v_and_b32_e32 v5, 0xffff, v5
	v_and_b32_e32 v8, 7, v5
	v_ffbh_u32_e32 v14, v8
	v_min_u32_e32 v14, 32, v14
	v_subrev_u32_e32 v15, 28, v14
	v_bfe_u32 v10, v5, 3, 4
	v_lshlrev_b32_e32 v5, v15, v5
	v_and_b32_e32 v5, 7, v5
	v_cmp_eq_u32_e32 vcc, 0, v10
	v_sub_u32_e32 v14, 29, v14
	v_cndmask_b32_e32 v5, v8, v5, vcc
	v_cndmask_b32_e32 v10, v10, v14, vcc
	v_lshlrev_b32_e32 v5, 20, v5
	v_lshl_or_b32 v5, v10, 23, v5
	v_add_u32_e32 v8, 0x3b800000, v5
.LBB316_2697:
	s_or_b64 exec, exec, s[18:19]
	v_lshrrev_b32_e32 v5, 23, v8
	s_movk_i32 s0, 0xff
	v_cmp_ne_u32_e32 vcc, s0, v5
	v_mov_b32_e32 v14, 0xff
	s_and_saveexec_b64 s[18:19], vcc
; %bb.2698:
	s_mov_b32 s0, 0x3fffff
	v_and_b32_e32 v10, 0x400000, v8
	v_and_or_b32 v8, v8, s0, v5
	v_cmp_ne_u32_e32 vcc, 0, v10
	v_cmp_ne_u32_e64 s[0:1], 0, v8
	s_and_b64 s[0:1], vcc, s[0:1]
	v_cndmask_b32_e64 v8, 0, 1, s[0:1]
	v_add_u32_e32 v14, v5, v8
; %bb.2699:
	s_or_b64 exec, exec, s[18:19]
.LBB316_2700:
	s_mov_b64 s[0:1], -1
.LBB316_2701:
	s_mov_b64 s[18:19], 0
.LBB316_2702:
	s_and_b64 vcc, exec, s[18:19]
	s_cbranch_vccz .LBB316_2743
; %bb.2703:
	s_cmp_gt_i32 s26, 22
	s_cbranch_scc0 .LBB316_2715
; %bb.2704:
	s_cmp_lt_i32 s26, 24
	s_cbranch_scc1 .LBB316_2718
; %bb.2705:
	s_cmp_gt_i32 s26, 24
	s_cbranch_scc0 .LBB316_2719
; %bb.2706:
	global_load_ubyte v5, v[12:13], off
	s_movk_i32 s0, 0x7f
	s_waitcnt vmcnt(0)
	v_cmp_lt_i16_e32 vcc, s0, v5
	s_mov_b64 s[0:1], 0
	s_and_saveexec_b64 s[16:17], vcc
	s_xor_b64 s[16:17], exec, s[16:17]
	s_cbranch_execz .LBB316_2737
; %bb.2707:
	s_movk_i32 s0, 0x80
	v_cmp_eq_u16_e32 vcc, s0, v5
	s_mov_b64 s[0:1], -1
	s_and_saveexec_b64 s[18:19], vcc
; %bb.2708:
	s_xor_b64 s[0:1], exec, -1
; %bb.2709:
	s_or_b64 exec, exec, s[18:19]
	s_and_b64 s[0:1], s[0:1], exec
	s_or_saveexec_b64 s[16:17], s[16:17]
	v_mov_b32_e32 v8, 0x7f800001
	s_xor_b64 exec, exec, s[16:17]
	s_cbranch_execnz .LBB316_2738
.LBB316_2710:
	s_or_b64 exec, exec, s[16:17]
	s_and_saveexec_b64 s[16:17], s[0:1]
	s_cbranch_execz .LBB316_2712
.LBB316_2711:
	v_and_b32_e32 v5, 0xffff, v5
	v_and_b32_e32 v8, 3, v5
	v_ffbh_u32_e32 v14, v8
	v_min_u32_e32 v14, 32, v14
	v_subrev_u32_e32 v15, 29, v14
	v_bfe_u32 v10, v5, 2, 5
	v_lshlrev_b32_e32 v5, v15, v5
	v_and_b32_e32 v5, 3, v5
	v_cmp_eq_u32_e32 vcc, 0, v10
	v_sub_u32_e32 v14, 30, v14
	v_cndmask_b32_e32 v5, v8, v5, vcc
	v_cndmask_b32_e32 v10, v10, v14, vcc
	v_lshlrev_b32_e32 v5, 21, v5
	v_lshl_or_b32 v5, v10, 23, v5
	v_add_u32_e32 v8, 0x37800000, v5
.LBB316_2712:
	s_or_b64 exec, exec, s[16:17]
	v_lshrrev_b32_e32 v5, 23, v8
	s_movk_i32 s0, 0xff
	v_cmp_ne_u32_e32 vcc, s0, v5
	v_mov_b32_e32 v14, 0xff
	s_and_saveexec_b64 s[16:17], vcc
; %bb.2713:
	s_mov_b32 s0, 0x3fffff
	v_and_b32_e32 v10, 0x400000, v8
	v_and_or_b32 v8, v8, s0, v5
	v_cmp_ne_u32_e32 vcc, 0, v10
	v_cmp_ne_u32_e64 s[0:1], 0, v8
	s_and_b64 s[0:1], vcc, s[0:1]
	v_cndmask_b32_e64 v8, 0, 1, s[0:1]
	v_add_u32_e32 v14, v5, v8
; %bb.2714:
	s_or_b64 exec, exec, s[16:17]
	s_mov_b64 s[0:1], 0
	s_branch .LBB316_2720
.LBB316_2715:
	s_mov_b64 s[16:17], -1
                                        ; implicit-def: $vgpr14
	s_branch .LBB316_2730
.LBB316_2716:
	s_or_saveexec_b64 s[18:19], s[18:19]
	v_mov_b32_e32 v8, 0x7f800001
	s_xor_b64 exec, exec, s[18:19]
	s_cbranch_execz .LBB316_2695
.LBB316_2717:
	v_cmp_ne_u16_e32 vcc, 0, v5
	s_andn2_b64 s[0:1], s[0:1], exec
	s_and_b64 s[20:21], vcc, exec
	v_and_b32_e32 v8, 0xffff, v5
	s_or_b64 s[0:1], s[0:1], s[20:21]
	s_or_b64 exec, exec, s[18:19]
	s_and_saveexec_b64 s[18:19], s[0:1]
	s_cbranch_execnz .LBB316_2696
	s_branch .LBB316_2697
.LBB316_2718:
	s_mov_b64 s[0:1], -1
                                        ; implicit-def: $vgpr14
	s_branch .LBB316_2725
.LBB316_2719:
	s_mov_b64 s[0:1], -1
                                        ; implicit-def: $vgpr14
.LBB316_2720:
	s_and_b64 vcc, exec, s[0:1]
	s_cbranch_vccz .LBB316_2724
; %bb.2721:
	global_load_ubyte v5, v[12:13], off
	s_mov_b32 s0, 0x7f800000
	s_movk_i32 s1, 0xff
	s_waitcnt vmcnt(0)
	v_lshlrev_b32_e32 v5, 24, v5
	v_and_b32_e32 v5, 0x7f000000, v5
	v_ffbh_u32_e32 v8, v5
	v_min_u32_e32 v8, 32, v8
	v_sub_u32_e64 v8, v8, 4 clamp
	v_lshlrev_b32_e32 v14, v8, v5
	v_lshlrev_b32_e32 v8, 23, v8
	v_lshrrev_b32_e32 v14, 4, v14
	v_add_u32_e32 v10, 0x1000000, v5
	v_sub_u32_e32 v8, v14, v8
	v_ashrrev_i32_e32 v10, 8, v10
	v_add_u32_e32 v8, 0x3c000000, v8
	v_and_or_b32 v8, v10, s0, v8
	v_cmp_ne_u32_e32 vcc, 0, v5
	v_cndmask_b32_e32 v8, 0, v8, vcc
	v_lshrrev_b32_e32 v5, 23, v8
	v_cmp_ne_u32_e32 vcc, s1, v5
	v_mov_b32_e32 v14, 0xff
	s_and_saveexec_b64 s[16:17], vcc
; %bb.2722:
	s_mov_b32 s0, 0x3fffff
	v_and_b32_e32 v10, 0x400000, v8
	v_and_or_b32 v8, v8, s0, v5
	v_cmp_ne_u32_e32 vcc, 0, v10
	v_cmp_ne_u32_e64 s[0:1], 0, v8
	s_and_b64 s[0:1], vcc, s[0:1]
	v_cndmask_b32_e64 v8, 0, 1, s[0:1]
	v_add_u32_e32 v14, v5, v8
; %bb.2723:
	s_or_b64 exec, exec, s[16:17]
.LBB316_2724:
	s_mov_b64 s[0:1], 0
.LBB316_2725:
	s_andn2_b64 vcc, exec, s[0:1]
	s_cbranch_vccnz .LBB316_2729
; %bb.2726:
	global_load_ubyte v5, v[12:13], off
	s_movk_i32 s0, 0x7f00
	s_brev_b32 s1, 16
	s_movk_i32 s16, 0xff
	s_waitcnt vmcnt(1)
	v_mov_b32_e32 v14, 0xff
	s_waitcnt vmcnt(0)
	v_lshlrev_b32_e32 v8, 8, v5
	v_lshlrev_b32_e32 v5, 25, v5
	v_lshrrev_b32_e32 v10, 4, v5
	v_and_or_b32 v8, v8, s0, 0.5
	v_or_b32_e32 v10, 0x70000000, v10
	v_add_f32_e32 v8, -0.5, v8
	v_mul_f32_e32 v10, 0x7800000, v10
	v_cmp_gt_u32_e32 vcc, s1, v5
	v_cndmask_b32_e32 v5, v10, v8, vcc
	v_bfe_u32 v8, v5, 23, 8
	v_cmp_ne_u32_e32 vcc, s16, v8
	s_and_saveexec_b64 s[16:17], vcc
; %bb.2727:
	s_mov_b32 s0, 0x3fffff
	v_lshrrev_b32_e32 v10, 23, v5
	v_and_b32_e32 v14, 0x400000, v5
	v_and_or_b32 v5, v5, s0, v8
	v_cmp_ne_u32_e32 vcc, 0, v14
	v_cmp_ne_u32_e64 s[0:1], 0, v5
	s_and_b64 s[0:1], vcc, s[0:1]
	v_cndmask_b32_e64 v5, 0, 1, s[0:1]
	v_add_u32_e32 v14, v10, v5
; %bb.2728:
	s_or_b64 exec, exec, s[16:17]
.LBB316_2729:
	s_mov_b64 s[16:17], 0
	s_mov_b64 s[0:1], -1
.LBB316_2730:
	s_andn2_b64 vcc, exec, s[16:17]
	s_mov_b64 s[16:17], 0
	s_cbranch_vccnz .LBB316_2743
; %bb.2731:
	s_cmp_gt_i32 s26, 14
	s_cbranch_scc0 .LBB316_2736
; %bb.2732:
	s_cmp_eq_u32 s26, 15
	s_cbranch_scc0 .LBB316_2739
; %bb.2733:
	global_load_ushort v5, v[12:13], off
	s_movk_i32 s0, 0xff
	s_waitcnt vmcnt(1)
	v_mov_b32_e32 v14, 0xff
	s_waitcnt vmcnt(0)
	v_bfe_u32 v8, v5, 7, 8
	v_cmp_ne_u32_e32 vcc, s0, v8
	s_and_saveexec_b64 s[4:5], vcc
	s_cbranch_execz .LBB316_2735
; %bb.2734:
	v_lshrrev_b32_e32 v10, 7, v5
	v_lshlrev_b32_e32 v14, 16, v5
	v_and_b32_e32 v5, 64, v5
	s_mov_b32 s0, 0x3f0000
	v_cmp_ne_u32_e32 vcc, 0, v5
	v_and_or_b32 v5, v14, s0, v8
	v_cmp_ne_u32_e64 s[0:1], 0, v5
	s_and_b64 s[0:1], vcc, s[0:1]
	v_cndmask_b32_e64 v5, 0, 1, s[0:1]
	v_add_u32_e32 v14, v10, v5
.LBB316_2735:
	s_or_b64 exec, exec, s[4:5]
	s_mov_b64 s[4:5], 0
	s_mov_b64 s[0:1], -1
	s_branch .LBB316_2740
.LBB316_2736:
	s_mov_b64 s[18:19], -1
                                        ; implicit-def: $vgpr14
	s_branch .LBB316_2741
.LBB316_2737:
	s_or_saveexec_b64 s[16:17], s[16:17]
	v_mov_b32_e32 v8, 0x7f800001
	s_xor_b64 exec, exec, s[16:17]
	s_cbranch_execz .LBB316_2710
.LBB316_2738:
	v_cmp_ne_u16_e32 vcc, 0, v5
	s_andn2_b64 s[0:1], s[0:1], exec
	s_and_b64 s[18:19], vcc, exec
	v_and_b32_e32 v8, 0xffff, v5
	s_or_b64 s[0:1], s[0:1], s[18:19]
	s_or_b64 exec, exec, s[16:17]
	s_and_saveexec_b64 s[16:17], s[0:1]
	s_cbranch_execnz .LBB316_2711
	s_branch .LBB316_2712
.LBB316_2739:
	s_mov_b64 s[4:5], -1
                                        ; implicit-def: $vgpr14
.LBB316_2740:
	s_mov_b64 s[18:19], 0
.LBB316_2741:
	s_and_b64 vcc, exec, s[18:19]
	s_cbranch_vccz .LBB316_2743
; %bb.2742:
	s_cmp_lg_u32 s26, 11
	s_mov_b64 s[16:17], -1
	s_cselect_b64 s[4:5], -1, 0
.LBB316_2743:
	s_and_b64 vcc, exec, s[4:5]
	s_cbranch_vccnz .LBB316_2834
; %bb.2744:
	s_andn2_b64 vcc, exec, s[16:17]
	s_cbranch_vccnz .LBB316_2748
.LBB316_2745:
	global_load_ubyte v5, v[12:13], off
	s_movk_i32 s0, 0xff
	s_waitcnt vmcnt(1)
	v_mov_b32_e32 v14, 0xff
	s_waitcnt vmcnt(0)
	v_cmp_ne_u16_e32 vcc, 0, v5
	v_cndmask_b32_e64 v8, 0, 1.0, vcc
	v_lshrrev_b32_e32 v5, 23, v8
	v_cmp_ne_u32_e32 vcc, s0, v5
	s_and_saveexec_b64 s[4:5], vcc
; %bb.2746:
	s_mov_b32 s0, 0x3fffff
	v_and_b32_e32 v10, 0x400000, v8
	v_and_or_b32 v8, v8, s0, v5
	v_cmp_ne_u32_e32 vcc, 0, v10
	v_cmp_ne_u32_e64 s[0:1], 0, v8
	s_and_b64 s[0:1], vcc, s[0:1]
	v_cndmask_b32_e64 v8, 0, 1, s[0:1]
	v_add_u32_e32 v14, v5, v8
; %bb.2747:
	s_or_b64 exec, exec, s[4:5]
	s_mov_b64 s[0:1], -1
.LBB316_2748:
	s_mov_b64 s[4:5], 0
.LBB316_2749:
	s_and_b64 vcc, exec, s[4:5]
	s_cbranch_vccz .LBB316_2820
; %bb.2750:
	s_and_b32 s16, 0xffff, s22
	s_cmp_lt_i32 s16, 5
	s_cbranch_scc1 .LBB316_2757
; %bb.2751:
	s_cmp_lt_i32 s16, 8
	s_cbranch_scc1 .LBB316_2758
; %bb.2752:
	;; [unrolled: 3-line block ×3, first 2 shown]
	s_cmp_gt_i32 s16, 9
	s_cbranch_scc0 .LBB316_2760
; %bb.2754:
	global_load_dwordx2 v[14:15], v[12:13], off
	s_movk_i32 s0, 0xff
	s_waitcnt vmcnt(0)
	v_cvt_f32_f64_e32 v5, v[14:15]
	v_mov_b32_e32 v14, 0xff
	v_bfe_u32 v8, v5, 23, 8
	v_cmp_ne_u32_e32 vcc, s0, v8
	s_and_saveexec_b64 s[4:5], vcc
; %bb.2755:
	s_mov_b32 s0, 0x3fffff
	v_lshrrev_b32_e32 v10, 23, v5
	v_and_b32_e32 v14, 0x400000, v5
	v_and_or_b32 v5, v5, s0, v8
	v_cmp_ne_u32_e32 vcc, 0, v14
	v_cmp_ne_u32_e64 s[0:1], 0, v5
	s_and_b64 s[0:1], vcc, s[0:1]
	v_cndmask_b32_e64 v5, 0, 1, s[0:1]
	v_add_u32_e32 v14, v10, v5
; %bb.2756:
	s_or_b64 exec, exec, s[4:5]
	s_mov_b64 s[0:1], 0
	s_branch .LBB316_2761
.LBB316_2757:
	s_mov_b64 s[0:1], -1
                                        ; implicit-def: $vgpr14
	s_branch .LBB316_2789
.LBB316_2758:
	s_mov_b64 s[0:1], -1
                                        ; implicit-def: $vgpr14
	s_branch .LBB316_2771
.LBB316_2759:
	s_mov_b64 s[0:1], -1
                                        ; implicit-def: $vgpr14
	s_branch .LBB316_2766
.LBB316_2760:
	s_mov_b64 s[0:1], -1
                                        ; implicit-def: $vgpr14
.LBB316_2761:
	s_andn2_b64 vcc, exec, s[0:1]
	s_cbranch_vccnz .LBB316_2765
; %bb.2762:
	global_load_dword v5, v[12:13], off
	s_movk_i32 s0, 0xff
	s_waitcnt vmcnt(1)
	v_mov_b32_e32 v14, 0xff
	s_waitcnt vmcnt(0)
	v_bfe_u32 v8, v5, 23, 8
	v_cmp_ne_u32_e32 vcc, s0, v8
	s_and_saveexec_b64 s[4:5], vcc
; %bb.2763:
	s_mov_b32 s0, 0x3fffff
	v_lshrrev_b32_e32 v10, 23, v5
	v_and_b32_e32 v14, 0x400000, v5
	v_and_or_b32 v5, v5, s0, v8
	v_cmp_ne_u32_e32 vcc, 0, v14
	v_cmp_ne_u32_e64 s[0:1], 0, v5
	s_and_b64 s[0:1], vcc, s[0:1]
	v_cndmask_b32_e64 v5, 0, 1, s[0:1]
	v_add_u32_e32 v14, v10, v5
; %bb.2764:
	s_or_b64 exec, exec, s[4:5]
.LBB316_2765:
	s_mov_b64 s[0:1], 0
.LBB316_2766:
	s_andn2_b64 vcc, exec, s[0:1]
	s_cbranch_vccnz .LBB316_2770
; %bb.2767:
	global_load_dword v5, v[12:13], off
	s_movk_i32 s0, 0xff
	s_waitcnt vmcnt(1)
	v_mov_b32_e32 v14, 0xff
	s_waitcnt vmcnt(0)
	v_cvt_f32_f16_e32 v5, v5
	v_bfe_u32 v8, v5, 23, 8
	v_cmp_ne_u32_e32 vcc, s0, v8
	s_and_saveexec_b64 s[4:5], vcc
; %bb.2768:
	s_mov_b32 s0, 0x3fffff
	v_lshrrev_b32_e32 v10, 23, v5
	v_and_b32_e32 v14, 0x400000, v5
	v_and_or_b32 v5, v5, s0, v8
	v_cmp_ne_u32_e32 vcc, 0, v14
	v_cmp_ne_u32_e64 s[0:1], 0, v5
	s_and_b64 s[0:1], vcc, s[0:1]
	v_cndmask_b32_e64 v5, 0, 1, s[0:1]
	v_add_u32_e32 v14, v10, v5
; %bb.2769:
	s_or_b64 exec, exec, s[4:5]
.LBB316_2770:
	s_mov_b64 s[0:1], 0
.LBB316_2771:
	s_andn2_b64 vcc, exec, s[0:1]
	s_cbranch_vccnz .LBB316_2788
; %bb.2772:
	s_cmp_lt_i32 s16, 6
	s_cbranch_scc1 .LBB316_2777
; %bb.2773:
	s_cmp_gt_i32 s16, 6
	s_cbranch_scc0 .LBB316_2778
; %bb.2774:
	global_load_dwordx2 v[14:15], v[12:13], off
	s_movk_i32 s0, 0xff
	s_waitcnt vmcnt(0)
	v_cvt_f32_f64_e32 v5, v[14:15]
	v_mov_b32_e32 v14, 0xff
	v_bfe_u32 v8, v5, 23, 8
	v_cmp_ne_u32_e32 vcc, s0, v8
	s_and_saveexec_b64 s[4:5], vcc
; %bb.2775:
	s_mov_b32 s0, 0x3fffff
	v_lshrrev_b32_e32 v10, 23, v5
	v_and_b32_e32 v14, 0x400000, v5
	v_and_or_b32 v5, v5, s0, v8
	v_cmp_ne_u32_e32 vcc, 0, v14
	v_cmp_ne_u32_e64 s[0:1], 0, v5
	s_and_b64 s[0:1], vcc, s[0:1]
	v_cndmask_b32_e64 v5, 0, 1, s[0:1]
	v_add_u32_e32 v14, v10, v5
; %bb.2776:
	s_or_b64 exec, exec, s[4:5]
	s_mov_b64 s[0:1], 0
	s_branch .LBB316_2779
.LBB316_2777:
	s_mov_b64 s[0:1], -1
                                        ; implicit-def: $vgpr14
	s_branch .LBB316_2784
.LBB316_2778:
	s_mov_b64 s[0:1], -1
                                        ; implicit-def: $vgpr14
.LBB316_2779:
	s_andn2_b64 vcc, exec, s[0:1]
	s_cbranch_vccnz .LBB316_2783
; %bb.2780:
	global_load_dword v5, v[12:13], off
	s_movk_i32 s0, 0xff
	s_waitcnt vmcnt(1)
	v_mov_b32_e32 v14, 0xff
	s_waitcnt vmcnt(0)
	v_bfe_u32 v8, v5, 23, 8
	v_cmp_ne_u32_e32 vcc, s0, v8
	s_and_saveexec_b64 s[4:5], vcc
; %bb.2781:
	s_mov_b32 s0, 0x3fffff
	v_lshrrev_b32_e32 v10, 23, v5
	v_and_b32_e32 v14, 0x400000, v5
	v_and_or_b32 v5, v5, s0, v8
	v_cmp_ne_u32_e32 vcc, 0, v14
	v_cmp_ne_u32_e64 s[0:1], 0, v5
	s_and_b64 s[0:1], vcc, s[0:1]
	v_cndmask_b32_e64 v5, 0, 1, s[0:1]
	v_add_u32_e32 v14, v10, v5
; %bb.2782:
	s_or_b64 exec, exec, s[4:5]
.LBB316_2783:
	s_mov_b64 s[0:1], 0
.LBB316_2784:
	s_andn2_b64 vcc, exec, s[0:1]
	s_cbranch_vccnz .LBB316_2788
; %bb.2785:
	global_load_ushort v5, v[12:13], off
	s_movk_i32 s0, 0xff
	s_waitcnt vmcnt(1)
	v_mov_b32_e32 v14, 0xff
	s_waitcnt vmcnt(0)
	v_cvt_f32_f16_e32 v5, v5
	v_bfe_u32 v8, v5, 23, 8
	v_cmp_ne_u32_e32 vcc, s0, v8
	s_and_saveexec_b64 s[4:5], vcc
; %bb.2786:
	s_mov_b32 s0, 0x3fffff
	v_lshrrev_b32_e32 v10, 23, v5
	v_and_b32_e32 v14, 0x400000, v5
	v_and_or_b32 v5, v5, s0, v8
	v_cmp_ne_u32_e32 vcc, 0, v14
	v_cmp_ne_u32_e64 s[0:1], 0, v5
	s_and_b64 s[0:1], vcc, s[0:1]
	v_cndmask_b32_e64 v5, 0, 1, s[0:1]
	v_add_u32_e32 v14, v10, v5
; %bb.2787:
	s_or_b64 exec, exec, s[4:5]
.LBB316_2788:
	s_mov_b64 s[0:1], 0
.LBB316_2789:
	s_andn2_b64 vcc, exec, s[0:1]
	s_cbranch_vccnz .LBB316_2819
; %bb.2790:
	s_cmp_lt_i32 s16, 2
	s_cbranch_scc1 .LBB316_2796
; %bb.2791:
	s_cmp_lt_i32 s16, 3
	s_cbranch_scc1 .LBB316_2797
; %bb.2792:
	s_cmp_gt_i32 s16, 3
	s_cbranch_scc0 .LBB316_2798
; %bb.2793:
	global_load_dwordx2 v[14:15], v[12:13], off
	s_movk_i32 s0, 0xff
	s_waitcnt vmcnt(0)
	v_xor_b32_e32 v8, v14, v15
	v_ffbh_i32_e32 v5, v15
	v_ashrrev_i32_e32 v8, 31, v8
	v_add_u32_e32 v5, -1, v5
	v_add_u32_e32 v8, 32, v8
	v_min_u32_e32 v5, v5, v8
	v_lshlrev_b64 v[14:15], v5, v[14:15]
	v_sub_u32_e32 v5, 32, v5
	v_min_u32_e32 v8, 1, v14
	v_or_b32_e32 v8, v15, v8
	v_cvt_f32_i32_e32 v8, v8
	v_mov_b32_e32 v14, 0xff
	v_ldexp_f32 v5, v8, v5
	v_bfe_u32 v8, v5, 23, 8
	v_cmp_ne_u32_e32 vcc, s0, v8
	s_and_saveexec_b64 s[4:5], vcc
; %bb.2794:
	s_mov_b32 s0, 0x3fffff
	v_lshrrev_b32_e32 v10, 23, v5
	v_and_b32_e32 v14, 0x400000, v5
	v_and_or_b32 v5, v5, s0, v8
	v_cmp_ne_u32_e32 vcc, 0, v14
	v_cmp_ne_u32_e64 s[0:1], 0, v5
	s_and_b64 s[0:1], vcc, s[0:1]
	v_cndmask_b32_e64 v5, 0, 1, s[0:1]
	v_add_u32_e32 v14, v10, v5
; %bb.2795:
	s_or_b64 exec, exec, s[4:5]
	s_mov_b64 s[0:1], 0
	s_branch .LBB316_2799
.LBB316_2796:
	s_mov_b64 s[0:1], -1
                                        ; implicit-def: $vgpr14
	s_branch .LBB316_2809
.LBB316_2797:
	s_mov_b64 s[0:1], -1
                                        ; implicit-def: $vgpr14
	s_branch .LBB316_2804
.LBB316_2798:
	s_mov_b64 s[0:1], -1
                                        ; implicit-def: $vgpr14
.LBB316_2799:
	s_andn2_b64 vcc, exec, s[0:1]
	s_cbranch_vccnz .LBB316_2803
; %bb.2800:
	global_load_dword v5, v[12:13], off
	s_movk_i32 s0, 0xff
	s_waitcnt vmcnt(1)
	v_mov_b32_e32 v14, 0xff
	s_waitcnt vmcnt(0)
	v_cvt_f32_i32_e32 v5, v5
	v_bfe_u32 v8, v5, 23, 8
	v_cmp_ne_u32_e32 vcc, s0, v8
	s_and_saveexec_b64 s[4:5], vcc
; %bb.2801:
	s_mov_b32 s0, 0x3fffff
	v_lshrrev_b32_e32 v10, 23, v5
	v_and_b32_e32 v14, 0x400000, v5
	v_and_or_b32 v5, v5, s0, v8
	v_cmp_ne_u32_e32 vcc, 0, v14
	v_cmp_ne_u32_e64 s[0:1], 0, v5
	s_and_b64 s[0:1], vcc, s[0:1]
	v_cndmask_b32_e64 v5, 0, 1, s[0:1]
	v_add_u32_e32 v14, v10, v5
; %bb.2802:
	s_or_b64 exec, exec, s[4:5]
.LBB316_2803:
	s_mov_b64 s[0:1], 0
.LBB316_2804:
	s_andn2_b64 vcc, exec, s[0:1]
	s_cbranch_vccnz .LBB316_2808
; %bb.2805:
	global_load_sshort v5, v[12:13], off
	s_movk_i32 s0, 0xff
	s_waitcnt vmcnt(1)
	v_mov_b32_e32 v14, 0xff
	s_waitcnt vmcnt(0)
	v_cvt_f32_i32_e32 v5, v5
	v_bfe_u32 v8, v5, 23, 8
	v_cmp_ne_u32_e32 vcc, s0, v8
	s_and_saveexec_b64 s[4:5], vcc
; %bb.2806:
	s_mov_b32 s0, 0x3fffff
	v_lshrrev_b32_e32 v10, 23, v5
	v_and_b32_e32 v14, 0x400000, v5
	v_and_or_b32 v5, v5, s0, v8
	v_cmp_ne_u32_e32 vcc, 0, v14
	v_cmp_ne_u32_e64 s[0:1], 0, v5
	s_and_b64 s[0:1], vcc, s[0:1]
	v_cndmask_b32_e64 v5, 0, 1, s[0:1]
	v_add_u32_e32 v14, v10, v5
; %bb.2807:
	s_or_b64 exec, exec, s[4:5]
.LBB316_2808:
	s_mov_b64 s[0:1], 0
.LBB316_2809:
	s_andn2_b64 vcc, exec, s[0:1]
	s_cbranch_vccnz .LBB316_2819
; %bb.2810:
	s_cmp_gt_i32 s16, 0
	s_cbranch_scc0 .LBB316_2814
; %bb.2811:
	global_load_sbyte v5, v[12:13], off
	s_movk_i32 s0, 0xff
	s_waitcnt vmcnt(1)
	v_mov_b32_e32 v14, 0xff
	s_waitcnt vmcnt(0)
	v_cvt_f32_i32_e32 v5, v5
	v_bfe_u32 v8, v5, 23, 8
	v_cmp_ne_u32_e32 vcc, s0, v8
	s_and_saveexec_b64 s[4:5], vcc
; %bb.2812:
	s_mov_b32 s0, 0x3fffff
	v_lshrrev_b32_e32 v10, 23, v5
	v_and_b32_e32 v14, 0x400000, v5
	v_and_or_b32 v5, v5, s0, v8
	v_cmp_ne_u32_e32 vcc, 0, v14
	v_cmp_ne_u32_e64 s[0:1], 0, v5
	s_and_b64 s[0:1], vcc, s[0:1]
	v_cndmask_b32_e64 v5, 0, 1, s[0:1]
	v_add_u32_e32 v14, v10, v5
; %bb.2813:
	s_or_b64 exec, exec, s[4:5]
	s_mov_b64 s[0:1], 0
	s_branch .LBB316_2815
.LBB316_2814:
	s_mov_b64 s[0:1], -1
                                        ; implicit-def: $vgpr14
.LBB316_2815:
	s_andn2_b64 vcc, exec, s[0:1]
	s_cbranch_vccnz .LBB316_2819
; %bb.2816:
	global_load_ubyte v5, v[12:13], off
	s_movk_i32 s0, 0xff
	s_waitcnt vmcnt(1)
	v_mov_b32_e32 v14, 0xff
	s_waitcnt vmcnt(0)
	v_cvt_f32_ubyte0_e32 v8, v5
	v_lshrrev_b32_e32 v5, 23, v8
	v_cmp_ne_u32_e32 vcc, s0, v5
	s_and_saveexec_b64 s[4:5], vcc
; %bb.2817:
	s_mov_b32 s0, 0x3fffff
	v_and_b32_e32 v10, 0x400000, v8
	v_and_or_b32 v8, v8, s0, v5
	v_cmp_ne_u32_e32 vcc, 0, v10
	v_cmp_ne_u32_e64 s[0:1], 0, v8
	s_and_b64 s[0:1], vcc, s[0:1]
	v_cndmask_b32_e64 v8, 0, 1, s[0:1]
	v_add_u32_e32 v14, v5, v8
; %bb.2818:
	s_or_b64 exec, exec, s[4:5]
.LBB316_2819:
	s_mov_b64 s[0:1], -1
.LBB316_2820:
	s_andn2_b64 vcc, exec, s[0:1]
	s_cbranch_vccnz .LBB316_3772
; %bb.2821:
	v_mov_b32_e32 v5, s3
	v_add_co_u32_e32 v10, vcc, s2, v11
	s_cmp_lt_i32 s23, 11
	v_addc_co_u32_e32 v11, vcc, 0, v5, vcc
	s_cbranch_scc1 .LBB316_2830
; %bb.2822:
	s_and_b32 s26, 0xffff, s23
	s_cmp_gt_i32 s26, 25
	s_mov_b64 s[16:17], 0
	s_cbranch_scc0 .LBB316_2831
; %bb.2823:
	s_cmp_gt_i32 s26, 28
	s_cbranch_scc0 .LBB316_2832
; %bb.2824:
	s_cmp_gt_i32 s26, 43
	;; [unrolled: 3-line block ×3, first 2 shown]
	s_cbranch_scc0 .LBB316_2835
; %bb.2826:
	s_cmp_eq_u32 s26, 46
	s_mov_b64 s[18:19], 0
	s_cbranch_scc0 .LBB316_2838
; %bb.2827:
	global_load_dword v5, v[10:11], off
	s_movk_i32 s0, 0xff
	v_mov_b32_e32 v12, 0xff
	s_waitcnt vmcnt(0)
	v_lshlrev_b32_e32 v8, 16, v5
	v_bfe_u32 v13, v8, 23, 8
	v_cmp_ne_u32_e32 vcc, s0, v13
	s_and_saveexec_b64 s[4:5], vcc
; %bb.2828:
	v_bfe_u32 v12, v5, 7, 9
	v_and_b32_e32 v5, 64, v5
	s_mov_b32 s0, 0x3f0000
	v_cmp_ne_u32_e32 vcc, 0, v5
	v_and_or_b32 v5, v8, s0, v13
	v_cmp_ne_u32_e64 s[0:1], 0, v5
	s_and_b64 s[0:1], vcc, s[0:1]
	v_cndmask_b32_e64 v5, 0, 1, s[0:1]
	v_add_u32_e32 v12, v12, v5
; %bb.2829:
	s_or_b64 exec, exec, s[4:5]
	s_mov_b64 s[4:5], 0
	s_mov_b64 s[0:1], -1
	s_branch .LBB316_2839
.LBB316_2830:
	s_mov_b64 s[4:5], -1
	s_mov_b64 s[0:1], 0
                                        ; implicit-def: $vgpr12
	s_branch .LBB316_2923
.LBB316_2831:
	s_mov_b64 s[18:19], -1
	s_mov_b64 s[0:1], 0
	s_mov_b64 s[4:5], 0
                                        ; implicit-def: $vgpr12
	s_branch .LBB316_2876
.LBB316_2832:
	s_mov_b64 s[18:19], -1
	s_mov_b64 s[0:1], 0
	s_mov_b64 s[4:5], 0
                                        ; implicit-def: $vgpr12
	s_branch .LBB316_2851
.LBB316_2833:
	s_mov_b64 s[18:19], -1
	s_mov_b64 s[0:1], 0
	s_mov_b64 s[4:5], 0
                                        ; implicit-def: $vgpr12
	s_branch .LBB316_2844
.LBB316_2834:
	s_trap 2
	s_or_b64 s[14:15], s[14:15], exec
	s_cbranch_execz .LBB316_2745
	s_branch .LBB316_2748
.LBB316_2835:
	s_mov_b64 s[18:19], -1
	s_mov_b64 s[0:1], 0
	s_mov_b64 s[4:5], 0
                                        ; implicit-def: $vgpr12
	s_branch .LBB316_2839
.LBB316_2836:
	s_andn2_saveexec_b64 s[68:69], s[68:69]
	s_cbranch_execz .LBB316_1373
.LBB316_2837:
	v_add_f32_e32 v2, 0x42800000, v3
	v_and_b32_e32 v2, 0xff, v2
	v_cmp_ne_u32_e32 vcc, 0, v2
	s_andn2_b64 s[66:67], s[66:67], exec
	s_and_b64 s[76:77], vcc, exec
	s_or_b64 s[66:67], s[66:67], s[76:77]
	s_or_b64 exec, exec, s[68:69]
	v_mov_b32_e32 v4, 0
	s_and_saveexec_b64 s[68:69], s[66:67]
	s_cbranch_execnz .LBB316_1374
	s_branch .LBB316_1375
.LBB316_2838:
	s_mov_b64 s[4:5], -1
                                        ; implicit-def: $vgpr12
	s_mov_b64 s[0:1], 0
.LBB316_2839:
	s_and_b64 vcc, exec, s[18:19]
	s_cbranch_vccz .LBB316_2843
; %bb.2840:
	s_cmp_eq_u32 s26, 44
	s_cbranch_scc0 .LBB316_2842
; %bb.2841:
	global_load_ubyte v12, v[10:11], off
	s_mov_b64 s[4:5], 0
	s_mov_b64 s[0:1], -1
	s_branch .LBB316_2843
.LBB316_2842:
	s_mov_b64 s[4:5], -1
                                        ; implicit-def: $vgpr12
.LBB316_2843:
	s_mov_b64 s[18:19], 0
.LBB316_2844:
	s_and_b64 vcc, exec, s[18:19]
	s_cbranch_vccz .LBB316_2850
; %bb.2845:
	s_cmp_eq_u32 s26, 29
	s_cbranch_scc0 .LBB316_2849
; %bb.2846:
	global_load_dwordx2 v[12:13], v[10:11], off
	s_movk_i32 s0, 0xff
	s_waitcnt vmcnt(0)
	v_ffbh_u32_e32 v5, v13
	v_min_u32_e32 v5, 32, v5
	v_lshlrev_b64 v[12:13], v5, v[12:13]
	v_sub_u32_e32 v5, 32, v5
	v_min_u32_e32 v8, 1, v12
	v_or_b32_e32 v8, v13, v8
	v_cvt_f32_u32_e32 v8, v8
	v_mov_b32_e32 v12, 0xff
	v_ldexp_f32 v8, v8, v5
	v_lshrrev_b32_e32 v5, 23, v8
	v_cmp_ne_u32_e32 vcc, s0, v5
	s_and_saveexec_b64 s[4:5], vcc
; %bb.2847:
	s_mov_b32 s0, 0x3fffff
	v_and_b32_e32 v12, 0x400000, v8
	v_and_or_b32 v8, v8, s0, v5
	v_cmp_ne_u32_e32 vcc, 0, v12
	v_cmp_ne_u32_e64 s[0:1], 0, v8
	s_and_b64 s[0:1], vcc, s[0:1]
	v_cndmask_b32_e64 v8, 0, 1, s[0:1]
	v_add_u32_e32 v12, v5, v8
; %bb.2848:
	s_or_b64 exec, exec, s[4:5]
	s_mov_b64 s[4:5], 0
	s_mov_b64 s[0:1], -1
	s_branch .LBB316_2850
.LBB316_2849:
	s_mov_b64 s[4:5], -1
                                        ; implicit-def: $vgpr12
.LBB316_2850:
	s_mov_b64 s[18:19], 0
.LBB316_2851:
	s_and_b64 vcc, exec, s[18:19]
	s_cbranch_vccz .LBB316_2875
; %bb.2852:
	s_cmp_lt_i32 s26, 27
	s_cbranch_scc1 .LBB316_2857
; %bb.2853:
	s_cmp_gt_i32 s26, 27
	s_cbranch_scc0 .LBB316_2858
; %bb.2854:
	global_load_dword v5, v[10:11], off
	s_movk_i32 s0, 0xff
	s_waitcnt vmcnt(1)
	v_mov_b32_e32 v12, 0xff
	s_waitcnt vmcnt(0)
	v_cvt_f32_u32_e32 v8, v5
	v_lshrrev_b32_e32 v5, 23, v8
	v_cmp_ne_u32_e32 vcc, s0, v5
	s_and_saveexec_b64 s[18:19], vcc
; %bb.2855:
	s_mov_b32 s0, 0x3fffff
	v_and_b32_e32 v12, 0x400000, v8
	v_and_or_b32 v8, v8, s0, v5
	v_cmp_ne_u32_e32 vcc, 0, v12
	v_cmp_ne_u32_e64 s[0:1], 0, v8
	s_and_b64 s[0:1], vcc, s[0:1]
	v_cndmask_b32_e64 v8, 0, 1, s[0:1]
	v_add_u32_e32 v12, v5, v8
; %bb.2856:
	s_or_b64 exec, exec, s[18:19]
	s_mov_b64 s[0:1], 0
	s_branch .LBB316_2859
.LBB316_2857:
	s_mov_b64 s[0:1], -1
                                        ; implicit-def: $vgpr12
	s_branch .LBB316_2864
.LBB316_2858:
	s_mov_b64 s[0:1], -1
                                        ; implicit-def: $vgpr12
.LBB316_2859:
	s_andn2_b64 vcc, exec, s[0:1]
	s_cbranch_vccnz .LBB316_2863
; %bb.2860:
	global_load_ushort v5, v[10:11], off
	s_movk_i32 s0, 0xff
	s_waitcnt vmcnt(1)
	v_mov_b32_e32 v12, 0xff
	s_waitcnt vmcnt(0)
	v_cvt_f32_u32_e32 v8, v5
	v_lshrrev_b32_e32 v5, 23, v8
	v_cmp_ne_u32_e32 vcc, s0, v5
	s_and_saveexec_b64 s[18:19], vcc
; %bb.2861:
	s_mov_b32 s0, 0x3fffff
	v_and_b32_e32 v12, 0x400000, v8
	v_and_or_b32 v8, v8, s0, v5
	v_cmp_ne_u32_e32 vcc, 0, v12
	v_cmp_ne_u32_e64 s[0:1], 0, v8
	s_and_b64 s[0:1], vcc, s[0:1]
	v_cndmask_b32_e64 v8, 0, 1, s[0:1]
	v_add_u32_e32 v12, v5, v8
; %bb.2862:
	s_or_b64 exec, exec, s[18:19]
.LBB316_2863:
	s_mov_b64 s[0:1], 0
.LBB316_2864:
	s_andn2_b64 vcc, exec, s[0:1]
	s_cbranch_vccnz .LBB316_2874
; %bb.2865:
	global_load_ubyte v5, v[10:11], off
	s_movk_i32 s0, 0x7f
	s_waitcnt vmcnt(0)
	v_cmp_lt_i16_e32 vcc, s0, v5
	s_mov_b64 s[0:1], 0
	s_and_saveexec_b64 s[18:19], vcc
	s_xor_b64 s[18:19], exec, s[18:19]
	s_cbranch_execz .LBB316_2890
; %bb.2866:
	s_movk_i32 s0, 0x80
	v_cmp_eq_u16_e32 vcc, s0, v5
	s_mov_b64 s[0:1], -1
	s_and_saveexec_b64 s[20:21], vcc
; %bb.2867:
	s_xor_b64 s[0:1], exec, -1
; %bb.2868:
	s_or_b64 exec, exec, s[20:21]
	s_and_b64 s[0:1], s[0:1], exec
	s_or_saveexec_b64 s[18:19], s[18:19]
	v_mov_b32_e32 v8, 0x7f800001
	s_xor_b64 exec, exec, s[18:19]
	s_cbranch_execnz .LBB316_2891
.LBB316_2869:
	s_or_b64 exec, exec, s[18:19]
	s_and_saveexec_b64 s[18:19], s[0:1]
	s_cbranch_execz .LBB316_2871
.LBB316_2870:
	v_and_b32_e32 v5, 0xffff, v5
	v_and_b32_e32 v8, 7, v5
	v_ffbh_u32_e32 v13, v8
	v_min_u32_e32 v13, 32, v13
	v_subrev_u32_e32 v15, 28, v13
	v_bfe_u32 v12, v5, 3, 4
	v_lshlrev_b32_e32 v5, v15, v5
	v_and_b32_e32 v5, 7, v5
	v_cmp_eq_u32_e32 vcc, 0, v12
	v_sub_u32_e32 v13, 29, v13
	v_cndmask_b32_e32 v5, v8, v5, vcc
	v_cndmask_b32_e32 v12, v12, v13, vcc
	v_lshlrev_b32_e32 v5, 20, v5
	v_lshl_or_b32 v5, v12, 23, v5
	v_add_u32_e32 v8, 0x3b800000, v5
.LBB316_2871:
	s_or_b64 exec, exec, s[18:19]
	v_lshrrev_b32_e32 v5, 23, v8
	s_movk_i32 s0, 0xff
	v_cmp_ne_u32_e32 vcc, s0, v5
	v_mov_b32_e32 v12, 0xff
	s_and_saveexec_b64 s[18:19], vcc
; %bb.2872:
	s_mov_b32 s0, 0x3fffff
	v_and_b32_e32 v12, 0x400000, v8
	v_and_or_b32 v8, v8, s0, v5
	v_cmp_ne_u32_e32 vcc, 0, v12
	v_cmp_ne_u32_e64 s[0:1], 0, v8
	s_and_b64 s[0:1], vcc, s[0:1]
	v_cndmask_b32_e64 v8, 0, 1, s[0:1]
	v_add_u32_e32 v12, v5, v8
; %bb.2873:
	s_or_b64 exec, exec, s[18:19]
.LBB316_2874:
	s_mov_b64 s[0:1], -1
.LBB316_2875:
	s_mov_b64 s[18:19], 0
.LBB316_2876:
	s_and_b64 vcc, exec, s[18:19]
	s_cbranch_vccz .LBB316_2917
; %bb.2877:
	s_cmp_gt_i32 s26, 22
	s_cbranch_scc0 .LBB316_2889
; %bb.2878:
	s_cmp_lt_i32 s26, 24
	s_cbranch_scc1 .LBB316_2892
; %bb.2879:
	s_cmp_gt_i32 s26, 24
	s_cbranch_scc0 .LBB316_2893
; %bb.2880:
	global_load_ubyte v5, v[10:11], off
	s_movk_i32 s0, 0x7f
	s_waitcnt vmcnt(0)
	v_cmp_lt_i16_e32 vcc, s0, v5
	s_mov_b64 s[0:1], 0
	s_and_saveexec_b64 s[16:17], vcc
	s_xor_b64 s[16:17], exec, s[16:17]
	s_cbranch_execz .LBB316_2911
; %bb.2881:
	s_movk_i32 s0, 0x80
	v_cmp_eq_u16_e32 vcc, s0, v5
	s_mov_b64 s[0:1], -1
	s_and_saveexec_b64 s[18:19], vcc
; %bb.2882:
	s_xor_b64 s[0:1], exec, -1
; %bb.2883:
	s_or_b64 exec, exec, s[18:19]
	s_and_b64 s[0:1], s[0:1], exec
	s_or_saveexec_b64 s[16:17], s[16:17]
	v_mov_b32_e32 v8, 0x7f800001
	s_xor_b64 exec, exec, s[16:17]
	s_cbranch_execnz .LBB316_2912
.LBB316_2884:
	s_or_b64 exec, exec, s[16:17]
	s_and_saveexec_b64 s[16:17], s[0:1]
	s_cbranch_execz .LBB316_2886
.LBB316_2885:
	v_and_b32_e32 v5, 0xffff, v5
	v_and_b32_e32 v8, 3, v5
	v_ffbh_u32_e32 v13, v8
	v_min_u32_e32 v13, 32, v13
	v_subrev_u32_e32 v15, 29, v13
	v_bfe_u32 v12, v5, 2, 5
	v_lshlrev_b32_e32 v5, v15, v5
	v_and_b32_e32 v5, 3, v5
	v_cmp_eq_u32_e32 vcc, 0, v12
	v_sub_u32_e32 v13, 30, v13
	v_cndmask_b32_e32 v5, v8, v5, vcc
	v_cndmask_b32_e32 v12, v12, v13, vcc
	v_lshlrev_b32_e32 v5, 21, v5
	v_lshl_or_b32 v5, v12, 23, v5
	v_add_u32_e32 v8, 0x37800000, v5
.LBB316_2886:
	s_or_b64 exec, exec, s[16:17]
	v_lshrrev_b32_e32 v5, 23, v8
	s_movk_i32 s0, 0xff
	v_cmp_ne_u32_e32 vcc, s0, v5
	v_mov_b32_e32 v12, 0xff
	s_and_saveexec_b64 s[16:17], vcc
; %bb.2887:
	s_mov_b32 s0, 0x3fffff
	v_and_b32_e32 v12, 0x400000, v8
	v_and_or_b32 v8, v8, s0, v5
	v_cmp_ne_u32_e32 vcc, 0, v12
	v_cmp_ne_u32_e64 s[0:1], 0, v8
	s_and_b64 s[0:1], vcc, s[0:1]
	v_cndmask_b32_e64 v8, 0, 1, s[0:1]
	v_add_u32_e32 v12, v5, v8
; %bb.2888:
	s_or_b64 exec, exec, s[16:17]
	s_mov_b64 s[0:1], 0
	s_branch .LBB316_2894
.LBB316_2889:
	s_mov_b64 s[16:17], -1
                                        ; implicit-def: $vgpr12
	s_branch .LBB316_2904
.LBB316_2890:
	s_or_saveexec_b64 s[18:19], s[18:19]
	v_mov_b32_e32 v8, 0x7f800001
	s_xor_b64 exec, exec, s[18:19]
	s_cbranch_execz .LBB316_2869
.LBB316_2891:
	v_cmp_ne_u16_e32 vcc, 0, v5
	s_andn2_b64 s[0:1], s[0:1], exec
	s_and_b64 s[20:21], vcc, exec
	v_and_b32_e32 v8, 0xffff, v5
	s_or_b64 s[0:1], s[0:1], s[20:21]
	s_or_b64 exec, exec, s[18:19]
	s_and_saveexec_b64 s[18:19], s[0:1]
	s_cbranch_execnz .LBB316_2870
	s_branch .LBB316_2871
.LBB316_2892:
	s_mov_b64 s[0:1], -1
                                        ; implicit-def: $vgpr12
	s_branch .LBB316_2899
.LBB316_2893:
	s_mov_b64 s[0:1], -1
                                        ; implicit-def: $vgpr12
.LBB316_2894:
	s_and_b64 vcc, exec, s[0:1]
	s_cbranch_vccz .LBB316_2898
; %bb.2895:
	global_load_ubyte v5, v[10:11], off
	s_mov_b32 s0, 0x7f800000
	s_movk_i32 s1, 0xff
	s_waitcnt vmcnt(0)
	v_lshlrev_b32_e32 v5, 24, v5
	v_and_b32_e32 v5, 0x7f000000, v5
	v_ffbh_u32_e32 v8, v5
	v_min_u32_e32 v8, 32, v8
	v_sub_u32_e64 v8, v8, 4 clamp
	v_lshlrev_b32_e32 v13, v8, v5
	v_lshlrev_b32_e32 v8, 23, v8
	v_lshrrev_b32_e32 v13, 4, v13
	v_add_u32_e32 v12, 0x1000000, v5
	v_sub_u32_e32 v8, v13, v8
	v_ashrrev_i32_e32 v12, 8, v12
	v_add_u32_e32 v8, 0x3c000000, v8
	v_and_or_b32 v8, v12, s0, v8
	v_cmp_ne_u32_e32 vcc, 0, v5
	v_cndmask_b32_e32 v8, 0, v8, vcc
	v_lshrrev_b32_e32 v5, 23, v8
	v_cmp_ne_u32_e32 vcc, s1, v5
	v_mov_b32_e32 v12, 0xff
	s_and_saveexec_b64 s[16:17], vcc
; %bb.2896:
	s_mov_b32 s0, 0x3fffff
	v_and_b32_e32 v12, 0x400000, v8
	v_and_or_b32 v8, v8, s0, v5
	v_cmp_ne_u32_e32 vcc, 0, v12
	v_cmp_ne_u32_e64 s[0:1], 0, v8
	s_and_b64 s[0:1], vcc, s[0:1]
	v_cndmask_b32_e64 v8, 0, 1, s[0:1]
	v_add_u32_e32 v12, v5, v8
; %bb.2897:
	s_or_b64 exec, exec, s[16:17]
.LBB316_2898:
	s_mov_b64 s[0:1], 0
.LBB316_2899:
	s_andn2_b64 vcc, exec, s[0:1]
	s_cbranch_vccnz .LBB316_2903
; %bb.2900:
	global_load_ubyte v5, v[10:11], off
	s_movk_i32 s0, 0x7f00
	s_brev_b32 s1, 16
	s_movk_i32 s16, 0xff
	s_waitcnt vmcnt(0)
	v_lshlrev_b32_e32 v8, 8, v5
	v_lshlrev_b32_e32 v5, 25, v5
	v_lshrrev_b32_e32 v12, 4, v5
	v_and_or_b32 v8, v8, s0, 0.5
	v_or_b32_e32 v12, 0x70000000, v12
	v_add_f32_e32 v8, -0.5, v8
	v_mul_f32_e32 v12, 0x7800000, v12
	v_cmp_gt_u32_e32 vcc, s1, v5
	v_cndmask_b32_e32 v5, v12, v8, vcc
	v_bfe_u32 v8, v5, 23, 8
	v_cmp_ne_u32_e32 vcc, s16, v8
	v_mov_b32_e32 v12, 0xff
	s_and_saveexec_b64 s[16:17], vcc
; %bb.2901:
	s_mov_b32 s0, 0x3fffff
	v_lshrrev_b32_e32 v12, 23, v5
	v_and_b32_e32 v13, 0x400000, v5
	v_and_or_b32 v5, v5, s0, v8
	v_cmp_ne_u32_e32 vcc, 0, v13
	v_cmp_ne_u32_e64 s[0:1], 0, v5
	s_and_b64 s[0:1], vcc, s[0:1]
	v_cndmask_b32_e64 v5, 0, 1, s[0:1]
	v_add_u32_e32 v12, v12, v5
; %bb.2902:
	s_or_b64 exec, exec, s[16:17]
.LBB316_2903:
	s_mov_b64 s[16:17], 0
	s_mov_b64 s[0:1], -1
.LBB316_2904:
	s_andn2_b64 vcc, exec, s[16:17]
	s_mov_b64 s[16:17], 0
	s_cbranch_vccnz .LBB316_2917
; %bb.2905:
	s_cmp_gt_i32 s26, 14
	s_cbranch_scc0 .LBB316_2910
; %bb.2906:
	s_cmp_eq_u32 s26, 15
	s_cbranch_scc0 .LBB316_2913
; %bb.2907:
	global_load_ushort v5, v[10:11], off
	s_movk_i32 s0, 0xff
	s_waitcnt vmcnt(1)
	v_mov_b32_e32 v12, 0xff
	s_waitcnt vmcnt(0)
	v_bfe_u32 v8, v5, 7, 8
	v_cmp_ne_u32_e32 vcc, s0, v8
	s_and_saveexec_b64 s[4:5], vcc
	s_cbranch_execz .LBB316_2909
; %bb.2908:
	v_lshrrev_b32_e32 v12, 7, v5
	v_lshlrev_b32_e32 v13, 16, v5
	v_and_b32_e32 v5, 64, v5
	s_mov_b32 s0, 0x3f0000
	v_cmp_ne_u32_e32 vcc, 0, v5
	v_and_or_b32 v5, v13, s0, v8
	v_cmp_ne_u32_e64 s[0:1], 0, v5
	s_and_b64 s[0:1], vcc, s[0:1]
	v_cndmask_b32_e64 v5, 0, 1, s[0:1]
	v_add_u32_e32 v12, v12, v5
.LBB316_2909:
	s_or_b64 exec, exec, s[4:5]
	s_mov_b64 s[4:5], 0
	s_mov_b64 s[0:1], -1
	s_branch .LBB316_2914
.LBB316_2910:
	s_mov_b64 s[18:19], -1
                                        ; implicit-def: $vgpr12
	s_branch .LBB316_2915
.LBB316_2911:
	s_or_saveexec_b64 s[16:17], s[16:17]
	v_mov_b32_e32 v8, 0x7f800001
	s_xor_b64 exec, exec, s[16:17]
	s_cbranch_execz .LBB316_2884
.LBB316_2912:
	v_cmp_ne_u16_e32 vcc, 0, v5
	s_andn2_b64 s[0:1], s[0:1], exec
	s_and_b64 s[18:19], vcc, exec
	v_and_b32_e32 v8, 0xffff, v5
	s_or_b64 s[0:1], s[0:1], s[18:19]
	s_or_b64 exec, exec, s[16:17]
	s_and_saveexec_b64 s[16:17], s[0:1]
	s_cbranch_execnz .LBB316_2885
	s_branch .LBB316_2886
.LBB316_2913:
	s_mov_b64 s[4:5], -1
                                        ; implicit-def: $vgpr12
.LBB316_2914:
	s_mov_b64 s[18:19], 0
.LBB316_2915:
	s_and_b64 vcc, exec, s[18:19]
	s_cbranch_vccz .LBB316_2917
; %bb.2916:
	s_cmp_lg_u32 s26, 11
	s_mov_b64 s[16:17], -1
	s_cselect_b64 s[4:5], -1, 0
.LBB316_2917:
	s_and_b64 vcc, exec, s[4:5]
	s_cbranch_vccnz .LBB316_3008
; %bb.2918:
	s_andn2_b64 vcc, exec, s[16:17]
	s_cbranch_vccnz .LBB316_2922
.LBB316_2919:
	global_load_ubyte v5, v[10:11], off
	s_movk_i32 s0, 0xff
	s_waitcnt vmcnt(1)
	v_mov_b32_e32 v12, 0xff
	s_waitcnt vmcnt(0)
	v_cmp_ne_u16_e32 vcc, 0, v5
	v_cndmask_b32_e64 v8, 0, 1.0, vcc
	v_lshrrev_b32_e32 v5, 23, v8
	v_cmp_ne_u32_e32 vcc, s0, v5
	s_and_saveexec_b64 s[4:5], vcc
; %bb.2920:
	s_mov_b32 s0, 0x3fffff
	v_and_b32_e32 v12, 0x400000, v8
	v_and_or_b32 v8, v8, s0, v5
	v_cmp_ne_u32_e32 vcc, 0, v12
	v_cmp_ne_u32_e64 s[0:1], 0, v8
	s_and_b64 s[0:1], vcc, s[0:1]
	v_cndmask_b32_e64 v8, 0, 1, s[0:1]
	v_add_u32_e32 v12, v5, v8
; %bb.2921:
	s_or_b64 exec, exec, s[4:5]
	s_mov_b64 s[0:1], -1
.LBB316_2922:
	s_mov_b64 s[4:5], 0
.LBB316_2923:
	s_and_b64 vcc, exec, s[4:5]
	s_cbranch_vccz .LBB316_2994
; %bb.2924:
	s_and_b32 s16, 0xffff, s23
	s_cmp_lt_i32 s16, 5
	s_cbranch_scc1 .LBB316_2931
; %bb.2925:
	s_cmp_lt_i32 s16, 8
	s_cbranch_scc1 .LBB316_2932
; %bb.2926:
	;; [unrolled: 3-line block ×3, first 2 shown]
	s_cmp_gt_i32 s16, 9
	s_cbranch_scc0 .LBB316_2934
; %bb.2928:
	global_load_dwordx2 v[12:13], v[10:11], off
	s_movk_i32 s0, 0xff
	s_waitcnt vmcnt(0)
	v_cvt_f32_f64_e32 v5, v[12:13]
	v_mov_b32_e32 v12, 0xff
	v_bfe_u32 v8, v5, 23, 8
	v_cmp_ne_u32_e32 vcc, s0, v8
	s_and_saveexec_b64 s[4:5], vcc
; %bb.2929:
	s_mov_b32 s0, 0x3fffff
	v_lshrrev_b32_e32 v12, 23, v5
	v_and_b32_e32 v13, 0x400000, v5
	v_and_or_b32 v5, v5, s0, v8
	v_cmp_ne_u32_e32 vcc, 0, v13
	v_cmp_ne_u32_e64 s[0:1], 0, v5
	s_and_b64 s[0:1], vcc, s[0:1]
	v_cndmask_b32_e64 v5, 0, 1, s[0:1]
	v_add_u32_e32 v12, v12, v5
; %bb.2930:
	s_or_b64 exec, exec, s[4:5]
	s_mov_b64 s[0:1], 0
	s_branch .LBB316_2935
.LBB316_2931:
	s_mov_b64 s[0:1], -1
                                        ; implicit-def: $vgpr12
	s_branch .LBB316_2963
.LBB316_2932:
	s_mov_b64 s[0:1], -1
                                        ; implicit-def: $vgpr12
	s_branch .LBB316_2945
.LBB316_2933:
	s_mov_b64 s[0:1], -1
                                        ; implicit-def: $vgpr12
	s_branch .LBB316_2940
.LBB316_2934:
	s_mov_b64 s[0:1], -1
                                        ; implicit-def: $vgpr12
.LBB316_2935:
	s_andn2_b64 vcc, exec, s[0:1]
	s_cbranch_vccnz .LBB316_2939
; %bb.2936:
	global_load_dword v5, v[10:11], off
	s_movk_i32 s0, 0xff
	s_waitcnt vmcnt(1)
	v_mov_b32_e32 v12, 0xff
	s_waitcnt vmcnt(0)
	v_bfe_u32 v8, v5, 23, 8
	v_cmp_ne_u32_e32 vcc, s0, v8
	s_and_saveexec_b64 s[4:5], vcc
; %bb.2937:
	s_mov_b32 s0, 0x3fffff
	v_lshrrev_b32_e32 v12, 23, v5
	v_and_b32_e32 v13, 0x400000, v5
	v_and_or_b32 v5, v5, s0, v8
	v_cmp_ne_u32_e32 vcc, 0, v13
	v_cmp_ne_u32_e64 s[0:1], 0, v5
	s_and_b64 s[0:1], vcc, s[0:1]
	v_cndmask_b32_e64 v5, 0, 1, s[0:1]
	v_add_u32_e32 v12, v12, v5
; %bb.2938:
	s_or_b64 exec, exec, s[4:5]
.LBB316_2939:
	s_mov_b64 s[0:1], 0
.LBB316_2940:
	s_andn2_b64 vcc, exec, s[0:1]
	s_cbranch_vccnz .LBB316_2944
; %bb.2941:
	global_load_dword v5, v[10:11], off
	s_movk_i32 s0, 0xff
	s_waitcnt vmcnt(1)
	v_mov_b32_e32 v12, 0xff
	s_waitcnt vmcnt(0)
	v_cvt_f32_f16_e32 v5, v5
	v_bfe_u32 v8, v5, 23, 8
	v_cmp_ne_u32_e32 vcc, s0, v8
	s_and_saveexec_b64 s[4:5], vcc
; %bb.2942:
	s_mov_b32 s0, 0x3fffff
	v_lshrrev_b32_e32 v12, 23, v5
	v_and_b32_e32 v13, 0x400000, v5
	v_and_or_b32 v5, v5, s0, v8
	v_cmp_ne_u32_e32 vcc, 0, v13
	v_cmp_ne_u32_e64 s[0:1], 0, v5
	s_and_b64 s[0:1], vcc, s[0:1]
	v_cndmask_b32_e64 v5, 0, 1, s[0:1]
	v_add_u32_e32 v12, v12, v5
; %bb.2943:
	s_or_b64 exec, exec, s[4:5]
.LBB316_2944:
	s_mov_b64 s[0:1], 0
.LBB316_2945:
	s_andn2_b64 vcc, exec, s[0:1]
	s_cbranch_vccnz .LBB316_2962
; %bb.2946:
	s_cmp_lt_i32 s16, 6
	s_cbranch_scc1 .LBB316_2951
; %bb.2947:
	s_cmp_gt_i32 s16, 6
	s_cbranch_scc0 .LBB316_2952
; %bb.2948:
	global_load_dwordx2 v[12:13], v[10:11], off
	s_movk_i32 s0, 0xff
	s_waitcnt vmcnt(0)
	v_cvt_f32_f64_e32 v5, v[12:13]
	v_mov_b32_e32 v12, 0xff
	v_bfe_u32 v8, v5, 23, 8
	v_cmp_ne_u32_e32 vcc, s0, v8
	s_and_saveexec_b64 s[4:5], vcc
; %bb.2949:
	s_mov_b32 s0, 0x3fffff
	v_lshrrev_b32_e32 v12, 23, v5
	v_and_b32_e32 v13, 0x400000, v5
	v_and_or_b32 v5, v5, s0, v8
	v_cmp_ne_u32_e32 vcc, 0, v13
	v_cmp_ne_u32_e64 s[0:1], 0, v5
	s_and_b64 s[0:1], vcc, s[0:1]
	v_cndmask_b32_e64 v5, 0, 1, s[0:1]
	v_add_u32_e32 v12, v12, v5
; %bb.2950:
	s_or_b64 exec, exec, s[4:5]
	s_mov_b64 s[0:1], 0
	s_branch .LBB316_2953
.LBB316_2951:
	s_mov_b64 s[0:1], -1
                                        ; implicit-def: $vgpr12
	s_branch .LBB316_2958
.LBB316_2952:
	s_mov_b64 s[0:1], -1
                                        ; implicit-def: $vgpr12
.LBB316_2953:
	s_andn2_b64 vcc, exec, s[0:1]
	s_cbranch_vccnz .LBB316_2957
; %bb.2954:
	global_load_dword v5, v[10:11], off
	s_movk_i32 s0, 0xff
	s_waitcnt vmcnt(1)
	v_mov_b32_e32 v12, 0xff
	s_waitcnt vmcnt(0)
	v_bfe_u32 v8, v5, 23, 8
	v_cmp_ne_u32_e32 vcc, s0, v8
	s_and_saveexec_b64 s[4:5], vcc
; %bb.2955:
	s_mov_b32 s0, 0x3fffff
	v_lshrrev_b32_e32 v12, 23, v5
	v_and_b32_e32 v13, 0x400000, v5
	v_and_or_b32 v5, v5, s0, v8
	v_cmp_ne_u32_e32 vcc, 0, v13
	v_cmp_ne_u32_e64 s[0:1], 0, v5
	s_and_b64 s[0:1], vcc, s[0:1]
	v_cndmask_b32_e64 v5, 0, 1, s[0:1]
	v_add_u32_e32 v12, v12, v5
; %bb.2956:
	s_or_b64 exec, exec, s[4:5]
.LBB316_2957:
	s_mov_b64 s[0:1], 0
.LBB316_2958:
	s_andn2_b64 vcc, exec, s[0:1]
	s_cbranch_vccnz .LBB316_2962
; %bb.2959:
	global_load_ushort v5, v[10:11], off
	s_movk_i32 s0, 0xff
	s_waitcnt vmcnt(1)
	v_mov_b32_e32 v12, 0xff
	s_waitcnt vmcnt(0)
	v_cvt_f32_f16_e32 v5, v5
	v_bfe_u32 v8, v5, 23, 8
	v_cmp_ne_u32_e32 vcc, s0, v8
	s_and_saveexec_b64 s[4:5], vcc
; %bb.2960:
	s_mov_b32 s0, 0x3fffff
	v_lshrrev_b32_e32 v12, 23, v5
	v_and_b32_e32 v13, 0x400000, v5
	v_and_or_b32 v5, v5, s0, v8
	v_cmp_ne_u32_e32 vcc, 0, v13
	v_cmp_ne_u32_e64 s[0:1], 0, v5
	s_and_b64 s[0:1], vcc, s[0:1]
	v_cndmask_b32_e64 v5, 0, 1, s[0:1]
	v_add_u32_e32 v12, v12, v5
; %bb.2961:
	s_or_b64 exec, exec, s[4:5]
.LBB316_2962:
	s_mov_b64 s[0:1], 0
.LBB316_2963:
	s_andn2_b64 vcc, exec, s[0:1]
	s_cbranch_vccnz .LBB316_2993
; %bb.2964:
	s_cmp_lt_i32 s16, 2
	s_cbranch_scc1 .LBB316_2970
; %bb.2965:
	s_cmp_lt_i32 s16, 3
	s_cbranch_scc1 .LBB316_2971
; %bb.2966:
	s_cmp_gt_i32 s16, 3
	s_cbranch_scc0 .LBB316_2972
; %bb.2967:
	global_load_dwordx2 v[12:13], v[10:11], off
	s_movk_i32 s0, 0xff
	s_waitcnt vmcnt(0)
	v_xor_b32_e32 v8, v12, v13
	v_ffbh_i32_e32 v5, v13
	v_ashrrev_i32_e32 v8, 31, v8
	v_add_u32_e32 v5, -1, v5
	v_add_u32_e32 v8, 32, v8
	v_min_u32_e32 v5, v5, v8
	v_lshlrev_b64 v[12:13], v5, v[12:13]
	v_sub_u32_e32 v5, 32, v5
	v_min_u32_e32 v8, 1, v12
	v_or_b32_e32 v8, v13, v8
	v_cvt_f32_i32_e32 v8, v8
	v_mov_b32_e32 v12, 0xff
	v_ldexp_f32 v5, v8, v5
	v_bfe_u32 v8, v5, 23, 8
	v_cmp_ne_u32_e32 vcc, s0, v8
	s_and_saveexec_b64 s[4:5], vcc
; %bb.2968:
	s_mov_b32 s0, 0x3fffff
	v_lshrrev_b32_e32 v12, 23, v5
	v_and_b32_e32 v13, 0x400000, v5
	v_and_or_b32 v5, v5, s0, v8
	v_cmp_ne_u32_e32 vcc, 0, v13
	v_cmp_ne_u32_e64 s[0:1], 0, v5
	s_and_b64 s[0:1], vcc, s[0:1]
	v_cndmask_b32_e64 v5, 0, 1, s[0:1]
	v_add_u32_e32 v12, v12, v5
; %bb.2969:
	s_or_b64 exec, exec, s[4:5]
	s_mov_b64 s[0:1], 0
	s_branch .LBB316_2973
.LBB316_2970:
	s_mov_b64 s[0:1], -1
                                        ; implicit-def: $vgpr12
	s_branch .LBB316_2983
.LBB316_2971:
	s_mov_b64 s[0:1], -1
                                        ; implicit-def: $vgpr12
	s_branch .LBB316_2978
.LBB316_2972:
	s_mov_b64 s[0:1], -1
                                        ; implicit-def: $vgpr12
.LBB316_2973:
	s_andn2_b64 vcc, exec, s[0:1]
	s_cbranch_vccnz .LBB316_2977
; %bb.2974:
	global_load_dword v5, v[10:11], off
	s_movk_i32 s0, 0xff
	s_waitcnt vmcnt(1)
	v_mov_b32_e32 v12, 0xff
	s_waitcnt vmcnt(0)
	v_cvt_f32_i32_e32 v5, v5
	v_bfe_u32 v8, v5, 23, 8
	v_cmp_ne_u32_e32 vcc, s0, v8
	s_and_saveexec_b64 s[4:5], vcc
; %bb.2975:
	s_mov_b32 s0, 0x3fffff
	v_lshrrev_b32_e32 v12, 23, v5
	v_and_b32_e32 v13, 0x400000, v5
	v_and_or_b32 v5, v5, s0, v8
	v_cmp_ne_u32_e32 vcc, 0, v13
	v_cmp_ne_u32_e64 s[0:1], 0, v5
	s_and_b64 s[0:1], vcc, s[0:1]
	v_cndmask_b32_e64 v5, 0, 1, s[0:1]
	v_add_u32_e32 v12, v12, v5
; %bb.2976:
	s_or_b64 exec, exec, s[4:5]
.LBB316_2977:
	s_mov_b64 s[0:1], 0
.LBB316_2978:
	s_andn2_b64 vcc, exec, s[0:1]
	s_cbranch_vccnz .LBB316_2982
; %bb.2979:
	global_load_sshort v5, v[10:11], off
	s_movk_i32 s0, 0xff
	s_waitcnt vmcnt(1)
	v_mov_b32_e32 v12, 0xff
	s_waitcnt vmcnt(0)
	v_cvt_f32_i32_e32 v5, v5
	v_bfe_u32 v8, v5, 23, 8
	v_cmp_ne_u32_e32 vcc, s0, v8
	s_and_saveexec_b64 s[4:5], vcc
; %bb.2980:
	s_mov_b32 s0, 0x3fffff
	v_lshrrev_b32_e32 v12, 23, v5
	v_and_b32_e32 v13, 0x400000, v5
	v_and_or_b32 v5, v5, s0, v8
	v_cmp_ne_u32_e32 vcc, 0, v13
	v_cmp_ne_u32_e64 s[0:1], 0, v5
	s_and_b64 s[0:1], vcc, s[0:1]
	v_cndmask_b32_e64 v5, 0, 1, s[0:1]
	v_add_u32_e32 v12, v12, v5
; %bb.2981:
	s_or_b64 exec, exec, s[4:5]
.LBB316_2982:
	s_mov_b64 s[0:1], 0
.LBB316_2983:
	s_andn2_b64 vcc, exec, s[0:1]
	s_cbranch_vccnz .LBB316_2993
; %bb.2984:
	s_cmp_gt_i32 s16, 0
	s_cbranch_scc0 .LBB316_2988
; %bb.2985:
	global_load_sbyte v5, v[10:11], off
	s_movk_i32 s0, 0xff
	s_waitcnt vmcnt(1)
	v_mov_b32_e32 v12, 0xff
	s_waitcnt vmcnt(0)
	v_cvt_f32_i32_e32 v5, v5
	v_bfe_u32 v8, v5, 23, 8
	v_cmp_ne_u32_e32 vcc, s0, v8
	s_and_saveexec_b64 s[4:5], vcc
; %bb.2986:
	s_mov_b32 s0, 0x3fffff
	v_lshrrev_b32_e32 v12, 23, v5
	v_and_b32_e32 v13, 0x400000, v5
	v_and_or_b32 v5, v5, s0, v8
	v_cmp_ne_u32_e32 vcc, 0, v13
	v_cmp_ne_u32_e64 s[0:1], 0, v5
	s_and_b64 s[0:1], vcc, s[0:1]
	v_cndmask_b32_e64 v5, 0, 1, s[0:1]
	v_add_u32_e32 v12, v12, v5
; %bb.2987:
	s_or_b64 exec, exec, s[4:5]
	s_mov_b64 s[0:1], 0
	s_branch .LBB316_2989
.LBB316_2988:
	s_mov_b64 s[0:1], -1
                                        ; implicit-def: $vgpr12
.LBB316_2989:
	s_andn2_b64 vcc, exec, s[0:1]
	s_cbranch_vccnz .LBB316_2993
; %bb.2990:
	global_load_ubyte v5, v[10:11], off
	s_movk_i32 s0, 0xff
	s_waitcnt vmcnt(1)
	v_mov_b32_e32 v12, 0xff
	s_waitcnt vmcnt(0)
	v_cvt_f32_ubyte0_e32 v8, v5
	v_lshrrev_b32_e32 v5, 23, v8
	v_cmp_ne_u32_e32 vcc, s0, v5
	s_and_saveexec_b64 s[4:5], vcc
; %bb.2991:
	s_mov_b32 s0, 0x3fffff
	v_and_b32_e32 v10, 0x400000, v8
	v_and_or_b32 v8, v8, s0, v5
	v_cmp_ne_u32_e32 vcc, 0, v10
	v_cmp_ne_u32_e64 s[0:1], 0, v8
	s_and_b64 s[0:1], vcc, s[0:1]
	v_cndmask_b32_e64 v8, 0, 1, s[0:1]
	v_add_u32_e32 v12, v5, v8
; %bb.2992:
	s_or_b64 exec, exec, s[4:5]
.LBB316_2993:
	s_mov_b64 s[0:1], -1
.LBB316_2994:
	s_andn2_b64 vcc, exec, s[0:1]
	s_cbranch_vccnz .LBB316_3772
; %bb.2995:
	v_mov_b32_e32 v5, s11
	v_add_co_u32_e32 v8, vcc, s10, v9
	s_cmp_lt_i32 s22, 11
	v_addc_co_u32_e32 v9, vcc, 0, v5, vcc
	s_cbranch_scc1 .LBB316_3004
; %bb.2996:
	s_and_b32 s20, 0xffff, s22
	s_cmp_gt_i32 s20, 25
	s_mov_b64 s[10:11], 0
	s_cbranch_scc0 .LBB316_3005
; %bb.2997:
	s_cmp_gt_i32 s20, 28
	s_cbranch_scc0 .LBB316_3006
; %bb.2998:
	s_cmp_gt_i32 s20, 43
	;; [unrolled: 3-line block ×3, first 2 shown]
	s_cbranch_scc0 .LBB316_3009
; %bb.3000:
	s_cmp_eq_u32 s20, 46
	s_mov_b64 s[16:17], 0
	s_cbranch_scc0 .LBB316_3010
; %bb.3001:
	global_load_dword v5, v[8:9], off
	s_movk_i32 s0, 0xff
	v_mov_b32_e32 v10, 0xff
	s_waitcnt vmcnt(0)
	v_lshlrev_b32_e32 v11, 16, v5
	v_bfe_u32 v13, v11, 23, 8
	v_cmp_ne_u32_e32 vcc, s0, v13
	s_and_saveexec_b64 s[4:5], vcc
; %bb.3002:
	v_bfe_u32 v10, v5, 7, 9
	v_and_b32_e32 v5, 64, v5
	s_mov_b32 s0, 0x3f0000
	v_cmp_ne_u32_e32 vcc, 0, v5
	v_and_or_b32 v5, v11, s0, v13
	v_cmp_ne_u32_e64 s[0:1], 0, v5
	s_and_b64 s[0:1], vcc, s[0:1]
	v_cndmask_b32_e64 v5, 0, 1, s[0:1]
	v_add_u32_e32 v10, v10, v5
; %bb.3003:
	s_or_b64 exec, exec, s[4:5]
	s_mov_b64 s[4:5], 0
	s_mov_b64 s[0:1], -1
	s_branch .LBB316_3011
.LBB316_3004:
	s_mov_b64 s[4:5], -1
	s_mov_b64 s[0:1], 0
                                        ; implicit-def: $vgpr10
	s_branch .LBB316_3095
.LBB316_3005:
	s_mov_b64 s[16:17], -1
	s_mov_b64 s[0:1], 0
	s_mov_b64 s[4:5], 0
                                        ; implicit-def: $vgpr10
	s_branch .LBB316_3048
.LBB316_3006:
	s_mov_b64 s[16:17], -1
	s_mov_b64 s[0:1], 0
	s_mov_b64 s[4:5], 0
                                        ; implicit-def: $vgpr10
	s_branch .LBB316_3023
.LBB316_3007:
	s_mov_b64 s[16:17], -1
	s_mov_b64 s[0:1], 0
	s_mov_b64 s[4:5], 0
                                        ; implicit-def: $vgpr10
	s_branch .LBB316_3016
.LBB316_3008:
	s_trap 2
	s_or_b64 s[14:15], s[14:15], exec
	s_cbranch_execz .LBB316_2919
	s_branch .LBB316_2922
.LBB316_3009:
	s_mov_b64 s[16:17], -1
	s_mov_b64 s[0:1], 0
	s_mov_b64 s[4:5], 0
                                        ; implicit-def: $vgpr10
	s_branch .LBB316_3011
.LBB316_3010:
	s_mov_b64 s[4:5], -1
                                        ; implicit-def: $vgpr10
	s_mov_b64 s[0:1], 0
.LBB316_3011:
	s_and_b64 vcc, exec, s[16:17]
	s_cbranch_vccz .LBB316_3015
; %bb.3012:
	s_cmp_eq_u32 s20, 44
	s_cbranch_scc0 .LBB316_3014
; %bb.3013:
	global_load_ubyte v10, v[8:9], off
	s_mov_b64 s[4:5], 0
	s_mov_b64 s[0:1], -1
	s_branch .LBB316_3015
.LBB316_3014:
	s_mov_b64 s[4:5], -1
                                        ; implicit-def: $vgpr10
.LBB316_3015:
	s_mov_b64 s[16:17], 0
.LBB316_3016:
	s_and_b64 vcc, exec, s[16:17]
	s_cbranch_vccz .LBB316_3022
; %bb.3017:
	s_cmp_eq_u32 s20, 29
	s_cbranch_scc0 .LBB316_3021
; %bb.3018:
	global_load_dwordx2 v[10:11], v[8:9], off
	s_movk_i32 s0, 0xff
	s_waitcnt vmcnt(0)
	v_ffbh_u32_e32 v5, v11
	v_min_u32_e32 v5, 32, v5
	v_lshlrev_b64 v[10:11], v5, v[10:11]
	v_sub_u32_e32 v5, 32, v5
	v_min_u32_e32 v10, 1, v10
	v_or_b32_e32 v10, v11, v10
	v_cvt_f32_u32_e32 v10, v10
	v_ldexp_f32 v11, v10, v5
	v_lshrrev_b32_e32 v5, 23, v11
	v_cmp_ne_u32_e32 vcc, s0, v5
	v_mov_b32_e32 v10, 0xff
	s_and_saveexec_b64 s[4:5], vcc
; %bb.3019:
	v_and_b32_e32 v10, 0x400000, v11
	s_mov_b32 s0, 0x3fffff
	v_cmp_ne_u32_e32 vcc, 0, v10
	v_and_or_b32 v10, v11, s0, v5
	v_cmp_ne_u32_e64 s[0:1], 0, v10
	s_and_b64 s[0:1], vcc, s[0:1]
	v_cndmask_b32_e64 v10, 0, 1, s[0:1]
	v_add_u32_e32 v10, v5, v10
; %bb.3020:
	s_or_b64 exec, exec, s[4:5]
	s_mov_b64 s[4:5], 0
	s_mov_b64 s[0:1], -1
	s_branch .LBB316_3022
.LBB316_3021:
	s_mov_b64 s[4:5], -1
                                        ; implicit-def: $vgpr10
.LBB316_3022:
	s_mov_b64 s[16:17], 0
.LBB316_3023:
	s_and_b64 vcc, exec, s[16:17]
	s_cbranch_vccz .LBB316_3047
; %bb.3024:
	s_cmp_lt_i32 s20, 27
	s_cbranch_scc1 .LBB316_3029
; %bb.3025:
	s_cmp_gt_i32 s20, 27
	s_cbranch_scc0 .LBB316_3030
; %bb.3026:
	global_load_dword v5, v[8:9], off
	s_movk_i32 s0, 0xff
	s_waitcnt vmcnt(1)
	v_mov_b32_e32 v10, 0xff
	s_waitcnt vmcnt(0)
	v_cvt_f32_u32_e32 v11, v5
	v_lshrrev_b32_e32 v5, 23, v11
	v_cmp_ne_u32_e32 vcc, s0, v5
	s_and_saveexec_b64 s[16:17], vcc
; %bb.3027:
	v_and_b32_e32 v10, 0x400000, v11
	s_mov_b32 s0, 0x3fffff
	v_cmp_ne_u32_e32 vcc, 0, v10
	v_and_or_b32 v10, v11, s0, v5
	v_cmp_ne_u32_e64 s[0:1], 0, v10
	s_and_b64 s[0:1], vcc, s[0:1]
	v_cndmask_b32_e64 v10, 0, 1, s[0:1]
	v_add_u32_e32 v10, v5, v10
; %bb.3028:
	s_or_b64 exec, exec, s[16:17]
	s_mov_b64 s[0:1], 0
	s_branch .LBB316_3031
.LBB316_3029:
	s_mov_b64 s[0:1], -1
                                        ; implicit-def: $vgpr10
	s_branch .LBB316_3036
.LBB316_3030:
	s_mov_b64 s[0:1], -1
                                        ; implicit-def: $vgpr10
.LBB316_3031:
	s_andn2_b64 vcc, exec, s[0:1]
	s_cbranch_vccnz .LBB316_3035
; %bb.3032:
	global_load_ushort v5, v[8:9], off
	s_movk_i32 s0, 0xff
	s_waitcnt vmcnt(1)
	v_mov_b32_e32 v10, 0xff
	s_waitcnt vmcnt(0)
	v_cvt_f32_u32_e32 v11, v5
	v_lshrrev_b32_e32 v5, 23, v11
	v_cmp_ne_u32_e32 vcc, s0, v5
	s_and_saveexec_b64 s[16:17], vcc
; %bb.3033:
	v_and_b32_e32 v10, 0x400000, v11
	s_mov_b32 s0, 0x3fffff
	v_cmp_ne_u32_e32 vcc, 0, v10
	v_and_or_b32 v10, v11, s0, v5
	v_cmp_ne_u32_e64 s[0:1], 0, v10
	s_and_b64 s[0:1], vcc, s[0:1]
	v_cndmask_b32_e64 v10, 0, 1, s[0:1]
	v_add_u32_e32 v10, v5, v10
; %bb.3034:
	s_or_b64 exec, exec, s[16:17]
.LBB316_3035:
	s_mov_b64 s[0:1], 0
.LBB316_3036:
	s_andn2_b64 vcc, exec, s[0:1]
	s_cbranch_vccnz .LBB316_3046
; %bb.3037:
	global_load_ubyte v5, v[8:9], off
	s_movk_i32 s0, 0x7f
	s_waitcnt vmcnt(0)
	v_cmp_lt_i16_e32 vcc, s0, v5
	s_mov_b64 s[0:1], 0
	s_and_saveexec_b64 s[16:17], vcc
	s_xor_b64 s[16:17], exec, s[16:17]
	s_cbranch_execz .LBB316_3062
; %bb.3038:
	s_movk_i32 s0, 0x80
	v_cmp_eq_u16_e32 vcc, s0, v5
	s_mov_b64 s[0:1], -1
	s_and_saveexec_b64 s[18:19], vcc
; %bb.3039:
	s_xor_b64 s[0:1], exec, -1
; %bb.3040:
	s_or_b64 exec, exec, s[18:19]
	s_and_b64 s[0:1], s[0:1], exec
	s_or_saveexec_b64 s[16:17], s[16:17]
	v_mov_b32_e32 v11, 0x7f800001
	s_xor_b64 exec, exec, s[16:17]
	s_cbranch_execnz .LBB316_3063
.LBB316_3041:
	s_or_b64 exec, exec, s[16:17]
	s_and_saveexec_b64 s[16:17], s[0:1]
	s_cbranch_execz .LBB316_3043
.LBB316_3042:
	v_and_b32_e32 v5, 0xffff, v5
	v_and_b32_e32 v10, 7, v5
	v_ffbh_u32_e32 v13, v10
	v_min_u32_e32 v13, 32, v13
	v_subrev_u32_e32 v15, 28, v13
	v_bfe_u32 v11, v5, 3, 4
	v_lshlrev_b32_e32 v5, v15, v5
	v_and_b32_e32 v5, 7, v5
	v_cmp_eq_u32_e32 vcc, 0, v11
	v_sub_u32_e32 v13, 29, v13
	v_cndmask_b32_e32 v5, v10, v5, vcc
	v_cndmask_b32_e32 v11, v11, v13, vcc
	v_lshlrev_b32_e32 v5, 20, v5
	v_lshl_or_b32 v5, v11, 23, v5
	v_add_u32_e32 v11, 0x3b800000, v5
.LBB316_3043:
	s_or_b64 exec, exec, s[16:17]
	v_lshrrev_b32_e32 v5, 23, v11
	s_movk_i32 s0, 0xff
	v_cmp_ne_u32_e32 vcc, s0, v5
	v_mov_b32_e32 v10, 0xff
	s_and_saveexec_b64 s[16:17], vcc
; %bb.3044:
	v_and_b32_e32 v10, 0x400000, v11
	s_mov_b32 s0, 0x3fffff
	v_cmp_ne_u32_e32 vcc, 0, v10
	v_and_or_b32 v10, v11, s0, v5
	v_cmp_ne_u32_e64 s[0:1], 0, v10
	s_and_b64 s[0:1], vcc, s[0:1]
	v_cndmask_b32_e64 v10, 0, 1, s[0:1]
	v_add_u32_e32 v10, v5, v10
; %bb.3045:
	s_or_b64 exec, exec, s[16:17]
.LBB316_3046:
	s_mov_b64 s[0:1], -1
.LBB316_3047:
	s_mov_b64 s[16:17], 0
.LBB316_3048:
	s_and_b64 vcc, exec, s[16:17]
	s_cbranch_vccz .LBB316_3089
; %bb.3049:
	s_cmp_gt_i32 s20, 22
	s_cbranch_scc0 .LBB316_3061
; %bb.3050:
	s_cmp_lt_i32 s20, 24
	s_cbranch_scc1 .LBB316_3064
; %bb.3051:
	s_cmp_gt_i32 s20, 24
	s_cbranch_scc0 .LBB316_3065
; %bb.3052:
	global_load_ubyte v5, v[8:9], off
	s_movk_i32 s0, 0x7f
	s_waitcnt vmcnt(0)
	v_cmp_lt_i16_e32 vcc, s0, v5
	s_mov_b64 s[0:1], 0
	s_and_saveexec_b64 s[10:11], vcc
	s_xor_b64 s[10:11], exec, s[10:11]
	s_cbranch_execz .LBB316_3083
; %bb.3053:
	s_movk_i32 s0, 0x80
	v_cmp_eq_u16_e32 vcc, s0, v5
	s_mov_b64 s[0:1], -1
	s_and_saveexec_b64 s[16:17], vcc
; %bb.3054:
	s_xor_b64 s[0:1], exec, -1
; %bb.3055:
	s_or_b64 exec, exec, s[16:17]
	s_and_b64 s[0:1], s[0:1], exec
	s_or_saveexec_b64 s[10:11], s[10:11]
	v_mov_b32_e32 v11, 0x7f800001
	s_xor_b64 exec, exec, s[10:11]
	s_cbranch_execnz .LBB316_3084
.LBB316_3056:
	s_or_b64 exec, exec, s[10:11]
	s_and_saveexec_b64 s[10:11], s[0:1]
	s_cbranch_execz .LBB316_3058
.LBB316_3057:
	v_and_b32_e32 v5, 0xffff, v5
	v_and_b32_e32 v10, 3, v5
	v_ffbh_u32_e32 v13, v10
	v_min_u32_e32 v13, 32, v13
	v_subrev_u32_e32 v15, 29, v13
	v_bfe_u32 v11, v5, 2, 5
	v_lshlrev_b32_e32 v5, v15, v5
	v_and_b32_e32 v5, 3, v5
	v_cmp_eq_u32_e32 vcc, 0, v11
	v_sub_u32_e32 v13, 30, v13
	v_cndmask_b32_e32 v5, v10, v5, vcc
	v_cndmask_b32_e32 v11, v11, v13, vcc
	v_lshlrev_b32_e32 v5, 21, v5
	v_lshl_or_b32 v5, v11, 23, v5
	v_add_u32_e32 v11, 0x37800000, v5
.LBB316_3058:
	s_or_b64 exec, exec, s[10:11]
	v_lshrrev_b32_e32 v5, 23, v11
	s_movk_i32 s0, 0xff
	v_cmp_ne_u32_e32 vcc, s0, v5
	v_mov_b32_e32 v10, 0xff
	s_and_saveexec_b64 s[10:11], vcc
; %bb.3059:
	v_and_b32_e32 v10, 0x400000, v11
	s_mov_b32 s0, 0x3fffff
	v_cmp_ne_u32_e32 vcc, 0, v10
	v_and_or_b32 v10, v11, s0, v5
	v_cmp_ne_u32_e64 s[0:1], 0, v10
	s_and_b64 s[0:1], vcc, s[0:1]
	v_cndmask_b32_e64 v10, 0, 1, s[0:1]
	v_add_u32_e32 v10, v5, v10
; %bb.3060:
	s_or_b64 exec, exec, s[10:11]
	s_mov_b64 s[0:1], 0
	s_branch .LBB316_3066
.LBB316_3061:
	s_mov_b64 s[10:11], -1
                                        ; implicit-def: $vgpr10
	s_branch .LBB316_3076
.LBB316_3062:
	s_or_saveexec_b64 s[16:17], s[16:17]
	v_mov_b32_e32 v11, 0x7f800001
	s_xor_b64 exec, exec, s[16:17]
	s_cbranch_execz .LBB316_3041
.LBB316_3063:
	v_cmp_ne_u16_e32 vcc, 0, v5
	s_andn2_b64 s[0:1], s[0:1], exec
	s_and_b64 s[18:19], vcc, exec
	v_and_b32_e32 v11, 0xffff, v5
	s_or_b64 s[0:1], s[0:1], s[18:19]
	s_or_b64 exec, exec, s[16:17]
	s_and_saveexec_b64 s[16:17], s[0:1]
	s_cbranch_execnz .LBB316_3042
	s_branch .LBB316_3043
.LBB316_3064:
	s_mov_b64 s[0:1], -1
                                        ; implicit-def: $vgpr10
	s_branch .LBB316_3071
.LBB316_3065:
	s_mov_b64 s[0:1], -1
                                        ; implicit-def: $vgpr10
.LBB316_3066:
	s_and_b64 vcc, exec, s[0:1]
	s_cbranch_vccz .LBB316_3070
; %bb.3067:
	global_load_ubyte v5, v[8:9], off
	s_mov_b32 s0, 0x7f800000
	s_movk_i32 s1, 0xff
	s_waitcnt vmcnt(0)
	v_lshlrev_b32_e32 v5, 24, v5
	v_and_b32_e32 v5, 0x7f000000, v5
	v_ffbh_u32_e32 v10, v5
	v_min_u32_e32 v10, 32, v10
	v_sub_u32_e64 v10, v10, 4 clamp
	v_lshlrev_b32_e32 v13, v10, v5
	v_lshlrev_b32_e32 v10, 23, v10
	v_lshrrev_b32_e32 v13, 4, v13
	v_add_u32_e32 v11, 0x1000000, v5
	v_sub_u32_e32 v10, v13, v10
	v_ashrrev_i32_e32 v11, 8, v11
	v_add_u32_e32 v10, 0x3c000000, v10
	v_and_or_b32 v10, v11, s0, v10
	v_cmp_ne_u32_e32 vcc, 0, v5
	v_cndmask_b32_e32 v11, 0, v10, vcc
	v_lshrrev_b32_e32 v5, 23, v11
	v_cmp_ne_u32_e32 vcc, s1, v5
	v_mov_b32_e32 v10, 0xff
	s_and_saveexec_b64 s[10:11], vcc
; %bb.3068:
	v_and_b32_e32 v10, 0x400000, v11
	s_mov_b32 s0, 0x3fffff
	v_cmp_ne_u32_e32 vcc, 0, v10
	v_and_or_b32 v10, v11, s0, v5
	v_cmp_ne_u32_e64 s[0:1], 0, v10
	s_and_b64 s[0:1], vcc, s[0:1]
	v_cndmask_b32_e64 v10, 0, 1, s[0:1]
	v_add_u32_e32 v10, v5, v10
; %bb.3069:
	s_or_b64 exec, exec, s[10:11]
.LBB316_3070:
	s_mov_b64 s[0:1], 0
.LBB316_3071:
	s_andn2_b64 vcc, exec, s[0:1]
	s_cbranch_vccnz .LBB316_3075
; %bb.3072:
	global_load_ubyte v5, v[8:9], off
	s_movk_i32 s0, 0x7f00
	s_brev_b32 s1, 16
	s_movk_i32 s10, 0xff
	s_waitcnt vmcnt(0)
	v_lshlrev_b32_e32 v10, 8, v5
	v_lshlrev_b32_e32 v5, 25, v5
	v_lshrrev_b32_e32 v11, 4, v5
	v_and_or_b32 v10, v10, s0, 0.5
	v_or_b32_e32 v11, 0x70000000, v11
	v_add_f32_e32 v10, -0.5, v10
	v_mul_f32_e32 v11, 0x7800000, v11
	v_cmp_gt_u32_e32 vcc, s1, v5
	v_cndmask_b32_e32 v5, v11, v10, vcc
	v_bfe_u32 v11, v5, 23, 8
	v_cmp_ne_u32_e32 vcc, s10, v11
	v_mov_b32_e32 v10, 0xff
	s_and_saveexec_b64 s[10:11], vcc
; %bb.3073:
	s_mov_b32 s0, 0x3fffff
	v_lshrrev_b32_e32 v10, 23, v5
	v_and_b32_e32 v13, 0x400000, v5
	v_and_or_b32 v5, v5, s0, v11
	v_cmp_ne_u32_e32 vcc, 0, v13
	v_cmp_ne_u32_e64 s[0:1], 0, v5
	s_and_b64 s[0:1], vcc, s[0:1]
	v_cndmask_b32_e64 v5, 0, 1, s[0:1]
	v_add_u32_e32 v10, v10, v5
; %bb.3074:
	s_or_b64 exec, exec, s[10:11]
.LBB316_3075:
	s_mov_b64 s[10:11], 0
	s_mov_b64 s[0:1], -1
.LBB316_3076:
	s_andn2_b64 vcc, exec, s[10:11]
	s_mov_b64 s[10:11], 0
	s_cbranch_vccnz .LBB316_3089
; %bb.3077:
	s_cmp_gt_i32 s20, 14
	s_cbranch_scc0 .LBB316_3082
; %bb.3078:
	s_cmp_eq_u32 s20, 15
	s_cbranch_scc0 .LBB316_3085
; %bb.3079:
	global_load_ushort v5, v[8:9], off
	s_movk_i32 s0, 0xff
	s_waitcnt vmcnt(1)
	v_mov_b32_e32 v10, 0xff
	s_waitcnt vmcnt(0)
	v_bfe_u32 v11, v5, 7, 8
	v_cmp_ne_u32_e32 vcc, s0, v11
	s_and_saveexec_b64 s[4:5], vcc
	s_cbranch_execz .LBB316_3081
; %bb.3080:
	v_lshrrev_b32_e32 v10, 7, v5
	v_lshlrev_b32_e32 v13, 16, v5
	v_and_b32_e32 v5, 64, v5
	s_mov_b32 s0, 0x3f0000
	v_cmp_ne_u32_e32 vcc, 0, v5
	v_and_or_b32 v5, v13, s0, v11
	v_cmp_ne_u32_e64 s[0:1], 0, v5
	s_and_b64 s[0:1], vcc, s[0:1]
	v_cndmask_b32_e64 v5, 0, 1, s[0:1]
	v_add_u32_e32 v10, v10, v5
.LBB316_3081:
	s_or_b64 exec, exec, s[4:5]
	s_mov_b64 s[4:5], 0
	s_mov_b64 s[0:1], -1
	s_branch .LBB316_3086
.LBB316_3082:
	s_mov_b64 s[16:17], -1
                                        ; implicit-def: $vgpr10
	s_branch .LBB316_3087
.LBB316_3083:
	s_or_saveexec_b64 s[10:11], s[10:11]
	v_mov_b32_e32 v11, 0x7f800001
	s_xor_b64 exec, exec, s[10:11]
	s_cbranch_execz .LBB316_3056
.LBB316_3084:
	v_cmp_ne_u16_e32 vcc, 0, v5
	s_andn2_b64 s[0:1], s[0:1], exec
	s_and_b64 s[16:17], vcc, exec
	v_and_b32_e32 v11, 0xffff, v5
	s_or_b64 s[0:1], s[0:1], s[16:17]
	s_or_b64 exec, exec, s[10:11]
	s_and_saveexec_b64 s[10:11], s[0:1]
	s_cbranch_execnz .LBB316_3057
	s_branch .LBB316_3058
.LBB316_3085:
	s_mov_b64 s[4:5], -1
                                        ; implicit-def: $vgpr10
.LBB316_3086:
	s_mov_b64 s[16:17], 0
.LBB316_3087:
	s_and_b64 vcc, exec, s[16:17]
	s_cbranch_vccz .LBB316_3089
; %bb.3088:
	s_cmp_lg_u32 s20, 11
	s_mov_b64 s[10:11], -1
	s_cselect_b64 s[4:5], -1, 0
.LBB316_3089:
	s_and_b64 vcc, exec, s[4:5]
	s_cbranch_vccnz .LBB316_3180
; %bb.3090:
	s_andn2_b64 vcc, exec, s[10:11]
	s_cbranch_vccnz .LBB316_3094
.LBB316_3091:
	global_load_ubyte v5, v[8:9], off
	s_movk_i32 s0, 0xff
	s_waitcnt vmcnt(1)
	v_mov_b32_e32 v10, 0xff
	s_waitcnt vmcnt(0)
	v_cmp_ne_u16_e32 vcc, 0, v5
	v_cndmask_b32_e64 v11, 0, 1.0, vcc
	v_lshrrev_b32_e32 v5, 23, v11
	v_cmp_ne_u32_e32 vcc, s0, v5
	s_and_saveexec_b64 s[4:5], vcc
; %bb.3092:
	v_and_b32_e32 v10, 0x400000, v11
	s_mov_b32 s0, 0x3fffff
	v_cmp_ne_u32_e32 vcc, 0, v10
	v_and_or_b32 v10, v11, s0, v5
	v_cmp_ne_u32_e64 s[0:1], 0, v10
	s_and_b64 s[0:1], vcc, s[0:1]
	v_cndmask_b32_e64 v10, 0, 1, s[0:1]
	v_add_u32_e32 v10, v5, v10
; %bb.3093:
	s_or_b64 exec, exec, s[4:5]
	s_mov_b64 s[0:1], -1
.LBB316_3094:
	s_mov_b64 s[4:5], 0
.LBB316_3095:
	s_and_b64 vcc, exec, s[4:5]
	s_cbranch_vccz .LBB316_3166
; %bb.3096:
	s_and_b32 s10, 0xffff, s22
	s_cmp_lt_i32 s10, 5
	s_cbranch_scc1 .LBB316_3103
; %bb.3097:
	s_cmp_lt_i32 s10, 8
	s_cbranch_scc1 .LBB316_3104
; %bb.3098:
	;; [unrolled: 3-line block ×3, first 2 shown]
	s_cmp_gt_i32 s10, 9
	s_cbranch_scc0 .LBB316_3106
; %bb.3100:
	global_load_dwordx2 v[10:11], v[8:9], off
	s_movk_i32 s0, 0xff
	s_waitcnt vmcnt(0)
	v_cvt_f32_f64_e32 v5, v[10:11]
	v_mov_b32_e32 v10, 0xff
	v_bfe_u32 v11, v5, 23, 8
	v_cmp_ne_u32_e32 vcc, s0, v11
	s_and_saveexec_b64 s[4:5], vcc
; %bb.3101:
	s_mov_b32 s0, 0x3fffff
	v_lshrrev_b32_e32 v10, 23, v5
	v_and_b32_e32 v13, 0x400000, v5
	v_and_or_b32 v5, v5, s0, v11
	v_cmp_ne_u32_e32 vcc, 0, v13
	v_cmp_ne_u32_e64 s[0:1], 0, v5
	s_and_b64 s[0:1], vcc, s[0:1]
	v_cndmask_b32_e64 v5, 0, 1, s[0:1]
	v_add_u32_e32 v10, v10, v5
; %bb.3102:
	s_or_b64 exec, exec, s[4:5]
	s_mov_b64 s[0:1], 0
	s_branch .LBB316_3107
.LBB316_3103:
	s_mov_b64 s[0:1], -1
                                        ; implicit-def: $vgpr10
	s_branch .LBB316_3135
.LBB316_3104:
	s_mov_b64 s[0:1], -1
                                        ; implicit-def: $vgpr10
	s_branch .LBB316_3117
.LBB316_3105:
	s_mov_b64 s[0:1], -1
                                        ; implicit-def: $vgpr10
	s_branch .LBB316_3112
.LBB316_3106:
	s_mov_b64 s[0:1], -1
                                        ; implicit-def: $vgpr10
.LBB316_3107:
	s_andn2_b64 vcc, exec, s[0:1]
	s_cbranch_vccnz .LBB316_3111
; %bb.3108:
	global_load_dword v5, v[8:9], off
	s_movk_i32 s0, 0xff
	s_waitcnt vmcnt(1)
	v_mov_b32_e32 v10, 0xff
	s_waitcnt vmcnt(0)
	v_bfe_u32 v11, v5, 23, 8
	v_cmp_ne_u32_e32 vcc, s0, v11
	s_and_saveexec_b64 s[4:5], vcc
; %bb.3109:
	s_mov_b32 s0, 0x3fffff
	v_lshrrev_b32_e32 v10, 23, v5
	v_and_b32_e32 v13, 0x400000, v5
	v_and_or_b32 v5, v5, s0, v11
	v_cmp_ne_u32_e32 vcc, 0, v13
	v_cmp_ne_u32_e64 s[0:1], 0, v5
	s_and_b64 s[0:1], vcc, s[0:1]
	v_cndmask_b32_e64 v5, 0, 1, s[0:1]
	v_add_u32_e32 v10, v10, v5
; %bb.3110:
	s_or_b64 exec, exec, s[4:5]
.LBB316_3111:
	s_mov_b64 s[0:1], 0
.LBB316_3112:
	s_andn2_b64 vcc, exec, s[0:1]
	s_cbranch_vccnz .LBB316_3116
; %bb.3113:
	global_load_dword v5, v[8:9], off
	s_movk_i32 s0, 0xff
	s_waitcnt vmcnt(1)
	v_mov_b32_e32 v10, 0xff
	s_waitcnt vmcnt(0)
	v_cvt_f32_f16_e32 v5, v5
	v_bfe_u32 v11, v5, 23, 8
	v_cmp_ne_u32_e32 vcc, s0, v11
	s_and_saveexec_b64 s[4:5], vcc
; %bb.3114:
	s_mov_b32 s0, 0x3fffff
	v_lshrrev_b32_e32 v10, 23, v5
	v_and_b32_e32 v13, 0x400000, v5
	v_and_or_b32 v5, v5, s0, v11
	v_cmp_ne_u32_e32 vcc, 0, v13
	v_cmp_ne_u32_e64 s[0:1], 0, v5
	s_and_b64 s[0:1], vcc, s[0:1]
	v_cndmask_b32_e64 v5, 0, 1, s[0:1]
	v_add_u32_e32 v10, v10, v5
; %bb.3115:
	s_or_b64 exec, exec, s[4:5]
.LBB316_3116:
	s_mov_b64 s[0:1], 0
.LBB316_3117:
	s_andn2_b64 vcc, exec, s[0:1]
	s_cbranch_vccnz .LBB316_3134
; %bb.3118:
	s_cmp_lt_i32 s10, 6
	s_cbranch_scc1 .LBB316_3123
; %bb.3119:
	s_cmp_gt_i32 s10, 6
	s_cbranch_scc0 .LBB316_3124
; %bb.3120:
	global_load_dwordx2 v[10:11], v[8:9], off
	s_movk_i32 s0, 0xff
	s_waitcnt vmcnt(0)
	v_cvt_f32_f64_e32 v5, v[10:11]
	v_mov_b32_e32 v10, 0xff
	v_bfe_u32 v11, v5, 23, 8
	v_cmp_ne_u32_e32 vcc, s0, v11
	s_and_saveexec_b64 s[4:5], vcc
; %bb.3121:
	s_mov_b32 s0, 0x3fffff
	v_lshrrev_b32_e32 v10, 23, v5
	v_and_b32_e32 v13, 0x400000, v5
	v_and_or_b32 v5, v5, s0, v11
	v_cmp_ne_u32_e32 vcc, 0, v13
	v_cmp_ne_u32_e64 s[0:1], 0, v5
	s_and_b64 s[0:1], vcc, s[0:1]
	v_cndmask_b32_e64 v5, 0, 1, s[0:1]
	v_add_u32_e32 v10, v10, v5
; %bb.3122:
	s_or_b64 exec, exec, s[4:5]
	s_mov_b64 s[0:1], 0
	s_branch .LBB316_3125
.LBB316_3123:
	s_mov_b64 s[0:1], -1
                                        ; implicit-def: $vgpr10
	s_branch .LBB316_3130
.LBB316_3124:
	s_mov_b64 s[0:1], -1
                                        ; implicit-def: $vgpr10
.LBB316_3125:
	s_andn2_b64 vcc, exec, s[0:1]
	s_cbranch_vccnz .LBB316_3129
; %bb.3126:
	global_load_dword v5, v[8:9], off
	s_movk_i32 s0, 0xff
	s_waitcnt vmcnt(1)
	v_mov_b32_e32 v10, 0xff
	s_waitcnt vmcnt(0)
	v_bfe_u32 v11, v5, 23, 8
	v_cmp_ne_u32_e32 vcc, s0, v11
	s_and_saveexec_b64 s[4:5], vcc
; %bb.3127:
	s_mov_b32 s0, 0x3fffff
	v_lshrrev_b32_e32 v10, 23, v5
	v_and_b32_e32 v13, 0x400000, v5
	v_and_or_b32 v5, v5, s0, v11
	v_cmp_ne_u32_e32 vcc, 0, v13
	v_cmp_ne_u32_e64 s[0:1], 0, v5
	s_and_b64 s[0:1], vcc, s[0:1]
	v_cndmask_b32_e64 v5, 0, 1, s[0:1]
	v_add_u32_e32 v10, v10, v5
; %bb.3128:
	s_or_b64 exec, exec, s[4:5]
.LBB316_3129:
	s_mov_b64 s[0:1], 0
.LBB316_3130:
	s_andn2_b64 vcc, exec, s[0:1]
	s_cbranch_vccnz .LBB316_3134
; %bb.3131:
	global_load_ushort v5, v[8:9], off
	s_movk_i32 s0, 0xff
	s_waitcnt vmcnt(1)
	v_mov_b32_e32 v10, 0xff
	s_waitcnt vmcnt(0)
	v_cvt_f32_f16_e32 v5, v5
	v_bfe_u32 v11, v5, 23, 8
	v_cmp_ne_u32_e32 vcc, s0, v11
	s_and_saveexec_b64 s[4:5], vcc
; %bb.3132:
	s_mov_b32 s0, 0x3fffff
	v_lshrrev_b32_e32 v10, 23, v5
	v_and_b32_e32 v13, 0x400000, v5
	v_and_or_b32 v5, v5, s0, v11
	v_cmp_ne_u32_e32 vcc, 0, v13
	v_cmp_ne_u32_e64 s[0:1], 0, v5
	s_and_b64 s[0:1], vcc, s[0:1]
	v_cndmask_b32_e64 v5, 0, 1, s[0:1]
	v_add_u32_e32 v10, v10, v5
; %bb.3133:
	s_or_b64 exec, exec, s[4:5]
.LBB316_3134:
	s_mov_b64 s[0:1], 0
.LBB316_3135:
	s_andn2_b64 vcc, exec, s[0:1]
	s_cbranch_vccnz .LBB316_3165
; %bb.3136:
	s_cmp_lt_i32 s10, 2
	s_cbranch_scc1 .LBB316_3142
; %bb.3137:
	s_cmp_lt_i32 s10, 3
	s_cbranch_scc1 .LBB316_3143
; %bb.3138:
	s_cmp_gt_i32 s10, 3
	s_cbranch_scc0 .LBB316_3144
; %bb.3139:
	global_load_dwordx2 v[10:11], v[8:9], off
	s_movk_i32 s0, 0xff
	s_waitcnt vmcnt(0)
	v_xor_b32_e32 v13, v10, v11
	v_ffbh_i32_e32 v5, v11
	v_ashrrev_i32_e32 v13, 31, v13
	v_add_u32_e32 v5, -1, v5
	v_add_u32_e32 v13, 32, v13
	v_min_u32_e32 v5, v5, v13
	v_lshlrev_b64 v[10:11], v5, v[10:11]
	v_sub_u32_e32 v5, 32, v5
	v_min_u32_e32 v10, 1, v10
	v_or_b32_e32 v10, v11, v10
	v_cvt_f32_i32_e32 v10, v10
	v_ldexp_f32 v5, v10, v5
	v_bfe_u32 v11, v5, 23, 8
	v_cmp_ne_u32_e32 vcc, s0, v11
	v_mov_b32_e32 v10, 0xff
	s_and_saveexec_b64 s[4:5], vcc
; %bb.3140:
	s_mov_b32 s0, 0x3fffff
	v_lshrrev_b32_e32 v10, 23, v5
	v_and_b32_e32 v13, 0x400000, v5
	v_and_or_b32 v5, v5, s0, v11
	v_cmp_ne_u32_e32 vcc, 0, v13
	v_cmp_ne_u32_e64 s[0:1], 0, v5
	s_and_b64 s[0:1], vcc, s[0:1]
	v_cndmask_b32_e64 v5, 0, 1, s[0:1]
	v_add_u32_e32 v10, v10, v5
; %bb.3141:
	s_or_b64 exec, exec, s[4:5]
	s_mov_b64 s[0:1], 0
	s_branch .LBB316_3145
.LBB316_3142:
	s_mov_b64 s[0:1], -1
                                        ; implicit-def: $vgpr10
	s_branch .LBB316_3155
.LBB316_3143:
	s_mov_b64 s[0:1], -1
                                        ; implicit-def: $vgpr10
	s_branch .LBB316_3150
.LBB316_3144:
	s_mov_b64 s[0:1], -1
                                        ; implicit-def: $vgpr10
.LBB316_3145:
	s_andn2_b64 vcc, exec, s[0:1]
	s_cbranch_vccnz .LBB316_3149
; %bb.3146:
	global_load_dword v5, v[8:9], off
	s_movk_i32 s0, 0xff
	s_waitcnt vmcnt(1)
	v_mov_b32_e32 v10, 0xff
	s_waitcnt vmcnt(0)
	v_cvt_f32_i32_e32 v5, v5
	v_bfe_u32 v11, v5, 23, 8
	v_cmp_ne_u32_e32 vcc, s0, v11
	s_and_saveexec_b64 s[4:5], vcc
; %bb.3147:
	s_mov_b32 s0, 0x3fffff
	v_lshrrev_b32_e32 v10, 23, v5
	v_and_b32_e32 v13, 0x400000, v5
	v_and_or_b32 v5, v5, s0, v11
	v_cmp_ne_u32_e32 vcc, 0, v13
	v_cmp_ne_u32_e64 s[0:1], 0, v5
	s_and_b64 s[0:1], vcc, s[0:1]
	v_cndmask_b32_e64 v5, 0, 1, s[0:1]
	v_add_u32_e32 v10, v10, v5
; %bb.3148:
	s_or_b64 exec, exec, s[4:5]
.LBB316_3149:
	s_mov_b64 s[0:1], 0
.LBB316_3150:
	s_andn2_b64 vcc, exec, s[0:1]
	s_cbranch_vccnz .LBB316_3154
; %bb.3151:
	global_load_sshort v5, v[8:9], off
	s_movk_i32 s0, 0xff
	s_waitcnt vmcnt(1)
	v_mov_b32_e32 v10, 0xff
	s_waitcnt vmcnt(0)
	v_cvt_f32_i32_e32 v5, v5
	v_bfe_u32 v11, v5, 23, 8
	v_cmp_ne_u32_e32 vcc, s0, v11
	s_and_saveexec_b64 s[4:5], vcc
; %bb.3152:
	s_mov_b32 s0, 0x3fffff
	v_lshrrev_b32_e32 v10, 23, v5
	v_and_b32_e32 v13, 0x400000, v5
	v_and_or_b32 v5, v5, s0, v11
	v_cmp_ne_u32_e32 vcc, 0, v13
	v_cmp_ne_u32_e64 s[0:1], 0, v5
	s_and_b64 s[0:1], vcc, s[0:1]
	v_cndmask_b32_e64 v5, 0, 1, s[0:1]
	v_add_u32_e32 v10, v10, v5
; %bb.3153:
	s_or_b64 exec, exec, s[4:5]
.LBB316_3154:
	s_mov_b64 s[0:1], 0
.LBB316_3155:
	s_andn2_b64 vcc, exec, s[0:1]
	s_cbranch_vccnz .LBB316_3165
; %bb.3156:
	s_cmp_gt_i32 s10, 0
	s_cbranch_scc0 .LBB316_3160
; %bb.3157:
	global_load_sbyte v5, v[8:9], off
	s_movk_i32 s0, 0xff
	s_waitcnt vmcnt(1)
	v_mov_b32_e32 v10, 0xff
	s_waitcnt vmcnt(0)
	v_cvt_f32_i32_e32 v5, v5
	v_bfe_u32 v11, v5, 23, 8
	v_cmp_ne_u32_e32 vcc, s0, v11
	s_and_saveexec_b64 s[4:5], vcc
; %bb.3158:
	s_mov_b32 s0, 0x3fffff
	v_lshrrev_b32_e32 v10, 23, v5
	v_and_b32_e32 v13, 0x400000, v5
	v_and_or_b32 v5, v5, s0, v11
	v_cmp_ne_u32_e32 vcc, 0, v13
	v_cmp_ne_u32_e64 s[0:1], 0, v5
	s_and_b64 s[0:1], vcc, s[0:1]
	v_cndmask_b32_e64 v5, 0, 1, s[0:1]
	v_add_u32_e32 v10, v10, v5
; %bb.3159:
	s_or_b64 exec, exec, s[4:5]
	s_mov_b64 s[0:1], 0
	s_branch .LBB316_3161
.LBB316_3160:
	s_mov_b64 s[0:1], -1
                                        ; implicit-def: $vgpr10
.LBB316_3161:
	s_andn2_b64 vcc, exec, s[0:1]
	s_cbranch_vccnz .LBB316_3165
; %bb.3162:
	global_load_ubyte v5, v[8:9], off
	s_movk_i32 s0, 0xff
	s_waitcnt vmcnt(1)
	v_mov_b32_e32 v10, 0xff
	s_waitcnt vmcnt(0)
	v_cvt_f32_ubyte0_e32 v8, v5
	v_lshrrev_b32_e32 v5, 23, v8
	v_cmp_ne_u32_e32 vcc, s0, v5
	s_and_saveexec_b64 s[4:5], vcc
; %bb.3163:
	s_mov_b32 s0, 0x3fffff
	v_and_b32_e32 v9, 0x400000, v8
	v_and_or_b32 v8, v8, s0, v5
	v_cmp_ne_u32_e32 vcc, 0, v9
	v_cmp_ne_u32_e64 s[0:1], 0, v8
	s_and_b64 s[0:1], vcc, s[0:1]
	v_cndmask_b32_e64 v8, 0, 1, s[0:1]
	v_add_u32_e32 v10, v5, v8
; %bb.3164:
	s_or_b64 exec, exec, s[4:5]
.LBB316_3165:
	s_mov_b64 s[0:1], -1
.LBB316_3166:
	s_andn2_b64 vcc, exec, s[0:1]
	s_cbranch_vccnz .LBB316_3772
; %bb.3167:
	v_mov_b32_e32 v5, s3
	v_add_co_u32_e32 v7, vcc, s2, v7
	s_cmp_lt_i32 s23, 11
	v_addc_co_u32_e32 v8, vcc, 0, v5, vcc
	s_cbranch_scc1 .LBB316_3176
; %bb.3168:
	s_and_b32 s18, 0xffff, s23
	s_cmp_gt_i32 s18, 25
	s_mov_b64 s[4:5], 0
	s_cbranch_scc0 .LBB316_3177
; %bb.3169:
	s_cmp_gt_i32 s18, 28
	s_cbranch_scc0 .LBB316_3178
; %bb.3170:
	s_cmp_gt_i32 s18, 43
	s_cbranch_scc0 .LBB316_3179
; %bb.3171:
	s_cmp_gt_i32 s18, 45
	s_cbranch_scc0 .LBB316_3181
; %bb.3172:
	s_cmp_eq_u32 s18, 46
	s_mov_b64 s[10:11], 0
	s_cbranch_scc0 .LBB316_3182
; %bb.3173:
	global_load_dword v5, v[7:8], off
	s_movk_i32 s0, 0xff
	v_mov_b32_e32 v9, 0xff
	s_waitcnt vmcnt(0)
	v_lshlrev_b32_e32 v11, 16, v5
	v_bfe_u32 v13, v11, 23, 8
	v_cmp_ne_u32_e32 vcc, s0, v13
	s_and_saveexec_b64 s[2:3], vcc
; %bb.3174:
	v_bfe_u32 v9, v5, 7, 9
	v_and_b32_e32 v5, 64, v5
	s_mov_b32 s0, 0x3f0000
	v_cmp_ne_u32_e32 vcc, 0, v5
	v_and_or_b32 v5, v11, s0, v13
	v_cmp_ne_u32_e64 s[0:1], 0, v5
	s_and_b64 s[0:1], vcc, s[0:1]
	v_cndmask_b32_e64 v5, 0, 1, s[0:1]
	v_add_u32_e32 v9, v9, v5
; %bb.3175:
	s_or_b64 exec, exec, s[2:3]
	s_mov_b64 s[2:3], 0
	s_mov_b64 s[0:1], -1
	s_branch .LBB316_3183
.LBB316_3176:
	s_mov_b64 s[2:3], -1
	s_mov_b64 s[0:1], 0
                                        ; implicit-def: $vgpr9
	s_branch .LBB316_3267
.LBB316_3177:
	s_mov_b64 s[10:11], -1
	s_mov_b64 s[0:1], 0
	s_mov_b64 s[2:3], 0
                                        ; implicit-def: $vgpr9
	s_branch .LBB316_3220
.LBB316_3178:
	s_mov_b64 s[10:11], -1
	s_mov_b64 s[0:1], 0
	s_mov_b64 s[2:3], 0
                                        ; implicit-def: $vgpr9
	s_branch .LBB316_3195
.LBB316_3179:
	s_mov_b64 s[10:11], -1
	s_mov_b64 s[0:1], 0
	s_mov_b64 s[2:3], 0
                                        ; implicit-def: $vgpr9
	s_branch .LBB316_3188
.LBB316_3180:
	s_trap 2
	s_or_b64 s[14:15], s[14:15], exec
	s_cbranch_execz .LBB316_3091
	s_branch .LBB316_3094
.LBB316_3181:
	s_mov_b64 s[10:11], -1
	s_mov_b64 s[0:1], 0
	s_mov_b64 s[2:3], 0
                                        ; implicit-def: $vgpr9
	s_branch .LBB316_3183
.LBB316_3182:
	s_mov_b64 s[2:3], -1
                                        ; implicit-def: $vgpr9
	s_mov_b64 s[0:1], 0
.LBB316_3183:
	s_and_b64 vcc, exec, s[10:11]
	s_cbranch_vccz .LBB316_3187
; %bb.3184:
	s_cmp_eq_u32 s18, 44
	s_cbranch_scc0 .LBB316_3186
; %bb.3185:
	global_load_ubyte v9, v[7:8], off
	s_mov_b64 s[2:3], 0
	s_mov_b64 s[0:1], -1
	s_branch .LBB316_3187
.LBB316_3186:
	s_mov_b64 s[2:3], -1
                                        ; implicit-def: $vgpr9
.LBB316_3187:
	s_mov_b64 s[10:11], 0
.LBB316_3188:
	s_and_b64 vcc, exec, s[10:11]
	s_cbranch_vccz .LBB316_3194
; %bb.3189:
	s_cmp_eq_u32 s18, 29
	s_cbranch_scc0 .LBB316_3193
; %bb.3190:
	global_load_dwordx2 v[19:20], v[7:8], off
	s_movk_i32 s0, 0xff
	s_waitcnt vmcnt(0)
	v_ffbh_u32_e32 v5, v20
	v_min_u32_e32 v5, 32, v5
	v_lshlrev_b64 v[19:20], v5, v[19:20]
	v_sub_u32_e32 v5, 32, v5
	v_min_u32_e32 v9, 1, v19
	v_or_b32_e32 v9, v20, v9
	v_cvt_f32_u32_e32 v9, v9
	v_ldexp_f32 v11, v9, v5
	v_lshrrev_b32_e32 v5, 23, v11
	v_cmp_ne_u32_e32 vcc, s0, v5
	v_mov_b32_e32 v9, 0xff
	s_and_saveexec_b64 s[2:3], vcc
; %bb.3191:
	v_and_b32_e32 v9, 0x400000, v11
	s_mov_b32 s0, 0x3fffff
	v_cmp_ne_u32_e32 vcc, 0, v9
	v_and_or_b32 v9, v11, s0, v5
	v_cmp_ne_u32_e64 s[0:1], 0, v9
	s_and_b64 s[0:1], vcc, s[0:1]
	v_cndmask_b32_e64 v9, 0, 1, s[0:1]
	v_add_u32_e32 v9, v5, v9
; %bb.3192:
	s_or_b64 exec, exec, s[2:3]
	s_mov_b64 s[2:3], 0
	s_mov_b64 s[0:1], -1
	s_branch .LBB316_3194
.LBB316_3193:
	s_mov_b64 s[2:3], -1
                                        ; implicit-def: $vgpr9
.LBB316_3194:
	s_mov_b64 s[10:11], 0
.LBB316_3195:
	s_and_b64 vcc, exec, s[10:11]
	s_cbranch_vccz .LBB316_3219
; %bb.3196:
	s_cmp_lt_i32 s18, 27
	s_cbranch_scc1 .LBB316_3201
; %bb.3197:
	s_cmp_gt_i32 s18, 27
	s_cbranch_scc0 .LBB316_3202
; %bb.3198:
	global_load_dword v5, v[7:8], off
	s_movk_i32 s0, 0xff
	s_waitcnt vmcnt(1)
	v_mov_b32_e32 v9, 0xff
	s_waitcnt vmcnt(0)
	v_cvt_f32_u32_e32 v11, v5
	v_lshrrev_b32_e32 v5, 23, v11
	v_cmp_ne_u32_e32 vcc, s0, v5
	s_and_saveexec_b64 s[10:11], vcc
; %bb.3199:
	v_and_b32_e32 v9, 0x400000, v11
	s_mov_b32 s0, 0x3fffff
	v_cmp_ne_u32_e32 vcc, 0, v9
	v_and_or_b32 v9, v11, s0, v5
	v_cmp_ne_u32_e64 s[0:1], 0, v9
	s_and_b64 s[0:1], vcc, s[0:1]
	v_cndmask_b32_e64 v9, 0, 1, s[0:1]
	v_add_u32_e32 v9, v5, v9
; %bb.3200:
	s_or_b64 exec, exec, s[10:11]
	s_mov_b64 s[0:1], 0
	s_branch .LBB316_3203
.LBB316_3201:
	s_mov_b64 s[0:1], -1
                                        ; implicit-def: $vgpr9
	s_branch .LBB316_3208
.LBB316_3202:
	s_mov_b64 s[0:1], -1
                                        ; implicit-def: $vgpr9
.LBB316_3203:
	s_andn2_b64 vcc, exec, s[0:1]
	s_cbranch_vccnz .LBB316_3207
; %bb.3204:
	global_load_ushort v5, v[7:8], off
	s_movk_i32 s0, 0xff
	s_waitcnt vmcnt(1)
	v_mov_b32_e32 v9, 0xff
	s_waitcnt vmcnt(0)
	v_cvt_f32_u32_e32 v11, v5
	v_lshrrev_b32_e32 v5, 23, v11
	v_cmp_ne_u32_e32 vcc, s0, v5
	s_and_saveexec_b64 s[10:11], vcc
; %bb.3205:
	v_and_b32_e32 v9, 0x400000, v11
	s_mov_b32 s0, 0x3fffff
	v_cmp_ne_u32_e32 vcc, 0, v9
	v_and_or_b32 v9, v11, s0, v5
	v_cmp_ne_u32_e64 s[0:1], 0, v9
	s_and_b64 s[0:1], vcc, s[0:1]
	v_cndmask_b32_e64 v9, 0, 1, s[0:1]
	v_add_u32_e32 v9, v5, v9
; %bb.3206:
	s_or_b64 exec, exec, s[10:11]
.LBB316_3207:
	s_mov_b64 s[0:1], 0
.LBB316_3208:
	s_andn2_b64 vcc, exec, s[0:1]
	s_cbranch_vccnz .LBB316_3218
; %bb.3209:
	global_load_ubyte v5, v[7:8], off
	s_movk_i32 s0, 0x7f
	s_waitcnt vmcnt(0)
	v_cmp_lt_i16_e32 vcc, s0, v5
	s_mov_b64 s[0:1], 0
	s_and_saveexec_b64 s[10:11], vcc
	s_xor_b64 s[10:11], exec, s[10:11]
	s_cbranch_execz .LBB316_3234
; %bb.3210:
	s_movk_i32 s0, 0x80
	v_cmp_eq_u16_e32 vcc, s0, v5
	s_mov_b64 s[0:1], -1
	s_and_saveexec_b64 s[16:17], vcc
; %bb.3211:
	s_xor_b64 s[0:1], exec, -1
; %bb.3212:
	s_or_b64 exec, exec, s[16:17]
	s_and_b64 s[0:1], s[0:1], exec
	s_or_saveexec_b64 s[10:11], s[10:11]
	v_mov_b32_e32 v11, 0x7f800001
	s_xor_b64 exec, exec, s[10:11]
	s_cbranch_execnz .LBB316_3235
.LBB316_3213:
	s_or_b64 exec, exec, s[10:11]
	s_and_saveexec_b64 s[10:11], s[0:1]
	s_cbranch_execz .LBB316_3215
.LBB316_3214:
	v_and_b32_e32 v5, 0xffff, v5
	v_and_b32_e32 v9, 7, v5
	v_ffbh_u32_e32 v13, v9
	v_min_u32_e32 v13, 32, v13
	v_subrev_u32_e32 v15, 28, v13
	v_bfe_u32 v11, v5, 3, 4
	v_lshlrev_b32_e32 v5, v15, v5
	v_and_b32_e32 v5, 7, v5
	v_cmp_eq_u32_e32 vcc, 0, v11
	v_sub_u32_e32 v13, 29, v13
	v_cndmask_b32_e32 v5, v9, v5, vcc
	v_cndmask_b32_e32 v11, v11, v13, vcc
	v_lshlrev_b32_e32 v5, 20, v5
	v_lshl_or_b32 v5, v11, 23, v5
	v_add_u32_e32 v11, 0x3b800000, v5
.LBB316_3215:
	s_or_b64 exec, exec, s[10:11]
	v_lshrrev_b32_e32 v5, 23, v11
	s_movk_i32 s0, 0xff
	v_cmp_ne_u32_e32 vcc, s0, v5
	v_mov_b32_e32 v9, 0xff
	s_and_saveexec_b64 s[10:11], vcc
; %bb.3216:
	v_and_b32_e32 v9, 0x400000, v11
	s_mov_b32 s0, 0x3fffff
	v_cmp_ne_u32_e32 vcc, 0, v9
	v_and_or_b32 v9, v11, s0, v5
	v_cmp_ne_u32_e64 s[0:1], 0, v9
	s_and_b64 s[0:1], vcc, s[0:1]
	v_cndmask_b32_e64 v9, 0, 1, s[0:1]
	v_add_u32_e32 v9, v5, v9
; %bb.3217:
	s_or_b64 exec, exec, s[10:11]
.LBB316_3218:
	s_mov_b64 s[0:1], -1
.LBB316_3219:
	s_mov_b64 s[10:11], 0
.LBB316_3220:
	s_and_b64 vcc, exec, s[10:11]
	s_cbranch_vccz .LBB316_3261
; %bb.3221:
	s_cmp_gt_i32 s18, 22
	s_cbranch_scc0 .LBB316_3233
; %bb.3222:
	s_cmp_lt_i32 s18, 24
	s_cbranch_scc1 .LBB316_3236
; %bb.3223:
	s_cmp_gt_i32 s18, 24
	s_cbranch_scc0 .LBB316_3237
; %bb.3224:
	global_load_ubyte v5, v[7:8], off
	s_movk_i32 s0, 0x7f
	s_waitcnt vmcnt(0)
	v_cmp_lt_i16_e32 vcc, s0, v5
	s_mov_b64 s[0:1], 0
	s_and_saveexec_b64 s[4:5], vcc
	s_xor_b64 s[4:5], exec, s[4:5]
	s_cbranch_execz .LBB316_3255
; %bb.3225:
	s_movk_i32 s0, 0x80
	v_cmp_eq_u16_e32 vcc, s0, v5
	s_mov_b64 s[0:1], -1
	s_and_saveexec_b64 s[10:11], vcc
; %bb.3226:
	s_xor_b64 s[0:1], exec, -1
; %bb.3227:
	s_or_b64 exec, exec, s[10:11]
	s_and_b64 s[0:1], s[0:1], exec
	s_or_saveexec_b64 s[4:5], s[4:5]
	v_mov_b32_e32 v11, 0x7f800001
	s_xor_b64 exec, exec, s[4:5]
	s_cbranch_execnz .LBB316_3256
.LBB316_3228:
	s_or_b64 exec, exec, s[4:5]
	s_and_saveexec_b64 s[4:5], s[0:1]
	s_cbranch_execz .LBB316_3230
.LBB316_3229:
	v_and_b32_e32 v5, 0xffff, v5
	v_and_b32_e32 v9, 3, v5
	v_ffbh_u32_e32 v13, v9
	v_min_u32_e32 v13, 32, v13
	v_subrev_u32_e32 v15, 29, v13
	v_bfe_u32 v11, v5, 2, 5
	v_lshlrev_b32_e32 v5, v15, v5
	v_and_b32_e32 v5, 3, v5
	v_cmp_eq_u32_e32 vcc, 0, v11
	v_sub_u32_e32 v13, 30, v13
	v_cndmask_b32_e32 v5, v9, v5, vcc
	v_cndmask_b32_e32 v11, v11, v13, vcc
	v_lshlrev_b32_e32 v5, 21, v5
	v_lshl_or_b32 v5, v11, 23, v5
	v_add_u32_e32 v11, 0x37800000, v5
.LBB316_3230:
	s_or_b64 exec, exec, s[4:5]
	v_lshrrev_b32_e32 v5, 23, v11
	s_movk_i32 s0, 0xff
	v_cmp_ne_u32_e32 vcc, s0, v5
	v_mov_b32_e32 v9, 0xff
	s_and_saveexec_b64 s[4:5], vcc
; %bb.3231:
	v_and_b32_e32 v9, 0x400000, v11
	s_mov_b32 s0, 0x3fffff
	v_cmp_ne_u32_e32 vcc, 0, v9
	v_and_or_b32 v9, v11, s0, v5
	v_cmp_ne_u32_e64 s[0:1], 0, v9
	s_and_b64 s[0:1], vcc, s[0:1]
	v_cndmask_b32_e64 v9, 0, 1, s[0:1]
	v_add_u32_e32 v9, v5, v9
; %bb.3232:
	s_or_b64 exec, exec, s[4:5]
	s_mov_b64 s[0:1], 0
	s_branch .LBB316_3238
.LBB316_3233:
	s_mov_b64 s[4:5], -1
                                        ; implicit-def: $vgpr9
	s_branch .LBB316_3248
.LBB316_3234:
	s_or_saveexec_b64 s[10:11], s[10:11]
	v_mov_b32_e32 v11, 0x7f800001
	s_xor_b64 exec, exec, s[10:11]
	s_cbranch_execz .LBB316_3213
.LBB316_3235:
	v_cmp_ne_u16_e32 vcc, 0, v5
	s_andn2_b64 s[0:1], s[0:1], exec
	s_and_b64 s[16:17], vcc, exec
	v_and_b32_e32 v11, 0xffff, v5
	s_or_b64 s[0:1], s[0:1], s[16:17]
	s_or_b64 exec, exec, s[10:11]
	s_and_saveexec_b64 s[10:11], s[0:1]
	s_cbranch_execnz .LBB316_3214
	s_branch .LBB316_3215
.LBB316_3236:
	s_mov_b64 s[0:1], -1
                                        ; implicit-def: $vgpr9
	s_branch .LBB316_3243
.LBB316_3237:
	s_mov_b64 s[0:1], -1
                                        ; implicit-def: $vgpr9
.LBB316_3238:
	s_and_b64 vcc, exec, s[0:1]
	s_cbranch_vccz .LBB316_3242
; %bb.3239:
	global_load_ubyte v5, v[7:8], off
	s_mov_b32 s0, 0x7f800000
	s_movk_i32 s1, 0xff
	s_waitcnt vmcnt(0)
	v_lshlrev_b32_e32 v5, 24, v5
	v_and_b32_e32 v5, 0x7f000000, v5
	v_ffbh_u32_e32 v9, v5
	v_min_u32_e32 v9, 32, v9
	v_sub_u32_e64 v9, v9, 4 clamp
	v_lshlrev_b32_e32 v13, v9, v5
	v_lshlrev_b32_e32 v9, 23, v9
	v_lshrrev_b32_e32 v13, 4, v13
	v_add_u32_e32 v11, 0x1000000, v5
	v_sub_u32_e32 v9, v13, v9
	v_ashrrev_i32_e32 v11, 8, v11
	v_add_u32_e32 v9, 0x3c000000, v9
	v_and_or_b32 v9, v11, s0, v9
	v_cmp_ne_u32_e32 vcc, 0, v5
	v_cndmask_b32_e32 v11, 0, v9, vcc
	v_lshrrev_b32_e32 v5, 23, v11
	v_cmp_ne_u32_e32 vcc, s1, v5
	v_mov_b32_e32 v9, 0xff
	s_and_saveexec_b64 s[4:5], vcc
; %bb.3240:
	v_and_b32_e32 v9, 0x400000, v11
	s_mov_b32 s0, 0x3fffff
	v_cmp_ne_u32_e32 vcc, 0, v9
	v_and_or_b32 v9, v11, s0, v5
	v_cmp_ne_u32_e64 s[0:1], 0, v9
	s_and_b64 s[0:1], vcc, s[0:1]
	v_cndmask_b32_e64 v9, 0, 1, s[0:1]
	v_add_u32_e32 v9, v5, v9
; %bb.3241:
	s_or_b64 exec, exec, s[4:5]
.LBB316_3242:
	s_mov_b64 s[0:1], 0
.LBB316_3243:
	s_andn2_b64 vcc, exec, s[0:1]
	s_cbranch_vccnz .LBB316_3247
; %bb.3244:
	global_load_ubyte v5, v[7:8], off
	s_movk_i32 s0, 0x7f00
	s_brev_b32 s1, 16
	s_movk_i32 s4, 0xff
	s_waitcnt vmcnt(0)
	v_lshlrev_b32_e32 v9, 8, v5
	v_lshlrev_b32_e32 v5, 25, v5
	v_lshrrev_b32_e32 v11, 4, v5
	v_and_or_b32 v9, v9, s0, 0.5
	v_or_b32_e32 v11, 0x70000000, v11
	v_add_f32_e32 v9, -0.5, v9
	v_mul_f32_e32 v11, 0x7800000, v11
	v_cmp_gt_u32_e32 vcc, s1, v5
	v_cndmask_b32_e32 v5, v11, v9, vcc
	v_bfe_u32 v11, v5, 23, 8
	v_cmp_ne_u32_e32 vcc, s4, v11
	v_mov_b32_e32 v9, 0xff
	s_and_saveexec_b64 s[4:5], vcc
; %bb.3245:
	s_mov_b32 s0, 0x3fffff
	v_lshrrev_b32_e32 v9, 23, v5
	v_and_b32_e32 v13, 0x400000, v5
	v_and_or_b32 v5, v5, s0, v11
	v_cmp_ne_u32_e32 vcc, 0, v13
	v_cmp_ne_u32_e64 s[0:1], 0, v5
	s_and_b64 s[0:1], vcc, s[0:1]
	v_cndmask_b32_e64 v5, 0, 1, s[0:1]
	v_add_u32_e32 v9, v9, v5
; %bb.3246:
	s_or_b64 exec, exec, s[4:5]
.LBB316_3247:
	s_mov_b64 s[4:5], 0
	s_mov_b64 s[0:1], -1
.LBB316_3248:
	s_andn2_b64 vcc, exec, s[4:5]
	s_mov_b64 s[4:5], 0
	s_cbranch_vccnz .LBB316_3261
; %bb.3249:
	s_cmp_gt_i32 s18, 14
	s_cbranch_scc0 .LBB316_3254
; %bb.3250:
	s_cmp_eq_u32 s18, 15
	s_cbranch_scc0 .LBB316_3257
; %bb.3251:
	global_load_ushort v5, v[7:8], off
	s_movk_i32 s0, 0xff
	s_waitcnt vmcnt(1)
	v_mov_b32_e32 v9, 0xff
	s_waitcnt vmcnt(0)
	v_bfe_u32 v11, v5, 7, 8
	v_cmp_ne_u32_e32 vcc, s0, v11
	s_and_saveexec_b64 s[2:3], vcc
	s_cbranch_execz .LBB316_3253
; %bb.3252:
	v_lshrrev_b32_e32 v9, 7, v5
	v_lshlrev_b32_e32 v13, 16, v5
	v_and_b32_e32 v5, 64, v5
	s_mov_b32 s0, 0x3f0000
	v_cmp_ne_u32_e32 vcc, 0, v5
	v_and_or_b32 v5, v13, s0, v11
	v_cmp_ne_u32_e64 s[0:1], 0, v5
	s_and_b64 s[0:1], vcc, s[0:1]
	v_cndmask_b32_e64 v5, 0, 1, s[0:1]
	v_add_u32_e32 v9, v9, v5
.LBB316_3253:
	s_or_b64 exec, exec, s[2:3]
	s_mov_b64 s[2:3], 0
	s_mov_b64 s[0:1], -1
	s_branch .LBB316_3258
.LBB316_3254:
	s_mov_b64 s[10:11], -1
                                        ; implicit-def: $vgpr9
	s_branch .LBB316_3259
.LBB316_3255:
	s_or_saveexec_b64 s[4:5], s[4:5]
	v_mov_b32_e32 v11, 0x7f800001
	s_xor_b64 exec, exec, s[4:5]
	s_cbranch_execz .LBB316_3228
.LBB316_3256:
	v_cmp_ne_u16_e32 vcc, 0, v5
	s_andn2_b64 s[0:1], s[0:1], exec
	s_and_b64 s[10:11], vcc, exec
	v_and_b32_e32 v11, 0xffff, v5
	s_or_b64 s[0:1], s[0:1], s[10:11]
	s_or_b64 exec, exec, s[4:5]
	s_and_saveexec_b64 s[4:5], s[0:1]
	s_cbranch_execnz .LBB316_3229
	s_branch .LBB316_3230
.LBB316_3257:
	s_mov_b64 s[2:3], -1
                                        ; implicit-def: $vgpr9
.LBB316_3258:
	s_mov_b64 s[10:11], 0
.LBB316_3259:
	s_and_b64 vcc, exec, s[10:11]
	s_cbranch_vccz .LBB316_3261
; %bb.3260:
	s_cmp_lg_u32 s18, 11
	s_mov_b64 s[4:5], -1
	s_cselect_b64 s[2:3], -1, 0
.LBB316_3261:
	s_and_b64 vcc, exec, s[2:3]
	s_cbranch_vccnz .LBB316_3818
; %bb.3262:
	s_andn2_b64 vcc, exec, s[4:5]
	s_cbranch_vccnz .LBB316_3266
.LBB316_3263:
	global_load_ubyte v5, v[7:8], off
	s_movk_i32 s0, 0xff
	s_waitcnt vmcnt(1)
	v_mov_b32_e32 v9, 0xff
	s_waitcnt vmcnt(0)
	v_cmp_ne_u16_e32 vcc, 0, v5
	v_cndmask_b32_e64 v11, 0, 1.0, vcc
	v_lshrrev_b32_e32 v5, 23, v11
	v_cmp_ne_u32_e32 vcc, s0, v5
	s_and_saveexec_b64 s[2:3], vcc
; %bb.3264:
	v_and_b32_e32 v9, 0x400000, v11
	s_mov_b32 s0, 0x3fffff
	v_cmp_ne_u32_e32 vcc, 0, v9
	v_and_or_b32 v9, v11, s0, v5
	v_cmp_ne_u32_e64 s[0:1], 0, v9
	s_and_b64 s[0:1], vcc, s[0:1]
	v_cndmask_b32_e64 v9, 0, 1, s[0:1]
	v_add_u32_e32 v9, v5, v9
; %bb.3265:
	s_or_b64 exec, exec, s[2:3]
	s_mov_b64 s[0:1], -1
.LBB316_3266:
	s_mov_b64 s[2:3], 0
.LBB316_3267:
	s_and_b64 vcc, exec, s[2:3]
	s_cbranch_vccz .LBB316_3338
; %bb.3268:
	s_and_b32 s4, 0xffff, s23
	s_cmp_lt_i32 s4, 5
	s_cbranch_scc1 .LBB316_3275
; %bb.3269:
	s_cmp_lt_i32 s4, 8
	s_cbranch_scc1 .LBB316_3276
; %bb.3270:
	;; [unrolled: 3-line block ×3, first 2 shown]
	s_cmp_gt_i32 s4, 9
	s_cbranch_scc0 .LBB316_3278
; %bb.3272:
	global_load_dwordx2 v[19:20], v[7:8], off
	s_movk_i32 s0, 0xff
	s_waitcnt vmcnt(1)
	v_mov_b32_e32 v9, 0xff
	s_waitcnt vmcnt(0)
	v_cvt_f32_f64_e32 v5, v[19:20]
	v_bfe_u32 v11, v5, 23, 8
	v_cmp_ne_u32_e32 vcc, s0, v11
	s_and_saveexec_b64 s[2:3], vcc
; %bb.3273:
	s_mov_b32 s0, 0x3fffff
	v_lshrrev_b32_e32 v9, 23, v5
	v_and_b32_e32 v13, 0x400000, v5
	v_and_or_b32 v5, v5, s0, v11
	v_cmp_ne_u32_e32 vcc, 0, v13
	v_cmp_ne_u32_e64 s[0:1], 0, v5
	s_and_b64 s[0:1], vcc, s[0:1]
	v_cndmask_b32_e64 v5, 0, 1, s[0:1]
	v_add_u32_e32 v9, v9, v5
; %bb.3274:
	s_or_b64 exec, exec, s[2:3]
	s_mov_b64 s[0:1], 0
	s_branch .LBB316_3279
.LBB316_3275:
	s_mov_b64 s[0:1], -1
                                        ; implicit-def: $vgpr9
	s_branch .LBB316_3307
.LBB316_3276:
	s_mov_b64 s[0:1], -1
                                        ; implicit-def: $vgpr9
	s_branch .LBB316_3289
.LBB316_3277:
	s_mov_b64 s[0:1], -1
                                        ; implicit-def: $vgpr9
	s_branch .LBB316_3284
.LBB316_3278:
	s_mov_b64 s[0:1], -1
                                        ; implicit-def: $vgpr9
.LBB316_3279:
	s_andn2_b64 vcc, exec, s[0:1]
	s_cbranch_vccnz .LBB316_3283
; %bb.3280:
	global_load_dword v5, v[7:8], off
	s_movk_i32 s0, 0xff
	s_waitcnt vmcnt(1)
	v_mov_b32_e32 v9, 0xff
	s_waitcnt vmcnt(0)
	v_bfe_u32 v11, v5, 23, 8
	v_cmp_ne_u32_e32 vcc, s0, v11
	s_and_saveexec_b64 s[2:3], vcc
; %bb.3281:
	s_mov_b32 s0, 0x3fffff
	v_lshrrev_b32_e32 v9, 23, v5
	v_and_b32_e32 v13, 0x400000, v5
	v_and_or_b32 v5, v5, s0, v11
	v_cmp_ne_u32_e32 vcc, 0, v13
	v_cmp_ne_u32_e64 s[0:1], 0, v5
	s_and_b64 s[0:1], vcc, s[0:1]
	v_cndmask_b32_e64 v5, 0, 1, s[0:1]
	v_add_u32_e32 v9, v9, v5
; %bb.3282:
	s_or_b64 exec, exec, s[2:3]
.LBB316_3283:
	s_mov_b64 s[0:1], 0
.LBB316_3284:
	s_andn2_b64 vcc, exec, s[0:1]
	s_cbranch_vccnz .LBB316_3288
; %bb.3285:
	global_load_dword v5, v[7:8], off
	s_movk_i32 s0, 0xff
	s_waitcnt vmcnt(1)
	v_mov_b32_e32 v9, 0xff
	s_waitcnt vmcnt(0)
	v_cvt_f32_f16_e32 v5, v5
	v_bfe_u32 v11, v5, 23, 8
	v_cmp_ne_u32_e32 vcc, s0, v11
	s_and_saveexec_b64 s[2:3], vcc
; %bb.3286:
	s_mov_b32 s0, 0x3fffff
	v_lshrrev_b32_e32 v9, 23, v5
	v_and_b32_e32 v13, 0x400000, v5
	v_and_or_b32 v5, v5, s0, v11
	v_cmp_ne_u32_e32 vcc, 0, v13
	v_cmp_ne_u32_e64 s[0:1], 0, v5
	s_and_b64 s[0:1], vcc, s[0:1]
	v_cndmask_b32_e64 v5, 0, 1, s[0:1]
	v_add_u32_e32 v9, v9, v5
; %bb.3287:
	s_or_b64 exec, exec, s[2:3]
.LBB316_3288:
	s_mov_b64 s[0:1], 0
.LBB316_3289:
	s_andn2_b64 vcc, exec, s[0:1]
	s_cbranch_vccnz .LBB316_3306
; %bb.3290:
	s_cmp_lt_i32 s4, 6
	s_cbranch_scc1 .LBB316_3295
; %bb.3291:
	s_cmp_gt_i32 s4, 6
	s_cbranch_scc0 .LBB316_3296
; %bb.3292:
	global_load_dwordx2 v[19:20], v[7:8], off
	s_movk_i32 s0, 0xff
	s_waitcnt vmcnt(1)
	v_mov_b32_e32 v9, 0xff
	s_waitcnt vmcnt(0)
	v_cvt_f32_f64_e32 v5, v[19:20]
	v_bfe_u32 v11, v5, 23, 8
	v_cmp_ne_u32_e32 vcc, s0, v11
	s_and_saveexec_b64 s[2:3], vcc
; %bb.3293:
	s_mov_b32 s0, 0x3fffff
	v_lshrrev_b32_e32 v9, 23, v5
	v_and_b32_e32 v13, 0x400000, v5
	v_and_or_b32 v5, v5, s0, v11
	v_cmp_ne_u32_e32 vcc, 0, v13
	v_cmp_ne_u32_e64 s[0:1], 0, v5
	s_and_b64 s[0:1], vcc, s[0:1]
	v_cndmask_b32_e64 v5, 0, 1, s[0:1]
	v_add_u32_e32 v9, v9, v5
; %bb.3294:
	s_or_b64 exec, exec, s[2:3]
	s_mov_b64 s[0:1], 0
	s_branch .LBB316_3297
.LBB316_3295:
	s_mov_b64 s[0:1], -1
                                        ; implicit-def: $vgpr9
	s_branch .LBB316_3302
.LBB316_3296:
	s_mov_b64 s[0:1], -1
                                        ; implicit-def: $vgpr9
.LBB316_3297:
	s_andn2_b64 vcc, exec, s[0:1]
	s_cbranch_vccnz .LBB316_3301
; %bb.3298:
	global_load_dword v5, v[7:8], off
	s_movk_i32 s0, 0xff
	s_waitcnt vmcnt(1)
	v_mov_b32_e32 v9, 0xff
	s_waitcnt vmcnt(0)
	v_bfe_u32 v11, v5, 23, 8
	v_cmp_ne_u32_e32 vcc, s0, v11
	s_and_saveexec_b64 s[2:3], vcc
; %bb.3299:
	s_mov_b32 s0, 0x3fffff
	v_lshrrev_b32_e32 v9, 23, v5
	v_and_b32_e32 v13, 0x400000, v5
	v_and_or_b32 v5, v5, s0, v11
	v_cmp_ne_u32_e32 vcc, 0, v13
	v_cmp_ne_u32_e64 s[0:1], 0, v5
	s_and_b64 s[0:1], vcc, s[0:1]
	v_cndmask_b32_e64 v5, 0, 1, s[0:1]
	v_add_u32_e32 v9, v9, v5
; %bb.3300:
	s_or_b64 exec, exec, s[2:3]
.LBB316_3301:
	s_mov_b64 s[0:1], 0
.LBB316_3302:
	s_andn2_b64 vcc, exec, s[0:1]
	s_cbranch_vccnz .LBB316_3306
; %bb.3303:
	global_load_ushort v5, v[7:8], off
	s_movk_i32 s0, 0xff
	s_waitcnt vmcnt(1)
	v_mov_b32_e32 v9, 0xff
	s_waitcnt vmcnt(0)
	v_cvt_f32_f16_e32 v5, v5
	v_bfe_u32 v11, v5, 23, 8
	v_cmp_ne_u32_e32 vcc, s0, v11
	s_and_saveexec_b64 s[2:3], vcc
; %bb.3304:
	s_mov_b32 s0, 0x3fffff
	v_lshrrev_b32_e32 v9, 23, v5
	v_and_b32_e32 v13, 0x400000, v5
	v_and_or_b32 v5, v5, s0, v11
	v_cmp_ne_u32_e32 vcc, 0, v13
	v_cmp_ne_u32_e64 s[0:1], 0, v5
	s_and_b64 s[0:1], vcc, s[0:1]
	v_cndmask_b32_e64 v5, 0, 1, s[0:1]
	v_add_u32_e32 v9, v9, v5
; %bb.3305:
	s_or_b64 exec, exec, s[2:3]
.LBB316_3306:
	s_mov_b64 s[0:1], 0
.LBB316_3307:
	s_andn2_b64 vcc, exec, s[0:1]
	s_cbranch_vccnz .LBB316_3337
; %bb.3308:
	s_cmp_lt_i32 s4, 2
	s_cbranch_scc1 .LBB316_3314
; %bb.3309:
	s_cmp_lt_i32 s4, 3
	s_cbranch_scc1 .LBB316_3315
; %bb.3310:
	s_cmp_gt_i32 s4, 3
	s_cbranch_scc0 .LBB316_3316
; %bb.3311:
	global_load_dwordx2 v[19:20], v[7:8], off
	s_movk_i32 s0, 0xff
	s_waitcnt vmcnt(0)
	v_xor_b32_e32 v9, v19, v20
	v_ffbh_i32_e32 v5, v20
	v_ashrrev_i32_e32 v9, 31, v9
	v_add_u32_e32 v5, -1, v5
	v_add_u32_e32 v9, 32, v9
	v_min_u32_e32 v5, v5, v9
	v_lshlrev_b64 v[19:20], v5, v[19:20]
	v_sub_u32_e32 v5, 32, v5
	v_min_u32_e32 v9, 1, v19
	v_or_b32_e32 v9, v20, v9
	v_cvt_f32_i32_e32 v9, v9
	v_ldexp_f32 v5, v9, v5
	v_bfe_u32 v11, v5, 23, 8
	v_cmp_ne_u32_e32 vcc, s0, v11
	v_mov_b32_e32 v9, 0xff
	s_and_saveexec_b64 s[2:3], vcc
; %bb.3312:
	s_mov_b32 s0, 0x3fffff
	v_lshrrev_b32_e32 v9, 23, v5
	v_and_b32_e32 v13, 0x400000, v5
	v_and_or_b32 v5, v5, s0, v11
	v_cmp_ne_u32_e32 vcc, 0, v13
	v_cmp_ne_u32_e64 s[0:1], 0, v5
	s_and_b64 s[0:1], vcc, s[0:1]
	v_cndmask_b32_e64 v5, 0, 1, s[0:1]
	v_add_u32_e32 v9, v9, v5
; %bb.3313:
	s_or_b64 exec, exec, s[2:3]
	s_mov_b64 s[0:1], 0
	s_branch .LBB316_3317
.LBB316_3314:
	s_mov_b64 s[0:1], -1
                                        ; implicit-def: $vgpr9
	s_branch .LBB316_3327
.LBB316_3315:
	s_mov_b64 s[0:1], -1
                                        ; implicit-def: $vgpr9
	s_branch .LBB316_3322
.LBB316_3316:
	s_mov_b64 s[0:1], -1
                                        ; implicit-def: $vgpr9
.LBB316_3317:
	s_andn2_b64 vcc, exec, s[0:1]
	s_cbranch_vccnz .LBB316_3321
; %bb.3318:
	global_load_dword v5, v[7:8], off
	s_movk_i32 s0, 0xff
	s_waitcnt vmcnt(1)
	v_mov_b32_e32 v9, 0xff
	s_waitcnt vmcnt(0)
	v_cvt_f32_i32_e32 v5, v5
	v_bfe_u32 v11, v5, 23, 8
	v_cmp_ne_u32_e32 vcc, s0, v11
	s_and_saveexec_b64 s[2:3], vcc
; %bb.3319:
	s_mov_b32 s0, 0x3fffff
	v_lshrrev_b32_e32 v9, 23, v5
	v_and_b32_e32 v13, 0x400000, v5
	v_and_or_b32 v5, v5, s0, v11
	v_cmp_ne_u32_e32 vcc, 0, v13
	v_cmp_ne_u32_e64 s[0:1], 0, v5
	s_and_b64 s[0:1], vcc, s[0:1]
	v_cndmask_b32_e64 v5, 0, 1, s[0:1]
	v_add_u32_e32 v9, v9, v5
; %bb.3320:
	s_or_b64 exec, exec, s[2:3]
.LBB316_3321:
	s_mov_b64 s[0:1], 0
.LBB316_3322:
	s_andn2_b64 vcc, exec, s[0:1]
	s_cbranch_vccnz .LBB316_3326
; %bb.3323:
	global_load_sshort v5, v[7:8], off
	s_movk_i32 s0, 0xff
	s_waitcnt vmcnt(1)
	v_mov_b32_e32 v9, 0xff
	s_waitcnt vmcnt(0)
	v_cvt_f32_i32_e32 v5, v5
	v_bfe_u32 v11, v5, 23, 8
	v_cmp_ne_u32_e32 vcc, s0, v11
	s_and_saveexec_b64 s[2:3], vcc
; %bb.3324:
	s_mov_b32 s0, 0x3fffff
	v_lshrrev_b32_e32 v9, 23, v5
	v_and_b32_e32 v13, 0x400000, v5
	v_and_or_b32 v5, v5, s0, v11
	v_cmp_ne_u32_e32 vcc, 0, v13
	v_cmp_ne_u32_e64 s[0:1], 0, v5
	s_and_b64 s[0:1], vcc, s[0:1]
	v_cndmask_b32_e64 v5, 0, 1, s[0:1]
	v_add_u32_e32 v9, v9, v5
; %bb.3325:
	s_or_b64 exec, exec, s[2:3]
.LBB316_3326:
	s_mov_b64 s[0:1], 0
.LBB316_3327:
	s_andn2_b64 vcc, exec, s[0:1]
	s_cbranch_vccnz .LBB316_3337
; %bb.3328:
	s_cmp_gt_i32 s4, 0
	s_cbranch_scc0 .LBB316_3332
; %bb.3329:
	global_load_sbyte v5, v[7:8], off
	s_movk_i32 s0, 0xff
	s_waitcnt vmcnt(1)
	v_mov_b32_e32 v9, 0xff
	s_waitcnt vmcnt(0)
	v_cvt_f32_i32_e32 v5, v5
	v_bfe_u32 v11, v5, 23, 8
	v_cmp_ne_u32_e32 vcc, s0, v11
	s_and_saveexec_b64 s[2:3], vcc
; %bb.3330:
	s_mov_b32 s0, 0x3fffff
	v_lshrrev_b32_e32 v9, 23, v5
	v_and_b32_e32 v13, 0x400000, v5
	v_and_or_b32 v5, v5, s0, v11
	v_cmp_ne_u32_e32 vcc, 0, v13
	v_cmp_ne_u32_e64 s[0:1], 0, v5
	s_and_b64 s[0:1], vcc, s[0:1]
	v_cndmask_b32_e64 v5, 0, 1, s[0:1]
	v_add_u32_e32 v9, v9, v5
; %bb.3331:
	s_or_b64 exec, exec, s[2:3]
	s_mov_b64 s[0:1], 0
	s_branch .LBB316_3333
.LBB316_3332:
	s_mov_b64 s[0:1], -1
                                        ; implicit-def: $vgpr9
.LBB316_3333:
	s_andn2_b64 vcc, exec, s[0:1]
	s_cbranch_vccnz .LBB316_3337
; %bb.3334:
	global_load_ubyte v5, v[7:8], off
	s_movk_i32 s0, 0xff
	s_waitcnt vmcnt(1)
	v_mov_b32_e32 v9, 0xff
	s_waitcnt vmcnt(0)
	v_cvt_f32_ubyte0_e32 v7, v5
	v_lshrrev_b32_e32 v5, 23, v7
	v_cmp_ne_u32_e32 vcc, s0, v5
	s_and_saveexec_b64 s[2:3], vcc
; %bb.3335:
	s_mov_b32 s0, 0x3fffff
	v_and_b32_e32 v8, 0x400000, v7
	v_and_or_b32 v7, v7, s0, v5
	v_cmp_ne_u32_e32 vcc, 0, v8
	v_cmp_ne_u32_e64 s[0:1], 0, v7
	s_and_b64 s[0:1], vcc, s[0:1]
	v_cndmask_b32_e64 v7, 0, 1, s[0:1]
	v_add_u32_e32 v9, v5, v7
; %bb.3336:
	s_or_b64 exec, exec, s[2:3]
.LBB316_3337:
	s_mov_b64 s[0:1], -1
.LBB316_3338:
	s_andn2_b64 vcc, exec, s[0:1]
	s_cbranch_vccnz .LBB316_3772
; %bb.3339:
	s_movk_i32 s0, 0xff
	v_mov_b32_e32 v5, 23
	v_mov_b32_e32 v7, 0x7f800001
	v_lshlrev_b32_sdwa v8, v5, v1 dst_sel:DWORD dst_unused:UNUSED_PAD src0_sel:DWORD src1_sel:BYTE_0
	v_cmp_ne_u16_sdwa vcc, v1, s0 src0_sel:BYTE_0 src1_sel:DWORD
	v_mov_b32_e32 v11, 0
	s_load_dwordx2 s[2:3], s[24:25], 0x1a0
	v_cndmask_b32_e32 v8, v7, v8, vcc
	v_mov_b32_e32 v13, 0x400000
	v_cmp_ne_u16_sdwa vcc, v1, v11 src0_sel:BYTE_0 src1_sel:DWORD
	v_cndmask_b32_e32 v1, v13, v8, vcc
	s_waitcnt vmcnt(0)
	v_lshlrev_b32_sdwa v5, v5, v3 dst_sel:DWORD dst_unused:UNUSED_PAD src0_sel:DWORD src1_sel:BYTE_0
	v_cmp_ne_u16_sdwa vcc, v3, s0 src0_sel:BYTE_0 src1_sel:DWORD
	v_cndmask_b32_e32 v5, v7, v5, vcc
	v_cmp_ne_u16_sdwa vcc, v3, v11 src0_sel:BYTE_0 src1_sel:DWORD
	v_cndmask_b32_e32 v3, v13, v5, vcc
	v_cmp_eq_f32_e32 vcc, v1, v3
	s_waitcnt lgkmcnt(0)
	s_cmp_eq_u32 s2, 0
	v_cndmask_b32_e64 v5, 0, 1, vcc
	v_cmp_neq_f32_e32 vcc, v1, v3
	v_cndmask_b32_e64 v1, 0, 1, vcc
	s_cselect_b64 s[0:1], -1, 0
	v_cndmask_b32_e64 v1, v1, v5, s[0:1]
	v_and_b32_e32 v1, 1, v1
	s_and_b32 s22, s3, 0xff
	v_cmp_eq_u32_e64 s[2:3], 1, v1
	v_mov_b32_e32 v1, s9
	v_add_co_u32_e32 v5, vcc, s8, v6
	s_cmp_lt_i32 s22, 11
	v_addc_co_u32_e32 v6, vcc, 0, v1, vcc
	s_cbranch_scc1 .LBB316_3417
; %bb.3340:
	s_and_b32 s23, 0xffff, s22
	s_mov_b64 s[18:19], -1
	s_mov_b64 s[10:11], 0
	s_cmp_gt_i32 s23, 25
	s_mov_b64 s[16:17], 0
	s_mov_b64 s[4:5], 0
	s_cbranch_scc0 .LBB316_3373
; %bb.3341:
	s_cmp_gt_i32 s23, 28
	s_cbranch_scc0 .LBB316_3356
; %bb.3342:
	s_cmp_gt_i32 s23, 43
	;; [unrolled: 3-line block ×3, first 2 shown]
	s_cbranch_scc0 .LBB316_3346
; %bb.3344:
	s_mov_b64 s[4:5], -1
	s_mov_b64 s[18:19], 0
	s_cmp_eq_u32 s23, 46
	s_cbranch_scc0 .LBB316_3346
; %bb.3345:
	v_cndmask_b32_e64 v1, 0, 1.0, s[2:3]
	v_bfe_u32 v3, v1, 16, 1
	s_movk_i32 s4, 0x7fff
	v_add3_u32 v1, v1, v3, s4
	v_lshrrev_b32_e32 v1, 16, v1
	global_store_dword v[5:6], v1, off
	s_mov_b64 s[4:5], 0
	s_mov_b64 s[16:17], -1
.LBB316_3346:
	s_and_b64 vcc, exec, s[18:19]
	s_cbranch_vccz .LBB316_3351
; %bb.3347:
	s_cmp_eq_u32 s23, 44
	s_mov_b64 s[4:5], -1
	s_cbranch_scc0 .LBB316_3351
; %bb.3348:
	v_cndmask_b32_e64 v3, 0, 1.0, s[2:3]
	v_lshrrev_b32_e32 v1, 23, v3
	s_movk_i32 s4, 0xff
	v_cmp_ne_u32_e32 vcc, s4, v1
	v_mov_b32_e32 v7, 0xff
	s_and_saveexec_b64 s[16:17], vcc
; %bb.3349:
	s_mov_b32 s4, 0x3fffff
	v_and_b32_e32 v7, 0x400000, v3
	v_and_or_b32 v3, v3, s4, v1
	v_cmp_ne_u32_e32 vcc, 0, v7
	v_cmp_ne_u32_e64 s[4:5], 0, v3
	s_and_b64 s[4:5], vcc, s[4:5]
	v_cndmask_b32_e64 v3, 0, 1, s[4:5]
	v_add_u32_e32 v7, v1, v3
; %bb.3350:
	s_or_b64 exec, exec, s[16:17]
	s_mov_b64 s[4:5], 0
	s_mov_b64 s[16:17], -1
	global_store_byte v[5:6], v7, off
.LBB316_3351:
	s_mov_b64 s[18:19], 0
.LBB316_3352:
	s_and_b64 vcc, exec, s[18:19]
	s_cbranch_vccz .LBB316_3355
; %bb.3353:
	s_cmp_eq_u32 s23, 29
	s_mov_b64 s[4:5], -1
	s_cbranch_scc0 .LBB316_3355
; %bb.3354:
	s_mov_b32 s4, 0
	v_cndmask_b32_e64 v7, 0, 1, s[2:3]
	v_mov_b32_e32 v8, s4
	global_store_dwordx2 v[5:6], v[7:8], off
	s_mov_b64 s[4:5], 0
	s_mov_b64 s[16:17], -1
.LBB316_3355:
	s_mov_b64 s[18:19], 0
.LBB316_3356:
	s_and_b64 vcc, exec, s[18:19]
	s_cbranch_vccz .LBB316_3372
; %bb.3357:
	s_cmp_lt_i32 s23, 27
	s_mov_b64 s[16:17], -1
	s_cbranch_scc1 .LBB316_3363
; %bb.3358:
	s_cmp_gt_i32 s23, 27
	s_cbranch_scc0 .LBB316_3360
; %bb.3359:
	v_cndmask_b32_e64 v1, 0, 1, s[2:3]
	s_mov_b64 s[16:17], 0
	global_store_dword v[5:6], v1, off
.LBB316_3360:
	s_andn2_b64 vcc, exec, s[16:17]
	s_cbranch_vccnz .LBB316_3362
; %bb.3361:
	v_cndmask_b32_e64 v1, 0, 1, s[2:3]
	global_store_short v[5:6], v1, off
.LBB316_3362:
	s_mov_b64 s[16:17], 0
.LBB316_3363:
	s_andn2_b64 vcc, exec, s[16:17]
	s_cbranch_vccnz .LBB316_3371
; %bb.3364:
	v_cndmask_b32_e64 v3, 0, 1.0, s[2:3]
	s_mov_b32 s16, 0x43800000
	v_cmp_gt_u32_e32 vcc, s16, v3
	v_mov_b32_e32 v7, 0x80
	s_and_saveexec_b64 s[16:17], vcc
	s_cbranch_execz .LBB316_3370
; %bb.3365:
	s_mov_b32 s18, 0x3bffffff
	v_cmp_lt_u32_e32 vcc, s18, v3
	s_mov_b64 s[18:19], 0
                                        ; implicit-def: $vgpr1
	s_and_saveexec_b64 s[20:21], vcc
	s_xor_b64 s[20:21], exec, s[20:21]
	s_cbranch_execz .LBB316_3819
; %bb.3366:
	v_bfe_u32 v1, v3, 20, 1
	s_mov_b32 s24, 0x487ffff
	v_add3_u32 v1, v3, v1, s24
	s_mov_b64 s[18:19], exec
	v_lshrrev_b32_e32 v1, 20, v1
                                        ; implicit-def: $vgpr3
	s_andn2_saveexec_b64 s[20:21], s[20:21]
	s_cbranch_execnz .LBB316_3820
.LBB316_3367:
	s_or_b64 exec, exec, s[20:21]
	v_mov_b32_e32 v7, 0
	s_and_saveexec_b64 s[20:21], s[18:19]
.LBB316_3368:
	v_mov_b32_e32 v7, v1
.LBB316_3369:
	s_or_b64 exec, exec, s[20:21]
.LBB316_3370:
	s_or_b64 exec, exec, s[16:17]
	global_store_byte v[5:6], v7, off
.LBB316_3371:
	s_mov_b64 s[16:17], -1
.LBB316_3372:
	s_mov_b64 s[18:19], 0
.LBB316_3373:
	s_and_b64 vcc, exec, s[18:19]
	s_cbranch_vccz .LBB316_3413
; %bb.3374:
	s_cmp_gt_i32 s23, 22
	s_mov_b64 s[10:11], -1
	s_cbranch_scc0 .LBB316_3406
; %bb.3375:
	s_cmp_lt_i32 s23, 24
	s_cbranch_scc1 .LBB316_3395
; %bb.3376:
	s_cmp_gt_i32 s23, 24
	s_cbranch_scc0 .LBB316_3384
; %bb.3377:
	v_cndmask_b32_e64 v3, 0, 1.0, s[2:3]
	s_mov_b32 s10, 0x47800000
	v_cmp_gt_u32_e32 vcc, s10, v3
	v_mov_b32_e32 v7, 0x80
	s_and_saveexec_b64 s[10:11], vcc
	s_cbranch_execz .LBB316_3383
; %bb.3378:
	s_mov_b32 s16, 0x37ffffff
	v_cmp_lt_u32_e32 vcc, s16, v3
	s_mov_b64 s[16:17], 0
                                        ; implicit-def: $vgpr1
	s_and_saveexec_b64 s[18:19], vcc
	s_xor_b64 s[18:19], exec, s[18:19]
	s_cbranch_execz .LBB316_3822
; %bb.3379:
	v_bfe_u32 v1, v3, 21, 1
	s_mov_b32 s20, 0x88fffff
	v_add3_u32 v1, v3, v1, s20
	s_mov_b64 s[16:17], exec
	v_lshrrev_b32_e32 v1, 21, v1
                                        ; implicit-def: $vgpr3
	s_andn2_saveexec_b64 s[18:19], s[18:19]
	s_cbranch_execnz .LBB316_3823
.LBB316_3380:
	s_or_b64 exec, exec, s[18:19]
	v_mov_b32_e32 v7, 0
	s_and_saveexec_b64 s[18:19], s[16:17]
.LBB316_3381:
	v_mov_b32_e32 v7, v1
.LBB316_3382:
	s_or_b64 exec, exec, s[18:19]
.LBB316_3383:
	s_or_b64 exec, exec, s[10:11]
	s_mov_b64 s[10:11], 0
	global_store_byte v[5:6], v7, off
.LBB316_3384:
	s_and_b64 vcc, exec, s[10:11]
	s_cbranch_vccz .LBB316_3394
; %bb.3385:
	v_cndmask_b32_e64 v1, 0, 1.0, s[2:3]
	s_mov_b32 s10, 0x43f00000
	v_cmp_gt_u32_e32 vcc, s10, v1
                                        ; implicit-def: $vgpr3
	s_and_saveexec_b64 s[10:11], vcc
	s_xor_b64 s[10:11], exec, s[10:11]
	s_cbranch_execz .LBB316_3391
; %bb.3386:
	s_mov_b32 s16, 0x3c7fffff
	v_cmp_lt_u32_e32 vcc, s16, v1
                                        ; implicit-def: $vgpr3
	s_and_saveexec_b64 s[16:17], vcc
	s_xor_b64 s[16:17], exec, s[16:17]
; %bb.3387:
	v_bfe_u32 v3, v1, 20, 1
	s_mov_b32 s18, 0x407ffff
	v_add3_u32 v1, v1, v3, s18
	v_lshrrev_b32_e32 v3, 20, v1
	v_and_b32_e32 v1, 0xff00000, v1
	s_mov_b32 s18, 0x7f00000
	v_mov_b32_e32 v7, 0x7e
	v_cmp_ne_u32_e32 vcc, s18, v1
	v_cndmask_b32_e32 v3, v7, v3, vcc
                                        ; implicit-def: $vgpr1
; %bb.3388:
	s_andn2_saveexec_b64 s[16:17], s[16:17]
; %bb.3389:
	v_add_f32_e32 v3, 0x46800000, v1
; %bb.3390:
	s_or_b64 exec, exec, s[16:17]
                                        ; implicit-def: $vgpr1
.LBB316_3391:
	s_andn2_saveexec_b64 s[10:11], s[10:11]
; %bb.3392:
	s_mov_b32 s16, 0x7f800000
	v_mov_b32_e32 v3, 0x7e
	v_mov_b32_e32 v7, 0x7f
	v_cmp_lt_u32_e32 vcc, s16, v1
	v_cndmask_b32_e32 v3, v3, v7, vcc
; %bb.3393:
	s_or_b64 exec, exec, s[10:11]
	global_store_byte v[5:6], v3, off
.LBB316_3394:
	s_mov_b64 s[10:11], 0
.LBB316_3395:
	s_andn2_b64 vcc, exec, s[10:11]
	s_cbranch_vccnz .LBB316_3405
; %bb.3396:
	v_cndmask_b32_e64 v1, 0, 1.0, s[2:3]
	s_mov_b32 s10, 0x47800000
	v_cmp_gt_u32_e32 vcc, s10, v1
                                        ; implicit-def: $vgpr3
	s_and_saveexec_b64 s[10:11], vcc
	s_xor_b64 s[10:11], exec, s[10:11]
	s_cbranch_execz .LBB316_3402
; %bb.3397:
	s_mov_b32 s16, 0x387fffff
	v_cmp_lt_u32_e32 vcc, s16, v1
                                        ; implicit-def: $vgpr3
	s_and_saveexec_b64 s[16:17], vcc
	s_xor_b64 s[16:17], exec, s[16:17]
; %bb.3398:
	v_bfe_u32 v3, v1, 21, 1
	s_mov_b32 s18, 0x80fffff
	v_add3_u32 v1, v1, v3, s18
	v_lshrrev_b32_e32 v3, 21, v1
                                        ; implicit-def: $vgpr1
; %bb.3399:
	s_andn2_saveexec_b64 s[16:17], s[16:17]
; %bb.3400:
	v_add_f32_e32 v3, 0x43000000, v1
; %bb.3401:
	s_or_b64 exec, exec, s[16:17]
                                        ; implicit-def: $vgpr1
.LBB316_3402:
	s_andn2_saveexec_b64 s[10:11], s[10:11]
; %bb.3403:
	s_mov_b32 s16, 0x7f800000
	v_mov_b32_e32 v3, 0x7c
	v_mov_b32_e32 v7, 0x7f
	v_cmp_lt_u32_e32 vcc, s16, v1
	v_cndmask_b32_e32 v3, v3, v7, vcc
; %bb.3404:
	s_or_b64 exec, exec, s[10:11]
	global_store_byte v[5:6], v3, off
.LBB316_3405:
	s_mov_b64 s[10:11], 0
	s_mov_b64 s[16:17], -1
.LBB316_3406:
	s_andn2_b64 vcc, exec, s[10:11]
	s_mov_b64 s[10:11], 0
	s_cbranch_vccnz .LBB316_3413
; %bb.3407:
	s_cmp_gt_i32 s23, 14
	s_mov_b64 s[18:19], -1
	s_cbranch_scc0 .LBB316_3411
; %bb.3408:
	s_cmp_eq_u32 s23, 15
	s_mov_b64 s[4:5], -1
	s_cbranch_scc0 .LBB316_3410
; %bb.3409:
	v_cndmask_b32_e64 v1, 0, 1.0, s[2:3]
	v_bfe_u32 v3, v1, 16, 1
	s_movk_i32 s4, 0x7fff
	v_add3_u32 v1, v1, v3, s4
	global_store_short_d16_hi v[5:6], v1, off
	s_mov_b64 s[4:5], 0
	s_mov_b64 s[16:17], -1
.LBB316_3410:
	s_mov_b64 s[18:19], 0
.LBB316_3411:
	s_and_b64 vcc, exec, s[18:19]
	s_cbranch_vccz .LBB316_3413
; %bb.3412:
	s_cmp_lg_u32 s23, 11
	s_mov_b64 s[10:11], -1
	s_cselect_b64 s[4:5], -1, 0
.LBB316_3413:
	s_and_b64 vcc, exec, s[4:5]
	s_cbranch_vccnz .LBB316_3821
; %bb.3414:
	s_andn2_b64 vcc, exec, s[10:11]
	s_cbranch_vccnz .LBB316_3416
.LBB316_3415:
	v_cndmask_b32_e64 v1, 0, 1, s[2:3]
	s_mov_b64 s[16:17], -1
	global_store_byte v[5:6], v1, off
.LBB316_3416:
	s_mov_b64 s[4:5], 0
	s_branch .LBB316_3418
.LBB316_3417:
	s_mov_b64 s[4:5], -1
	s_mov_b64 s[16:17], 0
.LBB316_3418:
	s_and_b64 vcc, exec, s[4:5]
	s_cbranch_vccz .LBB316_3457
; %bb.3419:
	s_and_b32 s10, 0xffff, s22
	s_cmp_lt_i32 s10, 5
	s_mov_b64 s[4:5], -1
	s_cbranch_scc1 .LBB316_3440
; %bb.3420:
	s_cmp_lt_i32 s10, 8
	s_cbranch_scc1 .LBB316_3430
; %bb.3421:
	s_cmp_lt_i32 s10, 9
	s_cbranch_scc1 .LBB316_3427
; %bb.3422:
	s_cmp_gt_i32 s10, 9
	s_cbranch_scc0 .LBB316_3424
; %bb.3423:
	v_cndmask_b32_e64 v1, 0, 1, s[2:3]
	v_cvt_f64_u32_e32 v[19:20], v1
	v_mov_b32_e32 v21, 0
	v_mov_b32_e32 v22, v21
	s_mov_b64 s[4:5], 0
	global_store_dwordx4 v[5:6], v[19:22], off
.LBB316_3424:
	s_andn2_b64 vcc, exec, s[4:5]
	s_cbranch_vccnz .LBB316_3426
; %bb.3425:
	v_cndmask_b32_e64 v7, 0, 1.0, s[2:3]
	v_mov_b32_e32 v8, 0
	global_store_dwordx2 v[5:6], v[7:8], off
.LBB316_3426:
	s_mov_b64 s[4:5], 0
.LBB316_3427:
	s_andn2_b64 vcc, exec, s[4:5]
	s_cbranch_vccnz .LBB316_3429
; %bb.3428:
	v_cndmask_b32_e64 v1, 0, 1.0, s[2:3]
	v_cvt_f16_f32_e32 v1, v1
	global_store_dword v[5:6], v1, off
.LBB316_3429:
	s_mov_b64 s[4:5], 0
.LBB316_3430:
	s_andn2_b64 vcc, exec, s[4:5]
	s_cbranch_vccnz .LBB316_3439
; %bb.3431:
	s_cmp_lt_i32 s10, 6
	s_mov_b64 s[4:5], -1
	s_cbranch_scc1 .LBB316_3437
; %bb.3432:
	s_cmp_gt_i32 s10, 6
	s_cbranch_scc0 .LBB316_3434
; %bb.3433:
	v_cndmask_b32_e64 v1, 0, 1, s[2:3]
	v_cvt_f64_u32_e32 v[7:8], v1
	s_mov_b64 s[4:5], 0
	global_store_dwordx2 v[5:6], v[7:8], off
.LBB316_3434:
	s_andn2_b64 vcc, exec, s[4:5]
	s_cbranch_vccnz .LBB316_3436
; %bb.3435:
	v_cndmask_b32_e64 v1, 0, 1.0, s[2:3]
	global_store_dword v[5:6], v1, off
.LBB316_3436:
	s_mov_b64 s[4:5], 0
.LBB316_3437:
	s_andn2_b64 vcc, exec, s[4:5]
	s_cbranch_vccnz .LBB316_3439
; %bb.3438:
	v_cndmask_b32_e64 v1, 0, 1.0, s[2:3]
	v_cvt_f16_f32_e32 v1, v1
	global_store_short v[5:6], v1, off
.LBB316_3439:
	s_mov_b64 s[4:5], 0
.LBB316_3440:
	s_andn2_b64 vcc, exec, s[4:5]
	s_cbranch_vccnz .LBB316_3456
; %bb.3441:
	s_cmp_lt_i32 s10, 2
	s_mov_b64 s[4:5], -1
	s_cbranch_scc1 .LBB316_3451
; %bb.3442:
	s_cmp_lt_i32 s10, 3
	s_cbranch_scc1 .LBB316_3448
; %bb.3443:
	s_cmp_gt_i32 s10, 3
	s_cbranch_scc0 .LBB316_3445
; %bb.3444:
	s_mov_b32 s4, 0
	v_cndmask_b32_e64 v7, 0, 1, s[2:3]
	v_mov_b32_e32 v8, s4
	global_store_dwordx2 v[5:6], v[7:8], off
	s_mov_b64 s[4:5], 0
.LBB316_3445:
	s_andn2_b64 vcc, exec, s[4:5]
	s_cbranch_vccnz .LBB316_3447
; %bb.3446:
	v_cndmask_b32_e64 v1, 0, 1, s[2:3]
	global_store_dword v[5:6], v1, off
.LBB316_3447:
	s_mov_b64 s[4:5], 0
.LBB316_3448:
	s_andn2_b64 vcc, exec, s[4:5]
	s_cbranch_vccnz .LBB316_3450
; %bb.3449:
	v_cndmask_b32_e64 v1, 0, 1, s[2:3]
	global_store_short v[5:6], v1, off
.LBB316_3450:
	s_mov_b64 s[4:5], 0
.LBB316_3451:
	s_andn2_b64 vcc, exec, s[4:5]
	s_cbranch_vccnz .LBB316_3456
; %bb.3452:
	s_mov_b64 s[4:5], -1
	s_cmp_gt_i32 s10, 0
	v_cndmask_b32_e64 v1, 0, 1, s[2:3]
	s_cbranch_scc0 .LBB316_3454
; %bb.3453:
	global_store_byte v[5:6], v1, off
	s_mov_b64 s[4:5], 0
.LBB316_3454:
	s_andn2_b64 vcc, exec, s[4:5]
	s_cbranch_vccnz .LBB316_3456
; %bb.3455:
	global_store_byte v[5:6], v1, off
.LBB316_3456:
	s_mov_b64 s[16:17], -1
.LBB316_3457:
	s_andn2_b64 vcc, exec, s[16:17]
	s_cbranch_vccnz .LBB316_3772
; %bb.3458:
	s_movk_i32 s2, 0xff
	v_mov_b32_e32 v1, 23
	v_lshlrev_b32_sdwa v3, v1, v18 dst_sel:DWORD dst_unused:UNUSED_PAD src0_sel:DWORD src1_sel:BYTE_0
	v_mov_b32_e32 v5, 0x7f800001
	v_cmp_ne_u16_sdwa vcc, v18, s2 src0_sel:BYTE_0 src1_sel:DWORD
	v_mov_b32_e32 v6, 0
	v_cndmask_b32_e32 v3, v5, v3, vcc
	v_mov_b32_e32 v7, 0x400000
	v_cmp_ne_u16_sdwa vcc, v18, v6 src0_sel:BYTE_0 src1_sel:DWORD
	v_cndmask_b32_e32 v3, v7, v3, vcc
	v_lshlrev_b32_sdwa v1, v1, v16 dst_sel:DWORD dst_unused:UNUSED_PAD src0_sel:DWORD src1_sel:BYTE_0
	v_cmp_ne_u16_sdwa vcc, v16, s2 src0_sel:BYTE_0 src1_sel:DWORD
	v_cndmask_b32_e32 v1, v5, v1, vcc
	v_cmp_ne_u16_sdwa vcc, v16, v6 src0_sel:BYTE_0 src1_sel:DWORD
	v_cndmask_b32_e32 v1, v7, v1, vcc
	v_cmp_eq_f32_e32 vcc, v3, v1
	v_cndmask_b32_e64 v5, 0, 1, vcc
	v_cmp_neq_f32_e32 vcc, v3, v1
	v_cndmask_b32_e64 v1, 0, 1, vcc
	v_cndmask_b32_e64 v1, v1, v5, s[0:1]
	v_and_b32_e32 v1, 1, v1
	v_cmp_eq_u32_e64 s[2:3], 1, v1
	v_mov_b32_e32 v1, s9
	s_and_b32 s23, 0xffff, s22
	v_add_co_u32_e32 v3, vcc, s8, v4
	s_cmp_lt_i32 s23, 11
	v_addc_co_u32_e32 v4, vcc, 0, v1, vcc
	s_cbranch_scc1 .LBB316_3536
; %bb.3459:
	s_mov_b64 s[18:19], -1
	s_mov_b64 s[10:11], 0
	s_cmp_gt_i32 s23, 25
	s_mov_b64 s[16:17], 0
	s_mov_b64 s[4:5], 0
	s_cbranch_scc0 .LBB316_3492
; %bb.3460:
	s_cmp_gt_i32 s23, 28
	s_cbranch_scc0 .LBB316_3475
; %bb.3461:
	s_cmp_gt_i32 s23, 43
	;; [unrolled: 3-line block ×3, first 2 shown]
	s_cbranch_scc0 .LBB316_3465
; %bb.3463:
	s_mov_b64 s[4:5], -1
	s_mov_b64 s[18:19], 0
	s_cmp_eq_u32 s23, 46
	s_cbranch_scc0 .LBB316_3465
; %bb.3464:
	v_cndmask_b32_e64 v1, 0, 1.0, s[2:3]
	v_bfe_u32 v5, v1, 16, 1
	s_movk_i32 s4, 0x7fff
	v_add3_u32 v1, v1, v5, s4
	v_lshrrev_b32_e32 v1, 16, v1
	global_store_dword v[3:4], v1, off
	s_mov_b64 s[4:5], 0
	s_mov_b64 s[16:17], -1
.LBB316_3465:
	s_and_b64 vcc, exec, s[18:19]
	s_cbranch_vccz .LBB316_3470
; %bb.3466:
	s_cmp_eq_u32 s23, 44
	s_mov_b64 s[4:5], -1
	s_cbranch_scc0 .LBB316_3470
; %bb.3467:
	v_cndmask_b32_e64 v5, 0, 1.0, s[2:3]
	v_lshrrev_b32_e32 v1, 23, v5
	s_movk_i32 s4, 0xff
	v_cmp_ne_u32_e32 vcc, s4, v1
	v_mov_b32_e32 v6, 0xff
	s_and_saveexec_b64 s[16:17], vcc
; %bb.3468:
	s_mov_b32 s4, 0x3fffff
	v_and_b32_e32 v6, 0x400000, v5
	v_and_or_b32 v5, v5, s4, v1
	v_cmp_ne_u32_e32 vcc, 0, v6
	v_cmp_ne_u32_e64 s[4:5], 0, v5
	s_and_b64 s[4:5], vcc, s[4:5]
	v_cndmask_b32_e64 v5, 0, 1, s[4:5]
	v_add_u32_e32 v6, v1, v5
; %bb.3469:
	s_or_b64 exec, exec, s[16:17]
	s_mov_b64 s[4:5], 0
	s_mov_b64 s[16:17], -1
	global_store_byte v[3:4], v6, off
.LBB316_3470:
	s_mov_b64 s[18:19], 0
.LBB316_3471:
	s_and_b64 vcc, exec, s[18:19]
	s_cbranch_vccz .LBB316_3474
; %bb.3472:
	s_cmp_eq_u32 s23, 29
	s_mov_b64 s[4:5], -1
	s_cbranch_scc0 .LBB316_3474
; %bb.3473:
	s_mov_b32 s4, 0
	v_cndmask_b32_e64 v5, 0, 1, s[2:3]
	v_mov_b32_e32 v6, s4
	global_store_dwordx2 v[3:4], v[5:6], off
	s_mov_b64 s[4:5], 0
	s_mov_b64 s[16:17], -1
.LBB316_3474:
	s_mov_b64 s[18:19], 0
.LBB316_3475:
	s_and_b64 vcc, exec, s[18:19]
	s_cbranch_vccz .LBB316_3491
; %bb.3476:
	s_cmp_lt_i32 s23, 27
	s_mov_b64 s[16:17], -1
	s_cbranch_scc1 .LBB316_3482
; %bb.3477:
	s_cmp_gt_i32 s23, 27
	s_cbranch_scc0 .LBB316_3479
; %bb.3478:
	v_cndmask_b32_e64 v1, 0, 1, s[2:3]
	s_mov_b64 s[16:17], 0
	global_store_dword v[3:4], v1, off
.LBB316_3479:
	s_andn2_b64 vcc, exec, s[16:17]
	s_cbranch_vccnz .LBB316_3481
; %bb.3480:
	v_cndmask_b32_e64 v1, 0, 1, s[2:3]
	global_store_short v[3:4], v1, off
.LBB316_3481:
	s_mov_b64 s[16:17], 0
.LBB316_3482:
	s_andn2_b64 vcc, exec, s[16:17]
	s_cbranch_vccnz .LBB316_3490
; %bb.3483:
	v_cndmask_b32_e64 v5, 0, 1.0, s[2:3]
	s_mov_b32 s16, 0x43800000
	v_cmp_gt_u32_e32 vcc, s16, v5
	v_mov_b32_e32 v6, 0x80
	s_and_saveexec_b64 s[16:17], vcc
	s_cbranch_execz .LBB316_3489
; %bb.3484:
	s_mov_b32 s18, 0x3bffffff
	v_cmp_lt_u32_e32 vcc, s18, v5
	s_mov_b64 s[18:19], 0
                                        ; implicit-def: $vgpr1
	s_and_saveexec_b64 s[20:21], vcc
	s_xor_b64 s[20:21], exec, s[20:21]
	s_cbranch_execz .LBB316_3824
; %bb.3485:
	v_bfe_u32 v1, v5, 20, 1
	s_mov_b32 s24, 0x487ffff
	v_add3_u32 v1, v5, v1, s24
	s_mov_b64 s[18:19], exec
	v_lshrrev_b32_e32 v1, 20, v1
                                        ; implicit-def: $vgpr5
	s_andn2_saveexec_b64 s[20:21], s[20:21]
	s_cbranch_execnz .LBB316_3825
.LBB316_3486:
	s_or_b64 exec, exec, s[20:21]
	v_mov_b32_e32 v6, 0
	s_and_saveexec_b64 s[20:21], s[18:19]
.LBB316_3487:
	v_mov_b32_e32 v6, v1
.LBB316_3488:
	s_or_b64 exec, exec, s[20:21]
.LBB316_3489:
	s_or_b64 exec, exec, s[16:17]
	global_store_byte v[3:4], v6, off
.LBB316_3490:
	s_mov_b64 s[16:17], -1
.LBB316_3491:
	s_mov_b64 s[18:19], 0
.LBB316_3492:
	s_and_b64 vcc, exec, s[18:19]
	s_cbranch_vccz .LBB316_3532
; %bb.3493:
	s_cmp_gt_i32 s23, 22
	s_mov_b64 s[10:11], -1
	s_cbranch_scc0 .LBB316_3525
; %bb.3494:
	s_cmp_lt_i32 s23, 24
	s_cbranch_scc1 .LBB316_3514
; %bb.3495:
	s_cmp_gt_i32 s23, 24
	s_cbranch_scc0 .LBB316_3503
; %bb.3496:
	v_cndmask_b32_e64 v5, 0, 1.0, s[2:3]
	s_mov_b32 s10, 0x47800000
	v_cmp_gt_u32_e32 vcc, s10, v5
	v_mov_b32_e32 v6, 0x80
	s_and_saveexec_b64 s[10:11], vcc
	s_cbranch_execz .LBB316_3502
; %bb.3497:
	s_mov_b32 s16, 0x37ffffff
	v_cmp_lt_u32_e32 vcc, s16, v5
	s_mov_b64 s[16:17], 0
                                        ; implicit-def: $vgpr1
	s_and_saveexec_b64 s[18:19], vcc
	s_xor_b64 s[18:19], exec, s[18:19]
	s_cbranch_execz .LBB316_3827
; %bb.3498:
	v_bfe_u32 v1, v5, 21, 1
	s_mov_b32 s20, 0x88fffff
	v_add3_u32 v1, v5, v1, s20
	s_mov_b64 s[16:17], exec
	v_lshrrev_b32_e32 v1, 21, v1
                                        ; implicit-def: $vgpr5
	s_andn2_saveexec_b64 s[18:19], s[18:19]
	s_cbranch_execnz .LBB316_3828
.LBB316_3499:
	s_or_b64 exec, exec, s[18:19]
	v_mov_b32_e32 v6, 0
	s_and_saveexec_b64 s[18:19], s[16:17]
.LBB316_3500:
	v_mov_b32_e32 v6, v1
.LBB316_3501:
	s_or_b64 exec, exec, s[18:19]
.LBB316_3502:
	s_or_b64 exec, exec, s[10:11]
	s_mov_b64 s[10:11], 0
	global_store_byte v[3:4], v6, off
.LBB316_3503:
	s_and_b64 vcc, exec, s[10:11]
	s_cbranch_vccz .LBB316_3513
; %bb.3504:
	v_cndmask_b32_e64 v1, 0, 1.0, s[2:3]
	s_mov_b32 s10, 0x43f00000
	v_cmp_gt_u32_e32 vcc, s10, v1
                                        ; implicit-def: $vgpr5
	s_and_saveexec_b64 s[10:11], vcc
	s_xor_b64 s[10:11], exec, s[10:11]
	s_cbranch_execz .LBB316_3510
; %bb.3505:
	s_mov_b32 s16, 0x3c7fffff
	v_cmp_lt_u32_e32 vcc, s16, v1
                                        ; implicit-def: $vgpr5
	s_and_saveexec_b64 s[16:17], vcc
	s_xor_b64 s[16:17], exec, s[16:17]
; %bb.3506:
	v_bfe_u32 v5, v1, 20, 1
	s_mov_b32 s18, 0x407ffff
	v_add3_u32 v1, v1, v5, s18
	v_lshrrev_b32_e32 v5, 20, v1
	v_and_b32_e32 v1, 0xff00000, v1
	s_mov_b32 s18, 0x7f00000
	v_mov_b32_e32 v6, 0x7e
	v_cmp_ne_u32_e32 vcc, s18, v1
	v_cndmask_b32_e32 v5, v6, v5, vcc
                                        ; implicit-def: $vgpr1
; %bb.3507:
	s_andn2_saveexec_b64 s[16:17], s[16:17]
; %bb.3508:
	v_add_f32_e32 v5, 0x46800000, v1
; %bb.3509:
	s_or_b64 exec, exec, s[16:17]
                                        ; implicit-def: $vgpr1
.LBB316_3510:
	s_andn2_saveexec_b64 s[10:11], s[10:11]
; %bb.3511:
	s_mov_b32 s16, 0x7f800000
	v_mov_b32_e32 v5, 0x7e
	v_mov_b32_e32 v6, 0x7f
	v_cmp_lt_u32_e32 vcc, s16, v1
	v_cndmask_b32_e32 v5, v5, v6, vcc
; %bb.3512:
	s_or_b64 exec, exec, s[10:11]
	global_store_byte v[3:4], v5, off
.LBB316_3513:
	s_mov_b64 s[10:11], 0
.LBB316_3514:
	s_andn2_b64 vcc, exec, s[10:11]
	s_cbranch_vccnz .LBB316_3524
; %bb.3515:
	v_cndmask_b32_e64 v1, 0, 1.0, s[2:3]
	s_mov_b32 s10, 0x47800000
	v_cmp_gt_u32_e32 vcc, s10, v1
                                        ; implicit-def: $vgpr5
	s_and_saveexec_b64 s[10:11], vcc
	s_xor_b64 s[10:11], exec, s[10:11]
	s_cbranch_execz .LBB316_3521
; %bb.3516:
	s_mov_b32 s16, 0x387fffff
	v_cmp_lt_u32_e32 vcc, s16, v1
                                        ; implicit-def: $vgpr5
	s_and_saveexec_b64 s[16:17], vcc
	s_xor_b64 s[16:17], exec, s[16:17]
; %bb.3517:
	v_bfe_u32 v5, v1, 21, 1
	s_mov_b32 s18, 0x80fffff
	v_add3_u32 v1, v1, v5, s18
	v_lshrrev_b32_e32 v5, 21, v1
                                        ; implicit-def: $vgpr1
; %bb.3518:
	s_andn2_saveexec_b64 s[16:17], s[16:17]
; %bb.3519:
	v_add_f32_e32 v5, 0x43000000, v1
; %bb.3520:
	s_or_b64 exec, exec, s[16:17]
                                        ; implicit-def: $vgpr1
.LBB316_3521:
	s_andn2_saveexec_b64 s[10:11], s[10:11]
; %bb.3522:
	s_mov_b32 s16, 0x7f800000
	v_mov_b32_e32 v5, 0x7c
	v_mov_b32_e32 v6, 0x7f
	v_cmp_lt_u32_e32 vcc, s16, v1
	v_cndmask_b32_e32 v5, v5, v6, vcc
; %bb.3523:
	s_or_b64 exec, exec, s[10:11]
	global_store_byte v[3:4], v5, off
.LBB316_3524:
	s_mov_b64 s[10:11], 0
	s_mov_b64 s[16:17], -1
.LBB316_3525:
	s_andn2_b64 vcc, exec, s[10:11]
	s_mov_b64 s[10:11], 0
	s_cbranch_vccnz .LBB316_3532
; %bb.3526:
	s_cmp_gt_i32 s23, 14
	s_mov_b64 s[18:19], -1
	s_cbranch_scc0 .LBB316_3530
; %bb.3527:
	s_cmp_eq_u32 s23, 15
	s_mov_b64 s[4:5], -1
	s_cbranch_scc0 .LBB316_3529
; %bb.3528:
	v_cndmask_b32_e64 v1, 0, 1.0, s[2:3]
	v_bfe_u32 v5, v1, 16, 1
	s_movk_i32 s4, 0x7fff
	v_add3_u32 v1, v1, v5, s4
	global_store_short_d16_hi v[3:4], v1, off
	s_mov_b64 s[4:5], 0
	s_mov_b64 s[16:17], -1
.LBB316_3529:
	s_mov_b64 s[18:19], 0
.LBB316_3530:
	s_and_b64 vcc, exec, s[18:19]
	s_cbranch_vccz .LBB316_3532
; %bb.3531:
	s_cmp_lg_u32 s23, 11
	s_mov_b64 s[10:11], -1
	s_cselect_b64 s[4:5], -1, 0
.LBB316_3532:
	s_and_b64 vcc, exec, s[4:5]
	s_cbranch_vccnz .LBB316_3826
; %bb.3533:
	s_andn2_b64 vcc, exec, s[10:11]
	s_cbranch_vccnz .LBB316_3535
.LBB316_3534:
	v_cndmask_b32_e64 v1, 0, 1, s[2:3]
	s_mov_b64 s[16:17], -1
	global_store_byte v[3:4], v1, off
.LBB316_3535:
	s_mov_b64 s[4:5], 0
	s_branch .LBB316_3537
.LBB316_3536:
	s_mov_b64 s[4:5], -1
	s_mov_b64 s[16:17], 0
.LBB316_3537:
	s_and_b64 vcc, exec, s[4:5]
	s_cbranch_vccz .LBB316_3576
; %bb.3538:
	s_cmp_lt_i32 s23, 5
	s_mov_b64 s[4:5], -1
	s_cbranch_scc1 .LBB316_3559
; %bb.3539:
	s_cmp_lt_i32 s23, 8
	s_cbranch_scc1 .LBB316_3549
; %bb.3540:
	s_cmp_lt_i32 s23, 9
	s_cbranch_scc1 .LBB316_3546
; %bb.3541:
	s_cmp_gt_i32 s23, 9
	s_cbranch_scc0 .LBB316_3543
; %bb.3542:
	v_cndmask_b32_e64 v1, 0, 1, s[2:3]
	v_cvt_f64_u32_e32 v[5:6], v1
	v_mov_b32_e32 v7, 0
	v_mov_b32_e32 v8, v7
	s_mov_b64 s[4:5], 0
	global_store_dwordx4 v[3:4], v[5:8], off
.LBB316_3543:
	s_andn2_b64 vcc, exec, s[4:5]
	s_cbranch_vccnz .LBB316_3545
; %bb.3544:
	v_cndmask_b32_e64 v5, 0, 1.0, s[2:3]
	v_mov_b32_e32 v6, 0
	global_store_dwordx2 v[3:4], v[5:6], off
.LBB316_3545:
	s_mov_b64 s[4:5], 0
.LBB316_3546:
	s_andn2_b64 vcc, exec, s[4:5]
	s_cbranch_vccnz .LBB316_3548
; %bb.3547:
	v_cndmask_b32_e64 v1, 0, 1.0, s[2:3]
	v_cvt_f16_f32_e32 v1, v1
	global_store_dword v[3:4], v1, off
.LBB316_3548:
	s_mov_b64 s[4:5], 0
.LBB316_3549:
	s_andn2_b64 vcc, exec, s[4:5]
	s_cbranch_vccnz .LBB316_3558
; %bb.3550:
	s_cmp_lt_i32 s23, 6
	s_mov_b64 s[4:5], -1
	s_cbranch_scc1 .LBB316_3556
; %bb.3551:
	s_cmp_gt_i32 s23, 6
	s_cbranch_scc0 .LBB316_3553
; %bb.3552:
	v_cndmask_b32_e64 v1, 0, 1, s[2:3]
	v_cvt_f64_u32_e32 v[5:6], v1
	s_mov_b64 s[4:5], 0
	global_store_dwordx2 v[3:4], v[5:6], off
.LBB316_3553:
	s_andn2_b64 vcc, exec, s[4:5]
	s_cbranch_vccnz .LBB316_3555
; %bb.3554:
	v_cndmask_b32_e64 v1, 0, 1.0, s[2:3]
	global_store_dword v[3:4], v1, off
.LBB316_3555:
	s_mov_b64 s[4:5], 0
.LBB316_3556:
	s_andn2_b64 vcc, exec, s[4:5]
	s_cbranch_vccnz .LBB316_3558
; %bb.3557:
	v_cndmask_b32_e64 v1, 0, 1.0, s[2:3]
	v_cvt_f16_f32_e32 v1, v1
	global_store_short v[3:4], v1, off
.LBB316_3558:
	s_mov_b64 s[4:5], 0
.LBB316_3559:
	s_andn2_b64 vcc, exec, s[4:5]
	s_cbranch_vccnz .LBB316_3575
; %bb.3560:
	s_cmp_lt_i32 s23, 2
	s_mov_b64 s[4:5], -1
	s_cbranch_scc1 .LBB316_3570
; %bb.3561:
	s_cmp_lt_i32 s23, 3
	s_cbranch_scc1 .LBB316_3567
; %bb.3562:
	s_cmp_gt_i32 s23, 3
	s_cbranch_scc0 .LBB316_3564
; %bb.3563:
	s_mov_b32 s4, 0
	v_cndmask_b32_e64 v5, 0, 1, s[2:3]
	v_mov_b32_e32 v6, s4
	global_store_dwordx2 v[3:4], v[5:6], off
	s_mov_b64 s[4:5], 0
.LBB316_3564:
	s_andn2_b64 vcc, exec, s[4:5]
	s_cbranch_vccnz .LBB316_3566
; %bb.3565:
	v_cndmask_b32_e64 v1, 0, 1, s[2:3]
	global_store_dword v[3:4], v1, off
.LBB316_3566:
	s_mov_b64 s[4:5], 0
.LBB316_3567:
	s_andn2_b64 vcc, exec, s[4:5]
	s_cbranch_vccnz .LBB316_3569
; %bb.3568:
	v_cndmask_b32_e64 v1, 0, 1, s[2:3]
	global_store_short v[3:4], v1, off
.LBB316_3569:
	s_mov_b64 s[4:5], 0
.LBB316_3570:
	s_andn2_b64 vcc, exec, s[4:5]
	s_cbranch_vccnz .LBB316_3575
; %bb.3571:
	s_mov_b64 s[4:5], -1
	s_cmp_gt_i32 s23, 0
	v_cndmask_b32_e64 v1, 0, 1, s[2:3]
	s_cbranch_scc0 .LBB316_3573
; %bb.3572:
	global_store_byte v[3:4], v1, off
	s_mov_b64 s[4:5], 0
.LBB316_3573:
	s_andn2_b64 vcc, exec, s[4:5]
	s_cbranch_vccnz .LBB316_3575
; %bb.3574:
	global_store_byte v[3:4], v1, off
.LBB316_3575:
	s_mov_b64 s[16:17], -1
.LBB316_3576:
	s_andn2_b64 vcc, exec, s[16:17]
	s_cbranch_vccnz .LBB316_3772
; %bb.3577:
	s_movk_i32 s2, 0xff
	v_mov_b32_e32 v1, 23
	v_lshlrev_b32_sdwa v3, v1, v14 dst_sel:DWORD dst_unused:UNUSED_PAD src0_sel:DWORD src1_sel:BYTE_0
	v_mov_b32_e32 v4, 0x7f800001
	v_cmp_ne_u16_sdwa vcc, v14, s2 src0_sel:BYTE_0 src1_sel:DWORD
	v_mov_b32_e32 v5, 0
	v_cndmask_b32_e32 v3, v4, v3, vcc
	v_mov_b32_e32 v6, 0x400000
	v_cmp_ne_u16_sdwa vcc, v14, v5 src0_sel:BYTE_0 src1_sel:DWORD
	v_cndmask_b32_e32 v3, v6, v3, vcc
	v_lshlrev_b32_sdwa v1, v1, v12 dst_sel:DWORD dst_unused:UNUSED_PAD src0_sel:DWORD src1_sel:BYTE_0
	v_cmp_ne_u16_sdwa vcc, v12, s2 src0_sel:BYTE_0 src1_sel:DWORD
	v_cndmask_b32_e32 v1, v4, v1, vcc
	v_cmp_ne_u16_sdwa vcc, v12, v5 src0_sel:BYTE_0 src1_sel:DWORD
	v_cndmask_b32_e32 v1, v6, v1, vcc
	v_cmp_eq_f32_e32 vcc, v3, v1
	v_cndmask_b32_e64 v4, 0, 1, vcc
	v_cmp_neq_f32_e32 vcc, v3, v1
	v_cndmask_b32_e64 v1, 0, 1, vcc
	v_cndmask_b32_e64 v1, v1, v4, s[0:1]
	v_and_b32_e32 v1, 1, v1
	v_cmp_eq_u32_e64 s[2:3], 1, v1
	v_mov_b32_e32 v3, s9
	v_add_co_u32_e32 v1, vcc, s8, v2
	s_cmp_lt_i32 s23, 11
	v_addc_co_u32_e32 v2, vcc, 0, v3, vcc
	s_cbranch_scc1 .LBB316_3655
; %bb.3578:
	s_mov_b64 s[18:19], -1
	s_mov_b64 s[10:11], 0
	s_cmp_gt_i32 s23, 25
	s_mov_b64 s[16:17], 0
	s_mov_b64 s[4:5], 0
	s_cbranch_scc0 .LBB316_3611
; %bb.3579:
	s_cmp_gt_i32 s23, 28
	s_cbranch_scc0 .LBB316_3594
; %bb.3580:
	s_cmp_gt_i32 s23, 43
	;; [unrolled: 3-line block ×3, first 2 shown]
	s_cbranch_scc0 .LBB316_3584
; %bb.3582:
	s_mov_b64 s[4:5], -1
	s_mov_b64 s[18:19], 0
	s_cmp_eq_u32 s23, 46
	s_cbranch_scc0 .LBB316_3584
; %bb.3583:
	v_cndmask_b32_e64 v3, 0, 1.0, s[2:3]
	v_bfe_u32 v4, v3, 16, 1
	s_movk_i32 s4, 0x7fff
	v_add3_u32 v3, v3, v4, s4
	v_lshrrev_b32_e32 v3, 16, v3
	global_store_dword v[1:2], v3, off
	s_mov_b64 s[4:5], 0
	s_mov_b64 s[16:17], -1
.LBB316_3584:
	s_and_b64 vcc, exec, s[18:19]
	s_cbranch_vccz .LBB316_3589
; %bb.3585:
	s_cmp_eq_u32 s23, 44
	s_mov_b64 s[4:5], -1
	s_cbranch_scc0 .LBB316_3589
; %bb.3586:
	v_cndmask_b32_e64 v4, 0, 1.0, s[2:3]
	v_lshrrev_b32_e32 v3, 23, v4
	s_movk_i32 s4, 0xff
	v_cmp_ne_u32_e32 vcc, s4, v3
	v_mov_b32_e32 v5, 0xff
	s_and_saveexec_b64 s[16:17], vcc
; %bb.3587:
	s_mov_b32 s4, 0x3fffff
	v_and_b32_e32 v5, 0x400000, v4
	v_and_or_b32 v4, v4, s4, v3
	v_cmp_ne_u32_e32 vcc, 0, v5
	v_cmp_ne_u32_e64 s[4:5], 0, v4
	s_and_b64 s[4:5], vcc, s[4:5]
	v_cndmask_b32_e64 v4, 0, 1, s[4:5]
	v_add_u32_e32 v5, v3, v4
; %bb.3588:
	s_or_b64 exec, exec, s[16:17]
	s_mov_b64 s[4:5], 0
	s_mov_b64 s[16:17], -1
	global_store_byte v[1:2], v5, off
.LBB316_3589:
	s_mov_b64 s[18:19], 0
.LBB316_3590:
	s_and_b64 vcc, exec, s[18:19]
	s_cbranch_vccz .LBB316_3593
; %bb.3591:
	s_cmp_eq_u32 s23, 29
	s_mov_b64 s[4:5], -1
	s_cbranch_scc0 .LBB316_3593
; %bb.3592:
	s_mov_b32 s4, 0
	v_cndmask_b32_e64 v3, 0, 1, s[2:3]
	v_mov_b32_e32 v4, s4
	global_store_dwordx2 v[1:2], v[3:4], off
	s_mov_b64 s[4:5], 0
	s_mov_b64 s[16:17], -1
.LBB316_3593:
	s_mov_b64 s[18:19], 0
.LBB316_3594:
	s_and_b64 vcc, exec, s[18:19]
	s_cbranch_vccz .LBB316_3610
; %bb.3595:
	s_cmp_lt_i32 s23, 27
	s_mov_b64 s[16:17], -1
	s_cbranch_scc1 .LBB316_3601
; %bb.3596:
	s_cmp_gt_i32 s23, 27
	s_cbranch_scc0 .LBB316_3598
; %bb.3597:
	v_cndmask_b32_e64 v3, 0, 1, s[2:3]
	s_mov_b64 s[16:17], 0
	global_store_dword v[1:2], v3, off
.LBB316_3598:
	s_andn2_b64 vcc, exec, s[16:17]
	s_cbranch_vccnz .LBB316_3600
; %bb.3599:
	v_cndmask_b32_e64 v3, 0, 1, s[2:3]
	global_store_short v[1:2], v3, off
.LBB316_3600:
	s_mov_b64 s[16:17], 0
.LBB316_3601:
	s_andn2_b64 vcc, exec, s[16:17]
	s_cbranch_vccnz .LBB316_3609
; %bb.3602:
	v_cndmask_b32_e64 v4, 0, 1.0, s[2:3]
	s_mov_b32 s16, 0x43800000
	v_cmp_gt_u32_e32 vcc, s16, v4
	v_mov_b32_e32 v5, 0x80
	s_and_saveexec_b64 s[16:17], vcc
	s_cbranch_execz .LBB316_3608
; %bb.3603:
	s_mov_b32 s18, 0x3bffffff
	v_cmp_lt_u32_e32 vcc, s18, v4
	s_mov_b64 s[18:19], 0
                                        ; implicit-def: $vgpr3
	s_and_saveexec_b64 s[20:21], vcc
	s_xor_b64 s[20:21], exec, s[20:21]
	s_cbranch_execz .LBB316_3829
; %bb.3604:
	v_bfe_u32 v3, v4, 20, 1
	s_mov_b32 s24, 0x487ffff
	v_add3_u32 v3, v4, v3, s24
	s_mov_b64 s[18:19], exec
	v_lshrrev_b32_e32 v3, 20, v3
                                        ; implicit-def: $vgpr4
	s_andn2_saveexec_b64 s[20:21], s[20:21]
	s_cbranch_execnz .LBB316_3830
.LBB316_3605:
	s_or_b64 exec, exec, s[20:21]
	v_mov_b32_e32 v5, 0
	s_and_saveexec_b64 s[20:21], s[18:19]
.LBB316_3606:
	v_mov_b32_e32 v5, v3
.LBB316_3607:
	s_or_b64 exec, exec, s[20:21]
.LBB316_3608:
	s_or_b64 exec, exec, s[16:17]
	global_store_byte v[1:2], v5, off
.LBB316_3609:
	s_mov_b64 s[16:17], -1
.LBB316_3610:
	s_mov_b64 s[18:19], 0
.LBB316_3611:
	s_and_b64 vcc, exec, s[18:19]
	s_cbranch_vccz .LBB316_3651
; %bb.3612:
	s_cmp_gt_i32 s23, 22
	s_mov_b64 s[10:11], -1
	s_cbranch_scc0 .LBB316_3644
; %bb.3613:
	s_cmp_lt_i32 s23, 24
	s_cbranch_scc1 .LBB316_3633
; %bb.3614:
	s_cmp_gt_i32 s23, 24
	s_cbranch_scc0 .LBB316_3622
; %bb.3615:
	v_cndmask_b32_e64 v4, 0, 1.0, s[2:3]
	s_mov_b32 s10, 0x47800000
	v_cmp_gt_u32_e32 vcc, s10, v4
	v_mov_b32_e32 v5, 0x80
	s_and_saveexec_b64 s[10:11], vcc
	s_cbranch_execz .LBB316_3621
; %bb.3616:
	s_mov_b32 s16, 0x37ffffff
	v_cmp_lt_u32_e32 vcc, s16, v4
	s_mov_b64 s[16:17], 0
                                        ; implicit-def: $vgpr3
	s_and_saveexec_b64 s[18:19], vcc
	s_xor_b64 s[18:19], exec, s[18:19]
	s_cbranch_execz .LBB316_3832
; %bb.3617:
	v_bfe_u32 v3, v4, 21, 1
	s_mov_b32 s20, 0x88fffff
	v_add3_u32 v3, v4, v3, s20
	s_mov_b64 s[16:17], exec
	v_lshrrev_b32_e32 v3, 21, v3
                                        ; implicit-def: $vgpr4
	s_andn2_saveexec_b64 s[18:19], s[18:19]
	s_cbranch_execnz .LBB316_3833
.LBB316_3618:
	s_or_b64 exec, exec, s[18:19]
	v_mov_b32_e32 v5, 0
	s_and_saveexec_b64 s[18:19], s[16:17]
.LBB316_3619:
	v_mov_b32_e32 v5, v3
.LBB316_3620:
	s_or_b64 exec, exec, s[18:19]
.LBB316_3621:
	s_or_b64 exec, exec, s[10:11]
	s_mov_b64 s[10:11], 0
	global_store_byte v[1:2], v5, off
.LBB316_3622:
	s_and_b64 vcc, exec, s[10:11]
	s_cbranch_vccz .LBB316_3632
; %bb.3623:
	v_cndmask_b32_e64 v3, 0, 1.0, s[2:3]
	s_mov_b32 s10, 0x43f00000
	v_cmp_gt_u32_e32 vcc, s10, v3
                                        ; implicit-def: $vgpr4
	s_and_saveexec_b64 s[10:11], vcc
	s_xor_b64 s[10:11], exec, s[10:11]
	s_cbranch_execz .LBB316_3629
; %bb.3624:
	s_mov_b32 s16, 0x3c7fffff
	v_cmp_lt_u32_e32 vcc, s16, v3
                                        ; implicit-def: $vgpr4
	s_and_saveexec_b64 s[16:17], vcc
	s_xor_b64 s[16:17], exec, s[16:17]
; %bb.3625:
	v_bfe_u32 v4, v3, 20, 1
	s_mov_b32 s18, 0x407ffff
	v_add3_u32 v3, v3, v4, s18
	v_lshrrev_b32_e32 v4, 20, v3
	v_and_b32_e32 v3, 0xff00000, v3
	s_mov_b32 s18, 0x7f00000
	v_mov_b32_e32 v5, 0x7e
	v_cmp_ne_u32_e32 vcc, s18, v3
	v_cndmask_b32_e32 v4, v5, v4, vcc
                                        ; implicit-def: $vgpr3
; %bb.3626:
	s_andn2_saveexec_b64 s[16:17], s[16:17]
; %bb.3627:
	v_add_f32_e32 v4, 0x46800000, v3
; %bb.3628:
	s_or_b64 exec, exec, s[16:17]
                                        ; implicit-def: $vgpr3
.LBB316_3629:
	s_andn2_saveexec_b64 s[10:11], s[10:11]
; %bb.3630:
	s_mov_b32 s16, 0x7f800000
	v_mov_b32_e32 v4, 0x7e
	v_mov_b32_e32 v5, 0x7f
	v_cmp_lt_u32_e32 vcc, s16, v3
	v_cndmask_b32_e32 v4, v4, v5, vcc
; %bb.3631:
	s_or_b64 exec, exec, s[10:11]
	global_store_byte v[1:2], v4, off
.LBB316_3632:
	s_mov_b64 s[10:11], 0
.LBB316_3633:
	s_andn2_b64 vcc, exec, s[10:11]
	s_cbranch_vccnz .LBB316_3643
; %bb.3634:
	v_cndmask_b32_e64 v3, 0, 1.0, s[2:3]
	s_mov_b32 s10, 0x47800000
	v_cmp_gt_u32_e32 vcc, s10, v3
                                        ; implicit-def: $vgpr4
	s_and_saveexec_b64 s[10:11], vcc
	s_xor_b64 s[10:11], exec, s[10:11]
	s_cbranch_execz .LBB316_3640
; %bb.3635:
	s_mov_b32 s16, 0x387fffff
	v_cmp_lt_u32_e32 vcc, s16, v3
                                        ; implicit-def: $vgpr4
	s_and_saveexec_b64 s[16:17], vcc
	s_xor_b64 s[16:17], exec, s[16:17]
; %bb.3636:
	v_bfe_u32 v4, v3, 21, 1
	s_mov_b32 s18, 0x80fffff
	v_add3_u32 v3, v3, v4, s18
	v_lshrrev_b32_e32 v4, 21, v3
                                        ; implicit-def: $vgpr3
; %bb.3637:
	s_andn2_saveexec_b64 s[16:17], s[16:17]
; %bb.3638:
	v_add_f32_e32 v4, 0x43000000, v3
; %bb.3639:
	s_or_b64 exec, exec, s[16:17]
                                        ; implicit-def: $vgpr3
.LBB316_3640:
	s_andn2_saveexec_b64 s[10:11], s[10:11]
; %bb.3641:
	s_mov_b32 s16, 0x7f800000
	v_mov_b32_e32 v4, 0x7c
	v_mov_b32_e32 v5, 0x7f
	v_cmp_lt_u32_e32 vcc, s16, v3
	v_cndmask_b32_e32 v4, v4, v5, vcc
; %bb.3642:
	s_or_b64 exec, exec, s[10:11]
	global_store_byte v[1:2], v4, off
.LBB316_3643:
	s_mov_b64 s[10:11], 0
	s_mov_b64 s[16:17], -1
.LBB316_3644:
	s_andn2_b64 vcc, exec, s[10:11]
	s_mov_b64 s[10:11], 0
	s_cbranch_vccnz .LBB316_3651
; %bb.3645:
	s_cmp_gt_i32 s23, 14
	s_mov_b64 s[18:19], -1
	s_cbranch_scc0 .LBB316_3649
; %bb.3646:
	s_cmp_eq_u32 s23, 15
	s_mov_b64 s[4:5], -1
	s_cbranch_scc0 .LBB316_3648
; %bb.3647:
	v_cndmask_b32_e64 v3, 0, 1.0, s[2:3]
	v_bfe_u32 v4, v3, 16, 1
	s_movk_i32 s4, 0x7fff
	v_add3_u32 v3, v3, v4, s4
	global_store_short_d16_hi v[1:2], v3, off
	s_mov_b64 s[4:5], 0
	s_mov_b64 s[16:17], -1
.LBB316_3648:
	s_mov_b64 s[18:19], 0
.LBB316_3649:
	s_and_b64 vcc, exec, s[18:19]
	s_cbranch_vccz .LBB316_3651
; %bb.3650:
	s_cmp_lg_u32 s23, 11
	s_mov_b64 s[10:11], -1
	s_cselect_b64 s[4:5], -1, 0
.LBB316_3651:
	s_and_b64 vcc, exec, s[4:5]
	s_cbranch_vccnz .LBB316_3831
; %bb.3652:
	s_andn2_b64 vcc, exec, s[10:11]
	s_cbranch_vccnz .LBB316_3654
.LBB316_3653:
	v_cndmask_b32_e64 v3, 0, 1, s[2:3]
	s_mov_b64 s[16:17], -1
	global_store_byte v[1:2], v3, off
.LBB316_3654:
	s_mov_b64 s[4:5], 0
	s_branch .LBB316_3656
.LBB316_3655:
	s_mov_b64 s[4:5], -1
	s_mov_b64 s[16:17], 0
.LBB316_3656:
	s_and_b64 vcc, exec, s[4:5]
	s_cbranch_vccz .LBB316_3695
; %bb.3657:
	s_cmp_lt_i32 s23, 5
	s_mov_b64 s[4:5], -1
	s_cbranch_scc1 .LBB316_3678
; %bb.3658:
	s_cmp_lt_i32 s23, 8
	s_cbranch_scc1 .LBB316_3668
; %bb.3659:
	s_cmp_lt_i32 s23, 9
	s_cbranch_scc1 .LBB316_3665
; %bb.3660:
	s_cmp_gt_i32 s23, 9
	s_cbranch_scc0 .LBB316_3662
; %bb.3661:
	v_cndmask_b32_e64 v3, 0, 1, s[2:3]
	v_cvt_f64_u32_e32 v[3:4], v3
	v_mov_b32_e32 v5, 0
	v_mov_b32_e32 v6, v5
	s_mov_b64 s[4:5], 0
	global_store_dwordx4 v[1:2], v[3:6], off
.LBB316_3662:
	s_andn2_b64 vcc, exec, s[4:5]
	s_cbranch_vccnz .LBB316_3664
; %bb.3663:
	v_cndmask_b32_e64 v3, 0, 1.0, s[2:3]
	v_mov_b32_e32 v4, 0
	global_store_dwordx2 v[1:2], v[3:4], off
.LBB316_3664:
	s_mov_b64 s[4:5], 0
.LBB316_3665:
	s_andn2_b64 vcc, exec, s[4:5]
	s_cbranch_vccnz .LBB316_3667
; %bb.3666:
	v_cndmask_b32_e64 v3, 0, 1.0, s[2:3]
	v_cvt_f16_f32_e32 v3, v3
	global_store_dword v[1:2], v3, off
.LBB316_3667:
	s_mov_b64 s[4:5], 0
.LBB316_3668:
	s_andn2_b64 vcc, exec, s[4:5]
	s_cbranch_vccnz .LBB316_3677
; %bb.3669:
	s_cmp_lt_i32 s23, 6
	s_mov_b64 s[4:5], -1
	s_cbranch_scc1 .LBB316_3675
; %bb.3670:
	s_cmp_gt_i32 s23, 6
	s_cbranch_scc0 .LBB316_3672
; %bb.3671:
	v_cndmask_b32_e64 v3, 0, 1, s[2:3]
	v_cvt_f64_u32_e32 v[3:4], v3
	s_mov_b64 s[4:5], 0
	global_store_dwordx2 v[1:2], v[3:4], off
.LBB316_3672:
	s_andn2_b64 vcc, exec, s[4:5]
	s_cbranch_vccnz .LBB316_3674
; %bb.3673:
	v_cndmask_b32_e64 v3, 0, 1.0, s[2:3]
	global_store_dword v[1:2], v3, off
.LBB316_3674:
	s_mov_b64 s[4:5], 0
.LBB316_3675:
	s_andn2_b64 vcc, exec, s[4:5]
	s_cbranch_vccnz .LBB316_3677
; %bb.3676:
	v_cndmask_b32_e64 v3, 0, 1.0, s[2:3]
	v_cvt_f16_f32_e32 v3, v3
	global_store_short v[1:2], v3, off
.LBB316_3677:
	s_mov_b64 s[4:5], 0
.LBB316_3678:
	s_andn2_b64 vcc, exec, s[4:5]
	s_cbranch_vccnz .LBB316_3694
; %bb.3679:
	s_cmp_lt_i32 s23, 2
	s_mov_b64 s[4:5], -1
	s_cbranch_scc1 .LBB316_3689
; %bb.3680:
	s_cmp_lt_i32 s23, 3
	s_cbranch_scc1 .LBB316_3686
; %bb.3681:
	s_cmp_gt_i32 s23, 3
	s_cbranch_scc0 .LBB316_3683
; %bb.3682:
	s_mov_b32 s4, 0
	v_cndmask_b32_e64 v3, 0, 1, s[2:3]
	v_mov_b32_e32 v4, s4
	global_store_dwordx2 v[1:2], v[3:4], off
	s_mov_b64 s[4:5], 0
.LBB316_3683:
	s_andn2_b64 vcc, exec, s[4:5]
	s_cbranch_vccnz .LBB316_3685
; %bb.3684:
	v_cndmask_b32_e64 v3, 0, 1, s[2:3]
	global_store_dword v[1:2], v3, off
.LBB316_3685:
	s_mov_b64 s[4:5], 0
.LBB316_3686:
	s_andn2_b64 vcc, exec, s[4:5]
	s_cbranch_vccnz .LBB316_3688
; %bb.3687:
	v_cndmask_b32_e64 v3, 0, 1, s[2:3]
	global_store_short v[1:2], v3, off
.LBB316_3688:
	s_mov_b64 s[4:5], 0
.LBB316_3689:
	s_andn2_b64 vcc, exec, s[4:5]
	s_cbranch_vccnz .LBB316_3694
; %bb.3690:
	s_cmp_gt_i32 s23, 0
	s_mov_b64 s[4:5], -1
	s_cbranch_scc0 .LBB316_3692
; %bb.3691:
	v_cndmask_b32_e64 v3, 0, 1, s[2:3]
	global_store_byte v[1:2], v3, off
	s_mov_b64 s[4:5], 0
.LBB316_3692:
	s_andn2_b64 vcc, exec, s[4:5]
	s_cbranch_vccnz .LBB316_3694
; %bb.3693:
	v_cndmask_b32_e64 v3, 0, 1, s[2:3]
	global_store_byte v[1:2], v3, off
.LBB316_3694:
	s_mov_b64 s[16:17], -1
.LBB316_3695:
	s_andn2_b64 vcc, exec, s[16:17]
	s_cbranch_vccnz .LBB316_3772
; %bb.3696:
	s_movk_i32 s2, 0xff
	v_mov_b32_e32 v1, 23
	v_lshlrev_b32_sdwa v2, v1, v10 dst_sel:DWORD dst_unused:UNUSED_PAD src0_sel:DWORD src1_sel:BYTE_0
	v_mov_b32_e32 v3, 0x7f800001
	v_cmp_ne_u16_sdwa vcc, v10, s2 src0_sel:BYTE_0 src1_sel:DWORD
	v_mov_b32_e32 v4, 0
	v_cndmask_b32_e32 v2, v3, v2, vcc
	v_mov_b32_e32 v5, 0x400000
	v_cmp_ne_u16_sdwa vcc, v10, v4 src0_sel:BYTE_0 src1_sel:DWORD
	v_cndmask_b32_e32 v2, v5, v2, vcc
	v_lshlrev_b32_sdwa v1, v1, v9 dst_sel:DWORD dst_unused:UNUSED_PAD src0_sel:DWORD src1_sel:BYTE_0
	v_cmp_ne_u16_sdwa vcc, v9, s2 src0_sel:BYTE_0 src1_sel:DWORD
	v_cndmask_b32_e32 v1, v3, v1, vcc
	v_cmp_ne_u16_sdwa vcc, v9, v4 src0_sel:BYTE_0 src1_sel:DWORD
	v_cndmask_b32_e32 v1, v5, v1, vcc
	v_cmp_eq_f32_e32 vcc, v2, v1
	v_cndmask_b32_e64 v3, 0, 1, vcc
	v_cmp_neq_f32_e32 vcc, v2, v1
	v_cndmask_b32_e64 v1, 0, 1, vcc
	v_cndmask_b32_e64 v1, v1, v3, s[0:1]
	v_and_b32_e32 v1, 1, v1
	v_cmp_eq_u32_e64 s[2:3], 1, v1
	v_mov_b32_e32 v1, s9
	v_add_co_u32_e32 v0, vcc, s8, v0
	s_cmp_lt_i32 s23, 11
	v_addc_co_u32_e32 v1, vcc, 0, v1, vcc
	s_cbranch_scc1 .LBB316_3817
; %bb.3697:
	s_mov_b64 s[8:9], -1
	s_mov_b64 s[4:5], 0
	s_cmp_gt_i32 s23, 25
	s_mov_b64 s[0:1], 0
	s_cbranch_scc0 .LBB316_3730
; %bb.3698:
	s_cmp_gt_i32 s23, 28
	s_cbranch_scc0 .LBB316_3714
; %bb.3699:
	s_cmp_gt_i32 s23, 43
	;; [unrolled: 3-line block ×3, first 2 shown]
	s_cbranch_scc0 .LBB316_3704
; %bb.3701:
	s_cmp_eq_u32 s23, 46
	s_mov_b64 s[0:1], -1
	s_cbranch_scc0 .LBB316_3703
; %bb.3702:
	v_cndmask_b32_e64 v2, 0, 1.0, s[2:3]
	v_bfe_u32 v3, v2, 16, 1
	s_movk_i32 s0, 0x7fff
	v_add3_u32 v2, v2, v3, s0
	v_lshrrev_b32_e32 v2, 16, v2
	global_store_dword v[0:1], v2, off
	s_mov_b64 s[0:1], 0
.LBB316_3703:
	s_mov_b64 s[8:9], 0
.LBB316_3704:
	s_and_b64 vcc, exec, s[8:9]
	s_cbranch_vccz .LBB316_3709
; %bb.3705:
	s_cmp_eq_u32 s23, 44
	s_mov_b64 s[0:1], -1
	s_cbranch_scc0 .LBB316_3709
; %bb.3706:
	v_cndmask_b32_e64 v3, 0, 1.0, s[2:3]
	v_lshrrev_b32_e32 v2, 23, v3
	s_movk_i32 s0, 0xff
	v_cmp_ne_u32_e32 vcc, s0, v2
	v_mov_b32_e32 v4, 0xff
	s_and_saveexec_b64 s[8:9], vcc
; %bb.3707:
	s_mov_b32 s0, 0x3fffff
	v_and_b32_e32 v4, 0x400000, v3
	v_and_or_b32 v3, v3, s0, v2
	v_cmp_ne_u32_e32 vcc, 0, v4
	v_cmp_ne_u32_e64 s[0:1], 0, v3
	s_and_b64 s[0:1], vcc, s[0:1]
	v_cndmask_b32_e64 v3, 0, 1, s[0:1]
	v_add_u32_e32 v4, v2, v3
; %bb.3708:
	s_or_b64 exec, exec, s[8:9]
	s_mov_b64 s[0:1], 0
	global_store_byte v[0:1], v4, off
.LBB316_3709:
	s_mov_b64 s[8:9], 0
.LBB316_3710:
	s_and_b64 vcc, exec, s[8:9]
	s_cbranch_vccz .LBB316_3713
; %bb.3711:
	s_cmp_eq_u32 s23, 29
	s_mov_b64 s[0:1], -1
	s_cbranch_scc0 .LBB316_3713
; %bb.3712:
	s_mov_b32 s0, 0
	v_cndmask_b32_e64 v2, 0, 1, s[2:3]
	v_mov_b32_e32 v3, s0
	global_store_dwordx2 v[0:1], v[2:3], off
	s_mov_b64 s[0:1], 0
.LBB316_3713:
	s_mov_b64 s[8:9], 0
.LBB316_3714:
	s_and_b64 vcc, exec, s[8:9]
	s_cbranch_vccz .LBB316_3729
; %bb.3715:
	s_cmp_lt_i32 s23, 27
	s_mov_b64 s[8:9], -1
	s_cbranch_scc1 .LBB316_3721
; %bb.3716:
	s_cmp_gt_i32 s23, 27
	v_cndmask_b32_e64 v2, 0, 1, s[2:3]
	s_cbranch_scc0 .LBB316_3718
; %bb.3717:
	global_store_dword v[0:1], v2, off
	s_mov_b64 s[8:9], 0
.LBB316_3718:
	s_andn2_b64 vcc, exec, s[8:9]
	s_cbranch_vccnz .LBB316_3720
; %bb.3719:
	global_store_short v[0:1], v2, off
.LBB316_3720:
	s_mov_b64 s[8:9], 0
.LBB316_3721:
	s_andn2_b64 vcc, exec, s[8:9]
	s_cbranch_vccnz .LBB316_3729
; %bb.3722:
	v_cndmask_b32_e64 v3, 0, 1.0, s[2:3]
	s_mov_b32 s8, 0x43800000
	v_cmp_gt_u32_e32 vcc, s8, v3
	v_mov_b32_e32 v4, 0x80
	s_and_saveexec_b64 s[8:9], vcc
	s_cbranch_execz .LBB316_3728
; %bb.3723:
	s_mov_b32 s10, 0x3bffffff
	v_cmp_lt_u32_e32 vcc, s10, v3
	s_mov_b64 s[10:11], 0
                                        ; implicit-def: $vgpr2
	s_and_saveexec_b64 s[16:17], vcc
	s_xor_b64 s[16:17], exec, s[16:17]
	s_cbranch_execz .LBB316_3834
; %bb.3724:
	v_bfe_u32 v2, v3, 20, 1
	s_mov_b32 s18, 0x487ffff
	v_add3_u32 v2, v3, v2, s18
	s_mov_b64 s[10:11], exec
	v_lshrrev_b32_e32 v2, 20, v2
                                        ; implicit-def: $vgpr3
	s_andn2_saveexec_b64 s[16:17], s[16:17]
	s_cbranch_execnz .LBB316_3835
.LBB316_3725:
	s_or_b64 exec, exec, s[16:17]
	v_mov_b32_e32 v4, 0
	s_and_saveexec_b64 s[16:17], s[10:11]
.LBB316_3726:
	v_mov_b32_e32 v4, v2
.LBB316_3727:
	s_or_b64 exec, exec, s[16:17]
.LBB316_3728:
	s_or_b64 exec, exec, s[8:9]
	global_store_byte v[0:1], v4, off
.LBB316_3729:
	s_mov_b64 s[8:9], 0
.LBB316_3730:
	s_and_b64 vcc, exec, s[8:9]
	s_cbranch_vccz .LBB316_3770
; %bb.3731:
	s_cmp_gt_i32 s23, 22
	s_mov_b64 s[4:5], -1
	s_cbranch_scc0 .LBB316_3763
; %bb.3732:
	s_cmp_lt_i32 s23, 24
	s_cbranch_scc1 .LBB316_3752
; %bb.3733:
	s_cmp_gt_i32 s23, 24
	s_cbranch_scc0 .LBB316_3741
; %bb.3734:
	v_cndmask_b32_e64 v3, 0, 1.0, s[2:3]
	s_mov_b32 s4, 0x47800000
	v_cmp_gt_u32_e32 vcc, s4, v3
	v_mov_b32_e32 v4, 0x80
	s_and_saveexec_b64 s[4:5], vcc
	s_cbranch_execz .LBB316_3740
; %bb.3735:
	s_mov_b32 s8, 0x37ffffff
	v_cmp_lt_u32_e32 vcc, s8, v3
	s_mov_b64 s[8:9], 0
                                        ; implicit-def: $vgpr2
	s_and_saveexec_b64 s[10:11], vcc
	s_xor_b64 s[10:11], exec, s[10:11]
	s_cbranch_execz .LBB316_3837
; %bb.3736:
	v_bfe_u32 v2, v3, 21, 1
	s_mov_b32 s16, 0x88fffff
	v_add3_u32 v2, v3, v2, s16
	s_mov_b64 s[8:9], exec
	v_lshrrev_b32_e32 v2, 21, v2
                                        ; implicit-def: $vgpr3
	s_andn2_saveexec_b64 s[10:11], s[10:11]
	s_cbranch_execnz .LBB316_3838
.LBB316_3737:
	s_or_b64 exec, exec, s[10:11]
	v_mov_b32_e32 v4, 0
	s_and_saveexec_b64 s[10:11], s[8:9]
.LBB316_3738:
	v_mov_b32_e32 v4, v2
.LBB316_3739:
	s_or_b64 exec, exec, s[10:11]
.LBB316_3740:
	s_or_b64 exec, exec, s[4:5]
	s_mov_b64 s[4:5], 0
	global_store_byte v[0:1], v4, off
.LBB316_3741:
	s_and_b64 vcc, exec, s[4:5]
	s_cbranch_vccz .LBB316_3751
; %bb.3742:
	v_cndmask_b32_e64 v2, 0, 1.0, s[2:3]
	s_mov_b32 s4, 0x43f00000
	v_cmp_gt_u32_e32 vcc, s4, v2
                                        ; implicit-def: $vgpr3
	s_and_saveexec_b64 s[4:5], vcc
	s_xor_b64 s[4:5], exec, s[4:5]
	s_cbranch_execz .LBB316_3748
; %bb.3743:
	s_mov_b32 s8, 0x3c7fffff
	v_cmp_lt_u32_e32 vcc, s8, v2
                                        ; implicit-def: $vgpr3
	s_and_saveexec_b64 s[8:9], vcc
	s_xor_b64 s[8:9], exec, s[8:9]
; %bb.3744:
	v_bfe_u32 v3, v2, 20, 1
	s_mov_b32 s10, 0x407ffff
	v_add3_u32 v2, v2, v3, s10
	v_lshrrev_b32_e32 v3, 20, v2
	v_and_b32_e32 v2, 0xff00000, v2
	s_mov_b32 s10, 0x7f00000
	v_mov_b32_e32 v4, 0x7e
	v_cmp_ne_u32_e32 vcc, s10, v2
	v_cndmask_b32_e32 v3, v4, v3, vcc
                                        ; implicit-def: $vgpr2
; %bb.3745:
	s_andn2_saveexec_b64 s[8:9], s[8:9]
; %bb.3746:
	v_add_f32_e32 v3, 0x46800000, v2
; %bb.3747:
	s_or_b64 exec, exec, s[8:9]
                                        ; implicit-def: $vgpr2
.LBB316_3748:
	s_andn2_saveexec_b64 s[4:5], s[4:5]
; %bb.3749:
	s_mov_b32 s8, 0x7f800000
	v_mov_b32_e32 v3, 0x7e
	v_mov_b32_e32 v4, 0x7f
	v_cmp_lt_u32_e32 vcc, s8, v2
	v_cndmask_b32_e32 v3, v3, v4, vcc
; %bb.3750:
	s_or_b64 exec, exec, s[4:5]
	global_store_byte v[0:1], v3, off
.LBB316_3751:
	s_mov_b64 s[4:5], 0
.LBB316_3752:
	s_andn2_b64 vcc, exec, s[4:5]
	s_cbranch_vccnz .LBB316_3762
; %bb.3753:
	v_cndmask_b32_e64 v2, 0, 1.0, s[2:3]
	s_mov_b32 s4, 0x47800000
	v_cmp_gt_u32_e32 vcc, s4, v2
                                        ; implicit-def: $vgpr3
	s_and_saveexec_b64 s[4:5], vcc
	s_xor_b64 s[4:5], exec, s[4:5]
	s_cbranch_execz .LBB316_3759
; %bb.3754:
	s_mov_b32 s8, 0x387fffff
	v_cmp_lt_u32_e32 vcc, s8, v2
                                        ; implicit-def: $vgpr3
	s_and_saveexec_b64 s[8:9], vcc
	s_xor_b64 s[8:9], exec, s[8:9]
; %bb.3755:
	v_bfe_u32 v3, v2, 21, 1
	s_mov_b32 s10, 0x80fffff
	v_add3_u32 v2, v2, v3, s10
	v_lshrrev_b32_e32 v3, 21, v2
                                        ; implicit-def: $vgpr2
; %bb.3756:
	s_andn2_saveexec_b64 s[8:9], s[8:9]
; %bb.3757:
	v_add_f32_e32 v3, 0x43000000, v2
; %bb.3758:
	s_or_b64 exec, exec, s[8:9]
                                        ; implicit-def: $vgpr2
.LBB316_3759:
	s_andn2_saveexec_b64 s[4:5], s[4:5]
; %bb.3760:
	s_mov_b32 s8, 0x7f800000
	v_mov_b32_e32 v3, 0x7c
	v_mov_b32_e32 v4, 0x7f
	v_cmp_lt_u32_e32 vcc, s8, v2
	v_cndmask_b32_e32 v3, v3, v4, vcc
; %bb.3761:
	s_or_b64 exec, exec, s[4:5]
	global_store_byte v[0:1], v3, off
.LBB316_3762:
	s_mov_b64 s[4:5], 0
.LBB316_3763:
	s_andn2_b64 vcc, exec, s[4:5]
	s_mov_b64 s[4:5], 0
	s_cbranch_vccnz .LBB316_3770
; %bb.3764:
	s_cmp_gt_i32 s23, 14
	s_mov_b64 s[8:9], -1
	s_cbranch_scc0 .LBB316_3768
; %bb.3765:
	s_cmp_eq_u32 s23, 15
	s_mov_b64 s[0:1], -1
	s_cbranch_scc0 .LBB316_3767
; %bb.3766:
	v_cndmask_b32_e64 v2, 0, 1.0, s[2:3]
	v_bfe_u32 v3, v2, 16, 1
	s_movk_i32 s0, 0x7fff
	v_add3_u32 v2, v2, v3, s0
	global_store_short_d16_hi v[0:1], v2, off
	s_mov_b64 s[0:1], 0
.LBB316_3767:
	s_mov_b64 s[8:9], 0
.LBB316_3768:
	s_and_b64 vcc, exec, s[8:9]
	s_cbranch_vccz .LBB316_3770
; %bb.3769:
	s_cmp_lg_u32 s23, 11
	s_mov_b64 s[4:5], -1
	s_cselect_b64 s[0:1], -1, 0
.LBB316_3770:
	s_and_b64 vcc, exec, s[0:1]
	s_cbranch_vccnz .LBB316_3836
.LBB316_3771:
	s_mov_b64 s[0:1], 0
	s_branch .LBB316_3773
.LBB316_3772:
	s_mov_b64 s[0:1], 0
	s_mov_b64 s[4:5], 0
                                        ; implicit-def: $sgpr2_sgpr3
                                        ; implicit-def: $vgpr0_vgpr1
                                        ; implicit-def: $sgpr22
.LBB316_3773:
	s_and_b64 s[26:27], s[4:5], exec
	s_andn2_b64 s[4:5], s[6:7], exec
	s_and_b64 s[6:7], s[14:15], exec
	s_and_b64 s[0:1], s[0:1], exec
	s_or_b64 s[6:7], s[4:5], s[6:7]
.LBB316_3774:
	s_or_b64 exec, exec, s[12:13]
	s_and_saveexec_b64 s[4:5], s[6:7]
	s_cbranch_execz .LBB316_3777
; %bb.3775:
	; divergent unreachable
	s_or_b64 exec, exec, s[4:5]
	s_and_saveexec_b64 s[4:5], s[26:27]
	s_xor_b64 s[4:5], exec, s[4:5]
	s_cbranch_execnz .LBB316_3778
.LBB316_3776:
	s_or_b64 exec, exec, s[4:5]
	s_and_saveexec_b64 s[4:5], s[0:1]
	s_cbranch_execnz .LBB316_3779
	s_branch .LBB316_3816
.LBB316_3777:
	s_or_b64 exec, exec, s[4:5]
	s_and_saveexec_b64 s[4:5], s[26:27]
	s_xor_b64 s[4:5], exec, s[4:5]
	s_cbranch_execz .LBB316_3776
.LBB316_3778:
	v_cndmask_b32_e64 v2, 0, 1, s[2:3]
	s_waitcnt vmcnt(0)
	global_store_byte v[0:1], v2, off
	s_or_b64 exec, exec, s[4:5]
	s_and_saveexec_b64 s[4:5], s[0:1]
	s_cbranch_execz .LBB316_3816
.LBB316_3779:
	s_sext_i32_i16 s4, s22
	s_cmp_lt_i32 s4, 5
	s_mov_b64 s[0:1], -1
	s_cbranch_scc1 .LBB316_3800
; %bb.3780:
	s_cmp_lt_i32 s4, 8
	s_cbranch_scc1 .LBB316_3790
; %bb.3781:
	s_cmp_lt_i32 s4, 9
	s_cbranch_scc1 .LBB316_3787
; %bb.3782:
	s_cmp_gt_i32 s4, 9
	s_cbranch_scc0 .LBB316_3784
; %bb.3783:
	v_cndmask_b32_e64 v2, 0, 1, s[2:3]
	s_waitcnt vmcnt(0)
	v_cvt_f64_u32_e32 v[2:3], v2
	v_mov_b32_e32 v4, 0
	v_mov_b32_e32 v5, v4
	s_mov_b64 s[0:1], 0
	global_store_dwordx4 v[0:1], v[2:5], off
.LBB316_3784:
	s_andn2_b64 vcc, exec, s[0:1]
	s_cbranch_vccnz .LBB316_3786
; %bb.3785:
	v_cndmask_b32_e64 v2, 0, 1.0, s[2:3]
	s_waitcnt vmcnt(0)
	v_mov_b32_e32 v3, 0
	global_store_dwordx2 v[0:1], v[2:3], off
.LBB316_3786:
	s_mov_b64 s[0:1], 0
.LBB316_3787:
	s_andn2_b64 vcc, exec, s[0:1]
	s_cbranch_vccnz .LBB316_3789
; %bb.3788:
	v_cndmask_b32_e64 v2, 0, 1.0, s[2:3]
	v_cvt_f16_f32_e32 v2, v2
	s_waitcnt vmcnt(0)
	global_store_dword v[0:1], v2, off
.LBB316_3789:
	s_mov_b64 s[0:1], 0
.LBB316_3790:
	s_andn2_b64 vcc, exec, s[0:1]
	s_cbranch_vccnz .LBB316_3799
; %bb.3791:
	s_sext_i32_i16 s4, s22
	s_cmp_lt_i32 s4, 6
	s_mov_b64 s[0:1], -1
	s_cbranch_scc1 .LBB316_3797
; %bb.3792:
	s_cmp_gt_i32 s4, 6
	s_cbranch_scc0 .LBB316_3794
; %bb.3793:
	v_cndmask_b32_e64 v2, 0, 1, s[2:3]
	s_waitcnt vmcnt(0)
	v_cvt_f64_u32_e32 v[2:3], v2
	s_mov_b64 s[0:1], 0
	global_store_dwordx2 v[0:1], v[2:3], off
.LBB316_3794:
	s_andn2_b64 vcc, exec, s[0:1]
	s_cbranch_vccnz .LBB316_3796
; %bb.3795:
	v_cndmask_b32_e64 v2, 0, 1.0, s[2:3]
	s_waitcnt vmcnt(0)
	global_store_dword v[0:1], v2, off
.LBB316_3796:
	s_mov_b64 s[0:1], 0
.LBB316_3797:
	s_andn2_b64 vcc, exec, s[0:1]
	s_cbranch_vccnz .LBB316_3799
; %bb.3798:
	v_cndmask_b32_e64 v2, 0, 1.0, s[2:3]
	v_cvt_f16_f32_e32 v2, v2
	s_waitcnt vmcnt(0)
	global_store_short v[0:1], v2, off
.LBB316_3799:
	s_mov_b64 s[0:1], 0
.LBB316_3800:
	s_andn2_b64 vcc, exec, s[0:1]
	s_cbranch_vccnz .LBB316_3816
; %bb.3801:
	s_sext_i32_i16 s4, s22
	s_cmp_lt_i32 s4, 2
	s_mov_b64 s[0:1], -1
	s_cbranch_scc1 .LBB316_3811
; %bb.3802:
	s_cmp_lt_i32 s4, 3
	s_cbranch_scc1 .LBB316_3808
; %bb.3803:
	s_cmp_gt_i32 s4, 3
	s_cbranch_scc0 .LBB316_3805
; %bb.3804:
	s_mov_b32 s0, 0
	v_cndmask_b32_e64 v2, 0, 1, s[2:3]
	s_waitcnt vmcnt(0)
	v_mov_b32_e32 v3, s0
	global_store_dwordx2 v[0:1], v[2:3], off
	s_mov_b64 s[0:1], 0
.LBB316_3805:
	s_andn2_b64 vcc, exec, s[0:1]
	s_cbranch_vccnz .LBB316_3807
; %bb.3806:
	v_cndmask_b32_e64 v2, 0, 1, s[2:3]
	s_waitcnt vmcnt(0)
	global_store_dword v[0:1], v2, off
.LBB316_3807:
	s_mov_b64 s[0:1], 0
.LBB316_3808:
	s_andn2_b64 vcc, exec, s[0:1]
	s_cbranch_vccnz .LBB316_3810
; %bb.3809:
	v_cndmask_b32_e64 v2, 0, 1, s[2:3]
	s_waitcnt vmcnt(0)
	global_store_short v[0:1], v2, off
.LBB316_3810:
	s_mov_b64 s[0:1], 0
.LBB316_3811:
	s_andn2_b64 vcc, exec, s[0:1]
	s_cbranch_vccnz .LBB316_3816
; %bb.3812:
	s_sext_i32_i16 s0, s22
	s_cmp_gt_i32 s0, 0
	s_mov_b64 s[0:1], -1
	s_cbranch_scc0 .LBB316_3814
; %bb.3813:
	v_cndmask_b32_e64 v2, 0, 1, s[2:3]
	s_waitcnt vmcnt(0)
	global_store_byte v[0:1], v2, off
	s_mov_b64 s[0:1], 0
.LBB316_3814:
	s_andn2_b64 vcc, exec, s[0:1]
	s_cbranch_vccnz .LBB316_3816
; %bb.3815:
	v_cndmask_b32_e64 v2, 0, 1, s[2:3]
	s_waitcnt vmcnt(0)
	global_store_byte v[0:1], v2, off
	s_endpgm
.LBB316_3816:
	s_endpgm
.LBB316_3817:
	s_mov_b64 s[4:5], 0
	s_mov_b64 s[0:1], -1
	s_branch .LBB316_3773
.LBB316_3818:
	s_trap 2
	s_or_b64 s[14:15], s[14:15], exec
	s_cbranch_execz .LBB316_3263
	s_branch .LBB316_3266
.LBB316_3819:
	s_andn2_saveexec_b64 s[20:21], s[20:21]
	s_cbranch_execz .LBB316_3367
.LBB316_3820:
	v_add_f32_e32 v1, 0x46000000, v3
	v_and_b32_e32 v1, 0xff, v1
	v_cmp_ne_u32_e32 vcc, 0, v1
	s_andn2_b64 s[18:19], s[18:19], exec
	s_and_b64 s[24:25], vcc, exec
	s_or_b64 s[18:19], s[18:19], s[24:25]
	s_or_b64 exec, exec, s[20:21]
	v_mov_b32_e32 v7, 0
	s_and_saveexec_b64 s[20:21], s[18:19]
	s_cbranch_execnz .LBB316_3368
	s_branch .LBB316_3369
.LBB316_3821:
	s_trap 2
	s_or_b64 s[14:15], s[14:15], exec
	s_cbranch_execz .LBB316_3415
	s_branch .LBB316_3416
.LBB316_3822:
	s_andn2_saveexec_b64 s[18:19], s[18:19]
	s_cbranch_execz .LBB316_3380
.LBB316_3823:
	v_add_f32_e32 v1, 0x42800000, v3
	v_and_b32_e32 v1, 0xff, v1
	v_cmp_ne_u32_e32 vcc, 0, v1
	s_andn2_b64 s[16:17], s[16:17], exec
	s_and_b64 s[20:21], vcc, exec
	s_or_b64 s[16:17], s[16:17], s[20:21]
	s_or_b64 exec, exec, s[18:19]
	v_mov_b32_e32 v7, 0
	s_and_saveexec_b64 s[18:19], s[16:17]
	s_cbranch_execnz .LBB316_3381
	s_branch .LBB316_3382
.LBB316_3824:
	s_andn2_saveexec_b64 s[20:21], s[20:21]
	s_cbranch_execz .LBB316_3486
.LBB316_3825:
	v_add_f32_e32 v1, 0x46000000, v5
	v_and_b32_e32 v1, 0xff, v1
	v_cmp_ne_u32_e32 vcc, 0, v1
	s_andn2_b64 s[18:19], s[18:19], exec
	s_and_b64 s[24:25], vcc, exec
	s_or_b64 s[18:19], s[18:19], s[24:25]
	s_or_b64 exec, exec, s[20:21]
	v_mov_b32_e32 v6, 0
	s_and_saveexec_b64 s[20:21], s[18:19]
	s_cbranch_execnz .LBB316_3487
	s_branch .LBB316_3488
.LBB316_3826:
	s_trap 2
	s_or_b64 s[14:15], s[14:15], exec
	s_cbranch_execz .LBB316_3534
	s_branch .LBB316_3535
.LBB316_3827:
	s_andn2_saveexec_b64 s[18:19], s[18:19]
	s_cbranch_execz .LBB316_3499
.LBB316_3828:
	v_add_f32_e32 v1, 0x42800000, v5
	v_and_b32_e32 v1, 0xff, v1
	v_cmp_ne_u32_e32 vcc, 0, v1
	s_andn2_b64 s[16:17], s[16:17], exec
	s_and_b64 s[20:21], vcc, exec
	s_or_b64 s[16:17], s[16:17], s[20:21]
	s_or_b64 exec, exec, s[18:19]
	v_mov_b32_e32 v6, 0
	s_and_saveexec_b64 s[18:19], s[16:17]
	s_cbranch_execnz .LBB316_3500
	s_branch .LBB316_3501
.LBB316_3829:
	s_andn2_saveexec_b64 s[20:21], s[20:21]
	s_cbranch_execz .LBB316_3605
.LBB316_3830:
	v_add_f32_e32 v3, 0x46000000, v4
	v_and_b32_e32 v3, 0xff, v3
	v_cmp_ne_u32_e32 vcc, 0, v3
	s_andn2_b64 s[18:19], s[18:19], exec
	s_and_b64 s[24:25], vcc, exec
	s_or_b64 s[18:19], s[18:19], s[24:25]
	s_or_b64 exec, exec, s[20:21]
	v_mov_b32_e32 v5, 0
	s_and_saveexec_b64 s[20:21], s[18:19]
	s_cbranch_execnz .LBB316_3606
	s_branch .LBB316_3607
.LBB316_3831:
	s_trap 2
	s_or_b64 s[14:15], s[14:15], exec
	s_cbranch_execz .LBB316_3653
	s_branch .LBB316_3654
.LBB316_3832:
	s_andn2_saveexec_b64 s[18:19], s[18:19]
	s_cbranch_execz .LBB316_3618
.LBB316_3833:
	v_add_f32_e32 v3, 0x42800000, v4
	v_and_b32_e32 v3, 0xff, v3
	v_cmp_ne_u32_e32 vcc, 0, v3
	s_andn2_b64 s[16:17], s[16:17], exec
	s_and_b64 s[20:21], vcc, exec
	s_or_b64 s[16:17], s[16:17], s[20:21]
	s_or_b64 exec, exec, s[18:19]
	v_mov_b32_e32 v5, 0
	s_and_saveexec_b64 s[18:19], s[16:17]
	s_cbranch_execnz .LBB316_3619
	s_branch .LBB316_3620
.LBB316_3834:
	s_andn2_saveexec_b64 s[16:17], s[16:17]
	s_cbranch_execz .LBB316_3725
.LBB316_3835:
	v_add_f32_e32 v2, 0x46000000, v3
	v_and_b32_e32 v2, 0xff, v2
	v_cmp_ne_u32_e32 vcc, 0, v2
	s_andn2_b64 s[10:11], s[10:11], exec
	s_and_b64 s[18:19], vcc, exec
	s_or_b64 s[10:11], s[10:11], s[18:19]
	s_or_b64 exec, exec, s[16:17]
	v_mov_b32_e32 v4, 0
	s_and_saveexec_b64 s[16:17], s[10:11]
	s_cbranch_execnz .LBB316_3726
	s_branch .LBB316_3727
.LBB316_3836:
	s_mov_b64 s[4:5], 0
	s_or_b64 s[14:15], s[14:15], exec
	s_trap 2
	s_branch .LBB316_3771
.LBB316_3837:
	s_andn2_saveexec_b64 s[10:11], s[10:11]
	s_cbranch_execz .LBB316_3737
.LBB316_3838:
	v_add_f32_e32 v2, 0x42800000, v3
	v_and_b32_e32 v2, 0xff, v2
	v_cmp_ne_u32_e32 vcc, 0, v2
	s_andn2_b64 s[8:9], s[8:9], exec
	s_and_b64 s[16:17], vcc, exec
	s_or_b64 s[8:9], s[8:9], s[16:17]
	s_or_b64 exec, exec, s[10:11]
	v_mov_b32_e32 v4, 0
	s_and_saveexec_b64 s[10:11], s[8:9]
	s_cbranch_execnz .LBB316_3738
	s_branch .LBB316_3739
	.section	.rodata,"a",@progbits
	.p2align	6, 0x0
	.amdhsa_kernel _ZN2at6native32elementwise_kernel_manual_unrollILi128ELi4EZNS0_15gpu_kernel_implINS0_13BinaryFunctorIN3c1014Float8_e8m0fnuES5_bNS0_12_GLOBAL__N_116CompareEqFunctorIS5_EEEEEEvRNS_18TensorIteratorBaseERKT_EUlibE0_EEviT1_
		.amdhsa_group_segment_fixed_size 0
		.amdhsa_private_segment_fixed_size 0
		.amdhsa_kernarg_size 432
		.amdhsa_user_sgpr_count 6
		.amdhsa_user_sgpr_private_segment_buffer 1
		.amdhsa_user_sgpr_dispatch_ptr 0
		.amdhsa_user_sgpr_queue_ptr 0
		.amdhsa_user_sgpr_kernarg_segment_ptr 1
		.amdhsa_user_sgpr_dispatch_id 0
		.amdhsa_user_sgpr_flat_scratch_init 0
		.amdhsa_user_sgpr_private_segment_size 0
		.amdhsa_uses_dynamic_stack 0
		.amdhsa_system_sgpr_private_segment_wavefront_offset 0
		.amdhsa_system_sgpr_workgroup_id_x 1
		.amdhsa_system_sgpr_workgroup_id_y 0
		.amdhsa_system_sgpr_workgroup_id_z 0
		.amdhsa_system_sgpr_workgroup_info 0
		.amdhsa_system_vgpr_workitem_id 0
		.amdhsa_next_free_vgpr 24
		.amdhsa_next_free_sgpr 80
		.amdhsa_reserve_vcc 1
		.amdhsa_reserve_flat_scratch 0
		.amdhsa_float_round_mode_32 0
		.amdhsa_float_round_mode_16_64 0
		.amdhsa_float_denorm_mode_32 3
		.amdhsa_float_denorm_mode_16_64 3
		.amdhsa_dx10_clamp 1
		.amdhsa_ieee_mode 1
		.amdhsa_fp16_overflow 0
		.amdhsa_exception_fp_ieee_invalid_op 0
		.amdhsa_exception_fp_denorm_src 0
		.amdhsa_exception_fp_ieee_div_zero 0
		.amdhsa_exception_fp_ieee_overflow 0
		.amdhsa_exception_fp_ieee_underflow 0
		.amdhsa_exception_fp_ieee_inexact 0
		.amdhsa_exception_int_div_zero 0
	.end_amdhsa_kernel
	.section	.text._ZN2at6native32elementwise_kernel_manual_unrollILi128ELi4EZNS0_15gpu_kernel_implINS0_13BinaryFunctorIN3c1014Float8_e8m0fnuES5_bNS0_12_GLOBAL__N_116CompareEqFunctorIS5_EEEEEEvRNS_18TensorIteratorBaseERKT_EUlibE0_EEviT1_,"axG",@progbits,_ZN2at6native32elementwise_kernel_manual_unrollILi128ELi4EZNS0_15gpu_kernel_implINS0_13BinaryFunctorIN3c1014Float8_e8m0fnuES5_bNS0_12_GLOBAL__N_116CompareEqFunctorIS5_EEEEEEvRNS_18TensorIteratorBaseERKT_EUlibE0_EEviT1_,comdat
.Lfunc_end316:
	.size	_ZN2at6native32elementwise_kernel_manual_unrollILi128ELi4EZNS0_15gpu_kernel_implINS0_13BinaryFunctorIN3c1014Float8_e8m0fnuES5_bNS0_12_GLOBAL__N_116CompareEqFunctorIS5_EEEEEEvRNS_18TensorIteratorBaseERKT_EUlibE0_EEviT1_, .Lfunc_end316-_ZN2at6native32elementwise_kernel_manual_unrollILi128ELi4EZNS0_15gpu_kernel_implINS0_13BinaryFunctorIN3c1014Float8_e8m0fnuES5_bNS0_12_GLOBAL__N_116CompareEqFunctorIS5_EEEEEEvRNS_18TensorIteratorBaseERKT_EUlibE0_EEviT1_
                                        ; -- End function
	.set _ZN2at6native32elementwise_kernel_manual_unrollILi128ELi4EZNS0_15gpu_kernel_implINS0_13BinaryFunctorIN3c1014Float8_e8m0fnuES5_bNS0_12_GLOBAL__N_116CompareEqFunctorIS5_EEEEEEvRNS_18TensorIteratorBaseERKT_EUlibE0_EEviT1_.num_vgpr, 24
	.set _ZN2at6native32elementwise_kernel_manual_unrollILi128ELi4EZNS0_15gpu_kernel_implINS0_13BinaryFunctorIN3c1014Float8_e8m0fnuES5_bNS0_12_GLOBAL__N_116CompareEqFunctorIS5_EEEEEEvRNS_18TensorIteratorBaseERKT_EUlibE0_EEviT1_.num_agpr, 0
	.set _ZN2at6native32elementwise_kernel_manual_unrollILi128ELi4EZNS0_15gpu_kernel_implINS0_13BinaryFunctorIN3c1014Float8_e8m0fnuES5_bNS0_12_GLOBAL__N_116CompareEqFunctorIS5_EEEEEEvRNS_18TensorIteratorBaseERKT_EUlibE0_EEviT1_.numbered_sgpr, 80
	.set _ZN2at6native32elementwise_kernel_manual_unrollILi128ELi4EZNS0_15gpu_kernel_implINS0_13BinaryFunctorIN3c1014Float8_e8m0fnuES5_bNS0_12_GLOBAL__N_116CompareEqFunctorIS5_EEEEEEvRNS_18TensorIteratorBaseERKT_EUlibE0_EEviT1_.num_named_barrier, 0
	.set _ZN2at6native32elementwise_kernel_manual_unrollILi128ELi4EZNS0_15gpu_kernel_implINS0_13BinaryFunctorIN3c1014Float8_e8m0fnuES5_bNS0_12_GLOBAL__N_116CompareEqFunctorIS5_EEEEEEvRNS_18TensorIteratorBaseERKT_EUlibE0_EEviT1_.private_seg_size, 0
	.set _ZN2at6native32elementwise_kernel_manual_unrollILi128ELi4EZNS0_15gpu_kernel_implINS0_13BinaryFunctorIN3c1014Float8_e8m0fnuES5_bNS0_12_GLOBAL__N_116CompareEqFunctorIS5_EEEEEEvRNS_18TensorIteratorBaseERKT_EUlibE0_EEviT1_.uses_vcc, 1
	.set _ZN2at6native32elementwise_kernel_manual_unrollILi128ELi4EZNS0_15gpu_kernel_implINS0_13BinaryFunctorIN3c1014Float8_e8m0fnuES5_bNS0_12_GLOBAL__N_116CompareEqFunctorIS5_EEEEEEvRNS_18TensorIteratorBaseERKT_EUlibE0_EEviT1_.uses_flat_scratch, 0
	.set _ZN2at6native32elementwise_kernel_manual_unrollILi128ELi4EZNS0_15gpu_kernel_implINS0_13BinaryFunctorIN3c1014Float8_e8m0fnuES5_bNS0_12_GLOBAL__N_116CompareEqFunctorIS5_EEEEEEvRNS_18TensorIteratorBaseERKT_EUlibE0_EEviT1_.has_dyn_sized_stack, 0
	.set _ZN2at6native32elementwise_kernel_manual_unrollILi128ELi4EZNS0_15gpu_kernel_implINS0_13BinaryFunctorIN3c1014Float8_e8m0fnuES5_bNS0_12_GLOBAL__N_116CompareEqFunctorIS5_EEEEEEvRNS_18TensorIteratorBaseERKT_EUlibE0_EEviT1_.has_recursion, 0
	.set _ZN2at6native32elementwise_kernel_manual_unrollILi128ELi4EZNS0_15gpu_kernel_implINS0_13BinaryFunctorIN3c1014Float8_e8m0fnuES5_bNS0_12_GLOBAL__N_116CompareEqFunctorIS5_EEEEEEvRNS_18TensorIteratorBaseERKT_EUlibE0_EEviT1_.has_indirect_call, 0
	.section	.AMDGPU.csdata,"",@progbits
; Kernel info:
; codeLenInByte = 79376
; TotalNumSgprs: 84
; NumVgprs: 24
; ScratchSize: 0
; MemoryBound: 0
; FloatMode: 240
; IeeeMode: 1
; LDSByteSize: 0 bytes/workgroup (compile time only)
; SGPRBlocks: 10
; VGPRBlocks: 5
; NumSGPRsForWavesPerEU: 84
; NumVGPRsForWavesPerEU: 24
; Occupancy: 9
; WaveLimiterHint : 1
; COMPUTE_PGM_RSRC2:SCRATCH_EN: 0
; COMPUTE_PGM_RSRC2:USER_SGPR: 6
; COMPUTE_PGM_RSRC2:TRAP_HANDLER: 0
; COMPUTE_PGM_RSRC2:TGID_X_EN: 1
; COMPUTE_PGM_RSRC2:TGID_Y_EN: 0
; COMPUTE_PGM_RSRC2:TGID_Z_EN: 0
; COMPUTE_PGM_RSRC2:TIDIG_COMP_CNT: 0
	.section	.text._ZN2at6native29vectorized_elementwise_kernelILi16ENS0_13AUnaryFunctorIN3c1014Float8_e8m0fnuES4_bNS0_12_GLOBAL__N_116CompareEqFunctorIS4_EEEESt5arrayIPcLm2EEEEviT0_T1_,"axG",@progbits,_ZN2at6native29vectorized_elementwise_kernelILi16ENS0_13AUnaryFunctorIN3c1014Float8_e8m0fnuES4_bNS0_12_GLOBAL__N_116CompareEqFunctorIS4_EEEESt5arrayIPcLm2EEEEviT0_T1_,comdat
	.globl	_ZN2at6native29vectorized_elementwise_kernelILi16ENS0_13AUnaryFunctorIN3c1014Float8_e8m0fnuES4_bNS0_12_GLOBAL__N_116CompareEqFunctorIS4_EEEESt5arrayIPcLm2EEEEviT0_T1_ ; -- Begin function _ZN2at6native29vectorized_elementwise_kernelILi16ENS0_13AUnaryFunctorIN3c1014Float8_e8m0fnuES4_bNS0_12_GLOBAL__N_116CompareEqFunctorIS4_EEEESt5arrayIPcLm2EEEEviT0_T1_
	.p2align	8
	.type	_ZN2at6native29vectorized_elementwise_kernelILi16ENS0_13AUnaryFunctorIN3c1014Float8_e8m0fnuES4_bNS0_12_GLOBAL__N_116CompareEqFunctorIS4_EEEESt5arrayIPcLm2EEEEviT0_T1_,@function
_ZN2at6native29vectorized_elementwise_kernelILi16ENS0_13AUnaryFunctorIN3c1014Float8_e8m0fnuES4_bNS0_12_GLOBAL__N_116CompareEqFunctorIS4_EEEESt5arrayIPcLm2EEEEviT0_T1_: ; @_ZN2at6native29vectorized_elementwise_kernelILi16ENS0_13AUnaryFunctorIN3c1014Float8_e8m0fnuES4_bNS0_12_GLOBAL__N_116CompareEqFunctorIS4_EEEESt5arrayIPcLm2EEEEviT0_T1_
; %bb.0:
	s_load_dwordx8 s[8:15], s[4:5], 0x0
	s_waitcnt lgkmcnt(0)
	s_lshl_b32 s11, s6, 12
	s_mov_b64 s[0:1], -1
	s_sub_i32 s8, s8, s11
	s_cmpk_gt_i32 s8, 0xfff
	s_cbranch_scc0 .LBB317_2
; %bb.1:
	s_ashr_i32 s4, s11, 31
	s_add_u32 s0, s14, s11
	s_addc_u32 s1, s15, s4
	v_lshlrev_b32_e32 v5, 4, v0
	global_load_dwordx4 v[1:4], v5, s[0:1]
	s_cmp_eq_u32 s9, 0
	s_cselect_b64 vcc, -1, 0
	s_lshl_b32 s0, s10, 23
	s_and_b32 s2, s10, 0xff
	s_and_b32 s3, s0, 0x7f800000
	s_cmpk_lg_i32 s2, 0xff
	s_cselect_b64 s[0:1], -1, 0
	v_mov_b32_e32 v17, 0x7f800001
	v_mov_b32_e32 v6, s3
	s_cmp_lg_u32 s2, 0
	s_movk_i32 s5, 0xff
	v_cndmask_b32_e64 v6, v17, v6, s[0:1]
	s_cselect_b64 s[0:1], -1, 0
	v_mov_b32_e32 v8, 0x400000
	v_mov_b32_e32 v20, 23
	v_cndmask_b32_e64 v7, v8, v6, s[0:1]
	v_mov_b32_e32 v19, 0
	s_waitcnt vmcnt(0)
	v_lshlrev_b32_sdwa v6, v20, v1 dst_sel:DWORD dst_unused:UNUSED_PAD src0_sel:DWORD src1_sel:BYTE_0
	v_cmp_ne_u16_sdwa s[0:1], v1, s5 src0_sel:BYTE_0 src1_sel:DWORD
	v_cndmask_b32_e64 v6, v17, v6, s[0:1]
	v_cmp_ne_u16_sdwa s[0:1], v1, v19 src0_sel:BYTE_0 src1_sel:DWORD
	v_cndmask_b32_e64 v6, v8, v6, s[0:1]
	v_cmp_eq_f32_e64 s[0:1], v7, v6
	v_cmp_neq_f32_e64 s[2:3], v7, v6
	v_cndmask_b32_e64 v6, 0, 1, s[0:1]
	v_cndmask_b32_e64 v11, 0, 1, s[2:3]
	v_lshrrev_b32_e32 v9, 8, v1
	v_cndmask_b32_e32 v6, v11, v6, vcc
	v_lshlrev_b32_e32 v11, 15, v1
	v_and_b32_e32 v11, 0x7f800000, v11
	v_cmp_ne_u16_sdwa s[0:1], v9, s5 src0_sel:BYTE_0 src1_sel:DWORD
	v_cndmask_b32_e64 v11, v17, v11, s[0:1]
	v_cmp_ne_u16_sdwa s[0:1], v9, v19 src0_sel:BYTE_0 src1_sel:DWORD
	v_cndmask_b32_e64 v9, v8, v11, s[0:1]
	v_and_b32_sdwa v10, v1, s5 dst_sel:DWORD dst_unused:UNUSED_PAD src0_sel:WORD_1 src1_sel:DWORD
	v_cmp_eq_f32_e64 s[0:1], v7, v9
	v_lshlrev_b32_e32 v12, 7, v1
	v_cmp_neq_f32_e64 s[2:3], v7, v9
	v_cndmask_b32_e64 v9, 0, 1, s[0:1]
	v_and_b32_e32 v12, 0x7f800000, v12
	v_cmp_ne_u16_e64 s[0:1], s5, v10
	v_cndmask_b32_e64 v12, v17, v12, s[0:1]
	v_cmp_ne_u16_e64 s[0:1], 0, v10
	v_cndmask_b32_e64 v10, v8, v12, s[0:1]
	v_cndmask_b32_e64 v11, 0, 1, s[2:3]
	v_cmp_eq_f32_e64 s[0:1], v7, v10
	v_cmp_neq_f32_e64 s[2:3], v7, v10
	v_cndmask_b32_e64 v10, 0, 1, s[0:1]
	v_cndmask_b32_e64 v12, 0, 1, s[2:3]
	v_cndmask_b32_e32 v10, v12, v10, vcc
	v_lshlrev_b32_sdwa v12, v20, v1 dst_sel:DWORD dst_unused:UNUSED_PAD src0_sel:DWORD src1_sel:BYTE_3
	v_cmp_ne_u16_sdwa s[0:1], v1, s5 src0_sel:BYTE_3 src1_sel:DWORD
	v_cndmask_b32_e64 v12, v17, v12, s[0:1]
	v_cmp_ne_u16_sdwa s[0:1], v1, v19 src0_sel:BYTE_3 src1_sel:DWORD
	v_cndmask_b32_e64 v1, v8, v12, s[0:1]
	v_cmp_eq_f32_e64 s[0:1], v7, v1
	v_cmp_neq_f32_e64 s[2:3], v7, v1
	v_cndmask_b32_e64 v1, 0, 1, s[0:1]
	v_cndmask_b32_e64 v12, 0, 1, s[2:3]
	v_cndmask_b32_e32 v1, v12, v1, vcc
	v_lshlrev_b32_sdwa v12, v20, v2 dst_sel:DWORD dst_unused:UNUSED_PAD src0_sel:DWORD src1_sel:BYTE_0
	v_cmp_ne_u16_sdwa s[0:1], v2, s5 src0_sel:BYTE_0 src1_sel:DWORD
	v_cndmask_b32_e64 v12, v17, v12, s[0:1]
	v_cmp_ne_u16_sdwa s[0:1], v2, v19 src0_sel:BYTE_0 src1_sel:DWORD
	v_cndmask_b32_e64 v12, v8, v12, s[0:1]
	v_cmp_eq_f32_e64 s[0:1], v7, v12
	v_cmp_neq_f32_e64 s[2:3], v7, v12
	v_cndmask_b32_e64 v12, 0, 1, s[0:1]
	v_cndmask_b32_e64 v15, 0, 1, s[2:3]
	v_lshrrev_b32_e32 v13, 8, v2
	v_cndmask_b32_e32 v12, v15, v12, vcc
	v_lshlrev_b32_e32 v15, 15, v2
	v_and_b32_e32 v15, 0x7f800000, v15
	v_cmp_ne_u16_sdwa s[0:1], v13, s5 src0_sel:BYTE_0 src1_sel:DWORD
	v_cndmask_b32_e64 v15, v17, v15, s[0:1]
	v_cmp_ne_u16_sdwa s[0:1], v13, v19 src0_sel:BYTE_0 src1_sel:DWORD
	v_cndmask_b32_e64 v13, v8, v15, s[0:1]
	v_cmp_eq_f32_e64 s[0:1], v7, v13
	v_cmp_neq_f32_e64 s[2:3], v7, v13
	v_cndmask_b32_e64 v13, 0, 1, s[0:1]
	v_cndmask_b32_e64 v15, 0, 1, s[2:3]
	v_and_b32_sdwa v14, v2, s5 dst_sel:DWORD dst_unused:UNUSED_PAD src0_sel:WORD_1 src1_sel:DWORD
	v_cndmask_b32_e32 v13, v15, v13, vcc
	v_lshlrev_b32_e32 v15, 7, v2
	v_and_b32_e32 v15, 0x7f800000, v15
	v_cmp_ne_u16_e64 s[0:1], s5, v14
	v_cndmask_b32_e64 v15, v17, v15, s[0:1]
	v_cmp_ne_u16_e64 s[0:1], 0, v14
	v_cndmask_b32_e64 v14, v8, v15, s[0:1]
	v_cmp_eq_f32_e64 s[0:1], v7, v14
	v_cmp_neq_f32_e64 s[2:3], v7, v14
	v_cndmask_b32_e64 v14, 0, 1, s[0:1]
	v_cndmask_b32_e64 v15, 0, 1, s[2:3]
	v_cndmask_b32_e32 v14, v15, v14, vcc
	v_lshlrev_b32_sdwa v15, v20, v2 dst_sel:DWORD dst_unused:UNUSED_PAD src0_sel:DWORD src1_sel:BYTE_3
	v_cmp_ne_u16_sdwa s[0:1], v2, s5 src0_sel:BYTE_3 src1_sel:DWORD
	v_cndmask_b32_e64 v15, v17, v15, s[0:1]
	v_cmp_ne_u16_sdwa s[0:1], v2, v19 src0_sel:BYTE_3 src1_sel:DWORD
	v_cndmask_b32_e64 v2, v8, v15, s[0:1]
	v_cmp_eq_f32_e64 s[0:1], v7, v2
	v_cmp_neq_f32_e64 s[2:3], v7, v2
	v_cndmask_b32_e64 v2, 0, 1, s[0:1]
	v_cndmask_b32_e64 v15, 0, 1, s[2:3]
	v_cndmask_b32_e32 v2, v15, v2, vcc
	v_lshlrev_b32_sdwa v15, v20, v3 dst_sel:DWORD dst_unused:UNUSED_PAD src0_sel:DWORD src1_sel:BYTE_0
	v_cmp_ne_u16_sdwa s[0:1], v3, s5 src0_sel:BYTE_0 src1_sel:DWORD
	v_cndmask_b32_e64 v15, v17, v15, s[0:1]
	v_cmp_ne_u16_sdwa s[0:1], v3, v19 src0_sel:BYTE_0 src1_sel:DWORD
	v_cndmask_b32_e64 v15, v8, v15, s[0:1]
	v_cmp_eq_f32_e64 s[0:1], v7, v15
	v_cmp_neq_f32_e64 s[2:3], v7, v15
	v_cndmask_b32_e64 v15, 0, 1, s[0:1]
	v_cndmask_b32_e64 v23, 0, 1, s[2:3]
	v_lshrrev_b32_e32 v16, 8, v3
	v_cndmask_b32_e32 v15, v23, v15, vcc
	v_lshlrev_b32_e32 v23, 15, v3
	v_and_b32_e32 v23, 0x7f800000, v23
	v_cmp_ne_u16_sdwa s[0:1], v16, s5 src0_sel:BYTE_0 src1_sel:DWORD
	v_cndmask_b32_e64 v23, v17, v23, s[0:1]
	v_cmp_ne_u16_sdwa s[0:1], v16, v19 src0_sel:BYTE_0 src1_sel:DWORD
	v_cndmask_b32_e64 v16, v8, v23, s[0:1]
	v_cmp_eq_f32_e64 s[0:1], v7, v16
	v_cmp_neq_f32_e64 s[2:3], v7, v16
	v_cndmask_b32_e64 v16, 0, 1, s[0:1]
	v_cndmask_b32_e64 v23, 0, 1, s[2:3]
	v_and_b32_sdwa v18, v3, s5 dst_sel:DWORD dst_unused:UNUSED_PAD src0_sel:WORD_1 src1_sel:DWORD
	v_cndmask_b32_e32 v16, v23, v16, vcc
	v_lshlrev_b32_e32 v23, 7, v3
	v_and_b32_e32 v23, 0x7f800000, v23
	v_cmp_ne_u16_e64 s[0:1], s5, v18
	v_cndmask_b32_e64 v23, v17, v23, s[0:1]
	v_cmp_ne_u16_e64 s[0:1], 0, v18
	;; [unrolled: 44-line block ×3, first 2 shown]
	v_cndmask_b32_e64 v22, v8, v24, s[0:1]
	v_cmp_eq_f32_e64 s[0:1], v7, v22
	v_cmp_neq_f32_e64 s[2:3], v7, v22
	v_cndmask_b32_e64 v22, 0, 1, s[0:1]
	v_lshlrev_b32_sdwa v20, v20, v4 dst_sel:DWORD dst_unused:UNUSED_PAD src0_sel:DWORD src1_sel:BYTE_3
	v_cmp_ne_u16_sdwa s[0:1], v4, s5 src0_sel:BYTE_3 src1_sel:DWORD
	v_cndmask_b32_e64 v17, v17, v20, s[0:1]
	v_cmp_ne_u16_sdwa s[0:1], v4, v19 src0_sel:BYTE_3 src1_sel:DWORD
	v_cndmask_b32_e64 v4, v8, v17, s[0:1]
	v_cndmask_b32_e64 v24, 0, 1, s[2:3]
	v_cmp_eq_f32_e64 s[0:1], v7, v4
	v_cmp_neq_f32_e64 s[2:3], v7, v4
	v_cndmask_b32_e64 v4, 0, 1, s[0:1]
	v_cndmask_b32_e64 v7, 0, 1, s[2:3]
	v_cndmask_b32_e32 v9, v11, v9, vcc
	v_mov_b32_e32 v11, 1
	v_cndmask_b32_e32 v22, v24, v22, vcc
	v_cndmask_b32_e32 v4, v7, v4, vcc
	v_and_b32_e32 v23, 1, v23
	v_and_b32_sdwa v21, v21, v11 dst_sel:BYTE_1 dst_unused:UNUSED_PAD src0_sel:DWORD src1_sel:DWORD
	v_and_b32_e32 v22, 1, v22
	v_and_b32_sdwa v4, v4, v11 dst_sel:BYTE_1 dst_unused:UNUSED_PAD src0_sel:DWORD src1_sel:DWORD
	;; [unrolled: 2-line block ×4, first 2 shown]
	v_or_b32_e32 v7, v23, v21
	v_or_b32_sdwa v4, v22, v4 dst_sel:WORD_1 dst_unused:UNUSED_PAD src0_sel:DWORD src1_sel:DWORD
	v_and_b32_e32 v6, 1, v6
	v_and_b32_sdwa v9, v9, v11 dst_sel:BYTE_1 dst_unused:UNUSED_PAD src0_sel:DWORD src1_sel:DWORD
	v_and_b32_e32 v10, 1, v10
	v_and_b32_sdwa v1, v1, v11 dst_sel:BYTE_1 dst_unused:UNUSED_PAD src0_sel:DWORD src1_sel:DWORD
	;; [unrolled: 2-line block ×4, first 2 shown]
	v_or_b32_sdwa v4, v7, v4 dst_sel:DWORD dst_unused:UNUSED_PAD src0_sel:WORD_0 src1_sel:DWORD
	v_or_b32_e32 v7, v15, v16
	v_or_b32_sdwa v3, v18, v3 dst_sel:WORD_1 dst_unused:UNUSED_PAD src0_sel:DWORD src1_sel:DWORD
	s_add_u32 s0, s12, s11
	v_or_b32_sdwa v3, v7, v3 dst_sel:DWORD dst_unused:UNUSED_PAD src0_sel:WORD_0 src1_sel:DWORD
	v_or_b32_e32 v7, v12, v13
	v_or_b32_sdwa v2, v14, v2 dst_sel:WORD_1 dst_unused:UNUSED_PAD src0_sel:DWORD src1_sel:DWORD
	v_or_b32_e32 v6, v6, v9
	v_or_b32_sdwa v1, v10, v1 dst_sel:WORD_1 dst_unused:UNUSED_PAD src0_sel:DWORD src1_sel:DWORD
	s_addc_u32 s1, s13, s4
	v_or_b32_sdwa v2, v7, v2 dst_sel:DWORD dst_unused:UNUSED_PAD src0_sel:WORD_0 src1_sel:DWORD
	v_or_b32_sdwa v1, v6, v1 dst_sel:DWORD dst_unused:UNUSED_PAD src0_sel:WORD_0 src1_sel:DWORD
	global_store_dwordx4 v5, v[1:4], s[0:1]
	s_mov_b64 s[0:1], 0
.LBB317_2:
	s_andn2_b64 vcc, exec, s[0:1]
	s_cbranch_vccnz .LBB317_83
; %bb.3:
	v_cmp_gt_i32_e32 vcc, s8, v0
	v_mov_b32_e32 v3, 0
	v_or_b32_e32 v4, s11, v0
	v_mov_b32_e32 v5, 0
	v_mov_b32_e32 v6, 0
	v_mov_b32_e32 v7, 0
	v_mov_b32_e32 v8, 0
	v_mov_b32_e32 v9, 0
	v_mov_b32_e32 v10, 0
	v_mov_b32_e32 v11, 0
	v_mov_b32_e32 v12, 0
	v_mov_b32_e32 v13, 0
	v_mov_b32_e32 v14, 0
	v_mov_b32_e32 v15, 0
	v_mov_b32_e32 v17, 0
	v_mov_b32_e32 v18, 0
	v_mov_b32_e32 v19, 0
	v_mov_b32_e32 v20, 0
	v_mov_b32_e32 v22, 0
	s_and_saveexec_b64 s[2:3], vcc
	s_cbranch_execz .LBB317_35
; %bb.4:
	global_load_ubyte v22, v4, s[14:15]
	v_or_b32_e32 v1, 0x100, v0
	v_cmp_gt_u32_e64 s[0:1], s8, v1
	v_mov_b32_e32 v20, 0
	v_mov_b32_e32 v19, 0
	;; [unrolled: 1-line block ×15, first 2 shown]
	s_and_saveexec_b64 s[4:5], s[0:1]
	s_cbranch_execz .LBB317_34
; %bb.5:
	v_add_u32_e32 v1, s11, v0
	global_load_ubyte v20, v1, s[14:15] offset:256
	v_or_b32_e32 v2, 0x200, v0
	v_mov_b32_e32 v19, 0
	v_cmp_gt_u32_e64 s[0:1], s8, v2
	v_mov_b32_e32 v18, 0
	v_mov_b32_e32 v17, 0
	;; [unrolled: 1-line block ×13, first 2 shown]
	s_and_saveexec_b64 s[6:7], s[0:1]
	s_cbranch_execz .LBB317_33
; %bb.6:
	v_mov_b32_e32 v2, s15
	v_add_co_u32_e64 v1, s[0:1], s14, v1
	v_addc_co_u32_e64 v2, s[0:1], 0, v2, s[0:1]
	global_load_ubyte v19, v[1:2], off offset:512
	v_or_b32_e32 v5, 0x300, v0
	v_cmp_gt_u32_e64 s[0:1], s8, v5
	v_mov_b32_e32 v18, 0
	v_mov_b32_e32 v17, 0
	;; [unrolled: 1-line block ×13, first 2 shown]
	s_and_saveexec_b64 s[14:15], s[0:1]
	s_cbranch_execz .LBB317_32
; %bb.7:
	global_load_ubyte v18, v[1:2], off offset:768
	v_or_b32_e32 v5, 0x400, v0
	v_cmp_gt_u32_e64 s[0:1], s8, v5
	v_mov_b32_e32 v17, 0
	v_mov_b32_e32 v15, 0
	;; [unrolled: 1-line block ×12, first 2 shown]
	s_and_saveexec_b64 s[16:17], s[0:1]
	s_cbranch_execz .LBB317_31
; %bb.8:
	global_load_ubyte v17, v[1:2], off offset:1024
	v_or_b32_e32 v5, 0x500, v0
	v_cmp_gt_u32_e64 s[0:1], s8, v5
	v_mov_b32_e32 v15, 0
	v_mov_b32_e32 v14, 0
	;; [unrolled: 1-line block ×11, first 2 shown]
	s_and_saveexec_b64 s[18:19], s[0:1]
	s_cbranch_execz .LBB317_30
; %bb.9:
	global_load_ubyte v15, v[1:2], off offset:1280
	v_or_b32_e32 v5, 0x600, v0
	v_cmp_gt_u32_e64 s[0:1], s8, v5
	v_mov_b32_e32 v14, 0
	v_mov_b32_e32 v13, 0
	;; [unrolled: 1-line block ×10, first 2 shown]
	s_and_saveexec_b64 s[20:21], s[0:1]
	s_cbranch_execz .LBB317_29
; %bb.10:
	global_load_ubyte v14, v[1:2], off offset:1536
	v_or_b32_e32 v5, 0x700, v0
	v_cmp_gt_u32_e64 s[0:1], s8, v5
	v_mov_b32_e32 v13, 0
	v_mov_b32_e32 v12, 0
	;; [unrolled: 1-line block ×9, first 2 shown]
	s_and_saveexec_b64 s[22:23], s[0:1]
	s_cbranch_execz .LBB317_28
; %bb.11:
	global_load_ubyte v13, v[1:2], off offset:1792
	v_or_b32_e32 v5, 0x800, v0
	v_cmp_gt_u32_e64 s[0:1], s8, v5
	v_mov_b32_e32 v12, 0
	v_mov_b32_e32 v11, 0
	;; [unrolled: 1-line block ×8, first 2 shown]
	s_and_saveexec_b64 s[24:25], s[0:1]
	s_cbranch_execz .LBB317_27
; %bb.12:
	global_load_ubyte v12, v[1:2], off offset:2048
	v_or_b32_e32 v5, 0x900, v0
	v_cmp_gt_u32_e64 s[0:1], s8, v5
	v_mov_b32_e32 v11, 0
	v_mov_b32_e32 v10, 0
	;; [unrolled: 1-line block ×7, first 2 shown]
	s_and_saveexec_b64 s[26:27], s[0:1]
	s_cbranch_execz .LBB317_26
; %bb.13:
	global_load_ubyte v11, v[1:2], off offset:2304
	v_or_b32_e32 v5, 0xa00, v0
	v_cmp_gt_u32_e64 s[0:1], s8, v5
	v_mov_b32_e32 v10, 0
	v_mov_b32_e32 v9, 0
	;; [unrolled: 1-line block ×6, first 2 shown]
	s_and_saveexec_b64 s[28:29], s[0:1]
	s_cbranch_execz .LBB317_25
; %bb.14:
	global_load_ubyte v10, v[1:2], off offset:2560
	v_or_b32_e32 v5, 0xb00, v0
	v_cmp_gt_u32_e64 s[0:1], s8, v5
	v_mov_b32_e32 v9, 0
	v_mov_b32_e32 v8, 0
	v_mov_b32_e32 v7, 0
	v_mov_b32_e32 v6, 0
	v_mov_b32_e32 v5, 0
	s_and_saveexec_b64 s[30:31], s[0:1]
	s_cbranch_execz .LBB317_24
; %bb.15:
	global_load_ubyte v9, v[1:2], off offset:2816
	v_or_b32_e32 v5, 0xc00, v0
	v_cmp_gt_u32_e64 s[0:1], s8, v5
	v_mov_b32_e32 v8, 0
	v_mov_b32_e32 v7, 0
	;; [unrolled: 1-line block ×4, first 2 shown]
	s_and_saveexec_b64 s[34:35], s[0:1]
	s_cbranch_execz .LBB317_23
; %bb.16:
	global_load_ubyte v8, v[1:2], off offset:3072
	v_or_b32_e32 v5, 0xd00, v0
	v_cmp_gt_u32_e64 s[0:1], s8, v5
	v_mov_b32_e32 v7, 0
	v_mov_b32_e32 v6, 0
	v_mov_b32_e32 v5, 0
	s_and_saveexec_b64 s[36:37], s[0:1]
	s_cbranch_execz .LBB317_22
; %bb.17:
	global_load_ubyte v7, v[1:2], off offset:3328
	v_or_b32_e32 v5, 0xe00, v0
	v_cmp_gt_u32_e64 s[0:1], s8, v5
	v_mov_b32_e32 v6, 0
	v_mov_b32_e32 v5, 0
	s_and_saveexec_b64 s[38:39], s[0:1]
	s_cbranch_execz .LBB317_21
; %bb.18:
	global_load_ubyte v6, v[1:2], off offset:3584
	v_or_b32_e32 v5, 0xf00, v0
	v_cmp_gt_u32_e64 s[0:1], s8, v5
	v_mov_b32_e32 v5, 0
	s_and_saveexec_b64 s[40:41], s[0:1]
	s_cbranch_execz .LBB317_20
; %bb.19:
	global_load_ubyte v5, v[1:2], off offset:3840
.LBB317_20:
	s_or_b64 exec, exec, s[40:41]
.LBB317_21:
	s_or_b64 exec, exec, s[38:39]
.LBB317_22:
	s_or_b64 exec, exec, s[36:37]
.LBB317_23:
	s_or_b64 exec, exec, s[34:35]
.LBB317_24:
	s_or_b64 exec, exec, s[30:31]
.LBB317_25:
	s_or_b64 exec, exec, s[28:29]
.LBB317_26:
	s_or_b64 exec, exec, s[26:27]
.LBB317_27:
	s_or_b64 exec, exec, s[24:25]
.LBB317_28:
	s_or_b64 exec, exec, s[22:23]
.LBB317_29:
	s_or_b64 exec, exec, s[20:21]
.LBB317_30:
	s_or_b64 exec, exec, s[18:19]
.LBB317_31:
	s_or_b64 exec, exec, s[16:17]
.LBB317_32:
	s_or_b64 exec, exec, s[14:15]
.LBB317_33:
	s_or_b64 exec, exec, s[6:7]
.LBB317_34:
	s_or_b64 exec, exec, s[4:5]
.LBB317_35:
	s_or_b64 exec, exec, s[2:3]
	s_cmp_eq_u32 s9, 0
	s_cselect_b64 s[0:1], -1, 0
	s_lshl_b32 s2, s10, 23
	s_and_b32 s4, s10, 0xff
	s_and_b32 s2, s2, 0x7f800000
	s_cmpk_lg_i32 s4, 0xff
	v_mov_b32_e32 v23, 0x7f800001
	v_mov_b32_e32 v1, s2
	s_cselect_b64 s[2:3], -1, 0
	s_cmp_lg_u32 s4, 0
	v_cndmask_b32_e64 v1, v23, v1, s[2:3]
	v_mov_b32_e32 v24, 0x400000
	s_cselect_b64 s[2:3], -1, 0
	s_movk_i32 s6, 0xff
	v_cndmask_b32_e64 v21, v24, v1, s[2:3]
	v_mov_b32_e32 v16, v3
	v_mov_b32_e32 v2, v3
	;; [unrolled: 1-line block ×3, first 2 shown]
	s_and_saveexec_b64 s[4:5], vcc
	s_cbranch_execz .LBB317_37
; %bb.36:
	v_mov_b32_e32 v1, 23
	s_waitcnt vmcnt(0)
	v_lshlrev_b32_sdwa v1, v1, v22 dst_sel:DWORD dst_unused:UNUSED_PAD src0_sel:DWORD src1_sel:BYTE_0
	v_cmp_ne_u16_sdwa s[2:3], v22, s6 src0_sel:BYTE_0 src1_sel:DWORD
	v_mov_b32_e32 v16, 0
	v_cndmask_b32_e64 v1, v23, v1, s[2:3]
	v_cmp_ne_u16_sdwa s[2:3], v22, v16 src0_sel:BYTE_0 src1_sel:DWORD
	v_cndmask_b32_e64 v1, v24, v1, s[2:3]
	v_cmp_eq_f32_e64 s[2:3], v21, v1
	v_cndmask_b32_e64 v2, 0, 1, s[2:3]
	v_cmp_neq_f32_e64 s[2:3], v21, v1
	v_cndmask_b32_e64 v1, 0, 1, s[2:3]
	v_cndmask_b32_e64 v1, v1, v2, s[0:1]
	v_and_b32_e32 v1, 1, v1
	v_and_b32_e32 v3, 0xffff, v1
	v_mov_b32_e32 v2, v16
	v_mov_b32_e32 v1, v16
.LBB317_37:
	s_or_b64 exec, exec, s[4:5]
	s_waitcnt vmcnt(0)
	v_or_b32_e32 v22, 0x100, v0
	v_cmp_gt_i32_e64 s[2:3], s8, v22
	s_and_saveexec_b64 s[4:5], s[2:3]
	s_cbranch_execz .LBB317_39
; %bb.38:
	s_movk_i32 s2, 0xff
	v_mov_b32_e32 v23, 23
	v_lshlrev_b32_sdwa v23, v23, v20 dst_sel:DWORD dst_unused:UNUSED_PAD src0_sel:DWORD src1_sel:BYTE_0
	v_mov_b32_e32 v24, 0x7f800001
	v_cmp_ne_u16_sdwa s[2:3], v20, s2 src0_sel:BYTE_0 src1_sel:DWORD
	v_cndmask_b32_e64 v23, v24, v23, s[2:3]
	v_mov_b32_e32 v24, 0
	v_mov_b32_e32 v25, 0x400000
	v_cmp_ne_u16_sdwa s[2:3], v20, v24 src0_sel:BYTE_0 src1_sel:DWORD
	v_cndmask_b32_e64 v20, v25, v23, s[2:3]
	v_cmp_eq_f32_e64 s[2:3], v21, v20
	v_cndmask_b32_e64 v23, 0, 1, s[2:3]
	v_cmp_neq_f32_e64 s[2:3], v21, v20
	v_cndmask_b32_e64 v20, 0, 1, s[2:3]
	v_cndmask_b32_e64 v20, v20, v23, s[0:1]
	v_mov_b32_e32 v23, 1
	v_and_b32_sdwa v20, v20, v23 dst_sel:BYTE_1 dst_unused:UNUSED_PAD src0_sel:DWORD src1_sel:DWORD
	v_or_b32_sdwa v20, v3, v20 dst_sel:DWORD dst_unused:UNUSED_PAD src0_sel:BYTE_0 src1_sel:DWORD
	v_and_b32_e32 v20, 0xffff, v20
	s_mov_b32 s2, 0xffff0000
	v_and_or_b32 v3, v3, s2, v20
.LBB317_39:
	s_or_b64 exec, exec, s[4:5]
	v_or_b32_e32 v20, 0x200, v0
	v_cmp_gt_i32_e64 s[2:3], s8, v20
	s_and_saveexec_b64 s[4:5], s[2:3]
	s_cbranch_execz .LBB317_41
; %bb.40:
	s_movk_i32 s2, 0xff00
	v_and_b32_sdwa v20, v3, s2 dst_sel:DWORD dst_unused:UNUSED_PAD src0_sel:WORD_1 src1_sel:DWORD
	s_movk_i32 s2, 0xff
	v_mov_b32_e32 v23, 23
	v_lshlrev_b32_sdwa v23, v23, v19 dst_sel:DWORD dst_unused:UNUSED_PAD src0_sel:DWORD src1_sel:BYTE_0
	v_mov_b32_e32 v24, 0x7f800001
	v_cmp_ne_u16_sdwa s[2:3], v19, s2 src0_sel:BYTE_0 src1_sel:DWORD
	v_cndmask_b32_e64 v23, v24, v23, s[2:3]
	v_mov_b32_e32 v24, 0
	v_mov_b32_e32 v25, 0x400000
	v_cmp_ne_u16_sdwa s[2:3], v19, v24 src0_sel:BYTE_0 src1_sel:DWORD
	v_cndmask_b32_e64 v19, v25, v23, s[2:3]
	v_cmp_eq_f32_e64 s[2:3], v21, v19
	v_cndmask_b32_e64 v23, 0, 1, s[2:3]
	v_cmp_neq_f32_e64 s[2:3], v21, v19
	v_cndmask_b32_e64 v19, 0, 1, s[2:3]
	v_cndmask_b32_e64 v19, v19, v23, s[0:1]
	v_and_b32_e32 v19, 1, v19
	v_or_b32_sdwa v19, v19, v20 dst_sel:WORD_1 dst_unused:UNUSED_PAD src0_sel:DWORD src1_sel:DWORD
	s_mov_b32 s2, 0xffff
	v_and_or_b32 v3, v3, s2, v19
.LBB317_41:
	s_or_b64 exec, exec, s[4:5]
	v_or_b32_e32 v19, 0x300, v0
	v_cmp_gt_i32_e64 s[2:3], s8, v19
	s_and_saveexec_b64 s[4:5], s[2:3]
	s_cbranch_execz .LBB317_43
; %bb.42:
	s_movk_i32 s2, 0xff
	v_mov_b32_e32 v20, 23
	v_and_b32_sdwa v19, v3, s2 dst_sel:DWORD dst_unused:UNUSED_PAD src0_sel:WORD_1 src1_sel:DWORD
	v_lshlrev_b32_sdwa v20, v20, v18 dst_sel:DWORD dst_unused:UNUSED_PAD src0_sel:DWORD src1_sel:BYTE_0
	v_mov_b32_e32 v23, 0x7f800001
	v_cmp_ne_u16_sdwa s[2:3], v18, s2 src0_sel:BYTE_0 src1_sel:DWORD
	v_cndmask_b32_e64 v20, v23, v20, s[2:3]
	v_mov_b32_e32 v23, 0
	v_mov_b32_e32 v24, 0x400000
	v_cmp_ne_u16_sdwa s[2:3], v18, v23 src0_sel:BYTE_0 src1_sel:DWORD
	v_cndmask_b32_e64 v18, v24, v20, s[2:3]
	v_cmp_eq_f32_e64 s[2:3], v21, v18
	v_cndmask_b32_e64 v20, 0, 1, s[2:3]
	v_cmp_neq_f32_e64 s[2:3], v21, v18
	v_cndmask_b32_e64 v18, 0, 1, s[2:3]
	v_cndmask_b32_e64 v18, v18, v20, s[0:1]
	v_mov_b32_e32 v20, 1
	v_and_b32_sdwa v18, v18, v20 dst_sel:BYTE_1 dst_unused:UNUSED_PAD src0_sel:DWORD src1_sel:DWORD
	v_or_b32_sdwa v18, v19, v18 dst_sel:WORD_1 dst_unused:UNUSED_PAD src0_sel:DWORD src1_sel:DWORD
	s_mov_b32 s2, 0xffff
	v_and_or_b32 v3, v3, s2, v18
.LBB317_43:
	s_or_b64 exec, exec, s[4:5]
	v_or_b32_e32 v18, 0x400, v0
	v_cmp_gt_i32_e64 s[2:3], s8, v18
	s_and_saveexec_b64 s[4:5], s[2:3]
	s_cbranch_execz .LBB317_45
; %bb.44:
	s_movk_i32 s2, 0xff
	v_mov_b32_e32 v19, 23
	v_lshlrev_b32_sdwa v19, v19, v17 dst_sel:DWORD dst_unused:UNUSED_PAD src0_sel:DWORD src1_sel:BYTE_0
	v_mov_b32_e32 v20, 0x7f800001
	v_cmp_ne_u16_sdwa s[2:3], v17, s2 src0_sel:BYTE_0 src1_sel:DWORD
	v_cndmask_b32_e64 v19, v20, v19, s[2:3]
	v_mov_b32_e32 v20, 0
	v_mov_b32_e32 v23, 0x400000
	v_cmp_ne_u16_sdwa s[2:3], v17, v20 src0_sel:BYTE_0 src1_sel:DWORD
	v_cndmask_b32_e64 v17, v23, v19, s[2:3]
	v_cmp_eq_f32_e64 s[2:3], v21, v17
	v_cndmask_b32_e64 v19, 0, 1, s[2:3]
	v_cmp_neq_f32_e64 s[2:3], v21, v17
	v_cndmask_b32_e64 v17, 0, 1, s[2:3]
	v_cndmask_b32_e64 v17, v17, v19, s[0:1]
	v_and_b32_e32 v18, 0xffffff00, v16
	v_and_b32_e32 v17, 1, v17
	v_or_b32_e32 v17, v17, v18
	v_and_b32_e32 v17, 0xffff, v17
	s_mov_b32 s2, 0xffff0000
	v_and_or_b32 v16, v16, s2, v17
.LBB317_45:
	s_or_b64 exec, exec, s[4:5]
	v_or_b32_e32 v17, 0x500, v0
	v_cmp_gt_i32_e64 s[2:3], s8, v17
	s_and_saveexec_b64 s[4:5], s[2:3]
	s_cbranch_execz .LBB317_47
; %bb.46:
	s_movk_i32 s2, 0xff
	v_mov_b32_e32 v17, 23
	v_lshlrev_b32_sdwa v17, v17, v15 dst_sel:DWORD dst_unused:UNUSED_PAD src0_sel:DWORD src1_sel:BYTE_0
	v_mov_b32_e32 v18, 0x7f800001
	v_cmp_ne_u16_sdwa s[2:3], v15, s2 src0_sel:BYTE_0 src1_sel:DWORD
	v_cndmask_b32_e64 v17, v18, v17, s[2:3]
	v_mov_b32_e32 v18, 0
	v_mov_b32_e32 v19, 0x400000
	v_cmp_ne_u16_sdwa s[2:3], v15, v18 src0_sel:BYTE_0 src1_sel:DWORD
	v_cndmask_b32_e64 v15, v19, v17, s[2:3]
	v_cmp_eq_f32_e64 s[2:3], v21, v15
	v_cndmask_b32_e64 v17, 0, 1, s[2:3]
	v_cmp_neq_f32_e64 s[2:3], v21, v15
	v_cndmask_b32_e64 v15, 0, 1, s[2:3]
	v_cndmask_b32_e64 v15, v15, v17, s[0:1]
	v_mov_b32_e32 v17, 1
	v_and_b32_sdwa v15, v15, v17 dst_sel:BYTE_1 dst_unused:UNUSED_PAD src0_sel:DWORD src1_sel:DWORD
	v_or_b32_sdwa v15, v16, v15 dst_sel:DWORD dst_unused:UNUSED_PAD src0_sel:BYTE_0 src1_sel:DWORD
	v_and_b32_e32 v15, 0xffff, v15
	s_mov_b32 s2, 0xffff0000
	v_and_or_b32 v16, v16, s2, v15
.LBB317_47:
	s_or_b64 exec, exec, s[4:5]
	v_or_b32_e32 v15, 0x600, v0
	v_cmp_gt_i32_e64 s[2:3], s8, v15
	s_and_saveexec_b64 s[4:5], s[2:3]
	s_cbranch_execz .LBB317_49
; %bb.48:
	s_movk_i32 s2, 0xff00
	v_and_b32_sdwa v15, v16, s2 dst_sel:DWORD dst_unused:UNUSED_PAD src0_sel:WORD_1 src1_sel:DWORD
	s_movk_i32 s2, 0xff
	v_mov_b32_e32 v17, 23
	v_lshlrev_b32_sdwa v17, v17, v14 dst_sel:DWORD dst_unused:UNUSED_PAD src0_sel:DWORD src1_sel:BYTE_0
	v_mov_b32_e32 v18, 0x7f800001
	v_cmp_ne_u16_sdwa s[2:3], v14, s2 src0_sel:BYTE_0 src1_sel:DWORD
	v_cndmask_b32_e64 v17, v18, v17, s[2:3]
	v_mov_b32_e32 v18, 0
	v_mov_b32_e32 v19, 0x400000
	v_cmp_ne_u16_sdwa s[2:3], v14, v18 src0_sel:BYTE_0 src1_sel:DWORD
	v_cndmask_b32_e64 v14, v19, v17, s[2:3]
	v_cmp_eq_f32_e64 s[2:3], v21, v14
	v_cndmask_b32_e64 v17, 0, 1, s[2:3]
	v_cmp_neq_f32_e64 s[2:3], v21, v14
	v_cndmask_b32_e64 v14, 0, 1, s[2:3]
	v_cndmask_b32_e64 v14, v14, v17, s[0:1]
	v_and_b32_e32 v14, 1, v14
	v_or_b32_sdwa v14, v14, v15 dst_sel:WORD_1 dst_unused:UNUSED_PAD src0_sel:DWORD src1_sel:DWORD
	s_mov_b32 s2, 0xffff
	v_and_or_b32 v16, v16, s2, v14
.LBB317_49:
	s_or_b64 exec, exec, s[4:5]
	v_or_b32_e32 v14, 0x700, v0
	v_cmp_gt_i32_e64 s[2:3], s8, v14
	s_and_saveexec_b64 s[4:5], s[2:3]
	s_cbranch_execz .LBB317_51
; %bb.50:
	s_movk_i32 s2, 0xff
	v_mov_b32_e32 v15, 23
	v_and_b32_sdwa v14, v16, s2 dst_sel:DWORD dst_unused:UNUSED_PAD src0_sel:WORD_1 src1_sel:DWORD
	v_lshlrev_b32_sdwa v15, v15, v13 dst_sel:DWORD dst_unused:UNUSED_PAD src0_sel:DWORD src1_sel:BYTE_0
	v_mov_b32_e32 v17, 0x7f800001
	v_cmp_ne_u16_sdwa s[2:3], v13, s2 src0_sel:BYTE_0 src1_sel:DWORD
	v_cndmask_b32_e64 v15, v17, v15, s[2:3]
	v_mov_b32_e32 v17, 0
	v_mov_b32_e32 v18, 0x400000
	v_cmp_ne_u16_sdwa s[2:3], v13, v17 src0_sel:BYTE_0 src1_sel:DWORD
	v_cndmask_b32_e64 v13, v18, v15, s[2:3]
	v_cmp_eq_f32_e64 s[2:3], v21, v13
	v_cndmask_b32_e64 v15, 0, 1, s[2:3]
	v_cmp_neq_f32_e64 s[2:3], v21, v13
	v_cndmask_b32_e64 v13, 0, 1, s[2:3]
	v_cndmask_b32_e64 v13, v13, v15, s[0:1]
	v_mov_b32_e32 v15, 1
	v_and_b32_sdwa v13, v13, v15 dst_sel:BYTE_1 dst_unused:UNUSED_PAD src0_sel:DWORD src1_sel:DWORD
	v_or_b32_sdwa v13, v14, v13 dst_sel:WORD_1 dst_unused:UNUSED_PAD src0_sel:DWORD src1_sel:DWORD
	s_mov_b32 s2, 0xffff
	v_and_or_b32 v16, v16, s2, v13
.LBB317_51:
	s_or_b64 exec, exec, s[4:5]
	v_or_b32_e32 v13, 0x800, v0
	v_cmp_gt_i32_e64 s[2:3], s8, v13
	s_and_saveexec_b64 s[4:5], s[2:3]
	s_cbranch_execz .LBB317_53
; %bb.52:
	s_movk_i32 s2, 0xff
	v_mov_b32_e32 v14, 23
	v_lshlrev_b32_sdwa v14, v14, v12 dst_sel:DWORD dst_unused:UNUSED_PAD src0_sel:DWORD src1_sel:BYTE_0
	v_mov_b32_e32 v15, 0x7f800001
	v_cmp_ne_u16_sdwa s[2:3], v12, s2 src0_sel:BYTE_0 src1_sel:DWORD
	v_cndmask_b32_e64 v14, v15, v14, s[2:3]
	v_mov_b32_e32 v15, 0
	v_mov_b32_e32 v17, 0x400000
	v_cmp_ne_u16_sdwa s[2:3], v12, v15 src0_sel:BYTE_0 src1_sel:DWORD
	v_cndmask_b32_e64 v12, v17, v14, s[2:3]
	v_cmp_eq_f32_e64 s[2:3], v21, v12
	v_cndmask_b32_e64 v14, 0, 1, s[2:3]
	v_cmp_neq_f32_e64 s[2:3], v21, v12
	v_cndmask_b32_e64 v12, 0, 1, s[2:3]
	v_cndmask_b32_e64 v12, v12, v14, s[0:1]
	v_and_b32_e32 v13, 0xffffff00, v2
	v_and_b32_e32 v12, 1, v12
	v_or_b32_e32 v12, v12, v13
	v_and_b32_e32 v12, 0xffff, v12
	s_mov_b32 s2, 0xffff0000
	v_and_or_b32 v2, v2, s2, v12
.LBB317_53:
	s_or_b64 exec, exec, s[4:5]
	v_or_b32_e32 v12, 0x900, v0
	v_cmp_gt_i32_e64 s[2:3], s8, v12
	s_and_saveexec_b64 s[4:5], s[2:3]
	s_cbranch_execz .LBB317_55
; %bb.54:
	s_movk_i32 s2, 0xff
	v_mov_b32_e32 v12, 23
	v_lshlrev_b32_sdwa v12, v12, v11 dst_sel:DWORD dst_unused:UNUSED_PAD src0_sel:DWORD src1_sel:BYTE_0
	v_mov_b32_e32 v13, 0x7f800001
	v_cmp_ne_u16_sdwa s[2:3], v11, s2 src0_sel:BYTE_0 src1_sel:DWORD
	v_cndmask_b32_e64 v12, v13, v12, s[2:3]
	v_mov_b32_e32 v13, 0
	v_mov_b32_e32 v14, 0x400000
	v_cmp_ne_u16_sdwa s[2:3], v11, v13 src0_sel:BYTE_0 src1_sel:DWORD
	v_cndmask_b32_e64 v11, v14, v12, s[2:3]
	v_cmp_eq_f32_e64 s[2:3], v21, v11
	v_cndmask_b32_e64 v12, 0, 1, s[2:3]
	v_cmp_neq_f32_e64 s[2:3], v21, v11
	v_cndmask_b32_e64 v11, 0, 1, s[2:3]
	v_cndmask_b32_e64 v11, v11, v12, s[0:1]
	v_mov_b32_e32 v12, 1
	v_and_b32_sdwa v11, v11, v12 dst_sel:BYTE_1 dst_unused:UNUSED_PAD src0_sel:DWORD src1_sel:DWORD
	v_or_b32_sdwa v11, v2, v11 dst_sel:DWORD dst_unused:UNUSED_PAD src0_sel:BYTE_0 src1_sel:DWORD
	v_and_b32_e32 v11, 0xffff, v11
	s_mov_b32 s2, 0xffff0000
	v_and_or_b32 v2, v2, s2, v11
.LBB317_55:
	s_or_b64 exec, exec, s[4:5]
	v_or_b32_e32 v11, 0xa00, v0
	v_cmp_gt_i32_e64 s[2:3], s8, v11
	s_and_saveexec_b64 s[4:5], s[2:3]
	s_cbranch_execz .LBB317_57
; %bb.56:
	s_movk_i32 s2, 0xff00
	v_and_b32_sdwa v11, v2, s2 dst_sel:DWORD dst_unused:UNUSED_PAD src0_sel:WORD_1 src1_sel:DWORD
	s_movk_i32 s2, 0xff
	v_mov_b32_e32 v12, 23
	v_lshlrev_b32_sdwa v12, v12, v10 dst_sel:DWORD dst_unused:UNUSED_PAD src0_sel:DWORD src1_sel:BYTE_0
	v_mov_b32_e32 v13, 0x7f800001
	v_cmp_ne_u16_sdwa s[2:3], v10, s2 src0_sel:BYTE_0 src1_sel:DWORD
	v_cndmask_b32_e64 v12, v13, v12, s[2:3]
	v_mov_b32_e32 v13, 0
	v_mov_b32_e32 v14, 0x400000
	v_cmp_ne_u16_sdwa s[2:3], v10, v13 src0_sel:BYTE_0 src1_sel:DWORD
	v_cndmask_b32_e64 v10, v14, v12, s[2:3]
	v_cmp_eq_f32_e64 s[2:3], v21, v10
	v_cndmask_b32_e64 v12, 0, 1, s[2:3]
	v_cmp_neq_f32_e64 s[2:3], v21, v10
	v_cndmask_b32_e64 v10, 0, 1, s[2:3]
	v_cndmask_b32_e64 v10, v10, v12, s[0:1]
	v_and_b32_e32 v10, 1, v10
	v_or_b32_sdwa v10, v10, v11 dst_sel:WORD_1 dst_unused:UNUSED_PAD src0_sel:DWORD src1_sel:DWORD
	s_mov_b32 s2, 0xffff
	v_and_or_b32 v2, v2, s2, v10
.LBB317_57:
	s_or_b64 exec, exec, s[4:5]
	v_or_b32_e32 v10, 0xb00, v0
	v_cmp_gt_i32_e64 s[2:3], s8, v10
	s_and_saveexec_b64 s[4:5], s[2:3]
	s_cbranch_execz .LBB317_59
; %bb.58:
	s_movk_i32 s2, 0xff
	v_mov_b32_e32 v11, 23
	v_and_b32_sdwa v10, v2, s2 dst_sel:DWORD dst_unused:UNUSED_PAD src0_sel:WORD_1 src1_sel:DWORD
	v_lshlrev_b32_sdwa v11, v11, v9 dst_sel:DWORD dst_unused:UNUSED_PAD src0_sel:DWORD src1_sel:BYTE_0
	v_mov_b32_e32 v12, 0x7f800001
	v_cmp_ne_u16_sdwa s[2:3], v9, s2 src0_sel:BYTE_0 src1_sel:DWORD
	v_cndmask_b32_e64 v11, v12, v11, s[2:3]
	v_mov_b32_e32 v12, 0
	v_mov_b32_e32 v13, 0x400000
	v_cmp_ne_u16_sdwa s[2:3], v9, v12 src0_sel:BYTE_0 src1_sel:DWORD
	v_cndmask_b32_e64 v9, v13, v11, s[2:3]
	v_cmp_eq_f32_e64 s[2:3], v21, v9
	v_cndmask_b32_e64 v11, 0, 1, s[2:3]
	v_cmp_neq_f32_e64 s[2:3], v21, v9
	v_cndmask_b32_e64 v9, 0, 1, s[2:3]
	v_cndmask_b32_e64 v9, v9, v11, s[0:1]
	v_mov_b32_e32 v11, 1
	v_and_b32_sdwa v9, v9, v11 dst_sel:BYTE_1 dst_unused:UNUSED_PAD src0_sel:DWORD src1_sel:DWORD
	v_or_b32_sdwa v9, v10, v9 dst_sel:WORD_1 dst_unused:UNUSED_PAD src0_sel:DWORD src1_sel:DWORD
	s_mov_b32 s2, 0xffff
	v_and_or_b32 v2, v2, s2, v9
.LBB317_59:
	s_or_b64 exec, exec, s[4:5]
	v_or_b32_e32 v9, 0xc00, v0
	v_cmp_gt_i32_e64 s[2:3], s8, v9
	s_and_saveexec_b64 s[4:5], s[2:3]
	s_cbranch_execz .LBB317_61
; %bb.60:
	s_movk_i32 s2, 0xff
	v_mov_b32_e32 v10, 23
	v_lshlrev_b32_sdwa v10, v10, v8 dst_sel:DWORD dst_unused:UNUSED_PAD src0_sel:DWORD src1_sel:BYTE_0
	v_mov_b32_e32 v11, 0x7f800001
	v_cmp_ne_u16_sdwa s[2:3], v8, s2 src0_sel:BYTE_0 src1_sel:DWORD
	v_cndmask_b32_e64 v10, v11, v10, s[2:3]
	v_mov_b32_e32 v11, 0
	v_mov_b32_e32 v12, 0x400000
	v_cmp_ne_u16_sdwa s[2:3], v8, v11 src0_sel:BYTE_0 src1_sel:DWORD
	v_cndmask_b32_e64 v8, v12, v10, s[2:3]
	v_cmp_eq_f32_e64 s[2:3], v21, v8
	v_cndmask_b32_e64 v10, 0, 1, s[2:3]
	v_cmp_neq_f32_e64 s[2:3], v21, v8
	v_cndmask_b32_e64 v8, 0, 1, s[2:3]
	v_cndmask_b32_e64 v8, v8, v10, s[0:1]
	v_and_b32_e32 v9, 0xffffff00, v1
	v_and_b32_e32 v8, 1, v8
	v_or_b32_e32 v8, v8, v9
	v_and_b32_e32 v8, 0xffff, v8
	s_mov_b32 s2, 0xffff0000
	v_and_or_b32 v1, v1, s2, v8
.LBB317_61:
	s_or_b64 exec, exec, s[4:5]
	v_or_b32_e32 v8, 0xd00, v0
	v_cmp_gt_i32_e64 s[2:3], s8, v8
	s_and_saveexec_b64 s[4:5], s[2:3]
	s_cbranch_execz .LBB317_63
; %bb.62:
	s_movk_i32 s2, 0xff
	v_mov_b32_e32 v8, 23
	v_lshlrev_b32_sdwa v8, v8, v7 dst_sel:DWORD dst_unused:UNUSED_PAD src0_sel:DWORD src1_sel:BYTE_0
	v_mov_b32_e32 v9, 0x7f800001
	v_cmp_ne_u16_sdwa s[2:3], v7, s2 src0_sel:BYTE_0 src1_sel:DWORD
	v_cndmask_b32_e64 v8, v9, v8, s[2:3]
	v_mov_b32_e32 v9, 0
	v_mov_b32_e32 v10, 0x400000
	v_cmp_ne_u16_sdwa s[2:3], v7, v9 src0_sel:BYTE_0 src1_sel:DWORD
	v_cndmask_b32_e64 v7, v10, v8, s[2:3]
	v_cmp_eq_f32_e64 s[2:3], v21, v7
	v_cndmask_b32_e64 v8, 0, 1, s[2:3]
	v_cmp_neq_f32_e64 s[2:3], v21, v7
	v_cndmask_b32_e64 v7, 0, 1, s[2:3]
	v_cndmask_b32_e64 v7, v7, v8, s[0:1]
	v_mov_b32_e32 v8, 1
	v_and_b32_sdwa v7, v7, v8 dst_sel:BYTE_1 dst_unused:UNUSED_PAD src0_sel:DWORD src1_sel:DWORD
	v_or_b32_sdwa v7, v1, v7 dst_sel:DWORD dst_unused:UNUSED_PAD src0_sel:BYTE_0 src1_sel:DWORD
	v_and_b32_e32 v7, 0xffff, v7
	s_mov_b32 s2, 0xffff0000
	v_and_or_b32 v1, v1, s2, v7
.LBB317_63:
	s_or_b64 exec, exec, s[4:5]
	v_or_b32_e32 v7, 0xe00, v0
	v_cmp_gt_i32_e64 s[2:3], s8, v7
	s_and_saveexec_b64 s[4:5], s[2:3]
	s_cbranch_execz .LBB317_65
; %bb.64:
	s_movk_i32 s2, 0xff00
	v_and_b32_sdwa v7, v1, s2 dst_sel:DWORD dst_unused:UNUSED_PAD src0_sel:WORD_1 src1_sel:DWORD
	s_movk_i32 s2, 0xff
	v_mov_b32_e32 v8, 23
	v_lshlrev_b32_sdwa v8, v8, v6 dst_sel:DWORD dst_unused:UNUSED_PAD src0_sel:DWORD src1_sel:BYTE_0
	v_mov_b32_e32 v9, 0x7f800001
	v_cmp_ne_u16_sdwa s[2:3], v6, s2 src0_sel:BYTE_0 src1_sel:DWORD
	v_cndmask_b32_e64 v8, v9, v8, s[2:3]
	v_mov_b32_e32 v9, 0
	v_mov_b32_e32 v10, 0x400000
	v_cmp_ne_u16_sdwa s[2:3], v6, v9 src0_sel:BYTE_0 src1_sel:DWORD
	v_cndmask_b32_e64 v6, v10, v8, s[2:3]
	v_cmp_eq_f32_e64 s[2:3], v21, v6
	v_cndmask_b32_e64 v8, 0, 1, s[2:3]
	v_cmp_neq_f32_e64 s[2:3], v21, v6
	v_cndmask_b32_e64 v6, 0, 1, s[2:3]
	v_cndmask_b32_e64 v6, v6, v8, s[0:1]
	v_and_b32_e32 v6, 1, v6
	v_or_b32_sdwa v6, v6, v7 dst_sel:WORD_1 dst_unused:UNUSED_PAD src0_sel:DWORD src1_sel:DWORD
	s_mov_b32 s2, 0xffff
	v_and_or_b32 v1, v1, s2, v6
.LBB317_65:
	s_or_b64 exec, exec, s[4:5]
	v_or_b32_e32 v6, 0xf00, v0
	v_cmp_gt_i32_e64 s[2:3], s8, v6
	s_and_saveexec_b64 s[4:5], s[2:3]
	s_cbranch_execnz .LBB317_84
; %bb.66:
	s_or_b64 exec, exec, s[4:5]
	s_and_saveexec_b64 s[0:1], vcc
	s_xor_b64 s[0:1], exec, s[0:1]
	s_cbranch_execnz .LBB317_85
.LBB317_67:
	s_or_b64 exec, exec, s[0:1]
	v_cmp_gt_i32_e32 vcc, s8, v0
	s_and_saveexec_b64 s[0:1], vcc
	s_cbranch_execnz .LBB317_86
.LBB317_68:
	s_or_b64 exec, exec, s[0:1]
	v_cmp_gt_i32_e32 vcc, s8, v0
	s_and_saveexec_b64 s[0:1], vcc
	s_cbranch_execnz .LBB317_87
.LBB317_69:
	s_or_b64 exec, exec, s[0:1]
	v_cmp_gt_i32_e32 vcc, s8, v0
	s_and_saveexec_b64 s[0:1], vcc
	s_cbranch_execnz .LBB317_88
.LBB317_70:
	s_or_b64 exec, exec, s[0:1]
	v_cmp_gt_i32_e32 vcc, s8, v0
	s_and_saveexec_b64 s[0:1], vcc
	s_cbranch_execnz .LBB317_89
.LBB317_71:
	s_or_b64 exec, exec, s[0:1]
	v_cmp_gt_i32_e32 vcc, s8, v0
	s_and_saveexec_b64 s[0:1], vcc
	s_cbranch_execnz .LBB317_90
.LBB317_72:
	s_or_b64 exec, exec, s[0:1]
	v_cmp_gt_i32_e32 vcc, s8, v0
	s_and_saveexec_b64 s[0:1], vcc
	s_cbranch_execnz .LBB317_91
.LBB317_73:
	s_or_b64 exec, exec, s[0:1]
	v_cmp_gt_i32_e32 vcc, s8, v0
	s_and_saveexec_b64 s[0:1], vcc
	s_cbranch_execnz .LBB317_92
.LBB317_74:
	s_or_b64 exec, exec, s[0:1]
	v_cmp_gt_i32_e32 vcc, s8, v0
	s_and_saveexec_b64 s[0:1], vcc
	s_cbranch_execnz .LBB317_93
.LBB317_75:
	s_or_b64 exec, exec, s[0:1]
	v_cmp_gt_i32_e32 vcc, s8, v0
	s_and_saveexec_b64 s[0:1], vcc
	s_cbranch_execnz .LBB317_94
.LBB317_76:
	s_or_b64 exec, exec, s[0:1]
	v_cmp_gt_i32_e32 vcc, s8, v0
	s_and_saveexec_b64 s[0:1], vcc
	s_cbranch_execnz .LBB317_95
.LBB317_77:
	s_or_b64 exec, exec, s[0:1]
	v_cmp_gt_i32_e32 vcc, s8, v0
	s_and_saveexec_b64 s[0:1], vcc
	s_cbranch_execnz .LBB317_96
.LBB317_78:
	s_or_b64 exec, exec, s[0:1]
	v_cmp_gt_i32_e32 vcc, s8, v0
	s_and_saveexec_b64 s[0:1], vcc
	s_cbranch_execnz .LBB317_97
.LBB317_79:
	s_or_b64 exec, exec, s[0:1]
	v_cmp_gt_i32_e32 vcc, s8, v0
	s_and_saveexec_b64 s[0:1], vcc
	s_cbranch_execnz .LBB317_98
.LBB317_80:
	s_or_b64 exec, exec, s[0:1]
	v_cmp_gt_i32_e32 vcc, s8, v0
	s_and_saveexec_b64 s[0:1], vcc
	s_cbranch_execnz .LBB317_99
.LBB317_81:
	s_or_b64 exec, exec, s[0:1]
	v_cmp_gt_i32_e32 vcc, s8, v0
	s_and_saveexec_b64 s[0:1], vcc
	s_cbranch_execz .LBB317_83
.LBB317_82:
	v_lshrrev_b32_e32 v1, 24, v1
	v_add_u32_e32 v0, s11, v0
	global_store_byte v0, v1, s[12:13]
.LBB317_83:
	s_endpgm
.LBB317_84:
	s_movk_i32 s2, 0xff
	v_mov_b32_e32 v7, 23
	v_and_b32_sdwa v6, v1, s2 dst_sel:DWORD dst_unused:UNUSED_PAD src0_sel:WORD_1 src1_sel:DWORD
	v_lshlrev_b32_sdwa v7, v7, v5 dst_sel:DWORD dst_unused:UNUSED_PAD src0_sel:DWORD src1_sel:BYTE_0
	v_mov_b32_e32 v8, 0x7f800001
	v_cmp_ne_u16_sdwa s[2:3], v5, s2 src0_sel:BYTE_0 src1_sel:DWORD
	v_cndmask_b32_e64 v7, v8, v7, s[2:3]
	v_mov_b32_e32 v8, 0
	v_mov_b32_e32 v9, 0x400000
	v_cmp_ne_u16_sdwa s[2:3], v5, v8 src0_sel:BYTE_0 src1_sel:DWORD
	v_cndmask_b32_e64 v5, v9, v7, s[2:3]
	v_cmp_eq_f32_e64 s[2:3], v21, v5
	v_cndmask_b32_e64 v7, 0, 1, s[2:3]
	v_cmp_neq_f32_e64 s[2:3], v21, v5
	v_cndmask_b32_e64 v5, 0, 1, s[2:3]
	v_cndmask_b32_e64 v5, v5, v7, s[0:1]
	v_mov_b32_e32 v7, 1
	v_and_b32_sdwa v5, v5, v7 dst_sel:BYTE_1 dst_unused:UNUSED_PAD src0_sel:DWORD src1_sel:DWORD
	v_or_b32_sdwa v5, v6, v5 dst_sel:WORD_1 dst_unused:UNUSED_PAD src0_sel:DWORD src1_sel:DWORD
	s_mov_b32 s0, 0xffff
	v_and_or_b32 v1, v1, s0, v5
	s_or_b64 exec, exec, s[4:5]
	s_and_saveexec_b64 s[0:1], vcc
	s_xor_b64 s[0:1], exec, s[0:1]
	s_cbranch_execz .LBB317_67
.LBB317_85:
	v_mov_b32_e32 v0, v22
	global_store_byte v4, v3, s[12:13]
	s_or_b64 exec, exec, s[0:1]
	v_cmp_gt_i32_e32 vcc, s8, v0
	s_and_saveexec_b64 s[0:1], vcc
	s_cbranch_execz .LBB317_68
.LBB317_86:
	v_lshrrev_b32_e32 v4, 8, v3
	v_add_u32_e32 v5, s11, v0
	v_add_u32_e32 v0, 0x100, v0
	global_store_byte v5, v4, s[12:13]
	s_or_b64 exec, exec, s[0:1]
	v_cmp_gt_i32_e32 vcc, s8, v0
	s_and_saveexec_b64 s[0:1], vcc
	s_cbranch_execz .LBB317_69
.LBB317_87:
	v_add_u32_e32 v4, s11, v0
	v_add_u32_e32 v0, 0x100, v0
	global_store_byte_d16_hi v4, v3, s[12:13]
	s_or_b64 exec, exec, s[0:1]
	v_cmp_gt_i32_e32 vcc, s8, v0
	s_and_saveexec_b64 s[0:1], vcc
	s_cbranch_execz .LBB317_70
.LBB317_88:
	v_lshrrev_b32_e32 v3, 24, v3
	v_add_u32_e32 v4, s11, v0
	v_add_u32_e32 v0, 0x100, v0
	global_store_byte v4, v3, s[12:13]
	s_or_b64 exec, exec, s[0:1]
	v_cmp_gt_i32_e32 vcc, s8, v0
	s_and_saveexec_b64 s[0:1], vcc
	s_cbranch_execz .LBB317_71
.LBB317_89:
	v_add_u32_e32 v3, s11, v0
	v_add_u32_e32 v0, 0x100, v0
	global_store_byte v3, v16, s[12:13]
	s_or_b64 exec, exec, s[0:1]
	v_cmp_gt_i32_e32 vcc, s8, v0
	s_and_saveexec_b64 s[0:1], vcc
	s_cbranch_execz .LBB317_72
.LBB317_90:
	v_lshrrev_b32_e32 v3, 8, v16
	v_add_u32_e32 v4, s11, v0
	v_add_u32_e32 v0, 0x100, v0
	global_store_byte v4, v3, s[12:13]
	s_or_b64 exec, exec, s[0:1]
	v_cmp_gt_i32_e32 vcc, s8, v0
	s_and_saveexec_b64 s[0:1], vcc
	s_cbranch_execz .LBB317_73
.LBB317_91:
	v_add_u32_e32 v3, s11, v0
	v_add_u32_e32 v0, 0x100, v0
	global_store_byte_d16_hi v3, v16, s[12:13]
	s_or_b64 exec, exec, s[0:1]
	v_cmp_gt_i32_e32 vcc, s8, v0
	s_and_saveexec_b64 s[0:1], vcc
	s_cbranch_execz .LBB317_74
.LBB317_92:
	v_lshrrev_b32_e32 v3, 24, v16
	v_add_u32_e32 v4, s11, v0
	v_add_u32_e32 v0, 0x100, v0
	global_store_byte v4, v3, s[12:13]
	s_or_b64 exec, exec, s[0:1]
	v_cmp_gt_i32_e32 vcc, s8, v0
	s_and_saveexec_b64 s[0:1], vcc
	s_cbranch_execz .LBB317_75
.LBB317_93:
	v_add_u32_e32 v3, s11, v0
	v_add_u32_e32 v0, 0x100, v0
	global_store_byte v3, v2, s[12:13]
	s_or_b64 exec, exec, s[0:1]
	v_cmp_gt_i32_e32 vcc, s8, v0
	s_and_saveexec_b64 s[0:1], vcc
	s_cbranch_execz .LBB317_76
.LBB317_94:
	v_lshrrev_b32_e32 v3, 8, v2
	v_add_u32_e32 v4, s11, v0
	v_add_u32_e32 v0, 0x100, v0
	global_store_byte v4, v3, s[12:13]
	s_or_b64 exec, exec, s[0:1]
	v_cmp_gt_i32_e32 vcc, s8, v0
	s_and_saveexec_b64 s[0:1], vcc
	s_cbranch_execz .LBB317_77
.LBB317_95:
	v_add_u32_e32 v3, s11, v0
	v_add_u32_e32 v0, 0x100, v0
	global_store_byte_d16_hi v3, v2, s[12:13]
	s_or_b64 exec, exec, s[0:1]
	v_cmp_gt_i32_e32 vcc, s8, v0
	s_and_saveexec_b64 s[0:1], vcc
	s_cbranch_execz .LBB317_78
.LBB317_96:
	v_lshrrev_b32_e32 v2, 24, v2
	v_add_u32_e32 v3, s11, v0
	v_add_u32_e32 v0, 0x100, v0
	global_store_byte v3, v2, s[12:13]
	s_or_b64 exec, exec, s[0:1]
	v_cmp_gt_i32_e32 vcc, s8, v0
	s_and_saveexec_b64 s[0:1], vcc
	s_cbranch_execz .LBB317_79
.LBB317_97:
	v_add_u32_e32 v2, s11, v0
	v_add_u32_e32 v0, 0x100, v0
	global_store_byte v2, v1, s[12:13]
	s_or_b64 exec, exec, s[0:1]
	v_cmp_gt_i32_e32 vcc, s8, v0
	s_and_saveexec_b64 s[0:1], vcc
	s_cbranch_execz .LBB317_80
.LBB317_98:
	v_lshrrev_b32_e32 v2, 8, v1
	v_add_u32_e32 v3, s11, v0
	v_add_u32_e32 v0, 0x100, v0
	global_store_byte v3, v2, s[12:13]
	s_or_b64 exec, exec, s[0:1]
	v_cmp_gt_i32_e32 vcc, s8, v0
	s_and_saveexec_b64 s[0:1], vcc
	s_cbranch_execz .LBB317_81
.LBB317_99:
	v_add_u32_e32 v2, s11, v0
	v_add_u32_e32 v0, 0x100, v0
	global_store_byte_d16_hi v2, v1, s[12:13]
	s_or_b64 exec, exec, s[0:1]
	v_cmp_gt_i32_e32 vcc, s8, v0
	s_and_saveexec_b64 s[0:1], vcc
	s_cbranch_execnz .LBB317_82
	s_branch .LBB317_83
	.section	.rodata,"a",@progbits
	.p2align	6, 0x0
	.amdhsa_kernel _ZN2at6native29vectorized_elementwise_kernelILi16ENS0_13AUnaryFunctorIN3c1014Float8_e8m0fnuES4_bNS0_12_GLOBAL__N_116CompareEqFunctorIS4_EEEESt5arrayIPcLm2EEEEviT0_T1_
		.amdhsa_group_segment_fixed_size 0
		.amdhsa_private_segment_fixed_size 0
		.amdhsa_kernarg_size 32
		.amdhsa_user_sgpr_count 6
		.amdhsa_user_sgpr_private_segment_buffer 1
		.amdhsa_user_sgpr_dispatch_ptr 0
		.amdhsa_user_sgpr_queue_ptr 0
		.amdhsa_user_sgpr_kernarg_segment_ptr 1
		.amdhsa_user_sgpr_dispatch_id 0
		.amdhsa_user_sgpr_flat_scratch_init 0
		.amdhsa_user_sgpr_private_segment_size 0
		.amdhsa_uses_dynamic_stack 0
		.amdhsa_system_sgpr_private_segment_wavefront_offset 0
		.amdhsa_system_sgpr_workgroup_id_x 1
		.amdhsa_system_sgpr_workgroup_id_y 0
		.amdhsa_system_sgpr_workgroup_id_z 0
		.amdhsa_system_sgpr_workgroup_info 0
		.amdhsa_system_vgpr_workitem_id 0
		.amdhsa_next_free_vgpr 26
		.amdhsa_next_free_sgpr 42
		.amdhsa_reserve_vcc 1
		.amdhsa_reserve_flat_scratch 0
		.amdhsa_float_round_mode_32 0
		.amdhsa_float_round_mode_16_64 0
		.amdhsa_float_denorm_mode_32 3
		.amdhsa_float_denorm_mode_16_64 3
		.amdhsa_dx10_clamp 1
		.amdhsa_ieee_mode 1
		.amdhsa_fp16_overflow 0
		.amdhsa_exception_fp_ieee_invalid_op 0
		.amdhsa_exception_fp_denorm_src 0
		.amdhsa_exception_fp_ieee_div_zero 0
		.amdhsa_exception_fp_ieee_overflow 0
		.amdhsa_exception_fp_ieee_underflow 0
		.amdhsa_exception_fp_ieee_inexact 0
		.amdhsa_exception_int_div_zero 0
	.end_amdhsa_kernel
	.section	.text._ZN2at6native29vectorized_elementwise_kernelILi16ENS0_13AUnaryFunctorIN3c1014Float8_e8m0fnuES4_bNS0_12_GLOBAL__N_116CompareEqFunctorIS4_EEEESt5arrayIPcLm2EEEEviT0_T1_,"axG",@progbits,_ZN2at6native29vectorized_elementwise_kernelILi16ENS0_13AUnaryFunctorIN3c1014Float8_e8m0fnuES4_bNS0_12_GLOBAL__N_116CompareEqFunctorIS4_EEEESt5arrayIPcLm2EEEEviT0_T1_,comdat
.Lfunc_end317:
	.size	_ZN2at6native29vectorized_elementwise_kernelILi16ENS0_13AUnaryFunctorIN3c1014Float8_e8m0fnuES4_bNS0_12_GLOBAL__N_116CompareEqFunctorIS4_EEEESt5arrayIPcLm2EEEEviT0_T1_, .Lfunc_end317-_ZN2at6native29vectorized_elementwise_kernelILi16ENS0_13AUnaryFunctorIN3c1014Float8_e8m0fnuES4_bNS0_12_GLOBAL__N_116CompareEqFunctorIS4_EEEESt5arrayIPcLm2EEEEviT0_T1_
                                        ; -- End function
	.set _ZN2at6native29vectorized_elementwise_kernelILi16ENS0_13AUnaryFunctorIN3c1014Float8_e8m0fnuES4_bNS0_12_GLOBAL__N_116CompareEqFunctorIS4_EEEESt5arrayIPcLm2EEEEviT0_T1_.num_vgpr, 26
	.set _ZN2at6native29vectorized_elementwise_kernelILi16ENS0_13AUnaryFunctorIN3c1014Float8_e8m0fnuES4_bNS0_12_GLOBAL__N_116CompareEqFunctorIS4_EEEESt5arrayIPcLm2EEEEviT0_T1_.num_agpr, 0
	.set _ZN2at6native29vectorized_elementwise_kernelILi16ENS0_13AUnaryFunctorIN3c1014Float8_e8m0fnuES4_bNS0_12_GLOBAL__N_116CompareEqFunctorIS4_EEEESt5arrayIPcLm2EEEEviT0_T1_.numbered_sgpr, 42
	.set _ZN2at6native29vectorized_elementwise_kernelILi16ENS0_13AUnaryFunctorIN3c1014Float8_e8m0fnuES4_bNS0_12_GLOBAL__N_116CompareEqFunctorIS4_EEEESt5arrayIPcLm2EEEEviT0_T1_.num_named_barrier, 0
	.set _ZN2at6native29vectorized_elementwise_kernelILi16ENS0_13AUnaryFunctorIN3c1014Float8_e8m0fnuES4_bNS0_12_GLOBAL__N_116CompareEqFunctorIS4_EEEESt5arrayIPcLm2EEEEviT0_T1_.private_seg_size, 0
	.set _ZN2at6native29vectorized_elementwise_kernelILi16ENS0_13AUnaryFunctorIN3c1014Float8_e8m0fnuES4_bNS0_12_GLOBAL__N_116CompareEqFunctorIS4_EEEESt5arrayIPcLm2EEEEviT0_T1_.uses_vcc, 1
	.set _ZN2at6native29vectorized_elementwise_kernelILi16ENS0_13AUnaryFunctorIN3c1014Float8_e8m0fnuES4_bNS0_12_GLOBAL__N_116CompareEqFunctorIS4_EEEESt5arrayIPcLm2EEEEviT0_T1_.uses_flat_scratch, 0
	.set _ZN2at6native29vectorized_elementwise_kernelILi16ENS0_13AUnaryFunctorIN3c1014Float8_e8m0fnuES4_bNS0_12_GLOBAL__N_116CompareEqFunctorIS4_EEEESt5arrayIPcLm2EEEEviT0_T1_.has_dyn_sized_stack, 0
	.set _ZN2at6native29vectorized_elementwise_kernelILi16ENS0_13AUnaryFunctorIN3c1014Float8_e8m0fnuES4_bNS0_12_GLOBAL__N_116CompareEqFunctorIS4_EEEESt5arrayIPcLm2EEEEviT0_T1_.has_recursion, 0
	.set _ZN2at6native29vectorized_elementwise_kernelILi16ENS0_13AUnaryFunctorIN3c1014Float8_e8m0fnuES4_bNS0_12_GLOBAL__N_116CompareEqFunctorIS4_EEEESt5arrayIPcLm2EEEEviT0_T1_.has_indirect_call, 0
	.section	.AMDGPU.csdata,"",@progbits
; Kernel info:
; codeLenInByte = 6544
; TotalNumSgprs: 46
; NumVgprs: 26
; ScratchSize: 0
; MemoryBound: 0
; FloatMode: 240
; IeeeMode: 1
; LDSByteSize: 0 bytes/workgroup (compile time only)
; SGPRBlocks: 5
; VGPRBlocks: 6
; NumSGPRsForWavesPerEU: 46
; NumVGPRsForWavesPerEU: 26
; Occupancy: 9
; WaveLimiterHint : 0
; COMPUTE_PGM_RSRC2:SCRATCH_EN: 0
; COMPUTE_PGM_RSRC2:USER_SGPR: 6
; COMPUTE_PGM_RSRC2:TRAP_HANDLER: 0
; COMPUTE_PGM_RSRC2:TGID_X_EN: 1
; COMPUTE_PGM_RSRC2:TGID_Y_EN: 0
; COMPUTE_PGM_RSRC2:TGID_Z_EN: 0
; COMPUTE_PGM_RSRC2:TIDIG_COMP_CNT: 0
	.section	.text._ZN2at6native29vectorized_elementwise_kernelILi8ENS0_13AUnaryFunctorIN3c1014Float8_e8m0fnuES4_bNS0_12_GLOBAL__N_116CompareEqFunctorIS4_EEEESt5arrayIPcLm2EEEEviT0_T1_,"axG",@progbits,_ZN2at6native29vectorized_elementwise_kernelILi8ENS0_13AUnaryFunctorIN3c1014Float8_e8m0fnuES4_bNS0_12_GLOBAL__N_116CompareEqFunctorIS4_EEEESt5arrayIPcLm2EEEEviT0_T1_,comdat
	.globl	_ZN2at6native29vectorized_elementwise_kernelILi8ENS0_13AUnaryFunctorIN3c1014Float8_e8m0fnuES4_bNS0_12_GLOBAL__N_116CompareEqFunctorIS4_EEEESt5arrayIPcLm2EEEEviT0_T1_ ; -- Begin function _ZN2at6native29vectorized_elementwise_kernelILi8ENS0_13AUnaryFunctorIN3c1014Float8_e8m0fnuES4_bNS0_12_GLOBAL__N_116CompareEqFunctorIS4_EEEESt5arrayIPcLm2EEEEviT0_T1_
	.p2align	8
	.type	_ZN2at6native29vectorized_elementwise_kernelILi8ENS0_13AUnaryFunctorIN3c1014Float8_e8m0fnuES4_bNS0_12_GLOBAL__N_116CompareEqFunctorIS4_EEEESt5arrayIPcLm2EEEEviT0_T1_,@function
_ZN2at6native29vectorized_elementwise_kernelILi8ENS0_13AUnaryFunctorIN3c1014Float8_e8m0fnuES4_bNS0_12_GLOBAL__N_116CompareEqFunctorIS4_EEEESt5arrayIPcLm2EEEEviT0_T1_: ; @_ZN2at6native29vectorized_elementwise_kernelILi8ENS0_13AUnaryFunctorIN3c1014Float8_e8m0fnuES4_bNS0_12_GLOBAL__N_116CompareEqFunctorIS4_EEEESt5arrayIPcLm2EEEEviT0_T1_
; %bb.0:
	s_load_dwordx8 s[8:15], s[4:5], 0x0
	s_waitcnt lgkmcnt(0)
	s_lshl_b32 s11, s6, 12
	s_mov_b64 s[0:1], -1
	s_sub_i32 s8, s8, s11
	s_cmpk_gt_i32 s8, 0xfff
	s_cbranch_scc0 .LBB318_2
; %bb.1:
	s_ashr_i32 s2, s11, 31
	s_add_u32 s0, s14, s11
	s_addc_u32 s1, s15, s2
	v_lshlrev_b32_e32 v5, 3, v0
	global_load_dwordx2 v[1:2], v5, s[0:1]
	global_load_dwordx2 v[3:4], v5, s[0:1] offset:2048
	s_cmp_eq_u32 s9, 0
	s_cselect_b64 vcc, -1, 0
	s_lshl_b32 s0, s10, 23
	s_and_b32 s5, s10, 0xff
	s_and_b32 s0, s0, 0x7f800000
	s_cmpk_lg_i32 s5, 0xff
	v_mov_b32_e32 v6, 0x7f800001
	v_mov_b32_e32 v10, s0
	s_cselect_b64 s[0:1], -1, 0
	s_cmp_lg_u32 s5, 0
	s_movk_i32 s3, 0xff
	v_mov_b32_e32 v7, 0x400000
	v_mov_b32_e32 v9, 23
	v_cndmask_b32_e64 v10, v6, v10, s[0:1]
	s_cselect_b64 s[0:1], -1, 0
	v_cndmask_b32_e64 v10, v7, v10, s[0:1]
	s_mov_b32 s4, 0xffffff
	v_mov_b32_e32 v8, 0
	s_waitcnt vmcnt(1)
	v_lshlrev_b32_e32 v11, 23, v1
	v_lshlrev_b32_sdwa v16, v9, v1 dst_sel:DWORD dst_unused:UNUSED_PAD src0_sel:DWORD src1_sel:BYTE_3
	v_cmp_ne_u32_sdwa s[0:1], v1, s3 src0_sel:BYTE_3 src1_sel:DWORD
	v_lshrrev_b32_e32 v12, 8, v1
	v_lshlrev_b32_e32 v13, 15, v1
	v_and_b32_e32 v11, 0x7f800000, v11
	v_cndmask_b32_e64 v16, v6, v16, s[0:1]
	v_cmp_ne_u16_sdwa s[0:1], v1, s3 src0_sel:BYTE_0 src1_sel:DWORD
	v_and_b32_sdwa v14, v1, s3 dst_sel:DWORD dst_unused:UNUSED_PAD src0_sel:WORD_1 src1_sel:DWORD
	v_lshlrev_b32_e32 v15, 7, v1
	v_and_b32_e32 v13, 0x7f800000, v13
	v_cndmask_b32_e64 v11, v6, v11, s[0:1]
	v_cmp_ne_u16_sdwa s[0:1], v12, s3 src0_sel:BYTE_0 src1_sel:DWORD
	v_and_b32_e32 v15, 0x7f800000, v15
	v_cndmask_b32_e64 v13, v6, v13, s[0:1]
	v_cmp_ne_u16_e64 s[0:1], s3, v14
	v_lshlrev_b32_e32 v17, 23, v2
	v_cndmask_b32_e64 v15, v6, v15, s[0:1]
	v_cmp_lt_u32_e64 s[0:1], s4, v1
	v_lshrrev_b32_e32 v18, 8, v2
	v_lshlrev_b32_e32 v19, 15, v2
	v_and_b32_e32 v17, 0x7f800000, v17
	v_cndmask_b32_e64 v16, v7, v16, s[0:1]
	v_cmp_ne_u16_sdwa s[0:1], v2, s3 src0_sel:BYTE_0 src1_sel:DWORD
	v_and_b32_e32 v19, 0x7f800000, v19
	v_cndmask_b32_e64 v17, v6, v17, s[0:1]
	v_cmp_ne_u16_sdwa s[0:1], v18, s3 src0_sel:BYTE_0 src1_sel:DWORD
	v_cndmask_b32_e64 v19, v6, v19, s[0:1]
	v_cmp_ne_u16_sdwa s[0:1], v1, v8 src0_sel:BYTE_0 src1_sel:DWORD
	;; [unrolled: 2-line block ×3, first 2 shown]
	v_cndmask_b32_e64 v11, v7, v13, s[0:1]
	v_cmp_ne_u16_e64 s[0:1], 0, v14
	v_cndmask_b32_e64 v12, v7, v15, s[0:1]
	v_cmp_eq_f32_e64 s[0:1], v10, v16
	v_cndmask_b32_e64 v13, 0, 1, s[0:1]
	v_cmp_neq_f32_e64 s[0:1], v10, v16
	v_cndmask_b32_e64 v14, 0, 1, s[0:1]
	v_cmp_ne_u16_sdwa s[0:1], v2, v8 src0_sel:BYTE_0 src1_sel:DWORD
	v_cndmask_b32_e64 v15, v7, v17, s[0:1]
	v_cmp_ne_u16_sdwa s[0:1], v18, v8 src0_sel:BYTE_0 src1_sel:DWORD
	v_cndmask_b32_e64 v16, v7, v19, s[0:1]
	v_cmp_eq_f32_e64 s[0:1], v10, v1
	v_cndmask_b32_e64 v17, 0, 1, s[0:1]
	v_cmp_neq_f32_e64 s[0:1], v10, v1
	v_cndmask_b32_e64 v1, 0, 1, s[0:1]
	v_cmp_eq_f32_e64 s[0:1], v10, v11
	v_cndmask_b32_e64 v18, 0, 1, s[0:1]
	v_cmp_neq_f32_e64 s[0:1], v10, v11
	;; [unrolled: 4-line block ×4, first 2 shown]
	v_cndmask_b32_e64 v15, 0, 1, s[0:1]
	v_cmp_eq_f32_e64 s[0:1], v10, v16
	v_cndmask_b32_e64 v21, 0, 1, s[0:1]
	v_cndmask_b32_e32 v1, v1, v17, vcc
	v_cmp_neq_f32_e64 s[0:1], v10, v16
	v_and_b32_sdwa v16, v2, s3 dst_sel:DWORD dst_unused:UNUSED_PAD src0_sel:WORD_1 src1_sel:DWORD
	v_lshlrev_b32_e32 v17, 7, v2
	v_cndmask_b32_e32 v13, v14, v13, vcc
	v_cndmask_b32_e32 v14, v15, v20, vcc
	v_and_b32_e32 v15, 1, v1
	v_cndmask_b32_e64 v1, 0, 1, s[0:1]
	v_and_b32_e32 v17, 0x7f800000, v17
	v_cmp_ne_u16_e64 s[0:1], s3, v16
	v_cndmask_b32_e64 v17, v6, v17, s[0:1]
	v_cmp_ne_u16_e64 s[0:1], 0, v16
	v_cndmask_b32_e64 v16, v7, v17, s[0:1]
	v_cmp_eq_f32_e64 s[0:1], v10, v16
	v_cndmask_b32_e64 v17, 0, 1, s[0:1]
	v_cmp_neq_f32_e64 s[0:1], v10, v16
	v_cndmask_b32_e64 v16, 0, 1, s[0:1]
	v_cndmask_b32_e32 v16, v16, v17, vcc
	v_lshlrev_b32_sdwa v17, v9, v2 dst_sel:DWORD dst_unused:UNUSED_PAD src0_sel:DWORD src1_sel:BYTE_3
	v_cmp_ne_u32_sdwa s[0:1], v2, s3 src0_sel:BYTE_3 src1_sel:DWORD
	v_cndmask_b32_e64 v17, v6, v17, s[0:1]
	v_cmp_lt_u32_e64 s[0:1], s4, v2
	v_cndmask_b32_e64 v2, v7, v17, s[0:1]
	v_cmp_eq_f32_e64 s[0:1], v10, v2
	v_cndmask_b32_e64 v17, 0, 1, s[0:1]
	v_cmp_neq_f32_e64 s[0:1], v10, v2
	v_cndmask_b32_e64 v2, 0, 1, s[0:1]
	v_cndmask_b32_e32 v2, v2, v17, vcc
	s_waitcnt vmcnt(0)
	v_lshlrev_b32_e32 v17, 23, v3
	v_and_b32_e32 v17, 0x7f800000, v17
	v_cmp_ne_u16_sdwa s[0:1], v3, s3 src0_sel:BYTE_0 src1_sel:DWORD
	v_cndmask_b32_e64 v17, v6, v17, s[0:1]
	v_cmp_ne_u16_sdwa s[0:1], v3, v8 src0_sel:BYTE_0 src1_sel:DWORD
	v_cndmask_b32_e64 v17, v7, v17, s[0:1]
	v_cmp_eq_f32_e64 s[0:1], v10, v17
	v_cndmask_b32_e32 v11, v11, v18, vcc
	v_cndmask_b32_e64 v18, 0, 1, s[0:1]
	v_cmp_neq_f32_e64 s[0:1], v10, v17
	v_cndmask_b32_e64 v17, 0, 1, s[0:1]
	v_cndmask_b32_e32 v12, v12, v19, vcc
	v_cndmask_b32_e32 v17, v17, v18, vcc
	v_lshrrev_b32_e32 v18, 8, v3
	v_lshlrev_b32_e32 v19, 15, v3
	v_and_b32_e32 v19, 0x7f800000, v19
	v_cmp_ne_u16_sdwa s[0:1], v18, s3 src0_sel:BYTE_0 src1_sel:DWORD
	v_cndmask_b32_e64 v19, v6, v19, s[0:1]
	v_cmp_ne_u16_sdwa s[0:1], v18, v8 src0_sel:BYTE_0 src1_sel:DWORD
	v_cndmask_b32_e64 v18, v7, v19, s[0:1]
	v_cmp_eq_f32_e64 s[0:1], v10, v18
	v_cndmask_b32_e64 v19, 0, 1, s[0:1]
	v_cmp_neq_f32_e64 s[0:1], v10, v18
	v_cndmask_b32_e64 v18, 0, 1, s[0:1]
	v_cndmask_b32_e32 v18, v18, v19, vcc
	v_and_b32_sdwa v19, v3, s3 dst_sel:DWORD dst_unused:UNUSED_PAD src0_sel:WORD_1 src1_sel:DWORD
	v_lshlrev_b32_e32 v20, 7, v3
	v_and_b32_e32 v20, 0x7f800000, v20
	v_cmp_ne_u16_e64 s[0:1], s3, v19
	v_cndmask_b32_e64 v20, v6, v20, s[0:1]
	v_cmp_ne_u16_e64 s[0:1], 0, v19
	v_cndmask_b32_e64 v19, v7, v20, s[0:1]
	v_cmp_eq_f32_e64 s[0:1], v10, v19
	v_cndmask_b32_e64 v20, 0, 1, s[0:1]
	v_cmp_neq_f32_e64 s[0:1], v10, v19
	v_cndmask_b32_e64 v19, 0, 1, s[0:1]
	v_cndmask_b32_e32 v19, v19, v20, vcc
	v_lshlrev_b32_sdwa v20, v9, v3 dst_sel:DWORD dst_unused:UNUSED_PAD src0_sel:DWORD src1_sel:BYTE_3
	v_cmp_ne_u32_sdwa s[0:1], v3, s3 src0_sel:BYTE_3 src1_sel:DWORD
	v_cndmask_b32_e64 v20, v6, v20, s[0:1]
	v_cmp_lt_u32_e64 s[0:1], s4, v3
	v_cndmask_b32_e64 v3, v7, v20, s[0:1]
	v_cmp_eq_f32_e64 s[0:1], v10, v3
	v_cndmask_b32_e64 v20, 0, 1, s[0:1]
	v_cmp_neq_f32_e64 s[0:1], v10, v3
	v_cndmask_b32_e64 v3, 0, 1, s[0:1]
	v_cndmask_b32_e32 v3, v3, v20, vcc
	v_lshlrev_b32_e32 v20, 23, v4
	v_and_b32_e32 v20, 0x7f800000, v20
	v_cmp_ne_u16_sdwa s[0:1], v4, s3 src0_sel:BYTE_0 src1_sel:DWORD
	v_cndmask_b32_e64 v20, v6, v20, s[0:1]
	v_cmp_ne_u16_sdwa s[0:1], v4, v8 src0_sel:BYTE_0 src1_sel:DWORD
	v_cndmask_b32_e64 v20, v7, v20, s[0:1]
	v_cmp_eq_f32_e64 s[0:1], v10, v20
	v_cndmask_b32_e32 v1, v1, v21, vcc
	v_cndmask_b32_e64 v21, 0, 1, s[0:1]
	v_cmp_neq_f32_e64 s[0:1], v10, v20
	v_cndmask_b32_e64 v20, 0, 1, s[0:1]
	v_cndmask_b32_e32 v20, v20, v21, vcc
	v_lshrrev_b32_e32 v21, 8, v4
	v_lshlrev_b32_e32 v22, 15, v4
	v_and_b32_e32 v22, 0x7f800000, v22
	v_cmp_ne_u16_sdwa s[0:1], v21, s3 src0_sel:BYTE_0 src1_sel:DWORD
	v_cndmask_b32_e64 v22, v6, v22, s[0:1]
	v_cmp_ne_u16_sdwa s[0:1], v21, v8 src0_sel:BYTE_0 src1_sel:DWORD
	v_cndmask_b32_e64 v8, v7, v22, s[0:1]
	v_cmp_eq_f32_e64 s[0:1], v10, v8
	v_cndmask_b32_e64 v21, 0, 1, s[0:1]
	v_cmp_neq_f32_e64 s[0:1], v10, v8
	v_cndmask_b32_e64 v8, 0, 1, s[0:1]
	v_cndmask_b32_e32 v8, v8, v21, vcc
	v_and_b32_sdwa v21, v4, s3 dst_sel:DWORD dst_unused:UNUSED_PAD src0_sel:WORD_1 src1_sel:DWORD
	v_lshlrev_b32_e32 v22, 7, v4
	v_and_b32_e32 v22, 0x7f800000, v22
	v_cmp_ne_u16_e64 s[0:1], s3, v21
	v_cndmask_b32_e64 v22, v6, v22, s[0:1]
	v_cmp_ne_u16_e64 s[0:1], 0, v21
	v_cndmask_b32_e64 v21, v7, v22, s[0:1]
	v_cmp_eq_f32_e64 s[0:1], v10, v21
	v_cndmask_b32_e64 v22, 0, 1, s[0:1]
	v_cmp_neq_f32_e64 s[0:1], v10, v21
	v_cndmask_b32_e64 v21, 0, 1, s[0:1]
	v_lshlrev_b32_sdwa v9, v9, v4 dst_sel:DWORD dst_unused:UNUSED_PAD src0_sel:DWORD src1_sel:BYTE_3
	v_cmp_ne_u32_sdwa s[0:1], v4, s3 src0_sel:BYTE_3 src1_sel:DWORD
	v_cndmask_b32_e64 v6, v6, v9, s[0:1]
	v_cmp_lt_u32_e64 s[0:1], s4, v4
	v_cndmask_b32_e64 v4, v7, v6, s[0:1]
	v_cmp_eq_f32_e64 s[0:1], v10, v4
	v_cndmask_b32_e64 v6, 0, 1, s[0:1]
	v_cmp_neq_f32_e64 s[0:1], v10, v4
	v_cndmask_b32_e64 v4, 0, 1, s[0:1]
	v_cndmask_b32_e32 v21, v21, v22, vcc
	v_mov_b32_e32 v22, 1
	v_cndmask_b32_e32 v4, v4, v6, vcc
	v_and_b32_sdwa v23, v1, v22 dst_sel:BYTE_1 dst_unused:UNUSED_PAD src0_sel:DWORD src1_sel:DWORD
	v_and_b32_sdwa v24, v2, v22 dst_sel:BYTE_1 dst_unused:UNUSED_PAD src0_sel:DWORD src1_sel:DWORD
	v_and_b32_e32 v1, 1, v17
	v_and_b32_sdwa v17, v18, v22 dst_sel:BYTE_1 dst_unused:UNUSED_PAD src0_sel:DWORD src1_sel:DWORD
	v_and_b32_e32 v18, 1, v19
	;; [unrolled: 2-line block ×5, first 2 shown]
	v_and_b32_e32 v16, 1, v16
	v_or_b32_e32 v2, v2, v8
	v_or_b32_sdwa v4, v19, v4 dst_sel:WORD_1 dst_unused:UNUSED_PAD src0_sel:DWORD src1_sel:DWORD
	v_or_b32_e32 v1, v1, v17
	v_or_b32_sdwa v3, v18, v3 dst_sel:WORD_1 dst_unused:UNUSED_PAD src0_sel:DWORD src1_sel:DWORD
	v_and_b32_sdwa v11, v11, v22 dst_sel:BYTE_1 dst_unused:UNUSED_PAD src0_sel:DWORD src1_sel:DWORD
	v_and_b32_e32 v12, 1, v12
	v_and_b32_sdwa v13, v13, v22 dst_sel:BYTE_1 dst_unused:UNUSED_PAD src0_sel:DWORD src1_sel:DWORD
	v_or_b32_sdwa v2, v2, v4 dst_sel:DWORD dst_unused:UNUSED_PAD src0_sel:WORD_0 src1_sel:DWORD
	v_or_b32_sdwa v1, v1, v3 dst_sel:DWORD dst_unused:UNUSED_PAD src0_sel:WORD_0 src1_sel:DWORD
	v_or_b32_e32 v3, v14, v23
	v_or_b32_sdwa v4, v16, v24 dst_sel:WORD_1 dst_unused:UNUSED_PAD src0_sel:DWORD src1_sel:DWORD
	v_or_b32_sdwa v4, v3, v4 dst_sel:DWORD dst_unused:UNUSED_PAD src0_sel:WORD_0 src1_sel:DWORD
	v_or_b32_e32 v3, v15, v11
	v_or_b32_sdwa v6, v12, v13 dst_sel:WORD_1 dst_unused:UNUSED_PAD src0_sel:DWORD src1_sel:DWORD
	s_add_u32 s0, s12, s11
	v_or_b32_sdwa v3, v3, v6 dst_sel:DWORD dst_unused:UNUSED_PAD src0_sel:WORD_0 src1_sel:DWORD
	s_addc_u32 s1, s13, s2
	global_store_dwordx2 v5, v[3:4], s[0:1]
	global_store_dwordx2 v5, v[1:2], s[0:1] offset:2048
	s_mov_b64 s[0:1], 0
.LBB318_2:
	s_andn2_b64 vcc, exec, s[0:1]
	s_cbranch_vccnz .LBB318_83
; %bb.3:
	v_cmp_gt_i32_e32 vcc, s8, v0
	v_mov_b32_e32 v3, 0
	v_or_b32_e32 v4, s11, v0
	v_mov_b32_e32 v5, 0
	v_mov_b32_e32 v6, 0
	;; [unrolled: 1-line block ×16, first 2 shown]
	s_and_saveexec_b64 s[2:3], vcc
	s_cbranch_execz .LBB318_35
; %bb.4:
	global_load_ubyte v22, v4, s[14:15]
	v_or_b32_e32 v1, 0x100, v0
	v_cmp_gt_u32_e64 s[0:1], s8, v1
	v_mov_b32_e32 v20, 0
	v_mov_b32_e32 v19, 0
	;; [unrolled: 1-line block ×15, first 2 shown]
	s_and_saveexec_b64 s[4:5], s[0:1]
	s_cbranch_execz .LBB318_34
; %bb.5:
	v_add_u32_e32 v1, s11, v0
	global_load_ubyte v20, v1, s[14:15] offset:256
	v_or_b32_e32 v2, 0x200, v0
	v_mov_b32_e32 v19, 0
	v_cmp_gt_u32_e64 s[0:1], s8, v2
	v_mov_b32_e32 v18, 0
	v_mov_b32_e32 v17, 0
	v_mov_b32_e32 v15, 0
	v_mov_b32_e32 v14, 0
	v_mov_b32_e32 v13, 0
	v_mov_b32_e32 v12, 0
	v_mov_b32_e32 v11, 0
	v_mov_b32_e32 v10, 0
	v_mov_b32_e32 v9, 0
	v_mov_b32_e32 v8, 0
	v_mov_b32_e32 v7, 0
	v_mov_b32_e32 v6, 0
	v_mov_b32_e32 v5, 0
	s_and_saveexec_b64 s[6:7], s[0:1]
	s_cbranch_execz .LBB318_33
; %bb.6:
	v_mov_b32_e32 v2, s15
	v_add_co_u32_e64 v1, s[0:1], s14, v1
	v_addc_co_u32_e64 v2, s[0:1], 0, v2, s[0:1]
	global_load_ubyte v19, v[1:2], off offset:512
	v_or_b32_e32 v5, 0x300, v0
	v_cmp_gt_u32_e64 s[0:1], s8, v5
	v_mov_b32_e32 v18, 0
	v_mov_b32_e32 v17, 0
	;; [unrolled: 1-line block ×13, first 2 shown]
	s_and_saveexec_b64 s[14:15], s[0:1]
	s_cbranch_execz .LBB318_32
; %bb.7:
	global_load_ubyte v18, v[1:2], off offset:768
	v_or_b32_e32 v5, 0x400, v0
	v_cmp_gt_u32_e64 s[0:1], s8, v5
	v_mov_b32_e32 v17, 0
	v_mov_b32_e32 v15, 0
	;; [unrolled: 1-line block ×12, first 2 shown]
	s_and_saveexec_b64 s[16:17], s[0:1]
	s_cbranch_execz .LBB318_31
; %bb.8:
	global_load_ubyte v17, v[1:2], off offset:1024
	v_or_b32_e32 v5, 0x500, v0
	v_cmp_gt_u32_e64 s[0:1], s8, v5
	v_mov_b32_e32 v15, 0
	v_mov_b32_e32 v14, 0
	;; [unrolled: 1-line block ×11, first 2 shown]
	s_and_saveexec_b64 s[18:19], s[0:1]
	s_cbranch_execz .LBB318_30
; %bb.9:
	global_load_ubyte v15, v[1:2], off offset:1280
	v_or_b32_e32 v5, 0x600, v0
	v_cmp_gt_u32_e64 s[0:1], s8, v5
	v_mov_b32_e32 v14, 0
	v_mov_b32_e32 v13, 0
	;; [unrolled: 1-line block ×10, first 2 shown]
	s_and_saveexec_b64 s[20:21], s[0:1]
	s_cbranch_execz .LBB318_29
; %bb.10:
	global_load_ubyte v14, v[1:2], off offset:1536
	v_or_b32_e32 v5, 0x700, v0
	v_cmp_gt_u32_e64 s[0:1], s8, v5
	v_mov_b32_e32 v13, 0
	v_mov_b32_e32 v12, 0
	v_mov_b32_e32 v11, 0
	v_mov_b32_e32 v10, 0
	v_mov_b32_e32 v9, 0
	v_mov_b32_e32 v8, 0
	v_mov_b32_e32 v7, 0
	v_mov_b32_e32 v6, 0
	v_mov_b32_e32 v5, 0
	s_and_saveexec_b64 s[22:23], s[0:1]
	s_cbranch_execz .LBB318_28
; %bb.11:
	global_load_ubyte v13, v[1:2], off offset:1792
	v_or_b32_e32 v5, 0x800, v0
	v_cmp_gt_u32_e64 s[0:1], s8, v5
	v_mov_b32_e32 v12, 0
	v_mov_b32_e32 v11, 0
	;; [unrolled: 1-line block ×8, first 2 shown]
	s_and_saveexec_b64 s[24:25], s[0:1]
	s_cbranch_execz .LBB318_27
; %bb.12:
	global_load_ubyte v12, v[1:2], off offset:2048
	v_or_b32_e32 v5, 0x900, v0
	v_cmp_gt_u32_e64 s[0:1], s8, v5
	v_mov_b32_e32 v11, 0
	v_mov_b32_e32 v10, 0
	;; [unrolled: 1-line block ×7, first 2 shown]
	s_and_saveexec_b64 s[26:27], s[0:1]
	s_cbranch_execz .LBB318_26
; %bb.13:
	global_load_ubyte v11, v[1:2], off offset:2304
	v_or_b32_e32 v5, 0xa00, v0
	v_cmp_gt_u32_e64 s[0:1], s8, v5
	v_mov_b32_e32 v10, 0
	v_mov_b32_e32 v9, 0
	;; [unrolled: 1-line block ×6, first 2 shown]
	s_and_saveexec_b64 s[28:29], s[0:1]
	s_cbranch_execz .LBB318_25
; %bb.14:
	global_load_ubyte v10, v[1:2], off offset:2560
	v_or_b32_e32 v5, 0xb00, v0
	v_cmp_gt_u32_e64 s[0:1], s8, v5
	v_mov_b32_e32 v9, 0
	v_mov_b32_e32 v8, 0
	;; [unrolled: 1-line block ×5, first 2 shown]
	s_and_saveexec_b64 s[30:31], s[0:1]
	s_cbranch_execz .LBB318_24
; %bb.15:
	global_load_ubyte v9, v[1:2], off offset:2816
	v_or_b32_e32 v5, 0xc00, v0
	v_cmp_gt_u32_e64 s[0:1], s8, v5
	v_mov_b32_e32 v8, 0
	v_mov_b32_e32 v7, 0
	v_mov_b32_e32 v6, 0
	v_mov_b32_e32 v5, 0
	s_and_saveexec_b64 s[34:35], s[0:1]
	s_cbranch_execz .LBB318_23
; %bb.16:
	global_load_ubyte v8, v[1:2], off offset:3072
	v_or_b32_e32 v5, 0xd00, v0
	v_cmp_gt_u32_e64 s[0:1], s8, v5
	v_mov_b32_e32 v7, 0
	v_mov_b32_e32 v6, 0
	;; [unrolled: 1-line block ×3, first 2 shown]
	s_and_saveexec_b64 s[36:37], s[0:1]
	s_cbranch_execz .LBB318_22
; %bb.17:
	global_load_ubyte v7, v[1:2], off offset:3328
	v_or_b32_e32 v5, 0xe00, v0
	v_cmp_gt_u32_e64 s[0:1], s8, v5
	v_mov_b32_e32 v6, 0
	v_mov_b32_e32 v5, 0
	s_and_saveexec_b64 s[38:39], s[0:1]
	s_cbranch_execz .LBB318_21
; %bb.18:
	global_load_ubyte v6, v[1:2], off offset:3584
	v_or_b32_e32 v5, 0xf00, v0
	v_cmp_gt_u32_e64 s[0:1], s8, v5
	v_mov_b32_e32 v5, 0
	s_and_saveexec_b64 s[40:41], s[0:1]
	s_cbranch_execz .LBB318_20
; %bb.19:
	global_load_ubyte v5, v[1:2], off offset:3840
.LBB318_20:
	s_or_b64 exec, exec, s[40:41]
.LBB318_21:
	s_or_b64 exec, exec, s[38:39]
.LBB318_22:
	s_or_b64 exec, exec, s[36:37]
.LBB318_23:
	s_or_b64 exec, exec, s[34:35]
.LBB318_24:
	s_or_b64 exec, exec, s[30:31]
.LBB318_25:
	s_or_b64 exec, exec, s[28:29]
.LBB318_26:
	s_or_b64 exec, exec, s[26:27]
.LBB318_27:
	s_or_b64 exec, exec, s[24:25]
.LBB318_28:
	s_or_b64 exec, exec, s[22:23]
.LBB318_29:
	s_or_b64 exec, exec, s[20:21]
.LBB318_30:
	s_or_b64 exec, exec, s[18:19]
.LBB318_31:
	s_or_b64 exec, exec, s[16:17]
.LBB318_32:
	s_or_b64 exec, exec, s[14:15]
.LBB318_33:
	s_or_b64 exec, exec, s[6:7]
.LBB318_34:
	s_or_b64 exec, exec, s[4:5]
.LBB318_35:
	s_or_b64 exec, exec, s[2:3]
	s_cmp_eq_u32 s9, 0
	s_cselect_b64 s[0:1], -1, 0
	s_lshl_b32 s2, s10, 23
	s_and_b32 s4, s10, 0xff
	s_and_b32 s2, s2, 0x7f800000
	s_cmpk_lg_i32 s4, 0xff
	v_mov_b32_e32 v23, 0x7f800001
	v_mov_b32_e32 v1, s2
	s_cselect_b64 s[2:3], -1, 0
	s_cmp_lg_u32 s4, 0
	v_cndmask_b32_e64 v1, v23, v1, s[2:3]
	v_mov_b32_e32 v24, 0x400000
	s_cselect_b64 s[2:3], -1, 0
	s_movk_i32 s6, 0xff
	v_cndmask_b32_e64 v21, v24, v1, s[2:3]
	v_mov_b32_e32 v16, v3
	v_mov_b32_e32 v2, v3
	;; [unrolled: 1-line block ×3, first 2 shown]
	s_and_saveexec_b64 s[4:5], vcc
	s_cbranch_execz .LBB318_37
; %bb.36:
	v_mov_b32_e32 v1, 23
	s_waitcnt vmcnt(0)
	v_lshlrev_b32_sdwa v1, v1, v22 dst_sel:DWORD dst_unused:UNUSED_PAD src0_sel:DWORD src1_sel:BYTE_0
	v_cmp_ne_u16_sdwa s[2:3], v22, s6 src0_sel:BYTE_0 src1_sel:DWORD
	v_mov_b32_e32 v16, 0
	v_cndmask_b32_e64 v1, v23, v1, s[2:3]
	v_cmp_ne_u16_sdwa s[2:3], v22, v16 src0_sel:BYTE_0 src1_sel:DWORD
	v_cndmask_b32_e64 v1, v24, v1, s[2:3]
	v_cmp_eq_f32_e64 s[2:3], v21, v1
	v_cndmask_b32_e64 v2, 0, 1, s[2:3]
	v_cmp_neq_f32_e64 s[2:3], v21, v1
	v_cndmask_b32_e64 v1, 0, 1, s[2:3]
	v_cndmask_b32_e64 v1, v1, v2, s[0:1]
	v_and_b32_e32 v1, 1, v1
	v_and_b32_e32 v3, 0xffff, v1
	v_mov_b32_e32 v2, v16
	v_mov_b32_e32 v1, v16
.LBB318_37:
	s_or_b64 exec, exec, s[4:5]
	s_waitcnt vmcnt(0)
	v_or_b32_e32 v22, 0x100, v0
	v_cmp_gt_i32_e64 s[2:3], s8, v22
	s_and_saveexec_b64 s[4:5], s[2:3]
	s_cbranch_execz .LBB318_39
; %bb.38:
	s_movk_i32 s2, 0xff
	v_mov_b32_e32 v23, 23
	v_lshlrev_b32_sdwa v23, v23, v20 dst_sel:DWORD dst_unused:UNUSED_PAD src0_sel:DWORD src1_sel:BYTE_0
	v_mov_b32_e32 v24, 0x7f800001
	v_cmp_ne_u16_sdwa s[2:3], v20, s2 src0_sel:BYTE_0 src1_sel:DWORD
	v_cndmask_b32_e64 v23, v24, v23, s[2:3]
	v_mov_b32_e32 v24, 0
	v_mov_b32_e32 v25, 0x400000
	v_cmp_ne_u16_sdwa s[2:3], v20, v24 src0_sel:BYTE_0 src1_sel:DWORD
	v_cndmask_b32_e64 v20, v25, v23, s[2:3]
	v_cmp_eq_f32_e64 s[2:3], v21, v20
	v_cndmask_b32_e64 v23, 0, 1, s[2:3]
	v_cmp_neq_f32_e64 s[2:3], v21, v20
	v_cndmask_b32_e64 v20, 0, 1, s[2:3]
	v_cndmask_b32_e64 v20, v20, v23, s[0:1]
	v_mov_b32_e32 v23, 1
	v_and_b32_sdwa v20, v20, v23 dst_sel:BYTE_1 dst_unused:UNUSED_PAD src0_sel:DWORD src1_sel:DWORD
	v_or_b32_sdwa v20, v3, v20 dst_sel:DWORD dst_unused:UNUSED_PAD src0_sel:BYTE_0 src1_sel:DWORD
	v_and_b32_e32 v20, 0xffff, v20
	s_mov_b32 s2, 0xffff0000
	v_and_or_b32 v3, v3, s2, v20
.LBB318_39:
	s_or_b64 exec, exec, s[4:5]
	v_or_b32_e32 v20, 0x200, v0
	v_cmp_gt_i32_e64 s[2:3], s8, v20
	s_and_saveexec_b64 s[4:5], s[2:3]
	s_cbranch_execz .LBB318_41
; %bb.40:
	s_movk_i32 s2, 0xff00
	v_and_b32_sdwa v20, v3, s2 dst_sel:DWORD dst_unused:UNUSED_PAD src0_sel:WORD_1 src1_sel:DWORD
	s_movk_i32 s2, 0xff
	v_mov_b32_e32 v23, 23
	v_lshlrev_b32_sdwa v23, v23, v19 dst_sel:DWORD dst_unused:UNUSED_PAD src0_sel:DWORD src1_sel:BYTE_0
	v_mov_b32_e32 v24, 0x7f800001
	v_cmp_ne_u16_sdwa s[2:3], v19, s2 src0_sel:BYTE_0 src1_sel:DWORD
	v_cndmask_b32_e64 v23, v24, v23, s[2:3]
	v_mov_b32_e32 v24, 0
	v_mov_b32_e32 v25, 0x400000
	v_cmp_ne_u16_sdwa s[2:3], v19, v24 src0_sel:BYTE_0 src1_sel:DWORD
	v_cndmask_b32_e64 v19, v25, v23, s[2:3]
	v_cmp_eq_f32_e64 s[2:3], v21, v19
	v_cndmask_b32_e64 v23, 0, 1, s[2:3]
	v_cmp_neq_f32_e64 s[2:3], v21, v19
	v_cndmask_b32_e64 v19, 0, 1, s[2:3]
	v_cndmask_b32_e64 v19, v19, v23, s[0:1]
	v_and_b32_e32 v19, 1, v19
	v_or_b32_sdwa v19, v19, v20 dst_sel:WORD_1 dst_unused:UNUSED_PAD src0_sel:DWORD src1_sel:DWORD
	s_mov_b32 s2, 0xffff
	v_and_or_b32 v3, v3, s2, v19
.LBB318_41:
	s_or_b64 exec, exec, s[4:5]
	v_or_b32_e32 v19, 0x300, v0
	v_cmp_gt_i32_e64 s[2:3], s8, v19
	s_and_saveexec_b64 s[4:5], s[2:3]
	s_cbranch_execz .LBB318_43
; %bb.42:
	s_movk_i32 s2, 0xff
	v_mov_b32_e32 v20, 23
	v_and_b32_sdwa v19, v3, s2 dst_sel:DWORD dst_unused:UNUSED_PAD src0_sel:WORD_1 src1_sel:DWORD
	v_lshlrev_b32_sdwa v20, v20, v18 dst_sel:DWORD dst_unused:UNUSED_PAD src0_sel:DWORD src1_sel:BYTE_0
	v_mov_b32_e32 v23, 0x7f800001
	v_cmp_ne_u16_sdwa s[2:3], v18, s2 src0_sel:BYTE_0 src1_sel:DWORD
	v_cndmask_b32_e64 v20, v23, v20, s[2:3]
	v_mov_b32_e32 v23, 0
	v_mov_b32_e32 v24, 0x400000
	v_cmp_ne_u16_sdwa s[2:3], v18, v23 src0_sel:BYTE_0 src1_sel:DWORD
	v_cndmask_b32_e64 v18, v24, v20, s[2:3]
	v_cmp_eq_f32_e64 s[2:3], v21, v18
	v_cndmask_b32_e64 v20, 0, 1, s[2:3]
	v_cmp_neq_f32_e64 s[2:3], v21, v18
	v_cndmask_b32_e64 v18, 0, 1, s[2:3]
	v_cndmask_b32_e64 v18, v18, v20, s[0:1]
	v_mov_b32_e32 v20, 1
	v_and_b32_sdwa v18, v18, v20 dst_sel:BYTE_1 dst_unused:UNUSED_PAD src0_sel:DWORD src1_sel:DWORD
	v_or_b32_sdwa v18, v19, v18 dst_sel:WORD_1 dst_unused:UNUSED_PAD src0_sel:DWORD src1_sel:DWORD
	s_mov_b32 s2, 0xffff
	v_and_or_b32 v3, v3, s2, v18
.LBB318_43:
	s_or_b64 exec, exec, s[4:5]
	v_or_b32_e32 v18, 0x400, v0
	v_cmp_gt_i32_e64 s[2:3], s8, v18
	s_and_saveexec_b64 s[4:5], s[2:3]
	s_cbranch_execz .LBB318_45
; %bb.44:
	s_movk_i32 s2, 0xff
	v_mov_b32_e32 v19, 23
	v_lshlrev_b32_sdwa v19, v19, v17 dst_sel:DWORD dst_unused:UNUSED_PAD src0_sel:DWORD src1_sel:BYTE_0
	v_mov_b32_e32 v20, 0x7f800001
	v_cmp_ne_u16_sdwa s[2:3], v17, s2 src0_sel:BYTE_0 src1_sel:DWORD
	v_cndmask_b32_e64 v19, v20, v19, s[2:3]
	v_mov_b32_e32 v20, 0
	v_mov_b32_e32 v23, 0x400000
	v_cmp_ne_u16_sdwa s[2:3], v17, v20 src0_sel:BYTE_0 src1_sel:DWORD
	v_cndmask_b32_e64 v17, v23, v19, s[2:3]
	v_cmp_eq_f32_e64 s[2:3], v21, v17
	v_cndmask_b32_e64 v19, 0, 1, s[2:3]
	v_cmp_neq_f32_e64 s[2:3], v21, v17
	v_cndmask_b32_e64 v17, 0, 1, s[2:3]
	v_cndmask_b32_e64 v17, v17, v19, s[0:1]
	v_and_b32_e32 v18, 0xffffff00, v16
	v_and_b32_e32 v17, 1, v17
	v_or_b32_e32 v17, v17, v18
	v_and_b32_e32 v17, 0xffff, v17
	s_mov_b32 s2, 0xffff0000
	v_and_or_b32 v16, v16, s2, v17
.LBB318_45:
	s_or_b64 exec, exec, s[4:5]
	v_or_b32_e32 v17, 0x500, v0
	v_cmp_gt_i32_e64 s[2:3], s8, v17
	s_and_saveexec_b64 s[4:5], s[2:3]
	s_cbranch_execz .LBB318_47
; %bb.46:
	s_movk_i32 s2, 0xff
	v_mov_b32_e32 v17, 23
	v_lshlrev_b32_sdwa v17, v17, v15 dst_sel:DWORD dst_unused:UNUSED_PAD src0_sel:DWORD src1_sel:BYTE_0
	v_mov_b32_e32 v18, 0x7f800001
	v_cmp_ne_u16_sdwa s[2:3], v15, s2 src0_sel:BYTE_0 src1_sel:DWORD
	v_cndmask_b32_e64 v17, v18, v17, s[2:3]
	v_mov_b32_e32 v18, 0
	v_mov_b32_e32 v19, 0x400000
	v_cmp_ne_u16_sdwa s[2:3], v15, v18 src0_sel:BYTE_0 src1_sel:DWORD
	v_cndmask_b32_e64 v15, v19, v17, s[2:3]
	v_cmp_eq_f32_e64 s[2:3], v21, v15
	v_cndmask_b32_e64 v17, 0, 1, s[2:3]
	v_cmp_neq_f32_e64 s[2:3], v21, v15
	v_cndmask_b32_e64 v15, 0, 1, s[2:3]
	v_cndmask_b32_e64 v15, v15, v17, s[0:1]
	v_mov_b32_e32 v17, 1
	v_and_b32_sdwa v15, v15, v17 dst_sel:BYTE_1 dst_unused:UNUSED_PAD src0_sel:DWORD src1_sel:DWORD
	v_or_b32_sdwa v15, v16, v15 dst_sel:DWORD dst_unused:UNUSED_PAD src0_sel:BYTE_0 src1_sel:DWORD
	v_and_b32_e32 v15, 0xffff, v15
	s_mov_b32 s2, 0xffff0000
	v_and_or_b32 v16, v16, s2, v15
.LBB318_47:
	s_or_b64 exec, exec, s[4:5]
	v_or_b32_e32 v15, 0x600, v0
	v_cmp_gt_i32_e64 s[2:3], s8, v15
	s_and_saveexec_b64 s[4:5], s[2:3]
	s_cbranch_execz .LBB318_49
; %bb.48:
	s_movk_i32 s2, 0xff00
	v_and_b32_sdwa v15, v16, s2 dst_sel:DWORD dst_unused:UNUSED_PAD src0_sel:WORD_1 src1_sel:DWORD
	s_movk_i32 s2, 0xff
	v_mov_b32_e32 v17, 23
	v_lshlrev_b32_sdwa v17, v17, v14 dst_sel:DWORD dst_unused:UNUSED_PAD src0_sel:DWORD src1_sel:BYTE_0
	v_mov_b32_e32 v18, 0x7f800001
	v_cmp_ne_u16_sdwa s[2:3], v14, s2 src0_sel:BYTE_0 src1_sel:DWORD
	v_cndmask_b32_e64 v17, v18, v17, s[2:3]
	v_mov_b32_e32 v18, 0
	v_mov_b32_e32 v19, 0x400000
	v_cmp_ne_u16_sdwa s[2:3], v14, v18 src0_sel:BYTE_0 src1_sel:DWORD
	v_cndmask_b32_e64 v14, v19, v17, s[2:3]
	v_cmp_eq_f32_e64 s[2:3], v21, v14
	v_cndmask_b32_e64 v17, 0, 1, s[2:3]
	v_cmp_neq_f32_e64 s[2:3], v21, v14
	v_cndmask_b32_e64 v14, 0, 1, s[2:3]
	v_cndmask_b32_e64 v14, v14, v17, s[0:1]
	v_and_b32_e32 v14, 1, v14
	v_or_b32_sdwa v14, v14, v15 dst_sel:WORD_1 dst_unused:UNUSED_PAD src0_sel:DWORD src1_sel:DWORD
	s_mov_b32 s2, 0xffff
	v_and_or_b32 v16, v16, s2, v14
.LBB318_49:
	s_or_b64 exec, exec, s[4:5]
	v_or_b32_e32 v14, 0x700, v0
	v_cmp_gt_i32_e64 s[2:3], s8, v14
	s_and_saveexec_b64 s[4:5], s[2:3]
	s_cbranch_execz .LBB318_51
; %bb.50:
	s_movk_i32 s2, 0xff
	v_mov_b32_e32 v15, 23
	v_and_b32_sdwa v14, v16, s2 dst_sel:DWORD dst_unused:UNUSED_PAD src0_sel:WORD_1 src1_sel:DWORD
	v_lshlrev_b32_sdwa v15, v15, v13 dst_sel:DWORD dst_unused:UNUSED_PAD src0_sel:DWORD src1_sel:BYTE_0
	v_mov_b32_e32 v17, 0x7f800001
	v_cmp_ne_u16_sdwa s[2:3], v13, s2 src0_sel:BYTE_0 src1_sel:DWORD
	v_cndmask_b32_e64 v15, v17, v15, s[2:3]
	v_mov_b32_e32 v17, 0
	v_mov_b32_e32 v18, 0x400000
	v_cmp_ne_u16_sdwa s[2:3], v13, v17 src0_sel:BYTE_0 src1_sel:DWORD
	v_cndmask_b32_e64 v13, v18, v15, s[2:3]
	v_cmp_eq_f32_e64 s[2:3], v21, v13
	v_cndmask_b32_e64 v15, 0, 1, s[2:3]
	v_cmp_neq_f32_e64 s[2:3], v21, v13
	v_cndmask_b32_e64 v13, 0, 1, s[2:3]
	v_cndmask_b32_e64 v13, v13, v15, s[0:1]
	v_mov_b32_e32 v15, 1
	v_and_b32_sdwa v13, v13, v15 dst_sel:BYTE_1 dst_unused:UNUSED_PAD src0_sel:DWORD src1_sel:DWORD
	v_or_b32_sdwa v13, v14, v13 dst_sel:WORD_1 dst_unused:UNUSED_PAD src0_sel:DWORD src1_sel:DWORD
	s_mov_b32 s2, 0xffff
	v_and_or_b32 v16, v16, s2, v13
.LBB318_51:
	s_or_b64 exec, exec, s[4:5]
	v_or_b32_e32 v13, 0x800, v0
	v_cmp_gt_i32_e64 s[2:3], s8, v13
	s_and_saveexec_b64 s[4:5], s[2:3]
	s_cbranch_execz .LBB318_53
; %bb.52:
	s_movk_i32 s2, 0xff
	v_mov_b32_e32 v14, 23
	v_lshlrev_b32_sdwa v14, v14, v12 dst_sel:DWORD dst_unused:UNUSED_PAD src0_sel:DWORD src1_sel:BYTE_0
	v_mov_b32_e32 v15, 0x7f800001
	v_cmp_ne_u16_sdwa s[2:3], v12, s2 src0_sel:BYTE_0 src1_sel:DWORD
	v_cndmask_b32_e64 v14, v15, v14, s[2:3]
	v_mov_b32_e32 v15, 0
	v_mov_b32_e32 v17, 0x400000
	v_cmp_ne_u16_sdwa s[2:3], v12, v15 src0_sel:BYTE_0 src1_sel:DWORD
	v_cndmask_b32_e64 v12, v17, v14, s[2:3]
	v_cmp_eq_f32_e64 s[2:3], v21, v12
	v_cndmask_b32_e64 v14, 0, 1, s[2:3]
	v_cmp_neq_f32_e64 s[2:3], v21, v12
	v_cndmask_b32_e64 v12, 0, 1, s[2:3]
	v_cndmask_b32_e64 v12, v12, v14, s[0:1]
	v_and_b32_e32 v13, 0xffffff00, v2
	v_and_b32_e32 v12, 1, v12
	v_or_b32_e32 v12, v12, v13
	v_and_b32_e32 v12, 0xffff, v12
	s_mov_b32 s2, 0xffff0000
	v_and_or_b32 v2, v2, s2, v12
.LBB318_53:
	s_or_b64 exec, exec, s[4:5]
	v_or_b32_e32 v12, 0x900, v0
	v_cmp_gt_i32_e64 s[2:3], s8, v12
	s_and_saveexec_b64 s[4:5], s[2:3]
	s_cbranch_execz .LBB318_55
; %bb.54:
	s_movk_i32 s2, 0xff
	v_mov_b32_e32 v12, 23
	v_lshlrev_b32_sdwa v12, v12, v11 dst_sel:DWORD dst_unused:UNUSED_PAD src0_sel:DWORD src1_sel:BYTE_0
	v_mov_b32_e32 v13, 0x7f800001
	v_cmp_ne_u16_sdwa s[2:3], v11, s2 src0_sel:BYTE_0 src1_sel:DWORD
	v_cndmask_b32_e64 v12, v13, v12, s[2:3]
	v_mov_b32_e32 v13, 0
	v_mov_b32_e32 v14, 0x400000
	v_cmp_ne_u16_sdwa s[2:3], v11, v13 src0_sel:BYTE_0 src1_sel:DWORD
	v_cndmask_b32_e64 v11, v14, v12, s[2:3]
	v_cmp_eq_f32_e64 s[2:3], v21, v11
	v_cndmask_b32_e64 v12, 0, 1, s[2:3]
	v_cmp_neq_f32_e64 s[2:3], v21, v11
	v_cndmask_b32_e64 v11, 0, 1, s[2:3]
	v_cndmask_b32_e64 v11, v11, v12, s[0:1]
	v_mov_b32_e32 v12, 1
	v_and_b32_sdwa v11, v11, v12 dst_sel:BYTE_1 dst_unused:UNUSED_PAD src0_sel:DWORD src1_sel:DWORD
	v_or_b32_sdwa v11, v2, v11 dst_sel:DWORD dst_unused:UNUSED_PAD src0_sel:BYTE_0 src1_sel:DWORD
	v_and_b32_e32 v11, 0xffff, v11
	s_mov_b32 s2, 0xffff0000
	v_and_or_b32 v2, v2, s2, v11
.LBB318_55:
	s_or_b64 exec, exec, s[4:5]
	v_or_b32_e32 v11, 0xa00, v0
	v_cmp_gt_i32_e64 s[2:3], s8, v11
	s_and_saveexec_b64 s[4:5], s[2:3]
	s_cbranch_execz .LBB318_57
; %bb.56:
	s_movk_i32 s2, 0xff00
	v_and_b32_sdwa v11, v2, s2 dst_sel:DWORD dst_unused:UNUSED_PAD src0_sel:WORD_1 src1_sel:DWORD
	s_movk_i32 s2, 0xff
	v_mov_b32_e32 v12, 23
	v_lshlrev_b32_sdwa v12, v12, v10 dst_sel:DWORD dst_unused:UNUSED_PAD src0_sel:DWORD src1_sel:BYTE_0
	v_mov_b32_e32 v13, 0x7f800001
	v_cmp_ne_u16_sdwa s[2:3], v10, s2 src0_sel:BYTE_0 src1_sel:DWORD
	v_cndmask_b32_e64 v12, v13, v12, s[2:3]
	v_mov_b32_e32 v13, 0
	v_mov_b32_e32 v14, 0x400000
	v_cmp_ne_u16_sdwa s[2:3], v10, v13 src0_sel:BYTE_0 src1_sel:DWORD
	v_cndmask_b32_e64 v10, v14, v12, s[2:3]
	v_cmp_eq_f32_e64 s[2:3], v21, v10
	v_cndmask_b32_e64 v12, 0, 1, s[2:3]
	v_cmp_neq_f32_e64 s[2:3], v21, v10
	v_cndmask_b32_e64 v10, 0, 1, s[2:3]
	v_cndmask_b32_e64 v10, v10, v12, s[0:1]
	v_and_b32_e32 v10, 1, v10
	v_or_b32_sdwa v10, v10, v11 dst_sel:WORD_1 dst_unused:UNUSED_PAD src0_sel:DWORD src1_sel:DWORD
	s_mov_b32 s2, 0xffff
	v_and_or_b32 v2, v2, s2, v10
.LBB318_57:
	s_or_b64 exec, exec, s[4:5]
	v_or_b32_e32 v10, 0xb00, v0
	v_cmp_gt_i32_e64 s[2:3], s8, v10
	s_and_saveexec_b64 s[4:5], s[2:3]
	s_cbranch_execz .LBB318_59
; %bb.58:
	s_movk_i32 s2, 0xff
	v_mov_b32_e32 v11, 23
	v_and_b32_sdwa v10, v2, s2 dst_sel:DWORD dst_unused:UNUSED_PAD src0_sel:WORD_1 src1_sel:DWORD
	v_lshlrev_b32_sdwa v11, v11, v9 dst_sel:DWORD dst_unused:UNUSED_PAD src0_sel:DWORD src1_sel:BYTE_0
	v_mov_b32_e32 v12, 0x7f800001
	v_cmp_ne_u16_sdwa s[2:3], v9, s2 src0_sel:BYTE_0 src1_sel:DWORD
	v_cndmask_b32_e64 v11, v12, v11, s[2:3]
	v_mov_b32_e32 v12, 0
	v_mov_b32_e32 v13, 0x400000
	v_cmp_ne_u16_sdwa s[2:3], v9, v12 src0_sel:BYTE_0 src1_sel:DWORD
	v_cndmask_b32_e64 v9, v13, v11, s[2:3]
	v_cmp_eq_f32_e64 s[2:3], v21, v9
	v_cndmask_b32_e64 v11, 0, 1, s[2:3]
	v_cmp_neq_f32_e64 s[2:3], v21, v9
	v_cndmask_b32_e64 v9, 0, 1, s[2:3]
	v_cndmask_b32_e64 v9, v9, v11, s[0:1]
	v_mov_b32_e32 v11, 1
	v_and_b32_sdwa v9, v9, v11 dst_sel:BYTE_1 dst_unused:UNUSED_PAD src0_sel:DWORD src1_sel:DWORD
	v_or_b32_sdwa v9, v10, v9 dst_sel:WORD_1 dst_unused:UNUSED_PAD src0_sel:DWORD src1_sel:DWORD
	s_mov_b32 s2, 0xffff
	v_and_or_b32 v2, v2, s2, v9
.LBB318_59:
	s_or_b64 exec, exec, s[4:5]
	v_or_b32_e32 v9, 0xc00, v0
	v_cmp_gt_i32_e64 s[2:3], s8, v9
	s_and_saveexec_b64 s[4:5], s[2:3]
	s_cbranch_execz .LBB318_61
; %bb.60:
	s_movk_i32 s2, 0xff
	v_mov_b32_e32 v10, 23
	v_lshlrev_b32_sdwa v10, v10, v8 dst_sel:DWORD dst_unused:UNUSED_PAD src0_sel:DWORD src1_sel:BYTE_0
	v_mov_b32_e32 v11, 0x7f800001
	v_cmp_ne_u16_sdwa s[2:3], v8, s2 src0_sel:BYTE_0 src1_sel:DWORD
	v_cndmask_b32_e64 v10, v11, v10, s[2:3]
	v_mov_b32_e32 v11, 0
	v_mov_b32_e32 v12, 0x400000
	v_cmp_ne_u16_sdwa s[2:3], v8, v11 src0_sel:BYTE_0 src1_sel:DWORD
	v_cndmask_b32_e64 v8, v12, v10, s[2:3]
	v_cmp_eq_f32_e64 s[2:3], v21, v8
	v_cndmask_b32_e64 v10, 0, 1, s[2:3]
	v_cmp_neq_f32_e64 s[2:3], v21, v8
	v_cndmask_b32_e64 v8, 0, 1, s[2:3]
	v_cndmask_b32_e64 v8, v8, v10, s[0:1]
	v_and_b32_e32 v9, 0xffffff00, v1
	v_and_b32_e32 v8, 1, v8
	v_or_b32_e32 v8, v8, v9
	v_and_b32_e32 v8, 0xffff, v8
	s_mov_b32 s2, 0xffff0000
	v_and_or_b32 v1, v1, s2, v8
.LBB318_61:
	s_or_b64 exec, exec, s[4:5]
	v_or_b32_e32 v8, 0xd00, v0
	v_cmp_gt_i32_e64 s[2:3], s8, v8
	s_and_saveexec_b64 s[4:5], s[2:3]
	s_cbranch_execz .LBB318_63
; %bb.62:
	s_movk_i32 s2, 0xff
	v_mov_b32_e32 v8, 23
	v_lshlrev_b32_sdwa v8, v8, v7 dst_sel:DWORD dst_unused:UNUSED_PAD src0_sel:DWORD src1_sel:BYTE_0
	v_mov_b32_e32 v9, 0x7f800001
	v_cmp_ne_u16_sdwa s[2:3], v7, s2 src0_sel:BYTE_0 src1_sel:DWORD
	v_cndmask_b32_e64 v8, v9, v8, s[2:3]
	v_mov_b32_e32 v9, 0
	v_mov_b32_e32 v10, 0x400000
	v_cmp_ne_u16_sdwa s[2:3], v7, v9 src0_sel:BYTE_0 src1_sel:DWORD
	v_cndmask_b32_e64 v7, v10, v8, s[2:3]
	v_cmp_eq_f32_e64 s[2:3], v21, v7
	v_cndmask_b32_e64 v8, 0, 1, s[2:3]
	v_cmp_neq_f32_e64 s[2:3], v21, v7
	v_cndmask_b32_e64 v7, 0, 1, s[2:3]
	v_cndmask_b32_e64 v7, v7, v8, s[0:1]
	v_mov_b32_e32 v8, 1
	v_and_b32_sdwa v7, v7, v8 dst_sel:BYTE_1 dst_unused:UNUSED_PAD src0_sel:DWORD src1_sel:DWORD
	v_or_b32_sdwa v7, v1, v7 dst_sel:DWORD dst_unused:UNUSED_PAD src0_sel:BYTE_0 src1_sel:DWORD
	v_and_b32_e32 v7, 0xffff, v7
	s_mov_b32 s2, 0xffff0000
	v_and_or_b32 v1, v1, s2, v7
.LBB318_63:
	s_or_b64 exec, exec, s[4:5]
	v_or_b32_e32 v7, 0xe00, v0
	v_cmp_gt_i32_e64 s[2:3], s8, v7
	s_and_saveexec_b64 s[4:5], s[2:3]
	s_cbranch_execz .LBB318_65
; %bb.64:
	s_movk_i32 s2, 0xff00
	v_and_b32_sdwa v7, v1, s2 dst_sel:DWORD dst_unused:UNUSED_PAD src0_sel:WORD_1 src1_sel:DWORD
	s_movk_i32 s2, 0xff
	v_mov_b32_e32 v8, 23
	v_lshlrev_b32_sdwa v8, v8, v6 dst_sel:DWORD dst_unused:UNUSED_PAD src0_sel:DWORD src1_sel:BYTE_0
	v_mov_b32_e32 v9, 0x7f800001
	v_cmp_ne_u16_sdwa s[2:3], v6, s2 src0_sel:BYTE_0 src1_sel:DWORD
	v_cndmask_b32_e64 v8, v9, v8, s[2:3]
	v_mov_b32_e32 v9, 0
	v_mov_b32_e32 v10, 0x400000
	v_cmp_ne_u16_sdwa s[2:3], v6, v9 src0_sel:BYTE_0 src1_sel:DWORD
	v_cndmask_b32_e64 v6, v10, v8, s[2:3]
	v_cmp_eq_f32_e64 s[2:3], v21, v6
	v_cndmask_b32_e64 v8, 0, 1, s[2:3]
	v_cmp_neq_f32_e64 s[2:3], v21, v6
	v_cndmask_b32_e64 v6, 0, 1, s[2:3]
	v_cndmask_b32_e64 v6, v6, v8, s[0:1]
	v_and_b32_e32 v6, 1, v6
	v_or_b32_sdwa v6, v6, v7 dst_sel:WORD_1 dst_unused:UNUSED_PAD src0_sel:DWORD src1_sel:DWORD
	s_mov_b32 s2, 0xffff
	v_and_or_b32 v1, v1, s2, v6
.LBB318_65:
	s_or_b64 exec, exec, s[4:5]
	v_or_b32_e32 v6, 0xf00, v0
	v_cmp_gt_i32_e64 s[2:3], s8, v6
	s_and_saveexec_b64 s[4:5], s[2:3]
	s_cbranch_execnz .LBB318_84
; %bb.66:
	s_or_b64 exec, exec, s[4:5]
	s_and_saveexec_b64 s[0:1], vcc
	s_xor_b64 s[0:1], exec, s[0:1]
	s_cbranch_execnz .LBB318_85
.LBB318_67:
	s_or_b64 exec, exec, s[0:1]
	v_cmp_gt_i32_e32 vcc, s8, v0
	s_and_saveexec_b64 s[0:1], vcc
	s_cbranch_execnz .LBB318_86
.LBB318_68:
	s_or_b64 exec, exec, s[0:1]
	v_cmp_gt_i32_e32 vcc, s8, v0
	s_and_saveexec_b64 s[0:1], vcc
	s_cbranch_execnz .LBB318_87
.LBB318_69:
	s_or_b64 exec, exec, s[0:1]
	v_cmp_gt_i32_e32 vcc, s8, v0
	s_and_saveexec_b64 s[0:1], vcc
	s_cbranch_execnz .LBB318_88
.LBB318_70:
	s_or_b64 exec, exec, s[0:1]
	v_cmp_gt_i32_e32 vcc, s8, v0
	s_and_saveexec_b64 s[0:1], vcc
	s_cbranch_execnz .LBB318_89
.LBB318_71:
	s_or_b64 exec, exec, s[0:1]
	v_cmp_gt_i32_e32 vcc, s8, v0
	s_and_saveexec_b64 s[0:1], vcc
	s_cbranch_execnz .LBB318_90
.LBB318_72:
	s_or_b64 exec, exec, s[0:1]
	v_cmp_gt_i32_e32 vcc, s8, v0
	s_and_saveexec_b64 s[0:1], vcc
	s_cbranch_execnz .LBB318_91
.LBB318_73:
	s_or_b64 exec, exec, s[0:1]
	v_cmp_gt_i32_e32 vcc, s8, v0
	s_and_saveexec_b64 s[0:1], vcc
	s_cbranch_execnz .LBB318_92
.LBB318_74:
	s_or_b64 exec, exec, s[0:1]
	v_cmp_gt_i32_e32 vcc, s8, v0
	s_and_saveexec_b64 s[0:1], vcc
	s_cbranch_execnz .LBB318_93
.LBB318_75:
	s_or_b64 exec, exec, s[0:1]
	v_cmp_gt_i32_e32 vcc, s8, v0
	s_and_saveexec_b64 s[0:1], vcc
	s_cbranch_execnz .LBB318_94
.LBB318_76:
	s_or_b64 exec, exec, s[0:1]
	v_cmp_gt_i32_e32 vcc, s8, v0
	s_and_saveexec_b64 s[0:1], vcc
	s_cbranch_execnz .LBB318_95
.LBB318_77:
	s_or_b64 exec, exec, s[0:1]
	v_cmp_gt_i32_e32 vcc, s8, v0
	s_and_saveexec_b64 s[0:1], vcc
	s_cbranch_execnz .LBB318_96
.LBB318_78:
	s_or_b64 exec, exec, s[0:1]
	v_cmp_gt_i32_e32 vcc, s8, v0
	s_and_saveexec_b64 s[0:1], vcc
	s_cbranch_execnz .LBB318_97
.LBB318_79:
	s_or_b64 exec, exec, s[0:1]
	v_cmp_gt_i32_e32 vcc, s8, v0
	s_and_saveexec_b64 s[0:1], vcc
	s_cbranch_execnz .LBB318_98
.LBB318_80:
	s_or_b64 exec, exec, s[0:1]
	v_cmp_gt_i32_e32 vcc, s8, v0
	s_and_saveexec_b64 s[0:1], vcc
	s_cbranch_execnz .LBB318_99
.LBB318_81:
	s_or_b64 exec, exec, s[0:1]
	v_cmp_gt_i32_e32 vcc, s8, v0
	s_and_saveexec_b64 s[0:1], vcc
	s_cbranch_execz .LBB318_83
.LBB318_82:
	v_lshrrev_b32_e32 v1, 24, v1
	v_add_u32_e32 v0, s11, v0
	global_store_byte v0, v1, s[12:13]
.LBB318_83:
	s_endpgm
.LBB318_84:
	s_movk_i32 s2, 0xff
	v_mov_b32_e32 v7, 23
	v_and_b32_sdwa v6, v1, s2 dst_sel:DWORD dst_unused:UNUSED_PAD src0_sel:WORD_1 src1_sel:DWORD
	v_lshlrev_b32_sdwa v7, v7, v5 dst_sel:DWORD dst_unused:UNUSED_PAD src0_sel:DWORD src1_sel:BYTE_0
	v_mov_b32_e32 v8, 0x7f800001
	v_cmp_ne_u16_sdwa s[2:3], v5, s2 src0_sel:BYTE_0 src1_sel:DWORD
	v_cndmask_b32_e64 v7, v8, v7, s[2:3]
	v_mov_b32_e32 v8, 0
	v_mov_b32_e32 v9, 0x400000
	v_cmp_ne_u16_sdwa s[2:3], v5, v8 src0_sel:BYTE_0 src1_sel:DWORD
	v_cndmask_b32_e64 v5, v9, v7, s[2:3]
	v_cmp_eq_f32_e64 s[2:3], v21, v5
	v_cndmask_b32_e64 v7, 0, 1, s[2:3]
	v_cmp_neq_f32_e64 s[2:3], v21, v5
	v_cndmask_b32_e64 v5, 0, 1, s[2:3]
	v_cndmask_b32_e64 v5, v5, v7, s[0:1]
	v_mov_b32_e32 v7, 1
	v_and_b32_sdwa v5, v5, v7 dst_sel:BYTE_1 dst_unused:UNUSED_PAD src0_sel:DWORD src1_sel:DWORD
	v_or_b32_sdwa v5, v6, v5 dst_sel:WORD_1 dst_unused:UNUSED_PAD src0_sel:DWORD src1_sel:DWORD
	s_mov_b32 s0, 0xffff
	v_and_or_b32 v1, v1, s0, v5
	s_or_b64 exec, exec, s[4:5]
	s_and_saveexec_b64 s[0:1], vcc
	s_xor_b64 s[0:1], exec, s[0:1]
	s_cbranch_execz .LBB318_67
.LBB318_85:
	v_mov_b32_e32 v0, v22
	global_store_byte v4, v3, s[12:13]
	s_or_b64 exec, exec, s[0:1]
	v_cmp_gt_i32_e32 vcc, s8, v0
	s_and_saveexec_b64 s[0:1], vcc
	s_cbranch_execz .LBB318_68
.LBB318_86:
	v_lshrrev_b32_e32 v4, 8, v3
	v_add_u32_e32 v5, s11, v0
	v_add_u32_e32 v0, 0x100, v0
	global_store_byte v5, v4, s[12:13]
	s_or_b64 exec, exec, s[0:1]
	v_cmp_gt_i32_e32 vcc, s8, v0
	s_and_saveexec_b64 s[0:1], vcc
	s_cbranch_execz .LBB318_69
.LBB318_87:
	v_add_u32_e32 v4, s11, v0
	v_add_u32_e32 v0, 0x100, v0
	global_store_byte_d16_hi v4, v3, s[12:13]
	s_or_b64 exec, exec, s[0:1]
	v_cmp_gt_i32_e32 vcc, s8, v0
	s_and_saveexec_b64 s[0:1], vcc
	s_cbranch_execz .LBB318_70
.LBB318_88:
	v_lshrrev_b32_e32 v3, 24, v3
	v_add_u32_e32 v4, s11, v0
	v_add_u32_e32 v0, 0x100, v0
	global_store_byte v4, v3, s[12:13]
	s_or_b64 exec, exec, s[0:1]
	v_cmp_gt_i32_e32 vcc, s8, v0
	s_and_saveexec_b64 s[0:1], vcc
	s_cbranch_execz .LBB318_71
.LBB318_89:
	v_add_u32_e32 v3, s11, v0
	v_add_u32_e32 v0, 0x100, v0
	global_store_byte v3, v16, s[12:13]
	s_or_b64 exec, exec, s[0:1]
	v_cmp_gt_i32_e32 vcc, s8, v0
	s_and_saveexec_b64 s[0:1], vcc
	s_cbranch_execz .LBB318_72
.LBB318_90:
	v_lshrrev_b32_e32 v3, 8, v16
	v_add_u32_e32 v4, s11, v0
	v_add_u32_e32 v0, 0x100, v0
	global_store_byte v4, v3, s[12:13]
	s_or_b64 exec, exec, s[0:1]
	v_cmp_gt_i32_e32 vcc, s8, v0
	s_and_saveexec_b64 s[0:1], vcc
	s_cbranch_execz .LBB318_73
.LBB318_91:
	v_add_u32_e32 v3, s11, v0
	v_add_u32_e32 v0, 0x100, v0
	global_store_byte_d16_hi v3, v16, s[12:13]
	s_or_b64 exec, exec, s[0:1]
	v_cmp_gt_i32_e32 vcc, s8, v0
	s_and_saveexec_b64 s[0:1], vcc
	s_cbranch_execz .LBB318_74
.LBB318_92:
	v_lshrrev_b32_e32 v3, 24, v16
	v_add_u32_e32 v4, s11, v0
	v_add_u32_e32 v0, 0x100, v0
	global_store_byte v4, v3, s[12:13]
	s_or_b64 exec, exec, s[0:1]
	v_cmp_gt_i32_e32 vcc, s8, v0
	s_and_saveexec_b64 s[0:1], vcc
	s_cbranch_execz .LBB318_75
.LBB318_93:
	v_add_u32_e32 v3, s11, v0
	v_add_u32_e32 v0, 0x100, v0
	global_store_byte v3, v2, s[12:13]
	s_or_b64 exec, exec, s[0:1]
	v_cmp_gt_i32_e32 vcc, s8, v0
	s_and_saveexec_b64 s[0:1], vcc
	s_cbranch_execz .LBB318_76
.LBB318_94:
	v_lshrrev_b32_e32 v3, 8, v2
	v_add_u32_e32 v4, s11, v0
	v_add_u32_e32 v0, 0x100, v0
	global_store_byte v4, v3, s[12:13]
	s_or_b64 exec, exec, s[0:1]
	v_cmp_gt_i32_e32 vcc, s8, v0
	s_and_saveexec_b64 s[0:1], vcc
	s_cbranch_execz .LBB318_77
.LBB318_95:
	v_add_u32_e32 v3, s11, v0
	v_add_u32_e32 v0, 0x100, v0
	global_store_byte_d16_hi v3, v2, s[12:13]
	s_or_b64 exec, exec, s[0:1]
	v_cmp_gt_i32_e32 vcc, s8, v0
	s_and_saveexec_b64 s[0:1], vcc
	s_cbranch_execz .LBB318_78
.LBB318_96:
	v_lshrrev_b32_e32 v2, 24, v2
	v_add_u32_e32 v3, s11, v0
	v_add_u32_e32 v0, 0x100, v0
	global_store_byte v3, v2, s[12:13]
	s_or_b64 exec, exec, s[0:1]
	v_cmp_gt_i32_e32 vcc, s8, v0
	s_and_saveexec_b64 s[0:1], vcc
	s_cbranch_execz .LBB318_79
.LBB318_97:
	v_add_u32_e32 v2, s11, v0
	v_add_u32_e32 v0, 0x100, v0
	global_store_byte v2, v1, s[12:13]
	s_or_b64 exec, exec, s[0:1]
	v_cmp_gt_i32_e32 vcc, s8, v0
	s_and_saveexec_b64 s[0:1], vcc
	s_cbranch_execz .LBB318_80
.LBB318_98:
	v_lshrrev_b32_e32 v2, 8, v1
	v_add_u32_e32 v3, s11, v0
	v_add_u32_e32 v0, 0x100, v0
	global_store_byte v3, v2, s[12:13]
	s_or_b64 exec, exec, s[0:1]
	v_cmp_gt_i32_e32 vcc, s8, v0
	s_and_saveexec_b64 s[0:1], vcc
	s_cbranch_execz .LBB318_81
.LBB318_99:
	v_add_u32_e32 v2, s11, v0
	v_add_u32_e32 v0, 0x100, v0
	global_store_byte_d16_hi v2, v1, s[12:13]
	s_or_b64 exec, exec, s[0:1]
	v_cmp_gt_i32_e32 vcc, s8, v0
	s_and_saveexec_b64 s[0:1], vcc
	s_cbranch_execnz .LBB318_82
	s_branch .LBB318_83
	.section	.rodata,"a",@progbits
	.p2align	6, 0x0
	.amdhsa_kernel _ZN2at6native29vectorized_elementwise_kernelILi8ENS0_13AUnaryFunctorIN3c1014Float8_e8m0fnuES4_bNS0_12_GLOBAL__N_116CompareEqFunctorIS4_EEEESt5arrayIPcLm2EEEEviT0_T1_
		.amdhsa_group_segment_fixed_size 0
		.amdhsa_private_segment_fixed_size 0
		.amdhsa_kernarg_size 32
		.amdhsa_user_sgpr_count 6
		.amdhsa_user_sgpr_private_segment_buffer 1
		.amdhsa_user_sgpr_dispatch_ptr 0
		.amdhsa_user_sgpr_queue_ptr 0
		.amdhsa_user_sgpr_kernarg_segment_ptr 1
		.amdhsa_user_sgpr_dispatch_id 0
		.amdhsa_user_sgpr_flat_scratch_init 0
		.amdhsa_user_sgpr_private_segment_size 0
		.amdhsa_uses_dynamic_stack 0
		.amdhsa_system_sgpr_private_segment_wavefront_offset 0
		.amdhsa_system_sgpr_workgroup_id_x 1
		.amdhsa_system_sgpr_workgroup_id_y 0
		.amdhsa_system_sgpr_workgroup_id_z 0
		.amdhsa_system_sgpr_workgroup_info 0
		.amdhsa_system_vgpr_workitem_id 0
		.amdhsa_next_free_vgpr 26
		.amdhsa_next_free_sgpr 42
		.amdhsa_reserve_vcc 1
		.amdhsa_reserve_flat_scratch 0
		.amdhsa_float_round_mode_32 0
		.amdhsa_float_round_mode_16_64 0
		.amdhsa_float_denorm_mode_32 3
		.amdhsa_float_denorm_mode_16_64 3
		.amdhsa_dx10_clamp 1
		.amdhsa_ieee_mode 1
		.amdhsa_fp16_overflow 0
		.amdhsa_exception_fp_ieee_invalid_op 0
		.amdhsa_exception_fp_denorm_src 0
		.amdhsa_exception_fp_ieee_div_zero 0
		.amdhsa_exception_fp_ieee_overflow 0
		.amdhsa_exception_fp_ieee_underflow 0
		.amdhsa_exception_fp_ieee_inexact 0
		.amdhsa_exception_int_div_zero 0
	.end_amdhsa_kernel
	.section	.text._ZN2at6native29vectorized_elementwise_kernelILi8ENS0_13AUnaryFunctorIN3c1014Float8_e8m0fnuES4_bNS0_12_GLOBAL__N_116CompareEqFunctorIS4_EEEESt5arrayIPcLm2EEEEviT0_T1_,"axG",@progbits,_ZN2at6native29vectorized_elementwise_kernelILi8ENS0_13AUnaryFunctorIN3c1014Float8_e8m0fnuES4_bNS0_12_GLOBAL__N_116CompareEqFunctorIS4_EEEESt5arrayIPcLm2EEEEviT0_T1_,comdat
.Lfunc_end318:
	.size	_ZN2at6native29vectorized_elementwise_kernelILi8ENS0_13AUnaryFunctorIN3c1014Float8_e8m0fnuES4_bNS0_12_GLOBAL__N_116CompareEqFunctorIS4_EEEESt5arrayIPcLm2EEEEviT0_T1_, .Lfunc_end318-_ZN2at6native29vectorized_elementwise_kernelILi8ENS0_13AUnaryFunctorIN3c1014Float8_e8m0fnuES4_bNS0_12_GLOBAL__N_116CompareEqFunctorIS4_EEEESt5arrayIPcLm2EEEEviT0_T1_
                                        ; -- End function
	.set _ZN2at6native29vectorized_elementwise_kernelILi8ENS0_13AUnaryFunctorIN3c1014Float8_e8m0fnuES4_bNS0_12_GLOBAL__N_116CompareEqFunctorIS4_EEEESt5arrayIPcLm2EEEEviT0_T1_.num_vgpr, 26
	.set _ZN2at6native29vectorized_elementwise_kernelILi8ENS0_13AUnaryFunctorIN3c1014Float8_e8m0fnuES4_bNS0_12_GLOBAL__N_116CompareEqFunctorIS4_EEEESt5arrayIPcLm2EEEEviT0_T1_.num_agpr, 0
	.set _ZN2at6native29vectorized_elementwise_kernelILi8ENS0_13AUnaryFunctorIN3c1014Float8_e8m0fnuES4_bNS0_12_GLOBAL__N_116CompareEqFunctorIS4_EEEESt5arrayIPcLm2EEEEviT0_T1_.numbered_sgpr, 42
	.set _ZN2at6native29vectorized_elementwise_kernelILi8ENS0_13AUnaryFunctorIN3c1014Float8_e8m0fnuES4_bNS0_12_GLOBAL__N_116CompareEqFunctorIS4_EEEESt5arrayIPcLm2EEEEviT0_T1_.num_named_barrier, 0
	.set _ZN2at6native29vectorized_elementwise_kernelILi8ENS0_13AUnaryFunctorIN3c1014Float8_e8m0fnuES4_bNS0_12_GLOBAL__N_116CompareEqFunctorIS4_EEEESt5arrayIPcLm2EEEEviT0_T1_.private_seg_size, 0
	.set _ZN2at6native29vectorized_elementwise_kernelILi8ENS0_13AUnaryFunctorIN3c1014Float8_e8m0fnuES4_bNS0_12_GLOBAL__N_116CompareEqFunctorIS4_EEEESt5arrayIPcLm2EEEEviT0_T1_.uses_vcc, 1
	.set _ZN2at6native29vectorized_elementwise_kernelILi8ENS0_13AUnaryFunctorIN3c1014Float8_e8m0fnuES4_bNS0_12_GLOBAL__N_116CompareEqFunctorIS4_EEEESt5arrayIPcLm2EEEEviT0_T1_.uses_flat_scratch, 0
	.set _ZN2at6native29vectorized_elementwise_kernelILi8ENS0_13AUnaryFunctorIN3c1014Float8_e8m0fnuES4_bNS0_12_GLOBAL__N_116CompareEqFunctorIS4_EEEESt5arrayIPcLm2EEEEviT0_T1_.has_dyn_sized_stack, 0
	.set _ZN2at6native29vectorized_elementwise_kernelILi8ENS0_13AUnaryFunctorIN3c1014Float8_e8m0fnuES4_bNS0_12_GLOBAL__N_116CompareEqFunctorIS4_EEEESt5arrayIPcLm2EEEEviT0_T1_.has_recursion, 0
	.set _ZN2at6native29vectorized_elementwise_kernelILi8ENS0_13AUnaryFunctorIN3c1014Float8_e8m0fnuES4_bNS0_12_GLOBAL__N_116CompareEqFunctorIS4_EEEESt5arrayIPcLm2EEEEviT0_T1_.has_indirect_call, 0
	.section	.AMDGPU.csdata,"",@progbits
; Kernel info:
; codeLenInByte = 6588
; TotalNumSgprs: 46
; NumVgprs: 26
; ScratchSize: 0
; MemoryBound: 0
; FloatMode: 240
; IeeeMode: 1
; LDSByteSize: 0 bytes/workgroup (compile time only)
; SGPRBlocks: 5
; VGPRBlocks: 6
; NumSGPRsForWavesPerEU: 46
; NumVGPRsForWavesPerEU: 26
; Occupancy: 9
; WaveLimiterHint : 1
; COMPUTE_PGM_RSRC2:SCRATCH_EN: 0
; COMPUTE_PGM_RSRC2:USER_SGPR: 6
; COMPUTE_PGM_RSRC2:TRAP_HANDLER: 0
; COMPUTE_PGM_RSRC2:TGID_X_EN: 1
; COMPUTE_PGM_RSRC2:TGID_Y_EN: 0
; COMPUTE_PGM_RSRC2:TGID_Z_EN: 0
; COMPUTE_PGM_RSRC2:TIDIG_COMP_CNT: 0
	.section	.text._ZN2at6native29vectorized_elementwise_kernelILi4ENS0_13AUnaryFunctorIN3c1014Float8_e8m0fnuES4_bNS0_12_GLOBAL__N_116CompareEqFunctorIS4_EEEESt5arrayIPcLm2EEEEviT0_T1_,"axG",@progbits,_ZN2at6native29vectorized_elementwise_kernelILi4ENS0_13AUnaryFunctorIN3c1014Float8_e8m0fnuES4_bNS0_12_GLOBAL__N_116CompareEqFunctorIS4_EEEESt5arrayIPcLm2EEEEviT0_T1_,comdat
	.globl	_ZN2at6native29vectorized_elementwise_kernelILi4ENS0_13AUnaryFunctorIN3c1014Float8_e8m0fnuES4_bNS0_12_GLOBAL__N_116CompareEqFunctorIS4_EEEESt5arrayIPcLm2EEEEviT0_T1_ ; -- Begin function _ZN2at6native29vectorized_elementwise_kernelILi4ENS0_13AUnaryFunctorIN3c1014Float8_e8m0fnuES4_bNS0_12_GLOBAL__N_116CompareEqFunctorIS4_EEEESt5arrayIPcLm2EEEEviT0_T1_
	.p2align	8
	.type	_ZN2at6native29vectorized_elementwise_kernelILi4ENS0_13AUnaryFunctorIN3c1014Float8_e8m0fnuES4_bNS0_12_GLOBAL__N_116CompareEqFunctorIS4_EEEESt5arrayIPcLm2EEEEviT0_T1_,@function
_ZN2at6native29vectorized_elementwise_kernelILi4ENS0_13AUnaryFunctorIN3c1014Float8_e8m0fnuES4_bNS0_12_GLOBAL__N_116CompareEqFunctorIS4_EEEESt5arrayIPcLm2EEEEviT0_T1_: ; @_ZN2at6native29vectorized_elementwise_kernelILi4ENS0_13AUnaryFunctorIN3c1014Float8_e8m0fnuES4_bNS0_12_GLOBAL__N_116CompareEqFunctorIS4_EEEESt5arrayIPcLm2EEEEviT0_T1_
; %bb.0:
	s_load_dwordx8 s[8:15], s[4:5], 0x0
	s_waitcnt lgkmcnt(0)
	s_lshl_b32 s11, s6, 12
	s_mov_b64 s[0:1], -1
	s_sub_i32 s8, s8, s11
	s_cmpk_gt_i32 s8, 0xfff
	s_cbranch_scc0 .LBB319_2
; %bb.1:
	s_ashr_i32 s2, s11, 31
	s_add_u32 s0, s14, s11
	s_addc_u32 s1, s15, s2
	v_lshlrev_b32_e32 v1, 2, v0
	global_load_dword v2, v1, s[0:1]
	global_load_dword v3, v1, s[0:1] offset:1024
	global_load_dword v9, v1, s[0:1] offset:2048
	;; [unrolled: 1-line block ×3, first 2 shown]
	s_cmp_eq_u32 s9, 0
	s_cselect_b64 vcc, -1, 0
	s_lshl_b32 s0, s10, 23
	s_and_b32 s5, s10, 0xff
	s_and_b32 s0, s0, 0x7f800000
	s_cmpk_lg_i32 s5, 0xff
	v_mov_b32_e32 v4, 0x7f800001
	v_mov_b32_e32 v11, s0
	s_cselect_b64 s[0:1], -1, 0
	s_cmp_lg_u32 s5, 0
	s_movk_i32 s3, 0xff
	v_mov_b32_e32 v5, 0x400000
	v_mov_b32_e32 v8, 23
	v_cndmask_b32_e64 v11, v4, v11, s[0:1]
	s_cselect_b64 s[0:1], -1, 0
	v_cndmask_b32_e64 v11, v5, v11, s[0:1]
	s_mov_b32 s4, 0xffffff
	v_mov_b32_e32 v6, 0
	v_mov_b32_e32 v7, 1
	s_waitcnt vmcnt(3)
	v_lshlrev_b32_e32 v12, 23, v2
	v_lshlrev_b32_sdwa v17, v8, v2 dst_sel:DWORD dst_unused:UNUSED_PAD src0_sel:DWORD src1_sel:BYTE_3
	v_cmp_ne_u32_sdwa s[0:1], v2, s3 src0_sel:BYTE_3 src1_sel:DWORD
	v_lshrrev_b32_e32 v13, 8, v2
	v_lshlrev_b32_e32 v14, 15, v2
	v_and_b32_e32 v12, 0x7f800000, v12
	v_cndmask_b32_e64 v17, v4, v17, s[0:1]
	v_cmp_ne_u16_sdwa s[0:1], v2, s3 src0_sel:BYTE_0 src1_sel:DWORD
	v_and_b32_sdwa v15, v2, s3 dst_sel:DWORD dst_unused:UNUSED_PAD src0_sel:WORD_1 src1_sel:DWORD
	v_lshlrev_b32_e32 v16, 7, v2
	v_and_b32_e32 v14, 0x7f800000, v14
	v_cndmask_b32_e64 v12, v4, v12, s[0:1]
	v_cmp_ne_u16_sdwa s[0:1], v13, s3 src0_sel:BYTE_0 src1_sel:DWORD
	v_and_b32_e32 v16, 0x7f800000, v16
	v_cndmask_b32_e64 v14, v4, v14, s[0:1]
	v_cmp_ne_u16_e64 s[0:1], s3, v15
	s_waitcnt vmcnt(2)
	v_lshlrev_b32_e32 v18, 23, v3
	v_cndmask_b32_e64 v16, v4, v16, s[0:1]
	v_cmp_lt_u32_e64 s[0:1], s4, v2
	v_and_b32_e32 v18, 0x7f800000, v18
	v_cndmask_b32_e64 v17, v5, v17, s[0:1]
	v_cmp_ne_u16_sdwa s[0:1], v3, s3 src0_sel:BYTE_0 src1_sel:DWORD
	v_cndmask_b32_e64 v18, v4, v18, s[0:1]
	v_cmp_ne_u16_sdwa s[0:1], v2, v6 src0_sel:BYTE_0 src1_sel:DWORD
	;; [unrolled: 2-line block ×3, first 2 shown]
	v_cndmask_b32_e64 v12, v5, v14, s[0:1]
	v_cmp_ne_u16_e64 s[0:1], 0, v15
	v_cndmask_b32_e64 v13, v5, v16, s[0:1]
	v_cmp_eq_f32_e64 s[0:1], v11, v17
	v_cndmask_b32_e64 v14, 0, 1, s[0:1]
	v_cmp_neq_f32_e64 s[0:1], v11, v17
	v_cndmask_b32_e64 v15, 0, 1, s[0:1]
	v_cmp_ne_u16_sdwa s[0:1], v3, v6 src0_sel:BYTE_0 src1_sel:DWORD
	v_cndmask_b32_e64 v16, v5, v18, s[0:1]
	v_cmp_eq_f32_e64 s[0:1], v11, v2
	v_cndmask_b32_e64 v17, 0, 1, s[0:1]
	v_cmp_neq_f32_e64 s[0:1], v11, v2
	v_cndmask_b32_e64 v2, 0, 1, s[0:1]
	v_cmp_eq_f32_e64 s[0:1], v11, v12
	v_cndmask_b32_e64 v18, 0, 1, s[0:1]
	v_cmp_neq_f32_e64 s[0:1], v11, v12
	;; [unrolled: 4-line block ×4, first 2 shown]
	v_lshrrev_b32_e32 v19, 8, v3
	v_lshlrev_b32_e32 v20, 15, v3
	v_cndmask_b32_e64 v16, 0, 1, s[0:1]
	v_cndmask_b32_e32 v14, v15, v14, vcc
	v_cndmask_b32_e32 v15, v16, v22, vcc
	v_and_b32_e32 v16, 0x7f800000, v20
	v_cmp_ne_u16_sdwa s[0:1], v19, s3 src0_sel:BYTE_0 src1_sel:DWORD
	v_cndmask_b32_e64 v16, v4, v16, s[0:1]
	v_cmp_ne_u16_sdwa s[0:1], v19, v6 src0_sel:BYTE_0 src1_sel:DWORD
	v_cndmask_b32_e64 v16, v5, v16, s[0:1]
	v_cmp_eq_f32_e64 s[0:1], v11, v16
	v_cndmask_b32_e32 v2, v2, v17, vcc
	v_cndmask_b32_e64 v17, 0, 1, s[0:1]
	v_cmp_neq_f32_e64 s[0:1], v11, v16
	v_cndmask_b32_e64 v16, 0, 1, s[0:1]
	v_cndmask_b32_e32 v12, v12, v18, vcc
	v_cndmask_b32_e32 v16, v16, v17, vcc
	v_and_b32_sdwa v17, v3, s3 dst_sel:DWORD dst_unused:UNUSED_PAD src0_sel:WORD_1 src1_sel:DWORD
	v_lshlrev_b32_e32 v18, 7, v3
	v_and_b32_e32 v18, 0x7f800000, v18
	v_cmp_ne_u16_e64 s[0:1], s3, v17
	v_cndmask_b32_e64 v18, v4, v18, s[0:1]
	v_cmp_ne_u16_e64 s[0:1], 0, v17
	v_cndmask_b32_e64 v17, v5, v18, s[0:1]
	v_cmp_eq_f32_e64 s[0:1], v11, v17
	v_cndmask_b32_e64 v18, 0, 1, s[0:1]
	v_cmp_neq_f32_e64 s[0:1], v11, v17
	v_cndmask_b32_e64 v17, 0, 1, s[0:1]
	v_cndmask_b32_e32 v17, v17, v18, vcc
	v_lshlrev_b32_sdwa v18, v8, v3 dst_sel:DWORD dst_unused:UNUSED_PAD src0_sel:DWORD src1_sel:BYTE_3
	v_cmp_ne_u32_sdwa s[0:1], v3, s3 src0_sel:BYTE_3 src1_sel:DWORD
	v_cndmask_b32_e64 v18, v4, v18, s[0:1]
	v_cmp_lt_u32_e64 s[0:1], s4, v3
	v_cndmask_b32_e64 v3, v5, v18, s[0:1]
	v_cmp_eq_f32_e64 s[0:1], v11, v3
	v_cndmask_b32_e64 v18, 0, 1, s[0:1]
	v_cmp_neq_f32_e64 s[0:1], v11, v3
	v_cndmask_b32_e64 v3, 0, 1, s[0:1]
	v_cndmask_b32_e32 v3, v3, v18, vcc
	s_waitcnt vmcnt(1)
	v_lshlrev_b32_e32 v18, 23, v9
	v_and_b32_e32 v18, 0x7f800000, v18
	v_cmp_ne_u16_sdwa s[0:1], v9, s3 src0_sel:BYTE_0 src1_sel:DWORD
	v_cndmask_b32_e64 v18, v4, v18, s[0:1]
	v_cmp_ne_u16_sdwa s[0:1], v9, v6 src0_sel:BYTE_0 src1_sel:DWORD
	v_cndmask_b32_e64 v18, v5, v18, s[0:1]
	v_cmp_eq_f32_e64 s[0:1], v11, v18
	v_cndmask_b32_e64 v19, 0, 1, s[0:1]
	v_cmp_neq_f32_e64 s[0:1], v11, v18
	v_cndmask_b32_e64 v18, 0, 1, s[0:1]
	v_cndmask_b32_e32 v18, v18, v19, vcc
	v_lshrrev_b32_e32 v19, 8, v9
	v_lshlrev_b32_e32 v20, 15, v9
	v_and_b32_e32 v20, 0x7f800000, v20
	v_cmp_ne_u16_sdwa s[0:1], v19, s3 src0_sel:BYTE_0 src1_sel:DWORD
	v_cndmask_b32_e64 v20, v4, v20, s[0:1]
	v_cmp_ne_u16_sdwa s[0:1], v19, v6 src0_sel:BYTE_0 src1_sel:DWORD
	v_cndmask_b32_e64 v19, v5, v20, s[0:1]
	v_cmp_eq_f32_e64 s[0:1], v11, v19
	v_cndmask_b32_e64 v20, 0, 1, s[0:1]
	v_cmp_neq_f32_e64 s[0:1], v11, v19
	v_cndmask_b32_e64 v19, 0, 1, s[0:1]
	v_cndmask_b32_e32 v13, v13, v21, vcc
	v_cndmask_b32_e32 v19, v19, v20, vcc
	v_and_b32_sdwa v20, v9, s3 dst_sel:DWORD dst_unused:UNUSED_PAD src0_sel:WORD_1 src1_sel:DWORD
	v_lshlrev_b32_e32 v21, 7, v9
	v_and_b32_e32 v21, 0x7f800000, v21
	v_cmp_ne_u16_e64 s[0:1], s3, v20
	v_cndmask_b32_e64 v21, v4, v21, s[0:1]
	v_cmp_ne_u16_e64 s[0:1], 0, v20
	v_cndmask_b32_e64 v20, v5, v21, s[0:1]
	v_cmp_eq_f32_e64 s[0:1], v11, v20
	v_cndmask_b32_e64 v21, 0, 1, s[0:1]
	v_cmp_neq_f32_e64 s[0:1], v11, v20
	v_cndmask_b32_e64 v20, 0, 1, s[0:1]
	v_cndmask_b32_e32 v20, v20, v21, vcc
	v_lshlrev_b32_sdwa v21, v8, v9 dst_sel:DWORD dst_unused:UNUSED_PAD src0_sel:DWORD src1_sel:BYTE_3
	v_cmp_ne_u32_sdwa s[0:1], v9, s3 src0_sel:BYTE_3 src1_sel:DWORD
	v_cndmask_b32_e64 v21, v4, v21, s[0:1]
	v_cmp_lt_u32_e64 s[0:1], s4, v9
	v_cndmask_b32_e64 v9, v5, v21, s[0:1]
	v_cmp_eq_f32_e64 s[0:1], v11, v9
	v_cndmask_b32_e64 v21, 0, 1, s[0:1]
	v_cmp_neq_f32_e64 s[0:1], v11, v9
	v_cndmask_b32_e64 v9, 0, 1, s[0:1]
	v_cndmask_b32_e32 v9, v9, v21, vcc
	s_waitcnt vmcnt(0)
	v_lshlrev_b32_e32 v21, 23, v10
	v_and_b32_e32 v21, 0x7f800000, v21
	v_cmp_ne_u16_sdwa s[0:1], v10, s3 src0_sel:BYTE_0 src1_sel:DWORD
	v_cndmask_b32_e64 v21, v4, v21, s[0:1]
	v_cmp_ne_u16_sdwa s[0:1], v10, v6 src0_sel:BYTE_0 src1_sel:DWORD
	v_cndmask_b32_e64 v21, v5, v21, s[0:1]
	v_cmp_eq_f32_e64 s[0:1], v11, v21
	v_cndmask_b32_e64 v22, 0, 1, s[0:1]
	v_cmp_neq_f32_e64 s[0:1], v11, v21
	v_cndmask_b32_e64 v21, 0, 1, s[0:1]
	v_cndmask_b32_e32 v21, v21, v22, vcc
	v_lshrrev_b32_e32 v22, 8, v10
	v_lshlrev_b32_e32 v23, 15, v10
	v_and_b32_e32 v23, 0x7f800000, v23
	v_cmp_ne_u16_sdwa s[0:1], v22, s3 src0_sel:BYTE_0 src1_sel:DWORD
	v_cndmask_b32_e64 v23, v4, v23, s[0:1]
	v_cmp_ne_u16_sdwa s[0:1], v22, v6 src0_sel:BYTE_0 src1_sel:DWORD
	v_cndmask_b32_e64 v6, v5, v23, s[0:1]
	v_cmp_eq_f32_e64 s[0:1], v11, v6
	v_cndmask_b32_e64 v22, 0, 1, s[0:1]
	v_cmp_neq_f32_e64 s[0:1], v11, v6
	v_cndmask_b32_e64 v6, 0, 1, s[0:1]
	v_cndmask_b32_e32 v6, v6, v22, vcc
	v_and_b32_sdwa v22, v10, s3 dst_sel:DWORD dst_unused:UNUSED_PAD src0_sel:WORD_1 src1_sel:DWORD
	v_lshlrev_b32_e32 v23, 7, v10
	v_and_b32_e32 v23, 0x7f800000, v23
	v_cmp_ne_u16_e64 s[0:1], s3, v22
	v_cndmask_b32_e64 v23, v4, v23, s[0:1]
	v_cmp_ne_u16_e64 s[0:1], 0, v22
	v_cndmask_b32_e64 v22, v5, v23, s[0:1]
	v_cmp_eq_f32_e64 s[0:1], v11, v22
	v_cndmask_b32_e64 v23, 0, 1, s[0:1]
	v_cmp_neq_f32_e64 s[0:1], v11, v22
	v_cndmask_b32_e64 v22, 0, 1, s[0:1]
	v_lshlrev_b32_sdwa v8, v8, v10 dst_sel:DWORD dst_unused:UNUSED_PAD src0_sel:DWORD src1_sel:BYTE_3
	v_cmp_ne_u32_sdwa s[0:1], v10, s3 src0_sel:BYTE_3 src1_sel:DWORD
	v_cndmask_b32_e64 v4, v4, v8, s[0:1]
	v_cmp_lt_u32_e64 s[0:1], s4, v10
	v_cndmask_b32_e64 v4, v5, v4, s[0:1]
	v_cmp_eq_f32_e64 s[0:1], v11, v4
	v_cndmask_b32_e64 v5, 0, 1, s[0:1]
	v_cmp_neq_f32_e64 s[0:1], v11, v4
	v_cndmask_b32_e64 v4, 0, 1, s[0:1]
	v_cndmask_b32_e32 v22, v22, v23, vcc
	v_cndmask_b32_e32 v4, v4, v5, vcc
	v_and_b32_e32 v21, 1, v21
	v_and_b32_sdwa v6, v6, v7 dst_sel:BYTE_1 dst_unused:UNUSED_PAD src0_sel:DWORD src1_sel:DWORD
	v_and_b32_e32 v22, 1, v22
	v_and_b32_sdwa v4, v4, v7 dst_sel:BYTE_1 dst_unused:UNUSED_PAD src0_sel:DWORD src1_sel:DWORD
	;; [unrolled: 2-line block ×4, first 2 shown]
	v_or_b32_e32 v5, v21, v6
	v_or_b32_sdwa v4, v22, v4 dst_sel:WORD_1 dst_unused:UNUSED_PAD src0_sel:DWORD src1_sel:DWORD
	v_and_b32_e32 v15, 1, v15
	v_and_b32_sdwa v16, v16, v7 dst_sel:BYTE_1 dst_unused:UNUSED_PAD src0_sel:DWORD src1_sel:DWORD
	v_and_b32_e32 v17, 1, v17
	v_and_b32_sdwa v3, v3, v7 dst_sel:BYTE_1 dst_unused:UNUSED_PAD src0_sel:DWORD src1_sel:DWORD
	v_or_b32_sdwa v4, v5, v4 dst_sel:DWORD dst_unused:UNUSED_PAD src0_sel:WORD_0 src1_sel:DWORD
	v_or_b32_e32 v5, v18, v19
	v_or_b32_sdwa v6, v20, v9 dst_sel:WORD_1 dst_unused:UNUSED_PAD src0_sel:DWORD src1_sel:DWORD
	v_and_b32_e32 v2, 1, v2
	v_and_b32_sdwa v12, v12, v7 dst_sel:BYTE_1 dst_unused:UNUSED_PAD src0_sel:DWORD src1_sel:DWORD
	v_and_b32_e32 v13, 1, v13
	v_and_b32_sdwa v14, v14, v7 dst_sel:BYTE_1 dst_unused:UNUSED_PAD src0_sel:DWORD src1_sel:DWORD
	v_or_b32_sdwa v5, v5, v6 dst_sel:DWORD dst_unused:UNUSED_PAD src0_sel:WORD_0 src1_sel:DWORD
	v_or_b32_e32 v6, v15, v16
	v_or_b32_sdwa v3, v17, v3 dst_sel:WORD_1 dst_unused:UNUSED_PAD src0_sel:DWORD src1_sel:DWORD
	v_or_b32_sdwa v3, v6, v3 dst_sel:DWORD dst_unused:UNUSED_PAD src0_sel:WORD_0 src1_sel:DWORD
	v_or_b32_e32 v2, v2, v12
	v_or_b32_sdwa v6, v13, v14 dst_sel:WORD_1 dst_unused:UNUSED_PAD src0_sel:DWORD src1_sel:DWORD
	s_add_u32 s0, s12, s11
	v_or_b32_sdwa v2, v2, v6 dst_sel:DWORD dst_unused:UNUSED_PAD src0_sel:WORD_0 src1_sel:DWORD
	s_addc_u32 s1, s13, s2
	global_store_dword v1, v2, s[0:1]
	global_store_dword v1, v3, s[0:1] offset:1024
	global_store_dword v1, v5, s[0:1] offset:2048
	;; [unrolled: 1-line block ×3, first 2 shown]
	s_mov_b64 s[0:1], 0
.LBB319_2:
	s_andn2_b64 vcc, exec, s[0:1]
	s_cbranch_vccnz .LBB319_83
; %bb.3:
	v_cmp_gt_i32_e32 vcc, s8, v0
	v_mov_b32_e32 v3, 0
	v_or_b32_e32 v4, s11, v0
	v_mov_b32_e32 v5, 0
	v_mov_b32_e32 v6, 0
	;; [unrolled: 1-line block ×16, first 2 shown]
	s_and_saveexec_b64 s[2:3], vcc
	s_cbranch_execz .LBB319_35
; %bb.4:
	global_load_ubyte v22, v4, s[14:15]
	v_or_b32_e32 v1, 0x100, v0
	v_cmp_gt_u32_e64 s[0:1], s8, v1
	v_mov_b32_e32 v20, 0
	v_mov_b32_e32 v19, 0
	;; [unrolled: 1-line block ×15, first 2 shown]
	s_and_saveexec_b64 s[4:5], s[0:1]
	s_cbranch_execz .LBB319_34
; %bb.5:
	v_add_u32_e32 v1, s11, v0
	global_load_ubyte v20, v1, s[14:15] offset:256
	v_or_b32_e32 v2, 0x200, v0
	v_mov_b32_e32 v19, 0
	v_cmp_gt_u32_e64 s[0:1], s8, v2
	v_mov_b32_e32 v18, 0
	v_mov_b32_e32 v17, 0
	v_mov_b32_e32 v15, 0
	v_mov_b32_e32 v14, 0
	v_mov_b32_e32 v13, 0
	v_mov_b32_e32 v12, 0
	v_mov_b32_e32 v11, 0
	v_mov_b32_e32 v10, 0
	v_mov_b32_e32 v9, 0
	v_mov_b32_e32 v8, 0
	v_mov_b32_e32 v7, 0
	v_mov_b32_e32 v6, 0
	v_mov_b32_e32 v5, 0
	s_and_saveexec_b64 s[6:7], s[0:1]
	s_cbranch_execz .LBB319_33
; %bb.6:
	v_mov_b32_e32 v2, s15
	v_add_co_u32_e64 v1, s[0:1], s14, v1
	v_addc_co_u32_e64 v2, s[0:1], 0, v2, s[0:1]
	global_load_ubyte v19, v[1:2], off offset:512
	v_or_b32_e32 v5, 0x300, v0
	v_cmp_gt_u32_e64 s[0:1], s8, v5
	v_mov_b32_e32 v18, 0
	v_mov_b32_e32 v17, 0
	;; [unrolled: 1-line block ×13, first 2 shown]
	s_and_saveexec_b64 s[14:15], s[0:1]
	s_cbranch_execz .LBB319_32
; %bb.7:
	global_load_ubyte v18, v[1:2], off offset:768
	v_or_b32_e32 v5, 0x400, v0
	v_cmp_gt_u32_e64 s[0:1], s8, v5
	v_mov_b32_e32 v17, 0
	v_mov_b32_e32 v15, 0
	;; [unrolled: 1-line block ×12, first 2 shown]
	s_and_saveexec_b64 s[16:17], s[0:1]
	s_cbranch_execz .LBB319_31
; %bb.8:
	global_load_ubyte v17, v[1:2], off offset:1024
	v_or_b32_e32 v5, 0x500, v0
	v_cmp_gt_u32_e64 s[0:1], s8, v5
	v_mov_b32_e32 v15, 0
	v_mov_b32_e32 v14, 0
	v_mov_b32_e32 v13, 0
	v_mov_b32_e32 v12, 0
	v_mov_b32_e32 v11, 0
	v_mov_b32_e32 v10, 0
	v_mov_b32_e32 v9, 0
	v_mov_b32_e32 v8, 0
	v_mov_b32_e32 v7, 0
	v_mov_b32_e32 v6, 0
	v_mov_b32_e32 v5, 0
	s_and_saveexec_b64 s[18:19], s[0:1]
	s_cbranch_execz .LBB319_30
; %bb.9:
	global_load_ubyte v15, v[1:2], off offset:1280
	v_or_b32_e32 v5, 0x600, v0
	v_cmp_gt_u32_e64 s[0:1], s8, v5
	v_mov_b32_e32 v14, 0
	v_mov_b32_e32 v13, 0
	v_mov_b32_e32 v12, 0
	v_mov_b32_e32 v11, 0
	v_mov_b32_e32 v10, 0
	v_mov_b32_e32 v9, 0
	v_mov_b32_e32 v8, 0
	v_mov_b32_e32 v7, 0
	v_mov_b32_e32 v6, 0
	v_mov_b32_e32 v5, 0
	s_and_saveexec_b64 s[20:21], s[0:1]
	s_cbranch_execz .LBB319_29
; %bb.10:
	global_load_ubyte v14, v[1:2], off offset:1536
	v_or_b32_e32 v5, 0x700, v0
	v_cmp_gt_u32_e64 s[0:1], s8, v5
	v_mov_b32_e32 v13, 0
	v_mov_b32_e32 v12, 0
	;; [unrolled: 1-line block ×9, first 2 shown]
	s_and_saveexec_b64 s[22:23], s[0:1]
	s_cbranch_execz .LBB319_28
; %bb.11:
	global_load_ubyte v13, v[1:2], off offset:1792
	v_or_b32_e32 v5, 0x800, v0
	v_cmp_gt_u32_e64 s[0:1], s8, v5
	v_mov_b32_e32 v12, 0
	v_mov_b32_e32 v11, 0
	;; [unrolled: 1-line block ×8, first 2 shown]
	s_and_saveexec_b64 s[24:25], s[0:1]
	s_cbranch_execz .LBB319_27
; %bb.12:
	global_load_ubyte v12, v[1:2], off offset:2048
	v_or_b32_e32 v5, 0x900, v0
	v_cmp_gt_u32_e64 s[0:1], s8, v5
	v_mov_b32_e32 v11, 0
	v_mov_b32_e32 v10, 0
	;; [unrolled: 1-line block ×7, first 2 shown]
	s_and_saveexec_b64 s[26:27], s[0:1]
	s_cbranch_execz .LBB319_26
; %bb.13:
	global_load_ubyte v11, v[1:2], off offset:2304
	v_or_b32_e32 v5, 0xa00, v0
	v_cmp_gt_u32_e64 s[0:1], s8, v5
	v_mov_b32_e32 v10, 0
	v_mov_b32_e32 v9, 0
	;; [unrolled: 1-line block ×6, first 2 shown]
	s_and_saveexec_b64 s[28:29], s[0:1]
	s_cbranch_execz .LBB319_25
; %bb.14:
	global_load_ubyte v10, v[1:2], off offset:2560
	v_or_b32_e32 v5, 0xb00, v0
	v_cmp_gt_u32_e64 s[0:1], s8, v5
	v_mov_b32_e32 v9, 0
	v_mov_b32_e32 v8, 0
	;; [unrolled: 1-line block ×5, first 2 shown]
	s_and_saveexec_b64 s[30:31], s[0:1]
	s_cbranch_execz .LBB319_24
; %bb.15:
	global_load_ubyte v9, v[1:2], off offset:2816
	v_or_b32_e32 v5, 0xc00, v0
	v_cmp_gt_u32_e64 s[0:1], s8, v5
	v_mov_b32_e32 v8, 0
	v_mov_b32_e32 v7, 0
	;; [unrolled: 1-line block ×4, first 2 shown]
	s_and_saveexec_b64 s[34:35], s[0:1]
	s_cbranch_execz .LBB319_23
; %bb.16:
	global_load_ubyte v8, v[1:2], off offset:3072
	v_or_b32_e32 v5, 0xd00, v0
	v_cmp_gt_u32_e64 s[0:1], s8, v5
	v_mov_b32_e32 v7, 0
	v_mov_b32_e32 v6, 0
	;; [unrolled: 1-line block ×3, first 2 shown]
	s_and_saveexec_b64 s[36:37], s[0:1]
	s_cbranch_execz .LBB319_22
; %bb.17:
	global_load_ubyte v7, v[1:2], off offset:3328
	v_or_b32_e32 v5, 0xe00, v0
	v_cmp_gt_u32_e64 s[0:1], s8, v5
	v_mov_b32_e32 v6, 0
	v_mov_b32_e32 v5, 0
	s_and_saveexec_b64 s[38:39], s[0:1]
	s_cbranch_execz .LBB319_21
; %bb.18:
	global_load_ubyte v6, v[1:2], off offset:3584
	v_or_b32_e32 v5, 0xf00, v0
	v_cmp_gt_u32_e64 s[0:1], s8, v5
	v_mov_b32_e32 v5, 0
	s_and_saveexec_b64 s[40:41], s[0:1]
	s_cbranch_execz .LBB319_20
; %bb.19:
	global_load_ubyte v5, v[1:2], off offset:3840
.LBB319_20:
	s_or_b64 exec, exec, s[40:41]
.LBB319_21:
	s_or_b64 exec, exec, s[38:39]
.LBB319_22:
	s_or_b64 exec, exec, s[36:37]
.LBB319_23:
	s_or_b64 exec, exec, s[34:35]
.LBB319_24:
	s_or_b64 exec, exec, s[30:31]
.LBB319_25:
	s_or_b64 exec, exec, s[28:29]
.LBB319_26:
	s_or_b64 exec, exec, s[26:27]
.LBB319_27:
	s_or_b64 exec, exec, s[24:25]
.LBB319_28:
	s_or_b64 exec, exec, s[22:23]
.LBB319_29:
	s_or_b64 exec, exec, s[20:21]
.LBB319_30:
	s_or_b64 exec, exec, s[18:19]
.LBB319_31:
	s_or_b64 exec, exec, s[16:17]
.LBB319_32:
	s_or_b64 exec, exec, s[14:15]
.LBB319_33:
	s_or_b64 exec, exec, s[6:7]
.LBB319_34:
	s_or_b64 exec, exec, s[4:5]
.LBB319_35:
	s_or_b64 exec, exec, s[2:3]
	s_cmp_eq_u32 s9, 0
	s_cselect_b64 s[0:1], -1, 0
	s_lshl_b32 s2, s10, 23
	s_and_b32 s4, s10, 0xff
	s_and_b32 s2, s2, 0x7f800000
	s_cmpk_lg_i32 s4, 0xff
	v_mov_b32_e32 v23, 0x7f800001
	v_mov_b32_e32 v1, s2
	s_cselect_b64 s[2:3], -1, 0
	s_cmp_lg_u32 s4, 0
	v_cndmask_b32_e64 v1, v23, v1, s[2:3]
	v_mov_b32_e32 v24, 0x400000
	s_cselect_b64 s[2:3], -1, 0
	s_movk_i32 s6, 0xff
	v_cndmask_b32_e64 v21, v24, v1, s[2:3]
	v_mov_b32_e32 v16, v3
	v_mov_b32_e32 v2, v3
	;; [unrolled: 1-line block ×3, first 2 shown]
	s_and_saveexec_b64 s[4:5], vcc
	s_cbranch_execz .LBB319_37
; %bb.36:
	v_mov_b32_e32 v1, 23
	s_waitcnt vmcnt(0)
	v_lshlrev_b32_sdwa v1, v1, v22 dst_sel:DWORD dst_unused:UNUSED_PAD src0_sel:DWORD src1_sel:BYTE_0
	v_cmp_ne_u16_sdwa s[2:3], v22, s6 src0_sel:BYTE_0 src1_sel:DWORD
	v_mov_b32_e32 v16, 0
	v_cndmask_b32_e64 v1, v23, v1, s[2:3]
	v_cmp_ne_u16_sdwa s[2:3], v22, v16 src0_sel:BYTE_0 src1_sel:DWORD
	v_cndmask_b32_e64 v1, v24, v1, s[2:3]
	v_cmp_eq_f32_e64 s[2:3], v21, v1
	v_cndmask_b32_e64 v2, 0, 1, s[2:3]
	v_cmp_neq_f32_e64 s[2:3], v21, v1
	v_cndmask_b32_e64 v1, 0, 1, s[2:3]
	v_cndmask_b32_e64 v1, v1, v2, s[0:1]
	v_and_b32_e32 v1, 1, v1
	v_and_b32_e32 v3, 0xffff, v1
	v_mov_b32_e32 v2, v16
	v_mov_b32_e32 v1, v16
.LBB319_37:
	s_or_b64 exec, exec, s[4:5]
	s_waitcnt vmcnt(0)
	v_or_b32_e32 v22, 0x100, v0
	v_cmp_gt_i32_e64 s[2:3], s8, v22
	s_and_saveexec_b64 s[4:5], s[2:3]
	s_cbranch_execz .LBB319_39
; %bb.38:
	s_movk_i32 s2, 0xff
	v_mov_b32_e32 v23, 23
	v_lshlrev_b32_sdwa v23, v23, v20 dst_sel:DWORD dst_unused:UNUSED_PAD src0_sel:DWORD src1_sel:BYTE_0
	v_mov_b32_e32 v24, 0x7f800001
	v_cmp_ne_u16_sdwa s[2:3], v20, s2 src0_sel:BYTE_0 src1_sel:DWORD
	v_cndmask_b32_e64 v23, v24, v23, s[2:3]
	v_mov_b32_e32 v24, 0
	v_mov_b32_e32 v25, 0x400000
	v_cmp_ne_u16_sdwa s[2:3], v20, v24 src0_sel:BYTE_0 src1_sel:DWORD
	v_cndmask_b32_e64 v20, v25, v23, s[2:3]
	v_cmp_eq_f32_e64 s[2:3], v21, v20
	v_cndmask_b32_e64 v23, 0, 1, s[2:3]
	v_cmp_neq_f32_e64 s[2:3], v21, v20
	v_cndmask_b32_e64 v20, 0, 1, s[2:3]
	v_cndmask_b32_e64 v20, v20, v23, s[0:1]
	v_mov_b32_e32 v23, 1
	v_and_b32_sdwa v20, v20, v23 dst_sel:BYTE_1 dst_unused:UNUSED_PAD src0_sel:DWORD src1_sel:DWORD
	v_or_b32_sdwa v20, v3, v20 dst_sel:DWORD dst_unused:UNUSED_PAD src0_sel:BYTE_0 src1_sel:DWORD
	v_and_b32_e32 v20, 0xffff, v20
	s_mov_b32 s2, 0xffff0000
	v_and_or_b32 v3, v3, s2, v20
.LBB319_39:
	s_or_b64 exec, exec, s[4:5]
	v_or_b32_e32 v20, 0x200, v0
	v_cmp_gt_i32_e64 s[2:3], s8, v20
	s_and_saveexec_b64 s[4:5], s[2:3]
	s_cbranch_execz .LBB319_41
; %bb.40:
	s_movk_i32 s2, 0xff00
	v_and_b32_sdwa v20, v3, s2 dst_sel:DWORD dst_unused:UNUSED_PAD src0_sel:WORD_1 src1_sel:DWORD
	s_movk_i32 s2, 0xff
	v_mov_b32_e32 v23, 23
	v_lshlrev_b32_sdwa v23, v23, v19 dst_sel:DWORD dst_unused:UNUSED_PAD src0_sel:DWORD src1_sel:BYTE_0
	v_mov_b32_e32 v24, 0x7f800001
	v_cmp_ne_u16_sdwa s[2:3], v19, s2 src0_sel:BYTE_0 src1_sel:DWORD
	v_cndmask_b32_e64 v23, v24, v23, s[2:3]
	v_mov_b32_e32 v24, 0
	v_mov_b32_e32 v25, 0x400000
	v_cmp_ne_u16_sdwa s[2:3], v19, v24 src0_sel:BYTE_0 src1_sel:DWORD
	v_cndmask_b32_e64 v19, v25, v23, s[2:3]
	v_cmp_eq_f32_e64 s[2:3], v21, v19
	v_cndmask_b32_e64 v23, 0, 1, s[2:3]
	v_cmp_neq_f32_e64 s[2:3], v21, v19
	v_cndmask_b32_e64 v19, 0, 1, s[2:3]
	v_cndmask_b32_e64 v19, v19, v23, s[0:1]
	v_and_b32_e32 v19, 1, v19
	v_or_b32_sdwa v19, v19, v20 dst_sel:WORD_1 dst_unused:UNUSED_PAD src0_sel:DWORD src1_sel:DWORD
	s_mov_b32 s2, 0xffff
	v_and_or_b32 v3, v3, s2, v19
.LBB319_41:
	s_or_b64 exec, exec, s[4:5]
	v_or_b32_e32 v19, 0x300, v0
	v_cmp_gt_i32_e64 s[2:3], s8, v19
	s_and_saveexec_b64 s[4:5], s[2:3]
	s_cbranch_execz .LBB319_43
; %bb.42:
	s_movk_i32 s2, 0xff
	v_mov_b32_e32 v20, 23
	v_and_b32_sdwa v19, v3, s2 dst_sel:DWORD dst_unused:UNUSED_PAD src0_sel:WORD_1 src1_sel:DWORD
	v_lshlrev_b32_sdwa v20, v20, v18 dst_sel:DWORD dst_unused:UNUSED_PAD src0_sel:DWORD src1_sel:BYTE_0
	v_mov_b32_e32 v23, 0x7f800001
	v_cmp_ne_u16_sdwa s[2:3], v18, s2 src0_sel:BYTE_0 src1_sel:DWORD
	v_cndmask_b32_e64 v20, v23, v20, s[2:3]
	v_mov_b32_e32 v23, 0
	v_mov_b32_e32 v24, 0x400000
	v_cmp_ne_u16_sdwa s[2:3], v18, v23 src0_sel:BYTE_0 src1_sel:DWORD
	v_cndmask_b32_e64 v18, v24, v20, s[2:3]
	v_cmp_eq_f32_e64 s[2:3], v21, v18
	v_cndmask_b32_e64 v20, 0, 1, s[2:3]
	v_cmp_neq_f32_e64 s[2:3], v21, v18
	v_cndmask_b32_e64 v18, 0, 1, s[2:3]
	v_cndmask_b32_e64 v18, v18, v20, s[0:1]
	v_mov_b32_e32 v20, 1
	v_and_b32_sdwa v18, v18, v20 dst_sel:BYTE_1 dst_unused:UNUSED_PAD src0_sel:DWORD src1_sel:DWORD
	v_or_b32_sdwa v18, v19, v18 dst_sel:WORD_1 dst_unused:UNUSED_PAD src0_sel:DWORD src1_sel:DWORD
	s_mov_b32 s2, 0xffff
	v_and_or_b32 v3, v3, s2, v18
.LBB319_43:
	s_or_b64 exec, exec, s[4:5]
	v_or_b32_e32 v18, 0x400, v0
	v_cmp_gt_i32_e64 s[2:3], s8, v18
	s_and_saveexec_b64 s[4:5], s[2:3]
	s_cbranch_execz .LBB319_45
; %bb.44:
	s_movk_i32 s2, 0xff
	v_mov_b32_e32 v19, 23
	v_lshlrev_b32_sdwa v19, v19, v17 dst_sel:DWORD dst_unused:UNUSED_PAD src0_sel:DWORD src1_sel:BYTE_0
	v_mov_b32_e32 v20, 0x7f800001
	v_cmp_ne_u16_sdwa s[2:3], v17, s2 src0_sel:BYTE_0 src1_sel:DWORD
	v_cndmask_b32_e64 v19, v20, v19, s[2:3]
	v_mov_b32_e32 v20, 0
	v_mov_b32_e32 v23, 0x400000
	v_cmp_ne_u16_sdwa s[2:3], v17, v20 src0_sel:BYTE_0 src1_sel:DWORD
	v_cndmask_b32_e64 v17, v23, v19, s[2:3]
	v_cmp_eq_f32_e64 s[2:3], v21, v17
	v_cndmask_b32_e64 v19, 0, 1, s[2:3]
	v_cmp_neq_f32_e64 s[2:3], v21, v17
	v_cndmask_b32_e64 v17, 0, 1, s[2:3]
	v_cndmask_b32_e64 v17, v17, v19, s[0:1]
	v_and_b32_e32 v18, 0xffffff00, v16
	v_and_b32_e32 v17, 1, v17
	v_or_b32_e32 v17, v17, v18
	v_and_b32_e32 v17, 0xffff, v17
	s_mov_b32 s2, 0xffff0000
	v_and_or_b32 v16, v16, s2, v17
.LBB319_45:
	s_or_b64 exec, exec, s[4:5]
	v_or_b32_e32 v17, 0x500, v0
	v_cmp_gt_i32_e64 s[2:3], s8, v17
	s_and_saveexec_b64 s[4:5], s[2:3]
	s_cbranch_execz .LBB319_47
; %bb.46:
	s_movk_i32 s2, 0xff
	v_mov_b32_e32 v17, 23
	v_lshlrev_b32_sdwa v17, v17, v15 dst_sel:DWORD dst_unused:UNUSED_PAD src0_sel:DWORD src1_sel:BYTE_0
	v_mov_b32_e32 v18, 0x7f800001
	v_cmp_ne_u16_sdwa s[2:3], v15, s2 src0_sel:BYTE_0 src1_sel:DWORD
	v_cndmask_b32_e64 v17, v18, v17, s[2:3]
	v_mov_b32_e32 v18, 0
	v_mov_b32_e32 v19, 0x400000
	v_cmp_ne_u16_sdwa s[2:3], v15, v18 src0_sel:BYTE_0 src1_sel:DWORD
	v_cndmask_b32_e64 v15, v19, v17, s[2:3]
	v_cmp_eq_f32_e64 s[2:3], v21, v15
	v_cndmask_b32_e64 v17, 0, 1, s[2:3]
	v_cmp_neq_f32_e64 s[2:3], v21, v15
	v_cndmask_b32_e64 v15, 0, 1, s[2:3]
	v_cndmask_b32_e64 v15, v15, v17, s[0:1]
	v_mov_b32_e32 v17, 1
	v_and_b32_sdwa v15, v15, v17 dst_sel:BYTE_1 dst_unused:UNUSED_PAD src0_sel:DWORD src1_sel:DWORD
	v_or_b32_sdwa v15, v16, v15 dst_sel:DWORD dst_unused:UNUSED_PAD src0_sel:BYTE_0 src1_sel:DWORD
	v_and_b32_e32 v15, 0xffff, v15
	s_mov_b32 s2, 0xffff0000
	v_and_or_b32 v16, v16, s2, v15
.LBB319_47:
	s_or_b64 exec, exec, s[4:5]
	v_or_b32_e32 v15, 0x600, v0
	v_cmp_gt_i32_e64 s[2:3], s8, v15
	s_and_saveexec_b64 s[4:5], s[2:3]
	s_cbranch_execz .LBB319_49
; %bb.48:
	s_movk_i32 s2, 0xff00
	v_and_b32_sdwa v15, v16, s2 dst_sel:DWORD dst_unused:UNUSED_PAD src0_sel:WORD_1 src1_sel:DWORD
	s_movk_i32 s2, 0xff
	v_mov_b32_e32 v17, 23
	v_lshlrev_b32_sdwa v17, v17, v14 dst_sel:DWORD dst_unused:UNUSED_PAD src0_sel:DWORD src1_sel:BYTE_0
	v_mov_b32_e32 v18, 0x7f800001
	v_cmp_ne_u16_sdwa s[2:3], v14, s2 src0_sel:BYTE_0 src1_sel:DWORD
	v_cndmask_b32_e64 v17, v18, v17, s[2:3]
	v_mov_b32_e32 v18, 0
	v_mov_b32_e32 v19, 0x400000
	v_cmp_ne_u16_sdwa s[2:3], v14, v18 src0_sel:BYTE_0 src1_sel:DWORD
	v_cndmask_b32_e64 v14, v19, v17, s[2:3]
	v_cmp_eq_f32_e64 s[2:3], v21, v14
	v_cndmask_b32_e64 v17, 0, 1, s[2:3]
	v_cmp_neq_f32_e64 s[2:3], v21, v14
	v_cndmask_b32_e64 v14, 0, 1, s[2:3]
	v_cndmask_b32_e64 v14, v14, v17, s[0:1]
	v_and_b32_e32 v14, 1, v14
	v_or_b32_sdwa v14, v14, v15 dst_sel:WORD_1 dst_unused:UNUSED_PAD src0_sel:DWORD src1_sel:DWORD
	s_mov_b32 s2, 0xffff
	v_and_or_b32 v16, v16, s2, v14
.LBB319_49:
	s_or_b64 exec, exec, s[4:5]
	v_or_b32_e32 v14, 0x700, v0
	v_cmp_gt_i32_e64 s[2:3], s8, v14
	s_and_saveexec_b64 s[4:5], s[2:3]
	s_cbranch_execz .LBB319_51
; %bb.50:
	s_movk_i32 s2, 0xff
	v_mov_b32_e32 v15, 23
	v_and_b32_sdwa v14, v16, s2 dst_sel:DWORD dst_unused:UNUSED_PAD src0_sel:WORD_1 src1_sel:DWORD
	v_lshlrev_b32_sdwa v15, v15, v13 dst_sel:DWORD dst_unused:UNUSED_PAD src0_sel:DWORD src1_sel:BYTE_0
	v_mov_b32_e32 v17, 0x7f800001
	v_cmp_ne_u16_sdwa s[2:3], v13, s2 src0_sel:BYTE_0 src1_sel:DWORD
	v_cndmask_b32_e64 v15, v17, v15, s[2:3]
	v_mov_b32_e32 v17, 0
	v_mov_b32_e32 v18, 0x400000
	v_cmp_ne_u16_sdwa s[2:3], v13, v17 src0_sel:BYTE_0 src1_sel:DWORD
	v_cndmask_b32_e64 v13, v18, v15, s[2:3]
	v_cmp_eq_f32_e64 s[2:3], v21, v13
	v_cndmask_b32_e64 v15, 0, 1, s[2:3]
	v_cmp_neq_f32_e64 s[2:3], v21, v13
	v_cndmask_b32_e64 v13, 0, 1, s[2:3]
	v_cndmask_b32_e64 v13, v13, v15, s[0:1]
	v_mov_b32_e32 v15, 1
	v_and_b32_sdwa v13, v13, v15 dst_sel:BYTE_1 dst_unused:UNUSED_PAD src0_sel:DWORD src1_sel:DWORD
	v_or_b32_sdwa v13, v14, v13 dst_sel:WORD_1 dst_unused:UNUSED_PAD src0_sel:DWORD src1_sel:DWORD
	s_mov_b32 s2, 0xffff
	v_and_or_b32 v16, v16, s2, v13
.LBB319_51:
	s_or_b64 exec, exec, s[4:5]
	v_or_b32_e32 v13, 0x800, v0
	v_cmp_gt_i32_e64 s[2:3], s8, v13
	s_and_saveexec_b64 s[4:5], s[2:3]
	s_cbranch_execz .LBB319_53
; %bb.52:
	s_movk_i32 s2, 0xff
	v_mov_b32_e32 v14, 23
	v_lshlrev_b32_sdwa v14, v14, v12 dst_sel:DWORD dst_unused:UNUSED_PAD src0_sel:DWORD src1_sel:BYTE_0
	v_mov_b32_e32 v15, 0x7f800001
	v_cmp_ne_u16_sdwa s[2:3], v12, s2 src0_sel:BYTE_0 src1_sel:DWORD
	v_cndmask_b32_e64 v14, v15, v14, s[2:3]
	v_mov_b32_e32 v15, 0
	v_mov_b32_e32 v17, 0x400000
	v_cmp_ne_u16_sdwa s[2:3], v12, v15 src0_sel:BYTE_0 src1_sel:DWORD
	v_cndmask_b32_e64 v12, v17, v14, s[2:3]
	v_cmp_eq_f32_e64 s[2:3], v21, v12
	v_cndmask_b32_e64 v14, 0, 1, s[2:3]
	v_cmp_neq_f32_e64 s[2:3], v21, v12
	v_cndmask_b32_e64 v12, 0, 1, s[2:3]
	v_cndmask_b32_e64 v12, v12, v14, s[0:1]
	v_and_b32_e32 v13, 0xffffff00, v2
	v_and_b32_e32 v12, 1, v12
	v_or_b32_e32 v12, v12, v13
	v_and_b32_e32 v12, 0xffff, v12
	s_mov_b32 s2, 0xffff0000
	v_and_or_b32 v2, v2, s2, v12
.LBB319_53:
	s_or_b64 exec, exec, s[4:5]
	v_or_b32_e32 v12, 0x900, v0
	v_cmp_gt_i32_e64 s[2:3], s8, v12
	s_and_saveexec_b64 s[4:5], s[2:3]
	s_cbranch_execz .LBB319_55
; %bb.54:
	s_movk_i32 s2, 0xff
	v_mov_b32_e32 v12, 23
	v_lshlrev_b32_sdwa v12, v12, v11 dst_sel:DWORD dst_unused:UNUSED_PAD src0_sel:DWORD src1_sel:BYTE_0
	v_mov_b32_e32 v13, 0x7f800001
	v_cmp_ne_u16_sdwa s[2:3], v11, s2 src0_sel:BYTE_0 src1_sel:DWORD
	v_cndmask_b32_e64 v12, v13, v12, s[2:3]
	v_mov_b32_e32 v13, 0
	v_mov_b32_e32 v14, 0x400000
	v_cmp_ne_u16_sdwa s[2:3], v11, v13 src0_sel:BYTE_0 src1_sel:DWORD
	v_cndmask_b32_e64 v11, v14, v12, s[2:3]
	v_cmp_eq_f32_e64 s[2:3], v21, v11
	v_cndmask_b32_e64 v12, 0, 1, s[2:3]
	v_cmp_neq_f32_e64 s[2:3], v21, v11
	v_cndmask_b32_e64 v11, 0, 1, s[2:3]
	v_cndmask_b32_e64 v11, v11, v12, s[0:1]
	v_mov_b32_e32 v12, 1
	v_and_b32_sdwa v11, v11, v12 dst_sel:BYTE_1 dst_unused:UNUSED_PAD src0_sel:DWORD src1_sel:DWORD
	v_or_b32_sdwa v11, v2, v11 dst_sel:DWORD dst_unused:UNUSED_PAD src0_sel:BYTE_0 src1_sel:DWORD
	v_and_b32_e32 v11, 0xffff, v11
	s_mov_b32 s2, 0xffff0000
	v_and_or_b32 v2, v2, s2, v11
.LBB319_55:
	s_or_b64 exec, exec, s[4:5]
	v_or_b32_e32 v11, 0xa00, v0
	v_cmp_gt_i32_e64 s[2:3], s8, v11
	s_and_saveexec_b64 s[4:5], s[2:3]
	s_cbranch_execz .LBB319_57
; %bb.56:
	s_movk_i32 s2, 0xff00
	v_and_b32_sdwa v11, v2, s2 dst_sel:DWORD dst_unused:UNUSED_PAD src0_sel:WORD_1 src1_sel:DWORD
	s_movk_i32 s2, 0xff
	v_mov_b32_e32 v12, 23
	v_lshlrev_b32_sdwa v12, v12, v10 dst_sel:DWORD dst_unused:UNUSED_PAD src0_sel:DWORD src1_sel:BYTE_0
	v_mov_b32_e32 v13, 0x7f800001
	v_cmp_ne_u16_sdwa s[2:3], v10, s2 src0_sel:BYTE_0 src1_sel:DWORD
	v_cndmask_b32_e64 v12, v13, v12, s[2:3]
	v_mov_b32_e32 v13, 0
	v_mov_b32_e32 v14, 0x400000
	v_cmp_ne_u16_sdwa s[2:3], v10, v13 src0_sel:BYTE_0 src1_sel:DWORD
	v_cndmask_b32_e64 v10, v14, v12, s[2:3]
	v_cmp_eq_f32_e64 s[2:3], v21, v10
	v_cndmask_b32_e64 v12, 0, 1, s[2:3]
	v_cmp_neq_f32_e64 s[2:3], v21, v10
	v_cndmask_b32_e64 v10, 0, 1, s[2:3]
	v_cndmask_b32_e64 v10, v10, v12, s[0:1]
	v_and_b32_e32 v10, 1, v10
	v_or_b32_sdwa v10, v10, v11 dst_sel:WORD_1 dst_unused:UNUSED_PAD src0_sel:DWORD src1_sel:DWORD
	s_mov_b32 s2, 0xffff
	v_and_or_b32 v2, v2, s2, v10
.LBB319_57:
	s_or_b64 exec, exec, s[4:5]
	v_or_b32_e32 v10, 0xb00, v0
	v_cmp_gt_i32_e64 s[2:3], s8, v10
	s_and_saveexec_b64 s[4:5], s[2:3]
	s_cbranch_execz .LBB319_59
; %bb.58:
	s_movk_i32 s2, 0xff
	v_mov_b32_e32 v11, 23
	v_and_b32_sdwa v10, v2, s2 dst_sel:DWORD dst_unused:UNUSED_PAD src0_sel:WORD_1 src1_sel:DWORD
	v_lshlrev_b32_sdwa v11, v11, v9 dst_sel:DWORD dst_unused:UNUSED_PAD src0_sel:DWORD src1_sel:BYTE_0
	v_mov_b32_e32 v12, 0x7f800001
	v_cmp_ne_u16_sdwa s[2:3], v9, s2 src0_sel:BYTE_0 src1_sel:DWORD
	v_cndmask_b32_e64 v11, v12, v11, s[2:3]
	v_mov_b32_e32 v12, 0
	v_mov_b32_e32 v13, 0x400000
	v_cmp_ne_u16_sdwa s[2:3], v9, v12 src0_sel:BYTE_0 src1_sel:DWORD
	v_cndmask_b32_e64 v9, v13, v11, s[2:3]
	v_cmp_eq_f32_e64 s[2:3], v21, v9
	v_cndmask_b32_e64 v11, 0, 1, s[2:3]
	v_cmp_neq_f32_e64 s[2:3], v21, v9
	v_cndmask_b32_e64 v9, 0, 1, s[2:3]
	v_cndmask_b32_e64 v9, v9, v11, s[0:1]
	v_mov_b32_e32 v11, 1
	v_and_b32_sdwa v9, v9, v11 dst_sel:BYTE_1 dst_unused:UNUSED_PAD src0_sel:DWORD src1_sel:DWORD
	v_or_b32_sdwa v9, v10, v9 dst_sel:WORD_1 dst_unused:UNUSED_PAD src0_sel:DWORD src1_sel:DWORD
	s_mov_b32 s2, 0xffff
	v_and_or_b32 v2, v2, s2, v9
.LBB319_59:
	s_or_b64 exec, exec, s[4:5]
	v_or_b32_e32 v9, 0xc00, v0
	v_cmp_gt_i32_e64 s[2:3], s8, v9
	s_and_saveexec_b64 s[4:5], s[2:3]
	s_cbranch_execz .LBB319_61
; %bb.60:
	s_movk_i32 s2, 0xff
	v_mov_b32_e32 v10, 23
	v_lshlrev_b32_sdwa v10, v10, v8 dst_sel:DWORD dst_unused:UNUSED_PAD src0_sel:DWORD src1_sel:BYTE_0
	v_mov_b32_e32 v11, 0x7f800001
	v_cmp_ne_u16_sdwa s[2:3], v8, s2 src0_sel:BYTE_0 src1_sel:DWORD
	v_cndmask_b32_e64 v10, v11, v10, s[2:3]
	v_mov_b32_e32 v11, 0
	v_mov_b32_e32 v12, 0x400000
	v_cmp_ne_u16_sdwa s[2:3], v8, v11 src0_sel:BYTE_0 src1_sel:DWORD
	v_cndmask_b32_e64 v8, v12, v10, s[2:3]
	v_cmp_eq_f32_e64 s[2:3], v21, v8
	v_cndmask_b32_e64 v10, 0, 1, s[2:3]
	v_cmp_neq_f32_e64 s[2:3], v21, v8
	v_cndmask_b32_e64 v8, 0, 1, s[2:3]
	v_cndmask_b32_e64 v8, v8, v10, s[0:1]
	v_and_b32_e32 v9, 0xffffff00, v1
	v_and_b32_e32 v8, 1, v8
	v_or_b32_e32 v8, v8, v9
	v_and_b32_e32 v8, 0xffff, v8
	s_mov_b32 s2, 0xffff0000
	v_and_or_b32 v1, v1, s2, v8
.LBB319_61:
	s_or_b64 exec, exec, s[4:5]
	v_or_b32_e32 v8, 0xd00, v0
	v_cmp_gt_i32_e64 s[2:3], s8, v8
	s_and_saveexec_b64 s[4:5], s[2:3]
	s_cbranch_execz .LBB319_63
; %bb.62:
	s_movk_i32 s2, 0xff
	v_mov_b32_e32 v8, 23
	v_lshlrev_b32_sdwa v8, v8, v7 dst_sel:DWORD dst_unused:UNUSED_PAD src0_sel:DWORD src1_sel:BYTE_0
	v_mov_b32_e32 v9, 0x7f800001
	v_cmp_ne_u16_sdwa s[2:3], v7, s2 src0_sel:BYTE_0 src1_sel:DWORD
	v_cndmask_b32_e64 v8, v9, v8, s[2:3]
	v_mov_b32_e32 v9, 0
	v_mov_b32_e32 v10, 0x400000
	v_cmp_ne_u16_sdwa s[2:3], v7, v9 src0_sel:BYTE_0 src1_sel:DWORD
	v_cndmask_b32_e64 v7, v10, v8, s[2:3]
	v_cmp_eq_f32_e64 s[2:3], v21, v7
	v_cndmask_b32_e64 v8, 0, 1, s[2:3]
	v_cmp_neq_f32_e64 s[2:3], v21, v7
	v_cndmask_b32_e64 v7, 0, 1, s[2:3]
	v_cndmask_b32_e64 v7, v7, v8, s[0:1]
	v_mov_b32_e32 v8, 1
	v_and_b32_sdwa v7, v7, v8 dst_sel:BYTE_1 dst_unused:UNUSED_PAD src0_sel:DWORD src1_sel:DWORD
	v_or_b32_sdwa v7, v1, v7 dst_sel:DWORD dst_unused:UNUSED_PAD src0_sel:BYTE_0 src1_sel:DWORD
	v_and_b32_e32 v7, 0xffff, v7
	s_mov_b32 s2, 0xffff0000
	v_and_or_b32 v1, v1, s2, v7
.LBB319_63:
	s_or_b64 exec, exec, s[4:5]
	v_or_b32_e32 v7, 0xe00, v0
	v_cmp_gt_i32_e64 s[2:3], s8, v7
	s_and_saveexec_b64 s[4:5], s[2:3]
	s_cbranch_execz .LBB319_65
; %bb.64:
	s_movk_i32 s2, 0xff00
	v_and_b32_sdwa v7, v1, s2 dst_sel:DWORD dst_unused:UNUSED_PAD src0_sel:WORD_1 src1_sel:DWORD
	s_movk_i32 s2, 0xff
	v_mov_b32_e32 v8, 23
	v_lshlrev_b32_sdwa v8, v8, v6 dst_sel:DWORD dst_unused:UNUSED_PAD src0_sel:DWORD src1_sel:BYTE_0
	v_mov_b32_e32 v9, 0x7f800001
	v_cmp_ne_u16_sdwa s[2:3], v6, s2 src0_sel:BYTE_0 src1_sel:DWORD
	v_cndmask_b32_e64 v8, v9, v8, s[2:3]
	v_mov_b32_e32 v9, 0
	v_mov_b32_e32 v10, 0x400000
	v_cmp_ne_u16_sdwa s[2:3], v6, v9 src0_sel:BYTE_0 src1_sel:DWORD
	v_cndmask_b32_e64 v6, v10, v8, s[2:3]
	v_cmp_eq_f32_e64 s[2:3], v21, v6
	v_cndmask_b32_e64 v8, 0, 1, s[2:3]
	v_cmp_neq_f32_e64 s[2:3], v21, v6
	v_cndmask_b32_e64 v6, 0, 1, s[2:3]
	v_cndmask_b32_e64 v6, v6, v8, s[0:1]
	v_and_b32_e32 v6, 1, v6
	v_or_b32_sdwa v6, v6, v7 dst_sel:WORD_1 dst_unused:UNUSED_PAD src0_sel:DWORD src1_sel:DWORD
	s_mov_b32 s2, 0xffff
	v_and_or_b32 v1, v1, s2, v6
.LBB319_65:
	s_or_b64 exec, exec, s[4:5]
	v_or_b32_e32 v6, 0xf00, v0
	v_cmp_gt_i32_e64 s[2:3], s8, v6
	s_and_saveexec_b64 s[4:5], s[2:3]
	s_cbranch_execnz .LBB319_84
; %bb.66:
	s_or_b64 exec, exec, s[4:5]
	s_and_saveexec_b64 s[0:1], vcc
	s_xor_b64 s[0:1], exec, s[0:1]
	s_cbranch_execnz .LBB319_85
.LBB319_67:
	s_or_b64 exec, exec, s[0:1]
	v_cmp_gt_i32_e32 vcc, s8, v0
	s_and_saveexec_b64 s[0:1], vcc
	s_cbranch_execnz .LBB319_86
.LBB319_68:
	s_or_b64 exec, exec, s[0:1]
	v_cmp_gt_i32_e32 vcc, s8, v0
	s_and_saveexec_b64 s[0:1], vcc
	s_cbranch_execnz .LBB319_87
.LBB319_69:
	s_or_b64 exec, exec, s[0:1]
	v_cmp_gt_i32_e32 vcc, s8, v0
	s_and_saveexec_b64 s[0:1], vcc
	s_cbranch_execnz .LBB319_88
.LBB319_70:
	s_or_b64 exec, exec, s[0:1]
	v_cmp_gt_i32_e32 vcc, s8, v0
	s_and_saveexec_b64 s[0:1], vcc
	s_cbranch_execnz .LBB319_89
.LBB319_71:
	s_or_b64 exec, exec, s[0:1]
	v_cmp_gt_i32_e32 vcc, s8, v0
	s_and_saveexec_b64 s[0:1], vcc
	s_cbranch_execnz .LBB319_90
.LBB319_72:
	s_or_b64 exec, exec, s[0:1]
	v_cmp_gt_i32_e32 vcc, s8, v0
	s_and_saveexec_b64 s[0:1], vcc
	s_cbranch_execnz .LBB319_91
.LBB319_73:
	s_or_b64 exec, exec, s[0:1]
	v_cmp_gt_i32_e32 vcc, s8, v0
	s_and_saveexec_b64 s[0:1], vcc
	s_cbranch_execnz .LBB319_92
.LBB319_74:
	s_or_b64 exec, exec, s[0:1]
	v_cmp_gt_i32_e32 vcc, s8, v0
	s_and_saveexec_b64 s[0:1], vcc
	s_cbranch_execnz .LBB319_93
.LBB319_75:
	s_or_b64 exec, exec, s[0:1]
	v_cmp_gt_i32_e32 vcc, s8, v0
	s_and_saveexec_b64 s[0:1], vcc
	s_cbranch_execnz .LBB319_94
.LBB319_76:
	s_or_b64 exec, exec, s[0:1]
	v_cmp_gt_i32_e32 vcc, s8, v0
	s_and_saveexec_b64 s[0:1], vcc
	s_cbranch_execnz .LBB319_95
.LBB319_77:
	s_or_b64 exec, exec, s[0:1]
	v_cmp_gt_i32_e32 vcc, s8, v0
	s_and_saveexec_b64 s[0:1], vcc
	s_cbranch_execnz .LBB319_96
.LBB319_78:
	s_or_b64 exec, exec, s[0:1]
	v_cmp_gt_i32_e32 vcc, s8, v0
	s_and_saveexec_b64 s[0:1], vcc
	s_cbranch_execnz .LBB319_97
.LBB319_79:
	s_or_b64 exec, exec, s[0:1]
	v_cmp_gt_i32_e32 vcc, s8, v0
	s_and_saveexec_b64 s[0:1], vcc
	s_cbranch_execnz .LBB319_98
.LBB319_80:
	s_or_b64 exec, exec, s[0:1]
	v_cmp_gt_i32_e32 vcc, s8, v0
	s_and_saveexec_b64 s[0:1], vcc
	s_cbranch_execnz .LBB319_99
.LBB319_81:
	s_or_b64 exec, exec, s[0:1]
	v_cmp_gt_i32_e32 vcc, s8, v0
	s_and_saveexec_b64 s[0:1], vcc
	s_cbranch_execz .LBB319_83
.LBB319_82:
	v_lshrrev_b32_e32 v1, 24, v1
	v_add_u32_e32 v0, s11, v0
	global_store_byte v0, v1, s[12:13]
.LBB319_83:
	s_endpgm
.LBB319_84:
	s_movk_i32 s2, 0xff
	v_mov_b32_e32 v7, 23
	v_and_b32_sdwa v6, v1, s2 dst_sel:DWORD dst_unused:UNUSED_PAD src0_sel:WORD_1 src1_sel:DWORD
	v_lshlrev_b32_sdwa v7, v7, v5 dst_sel:DWORD dst_unused:UNUSED_PAD src0_sel:DWORD src1_sel:BYTE_0
	v_mov_b32_e32 v8, 0x7f800001
	v_cmp_ne_u16_sdwa s[2:3], v5, s2 src0_sel:BYTE_0 src1_sel:DWORD
	v_cndmask_b32_e64 v7, v8, v7, s[2:3]
	v_mov_b32_e32 v8, 0
	v_mov_b32_e32 v9, 0x400000
	v_cmp_ne_u16_sdwa s[2:3], v5, v8 src0_sel:BYTE_0 src1_sel:DWORD
	v_cndmask_b32_e64 v5, v9, v7, s[2:3]
	v_cmp_eq_f32_e64 s[2:3], v21, v5
	v_cndmask_b32_e64 v7, 0, 1, s[2:3]
	v_cmp_neq_f32_e64 s[2:3], v21, v5
	v_cndmask_b32_e64 v5, 0, 1, s[2:3]
	v_cndmask_b32_e64 v5, v5, v7, s[0:1]
	v_mov_b32_e32 v7, 1
	v_and_b32_sdwa v5, v5, v7 dst_sel:BYTE_1 dst_unused:UNUSED_PAD src0_sel:DWORD src1_sel:DWORD
	v_or_b32_sdwa v5, v6, v5 dst_sel:WORD_1 dst_unused:UNUSED_PAD src0_sel:DWORD src1_sel:DWORD
	s_mov_b32 s0, 0xffff
	v_and_or_b32 v1, v1, s0, v5
	s_or_b64 exec, exec, s[4:5]
	s_and_saveexec_b64 s[0:1], vcc
	s_xor_b64 s[0:1], exec, s[0:1]
	s_cbranch_execz .LBB319_67
.LBB319_85:
	v_mov_b32_e32 v0, v22
	global_store_byte v4, v3, s[12:13]
	s_or_b64 exec, exec, s[0:1]
	v_cmp_gt_i32_e32 vcc, s8, v0
	s_and_saveexec_b64 s[0:1], vcc
	s_cbranch_execz .LBB319_68
.LBB319_86:
	v_lshrrev_b32_e32 v4, 8, v3
	v_add_u32_e32 v5, s11, v0
	v_add_u32_e32 v0, 0x100, v0
	global_store_byte v5, v4, s[12:13]
	s_or_b64 exec, exec, s[0:1]
	v_cmp_gt_i32_e32 vcc, s8, v0
	s_and_saveexec_b64 s[0:1], vcc
	s_cbranch_execz .LBB319_69
.LBB319_87:
	v_add_u32_e32 v4, s11, v0
	v_add_u32_e32 v0, 0x100, v0
	global_store_byte_d16_hi v4, v3, s[12:13]
	s_or_b64 exec, exec, s[0:1]
	v_cmp_gt_i32_e32 vcc, s8, v0
	s_and_saveexec_b64 s[0:1], vcc
	s_cbranch_execz .LBB319_70
.LBB319_88:
	v_lshrrev_b32_e32 v3, 24, v3
	v_add_u32_e32 v4, s11, v0
	v_add_u32_e32 v0, 0x100, v0
	global_store_byte v4, v3, s[12:13]
	s_or_b64 exec, exec, s[0:1]
	v_cmp_gt_i32_e32 vcc, s8, v0
	s_and_saveexec_b64 s[0:1], vcc
	s_cbranch_execz .LBB319_71
.LBB319_89:
	v_add_u32_e32 v3, s11, v0
	v_add_u32_e32 v0, 0x100, v0
	global_store_byte v3, v16, s[12:13]
	s_or_b64 exec, exec, s[0:1]
	v_cmp_gt_i32_e32 vcc, s8, v0
	s_and_saveexec_b64 s[0:1], vcc
	s_cbranch_execz .LBB319_72
.LBB319_90:
	v_lshrrev_b32_e32 v3, 8, v16
	v_add_u32_e32 v4, s11, v0
	v_add_u32_e32 v0, 0x100, v0
	global_store_byte v4, v3, s[12:13]
	s_or_b64 exec, exec, s[0:1]
	v_cmp_gt_i32_e32 vcc, s8, v0
	s_and_saveexec_b64 s[0:1], vcc
	s_cbranch_execz .LBB319_73
.LBB319_91:
	v_add_u32_e32 v3, s11, v0
	v_add_u32_e32 v0, 0x100, v0
	global_store_byte_d16_hi v3, v16, s[12:13]
	s_or_b64 exec, exec, s[0:1]
	v_cmp_gt_i32_e32 vcc, s8, v0
	s_and_saveexec_b64 s[0:1], vcc
	s_cbranch_execz .LBB319_74
.LBB319_92:
	v_lshrrev_b32_e32 v3, 24, v16
	v_add_u32_e32 v4, s11, v0
	v_add_u32_e32 v0, 0x100, v0
	global_store_byte v4, v3, s[12:13]
	s_or_b64 exec, exec, s[0:1]
	v_cmp_gt_i32_e32 vcc, s8, v0
	s_and_saveexec_b64 s[0:1], vcc
	s_cbranch_execz .LBB319_75
.LBB319_93:
	v_add_u32_e32 v3, s11, v0
	v_add_u32_e32 v0, 0x100, v0
	global_store_byte v3, v2, s[12:13]
	s_or_b64 exec, exec, s[0:1]
	v_cmp_gt_i32_e32 vcc, s8, v0
	s_and_saveexec_b64 s[0:1], vcc
	s_cbranch_execz .LBB319_76
.LBB319_94:
	v_lshrrev_b32_e32 v3, 8, v2
	v_add_u32_e32 v4, s11, v0
	v_add_u32_e32 v0, 0x100, v0
	global_store_byte v4, v3, s[12:13]
	s_or_b64 exec, exec, s[0:1]
	v_cmp_gt_i32_e32 vcc, s8, v0
	s_and_saveexec_b64 s[0:1], vcc
	s_cbranch_execz .LBB319_77
.LBB319_95:
	v_add_u32_e32 v3, s11, v0
	v_add_u32_e32 v0, 0x100, v0
	global_store_byte_d16_hi v3, v2, s[12:13]
	s_or_b64 exec, exec, s[0:1]
	v_cmp_gt_i32_e32 vcc, s8, v0
	s_and_saveexec_b64 s[0:1], vcc
	s_cbranch_execz .LBB319_78
.LBB319_96:
	v_lshrrev_b32_e32 v2, 24, v2
	v_add_u32_e32 v3, s11, v0
	v_add_u32_e32 v0, 0x100, v0
	global_store_byte v3, v2, s[12:13]
	s_or_b64 exec, exec, s[0:1]
	v_cmp_gt_i32_e32 vcc, s8, v0
	s_and_saveexec_b64 s[0:1], vcc
	s_cbranch_execz .LBB319_79
.LBB319_97:
	v_add_u32_e32 v2, s11, v0
	v_add_u32_e32 v0, 0x100, v0
	global_store_byte v2, v1, s[12:13]
	s_or_b64 exec, exec, s[0:1]
	v_cmp_gt_i32_e32 vcc, s8, v0
	s_and_saveexec_b64 s[0:1], vcc
	s_cbranch_execz .LBB319_80
.LBB319_98:
	v_lshrrev_b32_e32 v2, 8, v1
	v_add_u32_e32 v3, s11, v0
	v_add_u32_e32 v0, 0x100, v0
	global_store_byte v3, v2, s[12:13]
	s_or_b64 exec, exec, s[0:1]
	v_cmp_gt_i32_e32 vcc, s8, v0
	s_and_saveexec_b64 s[0:1], vcc
	s_cbranch_execz .LBB319_81
.LBB319_99:
	v_add_u32_e32 v2, s11, v0
	v_add_u32_e32 v0, 0x100, v0
	global_store_byte_d16_hi v2, v1, s[12:13]
	s_or_b64 exec, exec, s[0:1]
	v_cmp_gt_i32_e32 vcc, s8, v0
	s_and_saveexec_b64 s[0:1], vcc
	s_cbranch_execnz .LBB319_82
	s_branch .LBB319_83
	.section	.rodata,"a",@progbits
	.p2align	6, 0x0
	.amdhsa_kernel _ZN2at6native29vectorized_elementwise_kernelILi4ENS0_13AUnaryFunctorIN3c1014Float8_e8m0fnuES4_bNS0_12_GLOBAL__N_116CompareEqFunctorIS4_EEEESt5arrayIPcLm2EEEEviT0_T1_
		.amdhsa_group_segment_fixed_size 0
		.amdhsa_private_segment_fixed_size 0
		.amdhsa_kernarg_size 32
		.amdhsa_user_sgpr_count 6
		.amdhsa_user_sgpr_private_segment_buffer 1
		.amdhsa_user_sgpr_dispatch_ptr 0
		.amdhsa_user_sgpr_queue_ptr 0
		.amdhsa_user_sgpr_kernarg_segment_ptr 1
		.amdhsa_user_sgpr_dispatch_id 0
		.amdhsa_user_sgpr_flat_scratch_init 0
		.amdhsa_user_sgpr_private_segment_size 0
		.amdhsa_uses_dynamic_stack 0
		.amdhsa_system_sgpr_private_segment_wavefront_offset 0
		.amdhsa_system_sgpr_workgroup_id_x 1
		.amdhsa_system_sgpr_workgroup_id_y 0
		.amdhsa_system_sgpr_workgroup_id_z 0
		.amdhsa_system_sgpr_workgroup_info 0
		.amdhsa_system_vgpr_workitem_id 0
		.amdhsa_next_free_vgpr 26
		.amdhsa_next_free_sgpr 42
		.amdhsa_reserve_vcc 1
		.amdhsa_reserve_flat_scratch 0
		.amdhsa_float_round_mode_32 0
		.amdhsa_float_round_mode_16_64 0
		.amdhsa_float_denorm_mode_32 3
		.amdhsa_float_denorm_mode_16_64 3
		.amdhsa_dx10_clamp 1
		.amdhsa_ieee_mode 1
		.amdhsa_fp16_overflow 0
		.amdhsa_exception_fp_ieee_invalid_op 0
		.amdhsa_exception_fp_denorm_src 0
		.amdhsa_exception_fp_ieee_div_zero 0
		.amdhsa_exception_fp_ieee_overflow 0
		.amdhsa_exception_fp_ieee_underflow 0
		.amdhsa_exception_fp_ieee_inexact 0
		.amdhsa_exception_int_div_zero 0
	.end_amdhsa_kernel
	.section	.text._ZN2at6native29vectorized_elementwise_kernelILi4ENS0_13AUnaryFunctorIN3c1014Float8_e8m0fnuES4_bNS0_12_GLOBAL__N_116CompareEqFunctorIS4_EEEESt5arrayIPcLm2EEEEviT0_T1_,"axG",@progbits,_ZN2at6native29vectorized_elementwise_kernelILi4ENS0_13AUnaryFunctorIN3c1014Float8_e8m0fnuES4_bNS0_12_GLOBAL__N_116CompareEqFunctorIS4_EEEESt5arrayIPcLm2EEEEviT0_T1_,comdat
.Lfunc_end319:
	.size	_ZN2at6native29vectorized_elementwise_kernelILi4ENS0_13AUnaryFunctorIN3c1014Float8_e8m0fnuES4_bNS0_12_GLOBAL__N_116CompareEqFunctorIS4_EEEESt5arrayIPcLm2EEEEviT0_T1_, .Lfunc_end319-_ZN2at6native29vectorized_elementwise_kernelILi4ENS0_13AUnaryFunctorIN3c1014Float8_e8m0fnuES4_bNS0_12_GLOBAL__N_116CompareEqFunctorIS4_EEEESt5arrayIPcLm2EEEEviT0_T1_
                                        ; -- End function
	.set _ZN2at6native29vectorized_elementwise_kernelILi4ENS0_13AUnaryFunctorIN3c1014Float8_e8m0fnuES4_bNS0_12_GLOBAL__N_116CompareEqFunctorIS4_EEEESt5arrayIPcLm2EEEEviT0_T1_.num_vgpr, 26
	.set _ZN2at6native29vectorized_elementwise_kernelILi4ENS0_13AUnaryFunctorIN3c1014Float8_e8m0fnuES4_bNS0_12_GLOBAL__N_116CompareEqFunctorIS4_EEEESt5arrayIPcLm2EEEEviT0_T1_.num_agpr, 0
	.set _ZN2at6native29vectorized_elementwise_kernelILi4ENS0_13AUnaryFunctorIN3c1014Float8_e8m0fnuES4_bNS0_12_GLOBAL__N_116CompareEqFunctorIS4_EEEESt5arrayIPcLm2EEEEviT0_T1_.numbered_sgpr, 42
	.set _ZN2at6native29vectorized_elementwise_kernelILi4ENS0_13AUnaryFunctorIN3c1014Float8_e8m0fnuES4_bNS0_12_GLOBAL__N_116CompareEqFunctorIS4_EEEESt5arrayIPcLm2EEEEviT0_T1_.num_named_barrier, 0
	.set _ZN2at6native29vectorized_elementwise_kernelILi4ENS0_13AUnaryFunctorIN3c1014Float8_e8m0fnuES4_bNS0_12_GLOBAL__N_116CompareEqFunctorIS4_EEEESt5arrayIPcLm2EEEEviT0_T1_.private_seg_size, 0
	.set _ZN2at6native29vectorized_elementwise_kernelILi4ENS0_13AUnaryFunctorIN3c1014Float8_e8m0fnuES4_bNS0_12_GLOBAL__N_116CompareEqFunctorIS4_EEEESt5arrayIPcLm2EEEEviT0_T1_.uses_vcc, 1
	.set _ZN2at6native29vectorized_elementwise_kernelILi4ENS0_13AUnaryFunctorIN3c1014Float8_e8m0fnuES4_bNS0_12_GLOBAL__N_116CompareEqFunctorIS4_EEEESt5arrayIPcLm2EEEEviT0_T1_.uses_flat_scratch, 0
	.set _ZN2at6native29vectorized_elementwise_kernelILi4ENS0_13AUnaryFunctorIN3c1014Float8_e8m0fnuES4_bNS0_12_GLOBAL__N_116CompareEqFunctorIS4_EEEESt5arrayIPcLm2EEEEviT0_T1_.has_dyn_sized_stack, 0
	.set _ZN2at6native29vectorized_elementwise_kernelILi4ENS0_13AUnaryFunctorIN3c1014Float8_e8m0fnuES4_bNS0_12_GLOBAL__N_116CompareEqFunctorIS4_EEEESt5arrayIPcLm2EEEEviT0_T1_.has_recursion, 0
	.set _ZN2at6native29vectorized_elementwise_kernelILi4ENS0_13AUnaryFunctorIN3c1014Float8_e8m0fnuES4_bNS0_12_GLOBAL__N_116CompareEqFunctorIS4_EEEESt5arrayIPcLm2EEEEviT0_T1_.has_indirect_call, 0
	.section	.AMDGPU.csdata,"",@progbits
; Kernel info:
; codeLenInByte = 6628
; TotalNumSgprs: 46
; NumVgprs: 26
; ScratchSize: 0
; MemoryBound: 0
; FloatMode: 240
; IeeeMode: 1
; LDSByteSize: 0 bytes/workgroup (compile time only)
; SGPRBlocks: 5
; VGPRBlocks: 6
; NumSGPRsForWavesPerEU: 46
; NumVGPRsForWavesPerEU: 26
; Occupancy: 9
; WaveLimiterHint : 1
; COMPUTE_PGM_RSRC2:SCRATCH_EN: 0
; COMPUTE_PGM_RSRC2:USER_SGPR: 6
; COMPUTE_PGM_RSRC2:TRAP_HANDLER: 0
; COMPUTE_PGM_RSRC2:TGID_X_EN: 1
; COMPUTE_PGM_RSRC2:TGID_Y_EN: 0
; COMPUTE_PGM_RSRC2:TGID_Z_EN: 0
; COMPUTE_PGM_RSRC2:TIDIG_COMP_CNT: 0
	.section	.text._ZN2at6native29vectorized_elementwise_kernelILi2ENS0_13AUnaryFunctorIN3c1014Float8_e8m0fnuES4_bNS0_12_GLOBAL__N_116CompareEqFunctorIS4_EEEESt5arrayIPcLm2EEEEviT0_T1_,"axG",@progbits,_ZN2at6native29vectorized_elementwise_kernelILi2ENS0_13AUnaryFunctorIN3c1014Float8_e8m0fnuES4_bNS0_12_GLOBAL__N_116CompareEqFunctorIS4_EEEESt5arrayIPcLm2EEEEviT0_T1_,comdat
	.globl	_ZN2at6native29vectorized_elementwise_kernelILi2ENS0_13AUnaryFunctorIN3c1014Float8_e8m0fnuES4_bNS0_12_GLOBAL__N_116CompareEqFunctorIS4_EEEESt5arrayIPcLm2EEEEviT0_T1_ ; -- Begin function _ZN2at6native29vectorized_elementwise_kernelILi2ENS0_13AUnaryFunctorIN3c1014Float8_e8m0fnuES4_bNS0_12_GLOBAL__N_116CompareEqFunctorIS4_EEEESt5arrayIPcLm2EEEEviT0_T1_
	.p2align	8
	.type	_ZN2at6native29vectorized_elementwise_kernelILi2ENS0_13AUnaryFunctorIN3c1014Float8_e8m0fnuES4_bNS0_12_GLOBAL__N_116CompareEqFunctorIS4_EEEESt5arrayIPcLm2EEEEviT0_T1_,@function
_ZN2at6native29vectorized_elementwise_kernelILi2ENS0_13AUnaryFunctorIN3c1014Float8_e8m0fnuES4_bNS0_12_GLOBAL__N_116CompareEqFunctorIS4_EEEESt5arrayIPcLm2EEEEviT0_T1_: ; @_ZN2at6native29vectorized_elementwise_kernelILi2ENS0_13AUnaryFunctorIN3c1014Float8_e8m0fnuES4_bNS0_12_GLOBAL__N_116CompareEqFunctorIS4_EEEESt5arrayIPcLm2EEEEviT0_T1_
; %bb.0:
	s_load_dwordx8 s[8:15], s[4:5], 0x0
	s_waitcnt lgkmcnt(0)
	s_lshl_b32 s11, s6, 12
	s_mov_b64 s[0:1], -1
	s_sub_i32 s8, s8, s11
	s_cmpk_gt_i32 s8, 0xfff
	s_cbranch_scc0 .LBB320_2
; %bb.1:
	s_ashr_i32 s2, s11, 31
	s_add_u32 s0, s14, s11
	s_addc_u32 s1, s15, s2
	v_lshlrev_b32_e32 v1, 1, v0
	global_load_ushort v2, v1, s[0:1]
	global_load_ushort v3, v1, s[0:1] offset:512
	global_load_ushort v4, v1, s[0:1] offset:1024
	;; [unrolled: 1-line block ×7, first 2 shown]
	s_cmp_eq_u32 s9, 0
	s_cselect_b64 vcc, -1, 0
	s_lshl_b32 s0, s10, 23
	s_and_b32 s4, s10, 0xff
	s_and_b32 s0, s0, 0x7f800000
	s_cmpk_lg_i32 s4, 0xff
	v_mov_b32_e32 v5, 0x7f800001
	v_mov_b32_e32 v14, s0
	s_cselect_b64 s[0:1], -1, 0
	s_cmp_lg_u32 s4, 0
	s_movk_i32 s3, 0xff
	v_mov_b32_e32 v6, 0x400000
	v_mov_b32_e32 v8, 23
	v_cndmask_b32_e64 v14, v5, v14, s[0:1]
	s_cselect_b64 s[0:1], -1, 0
	v_cndmask_b32_e64 v14, v6, v14, s[0:1]
	v_mov_b32_e32 v9, 0
	s_waitcnt vmcnt(7)
	v_lshlrev_b32_sdwa v15, v8, v2 dst_sel:DWORD dst_unused:UNUSED_PAD src0_sel:DWORD src1_sel:BYTE_0
	v_cmp_ne_u16_sdwa s[0:1], v2, s3 src0_sel:BYTE_0 src1_sel:DWORD
	v_lshlrev_b32_sdwa v16, v8, v2 dst_sel:DWORD dst_unused:UNUSED_PAD src0_sel:DWORD src1_sel:BYTE_1
	v_cndmask_b32_e64 v15, v5, v15, s[0:1]
	v_cmp_ne_u16_sdwa s[0:1], v2, s3 src0_sel:BYTE_1 src1_sel:DWORD
	s_waitcnt vmcnt(6)
	v_lshlrev_b32_sdwa v17, v8, v3 dst_sel:DWORD dst_unused:UNUSED_PAD src0_sel:DWORD src1_sel:BYTE_0
	v_cndmask_b32_e64 v16, v5, v16, s[0:1]
	v_cmp_ne_u16_sdwa s[0:1], v3, s3 src0_sel:BYTE_0 src1_sel:DWORD
	v_lshlrev_b32_sdwa v18, v8, v3 dst_sel:DWORD dst_unused:UNUSED_PAD src0_sel:DWORD src1_sel:BYTE_1
	v_cndmask_b32_e64 v17, v5, v17, s[0:1]
	v_cmp_ne_u16_sdwa s[0:1], v3, s3 src0_sel:BYTE_1 src1_sel:DWORD
	s_waitcnt vmcnt(5)
	v_lshlrev_b32_sdwa v19, v8, v4 dst_sel:DWORD dst_unused:UNUSED_PAD src0_sel:DWORD src1_sel:BYTE_0
	v_cndmask_b32_e64 v18, v5, v18, s[0:1]
	v_cmp_ne_u16_sdwa s[0:1], v4, s3 src0_sel:BYTE_0 src1_sel:DWORD
	v_lshlrev_b32_sdwa v20, v8, v4 dst_sel:DWORD dst_unused:UNUSED_PAD src0_sel:DWORD src1_sel:BYTE_1
	v_cndmask_b32_e64 v19, v5, v19, s[0:1]
	v_cmp_ne_u16_sdwa s[0:1], v4, s3 src0_sel:BYTE_1 src1_sel:DWORD
	v_cndmask_b32_e64 v20, v5, v20, s[0:1]
	v_cmp_ne_u16_sdwa s[0:1], v2, v9 src0_sel:BYTE_0 src1_sel:DWORD
	v_cndmask_b32_e64 v15, v6, v15, s[0:1]
	v_cmp_ne_u16_sdwa s[0:1], v2, v9 src0_sel:BYTE_1 src1_sel:DWORD
	v_cndmask_b32_e64 v2, v6, v16, s[0:1]
	v_cmp_ne_u16_sdwa s[0:1], v3, v9 src0_sel:BYTE_0 src1_sel:DWORD
	;; [unrolled: 4-line block ×3, first 2 shown]
	v_cndmask_b32_e64 v17, v6, v19, s[0:1]
	v_cmp_ne_u16_sdwa s[0:1], v4, v9 src0_sel:BYTE_1 src1_sel:DWORD
	v_cndmask_b32_e64 v4, v6, v20, s[0:1]
	v_cmp_eq_f32_e64 s[0:1], v14, v15
	v_cndmask_b32_e64 v18, 0, 1, s[0:1]
	v_cmp_neq_f32_e64 s[0:1], v14, v15
	v_cndmask_b32_e64 v15, 0, 1, s[0:1]
	v_cmp_eq_f32_e64 s[0:1], v14, v2
	v_cndmask_b32_e64 v19, 0, 1, s[0:1]
	v_cmp_neq_f32_e64 s[0:1], v14, v2
	;; [unrolled: 4-line block ×6, first 2 shown]
	v_cndmask_b32_e64 v4, 0, 1, s[0:1]
	v_cndmask_b32_e32 v15, v15, v18, vcc
	s_waitcnt vmcnt(4)
	v_lshlrev_b32_sdwa v18, v8, v7 dst_sel:DWORD dst_unused:UNUSED_PAD src0_sel:DWORD src1_sel:BYTE_0
	v_cmp_ne_u16_sdwa s[0:1], v7, s3 src0_sel:BYTE_0 src1_sel:DWORD
	v_cndmask_b32_e64 v18, v5, v18, s[0:1]
	v_cmp_ne_u16_sdwa s[0:1], v7, v9 src0_sel:BYTE_0 src1_sel:DWORD
	v_cndmask_b32_e64 v18, v6, v18, s[0:1]
	v_cmp_eq_f32_e64 s[0:1], v14, v18
	v_cndmask_b32_e32 v2, v2, v19, vcc
	v_cndmask_b32_e64 v19, 0, 1, s[0:1]
	v_cmp_neq_f32_e64 s[0:1], v14, v18
	v_cndmask_b32_e64 v18, 0, 1, s[0:1]
	v_cndmask_b32_e32 v18, v18, v19, vcc
	v_lshlrev_b32_sdwa v19, v8, v7 dst_sel:DWORD dst_unused:UNUSED_PAD src0_sel:DWORD src1_sel:BYTE_1
	v_cmp_ne_u16_sdwa s[0:1], v7, s3 src0_sel:BYTE_1 src1_sel:DWORD
	v_cndmask_b32_e64 v19, v5, v19, s[0:1]
	v_cmp_ne_u16_sdwa s[0:1], v7, v9 src0_sel:BYTE_1 src1_sel:DWORD
	v_cndmask_b32_e64 v7, v6, v19, s[0:1]
	v_cmp_eq_f32_e64 s[0:1], v14, v7
	v_cndmask_b32_e64 v19, 0, 1, s[0:1]
	v_cmp_neq_f32_e64 s[0:1], v14, v7
	v_cndmask_b32_e64 v7, 0, 1, s[0:1]
	v_cndmask_b32_e32 v7, v7, v19, vcc
	s_waitcnt vmcnt(3)
	v_lshlrev_b32_sdwa v19, v8, v10 dst_sel:DWORD dst_unused:UNUSED_PAD src0_sel:DWORD src1_sel:BYTE_0
	v_cmp_ne_u16_sdwa s[0:1], v10, s3 src0_sel:BYTE_0 src1_sel:DWORD
	v_cndmask_b32_e64 v19, v5, v19, s[0:1]
	v_cmp_ne_u16_sdwa s[0:1], v10, v9 src0_sel:BYTE_0 src1_sel:DWORD
	v_cndmask_b32_e64 v19, v6, v19, s[0:1]
	v_cmp_eq_f32_e64 s[0:1], v14, v19
	v_cndmask_b32_e32 v16, v16, v20, vcc
	v_cndmask_b32_e64 v20, 0, 1, s[0:1]
	v_cmp_neq_f32_e64 s[0:1], v14, v19
	v_cndmask_b32_e64 v19, 0, 1, s[0:1]
	v_cndmask_b32_e32 v19, v19, v20, vcc
	v_lshlrev_b32_sdwa v20, v8, v10 dst_sel:DWORD dst_unused:UNUSED_PAD src0_sel:DWORD src1_sel:BYTE_1
	v_cmp_ne_u16_sdwa s[0:1], v10, s3 src0_sel:BYTE_1 src1_sel:DWORD
	v_cndmask_b32_e64 v20, v5, v20, s[0:1]
	v_cmp_ne_u16_sdwa s[0:1], v10, v9 src0_sel:BYTE_1 src1_sel:DWORD
	v_cndmask_b32_e64 v10, v6, v20, s[0:1]
	v_cmp_eq_f32_e64 s[0:1], v14, v10
	v_cndmask_b32_e64 v20, 0, 1, s[0:1]
	v_cmp_neq_f32_e64 s[0:1], v14, v10
	;; [unrolled: 22-line block ×4, first 2 shown]
	v_cndmask_b32_e64 v12, 0, 1, s[0:1]
	v_cndmask_b32_e32 v12, v12, v22, vcc
	s_waitcnt vmcnt(0)
	v_lshlrev_b32_sdwa v22, v8, v13 dst_sel:DWORD dst_unused:UNUSED_PAD src0_sel:DWORD src1_sel:BYTE_0
	v_cmp_ne_u16_sdwa s[0:1], v13, s3 src0_sel:BYTE_0 src1_sel:DWORD
	v_cndmask_b32_e64 v22, v5, v22, s[0:1]
	v_cmp_ne_u16_sdwa s[0:1], v13, v9 src0_sel:BYTE_0 src1_sel:DWORD
	v_cndmask_b32_e64 v22, v6, v22, s[0:1]
	v_cmp_eq_f32_e64 s[0:1], v14, v22
	v_cndmask_b32_e32 v4, v4, v23, vcc
	v_cndmask_b32_e64 v23, 0, 1, s[0:1]
	v_cmp_neq_f32_e64 s[0:1], v14, v22
	v_cndmask_b32_e64 v22, 0, 1, s[0:1]
	v_lshlrev_b32_sdwa v8, v8, v13 dst_sel:DWORD dst_unused:UNUSED_PAD src0_sel:DWORD src1_sel:BYTE_1
	v_cmp_ne_u16_sdwa s[0:1], v13, s3 src0_sel:BYTE_1 src1_sel:DWORD
	v_cndmask_b32_e64 v5, v5, v8, s[0:1]
	v_cmp_ne_u16_sdwa s[0:1], v13, v9 src0_sel:BYTE_1 src1_sel:DWORD
	v_cndmask_b32_e64 v5, v6, v5, s[0:1]
	v_cmp_eq_f32_e64 s[0:1], v14, v5
	v_cndmask_b32_e64 v6, 0, 1, s[0:1]
	v_cmp_neq_f32_e64 s[0:1], v14, v5
	v_cndmask_b32_e32 v22, v22, v23, vcc
	v_mov_b32_e32 v23, 1
	v_cndmask_b32_e64 v5, 0, 1, s[0:1]
	v_and_b32_e32 v15, 1, v15
	v_and_b32_sdwa v2, v2, v23 dst_sel:BYTE_1 dst_unused:UNUSED_PAD src0_sel:DWORD src1_sel:DWORD
	v_cndmask_b32_e32 v5, v5, v6, vcc
	s_add_u32 s0, s12, s11
	v_and_b32_e32 v16, 1, v16
	v_and_b32_sdwa v3, v3, v23 dst_sel:BYTE_1 dst_unused:UNUSED_PAD src0_sel:DWORD src1_sel:DWORD
	v_and_b32_e32 v17, 1, v17
	v_and_b32_sdwa v4, v4, v23 dst_sel:BYTE_1 dst_unused:UNUSED_PAD src0_sel:DWORD src1_sel:DWORD
	;; [unrolled: 2-line block ×7, first 2 shown]
	v_or_b32_e32 v2, v15, v2
	s_addc_u32 s1, s13, s2
	v_or_b32_e32 v5, v22, v5
	v_or_b32_e32 v6, v21, v12
	;; [unrolled: 1-line block ×7, first 2 shown]
	global_store_short v1, v2, s[0:1]
	global_store_short v1, v3, s[0:1] offset:512
	global_store_short v1, v4, s[0:1] offset:1024
	;; [unrolled: 1-line block ×7, first 2 shown]
	s_mov_b64 s[0:1], 0
.LBB320_2:
	s_andn2_b64 vcc, exec, s[0:1]
	s_cbranch_vccnz .LBB320_83
; %bb.3:
	v_cmp_gt_i32_e32 vcc, s8, v0
	v_mov_b32_e32 v3, 0
	v_or_b32_e32 v4, s11, v0
	v_mov_b32_e32 v5, 0
	v_mov_b32_e32 v6, 0
	;; [unrolled: 1-line block ×16, first 2 shown]
	s_and_saveexec_b64 s[2:3], vcc
	s_cbranch_execz .LBB320_35
; %bb.4:
	global_load_ubyte v22, v4, s[14:15]
	v_or_b32_e32 v1, 0x100, v0
	v_cmp_gt_u32_e64 s[0:1], s8, v1
	v_mov_b32_e32 v20, 0
	v_mov_b32_e32 v19, 0
	;; [unrolled: 1-line block ×15, first 2 shown]
	s_and_saveexec_b64 s[4:5], s[0:1]
	s_cbranch_execz .LBB320_34
; %bb.5:
	v_add_u32_e32 v1, s11, v0
	global_load_ubyte v20, v1, s[14:15] offset:256
	v_or_b32_e32 v2, 0x200, v0
	v_mov_b32_e32 v19, 0
	v_cmp_gt_u32_e64 s[0:1], s8, v2
	v_mov_b32_e32 v18, 0
	v_mov_b32_e32 v17, 0
	;; [unrolled: 1-line block ×13, first 2 shown]
	s_and_saveexec_b64 s[6:7], s[0:1]
	s_cbranch_execz .LBB320_33
; %bb.6:
	v_mov_b32_e32 v2, s15
	v_add_co_u32_e64 v1, s[0:1], s14, v1
	v_addc_co_u32_e64 v2, s[0:1], 0, v2, s[0:1]
	global_load_ubyte v19, v[1:2], off offset:512
	v_or_b32_e32 v5, 0x300, v0
	v_cmp_gt_u32_e64 s[0:1], s8, v5
	v_mov_b32_e32 v18, 0
	v_mov_b32_e32 v17, 0
	v_mov_b32_e32 v15, 0
	v_mov_b32_e32 v14, 0
	v_mov_b32_e32 v13, 0
	v_mov_b32_e32 v12, 0
	v_mov_b32_e32 v11, 0
	v_mov_b32_e32 v10, 0
	v_mov_b32_e32 v9, 0
	v_mov_b32_e32 v8, 0
	v_mov_b32_e32 v7, 0
	v_mov_b32_e32 v6, 0
	v_mov_b32_e32 v5, 0
	s_and_saveexec_b64 s[14:15], s[0:1]
	s_cbranch_execz .LBB320_32
; %bb.7:
	global_load_ubyte v18, v[1:2], off offset:768
	v_or_b32_e32 v5, 0x400, v0
	v_cmp_gt_u32_e64 s[0:1], s8, v5
	v_mov_b32_e32 v17, 0
	v_mov_b32_e32 v15, 0
	;; [unrolled: 1-line block ×12, first 2 shown]
	s_and_saveexec_b64 s[16:17], s[0:1]
	s_cbranch_execz .LBB320_31
; %bb.8:
	global_load_ubyte v17, v[1:2], off offset:1024
	v_or_b32_e32 v5, 0x500, v0
	v_cmp_gt_u32_e64 s[0:1], s8, v5
	v_mov_b32_e32 v15, 0
	v_mov_b32_e32 v14, 0
	;; [unrolled: 1-line block ×11, first 2 shown]
	s_and_saveexec_b64 s[18:19], s[0:1]
	s_cbranch_execz .LBB320_30
; %bb.9:
	global_load_ubyte v15, v[1:2], off offset:1280
	v_or_b32_e32 v5, 0x600, v0
	v_cmp_gt_u32_e64 s[0:1], s8, v5
	v_mov_b32_e32 v14, 0
	v_mov_b32_e32 v13, 0
	;; [unrolled: 1-line block ×10, first 2 shown]
	s_and_saveexec_b64 s[20:21], s[0:1]
	s_cbranch_execz .LBB320_29
; %bb.10:
	global_load_ubyte v14, v[1:2], off offset:1536
	v_or_b32_e32 v5, 0x700, v0
	v_cmp_gt_u32_e64 s[0:1], s8, v5
	v_mov_b32_e32 v13, 0
	v_mov_b32_e32 v12, 0
	;; [unrolled: 1-line block ×9, first 2 shown]
	s_and_saveexec_b64 s[22:23], s[0:1]
	s_cbranch_execz .LBB320_28
; %bb.11:
	global_load_ubyte v13, v[1:2], off offset:1792
	v_or_b32_e32 v5, 0x800, v0
	v_cmp_gt_u32_e64 s[0:1], s8, v5
	v_mov_b32_e32 v12, 0
	v_mov_b32_e32 v11, 0
	;; [unrolled: 1-line block ×8, first 2 shown]
	s_and_saveexec_b64 s[24:25], s[0:1]
	s_cbranch_execz .LBB320_27
; %bb.12:
	global_load_ubyte v12, v[1:2], off offset:2048
	v_or_b32_e32 v5, 0x900, v0
	v_cmp_gt_u32_e64 s[0:1], s8, v5
	v_mov_b32_e32 v11, 0
	v_mov_b32_e32 v10, 0
	;; [unrolled: 1-line block ×7, first 2 shown]
	s_and_saveexec_b64 s[26:27], s[0:1]
	s_cbranch_execz .LBB320_26
; %bb.13:
	global_load_ubyte v11, v[1:2], off offset:2304
	v_or_b32_e32 v5, 0xa00, v0
	v_cmp_gt_u32_e64 s[0:1], s8, v5
	v_mov_b32_e32 v10, 0
	v_mov_b32_e32 v9, 0
	;; [unrolled: 1-line block ×6, first 2 shown]
	s_and_saveexec_b64 s[28:29], s[0:1]
	s_cbranch_execz .LBB320_25
; %bb.14:
	global_load_ubyte v10, v[1:2], off offset:2560
	v_or_b32_e32 v5, 0xb00, v0
	v_cmp_gt_u32_e64 s[0:1], s8, v5
	v_mov_b32_e32 v9, 0
	v_mov_b32_e32 v8, 0
	;; [unrolled: 1-line block ×5, first 2 shown]
	s_and_saveexec_b64 s[30:31], s[0:1]
	s_cbranch_execz .LBB320_24
; %bb.15:
	global_load_ubyte v9, v[1:2], off offset:2816
	v_or_b32_e32 v5, 0xc00, v0
	v_cmp_gt_u32_e64 s[0:1], s8, v5
	v_mov_b32_e32 v8, 0
	v_mov_b32_e32 v7, 0
	;; [unrolled: 1-line block ×4, first 2 shown]
	s_and_saveexec_b64 s[34:35], s[0:1]
	s_cbranch_execz .LBB320_23
; %bb.16:
	global_load_ubyte v8, v[1:2], off offset:3072
	v_or_b32_e32 v5, 0xd00, v0
	v_cmp_gt_u32_e64 s[0:1], s8, v5
	v_mov_b32_e32 v7, 0
	v_mov_b32_e32 v6, 0
	;; [unrolled: 1-line block ×3, first 2 shown]
	s_and_saveexec_b64 s[36:37], s[0:1]
	s_cbranch_execz .LBB320_22
; %bb.17:
	global_load_ubyte v7, v[1:2], off offset:3328
	v_or_b32_e32 v5, 0xe00, v0
	v_cmp_gt_u32_e64 s[0:1], s8, v5
	v_mov_b32_e32 v6, 0
	v_mov_b32_e32 v5, 0
	s_and_saveexec_b64 s[38:39], s[0:1]
	s_cbranch_execz .LBB320_21
; %bb.18:
	global_load_ubyte v6, v[1:2], off offset:3584
	v_or_b32_e32 v5, 0xf00, v0
	v_cmp_gt_u32_e64 s[0:1], s8, v5
	v_mov_b32_e32 v5, 0
	s_and_saveexec_b64 s[40:41], s[0:1]
	s_cbranch_execz .LBB320_20
; %bb.19:
	global_load_ubyte v5, v[1:2], off offset:3840
.LBB320_20:
	s_or_b64 exec, exec, s[40:41]
.LBB320_21:
	s_or_b64 exec, exec, s[38:39]
.LBB320_22:
	s_or_b64 exec, exec, s[36:37]
.LBB320_23:
	s_or_b64 exec, exec, s[34:35]
.LBB320_24:
	s_or_b64 exec, exec, s[30:31]
.LBB320_25:
	s_or_b64 exec, exec, s[28:29]
.LBB320_26:
	s_or_b64 exec, exec, s[26:27]
.LBB320_27:
	s_or_b64 exec, exec, s[24:25]
.LBB320_28:
	s_or_b64 exec, exec, s[22:23]
.LBB320_29:
	s_or_b64 exec, exec, s[20:21]
.LBB320_30:
	s_or_b64 exec, exec, s[18:19]
.LBB320_31:
	s_or_b64 exec, exec, s[16:17]
.LBB320_32:
	s_or_b64 exec, exec, s[14:15]
.LBB320_33:
	s_or_b64 exec, exec, s[6:7]
.LBB320_34:
	s_or_b64 exec, exec, s[4:5]
.LBB320_35:
	s_or_b64 exec, exec, s[2:3]
	s_cmp_eq_u32 s9, 0
	s_cselect_b64 s[0:1], -1, 0
	s_lshl_b32 s2, s10, 23
	s_and_b32 s4, s10, 0xff
	s_and_b32 s2, s2, 0x7f800000
	s_cmpk_lg_i32 s4, 0xff
	v_mov_b32_e32 v23, 0x7f800001
	v_mov_b32_e32 v1, s2
	s_cselect_b64 s[2:3], -1, 0
	s_cmp_lg_u32 s4, 0
	v_cndmask_b32_e64 v1, v23, v1, s[2:3]
	v_mov_b32_e32 v24, 0x400000
	s_cselect_b64 s[2:3], -1, 0
	s_movk_i32 s6, 0xff
	v_cndmask_b32_e64 v21, v24, v1, s[2:3]
	v_mov_b32_e32 v16, v3
	v_mov_b32_e32 v2, v3
	;; [unrolled: 1-line block ×3, first 2 shown]
	s_and_saveexec_b64 s[4:5], vcc
	s_cbranch_execz .LBB320_37
; %bb.36:
	v_mov_b32_e32 v1, 23
	s_waitcnt vmcnt(0)
	v_lshlrev_b32_sdwa v1, v1, v22 dst_sel:DWORD dst_unused:UNUSED_PAD src0_sel:DWORD src1_sel:BYTE_0
	v_cmp_ne_u16_sdwa s[2:3], v22, s6 src0_sel:BYTE_0 src1_sel:DWORD
	v_mov_b32_e32 v16, 0
	v_cndmask_b32_e64 v1, v23, v1, s[2:3]
	v_cmp_ne_u16_sdwa s[2:3], v22, v16 src0_sel:BYTE_0 src1_sel:DWORD
	v_cndmask_b32_e64 v1, v24, v1, s[2:3]
	v_cmp_eq_f32_e64 s[2:3], v21, v1
	v_cndmask_b32_e64 v2, 0, 1, s[2:3]
	v_cmp_neq_f32_e64 s[2:3], v21, v1
	v_cndmask_b32_e64 v1, 0, 1, s[2:3]
	v_cndmask_b32_e64 v1, v1, v2, s[0:1]
	v_and_b32_e32 v1, 1, v1
	v_and_b32_e32 v3, 0xffff, v1
	v_mov_b32_e32 v2, v16
	v_mov_b32_e32 v1, v16
.LBB320_37:
	s_or_b64 exec, exec, s[4:5]
	s_waitcnt vmcnt(0)
	v_or_b32_e32 v22, 0x100, v0
	v_cmp_gt_i32_e64 s[2:3], s8, v22
	s_and_saveexec_b64 s[4:5], s[2:3]
	s_cbranch_execz .LBB320_39
; %bb.38:
	s_movk_i32 s2, 0xff
	v_mov_b32_e32 v23, 23
	v_lshlrev_b32_sdwa v23, v23, v20 dst_sel:DWORD dst_unused:UNUSED_PAD src0_sel:DWORD src1_sel:BYTE_0
	v_mov_b32_e32 v24, 0x7f800001
	v_cmp_ne_u16_sdwa s[2:3], v20, s2 src0_sel:BYTE_0 src1_sel:DWORD
	v_cndmask_b32_e64 v23, v24, v23, s[2:3]
	v_mov_b32_e32 v24, 0
	v_mov_b32_e32 v25, 0x400000
	v_cmp_ne_u16_sdwa s[2:3], v20, v24 src0_sel:BYTE_0 src1_sel:DWORD
	v_cndmask_b32_e64 v20, v25, v23, s[2:3]
	v_cmp_eq_f32_e64 s[2:3], v21, v20
	v_cndmask_b32_e64 v23, 0, 1, s[2:3]
	v_cmp_neq_f32_e64 s[2:3], v21, v20
	v_cndmask_b32_e64 v20, 0, 1, s[2:3]
	v_cndmask_b32_e64 v20, v20, v23, s[0:1]
	v_mov_b32_e32 v23, 1
	v_and_b32_sdwa v20, v20, v23 dst_sel:BYTE_1 dst_unused:UNUSED_PAD src0_sel:DWORD src1_sel:DWORD
	v_or_b32_sdwa v20, v3, v20 dst_sel:DWORD dst_unused:UNUSED_PAD src0_sel:BYTE_0 src1_sel:DWORD
	v_and_b32_e32 v20, 0xffff, v20
	s_mov_b32 s2, 0xffff0000
	v_and_or_b32 v3, v3, s2, v20
.LBB320_39:
	s_or_b64 exec, exec, s[4:5]
	v_or_b32_e32 v20, 0x200, v0
	v_cmp_gt_i32_e64 s[2:3], s8, v20
	s_and_saveexec_b64 s[4:5], s[2:3]
	s_cbranch_execz .LBB320_41
; %bb.40:
	s_movk_i32 s2, 0xff00
	v_and_b32_sdwa v20, v3, s2 dst_sel:DWORD dst_unused:UNUSED_PAD src0_sel:WORD_1 src1_sel:DWORD
	s_movk_i32 s2, 0xff
	v_mov_b32_e32 v23, 23
	v_lshlrev_b32_sdwa v23, v23, v19 dst_sel:DWORD dst_unused:UNUSED_PAD src0_sel:DWORD src1_sel:BYTE_0
	v_mov_b32_e32 v24, 0x7f800001
	v_cmp_ne_u16_sdwa s[2:3], v19, s2 src0_sel:BYTE_0 src1_sel:DWORD
	v_cndmask_b32_e64 v23, v24, v23, s[2:3]
	v_mov_b32_e32 v24, 0
	v_mov_b32_e32 v25, 0x400000
	v_cmp_ne_u16_sdwa s[2:3], v19, v24 src0_sel:BYTE_0 src1_sel:DWORD
	v_cndmask_b32_e64 v19, v25, v23, s[2:3]
	v_cmp_eq_f32_e64 s[2:3], v21, v19
	v_cndmask_b32_e64 v23, 0, 1, s[2:3]
	v_cmp_neq_f32_e64 s[2:3], v21, v19
	v_cndmask_b32_e64 v19, 0, 1, s[2:3]
	v_cndmask_b32_e64 v19, v19, v23, s[0:1]
	v_and_b32_e32 v19, 1, v19
	v_or_b32_sdwa v19, v19, v20 dst_sel:WORD_1 dst_unused:UNUSED_PAD src0_sel:DWORD src1_sel:DWORD
	s_mov_b32 s2, 0xffff
	v_and_or_b32 v3, v3, s2, v19
.LBB320_41:
	s_or_b64 exec, exec, s[4:5]
	v_or_b32_e32 v19, 0x300, v0
	v_cmp_gt_i32_e64 s[2:3], s8, v19
	s_and_saveexec_b64 s[4:5], s[2:3]
	s_cbranch_execz .LBB320_43
; %bb.42:
	s_movk_i32 s2, 0xff
	v_mov_b32_e32 v20, 23
	v_and_b32_sdwa v19, v3, s2 dst_sel:DWORD dst_unused:UNUSED_PAD src0_sel:WORD_1 src1_sel:DWORD
	v_lshlrev_b32_sdwa v20, v20, v18 dst_sel:DWORD dst_unused:UNUSED_PAD src0_sel:DWORD src1_sel:BYTE_0
	v_mov_b32_e32 v23, 0x7f800001
	v_cmp_ne_u16_sdwa s[2:3], v18, s2 src0_sel:BYTE_0 src1_sel:DWORD
	v_cndmask_b32_e64 v20, v23, v20, s[2:3]
	v_mov_b32_e32 v23, 0
	v_mov_b32_e32 v24, 0x400000
	v_cmp_ne_u16_sdwa s[2:3], v18, v23 src0_sel:BYTE_0 src1_sel:DWORD
	v_cndmask_b32_e64 v18, v24, v20, s[2:3]
	v_cmp_eq_f32_e64 s[2:3], v21, v18
	v_cndmask_b32_e64 v20, 0, 1, s[2:3]
	v_cmp_neq_f32_e64 s[2:3], v21, v18
	v_cndmask_b32_e64 v18, 0, 1, s[2:3]
	v_cndmask_b32_e64 v18, v18, v20, s[0:1]
	v_mov_b32_e32 v20, 1
	v_and_b32_sdwa v18, v18, v20 dst_sel:BYTE_1 dst_unused:UNUSED_PAD src0_sel:DWORD src1_sel:DWORD
	v_or_b32_sdwa v18, v19, v18 dst_sel:WORD_1 dst_unused:UNUSED_PAD src0_sel:DWORD src1_sel:DWORD
	s_mov_b32 s2, 0xffff
	v_and_or_b32 v3, v3, s2, v18
.LBB320_43:
	s_or_b64 exec, exec, s[4:5]
	v_or_b32_e32 v18, 0x400, v0
	v_cmp_gt_i32_e64 s[2:3], s8, v18
	s_and_saveexec_b64 s[4:5], s[2:3]
	s_cbranch_execz .LBB320_45
; %bb.44:
	s_movk_i32 s2, 0xff
	v_mov_b32_e32 v19, 23
	v_lshlrev_b32_sdwa v19, v19, v17 dst_sel:DWORD dst_unused:UNUSED_PAD src0_sel:DWORD src1_sel:BYTE_0
	v_mov_b32_e32 v20, 0x7f800001
	v_cmp_ne_u16_sdwa s[2:3], v17, s2 src0_sel:BYTE_0 src1_sel:DWORD
	v_cndmask_b32_e64 v19, v20, v19, s[2:3]
	v_mov_b32_e32 v20, 0
	v_mov_b32_e32 v23, 0x400000
	v_cmp_ne_u16_sdwa s[2:3], v17, v20 src0_sel:BYTE_0 src1_sel:DWORD
	v_cndmask_b32_e64 v17, v23, v19, s[2:3]
	v_cmp_eq_f32_e64 s[2:3], v21, v17
	v_cndmask_b32_e64 v19, 0, 1, s[2:3]
	v_cmp_neq_f32_e64 s[2:3], v21, v17
	v_cndmask_b32_e64 v17, 0, 1, s[2:3]
	v_cndmask_b32_e64 v17, v17, v19, s[0:1]
	v_and_b32_e32 v18, 0xffffff00, v16
	v_and_b32_e32 v17, 1, v17
	v_or_b32_e32 v17, v17, v18
	v_and_b32_e32 v17, 0xffff, v17
	s_mov_b32 s2, 0xffff0000
	v_and_or_b32 v16, v16, s2, v17
.LBB320_45:
	s_or_b64 exec, exec, s[4:5]
	v_or_b32_e32 v17, 0x500, v0
	v_cmp_gt_i32_e64 s[2:3], s8, v17
	s_and_saveexec_b64 s[4:5], s[2:3]
	s_cbranch_execz .LBB320_47
; %bb.46:
	s_movk_i32 s2, 0xff
	v_mov_b32_e32 v17, 23
	v_lshlrev_b32_sdwa v17, v17, v15 dst_sel:DWORD dst_unused:UNUSED_PAD src0_sel:DWORD src1_sel:BYTE_0
	v_mov_b32_e32 v18, 0x7f800001
	v_cmp_ne_u16_sdwa s[2:3], v15, s2 src0_sel:BYTE_0 src1_sel:DWORD
	v_cndmask_b32_e64 v17, v18, v17, s[2:3]
	v_mov_b32_e32 v18, 0
	v_mov_b32_e32 v19, 0x400000
	v_cmp_ne_u16_sdwa s[2:3], v15, v18 src0_sel:BYTE_0 src1_sel:DWORD
	v_cndmask_b32_e64 v15, v19, v17, s[2:3]
	v_cmp_eq_f32_e64 s[2:3], v21, v15
	v_cndmask_b32_e64 v17, 0, 1, s[2:3]
	v_cmp_neq_f32_e64 s[2:3], v21, v15
	v_cndmask_b32_e64 v15, 0, 1, s[2:3]
	v_cndmask_b32_e64 v15, v15, v17, s[0:1]
	v_mov_b32_e32 v17, 1
	v_and_b32_sdwa v15, v15, v17 dst_sel:BYTE_1 dst_unused:UNUSED_PAD src0_sel:DWORD src1_sel:DWORD
	v_or_b32_sdwa v15, v16, v15 dst_sel:DWORD dst_unused:UNUSED_PAD src0_sel:BYTE_0 src1_sel:DWORD
	v_and_b32_e32 v15, 0xffff, v15
	s_mov_b32 s2, 0xffff0000
	v_and_or_b32 v16, v16, s2, v15
.LBB320_47:
	s_or_b64 exec, exec, s[4:5]
	v_or_b32_e32 v15, 0x600, v0
	v_cmp_gt_i32_e64 s[2:3], s8, v15
	s_and_saveexec_b64 s[4:5], s[2:3]
	s_cbranch_execz .LBB320_49
; %bb.48:
	s_movk_i32 s2, 0xff00
	v_and_b32_sdwa v15, v16, s2 dst_sel:DWORD dst_unused:UNUSED_PAD src0_sel:WORD_1 src1_sel:DWORD
	s_movk_i32 s2, 0xff
	v_mov_b32_e32 v17, 23
	v_lshlrev_b32_sdwa v17, v17, v14 dst_sel:DWORD dst_unused:UNUSED_PAD src0_sel:DWORD src1_sel:BYTE_0
	v_mov_b32_e32 v18, 0x7f800001
	v_cmp_ne_u16_sdwa s[2:3], v14, s2 src0_sel:BYTE_0 src1_sel:DWORD
	v_cndmask_b32_e64 v17, v18, v17, s[2:3]
	v_mov_b32_e32 v18, 0
	v_mov_b32_e32 v19, 0x400000
	v_cmp_ne_u16_sdwa s[2:3], v14, v18 src0_sel:BYTE_0 src1_sel:DWORD
	v_cndmask_b32_e64 v14, v19, v17, s[2:3]
	v_cmp_eq_f32_e64 s[2:3], v21, v14
	v_cndmask_b32_e64 v17, 0, 1, s[2:3]
	v_cmp_neq_f32_e64 s[2:3], v21, v14
	v_cndmask_b32_e64 v14, 0, 1, s[2:3]
	v_cndmask_b32_e64 v14, v14, v17, s[0:1]
	v_and_b32_e32 v14, 1, v14
	v_or_b32_sdwa v14, v14, v15 dst_sel:WORD_1 dst_unused:UNUSED_PAD src0_sel:DWORD src1_sel:DWORD
	s_mov_b32 s2, 0xffff
	v_and_or_b32 v16, v16, s2, v14
.LBB320_49:
	s_or_b64 exec, exec, s[4:5]
	v_or_b32_e32 v14, 0x700, v0
	v_cmp_gt_i32_e64 s[2:3], s8, v14
	s_and_saveexec_b64 s[4:5], s[2:3]
	s_cbranch_execz .LBB320_51
; %bb.50:
	s_movk_i32 s2, 0xff
	v_mov_b32_e32 v15, 23
	v_and_b32_sdwa v14, v16, s2 dst_sel:DWORD dst_unused:UNUSED_PAD src0_sel:WORD_1 src1_sel:DWORD
	v_lshlrev_b32_sdwa v15, v15, v13 dst_sel:DWORD dst_unused:UNUSED_PAD src0_sel:DWORD src1_sel:BYTE_0
	v_mov_b32_e32 v17, 0x7f800001
	v_cmp_ne_u16_sdwa s[2:3], v13, s2 src0_sel:BYTE_0 src1_sel:DWORD
	v_cndmask_b32_e64 v15, v17, v15, s[2:3]
	v_mov_b32_e32 v17, 0
	v_mov_b32_e32 v18, 0x400000
	v_cmp_ne_u16_sdwa s[2:3], v13, v17 src0_sel:BYTE_0 src1_sel:DWORD
	v_cndmask_b32_e64 v13, v18, v15, s[2:3]
	v_cmp_eq_f32_e64 s[2:3], v21, v13
	v_cndmask_b32_e64 v15, 0, 1, s[2:3]
	v_cmp_neq_f32_e64 s[2:3], v21, v13
	v_cndmask_b32_e64 v13, 0, 1, s[2:3]
	v_cndmask_b32_e64 v13, v13, v15, s[0:1]
	v_mov_b32_e32 v15, 1
	v_and_b32_sdwa v13, v13, v15 dst_sel:BYTE_1 dst_unused:UNUSED_PAD src0_sel:DWORD src1_sel:DWORD
	v_or_b32_sdwa v13, v14, v13 dst_sel:WORD_1 dst_unused:UNUSED_PAD src0_sel:DWORD src1_sel:DWORD
	s_mov_b32 s2, 0xffff
	v_and_or_b32 v16, v16, s2, v13
.LBB320_51:
	s_or_b64 exec, exec, s[4:5]
	v_or_b32_e32 v13, 0x800, v0
	v_cmp_gt_i32_e64 s[2:3], s8, v13
	s_and_saveexec_b64 s[4:5], s[2:3]
	s_cbranch_execz .LBB320_53
; %bb.52:
	s_movk_i32 s2, 0xff
	v_mov_b32_e32 v14, 23
	v_lshlrev_b32_sdwa v14, v14, v12 dst_sel:DWORD dst_unused:UNUSED_PAD src0_sel:DWORD src1_sel:BYTE_0
	v_mov_b32_e32 v15, 0x7f800001
	v_cmp_ne_u16_sdwa s[2:3], v12, s2 src0_sel:BYTE_0 src1_sel:DWORD
	v_cndmask_b32_e64 v14, v15, v14, s[2:3]
	v_mov_b32_e32 v15, 0
	v_mov_b32_e32 v17, 0x400000
	v_cmp_ne_u16_sdwa s[2:3], v12, v15 src0_sel:BYTE_0 src1_sel:DWORD
	v_cndmask_b32_e64 v12, v17, v14, s[2:3]
	v_cmp_eq_f32_e64 s[2:3], v21, v12
	v_cndmask_b32_e64 v14, 0, 1, s[2:3]
	v_cmp_neq_f32_e64 s[2:3], v21, v12
	v_cndmask_b32_e64 v12, 0, 1, s[2:3]
	v_cndmask_b32_e64 v12, v12, v14, s[0:1]
	v_and_b32_e32 v13, 0xffffff00, v2
	v_and_b32_e32 v12, 1, v12
	v_or_b32_e32 v12, v12, v13
	v_and_b32_e32 v12, 0xffff, v12
	s_mov_b32 s2, 0xffff0000
	v_and_or_b32 v2, v2, s2, v12
.LBB320_53:
	s_or_b64 exec, exec, s[4:5]
	v_or_b32_e32 v12, 0x900, v0
	v_cmp_gt_i32_e64 s[2:3], s8, v12
	s_and_saveexec_b64 s[4:5], s[2:3]
	s_cbranch_execz .LBB320_55
; %bb.54:
	s_movk_i32 s2, 0xff
	v_mov_b32_e32 v12, 23
	v_lshlrev_b32_sdwa v12, v12, v11 dst_sel:DWORD dst_unused:UNUSED_PAD src0_sel:DWORD src1_sel:BYTE_0
	v_mov_b32_e32 v13, 0x7f800001
	v_cmp_ne_u16_sdwa s[2:3], v11, s2 src0_sel:BYTE_0 src1_sel:DWORD
	v_cndmask_b32_e64 v12, v13, v12, s[2:3]
	v_mov_b32_e32 v13, 0
	v_mov_b32_e32 v14, 0x400000
	v_cmp_ne_u16_sdwa s[2:3], v11, v13 src0_sel:BYTE_0 src1_sel:DWORD
	v_cndmask_b32_e64 v11, v14, v12, s[2:3]
	v_cmp_eq_f32_e64 s[2:3], v21, v11
	v_cndmask_b32_e64 v12, 0, 1, s[2:3]
	v_cmp_neq_f32_e64 s[2:3], v21, v11
	v_cndmask_b32_e64 v11, 0, 1, s[2:3]
	v_cndmask_b32_e64 v11, v11, v12, s[0:1]
	v_mov_b32_e32 v12, 1
	v_and_b32_sdwa v11, v11, v12 dst_sel:BYTE_1 dst_unused:UNUSED_PAD src0_sel:DWORD src1_sel:DWORD
	v_or_b32_sdwa v11, v2, v11 dst_sel:DWORD dst_unused:UNUSED_PAD src0_sel:BYTE_0 src1_sel:DWORD
	v_and_b32_e32 v11, 0xffff, v11
	s_mov_b32 s2, 0xffff0000
	v_and_or_b32 v2, v2, s2, v11
.LBB320_55:
	s_or_b64 exec, exec, s[4:5]
	v_or_b32_e32 v11, 0xa00, v0
	v_cmp_gt_i32_e64 s[2:3], s8, v11
	s_and_saveexec_b64 s[4:5], s[2:3]
	s_cbranch_execz .LBB320_57
; %bb.56:
	s_movk_i32 s2, 0xff00
	v_and_b32_sdwa v11, v2, s2 dst_sel:DWORD dst_unused:UNUSED_PAD src0_sel:WORD_1 src1_sel:DWORD
	s_movk_i32 s2, 0xff
	v_mov_b32_e32 v12, 23
	v_lshlrev_b32_sdwa v12, v12, v10 dst_sel:DWORD dst_unused:UNUSED_PAD src0_sel:DWORD src1_sel:BYTE_0
	v_mov_b32_e32 v13, 0x7f800001
	v_cmp_ne_u16_sdwa s[2:3], v10, s2 src0_sel:BYTE_0 src1_sel:DWORD
	v_cndmask_b32_e64 v12, v13, v12, s[2:3]
	v_mov_b32_e32 v13, 0
	v_mov_b32_e32 v14, 0x400000
	v_cmp_ne_u16_sdwa s[2:3], v10, v13 src0_sel:BYTE_0 src1_sel:DWORD
	v_cndmask_b32_e64 v10, v14, v12, s[2:3]
	v_cmp_eq_f32_e64 s[2:3], v21, v10
	v_cndmask_b32_e64 v12, 0, 1, s[2:3]
	v_cmp_neq_f32_e64 s[2:3], v21, v10
	v_cndmask_b32_e64 v10, 0, 1, s[2:3]
	v_cndmask_b32_e64 v10, v10, v12, s[0:1]
	v_and_b32_e32 v10, 1, v10
	v_or_b32_sdwa v10, v10, v11 dst_sel:WORD_1 dst_unused:UNUSED_PAD src0_sel:DWORD src1_sel:DWORD
	s_mov_b32 s2, 0xffff
	v_and_or_b32 v2, v2, s2, v10
.LBB320_57:
	s_or_b64 exec, exec, s[4:5]
	v_or_b32_e32 v10, 0xb00, v0
	v_cmp_gt_i32_e64 s[2:3], s8, v10
	s_and_saveexec_b64 s[4:5], s[2:3]
	s_cbranch_execz .LBB320_59
; %bb.58:
	s_movk_i32 s2, 0xff
	v_mov_b32_e32 v11, 23
	v_and_b32_sdwa v10, v2, s2 dst_sel:DWORD dst_unused:UNUSED_PAD src0_sel:WORD_1 src1_sel:DWORD
	v_lshlrev_b32_sdwa v11, v11, v9 dst_sel:DWORD dst_unused:UNUSED_PAD src0_sel:DWORD src1_sel:BYTE_0
	v_mov_b32_e32 v12, 0x7f800001
	v_cmp_ne_u16_sdwa s[2:3], v9, s2 src0_sel:BYTE_0 src1_sel:DWORD
	v_cndmask_b32_e64 v11, v12, v11, s[2:3]
	v_mov_b32_e32 v12, 0
	v_mov_b32_e32 v13, 0x400000
	v_cmp_ne_u16_sdwa s[2:3], v9, v12 src0_sel:BYTE_0 src1_sel:DWORD
	v_cndmask_b32_e64 v9, v13, v11, s[2:3]
	v_cmp_eq_f32_e64 s[2:3], v21, v9
	v_cndmask_b32_e64 v11, 0, 1, s[2:3]
	v_cmp_neq_f32_e64 s[2:3], v21, v9
	v_cndmask_b32_e64 v9, 0, 1, s[2:3]
	v_cndmask_b32_e64 v9, v9, v11, s[0:1]
	v_mov_b32_e32 v11, 1
	v_and_b32_sdwa v9, v9, v11 dst_sel:BYTE_1 dst_unused:UNUSED_PAD src0_sel:DWORD src1_sel:DWORD
	v_or_b32_sdwa v9, v10, v9 dst_sel:WORD_1 dst_unused:UNUSED_PAD src0_sel:DWORD src1_sel:DWORD
	s_mov_b32 s2, 0xffff
	v_and_or_b32 v2, v2, s2, v9
.LBB320_59:
	s_or_b64 exec, exec, s[4:5]
	v_or_b32_e32 v9, 0xc00, v0
	v_cmp_gt_i32_e64 s[2:3], s8, v9
	s_and_saveexec_b64 s[4:5], s[2:3]
	s_cbranch_execz .LBB320_61
; %bb.60:
	s_movk_i32 s2, 0xff
	v_mov_b32_e32 v10, 23
	v_lshlrev_b32_sdwa v10, v10, v8 dst_sel:DWORD dst_unused:UNUSED_PAD src0_sel:DWORD src1_sel:BYTE_0
	v_mov_b32_e32 v11, 0x7f800001
	v_cmp_ne_u16_sdwa s[2:3], v8, s2 src0_sel:BYTE_0 src1_sel:DWORD
	v_cndmask_b32_e64 v10, v11, v10, s[2:3]
	v_mov_b32_e32 v11, 0
	v_mov_b32_e32 v12, 0x400000
	v_cmp_ne_u16_sdwa s[2:3], v8, v11 src0_sel:BYTE_0 src1_sel:DWORD
	v_cndmask_b32_e64 v8, v12, v10, s[2:3]
	v_cmp_eq_f32_e64 s[2:3], v21, v8
	v_cndmask_b32_e64 v10, 0, 1, s[2:3]
	v_cmp_neq_f32_e64 s[2:3], v21, v8
	v_cndmask_b32_e64 v8, 0, 1, s[2:3]
	v_cndmask_b32_e64 v8, v8, v10, s[0:1]
	v_and_b32_e32 v9, 0xffffff00, v1
	v_and_b32_e32 v8, 1, v8
	v_or_b32_e32 v8, v8, v9
	v_and_b32_e32 v8, 0xffff, v8
	s_mov_b32 s2, 0xffff0000
	v_and_or_b32 v1, v1, s2, v8
.LBB320_61:
	s_or_b64 exec, exec, s[4:5]
	v_or_b32_e32 v8, 0xd00, v0
	v_cmp_gt_i32_e64 s[2:3], s8, v8
	s_and_saveexec_b64 s[4:5], s[2:3]
	s_cbranch_execz .LBB320_63
; %bb.62:
	s_movk_i32 s2, 0xff
	v_mov_b32_e32 v8, 23
	v_lshlrev_b32_sdwa v8, v8, v7 dst_sel:DWORD dst_unused:UNUSED_PAD src0_sel:DWORD src1_sel:BYTE_0
	v_mov_b32_e32 v9, 0x7f800001
	v_cmp_ne_u16_sdwa s[2:3], v7, s2 src0_sel:BYTE_0 src1_sel:DWORD
	v_cndmask_b32_e64 v8, v9, v8, s[2:3]
	v_mov_b32_e32 v9, 0
	v_mov_b32_e32 v10, 0x400000
	v_cmp_ne_u16_sdwa s[2:3], v7, v9 src0_sel:BYTE_0 src1_sel:DWORD
	v_cndmask_b32_e64 v7, v10, v8, s[2:3]
	v_cmp_eq_f32_e64 s[2:3], v21, v7
	v_cndmask_b32_e64 v8, 0, 1, s[2:3]
	v_cmp_neq_f32_e64 s[2:3], v21, v7
	v_cndmask_b32_e64 v7, 0, 1, s[2:3]
	v_cndmask_b32_e64 v7, v7, v8, s[0:1]
	v_mov_b32_e32 v8, 1
	v_and_b32_sdwa v7, v7, v8 dst_sel:BYTE_1 dst_unused:UNUSED_PAD src0_sel:DWORD src1_sel:DWORD
	v_or_b32_sdwa v7, v1, v7 dst_sel:DWORD dst_unused:UNUSED_PAD src0_sel:BYTE_0 src1_sel:DWORD
	v_and_b32_e32 v7, 0xffff, v7
	s_mov_b32 s2, 0xffff0000
	v_and_or_b32 v1, v1, s2, v7
.LBB320_63:
	s_or_b64 exec, exec, s[4:5]
	v_or_b32_e32 v7, 0xe00, v0
	v_cmp_gt_i32_e64 s[2:3], s8, v7
	s_and_saveexec_b64 s[4:5], s[2:3]
	s_cbranch_execz .LBB320_65
; %bb.64:
	s_movk_i32 s2, 0xff00
	v_and_b32_sdwa v7, v1, s2 dst_sel:DWORD dst_unused:UNUSED_PAD src0_sel:WORD_1 src1_sel:DWORD
	s_movk_i32 s2, 0xff
	v_mov_b32_e32 v8, 23
	v_lshlrev_b32_sdwa v8, v8, v6 dst_sel:DWORD dst_unused:UNUSED_PAD src0_sel:DWORD src1_sel:BYTE_0
	v_mov_b32_e32 v9, 0x7f800001
	v_cmp_ne_u16_sdwa s[2:3], v6, s2 src0_sel:BYTE_0 src1_sel:DWORD
	v_cndmask_b32_e64 v8, v9, v8, s[2:3]
	v_mov_b32_e32 v9, 0
	v_mov_b32_e32 v10, 0x400000
	v_cmp_ne_u16_sdwa s[2:3], v6, v9 src0_sel:BYTE_0 src1_sel:DWORD
	v_cndmask_b32_e64 v6, v10, v8, s[2:3]
	v_cmp_eq_f32_e64 s[2:3], v21, v6
	v_cndmask_b32_e64 v8, 0, 1, s[2:3]
	v_cmp_neq_f32_e64 s[2:3], v21, v6
	v_cndmask_b32_e64 v6, 0, 1, s[2:3]
	v_cndmask_b32_e64 v6, v6, v8, s[0:1]
	v_and_b32_e32 v6, 1, v6
	v_or_b32_sdwa v6, v6, v7 dst_sel:WORD_1 dst_unused:UNUSED_PAD src0_sel:DWORD src1_sel:DWORD
	s_mov_b32 s2, 0xffff
	v_and_or_b32 v1, v1, s2, v6
.LBB320_65:
	s_or_b64 exec, exec, s[4:5]
	v_or_b32_e32 v6, 0xf00, v0
	v_cmp_gt_i32_e64 s[2:3], s8, v6
	s_and_saveexec_b64 s[4:5], s[2:3]
	s_cbranch_execnz .LBB320_84
; %bb.66:
	s_or_b64 exec, exec, s[4:5]
	s_and_saveexec_b64 s[0:1], vcc
	s_xor_b64 s[0:1], exec, s[0:1]
	s_cbranch_execnz .LBB320_85
.LBB320_67:
	s_or_b64 exec, exec, s[0:1]
	v_cmp_gt_i32_e32 vcc, s8, v0
	s_and_saveexec_b64 s[0:1], vcc
	s_cbranch_execnz .LBB320_86
.LBB320_68:
	s_or_b64 exec, exec, s[0:1]
	v_cmp_gt_i32_e32 vcc, s8, v0
	s_and_saveexec_b64 s[0:1], vcc
	s_cbranch_execnz .LBB320_87
.LBB320_69:
	s_or_b64 exec, exec, s[0:1]
	v_cmp_gt_i32_e32 vcc, s8, v0
	s_and_saveexec_b64 s[0:1], vcc
	s_cbranch_execnz .LBB320_88
.LBB320_70:
	s_or_b64 exec, exec, s[0:1]
	v_cmp_gt_i32_e32 vcc, s8, v0
	s_and_saveexec_b64 s[0:1], vcc
	s_cbranch_execnz .LBB320_89
.LBB320_71:
	s_or_b64 exec, exec, s[0:1]
	v_cmp_gt_i32_e32 vcc, s8, v0
	s_and_saveexec_b64 s[0:1], vcc
	s_cbranch_execnz .LBB320_90
.LBB320_72:
	s_or_b64 exec, exec, s[0:1]
	v_cmp_gt_i32_e32 vcc, s8, v0
	s_and_saveexec_b64 s[0:1], vcc
	s_cbranch_execnz .LBB320_91
.LBB320_73:
	s_or_b64 exec, exec, s[0:1]
	v_cmp_gt_i32_e32 vcc, s8, v0
	s_and_saveexec_b64 s[0:1], vcc
	s_cbranch_execnz .LBB320_92
.LBB320_74:
	s_or_b64 exec, exec, s[0:1]
	v_cmp_gt_i32_e32 vcc, s8, v0
	s_and_saveexec_b64 s[0:1], vcc
	s_cbranch_execnz .LBB320_93
.LBB320_75:
	s_or_b64 exec, exec, s[0:1]
	v_cmp_gt_i32_e32 vcc, s8, v0
	s_and_saveexec_b64 s[0:1], vcc
	s_cbranch_execnz .LBB320_94
.LBB320_76:
	s_or_b64 exec, exec, s[0:1]
	v_cmp_gt_i32_e32 vcc, s8, v0
	s_and_saveexec_b64 s[0:1], vcc
	s_cbranch_execnz .LBB320_95
.LBB320_77:
	s_or_b64 exec, exec, s[0:1]
	v_cmp_gt_i32_e32 vcc, s8, v0
	s_and_saveexec_b64 s[0:1], vcc
	s_cbranch_execnz .LBB320_96
.LBB320_78:
	s_or_b64 exec, exec, s[0:1]
	v_cmp_gt_i32_e32 vcc, s8, v0
	s_and_saveexec_b64 s[0:1], vcc
	s_cbranch_execnz .LBB320_97
.LBB320_79:
	s_or_b64 exec, exec, s[0:1]
	v_cmp_gt_i32_e32 vcc, s8, v0
	s_and_saveexec_b64 s[0:1], vcc
	s_cbranch_execnz .LBB320_98
.LBB320_80:
	s_or_b64 exec, exec, s[0:1]
	v_cmp_gt_i32_e32 vcc, s8, v0
	s_and_saveexec_b64 s[0:1], vcc
	s_cbranch_execnz .LBB320_99
.LBB320_81:
	s_or_b64 exec, exec, s[0:1]
	v_cmp_gt_i32_e32 vcc, s8, v0
	s_and_saveexec_b64 s[0:1], vcc
	s_cbranch_execz .LBB320_83
.LBB320_82:
	v_lshrrev_b32_e32 v1, 24, v1
	v_add_u32_e32 v0, s11, v0
	global_store_byte v0, v1, s[12:13]
.LBB320_83:
	s_endpgm
.LBB320_84:
	s_movk_i32 s2, 0xff
	v_mov_b32_e32 v7, 23
	v_and_b32_sdwa v6, v1, s2 dst_sel:DWORD dst_unused:UNUSED_PAD src0_sel:WORD_1 src1_sel:DWORD
	v_lshlrev_b32_sdwa v7, v7, v5 dst_sel:DWORD dst_unused:UNUSED_PAD src0_sel:DWORD src1_sel:BYTE_0
	v_mov_b32_e32 v8, 0x7f800001
	v_cmp_ne_u16_sdwa s[2:3], v5, s2 src0_sel:BYTE_0 src1_sel:DWORD
	v_cndmask_b32_e64 v7, v8, v7, s[2:3]
	v_mov_b32_e32 v8, 0
	v_mov_b32_e32 v9, 0x400000
	v_cmp_ne_u16_sdwa s[2:3], v5, v8 src0_sel:BYTE_0 src1_sel:DWORD
	v_cndmask_b32_e64 v5, v9, v7, s[2:3]
	v_cmp_eq_f32_e64 s[2:3], v21, v5
	v_cndmask_b32_e64 v7, 0, 1, s[2:3]
	v_cmp_neq_f32_e64 s[2:3], v21, v5
	v_cndmask_b32_e64 v5, 0, 1, s[2:3]
	v_cndmask_b32_e64 v5, v5, v7, s[0:1]
	v_mov_b32_e32 v7, 1
	v_and_b32_sdwa v5, v5, v7 dst_sel:BYTE_1 dst_unused:UNUSED_PAD src0_sel:DWORD src1_sel:DWORD
	v_or_b32_sdwa v5, v6, v5 dst_sel:WORD_1 dst_unused:UNUSED_PAD src0_sel:DWORD src1_sel:DWORD
	s_mov_b32 s0, 0xffff
	v_and_or_b32 v1, v1, s0, v5
	s_or_b64 exec, exec, s[4:5]
	s_and_saveexec_b64 s[0:1], vcc
	s_xor_b64 s[0:1], exec, s[0:1]
	s_cbranch_execz .LBB320_67
.LBB320_85:
	v_mov_b32_e32 v0, v22
	global_store_byte v4, v3, s[12:13]
	s_or_b64 exec, exec, s[0:1]
	v_cmp_gt_i32_e32 vcc, s8, v0
	s_and_saveexec_b64 s[0:1], vcc
	s_cbranch_execz .LBB320_68
.LBB320_86:
	v_lshrrev_b32_e32 v4, 8, v3
	v_add_u32_e32 v5, s11, v0
	v_add_u32_e32 v0, 0x100, v0
	global_store_byte v5, v4, s[12:13]
	s_or_b64 exec, exec, s[0:1]
	v_cmp_gt_i32_e32 vcc, s8, v0
	s_and_saveexec_b64 s[0:1], vcc
	s_cbranch_execz .LBB320_69
.LBB320_87:
	v_add_u32_e32 v4, s11, v0
	v_add_u32_e32 v0, 0x100, v0
	global_store_byte_d16_hi v4, v3, s[12:13]
	s_or_b64 exec, exec, s[0:1]
	v_cmp_gt_i32_e32 vcc, s8, v0
	s_and_saveexec_b64 s[0:1], vcc
	s_cbranch_execz .LBB320_70
.LBB320_88:
	v_lshrrev_b32_e32 v3, 24, v3
	v_add_u32_e32 v4, s11, v0
	v_add_u32_e32 v0, 0x100, v0
	global_store_byte v4, v3, s[12:13]
	s_or_b64 exec, exec, s[0:1]
	v_cmp_gt_i32_e32 vcc, s8, v0
	s_and_saveexec_b64 s[0:1], vcc
	s_cbranch_execz .LBB320_71
.LBB320_89:
	v_add_u32_e32 v3, s11, v0
	v_add_u32_e32 v0, 0x100, v0
	global_store_byte v3, v16, s[12:13]
	s_or_b64 exec, exec, s[0:1]
	v_cmp_gt_i32_e32 vcc, s8, v0
	s_and_saveexec_b64 s[0:1], vcc
	s_cbranch_execz .LBB320_72
.LBB320_90:
	v_lshrrev_b32_e32 v3, 8, v16
	v_add_u32_e32 v4, s11, v0
	v_add_u32_e32 v0, 0x100, v0
	global_store_byte v4, v3, s[12:13]
	s_or_b64 exec, exec, s[0:1]
	v_cmp_gt_i32_e32 vcc, s8, v0
	s_and_saveexec_b64 s[0:1], vcc
	s_cbranch_execz .LBB320_73
.LBB320_91:
	v_add_u32_e32 v3, s11, v0
	v_add_u32_e32 v0, 0x100, v0
	global_store_byte_d16_hi v3, v16, s[12:13]
	s_or_b64 exec, exec, s[0:1]
	v_cmp_gt_i32_e32 vcc, s8, v0
	s_and_saveexec_b64 s[0:1], vcc
	s_cbranch_execz .LBB320_74
.LBB320_92:
	v_lshrrev_b32_e32 v3, 24, v16
	v_add_u32_e32 v4, s11, v0
	v_add_u32_e32 v0, 0x100, v0
	global_store_byte v4, v3, s[12:13]
	s_or_b64 exec, exec, s[0:1]
	v_cmp_gt_i32_e32 vcc, s8, v0
	s_and_saveexec_b64 s[0:1], vcc
	s_cbranch_execz .LBB320_75
.LBB320_93:
	v_add_u32_e32 v3, s11, v0
	v_add_u32_e32 v0, 0x100, v0
	global_store_byte v3, v2, s[12:13]
	s_or_b64 exec, exec, s[0:1]
	v_cmp_gt_i32_e32 vcc, s8, v0
	s_and_saveexec_b64 s[0:1], vcc
	s_cbranch_execz .LBB320_76
.LBB320_94:
	v_lshrrev_b32_e32 v3, 8, v2
	v_add_u32_e32 v4, s11, v0
	v_add_u32_e32 v0, 0x100, v0
	global_store_byte v4, v3, s[12:13]
	s_or_b64 exec, exec, s[0:1]
	v_cmp_gt_i32_e32 vcc, s8, v0
	s_and_saveexec_b64 s[0:1], vcc
	s_cbranch_execz .LBB320_77
.LBB320_95:
	v_add_u32_e32 v3, s11, v0
	v_add_u32_e32 v0, 0x100, v0
	global_store_byte_d16_hi v3, v2, s[12:13]
	s_or_b64 exec, exec, s[0:1]
	v_cmp_gt_i32_e32 vcc, s8, v0
	s_and_saveexec_b64 s[0:1], vcc
	s_cbranch_execz .LBB320_78
.LBB320_96:
	v_lshrrev_b32_e32 v2, 24, v2
	v_add_u32_e32 v3, s11, v0
	v_add_u32_e32 v0, 0x100, v0
	global_store_byte v3, v2, s[12:13]
	s_or_b64 exec, exec, s[0:1]
	v_cmp_gt_i32_e32 vcc, s8, v0
	s_and_saveexec_b64 s[0:1], vcc
	s_cbranch_execz .LBB320_79
.LBB320_97:
	v_add_u32_e32 v2, s11, v0
	v_add_u32_e32 v0, 0x100, v0
	global_store_byte v2, v1, s[12:13]
	s_or_b64 exec, exec, s[0:1]
	v_cmp_gt_i32_e32 vcc, s8, v0
	s_and_saveexec_b64 s[0:1], vcc
	s_cbranch_execz .LBB320_80
.LBB320_98:
	v_lshrrev_b32_e32 v2, 8, v1
	v_add_u32_e32 v3, s11, v0
	v_add_u32_e32 v0, 0x100, v0
	global_store_byte v3, v2, s[12:13]
	s_or_b64 exec, exec, s[0:1]
	v_cmp_gt_i32_e32 vcc, s8, v0
	s_and_saveexec_b64 s[0:1], vcc
	s_cbranch_execz .LBB320_81
.LBB320_99:
	v_add_u32_e32 v2, s11, v0
	v_add_u32_e32 v0, 0x100, v0
	global_store_byte_d16_hi v2, v1, s[12:13]
	s_or_b64 exec, exec, s[0:1]
	v_cmp_gt_i32_e32 vcc, s8, v0
	s_and_saveexec_b64 s[0:1], vcc
	s_cbranch_execnz .LBB320_82
	s_branch .LBB320_83
	.section	.rodata,"a",@progbits
	.p2align	6, 0x0
	.amdhsa_kernel _ZN2at6native29vectorized_elementwise_kernelILi2ENS0_13AUnaryFunctorIN3c1014Float8_e8m0fnuES4_bNS0_12_GLOBAL__N_116CompareEqFunctorIS4_EEEESt5arrayIPcLm2EEEEviT0_T1_
		.amdhsa_group_segment_fixed_size 0
		.amdhsa_private_segment_fixed_size 0
		.amdhsa_kernarg_size 32
		.amdhsa_user_sgpr_count 6
		.amdhsa_user_sgpr_private_segment_buffer 1
		.amdhsa_user_sgpr_dispatch_ptr 0
		.amdhsa_user_sgpr_queue_ptr 0
		.amdhsa_user_sgpr_kernarg_segment_ptr 1
		.amdhsa_user_sgpr_dispatch_id 0
		.amdhsa_user_sgpr_flat_scratch_init 0
		.amdhsa_user_sgpr_private_segment_size 0
		.amdhsa_uses_dynamic_stack 0
		.amdhsa_system_sgpr_private_segment_wavefront_offset 0
		.amdhsa_system_sgpr_workgroup_id_x 1
		.amdhsa_system_sgpr_workgroup_id_y 0
		.amdhsa_system_sgpr_workgroup_id_z 0
		.amdhsa_system_sgpr_workgroup_info 0
		.amdhsa_system_vgpr_workitem_id 0
		.amdhsa_next_free_vgpr 26
		.amdhsa_next_free_sgpr 42
		.amdhsa_reserve_vcc 1
		.amdhsa_reserve_flat_scratch 0
		.amdhsa_float_round_mode_32 0
		.amdhsa_float_round_mode_16_64 0
		.amdhsa_float_denorm_mode_32 3
		.amdhsa_float_denorm_mode_16_64 3
		.amdhsa_dx10_clamp 1
		.amdhsa_ieee_mode 1
		.amdhsa_fp16_overflow 0
		.amdhsa_exception_fp_ieee_invalid_op 0
		.amdhsa_exception_fp_denorm_src 0
		.amdhsa_exception_fp_ieee_div_zero 0
		.amdhsa_exception_fp_ieee_overflow 0
		.amdhsa_exception_fp_ieee_underflow 0
		.amdhsa_exception_fp_ieee_inexact 0
		.amdhsa_exception_int_div_zero 0
	.end_amdhsa_kernel
	.section	.text._ZN2at6native29vectorized_elementwise_kernelILi2ENS0_13AUnaryFunctorIN3c1014Float8_e8m0fnuES4_bNS0_12_GLOBAL__N_116CompareEqFunctorIS4_EEEESt5arrayIPcLm2EEEEviT0_T1_,"axG",@progbits,_ZN2at6native29vectorized_elementwise_kernelILi2ENS0_13AUnaryFunctorIN3c1014Float8_e8m0fnuES4_bNS0_12_GLOBAL__N_116CompareEqFunctorIS4_EEEESt5arrayIPcLm2EEEEviT0_T1_,comdat
.Lfunc_end320:
	.size	_ZN2at6native29vectorized_elementwise_kernelILi2ENS0_13AUnaryFunctorIN3c1014Float8_e8m0fnuES4_bNS0_12_GLOBAL__N_116CompareEqFunctorIS4_EEEESt5arrayIPcLm2EEEEviT0_T1_, .Lfunc_end320-_ZN2at6native29vectorized_elementwise_kernelILi2ENS0_13AUnaryFunctorIN3c1014Float8_e8m0fnuES4_bNS0_12_GLOBAL__N_116CompareEqFunctorIS4_EEEESt5arrayIPcLm2EEEEviT0_T1_
                                        ; -- End function
	.set _ZN2at6native29vectorized_elementwise_kernelILi2ENS0_13AUnaryFunctorIN3c1014Float8_e8m0fnuES4_bNS0_12_GLOBAL__N_116CompareEqFunctorIS4_EEEESt5arrayIPcLm2EEEEviT0_T1_.num_vgpr, 26
	.set _ZN2at6native29vectorized_elementwise_kernelILi2ENS0_13AUnaryFunctorIN3c1014Float8_e8m0fnuES4_bNS0_12_GLOBAL__N_116CompareEqFunctorIS4_EEEESt5arrayIPcLm2EEEEviT0_T1_.num_agpr, 0
	.set _ZN2at6native29vectorized_elementwise_kernelILi2ENS0_13AUnaryFunctorIN3c1014Float8_e8m0fnuES4_bNS0_12_GLOBAL__N_116CompareEqFunctorIS4_EEEESt5arrayIPcLm2EEEEviT0_T1_.numbered_sgpr, 42
	.set _ZN2at6native29vectorized_elementwise_kernelILi2ENS0_13AUnaryFunctorIN3c1014Float8_e8m0fnuES4_bNS0_12_GLOBAL__N_116CompareEqFunctorIS4_EEEESt5arrayIPcLm2EEEEviT0_T1_.num_named_barrier, 0
	.set _ZN2at6native29vectorized_elementwise_kernelILi2ENS0_13AUnaryFunctorIN3c1014Float8_e8m0fnuES4_bNS0_12_GLOBAL__N_116CompareEqFunctorIS4_EEEESt5arrayIPcLm2EEEEviT0_T1_.private_seg_size, 0
	.set _ZN2at6native29vectorized_elementwise_kernelILi2ENS0_13AUnaryFunctorIN3c1014Float8_e8m0fnuES4_bNS0_12_GLOBAL__N_116CompareEqFunctorIS4_EEEESt5arrayIPcLm2EEEEviT0_T1_.uses_vcc, 1
	.set _ZN2at6native29vectorized_elementwise_kernelILi2ENS0_13AUnaryFunctorIN3c1014Float8_e8m0fnuES4_bNS0_12_GLOBAL__N_116CompareEqFunctorIS4_EEEESt5arrayIPcLm2EEEEviT0_T1_.uses_flat_scratch, 0
	.set _ZN2at6native29vectorized_elementwise_kernelILi2ENS0_13AUnaryFunctorIN3c1014Float8_e8m0fnuES4_bNS0_12_GLOBAL__N_116CompareEqFunctorIS4_EEEESt5arrayIPcLm2EEEEviT0_T1_.has_dyn_sized_stack, 0
	.set _ZN2at6native29vectorized_elementwise_kernelILi2ENS0_13AUnaryFunctorIN3c1014Float8_e8m0fnuES4_bNS0_12_GLOBAL__N_116CompareEqFunctorIS4_EEEESt5arrayIPcLm2EEEEviT0_T1_.has_recursion, 0
	.set _ZN2at6native29vectorized_elementwise_kernelILi2ENS0_13AUnaryFunctorIN3c1014Float8_e8m0fnuES4_bNS0_12_GLOBAL__N_116CompareEqFunctorIS4_EEEESt5arrayIPcLm2EEEEviT0_T1_.has_indirect_call, 0
	.section	.AMDGPU.csdata,"",@progbits
; Kernel info:
; codeLenInByte = 6556
; TotalNumSgprs: 46
; NumVgprs: 26
; ScratchSize: 0
; MemoryBound: 0
; FloatMode: 240
; IeeeMode: 1
; LDSByteSize: 0 bytes/workgroup (compile time only)
; SGPRBlocks: 5
; VGPRBlocks: 6
; NumSGPRsForWavesPerEU: 46
; NumVGPRsForWavesPerEU: 26
; Occupancy: 9
; WaveLimiterHint : 1
; COMPUTE_PGM_RSRC2:SCRATCH_EN: 0
; COMPUTE_PGM_RSRC2:USER_SGPR: 6
; COMPUTE_PGM_RSRC2:TRAP_HANDLER: 0
; COMPUTE_PGM_RSRC2:TGID_X_EN: 1
; COMPUTE_PGM_RSRC2:TGID_Y_EN: 0
; COMPUTE_PGM_RSRC2:TGID_Z_EN: 0
; COMPUTE_PGM_RSRC2:TIDIG_COMP_CNT: 0
	.section	.text._ZN2at6native27unrolled_elementwise_kernelINS0_13AUnaryFunctorIN3c1014Float8_e8m0fnuES4_bNS0_12_GLOBAL__N_116CompareEqFunctorIS4_EEEESt5arrayIPcLm2EELi4E23TrivialOffsetCalculatorILi1EjESD_NS0_6memory15LoadWithoutCastENSE_16StoreWithoutCastEEEviT_T0_T2_T3_T4_T5_,"axG",@progbits,_ZN2at6native27unrolled_elementwise_kernelINS0_13AUnaryFunctorIN3c1014Float8_e8m0fnuES4_bNS0_12_GLOBAL__N_116CompareEqFunctorIS4_EEEESt5arrayIPcLm2EELi4E23TrivialOffsetCalculatorILi1EjESD_NS0_6memory15LoadWithoutCastENSE_16StoreWithoutCastEEEviT_T0_T2_T3_T4_T5_,comdat
	.globl	_ZN2at6native27unrolled_elementwise_kernelINS0_13AUnaryFunctorIN3c1014Float8_e8m0fnuES4_bNS0_12_GLOBAL__N_116CompareEqFunctorIS4_EEEESt5arrayIPcLm2EELi4E23TrivialOffsetCalculatorILi1EjESD_NS0_6memory15LoadWithoutCastENSE_16StoreWithoutCastEEEviT_T0_T2_T3_T4_T5_ ; -- Begin function _ZN2at6native27unrolled_elementwise_kernelINS0_13AUnaryFunctorIN3c1014Float8_e8m0fnuES4_bNS0_12_GLOBAL__N_116CompareEqFunctorIS4_EEEESt5arrayIPcLm2EELi4E23TrivialOffsetCalculatorILi1EjESD_NS0_6memory15LoadWithoutCastENSE_16StoreWithoutCastEEEviT_T0_T2_T3_T4_T5_
	.p2align	8
	.type	_ZN2at6native27unrolled_elementwise_kernelINS0_13AUnaryFunctorIN3c1014Float8_e8m0fnuES4_bNS0_12_GLOBAL__N_116CompareEqFunctorIS4_EEEESt5arrayIPcLm2EELi4E23TrivialOffsetCalculatorILi1EjESD_NS0_6memory15LoadWithoutCastENSE_16StoreWithoutCastEEEviT_T0_T2_T3_T4_T5_,@function
_ZN2at6native27unrolled_elementwise_kernelINS0_13AUnaryFunctorIN3c1014Float8_e8m0fnuES4_bNS0_12_GLOBAL__N_116CompareEqFunctorIS4_EEEESt5arrayIPcLm2EELi4E23TrivialOffsetCalculatorILi1EjESD_NS0_6memory15LoadWithoutCastENSE_16StoreWithoutCastEEEviT_T0_T2_T3_T4_T5_: ; @_ZN2at6native27unrolled_elementwise_kernelINS0_13AUnaryFunctorIN3c1014Float8_e8m0fnuES4_bNS0_12_GLOBAL__N_116CompareEqFunctorIS4_EEEESt5arrayIPcLm2EELi4E23TrivialOffsetCalculatorILi1EjESD_NS0_6memory15LoadWithoutCastENSE_16StoreWithoutCastEEEviT_T0_T2_T3_T4_T5_
; %bb.0:
	s_load_dwordx8 s[8:15], s[4:5], 0x0
	s_waitcnt lgkmcnt(0)
	s_lshl_b32 s11, s6, 10
	v_mov_b32_e32 v1, 0
	v_or_b32_e32 v2, s11, v0
	v_mov_b32_e32 v3, 0
	s_sub_i32 s8, s8, s11
	v_cmp_gt_i32_e32 vcc, s8, v0
	v_mov_b32_e32 v4, 0
	v_mov_b32_e32 v5, 0
	;; [unrolled: 1-line block ×3, first 2 shown]
	s_and_saveexec_b64 s[2:3], vcc
	s_cbranch_execz .LBB321_8
; %bb.1:
	global_load_ubyte v7, v2, s[14:15]
	v_or_b32_e32 v6, 0x100, v0
	v_cmp_gt_u32_e64 s[0:1], s8, v6
	v_mov_b32_e32 v5, 0
	v_mov_b32_e32 v4, 0
	v_mov_b32_e32 v3, 0
	s_and_saveexec_b64 s[4:5], s[0:1]
	s_cbranch_execz .LBB321_7
; %bb.2:
	v_add_u32_e32 v3, s11, v6
	global_load_ubyte v5, v3, s[14:15]
	v_or_b32_e32 v6, 0x200, v0
	v_cmp_gt_u32_e64 s[0:1], s8, v6
	v_mov_b32_e32 v4, 0
	v_mov_b32_e32 v3, 0
	s_and_saveexec_b64 s[6:7], s[0:1]
	s_cbranch_execz .LBB321_6
; %bb.3:
	v_add_u32_e32 v3, s11, v6
	global_load_ubyte v4, v3, s[14:15]
	v_or_b32_e32 v6, 0x300, v0
	v_cmp_gt_u32_e64 s[0:1], s8, v6
	v_mov_b32_e32 v3, 0
	s_and_saveexec_b64 s[16:17], s[0:1]
	s_cbranch_execz .LBB321_5
; %bb.4:
	v_add_u32_e32 v3, s11, v6
	global_load_ubyte v3, v3, s[14:15]
.LBB321_5:
	s_or_b64 exec, exec, s[16:17]
.LBB321_6:
	s_or_b64 exec, exec, s[6:7]
.LBB321_7:
	s_or_b64 exec, exec, s[4:5]
.LBB321_8:
	s_or_b64 exec, exec, s[2:3]
	s_cmp_eq_u32 s9, 0
	s_cselect_b64 s[0:1], -1, 0
	s_lshl_b32 s2, s10, 23
	s_and_b32 s2, s2, 0x7f800000
	s_and_b32 s4, s10, 0xff
	s_cmpk_lg_i32 s4, 0xff
	v_mov_b32_e32 v8, 0x7f800001
	v_mov_b32_e32 v6, s2
	s_cselect_b64 s[2:3], -1, 0
	s_cmp_lg_u32 s4, 0
	v_cndmask_b32_e64 v6, v8, v6, s[2:3]
	v_mov_b32_e32 v9, 0x400000
	s_cselect_b64 s[2:3], -1, 0
	s_movk_i32 s6, 0xff
	v_cndmask_b32_e64 v6, v9, v6, s[2:3]
	s_and_saveexec_b64 s[4:5], vcc
	s_cbranch_execz .LBB321_10
; %bb.9:
	v_mov_b32_e32 v1, 23
	s_waitcnt vmcnt(0)
	v_lshlrev_b32_sdwa v1, v1, v7 dst_sel:DWORD dst_unused:UNUSED_PAD src0_sel:DWORD src1_sel:BYTE_0
	v_cmp_ne_u16_sdwa s[2:3], v7, s6 src0_sel:BYTE_0 src1_sel:DWORD
	v_cndmask_b32_e64 v1, v8, v1, s[2:3]
	v_mov_b32_e32 v8, 0
	v_cmp_ne_u16_sdwa s[2:3], v7, v8 src0_sel:BYTE_0 src1_sel:DWORD
	v_cndmask_b32_e64 v1, v9, v1, s[2:3]
	v_cmp_eq_f32_e64 s[2:3], v6, v1
	v_cndmask_b32_e64 v7, 0, 1, s[2:3]
	v_cmp_neq_f32_e64 s[2:3], v6, v1
	v_cndmask_b32_e64 v1, 0, 1, s[2:3]
	v_cndmask_b32_e64 v1, v1, v7, s[0:1]
	v_and_b32_e32 v1, 1, v1
.LBB321_10:
	s_or_b64 exec, exec, s[4:5]
	s_waitcnt vmcnt(0)
	v_or_b32_e32 v7, 0x100, v0
	v_cmp_gt_i32_e64 s[2:3], s8, v7
	s_and_saveexec_b64 s[4:5], s[2:3]
	s_cbranch_execz .LBB321_12
; %bb.11:
	s_movk_i32 s2, 0xff
	v_mov_b32_e32 v8, 23
	v_lshlrev_b32_sdwa v8, v8, v5 dst_sel:DWORD dst_unused:UNUSED_PAD src0_sel:DWORD src1_sel:BYTE_0
	v_mov_b32_e32 v9, 0x7f800001
	v_cmp_ne_u16_sdwa s[2:3], v5, s2 src0_sel:BYTE_0 src1_sel:DWORD
	v_cndmask_b32_e64 v8, v9, v8, s[2:3]
	v_mov_b32_e32 v9, 0
	v_mov_b32_e32 v10, 0x400000
	v_cmp_ne_u16_sdwa s[2:3], v5, v9 src0_sel:BYTE_0 src1_sel:DWORD
	v_cndmask_b32_e64 v5, v10, v8, s[2:3]
	v_cmp_eq_f32_e64 s[2:3], v6, v5
	v_cndmask_b32_e64 v8, 0, 1, s[2:3]
	v_cmp_neq_f32_e64 s[2:3], v6, v5
	v_cndmask_b32_e64 v5, 0, 1, s[2:3]
	v_cndmask_b32_e64 v5, v5, v8, s[0:1]
	v_mov_b32_e32 v8, 1
	v_and_b32_sdwa v5, v5, v8 dst_sel:BYTE_1 dst_unused:UNUSED_PAD src0_sel:DWORD src1_sel:DWORD
	v_or_b32_e32 v1, v1, v5
	v_and_b32_e32 v1, 0xffff, v1
.LBB321_12:
	s_or_b64 exec, exec, s[4:5]
	v_or_b32_e32 v5, 0x200, v0
	v_cmp_gt_i32_e64 s[2:3], s8, v5
	s_and_saveexec_b64 s[4:5], s[2:3]
	s_cbranch_execz .LBB321_14
; %bb.13:
	s_movk_i32 s2, 0xff
	v_mov_b32_e32 v5, 23
	v_lshlrev_b32_sdwa v5, v5, v4 dst_sel:DWORD dst_unused:UNUSED_PAD src0_sel:DWORD src1_sel:BYTE_0
	v_mov_b32_e32 v8, 0x7f800001
	v_cmp_ne_u16_sdwa s[2:3], v4, s2 src0_sel:BYTE_0 src1_sel:DWORD
	v_cndmask_b32_e64 v5, v8, v5, s[2:3]
	v_mov_b32_e32 v8, 0
	v_mov_b32_e32 v9, 0x400000
	v_cmp_ne_u16_sdwa s[2:3], v4, v8 src0_sel:BYTE_0 src1_sel:DWORD
	v_cndmask_b32_e64 v4, v9, v5, s[2:3]
	v_cmp_eq_f32_e64 s[2:3], v6, v4
	v_cndmask_b32_e64 v5, 0, 1, s[2:3]
	v_cmp_neq_f32_e64 s[2:3], v6, v4
	v_cndmask_b32_e64 v4, 0, 1, s[2:3]
	v_cndmask_b32_e64 v4, v4, v5, s[0:1]
	v_and_b32_e32 v4, 1, v4
	v_lshl_or_b32 v1, v4, 16, v1
.LBB321_14:
	s_or_b64 exec, exec, s[4:5]
	v_or_b32_e32 v4, 0x300, v0
	v_cmp_gt_i32_e64 s[2:3], s8, v4
	s_and_saveexec_b64 s[4:5], s[2:3]
	s_cbranch_execnz .LBB321_20
; %bb.15:
	s_or_b64 exec, exec, s[4:5]
	s_and_saveexec_b64 s[0:1], vcc
	s_xor_b64 s[0:1], exec, s[0:1]
	s_cbranch_execnz .LBB321_21
.LBB321_16:
	s_or_b64 exec, exec, s[0:1]
	v_cmp_gt_i32_e32 vcc, s8, v0
	s_and_saveexec_b64 s[0:1], vcc
	s_cbranch_execnz .LBB321_22
.LBB321_17:
	s_or_b64 exec, exec, s[0:1]
	v_cmp_gt_i32_e32 vcc, s8, v0
	s_and_saveexec_b64 s[0:1], vcc
	s_cbranch_execnz .LBB321_23
.LBB321_18:
	s_or_b64 exec, exec, s[0:1]
	v_cmp_gt_i32_e32 vcc, s8, v0
	s_and_saveexec_b64 s[0:1], vcc
	s_cbranch_execnz .LBB321_24
.LBB321_19:
	s_endpgm
.LBB321_20:
	s_movk_i32 s2, 0xff
	v_mov_b32_e32 v4, 23
	v_lshlrev_b32_sdwa v4, v4, v3 dst_sel:DWORD dst_unused:UNUSED_PAD src0_sel:DWORD src1_sel:BYTE_0
	v_mov_b32_e32 v5, 0x7f800001
	v_cmp_ne_u16_sdwa s[2:3], v3, s2 src0_sel:BYTE_0 src1_sel:DWORD
	v_cndmask_b32_e64 v4, v5, v4, s[2:3]
	v_mov_b32_e32 v5, 0
	v_mov_b32_e32 v8, 0x400000
	v_cmp_ne_u16_sdwa s[2:3], v3, v5 src0_sel:BYTE_0 src1_sel:DWORD
	v_cndmask_b32_e64 v3, v8, v4, s[2:3]
	v_cmp_eq_f32_e64 s[2:3], v6, v3
	v_cndmask_b32_e64 v4, 0, 1, s[2:3]
	v_cmp_neq_f32_e64 s[2:3], v6, v3
	v_cndmask_b32_e64 v3, 0, 1, s[2:3]
	v_cndmask_b32_e64 v3, v3, v4, s[0:1]
	v_mov_b32_e32 v4, 1
	v_and_b32_sdwa v3, v3, v4 dst_sel:BYTE_1 dst_unused:UNUSED_PAD src0_sel:DWORD src1_sel:DWORD
	v_or_b32_sdwa v3, v1, v3 dst_sel:WORD_1 dst_unused:UNUSED_PAD src0_sel:WORD_1 src1_sel:DWORD
	s_mov_b32 s0, 0xffff
	v_and_or_b32 v1, v1, s0, v3
	s_or_b64 exec, exec, s[4:5]
	s_and_saveexec_b64 s[0:1], vcc
	s_xor_b64 s[0:1], exec, s[0:1]
	s_cbranch_execz .LBB321_16
.LBB321_21:
	v_mov_b32_e32 v0, v7
	global_store_byte v2, v1, s[12:13]
	s_or_b64 exec, exec, s[0:1]
	v_cmp_gt_i32_e32 vcc, s8, v0
	s_and_saveexec_b64 s[0:1], vcc
	s_cbranch_execz .LBB321_17
.LBB321_22:
	v_add_u32_e32 v2, 0x100, v0
	v_add_u32_e32 v0, s11, v0
	v_lshrrev_b32_e32 v3, 8, v1
	global_store_byte v0, v3, s[12:13]
	v_mov_b32_e32 v0, v2
	s_or_b64 exec, exec, s[0:1]
	v_cmp_gt_i32_e32 vcc, s8, v0
	s_and_saveexec_b64 s[0:1], vcc
	s_cbranch_execz .LBB321_18
.LBB321_23:
	v_add_u32_e32 v2, 0x100, v0
	v_add_u32_e32 v0, s11, v0
	global_store_byte_d16_hi v0, v1, s[12:13]
	v_mov_b32_e32 v0, v2
	s_or_b64 exec, exec, s[0:1]
	v_cmp_gt_i32_e32 vcc, s8, v0
	s_and_saveexec_b64 s[0:1], vcc
	s_cbranch_execz .LBB321_19
.LBB321_24:
	v_add_u32_e32 v0, s11, v0
	v_lshrrev_b32_e32 v1, 24, v1
	global_store_byte v0, v1, s[12:13]
	s_endpgm
	.section	.rodata,"a",@progbits
	.p2align	6, 0x0
	.amdhsa_kernel _ZN2at6native27unrolled_elementwise_kernelINS0_13AUnaryFunctorIN3c1014Float8_e8m0fnuES4_bNS0_12_GLOBAL__N_116CompareEqFunctorIS4_EEEESt5arrayIPcLm2EELi4E23TrivialOffsetCalculatorILi1EjESD_NS0_6memory15LoadWithoutCastENSE_16StoreWithoutCastEEEviT_T0_T2_T3_T4_T5_
		.amdhsa_group_segment_fixed_size 0
		.amdhsa_private_segment_fixed_size 0
		.amdhsa_kernarg_size 36
		.amdhsa_user_sgpr_count 6
		.amdhsa_user_sgpr_private_segment_buffer 1
		.amdhsa_user_sgpr_dispatch_ptr 0
		.amdhsa_user_sgpr_queue_ptr 0
		.amdhsa_user_sgpr_kernarg_segment_ptr 1
		.amdhsa_user_sgpr_dispatch_id 0
		.amdhsa_user_sgpr_flat_scratch_init 0
		.amdhsa_user_sgpr_private_segment_size 0
		.amdhsa_uses_dynamic_stack 0
		.amdhsa_system_sgpr_private_segment_wavefront_offset 0
		.amdhsa_system_sgpr_workgroup_id_x 1
		.amdhsa_system_sgpr_workgroup_id_y 0
		.amdhsa_system_sgpr_workgroup_id_z 0
		.amdhsa_system_sgpr_workgroup_info 0
		.amdhsa_system_vgpr_workitem_id 0
		.amdhsa_next_free_vgpr 11
		.amdhsa_next_free_sgpr 18
		.amdhsa_reserve_vcc 1
		.amdhsa_reserve_flat_scratch 0
		.amdhsa_float_round_mode_32 0
		.amdhsa_float_round_mode_16_64 0
		.amdhsa_float_denorm_mode_32 3
		.amdhsa_float_denorm_mode_16_64 3
		.amdhsa_dx10_clamp 1
		.amdhsa_ieee_mode 1
		.amdhsa_fp16_overflow 0
		.amdhsa_exception_fp_ieee_invalid_op 0
		.amdhsa_exception_fp_denorm_src 0
		.amdhsa_exception_fp_ieee_div_zero 0
		.amdhsa_exception_fp_ieee_overflow 0
		.amdhsa_exception_fp_ieee_underflow 0
		.amdhsa_exception_fp_ieee_inexact 0
		.amdhsa_exception_int_div_zero 0
	.end_amdhsa_kernel
	.section	.text._ZN2at6native27unrolled_elementwise_kernelINS0_13AUnaryFunctorIN3c1014Float8_e8m0fnuES4_bNS0_12_GLOBAL__N_116CompareEqFunctorIS4_EEEESt5arrayIPcLm2EELi4E23TrivialOffsetCalculatorILi1EjESD_NS0_6memory15LoadWithoutCastENSE_16StoreWithoutCastEEEviT_T0_T2_T3_T4_T5_,"axG",@progbits,_ZN2at6native27unrolled_elementwise_kernelINS0_13AUnaryFunctorIN3c1014Float8_e8m0fnuES4_bNS0_12_GLOBAL__N_116CompareEqFunctorIS4_EEEESt5arrayIPcLm2EELi4E23TrivialOffsetCalculatorILi1EjESD_NS0_6memory15LoadWithoutCastENSE_16StoreWithoutCastEEEviT_T0_T2_T3_T4_T5_,comdat
.Lfunc_end321:
	.size	_ZN2at6native27unrolled_elementwise_kernelINS0_13AUnaryFunctorIN3c1014Float8_e8m0fnuES4_bNS0_12_GLOBAL__N_116CompareEqFunctorIS4_EEEESt5arrayIPcLm2EELi4E23TrivialOffsetCalculatorILi1EjESD_NS0_6memory15LoadWithoutCastENSE_16StoreWithoutCastEEEviT_T0_T2_T3_T4_T5_, .Lfunc_end321-_ZN2at6native27unrolled_elementwise_kernelINS0_13AUnaryFunctorIN3c1014Float8_e8m0fnuES4_bNS0_12_GLOBAL__N_116CompareEqFunctorIS4_EEEESt5arrayIPcLm2EELi4E23TrivialOffsetCalculatorILi1EjESD_NS0_6memory15LoadWithoutCastENSE_16StoreWithoutCastEEEviT_T0_T2_T3_T4_T5_
                                        ; -- End function
	.set _ZN2at6native27unrolled_elementwise_kernelINS0_13AUnaryFunctorIN3c1014Float8_e8m0fnuES4_bNS0_12_GLOBAL__N_116CompareEqFunctorIS4_EEEESt5arrayIPcLm2EELi4E23TrivialOffsetCalculatorILi1EjESD_NS0_6memory15LoadWithoutCastENSE_16StoreWithoutCastEEEviT_T0_T2_T3_T4_T5_.num_vgpr, 11
	.set _ZN2at6native27unrolled_elementwise_kernelINS0_13AUnaryFunctorIN3c1014Float8_e8m0fnuES4_bNS0_12_GLOBAL__N_116CompareEqFunctorIS4_EEEESt5arrayIPcLm2EELi4E23TrivialOffsetCalculatorILi1EjESD_NS0_6memory15LoadWithoutCastENSE_16StoreWithoutCastEEEviT_T0_T2_T3_T4_T5_.num_agpr, 0
	.set _ZN2at6native27unrolled_elementwise_kernelINS0_13AUnaryFunctorIN3c1014Float8_e8m0fnuES4_bNS0_12_GLOBAL__N_116CompareEqFunctorIS4_EEEESt5arrayIPcLm2EELi4E23TrivialOffsetCalculatorILi1EjESD_NS0_6memory15LoadWithoutCastENSE_16StoreWithoutCastEEEviT_T0_T2_T3_T4_T5_.numbered_sgpr, 18
	.set _ZN2at6native27unrolled_elementwise_kernelINS0_13AUnaryFunctorIN3c1014Float8_e8m0fnuES4_bNS0_12_GLOBAL__N_116CompareEqFunctorIS4_EEEESt5arrayIPcLm2EELi4E23TrivialOffsetCalculatorILi1EjESD_NS0_6memory15LoadWithoutCastENSE_16StoreWithoutCastEEEviT_T0_T2_T3_T4_T5_.num_named_barrier, 0
	.set _ZN2at6native27unrolled_elementwise_kernelINS0_13AUnaryFunctorIN3c1014Float8_e8m0fnuES4_bNS0_12_GLOBAL__N_116CompareEqFunctorIS4_EEEESt5arrayIPcLm2EELi4E23TrivialOffsetCalculatorILi1EjESD_NS0_6memory15LoadWithoutCastENSE_16StoreWithoutCastEEEviT_T0_T2_T3_T4_T5_.private_seg_size, 0
	.set _ZN2at6native27unrolled_elementwise_kernelINS0_13AUnaryFunctorIN3c1014Float8_e8m0fnuES4_bNS0_12_GLOBAL__N_116CompareEqFunctorIS4_EEEESt5arrayIPcLm2EELi4E23TrivialOffsetCalculatorILi1EjESD_NS0_6memory15LoadWithoutCastENSE_16StoreWithoutCastEEEviT_T0_T2_T3_T4_T5_.uses_vcc, 1
	.set _ZN2at6native27unrolled_elementwise_kernelINS0_13AUnaryFunctorIN3c1014Float8_e8m0fnuES4_bNS0_12_GLOBAL__N_116CompareEqFunctorIS4_EEEESt5arrayIPcLm2EELi4E23TrivialOffsetCalculatorILi1EjESD_NS0_6memory15LoadWithoutCastENSE_16StoreWithoutCastEEEviT_T0_T2_T3_T4_T5_.uses_flat_scratch, 0
	.set _ZN2at6native27unrolled_elementwise_kernelINS0_13AUnaryFunctorIN3c1014Float8_e8m0fnuES4_bNS0_12_GLOBAL__N_116CompareEqFunctorIS4_EEEESt5arrayIPcLm2EELi4E23TrivialOffsetCalculatorILi1EjESD_NS0_6memory15LoadWithoutCastENSE_16StoreWithoutCastEEEviT_T0_T2_T3_T4_T5_.has_dyn_sized_stack, 0
	.set _ZN2at6native27unrolled_elementwise_kernelINS0_13AUnaryFunctorIN3c1014Float8_e8m0fnuES4_bNS0_12_GLOBAL__N_116CompareEqFunctorIS4_EEEESt5arrayIPcLm2EELi4E23TrivialOffsetCalculatorILi1EjESD_NS0_6memory15LoadWithoutCastENSE_16StoreWithoutCastEEEviT_T0_T2_T3_T4_T5_.has_recursion, 0
	.set _ZN2at6native27unrolled_elementwise_kernelINS0_13AUnaryFunctorIN3c1014Float8_e8m0fnuES4_bNS0_12_GLOBAL__N_116CompareEqFunctorIS4_EEEESt5arrayIPcLm2EELi4E23TrivialOffsetCalculatorILi1EjESD_NS0_6memory15LoadWithoutCastENSE_16StoreWithoutCastEEEviT_T0_T2_T3_T4_T5_.has_indirect_call, 0
	.section	.AMDGPU.csdata,"",@progbits
; Kernel info:
; codeLenInByte = 1100
; TotalNumSgprs: 22
; NumVgprs: 11
; ScratchSize: 0
; MemoryBound: 0
; FloatMode: 240
; IeeeMode: 1
; LDSByteSize: 0 bytes/workgroup (compile time only)
; SGPRBlocks: 2
; VGPRBlocks: 2
; NumSGPRsForWavesPerEU: 22
; NumVGPRsForWavesPerEU: 11
; Occupancy: 10
; WaveLimiterHint : 0
; COMPUTE_PGM_RSRC2:SCRATCH_EN: 0
; COMPUTE_PGM_RSRC2:USER_SGPR: 6
; COMPUTE_PGM_RSRC2:TRAP_HANDLER: 0
; COMPUTE_PGM_RSRC2:TGID_X_EN: 1
; COMPUTE_PGM_RSRC2:TGID_Y_EN: 0
; COMPUTE_PGM_RSRC2:TGID_Z_EN: 0
; COMPUTE_PGM_RSRC2:TIDIG_COMP_CNT: 0
	.section	.text._ZN2at6native32elementwise_kernel_manual_unrollILi128ELi8EZNS0_22gpu_kernel_impl_nocastINS0_13AUnaryFunctorIN3c1014Float8_e8m0fnuES5_bNS0_12_GLOBAL__N_116CompareEqFunctorIS5_EEEEEEvRNS_18TensorIteratorBaseERKT_EUlibE_EEviT1_,"axG",@progbits,_ZN2at6native32elementwise_kernel_manual_unrollILi128ELi8EZNS0_22gpu_kernel_impl_nocastINS0_13AUnaryFunctorIN3c1014Float8_e8m0fnuES5_bNS0_12_GLOBAL__N_116CompareEqFunctorIS5_EEEEEEvRNS_18TensorIteratorBaseERKT_EUlibE_EEviT1_,comdat
	.globl	_ZN2at6native32elementwise_kernel_manual_unrollILi128ELi8EZNS0_22gpu_kernel_impl_nocastINS0_13AUnaryFunctorIN3c1014Float8_e8m0fnuES5_bNS0_12_GLOBAL__N_116CompareEqFunctorIS5_EEEEEEvRNS_18TensorIteratorBaseERKT_EUlibE_EEviT1_ ; -- Begin function _ZN2at6native32elementwise_kernel_manual_unrollILi128ELi8EZNS0_22gpu_kernel_impl_nocastINS0_13AUnaryFunctorIN3c1014Float8_e8m0fnuES5_bNS0_12_GLOBAL__N_116CompareEqFunctorIS5_EEEEEEvRNS_18TensorIteratorBaseERKT_EUlibE_EEviT1_
	.p2align	8
	.type	_ZN2at6native32elementwise_kernel_manual_unrollILi128ELi8EZNS0_22gpu_kernel_impl_nocastINS0_13AUnaryFunctorIN3c1014Float8_e8m0fnuES5_bNS0_12_GLOBAL__N_116CompareEqFunctorIS5_EEEEEEvRNS_18TensorIteratorBaseERKT_EUlibE_EEviT1_,@function
_ZN2at6native32elementwise_kernel_manual_unrollILi128ELi8EZNS0_22gpu_kernel_impl_nocastINS0_13AUnaryFunctorIN3c1014Float8_e8m0fnuES5_bNS0_12_GLOBAL__N_116CompareEqFunctorIS5_EEEEEEvRNS_18TensorIteratorBaseERKT_EUlibE_EEviT1_: ; @_ZN2at6native32elementwise_kernel_manual_unrollILi128ELi8EZNS0_22gpu_kernel_impl_nocastINS0_13AUnaryFunctorIN3c1014Float8_e8m0fnuES5_bNS0_12_GLOBAL__N_116CompareEqFunctorIS5_EEEEEEvRNS_18TensorIteratorBaseERKT_EUlibE_EEviT1_
; %bb.0:
	s_load_dword s57, s[4:5], 0x0
	s_load_dword s33, s[4:5], 0x8
	s_add_u32 s34, s4, 8
	s_addc_u32 s35, s5, 0
	v_lshl_or_b32 v19, s6, 10, v0
	v_or_b32_e32 v25, 0x380, v19
	s_waitcnt lgkmcnt(0)
	s_add_i32 s56, s33, -1
	s_cmp_gt_u32 s56, 1
	v_cmp_le_i32_e32 vcc, s57, v25
	s_cselect_b64 s[40:41], -1, 0
	s_and_saveexec_b64 s[0:1], vcc
	s_xor_b64 s[42:43], exec, s[0:1]
	s_cbranch_execz .LBB322_7
; %bb.1:
	s_load_dwordx4 s[24:27], s[34:35], 0x4
	s_load_dwordx2 s[44:45], s[34:35], 0x14
	s_load_dwordx2 s[0:1], s[34:35], 0x158
	s_cmp_lg_u32 s33, 0
	s_cselect_b64 s[50:51], -1, 0
	s_add_u32 s48, s34, 0xc4
	s_addc_u32 s49, s35, 0
	s_min_u32 s58, s56, 15
	s_cmp_gt_u32 s33, 1
	s_cselect_b64 s[46:47], -1, 0
	s_waitcnt lgkmcnt(0)
	s_and_b32 s4, s1, 0xff
	s_cmp_lg_u32 s4, 0
	s_cselect_b64 vcc, -1, 0
	s_cmpk_lg_i32 s4, 0xff
	s_load_dwordx4 s[28:31], s[34:35], 0xc4
	s_load_dwordx4 s[20:23], s[34:35], 0x148
	s_cselect_b64 s[2:3], -1, 0
	s_cmp_eq_u32 s0, 0
	s_cselect_b64 s[0:1], -1, 0
	s_lshl_b32 s4, s4, 23
	v_mov_b32_e32 v1, 0x7f800001
	v_mov_b32_e32 v2, s4
	;; [unrolled: 1-line block ×3, first 2 shown]
	v_cndmask_b32_e64 v1, v1, v2, s[2:3]
	v_cndmask_b32_e32 v4, v0, v1, vcc
	v_cmp_gt_i32_e32 vcc, s57, v19
	s_and_saveexec_b64 s[2:3], vcc
	s_cbranch_execz .LBB322_14
; %bb.2:
	s_andn2_b64 vcc, exec, s[40:41]
	s_cbranch_vccnz .LBB322_21
; %bb.3:
	s_andn2_b64 vcc, exec, s[50:51]
	s_cbranch_vccnz .LBB322_129
; %bb.4:
	s_add_i32 s60, s58, 1
	s_cmp_eq_u32 s56, 2
	s_cbranch_scc1 .LBB322_131
; %bb.5:
	s_and_b32 s59, s60, 28
	v_mov_b32_e32 v2, 0
	s_mov_b32 s61, 0
	s_mov_b64 s[52:53], s[34:35]
	s_mov_b64 s[54:55], s[48:49]
	v_mov_b32_e32 v0, 0
	v_mov_b32_e32 v1, v19
.LBB322_6:                              ; =>This Inner Loop Header: Depth=1
	s_load_dwordx8 s[12:19], s[52:53], 0x4
	s_load_dwordx4 s[36:39], s[52:53], 0x24
	s_load_dwordx8 s[4:11], s[54:55], 0x0
	s_add_u32 s52, s52, 48
	s_addc_u32 s53, s53, 0
	s_waitcnt lgkmcnt(0)
	v_mul_hi_u32 v3, s13, v1
	s_add_i32 s61, s61, 4
	s_add_u32 s54, s54, 32
	s_addc_u32 s55, s55, 0
	v_add_u32_e32 v3, v1, v3
	v_lshrrev_b32_e32 v3, s14, v3
	v_mul_lo_u32 v5, v3, s12
	v_mul_hi_u32 v6, s16, v3
	s_cmp_lg_u32 s59, s61
	v_sub_u32_e32 v1, v1, v5
	v_add_u32_e32 v5, v3, v6
	v_mul_lo_u32 v6, v1, s4
	v_mul_lo_u32 v7, v1, s5
	v_lshrrev_b32_e32 v1, s17, v5
	v_mul_lo_u32 v5, v1, s15
	v_mul_hi_u32 v8, s19, v1
	v_sub_u32_e32 v3, v3, v5
	v_add_u32_e32 v5, v1, v8
	v_lshrrev_b32_e32 v5, s36, v5
	v_mul_hi_u32 v9, s38, v5
	v_mul_lo_u32 v10, v5, s18
	v_mul_lo_u32 v8, v3, s6
	;; [unrolled: 1-line block ×3, first 2 shown]
	v_sub_u32_e32 v10, v1, v10
	v_add_u32_e32 v1, v5, v9
	v_lshrrev_b32_e32 v1, s39, v1
	v_mul_lo_u32 v9, v1, s37
	v_mul_lo_u32 v11, v10, s8
	;; [unrolled: 1-line block ×3, first 2 shown]
	v_add3_u32 v0, v6, v0, v8
	v_sub_u32_e32 v5, v5, v9
	v_mul_lo_u32 v9, v5, s10
	v_mul_lo_u32 v5, v5, s11
	v_add3_u32 v2, v7, v2, v3
	v_add3_u32 v0, v11, v0, v9
	;; [unrolled: 1-line block ×3, first 2 shown]
	s_cbranch_scc1 .LBB322_6
	s_branch .LBB322_132
.LBB322_7:
	s_andn2_saveexec_b64 s[0:1], s[42:43]
	s_cbranch_execz .LBB322_221
.LBB322_8:
	v_cndmask_b32_e64 v0, 0, 1, s[40:41]
	v_cmp_ne_u32_e64 s[0:1], 1, v0
	s_andn2_b64 vcc, exec, s[40:41]
	s_cbranch_vccnz .LBB322_20
; %bb.9:
	s_cmp_lg_u32 s33, 0
	s_mov_b32 s26, 0
	s_cbranch_scc0 .LBB322_23
; %bb.10:
	s_min_u32 s27, s56, 15
	s_add_i32 s27, s27, 1
	s_cmp_eq_u32 s56, 2
	s_cbranch_scc1 .LBB322_24
; %bb.11:
	s_and_b32 s26, s27, 28
	s_add_u32 s2, s34, 0xc4
	s_addc_u32 s3, s35, 0
	v_mov_b32_e32 v2, 0
	s_waitcnt lgkmcnt(0)
	s_mov_b32 s28, 0
	s_mov_b64 s[24:25], s[34:35]
	v_mov_b32_e32 v0, 0
	v_mov_b32_e32 v1, v19
.LBB322_12:                             ; =>This Inner Loop Header: Depth=1
	s_load_dwordx8 s[12:19], s[24:25], 0x4
	s_load_dwordx4 s[20:23], s[24:25], 0x24
	s_load_dwordx8 s[4:11], s[2:3], 0x0
	s_add_u32 s24, s24, 48
	s_addc_u32 s25, s25, 0
	s_waitcnt lgkmcnt(0)
	v_mul_hi_u32 v3, s13, v1
	s_add_i32 s28, s28, 4
	s_add_u32 s2, s2, 32
	s_addc_u32 s3, s3, 0
	v_add_u32_e32 v3, v1, v3
	v_lshrrev_b32_e32 v3, s14, v3
	v_mul_lo_u32 v4, v3, s12
	v_mul_hi_u32 v5, s16, v3
	s_cmp_lg_u32 s26, s28
	v_sub_u32_e32 v1, v1, v4
	v_add_u32_e32 v4, v3, v5
	v_mul_lo_u32 v5, v1, s4
	v_mul_lo_u32 v6, v1, s5
	v_lshrrev_b32_e32 v1, s17, v4
	v_mul_lo_u32 v4, v1, s15
	v_mul_hi_u32 v7, s19, v1
	v_sub_u32_e32 v3, v3, v4
	v_add_u32_e32 v4, v1, v7
	v_lshrrev_b32_e32 v4, s20, v4
	v_mul_hi_u32 v8, s22, v4
	v_mul_lo_u32 v9, v4, s18
	v_mul_lo_u32 v7, v3, s6
	;; [unrolled: 1-line block ×3, first 2 shown]
	v_sub_u32_e32 v9, v1, v9
	v_add_u32_e32 v1, v4, v8
	v_lshrrev_b32_e32 v1, s23, v1
	v_mul_lo_u32 v8, v1, s21
	v_mul_lo_u32 v10, v9, s8
	;; [unrolled: 1-line block ×3, first 2 shown]
	v_add3_u32 v0, v5, v0, v7
	v_sub_u32_e32 v4, v4, v8
	v_mul_lo_u32 v8, v4, s10
	v_mul_lo_u32 v4, v4, s11
	v_add3_u32 v2, v6, v2, v3
	v_add3_u32 v0, v10, v0, v8
	;; [unrolled: 1-line block ×3, first 2 shown]
	s_cbranch_scc1 .LBB322_12
; %bb.13:
	s_and_b32 s6, s27, 3
	s_cmp_eq_u32 s6, 0
	s_cbranch_scc0 .LBB322_25
	s_branch .LBB322_27
.LBB322_14:
	s_or_b64 exec, exec, s[2:3]
	v_cmp_gt_i32_e32 vcc, s57, v19
	s_and_saveexec_b64 s[2:3], vcc
	s_cbranch_execz .LBB322_139
.LBB322_15:
	s_andn2_b64 vcc, exec, s[40:41]
	s_cbranch_vccnz .LBB322_22
; %bb.16:
	s_andn2_b64 vcc, exec, s[50:51]
	s_cbranch_vccnz .LBB322_130
; %bb.17:
	s_add_i32 s60, s58, 1
	s_cmp_eq_u32 s56, 2
	s_cbranch_scc1 .LBB322_147
; %bb.18:
	s_and_b32 s59, s60, 28
	v_mov_b32_e32 v2, 0
	s_mov_b32 s61, 0
	s_mov_b64 s[52:53], s[34:35]
	s_mov_b64 s[54:55], s[48:49]
	v_mov_b32_e32 v0, 0
	v_mov_b32_e32 v1, v19
.LBB322_19:                             ; =>This Inner Loop Header: Depth=1
	s_load_dwordx8 s[12:19], s[52:53], 0x4
	s_load_dwordx4 s[36:39], s[52:53], 0x24
	s_load_dwordx8 s[4:11], s[54:55], 0x0
	s_add_u32 s52, s52, 48
	s_addc_u32 s53, s53, 0
	s_waitcnt lgkmcnt(0)
	v_mul_hi_u32 v3, s13, v1
	s_add_i32 s61, s61, 4
	s_add_u32 s54, s54, 32
	s_addc_u32 s55, s55, 0
	v_add_u32_e32 v3, v1, v3
	v_lshrrev_b32_e32 v3, s14, v3
	v_mul_lo_u32 v5, v3, s12
	v_mul_hi_u32 v6, s16, v3
	s_cmp_eq_u32 s59, s61
	v_sub_u32_e32 v1, v1, v5
	v_add_u32_e32 v5, v3, v6
	v_mul_lo_u32 v6, v1, s4
	v_mul_lo_u32 v7, v1, s5
	v_lshrrev_b32_e32 v1, s17, v5
	v_mul_lo_u32 v5, v1, s15
	v_mul_hi_u32 v8, s19, v1
	v_sub_u32_e32 v3, v3, v5
	v_add_u32_e32 v5, v1, v8
	v_lshrrev_b32_e32 v5, s36, v5
	v_mul_hi_u32 v9, s38, v5
	v_mul_lo_u32 v10, v5, s18
	v_mul_lo_u32 v8, v3, s6
	;; [unrolled: 1-line block ×3, first 2 shown]
	v_sub_u32_e32 v10, v1, v10
	v_add_u32_e32 v1, v5, v9
	v_lshrrev_b32_e32 v1, s39, v1
	v_mul_lo_u32 v9, v1, s37
	v_mul_lo_u32 v11, v10, s8
	;; [unrolled: 1-line block ×3, first 2 shown]
	v_add3_u32 v0, v6, v0, v8
	v_sub_u32_e32 v5, v5, v9
	v_mul_lo_u32 v9, v5, s10
	v_mul_lo_u32 v5, v5, s11
	v_add3_u32 v2, v7, v2, v3
	v_add3_u32 v0, v11, v0, v9
	;; [unrolled: 1-line block ×3, first 2 shown]
	s_cbranch_scc0 .LBB322_19
	s_branch .LBB322_148
.LBB322_20:
                                        ; implicit-def: $vgpr0
                                        ; implicit-def: $vgpr2
	s_branch .LBB322_28
.LBB322_21:
                                        ; implicit-def: $vgpr0
                                        ; implicit-def: $vgpr2
	s_branch .LBB322_136
.LBB322_22:
                                        ; implicit-def: $vgpr0
                                        ; implicit-def: $vgpr2
	s_branch .LBB322_152
.LBB322_23:
	v_mov_b32_e32 v0, 0
	v_mov_b32_e32 v2, 0
	s_branch .LBB322_27
.LBB322_24:
	v_mov_b32_e32 v0, 0
	v_mov_b32_e32 v2, 0
	;; [unrolled: 1-line block ×3, first 2 shown]
	s_and_b32 s6, s27, 3
	s_cmp_eq_u32 s6, 0
	s_cbranch_scc1 .LBB322_27
.LBB322_25:
	s_lshl_b32 s2, s26, 3
	s_add_u32 s2, s34, s2
	s_addc_u32 s3, s35, 0
	s_add_u32 s2, s2, 0xc4
	s_addc_u32 s3, s3, 0
	s_mul_i32 s4, s26, 12
	s_add_u32 s4, s34, s4
	s_addc_u32 s5, s35, 0
.LBB322_26:                             ; =>This Inner Loop Header: Depth=1
	s_load_dwordx2 s[8:9], s[4:5], 0x4
	s_load_dword s7, s[4:5], 0xc
	s_load_dwordx2 s[10:11], s[2:3], 0x0
	s_add_u32 s4, s4, 12
	s_addc_u32 s5, s5, 0
	s_waitcnt lgkmcnt(0)
	v_mul_hi_u32 v4, s9, v1
	s_add_u32 s2, s2, 8
	s_addc_u32 s3, s3, 0
	s_add_i32 s6, s6, -1
	v_add_u32_e32 v4, v1, v4
	v_lshrrev_b32_e32 v4, s7, v4
	v_mul_lo_u32 v5, v4, s8
	s_cmp_lg_u32 s6, 0
	v_sub_u32_e32 v5, v1, v5
	v_mad_u64_u32 v[0:1], s[8:9], v5, s10, v[0:1]
	v_mad_u64_u32 v[2:3], s[8:9], v5, s11, v[2:3]
	v_mov_b32_e32 v1, v4
	s_cbranch_scc1 .LBB322_26
.LBB322_27:
	s_cbranch_execnz .LBB322_30
.LBB322_28:
	s_load_dwordx4 s[4:7], s[34:35], 0x4
	s_load_dwordx2 s[2:3], s[34:35], 0xc4
	s_cmp_lt_u32 s33, 2
	s_waitcnt lgkmcnt(0)
	v_mul_hi_u32 v0, s5, v19
	v_add_u32_e32 v0, v19, v0
	v_lshrrev_b32_e32 v1, s6, v0
	v_mul_lo_u32 v0, v1, s4
	v_sub_u32_e32 v2, v19, v0
	v_mul_lo_u32 v0, v2, s2
	v_mul_lo_u32 v2, v2, s3
	s_cbranch_scc1 .LBB322_30
; %bb.29:
	s_load_dwordx4 s[4:7], s[34:35], 0x10
	s_load_dwordx2 s[2:3], s[34:35], 0xcc
	s_waitcnt lgkmcnt(0)
	v_mul_hi_u32 v3, s5, v1
	v_add_u32_e32 v3, v1, v3
	v_lshrrev_b32_e32 v3, s6, v3
	v_mul_lo_u32 v3, v3, s4
	v_sub_u32_e32 v3, v1, v3
	v_mad_u64_u32 v[0:1], s[4:5], v3, s2, v[0:1]
	v_mad_u64_u32 v[2:3], s[2:3], v3, s3, v[2:3]
.LBB322_30:
	s_and_b64 vcc, exec, s[0:1]
	v_add_u32_e32 v1, 0x80, v19
	s_cbranch_vccnz .LBB322_36
; %bb.31:
	s_cmp_lg_u32 s33, 0
	s_mov_b32 s26, 0
	s_cbranch_scc0 .LBB322_37
; %bb.32:
	s_min_u32 s27, s56, 15
	s_add_i32 s27, s27, 1
	s_cmp_eq_u32 s56, 2
	s_cbranch_scc1 .LBB322_38
; %bb.33:
	s_and_b32 s26, s27, 28
	s_add_u32 s2, s34, 0xc4
	s_addc_u32 s3, s35, 0
	v_mov_b32_e32 v5, 0
	s_waitcnt lgkmcnt(0)
	s_mov_b32 s28, 0
	s_mov_b64 s[24:25], s[34:35]
	v_mov_b32_e32 v3, 0
	v_mov_b32_e32 v4, v1
.LBB322_34:                             ; =>This Inner Loop Header: Depth=1
	s_load_dwordx8 s[12:19], s[24:25], 0x4
	s_load_dwordx4 s[20:23], s[24:25], 0x24
	s_load_dwordx8 s[4:11], s[2:3], 0x0
	s_add_u32 s24, s24, 48
	s_addc_u32 s25, s25, 0
	s_waitcnt lgkmcnt(0)
	v_mul_hi_u32 v6, s13, v4
	s_add_i32 s28, s28, 4
	s_add_u32 s2, s2, 32
	s_addc_u32 s3, s3, 0
	v_add_u32_e32 v6, v4, v6
	v_lshrrev_b32_e32 v6, s14, v6
	v_mul_lo_u32 v7, v6, s12
	v_mul_hi_u32 v8, s16, v6
	s_cmp_lg_u32 s26, s28
	v_sub_u32_e32 v4, v4, v7
	v_add_u32_e32 v7, v6, v8
	v_mul_lo_u32 v8, v4, s4
	v_mul_lo_u32 v9, v4, s5
	v_lshrrev_b32_e32 v4, s17, v7
	v_mul_lo_u32 v7, v4, s15
	v_mul_hi_u32 v10, s19, v4
	v_sub_u32_e32 v6, v6, v7
	v_add_u32_e32 v7, v4, v10
	v_lshrrev_b32_e32 v7, s20, v7
	v_mul_hi_u32 v11, s22, v7
	v_mul_lo_u32 v12, v7, s18
	v_mul_lo_u32 v10, v6, s6
	;; [unrolled: 1-line block ×3, first 2 shown]
	v_sub_u32_e32 v12, v4, v12
	v_add_u32_e32 v4, v7, v11
	v_lshrrev_b32_e32 v4, s23, v4
	v_mul_lo_u32 v11, v4, s21
	v_mul_lo_u32 v13, v12, s8
	v_mul_lo_u32 v12, v12, s9
	v_add3_u32 v3, v8, v3, v10
	v_sub_u32_e32 v7, v7, v11
	v_mul_lo_u32 v11, v7, s10
	v_mul_lo_u32 v7, v7, s11
	v_add3_u32 v5, v9, v5, v6
	v_add3_u32 v3, v13, v3, v11
	;; [unrolled: 1-line block ×3, first 2 shown]
	s_cbranch_scc1 .LBB322_34
; %bb.35:
	s_and_b32 s6, s27, 3
	s_cmp_eq_u32 s6, 0
	s_cbranch_scc0 .LBB322_39
	s_branch .LBB322_41
.LBB322_36:
                                        ; implicit-def: $vgpr3
                                        ; implicit-def: $vgpr5
	s_branch .LBB322_42
.LBB322_37:
	v_mov_b32_e32 v3, 0
	v_mov_b32_e32 v5, 0
	s_branch .LBB322_41
.LBB322_38:
	v_mov_b32_e32 v3, 0
	v_mov_b32_e32 v5, 0
	;; [unrolled: 1-line block ×3, first 2 shown]
	s_and_b32 s6, s27, 3
	s_cmp_eq_u32 s6, 0
	s_cbranch_scc1 .LBB322_41
.LBB322_39:
	s_lshl_b32 s2, s26, 3
	s_add_u32 s2, s34, s2
	s_addc_u32 s3, s35, 0
	s_add_u32 s2, s2, 0xc4
	s_addc_u32 s3, s3, 0
	s_mul_i32 s4, s26, 12
	s_add_u32 s4, s34, s4
	s_addc_u32 s5, s35, 0
.LBB322_40:                             ; =>This Inner Loop Header: Depth=1
	s_load_dwordx2 s[8:9], s[4:5], 0x4
	s_load_dword s7, s[4:5], 0xc
	s_load_dwordx2 s[10:11], s[2:3], 0x0
	s_add_u32 s4, s4, 12
	s_addc_u32 s5, s5, 0
	s_waitcnt lgkmcnt(0)
	v_mul_hi_u32 v7, s9, v4
	s_add_u32 s2, s2, 8
	s_addc_u32 s3, s3, 0
	s_add_i32 s6, s6, -1
	v_add_u32_e32 v7, v4, v7
	v_lshrrev_b32_e32 v7, s7, v7
	v_mul_lo_u32 v8, v7, s8
	s_cmp_lg_u32 s6, 0
	v_sub_u32_e32 v8, v4, v8
	v_mad_u64_u32 v[3:4], s[8:9], v8, s10, v[3:4]
	v_mad_u64_u32 v[5:6], s[8:9], v8, s11, v[5:6]
	v_mov_b32_e32 v4, v7
	s_cbranch_scc1 .LBB322_40
.LBB322_41:
	s_cbranch_execnz .LBB322_44
.LBB322_42:
	s_load_dwordx4 s[4:7], s[34:35], 0x4
	s_load_dwordx2 s[2:3], s[34:35], 0xc4
	s_cmp_lt_u32 s33, 2
	s_waitcnt lgkmcnt(0)
	v_mul_hi_u32 v3, s5, v1
	v_add_u32_e32 v3, v1, v3
	v_lshrrev_b32_e32 v4, s6, v3
	v_mul_lo_u32 v3, v4, s4
	v_sub_u32_e32 v1, v1, v3
	v_mul_lo_u32 v3, v1, s2
	v_mul_lo_u32 v5, v1, s3
	s_cbranch_scc1 .LBB322_44
; %bb.43:
	s_load_dwordx4 s[4:7], s[34:35], 0x10
	s_load_dwordx2 s[2:3], s[34:35], 0xcc
	s_waitcnt lgkmcnt(0)
	v_mul_hi_u32 v1, s5, v4
	v_add_u32_e32 v1, v4, v1
	v_lshrrev_b32_e32 v1, s6, v1
	v_mul_lo_u32 v1, v1, s4
	v_sub_u32_e32 v1, v4, v1
	v_mad_u64_u32 v[3:4], s[4:5], v1, s2, v[3:4]
	v_mad_u64_u32 v[5:6], s[2:3], v1, s3, v[5:6]
.LBB322_44:
	s_and_b64 vcc, exec, s[0:1]
	v_add_u32_e32 v1, 0x100, v19
	s_cbranch_vccnz .LBB322_50
; %bb.45:
	s_cmp_lg_u32 s33, 0
	s_mov_b32 s26, 0
	s_cbranch_scc0 .LBB322_51
; %bb.46:
	s_min_u32 s27, s56, 15
	s_add_i32 s27, s27, 1
	s_cmp_eq_u32 s56, 2
	s_cbranch_scc1 .LBB322_52
; %bb.47:
	s_and_b32 s26, s27, 28
	s_add_u32 s2, s34, 0xc4
	s_addc_u32 s3, s35, 0
	v_mov_b32_e32 v8, 0
	s_waitcnt lgkmcnt(0)
	s_mov_b32 s28, 0
	s_mov_b64 s[24:25], s[34:35]
	v_mov_b32_e32 v6, 0
	v_mov_b32_e32 v4, v1
.LBB322_48:                             ; =>This Inner Loop Header: Depth=1
	s_load_dwordx8 s[12:19], s[24:25], 0x4
	s_load_dwordx4 s[20:23], s[24:25], 0x24
	s_load_dwordx8 s[4:11], s[2:3], 0x0
	s_add_u32 s24, s24, 48
	s_addc_u32 s25, s25, 0
	s_waitcnt lgkmcnt(0)
	v_mul_hi_u32 v7, s13, v4
	s_add_i32 s28, s28, 4
	s_add_u32 s2, s2, 32
	s_addc_u32 s3, s3, 0
	v_add_u32_e32 v7, v4, v7
	v_lshrrev_b32_e32 v7, s14, v7
	v_mul_lo_u32 v9, v7, s12
	v_mul_hi_u32 v10, s16, v7
	s_cmp_lg_u32 s26, s28
	v_sub_u32_e32 v4, v4, v9
	v_add_u32_e32 v9, v7, v10
	v_mul_lo_u32 v10, v4, s4
	v_mul_lo_u32 v11, v4, s5
	v_lshrrev_b32_e32 v4, s17, v9
	v_mul_lo_u32 v9, v4, s15
	v_mul_hi_u32 v12, s19, v4
	v_sub_u32_e32 v7, v7, v9
	v_add_u32_e32 v9, v4, v12
	v_lshrrev_b32_e32 v9, s20, v9
	v_mul_hi_u32 v13, s22, v9
	v_mul_lo_u32 v14, v9, s18
	v_mul_lo_u32 v12, v7, s6
	;; [unrolled: 1-line block ×3, first 2 shown]
	v_sub_u32_e32 v14, v4, v14
	v_add_u32_e32 v4, v9, v13
	v_lshrrev_b32_e32 v4, s23, v4
	v_mul_lo_u32 v13, v4, s21
	v_mul_lo_u32 v15, v14, s8
	;; [unrolled: 1-line block ×3, first 2 shown]
	v_add3_u32 v6, v10, v6, v12
	v_sub_u32_e32 v9, v9, v13
	v_mul_lo_u32 v13, v9, s10
	v_mul_lo_u32 v9, v9, s11
	v_add3_u32 v7, v11, v8, v7
	v_add3_u32 v6, v15, v6, v13
	;; [unrolled: 1-line block ×3, first 2 shown]
	s_cbranch_scc1 .LBB322_48
; %bb.49:
	s_and_b32 s6, s27, 3
	s_cmp_eq_u32 s6, 0
	s_cbranch_scc0 .LBB322_53
	s_branch .LBB322_55
.LBB322_50:
                                        ; implicit-def: $vgpr6
                                        ; implicit-def: $vgpr8
	s_branch .LBB322_56
.LBB322_51:
	v_mov_b32_e32 v6, 0
	v_mov_b32_e32 v8, 0
	s_branch .LBB322_55
.LBB322_52:
	v_mov_b32_e32 v6, 0
	v_mov_b32_e32 v8, 0
	;; [unrolled: 1-line block ×3, first 2 shown]
	s_and_b32 s6, s27, 3
	s_cmp_eq_u32 s6, 0
	s_cbranch_scc1 .LBB322_55
.LBB322_53:
	s_lshl_b32 s2, s26, 3
	s_add_u32 s2, s34, s2
	s_addc_u32 s3, s35, 0
	s_add_u32 s2, s2, 0xc4
	s_addc_u32 s3, s3, 0
	s_mul_i32 s4, s26, 12
	s_add_u32 s4, s34, s4
	s_addc_u32 s5, s35, 0
.LBB322_54:                             ; =>This Inner Loop Header: Depth=1
	s_load_dwordx2 s[8:9], s[4:5], 0x4
	s_load_dword s7, s[4:5], 0xc
	s_load_dwordx2 s[10:11], s[2:3], 0x0
	s_add_u32 s4, s4, 12
	s_addc_u32 s5, s5, 0
	s_waitcnt lgkmcnt(0)
	v_mul_hi_u32 v7, s9, v4
	s_add_u32 s2, s2, 8
	s_addc_u32 s3, s3, 0
	s_add_i32 s6, s6, -1
	v_add_u32_e32 v7, v4, v7
	v_lshrrev_b32_e32 v10, s7, v7
	v_mul_lo_u32 v7, v10, s8
	s_cmp_lg_u32 s6, 0
	v_sub_u32_e32 v4, v4, v7
	v_mad_u64_u32 v[6:7], s[8:9], v4, s10, v[6:7]
	v_mad_u64_u32 v[8:9], s[8:9], v4, s11, v[8:9]
	v_mov_b32_e32 v4, v10
	s_cbranch_scc1 .LBB322_54
.LBB322_55:
	s_cbranch_execnz .LBB322_58
.LBB322_56:
	s_load_dwordx4 s[4:7], s[34:35], 0x4
	s_load_dwordx2 s[2:3], s[34:35], 0xc4
	s_cmp_lt_u32 s33, 2
	s_waitcnt lgkmcnt(0)
	v_mul_hi_u32 v4, s5, v1
	v_add_u32_e32 v4, v1, v4
	v_lshrrev_b32_e32 v4, s6, v4
	v_mul_lo_u32 v6, v4, s4
	v_sub_u32_e32 v1, v1, v6
	v_mul_lo_u32 v6, v1, s2
	v_mul_lo_u32 v8, v1, s3
	s_cbranch_scc1 .LBB322_58
; %bb.57:
	s_load_dwordx4 s[4:7], s[34:35], 0x10
	s_load_dwordx2 s[2:3], s[34:35], 0xcc
	s_waitcnt lgkmcnt(0)
	v_mul_hi_u32 v1, s5, v4
	v_add_u32_e32 v1, v4, v1
	v_lshrrev_b32_e32 v1, s6, v1
	v_mul_lo_u32 v1, v1, s4
	v_sub_u32_e32 v1, v4, v1
	v_mad_u64_u32 v[6:7], s[4:5], v1, s2, v[6:7]
	v_mad_u64_u32 v[8:9], s[2:3], v1, s3, v[8:9]
.LBB322_58:
	s_and_b64 vcc, exec, s[0:1]
	v_add_u32_e32 v1, 0x180, v19
	s_cbranch_vccnz .LBB322_64
; %bb.59:
	s_cmp_lg_u32 s33, 0
	s_mov_b32 s26, 0
	s_cbranch_scc0 .LBB322_65
; %bb.60:
	s_min_u32 s27, s56, 15
	s_add_i32 s27, s27, 1
	s_cmp_eq_u32 s56, 2
	s_cbranch_scc1 .LBB322_66
; %bb.61:
	s_and_b32 s26, s27, 28
	s_add_u32 s2, s34, 0xc4
	s_addc_u32 s3, s35, 0
	v_mov_b32_e32 v11, 0
	s_waitcnt lgkmcnt(0)
	s_mov_b32 s28, 0
	s_mov_b64 s[24:25], s[34:35]
	v_mov_b32_e32 v9, 0
	v_mov_b32_e32 v4, v1
.LBB322_62:                             ; =>This Inner Loop Header: Depth=1
	s_load_dwordx8 s[12:19], s[24:25], 0x4
	s_load_dwordx4 s[20:23], s[24:25], 0x24
	s_load_dwordx8 s[4:11], s[2:3], 0x0
	s_add_u32 s24, s24, 48
	s_addc_u32 s25, s25, 0
	s_waitcnt lgkmcnt(0)
	v_mul_hi_u32 v7, s13, v4
	s_add_i32 s28, s28, 4
	s_add_u32 s2, s2, 32
	s_addc_u32 s3, s3, 0
	v_add_u32_e32 v7, v4, v7
	v_lshrrev_b32_e32 v7, s14, v7
	v_mul_lo_u32 v10, v7, s12
	v_mul_hi_u32 v12, s16, v7
	s_cmp_lg_u32 s26, s28
	v_sub_u32_e32 v4, v4, v10
	v_add_u32_e32 v10, v7, v12
	v_mul_lo_u32 v12, v4, s4
	v_mul_lo_u32 v13, v4, s5
	v_lshrrev_b32_e32 v4, s17, v10
	v_mul_lo_u32 v10, v4, s15
	v_mul_hi_u32 v14, s19, v4
	v_sub_u32_e32 v7, v7, v10
	v_add_u32_e32 v10, v4, v14
	v_lshrrev_b32_e32 v10, s20, v10
	v_mul_hi_u32 v15, s22, v10
	v_mul_lo_u32 v16, v10, s18
	v_mul_lo_u32 v14, v7, s6
	;; [unrolled: 1-line block ×3, first 2 shown]
	v_sub_u32_e32 v16, v4, v16
	v_add_u32_e32 v4, v10, v15
	v_lshrrev_b32_e32 v4, s23, v4
	v_mul_lo_u32 v15, v4, s21
	v_mul_lo_u32 v17, v16, s8
	v_mul_lo_u32 v16, v16, s9
	v_add3_u32 v9, v12, v9, v14
	v_sub_u32_e32 v10, v10, v15
	v_mul_lo_u32 v15, v10, s10
	v_mul_lo_u32 v10, v10, s11
	v_add3_u32 v7, v13, v11, v7
	v_add3_u32 v9, v17, v9, v15
	;; [unrolled: 1-line block ×3, first 2 shown]
	s_cbranch_scc1 .LBB322_62
; %bb.63:
	s_and_b32 s6, s27, 3
	s_cmp_eq_u32 s6, 0
	s_cbranch_scc0 .LBB322_67
	s_branch .LBB322_69
.LBB322_64:
                                        ; implicit-def: $vgpr9
                                        ; implicit-def: $vgpr11
	s_branch .LBB322_70
.LBB322_65:
	v_mov_b32_e32 v9, 0
	v_mov_b32_e32 v11, 0
	s_branch .LBB322_69
.LBB322_66:
	v_mov_b32_e32 v9, 0
	v_mov_b32_e32 v11, 0
	v_mov_b32_e32 v4, v1
	s_and_b32 s6, s27, 3
	s_cmp_eq_u32 s6, 0
	s_cbranch_scc1 .LBB322_69
.LBB322_67:
	s_lshl_b32 s2, s26, 3
	s_add_u32 s2, s34, s2
	s_addc_u32 s3, s35, 0
	s_add_u32 s2, s2, 0xc4
	s_addc_u32 s3, s3, 0
	s_mul_i32 s4, s26, 12
	s_add_u32 s4, s34, s4
	s_addc_u32 s5, s35, 0
.LBB322_68:                             ; =>This Inner Loop Header: Depth=1
	s_load_dwordx2 s[8:9], s[4:5], 0x4
	s_load_dword s7, s[4:5], 0xc
	s_load_dwordx2 s[10:11], s[2:3], 0x0
	s_add_u32 s4, s4, 12
	s_addc_u32 s5, s5, 0
	s_waitcnt lgkmcnt(0)
	v_mul_hi_u32 v7, s9, v4
	s_add_u32 s2, s2, 8
	s_addc_u32 s3, s3, 0
	s_add_i32 s6, s6, -1
	v_add_u32_e32 v7, v4, v7
	v_lshrrev_b32_e32 v7, s7, v7
	v_mul_lo_u32 v10, v7, s8
	s_cmp_lg_u32 s6, 0
	v_sub_u32_e32 v4, v4, v10
	v_mad_u64_u32 v[9:10], s[8:9], v4, s10, v[9:10]
	v_mad_u64_u32 v[11:12], s[8:9], v4, s11, v[11:12]
	v_mov_b32_e32 v4, v7
	s_cbranch_scc1 .LBB322_68
.LBB322_69:
	s_cbranch_execnz .LBB322_72
.LBB322_70:
	s_load_dwordx4 s[4:7], s[34:35], 0x4
	s_load_dwordx2 s[2:3], s[34:35], 0xc4
	s_cmp_lt_u32 s33, 2
	s_waitcnt lgkmcnt(0)
	v_mul_hi_u32 v4, s5, v1
	v_add_u32_e32 v4, v1, v4
	v_lshrrev_b32_e32 v4, s6, v4
	v_mul_lo_u32 v7, v4, s4
	v_sub_u32_e32 v1, v1, v7
	v_mul_lo_u32 v9, v1, s2
	v_mul_lo_u32 v11, v1, s3
	s_cbranch_scc1 .LBB322_72
; %bb.71:
	s_load_dwordx4 s[4:7], s[34:35], 0x10
	s_load_dwordx2 s[2:3], s[34:35], 0xcc
	s_waitcnt lgkmcnt(0)
	v_mul_hi_u32 v1, s5, v4
	v_add_u32_e32 v1, v4, v1
	v_lshrrev_b32_e32 v1, s6, v1
	v_mul_lo_u32 v1, v1, s4
	v_sub_u32_e32 v1, v4, v1
	v_mad_u64_u32 v[9:10], s[4:5], v1, s2, v[9:10]
	v_mad_u64_u32 v[11:12], s[2:3], v1, s3, v[11:12]
.LBB322_72:
	s_and_b64 vcc, exec, s[0:1]
	v_add_u32_e32 v1, 0x200, v19
	s_cbranch_vccnz .LBB322_78
; %bb.73:
	s_cmp_lg_u32 s33, 0
	s_mov_b32 s26, 0
	s_cbranch_scc0 .LBB322_79
; %bb.74:
	s_min_u32 s27, s56, 15
	s_add_i32 s27, s27, 1
	s_cmp_eq_u32 s56, 2
	s_cbranch_scc1 .LBB322_80
; %bb.75:
	s_and_b32 s26, s27, 28
	s_add_u32 s2, s34, 0xc4
	s_addc_u32 s3, s35, 0
	v_mov_b32_e32 v14, 0
	s_waitcnt lgkmcnt(0)
	s_mov_b32 s28, 0
	s_mov_b64 s[24:25], s[34:35]
	v_mov_b32_e32 v12, 0
	v_mov_b32_e32 v4, v1
.LBB322_76:                             ; =>This Inner Loop Header: Depth=1
	s_load_dwordx8 s[12:19], s[24:25], 0x4
	s_load_dwordx4 s[20:23], s[24:25], 0x24
	s_load_dwordx8 s[4:11], s[2:3], 0x0
	s_add_u32 s24, s24, 48
	s_addc_u32 s25, s25, 0
	s_waitcnt lgkmcnt(0)
	v_mul_hi_u32 v7, s13, v4
	s_add_i32 s28, s28, 4
	s_add_u32 s2, s2, 32
	s_addc_u32 s3, s3, 0
	v_add_u32_e32 v7, v4, v7
	v_lshrrev_b32_e32 v7, s14, v7
	v_mul_lo_u32 v10, v7, s12
	v_mul_hi_u32 v13, s16, v7
	s_cmp_lg_u32 s26, s28
	v_sub_u32_e32 v4, v4, v10
	v_add_u32_e32 v10, v7, v13
	v_mul_lo_u32 v13, v4, s4
	v_mul_lo_u32 v15, v4, s5
	v_lshrrev_b32_e32 v4, s17, v10
	v_mul_lo_u32 v10, v4, s15
	v_mul_hi_u32 v16, s19, v4
	v_sub_u32_e32 v7, v7, v10
	v_add_u32_e32 v10, v4, v16
	v_lshrrev_b32_e32 v10, s20, v10
	v_mul_hi_u32 v17, s22, v10
	v_mul_lo_u32 v18, v10, s18
	v_mul_lo_u32 v16, v7, s6
	;; [unrolled: 1-line block ×3, first 2 shown]
	v_sub_u32_e32 v18, v4, v18
	v_add_u32_e32 v4, v10, v17
	v_lshrrev_b32_e32 v4, s23, v4
	v_mul_lo_u32 v17, v4, s21
	v_mul_lo_u32 v20, v18, s8
	;; [unrolled: 1-line block ×3, first 2 shown]
	v_add3_u32 v12, v13, v12, v16
	v_sub_u32_e32 v10, v10, v17
	v_mul_lo_u32 v17, v10, s10
	v_mul_lo_u32 v10, v10, s11
	v_add3_u32 v7, v15, v14, v7
	v_add3_u32 v12, v20, v12, v17
	;; [unrolled: 1-line block ×3, first 2 shown]
	s_cbranch_scc1 .LBB322_76
; %bb.77:
	s_and_b32 s6, s27, 3
	s_cmp_eq_u32 s6, 0
	s_cbranch_scc0 .LBB322_81
	s_branch .LBB322_83
.LBB322_78:
                                        ; implicit-def: $vgpr12
                                        ; implicit-def: $vgpr14
	s_branch .LBB322_84
.LBB322_79:
	v_mov_b32_e32 v12, 0
	v_mov_b32_e32 v14, 0
	s_branch .LBB322_83
.LBB322_80:
	v_mov_b32_e32 v12, 0
	v_mov_b32_e32 v14, 0
	;; [unrolled: 1-line block ×3, first 2 shown]
	s_and_b32 s6, s27, 3
	s_cmp_eq_u32 s6, 0
	s_cbranch_scc1 .LBB322_83
.LBB322_81:
	s_lshl_b32 s2, s26, 3
	s_add_u32 s2, s34, s2
	s_addc_u32 s3, s35, 0
	s_add_u32 s2, s2, 0xc4
	s_addc_u32 s3, s3, 0
	s_mul_i32 s4, s26, 12
	s_add_u32 s4, s34, s4
	s_addc_u32 s5, s35, 0
.LBB322_82:                             ; =>This Inner Loop Header: Depth=1
	s_load_dwordx2 s[8:9], s[4:5], 0x4
	s_load_dword s7, s[4:5], 0xc
	s_load_dwordx2 s[10:11], s[2:3], 0x0
	s_add_u32 s4, s4, 12
	s_addc_u32 s5, s5, 0
	s_waitcnt lgkmcnt(0)
	v_mul_hi_u32 v7, s9, v4
	s_add_u32 s2, s2, 8
	s_addc_u32 s3, s3, 0
	s_add_i32 s6, s6, -1
	v_add_u32_e32 v7, v4, v7
	v_lshrrev_b32_e32 v7, s7, v7
	v_mul_lo_u32 v10, v7, s8
	s_cmp_lg_u32 s6, 0
	v_sub_u32_e32 v4, v4, v10
	v_mad_u64_u32 v[12:13], s[8:9], v4, s10, v[12:13]
	v_mad_u64_u32 v[14:15], s[8:9], v4, s11, v[14:15]
	v_mov_b32_e32 v4, v7
	s_cbranch_scc1 .LBB322_82
.LBB322_83:
	s_cbranch_execnz .LBB322_86
.LBB322_84:
	s_load_dwordx4 s[4:7], s[34:35], 0x4
	s_load_dwordx2 s[2:3], s[34:35], 0xc4
	s_cmp_lt_u32 s33, 2
	s_waitcnt lgkmcnt(0)
	v_mul_hi_u32 v4, s5, v1
	v_add_u32_e32 v4, v1, v4
	v_lshrrev_b32_e32 v4, s6, v4
	v_mul_lo_u32 v7, v4, s4
	v_sub_u32_e32 v1, v1, v7
	v_mul_lo_u32 v12, v1, s2
	v_mul_lo_u32 v14, v1, s3
	s_cbranch_scc1 .LBB322_86
; %bb.85:
	s_load_dwordx4 s[4:7], s[34:35], 0x10
	s_load_dwordx2 s[2:3], s[34:35], 0xcc
	s_waitcnt lgkmcnt(0)
	v_mul_hi_u32 v1, s5, v4
	v_add_u32_e32 v1, v4, v1
	v_lshrrev_b32_e32 v1, s6, v1
	v_mul_lo_u32 v1, v1, s4
	v_sub_u32_e32 v1, v4, v1
	v_mad_u64_u32 v[12:13], s[4:5], v1, s2, v[12:13]
	v_mad_u64_u32 v[14:15], s[2:3], v1, s3, v[14:15]
.LBB322_86:
	s_and_b64 vcc, exec, s[0:1]
	v_add_u32_e32 v1, 0x280, v19
	s_cbranch_vccnz .LBB322_92
; %bb.87:
	s_cmp_lg_u32 s33, 0
	s_mov_b32 s26, 0
	s_cbranch_scc0 .LBB322_93
; %bb.88:
	s_min_u32 s27, s56, 15
	s_add_i32 s27, s27, 1
	s_cmp_eq_u32 s56, 2
	s_cbranch_scc1 .LBB322_94
; %bb.89:
	s_and_b32 s26, s27, 28
	s_add_u32 s2, s34, 0xc4
	s_addc_u32 s3, s35, 0
	v_mov_b32_e32 v17, 0
	s_waitcnt lgkmcnt(0)
	s_mov_b32 s28, 0
	s_mov_b64 s[24:25], s[34:35]
	v_mov_b32_e32 v15, 0
	v_mov_b32_e32 v4, v1
.LBB322_90:                             ; =>This Inner Loop Header: Depth=1
	s_load_dwordx8 s[12:19], s[24:25], 0x4
	s_load_dwordx4 s[20:23], s[24:25], 0x24
	s_load_dwordx8 s[4:11], s[2:3], 0x0
	s_add_u32 s24, s24, 48
	s_addc_u32 s25, s25, 0
	s_waitcnt lgkmcnt(0)
	v_mul_hi_u32 v7, s13, v4
	s_add_i32 s28, s28, 4
	s_add_u32 s2, s2, 32
	s_addc_u32 s3, s3, 0
	v_add_u32_e32 v7, v4, v7
	v_lshrrev_b32_e32 v7, s14, v7
	v_mul_lo_u32 v10, v7, s12
	v_mul_hi_u32 v13, s16, v7
	s_cmp_lg_u32 s26, s28
	v_sub_u32_e32 v4, v4, v10
	v_add_u32_e32 v10, v7, v13
	v_mul_lo_u32 v13, v4, s4
	v_mul_lo_u32 v16, v4, s5
	v_lshrrev_b32_e32 v4, s17, v10
	v_mul_lo_u32 v10, v4, s15
	v_mul_hi_u32 v18, s19, v4
	v_sub_u32_e32 v7, v7, v10
	v_add_u32_e32 v10, v4, v18
	v_lshrrev_b32_e32 v10, s20, v10
	v_mul_hi_u32 v20, s22, v10
	v_mul_lo_u32 v21, v10, s18
	v_mul_lo_u32 v18, v7, s6
	;; [unrolled: 1-line block ×3, first 2 shown]
	v_sub_u32_e32 v21, v4, v21
	v_add_u32_e32 v4, v10, v20
	v_lshrrev_b32_e32 v4, s23, v4
	v_mul_lo_u32 v20, v4, s21
	v_mul_lo_u32 v22, v21, s8
	;; [unrolled: 1-line block ×3, first 2 shown]
	v_add3_u32 v13, v13, v15, v18
	v_sub_u32_e32 v10, v10, v20
	v_mul_lo_u32 v20, v10, s10
	v_mul_lo_u32 v10, v10, s11
	v_add3_u32 v7, v16, v17, v7
	v_add3_u32 v15, v22, v13, v20
	;; [unrolled: 1-line block ×3, first 2 shown]
	s_cbranch_scc1 .LBB322_90
; %bb.91:
	s_and_b32 s6, s27, 3
	s_cmp_eq_u32 s6, 0
	s_cbranch_scc0 .LBB322_95
	s_branch .LBB322_97
.LBB322_92:
                                        ; implicit-def: $vgpr15
                                        ; implicit-def: $vgpr17
	s_branch .LBB322_98
.LBB322_93:
	v_mov_b32_e32 v15, 0
	v_mov_b32_e32 v17, 0
	s_branch .LBB322_97
.LBB322_94:
	v_mov_b32_e32 v15, 0
	v_mov_b32_e32 v17, 0
	v_mov_b32_e32 v4, v1
	s_and_b32 s6, s27, 3
	s_cmp_eq_u32 s6, 0
	s_cbranch_scc1 .LBB322_97
.LBB322_95:
	s_lshl_b32 s2, s26, 3
	s_add_u32 s2, s34, s2
	s_addc_u32 s3, s35, 0
	s_add_u32 s2, s2, 0xc4
	s_addc_u32 s3, s3, 0
	s_mul_i32 s4, s26, 12
	s_add_u32 s4, s34, s4
	s_addc_u32 s5, s35, 0
.LBB322_96:                             ; =>This Inner Loop Header: Depth=1
	s_load_dwordx2 s[8:9], s[4:5], 0x4
	s_load_dword s7, s[4:5], 0xc
	s_load_dwordx2 s[10:11], s[2:3], 0x0
	s_add_u32 s4, s4, 12
	s_addc_u32 s5, s5, 0
	s_waitcnt lgkmcnt(0)
	v_mul_hi_u32 v7, s9, v4
	s_add_u32 s2, s2, 8
	s_addc_u32 s3, s3, 0
	s_add_i32 s6, s6, -1
	v_add_u32_e32 v7, v4, v7
	v_lshrrev_b32_e32 v7, s7, v7
	v_mul_lo_u32 v10, v7, s8
	s_cmp_lg_u32 s6, 0
	v_sub_u32_e32 v4, v4, v10
	v_mad_u64_u32 v[15:16], s[8:9], v4, s10, v[15:16]
	v_mad_u64_u32 v[17:18], s[8:9], v4, s11, v[17:18]
	v_mov_b32_e32 v4, v7
	s_cbranch_scc1 .LBB322_96
.LBB322_97:
	s_cbranch_execnz .LBB322_100
.LBB322_98:
	s_load_dwordx4 s[4:7], s[34:35], 0x4
	s_load_dwordx2 s[2:3], s[34:35], 0xc4
	s_cmp_lt_u32 s33, 2
	s_waitcnt lgkmcnt(0)
	v_mul_hi_u32 v4, s5, v1
	v_add_u32_e32 v4, v1, v4
	v_lshrrev_b32_e32 v4, s6, v4
	v_mul_lo_u32 v7, v4, s4
	v_sub_u32_e32 v1, v1, v7
	v_mul_lo_u32 v15, v1, s2
	v_mul_lo_u32 v17, v1, s3
	s_cbranch_scc1 .LBB322_100
; %bb.99:
	s_load_dwordx4 s[4:7], s[34:35], 0x10
	s_load_dwordx2 s[2:3], s[34:35], 0xcc
	s_waitcnt lgkmcnt(0)
	v_mul_hi_u32 v1, s5, v4
	v_add_u32_e32 v1, v4, v1
	v_lshrrev_b32_e32 v1, s6, v1
	v_mul_lo_u32 v1, v1, s4
	v_sub_u32_e32 v1, v4, v1
	v_mad_u64_u32 v[15:16], s[4:5], v1, s2, v[15:16]
	v_mad_u64_u32 v[17:18], s[2:3], v1, s3, v[17:18]
.LBB322_100:
	s_and_b64 vcc, exec, s[0:1]
	v_add_u32_e32 v1, 0x300, v19
	s_cbranch_vccnz .LBB322_106
; %bb.101:
	s_cmp_lg_u32 s33, 0
	s_mov_b32 s26, 0
	s_cbranch_scc0 .LBB322_107
; %bb.102:
	s_min_u32 s27, s56, 15
	s_add_i32 s27, s27, 1
	s_cmp_eq_u32 s56, 2
	s_cbranch_scc1 .LBB322_108
; %bb.103:
	s_and_b32 s26, s27, 28
	s_add_u32 s2, s34, 0xc4
	s_addc_u32 s3, s35, 0
	v_mov_b32_e32 v20, 0
	s_waitcnt lgkmcnt(0)
	s_mov_b32 s28, 0
	s_mov_b64 s[24:25], s[34:35]
	v_mov_b32_e32 v18, 0
	v_mov_b32_e32 v4, v1
.LBB322_104:                            ; =>This Inner Loop Header: Depth=1
	s_load_dwordx8 s[12:19], s[24:25], 0x4
	s_load_dwordx4 s[20:23], s[24:25], 0x24
	s_load_dwordx8 s[4:11], s[2:3], 0x0
	s_add_u32 s24, s24, 48
	s_addc_u32 s25, s25, 0
	s_waitcnt lgkmcnt(0)
	v_mul_hi_u32 v7, s13, v4
	s_add_i32 s28, s28, 4
	s_add_u32 s2, s2, 32
	s_addc_u32 s3, s3, 0
	v_add_u32_e32 v7, v4, v7
	v_lshrrev_b32_e32 v7, s14, v7
	v_mul_lo_u32 v10, v7, s12
	v_mul_hi_u32 v13, s16, v7
	s_cmp_lg_u32 s26, s28
	v_sub_u32_e32 v4, v4, v10
	v_add_u32_e32 v10, v7, v13
	v_mul_lo_u32 v13, v4, s4
	v_mul_lo_u32 v16, v4, s5
	v_lshrrev_b32_e32 v4, s17, v10
	v_mul_lo_u32 v10, v4, s15
	v_mul_hi_u32 v19, s19, v4
	v_sub_u32_e32 v7, v7, v10
	v_add_u32_e32 v10, v4, v19
	v_lshrrev_b32_e32 v10, s20, v10
	v_mul_hi_u32 v21, s22, v10
	v_mul_lo_u32 v22, v10, s18
	v_mul_lo_u32 v19, v7, s6
	;; [unrolled: 1-line block ×3, first 2 shown]
	v_sub_u32_e32 v22, v4, v22
	v_add_u32_e32 v4, v10, v21
	v_lshrrev_b32_e32 v4, s23, v4
	v_mul_lo_u32 v21, v4, s21
	v_mul_lo_u32 v23, v22, s8
	;; [unrolled: 1-line block ×3, first 2 shown]
	v_add3_u32 v13, v13, v18, v19
	v_sub_u32_e32 v10, v10, v21
	v_mul_lo_u32 v21, v10, s10
	v_mul_lo_u32 v10, v10, s11
	v_add3_u32 v7, v16, v20, v7
	v_add3_u32 v18, v23, v13, v21
	;; [unrolled: 1-line block ×3, first 2 shown]
	s_cbranch_scc1 .LBB322_104
; %bb.105:
	s_and_b32 s6, s27, 3
	s_cmp_eq_u32 s6, 0
	s_cbranch_scc0 .LBB322_109
	s_branch .LBB322_111
.LBB322_106:
                                        ; implicit-def: $vgpr18
                                        ; implicit-def: $vgpr20
	s_branch .LBB322_112
.LBB322_107:
	v_mov_b32_e32 v18, 0
	v_mov_b32_e32 v20, 0
	s_branch .LBB322_111
.LBB322_108:
	v_mov_b32_e32 v18, 0
	v_mov_b32_e32 v20, 0
	;; [unrolled: 1-line block ×3, first 2 shown]
	s_and_b32 s6, s27, 3
	s_cmp_eq_u32 s6, 0
	s_cbranch_scc1 .LBB322_111
.LBB322_109:
	s_lshl_b32 s2, s26, 3
	s_add_u32 s2, s34, s2
	s_addc_u32 s3, s35, 0
	s_add_u32 s2, s2, 0xc4
	s_addc_u32 s3, s3, 0
	s_mul_i32 s4, s26, 12
	s_add_u32 s4, s34, s4
	s_addc_u32 s5, s35, 0
.LBB322_110:                            ; =>This Inner Loop Header: Depth=1
	s_load_dwordx2 s[8:9], s[4:5], 0x4
	s_load_dword s7, s[4:5], 0xc
	s_load_dwordx2 s[10:11], s[2:3], 0x0
	s_add_u32 s4, s4, 12
	s_addc_u32 s5, s5, 0
	s_waitcnt lgkmcnt(0)
	v_mul_hi_u32 v7, s9, v4
	s_add_u32 s2, s2, 8
	s_addc_u32 s3, s3, 0
	s_add_i32 s6, s6, -1
	v_add_u32_e32 v7, v4, v7
	v_lshrrev_b32_e32 v7, s7, v7
	v_mul_lo_u32 v10, v7, s8
	s_cmp_lg_u32 s6, 0
	v_sub_u32_e32 v4, v4, v10
	v_mad_u64_u32 v[18:19], s[8:9], v4, s10, v[18:19]
	v_mad_u64_u32 v[20:21], s[8:9], v4, s11, v[20:21]
	v_mov_b32_e32 v4, v7
	s_cbranch_scc1 .LBB322_110
.LBB322_111:
	s_cbranch_execnz .LBB322_114
.LBB322_112:
	s_load_dwordx4 s[4:7], s[34:35], 0x4
	s_load_dwordx2 s[2:3], s[34:35], 0xc4
	s_cmp_lt_u32 s33, 2
	s_waitcnt lgkmcnt(0)
	v_mul_hi_u32 v4, s5, v1
	v_add_u32_e32 v4, v1, v4
	v_lshrrev_b32_e32 v4, s6, v4
	v_mul_lo_u32 v7, v4, s4
	v_sub_u32_e32 v1, v1, v7
	v_mul_lo_u32 v18, v1, s2
	v_mul_lo_u32 v20, v1, s3
	s_cbranch_scc1 .LBB322_114
; %bb.113:
	s_load_dwordx4 s[4:7], s[34:35], 0x10
	s_load_dwordx2 s[2:3], s[34:35], 0xcc
	s_waitcnt lgkmcnt(0)
	v_mul_hi_u32 v1, s5, v4
	v_add_u32_e32 v1, v4, v1
	v_lshrrev_b32_e32 v1, s6, v1
	v_mul_lo_u32 v1, v1, s4
	v_sub_u32_e32 v1, v4, v1
	v_mad_u64_u32 v[18:19], s[4:5], v1, s2, v[18:19]
	v_mad_u64_u32 v[20:21], s[2:3], v1, s3, v[20:21]
.LBB322_114:
	s_and_b64 vcc, exec, s[0:1]
	s_cbranch_vccnz .LBB322_120
; %bb.115:
	s_cmp_lg_u32 s33, 0
	s_mov_b32 s24, 0
	s_cbranch_scc0 .LBB322_121
; %bb.116:
	s_min_u32 s25, s56, 15
	s_add_i32 s25, s25, 1
	s_cmp_eq_u32 s56, 2
	s_cbranch_scc1 .LBB322_122
; %bb.117:
	s_and_b32 s24, s25, 28
	s_waitcnt lgkmcnt(0)
	s_add_u32 s20, s34, 0xc4
	s_addc_u32 s21, s35, 0
	v_mov_b32_e32 v23, 0
	s_mov_b32 s26, 0
	s_mov_b64 s[22:23], s[34:35]
	v_mov_b32_e32 v21, 0
	v_mov_b32_e32 v1, v25
.LBB322_118:                            ; =>This Inner Loop Header: Depth=1
	s_load_dwordx8 s[8:15], s[22:23], 0x4
	s_load_dwordx4 s[16:19], s[22:23], 0x24
	s_load_dwordx8 s[0:7], s[20:21], 0x0
	s_add_u32 s22, s22, 48
	s_addc_u32 s23, s23, 0
	s_waitcnt lgkmcnt(0)
	v_mul_hi_u32 v4, s9, v1
	s_add_i32 s26, s26, 4
	s_add_u32 s20, s20, 32
	s_addc_u32 s21, s21, 0
	v_add_u32_e32 v4, v1, v4
	v_lshrrev_b32_e32 v4, s10, v4
	v_mul_lo_u32 v7, v4, s8
	v_mul_hi_u32 v10, s12, v4
	s_cmp_lg_u32 s24, s26
	v_sub_u32_e32 v1, v1, v7
	v_add_u32_e32 v7, v4, v10
	v_mul_lo_u32 v10, v1, s0
	v_mul_lo_u32 v13, v1, s1
	v_lshrrev_b32_e32 v1, s13, v7
	v_mul_lo_u32 v7, v1, s11
	v_mul_hi_u32 v16, s15, v1
	v_sub_u32_e32 v4, v4, v7
	v_add_u32_e32 v7, v1, v16
	v_lshrrev_b32_e32 v7, s16, v7
	v_mul_hi_u32 v19, s18, v7
	v_mul_lo_u32 v22, v7, s14
	v_mul_lo_u32 v16, v4, s2
	;; [unrolled: 1-line block ×3, first 2 shown]
	v_sub_u32_e32 v22, v1, v22
	v_add_u32_e32 v1, v7, v19
	v_lshrrev_b32_e32 v1, s19, v1
	v_mul_lo_u32 v19, v1, s17
	v_mul_lo_u32 v24, v22, s4
	;; [unrolled: 1-line block ×3, first 2 shown]
	v_add3_u32 v10, v10, v21, v16
	v_sub_u32_e32 v7, v7, v19
	v_mul_lo_u32 v19, v7, s6
	v_mul_lo_u32 v7, v7, s7
	v_add3_u32 v4, v13, v23, v4
	v_add3_u32 v21, v24, v10, v19
	v_add3_u32 v23, v22, v4, v7
	s_cbranch_scc1 .LBB322_118
; %bb.119:
	s_and_b32 s4, s25, 3
	s_cmp_eq_u32 s4, 0
	s_cbranch_scc0 .LBB322_123
	s_branch .LBB322_125
.LBB322_120:
                                        ; implicit-def: $vgpr21
                                        ; implicit-def: $vgpr23
	s_branch .LBB322_126
.LBB322_121:
	v_mov_b32_e32 v21, 0
	v_mov_b32_e32 v23, 0
	s_branch .LBB322_125
.LBB322_122:
	v_mov_b32_e32 v21, 0
	v_mov_b32_e32 v23, 0
	v_mov_b32_e32 v1, v25
	s_and_b32 s4, s25, 3
	s_cmp_eq_u32 s4, 0
	s_cbranch_scc1 .LBB322_125
.LBB322_123:
	s_lshl_b32 s0, s24, 3
	s_add_u32 s0, s34, s0
	s_addc_u32 s1, s35, 0
	s_add_u32 s0, s0, 0xc4
	s_addc_u32 s1, s1, 0
	s_mul_i32 s2, s24, 12
	s_add_u32 s2, s34, s2
	s_addc_u32 s3, s35, 0
.LBB322_124:                            ; =>This Inner Loop Header: Depth=1
	s_load_dwordx2 s[6:7], s[2:3], 0x4
	s_load_dword s5, s[2:3], 0xc
	s_load_dwordx2 s[8:9], s[0:1], 0x0
	s_add_u32 s2, s2, 12
	s_addc_u32 s3, s3, 0
	s_waitcnt lgkmcnt(0)
	v_mul_hi_u32 v4, s7, v1
	s_add_u32 s0, s0, 8
	s_addc_u32 s1, s1, 0
	s_add_i32 s4, s4, -1
	v_add_u32_e32 v4, v1, v4
	v_lshrrev_b32_e32 v4, s5, v4
	v_mul_lo_u32 v7, v4, s6
	s_cmp_lg_u32 s4, 0
	v_sub_u32_e32 v1, v1, v7
	v_mad_u64_u32 v[21:22], s[6:7], v1, s8, v[21:22]
	v_mad_u64_u32 v[23:24], s[6:7], v1, s9, v[23:24]
	v_mov_b32_e32 v1, v4
	s_cbranch_scc1 .LBB322_124
.LBB322_125:
	s_cbranch_execnz .LBB322_128
.LBB322_126:
	s_load_dwordx4 s[0:3], s[34:35], 0x4
	s_load_dwordx2 s[4:5], s[34:35], 0xc4
	s_cmp_lt_u32 s33, 2
	s_waitcnt lgkmcnt(0)
	v_mul_hi_u32 v1, s1, v25
	v_add_u32_e32 v1, v25, v1
	v_lshrrev_b32_e32 v1, s2, v1
	v_mul_lo_u32 v4, v1, s0
	v_sub_u32_e32 v4, v25, v4
	v_mul_lo_u32 v21, v4, s4
	v_mul_lo_u32 v23, v4, s5
	s_cbranch_scc1 .LBB322_128
; %bb.127:
	s_load_dwordx4 s[0:3], s[34:35], 0x10
	s_load_dwordx2 s[4:5], s[34:35], 0xcc
	s_waitcnt lgkmcnt(0)
	v_mul_hi_u32 v4, s1, v1
	v_add_u32_e32 v4, v1, v4
	v_lshrrev_b32_e32 v4, s2, v4
	v_mul_lo_u32 v4, v4, s0
	v_sub_u32_e32 v1, v1, v4
	v_mad_u64_u32 v[21:22], s[0:1], v1, s4, v[21:22]
	v_mad_u64_u32 v[23:24], s[0:1], v1, s5, v[23:24]
.LBB322_128:
	s_load_dwordx4 s[8:11], s[34:35], 0x148
	s_load_dwordx2 s[4:5], s[34:35], 0x158
	s_movk_i32 s6, 0xff
	s_waitcnt lgkmcnt(0)
	global_load_ubyte v4, v2, s[10:11]
	global_load_ubyte v1, v5, s[10:11]
	;; [unrolled: 1-line block ×8, first 2 shown]
	s_and_b32 s7, s5, 0xff
	s_cmp_lg_u32 s7, 0
	s_cselect_b64 s[0:1], -1, 0
	s_cmpk_lg_i32 s7, 0xff
	s_cselect_b64 s[2:3], -1, 0
	s_cmp_eq_u32 s4, 0
	v_mov_b32_e32 v2, 0x7f800001
	s_cselect_b64 s[4:5], -1, 0
	s_lshl_b32 s7, s7, 23
	v_mov_b32_e32 v8, 0x400000
	s_waitcnt vmcnt(7)
	v_lshlrev_b32_e32 v5, 23, v4
	v_cmp_ne_u32_e32 vcc, s6, v4
	v_cndmask_b32_e32 v5, v2, v5, vcc
	v_cmp_ne_u32_e32 vcc, 0, v4
	v_mov_b32_e32 v4, s7
	v_cndmask_b32_e64 v4, v2, v4, s[2:3]
	s_waitcnt vmcnt(6)
	v_lshlrev_b32_e32 v11, 23, v1
	v_cmp_ne_u32_e64 s[2:3], s6, v1
	v_cndmask_b32_e64 v11, v2, v11, s[2:3]
	s_waitcnt vmcnt(5)
	v_lshlrev_b32_e32 v14, 23, v7
	v_cmp_ne_u32_e64 s[2:3], s6, v7
	;; [unrolled: 4-line block ×6, first 2 shown]
	v_cndmask_b32_e64 v4, v8, v4, s[0:1]
	v_cndmask_b32_e32 v5, v8, v5, vcc
	v_cndmask_b32_e64 v24, v2, v24, s[2:3]
	s_waitcnt vmcnt(0)
	v_lshlrev_b32_e32 v25, 23, v22
	v_cmp_ne_u32_e64 s[2:3], s6, v22
	v_cmp_neq_f32_e32 vcc, v4, v5
	v_cndmask_b32_e64 v2, v2, v25, s[2:3]
	v_cndmask_b32_e64 v25, 0, 1, vcc
	v_cmp_ne_u32_e32 vcc, 0, v1
	v_cndmask_b32_e32 v1, v8, v11, vcc
	v_cmp_neq_f32_e32 vcc, v4, v1
	v_cmp_eq_f32_e64 s[0:1], v4, v5
	v_cndmask_b32_e64 v11, 0, 1, vcc
	v_cmp_ne_u32_e32 vcc, 0, v7
	v_cndmask_b32_e64 v5, 0, 1, s[0:1]
	v_cmp_eq_f32_e64 s[0:1], v4, v1
	v_cndmask_b32_e32 v7, v8, v14, vcc
	v_cndmask_b32_e64 v1, 0, 1, s[0:1]
	v_cmp_neq_f32_e32 vcc, v4, v7
	v_cndmask_b32_e64 v1, v11, v1, s[4:5]
	v_cndmask_b32_e64 v11, 0, 1, vcc
	v_cmp_ne_u32_e32 vcc, 0, v10
	v_cmp_eq_f32_e64 s[0:1], v4, v7
	v_cndmask_b32_e32 v10, v8, v17, vcc
	v_cndmask_b32_e64 v7, 0, 1, s[0:1]
	v_cmp_neq_f32_e32 vcc, v4, v10
	v_cmp_eq_f32_e64 s[0:1], v4, v10
	v_cndmask_b32_e64 v7, v11, v7, s[4:5]
	v_cndmask_b32_e64 v10, 0, 1, s[0:1]
	v_cndmask_b32_e64 v11, 0, 1, vcc
	v_cmp_ne_u32_e32 vcc, 0, v13
	v_cndmask_b32_e64 v10, v11, v10, s[4:5]
	v_cndmask_b32_e32 v11, v8, v20, vcc
	v_cmp_neq_f32_e32 vcc, v4, v11
	v_cmp_eq_f32_e64 s[0:1], v4, v11
	v_cndmask_b32_e64 v11, 0, 1, s[0:1]
	v_cndmask_b32_e64 v13, 0, 1, vcc
	v_cmp_ne_u32_e32 vcc, 0, v16
	v_cndmask_b32_e64 v11, v13, v11, s[4:5]
	v_cndmask_b32_e32 v13, v8, v23, vcc
	v_cmp_neq_f32_e32 vcc, v4, v13
	v_cmp_eq_f32_e64 s[0:1], v4, v13
	v_cndmask_b32_e64 v13, 0, 1, s[0:1]
	v_cndmask_b32_e64 v14, 0, 1, vcc
	v_cmp_ne_u32_e64 s[0:1], 0, v19
	v_cndmask_b32_e64 v13, v14, v13, s[4:5]
	v_cmp_ne_u32_e32 vcc, 0, v22
	v_cndmask_b32_e64 v14, v8, v24, s[0:1]
	v_cndmask_b32_e32 v2, v8, v2, vcc
	v_cmp_neq_f32_e64 s[2:3], v4, v14
	v_cmp_eq_f32_e64 s[6:7], v4, v14
	v_cmp_eq_f32_e32 vcc, v4, v2
	v_cmp_neq_f32_e64 s[0:1], v4, v2
	v_cndmask_b32_e64 v2, 0, 1, s[6:7]
	v_cndmask_b32_e64 v4, 0, 1, s[2:3]
	;; [unrolled: 1-line block ×4, first 2 shown]
	v_cndmask_b32_e64 v4, 0, 1, vcc
	v_cndmask_b32_e64 v8, 0, 1, s[0:1]
	v_cndmask_b32_e64 v4, v8, v4, s[4:5]
	v_and_b32_e32 v5, 1, v5
	v_and_b32_e32 v1, 1, v1
	;; [unrolled: 1-line block ×8, first 2 shown]
	global_store_byte v0, v5, s[8:9]
	global_store_byte v3, v1, s[8:9]
	;; [unrolled: 1-line block ×8, first 2 shown]
	s_endpgm
.LBB322_129:
	v_mov_b32_e32 v0, 0
	v_mov_b32_e32 v2, 0
	s_branch .LBB322_135
.LBB322_130:
	v_mov_b32_e32 v0, 0
	v_mov_b32_e32 v2, 0
	s_branch .LBB322_151
.LBB322_131:
	s_mov_b32 s59, 0
	v_mov_b32_e32 v0, 0
	v_mov_b32_e32 v2, 0
	;; [unrolled: 1-line block ×3, first 2 shown]
.LBB322_132:
	s_and_b32 s8, s60, 3
	s_cmp_eq_u32 s8, 0
	s_cbranch_scc1 .LBB322_135
; %bb.133:
	s_lshl_b32 s4, s59, 3
	s_add_u32 s4, s34, s4
	s_addc_u32 s5, s35, 0
	s_add_u32 s4, s4, 0xc4
	s_addc_u32 s5, s5, 0
	s_mul_i32 s6, s59, 12
	s_add_u32 s6, s34, s6
	s_addc_u32 s7, s35, 0
.LBB322_134:                            ; =>This Inner Loop Header: Depth=1
	s_load_dwordx2 s[10:11], s[6:7], 0x4
	s_load_dword s9, s[6:7], 0xc
	s_load_dwordx2 s[12:13], s[4:5], 0x0
	s_add_u32 s6, s6, 12
	s_addc_u32 s7, s7, 0
	s_waitcnt lgkmcnt(0)
	v_mul_hi_u32 v3, s11, v1
	s_add_u32 s4, s4, 8
	s_addc_u32 s5, s5, 0
	s_add_i32 s8, s8, -1
	v_add_u32_e32 v3, v1, v3
	v_lshrrev_b32_e32 v5, s9, v3
	v_mul_lo_u32 v3, v5, s10
	s_cmp_lg_u32 s8, 0
	v_sub_u32_e32 v3, v1, v3
	v_mad_u64_u32 v[0:1], s[10:11], v3, s12, v[0:1]
	v_mad_u64_u32 v[2:3], s[10:11], v3, s13, v[2:3]
	v_mov_b32_e32 v1, v5
	s_cbranch_scc1 .LBB322_134
.LBB322_135:
	s_cbranch_execnz .LBB322_138
.LBB322_136:
	v_mul_hi_u32 v0, s25, v19
	s_andn2_b64 vcc, exec, s[46:47]
	v_add_u32_e32 v0, v19, v0
	v_lshrrev_b32_e32 v1, s26, v0
	v_mul_lo_u32 v0, v1, s24
	v_sub_u32_e32 v2, v19, v0
	s_waitcnt lgkmcnt(0)
	v_mul_lo_u32 v0, v2, s28
	v_mul_lo_u32 v2, v2, s29
	s_cbranch_vccnz .LBB322_138
; %bb.137:
	v_mul_hi_u32 v3, s44, v1
	v_add_u32_e32 v3, v1, v3
	v_lshrrev_b32_e32 v3, s45, v3
	v_mul_lo_u32 v3, v3, s27
	v_sub_u32_e32 v3, v1, v3
	v_mad_u64_u32 v[0:1], s[4:5], v3, s30, v[0:1]
	v_mad_u64_u32 v[2:3], s[4:5], v3, s31, v[2:3]
.LBB322_138:
	s_waitcnt lgkmcnt(0)
	global_load_ubyte v1, v2, s[22:23]
	s_movk_i32 s4, 0xff
	v_mov_b32_e32 v2, 0x7f800001
	v_mov_b32_e32 v3, 0x400000
	v_add_u32_e32 v19, 0x80, v19
	s_waitcnt vmcnt(0)
	v_lshlrev_b32_e32 v5, 23, v1
	v_cmp_ne_u32_e32 vcc, s4, v1
	v_cndmask_b32_e32 v2, v2, v5, vcc
	v_cmp_ne_u32_e32 vcc, 0, v1
	v_cndmask_b32_e32 v1, v3, v2, vcc
	v_cmp_eq_f32_e32 vcc, v4, v1
	v_cndmask_b32_e64 v2, 0, 1, vcc
	v_cmp_neq_f32_e32 vcc, v4, v1
	v_cndmask_b32_e64 v1, 0, 1, vcc
	v_cndmask_b32_e64 v1, v1, v2, s[0:1]
	v_and_b32_e32 v1, 1, v1
	global_store_byte v0, v1, s[20:21]
	s_or_b64 exec, exec, s[2:3]
	v_cmp_gt_i32_e32 vcc, s57, v19
	s_and_saveexec_b64 s[2:3], vcc
	s_cbranch_execnz .LBB322_15
.LBB322_139:
	s_or_b64 exec, exec, s[2:3]
	v_cmp_gt_i32_e32 vcc, s57, v19
	s_and_saveexec_b64 s[2:3], vcc
	s_cbranch_execz .LBB322_155
.LBB322_140:
	s_andn2_b64 vcc, exec, s[40:41]
	s_cbranch_vccnz .LBB322_145
; %bb.141:
	s_andn2_b64 vcc, exec, s[50:51]
	s_cbranch_vccnz .LBB322_146
; %bb.142:
	s_add_i32 s60, s58, 1
	s_cmp_eq_u32 s56, 2
	s_cbranch_scc1 .LBB322_163
; %bb.143:
	s_and_b32 s59, s60, 28
	v_mov_b32_e32 v2, 0
	s_mov_b32 s61, 0
	s_mov_b64 s[52:53], s[34:35]
	s_mov_b64 s[54:55], s[48:49]
	v_mov_b32_e32 v0, 0
	v_mov_b32_e32 v1, v19
.LBB322_144:                            ; =>This Inner Loop Header: Depth=1
	s_load_dwordx8 s[12:19], s[52:53], 0x4
	s_load_dwordx4 s[36:39], s[52:53], 0x24
	s_load_dwordx8 s[4:11], s[54:55], 0x0
	s_add_u32 s52, s52, 48
	s_addc_u32 s53, s53, 0
	s_waitcnt lgkmcnt(0)
	v_mul_hi_u32 v3, s13, v1
	s_add_i32 s61, s61, 4
	s_add_u32 s54, s54, 32
	s_addc_u32 s55, s55, 0
	v_add_u32_e32 v3, v1, v3
	v_lshrrev_b32_e32 v3, s14, v3
	v_mul_lo_u32 v5, v3, s12
	v_mul_hi_u32 v6, s16, v3
	s_cmp_eq_u32 s59, s61
	v_sub_u32_e32 v1, v1, v5
	v_add_u32_e32 v5, v3, v6
	v_mul_lo_u32 v6, v1, s4
	v_mul_lo_u32 v7, v1, s5
	v_lshrrev_b32_e32 v1, s17, v5
	v_mul_lo_u32 v5, v1, s15
	v_mul_hi_u32 v8, s19, v1
	v_sub_u32_e32 v3, v3, v5
	v_add_u32_e32 v5, v1, v8
	v_lshrrev_b32_e32 v5, s36, v5
	v_mul_hi_u32 v9, s38, v5
	v_mul_lo_u32 v10, v5, s18
	v_mul_lo_u32 v8, v3, s6
	;; [unrolled: 1-line block ×3, first 2 shown]
	v_sub_u32_e32 v10, v1, v10
	v_add_u32_e32 v1, v5, v9
	v_lshrrev_b32_e32 v1, s39, v1
	v_mul_lo_u32 v9, v1, s37
	v_mul_lo_u32 v11, v10, s8
	;; [unrolled: 1-line block ×3, first 2 shown]
	v_add3_u32 v0, v6, v0, v8
	v_sub_u32_e32 v5, v5, v9
	v_mul_lo_u32 v9, v5, s10
	v_mul_lo_u32 v5, v5, s11
	v_add3_u32 v2, v7, v2, v3
	v_add3_u32 v0, v11, v0, v9
	;; [unrolled: 1-line block ×3, first 2 shown]
	s_cbranch_scc0 .LBB322_144
	s_branch .LBB322_164
.LBB322_145:
                                        ; implicit-def: $vgpr0
                                        ; implicit-def: $vgpr2
	s_branch .LBB322_168
.LBB322_146:
	v_mov_b32_e32 v0, 0
	v_mov_b32_e32 v2, 0
	s_branch .LBB322_167
.LBB322_147:
	s_mov_b32 s59, 0
	v_mov_b32_e32 v0, 0
	v_mov_b32_e32 v2, 0
	;; [unrolled: 1-line block ×3, first 2 shown]
.LBB322_148:
	s_and_b32 s8, s60, 3
	s_cmp_eq_u32 s8, 0
	s_cbranch_scc1 .LBB322_151
; %bb.149:
	s_lshl_b32 s4, s59, 3
	s_add_u32 s4, s34, s4
	s_addc_u32 s5, s35, 0
	s_add_u32 s4, s4, 0xc4
	s_addc_u32 s5, s5, 0
	s_mul_i32 s6, s59, 12
	s_add_u32 s6, s34, s6
	s_addc_u32 s7, s35, 0
.LBB322_150:                            ; =>This Inner Loop Header: Depth=1
	s_load_dwordx2 s[10:11], s[6:7], 0x4
	s_load_dword s9, s[6:7], 0xc
	s_load_dwordx2 s[12:13], s[4:5], 0x0
	s_add_u32 s6, s6, 12
	s_addc_u32 s7, s7, 0
	s_waitcnt lgkmcnt(0)
	v_mul_hi_u32 v3, s11, v1
	s_add_u32 s4, s4, 8
	s_addc_u32 s5, s5, 0
	s_add_i32 s8, s8, -1
	v_add_u32_e32 v3, v1, v3
	v_lshrrev_b32_e32 v5, s9, v3
	v_mul_lo_u32 v3, v5, s10
	s_cmp_lg_u32 s8, 0
	v_sub_u32_e32 v3, v1, v3
	v_mad_u64_u32 v[0:1], s[10:11], v3, s12, v[0:1]
	v_mad_u64_u32 v[2:3], s[10:11], v3, s13, v[2:3]
	v_mov_b32_e32 v1, v5
	s_cbranch_scc1 .LBB322_150
.LBB322_151:
	s_cbranch_execnz .LBB322_154
.LBB322_152:
	v_mul_hi_u32 v0, s25, v19
	s_andn2_b64 vcc, exec, s[46:47]
	v_add_u32_e32 v0, v19, v0
	v_lshrrev_b32_e32 v1, s26, v0
	v_mul_lo_u32 v0, v1, s24
	v_sub_u32_e32 v2, v19, v0
	s_waitcnt lgkmcnt(0)
	v_mul_lo_u32 v0, v2, s28
	v_mul_lo_u32 v2, v2, s29
	s_cbranch_vccnz .LBB322_154
; %bb.153:
	v_mul_hi_u32 v3, s44, v1
	v_add_u32_e32 v3, v1, v3
	v_lshrrev_b32_e32 v3, s45, v3
	v_mul_lo_u32 v3, v3, s27
	v_sub_u32_e32 v3, v1, v3
	v_mad_u64_u32 v[0:1], s[4:5], v3, s30, v[0:1]
	v_mad_u64_u32 v[2:3], s[4:5], v3, s31, v[2:3]
.LBB322_154:
	s_waitcnt lgkmcnt(0)
	global_load_ubyte v1, v2, s[22:23]
	s_movk_i32 s4, 0xff
	v_mov_b32_e32 v2, 0x7f800001
	v_mov_b32_e32 v3, 0x400000
	v_add_u32_e32 v19, 0x80, v19
	s_waitcnt vmcnt(0)
	v_lshlrev_b32_e32 v5, 23, v1
	v_cmp_ne_u32_e32 vcc, s4, v1
	v_cndmask_b32_e32 v2, v2, v5, vcc
	v_cmp_ne_u32_e32 vcc, 0, v1
	v_cndmask_b32_e32 v1, v3, v2, vcc
	v_cmp_eq_f32_e32 vcc, v4, v1
	v_cndmask_b32_e64 v2, 0, 1, vcc
	v_cmp_neq_f32_e32 vcc, v4, v1
	v_cndmask_b32_e64 v1, 0, 1, vcc
	v_cndmask_b32_e64 v1, v1, v2, s[0:1]
	v_and_b32_e32 v1, 1, v1
	global_store_byte v0, v1, s[20:21]
	s_or_b64 exec, exec, s[2:3]
	v_cmp_gt_i32_e32 vcc, s57, v19
	s_and_saveexec_b64 s[2:3], vcc
	s_cbranch_execnz .LBB322_140
.LBB322_155:
	s_or_b64 exec, exec, s[2:3]
	v_cmp_gt_i32_e32 vcc, s57, v19
	s_and_saveexec_b64 s[2:3], vcc
	s_cbranch_execz .LBB322_171
.LBB322_156:
	s_andn2_b64 vcc, exec, s[40:41]
	s_cbranch_vccnz .LBB322_161
; %bb.157:
	s_andn2_b64 vcc, exec, s[50:51]
	s_cbranch_vccnz .LBB322_162
; %bb.158:
	s_add_i32 s60, s58, 1
	s_cmp_eq_u32 s56, 2
	s_cbranch_scc1 .LBB322_179
; %bb.159:
	s_and_b32 s59, s60, 28
	v_mov_b32_e32 v2, 0
	s_mov_b32 s61, 0
	s_mov_b64 s[52:53], s[34:35]
	s_mov_b64 s[54:55], s[48:49]
	v_mov_b32_e32 v0, 0
	v_mov_b32_e32 v1, v19
.LBB322_160:                            ; =>This Inner Loop Header: Depth=1
	s_load_dwordx8 s[12:19], s[52:53], 0x4
	s_load_dwordx4 s[36:39], s[52:53], 0x24
	s_load_dwordx8 s[4:11], s[54:55], 0x0
	s_add_u32 s52, s52, 48
	s_addc_u32 s53, s53, 0
	s_waitcnt lgkmcnt(0)
	v_mul_hi_u32 v3, s13, v1
	s_add_i32 s61, s61, 4
	s_add_u32 s54, s54, 32
	s_addc_u32 s55, s55, 0
	v_add_u32_e32 v3, v1, v3
	v_lshrrev_b32_e32 v3, s14, v3
	v_mul_lo_u32 v5, v3, s12
	v_mul_hi_u32 v6, s16, v3
	s_cmp_eq_u32 s59, s61
	v_sub_u32_e32 v1, v1, v5
	v_add_u32_e32 v5, v3, v6
	v_mul_lo_u32 v6, v1, s4
	v_mul_lo_u32 v7, v1, s5
	v_lshrrev_b32_e32 v1, s17, v5
	v_mul_lo_u32 v5, v1, s15
	v_mul_hi_u32 v8, s19, v1
	v_sub_u32_e32 v3, v3, v5
	v_add_u32_e32 v5, v1, v8
	v_lshrrev_b32_e32 v5, s36, v5
	v_mul_hi_u32 v9, s38, v5
	v_mul_lo_u32 v10, v5, s18
	v_mul_lo_u32 v8, v3, s6
	;; [unrolled: 1-line block ×3, first 2 shown]
	v_sub_u32_e32 v10, v1, v10
	v_add_u32_e32 v1, v5, v9
	v_lshrrev_b32_e32 v1, s39, v1
	v_mul_lo_u32 v9, v1, s37
	v_mul_lo_u32 v11, v10, s8
	;; [unrolled: 1-line block ×3, first 2 shown]
	v_add3_u32 v0, v6, v0, v8
	v_sub_u32_e32 v5, v5, v9
	v_mul_lo_u32 v9, v5, s10
	v_mul_lo_u32 v5, v5, s11
	v_add3_u32 v2, v7, v2, v3
	v_add3_u32 v0, v11, v0, v9
	;; [unrolled: 1-line block ×3, first 2 shown]
	s_cbranch_scc0 .LBB322_160
	s_branch .LBB322_180
.LBB322_161:
                                        ; implicit-def: $vgpr0
                                        ; implicit-def: $vgpr2
	s_branch .LBB322_184
.LBB322_162:
	v_mov_b32_e32 v0, 0
	v_mov_b32_e32 v2, 0
	s_branch .LBB322_183
.LBB322_163:
	s_mov_b32 s59, 0
	v_mov_b32_e32 v0, 0
	v_mov_b32_e32 v2, 0
	;; [unrolled: 1-line block ×3, first 2 shown]
.LBB322_164:
	s_and_b32 s8, s60, 3
	s_cmp_eq_u32 s8, 0
	s_cbranch_scc1 .LBB322_167
; %bb.165:
	s_lshl_b32 s4, s59, 3
	s_add_u32 s4, s34, s4
	s_addc_u32 s5, s35, 0
	s_add_u32 s4, s4, 0xc4
	s_addc_u32 s5, s5, 0
	s_mul_i32 s6, s59, 12
	s_add_u32 s6, s34, s6
	s_addc_u32 s7, s35, 0
.LBB322_166:                            ; =>This Inner Loop Header: Depth=1
	s_load_dwordx2 s[10:11], s[6:7], 0x4
	s_load_dword s9, s[6:7], 0xc
	s_load_dwordx2 s[12:13], s[4:5], 0x0
	s_add_u32 s6, s6, 12
	s_addc_u32 s7, s7, 0
	s_waitcnt lgkmcnt(0)
	v_mul_hi_u32 v3, s11, v1
	s_add_u32 s4, s4, 8
	s_addc_u32 s5, s5, 0
	s_add_i32 s8, s8, -1
	v_add_u32_e32 v3, v1, v3
	v_lshrrev_b32_e32 v5, s9, v3
	v_mul_lo_u32 v3, v5, s10
	s_cmp_lg_u32 s8, 0
	v_sub_u32_e32 v3, v1, v3
	v_mad_u64_u32 v[0:1], s[10:11], v3, s12, v[0:1]
	v_mad_u64_u32 v[2:3], s[10:11], v3, s13, v[2:3]
	v_mov_b32_e32 v1, v5
	s_cbranch_scc1 .LBB322_166
.LBB322_167:
	s_cbranch_execnz .LBB322_170
.LBB322_168:
	v_mul_hi_u32 v0, s25, v19
	s_andn2_b64 vcc, exec, s[46:47]
	v_add_u32_e32 v0, v19, v0
	v_lshrrev_b32_e32 v1, s26, v0
	v_mul_lo_u32 v0, v1, s24
	v_sub_u32_e32 v2, v19, v0
	s_waitcnt lgkmcnt(0)
	v_mul_lo_u32 v0, v2, s28
	v_mul_lo_u32 v2, v2, s29
	s_cbranch_vccnz .LBB322_170
; %bb.169:
	v_mul_hi_u32 v3, s44, v1
	v_add_u32_e32 v3, v1, v3
	v_lshrrev_b32_e32 v3, s45, v3
	v_mul_lo_u32 v3, v3, s27
	v_sub_u32_e32 v3, v1, v3
	v_mad_u64_u32 v[0:1], s[4:5], v3, s30, v[0:1]
	v_mad_u64_u32 v[2:3], s[4:5], v3, s31, v[2:3]
.LBB322_170:
	s_waitcnt lgkmcnt(0)
	global_load_ubyte v1, v2, s[22:23]
	s_movk_i32 s4, 0xff
	v_mov_b32_e32 v2, 0x7f800001
	v_mov_b32_e32 v3, 0x400000
	v_add_u32_e32 v19, 0x80, v19
	s_waitcnt vmcnt(0)
	v_lshlrev_b32_e32 v5, 23, v1
	v_cmp_ne_u32_e32 vcc, s4, v1
	v_cndmask_b32_e32 v2, v2, v5, vcc
	v_cmp_ne_u32_e32 vcc, 0, v1
	v_cndmask_b32_e32 v1, v3, v2, vcc
	v_cmp_eq_f32_e32 vcc, v4, v1
	v_cndmask_b32_e64 v2, 0, 1, vcc
	v_cmp_neq_f32_e32 vcc, v4, v1
	v_cndmask_b32_e64 v1, 0, 1, vcc
	v_cndmask_b32_e64 v1, v1, v2, s[0:1]
	v_and_b32_e32 v1, 1, v1
	global_store_byte v0, v1, s[20:21]
	s_or_b64 exec, exec, s[2:3]
	v_cmp_gt_i32_e32 vcc, s57, v19
	s_and_saveexec_b64 s[2:3], vcc
	s_cbranch_execnz .LBB322_156
.LBB322_171:
	s_or_b64 exec, exec, s[2:3]
	v_cmp_gt_i32_e32 vcc, s57, v19
	s_and_saveexec_b64 s[2:3], vcc
	s_cbranch_execz .LBB322_187
.LBB322_172:
	s_andn2_b64 vcc, exec, s[40:41]
	s_cbranch_vccnz .LBB322_177
; %bb.173:
	s_andn2_b64 vcc, exec, s[50:51]
	s_cbranch_vccnz .LBB322_178
; %bb.174:
	s_add_i32 s60, s58, 1
	s_cmp_eq_u32 s56, 2
	s_cbranch_scc1 .LBB322_195
; %bb.175:
	s_and_b32 s59, s60, 28
	v_mov_b32_e32 v2, 0
	s_mov_b32 s61, 0
	s_mov_b64 s[52:53], s[34:35]
	s_mov_b64 s[54:55], s[48:49]
	v_mov_b32_e32 v0, 0
	v_mov_b32_e32 v1, v19
.LBB322_176:                            ; =>This Inner Loop Header: Depth=1
	s_load_dwordx8 s[12:19], s[52:53], 0x4
	s_load_dwordx4 s[36:39], s[52:53], 0x24
	s_load_dwordx8 s[4:11], s[54:55], 0x0
	s_add_u32 s52, s52, 48
	s_addc_u32 s53, s53, 0
	s_waitcnt lgkmcnt(0)
	v_mul_hi_u32 v3, s13, v1
	s_add_i32 s61, s61, 4
	s_add_u32 s54, s54, 32
	s_addc_u32 s55, s55, 0
	v_add_u32_e32 v3, v1, v3
	v_lshrrev_b32_e32 v3, s14, v3
	v_mul_lo_u32 v5, v3, s12
	v_mul_hi_u32 v6, s16, v3
	s_cmp_eq_u32 s59, s61
	v_sub_u32_e32 v1, v1, v5
	v_add_u32_e32 v5, v3, v6
	v_mul_lo_u32 v6, v1, s4
	v_mul_lo_u32 v7, v1, s5
	v_lshrrev_b32_e32 v1, s17, v5
	v_mul_lo_u32 v5, v1, s15
	v_mul_hi_u32 v8, s19, v1
	v_sub_u32_e32 v3, v3, v5
	v_add_u32_e32 v5, v1, v8
	v_lshrrev_b32_e32 v5, s36, v5
	v_mul_hi_u32 v9, s38, v5
	v_mul_lo_u32 v10, v5, s18
	v_mul_lo_u32 v8, v3, s6
	;; [unrolled: 1-line block ×3, first 2 shown]
	v_sub_u32_e32 v10, v1, v10
	v_add_u32_e32 v1, v5, v9
	v_lshrrev_b32_e32 v1, s39, v1
	v_mul_lo_u32 v9, v1, s37
	v_mul_lo_u32 v11, v10, s8
	;; [unrolled: 1-line block ×3, first 2 shown]
	v_add3_u32 v0, v6, v0, v8
	v_sub_u32_e32 v5, v5, v9
	v_mul_lo_u32 v9, v5, s10
	v_mul_lo_u32 v5, v5, s11
	v_add3_u32 v2, v7, v2, v3
	v_add3_u32 v0, v11, v0, v9
	;; [unrolled: 1-line block ×3, first 2 shown]
	s_cbranch_scc0 .LBB322_176
	s_branch .LBB322_196
.LBB322_177:
                                        ; implicit-def: $vgpr0
                                        ; implicit-def: $vgpr2
	s_branch .LBB322_200
.LBB322_178:
	v_mov_b32_e32 v0, 0
	v_mov_b32_e32 v2, 0
	s_branch .LBB322_199
.LBB322_179:
	s_mov_b32 s59, 0
	v_mov_b32_e32 v0, 0
	v_mov_b32_e32 v2, 0
	;; [unrolled: 1-line block ×3, first 2 shown]
.LBB322_180:
	s_and_b32 s8, s60, 3
	s_cmp_eq_u32 s8, 0
	s_cbranch_scc1 .LBB322_183
; %bb.181:
	s_lshl_b32 s4, s59, 3
	s_add_u32 s4, s34, s4
	s_addc_u32 s5, s35, 0
	s_add_u32 s4, s4, 0xc4
	s_addc_u32 s5, s5, 0
	s_mul_i32 s6, s59, 12
	s_add_u32 s6, s34, s6
	s_addc_u32 s7, s35, 0
.LBB322_182:                            ; =>This Inner Loop Header: Depth=1
	s_load_dwordx2 s[10:11], s[6:7], 0x4
	s_load_dword s9, s[6:7], 0xc
	s_load_dwordx2 s[12:13], s[4:5], 0x0
	s_add_u32 s6, s6, 12
	s_addc_u32 s7, s7, 0
	s_waitcnt lgkmcnt(0)
	v_mul_hi_u32 v3, s11, v1
	s_add_u32 s4, s4, 8
	s_addc_u32 s5, s5, 0
	s_add_i32 s8, s8, -1
	v_add_u32_e32 v3, v1, v3
	v_lshrrev_b32_e32 v5, s9, v3
	v_mul_lo_u32 v3, v5, s10
	s_cmp_lg_u32 s8, 0
	v_sub_u32_e32 v3, v1, v3
	v_mad_u64_u32 v[0:1], s[10:11], v3, s12, v[0:1]
	v_mad_u64_u32 v[2:3], s[10:11], v3, s13, v[2:3]
	v_mov_b32_e32 v1, v5
	s_cbranch_scc1 .LBB322_182
.LBB322_183:
	s_cbranch_execnz .LBB322_186
.LBB322_184:
	v_mul_hi_u32 v0, s25, v19
	s_andn2_b64 vcc, exec, s[46:47]
	v_add_u32_e32 v0, v19, v0
	v_lshrrev_b32_e32 v1, s26, v0
	v_mul_lo_u32 v0, v1, s24
	v_sub_u32_e32 v2, v19, v0
	s_waitcnt lgkmcnt(0)
	v_mul_lo_u32 v0, v2, s28
	v_mul_lo_u32 v2, v2, s29
	s_cbranch_vccnz .LBB322_186
; %bb.185:
	v_mul_hi_u32 v3, s44, v1
	v_add_u32_e32 v3, v1, v3
	v_lshrrev_b32_e32 v3, s45, v3
	v_mul_lo_u32 v3, v3, s27
	v_sub_u32_e32 v3, v1, v3
	v_mad_u64_u32 v[0:1], s[4:5], v3, s30, v[0:1]
	v_mad_u64_u32 v[2:3], s[4:5], v3, s31, v[2:3]
.LBB322_186:
	s_waitcnt lgkmcnt(0)
	global_load_ubyte v1, v2, s[22:23]
	s_movk_i32 s4, 0xff
	v_mov_b32_e32 v2, 0x7f800001
	v_mov_b32_e32 v3, 0x400000
	v_add_u32_e32 v19, 0x80, v19
	s_waitcnt vmcnt(0)
	v_lshlrev_b32_e32 v5, 23, v1
	v_cmp_ne_u32_e32 vcc, s4, v1
	v_cndmask_b32_e32 v2, v2, v5, vcc
	v_cmp_ne_u32_e32 vcc, 0, v1
	v_cndmask_b32_e32 v1, v3, v2, vcc
	v_cmp_eq_f32_e32 vcc, v4, v1
	v_cndmask_b32_e64 v2, 0, 1, vcc
	v_cmp_neq_f32_e32 vcc, v4, v1
	v_cndmask_b32_e64 v1, 0, 1, vcc
	v_cndmask_b32_e64 v1, v1, v2, s[0:1]
	v_and_b32_e32 v1, 1, v1
	global_store_byte v0, v1, s[20:21]
	s_or_b64 exec, exec, s[2:3]
	v_cmp_gt_i32_e32 vcc, s57, v19
	s_and_saveexec_b64 s[2:3], vcc
	s_cbranch_execnz .LBB322_172
.LBB322_187:
	s_or_b64 exec, exec, s[2:3]
	v_cmp_gt_i32_e32 vcc, s57, v19
	s_and_saveexec_b64 s[2:3], vcc
	s_cbranch_execz .LBB322_203
.LBB322_188:
	s_andn2_b64 vcc, exec, s[40:41]
	s_cbranch_vccnz .LBB322_193
; %bb.189:
	s_andn2_b64 vcc, exec, s[50:51]
	s_cbranch_vccnz .LBB322_194
; %bb.190:
	s_add_i32 s60, s58, 1
	s_cmp_eq_u32 s56, 2
	s_cbranch_scc1 .LBB322_211
; %bb.191:
	s_and_b32 s59, s60, 28
	v_mov_b32_e32 v2, 0
	s_mov_b32 s61, 0
	s_mov_b64 s[52:53], s[34:35]
	s_mov_b64 s[54:55], s[48:49]
	v_mov_b32_e32 v0, 0
	v_mov_b32_e32 v1, v19
.LBB322_192:                            ; =>This Inner Loop Header: Depth=1
	s_load_dwordx8 s[12:19], s[52:53], 0x4
	s_load_dwordx4 s[36:39], s[52:53], 0x24
	s_load_dwordx8 s[4:11], s[54:55], 0x0
	s_add_u32 s52, s52, 48
	s_addc_u32 s53, s53, 0
	s_waitcnt lgkmcnt(0)
	v_mul_hi_u32 v3, s13, v1
	s_add_i32 s61, s61, 4
	s_add_u32 s54, s54, 32
	s_addc_u32 s55, s55, 0
	v_add_u32_e32 v3, v1, v3
	v_lshrrev_b32_e32 v3, s14, v3
	v_mul_lo_u32 v5, v3, s12
	v_mul_hi_u32 v6, s16, v3
	s_cmp_eq_u32 s59, s61
	v_sub_u32_e32 v1, v1, v5
	v_add_u32_e32 v5, v3, v6
	v_mul_lo_u32 v6, v1, s4
	v_mul_lo_u32 v7, v1, s5
	v_lshrrev_b32_e32 v1, s17, v5
	v_mul_lo_u32 v5, v1, s15
	v_mul_hi_u32 v8, s19, v1
	v_sub_u32_e32 v3, v3, v5
	v_add_u32_e32 v5, v1, v8
	v_lshrrev_b32_e32 v5, s36, v5
	v_mul_hi_u32 v9, s38, v5
	v_mul_lo_u32 v10, v5, s18
	v_mul_lo_u32 v8, v3, s6
	;; [unrolled: 1-line block ×3, first 2 shown]
	v_sub_u32_e32 v10, v1, v10
	v_add_u32_e32 v1, v5, v9
	v_lshrrev_b32_e32 v1, s39, v1
	v_mul_lo_u32 v9, v1, s37
	v_mul_lo_u32 v11, v10, s8
	;; [unrolled: 1-line block ×3, first 2 shown]
	v_add3_u32 v0, v6, v0, v8
	v_sub_u32_e32 v5, v5, v9
	v_mul_lo_u32 v9, v5, s10
	v_mul_lo_u32 v5, v5, s11
	v_add3_u32 v2, v7, v2, v3
	v_add3_u32 v0, v11, v0, v9
	;; [unrolled: 1-line block ×3, first 2 shown]
	s_cbranch_scc0 .LBB322_192
	s_branch .LBB322_212
.LBB322_193:
                                        ; implicit-def: $vgpr0
                                        ; implicit-def: $vgpr2
	s_branch .LBB322_216
.LBB322_194:
	v_mov_b32_e32 v0, 0
	v_mov_b32_e32 v2, 0
	s_branch .LBB322_215
.LBB322_195:
	s_mov_b32 s59, 0
	v_mov_b32_e32 v0, 0
	v_mov_b32_e32 v2, 0
	;; [unrolled: 1-line block ×3, first 2 shown]
.LBB322_196:
	s_and_b32 s8, s60, 3
	s_cmp_eq_u32 s8, 0
	s_cbranch_scc1 .LBB322_199
; %bb.197:
	s_lshl_b32 s4, s59, 3
	s_add_u32 s4, s34, s4
	s_addc_u32 s5, s35, 0
	s_add_u32 s4, s4, 0xc4
	s_addc_u32 s5, s5, 0
	s_mul_i32 s6, s59, 12
	s_add_u32 s6, s34, s6
	s_addc_u32 s7, s35, 0
.LBB322_198:                            ; =>This Inner Loop Header: Depth=1
	s_load_dwordx2 s[10:11], s[6:7], 0x4
	s_load_dword s9, s[6:7], 0xc
	s_load_dwordx2 s[12:13], s[4:5], 0x0
	s_add_u32 s6, s6, 12
	s_addc_u32 s7, s7, 0
	s_waitcnt lgkmcnt(0)
	v_mul_hi_u32 v3, s11, v1
	s_add_u32 s4, s4, 8
	s_addc_u32 s5, s5, 0
	s_add_i32 s8, s8, -1
	v_add_u32_e32 v3, v1, v3
	v_lshrrev_b32_e32 v5, s9, v3
	v_mul_lo_u32 v3, v5, s10
	s_cmp_lg_u32 s8, 0
	v_sub_u32_e32 v3, v1, v3
	v_mad_u64_u32 v[0:1], s[10:11], v3, s12, v[0:1]
	v_mad_u64_u32 v[2:3], s[10:11], v3, s13, v[2:3]
	v_mov_b32_e32 v1, v5
	s_cbranch_scc1 .LBB322_198
.LBB322_199:
	s_cbranch_execnz .LBB322_202
.LBB322_200:
	v_mul_hi_u32 v0, s25, v19
	s_andn2_b64 vcc, exec, s[46:47]
	v_add_u32_e32 v0, v19, v0
	v_lshrrev_b32_e32 v1, s26, v0
	v_mul_lo_u32 v0, v1, s24
	v_sub_u32_e32 v2, v19, v0
	s_waitcnt lgkmcnt(0)
	v_mul_lo_u32 v0, v2, s28
	v_mul_lo_u32 v2, v2, s29
	s_cbranch_vccnz .LBB322_202
; %bb.201:
	v_mul_hi_u32 v3, s44, v1
	v_add_u32_e32 v3, v1, v3
	v_lshrrev_b32_e32 v3, s45, v3
	v_mul_lo_u32 v3, v3, s27
	v_sub_u32_e32 v3, v1, v3
	v_mad_u64_u32 v[0:1], s[4:5], v3, s30, v[0:1]
	v_mad_u64_u32 v[2:3], s[4:5], v3, s31, v[2:3]
.LBB322_202:
	s_waitcnt lgkmcnt(0)
	global_load_ubyte v1, v2, s[22:23]
	s_movk_i32 s4, 0xff
	v_mov_b32_e32 v2, 0x7f800001
	v_mov_b32_e32 v3, 0x400000
	v_add_u32_e32 v19, 0x80, v19
	s_waitcnt vmcnt(0)
	v_lshlrev_b32_e32 v5, 23, v1
	v_cmp_ne_u32_e32 vcc, s4, v1
	v_cndmask_b32_e32 v2, v2, v5, vcc
	v_cmp_ne_u32_e32 vcc, 0, v1
	v_cndmask_b32_e32 v1, v3, v2, vcc
	v_cmp_eq_f32_e32 vcc, v4, v1
	v_cndmask_b32_e64 v2, 0, 1, vcc
	v_cmp_neq_f32_e32 vcc, v4, v1
	v_cndmask_b32_e64 v1, 0, 1, vcc
	v_cndmask_b32_e64 v1, v1, v2, s[0:1]
	v_and_b32_e32 v1, 1, v1
	global_store_byte v0, v1, s[20:21]
	s_or_b64 exec, exec, s[2:3]
	v_cmp_gt_i32_e32 vcc, s57, v19
	s_and_saveexec_b64 s[2:3], vcc
	s_cbranch_execnz .LBB322_188
.LBB322_203:
	s_or_b64 exec, exec, s[2:3]
	v_cmp_gt_i32_e32 vcc, s57, v19
	s_and_saveexec_b64 s[2:3], vcc
	s_cbranch_execz .LBB322_219
.LBB322_204:
	s_andn2_b64 vcc, exec, s[40:41]
	s_cbranch_vccnz .LBB322_209
; %bb.205:
	s_andn2_b64 vcc, exec, s[50:51]
	s_cbranch_vccnz .LBB322_210
; %bb.206:
	s_add_i32 s60, s58, 1
	s_cmp_eq_u32 s56, 2
	s_cbranch_scc1 .LBB322_222
; %bb.207:
	s_and_b32 s59, s60, 28
	v_mov_b32_e32 v2, 0
	s_mov_b32 s61, 0
	s_mov_b64 s[52:53], s[34:35]
	s_mov_b64 s[54:55], s[48:49]
	v_mov_b32_e32 v0, 0
	v_mov_b32_e32 v1, v19
.LBB322_208:                            ; =>This Inner Loop Header: Depth=1
	s_load_dwordx8 s[12:19], s[52:53], 0x4
	s_load_dwordx4 s[36:39], s[52:53], 0x24
	s_load_dwordx8 s[4:11], s[54:55], 0x0
	s_add_u32 s52, s52, 48
	s_addc_u32 s53, s53, 0
	s_waitcnt lgkmcnt(0)
	v_mul_hi_u32 v3, s13, v1
	s_add_i32 s61, s61, 4
	s_add_u32 s54, s54, 32
	s_addc_u32 s55, s55, 0
	v_add_u32_e32 v3, v1, v3
	v_lshrrev_b32_e32 v3, s14, v3
	v_mul_lo_u32 v5, v3, s12
	v_mul_hi_u32 v6, s16, v3
	s_cmp_eq_u32 s59, s61
	v_sub_u32_e32 v1, v1, v5
	v_add_u32_e32 v5, v3, v6
	v_mul_lo_u32 v6, v1, s4
	v_mul_lo_u32 v7, v1, s5
	v_lshrrev_b32_e32 v1, s17, v5
	v_mul_lo_u32 v5, v1, s15
	v_mul_hi_u32 v8, s19, v1
	v_sub_u32_e32 v3, v3, v5
	v_add_u32_e32 v5, v1, v8
	v_lshrrev_b32_e32 v5, s36, v5
	v_mul_hi_u32 v9, s38, v5
	v_mul_lo_u32 v10, v5, s18
	v_mul_lo_u32 v8, v3, s6
	;; [unrolled: 1-line block ×3, first 2 shown]
	v_sub_u32_e32 v10, v1, v10
	v_add_u32_e32 v1, v5, v9
	v_lshrrev_b32_e32 v1, s39, v1
	v_mul_lo_u32 v9, v1, s37
	v_mul_lo_u32 v11, v10, s8
	;; [unrolled: 1-line block ×3, first 2 shown]
	v_add3_u32 v0, v6, v0, v8
	v_sub_u32_e32 v5, v5, v9
	v_mul_lo_u32 v9, v5, s10
	v_mul_lo_u32 v5, v5, s11
	v_add3_u32 v2, v7, v2, v3
	v_add3_u32 v0, v11, v0, v9
	v_add3_u32 v2, v10, v2, v5
	s_cbranch_scc0 .LBB322_208
	s_branch .LBB322_223
.LBB322_209:
                                        ; implicit-def: $vgpr0
                                        ; implicit-def: $vgpr2
	s_branch .LBB322_227
.LBB322_210:
	v_mov_b32_e32 v0, 0
	v_mov_b32_e32 v2, 0
	s_branch .LBB322_226
.LBB322_211:
	s_mov_b32 s59, 0
	v_mov_b32_e32 v0, 0
	v_mov_b32_e32 v2, 0
	;; [unrolled: 1-line block ×3, first 2 shown]
.LBB322_212:
	s_and_b32 s8, s60, 3
	s_cmp_eq_u32 s8, 0
	s_cbranch_scc1 .LBB322_215
; %bb.213:
	s_lshl_b32 s4, s59, 3
	s_add_u32 s4, s34, s4
	s_addc_u32 s5, s35, 0
	s_add_u32 s4, s4, 0xc4
	s_addc_u32 s5, s5, 0
	s_mul_i32 s6, s59, 12
	s_add_u32 s6, s34, s6
	s_addc_u32 s7, s35, 0
.LBB322_214:                            ; =>This Inner Loop Header: Depth=1
	s_load_dwordx2 s[10:11], s[6:7], 0x4
	s_load_dword s9, s[6:7], 0xc
	s_load_dwordx2 s[12:13], s[4:5], 0x0
	s_add_u32 s6, s6, 12
	s_addc_u32 s7, s7, 0
	s_waitcnt lgkmcnt(0)
	v_mul_hi_u32 v3, s11, v1
	s_add_u32 s4, s4, 8
	s_addc_u32 s5, s5, 0
	s_add_i32 s8, s8, -1
	v_add_u32_e32 v3, v1, v3
	v_lshrrev_b32_e32 v5, s9, v3
	v_mul_lo_u32 v3, v5, s10
	s_cmp_lg_u32 s8, 0
	v_sub_u32_e32 v3, v1, v3
	v_mad_u64_u32 v[0:1], s[10:11], v3, s12, v[0:1]
	v_mad_u64_u32 v[2:3], s[10:11], v3, s13, v[2:3]
	v_mov_b32_e32 v1, v5
	s_cbranch_scc1 .LBB322_214
.LBB322_215:
	s_cbranch_execnz .LBB322_218
.LBB322_216:
	v_mul_hi_u32 v0, s25, v19
	s_andn2_b64 vcc, exec, s[46:47]
	v_add_u32_e32 v0, v19, v0
	v_lshrrev_b32_e32 v1, s26, v0
	v_mul_lo_u32 v0, v1, s24
	v_sub_u32_e32 v2, v19, v0
	s_waitcnt lgkmcnt(0)
	v_mul_lo_u32 v0, v2, s28
	v_mul_lo_u32 v2, v2, s29
	s_cbranch_vccnz .LBB322_218
; %bb.217:
	v_mul_hi_u32 v3, s44, v1
	v_add_u32_e32 v3, v1, v3
	v_lshrrev_b32_e32 v3, s45, v3
	v_mul_lo_u32 v3, v3, s27
	v_sub_u32_e32 v3, v1, v3
	v_mad_u64_u32 v[0:1], s[4:5], v3, s30, v[0:1]
	v_mad_u64_u32 v[2:3], s[4:5], v3, s31, v[2:3]
.LBB322_218:
	s_waitcnt lgkmcnt(0)
	global_load_ubyte v1, v2, s[22:23]
	s_movk_i32 s4, 0xff
	v_mov_b32_e32 v2, 0x7f800001
	v_mov_b32_e32 v3, 0x400000
	v_add_u32_e32 v19, 0x80, v19
	s_waitcnt vmcnt(0)
	v_lshlrev_b32_e32 v5, 23, v1
	v_cmp_ne_u32_e32 vcc, s4, v1
	v_cndmask_b32_e32 v2, v2, v5, vcc
	v_cmp_ne_u32_e32 vcc, 0, v1
	v_cndmask_b32_e32 v1, v3, v2, vcc
	v_cmp_eq_f32_e32 vcc, v4, v1
	v_cndmask_b32_e64 v2, 0, 1, vcc
	v_cmp_neq_f32_e32 vcc, v4, v1
	v_cndmask_b32_e64 v1, 0, 1, vcc
	v_cndmask_b32_e64 v1, v1, v2, s[0:1]
	v_and_b32_e32 v1, 1, v1
	global_store_byte v0, v1, s[20:21]
	s_or_b64 exec, exec, s[2:3]
	v_cmp_gt_i32_e32 vcc, s57, v19
	s_and_saveexec_b64 s[2:3], vcc
	s_cbranch_execnz .LBB322_204
.LBB322_219:
	s_or_b64 exec, exec, s[2:3]
	v_cmp_gt_i32_e32 vcc, s57, v19
	s_and_saveexec_b64 s[2:3], vcc
	s_cbranch_execnz .LBB322_230
.LBB322_220:
	s_or_b64 exec, exec, s[2:3]
                                        ; implicit-def: $vgpr25
                                        ; implicit-def: $vgpr19
	s_andn2_saveexec_b64 s[0:1], s[42:43]
	s_cbranch_execnz .LBB322_8
.LBB322_221:
	s_endpgm
.LBB322_222:
	s_mov_b32 s59, 0
	v_mov_b32_e32 v0, 0
	v_mov_b32_e32 v2, 0
	;; [unrolled: 1-line block ×3, first 2 shown]
.LBB322_223:
	s_and_b32 s8, s60, 3
	s_cmp_eq_u32 s8, 0
	s_cbranch_scc1 .LBB322_226
; %bb.224:
	s_lshl_b32 s4, s59, 3
	s_add_u32 s4, s34, s4
	s_addc_u32 s5, s35, 0
	s_add_u32 s4, s4, 0xc4
	s_addc_u32 s5, s5, 0
	s_mul_i32 s6, s59, 12
	s_add_u32 s6, s34, s6
	s_addc_u32 s7, s35, 0
.LBB322_225:                            ; =>This Inner Loop Header: Depth=1
	s_load_dwordx2 s[10:11], s[6:7], 0x4
	s_load_dword s9, s[6:7], 0xc
	s_load_dwordx2 s[12:13], s[4:5], 0x0
	s_add_u32 s6, s6, 12
	s_addc_u32 s7, s7, 0
	s_waitcnt lgkmcnt(0)
	v_mul_hi_u32 v3, s11, v1
	s_add_u32 s4, s4, 8
	s_addc_u32 s5, s5, 0
	s_add_i32 s8, s8, -1
	v_add_u32_e32 v3, v1, v3
	v_lshrrev_b32_e32 v5, s9, v3
	v_mul_lo_u32 v3, v5, s10
	s_cmp_lg_u32 s8, 0
	v_sub_u32_e32 v3, v1, v3
	v_mad_u64_u32 v[0:1], s[10:11], v3, s12, v[0:1]
	v_mad_u64_u32 v[2:3], s[10:11], v3, s13, v[2:3]
	v_mov_b32_e32 v1, v5
	s_cbranch_scc1 .LBB322_225
.LBB322_226:
	s_cbranch_execnz .LBB322_229
.LBB322_227:
	v_mul_hi_u32 v0, s25, v19
	s_andn2_b64 vcc, exec, s[46:47]
	v_add_u32_e32 v0, v19, v0
	v_lshrrev_b32_e32 v1, s26, v0
	v_mul_lo_u32 v0, v1, s24
	v_sub_u32_e32 v2, v19, v0
	s_waitcnt lgkmcnt(0)
	v_mul_lo_u32 v0, v2, s28
	v_mul_lo_u32 v2, v2, s29
	s_cbranch_vccnz .LBB322_229
; %bb.228:
	v_mul_hi_u32 v3, s44, v1
	v_add_u32_e32 v3, v1, v3
	v_lshrrev_b32_e32 v3, s45, v3
	v_mul_lo_u32 v3, v3, s27
	v_sub_u32_e32 v3, v1, v3
	v_mad_u64_u32 v[0:1], s[4:5], v3, s30, v[0:1]
	v_mad_u64_u32 v[2:3], s[4:5], v3, s31, v[2:3]
.LBB322_229:
	s_waitcnt lgkmcnt(0)
	global_load_ubyte v1, v2, s[22:23]
	s_movk_i32 s4, 0xff
	v_mov_b32_e32 v2, 0x7f800001
	v_mov_b32_e32 v3, 0x400000
	v_add_u32_e32 v19, 0x80, v19
	s_waitcnt vmcnt(0)
	v_lshlrev_b32_e32 v5, 23, v1
	v_cmp_ne_u32_e32 vcc, s4, v1
	v_cndmask_b32_e32 v2, v2, v5, vcc
	v_cmp_ne_u32_e32 vcc, 0, v1
	v_cndmask_b32_e32 v1, v3, v2, vcc
	v_cmp_eq_f32_e32 vcc, v4, v1
	v_cndmask_b32_e64 v2, 0, 1, vcc
	v_cmp_neq_f32_e32 vcc, v4, v1
	v_cndmask_b32_e64 v1, 0, 1, vcc
	v_cndmask_b32_e64 v1, v1, v2, s[0:1]
	v_and_b32_e32 v1, 1, v1
	global_store_byte v0, v1, s[20:21]
	s_or_b64 exec, exec, s[2:3]
	v_cmp_gt_i32_e32 vcc, s57, v19
	s_and_saveexec_b64 s[2:3], vcc
	s_cbranch_execz .LBB322_220
.LBB322_230:
	s_andn2_b64 vcc, exec, s[40:41]
	s_cbranch_vccnz .LBB322_235
; %bb.231:
	s_andn2_b64 vcc, exec, s[50:51]
	s_cbranch_vccnz .LBB322_236
; %bb.232:
	s_add_i32 s58, s58, 1
	s_cmp_eq_u32 s56, 2
	s_cbranch_scc1 .LBB322_237
; %bb.233:
	s_and_b32 s52, s58, 28
	v_mov_b32_e32 v2, 0
	s_mov_b32 s53, 0
	s_mov_b64 s[50:51], s[34:35]
	v_mov_b32_e32 v0, 0
	v_mov_b32_e32 v1, v19
.LBB322_234:                            ; =>This Inner Loop Header: Depth=1
	s_load_dwordx8 s[12:19], s[50:51], 0x4
	s_load_dwordx4 s[36:39], s[50:51], 0x24
	s_load_dwordx8 s[4:11], s[48:49], 0x0
	s_add_u32 s50, s50, 48
	s_addc_u32 s51, s51, 0
	s_waitcnt lgkmcnt(0)
	v_mul_hi_u32 v3, s13, v1
	s_add_i32 s53, s53, 4
	s_add_u32 s48, s48, 32
	s_addc_u32 s49, s49, 0
	v_add_u32_e32 v3, v1, v3
	v_lshrrev_b32_e32 v3, s14, v3
	v_mul_lo_u32 v5, v3, s12
	v_mul_hi_u32 v6, s16, v3
	s_cmp_eq_u32 s52, s53
	v_sub_u32_e32 v1, v1, v5
	v_add_u32_e32 v5, v3, v6
	v_mul_lo_u32 v6, v1, s4
	v_mul_lo_u32 v7, v1, s5
	v_lshrrev_b32_e32 v1, s17, v5
	v_mul_lo_u32 v5, v1, s15
	v_mul_hi_u32 v8, s19, v1
	v_sub_u32_e32 v3, v3, v5
	v_add_u32_e32 v5, v1, v8
	v_lshrrev_b32_e32 v5, s36, v5
	v_mul_hi_u32 v9, s38, v5
	v_mul_lo_u32 v10, v5, s18
	v_mul_lo_u32 v8, v3, s6
	;; [unrolled: 1-line block ×3, first 2 shown]
	v_sub_u32_e32 v10, v1, v10
	v_add_u32_e32 v1, v5, v9
	v_lshrrev_b32_e32 v1, s39, v1
	v_mul_lo_u32 v9, v1, s37
	v_mul_lo_u32 v11, v10, s8
	;; [unrolled: 1-line block ×3, first 2 shown]
	v_add3_u32 v0, v6, v0, v8
	v_sub_u32_e32 v5, v5, v9
	v_mul_lo_u32 v9, v5, s10
	v_mul_lo_u32 v5, v5, s11
	v_add3_u32 v2, v7, v2, v3
	v_add3_u32 v0, v11, v0, v9
	;; [unrolled: 1-line block ×3, first 2 shown]
	s_cbranch_scc0 .LBB322_234
	s_branch .LBB322_238
.LBB322_235:
                                        ; implicit-def: $vgpr0
                                        ; implicit-def: $vgpr2
	s_branch .LBB322_242
.LBB322_236:
	v_mov_b32_e32 v0, 0
	v_mov_b32_e32 v2, 0
	s_branch .LBB322_241
.LBB322_237:
	s_mov_b32 s52, 0
	v_mov_b32_e32 v0, 0
	v_mov_b32_e32 v2, 0
	;; [unrolled: 1-line block ×3, first 2 shown]
.LBB322_238:
	s_and_b32 s8, s58, 3
	s_cmp_eq_u32 s8, 0
	s_cbranch_scc1 .LBB322_241
; %bb.239:
	s_lshl_b32 s4, s52, 3
	s_add_u32 s4, s34, s4
	s_addc_u32 s5, s35, 0
	s_add_u32 s4, s4, 0xc4
	s_addc_u32 s5, s5, 0
	s_mul_i32 s6, s52, 12
	s_add_u32 s6, s34, s6
	s_addc_u32 s7, s35, 0
.LBB322_240:                            ; =>This Inner Loop Header: Depth=1
	s_load_dwordx2 s[10:11], s[6:7], 0x4
	s_load_dword s9, s[6:7], 0xc
	s_load_dwordx2 s[12:13], s[4:5], 0x0
	s_add_u32 s6, s6, 12
	s_addc_u32 s7, s7, 0
	s_waitcnt lgkmcnt(0)
	v_mul_hi_u32 v3, s11, v1
	s_add_u32 s4, s4, 8
	s_addc_u32 s5, s5, 0
	s_add_i32 s8, s8, -1
	v_add_u32_e32 v3, v1, v3
	v_lshrrev_b32_e32 v5, s9, v3
	v_mul_lo_u32 v3, v5, s10
	s_cmp_lg_u32 s8, 0
	v_sub_u32_e32 v3, v1, v3
	v_mad_u64_u32 v[0:1], s[10:11], v3, s12, v[0:1]
	v_mad_u64_u32 v[2:3], s[10:11], v3, s13, v[2:3]
	v_mov_b32_e32 v1, v5
	s_cbranch_scc1 .LBB322_240
.LBB322_241:
	s_cbranch_execnz .LBB322_244
.LBB322_242:
	v_mul_hi_u32 v0, s25, v19
	s_andn2_b64 vcc, exec, s[46:47]
	v_add_u32_e32 v0, v19, v0
	v_lshrrev_b32_e32 v1, s26, v0
	v_mul_lo_u32 v0, v1, s24
	v_sub_u32_e32 v2, v19, v0
	s_waitcnt lgkmcnt(0)
	v_mul_lo_u32 v0, v2, s28
	v_mul_lo_u32 v2, v2, s29
	s_cbranch_vccnz .LBB322_244
; %bb.243:
	v_mul_hi_u32 v3, s44, v1
	v_add_u32_e32 v3, v1, v3
	v_lshrrev_b32_e32 v3, s45, v3
	v_mul_lo_u32 v3, v3, s27
	v_sub_u32_e32 v3, v1, v3
	v_mad_u64_u32 v[0:1], s[4:5], v3, s30, v[0:1]
	v_mad_u64_u32 v[2:3], s[4:5], v3, s31, v[2:3]
.LBB322_244:
	s_waitcnt lgkmcnt(0)
	global_load_ubyte v1, v2, s[22:23]
	s_movk_i32 s4, 0xff
	v_mov_b32_e32 v2, 0x7f800001
	v_mov_b32_e32 v3, 0x400000
	s_waitcnt vmcnt(0)
	v_lshlrev_b32_e32 v5, 23, v1
	v_cmp_ne_u32_e32 vcc, s4, v1
	v_cndmask_b32_e32 v2, v2, v5, vcc
	v_cmp_ne_u32_e32 vcc, 0, v1
	v_cndmask_b32_e32 v1, v3, v2, vcc
	v_cmp_eq_f32_e32 vcc, v4, v1
	v_cndmask_b32_e64 v2, 0, 1, vcc
	v_cmp_neq_f32_e32 vcc, v4, v1
	v_cndmask_b32_e64 v1, 0, 1, vcc
	v_cndmask_b32_e64 v1, v1, v2, s[0:1]
	v_and_b32_e32 v1, 1, v1
	global_store_byte v0, v1, s[20:21]
	s_or_b64 exec, exec, s[2:3]
                                        ; implicit-def: $vgpr25
                                        ; implicit-def: $vgpr19
	s_andn2_saveexec_b64 s[0:1], s[42:43]
	s_cbranch_execz .LBB322_221
	s_branch .LBB322_8
	.section	.rodata,"a",@progbits
	.p2align	6, 0x0
	.amdhsa_kernel _ZN2at6native32elementwise_kernel_manual_unrollILi128ELi8EZNS0_22gpu_kernel_impl_nocastINS0_13AUnaryFunctorIN3c1014Float8_e8m0fnuES5_bNS0_12_GLOBAL__N_116CompareEqFunctorIS5_EEEEEEvRNS_18TensorIteratorBaseERKT_EUlibE_EEviT1_
		.amdhsa_group_segment_fixed_size 0
		.amdhsa_private_segment_fixed_size 0
		.amdhsa_kernarg_size 360
		.amdhsa_user_sgpr_count 6
		.amdhsa_user_sgpr_private_segment_buffer 1
		.amdhsa_user_sgpr_dispatch_ptr 0
		.amdhsa_user_sgpr_queue_ptr 0
		.amdhsa_user_sgpr_kernarg_segment_ptr 1
		.amdhsa_user_sgpr_dispatch_id 0
		.amdhsa_user_sgpr_flat_scratch_init 0
		.amdhsa_user_sgpr_private_segment_size 0
		.amdhsa_uses_dynamic_stack 0
		.amdhsa_system_sgpr_private_segment_wavefront_offset 0
		.amdhsa_system_sgpr_workgroup_id_x 1
		.amdhsa_system_sgpr_workgroup_id_y 0
		.amdhsa_system_sgpr_workgroup_id_z 0
		.amdhsa_system_sgpr_workgroup_info 0
		.amdhsa_system_vgpr_workitem_id 0
		.amdhsa_next_free_vgpr 26
		.amdhsa_next_free_sgpr 62
		.amdhsa_reserve_vcc 1
		.amdhsa_reserve_flat_scratch 0
		.amdhsa_float_round_mode_32 0
		.amdhsa_float_round_mode_16_64 0
		.amdhsa_float_denorm_mode_32 3
		.amdhsa_float_denorm_mode_16_64 3
		.amdhsa_dx10_clamp 1
		.amdhsa_ieee_mode 1
		.amdhsa_fp16_overflow 0
		.amdhsa_exception_fp_ieee_invalid_op 0
		.amdhsa_exception_fp_denorm_src 0
		.amdhsa_exception_fp_ieee_div_zero 0
		.amdhsa_exception_fp_ieee_overflow 0
		.amdhsa_exception_fp_ieee_underflow 0
		.amdhsa_exception_fp_ieee_inexact 0
		.amdhsa_exception_int_div_zero 0
	.end_amdhsa_kernel
	.section	.text._ZN2at6native32elementwise_kernel_manual_unrollILi128ELi8EZNS0_22gpu_kernel_impl_nocastINS0_13AUnaryFunctorIN3c1014Float8_e8m0fnuES5_bNS0_12_GLOBAL__N_116CompareEqFunctorIS5_EEEEEEvRNS_18TensorIteratorBaseERKT_EUlibE_EEviT1_,"axG",@progbits,_ZN2at6native32elementwise_kernel_manual_unrollILi128ELi8EZNS0_22gpu_kernel_impl_nocastINS0_13AUnaryFunctorIN3c1014Float8_e8m0fnuES5_bNS0_12_GLOBAL__N_116CompareEqFunctorIS5_EEEEEEvRNS_18TensorIteratorBaseERKT_EUlibE_EEviT1_,comdat
.Lfunc_end322:
	.size	_ZN2at6native32elementwise_kernel_manual_unrollILi128ELi8EZNS0_22gpu_kernel_impl_nocastINS0_13AUnaryFunctorIN3c1014Float8_e8m0fnuES5_bNS0_12_GLOBAL__N_116CompareEqFunctorIS5_EEEEEEvRNS_18TensorIteratorBaseERKT_EUlibE_EEviT1_, .Lfunc_end322-_ZN2at6native32elementwise_kernel_manual_unrollILi128ELi8EZNS0_22gpu_kernel_impl_nocastINS0_13AUnaryFunctorIN3c1014Float8_e8m0fnuES5_bNS0_12_GLOBAL__N_116CompareEqFunctorIS5_EEEEEEvRNS_18TensorIteratorBaseERKT_EUlibE_EEviT1_
                                        ; -- End function
	.set _ZN2at6native32elementwise_kernel_manual_unrollILi128ELi8EZNS0_22gpu_kernel_impl_nocastINS0_13AUnaryFunctorIN3c1014Float8_e8m0fnuES5_bNS0_12_GLOBAL__N_116CompareEqFunctorIS5_EEEEEEvRNS_18TensorIteratorBaseERKT_EUlibE_EEviT1_.num_vgpr, 26
	.set _ZN2at6native32elementwise_kernel_manual_unrollILi128ELi8EZNS0_22gpu_kernel_impl_nocastINS0_13AUnaryFunctorIN3c1014Float8_e8m0fnuES5_bNS0_12_GLOBAL__N_116CompareEqFunctorIS5_EEEEEEvRNS_18TensorIteratorBaseERKT_EUlibE_EEviT1_.num_agpr, 0
	.set _ZN2at6native32elementwise_kernel_manual_unrollILi128ELi8EZNS0_22gpu_kernel_impl_nocastINS0_13AUnaryFunctorIN3c1014Float8_e8m0fnuES5_bNS0_12_GLOBAL__N_116CompareEqFunctorIS5_EEEEEEvRNS_18TensorIteratorBaseERKT_EUlibE_EEviT1_.numbered_sgpr, 62
	.set _ZN2at6native32elementwise_kernel_manual_unrollILi128ELi8EZNS0_22gpu_kernel_impl_nocastINS0_13AUnaryFunctorIN3c1014Float8_e8m0fnuES5_bNS0_12_GLOBAL__N_116CompareEqFunctorIS5_EEEEEEvRNS_18TensorIteratorBaseERKT_EUlibE_EEviT1_.num_named_barrier, 0
	.set _ZN2at6native32elementwise_kernel_manual_unrollILi128ELi8EZNS0_22gpu_kernel_impl_nocastINS0_13AUnaryFunctorIN3c1014Float8_e8m0fnuES5_bNS0_12_GLOBAL__N_116CompareEqFunctorIS5_EEEEEEvRNS_18TensorIteratorBaseERKT_EUlibE_EEviT1_.private_seg_size, 0
	.set _ZN2at6native32elementwise_kernel_manual_unrollILi128ELi8EZNS0_22gpu_kernel_impl_nocastINS0_13AUnaryFunctorIN3c1014Float8_e8m0fnuES5_bNS0_12_GLOBAL__N_116CompareEqFunctorIS5_EEEEEEvRNS_18TensorIteratorBaseERKT_EUlibE_EEviT1_.uses_vcc, 1
	.set _ZN2at6native32elementwise_kernel_manual_unrollILi128ELi8EZNS0_22gpu_kernel_impl_nocastINS0_13AUnaryFunctorIN3c1014Float8_e8m0fnuES5_bNS0_12_GLOBAL__N_116CompareEqFunctorIS5_EEEEEEvRNS_18TensorIteratorBaseERKT_EUlibE_EEviT1_.uses_flat_scratch, 0
	.set _ZN2at6native32elementwise_kernel_manual_unrollILi128ELi8EZNS0_22gpu_kernel_impl_nocastINS0_13AUnaryFunctorIN3c1014Float8_e8m0fnuES5_bNS0_12_GLOBAL__N_116CompareEqFunctorIS5_EEEEEEvRNS_18TensorIteratorBaseERKT_EUlibE_EEviT1_.has_dyn_sized_stack, 0
	.set _ZN2at6native32elementwise_kernel_manual_unrollILi128ELi8EZNS0_22gpu_kernel_impl_nocastINS0_13AUnaryFunctorIN3c1014Float8_e8m0fnuES5_bNS0_12_GLOBAL__N_116CompareEqFunctorIS5_EEEEEEvRNS_18TensorIteratorBaseERKT_EUlibE_EEviT1_.has_recursion, 0
	.set _ZN2at6native32elementwise_kernel_manual_unrollILi128ELi8EZNS0_22gpu_kernel_impl_nocastINS0_13AUnaryFunctorIN3c1014Float8_e8m0fnuES5_bNS0_12_GLOBAL__N_116CompareEqFunctorIS5_EEEEEEvRNS_18TensorIteratorBaseERKT_EUlibE_EEviT1_.has_indirect_call, 0
	.section	.AMDGPU.csdata,"",@progbits
; Kernel info:
; codeLenInByte = 12520
; TotalNumSgprs: 66
; NumVgprs: 26
; ScratchSize: 0
; MemoryBound: 0
; FloatMode: 240
; IeeeMode: 1
; LDSByteSize: 0 bytes/workgroup (compile time only)
; SGPRBlocks: 8
; VGPRBlocks: 6
; NumSGPRsForWavesPerEU: 66
; NumVGPRsForWavesPerEU: 26
; Occupancy: 9
; WaveLimiterHint : 1
; COMPUTE_PGM_RSRC2:SCRATCH_EN: 0
; COMPUTE_PGM_RSRC2:USER_SGPR: 6
; COMPUTE_PGM_RSRC2:TRAP_HANDLER: 0
; COMPUTE_PGM_RSRC2:TGID_X_EN: 1
; COMPUTE_PGM_RSRC2:TGID_Y_EN: 0
; COMPUTE_PGM_RSRC2:TGID_Z_EN: 0
; COMPUTE_PGM_RSRC2:TIDIG_COMP_CNT: 0
	.section	.text._ZN2at6native32elementwise_kernel_manual_unrollILi128ELi4EZNS0_15gpu_kernel_implINS0_13AUnaryFunctorIN3c1014Float8_e8m0fnuES5_bNS0_12_GLOBAL__N_116CompareEqFunctorIS5_EEEEEEvRNS_18TensorIteratorBaseERKT_EUlibE_EEviT1_,"axG",@progbits,_ZN2at6native32elementwise_kernel_manual_unrollILi128ELi4EZNS0_15gpu_kernel_implINS0_13AUnaryFunctorIN3c1014Float8_e8m0fnuES5_bNS0_12_GLOBAL__N_116CompareEqFunctorIS5_EEEEEEvRNS_18TensorIteratorBaseERKT_EUlibE_EEviT1_,comdat
	.globl	_ZN2at6native32elementwise_kernel_manual_unrollILi128ELi4EZNS0_15gpu_kernel_implINS0_13AUnaryFunctorIN3c1014Float8_e8m0fnuES5_bNS0_12_GLOBAL__N_116CompareEqFunctorIS5_EEEEEEvRNS_18TensorIteratorBaseERKT_EUlibE_EEviT1_ ; -- Begin function _ZN2at6native32elementwise_kernel_manual_unrollILi128ELi4EZNS0_15gpu_kernel_implINS0_13AUnaryFunctorIN3c1014Float8_e8m0fnuES5_bNS0_12_GLOBAL__N_116CompareEqFunctorIS5_EEEEEEvRNS_18TensorIteratorBaseERKT_EUlibE_EEviT1_
	.p2align	8
	.type	_ZN2at6native32elementwise_kernel_manual_unrollILi128ELi4EZNS0_15gpu_kernel_implINS0_13AUnaryFunctorIN3c1014Float8_e8m0fnuES5_bNS0_12_GLOBAL__N_116CompareEqFunctorIS5_EEEEEEvRNS_18TensorIteratorBaseERKT_EUlibE_EEviT1_,@function
_ZN2at6native32elementwise_kernel_manual_unrollILi128ELi4EZNS0_15gpu_kernel_implINS0_13AUnaryFunctorIN3c1014Float8_e8m0fnuES5_bNS0_12_GLOBAL__N_116CompareEqFunctorIS5_EEEEEEvRNS_18TensorIteratorBaseERKT_EUlibE_EEviT1_: ; @_ZN2at6native32elementwise_kernel_manual_unrollILi128ELi4EZNS0_15gpu_kernel_implINS0_13AUnaryFunctorIN3c1014Float8_e8m0fnuES5_bNS0_12_GLOBAL__N_116CompareEqFunctorIS5_EEEEEEvRNS_18TensorIteratorBaseERKT_EUlibE_EEviT1_
; %bb.0:
	s_load_dwordx2 s[16:17], s[4:5], 0x24
	s_load_dword s33, s[4:5], 0x0
	s_load_dwordx8 s[8:15], s[4:5], 0x8
	v_lshl_or_b32 v2, s6, 9, v0
	v_or_b32_e32 v0, 0x180, v2
	s_waitcnt lgkmcnt(0)
	s_bfe_u32 s15, s17, 0x80008
	v_cmp_le_i32_e32 vcc, s33, v0
	s_mov_b64 s[6:7], 0
	s_mov_b64 s[20:21], 0
	s_and_saveexec_b64 s[0:1], vcc
	s_xor_b64 s[18:19], exec, s[0:1]
	s_cbranch_execz .LBB323_1196
; %bb.1:
	s_and_b32 s2, s16, 0xff
	s_cmp_eq_u32 s14, 0
	s_cselect_b64 s[0:1], -1, 0
	s_lshl_b32 s3, s2, 23
	s_cmpk_lg_i32 s2, 0xff
	v_mov_b32_e32 v0, 0x7f800001
	v_mov_b32_e32 v1, s3
	s_cselect_b64 vcc, -1, 0
	s_cmp_lg_u32 s2, 0
	v_cndmask_b32_e32 v0, v0, v1, vcc
	v_mov_b32_e32 v1, 0x400000
	s_cselect_b64 vcc, -1, 0
	v_cndmask_b32_e32 v3, v1, v0, vcc
	v_cmp_gt_i32_e32 vcc, s33, v2
	s_mov_b64 s[2:3], -1
	s_mov_b64 s[28:29], 0
	s_mov_b64 s[22:23], 0
	s_and_saveexec_b64 s[24:25], vcc
	s_cbranch_execz .LBB323_294
; %bb.2:
	v_mul_lo_u32 v0, v2, s13
	v_mov_b32_e32 v1, s11
	s_and_b32 s26, 0xffff, s15
	s_cmp_lt_i32 s26, 11
	v_ashrrev_i32_e32 v4, 31, v0
	v_add_co_u32_e32 v0, vcc, s10, v0
	v_addc_co_u32_e32 v1, vcc, v1, v4, vcc
	s_cbranch_scc1 .LBB323_11
; %bb.3:
	s_cmp_gt_i32 s26, 25
	s_cbranch_scc0 .LBB323_20
; %bb.4:
	s_cmp_gt_i32 s26, 28
	s_cbranch_scc0 .LBB323_24
	;; [unrolled: 3-line block ×4, first 2 shown]
; %bb.7:
	s_cmp_eq_u32 s26, 46
	s_mov_b64 s[4:5], 0
	s_cbranch_scc0 .LBB323_30
; %bb.8:
	global_load_dword v5, v[0:1], off
	s_movk_i32 s2, 0xff
	v_mov_b32_e32 v4, 0xff
	s_waitcnt vmcnt(0)
	v_lshlrev_b32_e32 v6, 16, v5
	v_bfe_u32 v7, v6, 23, 8
	v_cmp_ne_u32_e32 vcc, s2, v7
	s_and_saveexec_b64 s[20:21], vcc
; %bb.9:
	v_bfe_u32 v4, v5, 7, 9
	v_and_b32_e32 v5, 64, v5
	s_mov_b32 s2, 0x3f0000
	v_cmp_ne_u32_e32 vcc, 0, v5
	v_and_or_b32 v5, v6, s2, v7
	v_cmp_ne_u32_e64 s[2:3], 0, v5
	s_and_b64 s[2:3], vcc, s[2:3]
	v_cndmask_b32_e64 v5, 0, 1, s[2:3]
	v_add_u32_e32 v4, v4, v5
; %bb.10:
	s_or_b64 exec, exec, s[20:21]
	s_mov_b64 s[2:3], -1
	s_branch .LBB323_32
.LBB323_11:
                                        ; implicit-def: $vgpr4
	s_mov_b64 s[2:3], 0
	s_cbranch_execnz .LBB323_223
.LBB323_12:
	s_andn2_b64 vcc, exec, s[2:3]
	s_cbranch_vccnz .LBB323_292
.LBB323_13:
	s_movk_i32 s2, 0xff
	v_mov_b32_e32 v0, 23
	s_waitcnt vmcnt(0)
	v_lshlrev_b32_sdwa v0, v0, v4 dst_sel:DWORD dst_unused:UNUSED_PAD src0_sel:DWORD src1_sel:BYTE_0
	v_mov_b32_e32 v1, 0x7f800001
	v_cmp_ne_u16_sdwa vcc, v4, s2 src0_sel:BYTE_0 src1_sel:DWORD
	v_cndmask_b32_e32 v0, v1, v0, vcc
	v_mov_b32_e32 v1, 0
	v_mov_b32_e32 v5, 0x400000
	v_cmp_ne_u16_sdwa vcc, v4, v1 src0_sel:BYTE_0 src1_sel:DWORD
	v_cndmask_b32_e32 v0, v5, v0, vcc
	v_cmp_eq_f32_e32 vcc, v3, v0
	v_cndmask_b32_e64 v1, 0, 1, vcc
	v_cmp_neq_f32_e32 vcc, v3, v0
	v_mul_lo_u32 v4, v2, s12
	v_cndmask_b32_e64 v0, 0, 1, vcc
	v_cndmask_b32_e64 v0, v0, v1, s[0:1]
	v_and_b32_e32 v0, 1, v0
	v_cmp_eq_u32_e64 s[2:3], 1, v0
	v_ashrrev_i32_e32 v1, 31, v4
	v_mov_b32_e32 v5, s9
	s_and_b32 s34, s17, 0xff
	v_add_co_u32_e32 v0, vcc, s8, v4
	s_cmp_lt_i32 s34, 11
	v_addc_co_u32_e32 v1, vcc, v5, v1, vcc
	s_cbranch_scc1 .LBB323_21
; %bb.14:
	s_and_b32 s35, 0xffff, s34
	s_cmp_gt_i32 s35, 25
	s_cbranch_scc0 .LBB323_25
; %bb.15:
	s_cmp_gt_i32 s35, 28
	s_cbranch_scc0 .LBB323_27
; %bb.16:
	;; [unrolled: 3-line block ×4, first 2 shown]
	s_mov_b64 s[26:27], 0
	s_mov_b64 s[4:5], -1
	s_cmp_eq_u32 s35, 46
	s_mov_b64 s[20:21], 0
	s_cbranch_scc0 .LBB323_36
; %bb.19:
	v_cndmask_b32_e64 v4, 0, 1.0, s[2:3]
	v_bfe_u32 v5, v4, 16, 1
	s_movk_i32 s4, 0x7fff
	v_add3_u32 v4, v4, v5, s4
	v_lshrrev_b32_e32 v4, 16, v4
	global_store_dword v[0:1], v4, off
	s_mov_b64 s[20:21], -1
	s_mov_b64 s[4:5], 0
	s_branch .LBB323_36
.LBB323_20:
	s_mov_b64 s[2:3], 0
                                        ; implicit-def: $vgpr4
	s_cbranch_execnz .LBB323_178
	s_branch .LBB323_222
.LBB323_21:
	s_mov_b64 s[4:5], 0
	s_mov_b64 s[20:21], 0
	s_cbranch_execnz .LBB323_105
.LBB323_22:
	s_andn2_b64 vcc, exec, s[20:21]
	s_cbranch_vccnz .LBB323_143
.LBB323_23:
	v_add_u32_e32 v2, 0x80, v2
	s_mov_b64 s[2:3], -1
	s_branch .LBB323_293
.LBB323_24:
	s_mov_b64 s[4:5], -1
	s_mov_b64 s[2:3], 0
                                        ; implicit-def: $vgpr4
	s_branch .LBB323_153
.LBB323_25:
	s_mov_b64 s[26:27], -1
	s_mov_b64 s[4:5], 0
	s_mov_b64 s[20:21], 0
	s_branch .LBB323_63
.LBB323_26:
	s_mov_b64 s[4:5], -1
	s_mov_b64 s[2:3], 0
                                        ; implicit-def: $vgpr4
	s_branch .LBB323_146
.LBB323_27:
	s_mov_b64 s[26:27], -1
	s_mov_b64 s[4:5], 0
	s_mov_b64 s[20:21], 0
	s_branch .LBB323_46
.LBB323_28:
	s_mov_b64 s[4:5], -1
	s_branch .LBB323_31
.LBB323_29:
	s_mov_b64 s[26:27], -1
	s_mov_b64 s[4:5], 0
	s_mov_b64 s[20:21], 0
	s_branch .LBB323_42
.LBB323_30:
	s_mov_b64 s[22:23], -1
.LBB323_31:
	s_mov_b64 s[2:3], 0
                                        ; implicit-def: $vgpr4
.LBB323_32:
	s_and_b64 vcc, exec, s[4:5]
	s_cbranch_vccz .LBB323_145
; %bb.33:
	s_cmp_eq_u32 s26, 44
	s_cbranch_scc0 .LBB323_144
; %bb.34:
	global_load_ubyte v4, v[0:1], off
	s_mov_b64 s[2:3], -1
	s_mov_b64 s[22:23], 0
	s_branch .LBB323_145
.LBB323_35:
	s_mov_b64 s[26:27], -1
	s_mov_b64 s[4:5], 0
	s_mov_b64 s[20:21], 0
.LBB323_36:
	s_and_b64 vcc, exec, s[26:27]
	s_cbranch_vccz .LBB323_41
; %bb.37:
	s_cmp_eq_u32 s35, 44
	s_mov_b64 s[4:5], -1
	s_cbranch_scc0 .LBB323_41
; %bb.38:
	v_cndmask_b32_e64 v5, 0, 1.0, s[2:3]
	v_lshrrev_b32_e32 v4, 23, v5
	s_movk_i32 s4, 0xff
	v_cmp_ne_u32_e32 vcc, s4, v4
	v_mov_b32_e32 v6, 0xff
	s_and_saveexec_b64 s[20:21], vcc
; %bb.39:
	s_mov_b32 s4, 0x3fffff
	v_and_b32_e32 v6, 0x400000, v5
	v_and_or_b32 v5, v5, s4, v4
	v_cmp_ne_u32_e32 vcc, 0, v6
	v_cmp_ne_u32_e64 s[4:5], 0, v5
	s_and_b64 s[4:5], vcc, s[4:5]
	v_cndmask_b32_e64 v5, 0, 1, s[4:5]
	v_add_u32_e32 v6, v4, v5
; %bb.40:
	s_or_b64 exec, exec, s[20:21]
	s_mov_b64 s[20:21], -1
	s_mov_b64 s[4:5], 0
	global_store_byte v[0:1], v6, off
.LBB323_41:
	s_mov_b64 s[26:27], 0
.LBB323_42:
	s_and_b64 vcc, exec, s[26:27]
	s_cbranch_vccz .LBB323_45
; %bb.43:
	s_cmp_eq_u32 s35, 29
	s_mov_b64 s[4:5], -1
	s_cbranch_scc0 .LBB323_45
; %bb.44:
	s_mov_b32 s4, 0
	v_cndmask_b32_e64 v4, 0, 1, s[2:3]
	v_mov_b32_e32 v5, s4
	global_store_dwordx2 v[0:1], v[4:5], off
	s_mov_b64 s[20:21], -1
	s_mov_b64 s[4:5], 0
.LBB323_45:
	s_mov_b64 s[26:27], 0
.LBB323_46:
	s_and_b64 vcc, exec, s[26:27]
	s_cbranch_vccz .LBB323_62
; %bb.47:
	s_cmp_lt_i32 s35, 27
	s_mov_b64 s[20:21], -1
	s_cbranch_scc1 .LBB323_53
; %bb.48:
	s_cmp_gt_i32 s35, 27
	s_cbranch_scc0 .LBB323_50
; %bb.49:
	v_cndmask_b32_e64 v4, 0, 1, s[2:3]
	s_mov_b64 s[20:21], 0
	global_store_dword v[0:1], v4, off
.LBB323_50:
	s_andn2_b64 vcc, exec, s[20:21]
	s_cbranch_vccnz .LBB323_52
; %bb.51:
	v_cndmask_b32_e64 v4, 0, 1, s[2:3]
	global_store_short v[0:1], v4, off
.LBB323_52:
	s_mov_b64 s[20:21], 0
.LBB323_53:
	s_andn2_b64 vcc, exec, s[20:21]
	s_cbranch_vccnz .LBB323_61
; %bb.54:
	v_cndmask_b32_e64 v5, 0, 1.0, s[2:3]
	s_mov_b32 s20, 0x43800000
	v_cmp_gt_u32_e32 vcc, s20, v5
	v_mov_b32_e32 v6, 0x80
	s_and_saveexec_b64 s[20:21], vcc
	s_cbranch_execz .LBB323_60
; %bb.55:
	s_mov_b32 s26, 0x3bffffff
	v_cmp_lt_u32_e32 vcc, s26, v5
	s_mov_b64 s[26:27], 0
                                        ; implicit-def: $vgpr4
	s_and_saveexec_b64 s[30:31], vcc
	s_xor_b64 s[30:31], exec, s[30:31]
	s_cbranch_execz .LBB323_325
; %bb.56:
	v_bfe_u32 v4, v5, 20, 1
	s_mov_b32 s36, 0x487ffff
	v_add3_u32 v4, v5, v4, s36
	s_mov_b64 s[26:27], exec
	v_lshrrev_b32_e32 v4, 20, v4
                                        ; implicit-def: $vgpr5
	s_andn2_saveexec_b64 s[30:31], s[30:31]
	s_cbranch_execnz .LBB323_326
.LBB323_57:
	s_or_b64 exec, exec, s[30:31]
	v_mov_b32_e32 v6, 0
	s_and_saveexec_b64 s[30:31], s[26:27]
.LBB323_58:
	v_mov_b32_e32 v6, v4
.LBB323_59:
	s_or_b64 exec, exec, s[30:31]
.LBB323_60:
	s_or_b64 exec, exec, s[20:21]
	global_store_byte v[0:1], v6, off
.LBB323_61:
	s_mov_b64 s[20:21], -1
.LBB323_62:
	s_mov_b64 s[26:27], 0
.LBB323_63:
	s_and_b64 vcc, exec, s[26:27]
	s_cbranch_vccz .LBB323_104
; %bb.64:
	s_cmp_gt_i32 s35, 22
	s_mov_b64 s[26:27], -1
	s_cbranch_scc0 .LBB323_96
; %bb.65:
	s_cmp_lt_i32 s35, 24
	s_mov_b64 s[20:21], -1
	s_cbranch_scc1 .LBB323_85
; %bb.66:
	s_cmp_gt_i32 s35, 24
	s_cbranch_scc0 .LBB323_74
; %bb.67:
	v_cndmask_b32_e64 v5, 0, 1.0, s[2:3]
	s_mov_b32 s20, 0x47800000
	v_cmp_gt_u32_e32 vcc, s20, v5
	v_mov_b32_e32 v6, 0x80
	s_and_saveexec_b64 s[20:21], vcc
	s_cbranch_execz .LBB323_73
; %bb.68:
	s_mov_b32 s26, 0x37ffffff
	v_cmp_lt_u32_e32 vcc, s26, v5
	s_mov_b64 s[26:27], 0
                                        ; implicit-def: $vgpr4
	s_and_saveexec_b64 s[30:31], vcc
	s_xor_b64 s[30:31], exec, s[30:31]
	s_cbranch_execz .LBB323_329
; %bb.69:
	v_bfe_u32 v4, v5, 21, 1
	s_mov_b32 s36, 0x88fffff
	v_add3_u32 v4, v5, v4, s36
	s_mov_b64 s[26:27], exec
	v_lshrrev_b32_e32 v4, 21, v4
                                        ; implicit-def: $vgpr5
	s_andn2_saveexec_b64 s[30:31], s[30:31]
	s_cbranch_execnz .LBB323_330
.LBB323_70:
	s_or_b64 exec, exec, s[30:31]
	v_mov_b32_e32 v6, 0
	s_and_saveexec_b64 s[30:31], s[26:27]
.LBB323_71:
	v_mov_b32_e32 v6, v4
.LBB323_72:
	s_or_b64 exec, exec, s[30:31]
.LBB323_73:
	s_or_b64 exec, exec, s[20:21]
	s_mov_b64 s[20:21], 0
	global_store_byte v[0:1], v6, off
.LBB323_74:
	s_and_b64 vcc, exec, s[20:21]
	s_cbranch_vccz .LBB323_84
; %bb.75:
	v_cndmask_b32_e64 v4, 0, 1.0, s[2:3]
	s_mov_b32 s20, 0x43f00000
	v_cmp_gt_u32_e32 vcc, s20, v4
                                        ; implicit-def: $vgpr5
	s_and_saveexec_b64 s[20:21], vcc
	s_xor_b64 s[20:21], exec, s[20:21]
	s_cbranch_execz .LBB323_81
; %bb.76:
	s_mov_b32 s26, 0x3c7fffff
	v_cmp_lt_u32_e32 vcc, s26, v4
                                        ; implicit-def: $vgpr5
	s_and_saveexec_b64 s[26:27], vcc
	s_xor_b64 s[26:27], exec, s[26:27]
; %bb.77:
	v_bfe_u32 v5, v4, 20, 1
	s_mov_b32 s30, 0x407ffff
	v_add3_u32 v4, v4, v5, s30
	v_lshrrev_b32_e32 v5, 20, v4
	v_and_b32_e32 v4, 0xff00000, v4
	s_mov_b32 s30, 0x7f00000
	v_mov_b32_e32 v6, 0x7e
	v_cmp_ne_u32_e32 vcc, s30, v4
	v_cndmask_b32_e32 v5, v6, v5, vcc
                                        ; implicit-def: $vgpr4
; %bb.78:
	s_andn2_saveexec_b64 s[26:27], s[26:27]
; %bb.79:
	v_add_f32_e32 v5, 0x46800000, v4
; %bb.80:
	s_or_b64 exec, exec, s[26:27]
                                        ; implicit-def: $vgpr4
.LBB323_81:
	s_andn2_saveexec_b64 s[20:21], s[20:21]
; %bb.82:
	s_mov_b32 s26, 0x7f800000
	v_mov_b32_e32 v5, 0x7e
	v_mov_b32_e32 v6, 0x7f
	v_cmp_lt_u32_e32 vcc, s26, v4
	v_cndmask_b32_e32 v5, v5, v6, vcc
; %bb.83:
	s_or_b64 exec, exec, s[20:21]
	global_store_byte v[0:1], v5, off
.LBB323_84:
	s_mov_b64 s[20:21], 0
.LBB323_85:
	s_andn2_b64 vcc, exec, s[20:21]
	s_cbranch_vccnz .LBB323_95
; %bb.86:
	v_cndmask_b32_e64 v4, 0, 1.0, s[2:3]
	s_mov_b32 s20, 0x47800000
	v_cmp_gt_u32_e32 vcc, s20, v4
                                        ; implicit-def: $vgpr5
	s_and_saveexec_b64 s[20:21], vcc
	s_xor_b64 s[20:21], exec, s[20:21]
	s_cbranch_execz .LBB323_92
; %bb.87:
	s_mov_b32 s26, 0x387fffff
	v_cmp_lt_u32_e32 vcc, s26, v4
                                        ; implicit-def: $vgpr5
	s_and_saveexec_b64 s[26:27], vcc
	s_xor_b64 s[26:27], exec, s[26:27]
; %bb.88:
	v_bfe_u32 v5, v4, 21, 1
	s_mov_b32 s30, 0x80fffff
	v_add3_u32 v4, v4, v5, s30
	v_lshrrev_b32_e32 v5, 21, v4
                                        ; implicit-def: $vgpr4
; %bb.89:
	s_andn2_saveexec_b64 s[26:27], s[26:27]
; %bb.90:
	v_add_f32_e32 v5, 0x43000000, v4
; %bb.91:
	s_or_b64 exec, exec, s[26:27]
                                        ; implicit-def: $vgpr4
.LBB323_92:
	s_andn2_saveexec_b64 s[20:21], s[20:21]
; %bb.93:
	s_mov_b32 s26, 0x7f800000
	v_mov_b32_e32 v5, 0x7c
	v_mov_b32_e32 v6, 0x7f
	v_cmp_lt_u32_e32 vcc, s26, v4
	v_cndmask_b32_e32 v5, v5, v6, vcc
; %bb.94:
	s_or_b64 exec, exec, s[20:21]
	global_store_byte v[0:1], v5, off
.LBB323_95:
	s_mov_b64 s[26:27], 0
	s_mov_b64 s[20:21], -1
.LBB323_96:
	s_andn2_b64 vcc, exec, s[26:27]
	s_cbranch_vccnz .LBB323_104
; %bb.97:
	s_cmp_gt_i32 s35, 14
	s_mov_b64 s[26:27], -1
	s_cbranch_scc0 .LBB323_101
; %bb.98:
	s_cmp_eq_u32 s35, 15
	s_mov_b64 s[4:5], -1
	s_cbranch_scc0 .LBB323_100
; %bb.99:
	v_cndmask_b32_e64 v4, 0, 1.0, s[2:3]
	v_bfe_u32 v5, v4, 16, 1
	s_movk_i32 s4, 0x7fff
	v_add3_u32 v4, v4, v5, s4
	global_store_short_d16_hi v[0:1], v4, off
	s_mov_b64 s[20:21], -1
	s_mov_b64 s[4:5], 0
.LBB323_100:
	s_mov_b64 s[26:27], 0
.LBB323_101:
	s_and_b64 vcc, exec, s[26:27]
	s_cbranch_vccz .LBB323_104
; %bb.102:
	s_cmp_eq_u32 s35, 11
	s_mov_b64 s[4:5], -1
	s_cbranch_scc0 .LBB323_104
; %bb.103:
	v_cndmask_b32_e64 v4, 0, 1, s[2:3]
	s_mov_b64 s[20:21], -1
	s_mov_b64 s[4:5], 0
	global_store_byte v[0:1], v4, off
.LBB323_104:
	s_branch .LBB323_22
.LBB323_105:
	s_and_b32 s26, 0xffff, s34
	s_cmp_lt_i32 s26, 5
	s_mov_b64 s[20:21], -1
	s_cbranch_scc1 .LBB323_126
; %bb.106:
	s_cmp_lt_i32 s26, 8
	s_cbranch_scc1 .LBB323_116
; %bb.107:
	s_cmp_lt_i32 s26, 9
	s_cbranch_scc1 .LBB323_113
; %bb.108:
	s_cmp_gt_i32 s26, 9
	s_cbranch_scc0 .LBB323_110
; %bb.109:
	v_cndmask_b32_e64 v4, 0, 1, s[2:3]
	v_cvt_f64_u32_e32 v[4:5], v4
	v_mov_b32_e32 v6, 0
	v_mov_b32_e32 v7, v6
	s_mov_b64 s[20:21], 0
	global_store_dwordx4 v[0:1], v[4:7], off
.LBB323_110:
	s_andn2_b64 vcc, exec, s[20:21]
	s_cbranch_vccnz .LBB323_112
; %bb.111:
	v_cndmask_b32_e64 v4, 0, 1.0, s[2:3]
	v_mov_b32_e32 v5, 0
	global_store_dwordx2 v[0:1], v[4:5], off
.LBB323_112:
	s_mov_b64 s[20:21], 0
.LBB323_113:
	s_andn2_b64 vcc, exec, s[20:21]
	s_cbranch_vccnz .LBB323_115
; %bb.114:
	v_cndmask_b32_e64 v4, 0, 1.0, s[2:3]
	v_cvt_f16_f32_e32 v4, v4
	global_store_dword v[0:1], v4, off
.LBB323_115:
	s_mov_b64 s[20:21], 0
.LBB323_116:
	s_andn2_b64 vcc, exec, s[20:21]
	s_cbranch_vccnz .LBB323_125
; %bb.117:
	s_cmp_lt_i32 s26, 6
	s_mov_b64 s[20:21], -1
	s_cbranch_scc1 .LBB323_123
; %bb.118:
	s_cmp_gt_i32 s26, 6
	s_cbranch_scc0 .LBB323_120
; %bb.119:
	v_cndmask_b32_e64 v4, 0, 1, s[2:3]
	v_cvt_f64_u32_e32 v[4:5], v4
	s_mov_b64 s[20:21], 0
	global_store_dwordx2 v[0:1], v[4:5], off
.LBB323_120:
	s_andn2_b64 vcc, exec, s[20:21]
	s_cbranch_vccnz .LBB323_122
; %bb.121:
	v_cndmask_b32_e64 v4, 0, 1.0, s[2:3]
	global_store_dword v[0:1], v4, off
.LBB323_122:
	s_mov_b64 s[20:21], 0
.LBB323_123:
	s_andn2_b64 vcc, exec, s[20:21]
	s_cbranch_vccnz .LBB323_125
; %bb.124:
	v_cndmask_b32_e64 v4, 0, 1.0, s[2:3]
	v_cvt_f16_f32_e32 v4, v4
	global_store_short v[0:1], v4, off
.LBB323_125:
	s_mov_b64 s[20:21], 0
.LBB323_126:
	s_andn2_b64 vcc, exec, s[20:21]
	s_cbranch_vccnz .LBB323_142
; %bb.127:
	s_cmp_lt_i32 s26, 2
	s_mov_b64 s[20:21], -1
	s_cbranch_scc1 .LBB323_137
; %bb.128:
	s_cmp_lt_i32 s26, 3
	s_cbranch_scc1 .LBB323_134
; %bb.129:
	s_cmp_gt_i32 s26, 3
	s_cbranch_scc0 .LBB323_131
; %bb.130:
	s_mov_b32 s20, 0
	v_cndmask_b32_e64 v4, 0, 1, s[2:3]
	v_mov_b32_e32 v5, s20
	global_store_dwordx2 v[0:1], v[4:5], off
	s_mov_b64 s[20:21], 0
.LBB323_131:
	s_andn2_b64 vcc, exec, s[20:21]
	s_cbranch_vccnz .LBB323_133
; %bb.132:
	v_cndmask_b32_e64 v4, 0, 1, s[2:3]
	global_store_dword v[0:1], v4, off
.LBB323_133:
	s_mov_b64 s[20:21], 0
.LBB323_134:
	s_andn2_b64 vcc, exec, s[20:21]
	s_cbranch_vccnz .LBB323_136
; %bb.135:
	v_cndmask_b32_e64 v4, 0, 1, s[2:3]
	global_store_short v[0:1], v4, off
.LBB323_136:
	s_mov_b64 s[20:21], 0
.LBB323_137:
	s_andn2_b64 vcc, exec, s[20:21]
	s_cbranch_vccnz .LBB323_142
; %bb.138:
	s_mov_b64 s[20:21], -1
	s_cmp_gt_i32 s26, 0
	v_cndmask_b32_e64 v4, 0, 1, s[2:3]
	s_cbranch_scc0 .LBB323_140
; %bb.139:
	global_store_byte v[0:1], v4, off
	s_mov_b64 s[20:21], 0
.LBB323_140:
	s_andn2_b64 vcc, exec, s[20:21]
	s_cbranch_vccnz .LBB323_142
; %bb.141:
	global_store_byte v[0:1], v4, off
.LBB323_142:
	s_branch .LBB323_23
.LBB323_143:
	s_mov_b64 s[2:3], 0
                                        ; implicit-def: $vgpr2
	s_branch .LBB323_293
.LBB323_144:
	s_mov_b64 s[22:23], -1
                                        ; implicit-def: $vgpr4
.LBB323_145:
	s_mov_b64 s[4:5], 0
.LBB323_146:
	s_and_b64 vcc, exec, s[4:5]
	s_cbranch_vccz .LBB323_152
; %bb.147:
	s_cmp_eq_u32 s26, 29
	s_cbranch_scc0 .LBB323_151
; %bb.148:
	global_load_dwordx2 v[4:5], v[0:1], off
	s_movk_i32 s2, 0xff
	s_waitcnt vmcnt(0)
	v_ffbh_u32_e32 v6, v5
	v_min_u32_e32 v6, 32, v6
	v_lshlrev_b64 v[4:5], v6, v[4:5]
	v_min_u32_e32 v4, 1, v4
	v_or_b32_e32 v4, v5, v4
	v_cvt_f32_u32_e32 v4, v4
	v_sub_u32_e32 v5, 32, v6
	v_ldexp_f32 v6, v4, v5
	v_lshrrev_b32_e32 v5, 23, v6
	v_cmp_ne_u32_e32 vcc, s2, v5
	v_mov_b32_e32 v4, 0xff
	s_and_saveexec_b64 s[4:5], vcc
; %bb.149:
	v_and_b32_e32 v4, 0x400000, v6
	s_mov_b32 s2, 0x3fffff
	v_cmp_ne_u32_e32 vcc, 0, v4
	v_and_or_b32 v4, v6, s2, v5
	v_cmp_ne_u32_e64 s[2:3], 0, v4
	s_and_b64 s[2:3], vcc, s[2:3]
	v_cndmask_b32_e64 v4, 0, 1, s[2:3]
	v_add_u32_e32 v4, v5, v4
; %bb.150:
	s_or_b64 exec, exec, s[4:5]
	s_mov_b64 s[2:3], -1
	s_mov_b64 s[22:23], 0
	s_branch .LBB323_152
.LBB323_151:
	s_mov_b64 s[22:23], -1
                                        ; implicit-def: $vgpr4
.LBB323_152:
	s_mov_b64 s[4:5], 0
.LBB323_153:
	s_and_b64 vcc, exec, s[4:5]
	s_cbranch_vccz .LBB323_177
; %bb.154:
	s_cmp_lt_i32 s26, 27
	s_cbranch_scc1 .LBB323_159
; %bb.155:
	s_cmp_gt_i32 s26, 27
	s_cbranch_scc0 .LBB323_160
; %bb.156:
	global_load_dword v4, v[0:1], off
	s_movk_i32 s2, 0xff
	s_waitcnt vmcnt(0)
	v_cvt_f32_u32_e32 v6, v4
	v_mov_b32_e32 v4, 0xff
	v_lshrrev_b32_e32 v5, 23, v6
	v_cmp_ne_u32_e32 vcc, s2, v5
	s_and_saveexec_b64 s[4:5], vcc
; %bb.157:
	v_and_b32_e32 v4, 0x400000, v6
	s_mov_b32 s2, 0x3fffff
	v_cmp_ne_u32_e32 vcc, 0, v4
	v_and_or_b32 v4, v6, s2, v5
	v_cmp_ne_u32_e64 s[2:3], 0, v4
	s_and_b64 s[2:3], vcc, s[2:3]
	v_cndmask_b32_e64 v4, 0, 1, s[2:3]
	v_add_u32_e32 v4, v5, v4
; %bb.158:
	s_or_b64 exec, exec, s[4:5]
	s_mov_b64 s[2:3], 0
	s_branch .LBB323_161
.LBB323_159:
	s_mov_b64 s[2:3], -1
                                        ; implicit-def: $vgpr4
	s_branch .LBB323_166
.LBB323_160:
	s_mov_b64 s[2:3], -1
                                        ; implicit-def: $vgpr4
.LBB323_161:
	s_andn2_b64 vcc, exec, s[2:3]
	s_cbranch_vccnz .LBB323_165
; %bb.162:
	global_load_ushort v4, v[0:1], off
	s_movk_i32 s2, 0xff
	s_waitcnt vmcnt(0)
	v_cvt_f32_u32_e32 v6, v4
	v_mov_b32_e32 v4, 0xff
	v_lshrrev_b32_e32 v5, 23, v6
	v_cmp_ne_u32_e32 vcc, s2, v5
	s_and_saveexec_b64 s[4:5], vcc
; %bb.163:
	v_and_b32_e32 v4, 0x400000, v6
	s_mov_b32 s2, 0x3fffff
	v_cmp_ne_u32_e32 vcc, 0, v4
	v_and_or_b32 v4, v6, s2, v5
	v_cmp_ne_u32_e64 s[2:3], 0, v4
	s_and_b64 s[2:3], vcc, s[2:3]
	v_cndmask_b32_e64 v4, 0, 1, s[2:3]
	v_add_u32_e32 v4, v5, v4
; %bb.164:
	s_or_b64 exec, exec, s[4:5]
.LBB323_165:
	s_mov_b64 s[2:3], 0
.LBB323_166:
	s_andn2_b64 vcc, exec, s[2:3]
	s_cbranch_vccnz .LBB323_176
; %bb.167:
	global_load_ubyte v4, v[0:1], off
	s_movk_i32 s2, 0x7f
	s_waitcnt vmcnt(0)
	v_cmp_lt_i16_e32 vcc, s2, v4
	s_mov_b64 s[2:3], 0
	s_and_saveexec_b64 s[4:5], vcc
	s_xor_b64 s[4:5], exec, s[4:5]
	s_cbranch_execz .LBB323_191
; %bb.168:
	s_movk_i32 s2, 0x80
	v_cmp_eq_u16_e32 vcc, s2, v4
	s_mov_b64 s[2:3], -1
	s_and_saveexec_b64 s[20:21], vcc
; %bb.169:
	s_xor_b64 s[2:3], exec, -1
; %bb.170:
	s_or_b64 exec, exec, s[20:21]
	s_and_b64 s[2:3], s[2:3], exec
	s_or_saveexec_b64 s[4:5], s[4:5]
	v_mov_b32_e32 v5, 0x7f800001
	s_xor_b64 exec, exec, s[4:5]
	s_cbranch_execnz .LBB323_192
.LBB323_171:
	s_or_b64 exec, exec, s[4:5]
	s_and_saveexec_b64 s[4:5], s[2:3]
	s_cbranch_execz .LBB323_173
.LBB323_172:
	v_and_b32_e32 v4, 0xffff, v4
	v_and_b32_e32 v5, 7, v4
	v_ffbh_u32_e32 v7, v5
	v_min_u32_e32 v7, 32, v7
	v_subrev_u32_e32 v8, 28, v7
	v_bfe_u32 v6, v4, 3, 4
	v_lshlrev_b32_e32 v4, v8, v4
	v_and_b32_e32 v4, 7, v4
	v_cmp_eq_u32_e32 vcc, 0, v6
	v_sub_u32_e32 v7, 29, v7
	v_cndmask_b32_e32 v4, v5, v4, vcc
	v_cndmask_b32_e32 v6, v6, v7, vcc
	v_lshlrev_b32_e32 v4, 20, v4
	v_lshl_or_b32 v4, v6, 23, v4
	v_add_u32_e32 v5, 0x3b800000, v4
.LBB323_173:
	s_or_b64 exec, exec, s[4:5]
	v_lshrrev_b32_e32 v6, 23, v5
	s_movk_i32 s2, 0xff
	v_cmp_ne_u32_e32 vcc, s2, v6
	v_mov_b32_e32 v4, 0xff
	s_and_saveexec_b64 s[4:5], vcc
; %bb.174:
	v_and_b32_e32 v4, 0x400000, v5
	s_mov_b32 s2, 0x3fffff
	v_cmp_ne_u32_e32 vcc, 0, v4
	v_and_or_b32 v4, v5, s2, v6
	v_cmp_ne_u32_e64 s[2:3], 0, v4
	s_and_b64 s[2:3], vcc, s[2:3]
	v_cndmask_b32_e64 v4, 0, 1, s[2:3]
	v_add_u32_e32 v4, v6, v4
; %bb.175:
	s_or_b64 exec, exec, s[4:5]
.LBB323_176:
	s_mov_b64 s[2:3], -1
.LBB323_177:
	s_branch .LBB323_222
.LBB323_178:
	s_cmp_gt_i32 s26, 22
	s_cbranch_scc0 .LBB323_190
; %bb.179:
	s_cmp_lt_i32 s26, 24
	s_cbranch_scc1 .LBB323_193
; %bb.180:
	s_cmp_gt_i32 s26, 24
	s_cbranch_scc0 .LBB323_194
; %bb.181:
	global_load_ubyte v4, v[0:1], off
	s_movk_i32 s2, 0x7f
	s_waitcnt vmcnt(0)
	v_cmp_lt_i16_e32 vcc, s2, v4
	s_mov_b64 s[2:3], 0
	s_and_saveexec_b64 s[4:5], vcc
	s_xor_b64 s[4:5], exec, s[4:5]
	s_cbranch_execz .LBB323_212
; %bb.182:
	s_movk_i32 s2, 0x80
	v_cmp_eq_u16_e32 vcc, s2, v4
	s_mov_b64 s[2:3], -1
	s_and_saveexec_b64 s[20:21], vcc
; %bb.183:
	s_xor_b64 s[2:3], exec, -1
; %bb.184:
	s_or_b64 exec, exec, s[20:21]
	s_and_b64 s[2:3], s[2:3], exec
	s_or_saveexec_b64 s[4:5], s[4:5]
	v_mov_b32_e32 v5, 0x7f800001
	s_xor_b64 exec, exec, s[4:5]
	s_cbranch_execnz .LBB323_213
.LBB323_185:
	s_or_b64 exec, exec, s[4:5]
	s_and_saveexec_b64 s[4:5], s[2:3]
	s_cbranch_execz .LBB323_187
.LBB323_186:
	v_and_b32_e32 v4, 0xffff, v4
	v_and_b32_e32 v5, 3, v4
	v_ffbh_u32_e32 v7, v5
	v_min_u32_e32 v7, 32, v7
	v_subrev_u32_e32 v8, 29, v7
	v_bfe_u32 v6, v4, 2, 5
	v_lshlrev_b32_e32 v4, v8, v4
	v_and_b32_e32 v4, 3, v4
	v_cmp_eq_u32_e32 vcc, 0, v6
	v_sub_u32_e32 v7, 30, v7
	v_cndmask_b32_e32 v4, v5, v4, vcc
	v_cndmask_b32_e32 v6, v6, v7, vcc
	v_lshlrev_b32_e32 v4, 21, v4
	v_lshl_or_b32 v4, v6, 23, v4
	v_add_u32_e32 v5, 0x37800000, v4
.LBB323_187:
	s_or_b64 exec, exec, s[4:5]
	v_lshrrev_b32_e32 v6, 23, v5
	s_movk_i32 s2, 0xff
	v_cmp_ne_u32_e32 vcc, s2, v6
	v_mov_b32_e32 v4, 0xff
	s_and_saveexec_b64 s[4:5], vcc
; %bb.188:
	v_and_b32_e32 v4, 0x400000, v5
	s_mov_b32 s2, 0x3fffff
	v_cmp_ne_u32_e32 vcc, 0, v4
	v_and_or_b32 v4, v5, s2, v6
	v_cmp_ne_u32_e64 s[2:3], 0, v4
	s_and_b64 s[2:3], vcc, s[2:3]
	v_cndmask_b32_e64 v4, 0, 1, s[2:3]
	v_add_u32_e32 v4, v6, v4
; %bb.189:
	s_or_b64 exec, exec, s[4:5]
	s_mov_b64 s[2:3], 0
	s_branch .LBB323_195
.LBB323_190:
	s_mov_b64 s[4:5], -1
                                        ; implicit-def: $vgpr4
	s_branch .LBB323_205
.LBB323_191:
	s_or_saveexec_b64 s[4:5], s[4:5]
	v_mov_b32_e32 v5, 0x7f800001
	s_xor_b64 exec, exec, s[4:5]
	s_cbranch_execz .LBB323_171
.LBB323_192:
	v_cmp_ne_u16_e32 vcc, 0, v4
	s_andn2_b64 s[2:3], s[2:3], exec
	s_and_b64 s[20:21], vcc, exec
	v_and_b32_e32 v5, 0xffff, v4
	s_or_b64 s[2:3], s[2:3], s[20:21]
	s_or_b64 exec, exec, s[4:5]
	s_and_saveexec_b64 s[4:5], s[2:3]
	s_cbranch_execnz .LBB323_172
	s_branch .LBB323_173
.LBB323_193:
	s_mov_b64 s[2:3], -1
                                        ; implicit-def: $vgpr4
	s_branch .LBB323_200
.LBB323_194:
	s_mov_b64 s[2:3], -1
                                        ; implicit-def: $vgpr4
.LBB323_195:
	s_and_b64 vcc, exec, s[2:3]
	s_cbranch_vccz .LBB323_199
; %bb.196:
	global_load_ubyte v4, v[0:1], off
	s_mov_b32 s2, 0x7f800000
	s_movk_i32 s3, 0xff
	s_waitcnt vmcnt(0)
	v_lshlrev_b32_e32 v4, 24, v4
	v_and_b32_e32 v4, 0x7f000000, v4
	v_ffbh_u32_e32 v5, v4
	v_min_u32_e32 v5, 32, v5
	v_sub_u32_e64 v5, v5, 4 clamp
	v_lshlrev_b32_e32 v7, v5, v4
	v_lshlrev_b32_e32 v5, 23, v5
	v_lshrrev_b32_e32 v7, 4, v7
	v_add_u32_e32 v6, 0x1000000, v4
	v_sub_u32_e32 v5, v7, v5
	v_ashrrev_i32_e32 v6, 8, v6
	v_add_u32_e32 v5, 0x3c000000, v5
	v_and_or_b32 v5, v6, s2, v5
	v_cmp_ne_u32_e32 vcc, 0, v4
	v_cndmask_b32_e32 v6, 0, v5, vcc
	v_lshrrev_b32_e32 v5, 23, v6
	v_cmp_ne_u32_e32 vcc, s3, v5
	v_mov_b32_e32 v4, 0xff
	s_and_saveexec_b64 s[4:5], vcc
; %bb.197:
	v_and_b32_e32 v4, 0x400000, v6
	s_mov_b32 s2, 0x3fffff
	v_cmp_ne_u32_e32 vcc, 0, v4
	v_and_or_b32 v4, v6, s2, v5
	v_cmp_ne_u32_e64 s[2:3], 0, v4
	s_and_b64 s[2:3], vcc, s[2:3]
	v_cndmask_b32_e64 v4, 0, 1, s[2:3]
	v_add_u32_e32 v4, v5, v4
; %bb.198:
	s_or_b64 exec, exec, s[4:5]
.LBB323_199:
	s_mov_b64 s[2:3], 0
.LBB323_200:
	s_andn2_b64 vcc, exec, s[2:3]
	s_cbranch_vccnz .LBB323_204
; %bb.201:
	global_load_ubyte v4, v[0:1], off
	s_movk_i32 s2, 0x7f00
	s_brev_b32 s3, 16
	s_movk_i32 s4, 0xff
	s_waitcnt vmcnt(0)
	v_lshlrev_b32_e32 v5, 8, v4
	v_lshlrev_b32_e32 v4, 25, v4
	v_lshrrev_b32_e32 v6, 4, v4
	v_and_or_b32 v5, v5, s2, 0.5
	v_or_b32_e32 v6, 0x70000000, v6
	v_add_f32_e32 v5, -0.5, v5
	v_mul_f32_e32 v6, 0x7800000, v6
	v_cmp_gt_u32_e32 vcc, s3, v4
	v_cndmask_b32_e32 v5, v6, v5, vcc
	v_bfe_u32 v6, v5, 23, 8
	v_cmp_ne_u32_e32 vcc, s4, v6
	v_mov_b32_e32 v4, 0xff
	s_and_saveexec_b64 s[4:5], vcc
; %bb.202:
	s_mov_b32 s2, 0x3fffff
	v_lshrrev_b32_e32 v4, 23, v5
	v_and_b32_e32 v7, 0x400000, v5
	v_and_or_b32 v5, v5, s2, v6
	v_cmp_ne_u32_e32 vcc, 0, v7
	v_cmp_ne_u32_e64 s[2:3], 0, v5
	s_and_b64 s[2:3], vcc, s[2:3]
	v_cndmask_b32_e64 v5, 0, 1, s[2:3]
	v_add_u32_e32 v4, v4, v5
; %bb.203:
	s_or_b64 exec, exec, s[4:5]
.LBB323_204:
	s_mov_b64 s[4:5], 0
	s_mov_b64 s[2:3], -1
.LBB323_205:
	s_andn2_b64 vcc, exec, s[4:5]
	s_cbranch_vccnz .LBB323_222
; %bb.206:
	s_cmp_gt_i32 s26, 14
	s_cbranch_scc0 .LBB323_211
; %bb.207:
	s_cmp_eq_u32 s26, 15
	s_cbranch_scc0 .LBB323_214
; %bb.208:
	global_load_ushort v5, v[0:1], off
	s_movk_i32 s2, 0xff
	s_waitcnt vmcnt(1)
	v_mov_b32_e32 v4, 0xff
	s_waitcnt vmcnt(0)
	v_bfe_u32 v6, v5, 7, 8
	v_cmp_ne_u32_e32 vcc, s2, v6
	s_and_saveexec_b64 s[4:5], vcc
	s_cbranch_execz .LBB323_210
; %bb.209:
	v_lshrrev_b32_e32 v4, 7, v5
	v_lshlrev_b32_e32 v7, 16, v5
	v_and_b32_e32 v5, 64, v5
	s_mov_b32 s2, 0x3f0000
	v_cmp_ne_u32_e32 vcc, 0, v5
	v_and_or_b32 v5, v7, s2, v6
	v_cmp_ne_u32_e64 s[2:3], 0, v5
	s_and_b64 s[2:3], vcc, s[2:3]
	v_cndmask_b32_e64 v5, 0, 1, s[2:3]
	v_add_u32_e32 v4, v4, v5
.LBB323_210:
	s_or_b64 exec, exec, s[4:5]
	s_mov_b64 s[2:3], -1
	s_mov_b64 s[22:23], 0
	s_branch .LBB323_215
.LBB323_211:
	s_mov_b64 s[4:5], -1
                                        ; implicit-def: $vgpr4
	s_branch .LBB323_216
.LBB323_212:
	s_or_saveexec_b64 s[4:5], s[4:5]
	v_mov_b32_e32 v5, 0x7f800001
	s_xor_b64 exec, exec, s[4:5]
	s_cbranch_execz .LBB323_185
.LBB323_213:
	v_cmp_ne_u16_e32 vcc, 0, v4
	s_andn2_b64 s[2:3], s[2:3], exec
	s_and_b64 s[20:21], vcc, exec
	v_and_b32_e32 v5, 0xffff, v4
	s_or_b64 s[2:3], s[2:3], s[20:21]
	s_or_b64 exec, exec, s[4:5]
	s_and_saveexec_b64 s[4:5], s[2:3]
	s_cbranch_execnz .LBB323_186
	s_branch .LBB323_187
.LBB323_214:
	s_mov_b64 s[22:23], -1
                                        ; implicit-def: $vgpr4
.LBB323_215:
	s_mov_b64 s[4:5], 0
.LBB323_216:
	s_and_b64 vcc, exec, s[4:5]
	s_cbranch_vccz .LBB323_222
; %bb.217:
	s_cmp_eq_u32 s26, 11
	s_cbranch_scc0 .LBB323_221
; %bb.218:
	global_load_ubyte v4, v[0:1], off
	s_movk_i32 s2, 0xff
	s_waitcnt vmcnt(0)
	v_cmp_ne_u16_e32 vcc, 0, v4
	v_cndmask_b32_e64 v6, 0, 1.0, vcc
	v_lshrrev_b32_e32 v5, 23, v6
	v_cmp_ne_u32_e32 vcc, s2, v5
	v_mov_b32_e32 v4, 0xff
	s_and_saveexec_b64 s[4:5], vcc
; %bb.219:
	v_and_b32_e32 v4, 0x400000, v6
	s_mov_b32 s2, 0x3fffff
	v_cmp_ne_u32_e32 vcc, 0, v4
	v_and_or_b32 v4, v6, s2, v5
	v_cmp_ne_u32_e64 s[2:3], 0, v4
	s_and_b64 s[2:3], vcc, s[2:3]
	v_cndmask_b32_e64 v4, 0, 1, s[2:3]
	v_add_u32_e32 v4, v5, v4
; %bb.220:
	s_or_b64 exec, exec, s[4:5]
	s_mov_b64 s[2:3], -1
	s_mov_b64 s[22:23], 0
	s_branch .LBB323_222
.LBB323_221:
	s_mov_b64 s[22:23], -1
                                        ; implicit-def: $vgpr4
.LBB323_222:
	s_branch .LBB323_12
.LBB323_223:
	s_cmp_lt_i32 s26, 5
	s_cbranch_scc1 .LBB323_230
; %bb.224:
	s_cmp_lt_i32 s26, 8
	s_cbranch_scc1 .LBB323_231
; %bb.225:
	;; [unrolled: 3-line block ×3, first 2 shown]
	s_cmp_gt_i32 s26, 9
	s_cbranch_scc0 .LBB323_233
; %bb.227:
	global_load_dwordx2 v[4:5], v[0:1], off
	s_movk_i32 s2, 0xff
	s_waitcnt vmcnt(0)
	v_cvt_f32_f64_e32 v5, v[4:5]
	v_mov_b32_e32 v4, 0xff
	v_bfe_u32 v6, v5, 23, 8
	v_cmp_ne_u32_e32 vcc, s2, v6
	s_and_saveexec_b64 s[4:5], vcc
; %bb.228:
	s_mov_b32 s2, 0x3fffff
	v_lshrrev_b32_e32 v4, 23, v5
	v_and_b32_e32 v7, 0x400000, v5
	v_and_or_b32 v5, v5, s2, v6
	v_cmp_ne_u32_e32 vcc, 0, v7
	v_cmp_ne_u32_e64 s[2:3], 0, v5
	s_and_b64 s[2:3], vcc, s[2:3]
	v_cndmask_b32_e64 v5, 0, 1, s[2:3]
	v_add_u32_e32 v4, v4, v5
; %bb.229:
	s_or_b64 exec, exec, s[4:5]
	s_mov_b64 s[2:3], 0
	s_branch .LBB323_234
.LBB323_230:
                                        ; implicit-def: $vgpr4
	s_branch .LBB323_262
.LBB323_231:
	s_mov_b64 s[2:3], -1
                                        ; implicit-def: $vgpr4
	s_branch .LBB323_244
.LBB323_232:
	s_mov_b64 s[2:3], -1
                                        ; implicit-def: $vgpr4
	s_branch .LBB323_239
.LBB323_233:
	s_mov_b64 s[2:3], -1
                                        ; implicit-def: $vgpr4
.LBB323_234:
	s_andn2_b64 vcc, exec, s[2:3]
	s_cbranch_vccnz .LBB323_238
; %bb.235:
	global_load_dword v5, v[0:1], off
	s_movk_i32 s2, 0xff
	s_waitcnt vmcnt(1)
	v_mov_b32_e32 v4, 0xff
	s_waitcnt vmcnt(0)
	v_bfe_u32 v6, v5, 23, 8
	v_cmp_ne_u32_e32 vcc, s2, v6
	s_and_saveexec_b64 s[4:5], vcc
; %bb.236:
	s_mov_b32 s2, 0x3fffff
	v_lshrrev_b32_e32 v4, 23, v5
	v_and_b32_e32 v7, 0x400000, v5
	v_and_or_b32 v5, v5, s2, v6
	v_cmp_ne_u32_e32 vcc, 0, v7
	v_cmp_ne_u32_e64 s[2:3], 0, v5
	s_and_b64 s[2:3], vcc, s[2:3]
	v_cndmask_b32_e64 v5, 0, 1, s[2:3]
	v_add_u32_e32 v4, v4, v5
; %bb.237:
	s_or_b64 exec, exec, s[4:5]
.LBB323_238:
	s_mov_b64 s[2:3], 0
.LBB323_239:
	s_andn2_b64 vcc, exec, s[2:3]
	s_cbranch_vccnz .LBB323_243
; %bb.240:
	global_load_dword v4, v[0:1], off
	s_movk_i32 s2, 0xff
	s_waitcnt vmcnt(0)
	v_cvt_f32_f16_e32 v5, v4
	v_mov_b32_e32 v4, 0xff
	v_bfe_u32 v6, v5, 23, 8
	v_cmp_ne_u32_e32 vcc, s2, v6
	s_and_saveexec_b64 s[4:5], vcc
; %bb.241:
	s_mov_b32 s2, 0x3fffff
	v_lshrrev_b32_e32 v4, 23, v5
	v_and_b32_e32 v7, 0x400000, v5
	v_and_or_b32 v5, v5, s2, v6
	v_cmp_ne_u32_e32 vcc, 0, v7
	v_cmp_ne_u32_e64 s[2:3], 0, v5
	s_and_b64 s[2:3], vcc, s[2:3]
	v_cndmask_b32_e64 v5, 0, 1, s[2:3]
	v_add_u32_e32 v4, v4, v5
; %bb.242:
	s_or_b64 exec, exec, s[4:5]
.LBB323_243:
	s_mov_b64 s[2:3], 0
.LBB323_244:
	s_andn2_b64 vcc, exec, s[2:3]
	s_cbranch_vccnz .LBB323_261
; %bb.245:
	s_cmp_lt_i32 s26, 6
	s_cbranch_scc1 .LBB323_250
; %bb.246:
	s_cmp_gt_i32 s26, 6
	s_cbranch_scc0 .LBB323_251
; %bb.247:
	global_load_dwordx2 v[4:5], v[0:1], off
	s_movk_i32 s2, 0xff
	s_waitcnt vmcnt(0)
	v_cvt_f32_f64_e32 v5, v[4:5]
	v_mov_b32_e32 v4, 0xff
	v_bfe_u32 v6, v5, 23, 8
	v_cmp_ne_u32_e32 vcc, s2, v6
	s_and_saveexec_b64 s[4:5], vcc
; %bb.248:
	s_mov_b32 s2, 0x3fffff
	v_lshrrev_b32_e32 v4, 23, v5
	v_and_b32_e32 v7, 0x400000, v5
	v_and_or_b32 v5, v5, s2, v6
	v_cmp_ne_u32_e32 vcc, 0, v7
	v_cmp_ne_u32_e64 s[2:3], 0, v5
	s_and_b64 s[2:3], vcc, s[2:3]
	v_cndmask_b32_e64 v5, 0, 1, s[2:3]
	v_add_u32_e32 v4, v4, v5
; %bb.249:
	s_or_b64 exec, exec, s[4:5]
	s_mov_b64 s[2:3], 0
	s_branch .LBB323_252
.LBB323_250:
	s_mov_b64 s[2:3], -1
                                        ; implicit-def: $vgpr4
	s_branch .LBB323_257
.LBB323_251:
	s_mov_b64 s[2:3], -1
                                        ; implicit-def: $vgpr4
.LBB323_252:
	s_andn2_b64 vcc, exec, s[2:3]
	s_cbranch_vccnz .LBB323_256
; %bb.253:
	global_load_dword v5, v[0:1], off
	s_movk_i32 s2, 0xff
	s_waitcnt vmcnt(1)
	v_mov_b32_e32 v4, 0xff
	s_waitcnt vmcnt(0)
	v_bfe_u32 v6, v5, 23, 8
	v_cmp_ne_u32_e32 vcc, s2, v6
	s_and_saveexec_b64 s[4:5], vcc
; %bb.254:
	s_mov_b32 s2, 0x3fffff
	v_lshrrev_b32_e32 v4, 23, v5
	v_and_b32_e32 v7, 0x400000, v5
	v_and_or_b32 v5, v5, s2, v6
	v_cmp_ne_u32_e32 vcc, 0, v7
	v_cmp_ne_u32_e64 s[2:3], 0, v5
	s_and_b64 s[2:3], vcc, s[2:3]
	v_cndmask_b32_e64 v5, 0, 1, s[2:3]
	v_add_u32_e32 v4, v4, v5
; %bb.255:
	s_or_b64 exec, exec, s[4:5]
.LBB323_256:
	s_mov_b64 s[2:3], 0
.LBB323_257:
	s_andn2_b64 vcc, exec, s[2:3]
	s_cbranch_vccnz .LBB323_261
; %bb.258:
	global_load_ushort v4, v[0:1], off
	s_movk_i32 s2, 0xff
	s_waitcnt vmcnt(0)
	v_cvt_f32_f16_e32 v5, v4
	v_mov_b32_e32 v4, 0xff
	v_bfe_u32 v6, v5, 23, 8
	v_cmp_ne_u32_e32 vcc, s2, v6
	s_and_saveexec_b64 s[4:5], vcc
; %bb.259:
	s_mov_b32 s2, 0x3fffff
	v_lshrrev_b32_e32 v4, 23, v5
	v_and_b32_e32 v7, 0x400000, v5
	v_and_or_b32 v5, v5, s2, v6
	v_cmp_ne_u32_e32 vcc, 0, v7
	v_cmp_ne_u32_e64 s[2:3], 0, v5
	s_and_b64 s[2:3], vcc, s[2:3]
	v_cndmask_b32_e64 v5, 0, 1, s[2:3]
	v_add_u32_e32 v4, v4, v5
; %bb.260:
	s_or_b64 exec, exec, s[4:5]
.LBB323_261:
	s_cbranch_execnz .LBB323_291
.LBB323_262:
	s_cmp_lt_i32 s26, 2
	s_cbranch_scc1 .LBB323_268
; %bb.263:
	s_cmp_lt_i32 s26, 3
	s_cbranch_scc1 .LBB323_269
; %bb.264:
	s_cmp_gt_i32 s26, 3
	s_cbranch_scc0 .LBB323_270
; %bb.265:
	global_load_dwordx2 v[4:5], v[0:1], off
	s_movk_i32 s2, 0xff
	s_waitcnt vmcnt(0)
	v_xor_b32_e32 v7, v4, v5
	v_ffbh_i32_e32 v6, v5
	v_ashrrev_i32_e32 v7, 31, v7
	v_add_u32_e32 v6, -1, v6
	v_add_u32_e32 v7, 32, v7
	v_min_u32_e32 v6, v6, v7
	v_lshlrev_b64 v[4:5], v6, v[4:5]
	v_min_u32_e32 v4, 1, v4
	v_or_b32_e32 v4, v5, v4
	v_cvt_f32_i32_e32 v4, v4
	v_sub_u32_e32 v5, 32, v6
	v_ldexp_f32 v5, v4, v5
	v_bfe_u32 v6, v5, 23, 8
	v_cmp_ne_u32_e32 vcc, s2, v6
	v_mov_b32_e32 v4, 0xff
	s_and_saveexec_b64 s[4:5], vcc
; %bb.266:
	s_mov_b32 s2, 0x3fffff
	v_lshrrev_b32_e32 v4, 23, v5
	v_and_b32_e32 v7, 0x400000, v5
	v_and_or_b32 v5, v5, s2, v6
	v_cmp_ne_u32_e32 vcc, 0, v7
	v_cmp_ne_u32_e64 s[2:3], 0, v5
	s_and_b64 s[2:3], vcc, s[2:3]
	v_cndmask_b32_e64 v5, 0, 1, s[2:3]
	v_add_u32_e32 v4, v4, v5
; %bb.267:
	s_or_b64 exec, exec, s[4:5]
	s_mov_b64 s[2:3], 0
	s_branch .LBB323_271
.LBB323_268:
	s_mov_b64 s[2:3], -1
                                        ; implicit-def: $vgpr4
	s_branch .LBB323_281
.LBB323_269:
	s_mov_b64 s[2:3], -1
                                        ; implicit-def: $vgpr4
	s_branch .LBB323_276
.LBB323_270:
	s_mov_b64 s[2:3], -1
                                        ; implicit-def: $vgpr4
.LBB323_271:
	s_andn2_b64 vcc, exec, s[2:3]
	s_cbranch_vccnz .LBB323_275
; %bb.272:
	global_load_dword v4, v[0:1], off
	s_movk_i32 s2, 0xff
	s_waitcnt vmcnt(0)
	v_cvt_f32_i32_e32 v5, v4
	v_mov_b32_e32 v4, 0xff
	v_bfe_u32 v6, v5, 23, 8
	v_cmp_ne_u32_e32 vcc, s2, v6
	s_and_saveexec_b64 s[4:5], vcc
; %bb.273:
	s_mov_b32 s2, 0x3fffff
	v_lshrrev_b32_e32 v4, 23, v5
	v_and_b32_e32 v7, 0x400000, v5
	v_and_or_b32 v5, v5, s2, v6
	v_cmp_ne_u32_e32 vcc, 0, v7
	v_cmp_ne_u32_e64 s[2:3], 0, v5
	s_and_b64 s[2:3], vcc, s[2:3]
	v_cndmask_b32_e64 v5, 0, 1, s[2:3]
	v_add_u32_e32 v4, v4, v5
; %bb.274:
	s_or_b64 exec, exec, s[4:5]
.LBB323_275:
	s_mov_b64 s[2:3], 0
.LBB323_276:
	s_andn2_b64 vcc, exec, s[2:3]
	s_cbranch_vccnz .LBB323_280
; %bb.277:
	global_load_sshort v4, v[0:1], off
	s_movk_i32 s2, 0xff
	s_waitcnt vmcnt(0)
	v_cvt_f32_i32_e32 v5, v4
	v_mov_b32_e32 v4, 0xff
	v_bfe_u32 v6, v5, 23, 8
	v_cmp_ne_u32_e32 vcc, s2, v6
	s_and_saveexec_b64 s[4:5], vcc
; %bb.278:
	s_mov_b32 s2, 0x3fffff
	v_lshrrev_b32_e32 v4, 23, v5
	v_and_b32_e32 v7, 0x400000, v5
	v_and_or_b32 v5, v5, s2, v6
	v_cmp_ne_u32_e32 vcc, 0, v7
	v_cmp_ne_u32_e64 s[2:3], 0, v5
	s_and_b64 s[2:3], vcc, s[2:3]
	v_cndmask_b32_e64 v5, 0, 1, s[2:3]
	v_add_u32_e32 v4, v4, v5
; %bb.279:
	s_or_b64 exec, exec, s[4:5]
.LBB323_280:
	s_mov_b64 s[2:3], 0
.LBB323_281:
	s_andn2_b64 vcc, exec, s[2:3]
	s_cbranch_vccnz .LBB323_291
; %bb.282:
	s_cmp_gt_i32 s26, 0
	s_cbranch_scc0 .LBB323_286
; %bb.283:
	global_load_sbyte v4, v[0:1], off
	s_movk_i32 s2, 0xff
	s_waitcnt vmcnt(0)
	v_cvt_f32_i32_e32 v5, v4
	v_mov_b32_e32 v4, 0xff
	v_bfe_u32 v6, v5, 23, 8
	v_cmp_ne_u32_e32 vcc, s2, v6
	s_and_saveexec_b64 s[4:5], vcc
; %bb.284:
	s_mov_b32 s2, 0x3fffff
	v_lshrrev_b32_e32 v4, 23, v5
	v_and_b32_e32 v7, 0x400000, v5
	v_and_or_b32 v5, v5, s2, v6
	v_cmp_ne_u32_e32 vcc, 0, v7
	v_cmp_ne_u32_e64 s[2:3], 0, v5
	s_and_b64 s[2:3], vcc, s[2:3]
	v_cndmask_b32_e64 v5, 0, 1, s[2:3]
	v_add_u32_e32 v4, v4, v5
; %bb.285:
	s_or_b64 exec, exec, s[4:5]
	s_mov_b64 s[2:3], 0
	s_branch .LBB323_287
.LBB323_286:
	s_mov_b64 s[2:3], -1
                                        ; implicit-def: $vgpr4
.LBB323_287:
	s_andn2_b64 vcc, exec, s[2:3]
	s_cbranch_vccnz .LBB323_291
; %bb.288:
	global_load_ubyte v0, v[0:1], off
	s_movk_i32 s2, 0xff
	s_waitcnt vmcnt(1)
	v_mov_b32_e32 v4, 0xff
	s_waitcnt vmcnt(0)
	v_cvt_f32_ubyte0_e32 v1, v0
	v_lshrrev_b32_e32 v0, 23, v1
	v_cmp_ne_u32_e32 vcc, s2, v0
	s_and_saveexec_b64 s[4:5], vcc
; %bb.289:
	s_mov_b32 s2, 0x3fffff
	v_and_b32_e32 v4, 0x400000, v1
	v_and_or_b32 v1, v1, s2, v0
	v_cmp_ne_u32_e32 vcc, 0, v4
	v_cmp_ne_u32_e64 s[2:3], 0, v1
	s_and_b64 s[2:3], vcc, s[2:3]
	v_cndmask_b32_e64 v1, 0, 1, s[2:3]
	v_add_u32_e32 v4, v0, v1
; %bb.290:
	s_or_b64 exec, exec, s[4:5]
.LBB323_291:
	s_branch .LBB323_13
.LBB323_292:
	s_mov_b64 s[4:5], 0
                                        ; implicit-def: $vgpr2
	s_mov_b64 s[2:3], 0
.LBB323_293:
	s_and_b64 s[20:21], s[4:5], exec
	s_and_b64 s[22:23], s[22:23], exec
	s_orn2_b64 s[2:3], s[2:3], exec
.LBB323_294:
	s_or_b64 exec, exec, s[24:25]
	s_mov_b64 s[34:35], 0
	s_mov_b64 s[30:31], 0
                                        ; implicit-def: $vgpr0_vgpr1
                                        ; implicit-def: $vgpr4
	s_and_saveexec_b64 s[24:25], s[2:3]
	s_cbranch_execz .LBB323_305
; %bb.295:
	v_cmp_gt_i32_e32 vcc, s33, v2
	s_mov_b64 s[4:5], -1
	s_mov_b64 s[26:27], s[22:23]
	s_mov_b64 s[28:29], s[20:21]
	s_and_saveexec_b64 s[30:31], vcc
	s_cbranch_execz .LBB323_599
; %bb.296:
	v_mul_lo_u32 v0, v2, s13
	v_mov_b32_e32 v1, s11
	s_and_b32 s34, 0xffff, s15
	s_cmp_lt_i32 s34, 11
	s_waitcnt vmcnt(0)
	v_ashrrev_i32_e32 v4, 31, v0
	v_add_co_u32_e32 v0, vcc, s10, v0
	v_addc_co_u32_e32 v1, vcc, v1, v4, vcc
	s_cbranch_scc1 .LBB323_310
; %bb.297:
	s_cmp_gt_i32 s34, 25
	s_cbranch_scc0 .LBB323_319
; %bb.298:
	s_cmp_gt_i32 s34, 28
	s_cbranch_scc0 .LBB323_321
	;; [unrolled: 3-line block ×4, first 2 shown]
; %bb.301:
	s_cmp_eq_u32 s34, 46
	s_mov_b64 s[4:5], 0
	s_cbranch_scc0 .LBB323_331
; %bb.302:
	global_load_dword v5, v[0:1], off
	s_movk_i32 s2, 0xff
	v_mov_b32_e32 v4, 0xff
	s_waitcnt vmcnt(0)
	v_lshlrev_b32_e32 v6, 16, v5
	v_bfe_u32 v7, v6, 23, 8
	v_cmp_ne_u32_e32 vcc, s2, v7
	s_and_saveexec_b64 s[26:27], vcc
; %bb.303:
	v_bfe_u32 v4, v5, 7, 9
	v_and_b32_e32 v5, 64, v5
	s_mov_b32 s2, 0x3f0000
	v_cmp_ne_u32_e32 vcc, 0, v5
	v_and_or_b32 v5, v6, s2, v7
	v_cmp_ne_u32_e64 s[2:3], 0, v5
	s_and_b64 s[2:3], vcc, s[2:3]
	v_cndmask_b32_e64 v5, 0, 1, s[2:3]
	v_add_u32_e32 v4, v4, v5
; %bb.304:
	s_or_b64 exec, exec, s[26:27]
	s_mov_b64 s[2:3], -1
	s_mov_b64 s[26:27], 0
	s_branch .LBB323_332
.LBB323_305:
	s_or_b64 exec, exec, s[24:25]
	s_mov_b64 s[4:5], 0
	s_and_saveexec_b64 s[2:3], s[22:23]
	s_cbranch_execnz .LBB323_1006
.LBB323_306:
	s_or_b64 exec, exec, s[2:3]
	s_and_saveexec_b64 s[2:3], s[28:29]
	s_xor_b64 s[22:23], exec, s[2:3]
	s_cbranch_execz .LBB323_1007
.LBB323_307:
	global_load_ubyte v4, v[0:1], off
	s_movk_i32 s2, 0xff
	s_waitcnt vmcnt(0)
	v_cmp_ne_u16_e32 vcc, 0, v4
	v_cndmask_b32_e64 v6, 0, 1.0, vcc
	v_lshrrev_b32_e32 v5, 23, v6
	v_cmp_ne_u32_e32 vcc, s2, v5
	v_mov_b32_e32 v4, 0xff
	s_and_saveexec_b64 s[24:25], vcc
; %bb.308:
	v_and_b32_e32 v4, 0x400000, v6
	s_mov_b32 s2, 0x3fffff
	v_cmp_ne_u32_e32 vcc, 0, v4
	v_and_or_b32 v4, v6, s2, v5
	v_cmp_ne_u32_e64 s[2:3], 0, v4
	s_and_b64 s[2:3], vcc, s[2:3]
	v_cndmask_b32_e64 v4, 0, 1, s[2:3]
	v_add_u32_e32 v4, v5, v4
; %bb.309:
	s_or_b64 exec, exec, s[24:25]
	s_or_b64 s[30:31], s[30:31], exec
	s_or_b64 exec, exec, s[22:23]
	s_and_saveexec_b64 s[22:23], s[34:35]
	s_cbranch_execz .LBB323_1075
	s_branch .LBB323_1008
.LBB323_310:
	s_mov_b64 s[2:3], 0
                                        ; implicit-def: $vgpr4
	s_mov_b64 s[26:27], s[22:23]
	s_and_b64 vcc, exec, s[4:5]
	s_cbranch_vccnz .LBB323_527
.LBB323_311:
	s_andn2_b64 vcc, exec, s[2:3]
	s_cbranch_vccnz .LBB323_597
.LBB323_312:
	s_movk_i32 s2, 0xff
	v_mov_b32_e32 v0, 23
	s_waitcnt vmcnt(0)
	v_lshlrev_b32_sdwa v0, v0, v4 dst_sel:DWORD dst_unused:UNUSED_PAD src0_sel:DWORD src1_sel:BYTE_0
	v_mov_b32_e32 v1, 0x7f800001
	v_cmp_ne_u16_sdwa vcc, v4, s2 src0_sel:BYTE_0 src1_sel:DWORD
	v_cndmask_b32_e32 v0, v1, v0, vcc
	v_mov_b32_e32 v1, 0
	v_mov_b32_e32 v5, 0x400000
	v_cmp_ne_u16_sdwa vcc, v4, v1 src0_sel:BYTE_0 src1_sel:DWORD
	v_cndmask_b32_e32 v0, v5, v0, vcc
	v_cmp_eq_f32_e32 vcc, v3, v0
	v_cndmask_b32_e64 v1, 0, 1, vcc
	v_cmp_neq_f32_e32 vcc, v3, v0
	v_mul_lo_u32 v4, v2, s12
	v_cndmask_b32_e64 v0, 0, 1, vcc
	v_cndmask_b32_e64 v0, v0, v1, s[0:1]
	v_and_b32_e32 v0, 1, v0
	v_cmp_eq_u32_e64 s[2:3], 1, v0
	v_ashrrev_i32_e32 v1, 31, v4
	v_mov_b32_e32 v5, s9
	s_and_b32 s38, s17, 0xff
	v_add_co_u32_e32 v0, vcc, s8, v4
	s_cmp_lt_i32 s38, 11
	v_addc_co_u32_e32 v1, vcc, v5, v1, vcc
	s_cbranch_scc1 .LBB323_320
; %bb.313:
	s_and_b32 s39, 0xffff, s38
	s_cmp_gt_i32 s39, 25
	s_cbranch_scc0 .LBB323_322
; %bb.314:
	s_cmp_gt_i32 s39, 28
	s_cbranch_scc0 .LBB323_324
; %bb.315:
	;; [unrolled: 3-line block ×4, first 2 shown]
	s_mov_b64 s[34:35], 0
	s_mov_b64 s[4:5], -1
	s_cmp_eq_u32 s39, 46
	s_mov_b64 s[28:29], 0
	s_cbranch_scc0 .LBB323_336
; %bb.318:
	v_cndmask_b32_e64 v4, 0, 1.0, s[2:3]
	v_bfe_u32 v5, v4, 16, 1
	s_movk_i32 s4, 0x7fff
	v_add3_u32 v4, v4, v5, s4
	v_lshrrev_b32_e32 v4, 16, v4
	global_store_dword v[0:1], v4, off
	s_mov_b64 s[28:29], -1
	s_mov_b64 s[4:5], 0
	s_branch .LBB323_336
.LBB323_319:
	s_mov_b64 s[2:3], 0
	s_mov_b64 s[26:27], s[22:23]
                                        ; implicit-def: $vgpr4
	s_branch .LBB323_481
.LBB323_320:
	s_mov_b64 s[34:35], -1
	s_mov_b64 s[28:29], 0
	s_mov_b64 s[4:5], s[20:21]
	s_branch .LBB323_405
.LBB323_321:
	s_mov_b64 s[2:3], 0
	s_mov_b64 s[26:27], s[22:23]
                                        ; implicit-def: $vgpr4
	s_branch .LBB323_456
.LBB323_322:
	s_mov_b64 s[34:35], -1
	s_mov_b64 s[28:29], 0
	s_mov_b64 s[4:5], s[20:21]
	s_branch .LBB323_363
.LBB323_323:
	s_mov_b64 s[2:3], 0
	s_mov_b64 s[26:27], s[22:23]
                                        ; implicit-def: $vgpr4
	s_branch .LBB323_449
.LBB323_324:
	s_mov_b64 s[34:35], -1
	s_mov_b64 s[28:29], 0
	s_mov_b64 s[4:5], s[20:21]
	s_branch .LBB323_346
.LBB323_325:
	s_andn2_saveexec_b64 s[30:31], s[30:31]
	s_cbranch_execz .LBB323_57
.LBB323_326:
	v_add_f32_e32 v4, 0x46000000, v5
	v_and_b32_e32 v4, 0xff, v4
	v_cmp_ne_u32_e32 vcc, 0, v4
	s_andn2_b64 s[26:27], s[26:27], exec
	s_and_b64 s[36:37], vcc, exec
	s_or_b64 s[26:27], s[26:27], s[36:37]
	s_or_b64 exec, exec, s[30:31]
	v_mov_b32_e32 v6, 0
	s_and_saveexec_b64 s[30:31], s[26:27]
	s_cbranch_execnz .LBB323_58
	s_branch .LBB323_59
.LBB323_327:
	s_mov_b64 s[2:3], 0
	s_mov_b64 s[26:27], s[22:23]
                                        ; implicit-def: $vgpr4
	s_branch .LBB323_332
.LBB323_328:
	s_mov_b64 s[34:35], -1
	s_mov_b64 s[28:29], 0
	s_mov_b64 s[4:5], s[20:21]
	s_branch .LBB323_342
.LBB323_329:
	s_andn2_saveexec_b64 s[30:31], s[30:31]
	s_cbranch_execz .LBB323_70
.LBB323_330:
	v_add_f32_e32 v4, 0x42800000, v5
	v_and_b32_e32 v4, 0xff, v4
	v_cmp_ne_u32_e32 vcc, 0, v4
	s_andn2_b64 s[26:27], s[26:27], exec
	s_and_b64 s[36:37], vcc, exec
	s_or_b64 s[26:27], s[26:27], s[36:37]
	s_or_b64 exec, exec, s[30:31]
	v_mov_b32_e32 v6, 0
	s_and_saveexec_b64 s[30:31], s[26:27]
	s_cbranch_execnz .LBB323_71
	s_branch .LBB323_72
.LBB323_331:
	s_mov_b64 s[26:27], -1
                                        ; implicit-def: $vgpr4
	s_mov_b64 s[2:3], 0
.LBB323_332:
	s_and_b64 vcc, exec, s[4:5]
	s_cbranch_vccz .LBB323_448
; %bb.333:
	s_cmp_eq_u32 s34, 44
	s_cbranch_scc0 .LBB323_447
; %bb.334:
	global_load_ubyte v4, v[0:1], off
	s_mov_b64 s[2:3], -1
	s_mov_b64 s[26:27], 0
	s_branch .LBB323_448
.LBB323_335:
	s_mov_b64 s[34:35], -1
	s_mov_b64 s[28:29], 0
	s_mov_b64 s[4:5], s[20:21]
.LBB323_336:
	s_and_b64 vcc, exec, s[34:35]
	s_cbranch_vccz .LBB323_341
; %bb.337:
	s_cmp_eq_u32 s39, 44
	s_mov_b64 s[4:5], -1
	s_cbranch_scc0 .LBB323_341
; %bb.338:
	v_cndmask_b32_e64 v5, 0, 1.0, s[2:3]
	v_lshrrev_b32_e32 v4, 23, v5
	s_movk_i32 s4, 0xff
	v_cmp_ne_u32_e32 vcc, s4, v4
	v_mov_b32_e32 v6, 0xff
	s_and_saveexec_b64 s[28:29], vcc
; %bb.339:
	s_mov_b32 s4, 0x3fffff
	v_and_b32_e32 v6, 0x400000, v5
	v_and_or_b32 v5, v5, s4, v4
	v_cmp_ne_u32_e32 vcc, 0, v6
	v_cmp_ne_u32_e64 s[4:5], 0, v5
	s_and_b64 s[4:5], vcc, s[4:5]
	v_cndmask_b32_e64 v5, 0, 1, s[4:5]
	v_add_u32_e32 v6, v4, v5
; %bb.340:
	s_or_b64 exec, exec, s[28:29]
	s_mov_b64 s[28:29], -1
	s_mov_b64 s[4:5], 0
	global_store_byte v[0:1], v6, off
.LBB323_341:
	s_mov_b64 s[34:35], 0
.LBB323_342:
	s_and_b64 vcc, exec, s[34:35]
	s_cbranch_vccz .LBB323_345
; %bb.343:
	s_cmp_eq_u32 s39, 29
	s_mov_b64 s[4:5], -1
	s_cbranch_scc0 .LBB323_345
; %bb.344:
	s_mov_b32 s4, 0
	v_cndmask_b32_e64 v4, 0, 1, s[2:3]
	v_mov_b32_e32 v5, s4
	global_store_dwordx2 v[0:1], v[4:5], off
	s_mov_b64 s[28:29], -1
	s_mov_b64 s[4:5], 0
.LBB323_345:
	s_mov_b64 s[34:35], 0
.LBB323_346:
	s_and_b64 vcc, exec, s[34:35]
	s_cbranch_vccz .LBB323_362
; %bb.347:
	s_cmp_lt_i32 s39, 27
	s_mov_b64 s[28:29], -1
	s_cbranch_scc1 .LBB323_353
; %bb.348:
	s_cmp_gt_i32 s39, 27
	s_cbranch_scc0 .LBB323_350
; %bb.349:
	v_cndmask_b32_e64 v4, 0, 1, s[2:3]
	s_mov_b64 s[28:29], 0
	global_store_dword v[0:1], v4, off
.LBB323_350:
	s_andn2_b64 vcc, exec, s[28:29]
	s_cbranch_vccnz .LBB323_352
; %bb.351:
	v_cndmask_b32_e64 v4, 0, 1, s[2:3]
	global_store_short v[0:1], v4, off
.LBB323_352:
	s_mov_b64 s[28:29], 0
.LBB323_353:
	s_andn2_b64 vcc, exec, s[28:29]
	s_cbranch_vccnz .LBB323_361
; %bb.354:
	v_cndmask_b32_e64 v5, 0, 1.0, s[2:3]
	s_mov_b32 s28, 0x43800000
	v_cmp_gt_u32_e32 vcc, s28, v5
	v_mov_b32_e32 v6, 0x80
	s_and_saveexec_b64 s[28:29], vcc
	s_cbranch_execz .LBB323_360
; %bb.355:
	s_mov_b32 s34, 0x3bffffff
	v_cmp_lt_u32_e32 vcc, s34, v5
	s_mov_b64 s[34:35], 0
                                        ; implicit-def: $vgpr4
	s_and_saveexec_b64 s[36:37], vcc
	s_xor_b64 s[36:37], exec, s[36:37]
	s_cbranch_execz .LBB323_614
; %bb.356:
	v_bfe_u32 v4, v5, 20, 1
	s_mov_b32 s40, 0x487ffff
	v_add3_u32 v4, v5, v4, s40
	s_mov_b64 s[34:35], exec
	v_lshrrev_b32_e32 v4, 20, v4
                                        ; implicit-def: $vgpr5
	s_andn2_saveexec_b64 s[36:37], s[36:37]
	s_cbranch_execnz .LBB323_615
.LBB323_357:
	s_or_b64 exec, exec, s[36:37]
	v_mov_b32_e32 v6, 0
	s_and_saveexec_b64 s[36:37], s[34:35]
.LBB323_358:
	v_mov_b32_e32 v6, v4
.LBB323_359:
	s_or_b64 exec, exec, s[36:37]
.LBB323_360:
	s_or_b64 exec, exec, s[28:29]
	global_store_byte v[0:1], v6, off
.LBB323_361:
	s_mov_b64 s[28:29], -1
.LBB323_362:
	s_mov_b64 s[34:35], 0
.LBB323_363:
	s_and_b64 vcc, exec, s[34:35]
	s_cbranch_vccz .LBB323_404
; %bb.364:
	s_cmp_gt_i32 s39, 22
	s_mov_b64 s[34:35], -1
	s_cbranch_scc0 .LBB323_396
; %bb.365:
	s_cmp_lt_i32 s39, 24
	s_mov_b64 s[28:29], -1
	s_cbranch_scc1 .LBB323_385
; %bb.366:
	s_cmp_gt_i32 s39, 24
	s_cbranch_scc0 .LBB323_374
; %bb.367:
	v_cndmask_b32_e64 v5, 0, 1.0, s[2:3]
	s_mov_b32 s28, 0x47800000
	v_cmp_gt_u32_e32 vcc, s28, v5
	v_mov_b32_e32 v6, 0x80
	s_and_saveexec_b64 s[28:29], vcc
	s_cbranch_execz .LBB323_373
; %bb.368:
	s_mov_b32 s34, 0x37ffffff
	v_cmp_lt_u32_e32 vcc, s34, v5
	s_mov_b64 s[34:35], 0
                                        ; implicit-def: $vgpr4
	s_and_saveexec_b64 s[36:37], vcc
	s_xor_b64 s[36:37], exec, s[36:37]
	s_cbranch_execz .LBB323_617
; %bb.369:
	v_bfe_u32 v4, v5, 21, 1
	s_mov_b32 s40, 0x88fffff
	v_add3_u32 v4, v5, v4, s40
	s_mov_b64 s[34:35], exec
	v_lshrrev_b32_e32 v4, 21, v4
                                        ; implicit-def: $vgpr5
	s_andn2_saveexec_b64 s[36:37], s[36:37]
	s_cbranch_execnz .LBB323_618
.LBB323_370:
	s_or_b64 exec, exec, s[36:37]
	v_mov_b32_e32 v6, 0
	s_and_saveexec_b64 s[36:37], s[34:35]
.LBB323_371:
	v_mov_b32_e32 v6, v4
.LBB323_372:
	s_or_b64 exec, exec, s[36:37]
.LBB323_373:
	s_or_b64 exec, exec, s[28:29]
	s_mov_b64 s[28:29], 0
	global_store_byte v[0:1], v6, off
.LBB323_374:
	s_and_b64 vcc, exec, s[28:29]
	s_cbranch_vccz .LBB323_384
; %bb.375:
	v_cndmask_b32_e64 v4, 0, 1.0, s[2:3]
	s_mov_b32 s28, 0x43f00000
	v_cmp_gt_u32_e32 vcc, s28, v4
                                        ; implicit-def: $vgpr5
	s_and_saveexec_b64 s[28:29], vcc
	s_xor_b64 s[28:29], exec, s[28:29]
	s_cbranch_execz .LBB323_381
; %bb.376:
	s_mov_b32 s34, 0x3c7fffff
	v_cmp_lt_u32_e32 vcc, s34, v4
                                        ; implicit-def: $vgpr5
	s_and_saveexec_b64 s[34:35], vcc
	s_xor_b64 s[34:35], exec, s[34:35]
; %bb.377:
	v_bfe_u32 v5, v4, 20, 1
	s_mov_b32 s36, 0x407ffff
	v_add3_u32 v4, v4, v5, s36
	v_lshrrev_b32_e32 v5, 20, v4
	v_and_b32_e32 v4, 0xff00000, v4
	s_mov_b32 s36, 0x7f00000
	v_mov_b32_e32 v6, 0x7e
	v_cmp_ne_u32_e32 vcc, s36, v4
	v_cndmask_b32_e32 v5, v6, v5, vcc
                                        ; implicit-def: $vgpr4
; %bb.378:
	s_andn2_saveexec_b64 s[34:35], s[34:35]
; %bb.379:
	v_add_f32_e32 v5, 0x46800000, v4
; %bb.380:
	s_or_b64 exec, exec, s[34:35]
                                        ; implicit-def: $vgpr4
.LBB323_381:
	s_andn2_saveexec_b64 s[28:29], s[28:29]
; %bb.382:
	s_mov_b32 s34, 0x7f800000
	v_mov_b32_e32 v5, 0x7e
	v_mov_b32_e32 v6, 0x7f
	v_cmp_lt_u32_e32 vcc, s34, v4
	v_cndmask_b32_e32 v5, v5, v6, vcc
; %bb.383:
	s_or_b64 exec, exec, s[28:29]
	global_store_byte v[0:1], v5, off
.LBB323_384:
	s_mov_b64 s[28:29], 0
.LBB323_385:
	s_andn2_b64 vcc, exec, s[28:29]
	s_cbranch_vccnz .LBB323_395
; %bb.386:
	v_cndmask_b32_e64 v4, 0, 1.0, s[2:3]
	s_mov_b32 s28, 0x47800000
	v_cmp_gt_u32_e32 vcc, s28, v4
                                        ; implicit-def: $vgpr5
	s_and_saveexec_b64 s[28:29], vcc
	s_xor_b64 s[28:29], exec, s[28:29]
	s_cbranch_execz .LBB323_392
; %bb.387:
	s_mov_b32 s34, 0x387fffff
	v_cmp_lt_u32_e32 vcc, s34, v4
                                        ; implicit-def: $vgpr5
	s_and_saveexec_b64 s[34:35], vcc
	s_xor_b64 s[34:35], exec, s[34:35]
; %bb.388:
	v_bfe_u32 v5, v4, 21, 1
	s_mov_b32 s36, 0x80fffff
	v_add3_u32 v4, v4, v5, s36
	v_lshrrev_b32_e32 v5, 21, v4
                                        ; implicit-def: $vgpr4
; %bb.389:
	s_andn2_saveexec_b64 s[34:35], s[34:35]
; %bb.390:
	v_add_f32_e32 v5, 0x43000000, v4
; %bb.391:
	s_or_b64 exec, exec, s[34:35]
                                        ; implicit-def: $vgpr4
.LBB323_392:
	s_andn2_saveexec_b64 s[28:29], s[28:29]
; %bb.393:
	s_mov_b32 s34, 0x7f800000
	v_mov_b32_e32 v5, 0x7c
	v_mov_b32_e32 v6, 0x7f
	v_cmp_lt_u32_e32 vcc, s34, v4
	v_cndmask_b32_e32 v5, v5, v6, vcc
; %bb.394:
	s_or_b64 exec, exec, s[28:29]
	global_store_byte v[0:1], v5, off
.LBB323_395:
	s_mov_b64 s[34:35], 0
	s_mov_b64 s[28:29], -1
.LBB323_396:
	s_andn2_b64 vcc, exec, s[34:35]
	s_cbranch_vccnz .LBB323_404
; %bb.397:
	s_cmp_gt_i32 s39, 14
	s_mov_b64 s[34:35], -1
	s_cbranch_scc0 .LBB323_401
; %bb.398:
	s_cmp_eq_u32 s39, 15
	s_mov_b64 s[4:5], -1
	s_cbranch_scc0 .LBB323_400
; %bb.399:
	v_cndmask_b32_e64 v4, 0, 1.0, s[2:3]
	v_bfe_u32 v5, v4, 16, 1
	s_movk_i32 s4, 0x7fff
	v_add3_u32 v4, v4, v5, s4
	global_store_short_d16_hi v[0:1], v4, off
	s_mov_b64 s[28:29], -1
	s_mov_b64 s[4:5], 0
.LBB323_400:
	s_mov_b64 s[34:35], 0
.LBB323_401:
	s_and_b64 vcc, exec, s[34:35]
	s_cbranch_vccz .LBB323_404
; %bb.402:
	s_cmp_eq_u32 s39, 11
	s_mov_b64 s[4:5], -1
	s_cbranch_scc0 .LBB323_404
; %bb.403:
	v_cndmask_b32_e64 v4, 0, 1, s[2:3]
	s_mov_b64 s[28:29], -1
	s_mov_b64 s[4:5], 0
	global_store_byte v[0:1], v4, off
.LBB323_404:
	s_mov_b64 s[34:35], 0
.LBB323_405:
	s_and_b64 vcc, exec, s[34:35]
	s_cbranch_vccz .LBB323_444
; %bb.406:
	s_and_b32 s34, 0xffff, s38
	s_cmp_lt_i32 s34, 5
	s_mov_b64 s[28:29], -1
	s_cbranch_scc1 .LBB323_427
; %bb.407:
	s_cmp_lt_i32 s34, 8
	s_cbranch_scc1 .LBB323_417
; %bb.408:
	s_cmp_lt_i32 s34, 9
	s_cbranch_scc1 .LBB323_414
; %bb.409:
	s_cmp_gt_i32 s34, 9
	s_cbranch_scc0 .LBB323_411
; %bb.410:
	v_cndmask_b32_e64 v4, 0, 1, s[2:3]
	v_cvt_f64_u32_e32 v[4:5], v4
	v_mov_b32_e32 v6, 0
	v_mov_b32_e32 v7, v6
	s_mov_b64 s[28:29], 0
	global_store_dwordx4 v[0:1], v[4:7], off
.LBB323_411:
	s_andn2_b64 vcc, exec, s[28:29]
	s_cbranch_vccnz .LBB323_413
; %bb.412:
	v_cndmask_b32_e64 v4, 0, 1.0, s[2:3]
	v_mov_b32_e32 v5, 0
	global_store_dwordx2 v[0:1], v[4:5], off
.LBB323_413:
	s_mov_b64 s[28:29], 0
.LBB323_414:
	s_andn2_b64 vcc, exec, s[28:29]
	s_cbranch_vccnz .LBB323_416
; %bb.415:
	v_cndmask_b32_e64 v4, 0, 1.0, s[2:3]
	v_cvt_f16_f32_e32 v4, v4
	global_store_dword v[0:1], v4, off
.LBB323_416:
	s_mov_b64 s[28:29], 0
.LBB323_417:
	s_andn2_b64 vcc, exec, s[28:29]
	s_cbranch_vccnz .LBB323_426
; %bb.418:
	s_cmp_lt_i32 s34, 6
	s_mov_b64 s[28:29], -1
	s_cbranch_scc1 .LBB323_424
; %bb.419:
	s_cmp_gt_i32 s34, 6
	s_cbranch_scc0 .LBB323_421
; %bb.420:
	v_cndmask_b32_e64 v4, 0, 1, s[2:3]
	v_cvt_f64_u32_e32 v[4:5], v4
	s_mov_b64 s[28:29], 0
	global_store_dwordx2 v[0:1], v[4:5], off
.LBB323_421:
	s_andn2_b64 vcc, exec, s[28:29]
	s_cbranch_vccnz .LBB323_423
; %bb.422:
	v_cndmask_b32_e64 v4, 0, 1.0, s[2:3]
	global_store_dword v[0:1], v4, off
.LBB323_423:
	s_mov_b64 s[28:29], 0
.LBB323_424:
	s_andn2_b64 vcc, exec, s[28:29]
	s_cbranch_vccnz .LBB323_426
; %bb.425:
	v_cndmask_b32_e64 v4, 0, 1.0, s[2:3]
	v_cvt_f16_f32_e32 v4, v4
	global_store_short v[0:1], v4, off
.LBB323_426:
	s_mov_b64 s[28:29], 0
.LBB323_427:
	s_andn2_b64 vcc, exec, s[28:29]
	s_cbranch_vccnz .LBB323_443
; %bb.428:
	s_cmp_lt_i32 s34, 2
	s_mov_b64 s[28:29], -1
	s_cbranch_scc1 .LBB323_438
; %bb.429:
	s_cmp_lt_i32 s34, 3
	s_cbranch_scc1 .LBB323_435
; %bb.430:
	s_cmp_gt_i32 s34, 3
	s_cbranch_scc0 .LBB323_432
; %bb.431:
	s_mov_b32 s28, 0
	v_cndmask_b32_e64 v4, 0, 1, s[2:3]
	v_mov_b32_e32 v5, s28
	s_mov_b64 s[28:29], 0
	global_store_dwordx2 v[0:1], v[4:5], off
.LBB323_432:
	s_andn2_b64 vcc, exec, s[28:29]
	s_cbranch_vccnz .LBB323_434
; %bb.433:
	v_cndmask_b32_e64 v4, 0, 1, s[2:3]
	global_store_dword v[0:1], v4, off
.LBB323_434:
	s_mov_b64 s[28:29], 0
.LBB323_435:
	s_andn2_b64 vcc, exec, s[28:29]
	s_cbranch_vccnz .LBB323_437
; %bb.436:
	v_cndmask_b32_e64 v4, 0, 1, s[2:3]
	global_store_short v[0:1], v4, off
.LBB323_437:
	s_mov_b64 s[28:29], 0
.LBB323_438:
	s_andn2_b64 vcc, exec, s[28:29]
	s_cbranch_vccnz .LBB323_443
; %bb.439:
	s_mov_b64 s[28:29], -1
	s_cmp_gt_i32 s34, 0
	v_cndmask_b32_e64 v4, 0, 1, s[2:3]
	s_cbranch_scc0 .LBB323_441
; %bb.440:
	s_mov_b64 s[28:29], 0
	global_store_byte v[0:1], v4, off
.LBB323_441:
	s_andn2_b64 vcc, exec, s[28:29]
	s_cbranch_vccnz .LBB323_443
; %bb.442:
	global_store_byte v[0:1], v4, off
.LBB323_443:
	s_mov_b64 s[28:29], -1
.LBB323_444:
	s_andn2_b64 vcc, exec, s[28:29]
	s_cbranch_vccnz .LBB323_446
; %bb.445:
	v_add_u32_e32 v2, 0x80, v2
	s_mov_b64 s[2:3], -1
	s_branch .LBB323_598
.LBB323_446:
	s_mov_b64 s[2:3], 0
                                        ; implicit-def: $vgpr2
	s_branch .LBB323_598
.LBB323_447:
	s_mov_b64 s[26:27], -1
                                        ; implicit-def: $vgpr4
.LBB323_448:
	s_mov_b64 s[4:5], 0
.LBB323_449:
	s_and_b64 vcc, exec, s[4:5]
	s_cbranch_vccz .LBB323_455
; %bb.450:
	s_cmp_eq_u32 s34, 29
	s_cbranch_scc0 .LBB323_454
; %bb.451:
	global_load_dwordx2 v[4:5], v[0:1], off
	s_movk_i32 s2, 0xff
	s_waitcnt vmcnt(0)
	v_ffbh_u32_e32 v6, v5
	v_min_u32_e32 v6, 32, v6
	v_lshlrev_b64 v[4:5], v6, v[4:5]
	v_min_u32_e32 v4, 1, v4
	v_or_b32_e32 v4, v5, v4
	v_cvt_f32_u32_e32 v4, v4
	v_sub_u32_e32 v5, 32, v6
	v_ldexp_f32 v6, v4, v5
	v_lshrrev_b32_e32 v5, 23, v6
	v_cmp_ne_u32_e32 vcc, s2, v5
	v_mov_b32_e32 v4, 0xff
	s_and_saveexec_b64 s[4:5], vcc
; %bb.452:
	v_and_b32_e32 v4, 0x400000, v6
	s_mov_b32 s2, 0x3fffff
	v_cmp_ne_u32_e32 vcc, 0, v4
	v_and_or_b32 v4, v6, s2, v5
	v_cmp_ne_u32_e64 s[2:3], 0, v4
	s_and_b64 s[2:3], vcc, s[2:3]
	v_cndmask_b32_e64 v4, 0, 1, s[2:3]
	v_add_u32_e32 v4, v5, v4
; %bb.453:
	s_or_b64 exec, exec, s[4:5]
	s_mov_b64 s[2:3], -1
	s_mov_b64 s[26:27], 0
	s_branch .LBB323_455
.LBB323_454:
	s_mov_b64 s[26:27], -1
                                        ; implicit-def: $vgpr4
.LBB323_455:
	s_mov_b64 s[4:5], 0
.LBB323_456:
	s_and_b64 vcc, exec, s[4:5]
	s_cbranch_vccz .LBB323_480
; %bb.457:
	s_cmp_lt_i32 s34, 27
	s_cbranch_scc1 .LBB323_462
; %bb.458:
	s_cmp_gt_i32 s34, 27
	s_cbranch_scc0 .LBB323_463
; %bb.459:
	global_load_dword v4, v[0:1], off
	s_movk_i32 s2, 0xff
	s_waitcnt vmcnt(0)
	v_cvt_f32_u32_e32 v6, v4
	v_mov_b32_e32 v4, 0xff
	v_lshrrev_b32_e32 v5, 23, v6
	v_cmp_ne_u32_e32 vcc, s2, v5
	s_and_saveexec_b64 s[4:5], vcc
; %bb.460:
	v_and_b32_e32 v4, 0x400000, v6
	s_mov_b32 s2, 0x3fffff
	v_cmp_ne_u32_e32 vcc, 0, v4
	v_and_or_b32 v4, v6, s2, v5
	v_cmp_ne_u32_e64 s[2:3], 0, v4
	s_and_b64 s[2:3], vcc, s[2:3]
	v_cndmask_b32_e64 v4, 0, 1, s[2:3]
	v_add_u32_e32 v4, v5, v4
; %bb.461:
	s_or_b64 exec, exec, s[4:5]
	s_mov_b64 s[2:3], 0
	s_branch .LBB323_464
.LBB323_462:
	s_mov_b64 s[2:3], -1
                                        ; implicit-def: $vgpr4
	s_branch .LBB323_469
.LBB323_463:
	s_mov_b64 s[2:3], -1
                                        ; implicit-def: $vgpr4
.LBB323_464:
	s_andn2_b64 vcc, exec, s[2:3]
	s_cbranch_vccnz .LBB323_468
; %bb.465:
	global_load_ushort v4, v[0:1], off
	s_movk_i32 s2, 0xff
	s_waitcnt vmcnt(0)
	v_cvt_f32_u32_e32 v6, v4
	v_mov_b32_e32 v4, 0xff
	v_lshrrev_b32_e32 v5, 23, v6
	v_cmp_ne_u32_e32 vcc, s2, v5
	s_and_saveexec_b64 s[4:5], vcc
; %bb.466:
	v_and_b32_e32 v4, 0x400000, v6
	s_mov_b32 s2, 0x3fffff
	v_cmp_ne_u32_e32 vcc, 0, v4
	v_and_or_b32 v4, v6, s2, v5
	v_cmp_ne_u32_e64 s[2:3], 0, v4
	s_and_b64 s[2:3], vcc, s[2:3]
	v_cndmask_b32_e64 v4, 0, 1, s[2:3]
	v_add_u32_e32 v4, v5, v4
; %bb.467:
	s_or_b64 exec, exec, s[4:5]
.LBB323_468:
	s_mov_b64 s[2:3], 0
.LBB323_469:
	s_andn2_b64 vcc, exec, s[2:3]
	s_cbranch_vccnz .LBB323_479
; %bb.470:
	global_load_ubyte v4, v[0:1], off
	s_movk_i32 s2, 0x7f
	s_waitcnt vmcnt(0)
	v_cmp_lt_i16_e32 vcc, s2, v4
	s_mov_b64 s[2:3], 0
	s_and_saveexec_b64 s[4:5], vcc
	s_xor_b64 s[4:5], exec, s[4:5]
	s_cbranch_execz .LBB323_495
; %bb.471:
	s_movk_i32 s2, 0x80
	v_cmp_eq_u16_e32 vcc, s2, v4
	s_mov_b64 s[2:3], -1
	s_and_saveexec_b64 s[28:29], vcc
; %bb.472:
	s_xor_b64 s[2:3], exec, -1
; %bb.473:
	s_or_b64 exec, exec, s[28:29]
	s_and_b64 s[2:3], s[2:3], exec
	s_or_saveexec_b64 s[4:5], s[4:5]
	v_mov_b32_e32 v5, 0x7f800001
	s_xor_b64 exec, exec, s[4:5]
	s_cbranch_execnz .LBB323_496
.LBB323_474:
	s_or_b64 exec, exec, s[4:5]
	s_and_saveexec_b64 s[4:5], s[2:3]
	s_cbranch_execz .LBB323_476
.LBB323_475:
	v_and_b32_e32 v4, 0xffff, v4
	v_and_b32_e32 v5, 7, v4
	v_ffbh_u32_e32 v7, v5
	v_min_u32_e32 v7, 32, v7
	v_subrev_u32_e32 v8, 28, v7
	v_bfe_u32 v6, v4, 3, 4
	v_lshlrev_b32_e32 v4, v8, v4
	v_and_b32_e32 v4, 7, v4
	v_cmp_eq_u32_e32 vcc, 0, v6
	v_sub_u32_e32 v7, 29, v7
	v_cndmask_b32_e32 v4, v5, v4, vcc
	v_cndmask_b32_e32 v6, v6, v7, vcc
	v_lshlrev_b32_e32 v4, 20, v4
	v_lshl_or_b32 v4, v6, 23, v4
	v_add_u32_e32 v5, 0x3b800000, v4
.LBB323_476:
	s_or_b64 exec, exec, s[4:5]
	v_lshrrev_b32_e32 v6, 23, v5
	s_movk_i32 s2, 0xff
	v_cmp_ne_u32_e32 vcc, s2, v6
	v_mov_b32_e32 v4, 0xff
	s_and_saveexec_b64 s[4:5], vcc
; %bb.477:
	v_and_b32_e32 v4, 0x400000, v5
	s_mov_b32 s2, 0x3fffff
	v_cmp_ne_u32_e32 vcc, 0, v4
	v_and_or_b32 v4, v5, s2, v6
	v_cmp_ne_u32_e64 s[2:3], 0, v4
	s_and_b64 s[2:3], vcc, s[2:3]
	v_cndmask_b32_e64 v4, 0, 1, s[2:3]
	v_add_u32_e32 v4, v6, v4
; %bb.478:
	s_or_b64 exec, exec, s[4:5]
.LBB323_479:
	s_mov_b64 s[2:3], -1
.LBB323_480:
	s_mov_b64 s[4:5], 0
.LBB323_481:
	s_and_b64 vcc, exec, s[4:5]
	s_cbranch_vccz .LBB323_526
; %bb.482:
	s_cmp_gt_i32 s34, 22
	s_cbranch_scc0 .LBB323_494
; %bb.483:
	s_cmp_lt_i32 s34, 24
	s_cbranch_scc1 .LBB323_497
; %bb.484:
	s_cmp_gt_i32 s34, 24
	s_cbranch_scc0 .LBB323_498
; %bb.485:
	global_load_ubyte v4, v[0:1], off
	s_movk_i32 s2, 0x7f
	s_waitcnt vmcnt(0)
	v_cmp_lt_i16_e32 vcc, s2, v4
	s_mov_b64 s[2:3], 0
	s_and_saveexec_b64 s[4:5], vcc
	s_xor_b64 s[4:5], exec, s[4:5]
	s_cbranch_execz .LBB323_516
; %bb.486:
	s_movk_i32 s2, 0x80
	v_cmp_eq_u16_e32 vcc, s2, v4
	s_mov_b64 s[2:3], -1
	s_and_saveexec_b64 s[28:29], vcc
; %bb.487:
	s_xor_b64 s[2:3], exec, -1
; %bb.488:
	s_or_b64 exec, exec, s[28:29]
	s_and_b64 s[2:3], s[2:3], exec
	s_or_saveexec_b64 s[4:5], s[4:5]
	v_mov_b32_e32 v5, 0x7f800001
	s_xor_b64 exec, exec, s[4:5]
	s_cbranch_execnz .LBB323_517
.LBB323_489:
	s_or_b64 exec, exec, s[4:5]
	s_and_saveexec_b64 s[4:5], s[2:3]
	s_cbranch_execz .LBB323_491
.LBB323_490:
	v_and_b32_e32 v4, 0xffff, v4
	v_and_b32_e32 v5, 3, v4
	v_ffbh_u32_e32 v7, v5
	v_min_u32_e32 v7, 32, v7
	v_subrev_u32_e32 v8, 29, v7
	v_bfe_u32 v6, v4, 2, 5
	v_lshlrev_b32_e32 v4, v8, v4
	v_and_b32_e32 v4, 3, v4
	v_cmp_eq_u32_e32 vcc, 0, v6
	v_sub_u32_e32 v7, 30, v7
	v_cndmask_b32_e32 v4, v5, v4, vcc
	v_cndmask_b32_e32 v6, v6, v7, vcc
	v_lshlrev_b32_e32 v4, 21, v4
	v_lshl_or_b32 v4, v6, 23, v4
	v_add_u32_e32 v5, 0x37800000, v4
.LBB323_491:
	s_or_b64 exec, exec, s[4:5]
	v_lshrrev_b32_e32 v6, 23, v5
	s_movk_i32 s2, 0xff
	v_cmp_ne_u32_e32 vcc, s2, v6
	v_mov_b32_e32 v4, 0xff
	s_and_saveexec_b64 s[4:5], vcc
; %bb.492:
	v_and_b32_e32 v4, 0x400000, v5
	s_mov_b32 s2, 0x3fffff
	v_cmp_ne_u32_e32 vcc, 0, v4
	v_and_or_b32 v4, v5, s2, v6
	v_cmp_ne_u32_e64 s[2:3], 0, v4
	s_and_b64 s[2:3], vcc, s[2:3]
	v_cndmask_b32_e64 v4, 0, 1, s[2:3]
	v_add_u32_e32 v4, v6, v4
; %bb.493:
	s_or_b64 exec, exec, s[4:5]
	s_mov_b64 s[2:3], 0
	s_branch .LBB323_499
.LBB323_494:
	s_mov_b64 s[4:5], -1
                                        ; implicit-def: $vgpr4
	s_branch .LBB323_509
.LBB323_495:
	s_or_saveexec_b64 s[4:5], s[4:5]
	v_mov_b32_e32 v5, 0x7f800001
	s_xor_b64 exec, exec, s[4:5]
	s_cbranch_execz .LBB323_474
.LBB323_496:
	v_cmp_ne_u16_e32 vcc, 0, v4
	s_andn2_b64 s[2:3], s[2:3], exec
	s_and_b64 s[28:29], vcc, exec
	v_and_b32_e32 v5, 0xffff, v4
	s_or_b64 s[2:3], s[2:3], s[28:29]
	s_or_b64 exec, exec, s[4:5]
	s_and_saveexec_b64 s[4:5], s[2:3]
	s_cbranch_execnz .LBB323_475
	s_branch .LBB323_476
.LBB323_497:
	s_mov_b64 s[2:3], -1
                                        ; implicit-def: $vgpr4
	s_branch .LBB323_504
.LBB323_498:
	s_mov_b64 s[2:3], -1
                                        ; implicit-def: $vgpr4
.LBB323_499:
	s_and_b64 vcc, exec, s[2:3]
	s_cbranch_vccz .LBB323_503
; %bb.500:
	global_load_ubyte v4, v[0:1], off
	s_mov_b32 s2, 0x7f800000
	s_movk_i32 s3, 0xff
	s_waitcnt vmcnt(0)
	v_lshlrev_b32_e32 v4, 24, v4
	v_and_b32_e32 v4, 0x7f000000, v4
	v_ffbh_u32_e32 v5, v4
	v_min_u32_e32 v5, 32, v5
	v_sub_u32_e64 v5, v5, 4 clamp
	v_lshlrev_b32_e32 v7, v5, v4
	v_lshlrev_b32_e32 v5, 23, v5
	v_lshrrev_b32_e32 v7, 4, v7
	v_add_u32_e32 v6, 0x1000000, v4
	v_sub_u32_e32 v5, v7, v5
	v_ashrrev_i32_e32 v6, 8, v6
	v_add_u32_e32 v5, 0x3c000000, v5
	v_and_or_b32 v5, v6, s2, v5
	v_cmp_ne_u32_e32 vcc, 0, v4
	v_cndmask_b32_e32 v6, 0, v5, vcc
	v_lshrrev_b32_e32 v5, 23, v6
	v_cmp_ne_u32_e32 vcc, s3, v5
	v_mov_b32_e32 v4, 0xff
	s_and_saveexec_b64 s[4:5], vcc
; %bb.501:
	v_and_b32_e32 v4, 0x400000, v6
	s_mov_b32 s2, 0x3fffff
	v_cmp_ne_u32_e32 vcc, 0, v4
	v_and_or_b32 v4, v6, s2, v5
	v_cmp_ne_u32_e64 s[2:3], 0, v4
	s_and_b64 s[2:3], vcc, s[2:3]
	v_cndmask_b32_e64 v4, 0, 1, s[2:3]
	v_add_u32_e32 v4, v5, v4
; %bb.502:
	s_or_b64 exec, exec, s[4:5]
.LBB323_503:
	s_mov_b64 s[2:3], 0
.LBB323_504:
	s_andn2_b64 vcc, exec, s[2:3]
	s_cbranch_vccnz .LBB323_508
; %bb.505:
	global_load_ubyte v4, v[0:1], off
	s_movk_i32 s2, 0x7f00
	s_brev_b32 s3, 16
	s_movk_i32 s4, 0xff
	s_waitcnt vmcnt(0)
	v_lshlrev_b32_e32 v5, 8, v4
	v_lshlrev_b32_e32 v4, 25, v4
	v_lshrrev_b32_e32 v6, 4, v4
	v_and_or_b32 v5, v5, s2, 0.5
	v_or_b32_e32 v6, 0x70000000, v6
	v_add_f32_e32 v5, -0.5, v5
	v_mul_f32_e32 v6, 0x7800000, v6
	v_cmp_gt_u32_e32 vcc, s3, v4
	v_cndmask_b32_e32 v5, v6, v5, vcc
	v_bfe_u32 v6, v5, 23, 8
	v_cmp_ne_u32_e32 vcc, s4, v6
	v_mov_b32_e32 v4, 0xff
	s_and_saveexec_b64 s[4:5], vcc
; %bb.506:
	s_mov_b32 s2, 0x3fffff
	v_lshrrev_b32_e32 v4, 23, v5
	v_and_b32_e32 v7, 0x400000, v5
	v_and_or_b32 v5, v5, s2, v6
	v_cmp_ne_u32_e32 vcc, 0, v7
	v_cmp_ne_u32_e64 s[2:3], 0, v5
	s_and_b64 s[2:3], vcc, s[2:3]
	v_cndmask_b32_e64 v5, 0, 1, s[2:3]
	v_add_u32_e32 v4, v4, v5
; %bb.507:
	s_or_b64 exec, exec, s[4:5]
.LBB323_508:
	s_mov_b64 s[4:5], 0
	s_mov_b64 s[2:3], -1
.LBB323_509:
	s_andn2_b64 vcc, exec, s[4:5]
	s_cbranch_vccnz .LBB323_526
; %bb.510:
	s_cmp_gt_i32 s34, 14
	s_cbranch_scc0 .LBB323_515
; %bb.511:
	s_cmp_eq_u32 s34, 15
	s_cbranch_scc0 .LBB323_518
; %bb.512:
	global_load_ushort v5, v[0:1], off
	s_movk_i32 s2, 0xff
	s_waitcnt vmcnt(1)
	v_mov_b32_e32 v4, 0xff
	s_waitcnt vmcnt(0)
	v_bfe_u32 v6, v5, 7, 8
	v_cmp_ne_u32_e32 vcc, s2, v6
	s_and_saveexec_b64 s[4:5], vcc
	s_cbranch_execz .LBB323_514
; %bb.513:
	v_lshrrev_b32_e32 v4, 7, v5
	v_lshlrev_b32_e32 v7, 16, v5
	v_and_b32_e32 v5, 64, v5
	s_mov_b32 s2, 0x3f0000
	v_cmp_ne_u32_e32 vcc, 0, v5
	v_and_or_b32 v5, v7, s2, v6
	v_cmp_ne_u32_e64 s[2:3], 0, v5
	s_and_b64 s[2:3], vcc, s[2:3]
	v_cndmask_b32_e64 v5, 0, 1, s[2:3]
	v_add_u32_e32 v4, v4, v5
.LBB323_514:
	s_or_b64 exec, exec, s[4:5]
	s_mov_b64 s[2:3], -1
	s_mov_b64 s[26:27], 0
	s_branch .LBB323_519
.LBB323_515:
	s_mov_b64 s[4:5], -1
                                        ; implicit-def: $vgpr4
	s_branch .LBB323_520
.LBB323_516:
	s_or_saveexec_b64 s[4:5], s[4:5]
	v_mov_b32_e32 v5, 0x7f800001
	s_xor_b64 exec, exec, s[4:5]
	s_cbranch_execz .LBB323_489
.LBB323_517:
	v_cmp_ne_u16_e32 vcc, 0, v4
	s_andn2_b64 s[2:3], s[2:3], exec
	s_and_b64 s[28:29], vcc, exec
	v_and_b32_e32 v5, 0xffff, v4
	s_or_b64 s[2:3], s[2:3], s[28:29]
	s_or_b64 exec, exec, s[4:5]
	s_and_saveexec_b64 s[4:5], s[2:3]
	s_cbranch_execnz .LBB323_490
	s_branch .LBB323_491
.LBB323_518:
	s_mov_b64 s[26:27], -1
                                        ; implicit-def: $vgpr4
.LBB323_519:
	s_mov_b64 s[4:5], 0
.LBB323_520:
	s_and_b64 vcc, exec, s[4:5]
	s_cbranch_vccz .LBB323_526
; %bb.521:
	s_cmp_eq_u32 s34, 11
	s_cbranch_scc0 .LBB323_525
; %bb.522:
	global_load_ubyte v4, v[0:1], off
	s_movk_i32 s2, 0xff
	s_waitcnt vmcnt(0)
	v_cmp_ne_u16_e32 vcc, 0, v4
	v_cndmask_b32_e64 v6, 0, 1.0, vcc
	v_lshrrev_b32_e32 v5, 23, v6
	v_cmp_ne_u32_e32 vcc, s2, v5
	v_mov_b32_e32 v4, 0xff
	s_and_saveexec_b64 s[4:5], vcc
; %bb.523:
	v_and_b32_e32 v4, 0x400000, v6
	s_mov_b32 s2, 0x3fffff
	v_cmp_ne_u32_e32 vcc, 0, v4
	v_and_or_b32 v4, v6, s2, v5
	v_cmp_ne_u32_e64 s[2:3], 0, v4
	s_and_b64 s[2:3], vcc, s[2:3]
	v_cndmask_b32_e64 v4, 0, 1, s[2:3]
	v_add_u32_e32 v4, v5, v4
; %bb.524:
	s_or_b64 exec, exec, s[4:5]
	s_mov_b64 s[2:3], -1
	s_mov_b64 s[26:27], 0
	s_branch .LBB323_526
.LBB323_525:
	s_mov_b64 s[26:27], -1
                                        ; implicit-def: $vgpr4
.LBB323_526:
	s_branch .LBB323_311
.LBB323_527:
	s_cmp_lt_i32 s34, 5
	s_cbranch_scc1 .LBB323_534
; %bb.528:
	s_cmp_lt_i32 s34, 8
	s_cbranch_scc1 .LBB323_535
; %bb.529:
	;; [unrolled: 3-line block ×3, first 2 shown]
	s_cmp_gt_i32 s34, 9
	s_cbranch_scc0 .LBB323_537
; %bb.531:
	global_load_dwordx2 v[4:5], v[0:1], off
	s_movk_i32 s2, 0xff
	s_waitcnt vmcnt(0)
	v_cvt_f32_f64_e32 v5, v[4:5]
	v_mov_b32_e32 v4, 0xff
	v_bfe_u32 v6, v5, 23, 8
	v_cmp_ne_u32_e32 vcc, s2, v6
	s_and_saveexec_b64 s[4:5], vcc
; %bb.532:
	s_mov_b32 s2, 0x3fffff
	v_lshrrev_b32_e32 v4, 23, v5
	v_and_b32_e32 v7, 0x400000, v5
	v_and_or_b32 v5, v5, s2, v6
	v_cmp_ne_u32_e32 vcc, 0, v7
	v_cmp_ne_u32_e64 s[2:3], 0, v5
	s_and_b64 s[2:3], vcc, s[2:3]
	v_cndmask_b32_e64 v5, 0, 1, s[2:3]
	v_add_u32_e32 v4, v4, v5
; %bb.533:
	s_or_b64 exec, exec, s[4:5]
	s_mov_b64 s[2:3], 0
	s_branch .LBB323_538
.LBB323_534:
	s_mov_b64 s[2:3], -1
                                        ; implicit-def: $vgpr4
	s_branch .LBB323_566
.LBB323_535:
	s_mov_b64 s[2:3], -1
                                        ; implicit-def: $vgpr4
	s_branch .LBB323_548
.LBB323_536:
	s_mov_b64 s[2:3], -1
                                        ; implicit-def: $vgpr4
	s_branch .LBB323_543
.LBB323_537:
	s_mov_b64 s[2:3], -1
                                        ; implicit-def: $vgpr4
.LBB323_538:
	s_andn2_b64 vcc, exec, s[2:3]
	s_cbranch_vccnz .LBB323_542
; %bb.539:
	global_load_dword v5, v[0:1], off
	s_movk_i32 s2, 0xff
	s_waitcnt vmcnt(1)
	v_mov_b32_e32 v4, 0xff
	s_waitcnt vmcnt(0)
	v_bfe_u32 v6, v5, 23, 8
	v_cmp_ne_u32_e32 vcc, s2, v6
	s_and_saveexec_b64 s[4:5], vcc
; %bb.540:
	s_mov_b32 s2, 0x3fffff
	v_lshrrev_b32_e32 v4, 23, v5
	v_and_b32_e32 v7, 0x400000, v5
	v_and_or_b32 v5, v5, s2, v6
	v_cmp_ne_u32_e32 vcc, 0, v7
	v_cmp_ne_u32_e64 s[2:3], 0, v5
	s_and_b64 s[2:3], vcc, s[2:3]
	v_cndmask_b32_e64 v5, 0, 1, s[2:3]
	v_add_u32_e32 v4, v4, v5
; %bb.541:
	s_or_b64 exec, exec, s[4:5]
.LBB323_542:
	s_mov_b64 s[2:3], 0
.LBB323_543:
	s_andn2_b64 vcc, exec, s[2:3]
	s_cbranch_vccnz .LBB323_547
; %bb.544:
	global_load_dword v4, v[0:1], off
	s_movk_i32 s2, 0xff
	s_waitcnt vmcnt(0)
	v_cvt_f32_f16_e32 v5, v4
	v_mov_b32_e32 v4, 0xff
	v_bfe_u32 v6, v5, 23, 8
	v_cmp_ne_u32_e32 vcc, s2, v6
	s_and_saveexec_b64 s[4:5], vcc
; %bb.545:
	s_mov_b32 s2, 0x3fffff
	v_lshrrev_b32_e32 v4, 23, v5
	v_and_b32_e32 v7, 0x400000, v5
	v_and_or_b32 v5, v5, s2, v6
	v_cmp_ne_u32_e32 vcc, 0, v7
	v_cmp_ne_u32_e64 s[2:3], 0, v5
	s_and_b64 s[2:3], vcc, s[2:3]
	v_cndmask_b32_e64 v5, 0, 1, s[2:3]
	v_add_u32_e32 v4, v4, v5
; %bb.546:
	s_or_b64 exec, exec, s[4:5]
.LBB323_547:
	s_mov_b64 s[2:3], 0
.LBB323_548:
	s_andn2_b64 vcc, exec, s[2:3]
	s_cbranch_vccnz .LBB323_565
; %bb.549:
	s_cmp_lt_i32 s34, 6
	s_cbranch_scc1 .LBB323_554
; %bb.550:
	s_cmp_gt_i32 s34, 6
	s_cbranch_scc0 .LBB323_555
; %bb.551:
	global_load_dwordx2 v[4:5], v[0:1], off
	s_movk_i32 s2, 0xff
	s_waitcnt vmcnt(0)
	v_cvt_f32_f64_e32 v5, v[4:5]
	v_mov_b32_e32 v4, 0xff
	v_bfe_u32 v6, v5, 23, 8
	v_cmp_ne_u32_e32 vcc, s2, v6
	s_and_saveexec_b64 s[4:5], vcc
; %bb.552:
	s_mov_b32 s2, 0x3fffff
	v_lshrrev_b32_e32 v4, 23, v5
	v_and_b32_e32 v7, 0x400000, v5
	v_and_or_b32 v5, v5, s2, v6
	v_cmp_ne_u32_e32 vcc, 0, v7
	v_cmp_ne_u32_e64 s[2:3], 0, v5
	s_and_b64 s[2:3], vcc, s[2:3]
	v_cndmask_b32_e64 v5, 0, 1, s[2:3]
	v_add_u32_e32 v4, v4, v5
; %bb.553:
	s_or_b64 exec, exec, s[4:5]
	s_mov_b64 s[2:3], 0
	s_branch .LBB323_556
.LBB323_554:
	s_mov_b64 s[2:3], -1
                                        ; implicit-def: $vgpr4
	s_branch .LBB323_561
.LBB323_555:
	s_mov_b64 s[2:3], -1
                                        ; implicit-def: $vgpr4
.LBB323_556:
	s_andn2_b64 vcc, exec, s[2:3]
	s_cbranch_vccnz .LBB323_560
; %bb.557:
	global_load_dword v5, v[0:1], off
	s_movk_i32 s2, 0xff
	s_waitcnt vmcnt(1)
	v_mov_b32_e32 v4, 0xff
	s_waitcnt vmcnt(0)
	v_bfe_u32 v6, v5, 23, 8
	v_cmp_ne_u32_e32 vcc, s2, v6
	s_and_saveexec_b64 s[4:5], vcc
; %bb.558:
	s_mov_b32 s2, 0x3fffff
	v_lshrrev_b32_e32 v4, 23, v5
	v_and_b32_e32 v7, 0x400000, v5
	v_and_or_b32 v5, v5, s2, v6
	v_cmp_ne_u32_e32 vcc, 0, v7
	v_cmp_ne_u32_e64 s[2:3], 0, v5
	s_and_b64 s[2:3], vcc, s[2:3]
	v_cndmask_b32_e64 v5, 0, 1, s[2:3]
	v_add_u32_e32 v4, v4, v5
; %bb.559:
	s_or_b64 exec, exec, s[4:5]
.LBB323_560:
	s_mov_b64 s[2:3], 0
.LBB323_561:
	s_andn2_b64 vcc, exec, s[2:3]
	s_cbranch_vccnz .LBB323_565
; %bb.562:
	global_load_ushort v4, v[0:1], off
	s_movk_i32 s2, 0xff
	s_waitcnt vmcnt(0)
	v_cvt_f32_f16_e32 v5, v4
	v_mov_b32_e32 v4, 0xff
	v_bfe_u32 v6, v5, 23, 8
	v_cmp_ne_u32_e32 vcc, s2, v6
	s_and_saveexec_b64 s[4:5], vcc
; %bb.563:
	s_mov_b32 s2, 0x3fffff
	v_lshrrev_b32_e32 v4, 23, v5
	v_and_b32_e32 v7, 0x400000, v5
	v_and_or_b32 v5, v5, s2, v6
	v_cmp_ne_u32_e32 vcc, 0, v7
	v_cmp_ne_u32_e64 s[2:3], 0, v5
	s_and_b64 s[2:3], vcc, s[2:3]
	v_cndmask_b32_e64 v5, 0, 1, s[2:3]
	v_add_u32_e32 v4, v4, v5
; %bb.564:
	s_or_b64 exec, exec, s[4:5]
.LBB323_565:
	s_mov_b64 s[2:3], 0
.LBB323_566:
	s_andn2_b64 vcc, exec, s[2:3]
	s_cbranch_vccnz .LBB323_596
; %bb.567:
	s_cmp_lt_i32 s34, 2
	s_cbranch_scc1 .LBB323_573
; %bb.568:
	s_cmp_lt_i32 s34, 3
	s_cbranch_scc1 .LBB323_574
; %bb.569:
	s_cmp_gt_i32 s34, 3
	s_cbranch_scc0 .LBB323_575
; %bb.570:
	global_load_dwordx2 v[4:5], v[0:1], off
	s_movk_i32 s2, 0xff
	s_waitcnt vmcnt(0)
	v_xor_b32_e32 v7, v4, v5
	v_ffbh_i32_e32 v6, v5
	v_ashrrev_i32_e32 v7, 31, v7
	v_add_u32_e32 v6, -1, v6
	v_add_u32_e32 v7, 32, v7
	v_min_u32_e32 v6, v6, v7
	v_lshlrev_b64 v[4:5], v6, v[4:5]
	v_min_u32_e32 v4, 1, v4
	v_or_b32_e32 v4, v5, v4
	v_cvt_f32_i32_e32 v4, v4
	v_sub_u32_e32 v5, 32, v6
	v_ldexp_f32 v5, v4, v5
	v_bfe_u32 v6, v5, 23, 8
	v_cmp_ne_u32_e32 vcc, s2, v6
	v_mov_b32_e32 v4, 0xff
	s_and_saveexec_b64 s[4:5], vcc
; %bb.571:
	s_mov_b32 s2, 0x3fffff
	v_lshrrev_b32_e32 v4, 23, v5
	v_and_b32_e32 v7, 0x400000, v5
	v_and_or_b32 v5, v5, s2, v6
	v_cmp_ne_u32_e32 vcc, 0, v7
	v_cmp_ne_u32_e64 s[2:3], 0, v5
	s_and_b64 s[2:3], vcc, s[2:3]
	v_cndmask_b32_e64 v5, 0, 1, s[2:3]
	v_add_u32_e32 v4, v4, v5
; %bb.572:
	s_or_b64 exec, exec, s[4:5]
	s_mov_b64 s[2:3], 0
	s_branch .LBB323_576
.LBB323_573:
	s_mov_b64 s[2:3], -1
                                        ; implicit-def: $vgpr4
	s_branch .LBB323_586
.LBB323_574:
	s_mov_b64 s[2:3], -1
                                        ; implicit-def: $vgpr4
	s_branch .LBB323_581
.LBB323_575:
	s_mov_b64 s[2:3], -1
                                        ; implicit-def: $vgpr4
.LBB323_576:
	s_andn2_b64 vcc, exec, s[2:3]
	s_cbranch_vccnz .LBB323_580
; %bb.577:
	global_load_dword v4, v[0:1], off
	s_movk_i32 s2, 0xff
	s_waitcnt vmcnt(0)
	v_cvt_f32_i32_e32 v5, v4
	v_mov_b32_e32 v4, 0xff
	v_bfe_u32 v6, v5, 23, 8
	v_cmp_ne_u32_e32 vcc, s2, v6
	s_and_saveexec_b64 s[4:5], vcc
; %bb.578:
	s_mov_b32 s2, 0x3fffff
	v_lshrrev_b32_e32 v4, 23, v5
	v_and_b32_e32 v7, 0x400000, v5
	v_and_or_b32 v5, v5, s2, v6
	v_cmp_ne_u32_e32 vcc, 0, v7
	v_cmp_ne_u32_e64 s[2:3], 0, v5
	s_and_b64 s[2:3], vcc, s[2:3]
	v_cndmask_b32_e64 v5, 0, 1, s[2:3]
	v_add_u32_e32 v4, v4, v5
; %bb.579:
	s_or_b64 exec, exec, s[4:5]
.LBB323_580:
	s_mov_b64 s[2:3], 0
.LBB323_581:
	s_andn2_b64 vcc, exec, s[2:3]
	s_cbranch_vccnz .LBB323_585
; %bb.582:
	global_load_sshort v4, v[0:1], off
	s_movk_i32 s2, 0xff
	s_waitcnt vmcnt(0)
	v_cvt_f32_i32_e32 v5, v4
	v_mov_b32_e32 v4, 0xff
	v_bfe_u32 v6, v5, 23, 8
	v_cmp_ne_u32_e32 vcc, s2, v6
	s_and_saveexec_b64 s[4:5], vcc
; %bb.583:
	s_mov_b32 s2, 0x3fffff
	v_lshrrev_b32_e32 v4, 23, v5
	v_and_b32_e32 v7, 0x400000, v5
	v_and_or_b32 v5, v5, s2, v6
	v_cmp_ne_u32_e32 vcc, 0, v7
	v_cmp_ne_u32_e64 s[2:3], 0, v5
	s_and_b64 s[2:3], vcc, s[2:3]
	v_cndmask_b32_e64 v5, 0, 1, s[2:3]
	v_add_u32_e32 v4, v4, v5
; %bb.584:
	s_or_b64 exec, exec, s[4:5]
.LBB323_585:
	s_mov_b64 s[2:3], 0
.LBB323_586:
	s_andn2_b64 vcc, exec, s[2:3]
	s_cbranch_vccnz .LBB323_596
; %bb.587:
	s_cmp_gt_i32 s34, 0
	s_cbranch_scc0 .LBB323_591
; %bb.588:
	global_load_sbyte v4, v[0:1], off
	s_movk_i32 s2, 0xff
	s_waitcnt vmcnt(0)
	v_cvt_f32_i32_e32 v5, v4
	v_mov_b32_e32 v4, 0xff
	v_bfe_u32 v6, v5, 23, 8
	v_cmp_ne_u32_e32 vcc, s2, v6
	s_and_saveexec_b64 s[4:5], vcc
; %bb.589:
	s_mov_b32 s2, 0x3fffff
	v_lshrrev_b32_e32 v4, 23, v5
	v_and_b32_e32 v7, 0x400000, v5
	v_and_or_b32 v5, v5, s2, v6
	v_cmp_ne_u32_e32 vcc, 0, v7
	v_cmp_ne_u32_e64 s[2:3], 0, v5
	s_and_b64 s[2:3], vcc, s[2:3]
	v_cndmask_b32_e64 v5, 0, 1, s[2:3]
	v_add_u32_e32 v4, v4, v5
; %bb.590:
	s_or_b64 exec, exec, s[4:5]
	s_mov_b64 s[2:3], 0
	s_branch .LBB323_592
.LBB323_591:
	s_mov_b64 s[2:3], -1
                                        ; implicit-def: $vgpr4
.LBB323_592:
	s_andn2_b64 vcc, exec, s[2:3]
	s_cbranch_vccnz .LBB323_596
; %bb.593:
	global_load_ubyte v0, v[0:1], off
	s_movk_i32 s2, 0xff
	s_waitcnt vmcnt(1)
	v_mov_b32_e32 v4, 0xff
	s_waitcnt vmcnt(0)
	v_cvt_f32_ubyte0_e32 v1, v0
	v_lshrrev_b32_e32 v0, 23, v1
	v_cmp_ne_u32_e32 vcc, s2, v0
	s_and_saveexec_b64 s[4:5], vcc
; %bb.594:
	s_mov_b32 s2, 0x3fffff
	v_and_b32_e32 v4, 0x400000, v1
	v_and_or_b32 v1, v1, s2, v0
	v_cmp_ne_u32_e32 vcc, 0, v4
	v_cmp_ne_u32_e64 s[2:3], 0, v1
	s_and_b64 s[2:3], vcc, s[2:3]
	v_cndmask_b32_e64 v1, 0, 1, s[2:3]
	v_add_u32_e32 v4, v0, v1
; %bb.595:
	s_or_b64 exec, exec, s[4:5]
.LBB323_596:
	s_branch .LBB323_312
.LBB323_597:
	s_mov_b64 s[2:3], 0
                                        ; implicit-def: $vgpr2
	s_mov_b64 s[4:5], s[20:21]
.LBB323_598:
	s_andn2_b64 s[28:29], s[20:21], exec
	s_and_b64 s[4:5], s[4:5], exec
	s_or_b64 s[28:29], s[28:29], s[4:5]
	s_andn2_b64 s[4:5], s[22:23], exec
	s_and_b64 s[26:27], s[26:27], exec
	s_or_b64 s[26:27], s[4:5], s[26:27]
	s_orn2_b64 s[4:5], s[2:3], exec
.LBB323_599:
	s_or_b64 exec, exec, s[30:31]
	s_mov_b64 s[2:3], 0
	s_mov_b64 s[34:35], 0
	;; [unrolled: 1-line block ×3, first 2 shown]
                                        ; implicit-def: $vgpr0_vgpr1
                                        ; implicit-def: $vgpr4
	s_and_saveexec_b64 s[30:31], s[4:5]
	s_cbranch_execz .LBB323_1005
; %bb.600:
	v_cmp_gt_i32_e32 vcc, s33, v2
	s_mov_b64 s[42:43], -1
	s_mov_b64 s[4:5], s[26:27]
	s_mov_b64 s[38:39], s[28:29]
	s_and_saveexec_b64 s[34:35], vcc
	s_cbranch_execz .LBB323_901
; %bb.601:
	v_mul_lo_u32 v0, v2, s13
	v_mov_b32_e32 v1, s11
	s_and_b32 s40, 0xffff, s15
	s_cmp_lt_i32 s40, 11
	s_waitcnt vmcnt(0)
	v_ashrrev_i32_e32 v4, 31, v0
	v_add_co_u32_e32 v0, vcc, s10, v0
	v_addc_co_u32_e32 v1, vcc, v1, v4, vcc
	s_cbranch_scc1 .LBB323_610
; %bb.602:
	s_cmp_gt_i32 s40, 25
	s_cbranch_scc0 .LBB323_611
; %bb.603:
	s_cmp_gt_i32 s40, 28
	s_cbranch_scc0 .LBB323_612
; %bb.604:
	s_cmp_gt_i32 s40, 43
	s_cbranch_scc0 .LBB323_613
; %bb.605:
	s_cmp_gt_i32 s40, 45
	s_cbranch_scc0 .LBB323_616
; %bb.606:
	s_cmp_eq_u32 s40, 46
	s_mov_b64 s[4:5], 0
	s_cbranch_scc0 .LBB323_619
; %bb.607:
	global_load_dword v5, v[0:1], off
	s_movk_i32 s2, 0xff
	v_mov_b32_e32 v4, 0xff
	s_waitcnt vmcnt(0)
	v_lshlrev_b32_e32 v6, 16, v5
	v_bfe_u32 v7, v6, 23, 8
	v_cmp_ne_u32_e32 vcc, s2, v7
	s_and_saveexec_b64 s[36:37], vcc
; %bb.608:
	v_bfe_u32 v4, v5, 7, 9
	v_and_b32_e32 v5, 64, v5
	s_mov_b32 s2, 0x3f0000
	v_cmp_ne_u32_e32 vcc, 0, v5
	v_and_or_b32 v5, v6, s2, v7
	v_cmp_ne_u32_e64 s[2:3], 0, v5
	s_and_b64 s[2:3], vcc, s[2:3]
	v_cndmask_b32_e64 v5, 0, 1, s[2:3]
	v_add_u32_e32 v4, v4, v5
; %bb.609:
	s_or_b64 exec, exec, s[36:37]
	s_mov_b64 s[2:3], -1
	s_mov_b64 s[36:37], 0
	s_branch .LBB323_621
.LBB323_610:
	s_mov_b64 s[4:5], -1
                                        ; implicit-def: $vgpr4
	s_mov_b64 s[36:37], s[26:27]
	s_branch .LBB323_704
.LBB323_611:
	s_mov_b64 s[4:5], -1
	s_mov_b64 s[36:37], s[26:27]
                                        ; implicit-def: $vgpr4
	s_branch .LBB323_658
.LBB323_612:
	s_mov_b64 s[4:5], -1
	s_mov_b64 s[36:37], s[26:27]
                                        ; implicit-def: $vgpr4
	s_branch .LBB323_633
.LBB323_613:
	s_mov_b64 s[4:5], -1
	s_mov_b64 s[36:37], s[26:27]
                                        ; implicit-def: $vgpr4
	s_branch .LBB323_626
.LBB323_614:
	s_andn2_saveexec_b64 s[36:37], s[36:37]
	s_cbranch_execz .LBB323_357
.LBB323_615:
	v_add_f32_e32 v4, 0x46000000, v5
	v_and_b32_e32 v4, 0xff, v4
	v_cmp_ne_u32_e32 vcc, 0, v4
	s_andn2_b64 s[34:35], s[34:35], exec
	s_and_b64 s[40:41], vcc, exec
	s_or_b64 s[34:35], s[34:35], s[40:41]
	s_or_b64 exec, exec, s[36:37]
	v_mov_b32_e32 v6, 0
	s_and_saveexec_b64 s[36:37], s[34:35]
	s_cbranch_execnz .LBB323_358
	s_branch .LBB323_359
.LBB323_616:
	s_mov_b64 s[4:5], -1
	s_mov_b64 s[36:37], s[26:27]
	s_branch .LBB323_620
.LBB323_617:
	s_andn2_saveexec_b64 s[36:37], s[36:37]
	s_cbranch_execz .LBB323_370
.LBB323_618:
	v_add_f32_e32 v4, 0x42800000, v5
	v_and_b32_e32 v4, 0xff, v4
	v_cmp_ne_u32_e32 vcc, 0, v4
	s_andn2_b64 s[34:35], s[34:35], exec
	s_and_b64 s[40:41], vcc, exec
	s_or_b64 s[34:35], s[34:35], s[40:41]
	s_or_b64 exec, exec, s[36:37]
	v_mov_b32_e32 v6, 0
	s_and_saveexec_b64 s[36:37], s[34:35]
	s_cbranch_execnz .LBB323_371
	s_branch .LBB323_372
.LBB323_619:
	s_mov_b64 s[36:37], -1
.LBB323_620:
                                        ; implicit-def: $vgpr4
.LBB323_621:
	s_and_b64 vcc, exec, s[4:5]
	s_cbranch_vccz .LBB323_625
; %bb.622:
	s_cmp_eq_u32 s40, 44
	s_cbranch_scc0 .LBB323_624
; %bb.623:
	global_load_ubyte v4, v[0:1], off
	s_mov_b64 s[2:3], -1
	s_mov_b64 s[36:37], 0
	s_branch .LBB323_625
.LBB323_624:
	s_mov_b64 s[36:37], -1
                                        ; implicit-def: $vgpr4
.LBB323_625:
	s_mov_b64 s[4:5], 0
.LBB323_626:
	s_and_b64 vcc, exec, s[4:5]
	s_cbranch_vccz .LBB323_632
; %bb.627:
	s_cmp_eq_u32 s40, 29
	s_cbranch_scc0 .LBB323_631
; %bb.628:
	global_load_dwordx2 v[4:5], v[0:1], off
	s_movk_i32 s2, 0xff
	s_waitcnt vmcnt(0)
	v_ffbh_u32_e32 v6, v5
	v_min_u32_e32 v6, 32, v6
	v_lshlrev_b64 v[4:5], v6, v[4:5]
	v_min_u32_e32 v4, 1, v4
	v_or_b32_e32 v4, v5, v4
	v_cvt_f32_u32_e32 v4, v4
	v_sub_u32_e32 v5, 32, v6
	v_ldexp_f32 v6, v4, v5
	v_lshrrev_b32_e32 v5, 23, v6
	v_cmp_ne_u32_e32 vcc, s2, v5
	v_mov_b32_e32 v4, 0xff
	s_and_saveexec_b64 s[4:5], vcc
; %bb.629:
	v_and_b32_e32 v4, 0x400000, v6
	s_mov_b32 s2, 0x3fffff
	v_cmp_ne_u32_e32 vcc, 0, v4
	v_and_or_b32 v4, v6, s2, v5
	v_cmp_ne_u32_e64 s[2:3], 0, v4
	s_and_b64 s[2:3], vcc, s[2:3]
	v_cndmask_b32_e64 v4, 0, 1, s[2:3]
	v_add_u32_e32 v4, v5, v4
; %bb.630:
	s_or_b64 exec, exec, s[4:5]
	s_mov_b64 s[2:3], -1
	s_mov_b64 s[36:37], 0
	s_branch .LBB323_632
.LBB323_631:
	s_mov_b64 s[36:37], -1
                                        ; implicit-def: $vgpr4
.LBB323_632:
	s_mov_b64 s[4:5], 0
.LBB323_633:
	s_and_b64 vcc, exec, s[4:5]
	s_cbranch_vccz .LBB323_657
; %bb.634:
	s_cmp_lt_i32 s40, 27
	s_cbranch_scc1 .LBB323_639
; %bb.635:
	s_cmp_gt_i32 s40, 27
	s_cbranch_scc0 .LBB323_640
; %bb.636:
	global_load_dword v4, v[0:1], off
	s_movk_i32 s2, 0xff
	s_waitcnt vmcnt(0)
	v_cvt_f32_u32_e32 v6, v4
	v_mov_b32_e32 v4, 0xff
	v_lshrrev_b32_e32 v5, 23, v6
	v_cmp_ne_u32_e32 vcc, s2, v5
	s_and_saveexec_b64 s[4:5], vcc
; %bb.637:
	v_and_b32_e32 v4, 0x400000, v6
	s_mov_b32 s2, 0x3fffff
	v_cmp_ne_u32_e32 vcc, 0, v4
	v_and_or_b32 v4, v6, s2, v5
	v_cmp_ne_u32_e64 s[2:3], 0, v4
	s_and_b64 s[2:3], vcc, s[2:3]
	v_cndmask_b32_e64 v4, 0, 1, s[2:3]
	v_add_u32_e32 v4, v5, v4
; %bb.638:
	s_or_b64 exec, exec, s[4:5]
	s_mov_b64 s[2:3], 0
	s_branch .LBB323_641
.LBB323_639:
	s_mov_b64 s[2:3], -1
                                        ; implicit-def: $vgpr4
	s_branch .LBB323_646
.LBB323_640:
	s_mov_b64 s[2:3], -1
                                        ; implicit-def: $vgpr4
.LBB323_641:
	s_andn2_b64 vcc, exec, s[2:3]
	s_cbranch_vccnz .LBB323_645
; %bb.642:
	global_load_ushort v4, v[0:1], off
	s_movk_i32 s2, 0xff
	s_waitcnt vmcnt(0)
	v_cvt_f32_u32_e32 v6, v4
	v_mov_b32_e32 v4, 0xff
	v_lshrrev_b32_e32 v5, 23, v6
	v_cmp_ne_u32_e32 vcc, s2, v5
	s_and_saveexec_b64 s[4:5], vcc
; %bb.643:
	v_and_b32_e32 v4, 0x400000, v6
	s_mov_b32 s2, 0x3fffff
	v_cmp_ne_u32_e32 vcc, 0, v4
	v_and_or_b32 v4, v6, s2, v5
	v_cmp_ne_u32_e64 s[2:3], 0, v4
	s_and_b64 s[2:3], vcc, s[2:3]
	v_cndmask_b32_e64 v4, 0, 1, s[2:3]
	v_add_u32_e32 v4, v5, v4
; %bb.644:
	s_or_b64 exec, exec, s[4:5]
.LBB323_645:
	s_mov_b64 s[2:3], 0
.LBB323_646:
	s_andn2_b64 vcc, exec, s[2:3]
	s_cbranch_vccnz .LBB323_656
; %bb.647:
	global_load_ubyte v4, v[0:1], off
	s_movk_i32 s2, 0x7f
	s_waitcnt vmcnt(0)
	v_cmp_lt_i16_e32 vcc, s2, v4
	s_mov_b64 s[2:3], 0
	s_and_saveexec_b64 s[4:5], vcc
	s_xor_b64 s[4:5], exec, s[4:5]
	s_cbranch_execz .LBB323_672
; %bb.648:
	s_movk_i32 s2, 0x80
	v_cmp_eq_u16_e32 vcc, s2, v4
	s_mov_b64 s[2:3], -1
	s_and_saveexec_b64 s[38:39], vcc
; %bb.649:
	s_xor_b64 s[2:3], exec, -1
; %bb.650:
	s_or_b64 exec, exec, s[38:39]
	s_and_b64 s[2:3], s[2:3], exec
	s_or_saveexec_b64 s[4:5], s[4:5]
	v_mov_b32_e32 v5, 0x7f800001
	s_xor_b64 exec, exec, s[4:5]
	s_cbranch_execnz .LBB323_673
.LBB323_651:
	s_or_b64 exec, exec, s[4:5]
	s_and_saveexec_b64 s[4:5], s[2:3]
	s_cbranch_execz .LBB323_653
.LBB323_652:
	v_and_b32_e32 v4, 0xffff, v4
	v_and_b32_e32 v5, 7, v4
	v_ffbh_u32_e32 v7, v5
	v_min_u32_e32 v7, 32, v7
	v_subrev_u32_e32 v8, 28, v7
	v_bfe_u32 v6, v4, 3, 4
	v_lshlrev_b32_e32 v4, v8, v4
	v_and_b32_e32 v4, 7, v4
	v_cmp_eq_u32_e32 vcc, 0, v6
	v_sub_u32_e32 v7, 29, v7
	v_cndmask_b32_e32 v4, v5, v4, vcc
	v_cndmask_b32_e32 v6, v6, v7, vcc
	v_lshlrev_b32_e32 v4, 20, v4
	v_lshl_or_b32 v4, v6, 23, v4
	v_add_u32_e32 v5, 0x3b800000, v4
.LBB323_653:
	s_or_b64 exec, exec, s[4:5]
	v_lshrrev_b32_e32 v6, 23, v5
	s_movk_i32 s2, 0xff
	v_cmp_ne_u32_e32 vcc, s2, v6
	v_mov_b32_e32 v4, 0xff
	s_and_saveexec_b64 s[4:5], vcc
; %bb.654:
	v_and_b32_e32 v4, 0x400000, v5
	s_mov_b32 s2, 0x3fffff
	v_cmp_ne_u32_e32 vcc, 0, v4
	v_and_or_b32 v4, v5, s2, v6
	v_cmp_ne_u32_e64 s[2:3], 0, v4
	s_and_b64 s[2:3], vcc, s[2:3]
	v_cndmask_b32_e64 v4, 0, 1, s[2:3]
	v_add_u32_e32 v4, v6, v4
; %bb.655:
	s_or_b64 exec, exec, s[4:5]
.LBB323_656:
	s_mov_b64 s[2:3], -1
.LBB323_657:
	s_mov_b64 s[4:5], 0
.LBB323_658:
	s_and_b64 vcc, exec, s[4:5]
	s_cbranch_vccz .LBB323_703
; %bb.659:
	s_cmp_gt_i32 s40, 22
	s_cbranch_scc0 .LBB323_671
; %bb.660:
	s_cmp_lt_i32 s40, 24
	s_cbranch_scc1 .LBB323_674
; %bb.661:
	s_cmp_gt_i32 s40, 24
	s_cbranch_scc0 .LBB323_675
; %bb.662:
	global_load_ubyte v4, v[0:1], off
	s_movk_i32 s2, 0x7f
	s_waitcnt vmcnt(0)
	v_cmp_lt_i16_e32 vcc, s2, v4
	s_mov_b64 s[2:3], 0
	s_and_saveexec_b64 s[4:5], vcc
	s_xor_b64 s[4:5], exec, s[4:5]
	s_cbranch_execz .LBB323_693
; %bb.663:
	s_movk_i32 s2, 0x80
	v_cmp_eq_u16_e32 vcc, s2, v4
	s_mov_b64 s[2:3], -1
	s_and_saveexec_b64 s[38:39], vcc
; %bb.664:
	s_xor_b64 s[2:3], exec, -1
; %bb.665:
	s_or_b64 exec, exec, s[38:39]
	s_and_b64 s[2:3], s[2:3], exec
	s_or_saveexec_b64 s[4:5], s[4:5]
	v_mov_b32_e32 v5, 0x7f800001
	s_xor_b64 exec, exec, s[4:5]
	s_cbranch_execnz .LBB323_694
.LBB323_666:
	s_or_b64 exec, exec, s[4:5]
	s_and_saveexec_b64 s[4:5], s[2:3]
	s_cbranch_execz .LBB323_668
.LBB323_667:
	v_and_b32_e32 v4, 0xffff, v4
	v_and_b32_e32 v5, 3, v4
	v_ffbh_u32_e32 v7, v5
	v_min_u32_e32 v7, 32, v7
	v_subrev_u32_e32 v8, 29, v7
	v_bfe_u32 v6, v4, 2, 5
	v_lshlrev_b32_e32 v4, v8, v4
	v_and_b32_e32 v4, 3, v4
	v_cmp_eq_u32_e32 vcc, 0, v6
	v_sub_u32_e32 v7, 30, v7
	v_cndmask_b32_e32 v4, v5, v4, vcc
	v_cndmask_b32_e32 v6, v6, v7, vcc
	v_lshlrev_b32_e32 v4, 21, v4
	v_lshl_or_b32 v4, v6, 23, v4
	v_add_u32_e32 v5, 0x37800000, v4
.LBB323_668:
	s_or_b64 exec, exec, s[4:5]
	v_lshrrev_b32_e32 v6, 23, v5
	s_movk_i32 s2, 0xff
	v_cmp_ne_u32_e32 vcc, s2, v6
	v_mov_b32_e32 v4, 0xff
	s_and_saveexec_b64 s[4:5], vcc
; %bb.669:
	v_and_b32_e32 v4, 0x400000, v5
	s_mov_b32 s2, 0x3fffff
	v_cmp_ne_u32_e32 vcc, 0, v4
	v_and_or_b32 v4, v5, s2, v6
	v_cmp_ne_u32_e64 s[2:3], 0, v4
	s_and_b64 s[2:3], vcc, s[2:3]
	v_cndmask_b32_e64 v4, 0, 1, s[2:3]
	v_add_u32_e32 v4, v6, v4
; %bb.670:
	s_or_b64 exec, exec, s[4:5]
	s_mov_b64 s[2:3], 0
	s_branch .LBB323_676
.LBB323_671:
	s_mov_b64 s[4:5], -1
                                        ; implicit-def: $vgpr4
	s_branch .LBB323_686
.LBB323_672:
	s_or_saveexec_b64 s[4:5], s[4:5]
	v_mov_b32_e32 v5, 0x7f800001
	s_xor_b64 exec, exec, s[4:5]
	s_cbranch_execz .LBB323_651
.LBB323_673:
	v_cmp_ne_u16_e32 vcc, 0, v4
	s_andn2_b64 s[2:3], s[2:3], exec
	s_and_b64 s[38:39], vcc, exec
	v_and_b32_e32 v5, 0xffff, v4
	s_or_b64 s[2:3], s[2:3], s[38:39]
	s_or_b64 exec, exec, s[4:5]
	s_and_saveexec_b64 s[4:5], s[2:3]
	s_cbranch_execnz .LBB323_652
	s_branch .LBB323_653
.LBB323_674:
	s_mov_b64 s[2:3], -1
                                        ; implicit-def: $vgpr4
	s_branch .LBB323_681
.LBB323_675:
	s_mov_b64 s[2:3], -1
                                        ; implicit-def: $vgpr4
.LBB323_676:
	s_and_b64 vcc, exec, s[2:3]
	s_cbranch_vccz .LBB323_680
; %bb.677:
	global_load_ubyte v4, v[0:1], off
	s_mov_b32 s2, 0x7f800000
	s_movk_i32 s3, 0xff
	s_waitcnt vmcnt(0)
	v_lshlrev_b32_e32 v4, 24, v4
	v_and_b32_e32 v4, 0x7f000000, v4
	v_ffbh_u32_e32 v5, v4
	v_min_u32_e32 v5, 32, v5
	v_sub_u32_e64 v5, v5, 4 clamp
	v_lshlrev_b32_e32 v7, v5, v4
	v_lshlrev_b32_e32 v5, 23, v5
	v_lshrrev_b32_e32 v7, 4, v7
	v_add_u32_e32 v6, 0x1000000, v4
	v_sub_u32_e32 v5, v7, v5
	v_ashrrev_i32_e32 v6, 8, v6
	v_add_u32_e32 v5, 0x3c000000, v5
	v_and_or_b32 v5, v6, s2, v5
	v_cmp_ne_u32_e32 vcc, 0, v4
	v_cndmask_b32_e32 v6, 0, v5, vcc
	v_lshrrev_b32_e32 v5, 23, v6
	v_cmp_ne_u32_e32 vcc, s3, v5
	v_mov_b32_e32 v4, 0xff
	s_and_saveexec_b64 s[4:5], vcc
; %bb.678:
	v_and_b32_e32 v4, 0x400000, v6
	s_mov_b32 s2, 0x3fffff
	v_cmp_ne_u32_e32 vcc, 0, v4
	v_and_or_b32 v4, v6, s2, v5
	v_cmp_ne_u32_e64 s[2:3], 0, v4
	s_and_b64 s[2:3], vcc, s[2:3]
	v_cndmask_b32_e64 v4, 0, 1, s[2:3]
	v_add_u32_e32 v4, v5, v4
; %bb.679:
	s_or_b64 exec, exec, s[4:5]
.LBB323_680:
	s_mov_b64 s[2:3], 0
.LBB323_681:
	s_andn2_b64 vcc, exec, s[2:3]
	s_cbranch_vccnz .LBB323_685
; %bb.682:
	global_load_ubyte v4, v[0:1], off
	s_movk_i32 s2, 0x7f00
	s_brev_b32 s3, 16
	s_movk_i32 s4, 0xff
	s_waitcnt vmcnt(0)
	v_lshlrev_b32_e32 v5, 8, v4
	v_lshlrev_b32_e32 v4, 25, v4
	v_lshrrev_b32_e32 v6, 4, v4
	v_and_or_b32 v5, v5, s2, 0.5
	v_or_b32_e32 v6, 0x70000000, v6
	v_add_f32_e32 v5, -0.5, v5
	v_mul_f32_e32 v6, 0x7800000, v6
	v_cmp_gt_u32_e32 vcc, s3, v4
	v_cndmask_b32_e32 v5, v6, v5, vcc
	v_bfe_u32 v6, v5, 23, 8
	v_cmp_ne_u32_e32 vcc, s4, v6
	v_mov_b32_e32 v4, 0xff
	s_and_saveexec_b64 s[4:5], vcc
; %bb.683:
	s_mov_b32 s2, 0x3fffff
	v_lshrrev_b32_e32 v4, 23, v5
	v_and_b32_e32 v7, 0x400000, v5
	v_and_or_b32 v5, v5, s2, v6
	v_cmp_ne_u32_e32 vcc, 0, v7
	v_cmp_ne_u32_e64 s[2:3], 0, v5
	s_and_b64 s[2:3], vcc, s[2:3]
	v_cndmask_b32_e64 v5, 0, 1, s[2:3]
	v_add_u32_e32 v4, v4, v5
; %bb.684:
	s_or_b64 exec, exec, s[4:5]
.LBB323_685:
	s_mov_b64 s[4:5], 0
	s_mov_b64 s[2:3], -1
.LBB323_686:
	s_andn2_b64 vcc, exec, s[4:5]
	s_cbranch_vccnz .LBB323_703
; %bb.687:
	s_cmp_gt_i32 s40, 14
	s_cbranch_scc0 .LBB323_692
; %bb.688:
	s_cmp_eq_u32 s40, 15
	s_cbranch_scc0 .LBB323_695
; %bb.689:
	global_load_ushort v5, v[0:1], off
	s_movk_i32 s2, 0xff
	s_waitcnt vmcnt(1)
	v_mov_b32_e32 v4, 0xff
	s_waitcnt vmcnt(0)
	v_bfe_u32 v6, v5, 7, 8
	v_cmp_ne_u32_e32 vcc, s2, v6
	s_and_saveexec_b64 s[4:5], vcc
	s_cbranch_execz .LBB323_691
; %bb.690:
	v_lshrrev_b32_e32 v4, 7, v5
	v_lshlrev_b32_e32 v7, 16, v5
	v_and_b32_e32 v5, 64, v5
	s_mov_b32 s2, 0x3f0000
	v_cmp_ne_u32_e32 vcc, 0, v5
	v_and_or_b32 v5, v7, s2, v6
	v_cmp_ne_u32_e64 s[2:3], 0, v5
	s_and_b64 s[2:3], vcc, s[2:3]
	v_cndmask_b32_e64 v5, 0, 1, s[2:3]
	v_add_u32_e32 v4, v4, v5
.LBB323_691:
	s_or_b64 exec, exec, s[4:5]
	s_mov_b64 s[2:3], -1
	s_mov_b64 s[36:37], 0
	s_branch .LBB323_696
.LBB323_692:
	s_mov_b64 s[4:5], -1
                                        ; implicit-def: $vgpr4
	s_branch .LBB323_697
.LBB323_693:
	s_or_saveexec_b64 s[4:5], s[4:5]
	v_mov_b32_e32 v5, 0x7f800001
	s_xor_b64 exec, exec, s[4:5]
	s_cbranch_execz .LBB323_666
.LBB323_694:
	v_cmp_ne_u16_e32 vcc, 0, v4
	s_andn2_b64 s[2:3], s[2:3], exec
	s_and_b64 s[38:39], vcc, exec
	v_and_b32_e32 v5, 0xffff, v4
	s_or_b64 s[2:3], s[2:3], s[38:39]
	s_or_b64 exec, exec, s[4:5]
	s_and_saveexec_b64 s[4:5], s[2:3]
	s_cbranch_execnz .LBB323_667
	s_branch .LBB323_668
.LBB323_695:
	s_mov_b64 s[36:37], -1
                                        ; implicit-def: $vgpr4
.LBB323_696:
	s_mov_b64 s[4:5], 0
.LBB323_697:
	s_and_b64 vcc, exec, s[4:5]
	s_cbranch_vccz .LBB323_703
; %bb.698:
	s_cmp_eq_u32 s40, 11
	s_cbranch_scc0 .LBB323_702
; %bb.699:
	global_load_ubyte v4, v[0:1], off
	s_movk_i32 s2, 0xff
	s_waitcnt vmcnt(0)
	v_cmp_ne_u16_e32 vcc, 0, v4
	v_cndmask_b32_e64 v6, 0, 1.0, vcc
	v_lshrrev_b32_e32 v5, 23, v6
	v_cmp_ne_u32_e32 vcc, s2, v5
	v_mov_b32_e32 v4, 0xff
	s_and_saveexec_b64 s[4:5], vcc
; %bb.700:
	v_and_b32_e32 v4, 0x400000, v6
	s_mov_b32 s2, 0x3fffff
	v_cmp_ne_u32_e32 vcc, 0, v4
	v_and_or_b32 v4, v6, s2, v5
	v_cmp_ne_u32_e64 s[2:3], 0, v4
	s_and_b64 s[2:3], vcc, s[2:3]
	v_cndmask_b32_e64 v4, 0, 1, s[2:3]
	v_add_u32_e32 v4, v5, v4
; %bb.701:
	s_or_b64 exec, exec, s[4:5]
	s_mov_b64 s[2:3], -1
	s_mov_b64 s[36:37], 0
	s_branch .LBB323_703
.LBB323_702:
	s_mov_b64 s[36:37], -1
                                        ; implicit-def: $vgpr4
.LBB323_703:
	s_mov_b64 s[4:5], 0
.LBB323_704:
	s_and_b64 vcc, exec, s[4:5]
	s_cbranch_vccz .LBB323_775
; %bb.705:
	s_cmp_lt_i32 s40, 5
	s_cbranch_scc1 .LBB323_712
; %bb.706:
	s_cmp_lt_i32 s40, 8
	s_cbranch_scc1 .LBB323_713
	;; [unrolled: 3-line block ×3, first 2 shown]
; %bb.708:
	s_cmp_gt_i32 s40, 9
	s_cbranch_scc0 .LBB323_715
; %bb.709:
	global_load_dwordx2 v[4:5], v[0:1], off
	s_movk_i32 s2, 0xff
	s_waitcnt vmcnt(0)
	v_cvt_f32_f64_e32 v5, v[4:5]
	v_mov_b32_e32 v4, 0xff
	v_bfe_u32 v6, v5, 23, 8
	v_cmp_ne_u32_e32 vcc, s2, v6
	s_and_saveexec_b64 s[4:5], vcc
; %bb.710:
	s_mov_b32 s2, 0x3fffff
	v_lshrrev_b32_e32 v4, 23, v5
	v_and_b32_e32 v7, 0x400000, v5
	v_and_or_b32 v5, v5, s2, v6
	v_cmp_ne_u32_e32 vcc, 0, v7
	v_cmp_ne_u32_e64 s[2:3], 0, v5
	s_and_b64 s[2:3], vcc, s[2:3]
	v_cndmask_b32_e64 v5, 0, 1, s[2:3]
	v_add_u32_e32 v4, v4, v5
; %bb.711:
	s_or_b64 exec, exec, s[4:5]
	s_mov_b64 s[2:3], 0
	s_branch .LBB323_716
.LBB323_712:
	s_mov_b64 s[2:3], -1
                                        ; implicit-def: $vgpr4
	s_branch .LBB323_744
.LBB323_713:
	s_mov_b64 s[2:3], -1
                                        ; implicit-def: $vgpr4
	s_branch .LBB323_726
.LBB323_714:
	s_mov_b64 s[2:3], -1
                                        ; implicit-def: $vgpr4
	s_branch .LBB323_721
.LBB323_715:
	s_mov_b64 s[2:3], -1
                                        ; implicit-def: $vgpr4
.LBB323_716:
	s_andn2_b64 vcc, exec, s[2:3]
	s_cbranch_vccnz .LBB323_720
; %bb.717:
	global_load_dword v5, v[0:1], off
	s_movk_i32 s2, 0xff
	s_waitcnt vmcnt(1)
	v_mov_b32_e32 v4, 0xff
	s_waitcnt vmcnt(0)
	v_bfe_u32 v6, v5, 23, 8
	v_cmp_ne_u32_e32 vcc, s2, v6
	s_and_saveexec_b64 s[4:5], vcc
; %bb.718:
	s_mov_b32 s2, 0x3fffff
	v_lshrrev_b32_e32 v4, 23, v5
	v_and_b32_e32 v7, 0x400000, v5
	v_and_or_b32 v5, v5, s2, v6
	v_cmp_ne_u32_e32 vcc, 0, v7
	v_cmp_ne_u32_e64 s[2:3], 0, v5
	s_and_b64 s[2:3], vcc, s[2:3]
	v_cndmask_b32_e64 v5, 0, 1, s[2:3]
	v_add_u32_e32 v4, v4, v5
; %bb.719:
	s_or_b64 exec, exec, s[4:5]
.LBB323_720:
	s_mov_b64 s[2:3], 0
.LBB323_721:
	s_andn2_b64 vcc, exec, s[2:3]
	s_cbranch_vccnz .LBB323_725
; %bb.722:
	global_load_dword v4, v[0:1], off
	s_movk_i32 s2, 0xff
	s_waitcnt vmcnt(0)
	v_cvt_f32_f16_e32 v5, v4
	v_mov_b32_e32 v4, 0xff
	v_bfe_u32 v6, v5, 23, 8
	v_cmp_ne_u32_e32 vcc, s2, v6
	s_and_saveexec_b64 s[4:5], vcc
; %bb.723:
	s_mov_b32 s2, 0x3fffff
	v_lshrrev_b32_e32 v4, 23, v5
	v_and_b32_e32 v7, 0x400000, v5
	v_and_or_b32 v5, v5, s2, v6
	v_cmp_ne_u32_e32 vcc, 0, v7
	v_cmp_ne_u32_e64 s[2:3], 0, v5
	s_and_b64 s[2:3], vcc, s[2:3]
	v_cndmask_b32_e64 v5, 0, 1, s[2:3]
	v_add_u32_e32 v4, v4, v5
; %bb.724:
	s_or_b64 exec, exec, s[4:5]
.LBB323_725:
	s_mov_b64 s[2:3], 0
.LBB323_726:
	s_andn2_b64 vcc, exec, s[2:3]
	s_cbranch_vccnz .LBB323_743
; %bb.727:
	s_cmp_lt_i32 s40, 6
	s_cbranch_scc1 .LBB323_732
; %bb.728:
	s_cmp_gt_i32 s40, 6
	s_cbranch_scc0 .LBB323_733
; %bb.729:
	global_load_dwordx2 v[4:5], v[0:1], off
	s_movk_i32 s2, 0xff
	s_waitcnt vmcnt(0)
	v_cvt_f32_f64_e32 v5, v[4:5]
	v_mov_b32_e32 v4, 0xff
	v_bfe_u32 v6, v5, 23, 8
	v_cmp_ne_u32_e32 vcc, s2, v6
	s_and_saveexec_b64 s[4:5], vcc
; %bb.730:
	s_mov_b32 s2, 0x3fffff
	v_lshrrev_b32_e32 v4, 23, v5
	v_and_b32_e32 v7, 0x400000, v5
	v_and_or_b32 v5, v5, s2, v6
	v_cmp_ne_u32_e32 vcc, 0, v7
	v_cmp_ne_u32_e64 s[2:3], 0, v5
	s_and_b64 s[2:3], vcc, s[2:3]
	v_cndmask_b32_e64 v5, 0, 1, s[2:3]
	v_add_u32_e32 v4, v4, v5
; %bb.731:
	s_or_b64 exec, exec, s[4:5]
	s_mov_b64 s[2:3], 0
	s_branch .LBB323_734
.LBB323_732:
	s_mov_b64 s[2:3], -1
                                        ; implicit-def: $vgpr4
	s_branch .LBB323_739
.LBB323_733:
	s_mov_b64 s[2:3], -1
                                        ; implicit-def: $vgpr4
.LBB323_734:
	s_andn2_b64 vcc, exec, s[2:3]
	s_cbranch_vccnz .LBB323_738
; %bb.735:
	global_load_dword v5, v[0:1], off
	s_movk_i32 s2, 0xff
	s_waitcnt vmcnt(1)
	v_mov_b32_e32 v4, 0xff
	s_waitcnt vmcnt(0)
	v_bfe_u32 v6, v5, 23, 8
	v_cmp_ne_u32_e32 vcc, s2, v6
	s_and_saveexec_b64 s[4:5], vcc
; %bb.736:
	s_mov_b32 s2, 0x3fffff
	v_lshrrev_b32_e32 v4, 23, v5
	v_and_b32_e32 v7, 0x400000, v5
	v_and_or_b32 v5, v5, s2, v6
	v_cmp_ne_u32_e32 vcc, 0, v7
	v_cmp_ne_u32_e64 s[2:3], 0, v5
	s_and_b64 s[2:3], vcc, s[2:3]
	v_cndmask_b32_e64 v5, 0, 1, s[2:3]
	v_add_u32_e32 v4, v4, v5
; %bb.737:
	s_or_b64 exec, exec, s[4:5]
.LBB323_738:
	s_mov_b64 s[2:3], 0
.LBB323_739:
	s_andn2_b64 vcc, exec, s[2:3]
	s_cbranch_vccnz .LBB323_743
; %bb.740:
	global_load_ushort v4, v[0:1], off
	s_movk_i32 s2, 0xff
	s_waitcnt vmcnt(0)
	v_cvt_f32_f16_e32 v5, v4
	v_mov_b32_e32 v4, 0xff
	v_bfe_u32 v6, v5, 23, 8
	v_cmp_ne_u32_e32 vcc, s2, v6
	s_and_saveexec_b64 s[4:5], vcc
; %bb.741:
	s_mov_b32 s2, 0x3fffff
	v_lshrrev_b32_e32 v4, 23, v5
	v_and_b32_e32 v7, 0x400000, v5
	v_and_or_b32 v5, v5, s2, v6
	v_cmp_ne_u32_e32 vcc, 0, v7
	v_cmp_ne_u32_e64 s[2:3], 0, v5
	s_and_b64 s[2:3], vcc, s[2:3]
	v_cndmask_b32_e64 v5, 0, 1, s[2:3]
	v_add_u32_e32 v4, v4, v5
; %bb.742:
	s_or_b64 exec, exec, s[4:5]
.LBB323_743:
	s_mov_b64 s[2:3], 0
.LBB323_744:
	s_andn2_b64 vcc, exec, s[2:3]
	s_cbranch_vccnz .LBB323_774
; %bb.745:
	s_cmp_lt_i32 s40, 2
	s_cbranch_scc1 .LBB323_751
; %bb.746:
	s_cmp_lt_i32 s40, 3
	s_cbranch_scc1 .LBB323_752
; %bb.747:
	s_cmp_gt_i32 s40, 3
	s_cbranch_scc0 .LBB323_753
; %bb.748:
	global_load_dwordx2 v[4:5], v[0:1], off
	s_movk_i32 s2, 0xff
	s_waitcnt vmcnt(0)
	v_xor_b32_e32 v7, v4, v5
	v_ffbh_i32_e32 v6, v5
	v_ashrrev_i32_e32 v7, 31, v7
	v_add_u32_e32 v6, -1, v6
	v_add_u32_e32 v7, 32, v7
	v_min_u32_e32 v6, v6, v7
	v_lshlrev_b64 v[4:5], v6, v[4:5]
	v_min_u32_e32 v4, 1, v4
	v_or_b32_e32 v4, v5, v4
	v_cvt_f32_i32_e32 v4, v4
	v_sub_u32_e32 v5, 32, v6
	v_ldexp_f32 v5, v4, v5
	v_bfe_u32 v6, v5, 23, 8
	v_cmp_ne_u32_e32 vcc, s2, v6
	v_mov_b32_e32 v4, 0xff
	s_and_saveexec_b64 s[4:5], vcc
; %bb.749:
	s_mov_b32 s2, 0x3fffff
	v_lshrrev_b32_e32 v4, 23, v5
	v_and_b32_e32 v7, 0x400000, v5
	v_and_or_b32 v5, v5, s2, v6
	v_cmp_ne_u32_e32 vcc, 0, v7
	v_cmp_ne_u32_e64 s[2:3], 0, v5
	s_and_b64 s[2:3], vcc, s[2:3]
	v_cndmask_b32_e64 v5, 0, 1, s[2:3]
	v_add_u32_e32 v4, v4, v5
; %bb.750:
	s_or_b64 exec, exec, s[4:5]
	s_mov_b64 s[2:3], 0
	s_branch .LBB323_754
.LBB323_751:
	s_mov_b64 s[2:3], -1
                                        ; implicit-def: $vgpr4
	s_branch .LBB323_764
.LBB323_752:
	s_mov_b64 s[2:3], -1
                                        ; implicit-def: $vgpr4
	s_branch .LBB323_759
.LBB323_753:
	s_mov_b64 s[2:3], -1
                                        ; implicit-def: $vgpr4
.LBB323_754:
	s_andn2_b64 vcc, exec, s[2:3]
	s_cbranch_vccnz .LBB323_758
; %bb.755:
	global_load_dword v4, v[0:1], off
	s_movk_i32 s2, 0xff
	s_waitcnt vmcnt(0)
	v_cvt_f32_i32_e32 v5, v4
	v_mov_b32_e32 v4, 0xff
	v_bfe_u32 v6, v5, 23, 8
	v_cmp_ne_u32_e32 vcc, s2, v6
	s_and_saveexec_b64 s[4:5], vcc
; %bb.756:
	s_mov_b32 s2, 0x3fffff
	v_lshrrev_b32_e32 v4, 23, v5
	v_and_b32_e32 v7, 0x400000, v5
	v_and_or_b32 v5, v5, s2, v6
	v_cmp_ne_u32_e32 vcc, 0, v7
	v_cmp_ne_u32_e64 s[2:3], 0, v5
	s_and_b64 s[2:3], vcc, s[2:3]
	v_cndmask_b32_e64 v5, 0, 1, s[2:3]
	v_add_u32_e32 v4, v4, v5
; %bb.757:
	s_or_b64 exec, exec, s[4:5]
.LBB323_758:
	s_mov_b64 s[2:3], 0
.LBB323_759:
	s_andn2_b64 vcc, exec, s[2:3]
	s_cbranch_vccnz .LBB323_763
; %bb.760:
	global_load_sshort v4, v[0:1], off
	s_movk_i32 s2, 0xff
	s_waitcnt vmcnt(0)
	v_cvt_f32_i32_e32 v5, v4
	v_mov_b32_e32 v4, 0xff
	v_bfe_u32 v6, v5, 23, 8
	v_cmp_ne_u32_e32 vcc, s2, v6
	s_and_saveexec_b64 s[4:5], vcc
; %bb.761:
	s_mov_b32 s2, 0x3fffff
	v_lshrrev_b32_e32 v4, 23, v5
	v_and_b32_e32 v7, 0x400000, v5
	v_and_or_b32 v5, v5, s2, v6
	v_cmp_ne_u32_e32 vcc, 0, v7
	v_cmp_ne_u32_e64 s[2:3], 0, v5
	s_and_b64 s[2:3], vcc, s[2:3]
	v_cndmask_b32_e64 v5, 0, 1, s[2:3]
	v_add_u32_e32 v4, v4, v5
; %bb.762:
	s_or_b64 exec, exec, s[4:5]
.LBB323_763:
	s_mov_b64 s[2:3], 0
.LBB323_764:
	s_andn2_b64 vcc, exec, s[2:3]
	s_cbranch_vccnz .LBB323_774
; %bb.765:
	s_cmp_gt_i32 s40, 0
	s_cbranch_scc0 .LBB323_769
; %bb.766:
	global_load_sbyte v4, v[0:1], off
	s_movk_i32 s2, 0xff
	s_waitcnt vmcnt(0)
	v_cvt_f32_i32_e32 v5, v4
	v_mov_b32_e32 v4, 0xff
	v_bfe_u32 v6, v5, 23, 8
	v_cmp_ne_u32_e32 vcc, s2, v6
	s_and_saveexec_b64 s[4:5], vcc
; %bb.767:
	s_mov_b32 s2, 0x3fffff
	v_lshrrev_b32_e32 v4, 23, v5
	v_and_b32_e32 v7, 0x400000, v5
	v_and_or_b32 v5, v5, s2, v6
	v_cmp_ne_u32_e32 vcc, 0, v7
	v_cmp_ne_u32_e64 s[2:3], 0, v5
	s_and_b64 s[2:3], vcc, s[2:3]
	v_cndmask_b32_e64 v5, 0, 1, s[2:3]
	v_add_u32_e32 v4, v4, v5
; %bb.768:
	s_or_b64 exec, exec, s[4:5]
	s_mov_b64 s[2:3], 0
	s_branch .LBB323_770
.LBB323_769:
	s_mov_b64 s[2:3], -1
                                        ; implicit-def: $vgpr4
.LBB323_770:
	s_andn2_b64 vcc, exec, s[2:3]
	s_cbranch_vccnz .LBB323_774
; %bb.771:
	global_load_ubyte v0, v[0:1], off
	s_movk_i32 s2, 0xff
	s_waitcnt vmcnt(1)
	v_mov_b32_e32 v4, 0xff
	s_waitcnt vmcnt(0)
	v_cvt_f32_ubyte0_e32 v1, v0
	v_lshrrev_b32_e32 v0, 23, v1
	v_cmp_ne_u32_e32 vcc, s2, v0
	s_and_saveexec_b64 s[4:5], vcc
; %bb.772:
	s_mov_b32 s2, 0x3fffff
	v_and_b32_e32 v4, 0x400000, v1
	v_and_or_b32 v1, v1, s2, v0
	v_cmp_ne_u32_e32 vcc, 0, v4
	v_cmp_ne_u32_e64 s[2:3], 0, v1
	s_and_b64 s[2:3], vcc, s[2:3]
	v_cndmask_b32_e64 v1, 0, 1, s[2:3]
	v_add_u32_e32 v4, v0, v1
; %bb.773:
	s_or_b64 exec, exec, s[4:5]
.LBB323_774:
	s_mov_b64 s[2:3], -1
.LBB323_775:
	s_andn2_b64 vcc, exec, s[2:3]
	s_cbranch_vccnz .LBB323_783
; %bb.776:
	s_movk_i32 s2, 0xff
	v_mov_b32_e32 v0, 23
	s_waitcnt vmcnt(0)
	v_lshlrev_b32_sdwa v0, v0, v4 dst_sel:DWORD dst_unused:UNUSED_PAD src0_sel:DWORD src1_sel:BYTE_0
	v_mov_b32_e32 v1, 0x7f800001
	v_cmp_ne_u16_sdwa vcc, v4, s2 src0_sel:BYTE_0 src1_sel:DWORD
	v_cndmask_b32_e32 v0, v1, v0, vcc
	v_mov_b32_e32 v1, 0
	v_mov_b32_e32 v5, 0x400000
	v_cmp_ne_u16_sdwa vcc, v4, v1 src0_sel:BYTE_0 src1_sel:DWORD
	v_cndmask_b32_e32 v0, v5, v0, vcc
	v_cmp_eq_f32_e32 vcc, v3, v0
	v_cndmask_b32_e64 v1, 0, 1, vcc
	v_cmp_neq_f32_e32 vcc, v3, v0
	v_mul_lo_u32 v4, v2, s12
	v_cndmask_b32_e64 v0, 0, 1, vcc
	v_cndmask_b32_e64 v0, v0, v1, s[0:1]
	v_and_b32_e32 v0, 1, v0
	v_cmp_eq_u32_e64 s[2:3], 1, v0
	v_ashrrev_i32_e32 v1, 31, v4
	v_mov_b32_e32 v5, s9
	s_and_b32 s44, s17, 0xff
	v_add_co_u32_e32 v0, vcc, s8, v4
	s_cmp_lt_i32 s44, 11
	v_addc_co_u32_e32 v1, vcc, v5, v1, vcc
	s_cbranch_scc1 .LBB323_784
; %bb.777:
	s_and_b32 s45, 0xffff, s44
	s_cmp_gt_i32 s45, 25
	s_cbranch_scc0 .LBB323_785
; %bb.778:
	s_cmp_gt_i32 s45, 28
	s_cbranch_scc0 .LBB323_786
; %bb.779:
	s_cmp_gt_i32 s45, 43
	s_cbranch_scc0 .LBB323_787
; %bb.780:
	s_cmp_gt_i32 s45, 45
	s_cbranch_scc0 .LBB323_788
; %bb.781:
	s_mov_b64 s[40:41], 0
	s_mov_b64 s[4:5], -1
	s_cmp_eq_u32 s45, 46
	s_mov_b64 s[38:39], 0
	s_cbranch_scc0 .LBB323_789
; %bb.782:
	v_cndmask_b32_e64 v4, 0, 1.0, s[2:3]
	v_bfe_u32 v5, v4, 16, 1
	s_movk_i32 s4, 0x7fff
	v_add3_u32 v4, v4, v5, s4
	v_lshrrev_b32_e32 v4, 16, v4
	global_store_dword v[0:1], v4, off
	s_mov_b64 s[38:39], -1
	s_mov_b64 s[4:5], 0
	s_branch .LBB323_789
.LBB323_783:
	s_mov_b64 s[2:3], 0
                                        ; implicit-def: $vgpr2
	s_mov_b64 s[4:5], s[28:29]
	s_branch .LBB323_900
.LBB323_784:
	s_mov_b64 s[40:41], -1
	s_mov_b64 s[38:39], 0
	s_mov_b64 s[4:5], s[28:29]
	s_branch .LBB323_858
.LBB323_785:
	s_mov_b64 s[40:41], -1
	s_mov_b64 s[38:39], 0
	s_mov_b64 s[4:5], s[28:29]
	s_branch .LBB323_816
.LBB323_786:
	s_mov_b64 s[40:41], -1
	s_mov_b64 s[38:39], 0
	s_mov_b64 s[4:5], s[28:29]
	s_branch .LBB323_799
.LBB323_787:
	s_mov_b64 s[40:41], -1
	s_mov_b64 s[38:39], 0
	s_mov_b64 s[4:5], s[28:29]
	s_branch .LBB323_795
.LBB323_788:
	s_mov_b64 s[40:41], -1
	s_mov_b64 s[38:39], 0
	s_mov_b64 s[4:5], s[28:29]
.LBB323_789:
	s_and_b64 vcc, exec, s[40:41]
	s_cbranch_vccz .LBB323_794
; %bb.790:
	s_cmp_eq_u32 s45, 44
	s_mov_b64 s[4:5], -1
	s_cbranch_scc0 .LBB323_794
; %bb.791:
	v_cndmask_b32_e64 v5, 0, 1.0, s[2:3]
	v_lshrrev_b32_e32 v4, 23, v5
	s_movk_i32 s4, 0xff
	v_cmp_ne_u32_e32 vcc, s4, v4
	v_mov_b32_e32 v6, 0xff
	s_and_saveexec_b64 s[38:39], vcc
; %bb.792:
	s_mov_b32 s4, 0x3fffff
	v_and_b32_e32 v6, 0x400000, v5
	v_and_or_b32 v5, v5, s4, v4
	v_cmp_ne_u32_e32 vcc, 0, v6
	v_cmp_ne_u32_e64 s[4:5], 0, v5
	s_and_b64 s[4:5], vcc, s[4:5]
	v_cndmask_b32_e64 v5, 0, 1, s[4:5]
	v_add_u32_e32 v6, v4, v5
; %bb.793:
	s_or_b64 exec, exec, s[38:39]
	s_mov_b64 s[38:39], -1
	s_mov_b64 s[4:5], 0
	global_store_byte v[0:1], v6, off
.LBB323_794:
	s_mov_b64 s[40:41], 0
.LBB323_795:
	s_and_b64 vcc, exec, s[40:41]
	s_cbranch_vccz .LBB323_798
; %bb.796:
	s_cmp_eq_u32 s45, 29
	s_mov_b64 s[4:5], -1
	s_cbranch_scc0 .LBB323_798
; %bb.797:
	s_mov_b32 s4, 0
	v_cndmask_b32_e64 v4, 0, 1, s[2:3]
	v_mov_b32_e32 v5, s4
	global_store_dwordx2 v[0:1], v[4:5], off
	s_mov_b64 s[38:39], -1
	s_mov_b64 s[4:5], 0
.LBB323_798:
	s_mov_b64 s[40:41], 0
.LBB323_799:
	s_and_b64 vcc, exec, s[40:41]
	s_cbranch_vccz .LBB323_815
; %bb.800:
	s_cmp_lt_i32 s45, 27
	s_mov_b64 s[38:39], -1
	s_cbranch_scc1 .LBB323_806
; %bb.801:
	s_cmp_gt_i32 s45, 27
	s_cbranch_scc0 .LBB323_803
; %bb.802:
	v_cndmask_b32_e64 v4, 0, 1, s[2:3]
	s_mov_b64 s[38:39], 0
	global_store_dword v[0:1], v4, off
.LBB323_803:
	s_andn2_b64 vcc, exec, s[38:39]
	s_cbranch_vccnz .LBB323_805
; %bb.804:
	v_cndmask_b32_e64 v4, 0, 1, s[2:3]
	global_store_short v[0:1], v4, off
.LBB323_805:
	s_mov_b64 s[38:39], 0
.LBB323_806:
	s_andn2_b64 vcc, exec, s[38:39]
	s_cbranch_vccnz .LBB323_814
; %bb.807:
	v_cndmask_b32_e64 v5, 0, 1.0, s[2:3]
	s_mov_b32 s38, 0x43800000
	v_cmp_gt_u32_e32 vcc, s38, v5
	v_mov_b32_e32 v6, 0x80
	s_and_saveexec_b64 s[38:39], vcc
	s_cbranch_execz .LBB323_813
; %bb.808:
	s_mov_b32 s40, 0x3bffffff
	v_cmp_lt_u32_e32 vcc, s40, v5
	s_mov_b64 s[40:41], 0
                                        ; implicit-def: $vgpr4
	s_and_saveexec_b64 s[42:43], vcc
	s_xor_b64 s[42:43], exec, s[42:43]
	s_cbranch_execz .LBB323_916
; %bb.809:
	v_bfe_u32 v4, v5, 20, 1
	s_mov_b32 s46, 0x487ffff
	v_add3_u32 v4, v5, v4, s46
	s_mov_b64 s[40:41], exec
	v_lshrrev_b32_e32 v4, 20, v4
                                        ; implicit-def: $vgpr5
	s_andn2_saveexec_b64 s[42:43], s[42:43]
	s_cbranch_execnz .LBB323_917
.LBB323_810:
	s_or_b64 exec, exec, s[42:43]
	v_mov_b32_e32 v6, 0
	s_and_saveexec_b64 s[42:43], s[40:41]
.LBB323_811:
	v_mov_b32_e32 v6, v4
.LBB323_812:
	s_or_b64 exec, exec, s[42:43]
.LBB323_813:
	s_or_b64 exec, exec, s[38:39]
	global_store_byte v[0:1], v6, off
.LBB323_814:
	s_mov_b64 s[38:39], -1
.LBB323_815:
	s_mov_b64 s[40:41], 0
.LBB323_816:
	s_and_b64 vcc, exec, s[40:41]
	s_cbranch_vccz .LBB323_857
; %bb.817:
	s_cmp_gt_i32 s45, 22
	s_mov_b64 s[40:41], -1
	s_cbranch_scc0 .LBB323_849
; %bb.818:
	s_cmp_lt_i32 s45, 24
	s_mov_b64 s[38:39], -1
	s_cbranch_scc1 .LBB323_838
; %bb.819:
	s_cmp_gt_i32 s45, 24
	s_cbranch_scc0 .LBB323_827
; %bb.820:
	v_cndmask_b32_e64 v5, 0, 1.0, s[2:3]
	s_mov_b32 s38, 0x47800000
	v_cmp_gt_u32_e32 vcc, s38, v5
	v_mov_b32_e32 v6, 0x80
	s_and_saveexec_b64 s[38:39], vcc
	s_cbranch_execz .LBB323_826
; %bb.821:
	s_mov_b32 s40, 0x37ffffff
	v_cmp_lt_u32_e32 vcc, s40, v5
	s_mov_b64 s[40:41], 0
                                        ; implicit-def: $vgpr4
	s_and_saveexec_b64 s[42:43], vcc
	s_xor_b64 s[42:43], exec, s[42:43]
	s_cbranch_execz .LBB323_919
; %bb.822:
	v_bfe_u32 v4, v5, 21, 1
	s_mov_b32 s46, 0x88fffff
	v_add3_u32 v4, v5, v4, s46
	s_mov_b64 s[40:41], exec
	v_lshrrev_b32_e32 v4, 21, v4
                                        ; implicit-def: $vgpr5
	s_andn2_saveexec_b64 s[42:43], s[42:43]
	s_cbranch_execnz .LBB323_920
.LBB323_823:
	s_or_b64 exec, exec, s[42:43]
	v_mov_b32_e32 v6, 0
	s_and_saveexec_b64 s[42:43], s[40:41]
.LBB323_824:
	v_mov_b32_e32 v6, v4
.LBB323_825:
	s_or_b64 exec, exec, s[42:43]
.LBB323_826:
	s_or_b64 exec, exec, s[38:39]
	s_mov_b64 s[38:39], 0
	global_store_byte v[0:1], v6, off
.LBB323_827:
	s_and_b64 vcc, exec, s[38:39]
	s_cbranch_vccz .LBB323_837
; %bb.828:
	v_cndmask_b32_e64 v4, 0, 1.0, s[2:3]
	s_mov_b32 s38, 0x43f00000
	v_cmp_gt_u32_e32 vcc, s38, v4
                                        ; implicit-def: $vgpr5
	s_and_saveexec_b64 s[38:39], vcc
	s_xor_b64 s[38:39], exec, s[38:39]
	s_cbranch_execz .LBB323_834
; %bb.829:
	s_mov_b32 s40, 0x3c7fffff
	v_cmp_lt_u32_e32 vcc, s40, v4
                                        ; implicit-def: $vgpr5
	s_and_saveexec_b64 s[40:41], vcc
	s_xor_b64 s[40:41], exec, s[40:41]
; %bb.830:
	v_bfe_u32 v5, v4, 20, 1
	s_mov_b32 s42, 0x407ffff
	v_add3_u32 v4, v4, v5, s42
	v_lshrrev_b32_e32 v5, 20, v4
	v_and_b32_e32 v4, 0xff00000, v4
	s_mov_b32 s42, 0x7f00000
	v_mov_b32_e32 v6, 0x7e
	v_cmp_ne_u32_e32 vcc, s42, v4
	v_cndmask_b32_e32 v5, v6, v5, vcc
                                        ; implicit-def: $vgpr4
; %bb.831:
	s_andn2_saveexec_b64 s[40:41], s[40:41]
; %bb.832:
	v_add_f32_e32 v5, 0x46800000, v4
; %bb.833:
	s_or_b64 exec, exec, s[40:41]
                                        ; implicit-def: $vgpr4
.LBB323_834:
	s_andn2_saveexec_b64 s[38:39], s[38:39]
; %bb.835:
	s_mov_b32 s40, 0x7f800000
	v_mov_b32_e32 v5, 0x7e
	v_mov_b32_e32 v6, 0x7f
	v_cmp_lt_u32_e32 vcc, s40, v4
	v_cndmask_b32_e32 v5, v5, v6, vcc
; %bb.836:
	s_or_b64 exec, exec, s[38:39]
	global_store_byte v[0:1], v5, off
.LBB323_837:
	s_mov_b64 s[38:39], 0
.LBB323_838:
	s_andn2_b64 vcc, exec, s[38:39]
	s_cbranch_vccnz .LBB323_848
; %bb.839:
	v_cndmask_b32_e64 v4, 0, 1.0, s[2:3]
	s_mov_b32 s38, 0x47800000
	v_cmp_gt_u32_e32 vcc, s38, v4
                                        ; implicit-def: $vgpr5
	s_and_saveexec_b64 s[38:39], vcc
	s_xor_b64 s[38:39], exec, s[38:39]
	s_cbranch_execz .LBB323_845
; %bb.840:
	s_mov_b32 s40, 0x387fffff
	v_cmp_lt_u32_e32 vcc, s40, v4
                                        ; implicit-def: $vgpr5
	s_and_saveexec_b64 s[40:41], vcc
	s_xor_b64 s[40:41], exec, s[40:41]
; %bb.841:
	v_bfe_u32 v5, v4, 21, 1
	s_mov_b32 s42, 0x80fffff
	v_add3_u32 v4, v4, v5, s42
	v_lshrrev_b32_e32 v5, 21, v4
                                        ; implicit-def: $vgpr4
; %bb.842:
	s_andn2_saveexec_b64 s[40:41], s[40:41]
; %bb.843:
	v_add_f32_e32 v5, 0x43000000, v4
; %bb.844:
	s_or_b64 exec, exec, s[40:41]
                                        ; implicit-def: $vgpr4
.LBB323_845:
	s_andn2_saveexec_b64 s[38:39], s[38:39]
; %bb.846:
	s_mov_b32 s40, 0x7f800000
	v_mov_b32_e32 v5, 0x7c
	v_mov_b32_e32 v6, 0x7f
	v_cmp_lt_u32_e32 vcc, s40, v4
	v_cndmask_b32_e32 v5, v5, v6, vcc
; %bb.847:
	s_or_b64 exec, exec, s[38:39]
	global_store_byte v[0:1], v5, off
.LBB323_848:
	s_mov_b64 s[40:41], 0
	s_mov_b64 s[38:39], -1
.LBB323_849:
	s_andn2_b64 vcc, exec, s[40:41]
	s_cbranch_vccnz .LBB323_857
; %bb.850:
	s_cmp_gt_i32 s45, 14
	s_mov_b64 s[40:41], -1
	s_cbranch_scc0 .LBB323_854
; %bb.851:
	s_cmp_eq_u32 s45, 15
	s_mov_b64 s[4:5], -1
	s_cbranch_scc0 .LBB323_853
; %bb.852:
	v_cndmask_b32_e64 v4, 0, 1.0, s[2:3]
	v_bfe_u32 v5, v4, 16, 1
	s_movk_i32 s4, 0x7fff
	v_add3_u32 v4, v4, v5, s4
	global_store_short_d16_hi v[0:1], v4, off
	s_mov_b64 s[38:39], -1
	s_mov_b64 s[4:5], 0
.LBB323_853:
	s_mov_b64 s[40:41], 0
.LBB323_854:
	s_and_b64 vcc, exec, s[40:41]
	s_cbranch_vccz .LBB323_857
; %bb.855:
	s_cmp_eq_u32 s45, 11
	s_mov_b64 s[4:5], -1
	s_cbranch_scc0 .LBB323_857
; %bb.856:
	v_cndmask_b32_e64 v4, 0, 1, s[2:3]
	s_mov_b64 s[38:39], -1
	s_mov_b64 s[4:5], 0
	global_store_byte v[0:1], v4, off
.LBB323_857:
	s_mov_b64 s[40:41], 0
.LBB323_858:
	s_and_b64 vcc, exec, s[40:41]
	s_cbranch_vccz .LBB323_897
; %bb.859:
	s_and_b32 s40, 0xffff, s44
	s_cmp_lt_i32 s40, 5
	s_mov_b64 s[38:39], -1
	s_cbranch_scc1 .LBB323_880
; %bb.860:
	s_cmp_lt_i32 s40, 8
	s_cbranch_scc1 .LBB323_870
; %bb.861:
	s_cmp_lt_i32 s40, 9
	s_cbranch_scc1 .LBB323_867
; %bb.862:
	s_cmp_gt_i32 s40, 9
	s_cbranch_scc0 .LBB323_864
; %bb.863:
	v_cndmask_b32_e64 v4, 0, 1, s[2:3]
	v_cvt_f64_u32_e32 v[4:5], v4
	v_mov_b32_e32 v6, 0
	v_mov_b32_e32 v7, v6
	s_mov_b64 s[38:39], 0
	global_store_dwordx4 v[0:1], v[4:7], off
.LBB323_864:
	s_andn2_b64 vcc, exec, s[38:39]
	s_cbranch_vccnz .LBB323_866
; %bb.865:
	v_cndmask_b32_e64 v4, 0, 1.0, s[2:3]
	v_mov_b32_e32 v5, 0
	global_store_dwordx2 v[0:1], v[4:5], off
.LBB323_866:
	s_mov_b64 s[38:39], 0
.LBB323_867:
	s_andn2_b64 vcc, exec, s[38:39]
	s_cbranch_vccnz .LBB323_869
; %bb.868:
	v_cndmask_b32_e64 v4, 0, 1.0, s[2:3]
	v_cvt_f16_f32_e32 v4, v4
	global_store_dword v[0:1], v4, off
.LBB323_869:
	s_mov_b64 s[38:39], 0
.LBB323_870:
	s_andn2_b64 vcc, exec, s[38:39]
	s_cbranch_vccnz .LBB323_879
; %bb.871:
	s_cmp_lt_i32 s40, 6
	s_mov_b64 s[38:39], -1
	s_cbranch_scc1 .LBB323_877
; %bb.872:
	s_cmp_gt_i32 s40, 6
	s_cbranch_scc0 .LBB323_874
; %bb.873:
	v_cndmask_b32_e64 v4, 0, 1, s[2:3]
	v_cvt_f64_u32_e32 v[4:5], v4
	s_mov_b64 s[38:39], 0
	global_store_dwordx2 v[0:1], v[4:5], off
.LBB323_874:
	s_andn2_b64 vcc, exec, s[38:39]
	s_cbranch_vccnz .LBB323_876
; %bb.875:
	v_cndmask_b32_e64 v4, 0, 1.0, s[2:3]
	global_store_dword v[0:1], v4, off
.LBB323_876:
	s_mov_b64 s[38:39], 0
.LBB323_877:
	s_andn2_b64 vcc, exec, s[38:39]
	s_cbranch_vccnz .LBB323_879
; %bb.878:
	v_cndmask_b32_e64 v4, 0, 1.0, s[2:3]
	v_cvt_f16_f32_e32 v4, v4
	global_store_short v[0:1], v4, off
.LBB323_879:
	s_mov_b64 s[38:39], 0
.LBB323_880:
	s_andn2_b64 vcc, exec, s[38:39]
	s_cbranch_vccnz .LBB323_896
; %bb.881:
	s_cmp_lt_i32 s40, 2
	s_mov_b64 s[38:39], -1
	s_cbranch_scc1 .LBB323_891
; %bb.882:
	s_cmp_lt_i32 s40, 3
	s_cbranch_scc1 .LBB323_888
; %bb.883:
	s_cmp_gt_i32 s40, 3
	s_cbranch_scc0 .LBB323_885
; %bb.884:
	s_mov_b32 s38, 0
	v_cndmask_b32_e64 v4, 0, 1, s[2:3]
	v_mov_b32_e32 v5, s38
	s_mov_b64 s[38:39], 0
	global_store_dwordx2 v[0:1], v[4:5], off
.LBB323_885:
	s_andn2_b64 vcc, exec, s[38:39]
	s_cbranch_vccnz .LBB323_887
; %bb.886:
	v_cndmask_b32_e64 v4, 0, 1, s[2:3]
	global_store_dword v[0:1], v4, off
.LBB323_887:
	s_mov_b64 s[38:39], 0
.LBB323_888:
	s_andn2_b64 vcc, exec, s[38:39]
	s_cbranch_vccnz .LBB323_890
; %bb.889:
	v_cndmask_b32_e64 v4, 0, 1, s[2:3]
	global_store_short v[0:1], v4, off
.LBB323_890:
	s_mov_b64 s[38:39], 0
.LBB323_891:
	s_andn2_b64 vcc, exec, s[38:39]
	s_cbranch_vccnz .LBB323_896
; %bb.892:
	s_mov_b64 s[38:39], -1
	s_cmp_gt_i32 s40, 0
	v_cndmask_b32_e64 v4, 0, 1, s[2:3]
	s_cbranch_scc0 .LBB323_894
; %bb.893:
	s_mov_b64 s[38:39], 0
	global_store_byte v[0:1], v4, off
.LBB323_894:
	s_andn2_b64 vcc, exec, s[38:39]
	s_cbranch_vccnz .LBB323_896
; %bb.895:
	global_store_byte v[0:1], v4, off
.LBB323_896:
	s_mov_b64 s[38:39], -1
.LBB323_897:
	s_andn2_b64 vcc, exec, s[38:39]
	s_cbranch_vccnz .LBB323_899
; %bb.898:
	v_add_u32_e32 v2, 0x80, v2
	s_mov_b64 s[2:3], -1
	s_branch .LBB323_900
.LBB323_899:
	s_mov_b64 s[2:3], 0
                                        ; implicit-def: $vgpr2
.LBB323_900:
	s_andn2_b64 s[38:39], s[28:29], exec
	s_and_b64 s[4:5], s[4:5], exec
	s_or_b64 s[38:39], s[38:39], s[4:5]
	s_andn2_b64 s[4:5], s[26:27], exec
	s_and_b64 s[36:37], s[36:37], exec
	s_or_b64 s[4:5], s[4:5], s[36:37]
	s_orn2_b64 s[42:43], s[2:3], exec
.LBB323_901:
	s_or_b64 exec, exec, s[34:35]
	s_mov_b64 s[2:3], 0
	s_mov_b64 s[40:41], 0
	;; [unrolled: 1-line block ×3, first 2 shown]
                                        ; implicit-def: $vgpr0_vgpr1
                                        ; implicit-def: $vgpr4
	s_and_saveexec_b64 s[34:35], s[42:43]
	s_cbranch_execz .LBB323_1004
; %bb.902:
	v_cmp_gt_i32_e32 vcc, s33, v2
	s_mov_b64 s[42:43], s[4:5]
	s_mov_b64 s[44:45], 0
	;; [unrolled: 1-line block ×3, first 2 shown]
                                        ; implicit-def: $vgpr0_vgpr1
                                        ; implicit-def: $vgpr4
	s_and_saveexec_b64 s[36:37], vcc
	s_cbranch_execz .LBB323_1003
; %bb.903:
	v_mul_lo_u32 v0, v2, s13
	v_mov_b32_e32 v1, s11
	s_and_b32 s33, 0xffff, s15
	s_cmp_lt_i32 s33, 11
	s_waitcnt vmcnt(0)
	v_ashrrev_i32_e32 v4, 31, v0
	v_add_co_u32_e32 v0, vcc, s10, v0
	v_addc_co_u32_e32 v1, vcc, v1, v4, vcc
	s_cbranch_scc1 .LBB323_912
; %bb.904:
	s_cmp_gt_i32 s33, 25
	s_mov_b64 s[42:43], 0
	s_cbranch_scc0 .LBB323_913
; %bb.905:
	s_cmp_gt_i32 s33, 28
	s_cbranch_scc0 .LBB323_914
; %bb.906:
	s_cmp_gt_i32 s33, 43
	;; [unrolled: 3-line block ×3, first 2 shown]
	s_cbranch_scc0 .LBB323_918
; %bb.908:
	s_cmp_eq_u32 s33, 46
	s_cbranch_scc0 .LBB323_921
; %bb.909:
	global_load_dword v5, v[0:1], off
	s_movk_i32 s2, 0xff
	v_mov_b32_e32 v4, 0xff
	s_waitcnt vmcnt(0)
	v_lshlrev_b32_e32 v6, 16, v5
	v_bfe_u32 v7, v6, 23, 8
	v_cmp_ne_u32_e32 vcc, s2, v7
	s_and_saveexec_b64 s[40:41], vcc
; %bb.910:
	v_bfe_u32 v4, v5, 7, 9
	v_and_b32_e32 v5, 64, v5
	s_mov_b32 s2, 0x3f0000
	v_cmp_ne_u32_e32 vcc, 0, v5
	v_and_or_b32 v5, v6, s2, v7
	v_cmp_ne_u32_e64 s[2:3], 0, v5
	s_and_b64 s[2:3], vcc, s[2:3]
	v_cndmask_b32_e64 v5, 0, 1, s[2:3]
	v_add_u32_e32 v4, v4, v5
; %bb.911:
	s_or_b64 exec, exec, s[40:41]
	s_mov_b64 s[40:41], 0
	s_mov_b64 s[2:3], -1
	s_branch .LBB323_923
.LBB323_912:
	s_mov_b64 s[44:45], -1
                                        ; implicit-def: $vgpr4
	s_mov_b64 s[42:43], 0
	s_mov_b64 s[40:41], s[4:5]
	s_branch .LBB323_1002
.LBB323_913:
	s_mov_b64 s[44:45], -1
	s_mov_b64 s[40:41], s[4:5]
                                        ; implicit-def: $vgpr4
	s_branch .LBB323_960
.LBB323_914:
	s_mov_b64 s[44:45], -1
	s_mov_b64 s[40:41], s[4:5]
                                        ; implicit-def: $vgpr4
	s_branch .LBB323_935
.LBB323_915:
	s_mov_b64 s[44:45], -1
	s_mov_b64 s[40:41], s[4:5]
                                        ; implicit-def: $vgpr4
	s_branch .LBB323_928
.LBB323_916:
	s_andn2_saveexec_b64 s[42:43], s[42:43]
	s_cbranch_execz .LBB323_810
.LBB323_917:
	v_add_f32_e32 v4, 0x46000000, v5
	v_and_b32_e32 v4, 0xff, v4
	v_cmp_ne_u32_e32 vcc, 0, v4
	s_andn2_b64 s[40:41], s[40:41], exec
	s_and_b64 s[46:47], vcc, exec
	s_or_b64 s[40:41], s[40:41], s[46:47]
	s_or_b64 exec, exec, s[42:43]
	v_mov_b32_e32 v6, 0
	s_and_saveexec_b64 s[42:43], s[40:41]
	s_cbranch_execnz .LBB323_811
	s_branch .LBB323_812
.LBB323_918:
	s_mov_b64 s[44:45], -1
	s_mov_b64 s[40:41], s[4:5]
	s_branch .LBB323_922
.LBB323_919:
	s_andn2_saveexec_b64 s[42:43], s[42:43]
	s_cbranch_execz .LBB323_823
.LBB323_920:
	v_add_f32_e32 v4, 0x42800000, v5
	v_and_b32_e32 v4, 0xff, v4
	v_cmp_ne_u32_e32 vcc, 0, v4
	s_andn2_b64 s[40:41], s[40:41], exec
	s_and_b64 s[46:47], vcc, exec
	s_or_b64 s[40:41], s[40:41], s[46:47]
	s_or_b64 exec, exec, s[42:43]
	v_mov_b32_e32 v6, 0
	s_and_saveexec_b64 s[42:43], s[40:41]
	s_cbranch_execnz .LBB323_824
	s_branch .LBB323_825
.LBB323_921:
	s_mov_b64 s[40:41], -1
.LBB323_922:
                                        ; implicit-def: $vgpr4
.LBB323_923:
	s_and_b64 vcc, exec, s[44:45]
	s_cbranch_vccz .LBB323_927
; %bb.924:
	s_cmp_eq_u32 s33, 44
	s_cbranch_scc0 .LBB323_926
; %bb.925:
	global_load_ubyte v4, v[0:1], off
	s_mov_b64 s[40:41], 0
	s_mov_b64 s[2:3], -1
	s_branch .LBB323_927
.LBB323_926:
	s_mov_b64 s[40:41], -1
                                        ; implicit-def: $vgpr4
.LBB323_927:
	s_mov_b64 s[44:45], 0
.LBB323_928:
	s_and_b64 vcc, exec, s[44:45]
	s_cbranch_vccz .LBB323_934
; %bb.929:
	s_cmp_eq_u32 s33, 29
	s_cbranch_scc0 .LBB323_933
; %bb.930:
	global_load_dwordx2 v[4:5], v[0:1], off
	s_movk_i32 s2, 0xff
	s_waitcnt vmcnt(0)
	v_ffbh_u32_e32 v6, v5
	v_min_u32_e32 v6, 32, v6
	v_lshlrev_b64 v[4:5], v6, v[4:5]
	v_min_u32_e32 v4, 1, v4
	v_or_b32_e32 v4, v5, v4
	v_cvt_f32_u32_e32 v4, v4
	v_sub_u32_e32 v5, 32, v6
	v_ldexp_f32 v6, v4, v5
	v_lshrrev_b32_e32 v5, 23, v6
	v_cmp_ne_u32_e32 vcc, s2, v5
	v_mov_b32_e32 v4, 0xff
	s_and_saveexec_b64 s[40:41], vcc
; %bb.931:
	v_and_b32_e32 v4, 0x400000, v6
	s_mov_b32 s2, 0x3fffff
	v_cmp_ne_u32_e32 vcc, 0, v4
	v_and_or_b32 v4, v6, s2, v5
	v_cmp_ne_u32_e64 s[2:3], 0, v4
	s_and_b64 s[2:3], vcc, s[2:3]
	v_cndmask_b32_e64 v4, 0, 1, s[2:3]
	v_add_u32_e32 v4, v5, v4
; %bb.932:
	s_or_b64 exec, exec, s[40:41]
	s_mov_b64 s[40:41], 0
	s_mov_b64 s[2:3], -1
	s_branch .LBB323_934
.LBB323_933:
	s_mov_b64 s[40:41], -1
                                        ; implicit-def: $vgpr4
.LBB323_934:
	s_mov_b64 s[44:45], 0
.LBB323_935:
	s_and_b64 vcc, exec, s[44:45]
	s_cbranch_vccz .LBB323_959
; %bb.936:
	s_cmp_lt_i32 s33, 27
	s_cbranch_scc1 .LBB323_941
; %bb.937:
	s_cmp_gt_i32 s33, 27
	s_cbranch_scc0 .LBB323_942
; %bb.938:
	global_load_dword v4, v[0:1], off
	s_movk_i32 s2, 0xff
	s_waitcnt vmcnt(0)
	v_cvt_f32_u32_e32 v6, v4
	v_mov_b32_e32 v4, 0xff
	v_lshrrev_b32_e32 v5, 23, v6
	v_cmp_ne_u32_e32 vcc, s2, v5
	s_and_saveexec_b64 s[44:45], vcc
; %bb.939:
	v_and_b32_e32 v4, 0x400000, v6
	s_mov_b32 s2, 0x3fffff
	v_cmp_ne_u32_e32 vcc, 0, v4
	v_and_or_b32 v4, v6, s2, v5
	v_cmp_ne_u32_e64 s[2:3], 0, v4
	s_and_b64 s[2:3], vcc, s[2:3]
	v_cndmask_b32_e64 v4, 0, 1, s[2:3]
	v_add_u32_e32 v4, v5, v4
; %bb.940:
	s_or_b64 exec, exec, s[44:45]
	s_mov_b64 s[2:3], 0
	s_branch .LBB323_943
.LBB323_941:
	s_mov_b64 s[2:3], -1
                                        ; implicit-def: $vgpr4
	s_branch .LBB323_948
.LBB323_942:
	s_mov_b64 s[2:3], -1
                                        ; implicit-def: $vgpr4
.LBB323_943:
	s_andn2_b64 vcc, exec, s[2:3]
	s_cbranch_vccnz .LBB323_947
; %bb.944:
	global_load_ushort v4, v[0:1], off
	s_movk_i32 s2, 0xff
	s_waitcnt vmcnt(0)
	v_cvt_f32_u32_e32 v6, v4
	v_mov_b32_e32 v4, 0xff
	v_lshrrev_b32_e32 v5, 23, v6
	v_cmp_ne_u32_e32 vcc, s2, v5
	s_and_saveexec_b64 s[44:45], vcc
; %bb.945:
	v_and_b32_e32 v4, 0x400000, v6
	s_mov_b32 s2, 0x3fffff
	v_cmp_ne_u32_e32 vcc, 0, v4
	v_and_or_b32 v4, v6, s2, v5
	v_cmp_ne_u32_e64 s[2:3], 0, v4
	s_and_b64 s[2:3], vcc, s[2:3]
	v_cndmask_b32_e64 v4, 0, 1, s[2:3]
	v_add_u32_e32 v4, v5, v4
; %bb.946:
	s_or_b64 exec, exec, s[44:45]
.LBB323_947:
	s_mov_b64 s[2:3], 0
.LBB323_948:
	s_andn2_b64 vcc, exec, s[2:3]
	s_cbranch_vccnz .LBB323_958
; %bb.949:
	global_load_ubyte v4, v[0:1], off
	s_movk_i32 s2, 0x7f
	s_waitcnt vmcnt(0)
	v_cmp_lt_i16_e32 vcc, s2, v4
	s_mov_b64 s[2:3], 0
	s_and_saveexec_b64 s[44:45], vcc
	s_xor_b64 s[44:45], exec, s[44:45]
	s_cbranch_execz .LBB323_974
; %bb.950:
	s_movk_i32 s2, 0x80
	v_cmp_eq_u16_e32 vcc, s2, v4
	s_mov_b64 s[2:3], -1
	s_and_saveexec_b64 s[46:47], vcc
; %bb.951:
	s_xor_b64 s[2:3], exec, -1
; %bb.952:
	s_or_b64 exec, exec, s[46:47]
	s_and_b64 s[2:3], s[2:3], exec
	s_or_saveexec_b64 s[44:45], s[44:45]
	v_mov_b32_e32 v5, 0x7f800001
	s_xor_b64 exec, exec, s[44:45]
	s_cbranch_execnz .LBB323_975
.LBB323_953:
	s_or_b64 exec, exec, s[44:45]
	s_and_saveexec_b64 s[44:45], s[2:3]
	s_cbranch_execz .LBB323_955
.LBB323_954:
	v_and_b32_e32 v4, 0xffff, v4
	v_and_b32_e32 v5, 7, v4
	v_ffbh_u32_e32 v7, v5
	v_min_u32_e32 v7, 32, v7
	v_subrev_u32_e32 v8, 28, v7
	v_bfe_u32 v6, v4, 3, 4
	v_lshlrev_b32_e32 v4, v8, v4
	v_and_b32_e32 v4, 7, v4
	v_cmp_eq_u32_e32 vcc, 0, v6
	v_sub_u32_e32 v7, 29, v7
	v_cndmask_b32_e32 v4, v5, v4, vcc
	v_cndmask_b32_e32 v6, v6, v7, vcc
	v_lshlrev_b32_e32 v4, 20, v4
	v_lshl_or_b32 v4, v6, 23, v4
	v_add_u32_e32 v5, 0x3b800000, v4
.LBB323_955:
	s_or_b64 exec, exec, s[44:45]
	v_lshrrev_b32_e32 v6, 23, v5
	s_movk_i32 s2, 0xff
	v_cmp_ne_u32_e32 vcc, s2, v6
	v_mov_b32_e32 v4, 0xff
	s_and_saveexec_b64 s[44:45], vcc
; %bb.956:
	v_and_b32_e32 v4, 0x400000, v5
	s_mov_b32 s2, 0x3fffff
	v_cmp_ne_u32_e32 vcc, 0, v4
	v_and_or_b32 v4, v5, s2, v6
	v_cmp_ne_u32_e64 s[2:3], 0, v4
	s_and_b64 s[2:3], vcc, s[2:3]
	v_cndmask_b32_e64 v4, 0, 1, s[2:3]
	v_add_u32_e32 v4, v6, v4
; %bb.957:
	s_or_b64 exec, exec, s[44:45]
.LBB323_958:
	s_mov_b64 s[2:3], -1
.LBB323_959:
	s_mov_b64 s[44:45], 0
.LBB323_960:
	s_and_b64 vcc, exec, s[44:45]
	s_cbranch_vccz .LBB323_1001
; %bb.961:
	s_cmp_gt_i32 s33, 22
	s_cbranch_scc0 .LBB323_973
; %bb.962:
	s_cmp_lt_i32 s33, 24
	s_cbranch_scc1 .LBB323_976
; %bb.963:
	s_cmp_gt_i32 s33, 24
	s_cbranch_scc0 .LBB323_977
; %bb.964:
	global_load_ubyte v4, v[0:1], off
	s_movk_i32 s2, 0x7f
	s_waitcnt vmcnt(0)
	v_cmp_lt_i16_e32 vcc, s2, v4
	s_mov_b64 s[2:3], 0
	s_and_saveexec_b64 s[42:43], vcc
	s_xor_b64 s[42:43], exec, s[42:43]
	s_cbranch_execz .LBB323_995
; %bb.965:
	s_movk_i32 s2, 0x80
	v_cmp_eq_u16_e32 vcc, s2, v4
	s_mov_b64 s[2:3], -1
	s_and_saveexec_b64 s[44:45], vcc
; %bb.966:
	s_xor_b64 s[2:3], exec, -1
; %bb.967:
	s_or_b64 exec, exec, s[44:45]
	s_and_b64 s[2:3], s[2:3], exec
	s_or_saveexec_b64 s[42:43], s[42:43]
	v_mov_b32_e32 v5, 0x7f800001
	s_xor_b64 exec, exec, s[42:43]
	s_cbranch_execnz .LBB323_996
.LBB323_968:
	s_or_b64 exec, exec, s[42:43]
	s_and_saveexec_b64 s[42:43], s[2:3]
	s_cbranch_execz .LBB323_970
.LBB323_969:
	v_and_b32_e32 v4, 0xffff, v4
	v_and_b32_e32 v5, 3, v4
	v_ffbh_u32_e32 v7, v5
	v_min_u32_e32 v7, 32, v7
	v_subrev_u32_e32 v8, 29, v7
	v_bfe_u32 v6, v4, 2, 5
	v_lshlrev_b32_e32 v4, v8, v4
	v_and_b32_e32 v4, 3, v4
	v_cmp_eq_u32_e32 vcc, 0, v6
	v_sub_u32_e32 v7, 30, v7
	v_cndmask_b32_e32 v4, v5, v4, vcc
	v_cndmask_b32_e32 v6, v6, v7, vcc
	v_lshlrev_b32_e32 v4, 21, v4
	v_lshl_or_b32 v4, v6, 23, v4
	v_add_u32_e32 v5, 0x37800000, v4
.LBB323_970:
	s_or_b64 exec, exec, s[42:43]
	v_lshrrev_b32_e32 v6, 23, v5
	s_movk_i32 s2, 0xff
	v_cmp_ne_u32_e32 vcc, s2, v6
	v_mov_b32_e32 v4, 0xff
	s_and_saveexec_b64 s[42:43], vcc
; %bb.971:
	v_and_b32_e32 v4, 0x400000, v5
	s_mov_b32 s2, 0x3fffff
	v_cmp_ne_u32_e32 vcc, 0, v4
	v_and_or_b32 v4, v5, s2, v6
	v_cmp_ne_u32_e64 s[2:3], 0, v4
	s_and_b64 s[2:3], vcc, s[2:3]
	v_cndmask_b32_e64 v4, 0, 1, s[2:3]
	v_add_u32_e32 v4, v6, v4
; %bb.972:
	s_or_b64 exec, exec, s[42:43]
	s_mov_b64 s[2:3], 0
	s_branch .LBB323_978
.LBB323_973:
	s_mov_b64 s[42:43], -1
                                        ; implicit-def: $vgpr4
	s_branch .LBB323_988
.LBB323_974:
	s_or_saveexec_b64 s[44:45], s[44:45]
	v_mov_b32_e32 v5, 0x7f800001
	s_xor_b64 exec, exec, s[44:45]
	s_cbranch_execz .LBB323_953
.LBB323_975:
	v_cmp_ne_u16_e32 vcc, 0, v4
	s_andn2_b64 s[2:3], s[2:3], exec
	s_and_b64 s[46:47], vcc, exec
	v_and_b32_e32 v5, 0xffff, v4
	s_or_b64 s[2:3], s[2:3], s[46:47]
	s_or_b64 exec, exec, s[44:45]
	s_and_saveexec_b64 s[44:45], s[2:3]
	s_cbranch_execnz .LBB323_954
	s_branch .LBB323_955
.LBB323_976:
	s_mov_b64 s[2:3], -1
                                        ; implicit-def: $vgpr4
	s_branch .LBB323_983
.LBB323_977:
	s_mov_b64 s[2:3], -1
                                        ; implicit-def: $vgpr4
.LBB323_978:
	s_and_b64 vcc, exec, s[2:3]
	s_cbranch_vccz .LBB323_982
; %bb.979:
	global_load_ubyte v4, v[0:1], off
	s_mov_b32 s2, 0x7f800000
	s_movk_i32 s3, 0xff
	s_waitcnt vmcnt(0)
	v_lshlrev_b32_e32 v4, 24, v4
	v_and_b32_e32 v4, 0x7f000000, v4
	v_ffbh_u32_e32 v5, v4
	v_min_u32_e32 v5, 32, v5
	v_sub_u32_e64 v5, v5, 4 clamp
	v_lshlrev_b32_e32 v7, v5, v4
	v_lshlrev_b32_e32 v5, 23, v5
	v_lshrrev_b32_e32 v7, 4, v7
	v_add_u32_e32 v6, 0x1000000, v4
	v_sub_u32_e32 v5, v7, v5
	v_ashrrev_i32_e32 v6, 8, v6
	v_add_u32_e32 v5, 0x3c000000, v5
	v_and_or_b32 v5, v6, s2, v5
	v_cmp_ne_u32_e32 vcc, 0, v4
	v_cndmask_b32_e32 v6, 0, v5, vcc
	v_lshrrev_b32_e32 v5, 23, v6
	v_cmp_ne_u32_e32 vcc, s3, v5
	v_mov_b32_e32 v4, 0xff
	s_and_saveexec_b64 s[42:43], vcc
; %bb.980:
	v_and_b32_e32 v4, 0x400000, v6
	s_mov_b32 s2, 0x3fffff
	v_cmp_ne_u32_e32 vcc, 0, v4
	v_and_or_b32 v4, v6, s2, v5
	v_cmp_ne_u32_e64 s[2:3], 0, v4
	s_and_b64 s[2:3], vcc, s[2:3]
	v_cndmask_b32_e64 v4, 0, 1, s[2:3]
	v_add_u32_e32 v4, v5, v4
; %bb.981:
	s_or_b64 exec, exec, s[42:43]
.LBB323_982:
	s_mov_b64 s[2:3], 0
.LBB323_983:
	s_andn2_b64 vcc, exec, s[2:3]
	s_cbranch_vccnz .LBB323_987
; %bb.984:
	global_load_ubyte v4, v[0:1], off
	s_movk_i32 s2, 0x7f00
	s_brev_b32 s3, 16
	s_movk_i32 s42, 0xff
	s_waitcnt vmcnt(0)
	v_lshlrev_b32_e32 v5, 8, v4
	v_lshlrev_b32_e32 v4, 25, v4
	v_lshrrev_b32_e32 v6, 4, v4
	v_and_or_b32 v5, v5, s2, 0.5
	v_or_b32_e32 v6, 0x70000000, v6
	v_add_f32_e32 v5, -0.5, v5
	v_mul_f32_e32 v6, 0x7800000, v6
	v_cmp_gt_u32_e32 vcc, s3, v4
	v_cndmask_b32_e32 v5, v6, v5, vcc
	v_bfe_u32 v6, v5, 23, 8
	v_cmp_ne_u32_e32 vcc, s42, v6
	v_mov_b32_e32 v4, 0xff
	s_and_saveexec_b64 s[42:43], vcc
; %bb.985:
	s_mov_b32 s2, 0x3fffff
	v_lshrrev_b32_e32 v4, 23, v5
	v_and_b32_e32 v7, 0x400000, v5
	v_and_or_b32 v5, v5, s2, v6
	v_cmp_ne_u32_e32 vcc, 0, v7
	v_cmp_ne_u32_e64 s[2:3], 0, v5
	s_and_b64 s[2:3], vcc, s[2:3]
	v_cndmask_b32_e64 v5, 0, 1, s[2:3]
	v_add_u32_e32 v4, v4, v5
; %bb.986:
	s_or_b64 exec, exec, s[42:43]
.LBB323_987:
	s_mov_b64 s[42:43], 0
	s_mov_b64 s[2:3], -1
.LBB323_988:
	s_andn2_b64 vcc, exec, s[42:43]
	s_mov_b64 s[42:43], 0
	s_cbranch_vccnz .LBB323_1001
; %bb.989:
	s_cmp_gt_i32 s33, 14
	s_cbranch_scc0 .LBB323_994
; %bb.990:
	s_cmp_eq_u32 s33, 15
	s_cbranch_scc0 .LBB323_997
; %bb.991:
	global_load_ushort v5, v[0:1], off
	s_movk_i32 s2, 0xff
	s_waitcnt vmcnt(1)
	v_mov_b32_e32 v4, 0xff
	s_waitcnt vmcnt(0)
	v_bfe_u32 v6, v5, 7, 8
	v_cmp_ne_u32_e32 vcc, s2, v6
	s_and_saveexec_b64 s[40:41], vcc
	s_cbranch_execz .LBB323_993
; %bb.992:
	v_lshrrev_b32_e32 v4, 7, v5
	v_lshlrev_b32_e32 v7, 16, v5
	v_and_b32_e32 v5, 64, v5
	s_mov_b32 s2, 0x3f0000
	v_cmp_ne_u32_e32 vcc, 0, v5
	v_and_or_b32 v5, v7, s2, v6
	v_cmp_ne_u32_e64 s[2:3], 0, v5
	s_and_b64 s[2:3], vcc, s[2:3]
	v_cndmask_b32_e64 v5, 0, 1, s[2:3]
	v_add_u32_e32 v4, v4, v5
.LBB323_993:
	s_or_b64 exec, exec, s[40:41]
	s_mov_b64 s[40:41], 0
	s_mov_b64 s[2:3], -1
	s_branch .LBB323_998
.LBB323_994:
	s_mov_b64 s[44:45], -1
                                        ; implicit-def: $vgpr4
	s_branch .LBB323_999
.LBB323_995:
	s_or_saveexec_b64 s[42:43], s[42:43]
	v_mov_b32_e32 v5, 0x7f800001
	s_xor_b64 exec, exec, s[42:43]
	s_cbranch_execz .LBB323_968
.LBB323_996:
	v_cmp_ne_u16_e32 vcc, 0, v4
	s_andn2_b64 s[2:3], s[2:3], exec
	s_and_b64 s[44:45], vcc, exec
	v_and_b32_e32 v5, 0xffff, v4
	s_or_b64 s[2:3], s[2:3], s[44:45]
	s_or_b64 exec, exec, s[42:43]
	s_and_saveexec_b64 s[42:43], s[2:3]
	s_cbranch_execnz .LBB323_969
	s_branch .LBB323_970
.LBB323_997:
	s_mov_b64 s[40:41], -1
                                        ; implicit-def: $vgpr4
.LBB323_998:
	s_mov_b64 s[44:45], 0
.LBB323_999:
	s_and_b64 vcc, exec, s[44:45]
	s_cbranch_vccz .LBB323_1001
; %bb.1000:
	s_cmp_lg_u32 s33, 11
	s_cselect_b64 s[44:45], -1, 0
	s_andn2_b64 s[40:41], s[40:41], exec
	s_and_b64 s[44:45], s[44:45], exec
	s_mov_b64 s[42:43], -1
	s_or_b64 s[40:41], s[40:41], s[44:45]
.LBB323_1001:
	s_mov_b64 s[44:45], 0
.LBB323_1002:
	s_and_b64 s[46:47], s[2:3], exec
	s_and_b64 s[2:3], s[42:43], exec
	s_andn2_b64 s[42:43], s[4:5], exec
	s_and_b64 s[40:41], s[40:41], exec
	s_and_b64 s[44:45], s[44:45], exec
	s_or_b64 s[42:43], s[42:43], s[40:41]
.LBB323_1003:
	s_or_b64 exec, exec, s[36:37]
	s_andn2_b64 s[4:5], s[4:5], exec
	s_and_b64 s[42:43], s[42:43], exec
	s_and_b64 s[36:37], s[46:47], exec
	;; [unrolled: 1-line block ×4, first 2 shown]
	s_or_b64 s[4:5], s[4:5], s[42:43]
.LBB323_1004:
	s_or_b64 exec, exec, s[34:35]
	s_andn2_b64 s[28:29], s[28:29], exec
	s_and_b64 s[34:35], s[38:39], exec
	s_andn2_b64 s[26:27], s[26:27], exec
	s_and_b64 s[4:5], s[4:5], exec
	s_or_b64 s[28:29], s[28:29], s[34:35]
	s_and_b64 s[36:37], s[36:37], exec
	s_and_b64 s[34:35], s[40:41], exec
	s_and_b64 s[2:3], s[2:3], exec
	s_or_b64 s[26:27], s[26:27], s[4:5]
.LBB323_1005:
	s_or_b64 exec, exec, s[30:31]
	s_andn2_b64 s[4:5], s[20:21], exec
	s_and_b64 s[20:21], s[28:29], exec
	s_or_b64 s[20:21], s[4:5], s[20:21]
	s_and_b64 s[28:29], s[2:3], exec
	s_andn2_b64 s[2:3], s[22:23], exec
	s_and_b64 s[4:5], s[26:27], exec
	s_and_b64 s[30:31], s[36:37], exec
	s_and_b64 s[34:35], s[34:35], exec
	s_or_b64 s[22:23], s[2:3], s[4:5]
	s_or_b64 exec, exec, s[24:25]
	s_mov_b64 s[4:5], 0
	s_and_saveexec_b64 s[2:3], s[22:23]
	s_cbranch_execz .LBB323_306
.LBB323_1006:
	s_mov_b64 s[4:5], exec
	s_andn2_b64 s[28:29], s[28:29], exec
	s_trap 2
	s_or_b64 exec, exec, s[2:3]
	s_and_saveexec_b64 s[2:3], s[28:29]
	s_xor_b64 s[22:23], exec, s[2:3]
	s_cbranch_execnz .LBB323_307
.LBB323_1007:
	s_or_b64 exec, exec, s[22:23]
	s_and_saveexec_b64 s[22:23], s[34:35]
	s_cbranch_execz .LBB323_1075
.LBB323_1008:
	s_sext_i32_i16 s2, s15
	s_cmp_lt_i32 s2, 5
	s_cbranch_scc1 .LBB323_1015
; %bb.1009:
	s_cmp_lt_i32 s2, 8
	s_cbranch_scc1 .LBB323_1016
; %bb.1010:
	;; [unrolled: 3-line block ×3, first 2 shown]
	s_cmp_gt_i32 s2, 9
	s_cbranch_scc0 .LBB323_1018
; %bb.1012:
	global_load_dwordx2 v[4:5], v[0:1], off
	s_movk_i32 s2, 0xff
	s_waitcnt vmcnt(0)
	v_cvt_f32_f64_e32 v5, v[4:5]
	v_mov_b32_e32 v4, 0xff
	v_bfe_u32 v6, v5, 23, 8
	v_cmp_ne_u32_e32 vcc, s2, v6
	s_and_saveexec_b64 s[24:25], vcc
; %bb.1013:
	s_mov_b32 s2, 0x3fffff
	v_lshrrev_b32_e32 v4, 23, v5
	v_and_b32_e32 v7, 0x400000, v5
	v_and_or_b32 v5, v5, s2, v6
	v_cmp_ne_u32_e32 vcc, 0, v7
	v_cmp_ne_u32_e64 s[2:3], 0, v5
	s_and_b64 s[2:3], vcc, s[2:3]
	v_cndmask_b32_e64 v5, 0, 1, s[2:3]
	v_add_u32_e32 v4, v4, v5
; %bb.1014:
	s_or_b64 exec, exec, s[24:25]
	s_mov_b64 s[2:3], 0
	s_branch .LBB323_1019
.LBB323_1015:
                                        ; implicit-def: $vgpr4
	s_branch .LBB323_1046
.LBB323_1016:
                                        ; implicit-def: $vgpr4
	s_branch .LBB323_1029
.LBB323_1017:
	s_mov_b64 s[2:3], -1
                                        ; implicit-def: $vgpr4
	s_branch .LBB323_1024
.LBB323_1018:
	s_mov_b64 s[2:3], -1
                                        ; implicit-def: $vgpr4
.LBB323_1019:
	s_andn2_b64 vcc, exec, s[2:3]
	s_cbranch_vccnz .LBB323_1023
; %bb.1020:
	global_load_dword v5, v[0:1], off
	s_movk_i32 s2, 0xff
	s_waitcnt vmcnt(1)
	v_mov_b32_e32 v4, 0xff
	s_waitcnt vmcnt(0)
	v_bfe_u32 v6, v5, 23, 8
	v_cmp_ne_u32_e32 vcc, s2, v6
	s_and_saveexec_b64 s[24:25], vcc
; %bb.1021:
	s_mov_b32 s2, 0x3fffff
	v_lshrrev_b32_e32 v4, 23, v5
	v_and_b32_e32 v7, 0x400000, v5
	v_and_or_b32 v5, v5, s2, v6
	v_cmp_ne_u32_e32 vcc, 0, v7
	v_cmp_ne_u32_e64 s[2:3], 0, v5
	s_and_b64 s[2:3], vcc, s[2:3]
	v_cndmask_b32_e64 v5, 0, 1, s[2:3]
	v_add_u32_e32 v4, v4, v5
; %bb.1022:
	s_or_b64 exec, exec, s[24:25]
.LBB323_1023:
	s_mov_b64 s[2:3], 0
.LBB323_1024:
	s_andn2_b64 vcc, exec, s[2:3]
	s_cbranch_vccnz .LBB323_1028
; %bb.1025:
	global_load_dword v4, v[0:1], off
	s_movk_i32 s2, 0xff
	s_waitcnt vmcnt(0)
	v_cvt_f32_f16_e32 v5, v4
	v_mov_b32_e32 v4, 0xff
	v_bfe_u32 v6, v5, 23, 8
	v_cmp_ne_u32_e32 vcc, s2, v6
	s_and_saveexec_b64 s[24:25], vcc
; %bb.1026:
	s_mov_b32 s2, 0x3fffff
	v_lshrrev_b32_e32 v4, 23, v5
	v_and_b32_e32 v7, 0x400000, v5
	v_and_or_b32 v5, v5, s2, v6
	v_cmp_ne_u32_e32 vcc, 0, v7
	v_cmp_ne_u32_e64 s[2:3], 0, v5
	s_and_b64 s[2:3], vcc, s[2:3]
	v_cndmask_b32_e64 v5, 0, 1, s[2:3]
	v_add_u32_e32 v4, v4, v5
; %bb.1027:
	s_or_b64 exec, exec, s[24:25]
.LBB323_1028:
	s_cbranch_execnz .LBB323_1045
.LBB323_1029:
	s_sext_i32_i16 s2, s15
	s_cmp_lt_i32 s2, 6
	s_cbranch_scc1 .LBB323_1034
; %bb.1030:
	s_cmp_gt_i32 s2, 6
	s_cbranch_scc0 .LBB323_1035
; %bb.1031:
	global_load_dwordx2 v[4:5], v[0:1], off
	s_movk_i32 s2, 0xff
	s_waitcnt vmcnt(0)
	v_cvt_f32_f64_e32 v5, v[4:5]
	v_mov_b32_e32 v4, 0xff
	v_bfe_u32 v6, v5, 23, 8
	v_cmp_ne_u32_e32 vcc, s2, v6
	s_and_saveexec_b64 s[24:25], vcc
; %bb.1032:
	s_mov_b32 s2, 0x3fffff
	v_lshrrev_b32_e32 v4, 23, v5
	v_and_b32_e32 v7, 0x400000, v5
	v_and_or_b32 v5, v5, s2, v6
	v_cmp_ne_u32_e32 vcc, 0, v7
	v_cmp_ne_u32_e64 s[2:3], 0, v5
	s_and_b64 s[2:3], vcc, s[2:3]
	v_cndmask_b32_e64 v5, 0, 1, s[2:3]
	v_add_u32_e32 v4, v4, v5
; %bb.1033:
	s_or_b64 exec, exec, s[24:25]
	s_mov_b64 s[2:3], 0
	s_branch .LBB323_1036
.LBB323_1034:
	s_mov_b64 s[2:3], -1
                                        ; implicit-def: $vgpr4
	s_branch .LBB323_1041
.LBB323_1035:
	s_mov_b64 s[2:3], -1
                                        ; implicit-def: $vgpr4
.LBB323_1036:
	s_andn2_b64 vcc, exec, s[2:3]
	s_cbranch_vccnz .LBB323_1040
; %bb.1037:
	global_load_dword v5, v[0:1], off
	s_movk_i32 s2, 0xff
	s_waitcnt vmcnt(1)
	v_mov_b32_e32 v4, 0xff
	s_waitcnt vmcnt(0)
	v_bfe_u32 v6, v5, 23, 8
	v_cmp_ne_u32_e32 vcc, s2, v6
	s_and_saveexec_b64 s[24:25], vcc
; %bb.1038:
	s_mov_b32 s2, 0x3fffff
	v_lshrrev_b32_e32 v4, 23, v5
	v_and_b32_e32 v7, 0x400000, v5
	v_and_or_b32 v5, v5, s2, v6
	v_cmp_ne_u32_e32 vcc, 0, v7
	v_cmp_ne_u32_e64 s[2:3], 0, v5
	s_and_b64 s[2:3], vcc, s[2:3]
	v_cndmask_b32_e64 v5, 0, 1, s[2:3]
	v_add_u32_e32 v4, v4, v5
; %bb.1039:
	s_or_b64 exec, exec, s[24:25]
.LBB323_1040:
	s_mov_b64 s[2:3], 0
.LBB323_1041:
	s_andn2_b64 vcc, exec, s[2:3]
	s_cbranch_vccnz .LBB323_1045
; %bb.1042:
	global_load_ushort v4, v[0:1], off
	s_movk_i32 s2, 0xff
	s_waitcnt vmcnt(0)
	v_cvt_f32_f16_e32 v5, v4
	v_mov_b32_e32 v4, 0xff
	v_bfe_u32 v6, v5, 23, 8
	v_cmp_ne_u32_e32 vcc, s2, v6
	s_and_saveexec_b64 s[24:25], vcc
; %bb.1043:
	s_mov_b32 s2, 0x3fffff
	v_lshrrev_b32_e32 v4, 23, v5
	v_and_b32_e32 v7, 0x400000, v5
	v_and_or_b32 v5, v5, s2, v6
	v_cmp_ne_u32_e32 vcc, 0, v7
	v_cmp_ne_u32_e64 s[2:3], 0, v5
	s_and_b64 s[2:3], vcc, s[2:3]
	v_cndmask_b32_e64 v5, 0, 1, s[2:3]
	v_add_u32_e32 v4, v4, v5
; %bb.1044:
	s_or_b64 exec, exec, s[24:25]
.LBB323_1045:
	s_cbranch_execnz .LBB323_1074
.LBB323_1046:
	s_sext_i32_i16 s2, s15
	s_cmp_lt_i32 s2, 2
	s_cbranch_scc1 .LBB323_1052
; %bb.1047:
	s_cmp_lt_i32 s2, 3
	s_cbranch_scc1 .LBB323_1053
; %bb.1048:
	s_cmp_gt_i32 s2, 3
	s_cbranch_scc0 .LBB323_1054
; %bb.1049:
	global_load_dwordx2 v[4:5], v[0:1], off
	s_movk_i32 s2, 0xff
	s_waitcnt vmcnt(0)
	v_xor_b32_e32 v7, v4, v5
	v_ffbh_i32_e32 v6, v5
	v_ashrrev_i32_e32 v7, 31, v7
	v_add_u32_e32 v6, -1, v6
	v_add_u32_e32 v7, 32, v7
	v_min_u32_e32 v6, v6, v7
	v_lshlrev_b64 v[4:5], v6, v[4:5]
	v_min_u32_e32 v4, 1, v4
	v_or_b32_e32 v4, v5, v4
	v_cvt_f32_i32_e32 v4, v4
	v_sub_u32_e32 v5, 32, v6
	v_ldexp_f32 v5, v4, v5
	v_bfe_u32 v6, v5, 23, 8
	v_cmp_ne_u32_e32 vcc, s2, v6
	v_mov_b32_e32 v4, 0xff
	s_and_saveexec_b64 s[24:25], vcc
; %bb.1050:
	s_mov_b32 s2, 0x3fffff
	v_lshrrev_b32_e32 v4, 23, v5
	v_and_b32_e32 v7, 0x400000, v5
	v_and_or_b32 v5, v5, s2, v6
	v_cmp_ne_u32_e32 vcc, 0, v7
	v_cmp_ne_u32_e64 s[2:3], 0, v5
	s_and_b64 s[2:3], vcc, s[2:3]
	v_cndmask_b32_e64 v5, 0, 1, s[2:3]
	v_add_u32_e32 v4, v4, v5
; %bb.1051:
	s_or_b64 exec, exec, s[24:25]
	s_mov_b64 s[2:3], 0
	s_branch .LBB323_1055
.LBB323_1052:
                                        ; implicit-def: $vgpr4
	s_branch .LBB323_1065
.LBB323_1053:
	s_mov_b64 s[2:3], -1
                                        ; implicit-def: $vgpr4
	s_branch .LBB323_1060
.LBB323_1054:
	s_mov_b64 s[2:3], -1
                                        ; implicit-def: $vgpr4
.LBB323_1055:
	s_andn2_b64 vcc, exec, s[2:3]
	s_cbranch_vccnz .LBB323_1059
; %bb.1056:
	global_load_dword v4, v[0:1], off
	s_movk_i32 s2, 0xff
	s_waitcnt vmcnt(0)
	v_cvt_f32_i32_e32 v5, v4
	v_mov_b32_e32 v4, 0xff
	v_bfe_u32 v6, v5, 23, 8
	v_cmp_ne_u32_e32 vcc, s2, v6
	s_and_saveexec_b64 s[24:25], vcc
; %bb.1057:
	s_mov_b32 s2, 0x3fffff
	v_lshrrev_b32_e32 v4, 23, v5
	v_and_b32_e32 v7, 0x400000, v5
	v_and_or_b32 v5, v5, s2, v6
	v_cmp_ne_u32_e32 vcc, 0, v7
	v_cmp_ne_u32_e64 s[2:3], 0, v5
	s_and_b64 s[2:3], vcc, s[2:3]
	v_cndmask_b32_e64 v5, 0, 1, s[2:3]
	v_add_u32_e32 v4, v4, v5
; %bb.1058:
	s_or_b64 exec, exec, s[24:25]
.LBB323_1059:
	s_mov_b64 s[2:3], 0
.LBB323_1060:
	s_andn2_b64 vcc, exec, s[2:3]
	s_cbranch_vccnz .LBB323_1064
; %bb.1061:
	global_load_sshort v4, v[0:1], off
	s_movk_i32 s2, 0xff
	s_waitcnt vmcnt(0)
	v_cvt_f32_i32_e32 v5, v4
	v_mov_b32_e32 v4, 0xff
	v_bfe_u32 v6, v5, 23, 8
	v_cmp_ne_u32_e32 vcc, s2, v6
	s_and_saveexec_b64 s[24:25], vcc
; %bb.1062:
	s_mov_b32 s2, 0x3fffff
	v_lshrrev_b32_e32 v4, 23, v5
	v_and_b32_e32 v7, 0x400000, v5
	v_and_or_b32 v5, v5, s2, v6
	v_cmp_ne_u32_e32 vcc, 0, v7
	v_cmp_ne_u32_e64 s[2:3], 0, v5
	s_and_b64 s[2:3], vcc, s[2:3]
	v_cndmask_b32_e64 v5, 0, 1, s[2:3]
	v_add_u32_e32 v4, v4, v5
; %bb.1063:
	s_or_b64 exec, exec, s[24:25]
.LBB323_1064:
	s_cbranch_execnz .LBB323_1074
.LBB323_1065:
	s_sext_i32_i16 s2, s15
	s_cmp_gt_i32 s2, 0
	s_cbranch_scc0 .LBB323_1069
; %bb.1066:
	global_load_sbyte v4, v[0:1], off
	s_movk_i32 s2, 0xff
	s_waitcnt vmcnt(0)
	v_cvt_f32_i32_e32 v5, v4
	v_mov_b32_e32 v4, 0xff
	v_bfe_u32 v6, v5, 23, 8
	v_cmp_ne_u32_e32 vcc, s2, v6
	s_and_saveexec_b64 s[24:25], vcc
; %bb.1067:
	s_mov_b32 s2, 0x3fffff
	v_lshrrev_b32_e32 v4, 23, v5
	v_and_b32_e32 v7, 0x400000, v5
	v_and_or_b32 v5, v5, s2, v6
	v_cmp_ne_u32_e32 vcc, 0, v7
	v_cmp_ne_u32_e64 s[2:3], 0, v5
	s_and_b64 s[2:3], vcc, s[2:3]
	v_cndmask_b32_e64 v5, 0, 1, s[2:3]
	v_add_u32_e32 v4, v4, v5
; %bb.1068:
	s_or_b64 exec, exec, s[24:25]
	s_mov_b64 s[2:3], 0
	s_branch .LBB323_1070
.LBB323_1069:
	s_mov_b64 s[2:3], -1
                                        ; implicit-def: $vgpr4
.LBB323_1070:
	s_andn2_b64 vcc, exec, s[2:3]
	s_cbranch_vccnz .LBB323_1074
; %bb.1071:
	global_load_ubyte v0, v[0:1], off
	s_movk_i32 s2, 0xff
	s_waitcnt vmcnt(1)
	v_mov_b32_e32 v4, 0xff
	s_waitcnt vmcnt(0)
	v_cvt_f32_ubyte0_e32 v1, v0
	v_lshrrev_b32_e32 v0, 23, v1
	v_cmp_ne_u32_e32 vcc, s2, v0
	s_and_saveexec_b64 s[24:25], vcc
; %bb.1072:
	s_mov_b32 s2, 0x3fffff
	v_and_b32_e32 v4, 0x400000, v1
	v_and_or_b32 v1, v1, s2, v0
	v_cmp_ne_u32_e32 vcc, 0, v4
	v_cmp_ne_u32_e64 s[2:3], 0, v1
	s_and_b64 s[2:3], vcc, s[2:3]
	v_cndmask_b32_e64 v1, 0, 1, s[2:3]
	v_add_u32_e32 v4, v0, v1
; %bb.1073:
	s_or_b64 exec, exec, s[24:25]
.LBB323_1074:
	s_or_b64 s[30:31], s[30:31], exec
.LBB323_1075:
	s_or_b64 exec, exec, s[22:23]
	s_mov_b64 s[26:27], 0
	s_mov_b64 s[24:25], 0
                                        ; implicit-def: $sgpr2_sgpr3
                                        ; implicit-def: $sgpr33
                                        ; implicit-def: $vgpr0_vgpr1
	s_and_saveexec_b64 s[22:23], s[30:31]
	s_cbranch_execz .LBB323_1150
; %bb.1076:
	s_movk_i32 s2, 0xff
	v_mov_b32_e32 v0, 23
	s_waitcnt vmcnt(0)
	v_lshlrev_b32_sdwa v0, v0, v4 dst_sel:DWORD dst_unused:UNUSED_PAD src0_sel:DWORD src1_sel:BYTE_0
	v_mov_b32_e32 v1, 0x7f800001
	v_cmp_ne_u16_sdwa vcc, v4, s2 src0_sel:BYTE_0 src1_sel:DWORD
	v_cndmask_b32_e32 v0, v1, v0, vcc
	v_mov_b32_e32 v1, 0
	v_mov_b32_e32 v5, 0x400000
	v_cmp_ne_u16_sdwa vcc, v4, v1 src0_sel:BYTE_0 src1_sel:DWORD
	v_cndmask_b32_e32 v0, v5, v0, vcc
	v_cmp_eq_f32_e32 vcc, v3, v0
	v_cndmask_b32_e64 v1, 0, 1, vcc
	v_cmp_neq_f32_e32 vcc, v3, v0
	v_mul_lo_u32 v2, v2, s12
	v_cndmask_b32_e64 v0, 0, 1, vcc
	v_cndmask_b32_e64 v0, v0, v1, s[0:1]
	v_and_b32_e32 v0, 1, v0
	v_cmp_eq_u32_e64 s[2:3], 1, v0
	v_ashrrev_i32_e32 v1, 31, v2
	v_mov_b32_e32 v3, s9
	s_and_b32 s33, s17, 0xff
	v_add_co_u32_e32 v0, vcc, s8, v2
	s_cmp_lt_i32 s33, 11
	v_addc_co_u32_e32 v1, vcc, v3, v1, vcc
	s_cbranch_scc1 .LBB323_1153
; %bb.1077:
	s_and_b32 s34, 0xffff, s33
	s_mov_b64 s[26:27], -1
	s_cmp_gt_i32 s34, 25
	s_mov_b64 s[0:1], s[20:21]
	s_cbranch_scc0 .LBB323_1110
; %bb.1078:
	s_mov_b64 s[24:25], -1
	s_cmp_gt_i32 s34, 28
	s_mov_b64 s[0:1], s[20:21]
	s_cbranch_scc0 .LBB323_1094
; %bb.1079:
	s_cmp_gt_i32 s34, 43
	s_mov_b64 s[0:1], s[20:21]
	s_cbranch_scc0 .LBB323_1090
; %bb.1080:
	;; [unrolled: 4-line block ×3, first 2 shown]
	s_cmp_eq_u32 s34, 46
	s_mov_b64 s[0:1], -1
	s_cbranch_scc0 .LBB323_1083
; %bb.1082:
	v_cndmask_b32_e64 v2, 0, 1.0, s[2:3]
	v_bfe_u32 v3, v2, 16, 1
	s_movk_i32 s0, 0x7fff
	v_add3_u32 v2, v2, v3, s0
	v_lshrrev_b32_e32 v2, 16, v2
	global_store_dword v[0:1], v2, off
	s_mov_b64 s[0:1], 0
.LBB323_1083:
	s_mov_b64 s[24:25], 0
.LBB323_1084:
	s_and_b64 vcc, exec, s[24:25]
	s_cbranch_vccz .LBB323_1089
; %bb.1085:
	s_cmp_eq_u32 s34, 44
	s_mov_b64 s[0:1], -1
	s_cbranch_scc0 .LBB323_1089
; %bb.1086:
	v_cndmask_b32_e64 v3, 0, 1.0, s[2:3]
	v_lshrrev_b32_e32 v2, 23, v3
	s_movk_i32 s0, 0xff
	v_cmp_ne_u32_e32 vcc, s0, v2
	v_mov_b32_e32 v4, 0xff
	s_and_saveexec_b64 s[24:25], vcc
; %bb.1087:
	s_mov_b32 s0, 0x3fffff
	v_and_b32_e32 v4, 0x400000, v3
	v_and_or_b32 v3, v3, s0, v2
	v_cmp_ne_u32_e32 vcc, 0, v4
	v_cmp_ne_u32_e64 s[0:1], 0, v3
	s_and_b64 s[0:1], vcc, s[0:1]
	v_cndmask_b32_e64 v3, 0, 1, s[0:1]
	v_add_u32_e32 v4, v2, v3
; %bb.1088:
	s_or_b64 exec, exec, s[24:25]
	s_mov_b64 s[0:1], 0
	global_store_byte v[0:1], v4, off
.LBB323_1089:
	s_mov_b64 s[24:25], 0
.LBB323_1090:
	s_and_b64 vcc, exec, s[24:25]
	s_cbranch_vccz .LBB323_1093
; %bb.1091:
	s_cmp_eq_u32 s34, 29
	s_mov_b64 s[0:1], -1
	s_cbranch_scc0 .LBB323_1093
; %bb.1092:
	s_mov_b32 s0, 0
	v_cndmask_b32_e64 v2, 0, 1, s[2:3]
	v_mov_b32_e32 v3, s0
	global_store_dwordx2 v[0:1], v[2:3], off
	s_mov_b64 s[0:1], 0
.LBB323_1093:
	s_mov_b64 s[24:25], 0
.LBB323_1094:
	s_and_b64 vcc, exec, s[24:25]
	s_cbranch_vccz .LBB323_1109
; %bb.1095:
	s_cmp_lt_i32 s34, 27
	s_mov_b64 s[24:25], -1
	s_cbranch_scc1 .LBB323_1101
; %bb.1096:
	s_cmp_gt_i32 s34, 27
	v_cndmask_b32_e64 v2, 0, 1, s[2:3]
	s_cbranch_scc0 .LBB323_1098
; %bb.1097:
	s_mov_b64 s[24:25], 0
	global_store_dword v[0:1], v2, off
.LBB323_1098:
	s_andn2_b64 vcc, exec, s[24:25]
	s_cbranch_vccnz .LBB323_1100
; %bb.1099:
	global_store_short v[0:1], v2, off
.LBB323_1100:
	s_mov_b64 s[24:25], 0
.LBB323_1101:
	s_andn2_b64 vcc, exec, s[24:25]
	s_cbranch_vccnz .LBB323_1109
; %bb.1102:
	v_cndmask_b32_e64 v3, 0, 1.0, s[2:3]
	s_mov_b32 s24, 0x43800000
	v_cmp_gt_u32_e32 vcc, s24, v3
	v_mov_b32_e32 v4, 0x80
	s_and_saveexec_b64 s[24:25], vcc
	s_cbranch_execz .LBB323_1108
; %bb.1103:
	s_mov_b32 s26, 0x3bffffff
	v_cmp_lt_u32_e32 vcc, s26, v3
	s_mov_b64 s[26:27], 0
                                        ; implicit-def: $vgpr2
	s_and_saveexec_b64 s[28:29], vcc
	s_xor_b64 s[28:29], exec, s[28:29]
	s_cbranch_execz .LBB323_1215
; %bb.1104:
	v_bfe_u32 v2, v3, 20, 1
	s_mov_b32 s30, 0x487ffff
	v_add3_u32 v2, v3, v2, s30
	s_mov_b64 s[26:27], exec
	v_lshrrev_b32_e32 v2, 20, v2
                                        ; implicit-def: $vgpr3
	s_andn2_saveexec_b64 s[28:29], s[28:29]
	s_cbranch_execnz .LBB323_1216
.LBB323_1105:
	s_or_b64 exec, exec, s[28:29]
	v_mov_b32_e32 v4, 0
	s_and_saveexec_b64 s[28:29], s[26:27]
.LBB323_1106:
	v_mov_b32_e32 v4, v2
.LBB323_1107:
	s_or_b64 exec, exec, s[28:29]
.LBB323_1108:
	s_or_b64 exec, exec, s[24:25]
	global_store_byte v[0:1], v4, off
.LBB323_1109:
	s_mov_b64 s[26:27], 0
.LBB323_1110:
	s_mov_b64 s[24:25], 0
	s_and_b64 vcc, exec, s[26:27]
	s_cbranch_vccz .LBB323_1154
; %bb.1111:
	s_cmp_gt_i32 s34, 22
	s_mov_b64 s[26:27], -1
	s_cbranch_scc0 .LBB323_1143
; %bb.1112:
	s_cmp_lt_i32 s34, 24
	s_cbranch_scc1 .LBB323_1132
; %bb.1113:
	s_cmp_gt_i32 s34, 24
	s_cbranch_scc0 .LBB323_1121
; %bb.1114:
	v_cndmask_b32_e64 v3, 0, 1.0, s[2:3]
	s_mov_b32 s26, 0x47800000
	v_cmp_gt_u32_e32 vcc, s26, v3
	v_mov_b32_e32 v4, 0x80
	s_and_saveexec_b64 s[26:27], vcc
	s_cbranch_execz .LBB323_1120
; %bb.1115:
	s_mov_b32 s28, 0x37ffffff
	v_cmp_lt_u32_e32 vcc, s28, v3
	s_mov_b64 s[28:29], 0
                                        ; implicit-def: $vgpr2
	s_and_saveexec_b64 s[30:31], vcc
	s_xor_b64 s[30:31], exec, s[30:31]
	s_cbranch_execz .LBB323_1382
; %bb.1116:
	v_bfe_u32 v2, v3, 21, 1
	s_mov_b32 s35, 0x88fffff
	v_add3_u32 v2, v3, v2, s35
	s_mov_b64 s[28:29], exec
	v_lshrrev_b32_e32 v2, 21, v2
                                        ; implicit-def: $vgpr3
	s_andn2_saveexec_b64 s[30:31], s[30:31]
	s_cbranch_execnz .LBB323_1383
.LBB323_1117:
	s_or_b64 exec, exec, s[30:31]
	v_mov_b32_e32 v4, 0
	s_and_saveexec_b64 s[30:31], s[28:29]
.LBB323_1118:
	v_mov_b32_e32 v4, v2
.LBB323_1119:
	s_or_b64 exec, exec, s[30:31]
.LBB323_1120:
	s_or_b64 exec, exec, s[26:27]
	s_mov_b64 s[26:27], 0
	global_store_byte v[0:1], v4, off
.LBB323_1121:
	s_and_b64 vcc, exec, s[26:27]
	s_cbranch_vccz .LBB323_1131
; %bb.1122:
	v_cndmask_b32_e64 v2, 0, 1.0, s[2:3]
	s_mov_b32 s26, 0x43f00000
	v_cmp_gt_u32_e32 vcc, s26, v2
                                        ; implicit-def: $vgpr3
	s_and_saveexec_b64 s[26:27], vcc
	s_xor_b64 s[26:27], exec, s[26:27]
	s_cbranch_execz .LBB323_1128
; %bb.1123:
	s_mov_b32 s28, 0x3c7fffff
	v_cmp_lt_u32_e32 vcc, s28, v2
                                        ; implicit-def: $vgpr3
	s_and_saveexec_b64 s[28:29], vcc
	s_xor_b64 s[28:29], exec, s[28:29]
; %bb.1124:
	v_bfe_u32 v3, v2, 20, 1
	s_mov_b32 s30, 0x407ffff
	v_add3_u32 v2, v2, v3, s30
	v_lshrrev_b32_e32 v3, 20, v2
	v_and_b32_e32 v2, 0xff00000, v2
	s_mov_b32 s30, 0x7f00000
	v_mov_b32_e32 v4, 0x7e
	v_cmp_ne_u32_e32 vcc, s30, v2
	v_cndmask_b32_e32 v3, v4, v3, vcc
                                        ; implicit-def: $vgpr2
; %bb.1125:
	s_andn2_saveexec_b64 s[28:29], s[28:29]
; %bb.1126:
	v_add_f32_e32 v3, 0x46800000, v2
; %bb.1127:
	s_or_b64 exec, exec, s[28:29]
                                        ; implicit-def: $vgpr2
.LBB323_1128:
	s_andn2_saveexec_b64 s[26:27], s[26:27]
; %bb.1129:
	s_mov_b32 s28, 0x7f800000
	v_mov_b32_e32 v3, 0x7e
	v_mov_b32_e32 v4, 0x7f
	v_cmp_lt_u32_e32 vcc, s28, v2
	v_cndmask_b32_e32 v3, v3, v4, vcc
; %bb.1130:
	s_or_b64 exec, exec, s[26:27]
	global_store_byte v[0:1], v3, off
.LBB323_1131:
	s_mov_b64 s[26:27], 0
.LBB323_1132:
	s_andn2_b64 vcc, exec, s[26:27]
	s_cbranch_vccnz .LBB323_1142
; %bb.1133:
	v_cndmask_b32_e64 v2, 0, 1.0, s[2:3]
	s_mov_b32 s26, 0x47800000
	v_cmp_gt_u32_e32 vcc, s26, v2
                                        ; implicit-def: $vgpr3
	s_and_saveexec_b64 s[26:27], vcc
	s_xor_b64 s[26:27], exec, s[26:27]
	s_cbranch_execz .LBB323_1139
; %bb.1134:
	s_mov_b32 s28, 0x387fffff
	v_cmp_lt_u32_e32 vcc, s28, v2
                                        ; implicit-def: $vgpr3
	s_and_saveexec_b64 s[28:29], vcc
	s_xor_b64 s[28:29], exec, s[28:29]
; %bb.1135:
	v_bfe_u32 v3, v2, 21, 1
	s_mov_b32 s30, 0x80fffff
	v_add3_u32 v2, v2, v3, s30
	v_lshrrev_b32_e32 v3, 21, v2
                                        ; implicit-def: $vgpr2
; %bb.1136:
	s_andn2_saveexec_b64 s[28:29], s[28:29]
; %bb.1137:
	v_add_f32_e32 v3, 0x43000000, v2
; %bb.1138:
	s_or_b64 exec, exec, s[28:29]
                                        ; implicit-def: $vgpr2
.LBB323_1139:
	s_andn2_saveexec_b64 s[26:27], s[26:27]
; %bb.1140:
	s_mov_b32 s28, 0x7f800000
	v_mov_b32_e32 v3, 0x7c
	v_mov_b32_e32 v4, 0x7f
	v_cmp_lt_u32_e32 vcc, s28, v2
	v_cndmask_b32_e32 v3, v3, v4, vcc
; %bb.1141:
	s_or_b64 exec, exec, s[26:27]
	global_store_byte v[0:1], v3, off
.LBB323_1142:
	s_mov_b64 s[26:27], 0
.LBB323_1143:
	s_andn2_b64 vcc, exec, s[26:27]
	s_mov_b64 s[26:27], 0
	s_cbranch_vccnz .LBB323_1155
; %bb.1144:
	s_cmp_gt_i32 s34, 14
	s_mov_b64 s[28:29], -1
	s_cbranch_scc0 .LBB323_1148
; %bb.1145:
	s_cmp_eq_u32 s34, 15
	s_mov_b64 s[0:1], -1
	s_cbranch_scc0 .LBB323_1147
; %bb.1146:
	v_cndmask_b32_e64 v2, 0, 1.0, s[2:3]
	v_bfe_u32 v3, v2, 16, 1
	s_movk_i32 s0, 0x7fff
	v_add3_u32 v2, v2, v3, s0
	global_store_short_d16_hi v[0:1], v2, off
	s_mov_b64 s[0:1], 0
.LBB323_1147:
	s_mov_b64 s[28:29], 0
.LBB323_1148:
	s_and_b64 vcc, exec, s[28:29]
	s_cbranch_vccz .LBB323_1155
; %bb.1149:
	s_cmp_lg_u32 s34, 11
	s_cselect_b64 s[28:29], -1, 0
	s_andn2_b64 s[0:1], s[0:1], exec
	s_and_b64 s[28:29], s[28:29], exec
	s_mov_b64 s[26:27], -1
	s_or_b64 s[0:1], s[0:1], s[28:29]
	s_branch .LBB323_1155
.LBB323_1150:
	s_or_b64 exec, exec, s[22:23]
	s_and_saveexec_b64 s[0:1], s[20:21]
	s_cbranch_execnz .LBB323_1156
.LBB323_1151:
	s_or_b64 exec, exec, s[0:1]
	s_and_saveexec_b64 s[0:1], s[26:27]
	s_xor_b64 s[0:1], exec, s[0:1]
	s_cbranch_execz .LBB323_1157
.LBB323_1152:
	v_cndmask_b32_e64 v2, 0, 1, s[2:3]
	global_store_byte v[0:1], v2, off
	s_or_b64 exec, exec, s[0:1]
	s_and_saveexec_b64 s[0:1], s[24:25]
	s_xor_b64 s[0:1], exec, s[0:1]
	s_cbranch_execz .LBB323_1195
	s_branch .LBB323_1158
.LBB323_1153:
	s_mov_b64 s[24:25], -1
	s_mov_b64 s[0:1], s[20:21]
	s_branch .LBB323_1155
.LBB323_1154:
	s_mov_b64 s[26:27], 0
.LBB323_1155:
	s_andn2_b64 s[20:21], s[20:21], exec
	s_and_b64 s[0:1], s[0:1], exec
	s_and_b64 s[24:25], s[24:25], exec
	s_and_b64 s[26:27], s[26:27], exec
	s_or_b64 s[20:21], s[20:21], s[0:1]
	s_or_b64 exec, exec, s[22:23]
	s_and_saveexec_b64 s[0:1], s[20:21]
	s_cbranch_execz .LBB323_1151
.LBB323_1156:
	s_or_b64 s[4:5], s[4:5], exec
	s_andn2_b64 s[26:27], s[26:27], exec
	s_trap 2
	s_or_b64 exec, exec, s[0:1]
	s_and_saveexec_b64 s[0:1], s[26:27]
	s_xor_b64 s[0:1], exec, s[0:1]
	s_cbranch_execnz .LBB323_1152
.LBB323_1157:
	s_or_b64 exec, exec, s[0:1]
	s_and_saveexec_b64 s[0:1], s[24:25]
	s_xor_b64 s[0:1], exec, s[0:1]
	s_cbranch_execz .LBB323_1195
.LBB323_1158:
	s_sext_i32_i16 s22, s33
	s_cmp_lt_i32 s22, 5
	s_mov_b64 s[20:21], -1
	s_cbranch_scc1 .LBB323_1179
; %bb.1159:
	s_cmp_lt_i32 s22, 8
	s_cbranch_scc1 .LBB323_1169
; %bb.1160:
	s_cmp_lt_i32 s22, 9
	s_cbranch_scc1 .LBB323_1166
; %bb.1161:
	s_cmp_gt_i32 s22, 9
	s_cbranch_scc0 .LBB323_1163
; %bb.1162:
	v_cndmask_b32_e64 v2, 0, 1, s[2:3]
	v_cvt_f64_u32_e32 v[2:3], v2
	s_waitcnt vmcnt(0)
	v_mov_b32_e32 v4, 0
	v_mov_b32_e32 v5, v4
	s_mov_b64 s[20:21], 0
	global_store_dwordx4 v[0:1], v[2:5], off
.LBB323_1163:
	s_andn2_b64 vcc, exec, s[20:21]
	s_cbranch_vccnz .LBB323_1165
; %bb.1164:
	v_cndmask_b32_e64 v2, 0, 1.0, s[2:3]
	v_mov_b32_e32 v3, 0
	global_store_dwordx2 v[0:1], v[2:3], off
.LBB323_1165:
	s_mov_b64 s[20:21], 0
.LBB323_1166:
	s_andn2_b64 vcc, exec, s[20:21]
	s_cbranch_vccnz .LBB323_1168
; %bb.1167:
	v_cndmask_b32_e64 v2, 0, 1.0, s[2:3]
	v_cvt_f16_f32_e32 v2, v2
	global_store_dword v[0:1], v2, off
.LBB323_1168:
	s_mov_b64 s[20:21], 0
.LBB323_1169:
	s_andn2_b64 vcc, exec, s[20:21]
	s_cbranch_vccnz .LBB323_1178
; %bb.1170:
	s_sext_i32_i16 s22, s33
	s_cmp_lt_i32 s22, 6
	s_mov_b64 s[20:21], -1
	s_cbranch_scc1 .LBB323_1176
; %bb.1171:
	s_cmp_gt_i32 s22, 6
	s_cbranch_scc0 .LBB323_1173
; %bb.1172:
	v_cndmask_b32_e64 v2, 0, 1, s[2:3]
	v_cvt_f64_u32_e32 v[2:3], v2
	s_mov_b64 s[20:21], 0
	global_store_dwordx2 v[0:1], v[2:3], off
.LBB323_1173:
	s_andn2_b64 vcc, exec, s[20:21]
	s_cbranch_vccnz .LBB323_1175
; %bb.1174:
	v_cndmask_b32_e64 v2, 0, 1.0, s[2:3]
	global_store_dword v[0:1], v2, off
.LBB323_1175:
	s_mov_b64 s[20:21], 0
.LBB323_1176:
	s_andn2_b64 vcc, exec, s[20:21]
	s_cbranch_vccnz .LBB323_1178
; %bb.1177:
	v_cndmask_b32_e64 v2, 0, 1.0, s[2:3]
	v_cvt_f16_f32_e32 v2, v2
	global_store_short v[0:1], v2, off
.LBB323_1178:
	s_mov_b64 s[20:21], 0
.LBB323_1179:
	s_andn2_b64 vcc, exec, s[20:21]
	s_cbranch_vccnz .LBB323_1195
; %bb.1180:
	s_sext_i32_i16 s22, s33
	s_cmp_lt_i32 s22, 2
	s_mov_b64 s[20:21], -1
	s_cbranch_scc1 .LBB323_1190
; %bb.1181:
	s_cmp_lt_i32 s22, 3
	s_cbranch_scc1 .LBB323_1187
; %bb.1182:
	s_cmp_gt_i32 s22, 3
	s_cbranch_scc0 .LBB323_1184
; %bb.1183:
	s_mov_b32 s20, 0
	v_cndmask_b32_e64 v2, 0, 1, s[2:3]
	v_mov_b32_e32 v3, s20
	s_mov_b64 s[20:21], 0
	global_store_dwordx2 v[0:1], v[2:3], off
.LBB323_1184:
	s_andn2_b64 vcc, exec, s[20:21]
	s_cbranch_vccnz .LBB323_1186
; %bb.1185:
	v_cndmask_b32_e64 v2, 0, 1, s[2:3]
	global_store_dword v[0:1], v2, off
.LBB323_1186:
	s_mov_b64 s[20:21], 0
.LBB323_1187:
	s_andn2_b64 vcc, exec, s[20:21]
	s_cbranch_vccnz .LBB323_1189
; %bb.1188:
	v_cndmask_b32_e64 v2, 0, 1, s[2:3]
	global_store_short v[0:1], v2, off
.LBB323_1189:
	s_mov_b64 s[20:21], 0
.LBB323_1190:
	s_andn2_b64 vcc, exec, s[20:21]
	s_cbranch_vccnz .LBB323_1195
; %bb.1191:
	s_sext_i32_i16 s22, s33
	s_mov_b64 s[20:21], -1
	s_cmp_gt_i32 s22, 0
	v_cndmask_b32_e64 v2, 0, 1, s[2:3]
	s_cbranch_scc0 .LBB323_1193
; %bb.1192:
	s_mov_b64 s[20:21], 0
	global_store_byte v[0:1], v2, off
.LBB323_1193:
	s_andn2_b64 vcc, exec, s[20:21]
	s_cbranch_vccnz .LBB323_1195
; %bb.1194:
	global_store_byte v[0:1], v2, off
.LBB323_1195:
	s_or_b64 exec, exec, s[0:1]
	s_and_b64 s[20:21], s[4:5], exec
                                        ; implicit-def: $vgpr2
.LBB323_1196:
	s_or_saveexec_b64 s[18:19], s[18:19]
	s_mov_b64 s[0:1], 0
                                        ; implicit-def: $sgpr2_sgpr3
                                        ; implicit-def: $sgpr24
                                        ; implicit-def: $vgpr0_vgpr1
	s_xor_b64 exec, exec, s[18:19]
	s_cbranch_execz .LBB323_1206
; %bb.1197:
	s_waitcnt vmcnt(0)
	v_mul_lo_u32 v4, s13, v2
	v_mov_b32_e32 v1, s11
	s_and_b32 s15, 0xffff, s15
	s_cmp_lt_i32 s15, 11
	v_ashrrev_i32_e32 v3, 31, v4
	v_add_co_u32_e32 v0, vcc, s10, v4
	v_addc_co_u32_e32 v1, vcc, v1, v3, vcc
	s_cbranch_scc1 .LBB323_1209
; %bb.1198:
	s_cmp_gt_i32 s15, 25
	s_mov_b64 s[4:5], 0
	s_cbranch_scc0 .LBB323_1211
; %bb.1199:
	s_cmp_gt_i32 s15, 28
	s_cbranch_scc0 .LBB323_1212
; %bb.1200:
	s_cmp_gt_i32 s15, 43
	;; [unrolled: 3-line block ×3, first 2 shown]
	s_cbranch_scc0 .LBB323_1214
; %bb.1202:
	s_cmp_eq_u32 s15, 46
	s_cbranch_scc0 .LBB323_1217
; %bb.1203:
	global_load_dword v5, v[0:1], off
	s_movk_i32 s0, 0xff
	v_mov_b32_e32 v3, 0xff
	s_waitcnt vmcnt(0)
	v_lshlrev_b32_e32 v6, 16, v5
	v_bfe_u32 v7, v6, 23, 8
	v_cmp_ne_u32_e32 vcc, s0, v7
	s_and_saveexec_b64 s[2:3], vcc
; %bb.1204:
	v_bfe_u32 v3, v5, 7, 9
	v_and_b32_e32 v5, 64, v5
	s_mov_b32 s0, 0x3f0000
	v_cmp_ne_u32_e32 vcc, 0, v5
	v_and_or_b32 v5, v6, s0, v7
	v_cmp_ne_u32_e64 s[0:1], 0, v5
	s_and_b64 s[0:1], vcc, s[0:1]
	v_cndmask_b32_e64 v5, 0, 1, s[0:1]
	v_add_u32_e32 v3, v3, v5
; %bb.1205:
	s_or_b64 exec, exec, s[2:3]
	s_mov_b64 s[2:3], 0
	s_mov_b64 s[0:1], -1
	s_branch .LBB323_1219
.LBB323_1206:
	s_or_b64 exec, exec, s[18:19]
	s_and_saveexec_b64 s[4:5], s[20:21]
	s_cbranch_execz .LBB323_2315
.LBB323_1207:
	; divergent unreachable
	s_or_b64 exec, exec, s[4:5]
	s_and_saveexec_b64 s[4:5], s[6:7]
	s_xor_b64 s[4:5], exec, s[4:5]
	s_cbranch_execnz .LBB323_2316
.LBB323_1208:
	s_or_b64 exec, exec, s[4:5]
	s_and_saveexec_b64 s[4:5], s[0:1]
	s_cbranch_execnz .LBB323_2317
	s_branch .LBB323_2354
.LBB323_1209:
                                        ; implicit-def: $vgpr3
	s_mov_b64 s[22:23], s[20:21]
	s_cbranch_execnz .LBB323_1299
.LBB323_1210:
	s_andn2_b64 vcc, exec, s[0:1]
	s_cbranch_vccz .LBB323_1366
	s_branch .LBB323_2313
.LBB323_1211:
	s_mov_b64 s[2:3], 0
                                        ; implicit-def: $vgpr3
	s_cbranch_execnz .LBB323_1254
	s_branch .LBB323_1293
.LBB323_1212:
	s_mov_b64 s[2:3], 0
                                        ; implicit-def: $vgpr3
	s_cbranch_execz .LBB323_1253
	s_branch .LBB323_1230
.LBB323_1213:
	s_mov_b64 s[2:3], 0
                                        ; implicit-def: $vgpr3
	s_cbranch_execnz .LBB323_1224
	s_branch .LBB323_1229
.LBB323_1214:
	s_mov_b64 s[6:7], -1
	s_mov_b64 s[2:3], 0
	s_branch .LBB323_1218
.LBB323_1215:
	s_andn2_saveexec_b64 s[28:29], s[28:29]
	s_cbranch_execz .LBB323_1105
.LBB323_1216:
	v_add_f32_e32 v2, 0x46000000, v3
	v_and_b32_e32 v2, 0xff, v2
	v_cmp_ne_u32_e32 vcc, 0, v2
	s_andn2_b64 s[26:27], s[26:27], exec
	s_and_b64 s[30:31], vcc, exec
	s_or_b64 s[26:27], s[26:27], s[30:31]
	s_or_b64 exec, exec, s[28:29]
	v_mov_b32_e32 v4, 0
	s_and_saveexec_b64 s[28:29], s[26:27]
	s_cbranch_execnz .LBB323_1106
	s_branch .LBB323_1107
.LBB323_1217:
	s_mov_b64 s[2:3], -1
.LBB323_1218:
                                        ; implicit-def: $vgpr3
.LBB323_1219:
	s_and_b64 vcc, exec, s[6:7]
	s_cbranch_vccz .LBB323_1222
; %bb.1220:
	s_cmp_eq_u32 s15, 44
	s_cbranch_scc0 .LBB323_1223
; %bb.1221:
	global_load_ubyte v3, v[0:1], off
	s_mov_b64 s[2:3], 0
	s_mov_b64 s[0:1], -1
.LBB323_1222:
	s_branch .LBB323_1229
.LBB323_1223:
	s_mov_b64 s[2:3], -1
                                        ; implicit-def: $vgpr3
	s_branch .LBB323_1229
.LBB323_1224:
	s_cmp_eq_u32 s15, 29
	s_cbranch_scc0 .LBB323_1228
; %bb.1225:
	global_load_dwordx2 v[5:6], v[0:1], off
	s_movk_i32 s0, 0xff
	s_waitcnt vmcnt(0)
	v_ffbh_u32_e32 v3, v6
	v_min_u32_e32 v3, 32, v3
	v_lshlrev_b64 v[5:6], v3, v[5:6]
	v_sub_u32_e32 v3, 32, v3
	v_min_u32_e32 v5, 1, v5
	v_or_b32_e32 v5, v6, v5
	v_cvt_f32_u32_e32 v5, v5
	v_ldexp_f32 v6, v5, v3
	v_lshrrev_b32_e32 v5, 23, v6
	v_cmp_ne_u32_e32 vcc, s0, v5
	v_mov_b32_e32 v3, 0xff
	s_and_saveexec_b64 s[2:3], vcc
; %bb.1226:
	v_and_b32_e32 v3, 0x400000, v6
	s_mov_b32 s0, 0x3fffff
	v_cmp_ne_u32_e32 vcc, 0, v3
	v_and_or_b32 v3, v6, s0, v5
	v_cmp_ne_u32_e64 s[0:1], 0, v3
	s_and_b64 s[0:1], vcc, s[0:1]
	v_cndmask_b32_e64 v3, 0, 1, s[0:1]
	v_add_u32_e32 v3, v5, v3
; %bb.1227:
	s_or_b64 exec, exec, s[2:3]
	s_mov_b64 s[2:3], 0
	s_mov_b64 s[0:1], -1
	s_branch .LBB323_1229
.LBB323_1228:
	s_mov_b64 s[2:3], -1
                                        ; implicit-def: $vgpr3
.LBB323_1229:
	s_branch .LBB323_1253
.LBB323_1230:
	s_cmp_lt_i32 s15, 27
	s_cbranch_scc1 .LBB323_1235
; %bb.1231:
	s_cmp_gt_i32 s15, 27
	s_cbranch_scc0 .LBB323_1236
; %bb.1232:
	global_load_dword v3, v[0:1], off
	s_movk_i32 s0, 0xff
	s_waitcnt vmcnt(0)
	v_cvt_f32_u32_e32 v6, v3
	v_mov_b32_e32 v3, 0xff
	v_lshrrev_b32_e32 v5, 23, v6
	v_cmp_ne_u32_e32 vcc, s0, v5
	s_and_saveexec_b64 s[6:7], vcc
; %bb.1233:
	v_and_b32_e32 v3, 0x400000, v6
	s_mov_b32 s0, 0x3fffff
	v_cmp_ne_u32_e32 vcc, 0, v3
	v_and_or_b32 v3, v6, s0, v5
	v_cmp_ne_u32_e64 s[0:1], 0, v3
	s_and_b64 s[0:1], vcc, s[0:1]
	v_cndmask_b32_e64 v3, 0, 1, s[0:1]
	v_add_u32_e32 v3, v5, v3
; %bb.1234:
	s_or_b64 exec, exec, s[6:7]
	s_mov_b64 s[0:1], 0
	s_branch .LBB323_1237
.LBB323_1235:
	s_mov_b64 s[0:1], -1
                                        ; implicit-def: $vgpr3
	s_branch .LBB323_1242
.LBB323_1236:
	s_mov_b64 s[0:1], -1
                                        ; implicit-def: $vgpr3
.LBB323_1237:
	s_andn2_b64 vcc, exec, s[0:1]
	s_cbranch_vccnz .LBB323_1241
; %bb.1238:
	global_load_ushort v3, v[0:1], off
	s_movk_i32 s0, 0xff
	s_waitcnt vmcnt(0)
	v_cvt_f32_u32_e32 v6, v3
	v_mov_b32_e32 v3, 0xff
	v_lshrrev_b32_e32 v5, 23, v6
	v_cmp_ne_u32_e32 vcc, s0, v5
	s_and_saveexec_b64 s[6:7], vcc
; %bb.1239:
	v_and_b32_e32 v3, 0x400000, v6
	s_mov_b32 s0, 0x3fffff
	v_cmp_ne_u32_e32 vcc, 0, v3
	v_and_or_b32 v3, v6, s0, v5
	v_cmp_ne_u32_e64 s[0:1], 0, v3
	s_and_b64 s[0:1], vcc, s[0:1]
	v_cndmask_b32_e64 v3, 0, 1, s[0:1]
	v_add_u32_e32 v3, v5, v3
; %bb.1240:
	s_or_b64 exec, exec, s[6:7]
.LBB323_1241:
	s_mov_b64 s[0:1], 0
.LBB323_1242:
	s_andn2_b64 vcc, exec, s[0:1]
	s_cbranch_vccnz .LBB323_1252
; %bb.1243:
	global_load_ubyte v3, v[0:1], off
	s_movk_i32 s0, 0x7f
	s_waitcnt vmcnt(0)
	v_cmp_lt_i16_e32 vcc, s0, v3
	s_mov_b64 s[0:1], 0
	s_and_saveexec_b64 s[6:7], vcc
	s_xor_b64 s[6:7], exec, s[6:7]
	s_cbranch_execz .LBB323_1267
; %bb.1244:
	s_movk_i32 s0, 0x80
	v_cmp_eq_u16_e32 vcc, s0, v3
	s_mov_b64 s[0:1], -1
	s_and_saveexec_b64 s[22:23], vcc
; %bb.1245:
	s_xor_b64 s[0:1], exec, -1
; %bb.1246:
	s_or_b64 exec, exec, s[22:23]
	s_and_b64 s[0:1], s[0:1], exec
	s_or_saveexec_b64 s[6:7], s[6:7]
	v_mov_b32_e32 v5, 0x7f800001
	s_xor_b64 exec, exec, s[6:7]
	s_cbranch_execnz .LBB323_1268
.LBB323_1247:
	s_or_b64 exec, exec, s[6:7]
	s_and_saveexec_b64 s[6:7], s[0:1]
	s_cbranch_execz .LBB323_1249
.LBB323_1248:
	v_and_b32_e32 v3, 0xffff, v3
	v_and_b32_e32 v5, 7, v3
	v_ffbh_u32_e32 v7, v5
	v_min_u32_e32 v7, 32, v7
	v_subrev_u32_e32 v8, 28, v7
	v_bfe_u32 v6, v3, 3, 4
	v_lshlrev_b32_e32 v3, v8, v3
	v_and_b32_e32 v3, 7, v3
	v_cmp_eq_u32_e32 vcc, 0, v6
	v_sub_u32_e32 v7, 29, v7
	v_cndmask_b32_e32 v3, v5, v3, vcc
	v_cndmask_b32_e32 v6, v6, v7, vcc
	v_lshlrev_b32_e32 v3, 20, v3
	v_lshl_or_b32 v3, v6, 23, v3
	v_add_u32_e32 v5, 0x3b800000, v3
.LBB323_1249:
	s_or_b64 exec, exec, s[6:7]
	v_lshrrev_b32_e32 v6, 23, v5
	s_movk_i32 s0, 0xff
	v_cmp_ne_u32_e32 vcc, s0, v6
	v_mov_b32_e32 v3, 0xff
	s_and_saveexec_b64 s[6:7], vcc
; %bb.1250:
	v_and_b32_e32 v3, 0x400000, v5
	s_mov_b32 s0, 0x3fffff
	v_cmp_ne_u32_e32 vcc, 0, v3
	v_and_or_b32 v3, v5, s0, v6
	v_cmp_ne_u32_e64 s[0:1], 0, v3
	s_and_b64 s[0:1], vcc, s[0:1]
	v_cndmask_b32_e64 v3, 0, 1, s[0:1]
	v_add_u32_e32 v3, v6, v3
; %bb.1251:
	s_or_b64 exec, exec, s[6:7]
.LBB323_1252:
	s_mov_b64 s[0:1], -1
.LBB323_1253:
	s_branch .LBB323_1293
.LBB323_1254:
	s_cmp_gt_i32 s15, 22
	s_cbranch_scc0 .LBB323_1266
; %bb.1255:
	s_cmp_lt_i32 s15, 24
	s_cbranch_scc1 .LBB323_1269
; %bb.1256:
	s_cmp_gt_i32 s15, 24
	s_cbranch_scc0 .LBB323_1270
; %bb.1257:
	global_load_ubyte v3, v[0:1], off
	s_movk_i32 s0, 0x7f
	s_waitcnt vmcnt(0)
	v_cmp_lt_i16_e32 vcc, s0, v3
	s_mov_b64 s[0:1], 0
	s_and_saveexec_b64 s[4:5], vcc
	s_xor_b64 s[4:5], exec, s[4:5]
	s_cbranch_execz .LBB323_1287
; %bb.1258:
	s_movk_i32 s0, 0x80
	v_cmp_eq_u16_e32 vcc, s0, v3
	s_mov_b64 s[0:1], -1
	s_and_saveexec_b64 s[6:7], vcc
; %bb.1259:
	s_xor_b64 s[0:1], exec, -1
; %bb.1260:
	s_or_b64 exec, exec, s[6:7]
	s_and_b64 s[0:1], s[0:1], exec
	s_or_saveexec_b64 s[4:5], s[4:5]
	v_mov_b32_e32 v5, 0x7f800001
	s_xor_b64 exec, exec, s[4:5]
	s_cbranch_execnz .LBB323_1288
.LBB323_1261:
	s_or_b64 exec, exec, s[4:5]
	s_and_saveexec_b64 s[4:5], s[0:1]
	s_cbranch_execz .LBB323_1263
.LBB323_1262:
	v_and_b32_e32 v3, 0xffff, v3
	v_and_b32_e32 v5, 3, v3
	v_ffbh_u32_e32 v7, v5
	v_min_u32_e32 v7, 32, v7
	v_subrev_u32_e32 v8, 29, v7
	v_bfe_u32 v6, v3, 2, 5
	v_lshlrev_b32_e32 v3, v8, v3
	v_and_b32_e32 v3, 3, v3
	v_cmp_eq_u32_e32 vcc, 0, v6
	v_sub_u32_e32 v7, 30, v7
	v_cndmask_b32_e32 v3, v5, v3, vcc
	v_cndmask_b32_e32 v6, v6, v7, vcc
	v_lshlrev_b32_e32 v3, 21, v3
	v_lshl_or_b32 v3, v6, 23, v3
	v_add_u32_e32 v5, 0x37800000, v3
.LBB323_1263:
	s_or_b64 exec, exec, s[4:5]
	v_lshrrev_b32_e32 v6, 23, v5
	s_movk_i32 s0, 0xff
	v_cmp_ne_u32_e32 vcc, s0, v6
	v_mov_b32_e32 v3, 0xff
	s_and_saveexec_b64 s[4:5], vcc
; %bb.1264:
	v_and_b32_e32 v3, 0x400000, v5
	s_mov_b32 s0, 0x3fffff
	v_cmp_ne_u32_e32 vcc, 0, v3
	v_and_or_b32 v3, v5, s0, v6
	v_cmp_ne_u32_e64 s[0:1], 0, v3
	s_and_b64 s[0:1], vcc, s[0:1]
	v_cndmask_b32_e64 v3, 0, 1, s[0:1]
	v_add_u32_e32 v3, v6, v3
; %bb.1265:
	s_or_b64 exec, exec, s[4:5]
	s_mov_b64 s[0:1], 0
	s_branch .LBB323_1271
.LBB323_1266:
                                        ; implicit-def: $vgpr3
	s_mov_b64 s[4:5], 0
	s_branch .LBB323_1281
.LBB323_1267:
	s_or_saveexec_b64 s[6:7], s[6:7]
	v_mov_b32_e32 v5, 0x7f800001
	s_xor_b64 exec, exec, s[6:7]
	s_cbranch_execz .LBB323_1247
.LBB323_1268:
	v_cmp_ne_u16_e32 vcc, 0, v3
	s_andn2_b64 s[0:1], s[0:1], exec
	s_and_b64 s[22:23], vcc, exec
	v_and_b32_e32 v5, 0xffff, v3
	s_or_b64 s[0:1], s[0:1], s[22:23]
	s_or_b64 exec, exec, s[6:7]
	s_and_saveexec_b64 s[6:7], s[0:1]
	s_cbranch_execnz .LBB323_1248
	s_branch .LBB323_1249
.LBB323_1269:
	s_mov_b64 s[0:1], -1
                                        ; implicit-def: $vgpr3
	s_branch .LBB323_1276
.LBB323_1270:
	s_mov_b64 s[0:1], -1
                                        ; implicit-def: $vgpr3
.LBB323_1271:
	s_and_b64 vcc, exec, s[0:1]
	s_cbranch_vccz .LBB323_1275
; %bb.1272:
	global_load_ubyte v3, v[0:1], off
	s_mov_b32 s0, 0x7f800000
	s_movk_i32 s1, 0xff
	s_waitcnt vmcnt(0)
	v_lshlrev_b32_e32 v3, 24, v3
	v_and_b32_e32 v3, 0x7f000000, v3
	v_ffbh_u32_e32 v5, v3
	v_min_u32_e32 v5, 32, v5
	v_sub_u32_e64 v5, v5, 4 clamp
	v_lshlrev_b32_e32 v7, v5, v3
	v_lshlrev_b32_e32 v5, 23, v5
	v_lshrrev_b32_e32 v7, 4, v7
	v_add_u32_e32 v6, 0x1000000, v3
	v_sub_u32_e32 v5, v7, v5
	v_ashrrev_i32_e32 v6, 8, v6
	v_add_u32_e32 v5, 0x3c000000, v5
	v_and_or_b32 v5, v6, s0, v5
	v_cmp_ne_u32_e32 vcc, 0, v3
	v_cndmask_b32_e32 v6, 0, v5, vcc
	v_lshrrev_b32_e32 v5, 23, v6
	v_cmp_ne_u32_e32 vcc, s1, v5
	v_mov_b32_e32 v3, 0xff
	s_and_saveexec_b64 s[4:5], vcc
; %bb.1273:
	v_and_b32_e32 v3, 0x400000, v6
	s_mov_b32 s0, 0x3fffff
	v_cmp_ne_u32_e32 vcc, 0, v3
	v_and_or_b32 v3, v6, s0, v5
	v_cmp_ne_u32_e64 s[0:1], 0, v3
	s_and_b64 s[0:1], vcc, s[0:1]
	v_cndmask_b32_e64 v3, 0, 1, s[0:1]
	v_add_u32_e32 v3, v5, v3
; %bb.1274:
	s_or_b64 exec, exec, s[4:5]
.LBB323_1275:
	s_mov_b64 s[0:1], 0
.LBB323_1276:
	s_andn2_b64 vcc, exec, s[0:1]
	s_cbranch_vccnz .LBB323_1280
; %bb.1277:
	global_load_ubyte v3, v[0:1], off
	s_movk_i32 s0, 0x7f00
	s_brev_b32 s1, 16
	s_movk_i32 s4, 0xff
	s_waitcnt vmcnt(0)
	v_lshlrev_b32_e32 v5, 8, v3
	v_lshlrev_b32_e32 v3, 25, v3
	v_lshrrev_b32_e32 v6, 4, v3
	v_and_or_b32 v5, v5, s0, 0.5
	v_or_b32_e32 v6, 0x70000000, v6
	v_add_f32_e32 v5, -0.5, v5
	v_mul_f32_e32 v6, 0x7800000, v6
	v_cmp_gt_u32_e32 vcc, s1, v3
	v_cndmask_b32_e32 v5, v6, v5, vcc
	v_bfe_u32 v6, v5, 23, 8
	v_cmp_ne_u32_e32 vcc, s4, v6
	v_mov_b32_e32 v3, 0xff
	s_and_saveexec_b64 s[4:5], vcc
; %bb.1278:
	s_mov_b32 s0, 0x3fffff
	v_lshrrev_b32_e32 v3, 23, v5
	v_and_b32_e32 v7, 0x400000, v5
	v_and_or_b32 v5, v5, s0, v6
	v_cmp_ne_u32_e32 vcc, 0, v7
	v_cmp_ne_u32_e64 s[0:1], 0, v5
	s_and_b64 s[0:1], vcc, s[0:1]
	v_cndmask_b32_e64 v5, 0, 1, s[0:1]
	v_add_u32_e32 v3, v3, v5
; %bb.1279:
	s_or_b64 exec, exec, s[4:5]
.LBB323_1280:
	s_mov_b64 s[0:1], -1
	s_mov_b64 s[4:5], 0
	s_cbranch_execnz .LBB323_1293
.LBB323_1281:
	s_cmp_gt_i32 s15, 14
	s_cbranch_scc0 .LBB323_1286
; %bb.1282:
	s_cmp_eq_u32 s15, 15
	s_cbranch_scc0 .LBB323_1289
; %bb.1283:
	global_load_ushort v5, v[0:1], off
	s_movk_i32 s0, 0xff
	s_waitcnt vmcnt(1)
	v_mov_b32_e32 v3, 0xff
	s_waitcnt vmcnt(0)
	v_bfe_u32 v6, v5, 7, 8
	v_cmp_ne_u32_e32 vcc, s0, v6
	s_and_saveexec_b64 s[2:3], vcc
	s_cbranch_execz .LBB323_1285
; %bb.1284:
	v_lshrrev_b32_e32 v3, 7, v5
	v_lshlrev_b32_e32 v7, 16, v5
	v_and_b32_e32 v5, 64, v5
	s_mov_b32 s0, 0x3f0000
	v_cmp_ne_u32_e32 vcc, 0, v5
	v_and_or_b32 v5, v7, s0, v6
	v_cmp_ne_u32_e64 s[0:1], 0, v5
	s_and_b64 s[0:1], vcc, s[0:1]
	v_cndmask_b32_e64 v5, 0, 1, s[0:1]
	v_add_u32_e32 v3, v3, v5
.LBB323_1285:
	s_or_b64 exec, exec, s[2:3]
	s_mov_b64 s[2:3], 0
	s_mov_b64 s[0:1], -1
	s_branch .LBB323_1290
.LBB323_1286:
	s_mov_b64 s[6:7], -1
                                        ; implicit-def: $vgpr3
	s_branch .LBB323_1291
.LBB323_1287:
	s_or_saveexec_b64 s[4:5], s[4:5]
	v_mov_b32_e32 v5, 0x7f800001
	s_xor_b64 exec, exec, s[4:5]
	s_cbranch_execz .LBB323_1261
.LBB323_1288:
	v_cmp_ne_u16_e32 vcc, 0, v3
	s_andn2_b64 s[0:1], s[0:1], exec
	s_and_b64 s[6:7], vcc, exec
	v_and_b32_e32 v5, 0xffff, v3
	s_or_b64 s[0:1], s[0:1], s[6:7]
	s_or_b64 exec, exec, s[4:5]
	s_and_saveexec_b64 s[4:5], s[0:1]
	s_cbranch_execnz .LBB323_1262
	s_branch .LBB323_1263
.LBB323_1289:
	s_mov_b64 s[2:3], -1
                                        ; implicit-def: $vgpr3
.LBB323_1290:
	s_mov_b64 s[6:7], 0
.LBB323_1291:
	s_and_b64 vcc, exec, s[6:7]
	s_cbranch_vccz .LBB323_1293
; %bb.1292:
	s_cmp_lg_u32 s15, 11
	s_mov_b64 s[4:5], -1
	s_cselect_b64 s[2:3], -1, 0
.LBB323_1293:
	s_and_b64 vcc, exec, s[2:3]
	s_mov_b64 s[22:23], s[20:21]
	s_cbranch_vccnz .LBB323_1380
; %bb.1294:
	s_andn2_b64 vcc, exec, s[4:5]
	s_cbranch_vccnz .LBB323_1298
.LBB323_1295:
	global_load_ubyte v3, v[0:1], off
	s_movk_i32 s0, 0xff
	s_waitcnt vmcnt(0)
	v_cmp_ne_u16_e32 vcc, 0, v3
	v_cndmask_b32_e64 v6, 0, 1.0, vcc
	v_lshrrev_b32_e32 v5, 23, v6
	v_cmp_ne_u32_e32 vcc, s0, v5
	v_mov_b32_e32 v3, 0xff
	s_and_saveexec_b64 s[2:3], vcc
; %bb.1296:
	v_and_b32_e32 v3, 0x400000, v6
	s_mov_b32 s0, 0x3fffff
	v_cmp_ne_u32_e32 vcc, 0, v3
	v_and_or_b32 v3, v6, s0, v5
	v_cmp_ne_u32_e64 s[0:1], 0, v3
	s_and_b64 s[0:1], vcc, s[0:1]
	v_cndmask_b32_e64 v3, 0, 1, s[0:1]
	v_add_u32_e32 v3, v5, v3
; %bb.1297:
	s_or_b64 exec, exec, s[2:3]
	s_mov_b64 s[0:1], -1
.LBB323_1298:
	s_branch .LBB323_1210
.LBB323_1299:
	s_cmp_lt_i32 s15, 5
	s_cbranch_scc1 .LBB323_1306
; %bb.1300:
	s_cmp_lt_i32 s15, 8
	s_cbranch_scc1 .LBB323_1307
; %bb.1301:
	;; [unrolled: 3-line block ×3, first 2 shown]
	s_cmp_gt_i32 s15, 9
	s_cbranch_scc0 .LBB323_1309
; %bb.1303:
	global_load_dwordx2 v[5:6], v[0:1], off
	s_movk_i32 s0, 0xff
	s_waitcnt vmcnt(1)
	v_mov_b32_e32 v3, 0xff
	s_waitcnt vmcnt(0)
	v_cvt_f32_f64_e32 v5, v[5:6]
	v_bfe_u32 v6, v5, 23, 8
	v_cmp_ne_u32_e32 vcc, s0, v6
	s_and_saveexec_b64 s[2:3], vcc
; %bb.1304:
	s_mov_b32 s0, 0x3fffff
	v_lshrrev_b32_e32 v3, 23, v5
	v_and_b32_e32 v7, 0x400000, v5
	v_and_or_b32 v5, v5, s0, v6
	v_cmp_ne_u32_e32 vcc, 0, v7
	v_cmp_ne_u32_e64 s[0:1], 0, v5
	s_and_b64 s[0:1], vcc, s[0:1]
	v_cndmask_b32_e64 v5, 0, 1, s[0:1]
	v_add_u32_e32 v3, v3, v5
; %bb.1305:
	s_or_b64 exec, exec, s[2:3]
	s_mov_b64 s[0:1], 0
	s_branch .LBB323_1310
.LBB323_1306:
                                        ; implicit-def: $vgpr3
	s_branch .LBB323_1337
.LBB323_1307:
                                        ; implicit-def: $vgpr3
	s_branch .LBB323_1320
.LBB323_1308:
	s_mov_b64 s[0:1], -1
                                        ; implicit-def: $vgpr3
	s_branch .LBB323_1315
.LBB323_1309:
	s_mov_b64 s[0:1], -1
                                        ; implicit-def: $vgpr3
.LBB323_1310:
	s_andn2_b64 vcc, exec, s[0:1]
	s_cbranch_vccnz .LBB323_1314
; %bb.1311:
	global_load_dword v5, v[0:1], off
	s_movk_i32 s0, 0xff
	s_waitcnt vmcnt(1)
	v_mov_b32_e32 v3, 0xff
	s_waitcnt vmcnt(0)
	v_bfe_u32 v6, v5, 23, 8
	v_cmp_ne_u32_e32 vcc, s0, v6
	s_and_saveexec_b64 s[2:3], vcc
; %bb.1312:
	s_mov_b32 s0, 0x3fffff
	v_lshrrev_b32_e32 v3, 23, v5
	v_and_b32_e32 v7, 0x400000, v5
	v_and_or_b32 v5, v5, s0, v6
	v_cmp_ne_u32_e32 vcc, 0, v7
	v_cmp_ne_u32_e64 s[0:1], 0, v5
	s_and_b64 s[0:1], vcc, s[0:1]
	v_cndmask_b32_e64 v5, 0, 1, s[0:1]
	v_add_u32_e32 v3, v3, v5
; %bb.1313:
	s_or_b64 exec, exec, s[2:3]
.LBB323_1314:
	s_mov_b64 s[0:1], 0
.LBB323_1315:
	s_andn2_b64 vcc, exec, s[0:1]
	s_cbranch_vccnz .LBB323_1319
; %bb.1316:
	global_load_dword v3, v[0:1], off
	s_movk_i32 s0, 0xff
	s_waitcnt vmcnt(0)
	v_cvt_f32_f16_e32 v5, v3
	v_mov_b32_e32 v3, 0xff
	v_bfe_u32 v6, v5, 23, 8
	v_cmp_ne_u32_e32 vcc, s0, v6
	s_and_saveexec_b64 s[2:3], vcc
; %bb.1317:
	s_mov_b32 s0, 0x3fffff
	v_lshrrev_b32_e32 v3, 23, v5
	v_and_b32_e32 v7, 0x400000, v5
	v_and_or_b32 v5, v5, s0, v6
	v_cmp_ne_u32_e32 vcc, 0, v7
	v_cmp_ne_u32_e64 s[0:1], 0, v5
	s_and_b64 s[0:1], vcc, s[0:1]
	v_cndmask_b32_e64 v5, 0, 1, s[0:1]
	v_add_u32_e32 v3, v3, v5
; %bb.1318:
	s_or_b64 exec, exec, s[2:3]
.LBB323_1319:
	s_cbranch_execnz .LBB323_1336
.LBB323_1320:
	s_cmp_lt_i32 s15, 6
	s_cbranch_scc1 .LBB323_1325
; %bb.1321:
	s_cmp_gt_i32 s15, 6
	s_cbranch_scc0 .LBB323_1326
; %bb.1322:
	global_load_dwordx2 v[5:6], v[0:1], off
	s_movk_i32 s0, 0xff
	s_waitcnt vmcnt(1)
	v_mov_b32_e32 v3, 0xff
	s_waitcnt vmcnt(0)
	v_cvt_f32_f64_e32 v5, v[5:6]
	v_bfe_u32 v6, v5, 23, 8
	v_cmp_ne_u32_e32 vcc, s0, v6
	s_and_saveexec_b64 s[2:3], vcc
; %bb.1323:
	s_mov_b32 s0, 0x3fffff
	v_lshrrev_b32_e32 v3, 23, v5
	v_and_b32_e32 v7, 0x400000, v5
	v_and_or_b32 v5, v5, s0, v6
	v_cmp_ne_u32_e32 vcc, 0, v7
	v_cmp_ne_u32_e64 s[0:1], 0, v5
	s_and_b64 s[0:1], vcc, s[0:1]
	v_cndmask_b32_e64 v5, 0, 1, s[0:1]
	v_add_u32_e32 v3, v3, v5
; %bb.1324:
	s_or_b64 exec, exec, s[2:3]
	s_mov_b64 s[0:1], 0
	s_branch .LBB323_1327
.LBB323_1325:
	s_mov_b64 s[0:1], -1
                                        ; implicit-def: $vgpr3
	s_branch .LBB323_1332
.LBB323_1326:
	s_mov_b64 s[0:1], -1
                                        ; implicit-def: $vgpr3
.LBB323_1327:
	s_andn2_b64 vcc, exec, s[0:1]
	s_cbranch_vccnz .LBB323_1331
; %bb.1328:
	global_load_dword v5, v[0:1], off
	s_movk_i32 s0, 0xff
	s_waitcnt vmcnt(1)
	v_mov_b32_e32 v3, 0xff
	s_waitcnt vmcnt(0)
	v_bfe_u32 v6, v5, 23, 8
	v_cmp_ne_u32_e32 vcc, s0, v6
	s_and_saveexec_b64 s[2:3], vcc
; %bb.1329:
	s_mov_b32 s0, 0x3fffff
	v_lshrrev_b32_e32 v3, 23, v5
	v_and_b32_e32 v7, 0x400000, v5
	v_and_or_b32 v5, v5, s0, v6
	v_cmp_ne_u32_e32 vcc, 0, v7
	v_cmp_ne_u32_e64 s[0:1], 0, v5
	s_and_b64 s[0:1], vcc, s[0:1]
	v_cndmask_b32_e64 v5, 0, 1, s[0:1]
	v_add_u32_e32 v3, v3, v5
; %bb.1330:
	s_or_b64 exec, exec, s[2:3]
.LBB323_1331:
	s_mov_b64 s[0:1], 0
.LBB323_1332:
	s_andn2_b64 vcc, exec, s[0:1]
	s_cbranch_vccnz .LBB323_1336
; %bb.1333:
	global_load_ushort v3, v[0:1], off
	s_movk_i32 s0, 0xff
	s_waitcnt vmcnt(0)
	v_cvt_f32_f16_e32 v5, v3
	v_mov_b32_e32 v3, 0xff
	v_bfe_u32 v6, v5, 23, 8
	v_cmp_ne_u32_e32 vcc, s0, v6
	s_and_saveexec_b64 s[2:3], vcc
; %bb.1334:
	s_mov_b32 s0, 0x3fffff
	v_lshrrev_b32_e32 v3, 23, v5
	v_and_b32_e32 v7, 0x400000, v5
	v_and_or_b32 v5, v5, s0, v6
	v_cmp_ne_u32_e32 vcc, 0, v7
	v_cmp_ne_u32_e64 s[0:1], 0, v5
	s_and_b64 s[0:1], vcc, s[0:1]
	v_cndmask_b32_e64 v5, 0, 1, s[0:1]
	v_add_u32_e32 v3, v3, v5
; %bb.1335:
	s_or_b64 exec, exec, s[2:3]
.LBB323_1336:
	s_cbranch_execnz .LBB323_1365
.LBB323_1337:
	s_cmp_lt_i32 s15, 2
	s_cbranch_scc1 .LBB323_1343
; %bb.1338:
	s_cmp_lt_i32 s15, 3
	s_cbranch_scc1 .LBB323_1344
; %bb.1339:
	s_cmp_gt_i32 s15, 3
	s_cbranch_scc0 .LBB323_1345
; %bb.1340:
	global_load_dwordx2 v[5:6], v[0:1], off
	s_movk_i32 s0, 0xff
	s_waitcnt vmcnt(0)
	v_xor_b32_e32 v7, v5, v6
	v_ffbh_i32_e32 v3, v6
	v_ashrrev_i32_e32 v7, 31, v7
	v_add_u32_e32 v3, -1, v3
	v_add_u32_e32 v7, 32, v7
	v_min_u32_e32 v3, v3, v7
	v_lshlrev_b64 v[5:6], v3, v[5:6]
	v_sub_u32_e32 v3, 32, v3
	v_min_u32_e32 v5, 1, v5
	v_or_b32_e32 v5, v6, v5
	v_cvt_f32_i32_e32 v5, v5
	v_ldexp_f32 v5, v5, v3
	v_bfe_u32 v6, v5, 23, 8
	v_cmp_ne_u32_e32 vcc, s0, v6
	v_mov_b32_e32 v3, 0xff
	s_and_saveexec_b64 s[2:3], vcc
; %bb.1341:
	s_mov_b32 s0, 0x3fffff
	v_lshrrev_b32_e32 v3, 23, v5
	v_and_b32_e32 v7, 0x400000, v5
	v_and_or_b32 v5, v5, s0, v6
	v_cmp_ne_u32_e32 vcc, 0, v7
	v_cmp_ne_u32_e64 s[0:1], 0, v5
	s_and_b64 s[0:1], vcc, s[0:1]
	v_cndmask_b32_e64 v5, 0, 1, s[0:1]
	v_add_u32_e32 v3, v3, v5
; %bb.1342:
	s_or_b64 exec, exec, s[2:3]
	s_mov_b64 s[0:1], 0
	s_branch .LBB323_1346
.LBB323_1343:
                                        ; implicit-def: $vgpr3
	s_branch .LBB323_1356
.LBB323_1344:
	s_mov_b64 s[0:1], -1
                                        ; implicit-def: $vgpr3
	s_branch .LBB323_1351
.LBB323_1345:
	s_mov_b64 s[0:1], -1
                                        ; implicit-def: $vgpr3
.LBB323_1346:
	s_andn2_b64 vcc, exec, s[0:1]
	s_cbranch_vccnz .LBB323_1350
; %bb.1347:
	global_load_dword v3, v[0:1], off
	s_movk_i32 s0, 0xff
	s_waitcnt vmcnt(0)
	v_cvt_f32_i32_e32 v5, v3
	v_mov_b32_e32 v3, 0xff
	v_bfe_u32 v6, v5, 23, 8
	v_cmp_ne_u32_e32 vcc, s0, v6
	s_and_saveexec_b64 s[2:3], vcc
; %bb.1348:
	s_mov_b32 s0, 0x3fffff
	v_lshrrev_b32_e32 v3, 23, v5
	v_and_b32_e32 v7, 0x400000, v5
	v_and_or_b32 v5, v5, s0, v6
	v_cmp_ne_u32_e32 vcc, 0, v7
	v_cmp_ne_u32_e64 s[0:1], 0, v5
	s_and_b64 s[0:1], vcc, s[0:1]
	v_cndmask_b32_e64 v5, 0, 1, s[0:1]
	v_add_u32_e32 v3, v3, v5
; %bb.1349:
	s_or_b64 exec, exec, s[2:3]
.LBB323_1350:
	s_mov_b64 s[0:1], 0
.LBB323_1351:
	s_andn2_b64 vcc, exec, s[0:1]
	s_cbranch_vccnz .LBB323_1355
; %bb.1352:
	global_load_sshort v3, v[0:1], off
	s_movk_i32 s0, 0xff
	s_waitcnt vmcnt(0)
	v_cvt_f32_i32_e32 v5, v3
	v_mov_b32_e32 v3, 0xff
	v_bfe_u32 v6, v5, 23, 8
	v_cmp_ne_u32_e32 vcc, s0, v6
	s_and_saveexec_b64 s[2:3], vcc
; %bb.1353:
	s_mov_b32 s0, 0x3fffff
	v_lshrrev_b32_e32 v3, 23, v5
	v_and_b32_e32 v7, 0x400000, v5
	v_and_or_b32 v5, v5, s0, v6
	v_cmp_ne_u32_e32 vcc, 0, v7
	v_cmp_ne_u32_e64 s[0:1], 0, v5
	s_and_b64 s[0:1], vcc, s[0:1]
	v_cndmask_b32_e64 v5, 0, 1, s[0:1]
	v_add_u32_e32 v3, v3, v5
; %bb.1354:
	s_or_b64 exec, exec, s[2:3]
.LBB323_1355:
	s_cbranch_execnz .LBB323_1365
.LBB323_1356:
	s_cmp_gt_i32 s15, 0
	s_cbranch_scc0 .LBB323_1360
; %bb.1357:
	global_load_sbyte v3, v[0:1], off
	s_movk_i32 s0, 0xff
	s_waitcnt vmcnt(0)
	v_cvt_f32_i32_e32 v5, v3
	v_mov_b32_e32 v3, 0xff
	v_bfe_u32 v6, v5, 23, 8
	v_cmp_ne_u32_e32 vcc, s0, v6
	s_and_saveexec_b64 s[2:3], vcc
; %bb.1358:
	s_mov_b32 s0, 0x3fffff
	v_lshrrev_b32_e32 v3, 23, v5
	v_and_b32_e32 v7, 0x400000, v5
	v_and_or_b32 v5, v5, s0, v6
	v_cmp_ne_u32_e32 vcc, 0, v7
	v_cmp_ne_u32_e64 s[0:1], 0, v5
	s_and_b64 s[0:1], vcc, s[0:1]
	v_cndmask_b32_e64 v5, 0, 1, s[0:1]
	v_add_u32_e32 v3, v3, v5
; %bb.1359:
	s_or_b64 exec, exec, s[2:3]
	s_mov_b64 s[0:1], 0
	s_branch .LBB323_1361
.LBB323_1360:
	s_mov_b64 s[0:1], -1
                                        ; implicit-def: $vgpr3
.LBB323_1361:
	s_andn2_b64 vcc, exec, s[0:1]
	s_cbranch_vccnz .LBB323_1365
; %bb.1362:
	global_load_ubyte v0, v[0:1], off
	s_movk_i32 s0, 0xff
	s_waitcnt vmcnt(1)
	v_mov_b32_e32 v3, 0xff
	s_waitcnt vmcnt(0)
	v_cvt_f32_ubyte0_e32 v1, v0
	v_lshrrev_b32_e32 v0, 23, v1
	v_cmp_ne_u32_e32 vcc, s0, v0
	s_and_saveexec_b64 s[2:3], vcc
; %bb.1363:
	s_mov_b32 s0, 0x3fffff
	v_and_b32_e32 v3, 0x400000, v1
	v_and_or_b32 v1, v1, s0, v0
	v_cmp_ne_u32_e32 vcc, 0, v3
	v_cmp_ne_u32_e64 s[0:1], 0, v1
	s_and_b64 s[0:1], vcc, s[0:1]
	v_cndmask_b32_e64 v1, 0, 1, s[0:1]
	v_add_u32_e32 v3, v0, v1
; %bb.1364:
	s_or_b64 exec, exec, s[2:3]
.LBB323_1365:
.LBB323_1366:
	s_lshl_b32 s13, s13, 7
	v_add_u32_e32 v5, s13, v4
	v_ashrrev_i32_e32 v1, 31, v5
	v_mov_b32_e32 v4, s11
	v_add_co_u32_e32 v0, vcc, s10, v5
	s_cmp_lt_i32 s15, 11
	v_addc_co_u32_e32 v1, vcc, v4, v1, vcc
	s_cbranch_scc1 .LBB323_1375
; %bb.1367:
	s_cmp_gt_i32 s15, 25
	s_mov_b64 s[4:5], 0
	s_cbranch_scc0 .LBB323_1377
; %bb.1368:
	s_cmp_gt_i32 s15, 28
	s_cbranch_scc0 .LBB323_1378
; %bb.1369:
	s_cmp_gt_i32 s15, 43
	;; [unrolled: 3-line block ×3, first 2 shown]
	s_cbranch_scc0 .LBB323_1381
; %bb.1371:
	s_cmp_eq_u32 s15, 46
	s_mov_b64 s[6:7], 0
	s_cbranch_scc0 .LBB323_1384
; %bb.1372:
	global_load_dword v6, v[0:1], off
	s_movk_i32 s0, 0xff
	v_mov_b32_e32 v4, 0xff
	s_waitcnt vmcnt(0)
	v_lshlrev_b32_e32 v7, 16, v6
	v_bfe_u32 v8, v7, 23, 8
	v_cmp_ne_u32_e32 vcc, s0, v8
	s_and_saveexec_b64 s[2:3], vcc
; %bb.1373:
	v_bfe_u32 v4, v6, 7, 9
	v_and_b32_e32 v6, 64, v6
	s_mov_b32 s0, 0x3f0000
	v_cmp_ne_u32_e32 vcc, 0, v6
	v_and_or_b32 v6, v7, s0, v8
	v_cmp_ne_u32_e64 s[0:1], 0, v6
	s_and_b64 s[0:1], vcc, s[0:1]
	v_cndmask_b32_e64 v6, 0, 1, s[0:1]
	v_add_u32_e32 v4, v4, v6
; %bb.1374:
	s_or_b64 exec, exec, s[2:3]
	s_mov_b64 s[2:3], 0
	s_mov_b64 s[0:1], -1
	s_branch .LBB323_1385
.LBB323_1375:
	s_mov_b64 s[0:1], 0
                                        ; implicit-def: $vgpr4
	s_cbranch_execnz .LBB323_1468
.LBB323_1376:
	s_andn2_b64 vcc, exec, s[0:1]
	s_cbranch_vccnz .LBB323_2313
	s_branch .LBB323_1537
.LBB323_1377:
	s_mov_b64 s[0:1], 0
	s_mov_b64 s[2:3], 0
                                        ; implicit-def: $vgpr4
	s_cbranch_execnz .LBB323_1422
	s_branch .LBB323_1462
.LBB323_1378:
	s_mov_b64 s[6:7], -1
	s_mov_b64 s[0:1], 0
	s_mov_b64 s[2:3], 0
                                        ; implicit-def: $vgpr4
	s_branch .LBB323_1397
.LBB323_1379:
	s_mov_b64 s[6:7], -1
	s_mov_b64 s[0:1], 0
	s_mov_b64 s[2:3], 0
                                        ; implicit-def: $vgpr4
	s_branch .LBB323_1390
.LBB323_1380:
	s_or_b64 s[22:23], s[20:21], exec
	s_trap 2
	s_cbranch_execz .LBB323_1295
	s_branch .LBB323_1298
.LBB323_1381:
	s_mov_b64 s[6:7], -1
	s_mov_b64 s[0:1], 0
	s_mov_b64 s[2:3], 0
                                        ; implicit-def: $vgpr4
	s_branch .LBB323_1385
.LBB323_1382:
	s_andn2_saveexec_b64 s[30:31], s[30:31]
	s_cbranch_execz .LBB323_1117
.LBB323_1383:
	v_add_f32_e32 v2, 0x42800000, v3
	v_and_b32_e32 v2, 0xff, v2
	v_cmp_ne_u32_e32 vcc, 0, v2
	s_andn2_b64 s[28:29], s[28:29], exec
	s_and_b64 s[36:37], vcc, exec
	s_or_b64 s[28:29], s[28:29], s[36:37]
	s_or_b64 exec, exec, s[30:31]
	v_mov_b32_e32 v4, 0
	s_and_saveexec_b64 s[30:31], s[28:29]
	s_cbranch_execnz .LBB323_1118
	s_branch .LBB323_1119
.LBB323_1384:
	s_mov_b64 s[2:3], -1
                                        ; implicit-def: $vgpr4
	s_mov_b64 s[0:1], 0
.LBB323_1385:
	s_and_b64 vcc, exec, s[6:7]
	s_cbranch_vccz .LBB323_1389
; %bb.1386:
	s_cmp_eq_u32 s15, 44
	s_cbranch_scc0 .LBB323_1388
; %bb.1387:
	global_load_ubyte v4, v[0:1], off
	s_mov_b64 s[2:3], 0
	s_mov_b64 s[0:1], -1
	s_branch .LBB323_1389
.LBB323_1388:
	s_mov_b64 s[2:3], -1
                                        ; implicit-def: $vgpr4
.LBB323_1389:
	s_mov_b64 s[6:7], 0
.LBB323_1390:
	s_and_b64 vcc, exec, s[6:7]
	s_cbranch_vccz .LBB323_1396
; %bb.1391:
	s_cmp_eq_u32 s15, 29
	s_cbranch_scc0 .LBB323_1395
; %bb.1392:
	global_load_dwordx2 v[6:7], v[0:1], off
	s_movk_i32 s0, 0xff
	s_waitcnt vmcnt(0)
	v_ffbh_u32_e32 v4, v7
	v_min_u32_e32 v4, 32, v4
	v_lshlrev_b64 v[6:7], v4, v[6:7]
	v_sub_u32_e32 v4, 32, v4
	v_min_u32_e32 v6, 1, v6
	v_or_b32_e32 v6, v7, v6
	v_cvt_f32_u32_e32 v6, v6
	v_ldexp_f32 v7, v6, v4
	v_lshrrev_b32_e32 v6, 23, v7
	v_cmp_ne_u32_e32 vcc, s0, v6
	v_mov_b32_e32 v4, 0xff
	s_and_saveexec_b64 s[2:3], vcc
; %bb.1393:
	v_and_b32_e32 v4, 0x400000, v7
	s_mov_b32 s0, 0x3fffff
	v_cmp_ne_u32_e32 vcc, 0, v4
	v_and_or_b32 v4, v7, s0, v6
	v_cmp_ne_u32_e64 s[0:1], 0, v4
	s_and_b64 s[0:1], vcc, s[0:1]
	v_cndmask_b32_e64 v4, 0, 1, s[0:1]
	v_add_u32_e32 v4, v6, v4
; %bb.1394:
	s_or_b64 exec, exec, s[2:3]
	s_mov_b64 s[2:3], 0
	s_mov_b64 s[0:1], -1
	s_branch .LBB323_1396
.LBB323_1395:
	s_mov_b64 s[2:3], -1
                                        ; implicit-def: $vgpr4
.LBB323_1396:
	s_mov_b64 s[6:7], 0
.LBB323_1397:
	s_and_b64 vcc, exec, s[6:7]
	s_cbranch_vccz .LBB323_1421
; %bb.1398:
	s_cmp_lt_i32 s15, 27
	s_cbranch_scc1 .LBB323_1403
; %bb.1399:
	s_cmp_gt_i32 s15, 27
	s_cbranch_scc0 .LBB323_1404
; %bb.1400:
	global_load_dword v4, v[0:1], off
	s_movk_i32 s0, 0xff
	s_waitcnt vmcnt(0)
	v_cvt_f32_u32_e32 v7, v4
	v_mov_b32_e32 v4, 0xff
	v_lshrrev_b32_e32 v6, 23, v7
	v_cmp_ne_u32_e32 vcc, s0, v6
	s_and_saveexec_b64 s[6:7], vcc
; %bb.1401:
	v_and_b32_e32 v4, 0x400000, v7
	s_mov_b32 s0, 0x3fffff
	v_cmp_ne_u32_e32 vcc, 0, v4
	v_and_or_b32 v4, v7, s0, v6
	v_cmp_ne_u32_e64 s[0:1], 0, v4
	s_and_b64 s[0:1], vcc, s[0:1]
	v_cndmask_b32_e64 v4, 0, 1, s[0:1]
	v_add_u32_e32 v4, v6, v4
; %bb.1402:
	s_or_b64 exec, exec, s[6:7]
	s_mov_b64 s[0:1], 0
	s_branch .LBB323_1405
.LBB323_1403:
	s_mov_b64 s[0:1], -1
                                        ; implicit-def: $vgpr4
	s_branch .LBB323_1410
.LBB323_1404:
	s_mov_b64 s[0:1], -1
                                        ; implicit-def: $vgpr4
.LBB323_1405:
	s_andn2_b64 vcc, exec, s[0:1]
	s_cbranch_vccnz .LBB323_1409
; %bb.1406:
	global_load_ushort v4, v[0:1], off
	s_movk_i32 s0, 0xff
	s_waitcnt vmcnt(0)
	v_cvt_f32_u32_e32 v7, v4
	v_mov_b32_e32 v4, 0xff
	v_lshrrev_b32_e32 v6, 23, v7
	v_cmp_ne_u32_e32 vcc, s0, v6
	s_and_saveexec_b64 s[6:7], vcc
; %bb.1407:
	v_and_b32_e32 v4, 0x400000, v7
	s_mov_b32 s0, 0x3fffff
	v_cmp_ne_u32_e32 vcc, 0, v4
	v_and_or_b32 v4, v7, s0, v6
	v_cmp_ne_u32_e64 s[0:1], 0, v4
	s_and_b64 s[0:1], vcc, s[0:1]
	v_cndmask_b32_e64 v4, 0, 1, s[0:1]
	v_add_u32_e32 v4, v6, v4
; %bb.1408:
	s_or_b64 exec, exec, s[6:7]
.LBB323_1409:
	s_mov_b64 s[0:1], 0
.LBB323_1410:
	s_andn2_b64 vcc, exec, s[0:1]
	s_cbranch_vccnz .LBB323_1420
; %bb.1411:
	global_load_ubyte v4, v[0:1], off
	s_movk_i32 s0, 0x7f
	s_waitcnt vmcnt(0)
	v_cmp_lt_i16_e32 vcc, s0, v4
	s_mov_b64 s[0:1], 0
	s_and_saveexec_b64 s[6:7], vcc
	s_xor_b64 s[6:7], exec, s[6:7]
	s_cbranch_execz .LBB323_1435
; %bb.1412:
	s_movk_i32 s0, 0x80
	v_cmp_eq_u16_e32 vcc, s0, v4
	s_mov_b64 s[0:1], -1
	s_and_saveexec_b64 s[24:25], vcc
; %bb.1413:
	s_xor_b64 s[0:1], exec, -1
; %bb.1414:
	s_or_b64 exec, exec, s[24:25]
	s_and_b64 s[0:1], s[0:1], exec
	s_or_saveexec_b64 s[6:7], s[6:7]
	v_mov_b32_e32 v6, 0x7f800001
	s_xor_b64 exec, exec, s[6:7]
	s_cbranch_execnz .LBB323_1436
.LBB323_1415:
	s_or_b64 exec, exec, s[6:7]
	s_and_saveexec_b64 s[6:7], s[0:1]
	s_cbranch_execz .LBB323_1417
.LBB323_1416:
	v_and_b32_e32 v4, 0xffff, v4
	v_and_b32_e32 v6, 7, v4
	v_ffbh_u32_e32 v8, v6
	v_min_u32_e32 v8, 32, v8
	v_subrev_u32_e32 v9, 28, v8
	v_bfe_u32 v7, v4, 3, 4
	v_lshlrev_b32_e32 v4, v9, v4
	v_and_b32_e32 v4, 7, v4
	v_cmp_eq_u32_e32 vcc, 0, v7
	v_sub_u32_e32 v8, 29, v8
	v_cndmask_b32_e32 v4, v6, v4, vcc
	v_cndmask_b32_e32 v7, v7, v8, vcc
	v_lshlrev_b32_e32 v4, 20, v4
	v_lshl_or_b32 v4, v7, 23, v4
	v_add_u32_e32 v6, 0x3b800000, v4
.LBB323_1417:
	s_or_b64 exec, exec, s[6:7]
	v_lshrrev_b32_e32 v7, 23, v6
	s_movk_i32 s0, 0xff
	v_cmp_ne_u32_e32 vcc, s0, v7
	v_mov_b32_e32 v4, 0xff
	s_and_saveexec_b64 s[6:7], vcc
; %bb.1418:
	v_and_b32_e32 v4, 0x400000, v6
	s_mov_b32 s0, 0x3fffff
	v_cmp_ne_u32_e32 vcc, 0, v4
	v_and_or_b32 v4, v6, s0, v7
	v_cmp_ne_u32_e64 s[0:1], 0, v4
	s_and_b64 s[0:1], vcc, s[0:1]
	v_cndmask_b32_e64 v4, 0, 1, s[0:1]
	v_add_u32_e32 v4, v7, v4
; %bb.1419:
	s_or_b64 exec, exec, s[6:7]
.LBB323_1420:
	s_mov_b64 s[0:1], -1
.LBB323_1421:
	s_branch .LBB323_1462
.LBB323_1422:
	s_cmp_gt_i32 s15, 22
	s_cbranch_scc0 .LBB323_1434
; %bb.1423:
	s_cmp_lt_i32 s15, 24
	s_cbranch_scc1 .LBB323_1437
; %bb.1424:
	s_cmp_gt_i32 s15, 24
	s_cbranch_scc0 .LBB323_1438
; %bb.1425:
	global_load_ubyte v4, v[0:1], off
	s_movk_i32 s0, 0x7f
	s_waitcnt vmcnt(0)
	v_cmp_lt_i16_e32 vcc, s0, v4
	s_mov_b64 s[0:1], 0
	s_and_saveexec_b64 s[4:5], vcc
	s_xor_b64 s[4:5], exec, s[4:5]
	s_cbranch_execz .LBB323_1456
; %bb.1426:
	s_movk_i32 s0, 0x80
	v_cmp_eq_u16_e32 vcc, s0, v4
	s_mov_b64 s[0:1], -1
	s_and_saveexec_b64 s[6:7], vcc
; %bb.1427:
	s_xor_b64 s[0:1], exec, -1
; %bb.1428:
	s_or_b64 exec, exec, s[6:7]
	s_and_b64 s[0:1], s[0:1], exec
	s_or_saveexec_b64 s[4:5], s[4:5]
	v_mov_b32_e32 v6, 0x7f800001
	s_xor_b64 exec, exec, s[4:5]
	s_cbranch_execnz .LBB323_1457
.LBB323_1429:
	s_or_b64 exec, exec, s[4:5]
	s_and_saveexec_b64 s[4:5], s[0:1]
	s_cbranch_execz .LBB323_1431
.LBB323_1430:
	v_and_b32_e32 v4, 0xffff, v4
	v_and_b32_e32 v6, 3, v4
	v_ffbh_u32_e32 v8, v6
	v_min_u32_e32 v8, 32, v8
	v_subrev_u32_e32 v9, 29, v8
	v_bfe_u32 v7, v4, 2, 5
	v_lshlrev_b32_e32 v4, v9, v4
	v_and_b32_e32 v4, 3, v4
	v_cmp_eq_u32_e32 vcc, 0, v7
	v_sub_u32_e32 v8, 30, v8
	v_cndmask_b32_e32 v4, v6, v4, vcc
	v_cndmask_b32_e32 v7, v7, v8, vcc
	v_lshlrev_b32_e32 v4, 21, v4
	v_lshl_or_b32 v4, v7, 23, v4
	v_add_u32_e32 v6, 0x37800000, v4
.LBB323_1431:
	s_or_b64 exec, exec, s[4:5]
	v_lshrrev_b32_e32 v7, 23, v6
	s_movk_i32 s0, 0xff
	v_cmp_ne_u32_e32 vcc, s0, v7
	v_mov_b32_e32 v4, 0xff
	s_and_saveexec_b64 s[4:5], vcc
; %bb.1432:
	v_and_b32_e32 v4, 0x400000, v6
	s_mov_b32 s0, 0x3fffff
	v_cmp_ne_u32_e32 vcc, 0, v4
	v_and_or_b32 v4, v6, s0, v7
	v_cmp_ne_u32_e64 s[0:1], 0, v4
	s_and_b64 s[0:1], vcc, s[0:1]
	v_cndmask_b32_e64 v4, 0, 1, s[0:1]
	v_add_u32_e32 v4, v7, v4
; %bb.1433:
	s_or_b64 exec, exec, s[4:5]
	s_mov_b64 s[0:1], 0
	s_branch .LBB323_1439
.LBB323_1434:
	s_mov_b64 s[4:5], -1
                                        ; implicit-def: $vgpr4
	s_branch .LBB323_1449
.LBB323_1435:
	s_or_saveexec_b64 s[6:7], s[6:7]
	v_mov_b32_e32 v6, 0x7f800001
	s_xor_b64 exec, exec, s[6:7]
	s_cbranch_execz .LBB323_1415
.LBB323_1436:
	v_cmp_ne_u16_e32 vcc, 0, v4
	s_andn2_b64 s[0:1], s[0:1], exec
	s_and_b64 s[24:25], vcc, exec
	v_and_b32_e32 v6, 0xffff, v4
	s_or_b64 s[0:1], s[0:1], s[24:25]
	s_or_b64 exec, exec, s[6:7]
	s_and_saveexec_b64 s[6:7], s[0:1]
	s_cbranch_execnz .LBB323_1416
	s_branch .LBB323_1417
.LBB323_1437:
	s_mov_b64 s[0:1], -1
                                        ; implicit-def: $vgpr4
	s_branch .LBB323_1444
.LBB323_1438:
	s_mov_b64 s[0:1], -1
                                        ; implicit-def: $vgpr4
.LBB323_1439:
	s_and_b64 vcc, exec, s[0:1]
	s_cbranch_vccz .LBB323_1443
; %bb.1440:
	global_load_ubyte v4, v[0:1], off
	s_mov_b32 s0, 0x7f800000
	s_movk_i32 s1, 0xff
	s_waitcnt vmcnt(0)
	v_lshlrev_b32_e32 v4, 24, v4
	v_and_b32_e32 v4, 0x7f000000, v4
	v_ffbh_u32_e32 v6, v4
	v_min_u32_e32 v6, 32, v6
	v_sub_u32_e64 v6, v6, 4 clamp
	v_lshlrev_b32_e32 v8, v6, v4
	v_lshlrev_b32_e32 v6, 23, v6
	v_lshrrev_b32_e32 v8, 4, v8
	v_add_u32_e32 v7, 0x1000000, v4
	v_sub_u32_e32 v6, v8, v6
	v_ashrrev_i32_e32 v7, 8, v7
	v_add_u32_e32 v6, 0x3c000000, v6
	v_and_or_b32 v6, v7, s0, v6
	v_cmp_ne_u32_e32 vcc, 0, v4
	v_cndmask_b32_e32 v7, 0, v6, vcc
	v_lshrrev_b32_e32 v6, 23, v7
	v_cmp_ne_u32_e32 vcc, s1, v6
	v_mov_b32_e32 v4, 0xff
	s_and_saveexec_b64 s[4:5], vcc
; %bb.1441:
	v_and_b32_e32 v4, 0x400000, v7
	s_mov_b32 s0, 0x3fffff
	v_cmp_ne_u32_e32 vcc, 0, v4
	v_and_or_b32 v4, v7, s0, v6
	v_cmp_ne_u32_e64 s[0:1], 0, v4
	s_and_b64 s[0:1], vcc, s[0:1]
	v_cndmask_b32_e64 v4, 0, 1, s[0:1]
	v_add_u32_e32 v4, v6, v4
; %bb.1442:
	s_or_b64 exec, exec, s[4:5]
.LBB323_1443:
	s_mov_b64 s[0:1], 0
.LBB323_1444:
	s_andn2_b64 vcc, exec, s[0:1]
	s_cbranch_vccnz .LBB323_1448
; %bb.1445:
	global_load_ubyte v4, v[0:1], off
	s_movk_i32 s0, 0x7f00
	s_brev_b32 s1, 16
	s_movk_i32 s4, 0xff
	s_waitcnt vmcnt(0)
	v_lshlrev_b32_e32 v6, 8, v4
	v_lshlrev_b32_e32 v4, 25, v4
	v_lshrrev_b32_e32 v7, 4, v4
	v_and_or_b32 v6, v6, s0, 0.5
	v_or_b32_e32 v7, 0x70000000, v7
	v_add_f32_e32 v6, -0.5, v6
	v_mul_f32_e32 v7, 0x7800000, v7
	v_cmp_gt_u32_e32 vcc, s1, v4
	v_cndmask_b32_e32 v6, v7, v6, vcc
	v_bfe_u32 v7, v6, 23, 8
	v_cmp_ne_u32_e32 vcc, s4, v7
	v_mov_b32_e32 v4, 0xff
	s_and_saveexec_b64 s[4:5], vcc
; %bb.1446:
	s_mov_b32 s0, 0x3fffff
	v_lshrrev_b32_e32 v4, 23, v6
	v_and_b32_e32 v8, 0x400000, v6
	v_and_or_b32 v6, v6, s0, v7
	v_cmp_ne_u32_e32 vcc, 0, v8
	v_cmp_ne_u32_e64 s[0:1], 0, v6
	s_and_b64 s[0:1], vcc, s[0:1]
	v_cndmask_b32_e64 v6, 0, 1, s[0:1]
	v_add_u32_e32 v4, v4, v6
; %bb.1447:
	s_or_b64 exec, exec, s[4:5]
.LBB323_1448:
	s_mov_b64 s[4:5], 0
	s_mov_b64 s[0:1], -1
.LBB323_1449:
	s_andn2_b64 vcc, exec, s[4:5]
	s_mov_b64 s[4:5], 0
	s_cbranch_vccnz .LBB323_1462
; %bb.1450:
	s_cmp_gt_i32 s15, 14
	s_cbranch_scc0 .LBB323_1455
; %bb.1451:
	s_cmp_eq_u32 s15, 15
	s_cbranch_scc0 .LBB323_1458
; %bb.1452:
	global_load_ushort v6, v[0:1], off
	s_movk_i32 s0, 0xff
	s_waitcnt vmcnt(1)
	v_mov_b32_e32 v4, 0xff
	s_waitcnt vmcnt(0)
	v_bfe_u32 v7, v6, 7, 8
	v_cmp_ne_u32_e32 vcc, s0, v7
	s_and_saveexec_b64 s[2:3], vcc
	s_cbranch_execz .LBB323_1454
; %bb.1453:
	v_lshrrev_b32_e32 v4, 7, v6
	v_lshlrev_b32_e32 v8, 16, v6
	v_and_b32_e32 v6, 64, v6
	s_mov_b32 s0, 0x3f0000
	v_cmp_ne_u32_e32 vcc, 0, v6
	v_and_or_b32 v6, v8, s0, v7
	v_cmp_ne_u32_e64 s[0:1], 0, v6
	s_and_b64 s[0:1], vcc, s[0:1]
	v_cndmask_b32_e64 v6, 0, 1, s[0:1]
	v_add_u32_e32 v4, v4, v6
.LBB323_1454:
	s_or_b64 exec, exec, s[2:3]
	s_mov_b64 s[2:3], 0
	s_mov_b64 s[0:1], -1
	s_branch .LBB323_1459
.LBB323_1455:
	s_mov_b64 s[6:7], -1
                                        ; implicit-def: $vgpr4
	s_branch .LBB323_1460
.LBB323_1456:
	s_or_saveexec_b64 s[4:5], s[4:5]
	v_mov_b32_e32 v6, 0x7f800001
	s_xor_b64 exec, exec, s[4:5]
	s_cbranch_execz .LBB323_1429
.LBB323_1457:
	v_cmp_ne_u16_e32 vcc, 0, v4
	s_andn2_b64 s[0:1], s[0:1], exec
	s_and_b64 s[6:7], vcc, exec
	v_and_b32_e32 v6, 0xffff, v4
	s_or_b64 s[0:1], s[0:1], s[6:7]
	s_or_b64 exec, exec, s[4:5]
	s_and_saveexec_b64 s[4:5], s[0:1]
	s_cbranch_execnz .LBB323_1430
	s_branch .LBB323_1431
.LBB323_1458:
	s_mov_b64 s[2:3], -1
                                        ; implicit-def: $vgpr4
.LBB323_1459:
	s_mov_b64 s[6:7], 0
.LBB323_1460:
	s_and_b64 vcc, exec, s[6:7]
	s_cbranch_vccz .LBB323_1462
; %bb.1461:
	s_cmp_lg_u32 s15, 11
	s_mov_b64 s[4:5], -1
	s_cselect_b64 s[2:3], -1, 0
.LBB323_1462:
	s_and_b64 vcc, exec, s[2:3]
	s_cbranch_vccnz .LBB323_1551
; %bb.1463:
	s_andn2_b64 vcc, exec, s[4:5]
	s_cbranch_vccnz .LBB323_1467
.LBB323_1464:
	global_load_ubyte v4, v[0:1], off
	s_movk_i32 s0, 0xff
	s_waitcnt vmcnt(0)
	v_cmp_ne_u16_e32 vcc, 0, v4
	v_cndmask_b32_e64 v7, 0, 1.0, vcc
	v_lshrrev_b32_e32 v6, 23, v7
	v_cmp_ne_u32_e32 vcc, s0, v6
	v_mov_b32_e32 v4, 0xff
	s_and_saveexec_b64 s[2:3], vcc
; %bb.1465:
	v_and_b32_e32 v4, 0x400000, v7
	s_mov_b32 s0, 0x3fffff
	v_cmp_ne_u32_e32 vcc, 0, v4
	v_and_or_b32 v4, v7, s0, v6
	v_cmp_ne_u32_e64 s[0:1], 0, v4
	s_and_b64 s[0:1], vcc, s[0:1]
	v_cndmask_b32_e64 v4, 0, 1, s[0:1]
	v_add_u32_e32 v4, v6, v4
; %bb.1466:
	s_or_b64 exec, exec, s[2:3]
	s_mov_b64 s[0:1], -1
.LBB323_1467:
	s_branch .LBB323_1376
.LBB323_1468:
	s_cmp_lt_i32 s15, 5
	s_cbranch_scc1 .LBB323_1475
; %bb.1469:
	s_cmp_lt_i32 s15, 8
	s_cbranch_scc1 .LBB323_1476
; %bb.1470:
	;; [unrolled: 3-line block ×3, first 2 shown]
	s_cmp_gt_i32 s15, 9
	s_cbranch_scc0 .LBB323_1478
; %bb.1472:
	global_load_dwordx2 v[6:7], v[0:1], off
	s_movk_i32 s0, 0xff
	s_waitcnt vmcnt(1)
	v_mov_b32_e32 v4, 0xff
	s_waitcnt vmcnt(0)
	v_cvt_f32_f64_e32 v6, v[6:7]
	v_bfe_u32 v7, v6, 23, 8
	v_cmp_ne_u32_e32 vcc, s0, v7
	s_and_saveexec_b64 s[2:3], vcc
; %bb.1473:
	s_mov_b32 s0, 0x3fffff
	v_lshrrev_b32_e32 v4, 23, v6
	v_and_b32_e32 v8, 0x400000, v6
	v_and_or_b32 v6, v6, s0, v7
	v_cmp_ne_u32_e32 vcc, 0, v8
	v_cmp_ne_u32_e64 s[0:1], 0, v6
	s_and_b64 s[0:1], vcc, s[0:1]
	v_cndmask_b32_e64 v6, 0, 1, s[0:1]
	v_add_u32_e32 v4, v4, v6
; %bb.1474:
	s_or_b64 exec, exec, s[2:3]
	s_mov_b64 s[0:1], 0
	s_branch .LBB323_1479
.LBB323_1475:
                                        ; implicit-def: $vgpr4
	s_branch .LBB323_1507
.LBB323_1476:
	s_mov_b64 s[0:1], -1
                                        ; implicit-def: $vgpr4
	s_branch .LBB323_1489
.LBB323_1477:
	s_mov_b64 s[0:1], -1
                                        ; implicit-def: $vgpr4
	s_branch .LBB323_1484
.LBB323_1478:
	s_mov_b64 s[0:1], -1
                                        ; implicit-def: $vgpr4
.LBB323_1479:
	s_andn2_b64 vcc, exec, s[0:1]
	s_cbranch_vccnz .LBB323_1483
; %bb.1480:
	global_load_dword v6, v[0:1], off
	s_movk_i32 s0, 0xff
	s_waitcnt vmcnt(1)
	v_mov_b32_e32 v4, 0xff
	s_waitcnt vmcnt(0)
	v_bfe_u32 v7, v6, 23, 8
	v_cmp_ne_u32_e32 vcc, s0, v7
	s_and_saveexec_b64 s[2:3], vcc
; %bb.1481:
	s_mov_b32 s0, 0x3fffff
	v_lshrrev_b32_e32 v4, 23, v6
	v_and_b32_e32 v8, 0x400000, v6
	v_and_or_b32 v6, v6, s0, v7
	v_cmp_ne_u32_e32 vcc, 0, v8
	v_cmp_ne_u32_e64 s[0:1], 0, v6
	s_and_b64 s[0:1], vcc, s[0:1]
	v_cndmask_b32_e64 v6, 0, 1, s[0:1]
	v_add_u32_e32 v4, v4, v6
; %bb.1482:
	s_or_b64 exec, exec, s[2:3]
.LBB323_1483:
	s_mov_b64 s[0:1], 0
.LBB323_1484:
	s_andn2_b64 vcc, exec, s[0:1]
	s_cbranch_vccnz .LBB323_1488
; %bb.1485:
	global_load_dword v4, v[0:1], off
	s_movk_i32 s0, 0xff
	s_waitcnt vmcnt(0)
	v_cvt_f32_f16_e32 v6, v4
	v_mov_b32_e32 v4, 0xff
	v_bfe_u32 v7, v6, 23, 8
	v_cmp_ne_u32_e32 vcc, s0, v7
	s_and_saveexec_b64 s[2:3], vcc
; %bb.1486:
	s_mov_b32 s0, 0x3fffff
	v_lshrrev_b32_e32 v4, 23, v6
	v_and_b32_e32 v8, 0x400000, v6
	v_and_or_b32 v6, v6, s0, v7
	v_cmp_ne_u32_e32 vcc, 0, v8
	v_cmp_ne_u32_e64 s[0:1], 0, v6
	s_and_b64 s[0:1], vcc, s[0:1]
	v_cndmask_b32_e64 v6, 0, 1, s[0:1]
	v_add_u32_e32 v4, v4, v6
; %bb.1487:
	s_or_b64 exec, exec, s[2:3]
.LBB323_1488:
	s_mov_b64 s[0:1], 0
.LBB323_1489:
	s_andn2_b64 vcc, exec, s[0:1]
	s_cbranch_vccnz .LBB323_1506
; %bb.1490:
	s_cmp_lt_i32 s15, 6
	s_cbranch_scc1 .LBB323_1495
; %bb.1491:
	s_cmp_gt_i32 s15, 6
	s_cbranch_scc0 .LBB323_1496
; %bb.1492:
	global_load_dwordx2 v[6:7], v[0:1], off
	s_movk_i32 s0, 0xff
	s_waitcnt vmcnt(1)
	v_mov_b32_e32 v4, 0xff
	s_waitcnt vmcnt(0)
	v_cvt_f32_f64_e32 v6, v[6:7]
	v_bfe_u32 v7, v6, 23, 8
	v_cmp_ne_u32_e32 vcc, s0, v7
	s_and_saveexec_b64 s[2:3], vcc
; %bb.1493:
	s_mov_b32 s0, 0x3fffff
	v_lshrrev_b32_e32 v4, 23, v6
	v_and_b32_e32 v8, 0x400000, v6
	v_and_or_b32 v6, v6, s0, v7
	v_cmp_ne_u32_e32 vcc, 0, v8
	v_cmp_ne_u32_e64 s[0:1], 0, v6
	s_and_b64 s[0:1], vcc, s[0:1]
	v_cndmask_b32_e64 v6, 0, 1, s[0:1]
	v_add_u32_e32 v4, v4, v6
; %bb.1494:
	s_or_b64 exec, exec, s[2:3]
	s_mov_b64 s[0:1], 0
	s_branch .LBB323_1497
.LBB323_1495:
	s_mov_b64 s[0:1], -1
                                        ; implicit-def: $vgpr4
	s_branch .LBB323_1502
.LBB323_1496:
	s_mov_b64 s[0:1], -1
                                        ; implicit-def: $vgpr4
.LBB323_1497:
	s_andn2_b64 vcc, exec, s[0:1]
	s_cbranch_vccnz .LBB323_1501
; %bb.1498:
	global_load_dword v6, v[0:1], off
	s_movk_i32 s0, 0xff
	s_waitcnt vmcnt(1)
	v_mov_b32_e32 v4, 0xff
	s_waitcnt vmcnt(0)
	v_bfe_u32 v7, v6, 23, 8
	v_cmp_ne_u32_e32 vcc, s0, v7
	s_and_saveexec_b64 s[2:3], vcc
; %bb.1499:
	s_mov_b32 s0, 0x3fffff
	v_lshrrev_b32_e32 v4, 23, v6
	v_and_b32_e32 v8, 0x400000, v6
	v_and_or_b32 v6, v6, s0, v7
	v_cmp_ne_u32_e32 vcc, 0, v8
	v_cmp_ne_u32_e64 s[0:1], 0, v6
	s_and_b64 s[0:1], vcc, s[0:1]
	v_cndmask_b32_e64 v6, 0, 1, s[0:1]
	v_add_u32_e32 v4, v4, v6
; %bb.1500:
	s_or_b64 exec, exec, s[2:3]
.LBB323_1501:
	s_mov_b64 s[0:1], 0
.LBB323_1502:
	s_andn2_b64 vcc, exec, s[0:1]
	s_cbranch_vccnz .LBB323_1506
; %bb.1503:
	global_load_ushort v4, v[0:1], off
	s_movk_i32 s0, 0xff
	s_waitcnt vmcnt(0)
	v_cvt_f32_f16_e32 v6, v4
	v_mov_b32_e32 v4, 0xff
	v_bfe_u32 v7, v6, 23, 8
	v_cmp_ne_u32_e32 vcc, s0, v7
	s_and_saveexec_b64 s[2:3], vcc
; %bb.1504:
	s_mov_b32 s0, 0x3fffff
	v_lshrrev_b32_e32 v4, 23, v6
	v_and_b32_e32 v8, 0x400000, v6
	v_and_or_b32 v6, v6, s0, v7
	v_cmp_ne_u32_e32 vcc, 0, v8
	v_cmp_ne_u32_e64 s[0:1], 0, v6
	s_and_b64 s[0:1], vcc, s[0:1]
	v_cndmask_b32_e64 v6, 0, 1, s[0:1]
	v_add_u32_e32 v4, v4, v6
; %bb.1505:
	s_or_b64 exec, exec, s[2:3]
.LBB323_1506:
	s_cbranch_execnz .LBB323_1536
.LBB323_1507:
	s_cmp_lt_i32 s15, 2
	s_cbranch_scc1 .LBB323_1513
; %bb.1508:
	s_cmp_lt_i32 s15, 3
	s_cbranch_scc1 .LBB323_1514
; %bb.1509:
	s_cmp_gt_i32 s15, 3
	s_cbranch_scc0 .LBB323_1515
; %bb.1510:
	global_load_dwordx2 v[6:7], v[0:1], off
	s_movk_i32 s0, 0xff
	s_waitcnt vmcnt(0)
	v_xor_b32_e32 v8, v6, v7
	v_ffbh_i32_e32 v4, v7
	v_ashrrev_i32_e32 v8, 31, v8
	v_add_u32_e32 v4, -1, v4
	v_add_u32_e32 v8, 32, v8
	v_min_u32_e32 v4, v4, v8
	v_lshlrev_b64 v[6:7], v4, v[6:7]
	v_sub_u32_e32 v4, 32, v4
	v_min_u32_e32 v6, 1, v6
	v_or_b32_e32 v6, v7, v6
	v_cvt_f32_i32_e32 v6, v6
	v_ldexp_f32 v6, v6, v4
	v_bfe_u32 v7, v6, 23, 8
	v_cmp_ne_u32_e32 vcc, s0, v7
	v_mov_b32_e32 v4, 0xff
	s_and_saveexec_b64 s[2:3], vcc
; %bb.1511:
	s_mov_b32 s0, 0x3fffff
	v_lshrrev_b32_e32 v4, 23, v6
	v_and_b32_e32 v8, 0x400000, v6
	v_and_or_b32 v6, v6, s0, v7
	v_cmp_ne_u32_e32 vcc, 0, v8
	v_cmp_ne_u32_e64 s[0:1], 0, v6
	s_and_b64 s[0:1], vcc, s[0:1]
	v_cndmask_b32_e64 v6, 0, 1, s[0:1]
	v_add_u32_e32 v4, v4, v6
; %bb.1512:
	s_or_b64 exec, exec, s[2:3]
	s_mov_b64 s[0:1], 0
	s_branch .LBB323_1516
.LBB323_1513:
	s_mov_b64 s[0:1], -1
                                        ; implicit-def: $vgpr4
	s_branch .LBB323_1526
.LBB323_1514:
	s_mov_b64 s[0:1], -1
                                        ; implicit-def: $vgpr4
	s_branch .LBB323_1521
.LBB323_1515:
	s_mov_b64 s[0:1], -1
                                        ; implicit-def: $vgpr4
.LBB323_1516:
	s_andn2_b64 vcc, exec, s[0:1]
	s_cbranch_vccnz .LBB323_1520
; %bb.1517:
	global_load_dword v4, v[0:1], off
	s_movk_i32 s0, 0xff
	s_waitcnt vmcnt(0)
	v_cvt_f32_i32_e32 v6, v4
	v_mov_b32_e32 v4, 0xff
	v_bfe_u32 v7, v6, 23, 8
	v_cmp_ne_u32_e32 vcc, s0, v7
	s_and_saveexec_b64 s[2:3], vcc
; %bb.1518:
	s_mov_b32 s0, 0x3fffff
	v_lshrrev_b32_e32 v4, 23, v6
	v_and_b32_e32 v8, 0x400000, v6
	v_and_or_b32 v6, v6, s0, v7
	v_cmp_ne_u32_e32 vcc, 0, v8
	v_cmp_ne_u32_e64 s[0:1], 0, v6
	s_and_b64 s[0:1], vcc, s[0:1]
	v_cndmask_b32_e64 v6, 0, 1, s[0:1]
	v_add_u32_e32 v4, v4, v6
; %bb.1519:
	s_or_b64 exec, exec, s[2:3]
.LBB323_1520:
	s_mov_b64 s[0:1], 0
.LBB323_1521:
	s_andn2_b64 vcc, exec, s[0:1]
	s_cbranch_vccnz .LBB323_1525
; %bb.1522:
	global_load_sshort v4, v[0:1], off
	s_movk_i32 s0, 0xff
	s_waitcnt vmcnt(0)
	v_cvt_f32_i32_e32 v6, v4
	v_mov_b32_e32 v4, 0xff
	v_bfe_u32 v7, v6, 23, 8
	v_cmp_ne_u32_e32 vcc, s0, v7
	s_and_saveexec_b64 s[2:3], vcc
; %bb.1523:
	s_mov_b32 s0, 0x3fffff
	v_lshrrev_b32_e32 v4, 23, v6
	v_and_b32_e32 v8, 0x400000, v6
	v_and_or_b32 v6, v6, s0, v7
	v_cmp_ne_u32_e32 vcc, 0, v8
	v_cmp_ne_u32_e64 s[0:1], 0, v6
	s_and_b64 s[0:1], vcc, s[0:1]
	v_cndmask_b32_e64 v6, 0, 1, s[0:1]
	v_add_u32_e32 v4, v4, v6
; %bb.1524:
	s_or_b64 exec, exec, s[2:3]
.LBB323_1525:
	s_mov_b64 s[0:1], 0
.LBB323_1526:
	s_andn2_b64 vcc, exec, s[0:1]
	s_cbranch_vccnz .LBB323_1536
; %bb.1527:
	s_cmp_gt_i32 s15, 0
	s_cbranch_scc0 .LBB323_1531
; %bb.1528:
	global_load_sbyte v4, v[0:1], off
	s_movk_i32 s0, 0xff
	s_waitcnt vmcnt(0)
	v_cvt_f32_i32_e32 v6, v4
	v_mov_b32_e32 v4, 0xff
	v_bfe_u32 v7, v6, 23, 8
	v_cmp_ne_u32_e32 vcc, s0, v7
	s_and_saveexec_b64 s[2:3], vcc
; %bb.1529:
	s_mov_b32 s0, 0x3fffff
	v_lshrrev_b32_e32 v4, 23, v6
	v_and_b32_e32 v8, 0x400000, v6
	v_and_or_b32 v6, v6, s0, v7
	v_cmp_ne_u32_e32 vcc, 0, v8
	v_cmp_ne_u32_e64 s[0:1], 0, v6
	s_and_b64 s[0:1], vcc, s[0:1]
	v_cndmask_b32_e64 v6, 0, 1, s[0:1]
	v_add_u32_e32 v4, v4, v6
; %bb.1530:
	s_or_b64 exec, exec, s[2:3]
	s_mov_b64 s[0:1], 0
	s_branch .LBB323_1532
.LBB323_1531:
	s_mov_b64 s[0:1], -1
                                        ; implicit-def: $vgpr4
.LBB323_1532:
	s_andn2_b64 vcc, exec, s[0:1]
	s_cbranch_vccnz .LBB323_1536
; %bb.1533:
	global_load_ubyte v0, v[0:1], off
	s_movk_i32 s0, 0xff
	s_waitcnt vmcnt(1)
	v_mov_b32_e32 v4, 0xff
	s_waitcnt vmcnt(0)
	v_cvt_f32_ubyte0_e32 v1, v0
	v_lshrrev_b32_e32 v0, 23, v1
	v_cmp_ne_u32_e32 vcc, s0, v0
	s_and_saveexec_b64 s[2:3], vcc
; %bb.1534:
	s_mov_b32 s0, 0x3fffff
	v_and_b32_e32 v4, 0x400000, v1
	v_and_or_b32 v1, v1, s0, v0
	v_cmp_ne_u32_e32 vcc, 0, v4
	v_cmp_ne_u32_e64 s[0:1], 0, v1
	s_and_b64 s[0:1], vcc, s[0:1]
	v_cndmask_b32_e64 v1, 0, 1, s[0:1]
	v_add_u32_e32 v4, v0, v1
; %bb.1535:
	s_or_b64 exec, exec, s[2:3]
.LBB323_1536:
.LBB323_1537:
	v_add_u32_e32 v6, s13, v5
	v_ashrrev_i32_e32 v1, 31, v6
	v_mov_b32_e32 v5, s11
	v_add_co_u32_e32 v0, vcc, s10, v6
	s_cmp_lt_i32 s15, 11
	v_addc_co_u32_e32 v1, vcc, v5, v1, vcc
	s_cbranch_scc1 .LBB323_1546
; %bb.1538:
	s_cmp_gt_i32 s15, 25
	s_mov_b64 s[4:5], 0
	s_cbranch_scc0 .LBB323_1548
; %bb.1539:
	s_cmp_gt_i32 s15, 28
	s_cbranch_scc0 .LBB323_1549
; %bb.1540:
	s_cmp_gt_i32 s15, 43
	;; [unrolled: 3-line block ×3, first 2 shown]
	s_cbranch_scc0 .LBB323_1552
; %bb.1542:
	s_cmp_eq_u32 s15, 46
	s_mov_b64 s[6:7], 0
	s_cbranch_scc0 .LBB323_1553
; %bb.1543:
	global_load_dword v7, v[0:1], off
	s_movk_i32 s0, 0xff
	v_mov_b32_e32 v5, 0xff
	s_waitcnt vmcnt(0)
	v_lshlrev_b32_e32 v8, 16, v7
	v_bfe_u32 v9, v8, 23, 8
	v_cmp_ne_u32_e32 vcc, s0, v9
	s_and_saveexec_b64 s[2:3], vcc
; %bb.1544:
	v_bfe_u32 v5, v7, 7, 9
	v_and_b32_e32 v7, 64, v7
	s_mov_b32 s0, 0x3f0000
	v_cmp_ne_u32_e32 vcc, 0, v7
	v_and_or_b32 v7, v8, s0, v9
	v_cmp_ne_u32_e64 s[0:1], 0, v7
	s_and_b64 s[0:1], vcc, s[0:1]
	v_cndmask_b32_e64 v7, 0, 1, s[0:1]
	v_add_u32_e32 v5, v5, v7
; %bb.1545:
	s_or_b64 exec, exec, s[2:3]
	s_mov_b64 s[2:3], 0
	s_mov_b64 s[0:1], -1
	s_branch .LBB323_1554
.LBB323_1546:
	s_mov_b64 s[0:1], 0
                                        ; implicit-def: $vgpr5
	s_cbranch_execnz .LBB323_1638
.LBB323_1547:
	s_andn2_b64 vcc, exec, s[0:1]
	s_cbranch_vccnz .LBB323_2313
	s_branch .LBB323_1708
.LBB323_1548:
	s_mov_b64 s[6:7], -1
	s_mov_b64 s[0:1], 0
	s_mov_b64 s[2:3], 0
                                        ; implicit-def: $vgpr5
	s_branch .LBB323_1591
.LBB323_1549:
	s_mov_b64 s[6:7], -1
	s_mov_b64 s[0:1], 0
	s_mov_b64 s[2:3], 0
                                        ; implicit-def: $vgpr5
	s_branch .LBB323_1566
.LBB323_1550:
	s_mov_b64 s[6:7], -1
	s_mov_b64 s[0:1], 0
	s_mov_b64 s[2:3], 0
                                        ; implicit-def: $vgpr5
	s_branch .LBB323_1559
.LBB323_1551:
	s_trap 2
	s_or_b64 s[22:23], s[22:23], exec
	s_cbranch_execz .LBB323_1464
	s_branch .LBB323_1467
.LBB323_1552:
	s_mov_b64 s[6:7], -1
	s_mov_b64 s[0:1], 0
	s_mov_b64 s[2:3], 0
                                        ; implicit-def: $vgpr5
	s_branch .LBB323_1554
.LBB323_1553:
	s_mov_b64 s[2:3], -1
                                        ; implicit-def: $vgpr5
	s_mov_b64 s[0:1], 0
.LBB323_1554:
	s_and_b64 vcc, exec, s[6:7]
	s_cbranch_vccz .LBB323_1558
; %bb.1555:
	s_cmp_eq_u32 s15, 44
	s_cbranch_scc0 .LBB323_1557
; %bb.1556:
	global_load_ubyte v5, v[0:1], off
	s_mov_b64 s[2:3], 0
	s_mov_b64 s[0:1], -1
	s_branch .LBB323_1558
.LBB323_1557:
	s_mov_b64 s[2:3], -1
                                        ; implicit-def: $vgpr5
.LBB323_1558:
	s_mov_b64 s[6:7], 0
.LBB323_1559:
	s_and_b64 vcc, exec, s[6:7]
	s_cbranch_vccz .LBB323_1565
; %bb.1560:
	s_cmp_eq_u32 s15, 29
	s_cbranch_scc0 .LBB323_1564
; %bb.1561:
	global_load_dwordx2 v[7:8], v[0:1], off
	s_movk_i32 s0, 0xff
	s_waitcnt vmcnt(0)
	v_ffbh_u32_e32 v5, v8
	v_min_u32_e32 v5, 32, v5
	v_lshlrev_b64 v[7:8], v5, v[7:8]
	v_sub_u32_e32 v5, 32, v5
	v_min_u32_e32 v7, 1, v7
	v_or_b32_e32 v7, v8, v7
	v_cvt_f32_u32_e32 v7, v7
	v_ldexp_f32 v8, v7, v5
	v_lshrrev_b32_e32 v7, 23, v8
	v_cmp_ne_u32_e32 vcc, s0, v7
	v_mov_b32_e32 v5, 0xff
	s_and_saveexec_b64 s[2:3], vcc
; %bb.1562:
	v_and_b32_e32 v5, 0x400000, v8
	s_mov_b32 s0, 0x3fffff
	v_cmp_ne_u32_e32 vcc, 0, v5
	v_and_or_b32 v5, v8, s0, v7
	v_cmp_ne_u32_e64 s[0:1], 0, v5
	s_and_b64 s[0:1], vcc, s[0:1]
	v_cndmask_b32_e64 v5, 0, 1, s[0:1]
	v_add_u32_e32 v5, v7, v5
; %bb.1563:
	s_or_b64 exec, exec, s[2:3]
	s_mov_b64 s[2:3], 0
	s_mov_b64 s[0:1], -1
	s_branch .LBB323_1565
.LBB323_1564:
	s_mov_b64 s[2:3], -1
                                        ; implicit-def: $vgpr5
.LBB323_1565:
	s_mov_b64 s[6:7], 0
.LBB323_1566:
	s_and_b64 vcc, exec, s[6:7]
	s_cbranch_vccz .LBB323_1590
; %bb.1567:
	s_cmp_lt_i32 s15, 27
	s_cbranch_scc1 .LBB323_1572
; %bb.1568:
	s_cmp_gt_i32 s15, 27
	s_cbranch_scc0 .LBB323_1573
; %bb.1569:
	global_load_dword v5, v[0:1], off
	s_movk_i32 s0, 0xff
	s_waitcnt vmcnt(0)
	v_cvt_f32_u32_e32 v8, v5
	v_mov_b32_e32 v5, 0xff
	v_lshrrev_b32_e32 v7, 23, v8
	v_cmp_ne_u32_e32 vcc, s0, v7
	s_and_saveexec_b64 s[6:7], vcc
; %bb.1570:
	v_and_b32_e32 v5, 0x400000, v8
	s_mov_b32 s0, 0x3fffff
	v_cmp_ne_u32_e32 vcc, 0, v5
	v_and_or_b32 v5, v8, s0, v7
	v_cmp_ne_u32_e64 s[0:1], 0, v5
	s_and_b64 s[0:1], vcc, s[0:1]
	v_cndmask_b32_e64 v5, 0, 1, s[0:1]
	v_add_u32_e32 v5, v7, v5
; %bb.1571:
	s_or_b64 exec, exec, s[6:7]
	s_mov_b64 s[0:1], 0
	s_branch .LBB323_1574
.LBB323_1572:
	s_mov_b64 s[0:1], -1
                                        ; implicit-def: $vgpr5
	s_branch .LBB323_1579
.LBB323_1573:
	s_mov_b64 s[0:1], -1
                                        ; implicit-def: $vgpr5
.LBB323_1574:
	s_andn2_b64 vcc, exec, s[0:1]
	s_cbranch_vccnz .LBB323_1578
; %bb.1575:
	global_load_ushort v5, v[0:1], off
	s_movk_i32 s0, 0xff
	s_waitcnt vmcnt(0)
	v_cvt_f32_u32_e32 v8, v5
	v_mov_b32_e32 v5, 0xff
	v_lshrrev_b32_e32 v7, 23, v8
	v_cmp_ne_u32_e32 vcc, s0, v7
	s_and_saveexec_b64 s[6:7], vcc
; %bb.1576:
	v_and_b32_e32 v5, 0x400000, v8
	s_mov_b32 s0, 0x3fffff
	v_cmp_ne_u32_e32 vcc, 0, v5
	v_and_or_b32 v5, v8, s0, v7
	v_cmp_ne_u32_e64 s[0:1], 0, v5
	s_and_b64 s[0:1], vcc, s[0:1]
	v_cndmask_b32_e64 v5, 0, 1, s[0:1]
	v_add_u32_e32 v5, v7, v5
; %bb.1577:
	s_or_b64 exec, exec, s[6:7]
.LBB323_1578:
	s_mov_b64 s[0:1], 0
.LBB323_1579:
	s_andn2_b64 vcc, exec, s[0:1]
	s_cbranch_vccnz .LBB323_1589
; %bb.1580:
	global_load_ubyte v5, v[0:1], off
	s_movk_i32 s0, 0x7f
	s_waitcnt vmcnt(0)
	v_cmp_lt_i16_e32 vcc, s0, v5
	s_mov_b64 s[0:1], 0
	s_and_saveexec_b64 s[6:7], vcc
	s_xor_b64 s[6:7], exec, s[6:7]
	s_cbranch_execz .LBB323_1605
; %bb.1581:
	s_movk_i32 s0, 0x80
	v_cmp_eq_u16_e32 vcc, s0, v5
	s_mov_b64 s[0:1], -1
	s_and_saveexec_b64 s[24:25], vcc
; %bb.1582:
	s_xor_b64 s[0:1], exec, -1
; %bb.1583:
	s_or_b64 exec, exec, s[24:25]
	s_and_b64 s[0:1], s[0:1], exec
	s_or_saveexec_b64 s[6:7], s[6:7]
	v_mov_b32_e32 v7, 0x7f800001
	s_xor_b64 exec, exec, s[6:7]
	s_cbranch_execnz .LBB323_1606
.LBB323_1584:
	s_or_b64 exec, exec, s[6:7]
	s_and_saveexec_b64 s[6:7], s[0:1]
	s_cbranch_execz .LBB323_1586
.LBB323_1585:
	v_and_b32_e32 v5, 0xffff, v5
	v_and_b32_e32 v7, 7, v5
	v_ffbh_u32_e32 v9, v7
	v_min_u32_e32 v9, 32, v9
	v_subrev_u32_e32 v10, 28, v9
	v_bfe_u32 v8, v5, 3, 4
	v_lshlrev_b32_e32 v5, v10, v5
	v_and_b32_e32 v5, 7, v5
	v_cmp_eq_u32_e32 vcc, 0, v8
	v_sub_u32_e32 v9, 29, v9
	v_cndmask_b32_e32 v5, v7, v5, vcc
	v_cndmask_b32_e32 v8, v8, v9, vcc
	v_lshlrev_b32_e32 v5, 20, v5
	v_lshl_or_b32 v5, v8, 23, v5
	v_add_u32_e32 v7, 0x3b800000, v5
.LBB323_1586:
	s_or_b64 exec, exec, s[6:7]
	v_lshrrev_b32_e32 v8, 23, v7
	s_movk_i32 s0, 0xff
	v_cmp_ne_u32_e32 vcc, s0, v8
	v_mov_b32_e32 v5, 0xff
	s_and_saveexec_b64 s[6:7], vcc
; %bb.1587:
	v_and_b32_e32 v5, 0x400000, v7
	s_mov_b32 s0, 0x3fffff
	v_cmp_ne_u32_e32 vcc, 0, v5
	v_and_or_b32 v5, v7, s0, v8
	v_cmp_ne_u32_e64 s[0:1], 0, v5
	s_and_b64 s[0:1], vcc, s[0:1]
	v_cndmask_b32_e64 v5, 0, 1, s[0:1]
	v_add_u32_e32 v5, v8, v5
; %bb.1588:
	s_or_b64 exec, exec, s[6:7]
.LBB323_1589:
	s_mov_b64 s[0:1], -1
.LBB323_1590:
	s_mov_b64 s[6:7], 0
.LBB323_1591:
	s_and_b64 vcc, exec, s[6:7]
	s_cbranch_vccz .LBB323_1632
; %bb.1592:
	s_cmp_gt_i32 s15, 22
	s_cbranch_scc0 .LBB323_1604
; %bb.1593:
	s_cmp_lt_i32 s15, 24
	s_cbranch_scc1 .LBB323_1607
; %bb.1594:
	s_cmp_gt_i32 s15, 24
	s_cbranch_scc0 .LBB323_1608
; %bb.1595:
	global_load_ubyte v5, v[0:1], off
	s_movk_i32 s0, 0x7f
	s_waitcnt vmcnt(0)
	v_cmp_lt_i16_e32 vcc, s0, v5
	s_mov_b64 s[0:1], 0
	s_and_saveexec_b64 s[4:5], vcc
	s_xor_b64 s[4:5], exec, s[4:5]
	s_cbranch_execz .LBB323_1626
; %bb.1596:
	s_movk_i32 s0, 0x80
	v_cmp_eq_u16_e32 vcc, s0, v5
	s_mov_b64 s[0:1], -1
	s_and_saveexec_b64 s[6:7], vcc
; %bb.1597:
	s_xor_b64 s[0:1], exec, -1
; %bb.1598:
	s_or_b64 exec, exec, s[6:7]
	s_and_b64 s[0:1], s[0:1], exec
	s_or_saveexec_b64 s[4:5], s[4:5]
	v_mov_b32_e32 v7, 0x7f800001
	s_xor_b64 exec, exec, s[4:5]
	s_cbranch_execnz .LBB323_1627
.LBB323_1599:
	s_or_b64 exec, exec, s[4:5]
	s_and_saveexec_b64 s[4:5], s[0:1]
	s_cbranch_execz .LBB323_1601
.LBB323_1600:
	v_and_b32_e32 v5, 0xffff, v5
	v_and_b32_e32 v7, 3, v5
	v_ffbh_u32_e32 v9, v7
	v_min_u32_e32 v9, 32, v9
	v_subrev_u32_e32 v10, 29, v9
	v_bfe_u32 v8, v5, 2, 5
	v_lshlrev_b32_e32 v5, v10, v5
	v_and_b32_e32 v5, 3, v5
	v_cmp_eq_u32_e32 vcc, 0, v8
	v_sub_u32_e32 v9, 30, v9
	v_cndmask_b32_e32 v5, v7, v5, vcc
	v_cndmask_b32_e32 v8, v8, v9, vcc
	v_lshlrev_b32_e32 v5, 21, v5
	v_lshl_or_b32 v5, v8, 23, v5
	v_add_u32_e32 v7, 0x37800000, v5
.LBB323_1601:
	s_or_b64 exec, exec, s[4:5]
	v_lshrrev_b32_e32 v8, 23, v7
	s_movk_i32 s0, 0xff
	v_cmp_ne_u32_e32 vcc, s0, v8
	v_mov_b32_e32 v5, 0xff
	s_and_saveexec_b64 s[4:5], vcc
; %bb.1602:
	v_and_b32_e32 v5, 0x400000, v7
	s_mov_b32 s0, 0x3fffff
	v_cmp_ne_u32_e32 vcc, 0, v5
	v_and_or_b32 v5, v7, s0, v8
	v_cmp_ne_u32_e64 s[0:1], 0, v5
	s_and_b64 s[0:1], vcc, s[0:1]
	v_cndmask_b32_e64 v5, 0, 1, s[0:1]
	v_add_u32_e32 v5, v8, v5
; %bb.1603:
	s_or_b64 exec, exec, s[4:5]
	s_mov_b64 s[0:1], 0
	s_branch .LBB323_1609
.LBB323_1604:
	s_mov_b64 s[4:5], -1
                                        ; implicit-def: $vgpr5
	s_branch .LBB323_1619
.LBB323_1605:
	s_or_saveexec_b64 s[6:7], s[6:7]
	v_mov_b32_e32 v7, 0x7f800001
	s_xor_b64 exec, exec, s[6:7]
	s_cbranch_execz .LBB323_1584
.LBB323_1606:
	v_cmp_ne_u16_e32 vcc, 0, v5
	s_andn2_b64 s[0:1], s[0:1], exec
	s_and_b64 s[24:25], vcc, exec
	v_and_b32_e32 v7, 0xffff, v5
	s_or_b64 s[0:1], s[0:1], s[24:25]
	s_or_b64 exec, exec, s[6:7]
	s_and_saveexec_b64 s[6:7], s[0:1]
	s_cbranch_execnz .LBB323_1585
	s_branch .LBB323_1586
.LBB323_1607:
	s_mov_b64 s[0:1], -1
                                        ; implicit-def: $vgpr5
	s_branch .LBB323_1614
.LBB323_1608:
	s_mov_b64 s[0:1], -1
                                        ; implicit-def: $vgpr5
.LBB323_1609:
	s_and_b64 vcc, exec, s[0:1]
	s_cbranch_vccz .LBB323_1613
; %bb.1610:
	global_load_ubyte v5, v[0:1], off
	s_mov_b32 s0, 0x7f800000
	s_movk_i32 s1, 0xff
	s_waitcnt vmcnt(0)
	v_lshlrev_b32_e32 v5, 24, v5
	v_and_b32_e32 v5, 0x7f000000, v5
	v_ffbh_u32_e32 v7, v5
	v_min_u32_e32 v7, 32, v7
	v_sub_u32_e64 v7, v7, 4 clamp
	v_lshlrev_b32_e32 v9, v7, v5
	v_lshlrev_b32_e32 v7, 23, v7
	v_lshrrev_b32_e32 v9, 4, v9
	v_add_u32_e32 v8, 0x1000000, v5
	v_sub_u32_e32 v7, v9, v7
	v_ashrrev_i32_e32 v8, 8, v8
	v_add_u32_e32 v7, 0x3c000000, v7
	v_and_or_b32 v7, v8, s0, v7
	v_cmp_ne_u32_e32 vcc, 0, v5
	v_cndmask_b32_e32 v8, 0, v7, vcc
	v_lshrrev_b32_e32 v7, 23, v8
	v_cmp_ne_u32_e32 vcc, s1, v7
	v_mov_b32_e32 v5, 0xff
	s_and_saveexec_b64 s[4:5], vcc
; %bb.1611:
	v_and_b32_e32 v5, 0x400000, v8
	s_mov_b32 s0, 0x3fffff
	v_cmp_ne_u32_e32 vcc, 0, v5
	v_and_or_b32 v5, v8, s0, v7
	v_cmp_ne_u32_e64 s[0:1], 0, v5
	s_and_b64 s[0:1], vcc, s[0:1]
	v_cndmask_b32_e64 v5, 0, 1, s[0:1]
	v_add_u32_e32 v5, v7, v5
; %bb.1612:
	s_or_b64 exec, exec, s[4:5]
.LBB323_1613:
	s_mov_b64 s[0:1], 0
.LBB323_1614:
	s_andn2_b64 vcc, exec, s[0:1]
	s_cbranch_vccnz .LBB323_1618
; %bb.1615:
	global_load_ubyte v5, v[0:1], off
	s_movk_i32 s0, 0x7f00
	s_brev_b32 s1, 16
	s_movk_i32 s4, 0xff
	s_waitcnt vmcnt(0)
	v_lshlrev_b32_e32 v7, 8, v5
	v_lshlrev_b32_e32 v5, 25, v5
	v_lshrrev_b32_e32 v8, 4, v5
	v_and_or_b32 v7, v7, s0, 0.5
	v_or_b32_e32 v8, 0x70000000, v8
	v_add_f32_e32 v7, -0.5, v7
	v_mul_f32_e32 v8, 0x7800000, v8
	v_cmp_gt_u32_e32 vcc, s1, v5
	v_cndmask_b32_e32 v7, v8, v7, vcc
	v_bfe_u32 v8, v7, 23, 8
	v_cmp_ne_u32_e32 vcc, s4, v8
	v_mov_b32_e32 v5, 0xff
	s_and_saveexec_b64 s[4:5], vcc
; %bb.1616:
	s_mov_b32 s0, 0x3fffff
	v_lshrrev_b32_e32 v5, 23, v7
	v_and_b32_e32 v9, 0x400000, v7
	v_and_or_b32 v7, v7, s0, v8
	v_cmp_ne_u32_e32 vcc, 0, v9
	v_cmp_ne_u32_e64 s[0:1], 0, v7
	s_and_b64 s[0:1], vcc, s[0:1]
	v_cndmask_b32_e64 v7, 0, 1, s[0:1]
	v_add_u32_e32 v5, v5, v7
; %bb.1617:
	s_or_b64 exec, exec, s[4:5]
.LBB323_1618:
	s_mov_b64 s[4:5], 0
	s_mov_b64 s[0:1], -1
.LBB323_1619:
	s_andn2_b64 vcc, exec, s[4:5]
	s_mov_b64 s[4:5], 0
	s_cbranch_vccnz .LBB323_1632
; %bb.1620:
	s_cmp_gt_i32 s15, 14
	s_cbranch_scc0 .LBB323_1625
; %bb.1621:
	s_cmp_eq_u32 s15, 15
	s_cbranch_scc0 .LBB323_1628
; %bb.1622:
	global_load_ushort v7, v[0:1], off
	s_movk_i32 s0, 0xff
	s_waitcnt vmcnt(1)
	v_mov_b32_e32 v5, 0xff
	s_waitcnt vmcnt(0)
	v_bfe_u32 v8, v7, 7, 8
	v_cmp_ne_u32_e32 vcc, s0, v8
	s_and_saveexec_b64 s[2:3], vcc
	s_cbranch_execz .LBB323_1624
; %bb.1623:
	v_lshrrev_b32_e32 v5, 7, v7
	v_lshlrev_b32_e32 v9, 16, v7
	v_and_b32_e32 v7, 64, v7
	s_mov_b32 s0, 0x3f0000
	v_cmp_ne_u32_e32 vcc, 0, v7
	v_and_or_b32 v7, v9, s0, v8
	v_cmp_ne_u32_e64 s[0:1], 0, v7
	s_and_b64 s[0:1], vcc, s[0:1]
	v_cndmask_b32_e64 v7, 0, 1, s[0:1]
	v_add_u32_e32 v5, v5, v7
.LBB323_1624:
	s_or_b64 exec, exec, s[2:3]
	s_mov_b64 s[2:3], 0
	s_mov_b64 s[0:1], -1
	s_branch .LBB323_1629
.LBB323_1625:
	s_mov_b64 s[6:7], -1
                                        ; implicit-def: $vgpr5
	s_branch .LBB323_1630
.LBB323_1626:
	s_or_saveexec_b64 s[4:5], s[4:5]
	v_mov_b32_e32 v7, 0x7f800001
	s_xor_b64 exec, exec, s[4:5]
	s_cbranch_execz .LBB323_1599
.LBB323_1627:
	v_cmp_ne_u16_e32 vcc, 0, v5
	s_andn2_b64 s[0:1], s[0:1], exec
	s_and_b64 s[6:7], vcc, exec
	v_and_b32_e32 v7, 0xffff, v5
	s_or_b64 s[0:1], s[0:1], s[6:7]
	s_or_b64 exec, exec, s[4:5]
	s_and_saveexec_b64 s[4:5], s[0:1]
	s_cbranch_execnz .LBB323_1600
	s_branch .LBB323_1601
.LBB323_1628:
	s_mov_b64 s[2:3], -1
                                        ; implicit-def: $vgpr5
.LBB323_1629:
	s_mov_b64 s[6:7], 0
.LBB323_1630:
	s_and_b64 vcc, exec, s[6:7]
	s_cbranch_vccz .LBB323_1632
; %bb.1631:
	s_cmp_lg_u32 s15, 11
	s_mov_b64 s[4:5], -1
	s_cselect_b64 s[2:3], -1, 0
.LBB323_1632:
	s_and_b64 vcc, exec, s[2:3]
	s_cbranch_vccnz .LBB323_1721
; %bb.1633:
	s_andn2_b64 vcc, exec, s[4:5]
	s_cbranch_vccnz .LBB323_1637
.LBB323_1634:
	global_load_ubyte v5, v[0:1], off
	s_movk_i32 s0, 0xff
	s_waitcnt vmcnt(0)
	v_cmp_ne_u16_e32 vcc, 0, v5
	v_cndmask_b32_e64 v8, 0, 1.0, vcc
	v_lshrrev_b32_e32 v7, 23, v8
	v_cmp_ne_u32_e32 vcc, s0, v7
	v_mov_b32_e32 v5, 0xff
	s_and_saveexec_b64 s[2:3], vcc
; %bb.1635:
	v_and_b32_e32 v5, 0x400000, v8
	s_mov_b32 s0, 0x3fffff
	v_cmp_ne_u32_e32 vcc, 0, v5
	v_and_or_b32 v5, v8, s0, v7
	v_cmp_ne_u32_e64 s[0:1], 0, v5
	s_and_b64 s[0:1], vcc, s[0:1]
	v_cndmask_b32_e64 v5, 0, 1, s[0:1]
	v_add_u32_e32 v5, v7, v5
; %bb.1636:
	s_or_b64 exec, exec, s[2:3]
	s_mov_b64 s[0:1], -1
.LBB323_1637:
	s_branch .LBB323_1547
.LBB323_1638:
	s_cmp_lt_i32 s15, 5
	s_cbranch_scc1 .LBB323_1645
; %bb.1639:
	s_cmp_lt_i32 s15, 8
	s_cbranch_scc1 .LBB323_1646
; %bb.1640:
	;; [unrolled: 3-line block ×3, first 2 shown]
	s_cmp_gt_i32 s15, 9
	s_cbranch_scc0 .LBB323_1648
; %bb.1642:
	global_load_dwordx2 v[7:8], v[0:1], off
	s_movk_i32 s0, 0xff
	s_waitcnt vmcnt(1)
	v_mov_b32_e32 v5, 0xff
	s_waitcnt vmcnt(0)
	v_cvt_f32_f64_e32 v7, v[7:8]
	v_bfe_u32 v8, v7, 23, 8
	v_cmp_ne_u32_e32 vcc, s0, v8
	s_and_saveexec_b64 s[2:3], vcc
; %bb.1643:
	s_mov_b32 s0, 0x3fffff
	v_lshrrev_b32_e32 v5, 23, v7
	v_and_b32_e32 v9, 0x400000, v7
	v_and_or_b32 v7, v7, s0, v8
	v_cmp_ne_u32_e32 vcc, 0, v9
	v_cmp_ne_u32_e64 s[0:1], 0, v7
	s_and_b64 s[0:1], vcc, s[0:1]
	v_cndmask_b32_e64 v7, 0, 1, s[0:1]
	v_add_u32_e32 v5, v5, v7
; %bb.1644:
	s_or_b64 exec, exec, s[2:3]
	s_mov_b64 s[0:1], 0
	s_branch .LBB323_1649
.LBB323_1645:
	s_mov_b64 s[0:1], -1
                                        ; implicit-def: $vgpr5
	s_branch .LBB323_1677
.LBB323_1646:
	s_mov_b64 s[0:1], -1
                                        ; implicit-def: $vgpr5
	s_branch .LBB323_1659
.LBB323_1647:
	s_mov_b64 s[0:1], -1
                                        ; implicit-def: $vgpr5
	s_branch .LBB323_1654
.LBB323_1648:
	s_mov_b64 s[0:1], -1
                                        ; implicit-def: $vgpr5
.LBB323_1649:
	s_andn2_b64 vcc, exec, s[0:1]
	s_cbranch_vccnz .LBB323_1653
; %bb.1650:
	global_load_dword v7, v[0:1], off
	s_movk_i32 s0, 0xff
	s_waitcnt vmcnt(1)
	v_mov_b32_e32 v5, 0xff
	s_waitcnt vmcnt(0)
	v_bfe_u32 v8, v7, 23, 8
	v_cmp_ne_u32_e32 vcc, s0, v8
	s_and_saveexec_b64 s[2:3], vcc
; %bb.1651:
	s_mov_b32 s0, 0x3fffff
	v_lshrrev_b32_e32 v5, 23, v7
	v_and_b32_e32 v9, 0x400000, v7
	v_and_or_b32 v7, v7, s0, v8
	v_cmp_ne_u32_e32 vcc, 0, v9
	v_cmp_ne_u32_e64 s[0:1], 0, v7
	s_and_b64 s[0:1], vcc, s[0:1]
	v_cndmask_b32_e64 v7, 0, 1, s[0:1]
	v_add_u32_e32 v5, v5, v7
; %bb.1652:
	s_or_b64 exec, exec, s[2:3]
.LBB323_1653:
	s_mov_b64 s[0:1], 0
.LBB323_1654:
	s_andn2_b64 vcc, exec, s[0:1]
	s_cbranch_vccnz .LBB323_1658
; %bb.1655:
	global_load_dword v5, v[0:1], off
	s_movk_i32 s0, 0xff
	s_waitcnt vmcnt(0)
	v_cvt_f32_f16_e32 v7, v5
	v_mov_b32_e32 v5, 0xff
	v_bfe_u32 v8, v7, 23, 8
	v_cmp_ne_u32_e32 vcc, s0, v8
	s_and_saveexec_b64 s[2:3], vcc
; %bb.1656:
	s_mov_b32 s0, 0x3fffff
	v_lshrrev_b32_e32 v5, 23, v7
	v_and_b32_e32 v9, 0x400000, v7
	v_and_or_b32 v7, v7, s0, v8
	v_cmp_ne_u32_e32 vcc, 0, v9
	v_cmp_ne_u32_e64 s[0:1], 0, v7
	s_and_b64 s[0:1], vcc, s[0:1]
	v_cndmask_b32_e64 v7, 0, 1, s[0:1]
	v_add_u32_e32 v5, v5, v7
; %bb.1657:
	s_or_b64 exec, exec, s[2:3]
.LBB323_1658:
	s_mov_b64 s[0:1], 0
.LBB323_1659:
	s_andn2_b64 vcc, exec, s[0:1]
	s_cbranch_vccnz .LBB323_1676
; %bb.1660:
	s_cmp_lt_i32 s15, 6
	s_cbranch_scc1 .LBB323_1665
; %bb.1661:
	s_cmp_gt_i32 s15, 6
	s_cbranch_scc0 .LBB323_1666
; %bb.1662:
	global_load_dwordx2 v[7:8], v[0:1], off
	s_movk_i32 s0, 0xff
	s_waitcnt vmcnt(1)
	v_mov_b32_e32 v5, 0xff
	s_waitcnt vmcnt(0)
	v_cvt_f32_f64_e32 v7, v[7:8]
	v_bfe_u32 v8, v7, 23, 8
	v_cmp_ne_u32_e32 vcc, s0, v8
	s_and_saveexec_b64 s[2:3], vcc
; %bb.1663:
	s_mov_b32 s0, 0x3fffff
	v_lshrrev_b32_e32 v5, 23, v7
	v_and_b32_e32 v9, 0x400000, v7
	v_and_or_b32 v7, v7, s0, v8
	v_cmp_ne_u32_e32 vcc, 0, v9
	v_cmp_ne_u32_e64 s[0:1], 0, v7
	s_and_b64 s[0:1], vcc, s[0:1]
	v_cndmask_b32_e64 v7, 0, 1, s[0:1]
	v_add_u32_e32 v5, v5, v7
; %bb.1664:
	s_or_b64 exec, exec, s[2:3]
	s_mov_b64 s[0:1], 0
	s_branch .LBB323_1667
.LBB323_1665:
	s_mov_b64 s[0:1], -1
                                        ; implicit-def: $vgpr5
	s_branch .LBB323_1672
.LBB323_1666:
	s_mov_b64 s[0:1], -1
                                        ; implicit-def: $vgpr5
.LBB323_1667:
	s_andn2_b64 vcc, exec, s[0:1]
	s_cbranch_vccnz .LBB323_1671
; %bb.1668:
	global_load_dword v7, v[0:1], off
	s_movk_i32 s0, 0xff
	s_waitcnt vmcnt(1)
	v_mov_b32_e32 v5, 0xff
	s_waitcnt vmcnt(0)
	v_bfe_u32 v8, v7, 23, 8
	v_cmp_ne_u32_e32 vcc, s0, v8
	s_and_saveexec_b64 s[2:3], vcc
; %bb.1669:
	s_mov_b32 s0, 0x3fffff
	v_lshrrev_b32_e32 v5, 23, v7
	v_and_b32_e32 v9, 0x400000, v7
	v_and_or_b32 v7, v7, s0, v8
	v_cmp_ne_u32_e32 vcc, 0, v9
	v_cmp_ne_u32_e64 s[0:1], 0, v7
	s_and_b64 s[0:1], vcc, s[0:1]
	v_cndmask_b32_e64 v7, 0, 1, s[0:1]
	v_add_u32_e32 v5, v5, v7
; %bb.1670:
	s_or_b64 exec, exec, s[2:3]
.LBB323_1671:
	s_mov_b64 s[0:1], 0
.LBB323_1672:
	s_andn2_b64 vcc, exec, s[0:1]
	s_cbranch_vccnz .LBB323_1676
; %bb.1673:
	global_load_ushort v5, v[0:1], off
	s_movk_i32 s0, 0xff
	s_waitcnt vmcnt(0)
	v_cvt_f32_f16_e32 v7, v5
	v_mov_b32_e32 v5, 0xff
	v_bfe_u32 v8, v7, 23, 8
	v_cmp_ne_u32_e32 vcc, s0, v8
	s_and_saveexec_b64 s[2:3], vcc
; %bb.1674:
	s_mov_b32 s0, 0x3fffff
	v_lshrrev_b32_e32 v5, 23, v7
	v_and_b32_e32 v9, 0x400000, v7
	v_and_or_b32 v7, v7, s0, v8
	v_cmp_ne_u32_e32 vcc, 0, v9
	v_cmp_ne_u32_e64 s[0:1], 0, v7
	s_and_b64 s[0:1], vcc, s[0:1]
	v_cndmask_b32_e64 v7, 0, 1, s[0:1]
	v_add_u32_e32 v5, v5, v7
; %bb.1675:
	s_or_b64 exec, exec, s[2:3]
.LBB323_1676:
	s_mov_b64 s[0:1], 0
.LBB323_1677:
	s_andn2_b64 vcc, exec, s[0:1]
	s_cbranch_vccnz .LBB323_1707
; %bb.1678:
	s_cmp_lt_i32 s15, 2
	s_cbranch_scc1 .LBB323_1684
; %bb.1679:
	s_cmp_lt_i32 s15, 3
	s_cbranch_scc1 .LBB323_1685
; %bb.1680:
	s_cmp_gt_i32 s15, 3
	s_cbranch_scc0 .LBB323_1686
; %bb.1681:
	global_load_dwordx2 v[7:8], v[0:1], off
	s_movk_i32 s0, 0xff
	s_waitcnt vmcnt(0)
	v_xor_b32_e32 v9, v7, v8
	v_ffbh_i32_e32 v5, v8
	v_ashrrev_i32_e32 v9, 31, v9
	v_add_u32_e32 v5, -1, v5
	v_add_u32_e32 v9, 32, v9
	v_min_u32_e32 v5, v5, v9
	v_lshlrev_b64 v[7:8], v5, v[7:8]
	v_sub_u32_e32 v5, 32, v5
	v_min_u32_e32 v7, 1, v7
	v_or_b32_e32 v7, v8, v7
	v_cvt_f32_i32_e32 v7, v7
	v_ldexp_f32 v7, v7, v5
	v_bfe_u32 v8, v7, 23, 8
	v_cmp_ne_u32_e32 vcc, s0, v8
	v_mov_b32_e32 v5, 0xff
	s_and_saveexec_b64 s[2:3], vcc
; %bb.1682:
	s_mov_b32 s0, 0x3fffff
	v_lshrrev_b32_e32 v5, 23, v7
	v_and_b32_e32 v9, 0x400000, v7
	v_and_or_b32 v7, v7, s0, v8
	v_cmp_ne_u32_e32 vcc, 0, v9
	v_cmp_ne_u32_e64 s[0:1], 0, v7
	s_and_b64 s[0:1], vcc, s[0:1]
	v_cndmask_b32_e64 v7, 0, 1, s[0:1]
	v_add_u32_e32 v5, v5, v7
; %bb.1683:
	s_or_b64 exec, exec, s[2:3]
	s_mov_b64 s[0:1], 0
	s_branch .LBB323_1687
.LBB323_1684:
	s_mov_b64 s[0:1], -1
                                        ; implicit-def: $vgpr5
	s_branch .LBB323_1697
.LBB323_1685:
	s_mov_b64 s[0:1], -1
                                        ; implicit-def: $vgpr5
	s_branch .LBB323_1692
.LBB323_1686:
	s_mov_b64 s[0:1], -1
                                        ; implicit-def: $vgpr5
.LBB323_1687:
	s_andn2_b64 vcc, exec, s[0:1]
	s_cbranch_vccnz .LBB323_1691
; %bb.1688:
	global_load_dword v5, v[0:1], off
	s_movk_i32 s0, 0xff
	s_waitcnt vmcnt(0)
	v_cvt_f32_i32_e32 v7, v5
	v_mov_b32_e32 v5, 0xff
	v_bfe_u32 v8, v7, 23, 8
	v_cmp_ne_u32_e32 vcc, s0, v8
	s_and_saveexec_b64 s[2:3], vcc
; %bb.1689:
	s_mov_b32 s0, 0x3fffff
	v_lshrrev_b32_e32 v5, 23, v7
	v_and_b32_e32 v9, 0x400000, v7
	v_and_or_b32 v7, v7, s0, v8
	v_cmp_ne_u32_e32 vcc, 0, v9
	v_cmp_ne_u32_e64 s[0:1], 0, v7
	s_and_b64 s[0:1], vcc, s[0:1]
	v_cndmask_b32_e64 v7, 0, 1, s[0:1]
	v_add_u32_e32 v5, v5, v7
; %bb.1690:
	s_or_b64 exec, exec, s[2:3]
.LBB323_1691:
	s_mov_b64 s[0:1], 0
.LBB323_1692:
	s_andn2_b64 vcc, exec, s[0:1]
	s_cbranch_vccnz .LBB323_1696
; %bb.1693:
	global_load_sshort v5, v[0:1], off
	s_movk_i32 s0, 0xff
	s_waitcnt vmcnt(0)
	v_cvt_f32_i32_e32 v7, v5
	v_mov_b32_e32 v5, 0xff
	v_bfe_u32 v8, v7, 23, 8
	v_cmp_ne_u32_e32 vcc, s0, v8
	s_and_saveexec_b64 s[2:3], vcc
; %bb.1694:
	s_mov_b32 s0, 0x3fffff
	v_lshrrev_b32_e32 v5, 23, v7
	v_and_b32_e32 v9, 0x400000, v7
	v_and_or_b32 v7, v7, s0, v8
	v_cmp_ne_u32_e32 vcc, 0, v9
	v_cmp_ne_u32_e64 s[0:1], 0, v7
	s_and_b64 s[0:1], vcc, s[0:1]
	v_cndmask_b32_e64 v7, 0, 1, s[0:1]
	v_add_u32_e32 v5, v5, v7
; %bb.1695:
	s_or_b64 exec, exec, s[2:3]
.LBB323_1696:
	s_mov_b64 s[0:1], 0
.LBB323_1697:
	s_andn2_b64 vcc, exec, s[0:1]
	s_cbranch_vccnz .LBB323_1707
; %bb.1698:
	s_cmp_gt_i32 s15, 0
	s_cbranch_scc0 .LBB323_1702
; %bb.1699:
	global_load_sbyte v5, v[0:1], off
	s_movk_i32 s0, 0xff
	s_waitcnt vmcnt(0)
	v_cvt_f32_i32_e32 v7, v5
	v_mov_b32_e32 v5, 0xff
	v_bfe_u32 v8, v7, 23, 8
	v_cmp_ne_u32_e32 vcc, s0, v8
	s_and_saveexec_b64 s[2:3], vcc
; %bb.1700:
	s_mov_b32 s0, 0x3fffff
	v_lshrrev_b32_e32 v5, 23, v7
	v_and_b32_e32 v9, 0x400000, v7
	v_and_or_b32 v7, v7, s0, v8
	v_cmp_ne_u32_e32 vcc, 0, v9
	v_cmp_ne_u32_e64 s[0:1], 0, v7
	s_and_b64 s[0:1], vcc, s[0:1]
	v_cndmask_b32_e64 v7, 0, 1, s[0:1]
	v_add_u32_e32 v5, v5, v7
; %bb.1701:
	s_or_b64 exec, exec, s[2:3]
	s_mov_b64 s[0:1], 0
	s_branch .LBB323_1703
.LBB323_1702:
	s_mov_b64 s[0:1], -1
                                        ; implicit-def: $vgpr5
.LBB323_1703:
	s_andn2_b64 vcc, exec, s[0:1]
	s_cbranch_vccnz .LBB323_1707
; %bb.1704:
	global_load_ubyte v0, v[0:1], off
	s_movk_i32 s0, 0xff
	s_waitcnt vmcnt(1)
	v_mov_b32_e32 v5, 0xff
	s_waitcnt vmcnt(0)
	v_cvt_f32_ubyte0_e32 v1, v0
	v_lshrrev_b32_e32 v0, 23, v1
	v_cmp_ne_u32_e32 vcc, s0, v0
	s_and_saveexec_b64 s[2:3], vcc
; %bb.1705:
	s_mov_b32 s0, 0x3fffff
	v_and_b32_e32 v5, 0x400000, v1
	v_and_or_b32 v1, v1, s0, v0
	v_cmp_ne_u32_e32 vcc, 0, v5
	v_cmp_ne_u32_e64 s[0:1], 0, v1
	s_and_b64 s[0:1], vcc, s[0:1]
	v_cndmask_b32_e64 v1, 0, 1, s[0:1]
	v_add_u32_e32 v5, v0, v1
; %bb.1706:
	s_or_b64 exec, exec, s[2:3]
.LBB323_1707:
.LBB323_1708:
	v_add_u32_e32 v0, s13, v6
	v_ashrrev_i32_e32 v1, 31, v0
	v_mov_b32_e32 v6, s11
	v_add_co_u32_e32 v0, vcc, s10, v0
	s_cmp_lt_i32 s15, 11
	v_addc_co_u32_e32 v1, vcc, v6, v1, vcc
	s_cbranch_scc1 .LBB323_1717
; %bb.1709:
	s_cmp_gt_i32 s15, 25
	s_mov_b64 s[4:5], 0
	s_cbranch_scc0 .LBB323_1718
; %bb.1710:
	s_cmp_gt_i32 s15, 28
	s_cbranch_scc0 .LBB323_1719
; %bb.1711:
	s_cmp_gt_i32 s15, 43
	s_cbranch_scc0 .LBB323_1720
; %bb.1712:
	s_cmp_gt_i32 s15, 45
	s_cbranch_scc0 .LBB323_1722
; %bb.1713:
	s_cmp_eq_u32 s15, 46
	s_mov_b64 s[6:7], 0
	s_cbranch_scc0 .LBB323_1723
; %bb.1714:
	global_load_dword v7, v[0:1], off
	s_movk_i32 s0, 0xff
	v_mov_b32_e32 v6, 0xff
	s_waitcnt vmcnt(0)
	v_lshlrev_b32_e32 v8, 16, v7
	v_bfe_u32 v9, v8, 23, 8
	v_cmp_ne_u32_e32 vcc, s0, v9
	s_and_saveexec_b64 s[2:3], vcc
; %bb.1715:
	v_bfe_u32 v6, v7, 7, 9
	v_and_b32_e32 v7, 64, v7
	s_mov_b32 s0, 0x3f0000
	v_cmp_ne_u32_e32 vcc, 0, v7
	v_and_or_b32 v7, v8, s0, v9
	v_cmp_ne_u32_e64 s[0:1], 0, v7
	s_and_b64 s[0:1], vcc, s[0:1]
	v_cndmask_b32_e64 v7, 0, 1, s[0:1]
	v_add_u32_e32 v6, v6, v7
; %bb.1716:
	s_or_b64 exec, exec, s[2:3]
	s_mov_b64 s[2:3], 0
	s_mov_b64 s[0:1], -1
	s_branch .LBB323_1724
.LBB323_1717:
	s_mov_b64 s[2:3], -1
	s_mov_b64 s[0:1], 0
                                        ; implicit-def: $vgpr6
	s_branch .LBB323_1808
.LBB323_1718:
	s_mov_b64 s[6:7], -1
	s_mov_b64 s[0:1], 0
	s_mov_b64 s[2:3], 0
                                        ; implicit-def: $vgpr6
	s_branch .LBB323_1761
.LBB323_1719:
	s_mov_b64 s[6:7], -1
	s_mov_b64 s[0:1], 0
	s_mov_b64 s[2:3], 0
                                        ; implicit-def: $vgpr6
	s_branch .LBB323_1736
.LBB323_1720:
	s_mov_b64 s[6:7], -1
	s_mov_b64 s[0:1], 0
	s_mov_b64 s[2:3], 0
                                        ; implicit-def: $vgpr6
	s_branch .LBB323_1729
.LBB323_1721:
	s_trap 2
	s_or_b64 s[22:23], s[22:23], exec
	s_cbranch_execz .LBB323_1634
	s_branch .LBB323_1637
.LBB323_1722:
	s_mov_b64 s[6:7], -1
	s_mov_b64 s[0:1], 0
	s_mov_b64 s[2:3], 0
                                        ; implicit-def: $vgpr6
	s_branch .LBB323_1724
.LBB323_1723:
	s_mov_b64 s[2:3], -1
                                        ; implicit-def: $vgpr6
	s_mov_b64 s[0:1], 0
.LBB323_1724:
	s_and_b64 vcc, exec, s[6:7]
	s_cbranch_vccz .LBB323_1728
; %bb.1725:
	s_cmp_eq_u32 s15, 44
	s_cbranch_scc0 .LBB323_1727
; %bb.1726:
	global_load_ubyte v6, v[0:1], off
	s_mov_b64 s[2:3], 0
	s_mov_b64 s[0:1], -1
	s_branch .LBB323_1728
.LBB323_1727:
	s_mov_b64 s[2:3], -1
                                        ; implicit-def: $vgpr6
.LBB323_1728:
	s_mov_b64 s[6:7], 0
.LBB323_1729:
	s_and_b64 vcc, exec, s[6:7]
	s_cbranch_vccz .LBB323_1735
; %bb.1730:
	s_cmp_eq_u32 s15, 29
	s_cbranch_scc0 .LBB323_1734
; %bb.1731:
	global_load_dwordx2 v[6:7], v[0:1], off
	s_movk_i32 s0, 0xff
	s_waitcnt vmcnt(0)
	v_ffbh_u32_e32 v8, v7
	v_min_u32_e32 v8, 32, v8
	v_lshlrev_b64 v[6:7], v8, v[6:7]
	v_min_u32_e32 v6, 1, v6
	v_or_b32_e32 v6, v7, v6
	v_cvt_f32_u32_e32 v6, v6
	v_sub_u32_e32 v7, 32, v8
	v_ldexp_f32 v8, v6, v7
	v_lshrrev_b32_e32 v7, 23, v8
	v_cmp_ne_u32_e32 vcc, s0, v7
	v_mov_b32_e32 v6, 0xff
	s_and_saveexec_b64 s[2:3], vcc
; %bb.1732:
	v_and_b32_e32 v6, 0x400000, v8
	s_mov_b32 s0, 0x3fffff
	v_cmp_ne_u32_e32 vcc, 0, v6
	v_and_or_b32 v6, v8, s0, v7
	v_cmp_ne_u32_e64 s[0:1], 0, v6
	s_and_b64 s[0:1], vcc, s[0:1]
	v_cndmask_b32_e64 v6, 0, 1, s[0:1]
	v_add_u32_e32 v6, v7, v6
; %bb.1733:
	s_or_b64 exec, exec, s[2:3]
	s_mov_b64 s[2:3], 0
	s_mov_b64 s[0:1], -1
	s_branch .LBB323_1735
.LBB323_1734:
	s_mov_b64 s[2:3], -1
                                        ; implicit-def: $vgpr6
.LBB323_1735:
	s_mov_b64 s[6:7], 0
.LBB323_1736:
	s_and_b64 vcc, exec, s[6:7]
	s_cbranch_vccz .LBB323_1760
; %bb.1737:
	s_cmp_lt_i32 s15, 27
	s_cbranch_scc1 .LBB323_1742
; %bb.1738:
	s_cmp_gt_i32 s15, 27
	s_cbranch_scc0 .LBB323_1743
; %bb.1739:
	global_load_dword v6, v[0:1], off
	s_movk_i32 s0, 0xff
	s_waitcnt vmcnt(0)
	v_cvt_f32_u32_e32 v8, v6
	v_mov_b32_e32 v6, 0xff
	v_lshrrev_b32_e32 v7, 23, v8
	v_cmp_ne_u32_e32 vcc, s0, v7
	s_and_saveexec_b64 s[6:7], vcc
; %bb.1740:
	v_and_b32_e32 v6, 0x400000, v8
	s_mov_b32 s0, 0x3fffff
	v_cmp_ne_u32_e32 vcc, 0, v6
	v_and_or_b32 v6, v8, s0, v7
	v_cmp_ne_u32_e64 s[0:1], 0, v6
	s_and_b64 s[0:1], vcc, s[0:1]
	v_cndmask_b32_e64 v6, 0, 1, s[0:1]
	v_add_u32_e32 v6, v7, v6
; %bb.1741:
	s_or_b64 exec, exec, s[6:7]
	s_mov_b64 s[0:1], 0
	s_branch .LBB323_1744
.LBB323_1742:
	s_mov_b64 s[0:1], -1
                                        ; implicit-def: $vgpr6
	s_branch .LBB323_1749
.LBB323_1743:
	s_mov_b64 s[0:1], -1
                                        ; implicit-def: $vgpr6
.LBB323_1744:
	s_andn2_b64 vcc, exec, s[0:1]
	s_cbranch_vccnz .LBB323_1748
; %bb.1745:
	global_load_ushort v6, v[0:1], off
	s_movk_i32 s0, 0xff
	s_waitcnt vmcnt(0)
	v_cvt_f32_u32_e32 v8, v6
	v_mov_b32_e32 v6, 0xff
	v_lshrrev_b32_e32 v7, 23, v8
	v_cmp_ne_u32_e32 vcc, s0, v7
	s_and_saveexec_b64 s[6:7], vcc
; %bb.1746:
	v_and_b32_e32 v6, 0x400000, v8
	s_mov_b32 s0, 0x3fffff
	v_cmp_ne_u32_e32 vcc, 0, v6
	v_and_or_b32 v6, v8, s0, v7
	v_cmp_ne_u32_e64 s[0:1], 0, v6
	s_and_b64 s[0:1], vcc, s[0:1]
	v_cndmask_b32_e64 v6, 0, 1, s[0:1]
	v_add_u32_e32 v6, v7, v6
; %bb.1747:
	s_or_b64 exec, exec, s[6:7]
.LBB323_1748:
	s_mov_b64 s[0:1], 0
.LBB323_1749:
	s_andn2_b64 vcc, exec, s[0:1]
	s_cbranch_vccnz .LBB323_1759
; %bb.1750:
	global_load_ubyte v6, v[0:1], off
	s_movk_i32 s0, 0x7f
	s_waitcnt vmcnt(0)
	v_cmp_lt_i16_e32 vcc, s0, v6
	s_mov_b64 s[0:1], 0
	s_and_saveexec_b64 s[6:7], vcc
	s_xor_b64 s[6:7], exec, s[6:7]
	s_cbranch_execz .LBB323_1775
; %bb.1751:
	s_movk_i32 s0, 0x80
	v_cmp_eq_u16_e32 vcc, s0, v6
	s_mov_b64 s[0:1], -1
	s_and_saveexec_b64 s[10:11], vcc
; %bb.1752:
	s_xor_b64 s[0:1], exec, -1
; %bb.1753:
	s_or_b64 exec, exec, s[10:11]
	s_and_b64 s[0:1], s[0:1], exec
	s_or_saveexec_b64 s[6:7], s[6:7]
	v_mov_b32_e32 v7, 0x7f800001
	s_xor_b64 exec, exec, s[6:7]
	s_cbranch_execnz .LBB323_1776
.LBB323_1754:
	s_or_b64 exec, exec, s[6:7]
	s_and_saveexec_b64 s[6:7], s[0:1]
	s_cbranch_execz .LBB323_1756
.LBB323_1755:
	v_and_b32_e32 v6, 0xffff, v6
	v_and_b32_e32 v7, 7, v6
	v_ffbh_u32_e32 v9, v7
	v_min_u32_e32 v9, 32, v9
	v_subrev_u32_e32 v10, 28, v9
	v_bfe_u32 v8, v6, 3, 4
	v_lshlrev_b32_e32 v6, v10, v6
	v_and_b32_e32 v6, 7, v6
	v_cmp_eq_u32_e32 vcc, 0, v8
	v_sub_u32_e32 v9, 29, v9
	v_cndmask_b32_e32 v6, v7, v6, vcc
	v_cndmask_b32_e32 v8, v8, v9, vcc
	v_lshlrev_b32_e32 v6, 20, v6
	v_lshl_or_b32 v6, v8, 23, v6
	v_add_u32_e32 v7, 0x3b800000, v6
.LBB323_1756:
	s_or_b64 exec, exec, s[6:7]
	v_lshrrev_b32_e32 v8, 23, v7
	s_movk_i32 s0, 0xff
	v_cmp_ne_u32_e32 vcc, s0, v8
	v_mov_b32_e32 v6, 0xff
	s_and_saveexec_b64 s[6:7], vcc
; %bb.1757:
	v_and_b32_e32 v6, 0x400000, v7
	s_mov_b32 s0, 0x3fffff
	v_cmp_ne_u32_e32 vcc, 0, v6
	v_and_or_b32 v6, v7, s0, v8
	v_cmp_ne_u32_e64 s[0:1], 0, v6
	s_and_b64 s[0:1], vcc, s[0:1]
	v_cndmask_b32_e64 v6, 0, 1, s[0:1]
	v_add_u32_e32 v6, v8, v6
; %bb.1758:
	s_or_b64 exec, exec, s[6:7]
.LBB323_1759:
	s_mov_b64 s[0:1], -1
.LBB323_1760:
	s_mov_b64 s[6:7], 0
.LBB323_1761:
	s_and_b64 vcc, exec, s[6:7]
	s_cbranch_vccz .LBB323_1802
; %bb.1762:
	s_cmp_gt_i32 s15, 22
	s_cbranch_scc0 .LBB323_1774
; %bb.1763:
	s_cmp_lt_i32 s15, 24
	s_cbranch_scc1 .LBB323_1777
; %bb.1764:
	s_cmp_gt_i32 s15, 24
	s_cbranch_scc0 .LBB323_1778
; %bb.1765:
	global_load_ubyte v6, v[0:1], off
	s_movk_i32 s0, 0x7f
	s_waitcnt vmcnt(0)
	v_cmp_lt_i16_e32 vcc, s0, v6
	s_mov_b64 s[0:1], 0
	s_and_saveexec_b64 s[4:5], vcc
	s_xor_b64 s[4:5], exec, s[4:5]
	s_cbranch_execz .LBB323_1796
; %bb.1766:
	s_movk_i32 s0, 0x80
	v_cmp_eq_u16_e32 vcc, s0, v6
	s_mov_b64 s[0:1], -1
	s_and_saveexec_b64 s[6:7], vcc
; %bb.1767:
	s_xor_b64 s[0:1], exec, -1
; %bb.1768:
	s_or_b64 exec, exec, s[6:7]
	s_and_b64 s[0:1], s[0:1], exec
	s_or_saveexec_b64 s[4:5], s[4:5]
	v_mov_b32_e32 v7, 0x7f800001
	s_xor_b64 exec, exec, s[4:5]
	s_cbranch_execnz .LBB323_1797
.LBB323_1769:
	s_or_b64 exec, exec, s[4:5]
	s_and_saveexec_b64 s[4:5], s[0:1]
	s_cbranch_execz .LBB323_1771
.LBB323_1770:
	v_and_b32_e32 v6, 0xffff, v6
	v_and_b32_e32 v7, 3, v6
	v_ffbh_u32_e32 v9, v7
	v_min_u32_e32 v9, 32, v9
	v_subrev_u32_e32 v10, 29, v9
	v_bfe_u32 v8, v6, 2, 5
	v_lshlrev_b32_e32 v6, v10, v6
	v_and_b32_e32 v6, 3, v6
	v_cmp_eq_u32_e32 vcc, 0, v8
	v_sub_u32_e32 v9, 30, v9
	v_cndmask_b32_e32 v6, v7, v6, vcc
	v_cndmask_b32_e32 v8, v8, v9, vcc
	v_lshlrev_b32_e32 v6, 21, v6
	v_lshl_or_b32 v6, v8, 23, v6
	v_add_u32_e32 v7, 0x37800000, v6
.LBB323_1771:
	s_or_b64 exec, exec, s[4:5]
	v_lshrrev_b32_e32 v8, 23, v7
	s_movk_i32 s0, 0xff
	v_cmp_ne_u32_e32 vcc, s0, v8
	v_mov_b32_e32 v6, 0xff
	s_and_saveexec_b64 s[4:5], vcc
; %bb.1772:
	v_and_b32_e32 v6, 0x400000, v7
	s_mov_b32 s0, 0x3fffff
	v_cmp_ne_u32_e32 vcc, 0, v6
	v_and_or_b32 v6, v7, s0, v8
	v_cmp_ne_u32_e64 s[0:1], 0, v6
	s_and_b64 s[0:1], vcc, s[0:1]
	v_cndmask_b32_e64 v6, 0, 1, s[0:1]
	v_add_u32_e32 v6, v8, v6
; %bb.1773:
	s_or_b64 exec, exec, s[4:5]
	s_mov_b64 s[0:1], 0
	s_branch .LBB323_1779
.LBB323_1774:
	s_mov_b64 s[4:5], -1
                                        ; implicit-def: $vgpr6
	s_branch .LBB323_1789
.LBB323_1775:
	s_or_saveexec_b64 s[6:7], s[6:7]
	v_mov_b32_e32 v7, 0x7f800001
	s_xor_b64 exec, exec, s[6:7]
	s_cbranch_execz .LBB323_1754
.LBB323_1776:
	v_cmp_ne_u16_e32 vcc, 0, v6
	s_andn2_b64 s[0:1], s[0:1], exec
	s_and_b64 s[10:11], vcc, exec
	v_and_b32_e32 v7, 0xffff, v6
	s_or_b64 s[0:1], s[0:1], s[10:11]
	s_or_b64 exec, exec, s[6:7]
	s_and_saveexec_b64 s[6:7], s[0:1]
	s_cbranch_execnz .LBB323_1755
	s_branch .LBB323_1756
.LBB323_1777:
	s_mov_b64 s[0:1], -1
                                        ; implicit-def: $vgpr6
	s_branch .LBB323_1784
.LBB323_1778:
	s_mov_b64 s[0:1], -1
                                        ; implicit-def: $vgpr6
.LBB323_1779:
	s_and_b64 vcc, exec, s[0:1]
	s_cbranch_vccz .LBB323_1783
; %bb.1780:
	global_load_ubyte v6, v[0:1], off
	s_mov_b32 s0, 0x7f800000
	s_movk_i32 s1, 0xff
	s_waitcnt vmcnt(0)
	v_lshlrev_b32_e32 v6, 24, v6
	v_and_b32_e32 v6, 0x7f000000, v6
	v_ffbh_u32_e32 v7, v6
	v_min_u32_e32 v7, 32, v7
	v_sub_u32_e64 v7, v7, 4 clamp
	v_lshlrev_b32_e32 v9, v7, v6
	v_lshlrev_b32_e32 v7, 23, v7
	v_lshrrev_b32_e32 v9, 4, v9
	v_add_u32_e32 v8, 0x1000000, v6
	v_sub_u32_e32 v7, v9, v7
	v_ashrrev_i32_e32 v8, 8, v8
	v_add_u32_e32 v7, 0x3c000000, v7
	v_and_or_b32 v7, v8, s0, v7
	v_cmp_ne_u32_e32 vcc, 0, v6
	v_cndmask_b32_e32 v8, 0, v7, vcc
	v_lshrrev_b32_e32 v7, 23, v8
	v_cmp_ne_u32_e32 vcc, s1, v7
	v_mov_b32_e32 v6, 0xff
	s_and_saveexec_b64 s[4:5], vcc
; %bb.1781:
	v_and_b32_e32 v6, 0x400000, v8
	s_mov_b32 s0, 0x3fffff
	v_cmp_ne_u32_e32 vcc, 0, v6
	v_and_or_b32 v6, v8, s0, v7
	v_cmp_ne_u32_e64 s[0:1], 0, v6
	s_and_b64 s[0:1], vcc, s[0:1]
	v_cndmask_b32_e64 v6, 0, 1, s[0:1]
	v_add_u32_e32 v6, v7, v6
; %bb.1782:
	s_or_b64 exec, exec, s[4:5]
.LBB323_1783:
	s_mov_b64 s[0:1], 0
.LBB323_1784:
	s_andn2_b64 vcc, exec, s[0:1]
	s_cbranch_vccnz .LBB323_1788
; %bb.1785:
	global_load_ubyte v6, v[0:1], off
	s_movk_i32 s0, 0x7f00
	s_brev_b32 s1, 16
	s_movk_i32 s4, 0xff
	s_waitcnt vmcnt(0)
	v_lshlrev_b32_e32 v7, 8, v6
	v_lshlrev_b32_e32 v6, 25, v6
	v_lshrrev_b32_e32 v8, 4, v6
	v_and_or_b32 v7, v7, s0, 0.5
	v_or_b32_e32 v8, 0x70000000, v8
	v_add_f32_e32 v7, -0.5, v7
	v_mul_f32_e32 v8, 0x7800000, v8
	v_cmp_gt_u32_e32 vcc, s1, v6
	v_cndmask_b32_e32 v7, v8, v7, vcc
	v_bfe_u32 v8, v7, 23, 8
	v_cmp_ne_u32_e32 vcc, s4, v8
	v_mov_b32_e32 v6, 0xff
	s_and_saveexec_b64 s[4:5], vcc
; %bb.1786:
	s_mov_b32 s0, 0x3fffff
	v_lshrrev_b32_e32 v6, 23, v7
	v_and_b32_e32 v9, 0x400000, v7
	v_and_or_b32 v7, v7, s0, v8
	v_cmp_ne_u32_e32 vcc, 0, v9
	v_cmp_ne_u32_e64 s[0:1], 0, v7
	s_and_b64 s[0:1], vcc, s[0:1]
	v_cndmask_b32_e64 v7, 0, 1, s[0:1]
	v_add_u32_e32 v6, v6, v7
; %bb.1787:
	s_or_b64 exec, exec, s[4:5]
.LBB323_1788:
	s_mov_b64 s[4:5], 0
	s_mov_b64 s[0:1], -1
.LBB323_1789:
	s_andn2_b64 vcc, exec, s[4:5]
	s_mov_b64 s[4:5], 0
	s_cbranch_vccnz .LBB323_1802
; %bb.1790:
	s_cmp_gt_i32 s15, 14
	s_cbranch_scc0 .LBB323_1795
; %bb.1791:
	s_cmp_eq_u32 s15, 15
	s_cbranch_scc0 .LBB323_1798
; %bb.1792:
	global_load_ushort v7, v[0:1], off
	s_movk_i32 s0, 0xff
	s_waitcnt vmcnt(1)
	v_mov_b32_e32 v6, 0xff
	s_waitcnt vmcnt(0)
	v_bfe_u32 v8, v7, 7, 8
	v_cmp_ne_u32_e32 vcc, s0, v8
	s_and_saveexec_b64 s[2:3], vcc
	s_cbranch_execz .LBB323_1794
; %bb.1793:
	v_lshrrev_b32_e32 v6, 7, v7
	v_lshlrev_b32_e32 v9, 16, v7
	v_and_b32_e32 v7, 64, v7
	s_mov_b32 s0, 0x3f0000
	v_cmp_ne_u32_e32 vcc, 0, v7
	v_and_or_b32 v7, v9, s0, v8
	v_cmp_ne_u32_e64 s[0:1], 0, v7
	s_and_b64 s[0:1], vcc, s[0:1]
	v_cndmask_b32_e64 v7, 0, 1, s[0:1]
	v_add_u32_e32 v6, v6, v7
.LBB323_1794:
	s_or_b64 exec, exec, s[2:3]
	s_mov_b64 s[2:3], 0
	s_mov_b64 s[0:1], -1
	s_branch .LBB323_1799
.LBB323_1795:
	s_mov_b64 s[6:7], -1
                                        ; implicit-def: $vgpr6
	s_branch .LBB323_1800
.LBB323_1796:
	s_or_saveexec_b64 s[4:5], s[4:5]
	v_mov_b32_e32 v7, 0x7f800001
	s_xor_b64 exec, exec, s[4:5]
	s_cbranch_execz .LBB323_1769
.LBB323_1797:
	v_cmp_ne_u16_e32 vcc, 0, v6
	s_andn2_b64 s[0:1], s[0:1], exec
	s_and_b64 s[6:7], vcc, exec
	v_and_b32_e32 v7, 0xffff, v6
	s_or_b64 s[0:1], s[0:1], s[6:7]
	s_or_b64 exec, exec, s[4:5]
	s_and_saveexec_b64 s[4:5], s[0:1]
	s_cbranch_execnz .LBB323_1770
	s_branch .LBB323_1771
.LBB323_1798:
	s_mov_b64 s[2:3], -1
                                        ; implicit-def: $vgpr6
.LBB323_1799:
	s_mov_b64 s[6:7], 0
.LBB323_1800:
	s_and_b64 vcc, exec, s[6:7]
	s_cbranch_vccz .LBB323_1802
; %bb.1801:
	s_cmp_lg_u32 s15, 11
	s_mov_b64 s[4:5], -1
	s_cselect_b64 s[2:3], -1, 0
.LBB323_1802:
	s_and_b64 vcc, exec, s[2:3]
	s_cbranch_vccnz .LBB323_2356
; %bb.1803:
	s_andn2_b64 vcc, exec, s[4:5]
	s_cbranch_vccnz .LBB323_1807
.LBB323_1804:
	global_load_ubyte v6, v[0:1], off
	s_movk_i32 s0, 0xff
	s_waitcnt vmcnt(0)
	v_cmp_ne_u16_e32 vcc, 0, v6
	v_cndmask_b32_e64 v8, 0, 1.0, vcc
	v_lshrrev_b32_e32 v7, 23, v8
	v_cmp_ne_u32_e32 vcc, s0, v7
	v_mov_b32_e32 v6, 0xff
	s_and_saveexec_b64 s[2:3], vcc
; %bb.1805:
	v_and_b32_e32 v6, 0x400000, v8
	s_mov_b32 s0, 0x3fffff
	v_cmp_ne_u32_e32 vcc, 0, v6
	v_and_or_b32 v6, v8, s0, v7
	v_cmp_ne_u32_e64 s[0:1], 0, v6
	s_and_b64 s[0:1], vcc, s[0:1]
	v_cndmask_b32_e64 v6, 0, 1, s[0:1]
	v_add_u32_e32 v6, v7, v6
; %bb.1806:
	s_or_b64 exec, exec, s[2:3]
	s_mov_b64 s[0:1], -1
.LBB323_1807:
	s_mov_b64 s[2:3], 0
.LBB323_1808:
	s_and_b64 vcc, exec, s[2:3]
	s_cbranch_vccz .LBB323_1879
; %bb.1809:
	s_cmp_lt_i32 s15, 5
	s_cbranch_scc1 .LBB323_1816
; %bb.1810:
	s_cmp_lt_i32 s15, 8
	s_cbranch_scc1 .LBB323_1817
	;; [unrolled: 3-line block ×3, first 2 shown]
; %bb.1812:
	s_cmp_gt_i32 s15, 9
	s_cbranch_scc0 .LBB323_1819
; %bb.1813:
	global_load_dwordx2 v[6:7], v[0:1], off
	s_movk_i32 s0, 0xff
	s_waitcnt vmcnt(0)
	v_cvt_f32_f64_e32 v7, v[6:7]
	v_mov_b32_e32 v6, 0xff
	v_bfe_u32 v8, v7, 23, 8
	v_cmp_ne_u32_e32 vcc, s0, v8
	s_and_saveexec_b64 s[2:3], vcc
; %bb.1814:
	s_mov_b32 s0, 0x3fffff
	v_lshrrev_b32_e32 v6, 23, v7
	v_and_b32_e32 v9, 0x400000, v7
	v_and_or_b32 v7, v7, s0, v8
	v_cmp_ne_u32_e32 vcc, 0, v9
	v_cmp_ne_u32_e64 s[0:1], 0, v7
	s_and_b64 s[0:1], vcc, s[0:1]
	v_cndmask_b32_e64 v7, 0, 1, s[0:1]
	v_add_u32_e32 v6, v6, v7
; %bb.1815:
	s_or_b64 exec, exec, s[2:3]
	s_mov_b64 s[0:1], 0
	s_branch .LBB323_1820
.LBB323_1816:
	s_mov_b64 s[0:1], -1
                                        ; implicit-def: $vgpr6
	s_branch .LBB323_1848
.LBB323_1817:
	s_mov_b64 s[0:1], -1
                                        ; implicit-def: $vgpr6
	s_branch .LBB323_1830
.LBB323_1818:
	s_mov_b64 s[0:1], -1
                                        ; implicit-def: $vgpr6
	s_branch .LBB323_1825
.LBB323_1819:
	s_mov_b64 s[0:1], -1
                                        ; implicit-def: $vgpr6
.LBB323_1820:
	s_andn2_b64 vcc, exec, s[0:1]
	s_cbranch_vccnz .LBB323_1824
; %bb.1821:
	global_load_dword v7, v[0:1], off
	s_movk_i32 s0, 0xff
	s_waitcnt vmcnt(1)
	v_mov_b32_e32 v6, 0xff
	s_waitcnt vmcnt(0)
	v_bfe_u32 v8, v7, 23, 8
	v_cmp_ne_u32_e32 vcc, s0, v8
	s_and_saveexec_b64 s[2:3], vcc
; %bb.1822:
	s_mov_b32 s0, 0x3fffff
	v_lshrrev_b32_e32 v6, 23, v7
	v_and_b32_e32 v9, 0x400000, v7
	v_and_or_b32 v7, v7, s0, v8
	v_cmp_ne_u32_e32 vcc, 0, v9
	v_cmp_ne_u32_e64 s[0:1], 0, v7
	s_and_b64 s[0:1], vcc, s[0:1]
	v_cndmask_b32_e64 v7, 0, 1, s[0:1]
	v_add_u32_e32 v6, v6, v7
; %bb.1823:
	s_or_b64 exec, exec, s[2:3]
.LBB323_1824:
	s_mov_b64 s[0:1], 0
.LBB323_1825:
	s_andn2_b64 vcc, exec, s[0:1]
	s_cbranch_vccnz .LBB323_1829
; %bb.1826:
	global_load_dword v6, v[0:1], off
	s_movk_i32 s0, 0xff
	s_waitcnt vmcnt(0)
	v_cvt_f32_f16_e32 v7, v6
	v_mov_b32_e32 v6, 0xff
	v_bfe_u32 v8, v7, 23, 8
	v_cmp_ne_u32_e32 vcc, s0, v8
	s_and_saveexec_b64 s[2:3], vcc
; %bb.1827:
	s_mov_b32 s0, 0x3fffff
	v_lshrrev_b32_e32 v6, 23, v7
	v_and_b32_e32 v9, 0x400000, v7
	v_and_or_b32 v7, v7, s0, v8
	v_cmp_ne_u32_e32 vcc, 0, v9
	v_cmp_ne_u32_e64 s[0:1], 0, v7
	s_and_b64 s[0:1], vcc, s[0:1]
	v_cndmask_b32_e64 v7, 0, 1, s[0:1]
	v_add_u32_e32 v6, v6, v7
; %bb.1828:
	s_or_b64 exec, exec, s[2:3]
.LBB323_1829:
	s_mov_b64 s[0:1], 0
.LBB323_1830:
	s_andn2_b64 vcc, exec, s[0:1]
	s_cbranch_vccnz .LBB323_1847
; %bb.1831:
	s_cmp_lt_i32 s15, 6
	s_cbranch_scc1 .LBB323_1836
; %bb.1832:
	s_cmp_gt_i32 s15, 6
	s_cbranch_scc0 .LBB323_1837
; %bb.1833:
	global_load_dwordx2 v[6:7], v[0:1], off
	s_movk_i32 s0, 0xff
	s_waitcnt vmcnt(0)
	v_cvt_f32_f64_e32 v7, v[6:7]
	v_mov_b32_e32 v6, 0xff
	v_bfe_u32 v8, v7, 23, 8
	v_cmp_ne_u32_e32 vcc, s0, v8
	s_and_saveexec_b64 s[2:3], vcc
; %bb.1834:
	s_mov_b32 s0, 0x3fffff
	v_lshrrev_b32_e32 v6, 23, v7
	v_and_b32_e32 v9, 0x400000, v7
	v_and_or_b32 v7, v7, s0, v8
	v_cmp_ne_u32_e32 vcc, 0, v9
	v_cmp_ne_u32_e64 s[0:1], 0, v7
	s_and_b64 s[0:1], vcc, s[0:1]
	v_cndmask_b32_e64 v7, 0, 1, s[0:1]
	v_add_u32_e32 v6, v6, v7
; %bb.1835:
	s_or_b64 exec, exec, s[2:3]
	s_mov_b64 s[0:1], 0
	s_branch .LBB323_1838
.LBB323_1836:
	s_mov_b64 s[0:1], -1
                                        ; implicit-def: $vgpr6
	s_branch .LBB323_1843
.LBB323_1837:
	s_mov_b64 s[0:1], -1
                                        ; implicit-def: $vgpr6
.LBB323_1838:
	s_andn2_b64 vcc, exec, s[0:1]
	s_cbranch_vccnz .LBB323_1842
; %bb.1839:
	global_load_dword v7, v[0:1], off
	s_movk_i32 s0, 0xff
	s_waitcnt vmcnt(1)
	v_mov_b32_e32 v6, 0xff
	s_waitcnt vmcnt(0)
	v_bfe_u32 v8, v7, 23, 8
	v_cmp_ne_u32_e32 vcc, s0, v8
	s_and_saveexec_b64 s[2:3], vcc
; %bb.1840:
	s_mov_b32 s0, 0x3fffff
	v_lshrrev_b32_e32 v6, 23, v7
	v_and_b32_e32 v9, 0x400000, v7
	v_and_or_b32 v7, v7, s0, v8
	v_cmp_ne_u32_e32 vcc, 0, v9
	v_cmp_ne_u32_e64 s[0:1], 0, v7
	s_and_b64 s[0:1], vcc, s[0:1]
	v_cndmask_b32_e64 v7, 0, 1, s[0:1]
	v_add_u32_e32 v6, v6, v7
; %bb.1841:
	s_or_b64 exec, exec, s[2:3]
.LBB323_1842:
	s_mov_b64 s[0:1], 0
.LBB323_1843:
	s_andn2_b64 vcc, exec, s[0:1]
	s_cbranch_vccnz .LBB323_1847
; %bb.1844:
	global_load_ushort v6, v[0:1], off
	s_movk_i32 s0, 0xff
	s_waitcnt vmcnt(0)
	v_cvt_f32_f16_e32 v7, v6
	v_mov_b32_e32 v6, 0xff
	v_bfe_u32 v8, v7, 23, 8
	v_cmp_ne_u32_e32 vcc, s0, v8
	s_and_saveexec_b64 s[2:3], vcc
; %bb.1845:
	s_mov_b32 s0, 0x3fffff
	v_lshrrev_b32_e32 v6, 23, v7
	v_and_b32_e32 v9, 0x400000, v7
	v_and_or_b32 v7, v7, s0, v8
	v_cmp_ne_u32_e32 vcc, 0, v9
	v_cmp_ne_u32_e64 s[0:1], 0, v7
	s_and_b64 s[0:1], vcc, s[0:1]
	v_cndmask_b32_e64 v7, 0, 1, s[0:1]
	v_add_u32_e32 v6, v6, v7
; %bb.1846:
	s_or_b64 exec, exec, s[2:3]
.LBB323_1847:
	s_mov_b64 s[0:1], 0
.LBB323_1848:
	s_andn2_b64 vcc, exec, s[0:1]
	s_cbranch_vccnz .LBB323_1878
; %bb.1849:
	s_cmp_lt_i32 s15, 2
	s_cbranch_scc1 .LBB323_1855
; %bb.1850:
	s_cmp_lt_i32 s15, 3
	s_cbranch_scc1 .LBB323_1856
; %bb.1851:
	s_cmp_gt_i32 s15, 3
	s_cbranch_scc0 .LBB323_1857
; %bb.1852:
	global_load_dwordx2 v[6:7], v[0:1], off
	s_movk_i32 s0, 0xff
	s_waitcnt vmcnt(0)
	v_xor_b32_e32 v9, v6, v7
	v_ffbh_i32_e32 v8, v7
	v_ashrrev_i32_e32 v9, 31, v9
	v_add_u32_e32 v8, -1, v8
	v_add_u32_e32 v9, 32, v9
	v_min_u32_e32 v8, v8, v9
	v_lshlrev_b64 v[6:7], v8, v[6:7]
	v_min_u32_e32 v6, 1, v6
	v_or_b32_e32 v6, v7, v6
	v_cvt_f32_i32_e32 v6, v6
	v_sub_u32_e32 v7, 32, v8
	v_ldexp_f32 v7, v6, v7
	v_bfe_u32 v8, v7, 23, 8
	v_cmp_ne_u32_e32 vcc, s0, v8
	v_mov_b32_e32 v6, 0xff
	s_and_saveexec_b64 s[2:3], vcc
; %bb.1853:
	s_mov_b32 s0, 0x3fffff
	v_lshrrev_b32_e32 v6, 23, v7
	v_and_b32_e32 v9, 0x400000, v7
	v_and_or_b32 v7, v7, s0, v8
	v_cmp_ne_u32_e32 vcc, 0, v9
	v_cmp_ne_u32_e64 s[0:1], 0, v7
	s_and_b64 s[0:1], vcc, s[0:1]
	v_cndmask_b32_e64 v7, 0, 1, s[0:1]
	v_add_u32_e32 v6, v6, v7
; %bb.1854:
	s_or_b64 exec, exec, s[2:3]
	s_mov_b64 s[0:1], 0
	s_branch .LBB323_1858
.LBB323_1855:
	s_mov_b64 s[0:1], -1
                                        ; implicit-def: $vgpr6
	s_branch .LBB323_1868
.LBB323_1856:
	s_mov_b64 s[0:1], -1
                                        ; implicit-def: $vgpr6
	s_branch .LBB323_1863
.LBB323_1857:
	s_mov_b64 s[0:1], -1
                                        ; implicit-def: $vgpr6
.LBB323_1858:
	s_andn2_b64 vcc, exec, s[0:1]
	s_cbranch_vccnz .LBB323_1862
; %bb.1859:
	global_load_dword v6, v[0:1], off
	s_movk_i32 s0, 0xff
	s_waitcnt vmcnt(0)
	v_cvt_f32_i32_e32 v7, v6
	v_mov_b32_e32 v6, 0xff
	v_bfe_u32 v8, v7, 23, 8
	v_cmp_ne_u32_e32 vcc, s0, v8
	s_and_saveexec_b64 s[2:3], vcc
; %bb.1860:
	s_mov_b32 s0, 0x3fffff
	v_lshrrev_b32_e32 v6, 23, v7
	v_and_b32_e32 v9, 0x400000, v7
	v_and_or_b32 v7, v7, s0, v8
	v_cmp_ne_u32_e32 vcc, 0, v9
	v_cmp_ne_u32_e64 s[0:1], 0, v7
	s_and_b64 s[0:1], vcc, s[0:1]
	v_cndmask_b32_e64 v7, 0, 1, s[0:1]
	v_add_u32_e32 v6, v6, v7
; %bb.1861:
	s_or_b64 exec, exec, s[2:3]
.LBB323_1862:
	s_mov_b64 s[0:1], 0
.LBB323_1863:
	s_andn2_b64 vcc, exec, s[0:1]
	s_cbranch_vccnz .LBB323_1867
; %bb.1864:
	global_load_sshort v6, v[0:1], off
	s_movk_i32 s0, 0xff
	s_waitcnt vmcnt(0)
	v_cvt_f32_i32_e32 v7, v6
	v_mov_b32_e32 v6, 0xff
	v_bfe_u32 v8, v7, 23, 8
	v_cmp_ne_u32_e32 vcc, s0, v8
	s_and_saveexec_b64 s[2:3], vcc
; %bb.1865:
	s_mov_b32 s0, 0x3fffff
	v_lshrrev_b32_e32 v6, 23, v7
	v_and_b32_e32 v9, 0x400000, v7
	v_and_or_b32 v7, v7, s0, v8
	v_cmp_ne_u32_e32 vcc, 0, v9
	v_cmp_ne_u32_e64 s[0:1], 0, v7
	s_and_b64 s[0:1], vcc, s[0:1]
	v_cndmask_b32_e64 v7, 0, 1, s[0:1]
	v_add_u32_e32 v6, v6, v7
; %bb.1866:
	s_or_b64 exec, exec, s[2:3]
.LBB323_1867:
	s_mov_b64 s[0:1], 0
.LBB323_1868:
	s_andn2_b64 vcc, exec, s[0:1]
	s_cbranch_vccnz .LBB323_1878
; %bb.1869:
	s_cmp_gt_i32 s15, 0
	s_cbranch_scc0 .LBB323_1873
; %bb.1870:
	global_load_sbyte v6, v[0:1], off
	s_movk_i32 s0, 0xff
	s_waitcnt vmcnt(0)
	v_cvt_f32_i32_e32 v7, v6
	v_mov_b32_e32 v6, 0xff
	v_bfe_u32 v8, v7, 23, 8
	v_cmp_ne_u32_e32 vcc, s0, v8
	s_and_saveexec_b64 s[2:3], vcc
; %bb.1871:
	s_mov_b32 s0, 0x3fffff
	v_lshrrev_b32_e32 v6, 23, v7
	v_and_b32_e32 v9, 0x400000, v7
	v_and_or_b32 v7, v7, s0, v8
	v_cmp_ne_u32_e32 vcc, 0, v9
	v_cmp_ne_u32_e64 s[0:1], 0, v7
	s_and_b64 s[0:1], vcc, s[0:1]
	v_cndmask_b32_e64 v7, 0, 1, s[0:1]
	v_add_u32_e32 v6, v6, v7
; %bb.1872:
	s_or_b64 exec, exec, s[2:3]
	s_mov_b64 s[0:1], 0
	s_branch .LBB323_1874
.LBB323_1873:
	s_mov_b64 s[0:1], -1
                                        ; implicit-def: $vgpr6
.LBB323_1874:
	s_andn2_b64 vcc, exec, s[0:1]
	s_cbranch_vccnz .LBB323_1878
; %bb.1875:
	global_load_ubyte v0, v[0:1], off
	s_movk_i32 s0, 0xff
	s_waitcnt vmcnt(1)
	v_mov_b32_e32 v6, 0xff
	s_waitcnt vmcnt(0)
	v_cvt_f32_ubyte0_e32 v1, v0
	v_lshrrev_b32_e32 v0, 23, v1
	v_cmp_ne_u32_e32 vcc, s0, v0
	s_and_saveexec_b64 s[2:3], vcc
; %bb.1876:
	s_mov_b32 s0, 0x3fffff
	v_and_b32_e32 v6, 0x400000, v1
	v_and_or_b32 v1, v1, s0, v0
	v_cmp_ne_u32_e32 vcc, 0, v6
	v_cmp_ne_u32_e64 s[0:1], 0, v1
	s_and_b64 s[0:1], vcc, s[0:1]
	v_cndmask_b32_e64 v1, 0, 1, s[0:1]
	v_add_u32_e32 v6, v0, v1
; %bb.1877:
	s_or_b64 exec, exec, s[2:3]
.LBB323_1878:
	s_mov_b64 s[0:1], -1
.LBB323_1879:
	s_andn2_b64 vcc, exec, s[0:1]
	s_cbranch_vccnz .LBB323_2313
; %bb.1880:
	s_and_b32 s3, s16, 0xff
	s_cmp_eq_u32 s14, 0
	s_cselect_b64 s[0:1], -1, 0
	s_lshl_b32 s4, s3, 23
	s_cmpk_lg_i32 s3, 0xff
	v_mov_b32_e32 v0, 0x7f800001
	v_mov_b32_e32 v1, s4
	s_cselect_b64 vcc, -1, 0
	s_cmp_lg_u32 s3, 0
	v_cndmask_b32_e32 v1, v0, v1, vcc
	v_mov_b32_e32 v8, 0x400000
	s_cselect_b64 vcc, -1, 0
	s_movk_i32 s2, 0xff
	v_cndmask_b32_e32 v7, v8, v1, vcc
	v_mov_b32_e32 v1, 23
	s_waitcnt vmcnt(0)
	v_lshlrev_b32_sdwa v1, v1, v3 dst_sel:DWORD dst_unused:UNUSED_PAD src0_sel:DWORD src1_sel:BYTE_0
	v_cmp_ne_u16_sdwa vcc, v3, s2 src0_sel:BYTE_0 src1_sel:DWORD
	v_cndmask_b32_e32 v0, v0, v1, vcc
	v_mov_b32_e32 v1, 0
	v_cmp_ne_u16_sdwa vcc, v3, v1 src0_sel:BYTE_0 src1_sel:DWORD
	v_cndmask_b32_e32 v0, v8, v0, vcc
	v_cmp_eq_f32_e32 vcc, v7, v0
	v_cndmask_b32_e64 v1, 0, 1, vcc
	v_cmp_neq_f32_e32 vcc, v7, v0
	v_mul_lo_u32 v2, s12, v2
	v_cndmask_b32_e64 v0, 0, 1, vcc
	v_cndmask_b32_e64 v0, v0, v1, s[0:1]
	v_and_b32_e32 v0, 1, v0
	v_cmp_eq_u32_e64 s[2:3], 1, v0
	v_ashrrev_i32_e32 v1, 31, v2
	v_mov_b32_e32 v3, s9
	s_and_b32 s24, s17, 0xff
	v_add_co_u32_e32 v0, vcc, s8, v2
	s_cmp_lt_i32 s24, 11
	v_addc_co_u32_e32 v1, vcc, v3, v1, vcc
	s_cbranch_scc1 .LBB323_1958
; %bb.1881:
	s_and_b32 s13, 0xffff, s24
	s_mov_b64 s[14:15], -1
	s_mov_b64 s[6:7], 0
	s_cmp_gt_i32 s13, 25
	s_mov_b64 s[10:11], 0
	s_mov_b64 s[4:5], 0
	s_cbranch_scc0 .LBB323_1914
; %bb.1882:
	s_cmp_gt_i32 s13, 28
	s_cbranch_scc0 .LBB323_1897
; %bb.1883:
	s_cmp_gt_i32 s13, 43
	;; [unrolled: 3-line block ×3, first 2 shown]
	s_cbranch_scc0 .LBB323_1887
; %bb.1885:
	s_mov_b64 s[4:5], -1
	s_mov_b64 s[14:15], 0
	s_cmp_eq_u32 s13, 46
	s_cbranch_scc0 .LBB323_1887
; %bb.1886:
	v_cndmask_b32_e64 v3, 0, 1.0, s[2:3]
	v_bfe_u32 v8, v3, 16, 1
	s_movk_i32 s4, 0x7fff
	v_add3_u32 v3, v3, v8, s4
	v_lshrrev_b32_e32 v3, 16, v3
	global_store_dword v[0:1], v3, off
	s_mov_b64 s[4:5], 0
	s_mov_b64 s[10:11], -1
.LBB323_1887:
	s_and_b64 vcc, exec, s[14:15]
	s_cbranch_vccz .LBB323_1892
; %bb.1888:
	s_cmp_eq_u32 s13, 44
	s_mov_b64 s[4:5], -1
	s_cbranch_scc0 .LBB323_1892
; %bb.1889:
	v_cndmask_b32_e64 v8, 0, 1.0, s[2:3]
	v_lshrrev_b32_e32 v3, 23, v8
	s_movk_i32 s4, 0xff
	v_cmp_ne_u32_e32 vcc, s4, v3
	v_mov_b32_e32 v9, 0xff
	s_and_saveexec_b64 s[10:11], vcc
; %bb.1890:
	s_mov_b32 s4, 0x3fffff
	v_and_b32_e32 v9, 0x400000, v8
	v_and_or_b32 v8, v8, s4, v3
	v_cmp_ne_u32_e32 vcc, 0, v9
	v_cmp_ne_u32_e64 s[4:5], 0, v8
	s_and_b64 s[4:5], vcc, s[4:5]
	v_cndmask_b32_e64 v8, 0, 1, s[4:5]
	v_add_u32_e32 v9, v3, v8
; %bb.1891:
	s_or_b64 exec, exec, s[10:11]
	s_mov_b64 s[4:5], 0
	s_mov_b64 s[10:11], -1
	global_store_byte v[0:1], v9, off
.LBB323_1892:
	s_mov_b64 s[14:15], 0
.LBB323_1893:
	s_and_b64 vcc, exec, s[14:15]
	s_cbranch_vccz .LBB323_1896
; %bb.1894:
	s_cmp_eq_u32 s13, 29
	s_mov_b64 s[4:5], -1
	s_cbranch_scc0 .LBB323_1896
; %bb.1895:
	s_mov_b32 s4, 0
	v_cndmask_b32_e64 v8, 0, 1, s[2:3]
	v_mov_b32_e32 v9, s4
	global_store_dwordx2 v[0:1], v[8:9], off
	s_mov_b64 s[4:5], 0
	s_mov_b64 s[10:11], -1
.LBB323_1896:
	s_mov_b64 s[14:15], 0
.LBB323_1897:
	s_and_b64 vcc, exec, s[14:15]
	s_cbranch_vccz .LBB323_1913
; %bb.1898:
	s_cmp_lt_i32 s13, 27
	s_mov_b64 s[10:11], -1
	s_cbranch_scc1 .LBB323_1904
; %bb.1899:
	s_cmp_gt_i32 s13, 27
	s_cbranch_scc0 .LBB323_1901
; %bb.1900:
	v_cndmask_b32_e64 v3, 0, 1, s[2:3]
	s_mov_b64 s[10:11], 0
	global_store_dword v[0:1], v3, off
.LBB323_1901:
	s_andn2_b64 vcc, exec, s[10:11]
	s_cbranch_vccnz .LBB323_1903
; %bb.1902:
	v_cndmask_b32_e64 v3, 0, 1, s[2:3]
	global_store_short v[0:1], v3, off
.LBB323_1903:
	s_mov_b64 s[10:11], 0
.LBB323_1904:
	s_andn2_b64 vcc, exec, s[10:11]
	s_cbranch_vccnz .LBB323_1912
; %bb.1905:
	v_cndmask_b32_e64 v8, 0, 1.0, s[2:3]
	s_mov_b32 s10, 0x43800000
	v_cmp_gt_u32_e32 vcc, s10, v8
	v_mov_b32_e32 v9, 0x80
	s_and_saveexec_b64 s[10:11], vcc
	s_cbranch_execz .LBB323_1911
; %bb.1906:
	s_mov_b32 s14, 0x3bffffff
	v_cmp_lt_u32_e32 vcc, s14, v8
	s_mov_b64 s[14:15], 0
                                        ; implicit-def: $vgpr3
	s_and_saveexec_b64 s[16:17], vcc
	s_xor_b64 s[16:17], exec, s[16:17]
	s_cbranch_execz .LBB323_2357
; %bb.1907:
	v_bfe_u32 v3, v8, 20, 1
	s_mov_b32 s25, 0x487ffff
	v_add3_u32 v3, v8, v3, s25
	s_mov_b64 s[14:15], exec
	v_lshrrev_b32_e32 v3, 20, v3
                                        ; implicit-def: $vgpr8
	s_andn2_saveexec_b64 s[16:17], s[16:17]
	s_cbranch_execnz .LBB323_2358
.LBB323_1908:
	s_or_b64 exec, exec, s[16:17]
	v_mov_b32_e32 v9, 0
	s_and_saveexec_b64 s[16:17], s[14:15]
.LBB323_1909:
	v_mov_b32_e32 v9, v3
.LBB323_1910:
	s_or_b64 exec, exec, s[16:17]
.LBB323_1911:
	s_or_b64 exec, exec, s[10:11]
	global_store_byte v[0:1], v9, off
.LBB323_1912:
	s_mov_b64 s[10:11], -1
.LBB323_1913:
	s_mov_b64 s[14:15], 0
.LBB323_1914:
	s_and_b64 vcc, exec, s[14:15]
	s_cbranch_vccz .LBB323_1954
; %bb.1915:
	s_cmp_gt_i32 s13, 22
	s_mov_b64 s[6:7], -1
	s_cbranch_scc0 .LBB323_1947
; %bb.1916:
	s_cmp_lt_i32 s13, 24
	s_cbranch_scc1 .LBB323_1936
; %bb.1917:
	s_cmp_gt_i32 s13, 24
	s_cbranch_scc0 .LBB323_1925
; %bb.1918:
	v_cndmask_b32_e64 v8, 0, 1.0, s[2:3]
	s_mov_b32 s6, 0x47800000
	v_cmp_gt_u32_e32 vcc, s6, v8
	v_mov_b32_e32 v9, 0x80
	s_and_saveexec_b64 s[6:7], vcc
	s_cbranch_execz .LBB323_1924
; %bb.1919:
	s_mov_b32 s10, 0x37ffffff
	v_cmp_lt_u32_e32 vcc, s10, v8
	s_mov_b64 s[10:11], 0
                                        ; implicit-def: $vgpr3
	s_and_saveexec_b64 s[14:15], vcc
	s_xor_b64 s[14:15], exec, s[14:15]
	s_cbranch_execz .LBB323_2360
; %bb.1920:
	v_bfe_u32 v3, v8, 21, 1
	s_mov_b32 s16, 0x88fffff
	v_add3_u32 v3, v8, v3, s16
	s_mov_b64 s[10:11], exec
	v_lshrrev_b32_e32 v3, 21, v3
                                        ; implicit-def: $vgpr8
	s_andn2_saveexec_b64 s[14:15], s[14:15]
	s_cbranch_execnz .LBB323_2361
.LBB323_1921:
	s_or_b64 exec, exec, s[14:15]
	v_mov_b32_e32 v9, 0
	s_and_saveexec_b64 s[14:15], s[10:11]
.LBB323_1922:
	v_mov_b32_e32 v9, v3
.LBB323_1923:
	s_or_b64 exec, exec, s[14:15]
.LBB323_1924:
	s_or_b64 exec, exec, s[6:7]
	s_mov_b64 s[6:7], 0
	global_store_byte v[0:1], v9, off
.LBB323_1925:
	s_and_b64 vcc, exec, s[6:7]
	s_cbranch_vccz .LBB323_1935
; %bb.1926:
	v_cndmask_b32_e64 v3, 0, 1.0, s[2:3]
	s_mov_b32 s6, 0x43f00000
	v_cmp_gt_u32_e32 vcc, s6, v3
                                        ; implicit-def: $vgpr8
	s_and_saveexec_b64 s[6:7], vcc
	s_xor_b64 s[6:7], exec, s[6:7]
	s_cbranch_execz .LBB323_1932
; %bb.1927:
	s_mov_b32 s10, 0x3c7fffff
	v_cmp_lt_u32_e32 vcc, s10, v3
                                        ; implicit-def: $vgpr8
	s_and_saveexec_b64 s[10:11], vcc
	s_xor_b64 s[10:11], exec, s[10:11]
; %bb.1928:
	v_bfe_u32 v8, v3, 20, 1
	s_mov_b32 s14, 0x407ffff
	v_add3_u32 v3, v3, v8, s14
	v_lshrrev_b32_e32 v8, 20, v3
	v_and_b32_e32 v3, 0xff00000, v3
	s_mov_b32 s14, 0x7f00000
	v_mov_b32_e32 v9, 0x7e
	v_cmp_ne_u32_e32 vcc, s14, v3
	v_cndmask_b32_e32 v8, v9, v8, vcc
                                        ; implicit-def: $vgpr3
; %bb.1929:
	s_andn2_saveexec_b64 s[10:11], s[10:11]
; %bb.1930:
	v_add_f32_e32 v8, 0x46800000, v3
; %bb.1931:
	s_or_b64 exec, exec, s[10:11]
                                        ; implicit-def: $vgpr3
.LBB323_1932:
	s_andn2_saveexec_b64 s[6:7], s[6:7]
; %bb.1933:
	s_mov_b32 s10, 0x7f800000
	v_mov_b32_e32 v8, 0x7e
	v_mov_b32_e32 v9, 0x7f
	v_cmp_lt_u32_e32 vcc, s10, v3
	v_cndmask_b32_e32 v8, v8, v9, vcc
; %bb.1934:
	s_or_b64 exec, exec, s[6:7]
	global_store_byte v[0:1], v8, off
.LBB323_1935:
	s_mov_b64 s[6:7], 0
.LBB323_1936:
	s_andn2_b64 vcc, exec, s[6:7]
	s_cbranch_vccnz .LBB323_1946
; %bb.1937:
	v_cndmask_b32_e64 v3, 0, 1.0, s[2:3]
	s_mov_b32 s6, 0x47800000
	v_cmp_gt_u32_e32 vcc, s6, v3
                                        ; implicit-def: $vgpr8
	s_and_saveexec_b64 s[6:7], vcc
	s_xor_b64 s[6:7], exec, s[6:7]
	s_cbranch_execz .LBB323_1943
; %bb.1938:
	s_mov_b32 s10, 0x387fffff
	v_cmp_lt_u32_e32 vcc, s10, v3
                                        ; implicit-def: $vgpr8
	s_and_saveexec_b64 s[10:11], vcc
	s_xor_b64 s[10:11], exec, s[10:11]
; %bb.1939:
	v_bfe_u32 v8, v3, 21, 1
	s_mov_b32 s14, 0x80fffff
	v_add3_u32 v3, v3, v8, s14
	v_lshrrev_b32_e32 v8, 21, v3
                                        ; implicit-def: $vgpr3
; %bb.1940:
	s_andn2_saveexec_b64 s[10:11], s[10:11]
; %bb.1941:
	v_add_f32_e32 v8, 0x43000000, v3
; %bb.1942:
	s_or_b64 exec, exec, s[10:11]
                                        ; implicit-def: $vgpr3
.LBB323_1943:
	s_andn2_saveexec_b64 s[6:7], s[6:7]
; %bb.1944:
	s_mov_b32 s10, 0x7f800000
	v_mov_b32_e32 v8, 0x7c
	v_mov_b32_e32 v9, 0x7f
	v_cmp_lt_u32_e32 vcc, s10, v3
	v_cndmask_b32_e32 v8, v8, v9, vcc
; %bb.1945:
	s_or_b64 exec, exec, s[6:7]
	global_store_byte v[0:1], v8, off
.LBB323_1946:
	s_mov_b64 s[6:7], 0
	s_mov_b64 s[10:11], -1
.LBB323_1947:
	s_andn2_b64 vcc, exec, s[6:7]
	s_mov_b64 s[6:7], 0
	s_cbranch_vccnz .LBB323_1954
; %bb.1948:
	s_cmp_gt_i32 s13, 14
	s_mov_b64 s[14:15], -1
	s_cbranch_scc0 .LBB323_1952
; %bb.1949:
	s_cmp_eq_u32 s13, 15
	s_mov_b64 s[4:5], -1
	s_cbranch_scc0 .LBB323_1951
; %bb.1950:
	v_cndmask_b32_e64 v3, 0, 1.0, s[2:3]
	v_bfe_u32 v8, v3, 16, 1
	s_movk_i32 s4, 0x7fff
	v_add3_u32 v3, v3, v8, s4
	global_store_short_d16_hi v[0:1], v3, off
	s_mov_b64 s[4:5], 0
	s_mov_b64 s[10:11], -1
.LBB323_1951:
	s_mov_b64 s[14:15], 0
.LBB323_1952:
	s_and_b64 vcc, exec, s[14:15]
	s_cbranch_vccz .LBB323_1954
; %bb.1953:
	s_cmp_lg_u32 s13, 11
	s_mov_b64 s[6:7], -1
	s_cselect_b64 s[4:5], -1, 0
.LBB323_1954:
	s_and_b64 vcc, exec, s[4:5]
	s_cbranch_vccnz .LBB323_2359
; %bb.1955:
	s_andn2_b64 vcc, exec, s[6:7]
	s_cbranch_vccnz .LBB323_1957
.LBB323_1956:
	v_cndmask_b32_e64 v3, 0, 1, s[2:3]
	s_mov_b64 s[10:11], -1
	global_store_byte v[0:1], v3, off
.LBB323_1957:
	s_mov_b64 s[4:5], 0
	s_branch .LBB323_1959
.LBB323_1958:
	s_mov_b64 s[4:5], -1
	s_mov_b64 s[10:11], 0
.LBB323_1959:
	s_and_b64 vcc, exec, s[4:5]
	s_cbranch_vccz .LBB323_1998
; %bb.1960:
	s_and_b32 s6, 0xffff, s24
	s_cmp_lt_i32 s6, 5
	s_mov_b64 s[4:5], -1
	s_cbranch_scc1 .LBB323_1981
; %bb.1961:
	s_cmp_lt_i32 s6, 8
	s_cbranch_scc1 .LBB323_1971
; %bb.1962:
	s_cmp_lt_i32 s6, 9
	s_cbranch_scc1 .LBB323_1968
; %bb.1963:
	s_cmp_gt_i32 s6, 9
	s_cbranch_scc0 .LBB323_1965
; %bb.1964:
	v_cndmask_b32_e64 v3, 0, 1, s[2:3]
	v_cvt_f64_u32_e32 v[8:9], v3
	v_mov_b32_e32 v10, 0
	v_mov_b32_e32 v11, v10
	s_mov_b64 s[4:5], 0
	global_store_dwordx4 v[0:1], v[8:11], off
.LBB323_1965:
	s_andn2_b64 vcc, exec, s[4:5]
	s_cbranch_vccnz .LBB323_1967
; %bb.1966:
	v_cndmask_b32_e64 v8, 0, 1.0, s[2:3]
	v_mov_b32_e32 v9, 0
	global_store_dwordx2 v[0:1], v[8:9], off
.LBB323_1967:
	s_mov_b64 s[4:5], 0
.LBB323_1968:
	s_andn2_b64 vcc, exec, s[4:5]
	s_cbranch_vccnz .LBB323_1970
; %bb.1969:
	v_cndmask_b32_e64 v3, 0, 1.0, s[2:3]
	v_cvt_f16_f32_e32 v3, v3
	global_store_dword v[0:1], v3, off
.LBB323_1970:
	s_mov_b64 s[4:5], 0
.LBB323_1971:
	s_andn2_b64 vcc, exec, s[4:5]
	s_cbranch_vccnz .LBB323_1980
; %bb.1972:
	s_cmp_lt_i32 s6, 6
	s_mov_b64 s[4:5], -1
	s_cbranch_scc1 .LBB323_1978
; %bb.1973:
	s_cmp_gt_i32 s6, 6
	s_cbranch_scc0 .LBB323_1975
; %bb.1974:
	v_cndmask_b32_e64 v3, 0, 1, s[2:3]
	v_cvt_f64_u32_e32 v[8:9], v3
	s_mov_b64 s[4:5], 0
	global_store_dwordx2 v[0:1], v[8:9], off
.LBB323_1975:
	s_andn2_b64 vcc, exec, s[4:5]
	s_cbranch_vccnz .LBB323_1977
; %bb.1976:
	v_cndmask_b32_e64 v3, 0, 1.0, s[2:3]
	global_store_dword v[0:1], v3, off
.LBB323_1977:
	s_mov_b64 s[4:5], 0
.LBB323_1978:
	s_andn2_b64 vcc, exec, s[4:5]
	s_cbranch_vccnz .LBB323_1980
; %bb.1979:
	v_cndmask_b32_e64 v3, 0, 1.0, s[2:3]
	v_cvt_f16_f32_e32 v3, v3
	global_store_short v[0:1], v3, off
.LBB323_1980:
	s_mov_b64 s[4:5], 0
.LBB323_1981:
	s_andn2_b64 vcc, exec, s[4:5]
	s_cbranch_vccnz .LBB323_1997
; %bb.1982:
	s_cmp_lt_i32 s6, 2
	s_mov_b64 s[4:5], -1
	s_cbranch_scc1 .LBB323_1992
; %bb.1983:
	s_cmp_lt_i32 s6, 3
	s_cbranch_scc1 .LBB323_1989
; %bb.1984:
	s_cmp_gt_i32 s6, 3
	s_cbranch_scc0 .LBB323_1986
; %bb.1985:
	s_mov_b32 s4, 0
	v_cndmask_b32_e64 v8, 0, 1, s[2:3]
	v_mov_b32_e32 v9, s4
	global_store_dwordx2 v[0:1], v[8:9], off
	s_mov_b64 s[4:5], 0
.LBB323_1986:
	s_andn2_b64 vcc, exec, s[4:5]
	s_cbranch_vccnz .LBB323_1988
; %bb.1987:
	v_cndmask_b32_e64 v3, 0, 1, s[2:3]
	global_store_dword v[0:1], v3, off
.LBB323_1988:
	s_mov_b64 s[4:5], 0
.LBB323_1989:
	s_andn2_b64 vcc, exec, s[4:5]
	s_cbranch_vccnz .LBB323_1991
; %bb.1990:
	v_cndmask_b32_e64 v3, 0, 1, s[2:3]
	global_store_short v[0:1], v3, off
.LBB323_1991:
	s_mov_b64 s[4:5], 0
.LBB323_1992:
	s_andn2_b64 vcc, exec, s[4:5]
	s_cbranch_vccnz .LBB323_1997
; %bb.1993:
	s_mov_b64 s[4:5], -1
	s_cmp_gt_i32 s6, 0
	v_cndmask_b32_e64 v3, 0, 1, s[2:3]
	s_cbranch_scc0 .LBB323_1995
; %bb.1994:
	global_store_byte v[0:1], v3, off
	s_mov_b64 s[4:5], 0
.LBB323_1995:
	s_andn2_b64 vcc, exec, s[4:5]
	s_cbranch_vccnz .LBB323_1997
; %bb.1996:
	global_store_byte v[0:1], v3, off
.LBB323_1997:
	s_mov_b64 s[10:11], -1
.LBB323_1998:
	s_andn2_b64 vcc, exec, s[10:11]
	s_cbranch_vccnz .LBB323_2313
; %bb.1999:
	s_movk_i32 s2, 0xff
	v_mov_b32_e32 v0, 23
	v_lshlrev_b32_sdwa v0, v0, v4 dst_sel:DWORD dst_unused:UNUSED_PAD src0_sel:DWORD src1_sel:BYTE_0
	v_mov_b32_e32 v1, 0x7f800001
	v_cmp_ne_u16_sdwa vcc, v4, s2 src0_sel:BYTE_0 src1_sel:DWORD
	v_cndmask_b32_e32 v0, v1, v0, vcc
	v_mov_b32_e32 v1, 0
	v_mov_b32_e32 v3, 0x400000
	v_cmp_ne_u16_sdwa vcc, v4, v1 src0_sel:BYTE_0 src1_sel:DWORD
	v_cndmask_b32_e32 v0, v3, v0, vcc
	v_cmp_eq_f32_e32 vcc, v7, v0
	v_cndmask_b32_e64 v1, 0, 1, vcc
	v_cmp_neq_f32_e32 vcc, v7, v0
	v_cndmask_b32_e64 v0, 0, 1, vcc
	v_cndmask_b32_e64 v0, v0, v1, s[0:1]
	s_lshl_b32 s16, s12, 7
	v_and_b32_e32 v0, 1, v0
	v_add_u32_e32 v2, s16, v2
	v_cmp_eq_u32_e64 s[2:3], 1, v0
	v_ashrrev_i32_e32 v1, 31, v2
	v_mov_b32_e32 v3, s9
	v_add_co_u32_e32 v0, vcc, s8, v2
	s_cmp_lt_i32 s24, 11
	v_addc_co_u32_e32 v1, vcc, v3, v1, vcc
	s_cbranch_scc1 .LBB323_2077
; %bb.2000:
	s_and_b32 s17, 0xffff, s24
	s_mov_b64 s[12:13], -1
	s_mov_b64 s[6:7], 0
	s_cmp_gt_i32 s17, 25
	s_mov_b64 s[10:11], 0
	s_mov_b64 s[4:5], 0
	s_cbranch_scc0 .LBB323_2033
; %bb.2001:
	s_cmp_gt_i32 s17, 28
	s_cbranch_scc0 .LBB323_2016
; %bb.2002:
	s_cmp_gt_i32 s17, 43
	;; [unrolled: 3-line block ×3, first 2 shown]
	s_cbranch_scc0 .LBB323_2006
; %bb.2004:
	s_mov_b64 s[4:5], -1
	s_mov_b64 s[12:13], 0
	s_cmp_eq_u32 s17, 46
	s_cbranch_scc0 .LBB323_2006
; %bb.2005:
	v_cndmask_b32_e64 v3, 0, 1.0, s[2:3]
	v_bfe_u32 v4, v3, 16, 1
	s_movk_i32 s4, 0x7fff
	v_add3_u32 v3, v3, v4, s4
	v_lshrrev_b32_e32 v3, 16, v3
	global_store_dword v[0:1], v3, off
	s_mov_b64 s[4:5], 0
	s_mov_b64 s[10:11], -1
.LBB323_2006:
	s_and_b64 vcc, exec, s[12:13]
	s_cbranch_vccz .LBB323_2011
; %bb.2007:
	s_cmp_eq_u32 s17, 44
	s_mov_b64 s[4:5], -1
	s_cbranch_scc0 .LBB323_2011
; %bb.2008:
	v_cndmask_b32_e64 v4, 0, 1.0, s[2:3]
	v_lshrrev_b32_e32 v3, 23, v4
	s_movk_i32 s4, 0xff
	v_cmp_ne_u32_e32 vcc, s4, v3
	v_mov_b32_e32 v8, 0xff
	s_and_saveexec_b64 s[10:11], vcc
; %bb.2009:
	s_mov_b32 s4, 0x3fffff
	v_and_b32_e32 v8, 0x400000, v4
	v_and_or_b32 v4, v4, s4, v3
	v_cmp_ne_u32_e32 vcc, 0, v8
	v_cmp_ne_u32_e64 s[4:5], 0, v4
	s_and_b64 s[4:5], vcc, s[4:5]
	v_cndmask_b32_e64 v4, 0, 1, s[4:5]
	v_add_u32_e32 v8, v3, v4
; %bb.2010:
	s_or_b64 exec, exec, s[10:11]
	s_mov_b64 s[4:5], 0
	s_mov_b64 s[10:11], -1
	global_store_byte v[0:1], v8, off
.LBB323_2011:
	s_mov_b64 s[12:13], 0
.LBB323_2012:
	s_and_b64 vcc, exec, s[12:13]
	s_cbranch_vccz .LBB323_2015
; %bb.2013:
	s_cmp_eq_u32 s17, 29
	s_mov_b64 s[4:5], -1
	s_cbranch_scc0 .LBB323_2015
; %bb.2014:
	s_mov_b32 s4, 0
	v_cndmask_b32_e64 v3, 0, 1, s[2:3]
	v_mov_b32_e32 v4, s4
	global_store_dwordx2 v[0:1], v[3:4], off
	s_mov_b64 s[4:5], 0
	s_mov_b64 s[10:11], -1
.LBB323_2015:
	s_mov_b64 s[12:13], 0
.LBB323_2016:
	s_and_b64 vcc, exec, s[12:13]
	s_cbranch_vccz .LBB323_2032
; %bb.2017:
	s_cmp_lt_i32 s17, 27
	s_mov_b64 s[10:11], -1
	s_cbranch_scc1 .LBB323_2023
; %bb.2018:
	s_cmp_gt_i32 s17, 27
	s_cbranch_scc0 .LBB323_2020
; %bb.2019:
	v_cndmask_b32_e64 v3, 0, 1, s[2:3]
	s_mov_b64 s[10:11], 0
	global_store_dword v[0:1], v3, off
.LBB323_2020:
	s_andn2_b64 vcc, exec, s[10:11]
	s_cbranch_vccnz .LBB323_2022
; %bb.2021:
	v_cndmask_b32_e64 v3, 0, 1, s[2:3]
	global_store_short v[0:1], v3, off
.LBB323_2022:
	s_mov_b64 s[10:11], 0
.LBB323_2023:
	s_andn2_b64 vcc, exec, s[10:11]
	s_cbranch_vccnz .LBB323_2031
; %bb.2024:
	v_cndmask_b32_e64 v4, 0, 1.0, s[2:3]
	s_mov_b32 s10, 0x43800000
	v_cmp_gt_u32_e32 vcc, s10, v4
	v_mov_b32_e32 v8, 0x80
	s_and_saveexec_b64 s[10:11], vcc
	s_cbranch_execz .LBB323_2030
; %bb.2025:
	s_mov_b32 s12, 0x3bffffff
	v_cmp_lt_u32_e32 vcc, s12, v4
	s_mov_b64 s[12:13], 0
                                        ; implicit-def: $vgpr3
	s_and_saveexec_b64 s[14:15], vcc
	s_xor_b64 s[14:15], exec, s[14:15]
	s_cbranch_execz .LBB323_2362
; %bb.2026:
	v_bfe_u32 v3, v4, 20, 1
	s_mov_b32 s25, 0x487ffff
	v_add3_u32 v3, v4, v3, s25
	s_mov_b64 s[12:13], exec
	v_lshrrev_b32_e32 v3, 20, v3
                                        ; implicit-def: $vgpr4
	s_andn2_saveexec_b64 s[14:15], s[14:15]
	s_cbranch_execnz .LBB323_2363
.LBB323_2027:
	s_or_b64 exec, exec, s[14:15]
	v_mov_b32_e32 v8, 0
	s_and_saveexec_b64 s[14:15], s[12:13]
.LBB323_2028:
	v_mov_b32_e32 v8, v3
.LBB323_2029:
	s_or_b64 exec, exec, s[14:15]
.LBB323_2030:
	s_or_b64 exec, exec, s[10:11]
	global_store_byte v[0:1], v8, off
.LBB323_2031:
	s_mov_b64 s[10:11], -1
.LBB323_2032:
	s_mov_b64 s[12:13], 0
.LBB323_2033:
	s_and_b64 vcc, exec, s[12:13]
	s_cbranch_vccz .LBB323_2073
; %bb.2034:
	s_cmp_gt_i32 s17, 22
	s_mov_b64 s[6:7], -1
	s_cbranch_scc0 .LBB323_2066
; %bb.2035:
	s_cmp_lt_i32 s17, 24
	s_cbranch_scc1 .LBB323_2055
; %bb.2036:
	s_cmp_gt_i32 s17, 24
	s_cbranch_scc0 .LBB323_2044
; %bb.2037:
	v_cndmask_b32_e64 v4, 0, 1.0, s[2:3]
	s_mov_b32 s6, 0x47800000
	v_cmp_gt_u32_e32 vcc, s6, v4
	v_mov_b32_e32 v8, 0x80
	s_and_saveexec_b64 s[6:7], vcc
	s_cbranch_execz .LBB323_2043
; %bb.2038:
	s_mov_b32 s10, 0x37ffffff
	v_cmp_lt_u32_e32 vcc, s10, v4
	s_mov_b64 s[10:11], 0
                                        ; implicit-def: $vgpr3
	s_and_saveexec_b64 s[12:13], vcc
	s_xor_b64 s[12:13], exec, s[12:13]
	s_cbranch_execz .LBB323_2365
; %bb.2039:
	v_bfe_u32 v3, v4, 21, 1
	s_mov_b32 s14, 0x88fffff
	v_add3_u32 v3, v4, v3, s14
	s_mov_b64 s[10:11], exec
	v_lshrrev_b32_e32 v3, 21, v3
                                        ; implicit-def: $vgpr4
	s_andn2_saveexec_b64 s[12:13], s[12:13]
	s_cbranch_execnz .LBB323_2366
.LBB323_2040:
	s_or_b64 exec, exec, s[12:13]
	v_mov_b32_e32 v8, 0
	s_and_saveexec_b64 s[12:13], s[10:11]
.LBB323_2041:
	v_mov_b32_e32 v8, v3
.LBB323_2042:
	s_or_b64 exec, exec, s[12:13]
.LBB323_2043:
	s_or_b64 exec, exec, s[6:7]
	s_mov_b64 s[6:7], 0
	global_store_byte v[0:1], v8, off
.LBB323_2044:
	s_and_b64 vcc, exec, s[6:7]
	s_cbranch_vccz .LBB323_2054
; %bb.2045:
	v_cndmask_b32_e64 v3, 0, 1.0, s[2:3]
	s_mov_b32 s6, 0x43f00000
	v_cmp_gt_u32_e32 vcc, s6, v3
                                        ; implicit-def: $vgpr4
	s_and_saveexec_b64 s[6:7], vcc
	s_xor_b64 s[6:7], exec, s[6:7]
	s_cbranch_execz .LBB323_2051
; %bb.2046:
	s_mov_b32 s10, 0x3c7fffff
	v_cmp_lt_u32_e32 vcc, s10, v3
                                        ; implicit-def: $vgpr4
	s_and_saveexec_b64 s[10:11], vcc
	s_xor_b64 s[10:11], exec, s[10:11]
; %bb.2047:
	v_bfe_u32 v4, v3, 20, 1
	s_mov_b32 s12, 0x407ffff
	v_add3_u32 v3, v3, v4, s12
	v_lshrrev_b32_e32 v4, 20, v3
	v_and_b32_e32 v3, 0xff00000, v3
	s_mov_b32 s12, 0x7f00000
	v_mov_b32_e32 v8, 0x7e
	v_cmp_ne_u32_e32 vcc, s12, v3
	v_cndmask_b32_e32 v4, v8, v4, vcc
                                        ; implicit-def: $vgpr3
; %bb.2048:
	s_andn2_saveexec_b64 s[10:11], s[10:11]
; %bb.2049:
	v_add_f32_e32 v4, 0x46800000, v3
; %bb.2050:
	s_or_b64 exec, exec, s[10:11]
                                        ; implicit-def: $vgpr3
.LBB323_2051:
	s_andn2_saveexec_b64 s[6:7], s[6:7]
; %bb.2052:
	s_mov_b32 s10, 0x7f800000
	v_mov_b32_e32 v4, 0x7e
	v_mov_b32_e32 v8, 0x7f
	v_cmp_lt_u32_e32 vcc, s10, v3
	v_cndmask_b32_e32 v4, v4, v8, vcc
; %bb.2053:
	s_or_b64 exec, exec, s[6:7]
	global_store_byte v[0:1], v4, off
.LBB323_2054:
	s_mov_b64 s[6:7], 0
.LBB323_2055:
	s_andn2_b64 vcc, exec, s[6:7]
	s_cbranch_vccnz .LBB323_2065
; %bb.2056:
	v_cndmask_b32_e64 v3, 0, 1.0, s[2:3]
	s_mov_b32 s6, 0x47800000
	v_cmp_gt_u32_e32 vcc, s6, v3
                                        ; implicit-def: $vgpr4
	s_and_saveexec_b64 s[6:7], vcc
	s_xor_b64 s[6:7], exec, s[6:7]
	s_cbranch_execz .LBB323_2062
; %bb.2057:
	s_mov_b32 s10, 0x387fffff
	v_cmp_lt_u32_e32 vcc, s10, v3
                                        ; implicit-def: $vgpr4
	s_and_saveexec_b64 s[10:11], vcc
	s_xor_b64 s[10:11], exec, s[10:11]
; %bb.2058:
	v_bfe_u32 v4, v3, 21, 1
	s_mov_b32 s12, 0x80fffff
	v_add3_u32 v3, v3, v4, s12
	v_lshrrev_b32_e32 v4, 21, v3
                                        ; implicit-def: $vgpr3
; %bb.2059:
	s_andn2_saveexec_b64 s[10:11], s[10:11]
; %bb.2060:
	v_add_f32_e32 v4, 0x43000000, v3
; %bb.2061:
	s_or_b64 exec, exec, s[10:11]
                                        ; implicit-def: $vgpr3
.LBB323_2062:
	s_andn2_saveexec_b64 s[6:7], s[6:7]
; %bb.2063:
	s_mov_b32 s10, 0x7f800000
	v_mov_b32_e32 v4, 0x7c
	v_mov_b32_e32 v8, 0x7f
	v_cmp_lt_u32_e32 vcc, s10, v3
	v_cndmask_b32_e32 v4, v4, v8, vcc
; %bb.2064:
	s_or_b64 exec, exec, s[6:7]
	global_store_byte v[0:1], v4, off
.LBB323_2065:
	s_mov_b64 s[6:7], 0
	s_mov_b64 s[10:11], -1
.LBB323_2066:
	s_andn2_b64 vcc, exec, s[6:7]
	s_mov_b64 s[6:7], 0
	s_cbranch_vccnz .LBB323_2073
; %bb.2067:
	s_cmp_gt_i32 s17, 14
	s_mov_b64 s[12:13], -1
	s_cbranch_scc0 .LBB323_2071
; %bb.2068:
	s_cmp_eq_u32 s17, 15
	s_mov_b64 s[4:5], -1
	s_cbranch_scc0 .LBB323_2070
; %bb.2069:
	v_cndmask_b32_e64 v3, 0, 1.0, s[2:3]
	v_bfe_u32 v4, v3, 16, 1
	s_movk_i32 s4, 0x7fff
	v_add3_u32 v3, v3, v4, s4
	global_store_short_d16_hi v[0:1], v3, off
	s_mov_b64 s[4:5], 0
	s_mov_b64 s[10:11], -1
.LBB323_2070:
	s_mov_b64 s[12:13], 0
.LBB323_2071:
	s_and_b64 vcc, exec, s[12:13]
	s_cbranch_vccz .LBB323_2073
; %bb.2072:
	s_cmp_lg_u32 s17, 11
	s_mov_b64 s[6:7], -1
	s_cselect_b64 s[4:5], -1, 0
.LBB323_2073:
	s_and_b64 vcc, exec, s[4:5]
	s_cbranch_vccnz .LBB323_2364
; %bb.2074:
	s_andn2_b64 vcc, exec, s[6:7]
	s_cbranch_vccnz .LBB323_2076
.LBB323_2075:
	v_cndmask_b32_e64 v3, 0, 1, s[2:3]
	s_mov_b64 s[10:11], -1
	global_store_byte v[0:1], v3, off
.LBB323_2076:
	s_mov_b64 s[4:5], 0
	s_branch .LBB323_2078
.LBB323_2077:
	s_mov_b64 s[4:5], -1
	s_mov_b64 s[10:11], 0
.LBB323_2078:
	s_and_b64 vcc, exec, s[4:5]
	s_cbranch_vccz .LBB323_2117
; %bb.2079:
	s_and_b32 s6, 0xffff, s24
	s_cmp_lt_i32 s6, 5
	s_mov_b64 s[4:5], -1
	s_cbranch_scc1 .LBB323_2100
; %bb.2080:
	s_cmp_lt_i32 s6, 8
	s_cbranch_scc1 .LBB323_2090
; %bb.2081:
	s_cmp_lt_i32 s6, 9
	s_cbranch_scc1 .LBB323_2087
; %bb.2082:
	s_cmp_gt_i32 s6, 9
	s_cbranch_scc0 .LBB323_2084
; %bb.2083:
	v_cndmask_b32_e64 v3, 0, 1, s[2:3]
	v_cvt_f64_u32_e32 v[8:9], v3
	v_mov_b32_e32 v10, 0
	v_mov_b32_e32 v11, v10
	s_mov_b64 s[4:5], 0
	global_store_dwordx4 v[0:1], v[8:11], off
.LBB323_2084:
	s_andn2_b64 vcc, exec, s[4:5]
	s_cbranch_vccnz .LBB323_2086
; %bb.2085:
	v_cndmask_b32_e64 v3, 0, 1.0, s[2:3]
	v_mov_b32_e32 v4, 0
	global_store_dwordx2 v[0:1], v[3:4], off
.LBB323_2086:
	s_mov_b64 s[4:5], 0
.LBB323_2087:
	s_andn2_b64 vcc, exec, s[4:5]
	s_cbranch_vccnz .LBB323_2089
; %bb.2088:
	v_cndmask_b32_e64 v3, 0, 1.0, s[2:3]
	v_cvt_f16_f32_e32 v3, v3
	global_store_dword v[0:1], v3, off
.LBB323_2089:
	s_mov_b64 s[4:5], 0
.LBB323_2090:
	s_andn2_b64 vcc, exec, s[4:5]
	s_cbranch_vccnz .LBB323_2099
; %bb.2091:
	s_cmp_lt_i32 s6, 6
	s_mov_b64 s[4:5], -1
	s_cbranch_scc1 .LBB323_2097
; %bb.2092:
	s_cmp_gt_i32 s6, 6
	s_cbranch_scc0 .LBB323_2094
; %bb.2093:
	v_cndmask_b32_e64 v3, 0, 1, s[2:3]
	v_cvt_f64_u32_e32 v[3:4], v3
	s_mov_b64 s[4:5], 0
	global_store_dwordx2 v[0:1], v[3:4], off
.LBB323_2094:
	s_andn2_b64 vcc, exec, s[4:5]
	s_cbranch_vccnz .LBB323_2096
; %bb.2095:
	v_cndmask_b32_e64 v3, 0, 1.0, s[2:3]
	global_store_dword v[0:1], v3, off
.LBB323_2096:
	s_mov_b64 s[4:5], 0
.LBB323_2097:
	s_andn2_b64 vcc, exec, s[4:5]
	s_cbranch_vccnz .LBB323_2099
; %bb.2098:
	v_cndmask_b32_e64 v3, 0, 1.0, s[2:3]
	v_cvt_f16_f32_e32 v3, v3
	global_store_short v[0:1], v3, off
.LBB323_2099:
	s_mov_b64 s[4:5], 0
.LBB323_2100:
	s_andn2_b64 vcc, exec, s[4:5]
	s_cbranch_vccnz .LBB323_2116
; %bb.2101:
	s_cmp_lt_i32 s6, 2
	s_mov_b64 s[4:5], -1
	s_cbranch_scc1 .LBB323_2111
; %bb.2102:
	s_cmp_lt_i32 s6, 3
	s_cbranch_scc1 .LBB323_2108
; %bb.2103:
	s_cmp_gt_i32 s6, 3
	s_cbranch_scc0 .LBB323_2105
; %bb.2104:
	s_mov_b32 s4, 0
	v_cndmask_b32_e64 v3, 0, 1, s[2:3]
	v_mov_b32_e32 v4, s4
	global_store_dwordx2 v[0:1], v[3:4], off
	s_mov_b64 s[4:5], 0
.LBB323_2105:
	s_andn2_b64 vcc, exec, s[4:5]
	s_cbranch_vccnz .LBB323_2107
; %bb.2106:
	v_cndmask_b32_e64 v3, 0, 1, s[2:3]
	global_store_dword v[0:1], v3, off
.LBB323_2107:
	s_mov_b64 s[4:5], 0
.LBB323_2108:
	s_andn2_b64 vcc, exec, s[4:5]
	s_cbranch_vccnz .LBB323_2110
; %bb.2109:
	v_cndmask_b32_e64 v3, 0, 1, s[2:3]
	global_store_short v[0:1], v3, off
.LBB323_2110:
	s_mov_b64 s[4:5], 0
.LBB323_2111:
	s_andn2_b64 vcc, exec, s[4:5]
	s_cbranch_vccnz .LBB323_2116
; %bb.2112:
	s_mov_b64 s[4:5], -1
	s_cmp_gt_i32 s6, 0
	v_cndmask_b32_e64 v3, 0, 1, s[2:3]
	s_cbranch_scc0 .LBB323_2114
; %bb.2113:
	global_store_byte v[0:1], v3, off
	s_mov_b64 s[4:5], 0
.LBB323_2114:
	s_andn2_b64 vcc, exec, s[4:5]
	s_cbranch_vccnz .LBB323_2116
; %bb.2115:
	global_store_byte v[0:1], v3, off
.LBB323_2116:
	s_mov_b64 s[10:11], -1
.LBB323_2117:
	s_andn2_b64 vcc, exec, s[10:11]
	s_cbranch_vccnz .LBB323_2313
; %bb.2118:
	s_movk_i32 s2, 0xff
	v_mov_b32_e32 v0, 23
	v_lshlrev_b32_sdwa v0, v0, v5 dst_sel:DWORD dst_unused:UNUSED_PAD src0_sel:DWORD src1_sel:BYTE_0
	v_mov_b32_e32 v1, 0x7f800001
	v_cmp_ne_u16_sdwa vcc, v5, s2 src0_sel:BYTE_0 src1_sel:DWORD
	v_cndmask_b32_e32 v0, v1, v0, vcc
	v_mov_b32_e32 v1, 0
	v_mov_b32_e32 v3, 0x400000
	v_cmp_ne_u16_sdwa vcc, v5, v1 src0_sel:BYTE_0 src1_sel:DWORD
	v_cndmask_b32_e32 v0, v3, v0, vcc
	v_cmp_eq_f32_e32 vcc, v7, v0
	v_cndmask_b32_e64 v1, 0, 1, vcc
	v_cmp_neq_f32_e32 vcc, v7, v0
	v_cndmask_b32_e64 v0, 0, 1, vcc
	v_cndmask_b32_e64 v0, v0, v1, s[0:1]
	v_and_b32_e32 v0, 1, v0
	v_add_u32_e32 v2, s16, v2
	v_cmp_eq_u32_e64 s[2:3], 1, v0
	v_ashrrev_i32_e32 v1, 31, v2
	v_mov_b32_e32 v3, s9
	v_add_co_u32_e32 v0, vcc, s8, v2
	s_cmp_lt_i32 s24, 11
	v_addc_co_u32_e32 v1, vcc, v3, v1, vcc
	s_cbranch_scc1 .LBB323_2196
; %bb.2119:
	s_and_b32 s17, 0xffff, s24
	s_mov_b64 s[12:13], -1
	s_mov_b64 s[6:7], 0
	s_cmp_gt_i32 s17, 25
	s_mov_b64 s[10:11], 0
	s_mov_b64 s[4:5], 0
	s_cbranch_scc0 .LBB323_2152
; %bb.2120:
	s_cmp_gt_i32 s17, 28
	s_cbranch_scc0 .LBB323_2135
; %bb.2121:
	s_cmp_gt_i32 s17, 43
	;; [unrolled: 3-line block ×3, first 2 shown]
	s_cbranch_scc0 .LBB323_2125
; %bb.2123:
	s_mov_b64 s[4:5], -1
	s_mov_b64 s[12:13], 0
	s_cmp_eq_u32 s17, 46
	s_cbranch_scc0 .LBB323_2125
; %bb.2124:
	v_cndmask_b32_e64 v3, 0, 1.0, s[2:3]
	v_bfe_u32 v4, v3, 16, 1
	s_movk_i32 s4, 0x7fff
	v_add3_u32 v3, v3, v4, s4
	v_lshrrev_b32_e32 v3, 16, v3
	global_store_dword v[0:1], v3, off
	s_mov_b64 s[4:5], 0
	s_mov_b64 s[10:11], -1
.LBB323_2125:
	s_and_b64 vcc, exec, s[12:13]
	s_cbranch_vccz .LBB323_2130
; %bb.2126:
	s_cmp_eq_u32 s17, 44
	s_mov_b64 s[4:5], -1
	s_cbranch_scc0 .LBB323_2130
; %bb.2127:
	v_cndmask_b32_e64 v4, 0, 1.0, s[2:3]
	v_lshrrev_b32_e32 v3, 23, v4
	s_movk_i32 s4, 0xff
	v_cmp_ne_u32_e32 vcc, s4, v3
	v_mov_b32_e32 v5, 0xff
	s_and_saveexec_b64 s[10:11], vcc
; %bb.2128:
	s_mov_b32 s4, 0x3fffff
	v_and_b32_e32 v5, 0x400000, v4
	v_and_or_b32 v4, v4, s4, v3
	v_cmp_ne_u32_e32 vcc, 0, v5
	v_cmp_ne_u32_e64 s[4:5], 0, v4
	s_and_b64 s[4:5], vcc, s[4:5]
	v_cndmask_b32_e64 v4, 0, 1, s[4:5]
	v_add_u32_e32 v5, v3, v4
; %bb.2129:
	s_or_b64 exec, exec, s[10:11]
	s_mov_b64 s[4:5], 0
	s_mov_b64 s[10:11], -1
	global_store_byte v[0:1], v5, off
.LBB323_2130:
	s_mov_b64 s[12:13], 0
.LBB323_2131:
	s_and_b64 vcc, exec, s[12:13]
	s_cbranch_vccz .LBB323_2134
; %bb.2132:
	s_cmp_eq_u32 s17, 29
	s_mov_b64 s[4:5], -1
	s_cbranch_scc0 .LBB323_2134
; %bb.2133:
	s_mov_b32 s4, 0
	v_cndmask_b32_e64 v3, 0, 1, s[2:3]
	v_mov_b32_e32 v4, s4
	global_store_dwordx2 v[0:1], v[3:4], off
	s_mov_b64 s[4:5], 0
	s_mov_b64 s[10:11], -1
.LBB323_2134:
	s_mov_b64 s[12:13], 0
.LBB323_2135:
	s_and_b64 vcc, exec, s[12:13]
	s_cbranch_vccz .LBB323_2151
; %bb.2136:
	s_cmp_lt_i32 s17, 27
	s_mov_b64 s[10:11], -1
	s_cbranch_scc1 .LBB323_2142
; %bb.2137:
	s_cmp_gt_i32 s17, 27
	s_cbranch_scc0 .LBB323_2139
; %bb.2138:
	v_cndmask_b32_e64 v3, 0, 1, s[2:3]
	s_mov_b64 s[10:11], 0
	global_store_dword v[0:1], v3, off
.LBB323_2139:
	s_andn2_b64 vcc, exec, s[10:11]
	s_cbranch_vccnz .LBB323_2141
; %bb.2140:
	v_cndmask_b32_e64 v3, 0, 1, s[2:3]
	global_store_short v[0:1], v3, off
.LBB323_2141:
	s_mov_b64 s[10:11], 0
.LBB323_2142:
	s_andn2_b64 vcc, exec, s[10:11]
	s_cbranch_vccnz .LBB323_2150
; %bb.2143:
	v_cndmask_b32_e64 v4, 0, 1.0, s[2:3]
	s_mov_b32 s10, 0x43800000
	v_cmp_gt_u32_e32 vcc, s10, v4
	v_mov_b32_e32 v5, 0x80
	s_and_saveexec_b64 s[10:11], vcc
	s_cbranch_execz .LBB323_2149
; %bb.2144:
	s_mov_b32 s12, 0x3bffffff
	v_cmp_lt_u32_e32 vcc, s12, v4
	s_mov_b64 s[12:13], 0
                                        ; implicit-def: $vgpr3
	s_and_saveexec_b64 s[14:15], vcc
	s_xor_b64 s[14:15], exec, s[14:15]
	s_cbranch_execz .LBB323_2367
; %bb.2145:
	v_bfe_u32 v3, v4, 20, 1
	s_mov_b32 s25, 0x487ffff
	v_add3_u32 v3, v4, v3, s25
	s_mov_b64 s[12:13], exec
	v_lshrrev_b32_e32 v3, 20, v3
                                        ; implicit-def: $vgpr4
	s_andn2_saveexec_b64 s[14:15], s[14:15]
	s_cbranch_execnz .LBB323_2368
.LBB323_2146:
	s_or_b64 exec, exec, s[14:15]
	v_mov_b32_e32 v5, 0
	s_and_saveexec_b64 s[14:15], s[12:13]
.LBB323_2147:
	v_mov_b32_e32 v5, v3
.LBB323_2148:
	s_or_b64 exec, exec, s[14:15]
.LBB323_2149:
	s_or_b64 exec, exec, s[10:11]
	global_store_byte v[0:1], v5, off
.LBB323_2150:
	s_mov_b64 s[10:11], -1
.LBB323_2151:
	s_mov_b64 s[12:13], 0
.LBB323_2152:
	s_and_b64 vcc, exec, s[12:13]
	s_cbranch_vccz .LBB323_2192
; %bb.2153:
	s_cmp_gt_i32 s17, 22
	s_mov_b64 s[6:7], -1
	s_cbranch_scc0 .LBB323_2185
; %bb.2154:
	s_cmp_lt_i32 s17, 24
	s_cbranch_scc1 .LBB323_2174
; %bb.2155:
	s_cmp_gt_i32 s17, 24
	s_cbranch_scc0 .LBB323_2163
; %bb.2156:
	v_cndmask_b32_e64 v4, 0, 1.0, s[2:3]
	s_mov_b32 s6, 0x47800000
	v_cmp_gt_u32_e32 vcc, s6, v4
	v_mov_b32_e32 v5, 0x80
	s_and_saveexec_b64 s[6:7], vcc
	s_cbranch_execz .LBB323_2162
; %bb.2157:
	s_mov_b32 s10, 0x37ffffff
	v_cmp_lt_u32_e32 vcc, s10, v4
	s_mov_b64 s[10:11], 0
                                        ; implicit-def: $vgpr3
	s_and_saveexec_b64 s[12:13], vcc
	s_xor_b64 s[12:13], exec, s[12:13]
	s_cbranch_execz .LBB323_2370
; %bb.2158:
	v_bfe_u32 v3, v4, 21, 1
	s_mov_b32 s14, 0x88fffff
	v_add3_u32 v3, v4, v3, s14
	s_mov_b64 s[10:11], exec
	v_lshrrev_b32_e32 v3, 21, v3
                                        ; implicit-def: $vgpr4
	s_andn2_saveexec_b64 s[12:13], s[12:13]
	s_cbranch_execnz .LBB323_2371
.LBB323_2159:
	s_or_b64 exec, exec, s[12:13]
	v_mov_b32_e32 v5, 0
	s_and_saveexec_b64 s[12:13], s[10:11]
.LBB323_2160:
	v_mov_b32_e32 v5, v3
.LBB323_2161:
	s_or_b64 exec, exec, s[12:13]
.LBB323_2162:
	s_or_b64 exec, exec, s[6:7]
	s_mov_b64 s[6:7], 0
	global_store_byte v[0:1], v5, off
.LBB323_2163:
	s_and_b64 vcc, exec, s[6:7]
	s_cbranch_vccz .LBB323_2173
; %bb.2164:
	v_cndmask_b32_e64 v3, 0, 1.0, s[2:3]
	s_mov_b32 s6, 0x43f00000
	v_cmp_gt_u32_e32 vcc, s6, v3
                                        ; implicit-def: $vgpr4
	s_and_saveexec_b64 s[6:7], vcc
	s_xor_b64 s[6:7], exec, s[6:7]
	s_cbranch_execz .LBB323_2170
; %bb.2165:
	s_mov_b32 s10, 0x3c7fffff
	v_cmp_lt_u32_e32 vcc, s10, v3
                                        ; implicit-def: $vgpr4
	s_and_saveexec_b64 s[10:11], vcc
	s_xor_b64 s[10:11], exec, s[10:11]
; %bb.2166:
	v_bfe_u32 v4, v3, 20, 1
	s_mov_b32 s12, 0x407ffff
	v_add3_u32 v3, v3, v4, s12
	v_lshrrev_b32_e32 v4, 20, v3
	v_and_b32_e32 v3, 0xff00000, v3
	s_mov_b32 s12, 0x7f00000
	v_mov_b32_e32 v5, 0x7e
	v_cmp_ne_u32_e32 vcc, s12, v3
	v_cndmask_b32_e32 v4, v5, v4, vcc
                                        ; implicit-def: $vgpr3
; %bb.2167:
	s_andn2_saveexec_b64 s[10:11], s[10:11]
; %bb.2168:
	v_add_f32_e32 v4, 0x46800000, v3
; %bb.2169:
	s_or_b64 exec, exec, s[10:11]
                                        ; implicit-def: $vgpr3
.LBB323_2170:
	s_andn2_saveexec_b64 s[6:7], s[6:7]
; %bb.2171:
	s_mov_b32 s10, 0x7f800000
	v_mov_b32_e32 v4, 0x7e
	v_mov_b32_e32 v5, 0x7f
	v_cmp_lt_u32_e32 vcc, s10, v3
	v_cndmask_b32_e32 v4, v4, v5, vcc
; %bb.2172:
	s_or_b64 exec, exec, s[6:7]
	global_store_byte v[0:1], v4, off
.LBB323_2173:
	s_mov_b64 s[6:7], 0
.LBB323_2174:
	s_andn2_b64 vcc, exec, s[6:7]
	s_cbranch_vccnz .LBB323_2184
; %bb.2175:
	v_cndmask_b32_e64 v3, 0, 1.0, s[2:3]
	s_mov_b32 s6, 0x47800000
	v_cmp_gt_u32_e32 vcc, s6, v3
                                        ; implicit-def: $vgpr4
	s_and_saveexec_b64 s[6:7], vcc
	s_xor_b64 s[6:7], exec, s[6:7]
	s_cbranch_execz .LBB323_2181
; %bb.2176:
	s_mov_b32 s10, 0x387fffff
	v_cmp_lt_u32_e32 vcc, s10, v3
                                        ; implicit-def: $vgpr4
	s_and_saveexec_b64 s[10:11], vcc
	s_xor_b64 s[10:11], exec, s[10:11]
; %bb.2177:
	v_bfe_u32 v4, v3, 21, 1
	s_mov_b32 s12, 0x80fffff
	v_add3_u32 v3, v3, v4, s12
	v_lshrrev_b32_e32 v4, 21, v3
                                        ; implicit-def: $vgpr3
; %bb.2178:
	s_andn2_saveexec_b64 s[10:11], s[10:11]
; %bb.2179:
	v_add_f32_e32 v4, 0x43000000, v3
; %bb.2180:
	s_or_b64 exec, exec, s[10:11]
                                        ; implicit-def: $vgpr3
.LBB323_2181:
	s_andn2_saveexec_b64 s[6:7], s[6:7]
; %bb.2182:
	s_mov_b32 s10, 0x7f800000
	v_mov_b32_e32 v4, 0x7c
	v_mov_b32_e32 v5, 0x7f
	v_cmp_lt_u32_e32 vcc, s10, v3
	v_cndmask_b32_e32 v4, v4, v5, vcc
; %bb.2183:
	s_or_b64 exec, exec, s[6:7]
	global_store_byte v[0:1], v4, off
.LBB323_2184:
	s_mov_b64 s[6:7], 0
	s_mov_b64 s[10:11], -1
.LBB323_2185:
	s_andn2_b64 vcc, exec, s[6:7]
	s_mov_b64 s[6:7], 0
	s_cbranch_vccnz .LBB323_2192
; %bb.2186:
	s_cmp_gt_i32 s17, 14
	s_mov_b64 s[12:13], -1
	s_cbranch_scc0 .LBB323_2190
; %bb.2187:
	s_cmp_eq_u32 s17, 15
	s_mov_b64 s[4:5], -1
	s_cbranch_scc0 .LBB323_2189
; %bb.2188:
	v_cndmask_b32_e64 v3, 0, 1.0, s[2:3]
	v_bfe_u32 v4, v3, 16, 1
	s_movk_i32 s4, 0x7fff
	v_add3_u32 v3, v3, v4, s4
	global_store_short_d16_hi v[0:1], v3, off
	s_mov_b64 s[4:5], 0
	s_mov_b64 s[10:11], -1
.LBB323_2189:
	s_mov_b64 s[12:13], 0
.LBB323_2190:
	s_and_b64 vcc, exec, s[12:13]
	s_cbranch_vccz .LBB323_2192
; %bb.2191:
	s_cmp_lg_u32 s17, 11
	s_mov_b64 s[6:7], -1
	s_cselect_b64 s[4:5], -1, 0
.LBB323_2192:
	s_and_b64 vcc, exec, s[4:5]
	s_cbranch_vccnz .LBB323_2369
; %bb.2193:
	s_andn2_b64 vcc, exec, s[6:7]
	s_cbranch_vccnz .LBB323_2195
.LBB323_2194:
	v_cndmask_b32_e64 v3, 0, 1, s[2:3]
	s_mov_b64 s[10:11], -1
	global_store_byte v[0:1], v3, off
.LBB323_2195:
	s_mov_b64 s[4:5], 0
	s_branch .LBB323_2197
.LBB323_2196:
	s_mov_b64 s[4:5], -1
	s_mov_b64 s[10:11], 0
.LBB323_2197:
	s_and_b64 vcc, exec, s[4:5]
	s_cbranch_vccz .LBB323_2236
; %bb.2198:
	s_and_b32 s6, 0xffff, s24
	s_cmp_lt_i32 s6, 5
	s_mov_b64 s[4:5], -1
	s_cbranch_scc1 .LBB323_2219
; %bb.2199:
	s_cmp_lt_i32 s6, 8
	s_cbranch_scc1 .LBB323_2209
; %bb.2200:
	s_cmp_lt_i32 s6, 9
	s_cbranch_scc1 .LBB323_2206
; %bb.2201:
	s_cmp_gt_i32 s6, 9
	s_cbranch_scc0 .LBB323_2203
; %bb.2202:
	v_cndmask_b32_e64 v3, 0, 1, s[2:3]
	v_cvt_f64_u32_e32 v[8:9], v3
	v_mov_b32_e32 v10, 0
	v_mov_b32_e32 v11, v10
	s_mov_b64 s[4:5], 0
	global_store_dwordx4 v[0:1], v[8:11], off
.LBB323_2203:
	s_andn2_b64 vcc, exec, s[4:5]
	s_cbranch_vccnz .LBB323_2205
; %bb.2204:
	v_cndmask_b32_e64 v3, 0, 1.0, s[2:3]
	v_mov_b32_e32 v4, 0
	global_store_dwordx2 v[0:1], v[3:4], off
.LBB323_2205:
	s_mov_b64 s[4:5], 0
.LBB323_2206:
	s_andn2_b64 vcc, exec, s[4:5]
	s_cbranch_vccnz .LBB323_2208
; %bb.2207:
	v_cndmask_b32_e64 v3, 0, 1.0, s[2:3]
	v_cvt_f16_f32_e32 v3, v3
	global_store_dword v[0:1], v3, off
.LBB323_2208:
	s_mov_b64 s[4:5], 0
.LBB323_2209:
	s_andn2_b64 vcc, exec, s[4:5]
	s_cbranch_vccnz .LBB323_2218
; %bb.2210:
	s_cmp_lt_i32 s6, 6
	s_mov_b64 s[4:5], -1
	s_cbranch_scc1 .LBB323_2216
; %bb.2211:
	s_cmp_gt_i32 s6, 6
	s_cbranch_scc0 .LBB323_2213
; %bb.2212:
	v_cndmask_b32_e64 v3, 0, 1, s[2:3]
	v_cvt_f64_u32_e32 v[3:4], v3
	s_mov_b64 s[4:5], 0
	global_store_dwordx2 v[0:1], v[3:4], off
.LBB323_2213:
	s_andn2_b64 vcc, exec, s[4:5]
	s_cbranch_vccnz .LBB323_2215
; %bb.2214:
	v_cndmask_b32_e64 v3, 0, 1.0, s[2:3]
	global_store_dword v[0:1], v3, off
.LBB323_2215:
	s_mov_b64 s[4:5], 0
.LBB323_2216:
	s_andn2_b64 vcc, exec, s[4:5]
	s_cbranch_vccnz .LBB323_2218
; %bb.2217:
	v_cndmask_b32_e64 v3, 0, 1.0, s[2:3]
	v_cvt_f16_f32_e32 v3, v3
	global_store_short v[0:1], v3, off
.LBB323_2218:
	s_mov_b64 s[4:5], 0
.LBB323_2219:
	s_andn2_b64 vcc, exec, s[4:5]
	s_cbranch_vccnz .LBB323_2235
; %bb.2220:
	s_cmp_lt_i32 s6, 2
	s_mov_b64 s[4:5], -1
	s_cbranch_scc1 .LBB323_2230
; %bb.2221:
	s_cmp_lt_i32 s6, 3
	s_cbranch_scc1 .LBB323_2227
; %bb.2222:
	s_cmp_gt_i32 s6, 3
	s_cbranch_scc0 .LBB323_2224
; %bb.2223:
	s_mov_b32 s4, 0
	v_cndmask_b32_e64 v3, 0, 1, s[2:3]
	v_mov_b32_e32 v4, s4
	global_store_dwordx2 v[0:1], v[3:4], off
	s_mov_b64 s[4:5], 0
.LBB323_2224:
	s_andn2_b64 vcc, exec, s[4:5]
	s_cbranch_vccnz .LBB323_2226
; %bb.2225:
	v_cndmask_b32_e64 v3, 0, 1, s[2:3]
	global_store_dword v[0:1], v3, off
.LBB323_2226:
	s_mov_b64 s[4:5], 0
.LBB323_2227:
	s_andn2_b64 vcc, exec, s[4:5]
	s_cbranch_vccnz .LBB323_2229
; %bb.2228:
	v_cndmask_b32_e64 v3, 0, 1, s[2:3]
	global_store_short v[0:1], v3, off
.LBB323_2229:
	s_mov_b64 s[4:5], 0
.LBB323_2230:
	s_andn2_b64 vcc, exec, s[4:5]
	s_cbranch_vccnz .LBB323_2235
; %bb.2231:
	s_mov_b64 s[4:5], -1
	s_cmp_gt_i32 s6, 0
	v_cndmask_b32_e64 v3, 0, 1, s[2:3]
	s_cbranch_scc0 .LBB323_2233
; %bb.2232:
	global_store_byte v[0:1], v3, off
	s_mov_b64 s[4:5], 0
.LBB323_2233:
	s_andn2_b64 vcc, exec, s[4:5]
	s_cbranch_vccnz .LBB323_2235
; %bb.2234:
	global_store_byte v[0:1], v3, off
.LBB323_2235:
	s_mov_b64 s[10:11], -1
.LBB323_2236:
	s_andn2_b64 vcc, exec, s[10:11]
	s_cbranch_vccnz .LBB323_2313
; %bb.2237:
	s_movk_i32 s2, 0xff
	v_mov_b32_e32 v0, 23
	v_lshlrev_b32_sdwa v0, v0, v6 dst_sel:DWORD dst_unused:UNUSED_PAD src0_sel:DWORD src1_sel:BYTE_0
	v_mov_b32_e32 v1, 0x7f800001
	v_cmp_ne_u16_sdwa vcc, v6, s2 src0_sel:BYTE_0 src1_sel:DWORD
	v_cndmask_b32_e32 v0, v1, v0, vcc
	v_mov_b32_e32 v1, 0
	v_mov_b32_e32 v3, 0x400000
	v_cmp_ne_u16_sdwa vcc, v6, v1 src0_sel:BYTE_0 src1_sel:DWORD
	v_cndmask_b32_e32 v0, v3, v0, vcc
	v_cmp_eq_f32_e32 vcc, v7, v0
	v_cndmask_b32_e64 v1, 0, 1, vcc
	v_cmp_neq_f32_e32 vcc, v7, v0
	v_cndmask_b32_e64 v0, 0, 1, vcc
	v_cndmask_b32_e64 v0, v0, v1, s[0:1]
	v_and_b32_e32 v0, 1, v0
	v_cmp_eq_u32_e64 s[2:3], 1, v0
	v_add_u32_e32 v0, s16, v2
	v_ashrrev_i32_e32 v1, 31, v0
	v_mov_b32_e32 v2, s9
	v_add_co_u32_e32 v0, vcc, s8, v0
	s_cmp_lt_i32 s24, 11
	v_addc_co_u32_e32 v1, vcc, v2, v1, vcc
	s_cbranch_scc1 .LBB323_2355
; %bb.2238:
	s_and_b32 s12, 0xffff, s24
	s_mov_b64 s[6:7], -1
	s_mov_b64 s[4:5], 0
	s_cmp_gt_i32 s12, 25
	s_mov_b64 s[0:1], 0
	s_cbranch_scc0 .LBB323_2271
; %bb.2239:
	s_cmp_gt_i32 s12, 28
	s_cbranch_scc0 .LBB323_2255
; %bb.2240:
	s_cmp_gt_i32 s12, 43
	;; [unrolled: 3-line block ×3, first 2 shown]
	s_cbranch_scc0 .LBB323_2245
; %bb.2242:
	s_cmp_eq_u32 s12, 46
	s_mov_b64 s[0:1], -1
	s_cbranch_scc0 .LBB323_2244
; %bb.2243:
	v_cndmask_b32_e64 v2, 0, 1.0, s[2:3]
	v_bfe_u32 v3, v2, 16, 1
	s_movk_i32 s0, 0x7fff
	v_add3_u32 v2, v2, v3, s0
	v_lshrrev_b32_e32 v2, 16, v2
	global_store_dword v[0:1], v2, off
	s_mov_b64 s[0:1], 0
.LBB323_2244:
	s_mov_b64 s[6:7], 0
.LBB323_2245:
	s_and_b64 vcc, exec, s[6:7]
	s_cbranch_vccz .LBB323_2250
; %bb.2246:
	s_cmp_eq_u32 s12, 44
	s_mov_b64 s[0:1], -1
	s_cbranch_scc0 .LBB323_2250
; %bb.2247:
	v_cndmask_b32_e64 v3, 0, 1.0, s[2:3]
	v_lshrrev_b32_e32 v2, 23, v3
	s_movk_i32 s0, 0xff
	v_cmp_ne_u32_e32 vcc, s0, v2
	v_mov_b32_e32 v4, 0xff
	s_and_saveexec_b64 s[6:7], vcc
; %bb.2248:
	s_mov_b32 s0, 0x3fffff
	v_and_b32_e32 v4, 0x400000, v3
	v_and_or_b32 v3, v3, s0, v2
	v_cmp_ne_u32_e32 vcc, 0, v4
	v_cmp_ne_u32_e64 s[0:1], 0, v3
	s_and_b64 s[0:1], vcc, s[0:1]
	v_cndmask_b32_e64 v3, 0, 1, s[0:1]
	v_add_u32_e32 v4, v2, v3
; %bb.2249:
	s_or_b64 exec, exec, s[6:7]
	s_mov_b64 s[0:1], 0
	global_store_byte v[0:1], v4, off
.LBB323_2250:
	s_mov_b64 s[6:7], 0
.LBB323_2251:
	s_and_b64 vcc, exec, s[6:7]
	s_cbranch_vccz .LBB323_2254
; %bb.2252:
	s_cmp_eq_u32 s12, 29
	s_mov_b64 s[0:1], -1
	s_cbranch_scc0 .LBB323_2254
; %bb.2253:
	s_mov_b32 s0, 0
	v_cndmask_b32_e64 v2, 0, 1, s[2:3]
	v_mov_b32_e32 v3, s0
	global_store_dwordx2 v[0:1], v[2:3], off
	s_mov_b64 s[0:1], 0
.LBB323_2254:
	s_mov_b64 s[6:7], 0
.LBB323_2255:
	s_and_b64 vcc, exec, s[6:7]
	s_cbranch_vccz .LBB323_2270
; %bb.2256:
	s_cmp_lt_i32 s12, 27
	s_mov_b64 s[6:7], -1
	s_cbranch_scc1 .LBB323_2262
; %bb.2257:
	s_cmp_gt_i32 s12, 27
	v_cndmask_b32_e64 v2, 0, 1, s[2:3]
	s_cbranch_scc0 .LBB323_2259
; %bb.2258:
	global_store_dword v[0:1], v2, off
	s_mov_b64 s[6:7], 0
.LBB323_2259:
	s_andn2_b64 vcc, exec, s[6:7]
	s_cbranch_vccnz .LBB323_2261
; %bb.2260:
	global_store_short v[0:1], v2, off
.LBB323_2261:
	s_mov_b64 s[6:7], 0
.LBB323_2262:
	s_andn2_b64 vcc, exec, s[6:7]
	s_cbranch_vccnz .LBB323_2270
; %bb.2263:
	v_cndmask_b32_e64 v3, 0, 1.0, s[2:3]
	s_mov_b32 s6, 0x43800000
	v_cmp_gt_u32_e32 vcc, s6, v3
	v_mov_b32_e32 v4, 0x80
	s_and_saveexec_b64 s[6:7], vcc
	s_cbranch_execz .LBB323_2269
; %bb.2264:
	s_mov_b32 s8, 0x3bffffff
	v_cmp_lt_u32_e32 vcc, s8, v3
	s_mov_b64 s[8:9], 0
                                        ; implicit-def: $vgpr2
	s_and_saveexec_b64 s[10:11], vcc
	s_xor_b64 s[10:11], exec, s[10:11]
	s_cbranch_execz .LBB323_2372
; %bb.2265:
	v_bfe_u32 v2, v3, 20, 1
	s_mov_b32 s13, 0x487ffff
	v_add3_u32 v2, v3, v2, s13
	s_mov_b64 s[8:9], exec
	v_lshrrev_b32_e32 v2, 20, v2
                                        ; implicit-def: $vgpr3
	s_andn2_saveexec_b64 s[10:11], s[10:11]
	s_cbranch_execnz .LBB323_2373
.LBB323_2266:
	s_or_b64 exec, exec, s[10:11]
	v_mov_b32_e32 v4, 0
	s_and_saveexec_b64 s[10:11], s[8:9]
.LBB323_2267:
	v_mov_b32_e32 v4, v2
.LBB323_2268:
	s_or_b64 exec, exec, s[10:11]
.LBB323_2269:
	s_or_b64 exec, exec, s[6:7]
	global_store_byte v[0:1], v4, off
.LBB323_2270:
	s_mov_b64 s[6:7], 0
.LBB323_2271:
	s_and_b64 vcc, exec, s[6:7]
	s_cbranch_vccz .LBB323_2311
; %bb.2272:
	s_cmp_gt_i32 s12, 22
	s_mov_b64 s[4:5], -1
	s_cbranch_scc0 .LBB323_2304
; %bb.2273:
	s_cmp_lt_i32 s12, 24
	s_cbranch_scc1 .LBB323_2293
; %bb.2274:
	s_cmp_gt_i32 s12, 24
	s_cbranch_scc0 .LBB323_2282
; %bb.2275:
	v_cndmask_b32_e64 v3, 0, 1.0, s[2:3]
	s_mov_b32 s4, 0x47800000
	v_cmp_gt_u32_e32 vcc, s4, v3
	v_mov_b32_e32 v4, 0x80
	s_and_saveexec_b64 s[4:5], vcc
	s_cbranch_execz .LBB323_2281
; %bb.2276:
	s_mov_b32 s6, 0x37ffffff
	v_cmp_lt_u32_e32 vcc, s6, v3
	s_mov_b64 s[6:7], 0
                                        ; implicit-def: $vgpr2
	s_and_saveexec_b64 s[8:9], vcc
	s_xor_b64 s[8:9], exec, s[8:9]
	s_cbranch_execz .LBB323_2375
; %bb.2277:
	v_bfe_u32 v2, v3, 21, 1
	s_mov_b32 s10, 0x88fffff
	v_add3_u32 v2, v3, v2, s10
	s_mov_b64 s[6:7], exec
	v_lshrrev_b32_e32 v2, 21, v2
                                        ; implicit-def: $vgpr3
	s_andn2_saveexec_b64 s[8:9], s[8:9]
	s_cbranch_execnz .LBB323_2376
.LBB323_2278:
	s_or_b64 exec, exec, s[8:9]
	v_mov_b32_e32 v4, 0
	s_and_saveexec_b64 s[8:9], s[6:7]
.LBB323_2279:
	v_mov_b32_e32 v4, v2
.LBB323_2280:
	s_or_b64 exec, exec, s[8:9]
.LBB323_2281:
	s_or_b64 exec, exec, s[4:5]
	s_mov_b64 s[4:5], 0
	global_store_byte v[0:1], v4, off
.LBB323_2282:
	s_and_b64 vcc, exec, s[4:5]
	s_cbranch_vccz .LBB323_2292
; %bb.2283:
	v_cndmask_b32_e64 v2, 0, 1.0, s[2:3]
	s_mov_b32 s4, 0x43f00000
	v_cmp_gt_u32_e32 vcc, s4, v2
                                        ; implicit-def: $vgpr3
	s_and_saveexec_b64 s[4:5], vcc
	s_xor_b64 s[4:5], exec, s[4:5]
	s_cbranch_execz .LBB323_2289
; %bb.2284:
	s_mov_b32 s6, 0x3c7fffff
	v_cmp_lt_u32_e32 vcc, s6, v2
                                        ; implicit-def: $vgpr3
	s_and_saveexec_b64 s[6:7], vcc
	s_xor_b64 s[6:7], exec, s[6:7]
; %bb.2285:
	v_bfe_u32 v3, v2, 20, 1
	s_mov_b32 s8, 0x407ffff
	v_add3_u32 v2, v2, v3, s8
	v_lshrrev_b32_e32 v3, 20, v2
	v_and_b32_e32 v2, 0xff00000, v2
	s_mov_b32 s8, 0x7f00000
	v_mov_b32_e32 v4, 0x7e
	v_cmp_ne_u32_e32 vcc, s8, v2
	v_cndmask_b32_e32 v3, v4, v3, vcc
                                        ; implicit-def: $vgpr2
; %bb.2286:
	s_andn2_saveexec_b64 s[6:7], s[6:7]
; %bb.2287:
	v_add_f32_e32 v3, 0x46800000, v2
; %bb.2288:
	s_or_b64 exec, exec, s[6:7]
                                        ; implicit-def: $vgpr2
.LBB323_2289:
	s_andn2_saveexec_b64 s[4:5], s[4:5]
; %bb.2290:
	s_mov_b32 s6, 0x7f800000
	v_mov_b32_e32 v3, 0x7e
	v_mov_b32_e32 v4, 0x7f
	v_cmp_lt_u32_e32 vcc, s6, v2
	v_cndmask_b32_e32 v3, v3, v4, vcc
; %bb.2291:
	s_or_b64 exec, exec, s[4:5]
	global_store_byte v[0:1], v3, off
.LBB323_2292:
	s_mov_b64 s[4:5], 0
.LBB323_2293:
	s_andn2_b64 vcc, exec, s[4:5]
	s_cbranch_vccnz .LBB323_2303
; %bb.2294:
	v_cndmask_b32_e64 v2, 0, 1.0, s[2:3]
	s_mov_b32 s4, 0x47800000
	v_cmp_gt_u32_e32 vcc, s4, v2
                                        ; implicit-def: $vgpr3
	s_and_saveexec_b64 s[4:5], vcc
	s_xor_b64 s[4:5], exec, s[4:5]
	s_cbranch_execz .LBB323_2300
; %bb.2295:
	s_mov_b32 s6, 0x387fffff
	v_cmp_lt_u32_e32 vcc, s6, v2
                                        ; implicit-def: $vgpr3
	s_and_saveexec_b64 s[6:7], vcc
	s_xor_b64 s[6:7], exec, s[6:7]
; %bb.2296:
	v_bfe_u32 v3, v2, 21, 1
	s_mov_b32 s8, 0x80fffff
	v_add3_u32 v2, v2, v3, s8
	v_lshrrev_b32_e32 v3, 21, v2
                                        ; implicit-def: $vgpr2
; %bb.2297:
	s_andn2_saveexec_b64 s[6:7], s[6:7]
; %bb.2298:
	v_add_f32_e32 v3, 0x43000000, v2
; %bb.2299:
	s_or_b64 exec, exec, s[6:7]
                                        ; implicit-def: $vgpr2
.LBB323_2300:
	s_andn2_saveexec_b64 s[4:5], s[4:5]
; %bb.2301:
	s_mov_b32 s6, 0x7f800000
	v_mov_b32_e32 v3, 0x7c
	v_mov_b32_e32 v4, 0x7f
	v_cmp_lt_u32_e32 vcc, s6, v2
	v_cndmask_b32_e32 v3, v3, v4, vcc
; %bb.2302:
	s_or_b64 exec, exec, s[4:5]
	global_store_byte v[0:1], v3, off
.LBB323_2303:
	s_mov_b64 s[4:5], 0
.LBB323_2304:
	s_andn2_b64 vcc, exec, s[4:5]
	s_mov_b64 s[4:5], 0
	s_cbranch_vccnz .LBB323_2311
; %bb.2305:
	s_cmp_gt_i32 s12, 14
	s_mov_b64 s[6:7], -1
	s_cbranch_scc0 .LBB323_2309
; %bb.2306:
	s_cmp_eq_u32 s12, 15
	s_mov_b64 s[0:1], -1
	s_cbranch_scc0 .LBB323_2308
; %bb.2307:
	v_cndmask_b32_e64 v2, 0, 1.0, s[2:3]
	v_bfe_u32 v3, v2, 16, 1
	s_movk_i32 s0, 0x7fff
	v_add3_u32 v2, v2, v3, s0
	global_store_short_d16_hi v[0:1], v2, off
	s_mov_b64 s[0:1], 0
.LBB323_2308:
	s_mov_b64 s[6:7], 0
.LBB323_2309:
	s_and_b64 vcc, exec, s[6:7]
	s_cbranch_vccz .LBB323_2311
; %bb.2310:
	s_cmp_lg_u32 s12, 11
	s_mov_b64 s[4:5], -1
	s_cselect_b64 s[0:1], -1, 0
.LBB323_2311:
	s_and_b64 vcc, exec, s[0:1]
	s_cbranch_vccnz .LBB323_2374
.LBB323_2312:
	s_mov_b64 s[0:1], 0
	s_branch .LBB323_2314
.LBB323_2313:
	s_mov_b64 s[0:1], 0
	s_mov_b64 s[4:5], 0
                                        ; implicit-def: $sgpr2_sgpr3
                                        ; implicit-def: $sgpr24
                                        ; implicit-def: $vgpr0_vgpr1
.LBB323_2314:
	s_and_b64 s[6:7], s[4:5], exec
	s_andn2_b64 s[4:5], s[20:21], exec
	s_and_b64 s[8:9], s[22:23], exec
	s_and_b64 s[0:1], s[0:1], exec
	s_or_b64 s[20:21], s[4:5], s[8:9]
	s_or_b64 exec, exec, s[18:19]
	s_and_saveexec_b64 s[4:5], s[20:21]
	s_cbranch_execnz .LBB323_1207
.LBB323_2315:
	s_or_b64 exec, exec, s[4:5]
	s_and_saveexec_b64 s[4:5], s[6:7]
	s_xor_b64 s[4:5], exec, s[4:5]
	s_cbranch_execz .LBB323_1208
.LBB323_2316:
	v_cndmask_b32_e64 v2, 0, 1, s[2:3]
	global_store_byte v[0:1], v2, off
	s_or_b64 exec, exec, s[4:5]
	s_and_saveexec_b64 s[4:5], s[0:1]
	s_cbranch_execz .LBB323_2354
.LBB323_2317:
	s_sext_i32_i16 s4, s24
	s_cmp_lt_i32 s4, 5
	s_mov_b64 s[0:1], -1
	s_cbranch_scc1 .LBB323_2338
; %bb.2318:
	s_cmp_lt_i32 s4, 8
	s_cbranch_scc1 .LBB323_2328
; %bb.2319:
	s_cmp_lt_i32 s4, 9
	s_cbranch_scc1 .LBB323_2325
; %bb.2320:
	s_cmp_gt_i32 s4, 9
	s_cbranch_scc0 .LBB323_2322
; %bb.2321:
	v_cndmask_b32_e64 v2, 0, 1, s[2:3]
	s_waitcnt vmcnt(0)
	v_cvt_f64_u32_e32 v[2:3], v2
	v_mov_b32_e32 v4, 0
	v_mov_b32_e32 v5, v4
	s_mov_b64 s[0:1], 0
	global_store_dwordx4 v[0:1], v[2:5], off
.LBB323_2322:
	s_andn2_b64 vcc, exec, s[0:1]
	s_cbranch_vccnz .LBB323_2324
; %bb.2323:
	v_cndmask_b32_e64 v2, 0, 1.0, s[2:3]
	s_waitcnt vmcnt(0)
	v_mov_b32_e32 v3, 0
	global_store_dwordx2 v[0:1], v[2:3], off
.LBB323_2324:
	s_mov_b64 s[0:1], 0
.LBB323_2325:
	s_andn2_b64 vcc, exec, s[0:1]
	s_cbranch_vccnz .LBB323_2327
; %bb.2326:
	v_cndmask_b32_e64 v2, 0, 1.0, s[2:3]
	v_cvt_f16_f32_e32 v2, v2
	global_store_dword v[0:1], v2, off
.LBB323_2327:
	s_mov_b64 s[0:1], 0
.LBB323_2328:
	s_andn2_b64 vcc, exec, s[0:1]
	s_cbranch_vccnz .LBB323_2337
; %bb.2329:
	s_sext_i32_i16 s4, s24
	s_cmp_lt_i32 s4, 6
	s_mov_b64 s[0:1], -1
	s_cbranch_scc1 .LBB323_2335
; %bb.2330:
	s_cmp_gt_i32 s4, 6
	s_cbranch_scc0 .LBB323_2332
; %bb.2331:
	v_cndmask_b32_e64 v2, 0, 1, s[2:3]
	s_waitcnt vmcnt(0)
	v_cvt_f64_u32_e32 v[2:3], v2
	s_mov_b64 s[0:1], 0
	global_store_dwordx2 v[0:1], v[2:3], off
.LBB323_2332:
	s_andn2_b64 vcc, exec, s[0:1]
	s_cbranch_vccnz .LBB323_2334
; %bb.2333:
	v_cndmask_b32_e64 v2, 0, 1.0, s[2:3]
	global_store_dword v[0:1], v2, off
.LBB323_2334:
	s_mov_b64 s[0:1], 0
.LBB323_2335:
	s_andn2_b64 vcc, exec, s[0:1]
	s_cbranch_vccnz .LBB323_2337
; %bb.2336:
	v_cndmask_b32_e64 v2, 0, 1.0, s[2:3]
	v_cvt_f16_f32_e32 v2, v2
	global_store_short v[0:1], v2, off
.LBB323_2337:
	s_mov_b64 s[0:1], 0
.LBB323_2338:
	s_andn2_b64 vcc, exec, s[0:1]
	s_cbranch_vccnz .LBB323_2354
; %bb.2339:
	s_sext_i32_i16 s4, s24
	s_cmp_lt_i32 s4, 2
	s_mov_b64 s[0:1], -1
	s_cbranch_scc1 .LBB323_2349
; %bb.2340:
	s_cmp_lt_i32 s4, 3
	s_cbranch_scc1 .LBB323_2346
; %bb.2341:
	s_cmp_gt_i32 s4, 3
	s_cbranch_scc0 .LBB323_2343
; %bb.2342:
	s_mov_b32 s0, 0
	v_cndmask_b32_e64 v2, 0, 1, s[2:3]
	s_waitcnt vmcnt(0)
	v_mov_b32_e32 v3, s0
	global_store_dwordx2 v[0:1], v[2:3], off
	s_mov_b64 s[0:1], 0
.LBB323_2343:
	s_andn2_b64 vcc, exec, s[0:1]
	s_cbranch_vccnz .LBB323_2345
; %bb.2344:
	v_cndmask_b32_e64 v2, 0, 1, s[2:3]
	global_store_dword v[0:1], v2, off
.LBB323_2345:
	s_mov_b64 s[0:1], 0
.LBB323_2346:
	s_andn2_b64 vcc, exec, s[0:1]
	s_cbranch_vccnz .LBB323_2348
; %bb.2347:
	v_cndmask_b32_e64 v2, 0, 1, s[2:3]
	global_store_short v[0:1], v2, off
.LBB323_2348:
	s_mov_b64 s[0:1], 0
.LBB323_2349:
	s_andn2_b64 vcc, exec, s[0:1]
	s_cbranch_vccnz .LBB323_2354
; %bb.2350:
	s_sext_i32_i16 s4, s24
	s_mov_b64 s[0:1], -1
	s_cmp_gt_i32 s4, 0
	v_cndmask_b32_e64 v2, 0, 1, s[2:3]
	s_cbranch_scc0 .LBB323_2352
; %bb.2351:
	global_store_byte v[0:1], v2, off
	s_mov_b64 s[0:1], 0
.LBB323_2352:
	s_andn2_b64 vcc, exec, s[0:1]
	s_cbranch_vccnz .LBB323_2354
; %bb.2353:
	global_store_byte v[0:1], v2, off
	s_endpgm
.LBB323_2354:
	s_endpgm
.LBB323_2355:
	s_mov_b64 s[4:5], 0
	s_mov_b64 s[0:1], -1
	s_branch .LBB323_2314
.LBB323_2356:
	s_trap 2
	s_or_b64 s[22:23], s[22:23], exec
	s_cbranch_execz .LBB323_1804
	s_branch .LBB323_1807
.LBB323_2357:
	s_andn2_saveexec_b64 s[16:17], s[16:17]
	s_cbranch_execz .LBB323_1908
.LBB323_2358:
	v_add_f32_e32 v3, 0x46000000, v8
	v_and_b32_e32 v3, 0xff, v3
	v_cmp_ne_u32_e32 vcc, 0, v3
	s_andn2_b64 s[14:15], s[14:15], exec
	s_and_b64 s[26:27], vcc, exec
	s_or_b64 s[14:15], s[14:15], s[26:27]
	s_or_b64 exec, exec, s[16:17]
	v_mov_b32_e32 v9, 0
	s_and_saveexec_b64 s[16:17], s[14:15]
	s_cbranch_execnz .LBB323_1909
	s_branch .LBB323_1910
.LBB323_2359:
	s_trap 2
	s_or_b64 s[22:23], s[22:23], exec
	s_cbranch_execz .LBB323_1956
	s_branch .LBB323_1957
.LBB323_2360:
	s_andn2_saveexec_b64 s[14:15], s[14:15]
	s_cbranch_execz .LBB323_1921
.LBB323_2361:
	v_add_f32_e32 v3, 0x42800000, v8
	v_and_b32_e32 v3, 0xff, v3
	v_cmp_ne_u32_e32 vcc, 0, v3
	s_andn2_b64 s[10:11], s[10:11], exec
	s_and_b64 s[16:17], vcc, exec
	s_or_b64 s[10:11], s[10:11], s[16:17]
	s_or_b64 exec, exec, s[14:15]
	v_mov_b32_e32 v9, 0
	s_and_saveexec_b64 s[14:15], s[10:11]
	s_cbranch_execnz .LBB323_1922
	s_branch .LBB323_1923
.LBB323_2362:
	s_andn2_saveexec_b64 s[14:15], s[14:15]
	s_cbranch_execz .LBB323_2027
.LBB323_2363:
	v_add_f32_e32 v3, 0x46000000, v4
	v_and_b32_e32 v3, 0xff, v3
	v_cmp_ne_u32_e32 vcc, 0, v3
	s_andn2_b64 s[12:13], s[12:13], exec
	s_and_b64 s[26:27], vcc, exec
	s_or_b64 s[12:13], s[12:13], s[26:27]
	s_or_b64 exec, exec, s[14:15]
	v_mov_b32_e32 v8, 0
	s_and_saveexec_b64 s[14:15], s[12:13]
	s_cbranch_execnz .LBB323_2028
	s_branch .LBB323_2029
.LBB323_2364:
	s_trap 2
	s_or_b64 s[22:23], s[22:23], exec
	s_cbranch_execz .LBB323_2075
	s_branch .LBB323_2076
.LBB323_2365:
	s_andn2_saveexec_b64 s[12:13], s[12:13]
	s_cbranch_execz .LBB323_2040
.LBB323_2366:
	v_add_f32_e32 v3, 0x42800000, v4
	v_and_b32_e32 v3, 0xff, v3
	v_cmp_ne_u32_e32 vcc, 0, v3
	s_andn2_b64 s[10:11], s[10:11], exec
	s_and_b64 s[14:15], vcc, exec
	s_or_b64 s[10:11], s[10:11], s[14:15]
	s_or_b64 exec, exec, s[12:13]
	v_mov_b32_e32 v8, 0
	s_and_saveexec_b64 s[12:13], s[10:11]
	s_cbranch_execnz .LBB323_2041
	s_branch .LBB323_2042
.LBB323_2367:
	s_andn2_saveexec_b64 s[14:15], s[14:15]
	s_cbranch_execz .LBB323_2146
.LBB323_2368:
	v_add_f32_e32 v3, 0x46000000, v4
	v_and_b32_e32 v3, 0xff, v3
	v_cmp_ne_u32_e32 vcc, 0, v3
	s_andn2_b64 s[12:13], s[12:13], exec
	s_and_b64 s[26:27], vcc, exec
	s_or_b64 s[12:13], s[12:13], s[26:27]
	s_or_b64 exec, exec, s[14:15]
	v_mov_b32_e32 v5, 0
	s_and_saveexec_b64 s[14:15], s[12:13]
	s_cbranch_execnz .LBB323_2147
	s_branch .LBB323_2148
.LBB323_2369:
	s_trap 2
	s_or_b64 s[22:23], s[22:23], exec
	s_cbranch_execz .LBB323_2194
	s_branch .LBB323_2195
.LBB323_2370:
	s_andn2_saveexec_b64 s[12:13], s[12:13]
	s_cbranch_execz .LBB323_2159
.LBB323_2371:
	v_add_f32_e32 v3, 0x42800000, v4
	v_and_b32_e32 v3, 0xff, v3
	v_cmp_ne_u32_e32 vcc, 0, v3
	s_andn2_b64 s[10:11], s[10:11], exec
	s_and_b64 s[14:15], vcc, exec
	s_or_b64 s[10:11], s[10:11], s[14:15]
	s_or_b64 exec, exec, s[12:13]
	v_mov_b32_e32 v5, 0
	s_and_saveexec_b64 s[12:13], s[10:11]
	s_cbranch_execnz .LBB323_2160
	s_branch .LBB323_2161
.LBB323_2372:
	s_andn2_saveexec_b64 s[10:11], s[10:11]
	s_cbranch_execz .LBB323_2266
.LBB323_2373:
	v_add_f32_e32 v2, 0x46000000, v3
	v_and_b32_e32 v2, 0xff, v2
	v_cmp_ne_u32_e32 vcc, 0, v2
	s_andn2_b64 s[8:9], s[8:9], exec
	s_and_b64 s[14:15], vcc, exec
	s_or_b64 s[8:9], s[8:9], s[14:15]
	s_or_b64 exec, exec, s[10:11]
	v_mov_b32_e32 v4, 0
	s_and_saveexec_b64 s[10:11], s[8:9]
	s_cbranch_execnz .LBB323_2267
	s_branch .LBB323_2268
.LBB323_2374:
	s_mov_b64 s[4:5], 0
	s_or_b64 s[22:23], s[22:23], exec
	s_trap 2
	s_branch .LBB323_2312
.LBB323_2375:
	s_andn2_saveexec_b64 s[8:9], s[8:9]
	s_cbranch_execz .LBB323_2278
.LBB323_2376:
	v_add_f32_e32 v2, 0x42800000, v3
	v_and_b32_e32 v2, 0xff, v2
	v_cmp_ne_u32_e32 vcc, 0, v2
	s_andn2_b64 s[6:7], s[6:7], exec
	s_and_b64 s[10:11], vcc, exec
	s_or_b64 s[6:7], s[6:7], s[10:11]
	s_or_b64 exec, exec, s[8:9]
	v_mov_b32_e32 v4, 0
	s_and_saveexec_b64 s[8:9], s[6:7]
	s_cbranch_execnz .LBB323_2279
	s_branch .LBB323_2280
	.section	.rodata,"a",@progbits
	.p2align	6, 0x0
	.amdhsa_kernel _ZN2at6native32elementwise_kernel_manual_unrollILi128ELi4EZNS0_15gpu_kernel_implINS0_13AUnaryFunctorIN3c1014Float8_e8m0fnuES5_bNS0_12_GLOBAL__N_116CompareEqFunctorIS5_EEEEEEvRNS_18TensorIteratorBaseERKT_EUlibE_EEviT1_
		.amdhsa_group_segment_fixed_size 0
		.amdhsa_private_segment_fixed_size 0
		.amdhsa_kernarg_size 48
		.amdhsa_user_sgpr_count 6
		.amdhsa_user_sgpr_private_segment_buffer 1
		.amdhsa_user_sgpr_dispatch_ptr 0
		.amdhsa_user_sgpr_queue_ptr 0
		.amdhsa_user_sgpr_kernarg_segment_ptr 1
		.amdhsa_user_sgpr_dispatch_id 0
		.amdhsa_user_sgpr_flat_scratch_init 0
		.amdhsa_user_sgpr_private_segment_size 0
		.amdhsa_uses_dynamic_stack 0
		.amdhsa_system_sgpr_private_segment_wavefront_offset 0
		.amdhsa_system_sgpr_workgroup_id_x 1
		.amdhsa_system_sgpr_workgroup_id_y 0
		.amdhsa_system_sgpr_workgroup_id_z 0
		.amdhsa_system_sgpr_workgroup_info 0
		.amdhsa_system_vgpr_workitem_id 0
		.amdhsa_next_free_vgpr 12
		.amdhsa_next_free_sgpr 48
		.amdhsa_reserve_vcc 1
		.amdhsa_reserve_flat_scratch 0
		.amdhsa_float_round_mode_32 0
		.amdhsa_float_round_mode_16_64 0
		.amdhsa_float_denorm_mode_32 3
		.amdhsa_float_denorm_mode_16_64 3
		.amdhsa_dx10_clamp 1
		.amdhsa_ieee_mode 1
		.amdhsa_fp16_overflow 0
		.amdhsa_exception_fp_ieee_invalid_op 0
		.amdhsa_exception_fp_denorm_src 0
		.amdhsa_exception_fp_ieee_div_zero 0
		.amdhsa_exception_fp_ieee_overflow 0
		.amdhsa_exception_fp_ieee_underflow 0
		.amdhsa_exception_fp_ieee_inexact 0
		.amdhsa_exception_int_div_zero 0
	.end_amdhsa_kernel
	.section	.text._ZN2at6native32elementwise_kernel_manual_unrollILi128ELi4EZNS0_15gpu_kernel_implINS0_13AUnaryFunctorIN3c1014Float8_e8m0fnuES5_bNS0_12_GLOBAL__N_116CompareEqFunctorIS5_EEEEEEvRNS_18TensorIteratorBaseERKT_EUlibE_EEviT1_,"axG",@progbits,_ZN2at6native32elementwise_kernel_manual_unrollILi128ELi4EZNS0_15gpu_kernel_implINS0_13AUnaryFunctorIN3c1014Float8_e8m0fnuES5_bNS0_12_GLOBAL__N_116CompareEqFunctorIS5_EEEEEEvRNS_18TensorIteratorBaseERKT_EUlibE_EEviT1_,comdat
.Lfunc_end323:
	.size	_ZN2at6native32elementwise_kernel_manual_unrollILi128ELi4EZNS0_15gpu_kernel_implINS0_13AUnaryFunctorIN3c1014Float8_e8m0fnuES5_bNS0_12_GLOBAL__N_116CompareEqFunctorIS5_EEEEEEvRNS_18TensorIteratorBaseERKT_EUlibE_EEviT1_, .Lfunc_end323-_ZN2at6native32elementwise_kernel_manual_unrollILi128ELi4EZNS0_15gpu_kernel_implINS0_13AUnaryFunctorIN3c1014Float8_e8m0fnuES5_bNS0_12_GLOBAL__N_116CompareEqFunctorIS5_EEEEEEvRNS_18TensorIteratorBaseERKT_EUlibE_EEviT1_
                                        ; -- End function
	.set _ZN2at6native32elementwise_kernel_manual_unrollILi128ELi4EZNS0_15gpu_kernel_implINS0_13AUnaryFunctorIN3c1014Float8_e8m0fnuES5_bNS0_12_GLOBAL__N_116CompareEqFunctorIS5_EEEEEEvRNS_18TensorIteratorBaseERKT_EUlibE_EEviT1_.num_vgpr, 12
	.set _ZN2at6native32elementwise_kernel_manual_unrollILi128ELi4EZNS0_15gpu_kernel_implINS0_13AUnaryFunctorIN3c1014Float8_e8m0fnuES5_bNS0_12_GLOBAL__N_116CompareEqFunctorIS5_EEEEEEvRNS_18TensorIteratorBaseERKT_EUlibE_EEviT1_.num_agpr, 0
	.set _ZN2at6native32elementwise_kernel_manual_unrollILi128ELi4EZNS0_15gpu_kernel_implINS0_13AUnaryFunctorIN3c1014Float8_e8m0fnuES5_bNS0_12_GLOBAL__N_116CompareEqFunctorIS5_EEEEEEvRNS_18TensorIteratorBaseERKT_EUlibE_EEviT1_.numbered_sgpr, 48
	.set _ZN2at6native32elementwise_kernel_manual_unrollILi128ELi4EZNS0_15gpu_kernel_implINS0_13AUnaryFunctorIN3c1014Float8_e8m0fnuES5_bNS0_12_GLOBAL__N_116CompareEqFunctorIS5_EEEEEEvRNS_18TensorIteratorBaseERKT_EUlibE_EEviT1_.num_named_barrier, 0
	.set _ZN2at6native32elementwise_kernel_manual_unrollILi128ELi4EZNS0_15gpu_kernel_implINS0_13AUnaryFunctorIN3c1014Float8_e8m0fnuES5_bNS0_12_GLOBAL__N_116CompareEqFunctorIS5_EEEEEEvRNS_18TensorIteratorBaseERKT_EUlibE_EEviT1_.private_seg_size, 0
	.set _ZN2at6native32elementwise_kernel_manual_unrollILi128ELi4EZNS0_15gpu_kernel_implINS0_13AUnaryFunctorIN3c1014Float8_e8m0fnuES5_bNS0_12_GLOBAL__N_116CompareEqFunctorIS5_EEEEEEvRNS_18TensorIteratorBaseERKT_EUlibE_EEviT1_.uses_vcc, 1
	.set _ZN2at6native32elementwise_kernel_manual_unrollILi128ELi4EZNS0_15gpu_kernel_implINS0_13AUnaryFunctorIN3c1014Float8_e8m0fnuES5_bNS0_12_GLOBAL__N_116CompareEqFunctorIS5_EEEEEEvRNS_18TensorIteratorBaseERKT_EUlibE_EEviT1_.uses_flat_scratch, 0
	.set _ZN2at6native32elementwise_kernel_manual_unrollILi128ELi4EZNS0_15gpu_kernel_implINS0_13AUnaryFunctorIN3c1014Float8_e8m0fnuES5_bNS0_12_GLOBAL__N_116CompareEqFunctorIS5_EEEEEEvRNS_18TensorIteratorBaseERKT_EUlibE_EEviT1_.has_dyn_sized_stack, 0
	.set _ZN2at6native32elementwise_kernel_manual_unrollILi128ELi4EZNS0_15gpu_kernel_implINS0_13AUnaryFunctorIN3c1014Float8_e8m0fnuES5_bNS0_12_GLOBAL__N_116CompareEqFunctorIS5_EEEEEEvRNS_18TensorIteratorBaseERKT_EUlibE_EEviT1_.has_recursion, 0
	.set _ZN2at6native32elementwise_kernel_manual_unrollILi128ELi4EZNS0_15gpu_kernel_implINS0_13AUnaryFunctorIN3c1014Float8_e8m0fnuES5_bNS0_12_GLOBAL__N_116CompareEqFunctorIS5_EEEEEEvRNS_18TensorIteratorBaseERKT_EUlibE_EEviT1_.has_indirect_call, 0
	.section	.AMDGPU.csdata,"",@progbits
; Kernel info:
; codeLenInByte = 45248
; TotalNumSgprs: 52
; NumVgprs: 12
; ScratchSize: 0
; MemoryBound: 0
; FloatMode: 240
; IeeeMode: 1
; LDSByteSize: 0 bytes/workgroup (compile time only)
; SGPRBlocks: 6
; VGPRBlocks: 2
; NumSGPRsForWavesPerEU: 52
; NumVGPRsForWavesPerEU: 12
; Occupancy: 10
; WaveLimiterHint : 0
; COMPUTE_PGM_RSRC2:SCRATCH_EN: 0
; COMPUTE_PGM_RSRC2:USER_SGPR: 6
; COMPUTE_PGM_RSRC2:TRAP_HANDLER: 0
; COMPUTE_PGM_RSRC2:TGID_X_EN: 1
; COMPUTE_PGM_RSRC2:TGID_Y_EN: 0
; COMPUTE_PGM_RSRC2:TGID_Z_EN: 0
; COMPUTE_PGM_RSRC2:TIDIG_COMP_CNT: 0
	.section	.text._ZN2at6native32elementwise_kernel_manual_unrollILi128ELi4EZNS0_15gpu_kernel_implINS0_13AUnaryFunctorIN3c1014Float8_e8m0fnuES5_bNS0_12_GLOBAL__N_116CompareEqFunctorIS5_EEEEEEvRNS_18TensorIteratorBaseERKT_EUlibE0_EEviT1_,"axG",@progbits,_ZN2at6native32elementwise_kernel_manual_unrollILi128ELi4EZNS0_15gpu_kernel_implINS0_13AUnaryFunctorIN3c1014Float8_e8m0fnuES5_bNS0_12_GLOBAL__N_116CompareEqFunctorIS5_EEEEEEvRNS_18TensorIteratorBaseERKT_EUlibE0_EEviT1_,comdat
	.globl	_ZN2at6native32elementwise_kernel_manual_unrollILi128ELi4EZNS0_15gpu_kernel_implINS0_13AUnaryFunctorIN3c1014Float8_e8m0fnuES5_bNS0_12_GLOBAL__N_116CompareEqFunctorIS5_EEEEEEvRNS_18TensorIteratorBaseERKT_EUlibE0_EEviT1_ ; -- Begin function _ZN2at6native32elementwise_kernel_manual_unrollILi128ELi4EZNS0_15gpu_kernel_implINS0_13AUnaryFunctorIN3c1014Float8_e8m0fnuES5_bNS0_12_GLOBAL__N_116CompareEqFunctorIS5_EEEEEEvRNS_18TensorIteratorBaseERKT_EUlibE0_EEviT1_
	.p2align	8
	.type	_ZN2at6native32elementwise_kernel_manual_unrollILi128ELi4EZNS0_15gpu_kernel_implINS0_13AUnaryFunctorIN3c1014Float8_e8m0fnuES5_bNS0_12_GLOBAL__N_116CompareEqFunctorIS5_EEEEEEvRNS_18TensorIteratorBaseERKT_EUlibE0_EEviT1_,@function
_ZN2at6native32elementwise_kernel_manual_unrollILi128ELi4EZNS0_15gpu_kernel_implINS0_13AUnaryFunctorIN3c1014Float8_e8m0fnuES5_bNS0_12_GLOBAL__N_116CompareEqFunctorIS5_EEEEEEvRNS_18TensorIteratorBaseERKT_EUlibE0_EEviT1_: ; @_ZN2at6native32elementwise_kernel_manual_unrollILi128ELi4EZNS0_15gpu_kernel_implINS0_13AUnaryFunctorIN3c1014Float8_e8m0fnuES5_bNS0_12_GLOBAL__N_116CompareEqFunctorIS5_EEEEEEvRNS_18TensorIteratorBaseERKT_EUlibE0_EEviT1_
; %bb.0:
	s_load_dword s74, s[4:5], 0x0
	s_load_dword s33, s[4:5], 0x8
	s_add_u32 s34, s4, 8
	s_addc_u32 s35, s5, 0
	v_lshl_or_b32 v8, s6, 9, v0
	v_or_b32_e32 v15, 0x180, v8
	s_waitcnt lgkmcnt(0)
	s_add_i32 s76, s33, -1
	s_cmp_gt_u32 s76, 1
	v_cmp_le_i32_e32 vcc, s74, v15
	s_cselect_b64 s[46:47], -1, 0
	s_mov_b64 s[44:45], 0
	s_mov_b64 s[6:7], 0
	s_and_saveexec_b64 s[0:1], vcc
	s_xor_b64 s[48:49], exec, s[0:1]
	s_cbranch_execz .LBB324_1254
; %bb.1:
	s_load_dwordx2 s[0:1], s[34:35], 0x158
	s_cmp_lg_u32 s33, 0
	s_cselect_b64 s[56:57], -1, 0
	s_add_u32 s54, s34, 0xc4
	s_addc_u32 s55, s35, 0
	s_min_u32 s79, s76, 15
	s_load_dwordx4 s[28:31], s[34:35], 0x4
	s_load_dwordx2 s[50:51], s[34:35], 0x14
	s_load_dwordx4 s[36:39], s[34:35], 0xc4
	s_load_dwordx4 s[24:27], s[34:35], 0x148
	s_load_dword s77, s[34:35], 0x160
	s_cmp_gt_u32 s33, 1
	s_cselect_b64 s[52:53], -1, 0
	s_waitcnt lgkmcnt(0)
	s_and_b32 s6, s1, 0xff
	s_cmp_lg_u32 s6, 0
	s_cselect_b64 vcc, -1, 0
	s_cmpk_lg_i32 s6, 0xff
	s_cselect_b64 s[2:3], -1, 0
	s_bfe_u32 s78, s77, 0x80008
	s_cmp_eq_u32 s0, 0
	s_cselect_b64 s[0:1], -1, 0
	s_lshl_b32 s6, s6, 23
	v_mov_b32_e32 v1, 0x7f800001
	v_mov_b32_e32 v2, s6
	;; [unrolled: 1-line block ×3, first 2 shown]
	v_cndmask_b32_e64 v1, v1, v2, s[2:3]
	v_cndmask_b32_e32 v4, v0, v1, vcc
	v_cmp_gt_i32_e32 vcc, s74, v8
	s_mov_b64 s[2:3], -1
	s_mov_b64 s[66:67], 0
	s_mov_b64 s[60:61], 0
	;; [unrolled: 1-line block ×3, first 2 shown]
	s_and_saveexec_b64 s[62:63], vcc
	s_cbranch_execz .LBB324_308
; %bb.2:
	s_andn2_b64 vcc, exec, s[46:47]
	s_cbranch_vccnz .LBB324_7
; %bb.3:
	s_andn2_b64 vcc, exec, s[56:57]
	s_cbranch_vccnz .LBB324_8
; %bb.4:
	s_add_i32 s59, s79, 1
	s_cmp_eq_u32 s76, 2
	s_cbranch_scc1 .LBB324_9
; %bb.5:
	s_and_b32 s58, s59, 28
	v_mov_b32_e32 v2, 0
	s_mov_b32 s60, 0
	s_mov_b64 s[2:3], s[34:35]
	s_mov_b64 s[6:7], s[54:55]
	v_mov_b32_e32 v0, 0
	v_mov_b32_e32 v1, v8
.LBB324_6:                              ; =>This Inner Loop Header: Depth=1
	s_load_dwordx8 s[16:23], s[2:3], 0x4
	s_load_dwordx4 s[40:43], s[2:3], 0x24
	s_load_dwordx8 s[8:15], s[6:7], 0x0
	s_add_u32 s2, s2, 48
	s_addc_u32 s3, s3, 0
	s_waitcnt lgkmcnt(0)
	v_mul_hi_u32 v3, s17, v1
	s_add_i32 s60, s60, 4
	s_add_u32 s6, s6, 32
	s_addc_u32 s7, s7, 0
	v_add_u32_e32 v3, v1, v3
	v_lshrrev_b32_e32 v3, s18, v3
	v_mul_lo_u32 v5, v3, s16
	v_mul_hi_u32 v6, s20, v3
	s_cmp_lg_u32 s58, s60
	v_sub_u32_e32 v1, v1, v5
	v_add_u32_e32 v5, v3, v6
	v_mul_lo_u32 v6, v1, s8
	v_mul_lo_u32 v7, v1, s9
	v_lshrrev_b32_e32 v1, s21, v5
	v_mul_lo_u32 v5, v1, s19
	v_mul_hi_u32 v9, s23, v1
	v_sub_u32_e32 v3, v3, v5
	v_add_u32_e32 v5, v1, v9
	v_lshrrev_b32_e32 v5, s40, v5
	v_mul_hi_u32 v10, s42, v5
	v_mul_lo_u32 v11, v5, s22
	v_mul_lo_u32 v9, v3, s10
	;; [unrolled: 1-line block ×3, first 2 shown]
	v_sub_u32_e32 v11, v1, v11
	v_add_u32_e32 v1, v5, v10
	v_lshrrev_b32_e32 v1, s43, v1
	v_mul_lo_u32 v10, v1, s41
	v_mul_lo_u32 v12, v11, s12
	;; [unrolled: 1-line block ×3, first 2 shown]
	v_add3_u32 v0, v6, v0, v9
	v_sub_u32_e32 v5, v5, v10
	v_mul_lo_u32 v10, v5, s14
	v_mul_lo_u32 v5, v5, s15
	v_add3_u32 v2, v7, v2, v3
	v_add3_u32 v0, v12, v0, v10
	;; [unrolled: 1-line block ×3, first 2 shown]
	s_cbranch_scc1 .LBB324_6
	s_branch .LBB324_10
.LBB324_7:
                                        ; implicit-def: $vgpr0
                                        ; implicit-def: $vgpr2
	s_andn2_b64 vcc, exec, s[2:3]
	s_cbranch_vccz .LBB324_14
	s_branch .LBB324_16
.LBB324_8:
	v_mov_b32_e32 v0, 0
	v_mov_b32_e32 v2, 0
	s_branch .LBB324_13
.LBB324_9:
	s_mov_b32 s58, 0
	v_mov_b32_e32 v0, 0
	v_mov_b32_e32 v2, 0
	;; [unrolled: 1-line block ×3, first 2 shown]
.LBB324_10:
	s_and_b32 s8, s59, 3
	s_cmp_eq_u32 s8, 0
	s_cbranch_scc1 .LBB324_13
; %bb.11:
	s_lshl_b32 s2, s58, 3
	s_add_u32 s2, s34, s2
	s_addc_u32 s3, s35, 0
	s_add_u32 s2, s2, 0xc4
	s_addc_u32 s3, s3, 0
	s_mul_i32 s6, s58, 12
	s_add_u32 s6, s34, s6
	s_addc_u32 s7, s35, 0
.LBB324_12:                             ; =>This Inner Loop Header: Depth=1
	s_load_dwordx2 s[10:11], s[6:7], 0x4
	s_load_dword s9, s[6:7], 0xc
	s_load_dwordx2 s[12:13], s[2:3], 0x0
	s_add_u32 s6, s6, 12
	s_addc_u32 s7, s7, 0
	s_waitcnt lgkmcnt(0)
	v_mul_hi_u32 v3, s11, v1
	s_add_u32 s2, s2, 8
	s_addc_u32 s3, s3, 0
	s_add_i32 s8, s8, -1
	v_add_u32_e32 v3, v1, v3
	v_lshrrev_b32_e32 v5, s9, v3
	v_mul_lo_u32 v3, v5, s10
	s_cmp_lg_u32 s8, 0
	v_sub_u32_e32 v3, v1, v3
	v_mad_u64_u32 v[0:1], s[10:11], v3, s12, v[0:1]
	v_mad_u64_u32 v[2:3], s[10:11], v3, s13, v[2:3]
	v_mov_b32_e32 v1, v5
	s_cbranch_scc1 .LBB324_12
.LBB324_13:
	s_cbranch_execnz .LBB324_16
.LBB324_14:
	v_mul_hi_u32 v0, s29, v8
	s_andn2_b64 vcc, exec, s[52:53]
	v_add_u32_e32 v0, v8, v0
	v_lshrrev_b32_e32 v1, s30, v0
	v_mul_lo_u32 v0, v1, s28
	v_sub_u32_e32 v2, v8, v0
	v_mul_lo_u32 v0, v2, s36
	v_mul_lo_u32 v2, v2, s37
	s_cbranch_vccnz .LBB324_16
; %bb.15:
	v_mul_hi_u32 v3, s50, v1
	v_add_u32_e32 v3, v1, v3
	v_lshrrev_b32_e32 v3, s51, v3
	v_mul_lo_u32 v3, v3, s31
	v_sub_u32_e32 v3, v1, v3
	v_mad_u64_u32 v[0:1], s[2:3], v3, s38, v[0:1]
	v_mad_u64_u32 v[2:3], s[2:3], v3, s39, v[2:3]
.LBB324_16:
	v_mov_b32_e32 v3, s27
	s_and_b32 s12, 0xffff, s78
	v_add_co_u32_e32 v1, vcc, s26, v2
	s_cmp_lt_i32 s12, 11
	v_addc_co_u32_e32 v2, vcc, 0, v3, vcc
	s_cbranch_scc1 .LBB324_25
; %bb.17:
	s_cmp_gt_i32 s12, 25
	s_cbranch_scc0 .LBB324_34
; %bb.18:
	s_cmp_gt_i32 s12, 28
	s_cbranch_scc0 .LBB324_37
	;; [unrolled: 3-line block ×4, first 2 shown]
; %bb.21:
	s_cmp_eq_u32 s12, 46
	s_mov_b64 s[6:7], 0
	s_cbranch_scc0 .LBB324_43
; %bb.22:
	global_load_dword v5, v[1:2], off
	s_movk_i32 s2, 0xff
	v_mov_b32_e32 v3, 0xff
	s_waitcnt vmcnt(0)
	v_lshlrev_b32_e32 v6, 16, v5
	v_bfe_u32 v7, v6, 23, 8
	v_cmp_ne_u32_e32 vcc, s2, v7
	s_and_saveexec_b64 s[8:9], vcc
; %bb.23:
	v_bfe_u32 v3, v5, 7, 9
	v_and_b32_e32 v5, 64, v5
	s_mov_b32 s2, 0x3f0000
	v_cmp_ne_u32_e32 vcc, 0, v5
	v_and_or_b32 v5, v6, s2, v7
	v_cmp_ne_u32_e64 s[2:3], 0, v5
	s_and_b64 s[2:3], vcc, s[2:3]
	v_cndmask_b32_e64 v5, 0, 1, s[2:3]
	v_add_u32_e32 v3, v3, v5
; %bb.24:
	s_or_b64 exec, exec, s[8:9]
	s_mov_b64 s[2:3], -1
	s_mov_b64 s[8:9], 0
	s_branch .LBB324_45
.LBB324_25:
	s_mov_b64 s[8:9], 0
                                        ; implicit-def: $vgpr3
	s_mov_b64 s[2:3], 0
	s_cbranch_execnz .LBB324_236
.LBB324_26:
	s_andn2_b64 vcc, exec, s[2:3]
	s_cbranch_vccnz .LBB324_305
.LBB324_27:
	s_movk_i32 s2, 0xff
	v_mov_b32_e32 v1, 23
	s_waitcnt vmcnt(0)
	v_lshlrev_b32_sdwa v1, v1, v3 dst_sel:DWORD dst_unused:UNUSED_PAD src0_sel:DWORD src1_sel:BYTE_0
	v_mov_b32_e32 v2, 0x7f800001
	v_cmp_ne_u16_sdwa vcc, v3, s2 src0_sel:BYTE_0 src1_sel:DWORD
	v_cndmask_b32_e32 v1, v2, v1, vcc
	v_mov_b32_e32 v2, 0
	v_mov_b32_e32 v5, 0x400000
	v_cmp_ne_u16_sdwa vcc, v3, v2 src0_sel:BYTE_0 src1_sel:DWORD
	v_cndmask_b32_e32 v1, v5, v1, vcc
	v_cmp_eq_f32_e32 vcc, v4, v1
	v_cndmask_b32_e64 v2, 0, 1, vcc
	v_cmp_neq_f32_e32 vcc, v4, v1
	v_cndmask_b32_e64 v1, 0, 1, vcc
	v_cndmask_b32_e64 v1, v1, v2, s[0:1]
	v_and_b32_e32 v1, 1, v1
	v_cmp_eq_u32_e64 s[2:3], 1, v1
	v_mov_b32_e32 v1, s25
	s_and_b32 s16, s77, 0xff
	v_add_co_u32_e32 v0, vcc, s24, v0
	s_cmp_lt_i32 s16, 11
	v_addc_co_u32_e32 v1, vcc, 0, v1, vcc
	s_cbranch_scc1 .LBB324_35
; %bb.28:
	s_and_b32 s17, 0xffff, s16
	s_cmp_gt_i32 s17, 25
	s_cbranch_scc0 .LBB324_38
; %bb.29:
	s_cmp_gt_i32 s17, 28
	s_cbranch_scc0 .LBB324_40
; %bb.30:
	;; [unrolled: 3-line block ×4, first 2 shown]
	s_mov_b64 s[12:13], 0
	s_mov_b64 s[6:7], -1
	s_cmp_eq_u32 s17, 46
	s_mov_b64 s[10:11], 0
	s_cbranch_scc0 .LBB324_49
; %bb.33:
	v_cndmask_b32_e64 v2, 0, 1.0, s[2:3]
	v_bfe_u32 v3, v2, 16, 1
	s_movk_i32 s6, 0x7fff
	v_add3_u32 v2, v2, v3, s6
	v_lshrrev_b32_e32 v2, 16, v2
	global_store_dword v[0:1], v2, off
	s_mov_b64 s[10:11], -1
	s_mov_b64 s[6:7], 0
	s_branch .LBB324_49
.LBB324_34:
	s_mov_b64 s[8:9], 0
	s_mov_b64 s[2:3], 0
                                        ; implicit-def: $vgpr3
	s_cbranch_execnz .LBB324_191
	s_branch .LBB324_235
.LBB324_35:
	s_mov_b64 s[6:7], 0
	s_mov_b64 s[10:11], 0
	s_cbranch_execnz .LBB324_118
.LBB324_36:
	s_andn2_b64 vcc, exec, s[10:11]
	s_cbranch_vccnz .LBB324_306
	s_branch .LBB324_156
.LBB324_37:
	s_mov_b64 s[6:7], -1
	s_mov_b64 s[8:9], 0
	s_mov_b64 s[2:3], 0
                                        ; implicit-def: $vgpr3
	s_branch .LBB324_166
.LBB324_38:
	s_mov_b64 s[12:13], -1
	s_mov_b64 s[6:7], 0
	s_mov_b64 s[10:11], 0
	s_branch .LBB324_76
.LBB324_39:
	s_mov_b64 s[6:7], -1
	s_mov_b64 s[8:9], 0
	s_mov_b64 s[2:3], 0
                                        ; implicit-def: $vgpr3
	s_branch .LBB324_159
.LBB324_40:
	s_mov_b64 s[12:13], -1
	s_mov_b64 s[6:7], 0
	s_mov_b64 s[10:11], 0
	s_branch .LBB324_59
.LBB324_41:
	s_mov_b64 s[6:7], -1
	s_mov_b64 s[8:9], 0
	s_branch .LBB324_44
.LBB324_42:
	s_mov_b64 s[12:13], -1
	s_mov_b64 s[6:7], 0
	s_mov_b64 s[10:11], 0
	s_branch .LBB324_55
.LBB324_43:
	s_mov_b64 s[8:9], -1
.LBB324_44:
	s_mov_b64 s[2:3], 0
                                        ; implicit-def: $vgpr3
.LBB324_45:
	s_and_b64 vcc, exec, s[6:7]
	s_cbranch_vccz .LBB324_158
; %bb.46:
	s_cmp_eq_u32 s12, 44
	s_cbranch_scc0 .LBB324_157
; %bb.47:
	global_load_ubyte v3, v[1:2], off
	s_mov_b64 s[2:3], -1
	s_mov_b64 s[8:9], 0
	s_branch .LBB324_158
.LBB324_48:
	s_mov_b64 s[12:13], -1
	s_mov_b64 s[6:7], 0
	s_mov_b64 s[10:11], 0
.LBB324_49:
	s_and_b64 vcc, exec, s[12:13]
	s_cbranch_vccz .LBB324_54
; %bb.50:
	s_cmp_eq_u32 s17, 44
	s_mov_b64 s[6:7], -1
	s_cbranch_scc0 .LBB324_54
; %bb.51:
	v_cndmask_b32_e64 v3, 0, 1.0, s[2:3]
	v_lshrrev_b32_e32 v2, 23, v3
	s_movk_i32 s6, 0xff
	v_cmp_ne_u32_e32 vcc, s6, v2
	v_mov_b32_e32 v5, 0xff
	s_and_saveexec_b64 s[10:11], vcc
; %bb.52:
	s_mov_b32 s6, 0x3fffff
	v_and_b32_e32 v5, 0x400000, v3
	v_and_or_b32 v3, v3, s6, v2
	v_cmp_ne_u32_e32 vcc, 0, v5
	v_cmp_ne_u32_e64 s[6:7], 0, v3
	s_and_b64 s[6:7], vcc, s[6:7]
	v_cndmask_b32_e64 v3, 0, 1, s[6:7]
	v_add_u32_e32 v5, v2, v3
; %bb.53:
	s_or_b64 exec, exec, s[10:11]
	s_mov_b64 s[10:11], -1
	s_mov_b64 s[6:7], 0
	global_store_byte v[0:1], v5, off
.LBB324_54:
	s_mov_b64 s[12:13], 0
.LBB324_55:
	s_and_b64 vcc, exec, s[12:13]
	s_cbranch_vccz .LBB324_58
; %bb.56:
	s_cmp_eq_u32 s17, 29
	s_mov_b64 s[6:7], -1
	s_cbranch_scc0 .LBB324_58
; %bb.57:
	s_mov_b32 s6, 0
	v_cndmask_b32_e64 v2, 0, 1, s[2:3]
	v_mov_b32_e32 v3, s6
	global_store_dwordx2 v[0:1], v[2:3], off
	s_mov_b64 s[10:11], -1
	s_mov_b64 s[6:7], 0
.LBB324_58:
	s_mov_b64 s[12:13], 0
.LBB324_59:
	s_and_b64 vcc, exec, s[12:13]
	s_cbranch_vccz .LBB324_75
; %bb.60:
	s_cmp_lt_i32 s17, 27
	s_mov_b64 s[10:11], -1
	s_cbranch_scc1 .LBB324_66
; %bb.61:
	s_cmp_gt_i32 s17, 27
	s_cbranch_scc0 .LBB324_63
; %bb.62:
	v_cndmask_b32_e64 v2, 0, 1, s[2:3]
	s_mov_b64 s[10:11], 0
	global_store_dword v[0:1], v2, off
.LBB324_63:
	s_andn2_b64 vcc, exec, s[10:11]
	s_cbranch_vccnz .LBB324_65
; %bb.64:
	v_cndmask_b32_e64 v2, 0, 1, s[2:3]
	global_store_short v[0:1], v2, off
.LBB324_65:
	s_mov_b64 s[10:11], 0
.LBB324_66:
	s_andn2_b64 vcc, exec, s[10:11]
	s_cbranch_vccnz .LBB324_74
; %bb.67:
	v_cndmask_b32_e64 v3, 0, 1.0, s[2:3]
	s_mov_b32 s10, 0x43800000
	v_cmp_gt_u32_e32 vcc, s10, v3
	v_mov_b32_e32 v5, 0x80
	s_and_saveexec_b64 s[10:11], vcc
	s_cbranch_execz .LBB324_73
; %bb.68:
	s_mov_b32 s12, 0x3bffffff
	v_cmp_lt_u32_e32 vcc, s12, v3
	s_mov_b64 s[12:13], 0
                                        ; implicit-def: $vgpr2
	s_and_saveexec_b64 s[14:15], vcc
	s_xor_b64 s[14:15], exec, s[14:15]
	s_cbranch_execz .LBB324_353
; %bb.69:
	v_bfe_u32 v2, v3, 20, 1
	s_mov_b32 s18, 0x487ffff
	v_add3_u32 v2, v3, v2, s18
	s_mov_b64 s[12:13], exec
	v_lshrrev_b32_e32 v2, 20, v2
                                        ; implicit-def: $vgpr3
	s_andn2_saveexec_b64 s[14:15], s[14:15]
	s_cbranch_execnz .LBB324_354
.LBB324_70:
	s_or_b64 exec, exec, s[14:15]
	v_mov_b32_e32 v5, 0
	s_and_saveexec_b64 s[14:15], s[12:13]
.LBB324_71:
	v_mov_b32_e32 v5, v2
.LBB324_72:
	s_or_b64 exec, exec, s[14:15]
.LBB324_73:
	s_or_b64 exec, exec, s[10:11]
	global_store_byte v[0:1], v5, off
.LBB324_74:
	s_mov_b64 s[10:11], -1
.LBB324_75:
	s_mov_b64 s[12:13], 0
.LBB324_76:
	s_and_b64 vcc, exec, s[12:13]
	s_cbranch_vccz .LBB324_117
; %bb.77:
	s_cmp_gt_i32 s17, 22
	s_mov_b64 s[12:13], -1
	s_cbranch_scc0 .LBB324_109
; %bb.78:
	s_cmp_lt_i32 s17, 24
	s_mov_b64 s[10:11], -1
	s_cbranch_scc1 .LBB324_98
; %bb.79:
	s_cmp_gt_i32 s17, 24
	s_cbranch_scc0 .LBB324_87
; %bb.80:
	v_cndmask_b32_e64 v3, 0, 1.0, s[2:3]
	s_mov_b32 s10, 0x47800000
	v_cmp_gt_u32_e32 vcc, s10, v3
	v_mov_b32_e32 v5, 0x80
	s_and_saveexec_b64 s[10:11], vcc
	s_cbranch_execz .LBB324_86
; %bb.81:
	s_mov_b32 s12, 0x37ffffff
	v_cmp_lt_u32_e32 vcc, s12, v3
	s_mov_b64 s[12:13], 0
                                        ; implicit-def: $vgpr2
	s_and_saveexec_b64 s[14:15], vcc
	s_xor_b64 s[14:15], exec, s[14:15]
	s_cbranch_execz .LBB324_357
; %bb.82:
	v_bfe_u32 v2, v3, 21, 1
	s_mov_b32 s18, 0x88fffff
	v_add3_u32 v2, v3, v2, s18
	s_mov_b64 s[12:13], exec
	v_lshrrev_b32_e32 v2, 21, v2
                                        ; implicit-def: $vgpr3
	s_andn2_saveexec_b64 s[14:15], s[14:15]
	s_cbranch_execnz .LBB324_358
.LBB324_83:
	s_or_b64 exec, exec, s[14:15]
	v_mov_b32_e32 v5, 0
	s_and_saveexec_b64 s[14:15], s[12:13]
.LBB324_84:
	v_mov_b32_e32 v5, v2
.LBB324_85:
	s_or_b64 exec, exec, s[14:15]
.LBB324_86:
	s_or_b64 exec, exec, s[10:11]
	s_mov_b64 s[10:11], 0
	global_store_byte v[0:1], v5, off
.LBB324_87:
	s_and_b64 vcc, exec, s[10:11]
	s_cbranch_vccz .LBB324_97
; %bb.88:
	v_cndmask_b32_e64 v2, 0, 1.0, s[2:3]
	s_mov_b32 s10, 0x43f00000
	v_cmp_gt_u32_e32 vcc, s10, v2
                                        ; implicit-def: $vgpr3
	s_and_saveexec_b64 s[10:11], vcc
	s_xor_b64 s[10:11], exec, s[10:11]
	s_cbranch_execz .LBB324_94
; %bb.89:
	s_mov_b32 s12, 0x3c7fffff
	v_cmp_lt_u32_e32 vcc, s12, v2
                                        ; implicit-def: $vgpr3
	s_and_saveexec_b64 s[12:13], vcc
	s_xor_b64 s[12:13], exec, s[12:13]
; %bb.90:
	v_bfe_u32 v3, v2, 20, 1
	s_mov_b32 s14, 0x407ffff
	v_add3_u32 v2, v2, v3, s14
	v_lshrrev_b32_e32 v3, 20, v2
	v_and_b32_e32 v2, 0xff00000, v2
	s_mov_b32 s14, 0x7f00000
	v_mov_b32_e32 v5, 0x7e
	v_cmp_ne_u32_e32 vcc, s14, v2
	v_cndmask_b32_e32 v3, v5, v3, vcc
                                        ; implicit-def: $vgpr2
; %bb.91:
	s_andn2_saveexec_b64 s[12:13], s[12:13]
; %bb.92:
	v_add_f32_e32 v3, 0x46800000, v2
; %bb.93:
	s_or_b64 exec, exec, s[12:13]
                                        ; implicit-def: $vgpr2
.LBB324_94:
	s_andn2_saveexec_b64 s[10:11], s[10:11]
; %bb.95:
	s_mov_b32 s12, 0x7f800000
	v_mov_b32_e32 v3, 0x7e
	v_mov_b32_e32 v5, 0x7f
	v_cmp_lt_u32_e32 vcc, s12, v2
	v_cndmask_b32_e32 v3, v3, v5, vcc
; %bb.96:
	s_or_b64 exec, exec, s[10:11]
	global_store_byte v[0:1], v3, off
.LBB324_97:
	s_mov_b64 s[10:11], 0
.LBB324_98:
	s_andn2_b64 vcc, exec, s[10:11]
	s_cbranch_vccnz .LBB324_108
; %bb.99:
	v_cndmask_b32_e64 v2, 0, 1.0, s[2:3]
	s_mov_b32 s10, 0x47800000
	v_cmp_gt_u32_e32 vcc, s10, v2
                                        ; implicit-def: $vgpr3
	s_and_saveexec_b64 s[10:11], vcc
	s_xor_b64 s[10:11], exec, s[10:11]
	s_cbranch_execz .LBB324_105
; %bb.100:
	s_mov_b32 s12, 0x387fffff
	v_cmp_lt_u32_e32 vcc, s12, v2
                                        ; implicit-def: $vgpr3
	s_and_saveexec_b64 s[12:13], vcc
	s_xor_b64 s[12:13], exec, s[12:13]
; %bb.101:
	v_bfe_u32 v3, v2, 21, 1
	s_mov_b32 s14, 0x80fffff
	v_add3_u32 v2, v2, v3, s14
	v_lshrrev_b32_e32 v3, 21, v2
                                        ; implicit-def: $vgpr2
; %bb.102:
	s_andn2_saveexec_b64 s[12:13], s[12:13]
; %bb.103:
	v_add_f32_e32 v3, 0x43000000, v2
; %bb.104:
	s_or_b64 exec, exec, s[12:13]
                                        ; implicit-def: $vgpr2
.LBB324_105:
	s_andn2_saveexec_b64 s[10:11], s[10:11]
; %bb.106:
	s_mov_b32 s12, 0x7f800000
	v_mov_b32_e32 v3, 0x7c
	v_mov_b32_e32 v5, 0x7f
	v_cmp_lt_u32_e32 vcc, s12, v2
	v_cndmask_b32_e32 v3, v3, v5, vcc
; %bb.107:
	s_or_b64 exec, exec, s[10:11]
	global_store_byte v[0:1], v3, off
.LBB324_108:
	s_mov_b64 s[12:13], 0
	s_mov_b64 s[10:11], -1
.LBB324_109:
	s_andn2_b64 vcc, exec, s[12:13]
	s_cbranch_vccnz .LBB324_117
; %bb.110:
	s_cmp_gt_i32 s17, 14
	s_mov_b64 s[12:13], -1
	s_cbranch_scc0 .LBB324_114
; %bb.111:
	s_cmp_eq_u32 s17, 15
	s_mov_b64 s[6:7], -1
	s_cbranch_scc0 .LBB324_113
; %bb.112:
	v_cndmask_b32_e64 v2, 0, 1.0, s[2:3]
	v_bfe_u32 v3, v2, 16, 1
	s_movk_i32 s6, 0x7fff
	v_add3_u32 v2, v2, v3, s6
	global_store_short_d16_hi v[0:1], v2, off
	s_mov_b64 s[10:11], -1
	s_mov_b64 s[6:7], 0
.LBB324_113:
	s_mov_b64 s[12:13], 0
.LBB324_114:
	s_and_b64 vcc, exec, s[12:13]
	s_cbranch_vccz .LBB324_117
; %bb.115:
	s_cmp_eq_u32 s17, 11
	s_mov_b64 s[6:7], -1
	s_cbranch_scc0 .LBB324_117
; %bb.116:
	v_cndmask_b32_e64 v2, 0, 1, s[2:3]
	s_mov_b64 s[10:11], -1
	s_mov_b64 s[6:7], 0
	global_store_byte v[0:1], v2, off
.LBB324_117:
	s_branch .LBB324_36
.LBB324_118:
	s_and_b32 s12, 0xffff, s16
	s_cmp_lt_i32 s12, 5
	s_mov_b64 s[10:11], -1
	s_cbranch_scc1 .LBB324_139
; %bb.119:
	s_cmp_lt_i32 s12, 8
	s_cbranch_scc1 .LBB324_129
; %bb.120:
	s_cmp_lt_i32 s12, 9
	s_cbranch_scc1 .LBB324_126
; %bb.121:
	s_cmp_gt_i32 s12, 9
	s_cbranch_scc0 .LBB324_123
; %bb.122:
	v_cndmask_b32_e64 v2, 0, 1, s[2:3]
	v_cvt_f64_u32_e32 v[9:10], v2
	v_mov_b32_e32 v11, 0
	v_mov_b32_e32 v12, v11
	s_mov_b64 s[10:11], 0
	global_store_dwordx4 v[0:1], v[9:12], off
.LBB324_123:
	s_andn2_b64 vcc, exec, s[10:11]
	s_cbranch_vccnz .LBB324_125
; %bb.124:
	v_cndmask_b32_e64 v2, 0, 1.0, s[2:3]
	v_mov_b32_e32 v3, 0
	global_store_dwordx2 v[0:1], v[2:3], off
.LBB324_125:
	s_mov_b64 s[10:11], 0
.LBB324_126:
	s_andn2_b64 vcc, exec, s[10:11]
	s_cbranch_vccnz .LBB324_128
; %bb.127:
	v_cndmask_b32_e64 v2, 0, 1.0, s[2:3]
	v_cvt_f16_f32_e32 v2, v2
	global_store_dword v[0:1], v2, off
.LBB324_128:
	s_mov_b64 s[10:11], 0
.LBB324_129:
	s_andn2_b64 vcc, exec, s[10:11]
	s_cbranch_vccnz .LBB324_138
; %bb.130:
	s_cmp_lt_i32 s12, 6
	s_mov_b64 s[10:11], -1
	s_cbranch_scc1 .LBB324_136
; %bb.131:
	s_cmp_gt_i32 s12, 6
	s_cbranch_scc0 .LBB324_133
; %bb.132:
	v_cndmask_b32_e64 v2, 0, 1, s[2:3]
	v_cvt_f64_u32_e32 v[2:3], v2
	s_mov_b64 s[10:11], 0
	global_store_dwordx2 v[0:1], v[2:3], off
.LBB324_133:
	s_andn2_b64 vcc, exec, s[10:11]
	s_cbranch_vccnz .LBB324_135
; %bb.134:
	v_cndmask_b32_e64 v2, 0, 1.0, s[2:3]
	global_store_dword v[0:1], v2, off
.LBB324_135:
	s_mov_b64 s[10:11], 0
.LBB324_136:
	s_andn2_b64 vcc, exec, s[10:11]
	s_cbranch_vccnz .LBB324_138
; %bb.137:
	v_cndmask_b32_e64 v2, 0, 1.0, s[2:3]
	v_cvt_f16_f32_e32 v2, v2
	global_store_short v[0:1], v2, off
.LBB324_138:
	s_mov_b64 s[10:11], 0
.LBB324_139:
	s_andn2_b64 vcc, exec, s[10:11]
	s_cbranch_vccnz .LBB324_155
; %bb.140:
	s_cmp_lt_i32 s12, 2
	s_mov_b64 s[10:11], -1
	s_cbranch_scc1 .LBB324_150
; %bb.141:
	s_cmp_lt_i32 s12, 3
	s_cbranch_scc1 .LBB324_147
; %bb.142:
	s_cmp_gt_i32 s12, 3
	s_cbranch_scc0 .LBB324_144
; %bb.143:
	s_mov_b32 s10, 0
	v_cndmask_b32_e64 v2, 0, 1, s[2:3]
	v_mov_b32_e32 v3, s10
	global_store_dwordx2 v[0:1], v[2:3], off
	s_mov_b64 s[10:11], 0
.LBB324_144:
	s_andn2_b64 vcc, exec, s[10:11]
	s_cbranch_vccnz .LBB324_146
; %bb.145:
	v_cndmask_b32_e64 v2, 0, 1, s[2:3]
	global_store_dword v[0:1], v2, off
.LBB324_146:
	s_mov_b64 s[10:11], 0
.LBB324_147:
	s_andn2_b64 vcc, exec, s[10:11]
	s_cbranch_vccnz .LBB324_149
; %bb.148:
	v_cndmask_b32_e64 v2, 0, 1, s[2:3]
	global_store_short v[0:1], v2, off
.LBB324_149:
	s_mov_b64 s[10:11], 0
.LBB324_150:
	s_andn2_b64 vcc, exec, s[10:11]
	s_cbranch_vccnz .LBB324_155
; %bb.151:
	s_cmp_gt_i32 s12, 0
	s_mov_b64 s[10:11], -1
	s_cbranch_scc0 .LBB324_153
; %bb.152:
	v_cndmask_b32_e64 v2, 0, 1, s[2:3]
	global_store_byte v[0:1], v2, off
	s_mov_b64 s[10:11], 0
.LBB324_153:
	s_andn2_b64 vcc, exec, s[10:11]
	s_cbranch_vccnz .LBB324_155
; %bb.154:
	v_cndmask_b32_e64 v2, 0, 1, s[2:3]
	global_store_byte v[0:1], v2, off
.LBB324_155:
.LBB324_156:
	v_add_u32_e32 v8, 0x80, v8
	s_mov_b64 s[2:3], -1
	s_branch .LBB324_307
.LBB324_157:
	s_mov_b64 s[8:9], -1
                                        ; implicit-def: $vgpr3
.LBB324_158:
	s_mov_b64 s[6:7], 0
.LBB324_159:
	s_and_b64 vcc, exec, s[6:7]
	s_cbranch_vccz .LBB324_165
; %bb.160:
	s_cmp_eq_u32 s12, 29
	s_cbranch_scc0 .LBB324_164
; %bb.161:
	global_load_dwordx2 v[5:6], v[1:2], off
	s_movk_i32 s2, 0xff
	s_waitcnt vmcnt(0)
	v_ffbh_u32_e32 v3, v6
	v_min_u32_e32 v3, 32, v3
	v_lshlrev_b64 v[5:6], v3, v[5:6]
	v_sub_u32_e32 v3, 32, v3
	v_min_u32_e32 v5, 1, v5
	v_or_b32_e32 v5, v6, v5
	v_cvt_f32_u32_e32 v5, v5
	v_ldexp_f32 v6, v5, v3
	v_lshrrev_b32_e32 v5, 23, v6
	v_cmp_ne_u32_e32 vcc, s2, v5
	v_mov_b32_e32 v3, 0xff
	s_and_saveexec_b64 s[6:7], vcc
; %bb.162:
	v_and_b32_e32 v3, 0x400000, v6
	s_mov_b32 s2, 0x3fffff
	v_cmp_ne_u32_e32 vcc, 0, v3
	v_and_or_b32 v3, v6, s2, v5
	v_cmp_ne_u32_e64 s[2:3], 0, v3
	s_and_b64 s[2:3], vcc, s[2:3]
	v_cndmask_b32_e64 v3, 0, 1, s[2:3]
	v_add_u32_e32 v3, v5, v3
; %bb.163:
	s_or_b64 exec, exec, s[6:7]
	s_mov_b64 s[2:3], -1
	s_mov_b64 s[8:9], 0
	s_branch .LBB324_165
.LBB324_164:
	s_mov_b64 s[8:9], -1
                                        ; implicit-def: $vgpr3
.LBB324_165:
	s_mov_b64 s[6:7], 0
.LBB324_166:
	s_and_b64 vcc, exec, s[6:7]
	s_cbranch_vccz .LBB324_190
; %bb.167:
	s_cmp_lt_i32 s12, 27
	s_cbranch_scc1 .LBB324_172
; %bb.168:
	s_cmp_gt_i32 s12, 27
	s_cbranch_scc0 .LBB324_173
; %bb.169:
	global_load_dword v3, v[1:2], off
	s_movk_i32 s2, 0xff
	s_waitcnt vmcnt(0)
	v_cvt_f32_u32_e32 v6, v3
	v_mov_b32_e32 v3, 0xff
	v_lshrrev_b32_e32 v5, 23, v6
	v_cmp_ne_u32_e32 vcc, s2, v5
	s_and_saveexec_b64 s[6:7], vcc
; %bb.170:
	v_and_b32_e32 v3, 0x400000, v6
	s_mov_b32 s2, 0x3fffff
	v_cmp_ne_u32_e32 vcc, 0, v3
	v_and_or_b32 v3, v6, s2, v5
	v_cmp_ne_u32_e64 s[2:3], 0, v3
	s_and_b64 s[2:3], vcc, s[2:3]
	v_cndmask_b32_e64 v3, 0, 1, s[2:3]
	v_add_u32_e32 v3, v5, v3
; %bb.171:
	s_or_b64 exec, exec, s[6:7]
	s_mov_b64 s[2:3], 0
	s_branch .LBB324_174
.LBB324_172:
	s_mov_b64 s[2:3], -1
                                        ; implicit-def: $vgpr3
	s_branch .LBB324_179
.LBB324_173:
	s_mov_b64 s[2:3], -1
                                        ; implicit-def: $vgpr3
.LBB324_174:
	s_andn2_b64 vcc, exec, s[2:3]
	s_cbranch_vccnz .LBB324_178
; %bb.175:
	global_load_ushort v3, v[1:2], off
	s_movk_i32 s2, 0xff
	s_waitcnt vmcnt(0)
	v_cvt_f32_u32_e32 v6, v3
	v_mov_b32_e32 v3, 0xff
	v_lshrrev_b32_e32 v5, 23, v6
	v_cmp_ne_u32_e32 vcc, s2, v5
	s_and_saveexec_b64 s[6:7], vcc
; %bb.176:
	v_and_b32_e32 v3, 0x400000, v6
	s_mov_b32 s2, 0x3fffff
	v_cmp_ne_u32_e32 vcc, 0, v3
	v_and_or_b32 v3, v6, s2, v5
	v_cmp_ne_u32_e64 s[2:3], 0, v3
	s_and_b64 s[2:3], vcc, s[2:3]
	v_cndmask_b32_e64 v3, 0, 1, s[2:3]
	v_add_u32_e32 v3, v5, v3
; %bb.177:
	s_or_b64 exec, exec, s[6:7]
.LBB324_178:
	s_mov_b64 s[2:3], 0
.LBB324_179:
	s_andn2_b64 vcc, exec, s[2:3]
	s_cbranch_vccnz .LBB324_189
; %bb.180:
	global_load_ubyte v3, v[1:2], off
	s_movk_i32 s2, 0x7f
	s_waitcnt vmcnt(0)
	v_cmp_lt_i16_e32 vcc, s2, v3
	s_mov_b64 s[2:3], 0
	s_and_saveexec_b64 s[6:7], vcc
	s_xor_b64 s[6:7], exec, s[6:7]
	s_cbranch_execz .LBB324_204
; %bb.181:
	s_movk_i32 s2, 0x80
	v_cmp_eq_u16_e32 vcc, s2, v3
	s_mov_b64 s[2:3], -1
	s_and_saveexec_b64 s[10:11], vcc
; %bb.182:
	s_xor_b64 s[2:3], exec, -1
; %bb.183:
	s_or_b64 exec, exec, s[10:11]
	s_and_b64 s[2:3], s[2:3], exec
	s_or_saveexec_b64 s[6:7], s[6:7]
	v_mov_b32_e32 v5, 0x7f800001
	s_xor_b64 exec, exec, s[6:7]
	s_cbranch_execnz .LBB324_205
.LBB324_184:
	s_or_b64 exec, exec, s[6:7]
	s_and_saveexec_b64 s[6:7], s[2:3]
	s_cbranch_execz .LBB324_186
.LBB324_185:
	v_and_b32_e32 v3, 0xffff, v3
	v_and_b32_e32 v5, 7, v3
	v_ffbh_u32_e32 v7, v5
	v_min_u32_e32 v7, 32, v7
	v_subrev_u32_e32 v9, 28, v7
	v_bfe_u32 v6, v3, 3, 4
	v_lshlrev_b32_e32 v3, v9, v3
	v_and_b32_e32 v3, 7, v3
	v_cmp_eq_u32_e32 vcc, 0, v6
	v_sub_u32_e32 v7, 29, v7
	v_cndmask_b32_e32 v3, v5, v3, vcc
	v_cndmask_b32_e32 v6, v6, v7, vcc
	v_lshlrev_b32_e32 v3, 20, v3
	v_lshl_or_b32 v3, v6, 23, v3
	v_add_u32_e32 v5, 0x3b800000, v3
.LBB324_186:
	s_or_b64 exec, exec, s[6:7]
	v_lshrrev_b32_e32 v6, 23, v5
	s_movk_i32 s2, 0xff
	v_cmp_ne_u32_e32 vcc, s2, v6
	v_mov_b32_e32 v3, 0xff
	s_and_saveexec_b64 s[6:7], vcc
; %bb.187:
	v_and_b32_e32 v3, 0x400000, v5
	s_mov_b32 s2, 0x3fffff
	v_cmp_ne_u32_e32 vcc, 0, v3
	v_and_or_b32 v3, v5, s2, v6
	v_cmp_ne_u32_e64 s[2:3], 0, v3
	s_and_b64 s[2:3], vcc, s[2:3]
	v_cndmask_b32_e64 v3, 0, 1, s[2:3]
	v_add_u32_e32 v3, v6, v3
; %bb.188:
	s_or_b64 exec, exec, s[6:7]
.LBB324_189:
	s_mov_b64 s[2:3], -1
.LBB324_190:
	s_branch .LBB324_235
.LBB324_191:
	s_cmp_gt_i32 s12, 22
	s_cbranch_scc0 .LBB324_203
; %bb.192:
	s_cmp_lt_i32 s12, 24
	s_cbranch_scc1 .LBB324_206
; %bb.193:
	s_cmp_gt_i32 s12, 24
	s_cbranch_scc0 .LBB324_207
; %bb.194:
	global_load_ubyte v3, v[1:2], off
	s_movk_i32 s2, 0x7f
	s_waitcnt vmcnt(0)
	v_cmp_lt_i16_e32 vcc, s2, v3
	s_mov_b64 s[2:3], 0
	s_and_saveexec_b64 s[6:7], vcc
	s_xor_b64 s[6:7], exec, s[6:7]
	s_cbranch_execz .LBB324_225
; %bb.195:
	s_movk_i32 s2, 0x80
	v_cmp_eq_u16_e32 vcc, s2, v3
	s_mov_b64 s[2:3], -1
	s_and_saveexec_b64 s[10:11], vcc
; %bb.196:
	s_xor_b64 s[2:3], exec, -1
; %bb.197:
	s_or_b64 exec, exec, s[10:11]
	s_and_b64 s[2:3], s[2:3], exec
	s_or_saveexec_b64 s[6:7], s[6:7]
	v_mov_b32_e32 v5, 0x7f800001
	s_xor_b64 exec, exec, s[6:7]
	s_cbranch_execnz .LBB324_226
.LBB324_198:
	s_or_b64 exec, exec, s[6:7]
	s_and_saveexec_b64 s[6:7], s[2:3]
	s_cbranch_execz .LBB324_200
.LBB324_199:
	v_and_b32_e32 v3, 0xffff, v3
	v_and_b32_e32 v5, 3, v3
	v_ffbh_u32_e32 v7, v5
	v_min_u32_e32 v7, 32, v7
	v_subrev_u32_e32 v9, 29, v7
	v_bfe_u32 v6, v3, 2, 5
	v_lshlrev_b32_e32 v3, v9, v3
	v_and_b32_e32 v3, 3, v3
	v_cmp_eq_u32_e32 vcc, 0, v6
	v_sub_u32_e32 v7, 30, v7
	v_cndmask_b32_e32 v3, v5, v3, vcc
	v_cndmask_b32_e32 v6, v6, v7, vcc
	v_lshlrev_b32_e32 v3, 21, v3
	v_lshl_or_b32 v3, v6, 23, v3
	v_add_u32_e32 v5, 0x37800000, v3
.LBB324_200:
	s_or_b64 exec, exec, s[6:7]
	v_lshrrev_b32_e32 v6, 23, v5
	s_movk_i32 s2, 0xff
	v_cmp_ne_u32_e32 vcc, s2, v6
	v_mov_b32_e32 v3, 0xff
	s_and_saveexec_b64 s[6:7], vcc
; %bb.201:
	v_and_b32_e32 v3, 0x400000, v5
	s_mov_b32 s2, 0x3fffff
	v_cmp_ne_u32_e32 vcc, 0, v3
	v_and_or_b32 v3, v5, s2, v6
	v_cmp_ne_u32_e64 s[2:3], 0, v3
	s_and_b64 s[2:3], vcc, s[2:3]
	v_cndmask_b32_e64 v3, 0, 1, s[2:3]
	v_add_u32_e32 v3, v6, v3
; %bb.202:
	s_or_b64 exec, exec, s[6:7]
	s_mov_b64 s[2:3], 0
	s_branch .LBB324_208
.LBB324_203:
	s_mov_b64 s[6:7], -1
                                        ; implicit-def: $vgpr3
	s_branch .LBB324_218
.LBB324_204:
	s_or_saveexec_b64 s[6:7], s[6:7]
	v_mov_b32_e32 v5, 0x7f800001
	s_xor_b64 exec, exec, s[6:7]
	s_cbranch_execz .LBB324_184
.LBB324_205:
	v_cmp_ne_u16_e32 vcc, 0, v3
	s_andn2_b64 s[2:3], s[2:3], exec
	s_and_b64 s[10:11], vcc, exec
	v_and_b32_e32 v5, 0xffff, v3
	s_or_b64 s[2:3], s[2:3], s[10:11]
	s_or_b64 exec, exec, s[6:7]
	s_and_saveexec_b64 s[6:7], s[2:3]
	s_cbranch_execnz .LBB324_185
	s_branch .LBB324_186
.LBB324_206:
	s_mov_b64 s[2:3], -1
                                        ; implicit-def: $vgpr3
	s_branch .LBB324_213
.LBB324_207:
	s_mov_b64 s[2:3], -1
                                        ; implicit-def: $vgpr3
.LBB324_208:
	s_and_b64 vcc, exec, s[2:3]
	s_cbranch_vccz .LBB324_212
; %bb.209:
	global_load_ubyte v3, v[1:2], off
	s_mov_b32 s2, 0x7f800000
	s_movk_i32 s3, 0xff
	s_waitcnt vmcnt(0)
	v_lshlrev_b32_e32 v3, 24, v3
	v_and_b32_e32 v3, 0x7f000000, v3
	v_ffbh_u32_e32 v5, v3
	v_min_u32_e32 v5, 32, v5
	v_sub_u32_e64 v5, v5, 4 clamp
	v_lshlrev_b32_e32 v7, v5, v3
	v_lshlrev_b32_e32 v5, 23, v5
	v_lshrrev_b32_e32 v7, 4, v7
	v_add_u32_e32 v6, 0x1000000, v3
	v_sub_u32_e32 v5, v7, v5
	v_ashrrev_i32_e32 v6, 8, v6
	v_add_u32_e32 v5, 0x3c000000, v5
	v_and_or_b32 v5, v6, s2, v5
	v_cmp_ne_u32_e32 vcc, 0, v3
	v_cndmask_b32_e32 v6, 0, v5, vcc
	v_lshrrev_b32_e32 v5, 23, v6
	v_cmp_ne_u32_e32 vcc, s3, v5
	v_mov_b32_e32 v3, 0xff
	s_and_saveexec_b64 s[6:7], vcc
; %bb.210:
	v_and_b32_e32 v3, 0x400000, v6
	s_mov_b32 s2, 0x3fffff
	v_cmp_ne_u32_e32 vcc, 0, v3
	v_and_or_b32 v3, v6, s2, v5
	v_cmp_ne_u32_e64 s[2:3], 0, v3
	s_and_b64 s[2:3], vcc, s[2:3]
	v_cndmask_b32_e64 v3, 0, 1, s[2:3]
	v_add_u32_e32 v3, v5, v3
; %bb.211:
	s_or_b64 exec, exec, s[6:7]
.LBB324_212:
	s_mov_b64 s[2:3], 0
.LBB324_213:
	s_andn2_b64 vcc, exec, s[2:3]
	s_cbranch_vccnz .LBB324_217
; %bb.214:
	global_load_ubyte v3, v[1:2], off
	s_movk_i32 s2, 0x7f00
	s_brev_b32 s3, 16
	s_movk_i32 s6, 0xff
	s_waitcnt vmcnt(0)
	v_lshlrev_b32_e32 v5, 8, v3
	v_lshlrev_b32_e32 v3, 25, v3
	v_lshrrev_b32_e32 v6, 4, v3
	v_and_or_b32 v5, v5, s2, 0.5
	v_or_b32_e32 v6, 0x70000000, v6
	v_add_f32_e32 v5, -0.5, v5
	v_mul_f32_e32 v6, 0x7800000, v6
	v_cmp_gt_u32_e32 vcc, s3, v3
	v_cndmask_b32_e32 v5, v6, v5, vcc
	v_bfe_u32 v6, v5, 23, 8
	v_cmp_ne_u32_e32 vcc, s6, v6
	v_mov_b32_e32 v3, 0xff
	s_and_saveexec_b64 s[6:7], vcc
; %bb.215:
	s_mov_b32 s2, 0x3fffff
	v_lshrrev_b32_e32 v3, 23, v5
	v_and_b32_e32 v7, 0x400000, v5
	v_and_or_b32 v5, v5, s2, v6
	v_cmp_ne_u32_e32 vcc, 0, v7
	v_cmp_ne_u32_e64 s[2:3], 0, v5
	s_and_b64 s[2:3], vcc, s[2:3]
	v_cndmask_b32_e64 v5, 0, 1, s[2:3]
	v_add_u32_e32 v3, v3, v5
; %bb.216:
	s_or_b64 exec, exec, s[6:7]
.LBB324_217:
	s_mov_b64 s[6:7], 0
	s_mov_b64 s[2:3], -1
.LBB324_218:
	s_andn2_b64 vcc, exec, s[6:7]
	s_cbranch_vccnz .LBB324_235
; %bb.219:
	s_cmp_gt_i32 s12, 14
	s_cbranch_scc0 .LBB324_224
; %bb.220:
	s_cmp_eq_u32 s12, 15
	s_cbranch_scc0 .LBB324_227
; %bb.221:
	global_load_ushort v5, v[1:2], off
	s_movk_i32 s2, 0xff
	s_waitcnt vmcnt(1)
	v_mov_b32_e32 v3, 0xff
	s_waitcnt vmcnt(0)
	v_bfe_u32 v6, v5, 7, 8
	v_cmp_ne_u32_e32 vcc, s2, v6
	s_and_saveexec_b64 s[6:7], vcc
	s_cbranch_execz .LBB324_223
; %bb.222:
	v_lshrrev_b32_e32 v3, 7, v5
	v_lshlrev_b32_e32 v7, 16, v5
	v_and_b32_e32 v5, 64, v5
	s_mov_b32 s2, 0x3f0000
	v_cmp_ne_u32_e32 vcc, 0, v5
	v_and_or_b32 v5, v7, s2, v6
	v_cmp_ne_u32_e64 s[2:3], 0, v5
	s_and_b64 s[2:3], vcc, s[2:3]
	v_cndmask_b32_e64 v5, 0, 1, s[2:3]
	v_add_u32_e32 v3, v3, v5
.LBB324_223:
	s_or_b64 exec, exec, s[6:7]
	s_mov_b64 s[2:3], -1
	s_mov_b64 s[8:9], 0
	s_branch .LBB324_228
.LBB324_224:
	s_mov_b64 s[6:7], -1
                                        ; implicit-def: $vgpr3
	s_branch .LBB324_229
.LBB324_225:
	s_or_saveexec_b64 s[6:7], s[6:7]
	v_mov_b32_e32 v5, 0x7f800001
	s_xor_b64 exec, exec, s[6:7]
	s_cbranch_execz .LBB324_198
.LBB324_226:
	v_cmp_ne_u16_e32 vcc, 0, v3
	s_andn2_b64 s[2:3], s[2:3], exec
	s_and_b64 s[10:11], vcc, exec
	v_and_b32_e32 v5, 0xffff, v3
	s_or_b64 s[2:3], s[2:3], s[10:11]
	s_or_b64 exec, exec, s[6:7]
	s_and_saveexec_b64 s[6:7], s[2:3]
	s_cbranch_execnz .LBB324_199
	s_branch .LBB324_200
.LBB324_227:
	s_mov_b64 s[8:9], -1
                                        ; implicit-def: $vgpr3
.LBB324_228:
	s_mov_b64 s[6:7], 0
.LBB324_229:
	s_and_b64 vcc, exec, s[6:7]
	s_cbranch_vccz .LBB324_235
; %bb.230:
	s_cmp_eq_u32 s12, 11
	s_cbranch_scc0 .LBB324_234
; %bb.231:
	global_load_ubyte v3, v[1:2], off
	s_movk_i32 s2, 0xff
	s_waitcnt vmcnt(0)
	v_cmp_ne_u16_e32 vcc, 0, v3
	v_cndmask_b32_e64 v6, 0, 1.0, vcc
	v_lshrrev_b32_e32 v5, 23, v6
	v_cmp_ne_u32_e32 vcc, s2, v5
	v_mov_b32_e32 v3, 0xff
	s_and_saveexec_b64 s[6:7], vcc
; %bb.232:
	v_and_b32_e32 v3, 0x400000, v6
	s_mov_b32 s2, 0x3fffff
	v_cmp_ne_u32_e32 vcc, 0, v3
	v_and_or_b32 v3, v6, s2, v5
	v_cmp_ne_u32_e64 s[2:3], 0, v3
	s_and_b64 s[2:3], vcc, s[2:3]
	v_cndmask_b32_e64 v3, 0, 1, s[2:3]
	v_add_u32_e32 v3, v5, v3
; %bb.233:
	s_or_b64 exec, exec, s[6:7]
	s_mov_b64 s[2:3], -1
	s_mov_b64 s[8:9], 0
	s_branch .LBB324_235
.LBB324_234:
	s_mov_b64 s[8:9], -1
                                        ; implicit-def: $vgpr3
.LBB324_235:
	s_branch .LBB324_26
.LBB324_236:
	s_cmp_lt_i32 s12, 5
	s_cbranch_scc1 .LBB324_243
; %bb.237:
	s_cmp_lt_i32 s12, 8
	s_cbranch_scc1 .LBB324_244
; %bb.238:
	;; [unrolled: 3-line block ×3, first 2 shown]
	s_cmp_gt_i32 s12, 9
	s_cbranch_scc0 .LBB324_246
; %bb.240:
	global_load_dwordx2 v[5:6], v[1:2], off
	s_movk_i32 s2, 0xff
	s_waitcnt vmcnt(1)
	v_mov_b32_e32 v3, 0xff
	s_waitcnt vmcnt(0)
	v_cvt_f32_f64_e32 v5, v[5:6]
	v_bfe_u32 v6, v5, 23, 8
	v_cmp_ne_u32_e32 vcc, s2, v6
	s_and_saveexec_b64 s[6:7], vcc
; %bb.241:
	s_mov_b32 s2, 0x3fffff
	v_lshrrev_b32_e32 v3, 23, v5
	v_and_b32_e32 v7, 0x400000, v5
	v_and_or_b32 v5, v5, s2, v6
	v_cmp_ne_u32_e32 vcc, 0, v7
	v_cmp_ne_u32_e64 s[2:3], 0, v5
	s_and_b64 s[2:3], vcc, s[2:3]
	v_cndmask_b32_e64 v5, 0, 1, s[2:3]
	v_add_u32_e32 v3, v3, v5
; %bb.242:
	s_or_b64 exec, exec, s[6:7]
	s_mov_b64 s[2:3], 0
	s_branch .LBB324_247
.LBB324_243:
                                        ; implicit-def: $vgpr3
	s_branch .LBB324_275
.LBB324_244:
	s_mov_b64 s[2:3], -1
                                        ; implicit-def: $vgpr3
	s_branch .LBB324_257
.LBB324_245:
	s_mov_b64 s[2:3], -1
                                        ; implicit-def: $vgpr3
	s_branch .LBB324_252
.LBB324_246:
	s_mov_b64 s[2:3], -1
                                        ; implicit-def: $vgpr3
.LBB324_247:
	s_andn2_b64 vcc, exec, s[2:3]
	s_cbranch_vccnz .LBB324_251
; %bb.248:
	global_load_dword v5, v[1:2], off
	s_movk_i32 s2, 0xff
	s_waitcnt vmcnt(1)
	v_mov_b32_e32 v3, 0xff
	s_waitcnt vmcnt(0)
	v_bfe_u32 v6, v5, 23, 8
	v_cmp_ne_u32_e32 vcc, s2, v6
	s_and_saveexec_b64 s[6:7], vcc
; %bb.249:
	s_mov_b32 s2, 0x3fffff
	v_lshrrev_b32_e32 v3, 23, v5
	v_and_b32_e32 v7, 0x400000, v5
	v_and_or_b32 v5, v5, s2, v6
	v_cmp_ne_u32_e32 vcc, 0, v7
	v_cmp_ne_u32_e64 s[2:3], 0, v5
	s_and_b64 s[2:3], vcc, s[2:3]
	v_cndmask_b32_e64 v5, 0, 1, s[2:3]
	v_add_u32_e32 v3, v3, v5
; %bb.250:
	s_or_b64 exec, exec, s[6:7]
.LBB324_251:
	s_mov_b64 s[2:3], 0
.LBB324_252:
	s_andn2_b64 vcc, exec, s[2:3]
	s_cbranch_vccnz .LBB324_256
; %bb.253:
	global_load_dword v3, v[1:2], off
	s_movk_i32 s2, 0xff
	s_waitcnt vmcnt(0)
	v_cvt_f32_f16_e32 v5, v3
	v_mov_b32_e32 v3, 0xff
	v_bfe_u32 v6, v5, 23, 8
	v_cmp_ne_u32_e32 vcc, s2, v6
	s_and_saveexec_b64 s[6:7], vcc
; %bb.254:
	s_mov_b32 s2, 0x3fffff
	v_lshrrev_b32_e32 v3, 23, v5
	v_and_b32_e32 v7, 0x400000, v5
	v_and_or_b32 v5, v5, s2, v6
	v_cmp_ne_u32_e32 vcc, 0, v7
	v_cmp_ne_u32_e64 s[2:3], 0, v5
	s_and_b64 s[2:3], vcc, s[2:3]
	v_cndmask_b32_e64 v5, 0, 1, s[2:3]
	v_add_u32_e32 v3, v3, v5
; %bb.255:
	s_or_b64 exec, exec, s[6:7]
.LBB324_256:
	s_mov_b64 s[2:3], 0
.LBB324_257:
	s_andn2_b64 vcc, exec, s[2:3]
	s_cbranch_vccnz .LBB324_274
; %bb.258:
	s_cmp_lt_i32 s12, 6
	s_cbranch_scc1 .LBB324_263
; %bb.259:
	s_cmp_gt_i32 s12, 6
	s_cbranch_scc0 .LBB324_264
; %bb.260:
	global_load_dwordx2 v[5:6], v[1:2], off
	s_movk_i32 s2, 0xff
	s_waitcnt vmcnt(1)
	v_mov_b32_e32 v3, 0xff
	s_waitcnt vmcnt(0)
	v_cvt_f32_f64_e32 v5, v[5:6]
	v_bfe_u32 v6, v5, 23, 8
	v_cmp_ne_u32_e32 vcc, s2, v6
	s_and_saveexec_b64 s[6:7], vcc
; %bb.261:
	s_mov_b32 s2, 0x3fffff
	v_lshrrev_b32_e32 v3, 23, v5
	v_and_b32_e32 v7, 0x400000, v5
	v_and_or_b32 v5, v5, s2, v6
	v_cmp_ne_u32_e32 vcc, 0, v7
	v_cmp_ne_u32_e64 s[2:3], 0, v5
	s_and_b64 s[2:3], vcc, s[2:3]
	v_cndmask_b32_e64 v5, 0, 1, s[2:3]
	v_add_u32_e32 v3, v3, v5
; %bb.262:
	s_or_b64 exec, exec, s[6:7]
	s_mov_b64 s[2:3], 0
	s_branch .LBB324_265
.LBB324_263:
	s_mov_b64 s[2:3], -1
                                        ; implicit-def: $vgpr3
	s_branch .LBB324_270
.LBB324_264:
	s_mov_b64 s[2:3], -1
                                        ; implicit-def: $vgpr3
.LBB324_265:
	s_andn2_b64 vcc, exec, s[2:3]
	s_cbranch_vccnz .LBB324_269
; %bb.266:
	global_load_dword v5, v[1:2], off
	s_movk_i32 s2, 0xff
	s_waitcnt vmcnt(1)
	v_mov_b32_e32 v3, 0xff
	s_waitcnt vmcnt(0)
	v_bfe_u32 v6, v5, 23, 8
	v_cmp_ne_u32_e32 vcc, s2, v6
	s_and_saveexec_b64 s[6:7], vcc
; %bb.267:
	s_mov_b32 s2, 0x3fffff
	v_lshrrev_b32_e32 v3, 23, v5
	v_and_b32_e32 v7, 0x400000, v5
	v_and_or_b32 v5, v5, s2, v6
	v_cmp_ne_u32_e32 vcc, 0, v7
	v_cmp_ne_u32_e64 s[2:3], 0, v5
	s_and_b64 s[2:3], vcc, s[2:3]
	v_cndmask_b32_e64 v5, 0, 1, s[2:3]
	v_add_u32_e32 v3, v3, v5
; %bb.268:
	s_or_b64 exec, exec, s[6:7]
.LBB324_269:
	s_mov_b64 s[2:3], 0
.LBB324_270:
	s_andn2_b64 vcc, exec, s[2:3]
	s_cbranch_vccnz .LBB324_274
; %bb.271:
	global_load_ushort v3, v[1:2], off
	s_movk_i32 s2, 0xff
	s_waitcnt vmcnt(0)
	v_cvt_f32_f16_e32 v5, v3
	v_mov_b32_e32 v3, 0xff
	v_bfe_u32 v6, v5, 23, 8
	v_cmp_ne_u32_e32 vcc, s2, v6
	s_and_saveexec_b64 s[6:7], vcc
; %bb.272:
	s_mov_b32 s2, 0x3fffff
	v_lshrrev_b32_e32 v3, 23, v5
	v_and_b32_e32 v7, 0x400000, v5
	v_and_or_b32 v5, v5, s2, v6
	v_cmp_ne_u32_e32 vcc, 0, v7
	v_cmp_ne_u32_e64 s[2:3], 0, v5
	s_and_b64 s[2:3], vcc, s[2:3]
	v_cndmask_b32_e64 v5, 0, 1, s[2:3]
	v_add_u32_e32 v3, v3, v5
; %bb.273:
	s_or_b64 exec, exec, s[6:7]
.LBB324_274:
	s_cbranch_execnz .LBB324_304
.LBB324_275:
	s_cmp_lt_i32 s12, 2
	s_cbranch_scc1 .LBB324_281
; %bb.276:
	s_cmp_lt_i32 s12, 3
	s_cbranch_scc1 .LBB324_282
; %bb.277:
	s_cmp_gt_i32 s12, 3
	s_cbranch_scc0 .LBB324_283
; %bb.278:
	global_load_dwordx2 v[5:6], v[1:2], off
	s_movk_i32 s2, 0xff
	s_waitcnt vmcnt(0)
	v_xor_b32_e32 v7, v5, v6
	v_ffbh_i32_e32 v3, v6
	v_ashrrev_i32_e32 v7, 31, v7
	v_add_u32_e32 v3, -1, v3
	v_add_u32_e32 v7, 32, v7
	v_min_u32_e32 v3, v3, v7
	v_lshlrev_b64 v[5:6], v3, v[5:6]
	v_sub_u32_e32 v3, 32, v3
	v_min_u32_e32 v5, 1, v5
	v_or_b32_e32 v5, v6, v5
	v_cvt_f32_i32_e32 v5, v5
	v_ldexp_f32 v5, v5, v3
	v_bfe_u32 v6, v5, 23, 8
	v_cmp_ne_u32_e32 vcc, s2, v6
	v_mov_b32_e32 v3, 0xff
	s_and_saveexec_b64 s[6:7], vcc
; %bb.279:
	s_mov_b32 s2, 0x3fffff
	v_lshrrev_b32_e32 v3, 23, v5
	v_and_b32_e32 v7, 0x400000, v5
	v_and_or_b32 v5, v5, s2, v6
	v_cmp_ne_u32_e32 vcc, 0, v7
	v_cmp_ne_u32_e64 s[2:3], 0, v5
	s_and_b64 s[2:3], vcc, s[2:3]
	v_cndmask_b32_e64 v5, 0, 1, s[2:3]
	v_add_u32_e32 v3, v3, v5
; %bb.280:
	s_or_b64 exec, exec, s[6:7]
	s_mov_b64 s[2:3], 0
	s_branch .LBB324_284
.LBB324_281:
	s_mov_b64 s[2:3], -1
                                        ; implicit-def: $vgpr3
	s_branch .LBB324_294
.LBB324_282:
	s_mov_b64 s[2:3], -1
                                        ; implicit-def: $vgpr3
	s_branch .LBB324_289
.LBB324_283:
	s_mov_b64 s[2:3], -1
                                        ; implicit-def: $vgpr3
.LBB324_284:
	s_andn2_b64 vcc, exec, s[2:3]
	s_cbranch_vccnz .LBB324_288
; %bb.285:
	global_load_dword v3, v[1:2], off
	s_movk_i32 s2, 0xff
	s_waitcnt vmcnt(0)
	v_cvt_f32_i32_e32 v5, v3
	v_mov_b32_e32 v3, 0xff
	v_bfe_u32 v6, v5, 23, 8
	v_cmp_ne_u32_e32 vcc, s2, v6
	s_and_saveexec_b64 s[6:7], vcc
; %bb.286:
	s_mov_b32 s2, 0x3fffff
	v_lshrrev_b32_e32 v3, 23, v5
	v_and_b32_e32 v7, 0x400000, v5
	v_and_or_b32 v5, v5, s2, v6
	v_cmp_ne_u32_e32 vcc, 0, v7
	v_cmp_ne_u32_e64 s[2:3], 0, v5
	s_and_b64 s[2:3], vcc, s[2:3]
	v_cndmask_b32_e64 v5, 0, 1, s[2:3]
	v_add_u32_e32 v3, v3, v5
; %bb.287:
	s_or_b64 exec, exec, s[6:7]
.LBB324_288:
	s_mov_b64 s[2:3], 0
.LBB324_289:
	s_andn2_b64 vcc, exec, s[2:3]
	s_cbranch_vccnz .LBB324_293
; %bb.290:
	global_load_sshort v3, v[1:2], off
	s_movk_i32 s2, 0xff
	s_waitcnt vmcnt(0)
	v_cvt_f32_i32_e32 v5, v3
	v_mov_b32_e32 v3, 0xff
	v_bfe_u32 v6, v5, 23, 8
	v_cmp_ne_u32_e32 vcc, s2, v6
	s_and_saveexec_b64 s[6:7], vcc
; %bb.291:
	s_mov_b32 s2, 0x3fffff
	v_lshrrev_b32_e32 v3, 23, v5
	v_and_b32_e32 v7, 0x400000, v5
	v_and_or_b32 v5, v5, s2, v6
	v_cmp_ne_u32_e32 vcc, 0, v7
	v_cmp_ne_u32_e64 s[2:3], 0, v5
	s_and_b64 s[2:3], vcc, s[2:3]
	v_cndmask_b32_e64 v5, 0, 1, s[2:3]
	v_add_u32_e32 v3, v3, v5
; %bb.292:
	s_or_b64 exec, exec, s[6:7]
.LBB324_293:
	s_mov_b64 s[2:3], 0
.LBB324_294:
	s_andn2_b64 vcc, exec, s[2:3]
	s_cbranch_vccnz .LBB324_304
; %bb.295:
	s_cmp_gt_i32 s12, 0
	s_cbranch_scc0 .LBB324_299
; %bb.296:
	global_load_sbyte v3, v[1:2], off
	s_movk_i32 s2, 0xff
	s_waitcnt vmcnt(0)
	v_cvt_f32_i32_e32 v5, v3
	v_mov_b32_e32 v3, 0xff
	v_bfe_u32 v6, v5, 23, 8
	v_cmp_ne_u32_e32 vcc, s2, v6
	s_and_saveexec_b64 s[6:7], vcc
; %bb.297:
	s_mov_b32 s2, 0x3fffff
	v_lshrrev_b32_e32 v3, 23, v5
	v_and_b32_e32 v7, 0x400000, v5
	v_and_or_b32 v5, v5, s2, v6
	v_cmp_ne_u32_e32 vcc, 0, v7
	v_cmp_ne_u32_e64 s[2:3], 0, v5
	s_and_b64 s[2:3], vcc, s[2:3]
	v_cndmask_b32_e64 v5, 0, 1, s[2:3]
	v_add_u32_e32 v3, v3, v5
; %bb.298:
	s_or_b64 exec, exec, s[6:7]
	s_mov_b64 s[2:3], 0
	s_branch .LBB324_300
.LBB324_299:
	s_mov_b64 s[2:3], -1
                                        ; implicit-def: $vgpr3
.LBB324_300:
	s_andn2_b64 vcc, exec, s[2:3]
	s_cbranch_vccnz .LBB324_304
; %bb.301:
	global_load_ubyte v1, v[1:2], off
	s_movk_i32 s2, 0xff
	s_waitcnt vmcnt(1)
	v_mov_b32_e32 v3, 0xff
	s_waitcnt vmcnt(0)
	v_cvt_f32_ubyte0_e32 v2, v1
	v_lshrrev_b32_e32 v1, 23, v2
	v_cmp_ne_u32_e32 vcc, s2, v1
	s_and_saveexec_b64 s[6:7], vcc
; %bb.302:
	s_mov_b32 s2, 0x3fffff
	v_and_b32_e32 v3, 0x400000, v2
	v_and_or_b32 v2, v2, s2, v1
	v_cmp_ne_u32_e32 vcc, 0, v3
	v_cmp_ne_u32_e64 s[2:3], 0, v2
	s_and_b64 s[2:3], vcc, s[2:3]
	v_cndmask_b32_e64 v2, 0, 1, s[2:3]
	v_add_u32_e32 v3, v1, v2
; %bb.303:
	s_or_b64 exec, exec, s[6:7]
.LBB324_304:
	s_branch .LBB324_27
.LBB324_305:
	s_mov_b64 s[6:7], 0
.LBB324_306:
	s_mov_b64 s[2:3], 0
                                        ; implicit-def: $vgpr8
.LBB324_307:
	s_and_b64 s[58:59], s[6:7], exec
	s_and_b64 s[60:61], s[8:9], exec
	s_orn2_b64 s[2:3], s[2:3], exec
.LBB324_308:
	s_or_b64 exec, exec, s[62:63]
	s_mov_b64 s[12:13], 0
	s_mov_b64 s[8:9], 0
                                        ; implicit-def: $vgpr1_vgpr2
                                        ; implicit-def: $vgpr0
                                        ; implicit-def: $vgpr3
	s_and_saveexec_b64 s[62:63], s[2:3]
	s_cbranch_execz .LBB324_315
; %bb.309:
	v_cmp_gt_i32_e32 vcc, s74, v8
	s_mov_b64 s[6:7], -1
	s_mov_b64 s[64:65], s[60:61]
	s_mov_b64 s[66:67], s[58:59]
	s_and_saveexec_b64 s[68:69], vcc
	s_cbranch_execz .LBB324_628
; %bb.310:
	s_andn2_b64 vcc, exec, s[46:47]
	s_cbranch_vccnz .LBB324_320
; %bb.311:
	s_andn2_b64 vcc, exec, s[56:57]
	s_cbranch_vccnz .LBB324_321
; %bb.312:
	s_add_i32 s65, s79, 1
	s_cmp_eq_u32 s76, 2
	s_cbranch_scc1 .LBB324_322
; %bb.313:
	s_and_b32 s64, s65, 28
	v_mov_b32_e32 v2, 0
	s_mov_b32 s66, 0
	s_mov_b64 s[2:3], s[34:35]
	s_mov_b64 s[6:7], s[54:55]
	v_mov_b32_e32 v0, 0
	v_mov_b32_e32 v1, v8
.LBB324_314:                            ; =>This Inner Loop Header: Depth=1
	s_load_dwordx8 s[16:23], s[2:3], 0x4
	s_load_dwordx4 s[40:43], s[2:3], 0x24
	s_load_dwordx8 s[8:15], s[6:7], 0x0
	s_add_u32 s2, s2, 48
	s_addc_u32 s3, s3, 0
	s_waitcnt vmcnt(0) lgkmcnt(0)
	v_mul_hi_u32 v3, s17, v1
	s_add_i32 s66, s66, 4
	s_add_u32 s6, s6, 32
	s_addc_u32 s7, s7, 0
	v_add_u32_e32 v3, v1, v3
	v_lshrrev_b32_e32 v3, s18, v3
	v_mul_lo_u32 v5, v3, s16
	v_mul_hi_u32 v6, s20, v3
	s_cmp_eq_u32 s64, s66
	v_sub_u32_e32 v1, v1, v5
	v_add_u32_e32 v5, v3, v6
	v_mul_lo_u32 v6, v1, s8
	v_mul_lo_u32 v7, v1, s9
	v_lshrrev_b32_e32 v1, s21, v5
	v_mul_lo_u32 v5, v1, s19
	v_mul_hi_u32 v9, s23, v1
	v_sub_u32_e32 v3, v3, v5
	v_add_u32_e32 v5, v1, v9
	v_lshrrev_b32_e32 v5, s40, v5
	v_mul_hi_u32 v10, s42, v5
	v_mul_lo_u32 v11, v5, s22
	v_mul_lo_u32 v9, v3, s10
	v_mul_lo_u32 v3, v3, s11
	v_sub_u32_e32 v11, v1, v11
	v_add_u32_e32 v1, v5, v10
	v_lshrrev_b32_e32 v1, s43, v1
	v_mul_lo_u32 v10, v1, s41
	v_mul_lo_u32 v12, v11, s12
	;; [unrolled: 1-line block ×3, first 2 shown]
	v_add3_u32 v0, v6, v0, v9
	v_sub_u32_e32 v5, v5, v10
	v_mul_lo_u32 v10, v5, s14
	v_mul_lo_u32 v5, v5, s15
	v_add3_u32 v2, v7, v2, v3
	v_add3_u32 v0, v12, v0, v10
	;; [unrolled: 1-line block ×3, first 2 shown]
	s_cbranch_scc0 .LBB324_314
	s_branch .LBB324_323
.LBB324_315:
	s_or_b64 exec, exec, s[62:63]
	s_mov_b64 s[6:7], 0
	s_and_saveexec_b64 s[2:3], s[60:61]
	s_cbranch_execnz .LBB324_1064
.LBB324_316:
	s_or_b64 exec, exec, s[2:3]
	s_and_saveexec_b64 s[2:3], s[66:67]
	s_xor_b64 s[10:11], exec, s[2:3]
	s_cbranch_execz .LBB324_1065
.LBB324_317:
	global_load_ubyte v3, v[1:2], off
	s_movk_i32 s2, 0xff
	s_waitcnt vmcnt(0)
	v_cmp_ne_u16_e32 vcc, 0, v3
	v_cndmask_b32_e64 v6, 0, 1.0, vcc
	v_lshrrev_b32_e32 v5, 23, v6
	v_cmp_ne_u32_e32 vcc, s2, v5
	v_mov_b32_e32 v3, 0xff
	s_and_saveexec_b64 s[14:15], vcc
; %bb.318:
	v_and_b32_e32 v3, 0x400000, v6
	s_mov_b32 s2, 0x3fffff
	v_cmp_ne_u32_e32 vcc, 0, v3
	v_and_or_b32 v3, v6, s2, v5
	v_cmp_ne_u32_e64 s[2:3], 0, v3
	s_and_b64 s[2:3], vcc, s[2:3]
	v_cndmask_b32_e64 v3, 0, 1, s[2:3]
	v_add_u32_e32 v3, v5, v3
; %bb.319:
	s_or_b64 exec, exec, s[14:15]
	s_or_b64 s[8:9], s[8:9], exec
	s_or_b64 exec, exec, s[10:11]
	s_and_saveexec_b64 s[10:11], s[12:13]
	s_cbranch_execz .LBB324_1133
	s_branch .LBB324_1066
.LBB324_320:
                                        ; implicit-def: $vgpr0
                                        ; implicit-def: $vgpr2
	s_branch .LBB324_327
.LBB324_321:
	v_mov_b32_e32 v0, 0
	v_mov_b32_e32 v2, 0
	s_branch .LBB324_326
.LBB324_322:
	s_mov_b32 s64, 0
	v_mov_b32_e32 v0, 0
	v_mov_b32_e32 v2, 0
	;; [unrolled: 1-line block ×3, first 2 shown]
.LBB324_323:
	s_and_b32 s8, s65, 3
	s_cmp_eq_u32 s8, 0
	s_cbranch_scc1 .LBB324_326
; %bb.324:
	s_lshl_b32 s2, s64, 3
	s_add_u32 s2, s34, s2
	s_addc_u32 s3, s35, 0
	s_add_u32 s2, s2, 0xc4
	s_addc_u32 s3, s3, 0
	s_mul_i32 s6, s64, 12
	s_add_u32 s6, s34, s6
	s_addc_u32 s7, s35, 0
.LBB324_325:                            ; =>This Inner Loop Header: Depth=1
	s_load_dwordx2 s[10:11], s[6:7], 0x4
	s_load_dword s9, s[6:7], 0xc
	s_load_dwordx2 s[12:13], s[2:3], 0x0
	s_add_u32 s6, s6, 12
	s_addc_u32 s7, s7, 0
	s_waitcnt vmcnt(0) lgkmcnt(0)
	v_mul_hi_u32 v3, s11, v1
	s_add_u32 s2, s2, 8
	s_addc_u32 s3, s3, 0
	s_add_i32 s8, s8, -1
	v_add_u32_e32 v3, v1, v3
	v_lshrrev_b32_e32 v5, s9, v3
	v_mul_lo_u32 v3, v5, s10
	s_cmp_lg_u32 s8, 0
	v_sub_u32_e32 v3, v1, v3
	v_mad_u64_u32 v[0:1], s[10:11], v3, s12, v[0:1]
	v_mad_u64_u32 v[2:3], s[10:11], v3, s13, v[2:3]
	v_mov_b32_e32 v1, v5
	s_cbranch_scc1 .LBB324_325
.LBB324_326:
	s_cbranch_execnz .LBB324_329
.LBB324_327:
	v_mul_hi_u32 v0, s29, v8
	s_andn2_b64 vcc, exec, s[52:53]
	v_add_u32_e32 v0, v8, v0
	v_lshrrev_b32_e32 v1, s30, v0
	v_mul_lo_u32 v0, v1, s28
	v_sub_u32_e32 v2, v8, v0
	v_mul_lo_u32 v0, v2, s36
	v_mul_lo_u32 v2, v2, s37
	s_cbranch_vccnz .LBB324_329
; %bb.328:
	s_waitcnt vmcnt(0)
	v_mul_hi_u32 v3, s50, v1
	v_add_u32_e32 v3, v1, v3
	v_lshrrev_b32_e32 v3, s51, v3
	v_mul_lo_u32 v3, v3, s31
	v_sub_u32_e32 v3, v1, v3
	v_mad_u64_u32 v[0:1], s[2:3], v3, s38, v[0:1]
	v_mad_u64_u32 v[2:3], s[2:3], v3, s39, v[2:3]
.LBB324_329:
	s_waitcnt vmcnt(0)
	v_mov_b32_e32 v3, s27
	s_and_b32 s12, 0xffff, s78
	v_add_co_u32_e32 v1, vcc, s26, v2
	s_cmp_lt_i32 s12, 11
	v_addc_co_u32_e32 v2, vcc, 0, v3, vcc
	s_cbranch_scc1 .LBB324_338
; %bb.330:
	s_cmp_gt_i32 s12, 25
	s_cbranch_scc0 .LBB324_347
; %bb.331:
	s_cmp_gt_i32 s12, 28
	s_cbranch_scc0 .LBB324_349
	;; [unrolled: 3-line block ×4, first 2 shown]
; %bb.334:
	s_cmp_eq_u32 s12, 46
	s_mov_b64 s[6:7], 0
	s_cbranch_scc0 .LBB324_359
; %bb.335:
	global_load_dword v5, v[1:2], off
	s_movk_i32 s2, 0xff
	v_mov_b32_e32 v3, 0xff
	s_waitcnt vmcnt(0)
	v_lshlrev_b32_e32 v6, 16, v5
	v_bfe_u32 v7, v6, 23, 8
	v_cmp_ne_u32_e32 vcc, s2, v7
	s_and_saveexec_b64 s[8:9], vcc
; %bb.336:
	v_bfe_u32 v3, v5, 7, 9
	v_and_b32_e32 v5, 64, v5
	s_mov_b32 s2, 0x3f0000
	v_cmp_ne_u32_e32 vcc, 0, v5
	v_and_or_b32 v5, v6, s2, v7
	v_cmp_ne_u32_e64 s[2:3], 0, v5
	s_and_b64 s[2:3], vcc, s[2:3]
	v_cndmask_b32_e64 v5, 0, 1, s[2:3]
	v_add_u32_e32 v3, v3, v5
; %bb.337:
	s_or_b64 exec, exec, s[8:9]
	s_mov_b64 s[2:3], -1
	s_mov_b64 s[8:9], 0
	s_branch .LBB324_360
.LBB324_338:
	s_mov_b64 s[2:3], 0
                                        ; implicit-def: $vgpr3
	s_mov_b64 s[8:9], s[60:61]
	s_cbranch_execnz .LBB324_555
.LBB324_339:
	s_andn2_b64 vcc, exec, s[2:3]
	s_cbranch_vccnz .LBB324_625
.LBB324_340:
	s_movk_i32 s2, 0xff
	v_mov_b32_e32 v1, 23
	s_waitcnt vmcnt(0)
	v_lshlrev_b32_sdwa v1, v1, v3 dst_sel:DWORD dst_unused:UNUSED_PAD src0_sel:DWORD src1_sel:BYTE_0
	v_mov_b32_e32 v2, 0x7f800001
	v_cmp_ne_u16_sdwa vcc, v3, s2 src0_sel:BYTE_0 src1_sel:DWORD
	v_cndmask_b32_e32 v1, v2, v1, vcc
	v_mov_b32_e32 v2, 0
	v_mov_b32_e32 v5, 0x400000
	v_cmp_ne_u16_sdwa vcc, v3, v2 src0_sel:BYTE_0 src1_sel:DWORD
	v_cndmask_b32_e32 v1, v5, v1, vcc
	v_cmp_eq_f32_e32 vcc, v4, v1
	v_cndmask_b32_e64 v2, 0, 1, vcc
	v_cmp_neq_f32_e32 vcc, v4, v1
	v_cndmask_b32_e64 v1, 0, 1, vcc
	v_cndmask_b32_e64 v1, v1, v2, s[0:1]
	v_and_b32_e32 v1, 1, v1
	v_cmp_eq_u32_e64 s[2:3], 1, v1
	v_mov_b32_e32 v1, s25
	s_and_b32 s16, s77, 0xff
	v_add_co_u32_e32 v0, vcc, s24, v0
	s_cmp_lt_i32 s16, 11
	v_addc_co_u32_e32 v1, vcc, 0, v1, vcc
	s_cbranch_scc1 .LBB324_348
; %bb.341:
	s_and_b32 s17, 0xffff, s16
	s_cmp_gt_i32 s17, 25
	s_cbranch_scc0 .LBB324_350
; %bb.342:
	s_cmp_gt_i32 s17, 28
	s_cbranch_scc0 .LBB324_352
; %bb.343:
	;; [unrolled: 3-line block ×4, first 2 shown]
	s_mov_b64 s[12:13], 0
	s_mov_b64 s[6:7], -1
	s_cmp_eq_u32 s17, 46
	s_mov_b64 s[10:11], 0
	s_cbranch_scc0 .LBB324_364
; %bb.346:
	v_cndmask_b32_e64 v2, 0, 1.0, s[2:3]
	v_bfe_u32 v3, v2, 16, 1
	s_movk_i32 s6, 0x7fff
	v_add3_u32 v2, v2, v3, s6
	v_lshrrev_b32_e32 v2, 16, v2
	global_store_dword v[0:1], v2, off
	s_mov_b64 s[10:11], -1
	s_mov_b64 s[6:7], 0
	s_branch .LBB324_364
.LBB324_347:
	s_mov_b64 s[6:7], -1
	s_mov_b64 s[2:3], 0
	s_mov_b64 s[8:9], s[60:61]
                                        ; implicit-def: $vgpr3
	s_branch .LBB324_509
.LBB324_348:
	s_mov_b64 s[12:13], -1
	s_mov_b64 s[10:11], 0
	s_mov_b64 s[6:7], s[58:59]
	s_branch .LBB324_433
.LBB324_349:
	s_mov_b64 s[6:7], -1
	s_mov_b64 s[2:3], 0
	s_mov_b64 s[8:9], s[60:61]
                                        ; implicit-def: $vgpr3
	s_branch .LBB324_484
.LBB324_350:
	s_mov_b64 s[12:13], -1
	s_mov_b64 s[10:11], 0
	s_mov_b64 s[6:7], s[58:59]
	s_branch .LBB324_391
.LBB324_351:
	s_mov_b64 s[6:7], -1
	s_mov_b64 s[2:3], 0
	s_mov_b64 s[8:9], s[60:61]
                                        ; implicit-def: $vgpr3
	s_branch .LBB324_477
.LBB324_352:
	s_mov_b64 s[12:13], -1
	s_mov_b64 s[10:11], 0
	s_mov_b64 s[6:7], s[58:59]
	s_branch .LBB324_374
.LBB324_353:
	s_andn2_saveexec_b64 s[14:15], s[14:15]
	s_cbranch_execz .LBB324_70
.LBB324_354:
	v_add_f32_e32 v2, 0x46000000, v3
	v_and_b32_e32 v2, 0xff, v2
	v_cmp_ne_u32_e32 vcc, 0, v2
	s_andn2_b64 s[12:13], s[12:13], exec
	s_and_b64 s[18:19], vcc, exec
	s_or_b64 s[12:13], s[12:13], s[18:19]
	s_or_b64 exec, exec, s[14:15]
	v_mov_b32_e32 v5, 0
	s_and_saveexec_b64 s[14:15], s[12:13]
	s_cbranch_execnz .LBB324_71
	s_branch .LBB324_72
.LBB324_355:
	s_mov_b64 s[6:7], -1
	s_mov_b64 s[2:3], 0
	s_mov_b64 s[8:9], s[60:61]
                                        ; implicit-def: $vgpr3
	s_branch .LBB324_360
.LBB324_356:
	s_mov_b64 s[12:13], -1
	s_mov_b64 s[10:11], 0
	s_mov_b64 s[6:7], s[58:59]
	s_branch .LBB324_370
.LBB324_357:
	s_andn2_saveexec_b64 s[14:15], s[14:15]
	s_cbranch_execz .LBB324_83
.LBB324_358:
	v_add_f32_e32 v2, 0x42800000, v3
	v_and_b32_e32 v2, 0xff, v2
	v_cmp_ne_u32_e32 vcc, 0, v2
	s_andn2_b64 s[12:13], s[12:13], exec
	s_and_b64 s[18:19], vcc, exec
	s_or_b64 s[12:13], s[12:13], s[18:19]
	s_or_b64 exec, exec, s[14:15]
	v_mov_b32_e32 v5, 0
	s_and_saveexec_b64 s[14:15], s[12:13]
	s_cbranch_execnz .LBB324_84
	s_branch .LBB324_85
.LBB324_359:
	s_mov_b64 s[8:9], -1
                                        ; implicit-def: $vgpr3
	s_mov_b64 s[2:3], 0
.LBB324_360:
	s_and_b64 vcc, exec, s[6:7]
	s_cbranch_vccz .LBB324_476
; %bb.361:
	s_cmp_eq_u32 s12, 44
	s_cbranch_scc0 .LBB324_475
; %bb.362:
	global_load_ubyte v3, v[1:2], off
	s_mov_b64 s[2:3], -1
	s_mov_b64 s[8:9], 0
	s_branch .LBB324_476
.LBB324_363:
	s_mov_b64 s[12:13], -1
	s_mov_b64 s[10:11], 0
	s_mov_b64 s[6:7], s[58:59]
.LBB324_364:
	s_and_b64 vcc, exec, s[12:13]
	s_cbranch_vccz .LBB324_369
; %bb.365:
	s_cmp_eq_u32 s17, 44
	s_mov_b64 s[6:7], -1
	s_cbranch_scc0 .LBB324_369
; %bb.366:
	v_cndmask_b32_e64 v3, 0, 1.0, s[2:3]
	v_lshrrev_b32_e32 v2, 23, v3
	s_movk_i32 s6, 0xff
	v_cmp_ne_u32_e32 vcc, s6, v2
	v_mov_b32_e32 v5, 0xff
	s_and_saveexec_b64 s[10:11], vcc
; %bb.367:
	s_mov_b32 s6, 0x3fffff
	v_and_b32_e32 v5, 0x400000, v3
	v_and_or_b32 v3, v3, s6, v2
	v_cmp_ne_u32_e32 vcc, 0, v5
	v_cmp_ne_u32_e64 s[6:7], 0, v3
	s_and_b64 s[6:7], vcc, s[6:7]
	v_cndmask_b32_e64 v3, 0, 1, s[6:7]
	v_add_u32_e32 v5, v2, v3
; %bb.368:
	s_or_b64 exec, exec, s[10:11]
	s_mov_b64 s[10:11], -1
	s_mov_b64 s[6:7], 0
	global_store_byte v[0:1], v5, off
.LBB324_369:
	s_mov_b64 s[12:13], 0
.LBB324_370:
	s_and_b64 vcc, exec, s[12:13]
	s_cbranch_vccz .LBB324_373
; %bb.371:
	s_cmp_eq_u32 s17, 29
	s_mov_b64 s[6:7], -1
	s_cbranch_scc0 .LBB324_373
; %bb.372:
	s_mov_b32 s6, 0
	v_cndmask_b32_e64 v2, 0, 1, s[2:3]
	v_mov_b32_e32 v3, s6
	global_store_dwordx2 v[0:1], v[2:3], off
	s_mov_b64 s[10:11], -1
	s_mov_b64 s[6:7], 0
.LBB324_373:
	s_mov_b64 s[12:13], 0
.LBB324_374:
	s_and_b64 vcc, exec, s[12:13]
	s_cbranch_vccz .LBB324_390
; %bb.375:
	s_cmp_lt_i32 s17, 27
	s_mov_b64 s[10:11], -1
	s_cbranch_scc1 .LBB324_381
; %bb.376:
	s_cmp_gt_i32 s17, 27
	s_cbranch_scc0 .LBB324_378
; %bb.377:
	v_cndmask_b32_e64 v2, 0, 1, s[2:3]
	s_mov_b64 s[10:11], 0
	global_store_dword v[0:1], v2, off
.LBB324_378:
	s_andn2_b64 vcc, exec, s[10:11]
	s_cbranch_vccnz .LBB324_380
; %bb.379:
	v_cndmask_b32_e64 v2, 0, 1, s[2:3]
	global_store_short v[0:1], v2, off
.LBB324_380:
	s_mov_b64 s[10:11], 0
.LBB324_381:
	s_andn2_b64 vcc, exec, s[10:11]
	s_cbranch_vccnz .LBB324_389
; %bb.382:
	v_cndmask_b32_e64 v3, 0, 1.0, s[2:3]
	s_mov_b32 s10, 0x43800000
	v_cmp_gt_u32_e32 vcc, s10, v3
	v_mov_b32_e32 v5, 0x80
	s_and_saveexec_b64 s[10:11], vcc
	s_cbranch_execz .LBB324_388
; %bb.383:
	s_mov_b32 s12, 0x3bffffff
	v_cmp_lt_u32_e32 vcc, s12, v3
	s_mov_b64 s[12:13], 0
                                        ; implicit-def: $vgpr2
	s_and_saveexec_b64 s[14:15], vcc
	s_xor_b64 s[14:15], exec, s[14:15]
	s_cbranch_execz .LBB324_658
; %bb.384:
	v_bfe_u32 v2, v3, 20, 1
	s_mov_b32 s18, 0x487ffff
	v_add3_u32 v2, v3, v2, s18
	s_mov_b64 s[12:13], exec
	v_lshrrev_b32_e32 v2, 20, v2
                                        ; implicit-def: $vgpr3
	s_andn2_saveexec_b64 s[14:15], s[14:15]
	s_cbranch_execnz .LBB324_659
.LBB324_385:
	s_or_b64 exec, exec, s[14:15]
	v_mov_b32_e32 v5, 0
	s_and_saveexec_b64 s[14:15], s[12:13]
.LBB324_386:
	v_mov_b32_e32 v5, v2
.LBB324_387:
	s_or_b64 exec, exec, s[14:15]
.LBB324_388:
	s_or_b64 exec, exec, s[10:11]
	global_store_byte v[0:1], v5, off
.LBB324_389:
	s_mov_b64 s[10:11], -1
.LBB324_390:
	s_mov_b64 s[12:13], 0
.LBB324_391:
	s_and_b64 vcc, exec, s[12:13]
	s_cbranch_vccz .LBB324_432
; %bb.392:
	s_cmp_gt_i32 s17, 22
	s_mov_b64 s[12:13], -1
	s_cbranch_scc0 .LBB324_424
; %bb.393:
	s_cmp_lt_i32 s17, 24
	s_mov_b64 s[10:11], -1
	s_cbranch_scc1 .LBB324_413
; %bb.394:
	s_cmp_gt_i32 s17, 24
	s_cbranch_scc0 .LBB324_402
; %bb.395:
	v_cndmask_b32_e64 v3, 0, 1.0, s[2:3]
	s_mov_b32 s10, 0x47800000
	v_cmp_gt_u32_e32 vcc, s10, v3
	v_mov_b32_e32 v5, 0x80
	s_and_saveexec_b64 s[10:11], vcc
	s_cbranch_execz .LBB324_401
; %bb.396:
	s_mov_b32 s12, 0x37ffffff
	v_cmp_lt_u32_e32 vcc, s12, v3
	s_mov_b64 s[12:13], 0
                                        ; implicit-def: $vgpr2
	s_and_saveexec_b64 s[14:15], vcc
	s_xor_b64 s[14:15], exec, s[14:15]
	s_cbranch_execz .LBB324_661
; %bb.397:
	v_bfe_u32 v2, v3, 21, 1
	s_mov_b32 s18, 0x88fffff
	v_add3_u32 v2, v3, v2, s18
	s_mov_b64 s[12:13], exec
	v_lshrrev_b32_e32 v2, 21, v2
                                        ; implicit-def: $vgpr3
	s_andn2_saveexec_b64 s[14:15], s[14:15]
	s_cbranch_execnz .LBB324_662
.LBB324_398:
	s_or_b64 exec, exec, s[14:15]
	v_mov_b32_e32 v5, 0
	s_and_saveexec_b64 s[14:15], s[12:13]
.LBB324_399:
	v_mov_b32_e32 v5, v2
.LBB324_400:
	s_or_b64 exec, exec, s[14:15]
.LBB324_401:
	s_or_b64 exec, exec, s[10:11]
	s_mov_b64 s[10:11], 0
	global_store_byte v[0:1], v5, off
.LBB324_402:
	s_and_b64 vcc, exec, s[10:11]
	s_cbranch_vccz .LBB324_412
; %bb.403:
	v_cndmask_b32_e64 v2, 0, 1.0, s[2:3]
	s_mov_b32 s10, 0x43f00000
	v_cmp_gt_u32_e32 vcc, s10, v2
                                        ; implicit-def: $vgpr3
	s_and_saveexec_b64 s[10:11], vcc
	s_xor_b64 s[10:11], exec, s[10:11]
	s_cbranch_execz .LBB324_409
; %bb.404:
	s_mov_b32 s12, 0x3c7fffff
	v_cmp_lt_u32_e32 vcc, s12, v2
                                        ; implicit-def: $vgpr3
	s_and_saveexec_b64 s[12:13], vcc
	s_xor_b64 s[12:13], exec, s[12:13]
; %bb.405:
	v_bfe_u32 v3, v2, 20, 1
	s_mov_b32 s14, 0x407ffff
	v_add3_u32 v2, v2, v3, s14
	v_lshrrev_b32_e32 v3, 20, v2
	v_and_b32_e32 v2, 0xff00000, v2
	s_mov_b32 s14, 0x7f00000
	v_mov_b32_e32 v5, 0x7e
	v_cmp_ne_u32_e32 vcc, s14, v2
	v_cndmask_b32_e32 v3, v5, v3, vcc
                                        ; implicit-def: $vgpr2
; %bb.406:
	s_andn2_saveexec_b64 s[12:13], s[12:13]
; %bb.407:
	v_add_f32_e32 v3, 0x46800000, v2
; %bb.408:
	s_or_b64 exec, exec, s[12:13]
                                        ; implicit-def: $vgpr2
.LBB324_409:
	s_andn2_saveexec_b64 s[10:11], s[10:11]
; %bb.410:
	s_mov_b32 s12, 0x7f800000
	v_mov_b32_e32 v3, 0x7e
	v_mov_b32_e32 v5, 0x7f
	v_cmp_lt_u32_e32 vcc, s12, v2
	v_cndmask_b32_e32 v3, v3, v5, vcc
; %bb.411:
	s_or_b64 exec, exec, s[10:11]
	global_store_byte v[0:1], v3, off
.LBB324_412:
	s_mov_b64 s[10:11], 0
.LBB324_413:
	s_andn2_b64 vcc, exec, s[10:11]
	s_cbranch_vccnz .LBB324_423
; %bb.414:
	v_cndmask_b32_e64 v2, 0, 1.0, s[2:3]
	s_mov_b32 s10, 0x47800000
	v_cmp_gt_u32_e32 vcc, s10, v2
                                        ; implicit-def: $vgpr3
	s_and_saveexec_b64 s[10:11], vcc
	s_xor_b64 s[10:11], exec, s[10:11]
	s_cbranch_execz .LBB324_420
; %bb.415:
	s_mov_b32 s12, 0x387fffff
	v_cmp_lt_u32_e32 vcc, s12, v2
                                        ; implicit-def: $vgpr3
	s_and_saveexec_b64 s[12:13], vcc
	s_xor_b64 s[12:13], exec, s[12:13]
; %bb.416:
	v_bfe_u32 v3, v2, 21, 1
	s_mov_b32 s14, 0x80fffff
	v_add3_u32 v2, v2, v3, s14
	v_lshrrev_b32_e32 v3, 21, v2
                                        ; implicit-def: $vgpr2
; %bb.417:
	s_andn2_saveexec_b64 s[12:13], s[12:13]
; %bb.418:
	v_add_f32_e32 v3, 0x43000000, v2
; %bb.419:
	s_or_b64 exec, exec, s[12:13]
                                        ; implicit-def: $vgpr2
.LBB324_420:
	s_andn2_saveexec_b64 s[10:11], s[10:11]
; %bb.421:
	s_mov_b32 s12, 0x7f800000
	v_mov_b32_e32 v3, 0x7c
	v_mov_b32_e32 v5, 0x7f
	v_cmp_lt_u32_e32 vcc, s12, v2
	v_cndmask_b32_e32 v3, v3, v5, vcc
; %bb.422:
	s_or_b64 exec, exec, s[10:11]
	global_store_byte v[0:1], v3, off
.LBB324_423:
	s_mov_b64 s[12:13], 0
	s_mov_b64 s[10:11], -1
.LBB324_424:
	s_andn2_b64 vcc, exec, s[12:13]
	s_cbranch_vccnz .LBB324_432
; %bb.425:
	s_cmp_gt_i32 s17, 14
	s_mov_b64 s[12:13], -1
	s_cbranch_scc0 .LBB324_429
; %bb.426:
	s_cmp_eq_u32 s17, 15
	s_mov_b64 s[6:7], -1
	s_cbranch_scc0 .LBB324_428
; %bb.427:
	v_cndmask_b32_e64 v2, 0, 1.0, s[2:3]
	v_bfe_u32 v3, v2, 16, 1
	s_movk_i32 s6, 0x7fff
	v_add3_u32 v2, v2, v3, s6
	global_store_short_d16_hi v[0:1], v2, off
	s_mov_b64 s[10:11], -1
	s_mov_b64 s[6:7], 0
.LBB324_428:
	s_mov_b64 s[12:13], 0
.LBB324_429:
	s_and_b64 vcc, exec, s[12:13]
	s_cbranch_vccz .LBB324_432
; %bb.430:
	s_cmp_eq_u32 s17, 11
	s_mov_b64 s[6:7], -1
	s_cbranch_scc0 .LBB324_432
; %bb.431:
	v_cndmask_b32_e64 v2, 0, 1, s[2:3]
	s_mov_b64 s[10:11], -1
	s_mov_b64 s[6:7], 0
	global_store_byte v[0:1], v2, off
.LBB324_432:
	s_mov_b64 s[12:13], 0
.LBB324_433:
	s_and_b64 vcc, exec, s[12:13]
	s_cbranch_vccz .LBB324_472
; %bb.434:
	s_and_b32 s12, 0xffff, s16
	s_cmp_lt_i32 s12, 5
	s_mov_b64 s[10:11], -1
	s_cbranch_scc1 .LBB324_455
; %bb.435:
	s_cmp_lt_i32 s12, 8
	s_cbranch_scc1 .LBB324_445
; %bb.436:
	s_cmp_lt_i32 s12, 9
	s_cbranch_scc1 .LBB324_442
; %bb.437:
	s_cmp_gt_i32 s12, 9
	s_cbranch_scc0 .LBB324_439
; %bb.438:
	v_cndmask_b32_e64 v2, 0, 1, s[2:3]
	v_cvt_f64_u32_e32 v[9:10], v2
	v_mov_b32_e32 v11, 0
	v_mov_b32_e32 v12, v11
	s_mov_b64 s[10:11], 0
	global_store_dwordx4 v[0:1], v[9:12], off
.LBB324_439:
	s_andn2_b64 vcc, exec, s[10:11]
	s_cbranch_vccnz .LBB324_441
; %bb.440:
	v_cndmask_b32_e64 v2, 0, 1.0, s[2:3]
	v_mov_b32_e32 v3, 0
	global_store_dwordx2 v[0:1], v[2:3], off
.LBB324_441:
	s_mov_b64 s[10:11], 0
.LBB324_442:
	s_andn2_b64 vcc, exec, s[10:11]
	s_cbranch_vccnz .LBB324_444
; %bb.443:
	v_cndmask_b32_e64 v2, 0, 1.0, s[2:3]
	v_cvt_f16_f32_e32 v2, v2
	global_store_dword v[0:1], v2, off
.LBB324_444:
	s_mov_b64 s[10:11], 0
.LBB324_445:
	s_andn2_b64 vcc, exec, s[10:11]
	s_cbranch_vccnz .LBB324_454
; %bb.446:
	s_cmp_lt_i32 s12, 6
	s_mov_b64 s[10:11], -1
	s_cbranch_scc1 .LBB324_452
; %bb.447:
	s_cmp_gt_i32 s12, 6
	s_cbranch_scc0 .LBB324_449
; %bb.448:
	v_cndmask_b32_e64 v2, 0, 1, s[2:3]
	v_cvt_f64_u32_e32 v[2:3], v2
	s_mov_b64 s[10:11], 0
	global_store_dwordx2 v[0:1], v[2:3], off
.LBB324_449:
	s_andn2_b64 vcc, exec, s[10:11]
	s_cbranch_vccnz .LBB324_451
; %bb.450:
	v_cndmask_b32_e64 v2, 0, 1.0, s[2:3]
	global_store_dword v[0:1], v2, off
.LBB324_451:
	s_mov_b64 s[10:11], 0
.LBB324_452:
	s_andn2_b64 vcc, exec, s[10:11]
	s_cbranch_vccnz .LBB324_454
; %bb.453:
	v_cndmask_b32_e64 v2, 0, 1.0, s[2:3]
	v_cvt_f16_f32_e32 v2, v2
	global_store_short v[0:1], v2, off
.LBB324_454:
	s_mov_b64 s[10:11], 0
.LBB324_455:
	s_andn2_b64 vcc, exec, s[10:11]
	s_cbranch_vccnz .LBB324_471
; %bb.456:
	s_cmp_lt_i32 s12, 2
	s_mov_b64 s[10:11], -1
	s_cbranch_scc1 .LBB324_466
; %bb.457:
	s_cmp_lt_i32 s12, 3
	s_cbranch_scc1 .LBB324_463
; %bb.458:
	s_cmp_gt_i32 s12, 3
	s_cbranch_scc0 .LBB324_460
; %bb.459:
	s_mov_b32 s10, 0
	v_cndmask_b32_e64 v2, 0, 1, s[2:3]
	v_mov_b32_e32 v3, s10
	s_mov_b64 s[10:11], 0
	global_store_dwordx2 v[0:1], v[2:3], off
.LBB324_460:
	s_andn2_b64 vcc, exec, s[10:11]
	s_cbranch_vccnz .LBB324_462
; %bb.461:
	v_cndmask_b32_e64 v2, 0, 1, s[2:3]
	global_store_dword v[0:1], v2, off
.LBB324_462:
	s_mov_b64 s[10:11], 0
.LBB324_463:
	s_andn2_b64 vcc, exec, s[10:11]
	s_cbranch_vccnz .LBB324_465
; %bb.464:
	v_cndmask_b32_e64 v2, 0, 1, s[2:3]
	global_store_short v[0:1], v2, off
.LBB324_465:
	s_mov_b64 s[10:11], 0
.LBB324_466:
	s_andn2_b64 vcc, exec, s[10:11]
	s_cbranch_vccnz .LBB324_471
; %bb.467:
	s_mov_b64 s[10:11], -1
	s_cmp_gt_i32 s12, 0
	v_cndmask_b32_e64 v2, 0, 1, s[2:3]
	s_cbranch_scc0 .LBB324_469
; %bb.468:
	s_mov_b64 s[10:11], 0
	global_store_byte v[0:1], v2, off
.LBB324_469:
	s_andn2_b64 vcc, exec, s[10:11]
	s_cbranch_vccnz .LBB324_471
; %bb.470:
	global_store_byte v[0:1], v2, off
.LBB324_471:
	s_mov_b64 s[10:11], -1
.LBB324_472:
	s_andn2_b64 vcc, exec, s[10:11]
	s_cbranch_vccnz .LBB324_474
; %bb.473:
	v_add_u32_e32 v8, 0x80, v8
	s_mov_b64 s[2:3], -1
	s_branch .LBB324_627
.LBB324_474:
	s_mov_b64 s[2:3], 0
	s_branch .LBB324_626
.LBB324_475:
	s_mov_b64 s[8:9], -1
                                        ; implicit-def: $vgpr3
.LBB324_476:
	s_mov_b64 s[6:7], 0
.LBB324_477:
	s_and_b64 vcc, exec, s[6:7]
	s_cbranch_vccz .LBB324_483
; %bb.478:
	s_cmp_eq_u32 s12, 29
	s_cbranch_scc0 .LBB324_482
; %bb.479:
	global_load_dwordx2 v[5:6], v[1:2], off
	s_movk_i32 s2, 0xff
	s_waitcnt vmcnt(0)
	v_ffbh_u32_e32 v3, v6
	v_min_u32_e32 v3, 32, v3
	v_lshlrev_b64 v[5:6], v3, v[5:6]
	v_sub_u32_e32 v3, 32, v3
	v_min_u32_e32 v5, 1, v5
	v_or_b32_e32 v5, v6, v5
	v_cvt_f32_u32_e32 v5, v5
	v_ldexp_f32 v6, v5, v3
	v_lshrrev_b32_e32 v5, 23, v6
	v_cmp_ne_u32_e32 vcc, s2, v5
	v_mov_b32_e32 v3, 0xff
	s_and_saveexec_b64 s[6:7], vcc
; %bb.480:
	v_and_b32_e32 v3, 0x400000, v6
	s_mov_b32 s2, 0x3fffff
	v_cmp_ne_u32_e32 vcc, 0, v3
	v_and_or_b32 v3, v6, s2, v5
	v_cmp_ne_u32_e64 s[2:3], 0, v3
	s_and_b64 s[2:3], vcc, s[2:3]
	v_cndmask_b32_e64 v3, 0, 1, s[2:3]
	v_add_u32_e32 v3, v5, v3
; %bb.481:
	s_or_b64 exec, exec, s[6:7]
	s_mov_b64 s[2:3], -1
	s_mov_b64 s[8:9], 0
	s_branch .LBB324_483
.LBB324_482:
	s_mov_b64 s[8:9], -1
                                        ; implicit-def: $vgpr3
.LBB324_483:
	s_mov_b64 s[6:7], 0
.LBB324_484:
	s_and_b64 vcc, exec, s[6:7]
	s_cbranch_vccz .LBB324_508
; %bb.485:
	s_cmp_lt_i32 s12, 27
	s_cbranch_scc1 .LBB324_490
; %bb.486:
	s_cmp_gt_i32 s12, 27
	s_cbranch_scc0 .LBB324_491
; %bb.487:
	global_load_dword v3, v[1:2], off
	s_movk_i32 s2, 0xff
	s_waitcnt vmcnt(0)
	v_cvt_f32_u32_e32 v6, v3
	v_mov_b32_e32 v3, 0xff
	v_lshrrev_b32_e32 v5, 23, v6
	v_cmp_ne_u32_e32 vcc, s2, v5
	s_and_saveexec_b64 s[6:7], vcc
; %bb.488:
	v_and_b32_e32 v3, 0x400000, v6
	s_mov_b32 s2, 0x3fffff
	v_cmp_ne_u32_e32 vcc, 0, v3
	v_and_or_b32 v3, v6, s2, v5
	v_cmp_ne_u32_e64 s[2:3], 0, v3
	s_and_b64 s[2:3], vcc, s[2:3]
	v_cndmask_b32_e64 v3, 0, 1, s[2:3]
	v_add_u32_e32 v3, v5, v3
; %bb.489:
	s_or_b64 exec, exec, s[6:7]
	s_mov_b64 s[2:3], 0
	s_branch .LBB324_492
.LBB324_490:
	s_mov_b64 s[2:3], -1
                                        ; implicit-def: $vgpr3
	s_branch .LBB324_497
.LBB324_491:
	s_mov_b64 s[2:3], -1
                                        ; implicit-def: $vgpr3
.LBB324_492:
	s_andn2_b64 vcc, exec, s[2:3]
	s_cbranch_vccnz .LBB324_496
; %bb.493:
	global_load_ushort v3, v[1:2], off
	s_movk_i32 s2, 0xff
	s_waitcnt vmcnt(0)
	v_cvt_f32_u32_e32 v6, v3
	v_mov_b32_e32 v3, 0xff
	v_lshrrev_b32_e32 v5, 23, v6
	v_cmp_ne_u32_e32 vcc, s2, v5
	s_and_saveexec_b64 s[6:7], vcc
; %bb.494:
	v_and_b32_e32 v3, 0x400000, v6
	s_mov_b32 s2, 0x3fffff
	v_cmp_ne_u32_e32 vcc, 0, v3
	v_and_or_b32 v3, v6, s2, v5
	v_cmp_ne_u32_e64 s[2:3], 0, v3
	s_and_b64 s[2:3], vcc, s[2:3]
	v_cndmask_b32_e64 v3, 0, 1, s[2:3]
	v_add_u32_e32 v3, v5, v3
; %bb.495:
	s_or_b64 exec, exec, s[6:7]
.LBB324_496:
	s_mov_b64 s[2:3], 0
.LBB324_497:
	s_andn2_b64 vcc, exec, s[2:3]
	s_cbranch_vccnz .LBB324_507
; %bb.498:
	global_load_ubyte v3, v[1:2], off
	s_movk_i32 s2, 0x7f
	s_waitcnt vmcnt(0)
	v_cmp_lt_i16_e32 vcc, s2, v3
	s_mov_b64 s[2:3], 0
	s_and_saveexec_b64 s[6:7], vcc
	s_xor_b64 s[6:7], exec, s[6:7]
	s_cbranch_execz .LBB324_523
; %bb.499:
	s_movk_i32 s2, 0x80
	v_cmp_eq_u16_e32 vcc, s2, v3
	s_mov_b64 s[2:3], -1
	s_and_saveexec_b64 s[10:11], vcc
; %bb.500:
	s_xor_b64 s[2:3], exec, -1
; %bb.501:
	s_or_b64 exec, exec, s[10:11]
	s_and_b64 s[2:3], s[2:3], exec
	s_or_saveexec_b64 s[6:7], s[6:7]
	v_mov_b32_e32 v5, 0x7f800001
	s_xor_b64 exec, exec, s[6:7]
	s_cbranch_execnz .LBB324_524
.LBB324_502:
	s_or_b64 exec, exec, s[6:7]
	s_and_saveexec_b64 s[6:7], s[2:3]
	s_cbranch_execz .LBB324_504
.LBB324_503:
	v_and_b32_e32 v3, 0xffff, v3
	v_and_b32_e32 v5, 7, v3
	v_ffbh_u32_e32 v7, v5
	v_min_u32_e32 v7, 32, v7
	v_subrev_u32_e32 v9, 28, v7
	v_bfe_u32 v6, v3, 3, 4
	v_lshlrev_b32_e32 v3, v9, v3
	v_and_b32_e32 v3, 7, v3
	v_cmp_eq_u32_e32 vcc, 0, v6
	v_sub_u32_e32 v7, 29, v7
	v_cndmask_b32_e32 v3, v5, v3, vcc
	v_cndmask_b32_e32 v6, v6, v7, vcc
	v_lshlrev_b32_e32 v3, 20, v3
	v_lshl_or_b32 v3, v6, 23, v3
	v_add_u32_e32 v5, 0x3b800000, v3
.LBB324_504:
	s_or_b64 exec, exec, s[6:7]
	v_lshrrev_b32_e32 v6, 23, v5
	s_movk_i32 s2, 0xff
	v_cmp_ne_u32_e32 vcc, s2, v6
	v_mov_b32_e32 v3, 0xff
	s_and_saveexec_b64 s[6:7], vcc
; %bb.505:
	v_and_b32_e32 v3, 0x400000, v5
	s_mov_b32 s2, 0x3fffff
	v_cmp_ne_u32_e32 vcc, 0, v3
	v_and_or_b32 v3, v5, s2, v6
	v_cmp_ne_u32_e64 s[2:3], 0, v3
	s_and_b64 s[2:3], vcc, s[2:3]
	v_cndmask_b32_e64 v3, 0, 1, s[2:3]
	v_add_u32_e32 v3, v6, v3
; %bb.506:
	s_or_b64 exec, exec, s[6:7]
.LBB324_507:
	s_mov_b64 s[2:3], -1
.LBB324_508:
	s_mov_b64 s[6:7], 0
.LBB324_509:
	s_and_b64 vcc, exec, s[6:7]
	s_cbranch_vccz .LBB324_554
; %bb.510:
	s_cmp_gt_i32 s12, 22
	s_cbranch_scc0 .LBB324_522
; %bb.511:
	s_cmp_lt_i32 s12, 24
	s_cbranch_scc1 .LBB324_525
; %bb.512:
	s_cmp_gt_i32 s12, 24
	s_cbranch_scc0 .LBB324_526
; %bb.513:
	global_load_ubyte v3, v[1:2], off
	s_movk_i32 s2, 0x7f
	s_waitcnt vmcnt(0)
	v_cmp_lt_i16_e32 vcc, s2, v3
	s_mov_b64 s[2:3], 0
	s_and_saveexec_b64 s[6:7], vcc
	s_xor_b64 s[6:7], exec, s[6:7]
	s_cbranch_execz .LBB324_544
; %bb.514:
	s_movk_i32 s2, 0x80
	v_cmp_eq_u16_e32 vcc, s2, v3
	s_mov_b64 s[2:3], -1
	s_and_saveexec_b64 s[10:11], vcc
; %bb.515:
	s_xor_b64 s[2:3], exec, -1
; %bb.516:
	s_or_b64 exec, exec, s[10:11]
	s_and_b64 s[2:3], s[2:3], exec
	s_or_saveexec_b64 s[6:7], s[6:7]
	v_mov_b32_e32 v5, 0x7f800001
	s_xor_b64 exec, exec, s[6:7]
	s_cbranch_execnz .LBB324_545
.LBB324_517:
	s_or_b64 exec, exec, s[6:7]
	s_and_saveexec_b64 s[6:7], s[2:3]
	s_cbranch_execz .LBB324_519
.LBB324_518:
	v_and_b32_e32 v3, 0xffff, v3
	v_and_b32_e32 v5, 3, v3
	v_ffbh_u32_e32 v7, v5
	v_min_u32_e32 v7, 32, v7
	v_subrev_u32_e32 v9, 29, v7
	v_bfe_u32 v6, v3, 2, 5
	v_lshlrev_b32_e32 v3, v9, v3
	v_and_b32_e32 v3, 3, v3
	v_cmp_eq_u32_e32 vcc, 0, v6
	v_sub_u32_e32 v7, 30, v7
	v_cndmask_b32_e32 v3, v5, v3, vcc
	v_cndmask_b32_e32 v6, v6, v7, vcc
	v_lshlrev_b32_e32 v3, 21, v3
	v_lshl_or_b32 v3, v6, 23, v3
	v_add_u32_e32 v5, 0x37800000, v3
.LBB324_519:
	s_or_b64 exec, exec, s[6:7]
	v_lshrrev_b32_e32 v6, 23, v5
	s_movk_i32 s2, 0xff
	v_cmp_ne_u32_e32 vcc, s2, v6
	v_mov_b32_e32 v3, 0xff
	s_and_saveexec_b64 s[6:7], vcc
; %bb.520:
	v_and_b32_e32 v3, 0x400000, v5
	s_mov_b32 s2, 0x3fffff
	v_cmp_ne_u32_e32 vcc, 0, v3
	v_and_or_b32 v3, v5, s2, v6
	v_cmp_ne_u32_e64 s[2:3], 0, v3
	s_and_b64 s[2:3], vcc, s[2:3]
	v_cndmask_b32_e64 v3, 0, 1, s[2:3]
	v_add_u32_e32 v3, v6, v3
; %bb.521:
	s_or_b64 exec, exec, s[6:7]
	s_mov_b64 s[2:3], 0
	s_branch .LBB324_527
.LBB324_522:
	s_mov_b64 s[6:7], -1
                                        ; implicit-def: $vgpr3
	s_branch .LBB324_537
.LBB324_523:
	s_or_saveexec_b64 s[6:7], s[6:7]
	v_mov_b32_e32 v5, 0x7f800001
	s_xor_b64 exec, exec, s[6:7]
	s_cbranch_execz .LBB324_502
.LBB324_524:
	v_cmp_ne_u16_e32 vcc, 0, v3
	s_andn2_b64 s[2:3], s[2:3], exec
	s_and_b64 s[10:11], vcc, exec
	v_and_b32_e32 v5, 0xffff, v3
	s_or_b64 s[2:3], s[2:3], s[10:11]
	s_or_b64 exec, exec, s[6:7]
	s_and_saveexec_b64 s[6:7], s[2:3]
	s_cbranch_execnz .LBB324_503
	s_branch .LBB324_504
.LBB324_525:
	s_mov_b64 s[2:3], -1
                                        ; implicit-def: $vgpr3
	s_branch .LBB324_532
.LBB324_526:
	s_mov_b64 s[2:3], -1
                                        ; implicit-def: $vgpr3
.LBB324_527:
	s_and_b64 vcc, exec, s[2:3]
	s_cbranch_vccz .LBB324_531
; %bb.528:
	global_load_ubyte v3, v[1:2], off
	s_mov_b32 s2, 0x7f800000
	s_movk_i32 s3, 0xff
	s_waitcnt vmcnt(0)
	v_lshlrev_b32_e32 v3, 24, v3
	v_and_b32_e32 v3, 0x7f000000, v3
	v_ffbh_u32_e32 v5, v3
	v_min_u32_e32 v5, 32, v5
	v_sub_u32_e64 v5, v5, 4 clamp
	v_lshlrev_b32_e32 v7, v5, v3
	v_lshlrev_b32_e32 v5, 23, v5
	v_lshrrev_b32_e32 v7, 4, v7
	v_add_u32_e32 v6, 0x1000000, v3
	v_sub_u32_e32 v5, v7, v5
	v_ashrrev_i32_e32 v6, 8, v6
	v_add_u32_e32 v5, 0x3c000000, v5
	v_and_or_b32 v5, v6, s2, v5
	v_cmp_ne_u32_e32 vcc, 0, v3
	v_cndmask_b32_e32 v6, 0, v5, vcc
	v_lshrrev_b32_e32 v5, 23, v6
	v_cmp_ne_u32_e32 vcc, s3, v5
	v_mov_b32_e32 v3, 0xff
	s_and_saveexec_b64 s[6:7], vcc
; %bb.529:
	v_and_b32_e32 v3, 0x400000, v6
	s_mov_b32 s2, 0x3fffff
	v_cmp_ne_u32_e32 vcc, 0, v3
	v_and_or_b32 v3, v6, s2, v5
	v_cmp_ne_u32_e64 s[2:3], 0, v3
	s_and_b64 s[2:3], vcc, s[2:3]
	v_cndmask_b32_e64 v3, 0, 1, s[2:3]
	v_add_u32_e32 v3, v5, v3
; %bb.530:
	s_or_b64 exec, exec, s[6:7]
.LBB324_531:
	s_mov_b64 s[2:3], 0
.LBB324_532:
	s_andn2_b64 vcc, exec, s[2:3]
	s_cbranch_vccnz .LBB324_536
; %bb.533:
	global_load_ubyte v3, v[1:2], off
	s_movk_i32 s2, 0x7f00
	s_brev_b32 s3, 16
	s_movk_i32 s6, 0xff
	s_waitcnt vmcnt(0)
	v_lshlrev_b32_e32 v5, 8, v3
	v_lshlrev_b32_e32 v3, 25, v3
	v_lshrrev_b32_e32 v6, 4, v3
	v_and_or_b32 v5, v5, s2, 0.5
	v_or_b32_e32 v6, 0x70000000, v6
	v_add_f32_e32 v5, -0.5, v5
	v_mul_f32_e32 v6, 0x7800000, v6
	v_cmp_gt_u32_e32 vcc, s3, v3
	v_cndmask_b32_e32 v5, v6, v5, vcc
	v_bfe_u32 v6, v5, 23, 8
	v_cmp_ne_u32_e32 vcc, s6, v6
	v_mov_b32_e32 v3, 0xff
	s_and_saveexec_b64 s[6:7], vcc
; %bb.534:
	s_mov_b32 s2, 0x3fffff
	v_lshrrev_b32_e32 v3, 23, v5
	v_and_b32_e32 v7, 0x400000, v5
	v_and_or_b32 v5, v5, s2, v6
	v_cmp_ne_u32_e32 vcc, 0, v7
	v_cmp_ne_u32_e64 s[2:3], 0, v5
	s_and_b64 s[2:3], vcc, s[2:3]
	v_cndmask_b32_e64 v5, 0, 1, s[2:3]
	v_add_u32_e32 v3, v3, v5
; %bb.535:
	s_or_b64 exec, exec, s[6:7]
.LBB324_536:
	s_mov_b64 s[6:7], 0
	s_mov_b64 s[2:3], -1
.LBB324_537:
	s_andn2_b64 vcc, exec, s[6:7]
	s_cbranch_vccnz .LBB324_554
; %bb.538:
	s_cmp_gt_i32 s12, 14
	s_cbranch_scc0 .LBB324_543
; %bb.539:
	s_cmp_eq_u32 s12, 15
	s_cbranch_scc0 .LBB324_546
; %bb.540:
	global_load_ushort v5, v[1:2], off
	s_movk_i32 s2, 0xff
	s_waitcnt vmcnt(1)
	v_mov_b32_e32 v3, 0xff
	s_waitcnt vmcnt(0)
	v_bfe_u32 v6, v5, 7, 8
	v_cmp_ne_u32_e32 vcc, s2, v6
	s_and_saveexec_b64 s[6:7], vcc
	s_cbranch_execz .LBB324_542
; %bb.541:
	v_lshrrev_b32_e32 v3, 7, v5
	v_lshlrev_b32_e32 v7, 16, v5
	v_and_b32_e32 v5, 64, v5
	s_mov_b32 s2, 0x3f0000
	v_cmp_ne_u32_e32 vcc, 0, v5
	v_and_or_b32 v5, v7, s2, v6
	v_cmp_ne_u32_e64 s[2:3], 0, v5
	s_and_b64 s[2:3], vcc, s[2:3]
	v_cndmask_b32_e64 v5, 0, 1, s[2:3]
	v_add_u32_e32 v3, v3, v5
.LBB324_542:
	s_or_b64 exec, exec, s[6:7]
	s_mov_b64 s[2:3], -1
	s_mov_b64 s[8:9], 0
	s_branch .LBB324_547
.LBB324_543:
	s_mov_b64 s[6:7], -1
                                        ; implicit-def: $vgpr3
	s_branch .LBB324_548
.LBB324_544:
	s_or_saveexec_b64 s[6:7], s[6:7]
	v_mov_b32_e32 v5, 0x7f800001
	s_xor_b64 exec, exec, s[6:7]
	s_cbranch_execz .LBB324_517
.LBB324_545:
	v_cmp_ne_u16_e32 vcc, 0, v3
	s_andn2_b64 s[2:3], s[2:3], exec
	s_and_b64 s[10:11], vcc, exec
	v_and_b32_e32 v5, 0xffff, v3
	s_or_b64 s[2:3], s[2:3], s[10:11]
	s_or_b64 exec, exec, s[6:7]
	s_and_saveexec_b64 s[6:7], s[2:3]
	s_cbranch_execnz .LBB324_518
	s_branch .LBB324_519
.LBB324_546:
	s_mov_b64 s[8:9], -1
                                        ; implicit-def: $vgpr3
.LBB324_547:
	s_mov_b64 s[6:7], 0
.LBB324_548:
	s_and_b64 vcc, exec, s[6:7]
	s_cbranch_vccz .LBB324_554
; %bb.549:
	s_cmp_eq_u32 s12, 11
	s_cbranch_scc0 .LBB324_553
; %bb.550:
	global_load_ubyte v3, v[1:2], off
	s_movk_i32 s2, 0xff
	s_waitcnt vmcnt(0)
	v_cmp_ne_u16_e32 vcc, 0, v3
	v_cndmask_b32_e64 v6, 0, 1.0, vcc
	v_lshrrev_b32_e32 v5, 23, v6
	v_cmp_ne_u32_e32 vcc, s2, v5
	v_mov_b32_e32 v3, 0xff
	s_and_saveexec_b64 s[6:7], vcc
; %bb.551:
	v_and_b32_e32 v3, 0x400000, v6
	s_mov_b32 s2, 0x3fffff
	v_cmp_ne_u32_e32 vcc, 0, v3
	v_and_or_b32 v3, v6, s2, v5
	v_cmp_ne_u32_e64 s[2:3], 0, v3
	s_and_b64 s[2:3], vcc, s[2:3]
	v_cndmask_b32_e64 v3, 0, 1, s[2:3]
	v_add_u32_e32 v3, v5, v3
; %bb.552:
	s_or_b64 exec, exec, s[6:7]
	s_mov_b64 s[2:3], -1
	s_mov_b64 s[8:9], 0
	s_branch .LBB324_554
.LBB324_553:
	s_mov_b64 s[8:9], -1
                                        ; implicit-def: $vgpr3
.LBB324_554:
	s_branch .LBB324_339
.LBB324_555:
	s_cmp_lt_i32 s12, 5
	s_cbranch_scc1 .LBB324_562
; %bb.556:
	s_cmp_lt_i32 s12, 8
	s_cbranch_scc1 .LBB324_563
; %bb.557:
	;; [unrolled: 3-line block ×3, first 2 shown]
	s_cmp_gt_i32 s12, 9
	s_cbranch_scc0 .LBB324_565
; %bb.559:
	global_load_dwordx2 v[5:6], v[1:2], off
	s_movk_i32 s2, 0xff
	s_waitcnt vmcnt(1)
	v_mov_b32_e32 v3, 0xff
	s_waitcnt vmcnt(0)
	v_cvt_f32_f64_e32 v5, v[5:6]
	v_bfe_u32 v6, v5, 23, 8
	v_cmp_ne_u32_e32 vcc, s2, v6
	s_and_saveexec_b64 s[6:7], vcc
; %bb.560:
	s_mov_b32 s2, 0x3fffff
	v_lshrrev_b32_e32 v3, 23, v5
	v_and_b32_e32 v7, 0x400000, v5
	v_and_or_b32 v5, v5, s2, v6
	v_cmp_ne_u32_e32 vcc, 0, v7
	v_cmp_ne_u32_e64 s[2:3], 0, v5
	s_and_b64 s[2:3], vcc, s[2:3]
	v_cndmask_b32_e64 v5, 0, 1, s[2:3]
	v_add_u32_e32 v3, v3, v5
; %bb.561:
	s_or_b64 exec, exec, s[6:7]
	s_mov_b64 s[2:3], 0
	s_branch .LBB324_566
.LBB324_562:
	s_mov_b64 s[2:3], -1
                                        ; implicit-def: $vgpr3
	s_branch .LBB324_594
.LBB324_563:
	s_mov_b64 s[2:3], -1
                                        ; implicit-def: $vgpr3
	s_branch .LBB324_576
.LBB324_564:
	s_mov_b64 s[2:3], -1
                                        ; implicit-def: $vgpr3
	s_branch .LBB324_571
.LBB324_565:
	s_mov_b64 s[2:3], -1
                                        ; implicit-def: $vgpr3
.LBB324_566:
	s_andn2_b64 vcc, exec, s[2:3]
	s_cbranch_vccnz .LBB324_570
; %bb.567:
	global_load_dword v5, v[1:2], off
	s_movk_i32 s2, 0xff
	s_waitcnt vmcnt(1)
	v_mov_b32_e32 v3, 0xff
	s_waitcnt vmcnt(0)
	v_bfe_u32 v6, v5, 23, 8
	v_cmp_ne_u32_e32 vcc, s2, v6
	s_and_saveexec_b64 s[6:7], vcc
; %bb.568:
	s_mov_b32 s2, 0x3fffff
	v_lshrrev_b32_e32 v3, 23, v5
	v_and_b32_e32 v7, 0x400000, v5
	v_and_or_b32 v5, v5, s2, v6
	v_cmp_ne_u32_e32 vcc, 0, v7
	v_cmp_ne_u32_e64 s[2:3], 0, v5
	s_and_b64 s[2:3], vcc, s[2:3]
	v_cndmask_b32_e64 v5, 0, 1, s[2:3]
	v_add_u32_e32 v3, v3, v5
; %bb.569:
	s_or_b64 exec, exec, s[6:7]
.LBB324_570:
	s_mov_b64 s[2:3], 0
.LBB324_571:
	s_andn2_b64 vcc, exec, s[2:3]
	s_cbranch_vccnz .LBB324_575
; %bb.572:
	global_load_dword v3, v[1:2], off
	s_movk_i32 s2, 0xff
	s_waitcnt vmcnt(0)
	v_cvt_f32_f16_e32 v5, v3
	v_mov_b32_e32 v3, 0xff
	v_bfe_u32 v6, v5, 23, 8
	v_cmp_ne_u32_e32 vcc, s2, v6
	s_and_saveexec_b64 s[6:7], vcc
; %bb.573:
	s_mov_b32 s2, 0x3fffff
	v_lshrrev_b32_e32 v3, 23, v5
	v_and_b32_e32 v7, 0x400000, v5
	v_and_or_b32 v5, v5, s2, v6
	v_cmp_ne_u32_e32 vcc, 0, v7
	v_cmp_ne_u32_e64 s[2:3], 0, v5
	s_and_b64 s[2:3], vcc, s[2:3]
	v_cndmask_b32_e64 v5, 0, 1, s[2:3]
	v_add_u32_e32 v3, v3, v5
; %bb.574:
	s_or_b64 exec, exec, s[6:7]
.LBB324_575:
	s_mov_b64 s[2:3], 0
.LBB324_576:
	s_andn2_b64 vcc, exec, s[2:3]
	s_cbranch_vccnz .LBB324_593
; %bb.577:
	s_cmp_lt_i32 s12, 6
	s_cbranch_scc1 .LBB324_582
; %bb.578:
	s_cmp_gt_i32 s12, 6
	s_cbranch_scc0 .LBB324_583
; %bb.579:
	global_load_dwordx2 v[5:6], v[1:2], off
	s_movk_i32 s2, 0xff
	s_waitcnt vmcnt(1)
	v_mov_b32_e32 v3, 0xff
	s_waitcnt vmcnt(0)
	v_cvt_f32_f64_e32 v5, v[5:6]
	v_bfe_u32 v6, v5, 23, 8
	v_cmp_ne_u32_e32 vcc, s2, v6
	s_and_saveexec_b64 s[6:7], vcc
; %bb.580:
	s_mov_b32 s2, 0x3fffff
	v_lshrrev_b32_e32 v3, 23, v5
	v_and_b32_e32 v7, 0x400000, v5
	v_and_or_b32 v5, v5, s2, v6
	v_cmp_ne_u32_e32 vcc, 0, v7
	v_cmp_ne_u32_e64 s[2:3], 0, v5
	s_and_b64 s[2:3], vcc, s[2:3]
	v_cndmask_b32_e64 v5, 0, 1, s[2:3]
	v_add_u32_e32 v3, v3, v5
; %bb.581:
	s_or_b64 exec, exec, s[6:7]
	s_mov_b64 s[2:3], 0
	s_branch .LBB324_584
.LBB324_582:
	s_mov_b64 s[2:3], -1
                                        ; implicit-def: $vgpr3
	s_branch .LBB324_589
.LBB324_583:
	s_mov_b64 s[2:3], -1
                                        ; implicit-def: $vgpr3
.LBB324_584:
	s_andn2_b64 vcc, exec, s[2:3]
	s_cbranch_vccnz .LBB324_588
; %bb.585:
	global_load_dword v5, v[1:2], off
	s_movk_i32 s2, 0xff
	s_waitcnt vmcnt(1)
	v_mov_b32_e32 v3, 0xff
	s_waitcnt vmcnt(0)
	v_bfe_u32 v6, v5, 23, 8
	v_cmp_ne_u32_e32 vcc, s2, v6
	s_and_saveexec_b64 s[6:7], vcc
; %bb.586:
	s_mov_b32 s2, 0x3fffff
	v_lshrrev_b32_e32 v3, 23, v5
	v_and_b32_e32 v7, 0x400000, v5
	v_and_or_b32 v5, v5, s2, v6
	v_cmp_ne_u32_e32 vcc, 0, v7
	v_cmp_ne_u32_e64 s[2:3], 0, v5
	s_and_b64 s[2:3], vcc, s[2:3]
	v_cndmask_b32_e64 v5, 0, 1, s[2:3]
	v_add_u32_e32 v3, v3, v5
; %bb.587:
	s_or_b64 exec, exec, s[6:7]
.LBB324_588:
	s_mov_b64 s[2:3], 0
.LBB324_589:
	s_andn2_b64 vcc, exec, s[2:3]
	s_cbranch_vccnz .LBB324_593
; %bb.590:
	global_load_ushort v3, v[1:2], off
	s_movk_i32 s2, 0xff
	s_waitcnt vmcnt(0)
	v_cvt_f32_f16_e32 v5, v3
	v_mov_b32_e32 v3, 0xff
	v_bfe_u32 v6, v5, 23, 8
	v_cmp_ne_u32_e32 vcc, s2, v6
	s_and_saveexec_b64 s[6:7], vcc
; %bb.591:
	s_mov_b32 s2, 0x3fffff
	v_lshrrev_b32_e32 v3, 23, v5
	v_and_b32_e32 v7, 0x400000, v5
	v_and_or_b32 v5, v5, s2, v6
	v_cmp_ne_u32_e32 vcc, 0, v7
	v_cmp_ne_u32_e64 s[2:3], 0, v5
	s_and_b64 s[2:3], vcc, s[2:3]
	v_cndmask_b32_e64 v5, 0, 1, s[2:3]
	v_add_u32_e32 v3, v3, v5
; %bb.592:
	s_or_b64 exec, exec, s[6:7]
.LBB324_593:
	s_mov_b64 s[2:3], 0
.LBB324_594:
	s_andn2_b64 vcc, exec, s[2:3]
	s_cbranch_vccnz .LBB324_624
; %bb.595:
	s_cmp_lt_i32 s12, 2
	s_cbranch_scc1 .LBB324_601
; %bb.596:
	s_cmp_lt_i32 s12, 3
	s_cbranch_scc1 .LBB324_602
; %bb.597:
	s_cmp_gt_i32 s12, 3
	s_cbranch_scc0 .LBB324_603
; %bb.598:
	global_load_dwordx2 v[5:6], v[1:2], off
	s_movk_i32 s2, 0xff
	s_waitcnt vmcnt(0)
	v_xor_b32_e32 v7, v5, v6
	v_ffbh_i32_e32 v3, v6
	v_ashrrev_i32_e32 v7, 31, v7
	v_add_u32_e32 v3, -1, v3
	v_add_u32_e32 v7, 32, v7
	v_min_u32_e32 v3, v3, v7
	v_lshlrev_b64 v[5:6], v3, v[5:6]
	v_sub_u32_e32 v3, 32, v3
	v_min_u32_e32 v5, 1, v5
	v_or_b32_e32 v5, v6, v5
	v_cvt_f32_i32_e32 v5, v5
	v_ldexp_f32 v5, v5, v3
	v_bfe_u32 v6, v5, 23, 8
	v_cmp_ne_u32_e32 vcc, s2, v6
	v_mov_b32_e32 v3, 0xff
	s_and_saveexec_b64 s[6:7], vcc
; %bb.599:
	s_mov_b32 s2, 0x3fffff
	v_lshrrev_b32_e32 v3, 23, v5
	v_and_b32_e32 v7, 0x400000, v5
	v_and_or_b32 v5, v5, s2, v6
	v_cmp_ne_u32_e32 vcc, 0, v7
	v_cmp_ne_u32_e64 s[2:3], 0, v5
	s_and_b64 s[2:3], vcc, s[2:3]
	v_cndmask_b32_e64 v5, 0, 1, s[2:3]
	v_add_u32_e32 v3, v3, v5
; %bb.600:
	s_or_b64 exec, exec, s[6:7]
	s_mov_b64 s[2:3], 0
	s_branch .LBB324_604
.LBB324_601:
	s_mov_b64 s[2:3], -1
                                        ; implicit-def: $vgpr3
	s_branch .LBB324_614
.LBB324_602:
	s_mov_b64 s[2:3], -1
                                        ; implicit-def: $vgpr3
	s_branch .LBB324_609
.LBB324_603:
	s_mov_b64 s[2:3], -1
                                        ; implicit-def: $vgpr3
.LBB324_604:
	s_andn2_b64 vcc, exec, s[2:3]
	s_cbranch_vccnz .LBB324_608
; %bb.605:
	global_load_dword v3, v[1:2], off
	s_movk_i32 s2, 0xff
	s_waitcnt vmcnt(0)
	v_cvt_f32_i32_e32 v5, v3
	v_mov_b32_e32 v3, 0xff
	v_bfe_u32 v6, v5, 23, 8
	v_cmp_ne_u32_e32 vcc, s2, v6
	s_and_saveexec_b64 s[6:7], vcc
; %bb.606:
	s_mov_b32 s2, 0x3fffff
	v_lshrrev_b32_e32 v3, 23, v5
	v_and_b32_e32 v7, 0x400000, v5
	v_and_or_b32 v5, v5, s2, v6
	v_cmp_ne_u32_e32 vcc, 0, v7
	v_cmp_ne_u32_e64 s[2:3], 0, v5
	s_and_b64 s[2:3], vcc, s[2:3]
	v_cndmask_b32_e64 v5, 0, 1, s[2:3]
	v_add_u32_e32 v3, v3, v5
; %bb.607:
	s_or_b64 exec, exec, s[6:7]
.LBB324_608:
	s_mov_b64 s[2:3], 0
.LBB324_609:
	s_andn2_b64 vcc, exec, s[2:3]
	s_cbranch_vccnz .LBB324_613
; %bb.610:
	global_load_sshort v3, v[1:2], off
	s_movk_i32 s2, 0xff
	s_waitcnt vmcnt(0)
	v_cvt_f32_i32_e32 v5, v3
	v_mov_b32_e32 v3, 0xff
	v_bfe_u32 v6, v5, 23, 8
	v_cmp_ne_u32_e32 vcc, s2, v6
	s_and_saveexec_b64 s[6:7], vcc
; %bb.611:
	s_mov_b32 s2, 0x3fffff
	v_lshrrev_b32_e32 v3, 23, v5
	v_and_b32_e32 v7, 0x400000, v5
	v_and_or_b32 v5, v5, s2, v6
	v_cmp_ne_u32_e32 vcc, 0, v7
	v_cmp_ne_u32_e64 s[2:3], 0, v5
	s_and_b64 s[2:3], vcc, s[2:3]
	v_cndmask_b32_e64 v5, 0, 1, s[2:3]
	v_add_u32_e32 v3, v3, v5
; %bb.612:
	s_or_b64 exec, exec, s[6:7]
.LBB324_613:
	s_mov_b64 s[2:3], 0
.LBB324_614:
	s_andn2_b64 vcc, exec, s[2:3]
	s_cbranch_vccnz .LBB324_624
; %bb.615:
	s_cmp_gt_i32 s12, 0
	s_cbranch_scc0 .LBB324_619
; %bb.616:
	global_load_sbyte v3, v[1:2], off
	s_movk_i32 s2, 0xff
	s_waitcnt vmcnt(0)
	v_cvt_f32_i32_e32 v5, v3
	v_mov_b32_e32 v3, 0xff
	v_bfe_u32 v6, v5, 23, 8
	v_cmp_ne_u32_e32 vcc, s2, v6
	s_and_saveexec_b64 s[6:7], vcc
; %bb.617:
	s_mov_b32 s2, 0x3fffff
	v_lshrrev_b32_e32 v3, 23, v5
	v_and_b32_e32 v7, 0x400000, v5
	v_and_or_b32 v5, v5, s2, v6
	v_cmp_ne_u32_e32 vcc, 0, v7
	v_cmp_ne_u32_e64 s[2:3], 0, v5
	s_and_b64 s[2:3], vcc, s[2:3]
	v_cndmask_b32_e64 v5, 0, 1, s[2:3]
	v_add_u32_e32 v3, v3, v5
; %bb.618:
	s_or_b64 exec, exec, s[6:7]
	s_mov_b64 s[2:3], 0
	s_branch .LBB324_620
.LBB324_619:
	s_mov_b64 s[2:3], -1
                                        ; implicit-def: $vgpr3
.LBB324_620:
	s_andn2_b64 vcc, exec, s[2:3]
	s_cbranch_vccnz .LBB324_624
; %bb.621:
	global_load_ubyte v1, v[1:2], off
	s_movk_i32 s2, 0xff
	s_waitcnt vmcnt(1)
	v_mov_b32_e32 v3, 0xff
	s_waitcnt vmcnt(0)
	v_cvt_f32_ubyte0_e32 v2, v1
	v_lshrrev_b32_e32 v1, 23, v2
	v_cmp_ne_u32_e32 vcc, s2, v1
	s_and_saveexec_b64 s[6:7], vcc
; %bb.622:
	s_mov_b32 s2, 0x3fffff
	v_and_b32_e32 v3, 0x400000, v2
	v_and_or_b32 v2, v2, s2, v1
	v_cmp_ne_u32_e32 vcc, 0, v3
	v_cmp_ne_u32_e64 s[2:3], 0, v2
	s_and_b64 s[2:3], vcc, s[2:3]
	v_cndmask_b32_e64 v2, 0, 1, s[2:3]
	v_add_u32_e32 v3, v1, v2
; %bb.623:
	s_or_b64 exec, exec, s[6:7]
.LBB324_624:
	s_branch .LBB324_340
.LBB324_625:
	s_mov_b64 s[2:3], 0
	s_mov_b64 s[6:7], s[58:59]
.LBB324_626:
                                        ; implicit-def: $vgpr8
.LBB324_627:
	s_andn2_b64 s[10:11], s[58:59], exec
	s_and_b64 s[6:7], s[6:7], exec
	s_or_b64 s[66:67], s[10:11], s[6:7]
	s_andn2_b64 s[6:7], s[60:61], exec
	s_and_b64 s[8:9], s[8:9], exec
	s_or_b64 s[64:65], s[6:7], s[8:9]
	s_orn2_b64 s[6:7], s[2:3], exec
.LBB324_628:
	s_or_b64 exec, exec, s[68:69]
	s_mov_b64 s[2:3], 0
	s_mov_b64 s[10:11], 0
	;; [unrolled: 1-line block ×3, first 2 shown]
                                        ; implicit-def: $vgpr1_vgpr2
                                        ; implicit-def: $vgpr0
                                        ; implicit-def: $vgpr3
	s_and_saveexec_b64 s[68:69], s[6:7]
	s_cbranch_execz .LBB324_1063
; %bb.629:
	v_cmp_gt_i32_e32 vcc, s74, v8
	s_mov_b64 s[12:13], -1
	s_mov_b64 s[6:7], s[64:65]
	s_mov_b64 s[72:73], s[66:67]
	s_and_saveexec_b64 s[70:71], vcc
	s_cbranch_execz .LBB324_945
; %bb.630:
	s_andn2_b64 vcc, exec, s[46:47]
	s_cbranch_vccnz .LBB324_635
; %bb.631:
	s_andn2_b64 vcc, exec, s[56:57]
	s_cbranch_vccnz .LBB324_636
; %bb.632:
	s_add_i32 s73, s79, 1
	s_cmp_eq_u32 s76, 2
	s_cbranch_scc1 .LBB324_637
; %bb.633:
	s_and_b32 s72, s73, 28
	v_mov_b32_e32 v2, 0
	s_mov_b32 s75, 0
	s_mov_b64 s[2:3], s[34:35]
	s_mov_b64 s[6:7], s[54:55]
	v_mov_b32_e32 v0, 0
	v_mov_b32_e32 v1, v8
.LBB324_634:                            ; =>This Inner Loop Header: Depth=1
	s_load_dwordx8 s[16:23], s[2:3], 0x4
	s_load_dwordx4 s[40:43], s[2:3], 0x24
	s_load_dwordx8 s[8:15], s[6:7], 0x0
	s_add_u32 s2, s2, 48
	s_addc_u32 s3, s3, 0
	s_waitcnt vmcnt(0) lgkmcnt(0)
	v_mul_hi_u32 v3, s17, v1
	s_add_i32 s75, s75, 4
	s_add_u32 s6, s6, 32
	s_addc_u32 s7, s7, 0
	v_add_u32_e32 v3, v1, v3
	v_lshrrev_b32_e32 v3, s18, v3
	v_mul_lo_u32 v5, v3, s16
	v_mul_hi_u32 v6, s20, v3
	s_cmp_eq_u32 s72, s75
	v_sub_u32_e32 v1, v1, v5
	v_add_u32_e32 v5, v3, v6
	v_mul_lo_u32 v6, v1, s8
	v_mul_lo_u32 v7, v1, s9
	v_lshrrev_b32_e32 v1, s21, v5
	v_mul_lo_u32 v5, v1, s19
	v_mul_hi_u32 v9, s23, v1
	v_sub_u32_e32 v3, v3, v5
	v_add_u32_e32 v5, v1, v9
	v_lshrrev_b32_e32 v5, s40, v5
	v_mul_hi_u32 v10, s42, v5
	v_mul_lo_u32 v11, v5, s22
	v_mul_lo_u32 v9, v3, s10
	;; [unrolled: 1-line block ×3, first 2 shown]
	v_sub_u32_e32 v11, v1, v11
	v_add_u32_e32 v1, v5, v10
	v_lshrrev_b32_e32 v1, s43, v1
	v_mul_lo_u32 v10, v1, s41
	v_mul_lo_u32 v12, v11, s12
	;; [unrolled: 1-line block ×3, first 2 shown]
	v_add3_u32 v0, v6, v0, v9
	v_sub_u32_e32 v5, v5, v10
	v_mul_lo_u32 v10, v5, s14
	v_mul_lo_u32 v5, v5, s15
	v_add3_u32 v2, v7, v2, v3
	v_add3_u32 v0, v12, v0, v10
	;; [unrolled: 1-line block ×3, first 2 shown]
	s_cbranch_scc0 .LBB324_634
	s_branch .LBB324_638
.LBB324_635:
	s_mov_b64 s[2:3], -1
                                        ; implicit-def: $vgpr0
                                        ; implicit-def: $vgpr2
	s_branch .LBB324_642
.LBB324_636:
	v_mov_b32_e32 v0, 0
	v_mov_b32_e32 v2, 0
	s_branch .LBB324_641
.LBB324_637:
	s_mov_b32 s72, 0
	v_mov_b32_e32 v0, 0
	v_mov_b32_e32 v2, 0
	;; [unrolled: 1-line block ×3, first 2 shown]
.LBB324_638:
	s_and_b32 s8, s73, 3
	s_cmp_eq_u32 s8, 0
	s_cbranch_scc1 .LBB324_641
; %bb.639:
	s_lshl_b32 s2, s72, 3
	s_add_u32 s2, s34, s2
	s_addc_u32 s3, s35, 0
	s_add_u32 s2, s2, 0xc4
	s_addc_u32 s3, s3, 0
	s_mul_i32 s6, s72, 12
	s_add_u32 s6, s34, s6
	s_addc_u32 s7, s35, 0
.LBB324_640:                            ; =>This Inner Loop Header: Depth=1
	s_load_dwordx2 s[10:11], s[6:7], 0x4
	s_load_dword s9, s[6:7], 0xc
	s_load_dwordx2 s[12:13], s[2:3], 0x0
	s_add_u32 s6, s6, 12
	s_addc_u32 s7, s7, 0
	s_waitcnt vmcnt(0) lgkmcnt(0)
	v_mul_hi_u32 v3, s11, v1
	s_add_u32 s2, s2, 8
	s_addc_u32 s3, s3, 0
	s_add_i32 s8, s8, -1
	v_add_u32_e32 v3, v1, v3
	v_lshrrev_b32_e32 v5, s9, v3
	v_mul_lo_u32 v3, v5, s10
	s_cmp_lg_u32 s8, 0
	v_sub_u32_e32 v3, v1, v3
	v_mad_u64_u32 v[0:1], s[10:11], v3, s12, v[0:1]
	v_mad_u64_u32 v[2:3], s[10:11], v3, s13, v[2:3]
	v_mov_b32_e32 v1, v5
	s_cbranch_scc1 .LBB324_640
.LBB324_641:
	s_mov_b64 s[2:3], 0
.LBB324_642:
	s_andn2_b64 vcc, exec, s[2:3]
	s_cbranch_vccnz .LBB324_645
; %bb.643:
	v_mul_hi_u32 v0, s29, v8
	s_andn2_b64 vcc, exec, s[52:53]
	v_add_u32_e32 v0, v8, v0
	v_lshrrev_b32_e32 v1, s30, v0
	v_mul_lo_u32 v0, v1, s28
	v_sub_u32_e32 v2, v8, v0
	v_mul_lo_u32 v0, v2, s36
	v_mul_lo_u32 v2, v2, s37
	s_cbranch_vccnz .LBB324_645
; %bb.644:
	s_waitcnt vmcnt(0)
	v_mul_hi_u32 v3, s50, v1
	v_add_u32_e32 v3, v1, v3
	v_lshrrev_b32_e32 v3, s51, v3
	v_mul_lo_u32 v3, v3, s31
	v_sub_u32_e32 v3, v1, v3
	v_mad_u64_u32 v[0:1], s[2:3], v3, s38, v[0:1]
	v_mad_u64_u32 v[2:3], s[2:3], v3, s39, v[2:3]
.LBB324_645:
	s_waitcnt vmcnt(0)
	v_mov_b32_e32 v3, s27
	s_and_b32 s12, 0xffff, s78
	v_add_co_u32_e32 v1, vcc, s26, v2
	s_cmp_lt_i32 s12, 11
	v_addc_co_u32_e32 v2, vcc, 0, v3, vcc
	s_cbranch_scc1 .LBB324_654
; %bb.646:
	s_cmp_gt_i32 s12, 25
	s_cbranch_scc0 .LBB324_655
; %bb.647:
	s_cmp_gt_i32 s12, 28
	s_cbranch_scc0 .LBB324_656
	;; [unrolled: 3-line block ×4, first 2 shown]
; %bb.650:
	s_cmp_eq_u32 s12, 46
	s_mov_b64 s[6:7], 0
	s_cbranch_scc0 .LBB324_663
; %bb.651:
	global_load_dword v5, v[1:2], off
	s_movk_i32 s2, 0xff
	v_mov_b32_e32 v3, 0xff
	s_waitcnt vmcnt(0)
	v_lshlrev_b32_e32 v6, 16, v5
	v_bfe_u32 v7, v6, 23, 8
	v_cmp_ne_u32_e32 vcc, s2, v7
	s_and_saveexec_b64 s[8:9], vcc
; %bb.652:
	v_bfe_u32 v3, v5, 7, 9
	v_and_b32_e32 v5, 64, v5
	s_mov_b32 s2, 0x3f0000
	v_cmp_ne_u32_e32 vcc, 0, v5
	v_and_or_b32 v5, v6, s2, v7
	v_cmp_ne_u32_e64 s[2:3], 0, v5
	s_and_b64 s[2:3], vcc, s[2:3]
	v_cndmask_b32_e64 v5, 0, 1, s[2:3]
	v_add_u32_e32 v3, v3, v5
; %bb.653:
	s_or_b64 exec, exec, s[8:9]
	s_mov_b64 s[2:3], -1
	s_mov_b64 s[8:9], 0
	s_branch .LBB324_664
.LBB324_654:
	s_mov_b64 s[6:7], -1
	s_mov_b64 s[2:3], 0
                                        ; implicit-def: $vgpr3
	s_mov_b64 s[8:9], s[64:65]
	s_branch .LBB324_747
.LBB324_655:
	s_mov_b64 s[6:7], -1
	s_mov_b64 s[2:3], 0
	s_mov_b64 s[8:9], s[64:65]
                                        ; implicit-def: $vgpr3
	s_branch .LBB324_701
.LBB324_656:
	s_mov_b64 s[6:7], -1
	s_mov_b64 s[2:3], 0
	s_mov_b64 s[8:9], s[64:65]
                                        ; implicit-def: $vgpr3
	s_branch .LBB324_676
.LBB324_657:
	s_mov_b64 s[6:7], -1
	s_mov_b64 s[2:3], 0
	s_mov_b64 s[8:9], s[64:65]
                                        ; implicit-def: $vgpr3
	s_branch .LBB324_669
.LBB324_658:
	s_andn2_saveexec_b64 s[14:15], s[14:15]
	s_cbranch_execz .LBB324_385
.LBB324_659:
	v_add_f32_e32 v2, 0x46000000, v3
	v_and_b32_e32 v2, 0xff, v2
	v_cmp_ne_u32_e32 vcc, 0, v2
	s_andn2_b64 s[12:13], s[12:13], exec
	s_and_b64 s[18:19], vcc, exec
	s_or_b64 s[12:13], s[12:13], s[18:19]
	s_or_b64 exec, exec, s[14:15]
	v_mov_b32_e32 v5, 0
	s_and_saveexec_b64 s[14:15], s[12:13]
	s_cbranch_execnz .LBB324_386
	s_branch .LBB324_387
.LBB324_660:
	s_mov_b64 s[6:7], -1
	s_mov_b64 s[2:3], 0
	s_mov_b64 s[8:9], s[64:65]
                                        ; implicit-def: $vgpr3
	s_branch .LBB324_664
.LBB324_661:
	s_andn2_saveexec_b64 s[14:15], s[14:15]
	s_cbranch_execz .LBB324_398
.LBB324_662:
	v_add_f32_e32 v2, 0x42800000, v3
	v_and_b32_e32 v2, 0xff, v2
	v_cmp_ne_u32_e32 vcc, 0, v2
	s_andn2_b64 s[12:13], s[12:13], exec
	s_and_b64 s[18:19], vcc, exec
	s_or_b64 s[12:13], s[12:13], s[18:19]
	s_or_b64 exec, exec, s[14:15]
	v_mov_b32_e32 v5, 0
	s_and_saveexec_b64 s[14:15], s[12:13]
	s_cbranch_execnz .LBB324_399
	s_branch .LBB324_400
.LBB324_663:
	s_mov_b64 s[8:9], -1
                                        ; implicit-def: $vgpr3
	s_mov_b64 s[2:3], 0
.LBB324_664:
	s_and_b64 vcc, exec, s[6:7]
	s_cbranch_vccz .LBB324_668
; %bb.665:
	s_cmp_eq_u32 s12, 44
	s_cbranch_scc0 .LBB324_667
; %bb.666:
	global_load_ubyte v3, v[1:2], off
	s_mov_b64 s[2:3], -1
	s_mov_b64 s[8:9], 0
	s_branch .LBB324_668
.LBB324_667:
	s_mov_b64 s[8:9], -1
                                        ; implicit-def: $vgpr3
.LBB324_668:
	s_mov_b64 s[6:7], 0
.LBB324_669:
	s_and_b64 vcc, exec, s[6:7]
	s_cbranch_vccz .LBB324_675
; %bb.670:
	s_cmp_eq_u32 s12, 29
	s_cbranch_scc0 .LBB324_674
; %bb.671:
	global_load_dwordx2 v[5:6], v[1:2], off
	s_movk_i32 s2, 0xff
	s_waitcnt vmcnt(0)
	v_ffbh_u32_e32 v3, v6
	v_min_u32_e32 v3, 32, v3
	v_lshlrev_b64 v[5:6], v3, v[5:6]
	v_sub_u32_e32 v3, 32, v3
	v_min_u32_e32 v5, 1, v5
	v_or_b32_e32 v5, v6, v5
	v_cvt_f32_u32_e32 v5, v5
	v_ldexp_f32 v6, v5, v3
	v_lshrrev_b32_e32 v5, 23, v6
	v_cmp_ne_u32_e32 vcc, s2, v5
	v_mov_b32_e32 v3, 0xff
	s_and_saveexec_b64 s[6:7], vcc
; %bb.672:
	v_and_b32_e32 v3, 0x400000, v6
	s_mov_b32 s2, 0x3fffff
	v_cmp_ne_u32_e32 vcc, 0, v3
	v_and_or_b32 v3, v6, s2, v5
	v_cmp_ne_u32_e64 s[2:3], 0, v3
	s_and_b64 s[2:3], vcc, s[2:3]
	v_cndmask_b32_e64 v3, 0, 1, s[2:3]
	v_add_u32_e32 v3, v5, v3
; %bb.673:
	s_or_b64 exec, exec, s[6:7]
	s_mov_b64 s[2:3], -1
	s_mov_b64 s[8:9], 0
	s_branch .LBB324_675
.LBB324_674:
	s_mov_b64 s[8:9], -1
                                        ; implicit-def: $vgpr3
.LBB324_675:
	s_mov_b64 s[6:7], 0
.LBB324_676:
	s_and_b64 vcc, exec, s[6:7]
	s_cbranch_vccz .LBB324_700
; %bb.677:
	s_cmp_lt_i32 s12, 27
	s_cbranch_scc1 .LBB324_682
; %bb.678:
	s_cmp_gt_i32 s12, 27
	s_cbranch_scc0 .LBB324_683
; %bb.679:
	global_load_dword v3, v[1:2], off
	s_movk_i32 s2, 0xff
	s_waitcnt vmcnt(0)
	v_cvt_f32_u32_e32 v6, v3
	v_mov_b32_e32 v3, 0xff
	v_lshrrev_b32_e32 v5, 23, v6
	v_cmp_ne_u32_e32 vcc, s2, v5
	s_and_saveexec_b64 s[6:7], vcc
; %bb.680:
	v_and_b32_e32 v3, 0x400000, v6
	s_mov_b32 s2, 0x3fffff
	v_cmp_ne_u32_e32 vcc, 0, v3
	v_and_or_b32 v3, v6, s2, v5
	v_cmp_ne_u32_e64 s[2:3], 0, v3
	s_and_b64 s[2:3], vcc, s[2:3]
	v_cndmask_b32_e64 v3, 0, 1, s[2:3]
	v_add_u32_e32 v3, v5, v3
; %bb.681:
	s_or_b64 exec, exec, s[6:7]
	s_mov_b64 s[2:3], 0
	s_branch .LBB324_684
.LBB324_682:
	s_mov_b64 s[2:3], -1
                                        ; implicit-def: $vgpr3
	s_branch .LBB324_689
.LBB324_683:
	s_mov_b64 s[2:3], -1
                                        ; implicit-def: $vgpr3
.LBB324_684:
	s_andn2_b64 vcc, exec, s[2:3]
	s_cbranch_vccnz .LBB324_688
; %bb.685:
	global_load_ushort v3, v[1:2], off
	s_movk_i32 s2, 0xff
	s_waitcnt vmcnt(0)
	v_cvt_f32_u32_e32 v6, v3
	v_mov_b32_e32 v3, 0xff
	v_lshrrev_b32_e32 v5, 23, v6
	v_cmp_ne_u32_e32 vcc, s2, v5
	s_and_saveexec_b64 s[6:7], vcc
; %bb.686:
	v_and_b32_e32 v3, 0x400000, v6
	s_mov_b32 s2, 0x3fffff
	v_cmp_ne_u32_e32 vcc, 0, v3
	v_and_or_b32 v3, v6, s2, v5
	v_cmp_ne_u32_e64 s[2:3], 0, v3
	s_and_b64 s[2:3], vcc, s[2:3]
	v_cndmask_b32_e64 v3, 0, 1, s[2:3]
	v_add_u32_e32 v3, v5, v3
; %bb.687:
	s_or_b64 exec, exec, s[6:7]
.LBB324_688:
	s_mov_b64 s[2:3], 0
.LBB324_689:
	s_andn2_b64 vcc, exec, s[2:3]
	s_cbranch_vccnz .LBB324_699
; %bb.690:
	global_load_ubyte v3, v[1:2], off
	s_movk_i32 s2, 0x7f
	s_waitcnt vmcnt(0)
	v_cmp_lt_i16_e32 vcc, s2, v3
	s_mov_b64 s[2:3], 0
	s_and_saveexec_b64 s[6:7], vcc
	s_xor_b64 s[6:7], exec, s[6:7]
	s_cbranch_execz .LBB324_715
; %bb.691:
	s_movk_i32 s2, 0x80
	v_cmp_eq_u16_e32 vcc, s2, v3
	s_mov_b64 s[2:3], -1
	s_and_saveexec_b64 s[10:11], vcc
; %bb.692:
	s_xor_b64 s[2:3], exec, -1
; %bb.693:
	s_or_b64 exec, exec, s[10:11]
	s_and_b64 s[2:3], s[2:3], exec
	s_or_saveexec_b64 s[6:7], s[6:7]
	v_mov_b32_e32 v5, 0x7f800001
	s_xor_b64 exec, exec, s[6:7]
	s_cbranch_execnz .LBB324_716
.LBB324_694:
	s_or_b64 exec, exec, s[6:7]
	s_and_saveexec_b64 s[6:7], s[2:3]
	s_cbranch_execz .LBB324_696
.LBB324_695:
	v_and_b32_e32 v3, 0xffff, v3
	v_and_b32_e32 v5, 7, v3
	v_ffbh_u32_e32 v7, v5
	v_min_u32_e32 v7, 32, v7
	v_subrev_u32_e32 v9, 28, v7
	v_bfe_u32 v6, v3, 3, 4
	v_lshlrev_b32_e32 v3, v9, v3
	v_and_b32_e32 v3, 7, v3
	v_cmp_eq_u32_e32 vcc, 0, v6
	v_sub_u32_e32 v7, 29, v7
	v_cndmask_b32_e32 v3, v5, v3, vcc
	v_cndmask_b32_e32 v6, v6, v7, vcc
	v_lshlrev_b32_e32 v3, 20, v3
	v_lshl_or_b32 v3, v6, 23, v3
	v_add_u32_e32 v5, 0x3b800000, v3
.LBB324_696:
	s_or_b64 exec, exec, s[6:7]
	v_lshrrev_b32_e32 v6, 23, v5
	s_movk_i32 s2, 0xff
	v_cmp_ne_u32_e32 vcc, s2, v6
	v_mov_b32_e32 v3, 0xff
	s_and_saveexec_b64 s[6:7], vcc
; %bb.697:
	v_and_b32_e32 v3, 0x400000, v5
	s_mov_b32 s2, 0x3fffff
	v_cmp_ne_u32_e32 vcc, 0, v3
	v_and_or_b32 v3, v5, s2, v6
	v_cmp_ne_u32_e64 s[2:3], 0, v3
	s_and_b64 s[2:3], vcc, s[2:3]
	v_cndmask_b32_e64 v3, 0, 1, s[2:3]
	v_add_u32_e32 v3, v6, v3
; %bb.698:
	s_or_b64 exec, exec, s[6:7]
.LBB324_699:
	s_mov_b64 s[2:3], -1
.LBB324_700:
	s_mov_b64 s[6:7], 0
.LBB324_701:
	s_and_b64 vcc, exec, s[6:7]
	s_cbranch_vccz .LBB324_746
; %bb.702:
	s_cmp_gt_i32 s12, 22
	s_cbranch_scc0 .LBB324_714
; %bb.703:
	s_cmp_lt_i32 s12, 24
	s_cbranch_scc1 .LBB324_717
; %bb.704:
	s_cmp_gt_i32 s12, 24
	s_cbranch_scc0 .LBB324_718
; %bb.705:
	global_load_ubyte v3, v[1:2], off
	s_movk_i32 s2, 0x7f
	s_waitcnt vmcnt(0)
	v_cmp_lt_i16_e32 vcc, s2, v3
	s_mov_b64 s[2:3], 0
	s_and_saveexec_b64 s[6:7], vcc
	s_xor_b64 s[6:7], exec, s[6:7]
	s_cbranch_execz .LBB324_736
; %bb.706:
	s_movk_i32 s2, 0x80
	v_cmp_eq_u16_e32 vcc, s2, v3
	s_mov_b64 s[2:3], -1
	s_and_saveexec_b64 s[10:11], vcc
; %bb.707:
	s_xor_b64 s[2:3], exec, -1
; %bb.708:
	s_or_b64 exec, exec, s[10:11]
	s_and_b64 s[2:3], s[2:3], exec
	s_or_saveexec_b64 s[6:7], s[6:7]
	v_mov_b32_e32 v5, 0x7f800001
	s_xor_b64 exec, exec, s[6:7]
	s_cbranch_execnz .LBB324_737
.LBB324_709:
	s_or_b64 exec, exec, s[6:7]
	s_and_saveexec_b64 s[6:7], s[2:3]
	s_cbranch_execz .LBB324_711
.LBB324_710:
	v_and_b32_e32 v3, 0xffff, v3
	v_and_b32_e32 v5, 3, v3
	v_ffbh_u32_e32 v7, v5
	v_min_u32_e32 v7, 32, v7
	v_subrev_u32_e32 v9, 29, v7
	v_bfe_u32 v6, v3, 2, 5
	v_lshlrev_b32_e32 v3, v9, v3
	v_and_b32_e32 v3, 3, v3
	v_cmp_eq_u32_e32 vcc, 0, v6
	v_sub_u32_e32 v7, 30, v7
	v_cndmask_b32_e32 v3, v5, v3, vcc
	v_cndmask_b32_e32 v6, v6, v7, vcc
	v_lshlrev_b32_e32 v3, 21, v3
	v_lshl_or_b32 v3, v6, 23, v3
	v_add_u32_e32 v5, 0x37800000, v3
.LBB324_711:
	s_or_b64 exec, exec, s[6:7]
	v_lshrrev_b32_e32 v6, 23, v5
	s_movk_i32 s2, 0xff
	v_cmp_ne_u32_e32 vcc, s2, v6
	v_mov_b32_e32 v3, 0xff
	s_and_saveexec_b64 s[6:7], vcc
; %bb.712:
	v_and_b32_e32 v3, 0x400000, v5
	s_mov_b32 s2, 0x3fffff
	v_cmp_ne_u32_e32 vcc, 0, v3
	v_and_or_b32 v3, v5, s2, v6
	v_cmp_ne_u32_e64 s[2:3], 0, v3
	s_and_b64 s[2:3], vcc, s[2:3]
	v_cndmask_b32_e64 v3, 0, 1, s[2:3]
	v_add_u32_e32 v3, v6, v3
; %bb.713:
	s_or_b64 exec, exec, s[6:7]
	s_mov_b64 s[2:3], 0
	s_branch .LBB324_719
.LBB324_714:
	s_mov_b64 s[6:7], -1
                                        ; implicit-def: $vgpr3
	s_branch .LBB324_729
.LBB324_715:
	s_or_saveexec_b64 s[6:7], s[6:7]
	v_mov_b32_e32 v5, 0x7f800001
	s_xor_b64 exec, exec, s[6:7]
	s_cbranch_execz .LBB324_694
.LBB324_716:
	v_cmp_ne_u16_e32 vcc, 0, v3
	s_andn2_b64 s[2:3], s[2:3], exec
	s_and_b64 s[10:11], vcc, exec
	v_and_b32_e32 v5, 0xffff, v3
	s_or_b64 s[2:3], s[2:3], s[10:11]
	s_or_b64 exec, exec, s[6:7]
	s_and_saveexec_b64 s[6:7], s[2:3]
	s_cbranch_execnz .LBB324_695
	s_branch .LBB324_696
.LBB324_717:
	s_mov_b64 s[2:3], -1
                                        ; implicit-def: $vgpr3
	s_branch .LBB324_724
.LBB324_718:
	s_mov_b64 s[2:3], -1
                                        ; implicit-def: $vgpr3
.LBB324_719:
	s_and_b64 vcc, exec, s[2:3]
	s_cbranch_vccz .LBB324_723
; %bb.720:
	global_load_ubyte v3, v[1:2], off
	s_mov_b32 s2, 0x7f800000
	s_movk_i32 s3, 0xff
	s_waitcnt vmcnt(0)
	v_lshlrev_b32_e32 v3, 24, v3
	v_and_b32_e32 v3, 0x7f000000, v3
	v_ffbh_u32_e32 v5, v3
	v_min_u32_e32 v5, 32, v5
	v_sub_u32_e64 v5, v5, 4 clamp
	v_lshlrev_b32_e32 v7, v5, v3
	v_lshlrev_b32_e32 v5, 23, v5
	v_lshrrev_b32_e32 v7, 4, v7
	v_add_u32_e32 v6, 0x1000000, v3
	v_sub_u32_e32 v5, v7, v5
	v_ashrrev_i32_e32 v6, 8, v6
	v_add_u32_e32 v5, 0x3c000000, v5
	v_and_or_b32 v5, v6, s2, v5
	v_cmp_ne_u32_e32 vcc, 0, v3
	v_cndmask_b32_e32 v6, 0, v5, vcc
	v_lshrrev_b32_e32 v5, 23, v6
	v_cmp_ne_u32_e32 vcc, s3, v5
	v_mov_b32_e32 v3, 0xff
	s_and_saveexec_b64 s[6:7], vcc
; %bb.721:
	v_and_b32_e32 v3, 0x400000, v6
	s_mov_b32 s2, 0x3fffff
	v_cmp_ne_u32_e32 vcc, 0, v3
	v_and_or_b32 v3, v6, s2, v5
	v_cmp_ne_u32_e64 s[2:3], 0, v3
	s_and_b64 s[2:3], vcc, s[2:3]
	v_cndmask_b32_e64 v3, 0, 1, s[2:3]
	v_add_u32_e32 v3, v5, v3
; %bb.722:
	s_or_b64 exec, exec, s[6:7]
.LBB324_723:
	s_mov_b64 s[2:3], 0
.LBB324_724:
	s_andn2_b64 vcc, exec, s[2:3]
	s_cbranch_vccnz .LBB324_728
; %bb.725:
	global_load_ubyte v3, v[1:2], off
	s_movk_i32 s2, 0x7f00
	s_brev_b32 s3, 16
	s_movk_i32 s6, 0xff
	s_waitcnt vmcnt(0)
	v_lshlrev_b32_e32 v5, 8, v3
	v_lshlrev_b32_e32 v3, 25, v3
	v_lshrrev_b32_e32 v6, 4, v3
	v_and_or_b32 v5, v5, s2, 0.5
	v_or_b32_e32 v6, 0x70000000, v6
	v_add_f32_e32 v5, -0.5, v5
	v_mul_f32_e32 v6, 0x7800000, v6
	v_cmp_gt_u32_e32 vcc, s3, v3
	v_cndmask_b32_e32 v5, v6, v5, vcc
	v_bfe_u32 v6, v5, 23, 8
	v_cmp_ne_u32_e32 vcc, s6, v6
	v_mov_b32_e32 v3, 0xff
	s_and_saveexec_b64 s[6:7], vcc
; %bb.726:
	s_mov_b32 s2, 0x3fffff
	v_lshrrev_b32_e32 v3, 23, v5
	v_and_b32_e32 v7, 0x400000, v5
	v_and_or_b32 v5, v5, s2, v6
	v_cmp_ne_u32_e32 vcc, 0, v7
	v_cmp_ne_u32_e64 s[2:3], 0, v5
	s_and_b64 s[2:3], vcc, s[2:3]
	v_cndmask_b32_e64 v5, 0, 1, s[2:3]
	v_add_u32_e32 v3, v3, v5
; %bb.727:
	s_or_b64 exec, exec, s[6:7]
.LBB324_728:
	s_mov_b64 s[6:7], 0
	s_mov_b64 s[2:3], -1
.LBB324_729:
	s_andn2_b64 vcc, exec, s[6:7]
	s_cbranch_vccnz .LBB324_746
; %bb.730:
	s_cmp_gt_i32 s12, 14
	s_cbranch_scc0 .LBB324_735
; %bb.731:
	s_cmp_eq_u32 s12, 15
	s_cbranch_scc0 .LBB324_738
; %bb.732:
	global_load_ushort v5, v[1:2], off
	s_movk_i32 s2, 0xff
	s_waitcnt vmcnt(1)
	v_mov_b32_e32 v3, 0xff
	s_waitcnt vmcnt(0)
	v_bfe_u32 v6, v5, 7, 8
	v_cmp_ne_u32_e32 vcc, s2, v6
	s_and_saveexec_b64 s[6:7], vcc
	s_cbranch_execz .LBB324_734
; %bb.733:
	v_lshrrev_b32_e32 v3, 7, v5
	v_lshlrev_b32_e32 v7, 16, v5
	v_and_b32_e32 v5, 64, v5
	s_mov_b32 s2, 0x3f0000
	v_cmp_ne_u32_e32 vcc, 0, v5
	v_and_or_b32 v5, v7, s2, v6
	v_cmp_ne_u32_e64 s[2:3], 0, v5
	s_and_b64 s[2:3], vcc, s[2:3]
	v_cndmask_b32_e64 v5, 0, 1, s[2:3]
	v_add_u32_e32 v3, v3, v5
.LBB324_734:
	s_or_b64 exec, exec, s[6:7]
	s_mov_b64 s[2:3], -1
	s_mov_b64 s[8:9], 0
	s_branch .LBB324_739
.LBB324_735:
	s_mov_b64 s[6:7], -1
                                        ; implicit-def: $vgpr3
	s_branch .LBB324_740
.LBB324_736:
	s_or_saveexec_b64 s[6:7], s[6:7]
	v_mov_b32_e32 v5, 0x7f800001
	s_xor_b64 exec, exec, s[6:7]
	s_cbranch_execz .LBB324_709
.LBB324_737:
	v_cmp_ne_u16_e32 vcc, 0, v3
	s_andn2_b64 s[2:3], s[2:3], exec
	s_and_b64 s[10:11], vcc, exec
	v_and_b32_e32 v5, 0xffff, v3
	s_or_b64 s[2:3], s[2:3], s[10:11]
	s_or_b64 exec, exec, s[6:7]
	s_and_saveexec_b64 s[6:7], s[2:3]
	s_cbranch_execnz .LBB324_710
	s_branch .LBB324_711
.LBB324_738:
	s_mov_b64 s[8:9], -1
                                        ; implicit-def: $vgpr3
.LBB324_739:
	s_mov_b64 s[6:7], 0
.LBB324_740:
	s_and_b64 vcc, exec, s[6:7]
	s_cbranch_vccz .LBB324_746
; %bb.741:
	s_cmp_eq_u32 s12, 11
	s_cbranch_scc0 .LBB324_745
; %bb.742:
	global_load_ubyte v3, v[1:2], off
	s_movk_i32 s2, 0xff
	s_waitcnt vmcnt(0)
	v_cmp_ne_u16_e32 vcc, 0, v3
	v_cndmask_b32_e64 v6, 0, 1.0, vcc
	v_lshrrev_b32_e32 v5, 23, v6
	v_cmp_ne_u32_e32 vcc, s2, v5
	v_mov_b32_e32 v3, 0xff
	s_and_saveexec_b64 s[6:7], vcc
; %bb.743:
	v_and_b32_e32 v3, 0x400000, v6
	s_mov_b32 s2, 0x3fffff
	v_cmp_ne_u32_e32 vcc, 0, v3
	v_and_or_b32 v3, v6, s2, v5
	v_cmp_ne_u32_e64 s[2:3], 0, v3
	s_and_b64 s[2:3], vcc, s[2:3]
	v_cndmask_b32_e64 v3, 0, 1, s[2:3]
	v_add_u32_e32 v3, v5, v3
; %bb.744:
	s_or_b64 exec, exec, s[6:7]
	s_mov_b64 s[2:3], -1
	s_mov_b64 s[8:9], 0
	s_branch .LBB324_746
.LBB324_745:
	s_mov_b64 s[8:9], -1
                                        ; implicit-def: $vgpr3
.LBB324_746:
	s_mov_b64 s[6:7], 0
.LBB324_747:
	s_and_b64 vcc, exec, s[6:7]
	s_cbranch_vccz .LBB324_818
; %bb.748:
	s_cmp_lt_i32 s12, 5
	s_cbranch_scc1 .LBB324_755
; %bb.749:
	s_cmp_lt_i32 s12, 8
	s_cbranch_scc1 .LBB324_756
	;; [unrolled: 3-line block ×3, first 2 shown]
; %bb.751:
	s_cmp_gt_i32 s12, 9
	s_cbranch_scc0 .LBB324_758
; %bb.752:
	global_load_dwordx2 v[5:6], v[1:2], off
	s_movk_i32 s2, 0xff
	s_waitcnt vmcnt(1)
	v_mov_b32_e32 v3, 0xff
	s_waitcnt vmcnt(0)
	v_cvt_f32_f64_e32 v5, v[5:6]
	v_bfe_u32 v6, v5, 23, 8
	v_cmp_ne_u32_e32 vcc, s2, v6
	s_and_saveexec_b64 s[6:7], vcc
; %bb.753:
	s_mov_b32 s2, 0x3fffff
	v_lshrrev_b32_e32 v3, 23, v5
	v_and_b32_e32 v7, 0x400000, v5
	v_and_or_b32 v5, v5, s2, v6
	v_cmp_ne_u32_e32 vcc, 0, v7
	v_cmp_ne_u32_e64 s[2:3], 0, v5
	s_and_b64 s[2:3], vcc, s[2:3]
	v_cndmask_b32_e64 v5, 0, 1, s[2:3]
	v_add_u32_e32 v3, v3, v5
; %bb.754:
	s_or_b64 exec, exec, s[6:7]
	s_mov_b64 s[2:3], 0
	s_branch .LBB324_759
.LBB324_755:
	s_mov_b64 s[2:3], -1
                                        ; implicit-def: $vgpr3
	s_branch .LBB324_787
.LBB324_756:
	s_mov_b64 s[2:3], -1
                                        ; implicit-def: $vgpr3
	s_branch .LBB324_769
.LBB324_757:
	s_mov_b64 s[2:3], -1
                                        ; implicit-def: $vgpr3
	s_branch .LBB324_764
.LBB324_758:
	s_mov_b64 s[2:3], -1
                                        ; implicit-def: $vgpr3
.LBB324_759:
	s_andn2_b64 vcc, exec, s[2:3]
	s_cbranch_vccnz .LBB324_763
; %bb.760:
	global_load_dword v5, v[1:2], off
	s_movk_i32 s2, 0xff
	s_waitcnt vmcnt(1)
	v_mov_b32_e32 v3, 0xff
	s_waitcnt vmcnt(0)
	v_bfe_u32 v6, v5, 23, 8
	v_cmp_ne_u32_e32 vcc, s2, v6
	s_and_saveexec_b64 s[6:7], vcc
; %bb.761:
	s_mov_b32 s2, 0x3fffff
	v_lshrrev_b32_e32 v3, 23, v5
	v_and_b32_e32 v7, 0x400000, v5
	v_and_or_b32 v5, v5, s2, v6
	v_cmp_ne_u32_e32 vcc, 0, v7
	v_cmp_ne_u32_e64 s[2:3], 0, v5
	s_and_b64 s[2:3], vcc, s[2:3]
	v_cndmask_b32_e64 v5, 0, 1, s[2:3]
	v_add_u32_e32 v3, v3, v5
; %bb.762:
	s_or_b64 exec, exec, s[6:7]
.LBB324_763:
	s_mov_b64 s[2:3], 0
.LBB324_764:
	s_andn2_b64 vcc, exec, s[2:3]
	s_cbranch_vccnz .LBB324_768
; %bb.765:
	global_load_dword v3, v[1:2], off
	s_movk_i32 s2, 0xff
	s_waitcnt vmcnt(0)
	v_cvt_f32_f16_e32 v5, v3
	v_mov_b32_e32 v3, 0xff
	v_bfe_u32 v6, v5, 23, 8
	v_cmp_ne_u32_e32 vcc, s2, v6
	s_and_saveexec_b64 s[6:7], vcc
; %bb.766:
	s_mov_b32 s2, 0x3fffff
	v_lshrrev_b32_e32 v3, 23, v5
	v_and_b32_e32 v7, 0x400000, v5
	v_and_or_b32 v5, v5, s2, v6
	v_cmp_ne_u32_e32 vcc, 0, v7
	v_cmp_ne_u32_e64 s[2:3], 0, v5
	s_and_b64 s[2:3], vcc, s[2:3]
	v_cndmask_b32_e64 v5, 0, 1, s[2:3]
	v_add_u32_e32 v3, v3, v5
; %bb.767:
	s_or_b64 exec, exec, s[6:7]
.LBB324_768:
	s_mov_b64 s[2:3], 0
.LBB324_769:
	s_andn2_b64 vcc, exec, s[2:3]
	s_cbranch_vccnz .LBB324_786
; %bb.770:
	s_cmp_lt_i32 s12, 6
	s_cbranch_scc1 .LBB324_775
; %bb.771:
	s_cmp_gt_i32 s12, 6
	s_cbranch_scc0 .LBB324_776
; %bb.772:
	global_load_dwordx2 v[5:6], v[1:2], off
	s_movk_i32 s2, 0xff
	s_waitcnt vmcnt(1)
	v_mov_b32_e32 v3, 0xff
	s_waitcnt vmcnt(0)
	v_cvt_f32_f64_e32 v5, v[5:6]
	v_bfe_u32 v6, v5, 23, 8
	v_cmp_ne_u32_e32 vcc, s2, v6
	s_and_saveexec_b64 s[6:7], vcc
; %bb.773:
	s_mov_b32 s2, 0x3fffff
	v_lshrrev_b32_e32 v3, 23, v5
	v_and_b32_e32 v7, 0x400000, v5
	v_and_or_b32 v5, v5, s2, v6
	v_cmp_ne_u32_e32 vcc, 0, v7
	v_cmp_ne_u32_e64 s[2:3], 0, v5
	s_and_b64 s[2:3], vcc, s[2:3]
	v_cndmask_b32_e64 v5, 0, 1, s[2:3]
	v_add_u32_e32 v3, v3, v5
; %bb.774:
	s_or_b64 exec, exec, s[6:7]
	s_mov_b64 s[2:3], 0
	s_branch .LBB324_777
.LBB324_775:
	s_mov_b64 s[2:3], -1
                                        ; implicit-def: $vgpr3
	s_branch .LBB324_782
.LBB324_776:
	s_mov_b64 s[2:3], -1
                                        ; implicit-def: $vgpr3
.LBB324_777:
	s_andn2_b64 vcc, exec, s[2:3]
	s_cbranch_vccnz .LBB324_781
; %bb.778:
	global_load_dword v5, v[1:2], off
	s_movk_i32 s2, 0xff
	s_waitcnt vmcnt(1)
	v_mov_b32_e32 v3, 0xff
	s_waitcnt vmcnt(0)
	v_bfe_u32 v6, v5, 23, 8
	v_cmp_ne_u32_e32 vcc, s2, v6
	s_and_saveexec_b64 s[6:7], vcc
; %bb.779:
	s_mov_b32 s2, 0x3fffff
	v_lshrrev_b32_e32 v3, 23, v5
	v_and_b32_e32 v7, 0x400000, v5
	v_and_or_b32 v5, v5, s2, v6
	v_cmp_ne_u32_e32 vcc, 0, v7
	v_cmp_ne_u32_e64 s[2:3], 0, v5
	s_and_b64 s[2:3], vcc, s[2:3]
	v_cndmask_b32_e64 v5, 0, 1, s[2:3]
	v_add_u32_e32 v3, v3, v5
; %bb.780:
	s_or_b64 exec, exec, s[6:7]
.LBB324_781:
	s_mov_b64 s[2:3], 0
.LBB324_782:
	s_andn2_b64 vcc, exec, s[2:3]
	s_cbranch_vccnz .LBB324_786
; %bb.783:
	global_load_ushort v3, v[1:2], off
	s_movk_i32 s2, 0xff
	s_waitcnt vmcnt(0)
	v_cvt_f32_f16_e32 v5, v3
	v_mov_b32_e32 v3, 0xff
	v_bfe_u32 v6, v5, 23, 8
	v_cmp_ne_u32_e32 vcc, s2, v6
	s_and_saveexec_b64 s[6:7], vcc
; %bb.784:
	s_mov_b32 s2, 0x3fffff
	v_lshrrev_b32_e32 v3, 23, v5
	v_and_b32_e32 v7, 0x400000, v5
	v_and_or_b32 v5, v5, s2, v6
	v_cmp_ne_u32_e32 vcc, 0, v7
	v_cmp_ne_u32_e64 s[2:3], 0, v5
	s_and_b64 s[2:3], vcc, s[2:3]
	v_cndmask_b32_e64 v5, 0, 1, s[2:3]
	v_add_u32_e32 v3, v3, v5
; %bb.785:
	s_or_b64 exec, exec, s[6:7]
.LBB324_786:
	s_mov_b64 s[2:3], 0
.LBB324_787:
	s_andn2_b64 vcc, exec, s[2:3]
	s_cbranch_vccnz .LBB324_817
; %bb.788:
	s_cmp_lt_i32 s12, 2
	s_cbranch_scc1 .LBB324_794
; %bb.789:
	s_cmp_lt_i32 s12, 3
	s_cbranch_scc1 .LBB324_795
; %bb.790:
	s_cmp_gt_i32 s12, 3
	s_cbranch_scc0 .LBB324_796
; %bb.791:
	global_load_dwordx2 v[5:6], v[1:2], off
	s_movk_i32 s2, 0xff
	s_waitcnt vmcnt(0)
	v_xor_b32_e32 v7, v5, v6
	v_ffbh_i32_e32 v3, v6
	v_ashrrev_i32_e32 v7, 31, v7
	v_add_u32_e32 v3, -1, v3
	v_add_u32_e32 v7, 32, v7
	v_min_u32_e32 v3, v3, v7
	v_lshlrev_b64 v[5:6], v3, v[5:6]
	v_sub_u32_e32 v3, 32, v3
	v_min_u32_e32 v5, 1, v5
	v_or_b32_e32 v5, v6, v5
	v_cvt_f32_i32_e32 v5, v5
	v_ldexp_f32 v5, v5, v3
	v_bfe_u32 v6, v5, 23, 8
	v_cmp_ne_u32_e32 vcc, s2, v6
	v_mov_b32_e32 v3, 0xff
	s_and_saveexec_b64 s[6:7], vcc
; %bb.792:
	s_mov_b32 s2, 0x3fffff
	v_lshrrev_b32_e32 v3, 23, v5
	v_and_b32_e32 v7, 0x400000, v5
	v_and_or_b32 v5, v5, s2, v6
	v_cmp_ne_u32_e32 vcc, 0, v7
	v_cmp_ne_u32_e64 s[2:3], 0, v5
	s_and_b64 s[2:3], vcc, s[2:3]
	v_cndmask_b32_e64 v5, 0, 1, s[2:3]
	v_add_u32_e32 v3, v3, v5
; %bb.793:
	s_or_b64 exec, exec, s[6:7]
	s_mov_b64 s[2:3], 0
	s_branch .LBB324_797
.LBB324_794:
	s_mov_b64 s[2:3], -1
                                        ; implicit-def: $vgpr3
	s_branch .LBB324_807
.LBB324_795:
	s_mov_b64 s[2:3], -1
                                        ; implicit-def: $vgpr3
	s_branch .LBB324_802
.LBB324_796:
	s_mov_b64 s[2:3], -1
                                        ; implicit-def: $vgpr3
.LBB324_797:
	s_andn2_b64 vcc, exec, s[2:3]
	s_cbranch_vccnz .LBB324_801
; %bb.798:
	global_load_dword v3, v[1:2], off
	s_movk_i32 s2, 0xff
	s_waitcnt vmcnt(0)
	v_cvt_f32_i32_e32 v5, v3
	v_mov_b32_e32 v3, 0xff
	v_bfe_u32 v6, v5, 23, 8
	v_cmp_ne_u32_e32 vcc, s2, v6
	s_and_saveexec_b64 s[6:7], vcc
; %bb.799:
	s_mov_b32 s2, 0x3fffff
	v_lshrrev_b32_e32 v3, 23, v5
	v_and_b32_e32 v7, 0x400000, v5
	v_and_or_b32 v5, v5, s2, v6
	v_cmp_ne_u32_e32 vcc, 0, v7
	v_cmp_ne_u32_e64 s[2:3], 0, v5
	s_and_b64 s[2:3], vcc, s[2:3]
	v_cndmask_b32_e64 v5, 0, 1, s[2:3]
	v_add_u32_e32 v3, v3, v5
; %bb.800:
	s_or_b64 exec, exec, s[6:7]
.LBB324_801:
	s_mov_b64 s[2:3], 0
.LBB324_802:
	s_andn2_b64 vcc, exec, s[2:3]
	s_cbranch_vccnz .LBB324_806
; %bb.803:
	global_load_sshort v3, v[1:2], off
	s_movk_i32 s2, 0xff
	s_waitcnt vmcnt(0)
	v_cvt_f32_i32_e32 v5, v3
	v_mov_b32_e32 v3, 0xff
	v_bfe_u32 v6, v5, 23, 8
	v_cmp_ne_u32_e32 vcc, s2, v6
	s_and_saveexec_b64 s[6:7], vcc
; %bb.804:
	s_mov_b32 s2, 0x3fffff
	v_lshrrev_b32_e32 v3, 23, v5
	v_and_b32_e32 v7, 0x400000, v5
	v_and_or_b32 v5, v5, s2, v6
	v_cmp_ne_u32_e32 vcc, 0, v7
	v_cmp_ne_u32_e64 s[2:3], 0, v5
	s_and_b64 s[2:3], vcc, s[2:3]
	v_cndmask_b32_e64 v5, 0, 1, s[2:3]
	v_add_u32_e32 v3, v3, v5
; %bb.805:
	s_or_b64 exec, exec, s[6:7]
.LBB324_806:
	s_mov_b64 s[2:3], 0
.LBB324_807:
	s_andn2_b64 vcc, exec, s[2:3]
	s_cbranch_vccnz .LBB324_817
; %bb.808:
	s_cmp_gt_i32 s12, 0
	s_cbranch_scc0 .LBB324_812
; %bb.809:
	global_load_sbyte v3, v[1:2], off
	s_movk_i32 s2, 0xff
	s_waitcnt vmcnt(0)
	v_cvt_f32_i32_e32 v5, v3
	v_mov_b32_e32 v3, 0xff
	v_bfe_u32 v6, v5, 23, 8
	v_cmp_ne_u32_e32 vcc, s2, v6
	s_and_saveexec_b64 s[6:7], vcc
; %bb.810:
	s_mov_b32 s2, 0x3fffff
	v_lshrrev_b32_e32 v3, 23, v5
	v_and_b32_e32 v7, 0x400000, v5
	v_and_or_b32 v5, v5, s2, v6
	v_cmp_ne_u32_e32 vcc, 0, v7
	v_cmp_ne_u32_e64 s[2:3], 0, v5
	s_and_b64 s[2:3], vcc, s[2:3]
	v_cndmask_b32_e64 v5, 0, 1, s[2:3]
	v_add_u32_e32 v3, v3, v5
; %bb.811:
	s_or_b64 exec, exec, s[6:7]
	s_mov_b64 s[2:3], 0
	s_branch .LBB324_813
.LBB324_812:
	s_mov_b64 s[2:3], -1
                                        ; implicit-def: $vgpr3
.LBB324_813:
	s_andn2_b64 vcc, exec, s[2:3]
	s_cbranch_vccnz .LBB324_817
; %bb.814:
	global_load_ubyte v1, v[1:2], off
	s_movk_i32 s2, 0xff
	s_waitcnt vmcnt(1)
	v_mov_b32_e32 v3, 0xff
	s_waitcnt vmcnt(0)
	v_cvt_f32_ubyte0_e32 v2, v1
	v_lshrrev_b32_e32 v1, 23, v2
	v_cmp_ne_u32_e32 vcc, s2, v1
	s_and_saveexec_b64 s[6:7], vcc
; %bb.815:
	s_mov_b32 s2, 0x3fffff
	v_and_b32_e32 v3, 0x400000, v2
	v_and_or_b32 v2, v2, s2, v1
	v_cmp_ne_u32_e32 vcc, 0, v3
	v_cmp_ne_u32_e64 s[2:3], 0, v2
	s_and_b64 s[2:3], vcc, s[2:3]
	v_cndmask_b32_e64 v2, 0, 1, s[2:3]
	v_add_u32_e32 v3, v1, v2
; %bb.816:
	s_or_b64 exec, exec, s[6:7]
.LBB324_817:
	s_mov_b64 s[2:3], -1
.LBB324_818:
	s_andn2_b64 vcc, exec, s[2:3]
	s_cbranch_vccnz .LBB324_826
; %bb.819:
	s_movk_i32 s2, 0xff
	v_mov_b32_e32 v1, 23
	s_waitcnt vmcnt(0)
	v_lshlrev_b32_sdwa v1, v1, v3 dst_sel:DWORD dst_unused:UNUSED_PAD src0_sel:DWORD src1_sel:BYTE_0
	v_mov_b32_e32 v2, 0x7f800001
	v_cmp_ne_u16_sdwa vcc, v3, s2 src0_sel:BYTE_0 src1_sel:DWORD
	v_cndmask_b32_e32 v1, v2, v1, vcc
	v_mov_b32_e32 v2, 0
	v_mov_b32_e32 v5, 0x400000
	v_cmp_ne_u16_sdwa vcc, v3, v2 src0_sel:BYTE_0 src1_sel:DWORD
	v_cndmask_b32_e32 v1, v5, v1, vcc
	v_cmp_eq_f32_e32 vcc, v4, v1
	v_cndmask_b32_e64 v2, 0, 1, vcc
	v_cmp_neq_f32_e32 vcc, v4, v1
	v_cndmask_b32_e64 v1, 0, 1, vcc
	v_cndmask_b32_e64 v1, v1, v2, s[0:1]
	v_and_b32_e32 v1, 1, v1
	v_cmp_eq_u32_e64 s[2:3], 1, v1
	v_mov_b32_e32 v1, s25
	s_and_b32 s16, s77, 0xff
	v_add_co_u32_e32 v0, vcc, s24, v0
	s_cmp_lt_i32 s16, 11
	v_addc_co_u32_e32 v1, vcc, 0, v1, vcc
	s_cbranch_scc1 .LBB324_827
; %bb.820:
	s_and_b32 s17, 0xffff, s16
	s_cmp_gt_i32 s17, 25
	s_cbranch_scc0 .LBB324_828
; %bb.821:
	s_cmp_gt_i32 s17, 28
	s_cbranch_scc0 .LBB324_829
; %bb.822:
	;; [unrolled: 3-line block ×4, first 2 shown]
	s_mov_b64 s[12:13], 0
	s_mov_b64 s[6:7], -1
	s_cmp_eq_u32 s17, 46
	s_mov_b64 s[10:11], 0
	s_cbranch_scc0 .LBB324_832
; %bb.825:
	v_cndmask_b32_e64 v2, 0, 1.0, s[2:3]
	v_bfe_u32 v3, v2, 16, 1
	s_movk_i32 s6, 0x7fff
	v_add3_u32 v2, v2, v3, s6
	v_lshrrev_b32_e32 v2, 16, v2
	global_store_dword v[0:1], v2, off
	s_mov_b64 s[10:11], -1
	s_mov_b64 s[6:7], 0
	s_branch .LBB324_832
.LBB324_826:
	s_mov_b64 s[2:3], 0
	s_mov_b64 s[6:7], s[66:67]
	s_branch .LBB324_943
.LBB324_827:
	s_mov_b64 s[12:13], -1
	s_mov_b64 s[10:11], 0
	s_mov_b64 s[6:7], s[66:67]
	s_branch .LBB324_901
.LBB324_828:
	s_mov_b64 s[12:13], -1
	s_mov_b64 s[10:11], 0
	s_mov_b64 s[6:7], s[66:67]
	s_branch .LBB324_859
.LBB324_829:
	s_mov_b64 s[12:13], -1
	s_mov_b64 s[10:11], 0
	s_mov_b64 s[6:7], s[66:67]
	s_branch .LBB324_842
.LBB324_830:
	s_mov_b64 s[12:13], -1
	s_mov_b64 s[10:11], 0
	s_mov_b64 s[6:7], s[66:67]
	s_branch .LBB324_838
.LBB324_831:
	s_mov_b64 s[12:13], -1
	s_mov_b64 s[10:11], 0
	s_mov_b64 s[6:7], s[66:67]
.LBB324_832:
	s_and_b64 vcc, exec, s[12:13]
	s_cbranch_vccz .LBB324_837
; %bb.833:
	s_cmp_eq_u32 s17, 44
	s_mov_b64 s[6:7], -1
	s_cbranch_scc0 .LBB324_837
; %bb.834:
	v_cndmask_b32_e64 v3, 0, 1.0, s[2:3]
	v_lshrrev_b32_e32 v2, 23, v3
	s_movk_i32 s6, 0xff
	v_cmp_ne_u32_e32 vcc, s6, v2
	v_mov_b32_e32 v5, 0xff
	s_and_saveexec_b64 s[10:11], vcc
; %bb.835:
	s_mov_b32 s6, 0x3fffff
	v_and_b32_e32 v5, 0x400000, v3
	v_and_or_b32 v3, v3, s6, v2
	v_cmp_ne_u32_e32 vcc, 0, v5
	v_cmp_ne_u32_e64 s[6:7], 0, v3
	s_and_b64 s[6:7], vcc, s[6:7]
	v_cndmask_b32_e64 v3, 0, 1, s[6:7]
	v_add_u32_e32 v5, v2, v3
; %bb.836:
	s_or_b64 exec, exec, s[10:11]
	s_mov_b64 s[10:11], -1
	s_mov_b64 s[6:7], 0
	global_store_byte v[0:1], v5, off
.LBB324_837:
	s_mov_b64 s[12:13], 0
.LBB324_838:
	s_and_b64 vcc, exec, s[12:13]
	s_cbranch_vccz .LBB324_841
; %bb.839:
	s_cmp_eq_u32 s17, 29
	s_mov_b64 s[6:7], -1
	s_cbranch_scc0 .LBB324_841
; %bb.840:
	s_mov_b32 s6, 0
	v_cndmask_b32_e64 v2, 0, 1, s[2:3]
	v_mov_b32_e32 v3, s6
	global_store_dwordx2 v[0:1], v[2:3], off
	s_mov_b64 s[10:11], -1
	s_mov_b64 s[6:7], 0
.LBB324_841:
	s_mov_b64 s[12:13], 0
.LBB324_842:
	s_and_b64 vcc, exec, s[12:13]
	s_cbranch_vccz .LBB324_858
; %bb.843:
	s_cmp_lt_i32 s17, 27
	s_mov_b64 s[10:11], -1
	s_cbranch_scc1 .LBB324_849
; %bb.844:
	s_cmp_gt_i32 s17, 27
	s_cbranch_scc0 .LBB324_846
; %bb.845:
	v_cndmask_b32_e64 v2, 0, 1, s[2:3]
	s_mov_b64 s[10:11], 0
	global_store_dword v[0:1], v2, off
.LBB324_846:
	s_andn2_b64 vcc, exec, s[10:11]
	s_cbranch_vccnz .LBB324_848
; %bb.847:
	v_cndmask_b32_e64 v2, 0, 1, s[2:3]
	global_store_short v[0:1], v2, off
.LBB324_848:
	s_mov_b64 s[10:11], 0
.LBB324_849:
	s_andn2_b64 vcc, exec, s[10:11]
	s_cbranch_vccnz .LBB324_857
; %bb.850:
	v_cndmask_b32_e64 v3, 0, 1.0, s[2:3]
	s_mov_b32 s10, 0x43800000
	v_cmp_gt_u32_e32 vcc, s10, v3
	v_mov_b32_e32 v5, 0x80
	s_and_saveexec_b64 s[10:11], vcc
	s_cbranch_execz .LBB324_856
; %bb.851:
	s_mov_b32 s12, 0x3bffffff
	v_cmp_lt_u32_e32 vcc, s12, v3
	s_mov_b64 s[12:13], 0
                                        ; implicit-def: $vgpr2
	s_and_saveexec_b64 s[14:15], vcc
	s_xor_b64 s[14:15], exec, s[14:15]
	s_cbranch_execz .LBB324_975
; %bb.852:
	v_bfe_u32 v2, v3, 20, 1
	s_mov_b32 s18, 0x487ffff
	v_add3_u32 v2, v3, v2, s18
	s_mov_b64 s[12:13], exec
	v_lshrrev_b32_e32 v2, 20, v2
                                        ; implicit-def: $vgpr3
	s_andn2_saveexec_b64 s[14:15], s[14:15]
	s_cbranch_execnz .LBB324_976
.LBB324_853:
	s_or_b64 exec, exec, s[14:15]
	v_mov_b32_e32 v5, 0
	s_and_saveexec_b64 s[14:15], s[12:13]
.LBB324_854:
	v_mov_b32_e32 v5, v2
.LBB324_855:
	s_or_b64 exec, exec, s[14:15]
.LBB324_856:
	s_or_b64 exec, exec, s[10:11]
	global_store_byte v[0:1], v5, off
.LBB324_857:
	s_mov_b64 s[10:11], -1
.LBB324_858:
	s_mov_b64 s[12:13], 0
.LBB324_859:
	s_and_b64 vcc, exec, s[12:13]
	s_cbranch_vccz .LBB324_900
; %bb.860:
	s_cmp_gt_i32 s17, 22
	s_mov_b64 s[12:13], -1
	s_cbranch_scc0 .LBB324_892
; %bb.861:
	s_cmp_lt_i32 s17, 24
	s_mov_b64 s[10:11], -1
	s_cbranch_scc1 .LBB324_881
; %bb.862:
	s_cmp_gt_i32 s17, 24
	s_cbranch_scc0 .LBB324_870
; %bb.863:
	v_cndmask_b32_e64 v3, 0, 1.0, s[2:3]
	s_mov_b32 s10, 0x47800000
	v_cmp_gt_u32_e32 vcc, s10, v3
	v_mov_b32_e32 v5, 0x80
	s_and_saveexec_b64 s[10:11], vcc
	s_cbranch_execz .LBB324_869
; %bb.864:
	s_mov_b32 s12, 0x37ffffff
	v_cmp_lt_u32_e32 vcc, s12, v3
	s_mov_b64 s[12:13], 0
                                        ; implicit-def: $vgpr2
	s_and_saveexec_b64 s[14:15], vcc
	s_xor_b64 s[14:15], exec, s[14:15]
	s_cbranch_execz .LBB324_978
; %bb.865:
	v_bfe_u32 v2, v3, 21, 1
	s_mov_b32 s18, 0x88fffff
	v_add3_u32 v2, v3, v2, s18
	s_mov_b64 s[12:13], exec
	v_lshrrev_b32_e32 v2, 21, v2
                                        ; implicit-def: $vgpr3
	s_andn2_saveexec_b64 s[14:15], s[14:15]
	s_cbranch_execnz .LBB324_979
.LBB324_866:
	s_or_b64 exec, exec, s[14:15]
	v_mov_b32_e32 v5, 0
	s_and_saveexec_b64 s[14:15], s[12:13]
.LBB324_867:
	v_mov_b32_e32 v5, v2
.LBB324_868:
	s_or_b64 exec, exec, s[14:15]
.LBB324_869:
	s_or_b64 exec, exec, s[10:11]
	s_mov_b64 s[10:11], 0
	global_store_byte v[0:1], v5, off
.LBB324_870:
	s_and_b64 vcc, exec, s[10:11]
	s_cbranch_vccz .LBB324_880
; %bb.871:
	v_cndmask_b32_e64 v2, 0, 1.0, s[2:3]
	s_mov_b32 s10, 0x43f00000
	v_cmp_gt_u32_e32 vcc, s10, v2
                                        ; implicit-def: $vgpr3
	s_and_saveexec_b64 s[10:11], vcc
	s_xor_b64 s[10:11], exec, s[10:11]
	s_cbranch_execz .LBB324_877
; %bb.872:
	s_mov_b32 s12, 0x3c7fffff
	v_cmp_lt_u32_e32 vcc, s12, v2
                                        ; implicit-def: $vgpr3
	s_and_saveexec_b64 s[12:13], vcc
	s_xor_b64 s[12:13], exec, s[12:13]
; %bb.873:
	v_bfe_u32 v3, v2, 20, 1
	s_mov_b32 s14, 0x407ffff
	v_add3_u32 v2, v2, v3, s14
	v_lshrrev_b32_e32 v3, 20, v2
	v_and_b32_e32 v2, 0xff00000, v2
	s_mov_b32 s14, 0x7f00000
	v_mov_b32_e32 v5, 0x7e
	v_cmp_ne_u32_e32 vcc, s14, v2
	v_cndmask_b32_e32 v3, v5, v3, vcc
                                        ; implicit-def: $vgpr2
; %bb.874:
	s_andn2_saveexec_b64 s[12:13], s[12:13]
; %bb.875:
	v_add_f32_e32 v3, 0x46800000, v2
; %bb.876:
	s_or_b64 exec, exec, s[12:13]
                                        ; implicit-def: $vgpr2
.LBB324_877:
	s_andn2_saveexec_b64 s[10:11], s[10:11]
; %bb.878:
	s_mov_b32 s12, 0x7f800000
	v_mov_b32_e32 v3, 0x7e
	v_mov_b32_e32 v5, 0x7f
	v_cmp_lt_u32_e32 vcc, s12, v2
	v_cndmask_b32_e32 v3, v3, v5, vcc
; %bb.879:
	s_or_b64 exec, exec, s[10:11]
	global_store_byte v[0:1], v3, off
.LBB324_880:
	s_mov_b64 s[10:11], 0
.LBB324_881:
	s_andn2_b64 vcc, exec, s[10:11]
	s_cbranch_vccnz .LBB324_891
; %bb.882:
	v_cndmask_b32_e64 v2, 0, 1.0, s[2:3]
	s_mov_b32 s10, 0x47800000
	v_cmp_gt_u32_e32 vcc, s10, v2
                                        ; implicit-def: $vgpr3
	s_and_saveexec_b64 s[10:11], vcc
	s_xor_b64 s[10:11], exec, s[10:11]
	s_cbranch_execz .LBB324_888
; %bb.883:
	s_mov_b32 s12, 0x387fffff
	v_cmp_lt_u32_e32 vcc, s12, v2
                                        ; implicit-def: $vgpr3
	s_and_saveexec_b64 s[12:13], vcc
	s_xor_b64 s[12:13], exec, s[12:13]
; %bb.884:
	v_bfe_u32 v3, v2, 21, 1
	s_mov_b32 s14, 0x80fffff
	v_add3_u32 v2, v2, v3, s14
	v_lshrrev_b32_e32 v3, 21, v2
                                        ; implicit-def: $vgpr2
; %bb.885:
	s_andn2_saveexec_b64 s[12:13], s[12:13]
; %bb.886:
	v_add_f32_e32 v3, 0x43000000, v2
; %bb.887:
	s_or_b64 exec, exec, s[12:13]
                                        ; implicit-def: $vgpr2
.LBB324_888:
	s_andn2_saveexec_b64 s[10:11], s[10:11]
; %bb.889:
	s_mov_b32 s12, 0x7f800000
	v_mov_b32_e32 v3, 0x7c
	v_mov_b32_e32 v5, 0x7f
	v_cmp_lt_u32_e32 vcc, s12, v2
	v_cndmask_b32_e32 v3, v3, v5, vcc
; %bb.890:
	s_or_b64 exec, exec, s[10:11]
	global_store_byte v[0:1], v3, off
.LBB324_891:
	s_mov_b64 s[12:13], 0
	s_mov_b64 s[10:11], -1
.LBB324_892:
	s_andn2_b64 vcc, exec, s[12:13]
	s_cbranch_vccnz .LBB324_900
; %bb.893:
	s_cmp_gt_i32 s17, 14
	s_mov_b64 s[12:13], -1
	s_cbranch_scc0 .LBB324_897
; %bb.894:
	s_cmp_eq_u32 s17, 15
	s_mov_b64 s[6:7], -1
	s_cbranch_scc0 .LBB324_896
; %bb.895:
	v_cndmask_b32_e64 v2, 0, 1.0, s[2:3]
	v_bfe_u32 v3, v2, 16, 1
	s_movk_i32 s6, 0x7fff
	v_add3_u32 v2, v2, v3, s6
	global_store_short_d16_hi v[0:1], v2, off
	s_mov_b64 s[10:11], -1
	s_mov_b64 s[6:7], 0
.LBB324_896:
	s_mov_b64 s[12:13], 0
.LBB324_897:
	s_and_b64 vcc, exec, s[12:13]
	s_cbranch_vccz .LBB324_900
; %bb.898:
	s_cmp_eq_u32 s17, 11
	s_mov_b64 s[6:7], -1
	s_cbranch_scc0 .LBB324_900
; %bb.899:
	v_cndmask_b32_e64 v2, 0, 1, s[2:3]
	s_mov_b64 s[10:11], -1
	s_mov_b64 s[6:7], 0
	global_store_byte v[0:1], v2, off
.LBB324_900:
	s_mov_b64 s[12:13], 0
.LBB324_901:
	s_and_b64 vcc, exec, s[12:13]
	s_cbranch_vccz .LBB324_940
; %bb.902:
	s_and_b32 s12, 0xffff, s16
	s_cmp_lt_i32 s12, 5
	s_mov_b64 s[10:11], -1
	s_cbranch_scc1 .LBB324_923
; %bb.903:
	s_cmp_lt_i32 s12, 8
	s_cbranch_scc1 .LBB324_913
; %bb.904:
	s_cmp_lt_i32 s12, 9
	s_cbranch_scc1 .LBB324_910
; %bb.905:
	s_cmp_gt_i32 s12, 9
	s_cbranch_scc0 .LBB324_907
; %bb.906:
	v_cndmask_b32_e64 v2, 0, 1, s[2:3]
	v_cvt_f64_u32_e32 v[9:10], v2
	v_mov_b32_e32 v11, 0
	v_mov_b32_e32 v12, v11
	s_mov_b64 s[10:11], 0
	global_store_dwordx4 v[0:1], v[9:12], off
.LBB324_907:
	s_andn2_b64 vcc, exec, s[10:11]
	s_cbranch_vccnz .LBB324_909
; %bb.908:
	v_cndmask_b32_e64 v2, 0, 1.0, s[2:3]
	v_mov_b32_e32 v3, 0
	global_store_dwordx2 v[0:1], v[2:3], off
.LBB324_909:
	s_mov_b64 s[10:11], 0
.LBB324_910:
	s_andn2_b64 vcc, exec, s[10:11]
	s_cbranch_vccnz .LBB324_912
; %bb.911:
	v_cndmask_b32_e64 v2, 0, 1.0, s[2:3]
	v_cvt_f16_f32_e32 v2, v2
	global_store_dword v[0:1], v2, off
.LBB324_912:
	s_mov_b64 s[10:11], 0
.LBB324_913:
	s_andn2_b64 vcc, exec, s[10:11]
	s_cbranch_vccnz .LBB324_922
; %bb.914:
	s_cmp_lt_i32 s12, 6
	s_mov_b64 s[10:11], -1
	s_cbranch_scc1 .LBB324_920
; %bb.915:
	s_cmp_gt_i32 s12, 6
	s_cbranch_scc0 .LBB324_917
; %bb.916:
	v_cndmask_b32_e64 v2, 0, 1, s[2:3]
	v_cvt_f64_u32_e32 v[2:3], v2
	s_mov_b64 s[10:11], 0
	global_store_dwordx2 v[0:1], v[2:3], off
.LBB324_917:
	s_andn2_b64 vcc, exec, s[10:11]
	s_cbranch_vccnz .LBB324_919
; %bb.918:
	v_cndmask_b32_e64 v2, 0, 1.0, s[2:3]
	global_store_dword v[0:1], v2, off
.LBB324_919:
	s_mov_b64 s[10:11], 0
.LBB324_920:
	s_andn2_b64 vcc, exec, s[10:11]
	s_cbranch_vccnz .LBB324_922
; %bb.921:
	v_cndmask_b32_e64 v2, 0, 1.0, s[2:3]
	v_cvt_f16_f32_e32 v2, v2
	global_store_short v[0:1], v2, off
.LBB324_922:
	s_mov_b64 s[10:11], 0
.LBB324_923:
	s_andn2_b64 vcc, exec, s[10:11]
	s_cbranch_vccnz .LBB324_939
; %bb.924:
	s_cmp_lt_i32 s12, 2
	s_mov_b64 s[10:11], -1
	s_cbranch_scc1 .LBB324_934
; %bb.925:
	s_cmp_lt_i32 s12, 3
	s_cbranch_scc1 .LBB324_931
; %bb.926:
	s_cmp_gt_i32 s12, 3
	s_cbranch_scc0 .LBB324_928
; %bb.927:
	s_mov_b32 s10, 0
	v_cndmask_b32_e64 v2, 0, 1, s[2:3]
	v_mov_b32_e32 v3, s10
	s_mov_b64 s[10:11], 0
	global_store_dwordx2 v[0:1], v[2:3], off
.LBB324_928:
	s_andn2_b64 vcc, exec, s[10:11]
	s_cbranch_vccnz .LBB324_930
; %bb.929:
	v_cndmask_b32_e64 v2, 0, 1, s[2:3]
	global_store_dword v[0:1], v2, off
.LBB324_930:
	s_mov_b64 s[10:11], 0
.LBB324_931:
	s_andn2_b64 vcc, exec, s[10:11]
	s_cbranch_vccnz .LBB324_933
; %bb.932:
	v_cndmask_b32_e64 v2, 0, 1, s[2:3]
	global_store_short v[0:1], v2, off
.LBB324_933:
	s_mov_b64 s[10:11], 0
.LBB324_934:
	s_andn2_b64 vcc, exec, s[10:11]
	s_cbranch_vccnz .LBB324_939
; %bb.935:
	s_mov_b64 s[10:11], -1
	s_cmp_gt_i32 s12, 0
	v_cndmask_b32_e64 v2, 0, 1, s[2:3]
	s_cbranch_scc0 .LBB324_937
; %bb.936:
	s_mov_b64 s[10:11], 0
	global_store_byte v[0:1], v2, off
.LBB324_937:
	s_andn2_b64 vcc, exec, s[10:11]
	s_cbranch_vccnz .LBB324_939
; %bb.938:
	global_store_byte v[0:1], v2, off
.LBB324_939:
	s_mov_b64 s[10:11], -1
.LBB324_940:
	s_andn2_b64 vcc, exec, s[10:11]
	s_cbranch_vccnz .LBB324_942
; %bb.941:
	v_add_u32_e32 v8, 0x80, v8
	s_mov_b64 s[2:3], -1
	s_branch .LBB324_944
.LBB324_942:
	s_mov_b64 s[2:3], 0
.LBB324_943:
                                        ; implicit-def: $vgpr8
.LBB324_944:
	s_andn2_b64 s[10:11], s[66:67], exec
	s_and_b64 s[6:7], s[6:7], exec
	s_or_b64 s[72:73], s[10:11], s[6:7]
	s_andn2_b64 s[6:7], s[64:65], exec
	s_and_b64 s[8:9], s[8:9], exec
	s_or_b64 s[6:7], s[6:7], s[8:9]
	s_orn2_b64 s[12:13], s[2:3], exec
.LBB324_945:
	s_or_b64 exec, exec, s[70:71]
	s_mov_b64 s[2:3], 0
	s_mov_b64 s[10:11], 0
	;; [unrolled: 1-line block ×3, first 2 shown]
                                        ; implicit-def: $vgpr1_vgpr2
                                        ; implicit-def: $vgpr0
                                        ; implicit-def: $vgpr3
	s_and_saveexec_b64 s[70:71], s[12:13]
	s_cbranch_execz .LBB324_1062
; %bb.946:
	v_cmp_gt_i32_e32 vcc, s74, v8
	s_mov_b64 s[12:13], s[6:7]
	s_mov_b64 s[14:15], 0
	;; [unrolled: 1-line block ×3, first 2 shown]
                                        ; implicit-def: $vgpr1_vgpr2
                                        ; implicit-def: $vgpr0
                                        ; implicit-def: $vgpr3
	s_and_saveexec_b64 s[74:75], vcc
	s_cbranch_execz .LBB324_1061
; %bb.947:
	s_andn2_b64 vcc, exec, s[46:47]
	s_cbranch_vccnz .LBB324_952
; %bb.948:
	s_andn2_b64 vcc, exec, s[56:57]
	s_cbranch_vccnz .LBB324_953
; %bb.949:
	s_add_i32 s79, s79, 1
	s_cmp_eq_u32 s76, 2
	s_cbranch_scc1 .LBB324_954
; %bb.950:
	s_and_b32 s56, s79, 28
	v_mov_b32_e32 v2, 0
	s_mov_b32 s57, 0
	s_mov_b64 s[2:3], s[34:35]
	v_mov_b32_e32 v0, 0
	v_mov_b32_e32 v1, v8
.LBB324_951:                            ; =>This Inner Loop Header: Depth=1
	s_load_dwordx8 s[16:23], s[2:3], 0x4
	s_load_dwordx4 s[40:43], s[2:3], 0x24
	s_load_dwordx8 s[8:15], s[54:55], 0x0
	s_add_u32 s2, s2, 48
	s_addc_u32 s3, s3, 0
	s_waitcnt vmcnt(0) lgkmcnt(0)
	v_mul_hi_u32 v3, s17, v1
	s_add_i32 s57, s57, 4
	s_add_u32 s54, s54, 32
	s_addc_u32 s55, s55, 0
	v_add_u32_e32 v3, v1, v3
	v_lshrrev_b32_e32 v3, s18, v3
	v_mul_lo_u32 v5, v3, s16
	v_mul_hi_u32 v6, s20, v3
	s_cmp_eq_u32 s56, s57
	v_sub_u32_e32 v1, v1, v5
	v_add_u32_e32 v5, v3, v6
	v_mul_lo_u32 v6, v1, s8
	v_mul_lo_u32 v7, v1, s9
	v_lshrrev_b32_e32 v1, s21, v5
	v_mul_lo_u32 v5, v1, s19
	v_mul_hi_u32 v9, s23, v1
	v_sub_u32_e32 v3, v3, v5
	v_add_u32_e32 v5, v1, v9
	v_lshrrev_b32_e32 v5, s40, v5
	v_mul_hi_u32 v10, s42, v5
	v_mul_lo_u32 v11, v5, s22
	v_mul_lo_u32 v9, v3, s10
	;; [unrolled: 1-line block ×3, first 2 shown]
	v_sub_u32_e32 v11, v1, v11
	v_add_u32_e32 v1, v5, v10
	v_lshrrev_b32_e32 v1, s43, v1
	v_mul_lo_u32 v10, v1, s41
	v_mul_lo_u32 v12, v11, s12
	;; [unrolled: 1-line block ×3, first 2 shown]
	v_add3_u32 v0, v6, v0, v9
	v_sub_u32_e32 v5, v5, v10
	v_mul_lo_u32 v10, v5, s14
	v_mul_lo_u32 v5, v5, s15
	v_add3_u32 v2, v7, v2, v3
	v_add3_u32 v0, v12, v0, v10
	;; [unrolled: 1-line block ×3, first 2 shown]
	s_cbranch_scc0 .LBB324_951
	s_branch .LBB324_955
.LBB324_952:
	s_mov_b64 s[2:3], -1
                                        ; implicit-def: $vgpr0
                                        ; implicit-def: $vgpr2
	s_branch .LBB324_959
.LBB324_953:
	v_mov_b32_e32 v0, 0
	v_mov_b32_e32 v2, 0
	s_branch .LBB324_958
.LBB324_954:
	s_mov_b32 s56, 0
	v_mov_b32_e32 v0, 0
	v_mov_b32_e32 v2, 0
	;; [unrolled: 1-line block ×3, first 2 shown]
.LBB324_955:
	s_and_b32 s10, s79, 3
	s_cmp_eq_u32 s10, 0
	s_cbranch_scc1 .LBB324_958
; %bb.956:
	s_lshl_b32 s2, s56, 3
	s_add_u32 s2, s34, s2
	s_addc_u32 s3, s35, 0
	s_add_u32 s2, s2, 0xc4
	s_addc_u32 s3, s3, 0
	s_mul_i32 s8, s56, 12
	s_add_u32 s8, s34, s8
	s_addc_u32 s9, s35, 0
.LBB324_957:                            ; =>This Inner Loop Header: Depth=1
	s_load_dwordx2 s[12:13], s[8:9], 0x4
	s_load_dword s11, s[8:9], 0xc
	s_load_dwordx2 s[14:15], s[2:3], 0x0
	s_add_u32 s8, s8, 12
	s_addc_u32 s9, s9, 0
	s_waitcnt vmcnt(0) lgkmcnt(0)
	v_mul_hi_u32 v3, s13, v1
	s_add_u32 s2, s2, 8
	s_addc_u32 s3, s3, 0
	s_add_i32 s10, s10, -1
	v_add_u32_e32 v3, v1, v3
	v_lshrrev_b32_e32 v5, s11, v3
	v_mul_lo_u32 v3, v5, s12
	s_cmp_lg_u32 s10, 0
	v_sub_u32_e32 v3, v1, v3
	v_mad_u64_u32 v[0:1], s[12:13], v3, s14, v[0:1]
	v_mad_u64_u32 v[2:3], s[12:13], v3, s15, v[2:3]
	v_mov_b32_e32 v1, v5
	s_cbranch_scc1 .LBB324_957
.LBB324_958:
	s_mov_b64 s[2:3], 0
.LBB324_959:
	s_andn2_b64 vcc, exec, s[2:3]
	s_cbranch_vccnz .LBB324_962
; %bb.960:
	v_mul_hi_u32 v0, s29, v8
	s_andn2_b64 vcc, exec, s[52:53]
	v_add_u32_e32 v0, v8, v0
	v_lshrrev_b32_e32 v1, s30, v0
	v_mul_lo_u32 v0, v1, s28
	v_sub_u32_e32 v2, v8, v0
	v_mul_lo_u32 v0, v2, s36
	v_mul_lo_u32 v2, v2, s37
	s_cbranch_vccnz .LBB324_962
; %bb.961:
	s_waitcnt vmcnt(0)
	v_mul_hi_u32 v3, s50, v1
	v_add_u32_e32 v3, v1, v3
	v_lshrrev_b32_e32 v3, s51, v3
	v_mul_lo_u32 v3, v3, s31
	v_sub_u32_e32 v3, v1, v3
	v_mad_u64_u32 v[0:1], s[2:3], v3, s38, v[0:1]
	v_mad_u64_u32 v[2:3], s[2:3], v3, s39, v[2:3]
.LBB324_962:
	s_waitcnt vmcnt(0)
	v_mov_b32_e32 v3, s27
	s_and_b32 s16, 0xffff, s78
	v_add_co_u32_e32 v1, vcc, s26, v2
	s_cmp_lt_i32 s16, 11
	v_addc_co_u32_e32 v2, vcc, 0, v3, vcc
	s_cbranch_scc1 .LBB324_971
; %bb.963:
	s_cmp_gt_i32 s16, 25
	s_mov_b64 s[10:11], 0
	s_cbranch_scc0 .LBB324_972
; %bb.964:
	s_cmp_gt_i32 s16, 28
	s_cbranch_scc0 .LBB324_973
; %bb.965:
	s_cmp_gt_i32 s16, 43
	;; [unrolled: 3-line block ×3, first 2 shown]
	s_cbranch_scc0 .LBB324_977
; %bb.967:
	s_cmp_eq_u32 s16, 46
	s_mov_b64 s[12:13], 0
	s_cbranch_scc0 .LBB324_980
; %bb.968:
	global_load_dword v5, v[1:2], off
	s_movk_i32 s2, 0xff
	v_mov_b32_e32 v3, 0xff
	s_waitcnt vmcnt(0)
	v_lshlrev_b32_e32 v6, 16, v5
	v_bfe_u32 v7, v6, 23, 8
	v_cmp_ne_u32_e32 vcc, s2, v7
	s_and_saveexec_b64 s[8:9], vcc
; %bb.969:
	v_bfe_u32 v3, v5, 7, 9
	v_and_b32_e32 v5, 64, v5
	s_mov_b32 s2, 0x3f0000
	v_cmp_ne_u32_e32 vcc, 0, v5
	v_and_or_b32 v5, v6, s2, v7
	v_cmp_ne_u32_e64 s[2:3], 0, v5
	s_and_b64 s[2:3], vcc, s[2:3]
	v_cndmask_b32_e64 v5, 0, 1, s[2:3]
	v_add_u32_e32 v3, v3, v5
; %bb.970:
	s_or_b64 exec, exec, s[8:9]
	s_mov_b64 s[8:9], 0
	s_mov_b64 s[2:3], -1
	s_branch .LBB324_981
.LBB324_971:
	s_mov_b64 s[12:13], -1
	s_mov_b64 s[2:3], 0
	s_mov_b64 s[10:11], 0
	s_mov_b64 s[8:9], s[6:7]
                                        ; implicit-def: $vgpr3
	s_branch .LBB324_1060
.LBB324_972:
	s_mov_b64 s[12:13], -1
	s_mov_b64 s[2:3], 0
	s_mov_b64 s[8:9], s[6:7]
                                        ; implicit-def: $vgpr3
	s_branch .LBB324_1018
.LBB324_973:
	s_mov_b64 s[12:13], -1
	s_mov_b64 s[2:3], 0
	s_mov_b64 s[8:9], s[6:7]
                                        ; implicit-def: $vgpr3
	s_branch .LBB324_993
.LBB324_974:
	s_mov_b64 s[12:13], -1
	s_mov_b64 s[2:3], 0
	s_mov_b64 s[8:9], s[6:7]
                                        ; implicit-def: $vgpr3
	s_branch .LBB324_986
.LBB324_975:
	s_andn2_saveexec_b64 s[14:15], s[14:15]
	s_cbranch_execz .LBB324_853
.LBB324_976:
	v_add_f32_e32 v2, 0x46000000, v3
	v_and_b32_e32 v2, 0xff, v2
	v_cmp_ne_u32_e32 vcc, 0, v2
	s_andn2_b64 s[12:13], s[12:13], exec
	s_and_b64 s[18:19], vcc, exec
	s_or_b64 s[12:13], s[12:13], s[18:19]
	s_or_b64 exec, exec, s[14:15]
	v_mov_b32_e32 v5, 0
	s_and_saveexec_b64 s[14:15], s[12:13]
	s_cbranch_execnz .LBB324_854
	s_branch .LBB324_855
.LBB324_977:
	s_mov_b64 s[12:13], -1
	s_mov_b64 s[2:3], 0
	s_mov_b64 s[8:9], s[6:7]
                                        ; implicit-def: $vgpr3
	s_branch .LBB324_981
.LBB324_978:
	s_andn2_saveexec_b64 s[14:15], s[14:15]
	s_cbranch_execz .LBB324_866
.LBB324_979:
	v_add_f32_e32 v2, 0x42800000, v3
	v_and_b32_e32 v2, 0xff, v2
	v_cmp_ne_u32_e32 vcc, 0, v2
	s_andn2_b64 s[12:13], s[12:13], exec
	s_and_b64 s[18:19], vcc, exec
	s_or_b64 s[12:13], s[12:13], s[18:19]
	s_or_b64 exec, exec, s[14:15]
	v_mov_b32_e32 v5, 0
	s_and_saveexec_b64 s[14:15], s[12:13]
	s_cbranch_execnz .LBB324_867
	s_branch .LBB324_868
.LBB324_980:
	s_mov_b64 s[8:9], -1
                                        ; implicit-def: $vgpr3
	s_mov_b64 s[2:3], 0
.LBB324_981:
	s_and_b64 vcc, exec, s[12:13]
	s_cbranch_vccz .LBB324_985
; %bb.982:
	s_cmp_eq_u32 s16, 44
	s_cbranch_scc0 .LBB324_984
; %bb.983:
	global_load_ubyte v3, v[1:2], off
	s_mov_b64 s[8:9], 0
	s_mov_b64 s[2:3], -1
	s_branch .LBB324_985
.LBB324_984:
	s_mov_b64 s[8:9], -1
                                        ; implicit-def: $vgpr3
.LBB324_985:
	s_mov_b64 s[12:13], 0
.LBB324_986:
	s_and_b64 vcc, exec, s[12:13]
	s_cbranch_vccz .LBB324_992
; %bb.987:
	s_cmp_eq_u32 s16, 29
	s_cbranch_scc0 .LBB324_991
; %bb.988:
	global_load_dwordx2 v[5:6], v[1:2], off
	s_movk_i32 s2, 0xff
	s_waitcnt vmcnt(0)
	v_ffbh_u32_e32 v3, v6
	v_min_u32_e32 v3, 32, v3
	v_lshlrev_b64 v[5:6], v3, v[5:6]
	v_sub_u32_e32 v3, 32, v3
	v_min_u32_e32 v5, 1, v5
	v_or_b32_e32 v5, v6, v5
	v_cvt_f32_u32_e32 v5, v5
	v_ldexp_f32 v6, v5, v3
	v_lshrrev_b32_e32 v5, 23, v6
	v_cmp_ne_u32_e32 vcc, s2, v5
	v_mov_b32_e32 v3, 0xff
	s_and_saveexec_b64 s[8:9], vcc
; %bb.989:
	v_and_b32_e32 v3, 0x400000, v6
	s_mov_b32 s2, 0x3fffff
	v_cmp_ne_u32_e32 vcc, 0, v3
	v_and_or_b32 v3, v6, s2, v5
	v_cmp_ne_u32_e64 s[2:3], 0, v3
	s_and_b64 s[2:3], vcc, s[2:3]
	v_cndmask_b32_e64 v3, 0, 1, s[2:3]
	v_add_u32_e32 v3, v5, v3
; %bb.990:
	s_or_b64 exec, exec, s[8:9]
	s_mov_b64 s[8:9], 0
	s_mov_b64 s[2:3], -1
	s_branch .LBB324_992
.LBB324_991:
	s_mov_b64 s[8:9], -1
                                        ; implicit-def: $vgpr3
.LBB324_992:
	s_mov_b64 s[12:13], 0
.LBB324_993:
	s_and_b64 vcc, exec, s[12:13]
	s_cbranch_vccz .LBB324_1017
; %bb.994:
	s_cmp_lt_i32 s16, 27
	s_cbranch_scc1 .LBB324_999
; %bb.995:
	s_cmp_gt_i32 s16, 27
	s_cbranch_scc0 .LBB324_1000
; %bb.996:
	global_load_dword v3, v[1:2], off
	s_movk_i32 s2, 0xff
	s_waitcnt vmcnt(0)
	v_cvt_f32_u32_e32 v6, v3
	v_mov_b32_e32 v3, 0xff
	v_lshrrev_b32_e32 v5, 23, v6
	v_cmp_ne_u32_e32 vcc, s2, v5
	s_and_saveexec_b64 s[12:13], vcc
; %bb.997:
	v_and_b32_e32 v3, 0x400000, v6
	s_mov_b32 s2, 0x3fffff
	v_cmp_ne_u32_e32 vcc, 0, v3
	v_and_or_b32 v3, v6, s2, v5
	v_cmp_ne_u32_e64 s[2:3], 0, v3
	s_and_b64 s[2:3], vcc, s[2:3]
	v_cndmask_b32_e64 v3, 0, 1, s[2:3]
	v_add_u32_e32 v3, v5, v3
; %bb.998:
	s_or_b64 exec, exec, s[12:13]
	s_mov_b64 s[2:3], 0
	s_branch .LBB324_1001
.LBB324_999:
	s_mov_b64 s[2:3], -1
                                        ; implicit-def: $vgpr3
	s_branch .LBB324_1006
.LBB324_1000:
	s_mov_b64 s[2:3], -1
                                        ; implicit-def: $vgpr3
.LBB324_1001:
	s_andn2_b64 vcc, exec, s[2:3]
	s_cbranch_vccnz .LBB324_1005
; %bb.1002:
	global_load_ushort v3, v[1:2], off
	s_movk_i32 s2, 0xff
	s_waitcnt vmcnt(0)
	v_cvt_f32_u32_e32 v6, v3
	v_mov_b32_e32 v3, 0xff
	v_lshrrev_b32_e32 v5, 23, v6
	v_cmp_ne_u32_e32 vcc, s2, v5
	s_and_saveexec_b64 s[12:13], vcc
; %bb.1003:
	v_and_b32_e32 v3, 0x400000, v6
	s_mov_b32 s2, 0x3fffff
	v_cmp_ne_u32_e32 vcc, 0, v3
	v_and_or_b32 v3, v6, s2, v5
	v_cmp_ne_u32_e64 s[2:3], 0, v3
	s_and_b64 s[2:3], vcc, s[2:3]
	v_cndmask_b32_e64 v3, 0, 1, s[2:3]
	v_add_u32_e32 v3, v5, v3
; %bb.1004:
	s_or_b64 exec, exec, s[12:13]
.LBB324_1005:
	s_mov_b64 s[2:3], 0
.LBB324_1006:
	s_andn2_b64 vcc, exec, s[2:3]
	s_cbranch_vccnz .LBB324_1016
; %bb.1007:
	global_load_ubyte v3, v[1:2], off
	s_movk_i32 s2, 0x7f
	s_waitcnt vmcnt(0)
	v_cmp_lt_i16_e32 vcc, s2, v3
	s_mov_b64 s[2:3], 0
	s_and_saveexec_b64 s[12:13], vcc
	s_xor_b64 s[12:13], exec, s[12:13]
	s_cbranch_execz .LBB324_1032
; %bb.1008:
	s_movk_i32 s2, 0x80
	v_cmp_eq_u16_e32 vcc, s2, v3
	s_mov_b64 s[2:3], -1
	s_and_saveexec_b64 s[14:15], vcc
; %bb.1009:
	s_xor_b64 s[2:3], exec, -1
; %bb.1010:
	s_or_b64 exec, exec, s[14:15]
	s_and_b64 s[2:3], s[2:3], exec
	s_or_saveexec_b64 s[12:13], s[12:13]
	v_mov_b32_e32 v5, 0x7f800001
	s_xor_b64 exec, exec, s[12:13]
	s_cbranch_execnz .LBB324_1033
.LBB324_1011:
	s_or_b64 exec, exec, s[12:13]
	s_and_saveexec_b64 s[12:13], s[2:3]
	s_cbranch_execz .LBB324_1013
.LBB324_1012:
	v_and_b32_e32 v3, 0xffff, v3
	v_and_b32_e32 v5, 7, v3
	v_ffbh_u32_e32 v7, v5
	v_min_u32_e32 v7, 32, v7
	v_subrev_u32_e32 v8, 28, v7
	v_bfe_u32 v6, v3, 3, 4
	v_lshlrev_b32_e32 v3, v8, v3
	v_and_b32_e32 v3, 7, v3
	v_cmp_eq_u32_e32 vcc, 0, v6
	v_sub_u32_e32 v7, 29, v7
	v_cndmask_b32_e32 v3, v5, v3, vcc
	v_cndmask_b32_e32 v6, v6, v7, vcc
	v_lshlrev_b32_e32 v3, 20, v3
	v_lshl_or_b32 v3, v6, 23, v3
	v_add_u32_e32 v5, 0x3b800000, v3
.LBB324_1013:
	s_or_b64 exec, exec, s[12:13]
	v_lshrrev_b32_e32 v6, 23, v5
	s_movk_i32 s2, 0xff
	v_cmp_ne_u32_e32 vcc, s2, v6
	v_mov_b32_e32 v3, 0xff
	s_and_saveexec_b64 s[12:13], vcc
; %bb.1014:
	v_and_b32_e32 v3, 0x400000, v5
	s_mov_b32 s2, 0x3fffff
	v_cmp_ne_u32_e32 vcc, 0, v3
	v_and_or_b32 v3, v5, s2, v6
	v_cmp_ne_u32_e64 s[2:3], 0, v3
	s_and_b64 s[2:3], vcc, s[2:3]
	v_cndmask_b32_e64 v3, 0, 1, s[2:3]
	v_add_u32_e32 v3, v6, v3
; %bb.1015:
	s_or_b64 exec, exec, s[12:13]
.LBB324_1016:
	s_mov_b64 s[2:3], -1
.LBB324_1017:
	s_mov_b64 s[12:13], 0
.LBB324_1018:
	s_and_b64 vcc, exec, s[12:13]
	s_cbranch_vccz .LBB324_1059
; %bb.1019:
	s_cmp_gt_i32 s16, 22
	s_cbranch_scc0 .LBB324_1031
; %bb.1020:
	s_cmp_lt_i32 s16, 24
	s_cbranch_scc1 .LBB324_1034
; %bb.1021:
	s_cmp_gt_i32 s16, 24
	s_cbranch_scc0 .LBB324_1035
; %bb.1022:
	global_load_ubyte v3, v[1:2], off
	s_movk_i32 s2, 0x7f
	s_waitcnt vmcnt(0)
	v_cmp_lt_i16_e32 vcc, s2, v3
	s_mov_b64 s[2:3], 0
	s_and_saveexec_b64 s[10:11], vcc
	s_xor_b64 s[10:11], exec, s[10:11]
	s_cbranch_execz .LBB324_1053
; %bb.1023:
	s_movk_i32 s2, 0x80
	v_cmp_eq_u16_e32 vcc, s2, v3
	s_mov_b64 s[2:3], -1
	s_and_saveexec_b64 s[12:13], vcc
; %bb.1024:
	s_xor_b64 s[2:3], exec, -1
; %bb.1025:
	s_or_b64 exec, exec, s[12:13]
	s_and_b64 s[2:3], s[2:3], exec
	s_or_saveexec_b64 s[10:11], s[10:11]
	v_mov_b32_e32 v5, 0x7f800001
	s_xor_b64 exec, exec, s[10:11]
	s_cbranch_execnz .LBB324_1054
.LBB324_1026:
	s_or_b64 exec, exec, s[10:11]
	s_and_saveexec_b64 s[10:11], s[2:3]
	s_cbranch_execz .LBB324_1028
.LBB324_1027:
	v_and_b32_e32 v3, 0xffff, v3
	v_and_b32_e32 v5, 3, v3
	v_ffbh_u32_e32 v7, v5
	v_min_u32_e32 v7, 32, v7
	v_subrev_u32_e32 v8, 29, v7
	v_bfe_u32 v6, v3, 2, 5
	v_lshlrev_b32_e32 v3, v8, v3
	v_and_b32_e32 v3, 3, v3
	v_cmp_eq_u32_e32 vcc, 0, v6
	v_sub_u32_e32 v7, 30, v7
	v_cndmask_b32_e32 v3, v5, v3, vcc
	v_cndmask_b32_e32 v6, v6, v7, vcc
	v_lshlrev_b32_e32 v3, 21, v3
	v_lshl_or_b32 v3, v6, 23, v3
	v_add_u32_e32 v5, 0x37800000, v3
.LBB324_1028:
	s_or_b64 exec, exec, s[10:11]
	v_lshrrev_b32_e32 v6, 23, v5
	s_movk_i32 s2, 0xff
	v_cmp_ne_u32_e32 vcc, s2, v6
	v_mov_b32_e32 v3, 0xff
	s_and_saveexec_b64 s[10:11], vcc
; %bb.1029:
	v_and_b32_e32 v3, 0x400000, v5
	s_mov_b32 s2, 0x3fffff
	v_cmp_ne_u32_e32 vcc, 0, v3
	v_and_or_b32 v3, v5, s2, v6
	v_cmp_ne_u32_e64 s[2:3], 0, v3
	s_and_b64 s[2:3], vcc, s[2:3]
	v_cndmask_b32_e64 v3, 0, 1, s[2:3]
	v_add_u32_e32 v3, v6, v3
; %bb.1030:
	s_or_b64 exec, exec, s[10:11]
	s_mov_b64 s[2:3], 0
	s_branch .LBB324_1036
.LBB324_1031:
	s_mov_b64 s[10:11], -1
                                        ; implicit-def: $vgpr3
	s_branch .LBB324_1046
.LBB324_1032:
	s_or_saveexec_b64 s[12:13], s[12:13]
	v_mov_b32_e32 v5, 0x7f800001
	s_xor_b64 exec, exec, s[12:13]
	s_cbranch_execz .LBB324_1011
.LBB324_1033:
	v_cmp_ne_u16_e32 vcc, 0, v3
	s_andn2_b64 s[2:3], s[2:3], exec
	s_and_b64 s[14:15], vcc, exec
	v_and_b32_e32 v5, 0xffff, v3
	s_or_b64 s[2:3], s[2:3], s[14:15]
	s_or_b64 exec, exec, s[12:13]
	s_and_saveexec_b64 s[12:13], s[2:3]
	s_cbranch_execnz .LBB324_1012
	s_branch .LBB324_1013
.LBB324_1034:
	s_mov_b64 s[2:3], -1
                                        ; implicit-def: $vgpr3
	s_branch .LBB324_1041
.LBB324_1035:
	s_mov_b64 s[2:3], -1
                                        ; implicit-def: $vgpr3
.LBB324_1036:
	s_and_b64 vcc, exec, s[2:3]
	s_cbranch_vccz .LBB324_1040
; %bb.1037:
	global_load_ubyte v3, v[1:2], off
	s_mov_b32 s2, 0x7f800000
	s_movk_i32 s3, 0xff
	s_waitcnt vmcnt(0)
	v_lshlrev_b32_e32 v3, 24, v3
	v_and_b32_e32 v3, 0x7f000000, v3
	v_ffbh_u32_e32 v5, v3
	v_min_u32_e32 v5, 32, v5
	v_sub_u32_e64 v5, v5, 4 clamp
	v_lshlrev_b32_e32 v7, v5, v3
	v_lshlrev_b32_e32 v5, 23, v5
	v_lshrrev_b32_e32 v7, 4, v7
	v_add_u32_e32 v6, 0x1000000, v3
	v_sub_u32_e32 v5, v7, v5
	v_ashrrev_i32_e32 v6, 8, v6
	v_add_u32_e32 v5, 0x3c000000, v5
	v_and_or_b32 v5, v6, s2, v5
	v_cmp_ne_u32_e32 vcc, 0, v3
	v_cndmask_b32_e32 v6, 0, v5, vcc
	v_lshrrev_b32_e32 v5, 23, v6
	v_cmp_ne_u32_e32 vcc, s3, v5
	v_mov_b32_e32 v3, 0xff
	s_and_saveexec_b64 s[10:11], vcc
; %bb.1038:
	v_and_b32_e32 v3, 0x400000, v6
	s_mov_b32 s2, 0x3fffff
	v_cmp_ne_u32_e32 vcc, 0, v3
	v_and_or_b32 v3, v6, s2, v5
	v_cmp_ne_u32_e64 s[2:3], 0, v3
	s_and_b64 s[2:3], vcc, s[2:3]
	v_cndmask_b32_e64 v3, 0, 1, s[2:3]
	v_add_u32_e32 v3, v5, v3
; %bb.1039:
	s_or_b64 exec, exec, s[10:11]
.LBB324_1040:
	s_mov_b64 s[2:3], 0
.LBB324_1041:
	s_andn2_b64 vcc, exec, s[2:3]
	s_cbranch_vccnz .LBB324_1045
; %bb.1042:
	global_load_ubyte v3, v[1:2], off
	s_movk_i32 s2, 0x7f00
	s_brev_b32 s3, 16
	s_movk_i32 s10, 0xff
	s_waitcnt vmcnt(0)
	v_lshlrev_b32_e32 v5, 8, v3
	v_lshlrev_b32_e32 v3, 25, v3
	v_lshrrev_b32_e32 v6, 4, v3
	v_and_or_b32 v5, v5, s2, 0.5
	v_or_b32_e32 v6, 0x70000000, v6
	v_add_f32_e32 v5, -0.5, v5
	v_mul_f32_e32 v6, 0x7800000, v6
	v_cmp_gt_u32_e32 vcc, s3, v3
	v_cndmask_b32_e32 v5, v6, v5, vcc
	v_bfe_u32 v6, v5, 23, 8
	v_cmp_ne_u32_e32 vcc, s10, v6
	v_mov_b32_e32 v3, 0xff
	s_and_saveexec_b64 s[10:11], vcc
; %bb.1043:
	s_mov_b32 s2, 0x3fffff
	v_lshrrev_b32_e32 v3, 23, v5
	v_and_b32_e32 v7, 0x400000, v5
	v_and_or_b32 v5, v5, s2, v6
	v_cmp_ne_u32_e32 vcc, 0, v7
	v_cmp_ne_u32_e64 s[2:3], 0, v5
	s_and_b64 s[2:3], vcc, s[2:3]
	v_cndmask_b32_e64 v5, 0, 1, s[2:3]
	v_add_u32_e32 v3, v3, v5
; %bb.1044:
	s_or_b64 exec, exec, s[10:11]
.LBB324_1045:
	s_mov_b64 s[10:11], 0
	s_mov_b64 s[2:3], -1
.LBB324_1046:
	s_andn2_b64 vcc, exec, s[10:11]
	s_mov_b64 s[10:11], 0
	s_cbranch_vccnz .LBB324_1059
; %bb.1047:
	s_cmp_gt_i32 s16, 14
	s_cbranch_scc0 .LBB324_1052
; %bb.1048:
	s_cmp_eq_u32 s16, 15
	s_cbranch_scc0 .LBB324_1055
; %bb.1049:
	global_load_ushort v5, v[1:2], off
	s_movk_i32 s2, 0xff
	s_waitcnt vmcnt(1)
	v_mov_b32_e32 v3, 0xff
	s_waitcnt vmcnt(0)
	v_bfe_u32 v6, v5, 7, 8
	v_cmp_ne_u32_e32 vcc, s2, v6
	s_and_saveexec_b64 s[8:9], vcc
	s_cbranch_execz .LBB324_1051
; %bb.1050:
	v_lshrrev_b32_e32 v3, 7, v5
	v_lshlrev_b32_e32 v7, 16, v5
	v_and_b32_e32 v5, 64, v5
	s_mov_b32 s2, 0x3f0000
	v_cmp_ne_u32_e32 vcc, 0, v5
	v_and_or_b32 v5, v7, s2, v6
	v_cmp_ne_u32_e64 s[2:3], 0, v5
	s_and_b64 s[2:3], vcc, s[2:3]
	v_cndmask_b32_e64 v5, 0, 1, s[2:3]
	v_add_u32_e32 v3, v3, v5
.LBB324_1051:
	s_or_b64 exec, exec, s[8:9]
	s_mov_b64 s[8:9], 0
	s_mov_b64 s[2:3], -1
	s_branch .LBB324_1056
.LBB324_1052:
	s_mov_b64 s[12:13], -1
                                        ; implicit-def: $vgpr3
	s_branch .LBB324_1057
.LBB324_1053:
	s_or_saveexec_b64 s[10:11], s[10:11]
	v_mov_b32_e32 v5, 0x7f800001
	s_xor_b64 exec, exec, s[10:11]
	s_cbranch_execz .LBB324_1026
.LBB324_1054:
	v_cmp_ne_u16_e32 vcc, 0, v3
	s_andn2_b64 s[2:3], s[2:3], exec
	s_and_b64 s[12:13], vcc, exec
	v_and_b32_e32 v5, 0xffff, v3
	s_or_b64 s[2:3], s[2:3], s[12:13]
	s_or_b64 exec, exec, s[10:11]
	s_and_saveexec_b64 s[10:11], s[2:3]
	s_cbranch_execnz .LBB324_1027
	s_branch .LBB324_1028
.LBB324_1055:
	s_mov_b64 s[8:9], -1
                                        ; implicit-def: $vgpr3
.LBB324_1056:
	s_mov_b64 s[12:13], 0
.LBB324_1057:
	s_and_b64 vcc, exec, s[12:13]
	s_cbranch_vccz .LBB324_1059
; %bb.1058:
	s_cmp_lg_u32 s16, 11
	s_cselect_b64 s[12:13], -1, 0
	s_andn2_b64 s[8:9], s[8:9], exec
	s_and_b64 s[12:13], s[12:13], exec
	s_mov_b64 s[10:11], -1
	s_or_b64 s[8:9], s[8:9], s[12:13]
.LBB324_1059:
	s_mov_b64 s[12:13], 0
.LBB324_1060:
	s_and_b64 s[16:17], s[2:3], exec
	s_and_b64 s[2:3], s[10:11], exec
	s_andn2_b64 s[10:11], s[6:7], exec
	s_and_b64 s[8:9], s[8:9], exec
	s_and_b64 s[14:15], s[12:13], exec
	s_or_b64 s[12:13], s[10:11], s[8:9]
.LBB324_1061:
	s_or_b64 exec, exec, s[74:75]
	s_andn2_b64 s[6:7], s[6:7], exec
	s_and_b64 s[12:13], s[12:13], exec
	s_and_b64 s[8:9], s[16:17], exec
	;; [unrolled: 1-line block ×4, first 2 shown]
	s_or_b64 s[6:7], s[6:7], s[12:13]
.LBB324_1062:
	s_or_b64 exec, exec, s[70:71]
	s_andn2_b64 s[12:13], s[66:67], exec
	s_and_b64 s[14:15], s[72:73], exec
	s_or_b64 s[66:67], s[12:13], s[14:15]
	s_andn2_b64 s[12:13], s[64:65], exec
	s_and_b64 s[6:7], s[6:7], exec
	s_and_b64 s[8:9], s[8:9], exec
	;; [unrolled: 1-line block ×4, first 2 shown]
	s_or_b64 s[64:65], s[12:13], s[6:7]
.LBB324_1063:
	s_or_b64 exec, exec, s[68:69]
	s_andn2_b64 s[6:7], s[58:59], exec
	s_and_b64 s[12:13], s[66:67], exec
	s_or_b64 s[58:59], s[6:7], s[12:13]
	s_and_b64 s[66:67], s[2:3], exec
	s_andn2_b64 s[2:3], s[60:61], exec
	s_and_b64 s[6:7], s[64:65], exec
	s_and_b64 s[8:9], s[8:9], exec
	;; [unrolled: 1-line block ×3, first 2 shown]
	s_or_b64 s[60:61], s[2:3], s[6:7]
	s_or_b64 exec, exec, s[62:63]
	s_mov_b64 s[6:7], 0
	s_and_saveexec_b64 s[2:3], s[60:61]
	s_cbranch_execz .LBB324_316
.LBB324_1064:
	s_mov_b64 s[6:7], exec
	s_andn2_b64 s[66:67], s[66:67], exec
	s_trap 2
	s_or_b64 exec, exec, s[2:3]
	s_and_saveexec_b64 s[2:3], s[66:67]
	s_xor_b64 s[10:11], exec, s[2:3]
	s_cbranch_execnz .LBB324_317
.LBB324_1065:
	s_or_b64 exec, exec, s[10:11]
	s_and_saveexec_b64 s[10:11], s[12:13]
	s_cbranch_execz .LBB324_1133
.LBB324_1066:
	s_sext_i32_i16 s2, s78
	s_cmp_lt_i32 s2, 5
	s_cbranch_scc1 .LBB324_1073
; %bb.1067:
	s_cmp_lt_i32 s2, 8
	s_cbranch_scc1 .LBB324_1074
; %bb.1068:
	;; [unrolled: 3-line block ×3, first 2 shown]
	s_cmp_gt_i32 s2, 9
	s_cbranch_scc0 .LBB324_1076
; %bb.1070:
	global_load_dwordx2 v[5:6], v[1:2], off
	s_movk_i32 s2, 0xff
	s_waitcnt vmcnt(1)
	v_mov_b32_e32 v3, 0xff
	s_waitcnt vmcnt(0)
	v_cvt_f32_f64_e32 v5, v[5:6]
	v_bfe_u32 v6, v5, 23, 8
	v_cmp_ne_u32_e32 vcc, s2, v6
	s_and_saveexec_b64 s[12:13], vcc
; %bb.1071:
	s_mov_b32 s2, 0x3fffff
	v_lshrrev_b32_e32 v3, 23, v5
	v_and_b32_e32 v7, 0x400000, v5
	v_and_or_b32 v5, v5, s2, v6
	v_cmp_ne_u32_e32 vcc, 0, v7
	v_cmp_ne_u32_e64 s[2:3], 0, v5
	s_and_b64 s[2:3], vcc, s[2:3]
	v_cndmask_b32_e64 v5, 0, 1, s[2:3]
	v_add_u32_e32 v3, v3, v5
; %bb.1072:
	s_or_b64 exec, exec, s[12:13]
	s_mov_b64 s[2:3], 0
	s_branch .LBB324_1077
.LBB324_1073:
                                        ; implicit-def: $vgpr3
	s_branch .LBB324_1104
.LBB324_1074:
                                        ; implicit-def: $vgpr3
	s_branch .LBB324_1087
.LBB324_1075:
	s_mov_b64 s[2:3], -1
                                        ; implicit-def: $vgpr3
	s_branch .LBB324_1082
.LBB324_1076:
	s_mov_b64 s[2:3], -1
                                        ; implicit-def: $vgpr3
.LBB324_1077:
	s_andn2_b64 vcc, exec, s[2:3]
	s_cbranch_vccnz .LBB324_1081
; %bb.1078:
	global_load_dword v5, v[1:2], off
	s_movk_i32 s2, 0xff
	s_waitcnt vmcnt(1)
	v_mov_b32_e32 v3, 0xff
	s_waitcnt vmcnt(0)
	v_bfe_u32 v6, v5, 23, 8
	v_cmp_ne_u32_e32 vcc, s2, v6
	s_and_saveexec_b64 s[12:13], vcc
; %bb.1079:
	s_mov_b32 s2, 0x3fffff
	v_lshrrev_b32_e32 v3, 23, v5
	v_and_b32_e32 v7, 0x400000, v5
	v_and_or_b32 v5, v5, s2, v6
	v_cmp_ne_u32_e32 vcc, 0, v7
	v_cmp_ne_u32_e64 s[2:3], 0, v5
	s_and_b64 s[2:3], vcc, s[2:3]
	v_cndmask_b32_e64 v5, 0, 1, s[2:3]
	v_add_u32_e32 v3, v3, v5
; %bb.1080:
	s_or_b64 exec, exec, s[12:13]
.LBB324_1081:
	s_mov_b64 s[2:3], 0
.LBB324_1082:
	s_andn2_b64 vcc, exec, s[2:3]
	s_cbranch_vccnz .LBB324_1086
; %bb.1083:
	global_load_dword v3, v[1:2], off
	s_movk_i32 s2, 0xff
	s_waitcnt vmcnt(0)
	v_cvt_f32_f16_e32 v5, v3
	v_mov_b32_e32 v3, 0xff
	v_bfe_u32 v6, v5, 23, 8
	v_cmp_ne_u32_e32 vcc, s2, v6
	s_and_saveexec_b64 s[12:13], vcc
; %bb.1084:
	s_mov_b32 s2, 0x3fffff
	v_lshrrev_b32_e32 v3, 23, v5
	v_and_b32_e32 v7, 0x400000, v5
	v_and_or_b32 v5, v5, s2, v6
	v_cmp_ne_u32_e32 vcc, 0, v7
	v_cmp_ne_u32_e64 s[2:3], 0, v5
	s_and_b64 s[2:3], vcc, s[2:3]
	v_cndmask_b32_e64 v5, 0, 1, s[2:3]
	v_add_u32_e32 v3, v3, v5
; %bb.1085:
	s_or_b64 exec, exec, s[12:13]
.LBB324_1086:
	s_cbranch_execnz .LBB324_1103
.LBB324_1087:
	s_sext_i32_i16 s2, s78
	s_cmp_lt_i32 s2, 6
	s_cbranch_scc1 .LBB324_1092
; %bb.1088:
	s_cmp_gt_i32 s2, 6
	s_cbranch_scc0 .LBB324_1093
; %bb.1089:
	global_load_dwordx2 v[5:6], v[1:2], off
	s_movk_i32 s2, 0xff
	s_waitcnt vmcnt(1)
	v_mov_b32_e32 v3, 0xff
	s_waitcnt vmcnt(0)
	v_cvt_f32_f64_e32 v5, v[5:6]
	v_bfe_u32 v6, v5, 23, 8
	v_cmp_ne_u32_e32 vcc, s2, v6
	s_and_saveexec_b64 s[12:13], vcc
; %bb.1090:
	s_mov_b32 s2, 0x3fffff
	v_lshrrev_b32_e32 v3, 23, v5
	v_and_b32_e32 v7, 0x400000, v5
	v_and_or_b32 v5, v5, s2, v6
	v_cmp_ne_u32_e32 vcc, 0, v7
	v_cmp_ne_u32_e64 s[2:3], 0, v5
	s_and_b64 s[2:3], vcc, s[2:3]
	v_cndmask_b32_e64 v5, 0, 1, s[2:3]
	v_add_u32_e32 v3, v3, v5
; %bb.1091:
	s_or_b64 exec, exec, s[12:13]
	s_mov_b64 s[2:3], 0
	s_branch .LBB324_1094
.LBB324_1092:
	s_mov_b64 s[2:3], -1
                                        ; implicit-def: $vgpr3
	s_branch .LBB324_1099
.LBB324_1093:
	s_mov_b64 s[2:3], -1
                                        ; implicit-def: $vgpr3
.LBB324_1094:
	s_andn2_b64 vcc, exec, s[2:3]
	s_cbranch_vccnz .LBB324_1098
; %bb.1095:
	global_load_dword v5, v[1:2], off
	s_movk_i32 s2, 0xff
	s_waitcnt vmcnt(1)
	v_mov_b32_e32 v3, 0xff
	s_waitcnt vmcnt(0)
	v_bfe_u32 v6, v5, 23, 8
	v_cmp_ne_u32_e32 vcc, s2, v6
	s_and_saveexec_b64 s[12:13], vcc
; %bb.1096:
	s_mov_b32 s2, 0x3fffff
	v_lshrrev_b32_e32 v3, 23, v5
	v_and_b32_e32 v7, 0x400000, v5
	v_and_or_b32 v5, v5, s2, v6
	v_cmp_ne_u32_e32 vcc, 0, v7
	v_cmp_ne_u32_e64 s[2:3], 0, v5
	s_and_b64 s[2:3], vcc, s[2:3]
	v_cndmask_b32_e64 v5, 0, 1, s[2:3]
	v_add_u32_e32 v3, v3, v5
; %bb.1097:
	s_or_b64 exec, exec, s[12:13]
.LBB324_1098:
	s_mov_b64 s[2:3], 0
.LBB324_1099:
	s_andn2_b64 vcc, exec, s[2:3]
	s_cbranch_vccnz .LBB324_1103
; %bb.1100:
	global_load_ushort v3, v[1:2], off
	s_movk_i32 s2, 0xff
	s_waitcnt vmcnt(0)
	v_cvt_f32_f16_e32 v5, v3
	v_mov_b32_e32 v3, 0xff
	v_bfe_u32 v6, v5, 23, 8
	v_cmp_ne_u32_e32 vcc, s2, v6
	s_and_saveexec_b64 s[12:13], vcc
; %bb.1101:
	s_mov_b32 s2, 0x3fffff
	v_lshrrev_b32_e32 v3, 23, v5
	v_and_b32_e32 v7, 0x400000, v5
	v_and_or_b32 v5, v5, s2, v6
	v_cmp_ne_u32_e32 vcc, 0, v7
	v_cmp_ne_u32_e64 s[2:3], 0, v5
	s_and_b64 s[2:3], vcc, s[2:3]
	v_cndmask_b32_e64 v5, 0, 1, s[2:3]
	v_add_u32_e32 v3, v3, v5
; %bb.1102:
	s_or_b64 exec, exec, s[12:13]
.LBB324_1103:
	s_cbranch_execnz .LBB324_1132
.LBB324_1104:
	s_sext_i32_i16 s2, s78
	s_cmp_lt_i32 s2, 2
	s_cbranch_scc1 .LBB324_1110
; %bb.1105:
	s_cmp_lt_i32 s2, 3
	s_cbranch_scc1 .LBB324_1111
; %bb.1106:
	s_cmp_gt_i32 s2, 3
	s_cbranch_scc0 .LBB324_1112
; %bb.1107:
	global_load_dwordx2 v[5:6], v[1:2], off
	s_movk_i32 s2, 0xff
	s_waitcnt vmcnt(0)
	v_xor_b32_e32 v7, v5, v6
	v_ffbh_i32_e32 v3, v6
	v_ashrrev_i32_e32 v7, 31, v7
	v_add_u32_e32 v3, -1, v3
	v_add_u32_e32 v7, 32, v7
	v_min_u32_e32 v3, v3, v7
	v_lshlrev_b64 v[5:6], v3, v[5:6]
	v_sub_u32_e32 v3, 32, v3
	v_min_u32_e32 v5, 1, v5
	v_or_b32_e32 v5, v6, v5
	v_cvt_f32_i32_e32 v5, v5
	v_ldexp_f32 v5, v5, v3
	v_bfe_u32 v6, v5, 23, 8
	v_cmp_ne_u32_e32 vcc, s2, v6
	v_mov_b32_e32 v3, 0xff
	s_and_saveexec_b64 s[12:13], vcc
; %bb.1108:
	s_mov_b32 s2, 0x3fffff
	v_lshrrev_b32_e32 v3, 23, v5
	v_and_b32_e32 v7, 0x400000, v5
	v_and_or_b32 v5, v5, s2, v6
	v_cmp_ne_u32_e32 vcc, 0, v7
	v_cmp_ne_u32_e64 s[2:3], 0, v5
	s_and_b64 s[2:3], vcc, s[2:3]
	v_cndmask_b32_e64 v5, 0, 1, s[2:3]
	v_add_u32_e32 v3, v3, v5
; %bb.1109:
	s_or_b64 exec, exec, s[12:13]
	s_mov_b64 s[2:3], 0
	s_branch .LBB324_1113
.LBB324_1110:
                                        ; implicit-def: $vgpr3
	s_branch .LBB324_1123
.LBB324_1111:
	s_mov_b64 s[2:3], -1
                                        ; implicit-def: $vgpr3
	s_branch .LBB324_1118
.LBB324_1112:
	s_mov_b64 s[2:3], -1
                                        ; implicit-def: $vgpr3
.LBB324_1113:
	s_andn2_b64 vcc, exec, s[2:3]
	s_cbranch_vccnz .LBB324_1117
; %bb.1114:
	global_load_dword v3, v[1:2], off
	s_movk_i32 s2, 0xff
	s_waitcnt vmcnt(0)
	v_cvt_f32_i32_e32 v5, v3
	v_mov_b32_e32 v3, 0xff
	v_bfe_u32 v6, v5, 23, 8
	v_cmp_ne_u32_e32 vcc, s2, v6
	s_and_saveexec_b64 s[12:13], vcc
; %bb.1115:
	s_mov_b32 s2, 0x3fffff
	v_lshrrev_b32_e32 v3, 23, v5
	v_and_b32_e32 v7, 0x400000, v5
	v_and_or_b32 v5, v5, s2, v6
	v_cmp_ne_u32_e32 vcc, 0, v7
	v_cmp_ne_u32_e64 s[2:3], 0, v5
	s_and_b64 s[2:3], vcc, s[2:3]
	v_cndmask_b32_e64 v5, 0, 1, s[2:3]
	v_add_u32_e32 v3, v3, v5
; %bb.1116:
	s_or_b64 exec, exec, s[12:13]
.LBB324_1117:
	s_mov_b64 s[2:3], 0
.LBB324_1118:
	s_andn2_b64 vcc, exec, s[2:3]
	s_cbranch_vccnz .LBB324_1122
; %bb.1119:
	global_load_sshort v3, v[1:2], off
	s_movk_i32 s2, 0xff
	s_waitcnt vmcnt(0)
	v_cvt_f32_i32_e32 v5, v3
	v_mov_b32_e32 v3, 0xff
	v_bfe_u32 v6, v5, 23, 8
	v_cmp_ne_u32_e32 vcc, s2, v6
	s_and_saveexec_b64 s[12:13], vcc
; %bb.1120:
	s_mov_b32 s2, 0x3fffff
	v_lshrrev_b32_e32 v3, 23, v5
	v_and_b32_e32 v7, 0x400000, v5
	v_and_or_b32 v5, v5, s2, v6
	v_cmp_ne_u32_e32 vcc, 0, v7
	v_cmp_ne_u32_e64 s[2:3], 0, v5
	s_and_b64 s[2:3], vcc, s[2:3]
	v_cndmask_b32_e64 v5, 0, 1, s[2:3]
	v_add_u32_e32 v3, v3, v5
; %bb.1121:
	s_or_b64 exec, exec, s[12:13]
.LBB324_1122:
	s_cbranch_execnz .LBB324_1132
.LBB324_1123:
	s_sext_i32_i16 s2, s78
	s_cmp_gt_i32 s2, 0
	s_cbranch_scc0 .LBB324_1127
; %bb.1124:
	global_load_sbyte v3, v[1:2], off
	s_movk_i32 s2, 0xff
	s_waitcnt vmcnt(0)
	v_cvt_f32_i32_e32 v5, v3
	v_mov_b32_e32 v3, 0xff
	v_bfe_u32 v6, v5, 23, 8
	v_cmp_ne_u32_e32 vcc, s2, v6
	s_and_saveexec_b64 s[12:13], vcc
; %bb.1125:
	s_mov_b32 s2, 0x3fffff
	v_lshrrev_b32_e32 v3, 23, v5
	v_and_b32_e32 v7, 0x400000, v5
	v_and_or_b32 v5, v5, s2, v6
	v_cmp_ne_u32_e32 vcc, 0, v7
	v_cmp_ne_u32_e64 s[2:3], 0, v5
	s_and_b64 s[2:3], vcc, s[2:3]
	v_cndmask_b32_e64 v5, 0, 1, s[2:3]
	v_add_u32_e32 v3, v3, v5
; %bb.1126:
	s_or_b64 exec, exec, s[12:13]
	s_mov_b64 s[2:3], 0
	s_branch .LBB324_1128
.LBB324_1127:
	s_mov_b64 s[2:3], -1
                                        ; implicit-def: $vgpr3
.LBB324_1128:
	s_andn2_b64 vcc, exec, s[2:3]
	s_cbranch_vccnz .LBB324_1132
; %bb.1129:
	global_load_ubyte v1, v[1:2], off
	s_movk_i32 s2, 0xff
	s_waitcnt vmcnt(1)
	v_mov_b32_e32 v3, 0xff
	s_waitcnt vmcnt(0)
	v_cvt_f32_ubyte0_e32 v2, v1
	v_lshrrev_b32_e32 v1, 23, v2
	v_cmp_ne_u32_e32 vcc, s2, v1
	s_and_saveexec_b64 s[12:13], vcc
; %bb.1130:
	s_mov_b32 s2, 0x3fffff
	v_and_b32_e32 v3, 0x400000, v2
	v_and_or_b32 v2, v2, s2, v1
	v_cmp_ne_u32_e32 vcc, 0, v3
	v_cmp_ne_u32_e64 s[2:3], 0, v2
	s_and_b64 s[2:3], vcc, s[2:3]
	v_cndmask_b32_e64 v2, 0, 1, s[2:3]
	v_add_u32_e32 v3, v1, v2
; %bb.1131:
	s_or_b64 exec, exec, s[12:13]
.LBB324_1132:
	s_or_b64 s[8:9], s[8:9], exec
.LBB324_1133:
	s_or_b64 exec, exec, s[10:11]
	s_mov_b64 s[14:15], 0
	s_mov_b64 s[12:13], 0
                                        ; implicit-def: $sgpr2_sgpr3
                                        ; implicit-def: $sgpr18
                                        ; implicit-def: $vgpr1_vgpr2
	s_and_saveexec_b64 s[10:11], s[8:9]
	s_cbranch_execz .LBB324_1208
; %bb.1134:
	s_movk_i32 s2, 0xff
	v_mov_b32_e32 v1, 23
	s_waitcnt vmcnt(0)
	v_lshlrev_b32_sdwa v1, v1, v3 dst_sel:DWORD dst_unused:UNUSED_PAD src0_sel:DWORD src1_sel:BYTE_0
	v_mov_b32_e32 v2, 0x7f800001
	v_cmp_ne_u16_sdwa vcc, v3, s2 src0_sel:BYTE_0 src1_sel:DWORD
	v_cndmask_b32_e32 v1, v2, v1, vcc
	v_mov_b32_e32 v2, 0
	v_mov_b32_e32 v5, 0x400000
	v_cmp_ne_u16_sdwa vcc, v3, v2 src0_sel:BYTE_0 src1_sel:DWORD
	v_cndmask_b32_e32 v1, v5, v1, vcc
	v_cmp_eq_f32_e32 vcc, v4, v1
	v_cndmask_b32_e64 v2, 0, 1, vcc
	v_cmp_neq_f32_e32 vcc, v4, v1
	v_cndmask_b32_e64 v1, 0, 1, vcc
	v_cndmask_b32_e64 v1, v1, v2, s[0:1]
	v_and_b32_e32 v1, 1, v1
	v_cmp_eq_u32_e64 s[2:3], 1, v1
	v_mov_b32_e32 v2, s25
	s_and_b32 s18, s77, 0xff
	v_add_co_u32_e32 v1, vcc, s24, v0
	s_cmp_lt_i32 s18, 11
	v_addc_co_u32_e32 v2, vcc, 0, v2, vcc
	s_cbranch_scc1 .LBB324_1211
; %bb.1135:
	s_and_b32 s19, 0xffff, s18
	s_mov_b64 s[12:13], -1
	s_cmp_gt_i32 s19, 25
	s_mov_b64 s[0:1], s[58:59]
	s_cbranch_scc0 .LBB324_1168
; %bb.1136:
	s_mov_b64 s[8:9], -1
	s_cmp_gt_i32 s19, 28
	s_mov_b64 s[0:1], s[58:59]
	s_cbranch_scc0 .LBB324_1152
; %bb.1137:
	s_cmp_gt_i32 s19, 43
	s_mov_b64 s[0:1], s[58:59]
	s_cbranch_scc0 .LBB324_1148
; %bb.1138:
	s_cmp_gt_i32 s19, 45
	s_mov_b64 s[0:1], s[58:59]
	s_cbranch_scc0 .LBB324_1142
; %bb.1139:
	s_cmp_eq_u32 s19, 46
	s_mov_b64 s[0:1], -1
	s_cbranch_scc0 .LBB324_1141
; %bb.1140:
	v_cndmask_b32_e64 v0, 0, 1.0, s[2:3]
	v_bfe_u32 v3, v0, 16, 1
	s_movk_i32 s0, 0x7fff
	v_add3_u32 v0, v0, v3, s0
	v_lshrrev_b32_e32 v0, 16, v0
	global_store_dword v[1:2], v0, off
	s_mov_b64 s[0:1], 0
.LBB324_1141:
	s_mov_b64 s[8:9], 0
.LBB324_1142:
	s_and_b64 vcc, exec, s[8:9]
	s_cbranch_vccz .LBB324_1147
; %bb.1143:
	s_cmp_eq_u32 s19, 44
	s_mov_b64 s[0:1], -1
	s_cbranch_scc0 .LBB324_1147
; %bb.1144:
	v_cndmask_b32_e64 v3, 0, 1.0, s[2:3]
	v_lshrrev_b32_e32 v0, 23, v3
	s_movk_i32 s0, 0xff
	v_cmp_ne_u32_e32 vcc, s0, v0
	v_mov_b32_e32 v4, 0xff
	s_and_saveexec_b64 s[8:9], vcc
; %bb.1145:
	s_mov_b32 s0, 0x3fffff
	v_and_b32_e32 v4, 0x400000, v3
	v_and_or_b32 v3, v3, s0, v0
	v_cmp_ne_u32_e32 vcc, 0, v4
	v_cmp_ne_u32_e64 s[0:1], 0, v3
	s_and_b64 s[0:1], vcc, s[0:1]
	v_cndmask_b32_e64 v3, 0, 1, s[0:1]
	v_add_u32_e32 v4, v0, v3
; %bb.1146:
	s_or_b64 exec, exec, s[8:9]
	s_mov_b64 s[0:1], 0
	global_store_byte v[1:2], v4, off
.LBB324_1147:
	s_mov_b64 s[8:9], 0
.LBB324_1148:
	s_and_b64 vcc, exec, s[8:9]
	s_cbranch_vccz .LBB324_1151
; %bb.1149:
	s_cmp_eq_u32 s19, 29
	s_mov_b64 s[0:1], -1
	s_cbranch_scc0 .LBB324_1151
; %bb.1150:
	s_mov_b32 s0, 0
	v_cndmask_b32_e64 v3, 0, 1, s[2:3]
	v_mov_b32_e32 v4, s0
	global_store_dwordx2 v[1:2], v[3:4], off
	s_mov_b64 s[0:1], 0
.LBB324_1151:
	s_mov_b64 s[8:9], 0
.LBB324_1152:
	s_and_b64 vcc, exec, s[8:9]
	s_cbranch_vccz .LBB324_1167
; %bb.1153:
	s_cmp_lt_i32 s19, 27
	s_mov_b64 s[8:9], -1
	s_cbranch_scc1 .LBB324_1159
; %bb.1154:
	s_cmp_gt_i32 s19, 27
	s_cbranch_scc0 .LBB324_1156
; %bb.1155:
	v_cndmask_b32_e64 v0, 0, 1, s[2:3]
	s_mov_b64 s[8:9], 0
	global_store_dword v[1:2], v0, off
.LBB324_1156:
	s_andn2_b64 vcc, exec, s[8:9]
	s_cbranch_vccnz .LBB324_1158
; %bb.1157:
	v_cndmask_b32_e64 v0, 0, 1, s[2:3]
	global_store_short v[1:2], v0, off
.LBB324_1158:
	s_mov_b64 s[8:9], 0
.LBB324_1159:
	s_andn2_b64 vcc, exec, s[8:9]
	s_cbranch_vccnz .LBB324_1167
; %bb.1160:
	v_cndmask_b32_e64 v3, 0, 1.0, s[2:3]
	s_mov_b32 s8, 0x43800000
	v_cmp_gt_u32_e32 vcc, s8, v3
	v_mov_b32_e32 v4, 0x80
	s_and_saveexec_b64 s[8:9], vcc
	s_cbranch_execz .LBB324_1166
; %bb.1161:
	s_mov_b32 s12, 0x3bffffff
	v_cmp_lt_u32_e32 vcc, s12, v3
	s_mov_b64 s[12:13], 0
                                        ; implicit-def: $vgpr0
	s_and_saveexec_b64 s[14:15], vcc
	s_xor_b64 s[14:15], exec, s[14:15]
	s_cbranch_execz .LBB324_1326
; %bb.1162:
	v_bfe_u32 v0, v3, 20, 1
	s_mov_b32 s16, 0x487ffff
	v_add3_u32 v0, v3, v0, s16
	s_mov_b64 s[12:13], exec
	v_lshrrev_b32_e32 v0, 20, v0
                                        ; implicit-def: $vgpr3
	s_andn2_saveexec_b64 s[14:15], s[14:15]
	s_cbranch_execnz .LBB324_1327
.LBB324_1163:
	s_or_b64 exec, exec, s[14:15]
	v_mov_b32_e32 v4, 0
	s_and_saveexec_b64 s[14:15], s[12:13]
.LBB324_1164:
	v_mov_b32_e32 v4, v0
.LBB324_1165:
	s_or_b64 exec, exec, s[14:15]
.LBB324_1166:
	s_or_b64 exec, exec, s[8:9]
	global_store_byte v[1:2], v4, off
.LBB324_1167:
	s_mov_b64 s[12:13], 0
.LBB324_1168:
	s_mov_b64 s[8:9], 0
	s_and_b64 vcc, exec, s[12:13]
	s_cbranch_vccz .LBB324_1212
; %bb.1169:
	s_cmp_gt_i32 s19, 22
	s_mov_b64 s[12:13], -1
	s_cbranch_scc0 .LBB324_1201
; %bb.1170:
	s_cmp_lt_i32 s19, 24
	s_cbranch_scc1 .LBB324_1190
; %bb.1171:
	s_cmp_gt_i32 s19, 24
	s_cbranch_scc0 .LBB324_1179
; %bb.1172:
	v_cndmask_b32_e64 v3, 0, 1.0, s[2:3]
	s_mov_b32 s12, 0x47800000
	v_cmp_gt_u32_e32 vcc, s12, v3
	v_mov_b32_e32 v4, 0x80
	s_and_saveexec_b64 s[12:13], vcc
	s_cbranch_execz .LBB324_1178
; %bb.1173:
	s_mov_b32 s14, 0x37ffffff
	v_cmp_lt_u32_e32 vcc, s14, v3
	s_mov_b64 s[14:15], 0
                                        ; implicit-def: $vgpr0
	s_and_saveexec_b64 s[16:17], vcc
	s_xor_b64 s[16:17], exec, s[16:17]
	s_cbranch_execz .LBB324_1492
; %bb.1174:
	v_bfe_u32 v0, v3, 21, 1
	s_mov_b32 s20, 0x88fffff
	v_add3_u32 v0, v3, v0, s20
	s_mov_b64 s[14:15], exec
	v_lshrrev_b32_e32 v0, 21, v0
                                        ; implicit-def: $vgpr3
	s_andn2_saveexec_b64 s[16:17], s[16:17]
	s_cbranch_execnz .LBB324_1493
.LBB324_1175:
	s_or_b64 exec, exec, s[16:17]
	v_mov_b32_e32 v4, 0
	s_and_saveexec_b64 s[16:17], s[14:15]
.LBB324_1176:
	v_mov_b32_e32 v4, v0
.LBB324_1177:
	s_or_b64 exec, exec, s[16:17]
.LBB324_1178:
	s_or_b64 exec, exec, s[12:13]
	s_mov_b64 s[12:13], 0
	global_store_byte v[1:2], v4, off
.LBB324_1179:
	s_and_b64 vcc, exec, s[12:13]
	s_cbranch_vccz .LBB324_1189
; %bb.1180:
	v_cndmask_b32_e64 v0, 0, 1.0, s[2:3]
	s_mov_b32 s12, 0x43f00000
	v_cmp_gt_u32_e32 vcc, s12, v0
                                        ; implicit-def: $vgpr3
	s_and_saveexec_b64 s[12:13], vcc
	s_xor_b64 s[12:13], exec, s[12:13]
	s_cbranch_execz .LBB324_1186
; %bb.1181:
	s_mov_b32 s14, 0x3c7fffff
	v_cmp_lt_u32_e32 vcc, s14, v0
                                        ; implicit-def: $vgpr3
	s_and_saveexec_b64 s[14:15], vcc
	s_xor_b64 s[14:15], exec, s[14:15]
; %bb.1182:
	v_bfe_u32 v3, v0, 20, 1
	s_mov_b32 s16, 0x407ffff
	v_add3_u32 v0, v0, v3, s16
	v_lshrrev_b32_e32 v3, 20, v0
	v_and_b32_e32 v0, 0xff00000, v0
	s_mov_b32 s16, 0x7f00000
	v_mov_b32_e32 v4, 0x7e
	v_cmp_ne_u32_e32 vcc, s16, v0
	v_cndmask_b32_e32 v3, v4, v3, vcc
                                        ; implicit-def: $vgpr0
; %bb.1183:
	s_andn2_saveexec_b64 s[14:15], s[14:15]
; %bb.1184:
	v_add_f32_e32 v3, 0x46800000, v0
; %bb.1185:
	s_or_b64 exec, exec, s[14:15]
                                        ; implicit-def: $vgpr0
.LBB324_1186:
	s_andn2_saveexec_b64 s[12:13], s[12:13]
; %bb.1187:
	s_mov_b32 s14, 0x7f800000
	v_mov_b32_e32 v3, 0x7e
	v_mov_b32_e32 v4, 0x7f
	v_cmp_lt_u32_e32 vcc, s14, v0
	v_cndmask_b32_e32 v3, v3, v4, vcc
; %bb.1188:
	s_or_b64 exec, exec, s[12:13]
	global_store_byte v[1:2], v3, off
.LBB324_1189:
	s_mov_b64 s[12:13], 0
.LBB324_1190:
	s_andn2_b64 vcc, exec, s[12:13]
	s_cbranch_vccnz .LBB324_1200
; %bb.1191:
	v_cndmask_b32_e64 v0, 0, 1.0, s[2:3]
	s_mov_b32 s12, 0x47800000
	v_cmp_gt_u32_e32 vcc, s12, v0
                                        ; implicit-def: $vgpr3
	s_and_saveexec_b64 s[12:13], vcc
	s_xor_b64 s[12:13], exec, s[12:13]
	s_cbranch_execz .LBB324_1197
; %bb.1192:
	s_mov_b32 s14, 0x387fffff
	v_cmp_lt_u32_e32 vcc, s14, v0
                                        ; implicit-def: $vgpr3
	s_and_saveexec_b64 s[14:15], vcc
	s_xor_b64 s[14:15], exec, s[14:15]
; %bb.1193:
	v_bfe_u32 v3, v0, 21, 1
	s_mov_b32 s16, 0x80fffff
	v_add3_u32 v0, v0, v3, s16
	v_lshrrev_b32_e32 v3, 21, v0
                                        ; implicit-def: $vgpr0
; %bb.1194:
	s_andn2_saveexec_b64 s[14:15], s[14:15]
; %bb.1195:
	v_add_f32_e32 v3, 0x43000000, v0
; %bb.1196:
	s_or_b64 exec, exec, s[14:15]
                                        ; implicit-def: $vgpr0
.LBB324_1197:
	s_andn2_saveexec_b64 s[12:13], s[12:13]
; %bb.1198:
	s_mov_b32 s14, 0x7f800000
	v_mov_b32_e32 v3, 0x7c
	v_mov_b32_e32 v4, 0x7f
	v_cmp_lt_u32_e32 vcc, s14, v0
	v_cndmask_b32_e32 v3, v3, v4, vcc
; %bb.1199:
	s_or_b64 exec, exec, s[12:13]
	global_store_byte v[1:2], v3, off
.LBB324_1200:
	s_mov_b64 s[12:13], 0
.LBB324_1201:
	s_andn2_b64 vcc, exec, s[12:13]
	s_mov_b64 s[14:15], 0
	s_cbranch_vccnz .LBB324_1213
; %bb.1202:
	s_cmp_gt_i32 s19, 14
	s_mov_b64 s[12:13], -1
	s_cbranch_scc0 .LBB324_1206
; %bb.1203:
	s_cmp_eq_u32 s19, 15
	s_mov_b64 s[0:1], -1
	s_cbranch_scc0 .LBB324_1205
; %bb.1204:
	v_cndmask_b32_e64 v0, 0, 1.0, s[2:3]
	v_bfe_u32 v3, v0, 16, 1
	s_movk_i32 s0, 0x7fff
	v_add3_u32 v0, v0, v3, s0
	global_store_short_d16_hi v[1:2], v0, off
	s_mov_b64 s[0:1], 0
.LBB324_1205:
	s_mov_b64 s[12:13], 0
.LBB324_1206:
	s_and_b64 vcc, exec, s[12:13]
	s_cbranch_vccz .LBB324_1213
; %bb.1207:
	s_cmp_lg_u32 s19, 11
	s_cselect_b64 s[12:13], -1, 0
	s_andn2_b64 s[0:1], s[0:1], exec
	s_and_b64 s[12:13], s[12:13], exec
	s_mov_b64 s[14:15], -1
	s_or_b64 s[0:1], s[0:1], s[12:13]
	s_branch .LBB324_1213
.LBB324_1208:
	s_or_b64 exec, exec, s[10:11]
	s_and_saveexec_b64 s[0:1], s[58:59]
	s_cbranch_execnz .LBB324_1214
.LBB324_1209:
	s_or_b64 exec, exec, s[0:1]
	s_and_saveexec_b64 s[0:1], s[14:15]
	s_xor_b64 s[0:1], exec, s[0:1]
	s_cbranch_execz .LBB324_1215
.LBB324_1210:
	v_cndmask_b32_e64 v0, 0, 1, s[2:3]
	global_store_byte v[1:2], v0, off
	s_or_b64 exec, exec, s[0:1]
	s_and_saveexec_b64 s[0:1], s[12:13]
	s_xor_b64 s[0:1], exec, s[0:1]
	s_cbranch_execz .LBB324_1253
	s_branch .LBB324_1216
.LBB324_1211:
	s_mov_b64 s[8:9], -1
	s_mov_b64 s[0:1], s[58:59]
	s_branch .LBB324_1213
.LBB324_1212:
	s_mov_b64 s[14:15], 0
.LBB324_1213:
	s_and_b64 s[12:13], s[8:9], exec
	s_andn2_b64 s[8:9], s[58:59], exec
	s_and_b64 s[0:1], s[0:1], exec
	s_and_b64 s[14:15], s[14:15], exec
	s_or_b64 s[58:59], s[8:9], s[0:1]
	s_or_b64 exec, exec, s[10:11]
	s_and_saveexec_b64 s[0:1], s[58:59]
	s_cbranch_execz .LBB324_1209
.LBB324_1214:
	s_or_b64 s[6:7], s[6:7], exec
	s_andn2_b64 s[14:15], s[14:15], exec
	s_trap 2
	s_or_b64 exec, exec, s[0:1]
	s_and_saveexec_b64 s[0:1], s[14:15]
	s_xor_b64 s[0:1], exec, s[0:1]
	s_cbranch_execnz .LBB324_1210
.LBB324_1215:
	s_or_b64 exec, exec, s[0:1]
	s_and_saveexec_b64 s[0:1], s[12:13]
	s_xor_b64 s[0:1], exec, s[0:1]
	s_cbranch_execz .LBB324_1253
.LBB324_1216:
	s_sext_i32_i16 s10, s18
	s_cmp_lt_i32 s10, 5
	s_mov_b64 s[8:9], -1
	s_cbranch_scc1 .LBB324_1237
; %bb.1217:
	s_cmp_lt_i32 s10, 8
	s_cbranch_scc1 .LBB324_1227
; %bb.1218:
	s_cmp_lt_i32 s10, 9
	s_cbranch_scc1 .LBB324_1224
; %bb.1219:
	s_cmp_gt_i32 s10, 9
	s_cbranch_scc0 .LBB324_1221
; %bb.1220:
	v_cndmask_b32_e64 v0, 0, 1, s[2:3]
	s_waitcnt vmcnt(0)
	v_cvt_f64_u32_e32 v[3:4], v0
	v_mov_b32_e32 v5, 0
	v_mov_b32_e32 v6, v5
	s_mov_b64 s[8:9], 0
	global_store_dwordx4 v[1:2], v[3:6], off
.LBB324_1221:
	s_andn2_b64 vcc, exec, s[8:9]
	s_cbranch_vccnz .LBB324_1223
; %bb.1222:
	s_waitcnt vmcnt(0)
	v_cndmask_b32_e64 v3, 0, 1.0, s[2:3]
	v_mov_b32_e32 v4, 0
	global_store_dwordx2 v[1:2], v[3:4], off
.LBB324_1223:
	s_mov_b64 s[8:9], 0
.LBB324_1224:
	s_andn2_b64 vcc, exec, s[8:9]
	s_cbranch_vccnz .LBB324_1226
; %bb.1225:
	v_cndmask_b32_e64 v0, 0, 1.0, s[2:3]
	v_cvt_f16_f32_e32 v0, v0
	global_store_dword v[1:2], v0, off
.LBB324_1226:
	s_mov_b64 s[8:9], 0
.LBB324_1227:
	s_andn2_b64 vcc, exec, s[8:9]
	s_cbranch_vccnz .LBB324_1236
; %bb.1228:
	s_sext_i32_i16 s10, s18
	s_cmp_lt_i32 s10, 6
	s_mov_b64 s[8:9], -1
	s_cbranch_scc1 .LBB324_1234
; %bb.1229:
	s_cmp_gt_i32 s10, 6
	s_cbranch_scc0 .LBB324_1231
; %bb.1230:
	v_cndmask_b32_e64 v0, 0, 1, s[2:3]
	s_waitcnt vmcnt(0)
	v_cvt_f64_u32_e32 v[3:4], v0
	s_mov_b64 s[8:9], 0
	global_store_dwordx2 v[1:2], v[3:4], off
.LBB324_1231:
	s_andn2_b64 vcc, exec, s[8:9]
	s_cbranch_vccnz .LBB324_1233
; %bb.1232:
	v_cndmask_b32_e64 v0, 0, 1.0, s[2:3]
	global_store_dword v[1:2], v0, off
.LBB324_1233:
	s_mov_b64 s[8:9], 0
.LBB324_1234:
	s_andn2_b64 vcc, exec, s[8:9]
	s_cbranch_vccnz .LBB324_1236
; %bb.1235:
	v_cndmask_b32_e64 v0, 0, 1.0, s[2:3]
	v_cvt_f16_f32_e32 v0, v0
	global_store_short v[1:2], v0, off
.LBB324_1236:
	s_mov_b64 s[8:9], 0
.LBB324_1237:
	s_andn2_b64 vcc, exec, s[8:9]
	s_cbranch_vccnz .LBB324_1253
; %bb.1238:
	s_sext_i32_i16 s10, s18
	s_cmp_lt_i32 s10, 2
	s_mov_b64 s[8:9], -1
	s_cbranch_scc1 .LBB324_1248
; %bb.1239:
	s_cmp_lt_i32 s10, 3
	s_cbranch_scc1 .LBB324_1245
; %bb.1240:
	s_cmp_gt_i32 s10, 3
	s_cbranch_scc0 .LBB324_1242
; %bb.1241:
	s_mov_b32 s8, 0
	s_waitcnt vmcnt(0)
	v_cndmask_b32_e64 v3, 0, 1, s[2:3]
	v_mov_b32_e32 v4, s8
	s_mov_b64 s[8:9], 0
	global_store_dwordx2 v[1:2], v[3:4], off
.LBB324_1242:
	s_andn2_b64 vcc, exec, s[8:9]
	s_cbranch_vccnz .LBB324_1244
; %bb.1243:
	v_cndmask_b32_e64 v0, 0, 1, s[2:3]
	global_store_dword v[1:2], v0, off
.LBB324_1244:
	s_mov_b64 s[8:9], 0
.LBB324_1245:
	s_andn2_b64 vcc, exec, s[8:9]
	s_cbranch_vccnz .LBB324_1247
; %bb.1246:
	v_cndmask_b32_e64 v0, 0, 1, s[2:3]
	global_store_short v[1:2], v0, off
.LBB324_1247:
	s_mov_b64 s[8:9], 0
.LBB324_1248:
	s_andn2_b64 vcc, exec, s[8:9]
	s_cbranch_vccnz .LBB324_1253
; %bb.1249:
	s_sext_i32_i16 s8, s18
	s_cmp_gt_i32 s8, 0
	s_mov_b64 s[8:9], -1
	s_cbranch_scc0 .LBB324_1251
; %bb.1250:
	v_cndmask_b32_e64 v0, 0, 1, s[2:3]
	s_mov_b64 s[8:9], 0
	global_store_byte v[1:2], v0, off
.LBB324_1251:
	s_andn2_b64 vcc, exec, s[8:9]
	s_cbranch_vccnz .LBB324_1253
; %bb.1252:
	v_cndmask_b32_e64 v0, 0, 1, s[2:3]
	global_store_byte v[1:2], v0, off
.LBB324_1253:
	s_or_b64 exec, exec, s[0:1]
	s_and_b64 s[6:7], s[6:7], exec
                                        ; implicit-def: $vgpr15
                                        ; implicit-def: $vgpr8
.LBB324_1254:
	s_or_saveexec_b64 s[28:29], s[48:49]
	s_mov_b64 s[0:1], 0
                                        ; implicit-def: $sgpr2_sgpr3
                                        ; implicit-def: $vgpr0_vgpr1
                                        ; implicit-def: $sgpr20
	s_xor_b64 exec, exec, s[28:29]
	s_cbranch_execz .LBB324_2425
; %bb.1255:
	v_cndmask_b32_e64 v0, 0, 1, s[46:47]
	v_cmp_ne_u32_e64 s[0:1], 1, v0
	s_andn2_b64 vcc, exec, s[46:47]
	s_cbranch_vccnz .LBB324_1261
; %bb.1256:
	s_cmp_lg_u32 s33, 0
	s_mov_b32 s36, 0
	s_cbranch_scc0 .LBB324_1262
; %bb.1257:
	s_min_u32 s37, s76, 15
	s_add_i32 s37, s37, 1
	s_cmp_eq_u32 s76, 2
	s_cbranch_scc1 .LBB324_1263
; %bb.1258:
	s_and_b32 s36, s37, 28
	s_add_u32 s2, s34, 0xc4
	s_addc_u32 s3, s35, 0
	v_mov_b32_e32 v13, 0
	s_mov_b32 s38, 0
	s_mov_b64 s[30:31], s[34:35]
	v_mov_b32_e32 v6, 0
	v_mov_b32_e32 v0, v8
.LBB324_1259:                           ; =>This Inner Loop Header: Depth=1
	s_load_dwordx8 s[16:23], s[30:31], 0x4
	s_load_dwordx4 s[24:27], s[30:31], 0x24
	s_load_dwordx8 s[8:15], s[2:3], 0x0
	s_add_u32 s30, s30, 48
	s_addc_u32 s31, s31, 0
	s_waitcnt lgkmcnt(0)
	v_mul_hi_u32 v1, s17, v0
	s_add_i32 s38, s38, 4
	s_add_u32 s2, s2, 32
	s_addc_u32 s3, s3, 0
	v_add_u32_e32 v1, v0, v1
	v_lshrrev_b32_e32 v1, s18, v1
	v_mul_lo_u32 v2, v1, s16
	s_waitcnt vmcnt(0)
	v_mul_hi_u32 v3, s20, v1
	s_cmp_lg_u32 s36, s38
	v_sub_u32_e32 v0, v0, v2
	v_add_u32_e32 v2, v1, v3
	v_mul_lo_u32 v3, v0, s8
	v_mul_lo_u32 v4, v0, s9
	v_lshrrev_b32_e32 v0, s21, v2
	v_mul_lo_u32 v2, v0, s19
	v_mul_hi_u32 v5, s23, v0
	v_sub_u32_e32 v1, v1, v2
	v_add_u32_e32 v2, v0, v5
	v_lshrrev_b32_e32 v2, s24, v2
	v_mul_hi_u32 v7, s26, v2
	v_mul_lo_u32 v9, v2, s22
	v_mul_lo_u32 v5, v1, s10
	v_mul_lo_u32 v1, v1, s11
	v_sub_u32_e32 v9, v0, v9
	v_add_u32_e32 v0, v2, v7
	v_lshrrev_b32_e32 v0, s27, v0
	v_mul_lo_u32 v7, v0, s25
	v_mul_lo_u32 v10, v9, s12
	v_mul_lo_u32 v9, v9, s13
	v_add3_u32 v3, v3, v6, v5
	v_sub_u32_e32 v2, v2, v7
	v_mul_lo_u32 v7, v2, s14
	v_mul_lo_u32 v2, v2, s15
	v_add3_u32 v1, v4, v13, v1
	v_add3_u32 v6, v10, v3, v7
	;; [unrolled: 1-line block ×3, first 2 shown]
	s_cbranch_scc1 .LBB324_1259
; %bb.1260:
	s_and_b32 s10, s37, 3
	s_cmp_eq_u32 s10, 0
	s_cbranch_scc0 .LBB324_1264
	s_branch .LBB324_1266
.LBB324_1261:
                                        ; implicit-def: $vgpr6
                                        ; implicit-def: $vgpr13
	s_branch .LBB324_1267
.LBB324_1262:
	v_mov_b32_e32 v6, 0
	v_mov_b32_e32 v13, 0
	s_branch .LBB324_1266
.LBB324_1263:
	v_mov_b32_e32 v6, 0
	v_mov_b32_e32 v13, 0
	;; [unrolled: 1-line block ×3, first 2 shown]
	s_and_b32 s10, s37, 3
	s_cmp_eq_u32 s10, 0
	s_cbranch_scc1 .LBB324_1266
.LBB324_1264:
	s_lshl_b32 s2, s36, 3
	s_add_u32 s2, s34, s2
	s_addc_u32 s3, s35, 0
	s_add_u32 s2, s2, 0xc4
	s_addc_u32 s3, s3, 0
	s_mul_i32 s8, s36, 12
	s_add_u32 s8, s34, s8
	s_addc_u32 s9, s35, 0
.LBB324_1265:                           ; =>This Inner Loop Header: Depth=1
	s_load_dwordx2 s[12:13], s[8:9], 0x4
	s_load_dword s11, s[8:9], 0xc
	s_load_dwordx2 s[14:15], s[2:3], 0x0
	s_add_u32 s8, s8, 12
	s_addc_u32 s9, s9, 0
	s_waitcnt lgkmcnt(0)
	v_mul_hi_u32 v1, s13, v0
	s_add_u32 s2, s2, 8
	s_addc_u32 s3, s3, 0
	s_add_i32 s10, s10, -1
	v_add_u32_e32 v1, v0, v1
	v_lshrrev_b32_e32 v1, s11, v1
	v_mul_lo_u32 v2, v1, s12
	s_cmp_lg_u32 s10, 0
	v_sub_u32_e32 v0, v0, v2
	v_mad_u64_u32 v[6:7], s[12:13], v0, s14, v[6:7]
	v_mad_u64_u32 v[13:14], s[12:13], v0, s15, v[13:14]
	v_mov_b32_e32 v0, v1
	s_cbranch_scc1 .LBB324_1265
.LBB324_1266:
	s_cbranch_execnz .LBB324_1269
.LBB324_1267:
	s_load_dwordx4 s[8:11], s[34:35], 0x4
	s_load_dwordx2 s[2:3], s[34:35], 0xc4
	s_cmp_lt_u32 s33, 2
	s_waitcnt lgkmcnt(0)
	v_mul_hi_u32 v0, s9, v8
	v_add_u32_e32 v0, v8, v0
	v_lshrrev_b32_e32 v0, s10, v0
	v_mul_lo_u32 v1, v0, s8
	v_sub_u32_e32 v1, v8, v1
	v_mul_lo_u32 v6, v1, s2
	v_mul_lo_u32 v13, v1, s3
	s_cbranch_scc1 .LBB324_1269
; %bb.1268:
	s_load_dwordx4 s[8:11], s[34:35], 0x10
	s_load_dwordx2 s[2:3], s[34:35], 0xcc
	s_waitcnt lgkmcnt(0)
	v_mul_hi_u32 v1, s9, v0
	v_add_u32_e32 v1, v0, v1
	v_lshrrev_b32_e32 v1, s10, v1
	v_mul_lo_u32 v1, v1, s8
	v_sub_u32_e32 v0, v0, v1
	v_mad_u64_u32 v[6:7], s[8:9], v0, s2, v[6:7]
	v_mad_u64_u32 v[13:14], s[2:3], v0, s3, v[13:14]
.LBB324_1269:
	s_and_b64 vcc, exec, s[0:1]
	v_add_u32_e32 v0, 0x80, v8
	s_cbranch_vccnz .LBB324_1275
; %bb.1270:
	s_cmp_lg_u32 s33, 0
	s_mov_b32 s36, 0
	s_cbranch_scc0 .LBB324_1276
; %bb.1271:
	s_min_u32 s37, s76, 15
	s_add_i32 s37, s37, 1
	s_cmp_eq_u32 s76, 2
	s_cbranch_scc1 .LBB324_1277
; %bb.1272:
	s_and_b32 s36, s37, 28
	s_add_u32 s2, s34, 0xc4
	s_addc_u32 s3, s35, 0
	v_mov_b32_e32 v11, 0
	s_mov_b32 s38, 0
	s_mov_b64 s[30:31], s[34:35]
	v_mov_b32_e32 v4, 0
	v_mov_b32_e32 v1, v0
.LBB324_1273:                           ; =>This Inner Loop Header: Depth=1
	s_load_dwordx8 s[16:23], s[30:31], 0x4
	s_load_dwordx4 s[24:27], s[30:31], 0x24
	s_load_dwordx8 s[8:15], s[2:3], 0x0
	s_add_u32 s30, s30, 48
	s_addc_u32 s31, s31, 0
	s_waitcnt lgkmcnt(0)
	v_mul_hi_u32 v2, s17, v1
	s_add_i32 s38, s38, 4
	s_add_u32 s2, s2, 32
	s_addc_u32 s3, s3, 0
	v_add_u32_e32 v2, v1, v2
	v_lshrrev_b32_e32 v2, s18, v2
	s_waitcnt vmcnt(0)
	v_mul_lo_u32 v3, v2, s16
	v_mul_hi_u32 v5, s20, v2
	s_cmp_lg_u32 s36, s38
	v_sub_u32_e32 v1, v1, v3
	v_add_u32_e32 v3, v2, v5
	v_mul_lo_u32 v5, v1, s8
	v_mul_lo_u32 v7, v1, s9
	v_lshrrev_b32_e32 v1, s21, v3
	v_mul_lo_u32 v3, v1, s19
	v_mul_hi_u32 v9, s23, v1
	v_sub_u32_e32 v2, v2, v3
	v_add_u32_e32 v3, v1, v9
	v_lshrrev_b32_e32 v3, s24, v3
	v_mul_hi_u32 v10, s26, v3
	v_mul_lo_u32 v12, v3, s22
	v_mul_lo_u32 v9, v2, s10
	;; [unrolled: 1-line block ×3, first 2 shown]
	v_sub_u32_e32 v12, v1, v12
	v_add_u32_e32 v1, v3, v10
	v_lshrrev_b32_e32 v1, s27, v1
	v_mul_lo_u32 v10, v1, s25
	v_mul_lo_u32 v14, v12, s12
	;; [unrolled: 1-line block ×3, first 2 shown]
	v_add3_u32 v4, v5, v4, v9
	v_sub_u32_e32 v3, v3, v10
	v_mul_lo_u32 v10, v3, s14
	v_mul_lo_u32 v3, v3, s15
	v_add3_u32 v2, v7, v11, v2
	v_add3_u32 v4, v14, v4, v10
	;; [unrolled: 1-line block ×3, first 2 shown]
	s_cbranch_scc1 .LBB324_1273
; %bb.1274:
	s_and_b32 s10, s37, 3
	s_cmp_eq_u32 s10, 0
	s_cbranch_scc0 .LBB324_1278
	s_branch .LBB324_1280
.LBB324_1275:
                                        ; implicit-def: $vgpr4
                                        ; implicit-def: $vgpr11
	s_branch .LBB324_1281
.LBB324_1276:
	v_mov_b32_e32 v4, 0
	v_mov_b32_e32 v11, 0
	s_branch .LBB324_1280
.LBB324_1277:
	v_mov_b32_e32 v4, 0
	v_mov_b32_e32 v11, 0
	;; [unrolled: 1-line block ×3, first 2 shown]
	s_and_b32 s10, s37, 3
	s_cmp_eq_u32 s10, 0
	s_cbranch_scc1 .LBB324_1280
.LBB324_1278:
	s_lshl_b32 s2, s36, 3
	s_add_u32 s2, s34, s2
	s_addc_u32 s3, s35, 0
	s_add_u32 s2, s2, 0xc4
	s_addc_u32 s3, s3, 0
	s_mul_i32 s8, s36, 12
	s_add_u32 s8, s34, s8
	s_addc_u32 s9, s35, 0
.LBB324_1279:                           ; =>This Inner Loop Header: Depth=1
	s_load_dwordx2 s[12:13], s[8:9], 0x4
	s_load_dword s11, s[8:9], 0xc
	s_load_dwordx2 s[14:15], s[2:3], 0x0
	s_add_u32 s8, s8, 12
	s_addc_u32 s9, s9, 0
	s_waitcnt lgkmcnt(0)
	v_mul_hi_u32 v2, s13, v1
	s_add_u32 s2, s2, 8
	s_addc_u32 s3, s3, 0
	s_add_i32 s10, s10, -1
	v_add_u32_e32 v2, v1, v2
	v_lshrrev_b32_e32 v2, s11, v2
	s_waitcnt vmcnt(0)
	v_mul_lo_u32 v3, v2, s12
	s_cmp_lg_u32 s10, 0
	v_sub_u32_e32 v1, v1, v3
	v_mad_u64_u32 v[4:5], s[12:13], v1, s14, v[4:5]
	v_mad_u64_u32 v[11:12], s[12:13], v1, s15, v[11:12]
	v_mov_b32_e32 v1, v2
	s_cbranch_scc1 .LBB324_1279
.LBB324_1280:
	s_cbranch_execnz .LBB324_1283
.LBB324_1281:
	s_load_dwordx4 s[8:11], s[34:35], 0x4
	s_load_dwordx2 s[2:3], s[34:35], 0xc4
	s_cmp_lt_u32 s33, 2
	s_waitcnt lgkmcnt(0)
	v_mul_hi_u32 v1, s9, v0
	v_add_u32_e32 v1, v0, v1
	v_lshrrev_b32_e32 v1, s10, v1
	v_mul_lo_u32 v2, v1, s8
	v_sub_u32_e32 v0, v0, v2
	v_mul_lo_u32 v4, v0, s2
	v_mul_lo_u32 v11, v0, s3
	s_cbranch_scc1 .LBB324_1283
; %bb.1282:
	s_load_dwordx4 s[8:11], s[34:35], 0x10
	s_load_dwordx2 s[2:3], s[34:35], 0xcc
	s_waitcnt lgkmcnt(0)
	v_mul_hi_u32 v0, s9, v1
	v_add_u32_e32 v0, v1, v0
	v_lshrrev_b32_e32 v0, s10, v0
	v_mul_lo_u32 v0, v0, s8
	v_sub_u32_e32 v0, v1, v0
	v_mad_u64_u32 v[4:5], s[8:9], v0, s2, v[4:5]
	v_mad_u64_u32 v[11:12], s[2:3], v0, s3, v[11:12]
.LBB324_1283:
	s_and_b64 vcc, exec, s[0:1]
	v_add_u32_e32 v0, 0x100, v8
	s_cbranch_vccnz .LBB324_1289
; %bb.1284:
	s_cmp_lg_u32 s33, 0
	s_mov_b32 s36, 0
	s_cbranch_scc0 .LBB324_1290
; %bb.1285:
	s_min_u32 s37, s76, 15
	s_add_i32 s37, s37, 1
	s_cmp_eq_u32 s76, 2
	s_cbranch_scc1 .LBB324_1291
; %bb.1286:
	s_and_b32 s36, s37, 28
	s_add_u32 s2, s34, 0xc4
	s_addc_u32 s3, s35, 0
	v_mov_b32_e32 v9, 0
	s_mov_b32 s38, 0
	s_mov_b64 s[30:31], s[34:35]
	v_mov_b32_e32 v2, 0
	v_mov_b32_e32 v1, v0
.LBB324_1287:                           ; =>This Inner Loop Header: Depth=1
	s_load_dwordx8 s[16:23], s[30:31], 0x4
	s_load_dwordx4 s[24:27], s[30:31], 0x24
	s_load_dwordx8 s[8:15], s[2:3], 0x0
	s_add_u32 s30, s30, 48
	s_addc_u32 s31, s31, 0
	s_waitcnt vmcnt(0) lgkmcnt(0)
	v_mul_hi_u32 v3, s17, v1
	s_add_i32 s38, s38, 4
	s_add_u32 s2, s2, 32
	s_addc_u32 s3, s3, 0
	v_add_u32_e32 v3, v1, v3
	v_lshrrev_b32_e32 v3, s18, v3
	v_mul_lo_u32 v5, v3, s16
	v_mul_hi_u32 v7, s20, v3
	s_cmp_lg_u32 s36, s38
	v_sub_u32_e32 v1, v1, v5
	v_add_u32_e32 v5, v3, v7
	v_mul_lo_u32 v7, v1, s8
	v_mul_lo_u32 v8, v1, s9
	v_lshrrev_b32_e32 v1, s21, v5
	v_mul_lo_u32 v5, v1, s19
	v_mul_hi_u32 v10, s23, v1
	v_sub_u32_e32 v3, v3, v5
	v_add_u32_e32 v5, v1, v10
	v_lshrrev_b32_e32 v5, s24, v5
	v_mul_hi_u32 v12, s26, v5
	v_mul_lo_u32 v14, v5, s22
	v_mul_lo_u32 v10, v3, s10
	;; [unrolled: 1-line block ×3, first 2 shown]
	v_sub_u32_e32 v14, v1, v14
	v_add_u32_e32 v1, v5, v12
	v_lshrrev_b32_e32 v1, s27, v1
	v_mul_lo_u32 v12, v1, s25
	v_mul_lo_u32 v16, v14, s12
	;; [unrolled: 1-line block ×3, first 2 shown]
	v_add3_u32 v2, v7, v2, v10
	v_sub_u32_e32 v5, v5, v12
	v_mul_lo_u32 v12, v5, s14
	v_mul_lo_u32 v5, v5, s15
	v_add3_u32 v3, v8, v9, v3
	v_add3_u32 v2, v16, v2, v12
	v_add3_u32 v9, v14, v3, v5
	s_cbranch_scc1 .LBB324_1287
; %bb.1288:
	s_and_b32 s10, s37, 3
	s_cmp_eq_u32 s10, 0
	s_cbranch_scc0 .LBB324_1292
	s_branch .LBB324_1294
.LBB324_1289:
                                        ; implicit-def: $vgpr2
                                        ; implicit-def: $vgpr9
	s_branch .LBB324_1295
.LBB324_1290:
	v_mov_b32_e32 v2, 0
	v_mov_b32_e32 v9, 0
	s_branch .LBB324_1294
.LBB324_1291:
	v_mov_b32_e32 v2, 0
	v_mov_b32_e32 v9, 0
	;; [unrolled: 1-line block ×3, first 2 shown]
	s_and_b32 s10, s37, 3
	s_cmp_eq_u32 s10, 0
	s_cbranch_scc1 .LBB324_1294
.LBB324_1292:
	s_lshl_b32 s2, s36, 3
	s_add_u32 s2, s34, s2
	s_addc_u32 s3, s35, 0
	s_add_u32 s2, s2, 0xc4
	s_addc_u32 s3, s3, 0
	s_mul_i32 s8, s36, 12
	s_add_u32 s8, s34, s8
	s_addc_u32 s9, s35, 0
.LBB324_1293:                           ; =>This Inner Loop Header: Depth=1
	s_load_dwordx2 s[12:13], s[8:9], 0x4
	s_load_dword s11, s[8:9], 0xc
	s_load_dwordx2 s[14:15], s[2:3], 0x0
	s_add_u32 s8, s8, 12
	s_addc_u32 s9, s9, 0
	s_waitcnt vmcnt(0) lgkmcnt(0)
	v_mul_hi_u32 v3, s13, v1
	s_add_u32 s2, s2, 8
	s_addc_u32 s3, s3, 0
	s_add_i32 s10, s10, -1
	v_add_u32_e32 v3, v1, v3
	v_lshrrev_b32_e32 v5, s11, v3
	v_mul_lo_u32 v3, v5, s12
	s_cmp_lg_u32 s10, 0
	v_sub_u32_e32 v1, v1, v3
	v_mad_u64_u32 v[2:3], s[12:13], v1, s14, v[2:3]
	v_mad_u64_u32 v[9:10], s[12:13], v1, s15, v[9:10]
	v_mov_b32_e32 v1, v5
	s_cbranch_scc1 .LBB324_1293
.LBB324_1294:
	s_cbranch_execnz .LBB324_1297
.LBB324_1295:
	s_load_dwordx4 s[8:11], s[34:35], 0x4
	s_load_dwordx2 s[2:3], s[34:35], 0xc4
	s_cmp_lt_u32 s33, 2
	s_waitcnt lgkmcnt(0)
	v_mul_hi_u32 v1, s9, v0
	v_add_u32_e32 v1, v0, v1
	v_lshrrev_b32_e32 v1, s10, v1
	v_mul_lo_u32 v2, v1, s8
	v_sub_u32_e32 v0, v0, v2
	v_mul_lo_u32 v2, v0, s2
	v_mul_lo_u32 v9, v0, s3
	s_cbranch_scc1 .LBB324_1297
; %bb.1296:
	s_load_dwordx4 s[8:11], s[34:35], 0x10
	s_load_dwordx2 s[2:3], s[34:35], 0xcc
	s_waitcnt lgkmcnt(0)
	v_mul_hi_u32 v0, s9, v1
	v_add_u32_e32 v0, v1, v0
	v_lshrrev_b32_e32 v0, s10, v0
	v_mul_lo_u32 v0, v0, s8
	v_sub_u32_e32 v0, v1, v0
	s_waitcnt vmcnt(0)
	v_mad_u64_u32 v[2:3], s[8:9], v0, s2, v[2:3]
	v_mad_u64_u32 v[9:10], s[2:3], v0, s3, v[9:10]
.LBB324_1297:
	s_and_b64 vcc, exec, s[0:1]
	s_cbranch_vccnz .LBB324_1303
; %bb.1298:
	s_cmp_lg_u32 s33, 0
	s_mov_b32 s30, 0
	s_cbranch_scc0 .LBB324_1304
; %bb.1299:
	s_min_u32 s31, s76, 15
	s_add_i32 s31, s31, 1
	s_cmp_eq_u32 s76, 2
	s_cbranch_scc1 .LBB324_1305
; %bb.1300:
	s_and_b32 s30, s31, 28
	s_add_u32 s24, s34, 0xc4
	s_addc_u32 s25, s35, 0
	v_mov_b32_e32 v7, 0
	s_mov_b32 s36, 0
	s_mov_b64 s[26:27], s[34:35]
	v_mov_b32_e32 v0, 0
	v_mov_b32_e32 v1, v15
.LBB324_1301:                           ; =>This Inner Loop Header: Depth=1
	s_load_dwordx8 s[16:23], s[26:27], 0x4
	s_load_dwordx4 s[0:3], s[26:27], 0x24
	s_load_dwordx8 s[8:15], s[24:25], 0x0
	s_add_u32 s26, s26, 48
	s_addc_u32 s27, s27, 0
	s_waitcnt vmcnt(0) lgkmcnt(0)
	v_mul_hi_u32 v3, s17, v1
	s_add_i32 s36, s36, 4
	s_add_u32 s24, s24, 32
	s_addc_u32 s25, s25, 0
	v_add_u32_e32 v3, v1, v3
	v_lshrrev_b32_e32 v3, s18, v3
	v_mul_lo_u32 v5, v3, s16
	v_mul_hi_u32 v8, s20, v3
	s_cmp_lg_u32 s30, s36
	v_sub_u32_e32 v1, v1, v5
	v_add_u32_e32 v5, v3, v8
	v_mul_lo_u32 v8, v1, s8
	v_mul_lo_u32 v10, v1, s9
	v_lshrrev_b32_e32 v1, s21, v5
	v_mul_lo_u32 v5, v1, s19
	v_mul_hi_u32 v12, s23, v1
	v_sub_u32_e32 v3, v3, v5
	v_add_u32_e32 v5, v1, v12
	v_lshrrev_b32_e32 v5, s0, v5
	v_mul_hi_u32 v14, s2, v5
	v_mul_lo_u32 v16, v5, s22
	v_mul_lo_u32 v12, v3, s10
	;; [unrolled: 1-line block ×3, first 2 shown]
	v_sub_u32_e32 v16, v1, v16
	v_add_u32_e32 v1, v5, v14
	v_lshrrev_b32_e32 v1, s3, v1
	v_mul_lo_u32 v14, v1, s1
	v_mul_lo_u32 v17, v16, s12
	;; [unrolled: 1-line block ×3, first 2 shown]
	v_add3_u32 v0, v8, v0, v12
	v_sub_u32_e32 v5, v5, v14
	v_mul_lo_u32 v14, v5, s14
	v_mul_lo_u32 v5, v5, s15
	v_add3_u32 v3, v10, v7, v3
	v_add3_u32 v0, v17, v0, v14
	v_add3_u32 v7, v16, v3, v5
	s_cbranch_scc1 .LBB324_1301
; %bb.1302:
	s_and_b32 s8, s31, 3
	s_cmp_eq_u32 s8, 0
	s_cbranch_scc0 .LBB324_1306
	s_branch .LBB324_1308
.LBB324_1303:
                                        ; implicit-def: $vgpr0
                                        ; implicit-def: $vgpr7
	s_branch .LBB324_1309
.LBB324_1304:
	v_mov_b32_e32 v0, 0
	v_mov_b32_e32 v7, 0
	s_branch .LBB324_1308
.LBB324_1305:
	v_mov_b32_e32 v0, 0
	v_mov_b32_e32 v7, 0
	;; [unrolled: 1-line block ×3, first 2 shown]
	s_and_b32 s8, s31, 3
	s_cmp_eq_u32 s8, 0
	s_cbranch_scc1 .LBB324_1308
.LBB324_1306:
	s_lshl_b32 s0, s30, 3
	s_add_u32 s0, s34, s0
	s_addc_u32 s1, s35, 0
	s_add_u32 s0, s0, 0xc4
	s_addc_u32 s1, s1, 0
	s_mul_i32 s2, s30, 12
	s_add_u32 s2, s34, s2
	s_addc_u32 s3, s35, 0
.LBB324_1307:                           ; =>This Inner Loop Header: Depth=1
	s_load_dwordx2 s[10:11], s[2:3], 0x4
	s_load_dword s9, s[2:3], 0xc
	s_load_dwordx2 s[12:13], s[0:1], 0x0
	s_add_u32 s2, s2, 12
	s_addc_u32 s3, s3, 0
	s_waitcnt vmcnt(0) lgkmcnt(0)
	v_mul_hi_u32 v3, s11, v1
	s_add_u32 s0, s0, 8
	s_addc_u32 s1, s1, 0
	s_add_i32 s8, s8, -1
	v_add_u32_e32 v3, v1, v3
	v_lshrrev_b32_e32 v3, s9, v3
	v_mul_lo_u32 v5, v3, s10
	s_cmp_lg_u32 s8, 0
	v_sub_u32_e32 v5, v1, v5
	v_mad_u64_u32 v[0:1], s[10:11], v5, s12, v[0:1]
	v_mad_u64_u32 v[7:8], s[10:11], v5, s13, v[7:8]
	v_mov_b32_e32 v1, v3
	s_cbranch_scc1 .LBB324_1307
.LBB324_1308:
	s_cbranch_execnz .LBB324_1311
.LBB324_1309:
	s_load_dwordx4 s[0:3], s[34:35], 0x4
	s_load_dwordx2 s[8:9], s[34:35], 0xc4
	s_cmp_lt_u32 s33, 2
	s_waitcnt lgkmcnt(0)
	v_mul_hi_u32 v0, s1, v15
	v_add_u32_e32 v0, v15, v0
	v_lshrrev_b32_e32 v1, s2, v0
	v_mul_lo_u32 v0, v1, s0
	s_waitcnt vmcnt(0)
	v_sub_u32_e32 v3, v15, v0
	v_mul_lo_u32 v0, v3, s8
	v_mul_lo_u32 v7, v3, s9
	s_cbranch_scc1 .LBB324_1311
; %bb.1310:
	s_load_dwordx4 s[0:3], s[34:35], 0x10
	s_load_dwordx2 s[8:9], s[34:35], 0xcc
	s_waitcnt lgkmcnt(0)
	v_mul_hi_u32 v3, s1, v1
	v_add_u32_e32 v3, v1, v3
	v_lshrrev_b32_e32 v3, s2, v3
	v_mul_lo_u32 v3, v3, s0
	v_sub_u32_e32 v3, v1, v3
	v_mad_u64_u32 v[0:1], s[0:1], v3, s8, v[0:1]
	v_mad_u64_u32 v[7:8], s[0:1], v3, s9, v[7:8]
.LBB324_1311:
	s_load_dwordx4 s[8:11], s[34:35], 0x148
	s_load_dword s16, s[4:5], 0x168
	s_waitcnt lgkmcnt(0)
	v_mov_b32_e32 v1, s11
	s_bfe_u32 s17, s16, 0x80008
	v_add_co_u32_e32 v12, vcc, s10, v13
	s_cmp_lt_i32 s17, 11
	v_addc_co_u32_e32 v13, vcc, 0, v1, vcc
	s_cbranch_scc1 .LBB324_1320
; %bb.1312:
	s_and_b32 s18, 0xffff, s17
	s_cmp_gt_i32 s18, 25
	s_mov_b64 s[4:5], 0
	s_cbranch_scc0 .LBB324_1322
; %bb.1313:
	s_cmp_gt_i32 s18, 28
	s_cbranch_scc0 .LBB324_1323
; %bb.1314:
	s_cmp_gt_i32 s18, 43
	s_cbranch_scc0 .LBB324_1324
; %bb.1315:
	s_cmp_gt_i32 s18, 45
	s_cbranch_scc0 .LBB324_1325
; %bb.1316:
	s_cmp_eq_u32 s18, 46
	s_mov_b64 s[12:13], 0
	s_cbranch_scc0 .LBB324_1328
; %bb.1317:
	global_load_dword v3, v[12:13], off
	s_movk_i32 s0, 0xff
	v_mov_b32_e32 v1, 0xff
	s_waitcnt vmcnt(0)
	v_lshlrev_b32_e32 v5, 16, v3
	v_bfe_u32 v8, v5, 23, 8
	v_cmp_ne_u32_e32 vcc, s0, v8
	s_and_saveexec_b64 s[2:3], vcc
; %bb.1318:
	v_bfe_u32 v1, v3, 7, 9
	v_and_b32_e32 v3, 64, v3
	s_mov_b32 s0, 0x3f0000
	v_cmp_ne_u32_e32 vcc, 0, v3
	v_and_or_b32 v3, v5, s0, v8
	v_cmp_ne_u32_e64 s[0:1], 0, v3
	s_and_b64 s[0:1], vcc, s[0:1]
	v_cndmask_b32_e64 v3, 0, 1, s[0:1]
	v_add_u32_e32 v1, v1, v3
; %bb.1319:
	s_or_b64 exec, exec, s[2:3]
	s_mov_b64 s[2:3], 0
	s_mov_b64 s[0:1], -1
	s_branch .LBB324_1329
.LBB324_1320:
	s_mov_b64 s[0:1], 0
                                        ; implicit-def: $vgpr1
	s_mov_b64 s[12:13], s[6:7]
	s_cbranch_execnz .LBB324_1409
.LBB324_1321:
	s_andn2_b64 vcc, exec, s[0:1]
	s_cbranch_vccz .LBB324_1476
	s_branch .LBB324_2423
.LBB324_1322:
	s_mov_b64 s[0:1], 0
	s_mov_b64 s[2:3], 0
                                        ; implicit-def: $vgpr1
	s_cbranch_execnz .LBB324_1364
	s_branch .LBB324_1403
.LBB324_1323:
	s_mov_b64 s[0:1], 0
	s_mov_b64 s[2:3], 0
                                        ; implicit-def: $vgpr1
	s_cbranch_execz .LBB324_1363
	s_branch .LBB324_1340
.LBB324_1324:
	s_mov_b64 s[0:1], 0
	s_mov_b64 s[2:3], 0
                                        ; implicit-def: $vgpr1
	s_cbranch_execnz .LBB324_1334
	s_branch .LBB324_1339
.LBB324_1325:
	s_mov_b64 s[12:13], -1
	s_mov_b64 s[0:1], 0
	s_mov_b64 s[2:3], 0
                                        ; implicit-def: $vgpr1
	s_branch .LBB324_1329
.LBB324_1326:
	s_andn2_saveexec_b64 s[14:15], s[14:15]
	s_cbranch_execz .LBB324_1163
.LBB324_1327:
	v_add_f32_e32 v0, 0x46000000, v3
	v_and_b32_e32 v0, 0xff, v0
	v_cmp_ne_u32_e32 vcc, 0, v0
	s_andn2_b64 s[12:13], s[12:13], exec
	s_and_b64 s[16:17], vcc, exec
	s_or_b64 s[12:13], s[12:13], s[16:17]
	s_or_b64 exec, exec, s[14:15]
	v_mov_b32_e32 v4, 0
	s_and_saveexec_b64 s[14:15], s[12:13]
	s_cbranch_execnz .LBB324_1164
	s_branch .LBB324_1165
.LBB324_1328:
	s_mov_b64 s[2:3], -1
                                        ; implicit-def: $vgpr1
	s_mov_b64 s[0:1], 0
.LBB324_1329:
	s_and_b64 vcc, exec, s[12:13]
	s_cbranch_vccz .LBB324_1332
; %bb.1330:
	s_cmp_eq_u32 s18, 44
	s_cbranch_scc0 .LBB324_1333
; %bb.1331:
	global_load_ubyte v1, v[12:13], off
	s_mov_b64 s[2:3], 0
	s_mov_b64 s[0:1], -1
.LBB324_1332:
	s_branch .LBB324_1339
.LBB324_1333:
	s_mov_b64 s[2:3], -1
                                        ; implicit-def: $vgpr1
	s_branch .LBB324_1339
.LBB324_1334:
	s_cmp_eq_u32 s18, 29
	s_cbranch_scc0 .LBB324_1338
; %bb.1335:
	global_load_dwordx2 v[14:15], v[12:13], off
	s_movk_i32 s0, 0xff
	s_waitcnt vmcnt(0)
	v_ffbh_u32_e32 v1, v15
	v_min_u32_e32 v1, 32, v1
	v_lshlrev_b64 v[14:15], v1, v[14:15]
	v_sub_u32_e32 v1, 32, v1
	v_min_u32_e32 v3, 1, v14
	v_or_b32_e32 v3, v15, v3
	v_cvt_f32_u32_e32 v3, v3
	v_ldexp_f32 v5, v3, v1
	v_lshrrev_b32_e32 v3, 23, v5
	v_cmp_ne_u32_e32 vcc, s0, v3
	v_mov_b32_e32 v1, 0xff
	s_and_saveexec_b64 s[2:3], vcc
; %bb.1336:
	v_and_b32_e32 v1, 0x400000, v5
	s_mov_b32 s0, 0x3fffff
	v_cmp_ne_u32_e32 vcc, 0, v1
	v_and_or_b32 v1, v5, s0, v3
	v_cmp_ne_u32_e64 s[0:1], 0, v1
	s_and_b64 s[0:1], vcc, s[0:1]
	v_cndmask_b32_e64 v1, 0, 1, s[0:1]
	v_add_u32_e32 v1, v3, v1
; %bb.1337:
	s_or_b64 exec, exec, s[2:3]
	s_mov_b64 s[2:3], 0
	s_mov_b64 s[0:1], -1
	s_branch .LBB324_1339
.LBB324_1338:
	s_mov_b64 s[2:3], -1
                                        ; implicit-def: $vgpr1
.LBB324_1339:
	s_branch .LBB324_1363
.LBB324_1340:
	s_cmp_lt_i32 s18, 27
	s_cbranch_scc1 .LBB324_1345
; %bb.1341:
	s_cmp_gt_i32 s18, 27
	s_cbranch_scc0 .LBB324_1346
; %bb.1342:
	global_load_dword v1, v[12:13], off
	s_movk_i32 s0, 0xff
	s_waitcnt vmcnt(0)
	v_cvt_f32_u32_e32 v5, v1
	v_mov_b32_e32 v1, 0xff
	v_lshrrev_b32_e32 v3, 23, v5
	v_cmp_ne_u32_e32 vcc, s0, v3
	s_and_saveexec_b64 s[12:13], vcc
; %bb.1343:
	v_and_b32_e32 v1, 0x400000, v5
	s_mov_b32 s0, 0x3fffff
	v_cmp_ne_u32_e32 vcc, 0, v1
	v_and_or_b32 v1, v5, s0, v3
	v_cmp_ne_u32_e64 s[0:1], 0, v1
	s_and_b64 s[0:1], vcc, s[0:1]
	v_cndmask_b32_e64 v1, 0, 1, s[0:1]
	v_add_u32_e32 v1, v3, v1
; %bb.1344:
	s_or_b64 exec, exec, s[12:13]
	s_mov_b64 s[0:1], 0
	s_branch .LBB324_1347
.LBB324_1345:
	s_mov_b64 s[0:1], -1
                                        ; implicit-def: $vgpr1
	s_branch .LBB324_1352
.LBB324_1346:
	s_mov_b64 s[0:1], -1
                                        ; implicit-def: $vgpr1
.LBB324_1347:
	s_andn2_b64 vcc, exec, s[0:1]
	s_cbranch_vccnz .LBB324_1351
; %bb.1348:
	global_load_ushort v1, v[12:13], off
	s_movk_i32 s0, 0xff
	s_waitcnt vmcnt(0)
	v_cvt_f32_u32_e32 v5, v1
	v_mov_b32_e32 v1, 0xff
	v_lshrrev_b32_e32 v3, 23, v5
	v_cmp_ne_u32_e32 vcc, s0, v3
	s_and_saveexec_b64 s[12:13], vcc
; %bb.1349:
	v_and_b32_e32 v1, 0x400000, v5
	s_mov_b32 s0, 0x3fffff
	v_cmp_ne_u32_e32 vcc, 0, v1
	v_and_or_b32 v1, v5, s0, v3
	v_cmp_ne_u32_e64 s[0:1], 0, v1
	s_and_b64 s[0:1], vcc, s[0:1]
	v_cndmask_b32_e64 v1, 0, 1, s[0:1]
	v_add_u32_e32 v1, v3, v1
; %bb.1350:
	s_or_b64 exec, exec, s[12:13]
.LBB324_1351:
	s_mov_b64 s[0:1], 0
.LBB324_1352:
	s_andn2_b64 vcc, exec, s[0:1]
	s_cbranch_vccnz .LBB324_1362
; %bb.1353:
	global_load_ubyte v1, v[12:13], off
	s_movk_i32 s0, 0x7f
	s_waitcnt vmcnt(0)
	v_cmp_lt_i16_e32 vcc, s0, v1
	s_mov_b64 s[0:1], 0
	s_and_saveexec_b64 s[12:13], vcc
	s_xor_b64 s[12:13], exec, s[12:13]
	s_cbranch_execz .LBB324_1377
; %bb.1354:
	s_movk_i32 s0, 0x80
	v_cmp_eq_u16_e32 vcc, s0, v1
	s_mov_b64 s[0:1], -1
	s_and_saveexec_b64 s[14:15], vcc
; %bb.1355:
	s_xor_b64 s[0:1], exec, -1
; %bb.1356:
	s_or_b64 exec, exec, s[14:15]
	s_and_b64 s[0:1], s[0:1], exec
	s_or_saveexec_b64 s[12:13], s[12:13]
	v_mov_b32_e32 v3, 0x7f800001
	s_xor_b64 exec, exec, s[12:13]
	s_cbranch_execnz .LBB324_1378
.LBB324_1357:
	s_or_b64 exec, exec, s[12:13]
	s_and_saveexec_b64 s[12:13], s[0:1]
	s_cbranch_execz .LBB324_1359
.LBB324_1358:
	v_and_b32_e32 v1, 0xffff, v1
	v_and_b32_e32 v3, 7, v1
	v_ffbh_u32_e32 v8, v3
	v_min_u32_e32 v8, 32, v8
	v_subrev_u32_e32 v10, 28, v8
	v_bfe_u32 v5, v1, 3, 4
	v_lshlrev_b32_e32 v1, v10, v1
	v_and_b32_e32 v1, 7, v1
	v_cmp_eq_u32_e32 vcc, 0, v5
	v_sub_u32_e32 v8, 29, v8
	v_cndmask_b32_e32 v1, v3, v1, vcc
	v_cndmask_b32_e32 v5, v5, v8, vcc
	v_lshlrev_b32_e32 v1, 20, v1
	v_lshl_or_b32 v1, v5, 23, v1
	v_add_u32_e32 v3, 0x3b800000, v1
.LBB324_1359:
	s_or_b64 exec, exec, s[12:13]
	v_lshrrev_b32_e32 v5, 23, v3
	s_movk_i32 s0, 0xff
	v_cmp_ne_u32_e32 vcc, s0, v5
	v_mov_b32_e32 v1, 0xff
	s_and_saveexec_b64 s[12:13], vcc
; %bb.1360:
	v_and_b32_e32 v1, 0x400000, v3
	s_mov_b32 s0, 0x3fffff
	v_cmp_ne_u32_e32 vcc, 0, v1
	v_and_or_b32 v1, v3, s0, v5
	v_cmp_ne_u32_e64 s[0:1], 0, v1
	s_and_b64 s[0:1], vcc, s[0:1]
	v_cndmask_b32_e64 v1, 0, 1, s[0:1]
	v_add_u32_e32 v1, v5, v1
; %bb.1361:
	s_or_b64 exec, exec, s[12:13]
.LBB324_1362:
	s_mov_b64 s[0:1], -1
.LBB324_1363:
	s_branch .LBB324_1403
.LBB324_1364:
	s_cmp_gt_i32 s18, 22
	s_cbranch_scc0 .LBB324_1376
; %bb.1365:
	s_cmp_lt_i32 s18, 24
	s_cbranch_scc1 .LBB324_1379
; %bb.1366:
	s_cmp_gt_i32 s18, 24
	s_cbranch_scc0 .LBB324_1380
; %bb.1367:
	global_load_ubyte v1, v[12:13], off
	s_movk_i32 s0, 0x7f
	s_waitcnt vmcnt(0)
	v_cmp_lt_i16_e32 vcc, s0, v1
	s_mov_b64 s[0:1], 0
	s_and_saveexec_b64 s[4:5], vcc
	s_xor_b64 s[4:5], exec, s[4:5]
	s_cbranch_execz .LBB324_1397
; %bb.1368:
	s_movk_i32 s0, 0x80
	v_cmp_eq_u16_e32 vcc, s0, v1
	s_mov_b64 s[0:1], -1
	s_and_saveexec_b64 s[12:13], vcc
; %bb.1369:
	s_xor_b64 s[0:1], exec, -1
; %bb.1370:
	s_or_b64 exec, exec, s[12:13]
	s_and_b64 s[0:1], s[0:1], exec
	s_or_saveexec_b64 s[4:5], s[4:5]
	v_mov_b32_e32 v3, 0x7f800001
	s_xor_b64 exec, exec, s[4:5]
	s_cbranch_execnz .LBB324_1398
.LBB324_1371:
	s_or_b64 exec, exec, s[4:5]
	s_and_saveexec_b64 s[4:5], s[0:1]
	s_cbranch_execz .LBB324_1373
.LBB324_1372:
	v_and_b32_e32 v1, 0xffff, v1
	v_and_b32_e32 v3, 3, v1
	v_ffbh_u32_e32 v8, v3
	v_min_u32_e32 v8, 32, v8
	v_subrev_u32_e32 v10, 29, v8
	v_bfe_u32 v5, v1, 2, 5
	v_lshlrev_b32_e32 v1, v10, v1
	v_and_b32_e32 v1, 3, v1
	v_cmp_eq_u32_e32 vcc, 0, v5
	v_sub_u32_e32 v8, 30, v8
	v_cndmask_b32_e32 v1, v3, v1, vcc
	v_cndmask_b32_e32 v5, v5, v8, vcc
	v_lshlrev_b32_e32 v1, 21, v1
	v_lshl_or_b32 v1, v5, 23, v1
	v_add_u32_e32 v3, 0x37800000, v1
.LBB324_1373:
	s_or_b64 exec, exec, s[4:5]
	v_lshrrev_b32_e32 v5, 23, v3
	s_movk_i32 s0, 0xff
	v_cmp_ne_u32_e32 vcc, s0, v5
	v_mov_b32_e32 v1, 0xff
	s_and_saveexec_b64 s[4:5], vcc
; %bb.1374:
	v_and_b32_e32 v1, 0x400000, v3
	s_mov_b32 s0, 0x3fffff
	v_cmp_ne_u32_e32 vcc, 0, v1
	v_and_or_b32 v1, v3, s0, v5
	v_cmp_ne_u32_e64 s[0:1], 0, v1
	s_and_b64 s[0:1], vcc, s[0:1]
	v_cndmask_b32_e64 v1, 0, 1, s[0:1]
	v_add_u32_e32 v1, v5, v1
; %bb.1375:
	s_or_b64 exec, exec, s[4:5]
	s_mov_b64 s[0:1], 0
	s_branch .LBB324_1381
.LBB324_1376:
                                        ; implicit-def: $vgpr1
	s_mov_b64 s[4:5], 0
	s_branch .LBB324_1391
.LBB324_1377:
	s_or_saveexec_b64 s[12:13], s[12:13]
	v_mov_b32_e32 v3, 0x7f800001
	s_xor_b64 exec, exec, s[12:13]
	s_cbranch_execz .LBB324_1357
.LBB324_1378:
	v_cmp_ne_u16_e32 vcc, 0, v1
	s_andn2_b64 s[0:1], s[0:1], exec
	s_and_b64 s[14:15], vcc, exec
	v_and_b32_e32 v3, 0xffff, v1
	s_or_b64 s[0:1], s[0:1], s[14:15]
	s_or_b64 exec, exec, s[12:13]
	s_and_saveexec_b64 s[12:13], s[0:1]
	s_cbranch_execnz .LBB324_1358
	s_branch .LBB324_1359
.LBB324_1379:
	s_mov_b64 s[0:1], -1
                                        ; implicit-def: $vgpr1
	s_branch .LBB324_1386
.LBB324_1380:
	s_mov_b64 s[0:1], -1
                                        ; implicit-def: $vgpr1
.LBB324_1381:
	s_and_b64 vcc, exec, s[0:1]
	s_cbranch_vccz .LBB324_1385
; %bb.1382:
	global_load_ubyte v1, v[12:13], off
	s_mov_b32 s0, 0x7f800000
	s_movk_i32 s1, 0xff
	s_waitcnt vmcnt(0)
	v_lshlrev_b32_e32 v1, 24, v1
	v_and_b32_e32 v1, 0x7f000000, v1
	v_ffbh_u32_e32 v3, v1
	v_min_u32_e32 v3, 32, v3
	v_sub_u32_e64 v3, v3, 4 clamp
	v_lshlrev_b32_e32 v8, v3, v1
	v_lshlrev_b32_e32 v3, 23, v3
	v_lshrrev_b32_e32 v8, 4, v8
	v_add_u32_e32 v5, 0x1000000, v1
	v_sub_u32_e32 v3, v8, v3
	v_ashrrev_i32_e32 v5, 8, v5
	v_add_u32_e32 v3, 0x3c000000, v3
	v_and_or_b32 v3, v5, s0, v3
	v_cmp_ne_u32_e32 vcc, 0, v1
	v_cndmask_b32_e32 v5, 0, v3, vcc
	v_lshrrev_b32_e32 v3, 23, v5
	v_cmp_ne_u32_e32 vcc, s1, v3
	v_mov_b32_e32 v1, 0xff
	s_and_saveexec_b64 s[4:5], vcc
; %bb.1383:
	v_and_b32_e32 v1, 0x400000, v5
	s_mov_b32 s0, 0x3fffff
	v_cmp_ne_u32_e32 vcc, 0, v1
	v_and_or_b32 v1, v5, s0, v3
	v_cmp_ne_u32_e64 s[0:1], 0, v1
	s_and_b64 s[0:1], vcc, s[0:1]
	v_cndmask_b32_e64 v1, 0, 1, s[0:1]
	v_add_u32_e32 v1, v3, v1
; %bb.1384:
	s_or_b64 exec, exec, s[4:5]
.LBB324_1385:
	s_mov_b64 s[0:1], 0
.LBB324_1386:
	s_andn2_b64 vcc, exec, s[0:1]
	s_cbranch_vccnz .LBB324_1390
; %bb.1387:
	global_load_ubyte v1, v[12:13], off
	s_movk_i32 s0, 0x7f00
	s_brev_b32 s1, 16
	s_movk_i32 s4, 0xff
	s_waitcnt vmcnt(0)
	v_lshlrev_b32_e32 v3, 8, v1
	v_lshlrev_b32_e32 v1, 25, v1
	v_lshrrev_b32_e32 v5, 4, v1
	v_and_or_b32 v3, v3, s0, 0.5
	v_or_b32_e32 v5, 0x70000000, v5
	v_add_f32_e32 v3, -0.5, v3
	v_mul_f32_e32 v5, 0x7800000, v5
	v_cmp_gt_u32_e32 vcc, s1, v1
	v_cndmask_b32_e32 v3, v5, v3, vcc
	v_bfe_u32 v5, v3, 23, 8
	v_cmp_ne_u32_e32 vcc, s4, v5
	v_mov_b32_e32 v1, 0xff
	s_and_saveexec_b64 s[4:5], vcc
; %bb.1388:
	s_mov_b32 s0, 0x3fffff
	v_lshrrev_b32_e32 v1, 23, v3
	v_and_b32_e32 v8, 0x400000, v3
	v_and_or_b32 v3, v3, s0, v5
	v_cmp_ne_u32_e32 vcc, 0, v8
	v_cmp_ne_u32_e64 s[0:1], 0, v3
	s_and_b64 s[0:1], vcc, s[0:1]
	v_cndmask_b32_e64 v3, 0, 1, s[0:1]
	v_add_u32_e32 v1, v1, v3
; %bb.1389:
	s_or_b64 exec, exec, s[4:5]
.LBB324_1390:
	s_mov_b64 s[0:1], -1
	s_mov_b64 s[4:5], 0
	s_cbranch_execnz .LBB324_1403
.LBB324_1391:
	s_cmp_gt_i32 s18, 14
	s_cbranch_scc0 .LBB324_1396
; %bb.1392:
	s_cmp_eq_u32 s18, 15
	s_cbranch_scc0 .LBB324_1399
; %bb.1393:
	global_load_ushort v3, v[12:13], off
	s_movk_i32 s0, 0xff
	s_waitcnt vmcnt(1)
	v_mov_b32_e32 v1, 0xff
	s_waitcnt vmcnt(0)
	v_bfe_u32 v5, v3, 7, 8
	v_cmp_ne_u32_e32 vcc, s0, v5
	s_and_saveexec_b64 s[2:3], vcc
	s_cbranch_execz .LBB324_1395
; %bb.1394:
	v_lshrrev_b32_e32 v1, 7, v3
	v_lshlrev_b32_e32 v8, 16, v3
	v_and_b32_e32 v3, 64, v3
	s_mov_b32 s0, 0x3f0000
	v_cmp_ne_u32_e32 vcc, 0, v3
	v_and_or_b32 v3, v8, s0, v5
	v_cmp_ne_u32_e64 s[0:1], 0, v3
	s_and_b64 s[0:1], vcc, s[0:1]
	v_cndmask_b32_e64 v3, 0, 1, s[0:1]
	v_add_u32_e32 v1, v1, v3
.LBB324_1395:
	s_or_b64 exec, exec, s[2:3]
	s_mov_b64 s[2:3], 0
	s_mov_b64 s[0:1], -1
	s_branch .LBB324_1400
.LBB324_1396:
	s_mov_b64 s[12:13], -1
                                        ; implicit-def: $vgpr1
	s_branch .LBB324_1401
.LBB324_1397:
	s_or_saveexec_b64 s[4:5], s[4:5]
	v_mov_b32_e32 v3, 0x7f800001
	s_xor_b64 exec, exec, s[4:5]
	s_cbranch_execz .LBB324_1371
.LBB324_1398:
	v_cmp_ne_u16_e32 vcc, 0, v1
	s_andn2_b64 s[0:1], s[0:1], exec
	s_and_b64 s[12:13], vcc, exec
	v_and_b32_e32 v3, 0xffff, v1
	s_or_b64 s[0:1], s[0:1], s[12:13]
	s_or_b64 exec, exec, s[4:5]
	s_and_saveexec_b64 s[4:5], s[0:1]
	s_cbranch_execnz .LBB324_1372
	s_branch .LBB324_1373
.LBB324_1399:
	s_mov_b64 s[2:3], -1
                                        ; implicit-def: $vgpr1
.LBB324_1400:
	s_mov_b64 s[12:13], 0
.LBB324_1401:
	s_and_b64 vcc, exec, s[12:13]
	s_cbranch_vccz .LBB324_1403
; %bb.1402:
	s_cmp_lg_u32 s18, 11
	s_mov_b64 s[4:5], -1
	s_cselect_b64 s[2:3], -1, 0
.LBB324_1403:
	s_and_b64 vcc, exec, s[2:3]
	s_mov_b64 s[12:13], s[6:7]
	s_cbranch_vccnz .LBB324_1490
; %bb.1404:
	s_andn2_b64 vcc, exec, s[4:5]
	s_cbranch_vccnz .LBB324_1408
.LBB324_1405:
	global_load_ubyte v1, v[12:13], off
	s_movk_i32 s0, 0xff
	s_waitcnt vmcnt(0)
	v_cmp_ne_u16_e32 vcc, 0, v1
	v_cndmask_b32_e64 v5, 0, 1.0, vcc
	v_lshrrev_b32_e32 v3, 23, v5
	v_cmp_ne_u32_e32 vcc, s0, v3
	v_mov_b32_e32 v1, 0xff
	s_and_saveexec_b64 s[2:3], vcc
; %bb.1406:
	v_and_b32_e32 v1, 0x400000, v5
	s_mov_b32 s0, 0x3fffff
	v_cmp_ne_u32_e32 vcc, 0, v1
	v_and_or_b32 v1, v5, s0, v3
	v_cmp_ne_u32_e64 s[0:1], 0, v1
	s_and_b64 s[0:1], vcc, s[0:1]
	v_cndmask_b32_e64 v1, 0, 1, s[0:1]
	v_add_u32_e32 v1, v3, v1
; %bb.1407:
	s_or_b64 exec, exec, s[2:3]
	s_mov_b64 s[0:1], -1
.LBB324_1408:
	s_branch .LBB324_1321
.LBB324_1409:
	s_and_b32 s4, 0xffff, s17
	s_cmp_lt_i32 s4, 5
	s_cbranch_scc1 .LBB324_1416
; %bb.1410:
	s_cmp_lt_i32 s4, 8
	s_cbranch_scc1 .LBB324_1417
; %bb.1411:
	;; [unrolled: 3-line block ×3, first 2 shown]
	s_cmp_gt_i32 s4, 9
	s_cbranch_scc0 .LBB324_1419
; %bb.1413:
	global_load_dwordx2 v[14:15], v[12:13], off
	s_movk_i32 s0, 0xff
	s_waitcnt vmcnt(1)
	v_mov_b32_e32 v1, 0xff
	s_waitcnt vmcnt(0)
	v_cvt_f32_f64_e32 v3, v[14:15]
	v_bfe_u32 v5, v3, 23, 8
	v_cmp_ne_u32_e32 vcc, s0, v5
	s_and_saveexec_b64 s[2:3], vcc
; %bb.1414:
	s_mov_b32 s0, 0x3fffff
	v_lshrrev_b32_e32 v1, 23, v3
	v_and_b32_e32 v8, 0x400000, v3
	v_and_or_b32 v3, v3, s0, v5
	v_cmp_ne_u32_e32 vcc, 0, v8
	v_cmp_ne_u32_e64 s[0:1], 0, v3
	s_and_b64 s[0:1], vcc, s[0:1]
	v_cndmask_b32_e64 v3, 0, 1, s[0:1]
	v_add_u32_e32 v1, v1, v3
; %bb.1415:
	s_or_b64 exec, exec, s[2:3]
	s_mov_b64 s[0:1], 0
	s_branch .LBB324_1420
.LBB324_1416:
                                        ; implicit-def: $vgpr1
	s_branch .LBB324_1447
.LBB324_1417:
                                        ; implicit-def: $vgpr1
	s_branch .LBB324_1430
.LBB324_1418:
	s_mov_b64 s[0:1], -1
                                        ; implicit-def: $vgpr1
	s_branch .LBB324_1425
.LBB324_1419:
	s_mov_b64 s[0:1], -1
                                        ; implicit-def: $vgpr1
.LBB324_1420:
	s_andn2_b64 vcc, exec, s[0:1]
	s_cbranch_vccnz .LBB324_1424
; %bb.1421:
	global_load_dword v3, v[12:13], off
	s_movk_i32 s0, 0xff
	s_waitcnt vmcnt(1)
	v_mov_b32_e32 v1, 0xff
	s_waitcnt vmcnt(0)
	v_bfe_u32 v5, v3, 23, 8
	v_cmp_ne_u32_e32 vcc, s0, v5
	s_and_saveexec_b64 s[2:3], vcc
; %bb.1422:
	s_mov_b32 s0, 0x3fffff
	v_lshrrev_b32_e32 v1, 23, v3
	v_and_b32_e32 v8, 0x400000, v3
	v_and_or_b32 v3, v3, s0, v5
	v_cmp_ne_u32_e32 vcc, 0, v8
	v_cmp_ne_u32_e64 s[0:1], 0, v3
	s_and_b64 s[0:1], vcc, s[0:1]
	v_cndmask_b32_e64 v3, 0, 1, s[0:1]
	v_add_u32_e32 v1, v1, v3
; %bb.1423:
	s_or_b64 exec, exec, s[2:3]
.LBB324_1424:
	s_mov_b64 s[0:1], 0
.LBB324_1425:
	s_andn2_b64 vcc, exec, s[0:1]
	s_cbranch_vccnz .LBB324_1429
; %bb.1426:
	global_load_dword v1, v[12:13], off
	s_movk_i32 s0, 0xff
	s_waitcnt vmcnt(0)
	v_cvt_f32_f16_e32 v3, v1
	v_mov_b32_e32 v1, 0xff
	v_bfe_u32 v5, v3, 23, 8
	v_cmp_ne_u32_e32 vcc, s0, v5
	s_and_saveexec_b64 s[2:3], vcc
; %bb.1427:
	s_mov_b32 s0, 0x3fffff
	v_lshrrev_b32_e32 v1, 23, v3
	v_and_b32_e32 v8, 0x400000, v3
	v_and_or_b32 v3, v3, s0, v5
	v_cmp_ne_u32_e32 vcc, 0, v8
	v_cmp_ne_u32_e64 s[0:1], 0, v3
	s_and_b64 s[0:1], vcc, s[0:1]
	v_cndmask_b32_e64 v3, 0, 1, s[0:1]
	v_add_u32_e32 v1, v1, v3
; %bb.1428:
	s_or_b64 exec, exec, s[2:3]
.LBB324_1429:
	s_cbranch_execnz .LBB324_1446
.LBB324_1430:
	s_cmp_lt_i32 s4, 6
	s_cbranch_scc1 .LBB324_1435
; %bb.1431:
	s_cmp_gt_i32 s4, 6
	s_cbranch_scc0 .LBB324_1436
; %bb.1432:
	global_load_dwordx2 v[14:15], v[12:13], off
	s_movk_i32 s0, 0xff
	s_waitcnt vmcnt(1)
	v_mov_b32_e32 v1, 0xff
	s_waitcnt vmcnt(0)
	v_cvt_f32_f64_e32 v3, v[14:15]
	v_bfe_u32 v5, v3, 23, 8
	v_cmp_ne_u32_e32 vcc, s0, v5
	s_and_saveexec_b64 s[2:3], vcc
; %bb.1433:
	s_mov_b32 s0, 0x3fffff
	v_lshrrev_b32_e32 v1, 23, v3
	v_and_b32_e32 v8, 0x400000, v3
	v_and_or_b32 v3, v3, s0, v5
	v_cmp_ne_u32_e32 vcc, 0, v8
	v_cmp_ne_u32_e64 s[0:1], 0, v3
	s_and_b64 s[0:1], vcc, s[0:1]
	v_cndmask_b32_e64 v3, 0, 1, s[0:1]
	v_add_u32_e32 v1, v1, v3
; %bb.1434:
	s_or_b64 exec, exec, s[2:3]
	s_mov_b64 s[0:1], 0
	s_branch .LBB324_1437
.LBB324_1435:
	s_mov_b64 s[0:1], -1
                                        ; implicit-def: $vgpr1
	s_branch .LBB324_1442
.LBB324_1436:
	s_mov_b64 s[0:1], -1
                                        ; implicit-def: $vgpr1
.LBB324_1437:
	s_andn2_b64 vcc, exec, s[0:1]
	s_cbranch_vccnz .LBB324_1441
; %bb.1438:
	global_load_dword v3, v[12:13], off
	s_movk_i32 s0, 0xff
	s_waitcnt vmcnt(1)
	v_mov_b32_e32 v1, 0xff
	s_waitcnt vmcnt(0)
	v_bfe_u32 v5, v3, 23, 8
	v_cmp_ne_u32_e32 vcc, s0, v5
	s_and_saveexec_b64 s[2:3], vcc
; %bb.1439:
	s_mov_b32 s0, 0x3fffff
	v_lshrrev_b32_e32 v1, 23, v3
	v_and_b32_e32 v8, 0x400000, v3
	v_and_or_b32 v3, v3, s0, v5
	v_cmp_ne_u32_e32 vcc, 0, v8
	v_cmp_ne_u32_e64 s[0:1], 0, v3
	s_and_b64 s[0:1], vcc, s[0:1]
	v_cndmask_b32_e64 v3, 0, 1, s[0:1]
	v_add_u32_e32 v1, v1, v3
; %bb.1440:
	s_or_b64 exec, exec, s[2:3]
.LBB324_1441:
	s_mov_b64 s[0:1], 0
.LBB324_1442:
	s_andn2_b64 vcc, exec, s[0:1]
	s_cbranch_vccnz .LBB324_1446
; %bb.1443:
	global_load_ushort v1, v[12:13], off
	s_movk_i32 s0, 0xff
	s_waitcnt vmcnt(0)
	v_cvt_f32_f16_e32 v3, v1
	v_mov_b32_e32 v1, 0xff
	v_bfe_u32 v5, v3, 23, 8
	v_cmp_ne_u32_e32 vcc, s0, v5
	s_and_saveexec_b64 s[2:3], vcc
; %bb.1444:
	s_mov_b32 s0, 0x3fffff
	v_lshrrev_b32_e32 v1, 23, v3
	v_and_b32_e32 v8, 0x400000, v3
	v_and_or_b32 v3, v3, s0, v5
	v_cmp_ne_u32_e32 vcc, 0, v8
	v_cmp_ne_u32_e64 s[0:1], 0, v3
	s_and_b64 s[0:1], vcc, s[0:1]
	v_cndmask_b32_e64 v3, 0, 1, s[0:1]
	v_add_u32_e32 v1, v1, v3
; %bb.1445:
	s_or_b64 exec, exec, s[2:3]
.LBB324_1446:
	s_cbranch_execnz .LBB324_1475
.LBB324_1447:
	s_cmp_lt_i32 s4, 2
	s_cbranch_scc1 .LBB324_1453
; %bb.1448:
	s_cmp_lt_i32 s4, 3
	s_cbranch_scc1 .LBB324_1454
; %bb.1449:
	s_cmp_gt_i32 s4, 3
	s_cbranch_scc0 .LBB324_1455
; %bb.1450:
	global_load_dwordx2 v[14:15], v[12:13], off
	s_movk_i32 s0, 0xff
	s_waitcnt vmcnt(0)
	v_xor_b32_e32 v3, v14, v15
	v_ffbh_i32_e32 v1, v15
	v_ashrrev_i32_e32 v3, 31, v3
	v_add_u32_e32 v1, -1, v1
	v_add_u32_e32 v3, 32, v3
	v_min_u32_e32 v1, v1, v3
	v_lshlrev_b64 v[14:15], v1, v[14:15]
	v_sub_u32_e32 v1, 32, v1
	v_min_u32_e32 v3, 1, v14
	v_or_b32_e32 v3, v15, v3
	v_cvt_f32_i32_e32 v3, v3
	v_ldexp_f32 v3, v3, v1
	v_bfe_u32 v5, v3, 23, 8
	v_cmp_ne_u32_e32 vcc, s0, v5
	v_mov_b32_e32 v1, 0xff
	s_and_saveexec_b64 s[2:3], vcc
; %bb.1451:
	s_mov_b32 s0, 0x3fffff
	v_lshrrev_b32_e32 v1, 23, v3
	v_and_b32_e32 v8, 0x400000, v3
	v_and_or_b32 v3, v3, s0, v5
	v_cmp_ne_u32_e32 vcc, 0, v8
	v_cmp_ne_u32_e64 s[0:1], 0, v3
	s_and_b64 s[0:1], vcc, s[0:1]
	v_cndmask_b32_e64 v3, 0, 1, s[0:1]
	v_add_u32_e32 v1, v1, v3
; %bb.1452:
	s_or_b64 exec, exec, s[2:3]
	s_mov_b64 s[0:1], 0
	s_branch .LBB324_1456
.LBB324_1453:
                                        ; implicit-def: $vgpr1
	s_branch .LBB324_1466
.LBB324_1454:
	s_mov_b64 s[0:1], -1
                                        ; implicit-def: $vgpr1
	s_branch .LBB324_1461
.LBB324_1455:
	s_mov_b64 s[0:1], -1
                                        ; implicit-def: $vgpr1
.LBB324_1456:
	s_andn2_b64 vcc, exec, s[0:1]
	s_cbranch_vccnz .LBB324_1460
; %bb.1457:
	global_load_dword v1, v[12:13], off
	s_movk_i32 s0, 0xff
	s_waitcnt vmcnt(0)
	v_cvt_f32_i32_e32 v3, v1
	v_mov_b32_e32 v1, 0xff
	v_bfe_u32 v5, v3, 23, 8
	v_cmp_ne_u32_e32 vcc, s0, v5
	s_and_saveexec_b64 s[2:3], vcc
; %bb.1458:
	s_mov_b32 s0, 0x3fffff
	v_lshrrev_b32_e32 v1, 23, v3
	v_and_b32_e32 v8, 0x400000, v3
	v_and_or_b32 v3, v3, s0, v5
	v_cmp_ne_u32_e32 vcc, 0, v8
	v_cmp_ne_u32_e64 s[0:1], 0, v3
	s_and_b64 s[0:1], vcc, s[0:1]
	v_cndmask_b32_e64 v3, 0, 1, s[0:1]
	v_add_u32_e32 v1, v1, v3
; %bb.1459:
	s_or_b64 exec, exec, s[2:3]
.LBB324_1460:
	s_mov_b64 s[0:1], 0
.LBB324_1461:
	s_andn2_b64 vcc, exec, s[0:1]
	s_cbranch_vccnz .LBB324_1465
; %bb.1462:
	global_load_sshort v1, v[12:13], off
	s_movk_i32 s0, 0xff
	s_waitcnt vmcnt(0)
	v_cvt_f32_i32_e32 v3, v1
	v_mov_b32_e32 v1, 0xff
	v_bfe_u32 v5, v3, 23, 8
	v_cmp_ne_u32_e32 vcc, s0, v5
	s_and_saveexec_b64 s[2:3], vcc
; %bb.1463:
	s_mov_b32 s0, 0x3fffff
	v_lshrrev_b32_e32 v1, 23, v3
	v_and_b32_e32 v8, 0x400000, v3
	v_and_or_b32 v3, v3, s0, v5
	v_cmp_ne_u32_e32 vcc, 0, v8
	v_cmp_ne_u32_e64 s[0:1], 0, v3
	s_and_b64 s[0:1], vcc, s[0:1]
	v_cndmask_b32_e64 v3, 0, 1, s[0:1]
	v_add_u32_e32 v1, v1, v3
; %bb.1464:
	s_or_b64 exec, exec, s[2:3]
.LBB324_1465:
	s_cbranch_execnz .LBB324_1475
.LBB324_1466:
	s_cmp_gt_i32 s4, 0
	s_cbranch_scc0 .LBB324_1470
; %bb.1467:
	global_load_sbyte v1, v[12:13], off
	s_movk_i32 s0, 0xff
	s_waitcnt vmcnt(0)
	v_cvt_f32_i32_e32 v3, v1
	v_mov_b32_e32 v1, 0xff
	v_bfe_u32 v5, v3, 23, 8
	v_cmp_ne_u32_e32 vcc, s0, v5
	s_and_saveexec_b64 s[2:3], vcc
; %bb.1468:
	s_mov_b32 s0, 0x3fffff
	v_lshrrev_b32_e32 v1, 23, v3
	v_and_b32_e32 v8, 0x400000, v3
	v_and_or_b32 v3, v3, s0, v5
	v_cmp_ne_u32_e32 vcc, 0, v8
	v_cmp_ne_u32_e64 s[0:1], 0, v3
	s_and_b64 s[0:1], vcc, s[0:1]
	v_cndmask_b32_e64 v3, 0, 1, s[0:1]
	v_add_u32_e32 v1, v1, v3
; %bb.1469:
	s_or_b64 exec, exec, s[2:3]
	s_mov_b64 s[0:1], 0
	s_branch .LBB324_1471
.LBB324_1470:
	s_mov_b64 s[0:1], -1
                                        ; implicit-def: $vgpr1
.LBB324_1471:
	s_andn2_b64 vcc, exec, s[0:1]
	s_cbranch_vccnz .LBB324_1475
; %bb.1472:
	global_load_ubyte v1, v[12:13], off
	s_movk_i32 s0, 0xff
	s_waitcnt vmcnt(0)
	v_cvt_f32_ubyte0_e32 v5, v1
	v_lshrrev_b32_e32 v3, 23, v5
	v_cmp_ne_u32_e32 vcc, s0, v3
	v_mov_b32_e32 v1, 0xff
	s_and_saveexec_b64 s[2:3], vcc
; %bb.1473:
	v_and_b32_e32 v1, 0x400000, v5
	s_mov_b32 s0, 0x3fffff
	v_cmp_ne_u32_e32 vcc, 0, v1
	v_and_or_b32 v1, v5, s0, v3
	v_cmp_ne_u32_e64 s[0:1], 0, v1
	s_and_b64 s[0:1], vcc, s[0:1]
	v_cndmask_b32_e64 v1, 0, 1, s[0:1]
	v_add_u32_e32 v1, v3, v1
; %bb.1474:
	s_or_b64 exec, exec, s[2:3]
.LBB324_1475:
.LBB324_1476:
	s_lshr_b32 s0, s16, 8
	s_waitcnt vmcnt(0)
	v_mov_b32_e32 v3, s11
	s_and_b32 s18, s0, 0xff
	v_add_co_u32_e32 v10, vcc, s10, v11
	s_cmp_lt_i32 s18, 11
	v_addc_co_u32_e32 v11, vcc, 0, v3, vcc
	s_cbranch_scc1 .LBB324_1485
; %bb.1477:
	s_and_b32 s19, 0xffff, s18
	s_cmp_gt_i32 s19, 25
	s_mov_b64 s[4:5], 0
	s_cbranch_scc0 .LBB324_1487
; %bb.1478:
	s_cmp_gt_i32 s19, 28
	s_cbranch_scc0 .LBB324_1488
; %bb.1479:
	s_cmp_gt_i32 s19, 43
	;; [unrolled: 3-line block ×3, first 2 shown]
	s_cbranch_scc0 .LBB324_1491
; %bb.1481:
	s_cmp_eq_u32 s19, 46
	s_mov_b64 s[14:15], 0
	s_cbranch_scc0 .LBB324_1494
; %bb.1482:
	global_load_dword v5, v[10:11], off
	s_movk_i32 s0, 0xff
	v_mov_b32_e32 v3, 0xff
	s_waitcnt vmcnt(0)
	v_lshlrev_b32_e32 v8, 16, v5
	v_bfe_u32 v12, v8, 23, 8
	v_cmp_ne_u32_e32 vcc, s0, v12
	s_and_saveexec_b64 s[2:3], vcc
; %bb.1483:
	v_bfe_u32 v3, v5, 7, 9
	v_and_b32_e32 v5, 64, v5
	s_mov_b32 s0, 0x3f0000
	v_cmp_ne_u32_e32 vcc, 0, v5
	v_and_or_b32 v5, v8, s0, v12
	v_cmp_ne_u32_e64 s[0:1], 0, v5
	s_and_b64 s[0:1], vcc, s[0:1]
	v_cndmask_b32_e64 v5, 0, 1, s[0:1]
	v_add_u32_e32 v3, v3, v5
; %bb.1484:
	s_or_b64 exec, exec, s[2:3]
	s_mov_b64 s[2:3], 0
	s_mov_b64 s[0:1], -1
	s_branch .LBB324_1495
.LBB324_1485:
	s_mov_b64 s[0:1], 0
                                        ; implicit-def: $vgpr3
	s_cbranch_execnz .LBB324_1578
.LBB324_1486:
	s_andn2_b64 vcc, exec, s[0:1]
	s_cbranch_vccnz .LBB324_2423
	s_branch .LBB324_1647
.LBB324_1487:
	s_mov_b64 s[0:1], 0
	s_mov_b64 s[2:3], 0
                                        ; implicit-def: $vgpr3
	s_cbranch_execnz .LBB324_1532
	s_branch .LBB324_1572
.LBB324_1488:
	s_mov_b64 s[14:15], -1
	s_mov_b64 s[0:1], 0
	s_mov_b64 s[2:3], 0
                                        ; implicit-def: $vgpr3
	s_branch .LBB324_1507
.LBB324_1489:
	s_mov_b64 s[14:15], -1
	s_mov_b64 s[0:1], 0
	s_mov_b64 s[2:3], 0
                                        ; implicit-def: $vgpr3
	s_branch .LBB324_1500
.LBB324_1490:
	s_or_b64 s[12:13], s[6:7], exec
	s_trap 2
	s_cbranch_execz .LBB324_1405
	s_branch .LBB324_1408
.LBB324_1491:
	s_mov_b64 s[14:15], -1
	s_mov_b64 s[0:1], 0
	s_mov_b64 s[2:3], 0
                                        ; implicit-def: $vgpr3
	s_branch .LBB324_1495
.LBB324_1492:
	s_andn2_saveexec_b64 s[16:17], s[16:17]
	s_cbranch_execz .LBB324_1175
.LBB324_1493:
	v_add_f32_e32 v0, 0x42800000, v3
	v_and_b32_e32 v0, 0xff, v0
	v_cmp_ne_u32_e32 vcc, 0, v0
	s_andn2_b64 s[14:15], s[14:15], exec
	s_and_b64 s[20:21], vcc, exec
	s_or_b64 s[14:15], s[14:15], s[20:21]
	s_or_b64 exec, exec, s[16:17]
	v_mov_b32_e32 v4, 0
	s_and_saveexec_b64 s[16:17], s[14:15]
	s_cbranch_execnz .LBB324_1176
	s_branch .LBB324_1177
.LBB324_1494:
	s_mov_b64 s[2:3], -1
                                        ; implicit-def: $vgpr3
	s_mov_b64 s[0:1], 0
.LBB324_1495:
	s_and_b64 vcc, exec, s[14:15]
	s_cbranch_vccz .LBB324_1499
; %bb.1496:
	s_cmp_eq_u32 s19, 44
	s_cbranch_scc0 .LBB324_1498
; %bb.1497:
	global_load_ubyte v3, v[10:11], off
	s_mov_b64 s[2:3], 0
	s_mov_b64 s[0:1], -1
	s_branch .LBB324_1499
.LBB324_1498:
	s_mov_b64 s[2:3], -1
                                        ; implicit-def: $vgpr3
.LBB324_1499:
	s_mov_b64 s[14:15], 0
.LBB324_1500:
	s_and_b64 vcc, exec, s[14:15]
	s_cbranch_vccz .LBB324_1506
; %bb.1501:
	s_cmp_eq_u32 s19, 29
	s_cbranch_scc0 .LBB324_1505
; %bb.1502:
	global_load_dwordx2 v[12:13], v[10:11], off
	s_movk_i32 s0, 0xff
	s_waitcnt vmcnt(0)
	v_ffbh_u32_e32 v3, v13
	v_min_u32_e32 v3, 32, v3
	v_lshlrev_b64 v[12:13], v3, v[12:13]
	v_sub_u32_e32 v3, 32, v3
	v_min_u32_e32 v5, 1, v12
	v_or_b32_e32 v5, v13, v5
	v_cvt_f32_u32_e32 v5, v5
	v_ldexp_f32 v8, v5, v3
	v_lshrrev_b32_e32 v5, 23, v8
	v_cmp_ne_u32_e32 vcc, s0, v5
	v_mov_b32_e32 v3, 0xff
	s_and_saveexec_b64 s[2:3], vcc
; %bb.1503:
	v_and_b32_e32 v3, 0x400000, v8
	s_mov_b32 s0, 0x3fffff
	v_cmp_ne_u32_e32 vcc, 0, v3
	v_and_or_b32 v3, v8, s0, v5
	v_cmp_ne_u32_e64 s[0:1], 0, v3
	s_and_b64 s[0:1], vcc, s[0:1]
	v_cndmask_b32_e64 v3, 0, 1, s[0:1]
	v_add_u32_e32 v3, v5, v3
; %bb.1504:
	s_or_b64 exec, exec, s[2:3]
	s_mov_b64 s[2:3], 0
	s_mov_b64 s[0:1], -1
	s_branch .LBB324_1506
.LBB324_1505:
	s_mov_b64 s[2:3], -1
                                        ; implicit-def: $vgpr3
.LBB324_1506:
	s_mov_b64 s[14:15], 0
.LBB324_1507:
	s_and_b64 vcc, exec, s[14:15]
	s_cbranch_vccz .LBB324_1531
; %bb.1508:
	s_cmp_lt_i32 s19, 27
	s_cbranch_scc1 .LBB324_1513
; %bb.1509:
	s_cmp_gt_i32 s19, 27
	s_cbranch_scc0 .LBB324_1514
; %bb.1510:
	global_load_dword v3, v[10:11], off
	s_movk_i32 s0, 0xff
	s_waitcnt vmcnt(0)
	v_cvt_f32_u32_e32 v8, v3
	v_mov_b32_e32 v3, 0xff
	v_lshrrev_b32_e32 v5, 23, v8
	v_cmp_ne_u32_e32 vcc, s0, v5
	s_and_saveexec_b64 s[14:15], vcc
; %bb.1511:
	v_and_b32_e32 v3, 0x400000, v8
	s_mov_b32 s0, 0x3fffff
	v_cmp_ne_u32_e32 vcc, 0, v3
	v_and_or_b32 v3, v8, s0, v5
	v_cmp_ne_u32_e64 s[0:1], 0, v3
	s_and_b64 s[0:1], vcc, s[0:1]
	v_cndmask_b32_e64 v3, 0, 1, s[0:1]
	v_add_u32_e32 v3, v5, v3
; %bb.1512:
	s_or_b64 exec, exec, s[14:15]
	s_mov_b64 s[0:1], 0
	s_branch .LBB324_1515
.LBB324_1513:
	s_mov_b64 s[0:1], -1
                                        ; implicit-def: $vgpr3
	s_branch .LBB324_1520
.LBB324_1514:
	s_mov_b64 s[0:1], -1
                                        ; implicit-def: $vgpr3
.LBB324_1515:
	s_andn2_b64 vcc, exec, s[0:1]
	s_cbranch_vccnz .LBB324_1519
; %bb.1516:
	global_load_ushort v3, v[10:11], off
	s_movk_i32 s0, 0xff
	s_waitcnt vmcnt(0)
	v_cvt_f32_u32_e32 v8, v3
	v_mov_b32_e32 v3, 0xff
	v_lshrrev_b32_e32 v5, 23, v8
	v_cmp_ne_u32_e32 vcc, s0, v5
	s_and_saveexec_b64 s[14:15], vcc
; %bb.1517:
	v_and_b32_e32 v3, 0x400000, v8
	s_mov_b32 s0, 0x3fffff
	v_cmp_ne_u32_e32 vcc, 0, v3
	v_and_or_b32 v3, v8, s0, v5
	v_cmp_ne_u32_e64 s[0:1], 0, v3
	s_and_b64 s[0:1], vcc, s[0:1]
	v_cndmask_b32_e64 v3, 0, 1, s[0:1]
	v_add_u32_e32 v3, v5, v3
; %bb.1518:
	s_or_b64 exec, exec, s[14:15]
.LBB324_1519:
	s_mov_b64 s[0:1], 0
.LBB324_1520:
	s_andn2_b64 vcc, exec, s[0:1]
	s_cbranch_vccnz .LBB324_1530
; %bb.1521:
	global_load_ubyte v3, v[10:11], off
	s_movk_i32 s0, 0x7f
	s_waitcnt vmcnt(0)
	v_cmp_lt_i16_e32 vcc, s0, v3
	s_mov_b64 s[0:1], 0
	s_and_saveexec_b64 s[14:15], vcc
	s_xor_b64 s[14:15], exec, s[14:15]
	s_cbranch_execz .LBB324_1545
; %bb.1522:
	s_movk_i32 s0, 0x80
	v_cmp_eq_u16_e32 vcc, s0, v3
	s_mov_b64 s[0:1], -1
	s_and_saveexec_b64 s[16:17], vcc
; %bb.1523:
	s_xor_b64 s[0:1], exec, -1
; %bb.1524:
	s_or_b64 exec, exec, s[16:17]
	s_and_b64 s[0:1], s[0:1], exec
	s_or_saveexec_b64 s[14:15], s[14:15]
	v_mov_b32_e32 v5, 0x7f800001
	s_xor_b64 exec, exec, s[14:15]
	s_cbranch_execnz .LBB324_1546
.LBB324_1525:
	s_or_b64 exec, exec, s[14:15]
	s_and_saveexec_b64 s[14:15], s[0:1]
	s_cbranch_execz .LBB324_1527
.LBB324_1526:
	v_and_b32_e32 v3, 0xffff, v3
	v_and_b32_e32 v5, 7, v3
	v_ffbh_u32_e32 v12, v5
	v_min_u32_e32 v12, 32, v12
	v_subrev_u32_e32 v13, 28, v12
	v_bfe_u32 v8, v3, 3, 4
	v_lshlrev_b32_e32 v3, v13, v3
	v_and_b32_e32 v3, 7, v3
	v_cmp_eq_u32_e32 vcc, 0, v8
	v_sub_u32_e32 v12, 29, v12
	v_cndmask_b32_e32 v3, v5, v3, vcc
	v_cndmask_b32_e32 v8, v8, v12, vcc
	v_lshlrev_b32_e32 v3, 20, v3
	v_lshl_or_b32 v3, v8, 23, v3
	v_add_u32_e32 v5, 0x3b800000, v3
.LBB324_1527:
	s_or_b64 exec, exec, s[14:15]
	v_lshrrev_b32_e32 v8, 23, v5
	s_movk_i32 s0, 0xff
	v_cmp_ne_u32_e32 vcc, s0, v8
	v_mov_b32_e32 v3, 0xff
	s_and_saveexec_b64 s[14:15], vcc
; %bb.1528:
	v_and_b32_e32 v3, 0x400000, v5
	s_mov_b32 s0, 0x3fffff
	v_cmp_ne_u32_e32 vcc, 0, v3
	v_and_or_b32 v3, v5, s0, v8
	v_cmp_ne_u32_e64 s[0:1], 0, v3
	s_and_b64 s[0:1], vcc, s[0:1]
	v_cndmask_b32_e64 v3, 0, 1, s[0:1]
	v_add_u32_e32 v3, v8, v3
; %bb.1529:
	s_or_b64 exec, exec, s[14:15]
.LBB324_1530:
	s_mov_b64 s[0:1], -1
.LBB324_1531:
	s_branch .LBB324_1572
.LBB324_1532:
	s_cmp_gt_i32 s19, 22
	s_cbranch_scc0 .LBB324_1544
; %bb.1533:
	s_cmp_lt_i32 s19, 24
	s_cbranch_scc1 .LBB324_1547
; %bb.1534:
	s_cmp_gt_i32 s19, 24
	s_cbranch_scc0 .LBB324_1548
; %bb.1535:
	global_load_ubyte v3, v[10:11], off
	s_movk_i32 s0, 0x7f
	s_waitcnt vmcnt(0)
	v_cmp_lt_i16_e32 vcc, s0, v3
	s_mov_b64 s[0:1], 0
	s_and_saveexec_b64 s[4:5], vcc
	s_xor_b64 s[4:5], exec, s[4:5]
	s_cbranch_execz .LBB324_1566
; %bb.1536:
	s_movk_i32 s0, 0x80
	v_cmp_eq_u16_e32 vcc, s0, v3
	s_mov_b64 s[0:1], -1
	s_and_saveexec_b64 s[14:15], vcc
; %bb.1537:
	s_xor_b64 s[0:1], exec, -1
; %bb.1538:
	s_or_b64 exec, exec, s[14:15]
	s_and_b64 s[0:1], s[0:1], exec
	s_or_saveexec_b64 s[4:5], s[4:5]
	v_mov_b32_e32 v5, 0x7f800001
	s_xor_b64 exec, exec, s[4:5]
	s_cbranch_execnz .LBB324_1567
.LBB324_1539:
	s_or_b64 exec, exec, s[4:5]
	s_and_saveexec_b64 s[4:5], s[0:1]
	s_cbranch_execz .LBB324_1541
.LBB324_1540:
	v_and_b32_e32 v3, 0xffff, v3
	v_and_b32_e32 v5, 3, v3
	v_ffbh_u32_e32 v12, v5
	v_min_u32_e32 v12, 32, v12
	v_subrev_u32_e32 v13, 29, v12
	v_bfe_u32 v8, v3, 2, 5
	v_lshlrev_b32_e32 v3, v13, v3
	v_and_b32_e32 v3, 3, v3
	v_cmp_eq_u32_e32 vcc, 0, v8
	v_sub_u32_e32 v12, 30, v12
	v_cndmask_b32_e32 v3, v5, v3, vcc
	v_cndmask_b32_e32 v8, v8, v12, vcc
	v_lshlrev_b32_e32 v3, 21, v3
	v_lshl_or_b32 v3, v8, 23, v3
	v_add_u32_e32 v5, 0x37800000, v3
.LBB324_1541:
	s_or_b64 exec, exec, s[4:5]
	v_lshrrev_b32_e32 v8, 23, v5
	s_movk_i32 s0, 0xff
	v_cmp_ne_u32_e32 vcc, s0, v8
	v_mov_b32_e32 v3, 0xff
	s_and_saveexec_b64 s[4:5], vcc
; %bb.1542:
	v_and_b32_e32 v3, 0x400000, v5
	s_mov_b32 s0, 0x3fffff
	v_cmp_ne_u32_e32 vcc, 0, v3
	v_and_or_b32 v3, v5, s0, v8
	v_cmp_ne_u32_e64 s[0:1], 0, v3
	s_and_b64 s[0:1], vcc, s[0:1]
	v_cndmask_b32_e64 v3, 0, 1, s[0:1]
	v_add_u32_e32 v3, v8, v3
; %bb.1543:
	s_or_b64 exec, exec, s[4:5]
	s_mov_b64 s[0:1], 0
	s_branch .LBB324_1549
.LBB324_1544:
	s_mov_b64 s[4:5], -1
                                        ; implicit-def: $vgpr3
	s_branch .LBB324_1559
.LBB324_1545:
	s_or_saveexec_b64 s[14:15], s[14:15]
	v_mov_b32_e32 v5, 0x7f800001
	s_xor_b64 exec, exec, s[14:15]
	s_cbranch_execz .LBB324_1525
.LBB324_1546:
	v_cmp_ne_u16_e32 vcc, 0, v3
	s_andn2_b64 s[0:1], s[0:1], exec
	s_and_b64 s[16:17], vcc, exec
	v_and_b32_e32 v5, 0xffff, v3
	s_or_b64 s[0:1], s[0:1], s[16:17]
	s_or_b64 exec, exec, s[14:15]
	s_and_saveexec_b64 s[14:15], s[0:1]
	s_cbranch_execnz .LBB324_1526
	s_branch .LBB324_1527
.LBB324_1547:
	s_mov_b64 s[0:1], -1
                                        ; implicit-def: $vgpr3
	s_branch .LBB324_1554
.LBB324_1548:
	s_mov_b64 s[0:1], -1
                                        ; implicit-def: $vgpr3
.LBB324_1549:
	s_and_b64 vcc, exec, s[0:1]
	s_cbranch_vccz .LBB324_1553
; %bb.1550:
	global_load_ubyte v3, v[10:11], off
	s_mov_b32 s0, 0x7f800000
	s_movk_i32 s1, 0xff
	s_waitcnt vmcnt(0)
	v_lshlrev_b32_e32 v3, 24, v3
	v_and_b32_e32 v3, 0x7f000000, v3
	v_ffbh_u32_e32 v5, v3
	v_min_u32_e32 v5, 32, v5
	v_sub_u32_e64 v5, v5, 4 clamp
	v_lshlrev_b32_e32 v12, v5, v3
	v_lshlrev_b32_e32 v5, 23, v5
	v_lshrrev_b32_e32 v12, 4, v12
	v_add_u32_e32 v8, 0x1000000, v3
	v_sub_u32_e32 v5, v12, v5
	v_ashrrev_i32_e32 v8, 8, v8
	v_add_u32_e32 v5, 0x3c000000, v5
	v_and_or_b32 v5, v8, s0, v5
	v_cmp_ne_u32_e32 vcc, 0, v3
	v_cndmask_b32_e32 v8, 0, v5, vcc
	v_lshrrev_b32_e32 v5, 23, v8
	v_cmp_ne_u32_e32 vcc, s1, v5
	v_mov_b32_e32 v3, 0xff
	s_and_saveexec_b64 s[4:5], vcc
; %bb.1551:
	v_and_b32_e32 v3, 0x400000, v8
	s_mov_b32 s0, 0x3fffff
	v_cmp_ne_u32_e32 vcc, 0, v3
	v_and_or_b32 v3, v8, s0, v5
	v_cmp_ne_u32_e64 s[0:1], 0, v3
	s_and_b64 s[0:1], vcc, s[0:1]
	v_cndmask_b32_e64 v3, 0, 1, s[0:1]
	v_add_u32_e32 v3, v5, v3
; %bb.1552:
	s_or_b64 exec, exec, s[4:5]
.LBB324_1553:
	s_mov_b64 s[0:1], 0
.LBB324_1554:
	s_andn2_b64 vcc, exec, s[0:1]
	s_cbranch_vccnz .LBB324_1558
; %bb.1555:
	global_load_ubyte v3, v[10:11], off
	s_movk_i32 s0, 0x7f00
	s_brev_b32 s1, 16
	s_movk_i32 s4, 0xff
	s_waitcnt vmcnt(0)
	v_lshlrev_b32_e32 v5, 8, v3
	v_lshlrev_b32_e32 v3, 25, v3
	v_lshrrev_b32_e32 v8, 4, v3
	v_and_or_b32 v5, v5, s0, 0.5
	v_or_b32_e32 v8, 0x70000000, v8
	v_add_f32_e32 v5, -0.5, v5
	v_mul_f32_e32 v8, 0x7800000, v8
	v_cmp_gt_u32_e32 vcc, s1, v3
	v_cndmask_b32_e32 v5, v8, v5, vcc
	v_bfe_u32 v8, v5, 23, 8
	v_cmp_ne_u32_e32 vcc, s4, v8
	v_mov_b32_e32 v3, 0xff
	s_and_saveexec_b64 s[4:5], vcc
; %bb.1556:
	s_mov_b32 s0, 0x3fffff
	v_lshrrev_b32_e32 v3, 23, v5
	v_and_b32_e32 v12, 0x400000, v5
	v_and_or_b32 v5, v5, s0, v8
	v_cmp_ne_u32_e32 vcc, 0, v12
	v_cmp_ne_u32_e64 s[0:1], 0, v5
	s_and_b64 s[0:1], vcc, s[0:1]
	v_cndmask_b32_e64 v5, 0, 1, s[0:1]
	v_add_u32_e32 v3, v3, v5
; %bb.1557:
	s_or_b64 exec, exec, s[4:5]
.LBB324_1558:
	s_mov_b64 s[4:5], 0
	s_mov_b64 s[0:1], -1
.LBB324_1559:
	s_andn2_b64 vcc, exec, s[4:5]
	s_mov_b64 s[4:5], 0
	s_cbranch_vccnz .LBB324_1572
; %bb.1560:
	s_cmp_gt_i32 s19, 14
	s_cbranch_scc0 .LBB324_1565
; %bb.1561:
	s_cmp_eq_u32 s19, 15
	s_cbranch_scc0 .LBB324_1568
; %bb.1562:
	global_load_ushort v5, v[10:11], off
	s_movk_i32 s0, 0xff
	s_waitcnt vmcnt(1)
	v_mov_b32_e32 v3, 0xff
	s_waitcnt vmcnt(0)
	v_bfe_u32 v8, v5, 7, 8
	v_cmp_ne_u32_e32 vcc, s0, v8
	s_and_saveexec_b64 s[2:3], vcc
	s_cbranch_execz .LBB324_1564
; %bb.1563:
	v_lshrrev_b32_e32 v3, 7, v5
	v_lshlrev_b32_e32 v12, 16, v5
	v_and_b32_e32 v5, 64, v5
	s_mov_b32 s0, 0x3f0000
	v_cmp_ne_u32_e32 vcc, 0, v5
	v_and_or_b32 v5, v12, s0, v8
	v_cmp_ne_u32_e64 s[0:1], 0, v5
	s_and_b64 s[0:1], vcc, s[0:1]
	v_cndmask_b32_e64 v5, 0, 1, s[0:1]
	v_add_u32_e32 v3, v3, v5
.LBB324_1564:
	s_or_b64 exec, exec, s[2:3]
	s_mov_b64 s[2:3], 0
	s_mov_b64 s[0:1], -1
	s_branch .LBB324_1569
.LBB324_1565:
	s_mov_b64 s[14:15], -1
                                        ; implicit-def: $vgpr3
	s_branch .LBB324_1570
.LBB324_1566:
	s_or_saveexec_b64 s[4:5], s[4:5]
	v_mov_b32_e32 v5, 0x7f800001
	s_xor_b64 exec, exec, s[4:5]
	s_cbranch_execz .LBB324_1539
.LBB324_1567:
	v_cmp_ne_u16_e32 vcc, 0, v3
	s_andn2_b64 s[0:1], s[0:1], exec
	s_and_b64 s[14:15], vcc, exec
	v_and_b32_e32 v5, 0xffff, v3
	s_or_b64 s[0:1], s[0:1], s[14:15]
	s_or_b64 exec, exec, s[4:5]
	s_and_saveexec_b64 s[4:5], s[0:1]
	s_cbranch_execnz .LBB324_1540
	s_branch .LBB324_1541
.LBB324_1568:
	s_mov_b64 s[2:3], -1
                                        ; implicit-def: $vgpr3
.LBB324_1569:
	s_mov_b64 s[14:15], 0
.LBB324_1570:
	s_and_b64 vcc, exec, s[14:15]
	s_cbranch_vccz .LBB324_1572
; %bb.1571:
	s_cmp_lg_u32 s19, 11
	s_mov_b64 s[4:5], -1
	s_cselect_b64 s[2:3], -1, 0
.LBB324_1572:
	s_and_b64 vcc, exec, s[2:3]
	s_cbranch_vccnz .LBB324_1661
; %bb.1573:
	s_andn2_b64 vcc, exec, s[4:5]
	s_cbranch_vccnz .LBB324_1577
.LBB324_1574:
	global_load_ubyte v3, v[10:11], off
	s_movk_i32 s0, 0xff
	s_waitcnt vmcnt(0)
	v_cmp_ne_u16_e32 vcc, 0, v3
	v_cndmask_b32_e64 v8, 0, 1.0, vcc
	v_lshrrev_b32_e32 v5, 23, v8
	v_cmp_ne_u32_e32 vcc, s0, v5
	v_mov_b32_e32 v3, 0xff
	s_and_saveexec_b64 s[2:3], vcc
; %bb.1575:
	v_and_b32_e32 v3, 0x400000, v8
	s_mov_b32 s0, 0x3fffff
	v_cmp_ne_u32_e32 vcc, 0, v3
	v_and_or_b32 v3, v8, s0, v5
	v_cmp_ne_u32_e64 s[0:1], 0, v3
	s_and_b64 s[0:1], vcc, s[0:1]
	v_cndmask_b32_e64 v3, 0, 1, s[0:1]
	v_add_u32_e32 v3, v5, v3
; %bb.1576:
	s_or_b64 exec, exec, s[2:3]
	s_mov_b64 s[0:1], -1
.LBB324_1577:
	s_branch .LBB324_1486
.LBB324_1578:
	s_and_b32 s4, 0xffff, s18
	s_cmp_lt_i32 s4, 5
	s_cbranch_scc1 .LBB324_1585
; %bb.1579:
	s_cmp_lt_i32 s4, 8
	s_cbranch_scc1 .LBB324_1586
; %bb.1580:
	;; [unrolled: 3-line block ×3, first 2 shown]
	s_cmp_gt_i32 s4, 9
	s_cbranch_scc0 .LBB324_1588
; %bb.1582:
	global_load_dwordx2 v[12:13], v[10:11], off
	s_movk_i32 s0, 0xff
	s_waitcnt vmcnt(1)
	v_mov_b32_e32 v3, 0xff
	s_waitcnt vmcnt(0)
	v_cvt_f32_f64_e32 v5, v[12:13]
	v_bfe_u32 v8, v5, 23, 8
	v_cmp_ne_u32_e32 vcc, s0, v8
	s_and_saveexec_b64 s[2:3], vcc
; %bb.1583:
	s_mov_b32 s0, 0x3fffff
	v_lshrrev_b32_e32 v3, 23, v5
	v_and_b32_e32 v12, 0x400000, v5
	v_and_or_b32 v5, v5, s0, v8
	v_cmp_ne_u32_e32 vcc, 0, v12
	v_cmp_ne_u32_e64 s[0:1], 0, v5
	s_and_b64 s[0:1], vcc, s[0:1]
	v_cndmask_b32_e64 v5, 0, 1, s[0:1]
	v_add_u32_e32 v3, v3, v5
; %bb.1584:
	s_or_b64 exec, exec, s[2:3]
	s_mov_b64 s[0:1], 0
	s_branch .LBB324_1589
.LBB324_1585:
                                        ; implicit-def: $vgpr3
	s_branch .LBB324_1617
.LBB324_1586:
	s_mov_b64 s[0:1], -1
                                        ; implicit-def: $vgpr3
	s_branch .LBB324_1599
.LBB324_1587:
	s_mov_b64 s[0:1], -1
                                        ; implicit-def: $vgpr3
	s_branch .LBB324_1594
.LBB324_1588:
	s_mov_b64 s[0:1], -1
                                        ; implicit-def: $vgpr3
.LBB324_1589:
	s_andn2_b64 vcc, exec, s[0:1]
	s_cbranch_vccnz .LBB324_1593
; %bb.1590:
	global_load_dword v5, v[10:11], off
	s_movk_i32 s0, 0xff
	s_waitcnt vmcnt(1)
	v_mov_b32_e32 v3, 0xff
	s_waitcnt vmcnt(0)
	v_bfe_u32 v8, v5, 23, 8
	v_cmp_ne_u32_e32 vcc, s0, v8
	s_and_saveexec_b64 s[2:3], vcc
; %bb.1591:
	s_mov_b32 s0, 0x3fffff
	v_lshrrev_b32_e32 v3, 23, v5
	v_and_b32_e32 v12, 0x400000, v5
	v_and_or_b32 v5, v5, s0, v8
	v_cmp_ne_u32_e32 vcc, 0, v12
	v_cmp_ne_u32_e64 s[0:1], 0, v5
	s_and_b64 s[0:1], vcc, s[0:1]
	v_cndmask_b32_e64 v5, 0, 1, s[0:1]
	v_add_u32_e32 v3, v3, v5
; %bb.1592:
	s_or_b64 exec, exec, s[2:3]
.LBB324_1593:
	s_mov_b64 s[0:1], 0
.LBB324_1594:
	s_andn2_b64 vcc, exec, s[0:1]
	s_cbranch_vccnz .LBB324_1598
; %bb.1595:
	global_load_dword v3, v[10:11], off
	s_movk_i32 s0, 0xff
	s_waitcnt vmcnt(0)
	v_cvt_f32_f16_e32 v5, v3
	v_mov_b32_e32 v3, 0xff
	v_bfe_u32 v8, v5, 23, 8
	v_cmp_ne_u32_e32 vcc, s0, v8
	s_and_saveexec_b64 s[2:3], vcc
; %bb.1596:
	s_mov_b32 s0, 0x3fffff
	v_lshrrev_b32_e32 v3, 23, v5
	v_and_b32_e32 v12, 0x400000, v5
	v_and_or_b32 v5, v5, s0, v8
	v_cmp_ne_u32_e32 vcc, 0, v12
	v_cmp_ne_u32_e64 s[0:1], 0, v5
	s_and_b64 s[0:1], vcc, s[0:1]
	v_cndmask_b32_e64 v5, 0, 1, s[0:1]
	v_add_u32_e32 v3, v3, v5
; %bb.1597:
	s_or_b64 exec, exec, s[2:3]
.LBB324_1598:
	s_mov_b64 s[0:1], 0
.LBB324_1599:
	s_andn2_b64 vcc, exec, s[0:1]
	s_cbranch_vccnz .LBB324_1616
; %bb.1600:
	s_cmp_lt_i32 s4, 6
	s_cbranch_scc1 .LBB324_1605
; %bb.1601:
	s_cmp_gt_i32 s4, 6
	s_cbranch_scc0 .LBB324_1606
; %bb.1602:
	global_load_dwordx2 v[12:13], v[10:11], off
	s_movk_i32 s0, 0xff
	s_waitcnt vmcnt(1)
	v_mov_b32_e32 v3, 0xff
	s_waitcnt vmcnt(0)
	v_cvt_f32_f64_e32 v5, v[12:13]
	v_bfe_u32 v8, v5, 23, 8
	v_cmp_ne_u32_e32 vcc, s0, v8
	s_and_saveexec_b64 s[2:3], vcc
; %bb.1603:
	s_mov_b32 s0, 0x3fffff
	v_lshrrev_b32_e32 v3, 23, v5
	v_and_b32_e32 v12, 0x400000, v5
	v_and_or_b32 v5, v5, s0, v8
	v_cmp_ne_u32_e32 vcc, 0, v12
	v_cmp_ne_u32_e64 s[0:1], 0, v5
	s_and_b64 s[0:1], vcc, s[0:1]
	v_cndmask_b32_e64 v5, 0, 1, s[0:1]
	v_add_u32_e32 v3, v3, v5
; %bb.1604:
	s_or_b64 exec, exec, s[2:3]
	s_mov_b64 s[0:1], 0
	s_branch .LBB324_1607
.LBB324_1605:
	s_mov_b64 s[0:1], -1
                                        ; implicit-def: $vgpr3
	s_branch .LBB324_1612
.LBB324_1606:
	s_mov_b64 s[0:1], -1
                                        ; implicit-def: $vgpr3
.LBB324_1607:
	s_andn2_b64 vcc, exec, s[0:1]
	s_cbranch_vccnz .LBB324_1611
; %bb.1608:
	global_load_dword v5, v[10:11], off
	s_movk_i32 s0, 0xff
	s_waitcnt vmcnt(1)
	v_mov_b32_e32 v3, 0xff
	s_waitcnt vmcnt(0)
	v_bfe_u32 v8, v5, 23, 8
	v_cmp_ne_u32_e32 vcc, s0, v8
	s_and_saveexec_b64 s[2:3], vcc
; %bb.1609:
	s_mov_b32 s0, 0x3fffff
	v_lshrrev_b32_e32 v3, 23, v5
	v_and_b32_e32 v12, 0x400000, v5
	v_and_or_b32 v5, v5, s0, v8
	v_cmp_ne_u32_e32 vcc, 0, v12
	v_cmp_ne_u32_e64 s[0:1], 0, v5
	s_and_b64 s[0:1], vcc, s[0:1]
	v_cndmask_b32_e64 v5, 0, 1, s[0:1]
	v_add_u32_e32 v3, v3, v5
; %bb.1610:
	s_or_b64 exec, exec, s[2:3]
.LBB324_1611:
	s_mov_b64 s[0:1], 0
.LBB324_1612:
	s_andn2_b64 vcc, exec, s[0:1]
	s_cbranch_vccnz .LBB324_1616
; %bb.1613:
	global_load_ushort v3, v[10:11], off
	s_movk_i32 s0, 0xff
	s_waitcnt vmcnt(0)
	v_cvt_f32_f16_e32 v5, v3
	v_mov_b32_e32 v3, 0xff
	v_bfe_u32 v8, v5, 23, 8
	v_cmp_ne_u32_e32 vcc, s0, v8
	s_and_saveexec_b64 s[2:3], vcc
; %bb.1614:
	s_mov_b32 s0, 0x3fffff
	v_lshrrev_b32_e32 v3, 23, v5
	v_and_b32_e32 v12, 0x400000, v5
	v_and_or_b32 v5, v5, s0, v8
	v_cmp_ne_u32_e32 vcc, 0, v12
	v_cmp_ne_u32_e64 s[0:1], 0, v5
	s_and_b64 s[0:1], vcc, s[0:1]
	v_cndmask_b32_e64 v5, 0, 1, s[0:1]
	v_add_u32_e32 v3, v3, v5
; %bb.1615:
	s_or_b64 exec, exec, s[2:3]
.LBB324_1616:
	s_cbranch_execnz .LBB324_1646
.LBB324_1617:
	s_cmp_lt_i32 s4, 2
	s_cbranch_scc1 .LBB324_1623
; %bb.1618:
	s_cmp_lt_i32 s4, 3
	s_cbranch_scc1 .LBB324_1624
; %bb.1619:
	s_cmp_gt_i32 s4, 3
	s_cbranch_scc0 .LBB324_1625
; %bb.1620:
	global_load_dwordx2 v[12:13], v[10:11], off
	s_movk_i32 s0, 0xff
	s_waitcnt vmcnt(0)
	v_xor_b32_e32 v5, v12, v13
	v_ffbh_i32_e32 v3, v13
	v_ashrrev_i32_e32 v5, 31, v5
	v_add_u32_e32 v3, -1, v3
	v_add_u32_e32 v5, 32, v5
	v_min_u32_e32 v3, v3, v5
	v_lshlrev_b64 v[12:13], v3, v[12:13]
	v_sub_u32_e32 v3, 32, v3
	v_min_u32_e32 v5, 1, v12
	v_or_b32_e32 v5, v13, v5
	v_cvt_f32_i32_e32 v5, v5
	v_ldexp_f32 v5, v5, v3
	v_bfe_u32 v8, v5, 23, 8
	v_cmp_ne_u32_e32 vcc, s0, v8
	v_mov_b32_e32 v3, 0xff
	s_and_saveexec_b64 s[2:3], vcc
; %bb.1621:
	s_mov_b32 s0, 0x3fffff
	v_lshrrev_b32_e32 v3, 23, v5
	v_and_b32_e32 v12, 0x400000, v5
	v_and_or_b32 v5, v5, s0, v8
	v_cmp_ne_u32_e32 vcc, 0, v12
	v_cmp_ne_u32_e64 s[0:1], 0, v5
	s_and_b64 s[0:1], vcc, s[0:1]
	v_cndmask_b32_e64 v5, 0, 1, s[0:1]
	v_add_u32_e32 v3, v3, v5
; %bb.1622:
	s_or_b64 exec, exec, s[2:3]
	s_mov_b64 s[0:1], 0
	s_branch .LBB324_1626
.LBB324_1623:
	s_mov_b64 s[0:1], -1
                                        ; implicit-def: $vgpr3
	s_branch .LBB324_1636
.LBB324_1624:
	s_mov_b64 s[0:1], -1
                                        ; implicit-def: $vgpr3
	s_branch .LBB324_1631
.LBB324_1625:
	s_mov_b64 s[0:1], -1
                                        ; implicit-def: $vgpr3
.LBB324_1626:
	s_andn2_b64 vcc, exec, s[0:1]
	s_cbranch_vccnz .LBB324_1630
; %bb.1627:
	global_load_dword v3, v[10:11], off
	s_movk_i32 s0, 0xff
	s_waitcnt vmcnt(0)
	v_cvt_f32_i32_e32 v5, v3
	v_mov_b32_e32 v3, 0xff
	v_bfe_u32 v8, v5, 23, 8
	v_cmp_ne_u32_e32 vcc, s0, v8
	s_and_saveexec_b64 s[2:3], vcc
; %bb.1628:
	s_mov_b32 s0, 0x3fffff
	v_lshrrev_b32_e32 v3, 23, v5
	v_and_b32_e32 v12, 0x400000, v5
	v_and_or_b32 v5, v5, s0, v8
	v_cmp_ne_u32_e32 vcc, 0, v12
	v_cmp_ne_u32_e64 s[0:1], 0, v5
	s_and_b64 s[0:1], vcc, s[0:1]
	v_cndmask_b32_e64 v5, 0, 1, s[0:1]
	v_add_u32_e32 v3, v3, v5
; %bb.1629:
	s_or_b64 exec, exec, s[2:3]
.LBB324_1630:
	s_mov_b64 s[0:1], 0
.LBB324_1631:
	s_andn2_b64 vcc, exec, s[0:1]
	s_cbranch_vccnz .LBB324_1635
; %bb.1632:
	global_load_sshort v3, v[10:11], off
	s_movk_i32 s0, 0xff
	s_waitcnt vmcnt(0)
	v_cvt_f32_i32_e32 v5, v3
	v_mov_b32_e32 v3, 0xff
	v_bfe_u32 v8, v5, 23, 8
	v_cmp_ne_u32_e32 vcc, s0, v8
	s_and_saveexec_b64 s[2:3], vcc
; %bb.1633:
	s_mov_b32 s0, 0x3fffff
	v_lshrrev_b32_e32 v3, 23, v5
	v_and_b32_e32 v12, 0x400000, v5
	v_and_or_b32 v5, v5, s0, v8
	v_cmp_ne_u32_e32 vcc, 0, v12
	v_cmp_ne_u32_e64 s[0:1], 0, v5
	s_and_b64 s[0:1], vcc, s[0:1]
	v_cndmask_b32_e64 v5, 0, 1, s[0:1]
	v_add_u32_e32 v3, v3, v5
; %bb.1634:
	s_or_b64 exec, exec, s[2:3]
.LBB324_1635:
	s_mov_b64 s[0:1], 0
.LBB324_1636:
	s_andn2_b64 vcc, exec, s[0:1]
	s_cbranch_vccnz .LBB324_1646
; %bb.1637:
	s_cmp_gt_i32 s4, 0
	s_cbranch_scc0 .LBB324_1641
; %bb.1638:
	global_load_sbyte v3, v[10:11], off
	s_movk_i32 s0, 0xff
	s_waitcnt vmcnt(0)
	v_cvt_f32_i32_e32 v5, v3
	v_mov_b32_e32 v3, 0xff
	v_bfe_u32 v8, v5, 23, 8
	v_cmp_ne_u32_e32 vcc, s0, v8
	s_and_saveexec_b64 s[2:3], vcc
; %bb.1639:
	s_mov_b32 s0, 0x3fffff
	v_lshrrev_b32_e32 v3, 23, v5
	v_and_b32_e32 v12, 0x400000, v5
	v_and_or_b32 v5, v5, s0, v8
	v_cmp_ne_u32_e32 vcc, 0, v12
	v_cmp_ne_u32_e64 s[0:1], 0, v5
	s_and_b64 s[0:1], vcc, s[0:1]
	v_cndmask_b32_e64 v5, 0, 1, s[0:1]
	v_add_u32_e32 v3, v3, v5
; %bb.1640:
	s_or_b64 exec, exec, s[2:3]
	s_mov_b64 s[0:1], 0
	s_branch .LBB324_1642
.LBB324_1641:
	s_mov_b64 s[0:1], -1
                                        ; implicit-def: $vgpr3
.LBB324_1642:
	s_andn2_b64 vcc, exec, s[0:1]
	s_cbranch_vccnz .LBB324_1646
; %bb.1643:
	global_load_ubyte v3, v[10:11], off
	s_movk_i32 s0, 0xff
	s_waitcnt vmcnt(0)
	v_cvt_f32_ubyte0_e32 v8, v3
	v_lshrrev_b32_e32 v5, 23, v8
	v_cmp_ne_u32_e32 vcc, s0, v5
	v_mov_b32_e32 v3, 0xff
	s_and_saveexec_b64 s[2:3], vcc
; %bb.1644:
	v_and_b32_e32 v3, 0x400000, v8
	s_mov_b32 s0, 0x3fffff
	v_cmp_ne_u32_e32 vcc, 0, v3
	v_and_or_b32 v3, v8, s0, v5
	v_cmp_ne_u32_e64 s[0:1], 0, v3
	s_and_b64 s[0:1], vcc, s[0:1]
	v_cndmask_b32_e64 v3, 0, 1, s[0:1]
	v_add_u32_e32 v3, v5, v3
; %bb.1645:
	s_or_b64 exec, exec, s[2:3]
.LBB324_1646:
.LBB324_1647:
	v_mov_b32_e32 v5, s11
	v_add_co_u32_e32 v8, vcc, s10, v9
	s_cmp_lt_i32 s18, 11
	v_addc_co_u32_e32 v9, vcc, 0, v5, vcc
	s_cbranch_scc1 .LBB324_1656
; %bb.1648:
	s_and_b32 s19, 0xffff, s18
	s_cmp_gt_i32 s19, 25
	s_mov_b64 s[4:5], 0
	s_cbranch_scc0 .LBB324_1658
; %bb.1649:
	s_cmp_gt_i32 s19, 28
	s_cbranch_scc0 .LBB324_1659
; %bb.1650:
	s_cmp_gt_i32 s19, 43
	;; [unrolled: 3-line block ×3, first 2 shown]
	s_cbranch_scc0 .LBB324_1662
; %bb.1652:
	s_cmp_eq_u32 s19, 46
	s_mov_b64 s[14:15], 0
	s_cbranch_scc0 .LBB324_1663
; %bb.1653:
	global_load_dword v5, v[8:9], off
	s_movk_i32 s0, 0xff
	v_mov_b32_e32 v10, 0xff
	s_waitcnt vmcnt(0)
	v_lshlrev_b32_e32 v11, 16, v5
	v_bfe_u32 v12, v11, 23, 8
	v_cmp_ne_u32_e32 vcc, s0, v12
	s_and_saveexec_b64 s[2:3], vcc
; %bb.1654:
	v_bfe_u32 v10, v5, 7, 9
	v_and_b32_e32 v5, 64, v5
	s_mov_b32 s0, 0x3f0000
	v_cmp_ne_u32_e32 vcc, 0, v5
	v_and_or_b32 v5, v11, s0, v12
	v_cmp_ne_u32_e64 s[0:1], 0, v5
	s_and_b64 s[0:1], vcc, s[0:1]
	v_cndmask_b32_e64 v5, 0, 1, s[0:1]
	v_add_u32_e32 v10, v10, v5
; %bb.1655:
	s_or_b64 exec, exec, s[2:3]
	s_mov_b64 s[2:3], 0
	s_mov_b64 s[0:1], -1
	s_branch .LBB324_1664
.LBB324_1656:
	s_mov_b64 s[0:1], 0
                                        ; implicit-def: $vgpr10
	s_cbranch_execnz .LBB324_1748
.LBB324_1657:
	s_andn2_b64 vcc, exec, s[0:1]
	s_cbranch_vccnz .LBB324_2423
	s_branch .LBB324_1818
.LBB324_1658:
	s_mov_b64 s[14:15], -1
	s_mov_b64 s[0:1], 0
	s_mov_b64 s[2:3], 0
                                        ; implicit-def: $vgpr10
	s_branch .LBB324_1701
.LBB324_1659:
	s_mov_b64 s[14:15], -1
	s_mov_b64 s[0:1], 0
	s_mov_b64 s[2:3], 0
                                        ; implicit-def: $vgpr10
	s_branch .LBB324_1676
.LBB324_1660:
	s_mov_b64 s[14:15], -1
	s_mov_b64 s[0:1], 0
	s_mov_b64 s[2:3], 0
                                        ; implicit-def: $vgpr10
	s_branch .LBB324_1669
.LBB324_1661:
	s_trap 2
	s_or_b64 s[12:13], s[12:13], exec
	s_cbranch_execz .LBB324_1574
	s_branch .LBB324_1577
.LBB324_1662:
	s_mov_b64 s[14:15], -1
	s_mov_b64 s[0:1], 0
	s_mov_b64 s[2:3], 0
                                        ; implicit-def: $vgpr10
	s_branch .LBB324_1664
.LBB324_1663:
	s_mov_b64 s[2:3], -1
                                        ; implicit-def: $vgpr10
	s_mov_b64 s[0:1], 0
.LBB324_1664:
	s_and_b64 vcc, exec, s[14:15]
	s_cbranch_vccz .LBB324_1668
; %bb.1665:
	s_cmp_eq_u32 s19, 44
	s_cbranch_scc0 .LBB324_1667
; %bb.1666:
	global_load_ubyte v10, v[8:9], off
	s_mov_b64 s[2:3], 0
	s_mov_b64 s[0:1], -1
	s_branch .LBB324_1668
.LBB324_1667:
	s_mov_b64 s[2:3], -1
                                        ; implicit-def: $vgpr10
.LBB324_1668:
	s_mov_b64 s[14:15], 0
.LBB324_1669:
	s_and_b64 vcc, exec, s[14:15]
	s_cbranch_vccz .LBB324_1675
; %bb.1670:
	s_cmp_eq_u32 s19, 29
	s_cbranch_scc0 .LBB324_1674
; %bb.1671:
	global_load_dwordx2 v[10:11], v[8:9], off
	s_movk_i32 s0, 0xff
	s_waitcnt vmcnt(0)
	v_ffbh_u32_e32 v5, v11
	v_min_u32_e32 v5, 32, v5
	v_lshlrev_b64 v[10:11], v5, v[10:11]
	v_sub_u32_e32 v5, 32, v5
	v_min_u32_e32 v10, 1, v10
	v_or_b32_e32 v10, v11, v10
	v_cvt_f32_u32_e32 v10, v10
	v_ldexp_f32 v11, v10, v5
	v_lshrrev_b32_e32 v5, 23, v11
	v_cmp_ne_u32_e32 vcc, s0, v5
	v_mov_b32_e32 v10, 0xff
	s_and_saveexec_b64 s[2:3], vcc
; %bb.1672:
	v_and_b32_e32 v10, 0x400000, v11
	s_mov_b32 s0, 0x3fffff
	v_cmp_ne_u32_e32 vcc, 0, v10
	v_and_or_b32 v10, v11, s0, v5
	v_cmp_ne_u32_e64 s[0:1], 0, v10
	s_and_b64 s[0:1], vcc, s[0:1]
	v_cndmask_b32_e64 v10, 0, 1, s[0:1]
	v_add_u32_e32 v10, v5, v10
; %bb.1673:
	s_or_b64 exec, exec, s[2:3]
	s_mov_b64 s[2:3], 0
	s_mov_b64 s[0:1], -1
	s_branch .LBB324_1675
.LBB324_1674:
	s_mov_b64 s[2:3], -1
                                        ; implicit-def: $vgpr10
.LBB324_1675:
	s_mov_b64 s[14:15], 0
.LBB324_1676:
	s_and_b64 vcc, exec, s[14:15]
	s_cbranch_vccz .LBB324_1700
; %bb.1677:
	s_cmp_lt_i32 s19, 27
	s_cbranch_scc1 .LBB324_1682
; %bb.1678:
	s_cmp_gt_i32 s19, 27
	s_cbranch_scc0 .LBB324_1683
; %bb.1679:
	global_load_dword v5, v[8:9], off
	s_movk_i32 s0, 0xff
	s_waitcnt vmcnt(1)
	v_mov_b32_e32 v10, 0xff
	s_waitcnt vmcnt(0)
	v_cvt_f32_u32_e32 v11, v5
	v_lshrrev_b32_e32 v5, 23, v11
	v_cmp_ne_u32_e32 vcc, s0, v5
	s_and_saveexec_b64 s[14:15], vcc
; %bb.1680:
	v_and_b32_e32 v10, 0x400000, v11
	s_mov_b32 s0, 0x3fffff
	v_cmp_ne_u32_e32 vcc, 0, v10
	v_and_or_b32 v10, v11, s0, v5
	v_cmp_ne_u32_e64 s[0:1], 0, v10
	s_and_b64 s[0:1], vcc, s[0:1]
	v_cndmask_b32_e64 v10, 0, 1, s[0:1]
	v_add_u32_e32 v10, v5, v10
; %bb.1681:
	s_or_b64 exec, exec, s[14:15]
	s_mov_b64 s[0:1], 0
	s_branch .LBB324_1684
.LBB324_1682:
	s_mov_b64 s[0:1], -1
                                        ; implicit-def: $vgpr10
	s_branch .LBB324_1689
.LBB324_1683:
	s_mov_b64 s[0:1], -1
                                        ; implicit-def: $vgpr10
.LBB324_1684:
	s_andn2_b64 vcc, exec, s[0:1]
	s_cbranch_vccnz .LBB324_1688
; %bb.1685:
	global_load_ushort v5, v[8:9], off
	s_movk_i32 s0, 0xff
	s_waitcnt vmcnt(1)
	v_mov_b32_e32 v10, 0xff
	s_waitcnt vmcnt(0)
	v_cvt_f32_u32_e32 v11, v5
	v_lshrrev_b32_e32 v5, 23, v11
	v_cmp_ne_u32_e32 vcc, s0, v5
	s_and_saveexec_b64 s[14:15], vcc
; %bb.1686:
	v_and_b32_e32 v10, 0x400000, v11
	s_mov_b32 s0, 0x3fffff
	v_cmp_ne_u32_e32 vcc, 0, v10
	v_and_or_b32 v10, v11, s0, v5
	v_cmp_ne_u32_e64 s[0:1], 0, v10
	s_and_b64 s[0:1], vcc, s[0:1]
	v_cndmask_b32_e64 v10, 0, 1, s[0:1]
	v_add_u32_e32 v10, v5, v10
; %bb.1687:
	s_or_b64 exec, exec, s[14:15]
.LBB324_1688:
	s_mov_b64 s[0:1], 0
.LBB324_1689:
	s_andn2_b64 vcc, exec, s[0:1]
	s_cbranch_vccnz .LBB324_1699
; %bb.1690:
	global_load_ubyte v5, v[8:9], off
	s_movk_i32 s0, 0x7f
	s_waitcnt vmcnt(0)
	v_cmp_lt_i16_e32 vcc, s0, v5
	s_mov_b64 s[0:1], 0
	s_and_saveexec_b64 s[14:15], vcc
	s_xor_b64 s[14:15], exec, s[14:15]
	s_cbranch_execz .LBB324_1715
; %bb.1691:
	s_movk_i32 s0, 0x80
	v_cmp_eq_u16_e32 vcc, s0, v5
	s_mov_b64 s[0:1], -1
	s_and_saveexec_b64 s[16:17], vcc
; %bb.1692:
	s_xor_b64 s[0:1], exec, -1
; %bb.1693:
	s_or_b64 exec, exec, s[16:17]
	s_and_b64 s[0:1], s[0:1], exec
	s_or_saveexec_b64 s[14:15], s[14:15]
	v_mov_b32_e32 v11, 0x7f800001
	s_xor_b64 exec, exec, s[14:15]
	s_cbranch_execnz .LBB324_1716
.LBB324_1694:
	s_or_b64 exec, exec, s[14:15]
	s_and_saveexec_b64 s[14:15], s[0:1]
	s_cbranch_execz .LBB324_1696
.LBB324_1695:
	v_and_b32_e32 v5, 0xffff, v5
	v_and_b32_e32 v10, 7, v5
	v_ffbh_u32_e32 v12, v10
	v_min_u32_e32 v12, 32, v12
	v_subrev_u32_e32 v13, 28, v12
	v_bfe_u32 v11, v5, 3, 4
	v_lshlrev_b32_e32 v5, v13, v5
	v_and_b32_e32 v5, 7, v5
	v_cmp_eq_u32_e32 vcc, 0, v11
	v_sub_u32_e32 v12, 29, v12
	v_cndmask_b32_e32 v5, v10, v5, vcc
	v_cndmask_b32_e32 v11, v11, v12, vcc
	v_lshlrev_b32_e32 v5, 20, v5
	v_lshl_or_b32 v5, v11, 23, v5
	v_add_u32_e32 v11, 0x3b800000, v5
.LBB324_1696:
	s_or_b64 exec, exec, s[14:15]
	v_lshrrev_b32_e32 v5, 23, v11
	s_movk_i32 s0, 0xff
	v_cmp_ne_u32_e32 vcc, s0, v5
	v_mov_b32_e32 v10, 0xff
	s_and_saveexec_b64 s[14:15], vcc
; %bb.1697:
	v_and_b32_e32 v10, 0x400000, v11
	s_mov_b32 s0, 0x3fffff
	v_cmp_ne_u32_e32 vcc, 0, v10
	v_and_or_b32 v10, v11, s0, v5
	v_cmp_ne_u32_e64 s[0:1], 0, v10
	s_and_b64 s[0:1], vcc, s[0:1]
	v_cndmask_b32_e64 v10, 0, 1, s[0:1]
	v_add_u32_e32 v10, v5, v10
; %bb.1698:
	s_or_b64 exec, exec, s[14:15]
.LBB324_1699:
	s_mov_b64 s[0:1], -1
.LBB324_1700:
	s_mov_b64 s[14:15], 0
.LBB324_1701:
	s_and_b64 vcc, exec, s[14:15]
	s_cbranch_vccz .LBB324_1742
; %bb.1702:
	s_cmp_gt_i32 s19, 22
	s_cbranch_scc0 .LBB324_1714
; %bb.1703:
	s_cmp_lt_i32 s19, 24
	s_cbranch_scc1 .LBB324_1717
; %bb.1704:
	s_cmp_gt_i32 s19, 24
	s_cbranch_scc0 .LBB324_1718
; %bb.1705:
	global_load_ubyte v5, v[8:9], off
	s_movk_i32 s0, 0x7f
	s_waitcnt vmcnt(0)
	v_cmp_lt_i16_e32 vcc, s0, v5
	s_mov_b64 s[0:1], 0
	s_and_saveexec_b64 s[4:5], vcc
	s_xor_b64 s[4:5], exec, s[4:5]
	s_cbranch_execz .LBB324_1736
; %bb.1706:
	s_movk_i32 s0, 0x80
	v_cmp_eq_u16_e32 vcc, s0, v5
	s_mov_b64 s[0:1], -1
	s_and_saveexec_b64 s[14:15], vcc
; %bb.1707:
	s_xor_b64 s[0:1], exec, -1
; %bb.1708:
	s_or_b64 exec, exec, s[14:15]
	s_and_b64 s[0:1], s[0:1], exec
	s_or_saveexec_b64 s[4:5], s[4:5]
	v_mov_b32_e32 v11, 0x7f800001
	s_xor_b64 exec, exec, s[4:5]
	s_cbranch_execnz .LBB324_1737
.LBB324_1709:
	s_or_b64 exec, exec, s[4:5]
	s_and_saveexec_b64 s[4:5], s[0:1]
	s_cbranch_execz .LBB324_1711
.LBB324_1710:
	v_and_b32_e32 v5, 0xffff, v5
	v_and_b32_e32 v10, 3, v5
	v_ffbh_u32_e32 v12, v10
	v_min_u32_e32 v12, 32, v12
	v_subrev_u32_e32 v13, 29, v12
	v_bfe_u32 v11, v5, 2, 5
	v_lshlrev_b32_e32 v5, v13, v5
	v_and_b32_e32 v5, 3, v5
	v_cmp_eq_u32_e32 vcc, 0, v11
	v_sub_u32_e32 v12, 30, v12
	v_cndmask_b32_e32 v5, v10, v5, vcc
	v_cndmask_b32_e32 v11, v11, v12, vcc
	v_lshlrev_b32_e32 v5, 21, v5
	v_lshl_or_b32 v5, v11, 23, v5
	v_add_u32_e32 v11, 0x37800000, v5
.LBB324_1711:
	s_or_b64 exec, exec, s[4:5]
	v_lshrrev_b32_e32 v5, 23, v11
	s_movk_i32 s0, 0xff
	v_cmp_ne_u32_e32 vcc, s0, v5
	v_mov_b32_e32 v10, 0xff
	s_and_saveexec_b64 s[4:5], vcc
; %bb.1712:
	v_and_b32_e32 v10, 0x400000, v11
	s_mov_b32 s0, 0x3fffff
	v_cmp_ne_u32_e32 vcc, 0, v10
	v_and_or_b32 v10, v11, s0, v5
	v_cmp_ne_u32_e64 s[0:1], 0, v10
	s_and_b64 s[0:1], vcc, s[0:1]
	v_cndmask_b32_e64 v10, 0, 1, s[0:1]
	v_add_u32_e32 v10, v5, v10
; %bb.1713:
	s_or_b64 exec, exec, s[4:5]
	s_mov_b64 s[0:1], 0
	s_branch .LBB324_1719
.LBB324_1714:
	s_mov_b64 s[4:5], -1
                                        ; implicit-def: $vgpr10
	s_branch .LBB324_1729
.LBB324_1715:
	s_or_saveexec_b64 s[14:15], s[14:15]
	v_mov_b32_e32 v11, 0x7f800001
	s_xor_b64 exec, exec, s[14:15]
	s_cbranch_execz .LBB324_1694
.LBB324_1716:
	v_cmp_ne_u16_e32 vcc, 0, v5
	s_andn2_b64 s[0:1], s[0:1], exec
	s_and_b64 s[16:17], vcc, exec
	v_and_b32_e32 v11, 0xffff, v5
	s_or_b64 s[0:1], s[0:1], s[16:17]
	s_or_b64 exec, exec, s[14:15]
	s_and_saveexec_b64 s[14:15], s[0:1]
	s_cbranch_execnz .LBB324_1695
	s_branch .LBB324_1696
.LBB324_1717:
	s_mov_b64 s[0:1], -1
                                        ; implicit-def: $vgpr10
	s_branch .LBB324_1724
.LBB324_1718:
	s_mov_b64 s[0:1], -1
                                        ; implicit-def: $vgpr10
.LBB324_1719:
	s_and_b64 vcc, exec, s[0:1]
	s_cbranch_vccz .LBB324_1723
; %bb.1720:
	global_load_ubyte v5, v[8:9], off
	s_mov_b32 s0, 0x7f800000
	s_movk_i32 s1, 0xff
	s_waitcnt vmcnt(0)
	v_lshlrev_b32_e32 v5, 24, v5
	v_and_b32_e32 v5, 0x7f000000, v5
	v_ffbh_u32_e32 v10, v5
	v_min_u32_e32 v10, 32, v10
	v_sub_u32_e64 v10, v10, 4 clamp
	v_lshlrev_b32_e32 v12, v10, v5
	v_lshlrev_b32_e32 v10, 23, v10
	v_lshrrev_b32_e32 v12, 4, v12
	v_add_u32_e32 v11, 0x1000000, v5
	v_sub_u32_e32 v10, v12, v10
	v_ashrrev_i32_e32 v11, 8, v11
	v_add_u32_e32 v10, 0x3c000000, v10
	v_and_or_b32 v10, v11, s0, v10
	v_cmp_ne_u32_e32 vcc, 0, v5
	v_cndmask_b32_e32 v11, 0, v10, vcc
	v_lshrrev_b32_e32 v5, 23, v11
	v_cmp_ne_u32_e32 vcc, s1, v5
	v_mov_b32_e32 v10, 0xff
	s_and_saveexec_b64 s[4:5], vcc
; %bb.1721:
	v_and_b32_e32 v10, 0x400000, v11
	s_mov_b32 s0, 0x3fffff
	v_cmp_ne_u32_e32 vcc, 0, v10
	v_and_or_b32 v10, v11, s0, v5
	v_cmp_ne_u32_e64 s[0:1], 0, v10
	s_and_b64 s[0:1], vcc, s[0:1]
	v_cndmask_b32_e64 v10, 0, 1, s[0:1]
	v_add_u32_e32 v10, v5, v10
; %bb.1722:
	s_or_b64 exec, exec, s[4:5]
.LBB324_1723:
	s_mov_b64 s[0:1], 0
.LBB324_1724:
	s_andn2_b64 vcc, exec, s[0:1]
	s_cbranch_vccnz .LBB324_1728
; %bb.1725:
	global_load_ubyte v5, v[8:9], off
	s_movk_i32 s0, 0x7f00
	s_brev_b32 s1, 16
	s_movk_i32 s4, 0xff
	s_waitcnt vmcnt(0)
	v_lshlrev_b32_e32 v10, 8, v5
	v_lshlrev_b32_e32 v5, 25, v5
	v_lshrrev_b32_e32 v11, 4, v5
	v_and_or_b32 v10, v10, s0, 0.5
	v_or_b32_e32 v11, 0x70000000, v11
	v_add_f32_e32 v10, -0.5, v10
	v_mul_f32_e32 v11, 0x7800000, v11
	v_cmp_gt_u32_e32 vcc, s1, v5
	v_cndmask_b32_e32 v5, v11, v10, vcc
	v_bfe_u32 v11, v5, 23, 8
	v_cmp_ne_u32_e32 vcc, s4, v11
	v_mov_b32_e32 v10, 0xff
	s_and_saveexec_b64 s[4:5], vcc
; %bb.1726:
	s_mov_b32 s0, 0x3fffff
	v_lshrrev_b32_e32 v10, 23, v5
	v_and_b32_e32 v12, 0x400000, v5
	v_and_or_b32 v5, v5, s0, v11
	v_cmp_ne_u32_e32 vcc, 0, v12
	v_cmp_ne_u32_e64 s[0:1], 0, v5
	s_and_b64 s[0:1], vcc, s[0:1]
	v_cndmask_b32_e64 v5, 0, 1, s[0:1]
	v_add_u32_e32 v10, v10, v5
; %bb.1727:
	s_or_b64 exec, exec, s[4:5]
.LBB324_1728:
	s_mov_b64 s[4:5], 0
	s_mov_b64 s[0:1], -1
.LBB324_1729:
	s_andn2_b64 vcc, exec, s[4:5]
	s_mov_b64 s[4:5], 0
	s_cbranch_vccnz .LBB324_1742
; %bb.1730:
	s_cmp_gt_i32 s19, 14
	s_cbranch_scc0 .LBB324_1735
; %bb.1731:
	s_cmp_eq_u32 s19, 15
	s_cbranch_scc0 .LBB324_1738
; %bb.1732:
	global_load_ushort v5, v[8:9], off
	s_movk_i32 s0, 0xff
	s_waitcnt vmcnt(1)
	v_mov_b32_e32 v10, 0xff
	s_waitcnt vmcnt(0)
	v_bfe_u32 v11, v5, 7, 8
	v_cmp_ne_u32_e32 vcc, s0, v11
	s_and_saveexec_b64 s[2:3], vcc
	s_cbranch_execz .LBB324_1734
; %bb.1733:
	v_lshrrev_b32_e32 v10, 7, v5
	v_lshlrev_b32_e32 v12, 16, v5
	v_and_b32_e32 v5, 64, v5
	s_mov_b32 s0, 0x3f0000
	v_cmp_ne_u32_e32 vcc, 0, v5
	v_and_or_b32 v5, v12, s0, v11
	v_cmp_ne_u32_e64 s[0:1], 0, v5
	s_and_b64 s[0:1], vcc, s[0:1]
	v_cndmask_b32_e64 v5, 0, 1, s[0:1]
	v_add_u32_e32 v10, v10, v5
.LBB324_1734:
	s_or_b64 exec, exec, s[2:3]
	s_mov_b64 s[2:3], 0
	s_mov_b64 s[0:1], -1
	s_branch .LBB324_1739
.LBB324_1735:
	s_mov_b64 s[14:15], -1
                                        ; implicit-def: $vgpr10
	s_branch .LBB324_1740
.LBB324_1736:
	s_or_saveexec_b64 s[4:5], s[4:5]
	v_mov_b32_e32 v11, 0x7f800001
	s_xor_b64 exec, exec, s[4:5]
	s_cbranch_execz .LBB324_1709
.LBB324_1737:
	v_cmp_ne_u16_e32 vcc, 0, v5
	s_andn2_b64 s[0:1], s[0:1], exec
	s_and_b64 s[14:15], vcc, exec
	v_and_b32_e32 v11, 0xffff, v5
	s_or_b64 s[0:1], s[0:1], s[14:15]
	s_or_b64 exec, exec, s[4:5]
	s_and_saveexec_b64 s[4:5], s[0:1]
	s_cbranch_execnz .LBB324_1710
	s_branch .LBB324_1711
.LBB324_1738:
	s_mov_b64 s[2:3], -1
                                        ; implicit-def: $vgpr10
.LBB324_1739:
	s_mov_b64 s[14:15], 0
.LBB324_1740:
	s_and_b64 vcc, exec, s[14:15]
	s_cbranch_vccz .LBB324_1742
; %bb.1741:
	s_cmp_lg_u32 s19, 11
	s_mov_b64 s[4:5], -1
	s_cselect_b64 s[2:3], -1, 0
.LBB324_1742:
	s_and_b64 vcc, exec, s[2:3]
	s_cbranch_vccnz .LBB324_1831
; %bb.1743:
	s_andn2_b64 vcc, exec, s[4:5]
	s_cbranch_vccnz .LBB324_1747
.LBB324_1744:
	global_load_ubyte v5, v[8:9], off
	s_movk_i32 s0, 0xff
	s_waitcnt vmcnt(1)
	v_mov_b32_e32 v10, 0xff
	s_waitcnt vmcnt(0)
	v_cmp_ne_u16_e32 vcc, 0, v5
	v_cndmask_b32_e64 v11, 0, 1.0, vcc
	v_lshrrev_b32_e32 v5, 23, v11
	v_cmp_ne_u32_e32 vcc, s0, v5
	s_and_saveexec_b64 s[2:3], vcc
; %bb.1745:
	v_and_b32_e32 v10, 0x400000, v11
	s_mov_b32 s0, 0x3fffff
	v_cmp_ne_u32_e32 vcc, 0, v10
	v_and_or_b32 v10, v11, s0, v5
	v_cmp_ne_u32_e64 s[0:1], 0, v10
	s_and_b64 s[0:1], vcc, s[0:1]
	v_cndmask_b32_e64 v10, 0, 1, s[0:1]
	v_add_u32_e32 v10, v5, v10
; %bb.1746:
	s_or_b64 exec, exec, s[2:3]
	s_mov_b64 s[0:1], -1
.LBB324_1747:
	s_branch .LBB324_1657
.LBB324_1748:
	s_and_b32 s4, 0xffff, s18
	s_cmp_lt_i32 s4, 5
	s_cbranch_scc1 .LBB324_1755
; %bb.1749:
	s_cmp_lt_i32 s4, 8
	s_cbranch_scc1 .LBB324_1756
; %bb.1750:
	;; [unrolled: 3-line block ×3, first 2 shown]
	s_cmp_gt_i32 s4, 9
	s_cbranch_scc0 .LBB324_1758
; %bb.1752:
	global_load_dwordx2 v[10:11], v[8:9], off
	s_movk_i32 s0, 0xff
	s_waitcnt vmcnt(0)
	v_cvt_f32_f64_e32 v5, v[10:11]
	v_mov_b32_e32 v10, 0xff
	v_bfe_u32 v11, v5, 23, 8
	v_cmp_ne_u32_e32 vcc, s0, v11
	s_and_saveexec_b64 s[2:3], vcc
; %bb.1753:
	s_mov_b32 s0, 0x3fffff
	v_lshrrev_b32_e32 v10, 23, v5
	v_and_b32_e32 v12, 0x400000, v5
	v_and_or_b32 v5, v5, s0, v11
	v_cmp_ne_u32_e32 vcc, 0, v12
	v_cmp_ne_u32_e64 s[0:1], 0, v5
	s_and_b64 s[0:1], vcc, s[0:1]
	v_cndmask_b32_e64 v5, 0, 1, s[0:1]
	v_add_u32_e32 v10, v10, v5
; %bb.1754:
	s_or_b64 exec, exec, s[2:3]
	s_mov_b64 s[0:1], 0
	s_branch .LBB324_1759
.LBB324_1755:
	s_mov_b64 s[0:1], -1
                                        ; implicit-def: $vgpr10
	s_branch .LBB324_1787
.LBB324_1756:
	s_mov_b64 s[0:1], -1
                                        ; implicit-def: $vgpr10
	s_branch .LBB324_1769
.LBB324_1757:
	s_mov_b64 s[0:1], -1
                                        ; implicit-def: $vgpr10
	s_branch .LBB324_1764
.LBB324_1758:
	s_mov_b64 s[0:1], -1
                                        ; implicit-def: $vgpr10
.LBB324_1759:
	s_andn2_b64 vcc, exec, s[0:1]
	s_cbranch_vccnz .LBB324_1763
; %bb.1760:
	global_load_dword v5, v[8:9], off
	s_movk_i32 s0, 0xff
	s_waitcnt vmcnt(1)
	v_mov_b32_e32 v10, 0xff
	s_waitcnt vmcnt(0)
	v_bfe_u32 v11, v5, 23, 8
	v_cmp_ne_u32_e32 vcc, s0, v11
	s_and_saveexec_b64 s[2:3], vcc
; %bb.1761:
	s_mov_b32 s0, 0x3fffff
	v_lshrrev_b32_e32 v10, 23, v5
	v_and_b32_e32 v12, 0x400000, v5
	v_and_or_b32 v5, v5, s0, v11
	v_cmp_ne_u32_e32 vcc, 0, v12
	v_cmp_ne_u32_e64 s[0:1], 0, v5
	s_and_b64 s[0:1], vcc, s[0:1]
	v_cndmask_b32_e64 v5, 0, 1, s[0:1]
	v_add_u32_e32 v10, v10, v5
; %bb.1762:
	s_or_b64 exec, exec, s[2:3]
.LBB324_1763:
	s_mov_b64 s[0:1], 0
.LBB324_1764:
	s_andn2_b64 vcc, exec, s[0:1]
	s_cbranch_vccnz .LBB324_1768
; %bb.1765:
	global_load_dword v5, v[8:9], off
	s_movk_i32 s0, 0xff
	s_waitcnt vmcnt(1)
	v_mov_b32_e32 v10, 0xff
	s_waitcnt vmcnt(0)
	v_cvt_f32_f16_e32 v5, v5
	v_bfe_u32 v11, v5, 23, 8
	v_cmp_ne_u32_e32 vcc, s0, v11
	s_and_saveexec_b64 s[2:3], vcc
; %bb.1766:
	s_mov_b32 s0, 0x3fffff
	v_lshrrev_b32_e32 v10, 23, v5
	v_and_b32_e32 v12, 0x400000, v5
	v_and_or_b32 v5, v5, s0, v11
	v_cmp_ne_u32_e32 vcc, 0, v12
	v_cmp_ne_u32_e64 s[0:1], 0, v5
	s_and_b64 s[0:1], vcc, s[0:1]
	v_cndmask_b32_e64 v5, 0, 1, s[0:1]
	v_add_u32_e32 v10, v10, v5
; %bb.1767:
	s_or_b64 exec, exec, s[2:3]
.LBB324_1768:
	s_mov_b64 s[0:1], 0
.LBB324_1769:
	s_andn2_b64 vcc, exec, s[0:1]
	s_cbranch_vccnz .LBB324_1786
; %bb.1770:
	s_cmp_lt_i32 s4, 6
	s_cbranch_scc1 .LBB324_1775
; %bb.1771:
	s_cmp_gt_i32 s4, 6
	s_cbranch_scc0 .LBB324_1776
; %bb.1772:
	global_load_dwordx2 v[10:11], v[8:9], off
	s_movk_i32 s0, 0xff
	s_waitcnt vmcnt(0)
	v_cvt_f32_f64_e32 v5, v[10:11]
	v_mov_b32_e32 v10, 0xff
	v_bfe_u32 v11, v5, 23, 8
	v_cmp_ne_u32_e32 vcc, s0, v11
	s_and_saveexec_b64 s[2:3], vcc
; %bb.1773:
	s_mov_b32 s0, 0x3fffff
	v_lshrrev_b32_e32 v10, 23, v5
	v_and_b32_e32 v12, 0x400000, v5
	v_and_or_b32 v5, v5, s0, v11
	v_cmp_ne_u32_e32 vcc, 0, v12
	v_cmp_ne_u32_e64 s[0:1], 0, v5
	s_and_b64 s[0:1], vcc, s[0:1]
	v_cndmask_b32_e64 v5, 0, 1, s[0:1]
	v_add_u32_e32 v10, v10, v5
; %bb.1774:
	s_or_b64 exec, exec, s[2:3]
	s_mov_b64 s[0:1], 0
	s_branch .LBB324_1777
.LBB324_1775:
	s_mov_b64 s[0:1], -1
                                        ; implicit-def: $vgpr10
	s_branch .LBB324_1782
.LBB324_1776:
	s_mov_b64 s[0:1], -1
                                        ; implicit-def: $vgpr10
.LBB324_1777:
	s_andn2_b64 vcc, exec, s[0:1]
	s_cbranch_vccnz .LBB324_1781
; %bb.1778:
	global_load_dword v5, v[8:9], off
	s_movk_i32 s0, 0xff
	s_waitcnt vmcnt(1)
	v_mov_b32_e32 v10, 0xff
	s_waitcnt vmcnt(0)
	v_bfe_u32 v11, v5, 23, 8
	v_cmp_ne_u32_e32 vcc, s0, v11
	s_and_saveexec_b64 s[2:3], vcc
; %bb.1779:
	s_mov_b32 s0, 0x3fffff
	v_lshrrev_b32_e32 v10, 23, v5
	v_and_b32_e32 v12, 0x400000, v5
	v_and_or_b32 v5, v5, s0, v11
	v_cmp_ne_u32_e32 vcc, 0, v12
	v_cmp_ne_u32_e64 s[0:1], 0, v5
	s_and_b64 s[0:1], vcc, s[0:1]
	v_cndmask_b32_e64 v5, 0, 1, s[0:1]
	v_add_u32_e32 v10, v10, v5
; %bb.1780:
	s_or_b64 exec, exec, s[2:3]
.LBB324_1781:
	s_mov_b64 s[0:1], 0
.LBB324_1782:
	s_andn2_b64 vcc, exec, s[0:1]
	s_cbranch_vccnz .LBB324_1786
; %bb.1783:
	global_load_ushort v5, v[8:9], off
	s_movk_i32 s0, 0xff
	s_waitcnt vmcnt(1)
	v_mov_b32_e32 v10, 0xff
	s_waitcnt vmcnt(0)
	v_cvt_f32_f16_e32 v5, v5
	v_bfe_u32 v11, v5, 23, 8
	v_cmp_ne_u32_e32 vcc, s0, v11
	s_and_saveexec_b64 s[2:3], vcc
; %bb.1784:
	s_mov_b32 s0, 0x3fffff
	v_lshrrev_b32_e32 v10, 23, v5
	v_and_b32_e32 v12, 0x400000, v5
	v_and_or_b32 v5, v5, s0, v11
	v_cmp_ne_u32_e32 vcc, 0, v12
	v_cmp_ne_u32_e64 s[0:1], 0, v5
	s_and_b64 s[0:1], vcc, s[0:1]
	v_cndmask_b32_e64 v5, 0, 1, s[0:1]
	v_add_u32_e32 v10, v10, v5
; %bb.1785:
	s_or_b64 exec, exec, s[2:3]
.LBB324_1786:
	s_mov_b64 s[0:1], 0
.LBB324_1787:
	s_andn2_b64 vcc, exec, s[0:1]
	s_cbranch_vccnz .LBB324_1817
; %bb.1788:
	s_cmp_lt_i32 s4, 2
	s_cbranch_scc1 .LBB324_1794
; %bb.1789:
	s_cmp_lt_i32 s4, 3
	s_cbranch_scc1 .LBB324_1795
; %bb.1790:
	s_cmp_gt_i32 s4, 3
	s_cbranch_scc0 .LBB324_1796
; %bb.1791:
	global_load_dwordx2 v[10:11], v[8:9], off
	s_movk_i32 s0, 0xff
	s_waitcnt vmcnt(0)
	v_xor_b32_e32 v12, v10, v11
	v_ffbh_i32_e32 v5, v11
	v_ashrrev_i32_e32 v12, 31, v12
	v_add_u32_e32 v5, -1, v5
	v_add_u32_e32 v12, 32, v12
	v_min_u32_e32 v5, v5, v12
	v_lshlrev_b64 v[10:11], v5, v[10:11]
	v_sub_u32_e32 v5, 32, v5
	v_min_u32_e32 v10, 1, v10
	v_or_b32_e32 v10, v11, v10
	v_cvt_f32_i32_e32 v10, v10
	v_ldexp_f32 v5, v10, v5
	v_bfe_u32 v11, v5, 23, 8
	v_cmp_ne_u32_e32 vcc, s0, v11
	v_mov_b32_e32 v10, 0xff
	s_and_saveexec_b64 s[2:3], vcc
; %bb.1792:
	s_mov_b32 s0, 0x3fffff
	v_lshrrev_b32_e32 v10, 23, v5
	v_and_b32_e32 v12, 0x400000, v5
	v_and_or_b32 v5, v5, s0, v11
	v_cmp_ne_u32_e32 vcc, 0, v12
	v_cmp_ne_u32_e64 s[0:1], 0, v5
	s_and_b64 s[0:1], vcc, s[0:1]
	v_cndmask_b32_e64 v5, 0, 1, s[0:1]
	v_add_u32_e32 v10, v10, v5
; %bb.1793:
	s_or_b64 exec, exec, s[2:3]
	s_mov_b64 s[0:1], 0
	s_branch .LBB324_1797
.LBB324_1794:
	s_mov_b64 s[0:1], -1
                                        ; implicit-def: $vgpr10
	s_branch .LBB324_1807
.LBB324_1795:
	s_mov_b64 s[0:1], -1
                                        ; implicit-def: $vgpr10
	s_branch .LBB324_1802
.LBB324_1796:
	s_mov_b64 s[0:1], -1
                                        ; implicit-def: $vgpr10
.LBB324_1797:
	s_andn2_b64 vcc, exec, s[0:1]
	s_cbranch_vccnz .LBB324_1801
; %bb.1798:
	global_load_dword v5, v[8:9], off
	s_movk_i32 s0, 0xff
	s_waitcnt vmcnt(1)
	v_mov_b32_e32 v10, 0xff
	s_waitcnt vmcnt(0)
	v_cvt_f32_i32_e32 v5, v5
	v_bfe_u32 v11, v5, 23, 8
	v_cmp_ne_u32_e32 vcc, s0, v11
	s_and_saveexec_b64 s[2:3], vcc
; %bb.1799:
	s_mov_b32 s0, 0x3fffff
	v_lshrrev_b32_e32 v10, 23, v5
	v_and_b32_e32 v12, 0x400000, v5
	v_and_or_b32 v5, v5, s0, v11
	v_cmp_ne_u32_e32 vcc, 0, v12
	v_cmp_ne_u32_e64 s[0:1], 0, v5
	s_and_b64 s[0:1], vcc, s[0:1]
	v_cndmask_b32_e64 v5, 0, 1, s[0:1]
	v_add_u32_e32 v10, v10, v5
; %bb.1800:
	s_or_b64 exec, exec, s[2:3]
.LBB324_1801:
	s_mov_b64 s[0:1], 0
.LBB324_1802:
	s_andn2_b64 vcc, exec, s[0:1]
	s_cbranch_vccnz .LBB324_1806
; %bb.1803:
	global_load_sshort v5, v[8:9], off
	s_movk_i32 s0, 0xff
	s_waitcnt vmcnt(1)
	v_mov_b32_e32 v10, 0xff
	s_waitcnt vmcnt(0)
	v_cvt_f32_i32_e32 v5, v5
	v_bfe_u32 v11, v5, 23, 8
	v_cmp_ne_u32_e32 vcc, s0, v11
	s_and_saveexec_b64 s[2:3], vcc
; %bb.1804:
	s_mov_b32 s0, 0x3fffff
	v_lshrrev_b32_e32 v10, 23, v5
	v_and_b32_e32 v12, 0x400000, v5
	v_and_or_b32 v5, v5, s0, v11
	v_cmp_ne_u32_e32 vcc, 0, v12
	v_cmp_ne_u32_e64 s[0:1], 0, v5
	s_and_b64 s[0:1], vcc, s[0:1]
	v_cndmask_b32_e64 v5, 0, 1, s[0:1]
	v_add_u32_e32 v10, v10, v5
; %bb.1805:
	s_or_b64 exec, exec, s[2:3]
.LBB324_1806:
	s_mov_b64 s[0:1], 0
.LBB324_1807:
	s_andn2_b64 vcc, exec, s[0:1]
	s_cbranch_vccnz .LBB324_1817
; %bb.1808:
	s_cmp_gt_i32 s4, 0
	s_cbranch_scc0 .LBB324_1812
; %bb.1809:
	global_load_sbyte v5, v[8:9], off
	s_movk_i32 s0, 0xff
	s_waitcnt vmcnt(1)
	v_mov_b32_e32 v10, 0xff
	s_waitcnt vmcnt(0)
	v_cvt_f32_i32_e32 v5, v5
	v_bfe_u32 v11, v5, 23, 8
	v_cmp_ne_u32_e32 vcc, s0, v11
	s_and_saveexec_b64 s[2:3], vcc
; %bb.1810:
	s_mov_b32 s0, 0x3fffff
	v_lshrrev_b32_e32 v10, 23, v5
	v_and_b32_e32 v12, 0x400000, v5
	v_and_or_b32 v5, v5, s0, v11
	v_cmp_ne_u32_e32 vcc, 0, v12
	v_cmp_ne_u32_e64 s[0:1], 0, v5
	s_and_b64 s[0:1], vcc, s[0:1]
	v_cndmask_b32_e64 v5, 0, 1, s[0:1]
	v_add_u32_e32 v10, v10, v5
; %bb.1811:
	s_or_b64 exec, exec, s[2:3]
	s_mov_b64 s[0:1], 0
	s_branch .LBB324_1813
.LBB324_1812:
	s_mov_b64 s[0:1], -1
                                        ; implicit-def: $vgpr10
.LBB324_1813:
	s_andn2_b64 vcc, exec, s[0:1]
	s_cbranch_vccnz .LBB324_1817
; %bb.1814:
	global_load_ubyte v5, v[8:9], off
	s_movk_i32 s0, 0xff
	s_waitcnt vmcnt(1)
	v_mov_b32_e32 v10, 0xff
	s_waitcnt vmcnt(0)
	v_cvt_f32_ubyte0_e32 v8, v5
	v_lshrrev_b32_e32 v5, 23, v8
	v_cmp_ne_u32_e32 vcc, s0, v5
	s_and_saveexec_b64 s[2:3], vcc
; %bb.1815:
	s_mov_b32 s0, 0x3fffff
	v_and_b32_e32 v9, 0x400000, v8
	v_and_or_b32 v8, v8, s0, v5
	v_cmp_ne_u32_e32 vcc, 0, v9
	v_cmp_ne_u32_e64 s[0:1], 0, v8
	s_and_b64 s[0:1], vcc, s[0:1]
	v_cndmask_b32_e64 v8, 0, 1, s[0:1]
	v_add_u32_e32 v10, v5, v8
; %bb.1816:
	s_or_b64 exec, exec, s[2:3]
.LBB324_1817:
.LBB324_1818:
	v_mov_b32_e32 v5, s11
	v_add_co_u32_e32 v7, vcc, s10, v7
	s_cmp_lt_i32 s18, 11
	v_addc_co_u32_e32 v8, vcc, 0, v5, vcc
	s_cbranch_scc1 .LBB324_1827
; %bb.1819:
	s_and_b32 s16, 0xffff, s18
	s_cmp_gt_i32 s16, 25
	s_mov_b64 s[4:5], 0
	s_cbranch_scc0 .LBB324_1828
; %bb.1820:
	s_cmp_gt_i32 s16, 28
	s_cbranch_scc0 .LBB324_1829
; %bb.1821:
	s_cmp_gt_i32 s16, 43
	;; [unrolled: 3-line block ×3, first 2 shown]
	s_cbranch_scc0 .LBB324_1832
; %bb.1823:
	s_cmp_eq_u32 s16, 46
	s_mov_b64 s[10:11], 0
	s_cbranch_scc0 .LBB324_1833
; %bb.1824:
	global_load_dword v5, v[7:8], off
	s_movk_i32 s0, 0xff
	v_mov_b32_e32 v9, 0xff
	s_waitcnt vmcnt(0)
	v_lshlrev_b32_e32 v11, 16, v5
	v_bfe_u32 v12, v11, 23, 8
	v_cmp_ne_u32_e32 vcc, s0, v12
	s_and_saveexec_b64 s[2:3], vcc
; %bb.1825:
	v_bfe_u32 v9, v5, 7, 9
	v_and_b32_e32 v5, 64, v5
	s_mov_b32 s0, 0x3f0000
	v_cmp_ne_u32_e32 vcc, 0, v5
	v_and_or_b32 v5, v11, s0, v12
	v_cmp_ne_u32_e64 s[0:1], 0, v5
	s_and_b64 s[0:1], vcc, s[0:1]
	v_cndmask_b32_e64 v5, 0, 1, s[0:1]
	v_add_u32_e32 v9, v9, v5
; %bb.1826:
	s_or_b64 exec, exec, s[2:3]
	s_mov_b64 s[2:3], 0
	s_mov_b64 s[0:1], -1
	s_branch .LBB324_1834
.LBB324_1827:
	s_mov_b64 s[2:3], -1
	s_mov_b64 s[0:1], 0
                                        ; implicit-def: $vgpr9
	s_branch .LBB324_1918
.LBB324_1828:
	s_mov_b64 s[10:11], -1
	s_mov_b64 s[0:1], 0
	s_mov_b64 s[2:3], 0
                                        ; implicit-def: $vgpr9
	s_branch .LBB324_1871
.LBB324_1829:
	s_mov_b64 s[10:11], -1
	s_mov_b64 s[0:1], 0
	s_mov_b64 s[2:3], 0
                                        ; implicit-def: $vgpr9
	s_branch .LBB324_1846
.LBB324_1830:
	s_mov_b64 s[10:11], -1
	s_mov_b64 s[0:1], 0
	s_mov_b64 s[2:3], 0
                                        ; implicit-def: $vgpr9
	s_branch .LBB324_1839
.LBB324_1831:
	s_trap 2
	s_or_b64 s[12:13], s[12:13], exec
	s_cbranch_execz .LBB324_1744
	s_branch .LBB324_1747
.LBB324_1832:
	s_mov_b64 s[10:11], -1
	s_mov_b64 s[0:1], 0
	s_mov_b64 s[2:3], 0
                                        ; implicit-def: $vgpr9
	s_branch .LBB324_1834
.LBB324_1833:
	s_mov_b64 s[2:3], -1
                                        ; implicit-def: $vgpr9
	s_mov_b64 s[0:1], 0
.LBB324_1834:
	s_and_b64 vcc, exec, s[10:11]
	s_cbranch_vccz .LBB324_1838
; %bb.1835:
	s_cmp_eq_u32 s16, 44
	s_cbranch_scc0 .LBB324_1837
; %bb.1836:
	global_load_ubyte v9, v[7:8], off
	s_mov_b64 s[2:3], 0
	s_mov_b64 s[0:1], -1
	s_branch .LBB324_1838
.LBB324_1837:
	s_mov_b64 s[2:3], -1
                                        ; implicit-def: $vgpr9
.LBB324_1838:
	s_mov_b64 s[10:11], 0
.LBB324_1839:
	s_and_b64 vcc, exec, s[10:11]
	s_cbranch_vccz .LBB324_1845
; %bb.1840:
	s_cmp_eq_u32 s16, 29
	s_cbranch_scc0 .LBB324_1844
; %bb.1841:
	global_load_dwordx2 v[11:12], v[7:8], off
	s_movk_i32 s0, 0xff
	s_waitcnt vmcnt(0)
	v_ffbh_u32_e32 v5, v12
	v_min_u32_e32 v5, 32, v5
	v_lshlrev_b64 v[11:12], v5, v[11:12]
	v_sub_u32_e32 v5, 32, v5
	v_min_u32_e32 v9, 1, v11
	v_or_b32_e32 v9, v12, v9
	v_cvt_f32_u32_e32 v9, v9
	v_ldexp_f32 v11, v9, v5
	v_lshrrev_b32_e32 v5, 23, v11
	v_cmp_ne_u32_e32 vcc, s0, v5
	v_mov_b32_e32 v9, 0xff
	s_and_saveexec_b64 s[2:3], vcc
; %bb.1842:
	v_and_b32_e32 v9, 0x400000, v11
	s_mov_b32 s0, 0x3fffff
	v_cmp_ne_u32_e32 vcc, 0, v9
	v_and_or_b32 v9, v11, s0, v5
	v_cmp_ne_u32_e64 s[0:1], 0, v9
	s_and_b64 s[0:1], vcc, s[0:1]
	v_cndmask_b32_e64 v9, 0, 1, s[0:1]
	v_add_u32_e32 v9, v5, v9
; %bb.1843:
	s_or_b64 exec, exec, s[2:3]
	s_mov_b64 s[2:3], 0
	s_mov_b64 s[0:1], -1
	s_branch .LBB324_1845
.LBB324_1844:
	s_mov_b64 s[2:3], -1
                                        ; implicit-def: $vgpr9
.LBB324_1845:
	s_mov_b64 s[10:11], 0
.LBB324_1846:
	s_and_b64 vcc, exec, s[10:11]
	s_cbranch_vccz .LBB324_1870
; %bb.1847:
	s_cmp_lt_i32 s16, 27
	s_cbranch_scc1 .LBB324_1852
; %bb.1848:
	s_cmp_gt_i32 s16, 27
	s_cbranch_scc0 .LBB324_1853
; %bb.1849:
	global_load_dword v5, v[7:8], off
	s_movk_i32 s0, 0xff
	s_waitcnt vmcnt(1)
	v_mov_b32_e32 v9, 0xff
	s_waitcnt vmcnt(0)
	v_cvt_f32_u32_e32 v11, v5
	v_lshrrev_b32_e32 v5, 23, v11
	v_cmp_ne_u32_e32 vcc, s0, v5
	s_and_saveexec_b64 s[10:11], vcc
; %bb.1850:
	v_and_b32_e32 v9, 0x400000, v11
	s_mov_b32 s0, 0x3fffff
	v_cmp_ne_u32_e32 vcc, 0, v9
	v_and_or_b32 v9, v11, s0, v5
	v_cmp_ne_u32_e64 s[0:1], 0, v9
	s_and_b64 s[0:1], vcc, s[0:1]
	v_cndmask_b32_e64 v9, 0, 1, s[0:1]
	v_add_u32_e32 v9, v5, v9
; %bb.1851:
	s_or_b64 exec, exec, s[10:11]
	s_mov_b64 s[0:1], 0
	s_branch .LBB324_1854
.LBB324_1852:
	s_mov_b64 s[0:1], -1
                                        ; implicit-def: $vgpr9
	s_branch .LBB324_1859
.LBB324_1853:
	s_mov_b64 s[0:1], -1
                                        ; implicit-def: $vgpr9
.LBB324_1854:
	s_andn2_b64 vcc, exec, s[0:1]
	s_cbranch_vccnz .LBB324_1858
; %bb.1855:
	global_load_ushort v5, v[7:8], off
	s_movk_i32 s0, 0xff
	s_waitcnt vmcnt(1)
	v_mov_b32_e32 v9, 0xff
	s_waitcnt vmcnt(0)
	v_cvt_f32_u32_e32 v11, v5
	v_lshrrev_b32_e32 v5, 23, v11
	v_cmp_ne_u32_e32 vcc, s0, v5
	s_and_saveexec_b64 s[10:11], vcc
; %bb.1856:
	v_and_b32_e32 v9, 0x400000, v11
	s_mov_b32 s0, 0x3fffff
	v_cmp_ne_u32_e32 vcc, 0, v9
	v_and_or_b32 v9, v11, s0, v5
	v_cmp_ne_u32_e64 s[0:1], 0, v9
	s_and_b64 s[0:1], vcc, s[0:1]
	v_cndmask_b32_e64 v9, 0, 1, s[0:1]
	v_add_u32_e32 v9, v5, v9
; %bb.1857:
	s_or_b64 exec, exec, s[10:11]
.LBB324_1858:
	s_mov_b64 s[0:1], 0
.LBB324_1859:
	s_andn2_b64 vcc, exec, s[0:1]
	s_cbranch_vccnz .LBB324_1869
; %bb.1860:
	global_load_ubyte v5, v[7:8], off
	s_movk_i32 s0, 0x7f
	s_waitcnt vmcnt(0)
	v_cmp_lt_i16_e32 vcc, s0, v5
	s_mov_b64 s[0:1], 0
	s_and_saveexec_b64 s[10:11], vcc
	s_xor_b64 s[10:11], exec, s[10:11]
	s_cbranch_execz .LBB324_1885
; %bb.1861:
	s_movk_i32 s0, 0x80
	v_cmp_eq_u16_e32 vcc, s0, v5
	s_mov_b64 s[0:1], -1
	s_and_saveexec_b64 s[14:15], vcc
; %bb.1862:
	s_xor_b64 s[0:1], exec, -1
; %bb.1863:
	s_or_b64 exec, exec, s[14:15]
	s_and_b64 s[0:1], s[0:1], exec
	s_or_saveexec_b64 s[10:11], s[10:11]
	v_mov_b32_e32 v11, 0x7f800001
	s_xor_b64 exec, exec, s[10:11]
	s_cbranch_execnz .LBB324_1886
.LBB324_1864:
	s_or_b64 exec, exec, s[10:11]
	s_and_saveexec_b64 s[10:11], s[0:1]
	s_cbranch_execz .LBB324_1866
.LBB324_1865:
	v_and_b32_e32 v5, 0xffff, v5
	v_and_b32_e32 v9, 7, v5
	v_ffbh_u32_e32 v12, v9
	v_min_u32_e32 v12, 32, v12
	v_subrev_u32_e32 v13, 28, v12
	v_bfe_u32 v11, v5, 3, 4
	v_lshlrev_b32_e32 v5, v13, v5
	v_and_b32_e32 v5, 7, v5
	v_cmp_eq_u32_e32 vcc, 0, v11
	v_sub_u32_e32 v12, 29, v12
	v_cndmask_b32_e32 v5, v9, v5, vcc
	v_cndmask_b32_e32 v11, v11, v12, vcc
	v_lshlrev_b32_e32 v5, 20, v5
	v_lshl_or_b32 v5, v11, 23, v5
	v_add_u32_e32 v11, 0x3b800000, v5
.LBB324_1866:
	s_or_b64 exec, exec, s[10:11]
	v_lshrrev_b32_e32 v5, 23, v11
	s_movk_i32 s0, 0xff
	v_cmp_ne_u32_e32 vcc, s0, v5
	v_mov_b32_e32 v9, 0xff
	s_and_saveexec_b64 s[10:11], vcc
; %bb.1867:
	v_and_b32_e32 v9, 0x400000, v11
	s_mov_b32 s0, 0x3fffff
	v_cmp_ne_u32_e32 vcc, 0, v9
	v_and_or_b32 v9, v11, s0, v5
	v_cmp_ne_u32_e64 s[0:1], 0, v9
	s_and_b64 s[0:1], vcc, s[0:1]
	v_cndmask_b32_e64 v9, 0, 1, s[0:1]
	v_add_u32_e32 v9, v5, v9
; %bb.1868:
	s_or_b64 exec, exec, s[10:11]
.LBB324_1869:
	s_mov_b64 s[0:1], -1
.LBB324_1870:
	s_mov_b64 s[10:11], 0
.LBB324_1871:
	s_and_b64 vcc, exec, s[10:11]
	s_cbranch_vccz .LBB324_1912
; %bb.1872:
	s_cmp_gt_i32 s16, 22
	s_cbranch_scc0 .LBB324_1884
; %bb.1873:
	s_cmp_lt_i32 s16, 24
	s_cbranch_scc1 .LBB324_1887
; %bb.1874:
	s_cmp_gt_i32 s16, 24
	s_cbranch_scc0 .LBB324_1888
; %bb.1875:
	global_load_ubyte v5, v[7:8], off
	s_movk_i32 s0, 0x7f
	s_waitcnt vmcnt(0)
	v_cmp_lt_i16_e32 vcc, s0, v5
	s_mov_b64 s[0:1], 0
	s_and_saveexec_b64 s[4:5], vcc
	s_xor_b64 s[4:5], exec, s[4:5]
	s_cbranch_execz .LBB324_1906
; %bb.1876:
	s_movk_i32 s0, 0x80
	v_cmp_eq_u16_e32 vcc, s0, v5
	s_mov_b64 s[0:1], -1
	s_and_saveexec_b64 s[10:11], vcc
; %bb.1877:
	s_xor_b64 s[0:1], exec, -1
; %bb.1878:
	s_or_b64 exec, exec, s[10:11]
	s_and_b64 s[0:1], s[0:1], exec
	s_or_saveexec_b64 s[4:5], s[4:5]
	v_mov_b32_e32 v11, 0x7f800001
	s_xor_b64 exec, exec, s[4:5]
	s_cbranch_execnz .LBB324_1907
.LBB324_1879:
	s_or_b64 exec, exec, s[4:5]
	s_and_saveexec_b64 s[4:5], s[0:1]
	s_cbranch_execz .LBB324_1881
.LBB324_1880:
	v_and_b32_e32 v5, 0xffff, v5
	v_and_b32_e32 v9, 3, v5
	v_ffbh_u32_e32 v12, v9
	v_min_u32_e32 v12, 32, v12
	v_subrev_u32_e32 v13, 29, v12
	v_bfe_u32 v11, v5, 2, 5
	v_lshlrev_b32_e32 v5, v13, v5
	v_and_b32_e32 v5, 3, v5
	v_cmp_eq_u32_e32 vcc, 0, v11
	v_sub_u32_e32 v12, 30, v12
	v_cndmask_b32_e32 v5, v9, v5, vcc
	v_cndmask_b32_e32 v11, v11, v12, vcc
	v_lshlrev_b32_e32 v5, 21, v5
	v_lshl_or_b32 v5, v11, 23, v5
	v_add_u32_e32 v11, 0x37800000, v5
.LBB324_1881:
	s_or_b64 exec, exec, s[4:5]
	v_lshrrev_b32_e32 v5, 23, v11
	s_movk_i32 s0, 0xff
	v_cmp_ne_u32_e32 vcc, s0, v5
	v_mov_b32_e32 v9, 0xff
	s_and_saveexec_b64 s[4:5], vcc
; %bb.1882:
	v_and_b32_e32 v9, 0x400000, v11
	s_mov_b32 s0, 0x3fffff
	v_cmp_ne_u32_e32 vcc, 0, v9
	v_and_or_b32 v9, v11, s0, v5
	v_cmp_ne_u32_e64 s[0:1], 0, v9
	s_and_b64 s[0:1], vcc, s[0:1]
	v_cndmask_b32_e64 v9, 0, 1, s[0:1]
	v_add_u32_e32 v9, v5, v9
; %bb.1883:
	s_or_b64 exec, exec, s[4:5]
	s_mov_b64 s[0:1], 0
	s_branch .LBB324_1889
.LBB324_1884:
	s_mov_b64 s[4:5], -1
                                        ; implicit-def: $vgpr9
	s_branch .LBB324_1899
.LBB324_1885:
	s_or_saveexec_b64 s[10:11], s[10:11]
	v_mov_b32_e32 v11, 0x7f800001
	s_xor_b64 exec, exec, s[10:11]
	s_cbranch_execz .LBB324_1864
.LBB324_1886:
	v_cmp_ne_u16_e32 vcc, 0, v5
	s_andn2_b64 s[0:1], s[0:1], exec
	s_and_b64 s[14:15], vcc, exec
	v_and_b32_e32 v11, 0xffff, v5
	s_or_b64 s[0:1], s[0:1], s[14:15]
	s_or_b64 exec, exec, s[10:11]
	s_and_saveexec_b64 s[10:11], s[0:1]
	s_cbranch_execnz .LBB324_1865
	s_branch .LBB324_1866
.LBB324_1887:
	s_mov_b64 s[0:1], -1
                                        ; implicit-def: $vgpr9
	s_branch .LBB324_1894
.LBB324_1888:
	s_mov_b64 s[0:1], -1
                                        ; implicit-def: $vgpr9
.LBB324_1889:
	s_and_b64 vcc, exec, s[0:1]
	s_cbranch_vccz .LBB324_1893
; %bb.1890:
	global_load_ubyte v5, v[7:8], off
	s_mov_b32 s0, 0x7f800000
	s_movk_i32 s1, 0xff
	s_waitcnt vmcnt(0)
	v_lshlrev_b32_e32 v5, 24, v5
	v_and_b32_e32 v5, 0x7f000000, v5
	v_ffbh_u32_e32 v9, v5
	v_min_u32_e32 v9, 32, v9
	v_sub_u32_e64 v9, v9, 4 clamp
	v_lshlrev_b32_e32 v12, v9, v5
	v_lshlrev_b32_e32 v9, 23, v9
	v_lshrrev_b32_e32 v12, 4, v12
	v_add_u32_e32 v11, 0x1000000, v5
	v_sub_u32_e32 v9, v12, v9
	v_ashrrev_i32_e32 v11, 8, v11
	v_add_u32_e32 v9, 0x3c000000, v9
	v_and_or_b32 v9, v11, s0, v9
	v_cmp_ne_u32_e32 vcc, 0, v5
	v_cndmask_b32_e32 v11, 0, v9, vcc
	v_lshrrev_b32_e32 v5, 23, v11
	v_cmp_ne_u32_e32 vcc, s1, v5
	v_mov_b32_e32 v9, 0xff
	s_and_saveexec_b64 s[4:5], vcc
; %bb.1891:
	v_and_b32_e32 v9, 0x400000, v11
	s_mov_b32 s0, 0x3fffff
	v_cmp_ne_u32_e32 vcc, 0, v9
	v_and_or_b32 v9, v11, s0, v5
	v_cmp_ne_u32_e64 s[0:1], 0, v9
	s_and_b64 s[0:1], vcc, s[0:1]
	v_cndmask_b32_e64 v9, 0, 1, s[0:1]
	v_add_u32_e32 v9, v5, v9
; %bb.1892:
	s_or_b64 exec, exec, s[4:5]
.LBB324_1893:
	s_mov_b64 s[0:1], 0
.LBB324_1894:
	s_andn2_b64 vcc, exec, s[0:1]
	s_cbranch_vccnz .LBB324_1898
; %bb.1895:
	global_load_ubyte v5, v[7:8], off
	s_movk_i32 s0, 0x7f00
	s_brev_b32 s1, 16
	s_movk_i32 s4, 0xff
	s_waitcnt vmcnt(0)
	v_lshlrev_b32_e32 v9, 8, v5
	v_lshlrev_b32_e32 v5, 25, v5
	v_lshrrev_b32_e32 v11, 4, v5
	v_and_or_b32 v9, v9, s0, 0.5
	v_or_b32_e32 v11, 0x70000000, v11
	v_add_f32_e32 v9, -0.5, v9
	v_mul_f32_e32 v11, 0x7800000, v11
	v_cmp_gt_u32_e32 vcc, s1, v5
	v_cndmask_b32_e32 v5, v11, v9, vcc
	v_bfe_u32 v11, v5, 23, 8
	v_cmp_ne_u32_e32 vcc, s4, v11
	v_mov_b32_e32 v9, 0xff
	s_and_saveexec_b64 s[4:5], vcc
; %bb.1896:
	s_mov_b32 s0, 0x3fffff
	v_lshrrev_b32_e32 v9, 23, v5
	v_and_b32_e32 v12, 0x400000, v5
	v_and_or_b32 v5, v5, s0, v11
	v_cmp_ne_u32_e32 vcc, 0, v12
	v_cmp_ne_u32_e64 s[0:1], 0, v5
	s_and_b64 s[0:1], vcc, s[0:1]
	v_cndmask_b32_e64 v5, 0, 1, s[0:1]
	v_add_u32_e32 v9, v9, v5
; %bb.1897:
	s_or_b64 exec, exec, s[4:5]
.LBB324_1898:
	s_mov_b64 s[4:5], 0
	s_mov_b64 s[0:1], -1
.LBB324_1899:
	s_andn2_b64 vcc, exec, s[4:5]
	s_mov_b64 s[4:5], 0
	s_cbranch_vccnz .LBB324_1912
; %bb.1900:
	s_cmp_gt_i32 s16, 14
	s_cbranch_scc0 .LBB324_1905
; %bb.1901:
	s_cmp_eq_u32 s16, 15
	s_cbranch_scc0 .LBB324_1908
; %bb.1902:
	global_load_ushort v5, v[7:8], off
	s_movk_i32 s0, 0xff
	s_waitcnt vmcnt(1)
	v_mov_b32_e32 v9, 0xff
	s_waitcnt vmcnt(0)
	v_bfe_u32 v11, v5, 7, 8
	v_cmp_ne_u32_e32 vcc, s0, v11
	s_and_saveexec_b64 s[2:3], vcc
	s_cbranch_execz .LBB324_1904
; %bb.1903:
	v_lshrrev_b32_e32 v9, 7, v5
	v_lshlrev_b32_e32 v12, 16, v5
	v_and_b32_e32 v5, 64, v5
	s_mov_b32 s0, 0x3f0000
	v_cmp_ne_u32_e32 vcc, 0, v5
	v_and_or_b32 v5, v12, s0, v11
	v_cmp_ne_u32_e64 s[0:1], 0, v5
	s_and_b64 s[0:1], vcc, s[0:1]
	v_cndmask_b32_e64 v5, 0, 1, s[0:1]
	v_add_u32_e32 v9, v9, v5
.LBB324_1904:
	s_or_b64 exec, exec, s[2:3]
	s_mov_b64 s[2:3], 0
	s_mov_b64 s[0:1], -1
	s_branch .LBB324_1909
.LBB324_1905:
	s_mov_b64 s[10:11], -1
                                        ; implicit-def: $vgpr9
	s_branch .LBB324_1910
.LBB324_1906:
	s_or_saveexec_b64 s[4:5], s[4:5]
	v_mov_b32_e32 v11, 0x7f800001
	s_xor_b64 exec, exec, s[4:5]
	s_cbranch_execz .LBB324_1879
.LBB324_1907:
	v_cmp_ne_u16_e32 vcc, 0, v5
	s_andn2_b64 s[0:1], s[0:1], exec
	s_and_b64 s[10:11], vcc, exec
	v_and_b32_e32 v11, 0xffff, v5
	s_or_b64 s[0:1], s[0:1], s[10:11]
	s_or_b64 exec, exec, s[4:5]
	s_and_saveexec_b64 s[4:5], s[0:1]
	s_cbranch_execnz .LBB324_1880
	s_branch .LBB324_1881
.LBB324_1908:
	s_mov_b64 s[2:3], -1
                                        ; implicit-def: $vgpr9
.LBB324_1909:
	s_mov_b64 s[10:11], 0
.LBB324_1910:
	s_and_b64 vcc, exec, s[10:11]
	s_cbranch_vccz .LBB324_1912
; %bb.1911:
	s_cmp_lg_u32 s16, 11
	s_mov_b64 s[4:5], -1
	s_cselect_b64 s[2:3], -1, 0
.LBB324_1912:
	s_and_b64 vcc, exec, s[2:3]
	s_cbranch_vccnz .LBB324_2469
; %bb.1913:
	s_andn2_b64 vcc, exec, s[4:5]
	s_cbranch_vccnz .LBB324_1917
.LBB324_1914:
	global_load_ubyte v5, v[7:8], off
	s_movk_i32 s0, 0xff
	s_waitcnt vmcnt(1)
	v_mov_b32_e32 v9, 0xff
	s_waitcnt vmcnt(0)
	v_cmp_ne_u16_e32 vcc, 0, v5
	v_cndmask_b32_e64 v11, 0, 1.0, vcc
	v_lshrrev_b32_e32 v5, 23, v11
	v_cmp_ne_u32_e32 vcc, s0, v5
	s_and_saveexec_b64 s[2:3], vcc
; %bb.1915:
	v_and_b32_e32 v9, 0x400000, v11
	s_mov_b32 s0, 0x3fffff
	v_cmp_ne_u32_e32 vcc, 0, v9
	v_and_or_b32 v9, v11, s0, v5
	v_cmp_ne_u32_e64 s[0:1], 0, v9
	s_and_b64 s[0:1], vcc, s[0:1]
	v_cndmask_b32_e64 v9, 0, 1, s[0:1]
	v_add_u32_e32 v9, v5, v9
; %bb.1916:
	s_or_b64 exec, exec, s[2:3]
	s_mov_b64 s[0:1], -1
.LBB324_1917:
	s_mov_b64 s[2:3], 0
.LBB324_1918:
	s_and_b64 vcc, exec, s[2:3]
	s_cbranch_vccz .LBB324_1989
; %bb.1919:
	s_and_b32 s4, 0xffff, s18
	s_cmp_lt_i32 s4, 5
	s_cbranch_scc1 .LBB324_1926
; %bb.1920:
	s_cmp_lt_i32 s4, 8
	s_cbranch_scc1 .LBB324_1927
; %bb.1921:
	s_cmp_lt_i32 s4, 9
	s_cbranch_scc1 .LBB324_1928
; %bb.1922:
	s_cmp_gt_i32 s4, 9
	s_cbranch_scc0 .LBB324_1929
; %bb.1923:
	global_load_dwordx2 v[11:12], v[7:8], off
	s_movk_i32 s0, 0xff
	s_waitcnt vmcnt(1)
	v_mov_b32_e32 v9, 0xff
	s_waitcnt vmcnt(0)
	v_cvt_f32_f64_e32 v5, v[11:12]
	v_bfe_u32 v11, v5, 23, 8
	v_cmp_ne_u32_e32 vcc, s0, v11
	s_and_saveexec_b64 s[2:3], vcc
; %bb.1924:
	s_mov_b32 s0, 0x3fffff
	v_lshrrev_b32_e32 v9, 23, v5
	v_and_b32_e32 v12, 0x400000, v5
	v_and_or_b32 v5, v5, s0, v11
	v_cmp_ne_u32_e32 vcc, 0, v12
	v_cmp_ne_u32_e64 s[0:1], 0, v5
	s_and_b64 s[0:1], vcc, s[0:1]
	v_cndmask_b32_e64 v5, 0, 1, s[0:1]
	v_add_u32_e32 v9, v9, v5
; %bb.1925:
	s_or_b64 exec, exec, s[2:3]
	s_mov_b64 s[0:1], 0
	s_branch .LBB324_1930
.LBB324_1926:
	s_mov_b64 s[0:1], -1
                                        ; implicit-def: $vgpr9
	s_branch .LBB324_1958
.LBB324_1927:
	s_mov_b64 s[0:1], -1
                                        ; implicit-def: $vgpr9
	s_branch .LBB324_1940
.LBB324_1928:
	s_mov_b64 s[0:1], -1
                                        ; implicit-def: $vgpr9
	s_branch .LBB324_1935
.LBB324_1929:
	s_mov_b64 s[0:1], -1
                                        ; implicit-def: $vgpr9
.LBB324_1930:
	s_andn2_b64 vcc, exec, s[0:1]
	s_cbranch_vccnz .LBB324_1934
; %bb.1931:
	global_load_dword v5, v[7:8], off
	s_movk_i32 s0, 0xff
	s_waitcnt vmcnt(1)
	v_mov_b32_e32 v9, 0xff
	s_waitcnt vmcnt(0)
	v_bfe_u32 v11, v5, 23, 8
	v_cmp_ne_u32_e32 vcc, s0, v11
	s_and_saveexec_b64 s[2:3], vcc
; %bb.1932:
	s_mov_b32 s0, 0x3fffff
	v_lshrrev_b32_e32 v9, 23, v5
	v_and_b32_e32 v12, 0x400000, v5
	v_and_or_b32 v5, v5, s0, v11
	v_cmp_ne_u32_e32 vcc, 0, v12
	v_cmp_ne_u32_e64 s[0:1], 0, v5
	s_and_b64 s[0:1], vcc, s[0:1]
	v_cndmask_b32_e64 v5, 0, 1, s[0:1]
	v_add_u32_e32 v9, v9, v5
; %bb.1933:
	s_or_b64 exec, exec, s[2:3]
.LBB324_1934:
	s_mov_b64 s[0:1], 0
.LBB324_1935:
	s_andn2_b64 vcc, exec, s[0:1]
	s_cbranch_vccnz .LBB324_1939
; %bb.1936:
	global_load_dword v5, v[7:8], off
	s_movk_i32 s0, 0xff
	s_waitcnt vmcnt(1)
	v_mov_b32_e32 v9, 0xff
	s_waitcnt vmcnt(0)
	v_cvt_f32_f16_e32 v5, v5
	v_bfe_u32 v11, v5, 23, 8
	v_cmp_ne_u32_e32 vcc, s0, v11
	s_and_saveexec_b64 s[2:3], vcc
; %bb.1937:
	s_mov_b32 s0, 0x3fffff
	v_lshrrev_b32_e32 v9, 23, v5
	v_and_b32_e32 v12, 0x400000, v5
	v_and_or_b32 v5, v5, s0, v11
	v_cmp_ne_u32_e32 vcc, 0, v12
	v_cmp_ne_u32_e64 s[0:1], 0, v5
	s_and_b64 s[0:1], vcc, s[0:1]
	v_cndmask_b32_e64 v5, 0, 1, s[0:1]
	v_add_u32_e32 v9, v9, v5
; %bb.1938:
	s_or_b64 exec, exec, s[2:3]
.LBB324_1939:
	s_mov_b64 s[0:1], 0
.LBB324_1940:
	s_andn2_b64 vcc, exec, s[0:1]
	s_cbranch_vccnz .LBB324_1957
; %bb.1941:
	s_cmp_lt_i32 s4, 6
	s_cbranch_scc1 .LBB324_1946
; %bb.1942:
	s_cmp_gt_i32 s4, 6
	s_cbranch_scc0 .LBB324_1947
; %bb.1943:
	global_load_dwordx2 v[11:12], v[7:8], off
	s_movk_i32 s0, 0xff
	s_waitcnt vmcnt(1)
	v_mov_b32_e32 v9, 0xff
	s_waitcnt vmcnt(0)
	v_cvt_f32_f64_e32 v5, v[11:12]
	v_bfe_u32 v11, v5, 23, 8
	v_cmp_ne_u32_e32 vcc, s0, v11
	s_and_saveexec_b64 s[2:3], vcc
; %bb.1944:
	s_mov_b32 s0, 0x3fffff
	v_lshrrev_b32_e32 v9, 23, v5
	v_and_b32_e32 v12, 0x400000, v5
	v_and_or_b32 v5, v5, s0, v11
	v_cmp_ne_u32_e32 vcc, 0, v12
	v_cmp_ne_u32_e64 s[0:1], 0, v5
	s_and_b64 s[0:1], vcc, s[0:1]
	v_cndmask_b32_e64 v5, 0, 1, s[0:1]
	v_add_u32_e32 v9, v9, v5
; %bb.1945:
	s_or_b64 exec, exec, s[2:3]
	s_mov_b64 s[0:1], 0
	s_branch .LBB324_1948
.LBB324_1946:
	s_mov_b64 s[0:1], -1
                                        ; implicit-def: $vgpr9
	s_branch .LBB324_1953
.LBB324_1947:
	s_mov_b64 s[0:1], -1
                                        ; implicit-def: $vgpr9
.LBB324_1948:
	s_andn2_b64 vcc, exec, s[0:1]
	s_cbranch_vccnz .LBB324_1952
; %bb.1949:
	global_load_dword v5, v[7:8], off
	s_movk_i32 s0, 0xff
	s_waitcnt vmcnt(1)
	v_mov_b32_e32 v9, 0xff
	s_waitcnt vmcnt(0)
	v_bfe_u32 v11, v5, 23, 8
	v_cmp_ne_u32_e32 vcc, s0, v11
	s_and_saveexec_b64 s[2:3], vcc
; %bb.1950:
	s_mov_b32 s0, 0x3fffff
	v_lshrrev_b32_e32 v9, 23, v5
	v_and_b32_e32 v12, 0x400000, v5
	v_and_or_b32 v5, v5, s0, v11
	v_cmp_ne_u32_e32 vcc, 0, v12
	v_cmp_ne_u32_e64 s[0:1], 0, v5
	s_and_b64 s[0:1], vcc, s[0:1]
	v_cndmask_b32_e64 v5, 0, 1, s[0:1]
	v_add_u32_e32 v9, v9, v5
; %bb.1951:
	s_or_b64 exec, exec, s[2:3]
.LBB324_1952:
	s_mov_b64 s[0:1], 0
.LBB324_1953:
	s_andn2_b64 vcc, exec, s[0:1]
	s_cbranch_vccnz .LBB324_1957
; %bb.1954:
	global_load_ushort v5, v[7:8], off
	s_movk_i32 s0, 0xff
	s_waitcnt vmcnt(1)
	v_mov_b32_e32 v9, 0xff
	s_waitcnt vmcnt(0)
	v_cvt_f32_f16_e32 v5, v5
	v_bfe_u32 v11, v5, 23, 8
	v_cmp_ne_u32_e32 vcc, s0, v11
	s_and_saveexec_b64 s[2:3], vcc
; %bb.1955:
	s_mov_b32 s0, 0x3fffff
	v_lshrrev_b32_e32 v9, 23, v5
	v_and_b32_e32 v12, 0x400000, v5
	v_and_or_b32 v5, v5, s0, v11
	v_cmp_ne_u32_e32 vcc, 0, v12
	v_cmp_ne_u32_e64 s[0:1], 0, v5
	s_and_b64 s[0:1], vcc, s[0:1]
	v_cndmask_b32_e64 v5, 0, 1, s[0:1]
	v_add_u32_e32 v9, v9, v5
; %bb.1956:
	s_or_b64 exec, exec, s[2:3]
.LBB324_1957:
	s_mov_b64 s[0:1], 0
.LBB324_1958:
	s_andn2_b64 vcc, exec, s[0:1]
	s_cbranch_vccnz .LBB324_1988
; %bb.1959:
	s_cmp_lt_i32 s4, 2
	s_cbranch_scc1 .LBB324_1965
; %bb.1960:
	s_cmp_lt_i32 s4, 3
	s_cbranch_scc1 .LBB324_1966
; %bb.1961:
	s_cmp_gt_i32 s4, 3
	s_cbranch_scc0 .LBB324_1967
; %bb.1962:
	global_load_dwordx2 v[11:12], v[7:8], off
	s_movk_i32 s0, 0xff
	s_waitcnt vmcnt(0)
	v_xor_b32_e32 v9, v11, v12
	v_ffbh_i32_e32 v5, v12
	v_ashrrev_i32_e32 v9, 31, v9
	v_add_u32_e32 v5, -1, v5
	v_add_u32_e32 v9, 32, v9
	v_min_u32_e32 v5, v5, v9
	v_lshlrev_b64 v[11:12], v5, v[11:12]
	v_sub_u32_e32 v5, 32, v5
	v_min_u32_e32 v9, 1, v11
	v_or_b32_e32 v9, v12, v9
	v_cvt_f32_i32_e32 v9, v9
	v_ldexp_f32 v5, v9, v5
	v_bfe_u32 v11, v5, 23, 8
	v_cmp_ne_u32_e32 vcc, s0, v11
	v_mov_b32_e32 v9, 0xff
	s_and_saveexec_b64 s[2:3], vcc
; %bb.1963:
	s_mov_b32 s0, 0x3fffff
	v_lshrrev_b32_e32 v9, 23, v5
	v_and_b32_e32 v12, 0x400000, v5
	v_and_or_b32 v5, v5, s0, v11
	v_cmp_ne_u32_e32 vcc, 0, v12
	v_cmp_ne_u32_e64 s[0:1], 0, v5
	s_and_b64 s[0:1], vcc, s[0:1]
	v_cndmask_b32_e64 v5, 0, 1, s[0:1]
	v_add_u32_e32 v9, v9, v5
; %bb.1964:
	s_or_b64 exec, exec, s[2:3]
	s_mov_b64 s[0:1], 0
	s_branch .LBB324_1968
.LBB324_1965:
	s_mov_b64 s[0:1], -1
                                        ; implicit-def: $vgpr9
	s_branch .LBB324_1978
.LBB324_1966:
	s_mov_b64 s[0:1], -1
                                        ; implicit-def: $vgpr9
	s_branch .LBB324_1973
.LBB324_1967:
	s_mov_b64 s[0:1], -1
                                        ; implicit-def: $vgpr9
.LBB324_1968:
	s_andn2_b64 vcc, exec, s[0:1]
	s_cbranch_vccnz .LBB324_1972
; %bb.1969:
	global_load_dword v5, v[7:8], off
	s_movk_i32 s0, 0xff
	s_waitcnt vmcnt(1)
	v_mov_b32_e32 v9, 0xff
	s_waitcnt vmcnt(0)
	v_cvt_f32_i32_e32 v5, v5
	v_bfe_u32 v11, v5, 23, 8
	v_cmp_ne_u32_e32 vcc, s0, v11
	s_and_saveexec_b64 s[2:3], vcc
; %bb.1970:
	s_mov_b32 s0, 0x3fffff
	v_lshrrev_b32_e32 v9, 23, v5
	v_and_b32_e32 v12, 0x400000, v5
	v_and_or_b32 v5, v5, s0, v11
	v_cmp_ne_u32_e32 vcc, 0, v12
	v_cmp_ne_u32_e64 s[0:1], 0, v5
	s_and_b64 s[0:1], vcc, s[0:1]
	v_cndmask_b32_e64 v5, 0, 1, s[0:1]
	v_add_u32_e32 v9, v9, v5
; %bb.1971:
	s_or_b64 exec, exec, s[2:3]
.LBB324_1972:
	s_mov_b64 s[0:1], 0
.LBB324_1973:
	s_andn2_b64 vcc, exec, s[0:1]
	s_cbranch_vccnz .LBB324_1977
; %bb.1974:
	global_load_sshort v5, v[7:8], off
	s_movk_i32 s0, 0xff
	s_waitcnt vmcnt(1)
	v_mov_b32_e32 v9, 0xff
	s_waitcnt vmcnt(0)
	v_cvt_f32_i32_e32 v5, v5
	v_bfe_u32 v11, v5, 23, 8
	v_cmp_ne_u32_e32 vcc, s0, v11
	s_and_saveexec_b64 s[2:3], vcc
; %bb.1975:
	s_mov_b32 s0, 0x3fffff
	v_lshrrev_b32_e32 v9, 23, v5
	v_and_b32_e32 v12, 0x400000, v5
	v_and_or_b32 v5, v5, s0, v11
	v_cmp_ne_u32_e32 vcc, 0, v12
	v_cmp_ne_u32_e64 s[0:1], 0, v5
	s_and_b64 s[0:1], vcc, s[0:1]
	v_cndmask_b32_e64 v5, 0, 1, s[0:1]
	v_add_u32_e32 v9, v9, v5
; %bb.1976:
	s_or_b64 exec, exec, s[2:3]
.LBB324_1977:
	s_mov_b64 s[0:1], 0
.LBB324_1978:
	s_andn2_b64 vcc, exec, s[0:1]
	s_cbranch_vccnz .LBB324_1988
; %bb.1979:
	s_cmp_gt_i32 s4, 0
	s_cbranch_scc0 .LBB324_1983
; %bb.1980:
	global_load_sbyte v5, v[7:8], off
	s_movk_i32 s0, 0xff
	s_waitcnt vmcnt(1)
	v_mov_b32_e32 v9, 0xff
	s_waitcnt vmcnt(0)
	v_cvt_f32_i32_e32 v5, v5
	v_bfe_u32 v11, v5, 23, 8
	v_cmp_ne_u32_e32 vcc, s0, v11
	s_and_saveexec_b64 s[2:3], vcc
; %bb.1981:
	s_mov_b32 s0, 0x3fffff
	v_lshrrev_b32_e32 v9, 23, v5
	v_and_b32_e32 v12, 0x400000, v5
	v_and_or_b32 v5, v5, s0, v11
	v_cmp_ne_u32_e32 vcc, 0, v12
	v_cmp_ne_u32_e64 s[0:1], 0, v5
	s_and_b64 s[0:1], vcc, s[0:1]
	v_cndmask_b32_e64 v5, 0, 1, s[0:1]
	v_add_u32_e32 v9, v9, v5
; %bb.1982:
	s_or_b64 exec, exec, s[2:3]
	s_mov_b64 s[0:1], 0
	s_branch .LBB324_1984
.LBB324_1983:
	s_mov_b64 s[0:1], -1
                                        ; implicit-def: $vgpr9
.LBB324_1984:
	s_andn2_b64 vcc, exec, s[0:1]
	s_cbranch_vccnz .LBB324_1988
; %bb.1985:
	global_load_ubyte v5, v[7:8], off
	s_movk_i32 s0, 0xff
	s_waitcnt vmcnt(1)
	v_mov_b32_e32 v9, 0xff
	s_waitcnt vmcnt(0)
	v_cvt_f32_ubyte0_e32 v7, v5
	v_lshrrev_b32_e32 v5, 23, v7
	v_cmp_ne_u32_e32 vcc, s0, v5
	s_and_saveexec_b64 s[2:3], vcc
; %bb.1986:
	s_mov_b32 s0, 0x3fffff
	v_and_b32_e32 v8, 0x400000, v7
	v_and_or_b32 v7, v7, s0, v5
	v_cmp_ne_u32_e32 vcc, 0, v8
	v_cmp_ne_u32_e64 s[0:1], 0, v7
	s_and_b64 s[0:1], vcc, s[0:1]
	v_cndmask_b32_e64 v7, 0, 1, s[0:1]
	v_add_u32_e32 v9, v5, v7
; %bb.1987:
	s_or_b64 exec, exec, s[2:3]
.LBB324_1988:
	s_mov_b64 s[0:1], -1
.LBB324_1989:
	s_andn2_b64 vcc, exec, s[0:1]
	s_cbranch_vccnz .LBB324_2423
; %bb.1990:
	s_load_dwordx2 s[0:1], s[34:35], 0x158
	s_load_dword s3, s[34:35], 0x160
	v_mov_b32_e32 v5, 0x7f800001
	s_movk_i32 s2, 0xff
	v_mov_b32_e32 v8, 0x400000
	s_waitcnt lgkmcnt(0)
	s_and_b32 s4, s1, 0xff
	s_cmp_eq_u32 s0, 0
	s_cselect_b64 s[0:1], -1, 0
	s_lshl_b32 s5, s4, 23
	s_cmpk_lg_i32 s4, 0xff
	v_mov_b32_e32 v7, s5
	s_cselect_b64 vcc, -1, 0
	s_cmp_lg_u32 s4, 0
	v_cndmask_b32_e32 v7, v5, v7, vcc
	s_cselect_b64 vcc, -1, 0
	v_mov_b32_e32 v11, 23
	v_cndmask_b32_e32 v7, v8, v7, vcc
	v_lshlrev_b32_sdwa v11, v11, v1 dst_sel:DWORD dst_unused:UNUSED_PAD src0_sel:DWORD src1_sel:BYTE_0
	v_cmp_ne_u16_sdwa vcc, v1, s2 src0_sel:BYTE_0 src1_sel:DWORD
	v_cndmask_b32_e32 v5, v5, v11, vcc
	v_mov_b32_e32 v11, 0
	v_cmp_ne_u16_sdwa vcc, v1, v11 src0_sel:BYTE_0 src1_sel:DWORD
	v_cndmask_b32_e32 v1, v8, v5, vcc
	v_cmp_eq_f32_e32 vcc, v7, v1
	v_cndmask_b32_e64 v5, 0, 1, vcc
	v_cmp_neq_f32_e32 vcc, v7, v1
	v_cndmask_b32_e64 v1, 0, 1, vcc
	v_cndmask_b32_e64 v1, v1, v5, s[0:1]
	v_and_b32_e32 v1, 1, v1
	s_and_b32 s20, s3, 0xff
	v_cmp_eq_u32_e64 s[2:3], 1, v1
	v_mov_b32_e32 v1, s9
	v_add_co_u32_e32 v5, vcc, s8, v6
	s_cmp_lt_i32 s20, 11
	v_addc_co_u32_e32 v6, vcc, 0, v1, vcc
	s_cbranch_scc1 .LBB324_2068
; %bb.1991:
	s_and_b32 s21, 0xffff, s20
	s_mov_b64 s[16:17], -1
	s_mov_b64 s[10:11], 0
	s_cmp_gt_i32 s21, 25
	s_mov_b64 s[14:15], 0
	s_mov_b64 s[4:5], 0
	s_cbranch_scc0 .LBB324_2024
; %bb.1992:
	s_cmp_gt_i32 s21, 28
	s_cbranch_scc0 .LBB324_2007
; %bb.1993:
	s_cmp_gt_i32 s21, 43
	;; [unrolled: 3-line block ×3, first 2 shown]
	s_cbranch_scc0 .LBB324_1997
; %bb.1995:
	s_mov_b64 s[4:5], -1
	s_mov_b64 s[16:17], 0
	s_cmp_eq_u32 s21, 46
	s_cbranch_scc0 .LBB324_1997
; %bb.1996:
	v_cndmask_b32_e64 v1, 0, 1.0, s[2:3]
	v_bfe_u32 v8, v1, 16, 1
	s_movk_i32 s4, 0x7fff
	v_add3_u32 v1, v1, v8, s4
	v_lshrrev_b32_e32 v1, 16, v1
	global_store_dword v[5:6], v1, off
	s_mov_b64 s[4:5], 0
	s_mov_b64 s[14:15], -1
.LBB324_1997:
	s_and_b64 vcc, exec, s[16:17]
	s_cbranch_vccz .LBB324_2002
; %bb.1998:
	s_cmp_eq_u32 s21, 44
	s_mov_b64 s[4:5], -1
	s_cbranch_scc0 .LBB324_2002
; %bb.1999:
	v_cndmask_b32_e64 v8, 0, 1.0, s[2:3]
	v_lshrrev_b32_e32 v1, 23, v8
	s_movk_i32 s4, 0xff
	v_cmp_ne_u32_e32 vcc, s4, v1
	v_mov_b32_e32 v11, 0xff
	s_and_saveexec_b64 s[14:15], vcc
; %bb.2000:
	s_mov_b32 s4, 0x3fffff
	v_and_b32_e32 v11, 0x400000, v8
	v_and_or_b32 v8, v8, s4, v1
	v_cmp_ne_u32_e32 vcc, 0, v11
	v_cmp_ne_u32_e64 s[4:5], 0, v8
	s_and_b64 s[4:5], vcc, s[4:5]
	v_cndmask_b32_e64 v8, 0, 1, s[4:5]
	v_add_u32_e32 v11, v1, v8
; %bb.2001:
	s_or_b64 exec, exec, s[14:15]
	s_mov_b64 s[4:5], 0
	s_mov_b64 s[14:15], -1
	global_store_byte v[5:6], v11, off
.LBB324_2002:
	s_mov_b64 s[16:17], 0
.LBB324_2003:
	s_and_b64 vcc, exec, s[16:17]
	s_cbranch_vccz .LBB324_2006
; %bb.2004:
	s_cmp_eq_u32 s21, 29
	s_mov_b64 s[4:5], -1
	s_cbranch_scc0 .LBB324_2006
; %bb.2005:
	s_mov_b32 s4, 0
	v_cndmask_b32_e64 v11, 0, 1, s[2:3]
	v_mov_b32_e32 v12, s4
	global_store_dwordx2 v[5:6], v[11:12], off
	s_mov_b64 s[4:5], 0
	s_mov_b64 s[14:15], -1
.LBB324_2006:
	s_mov_b64 s[16:17], 0
.LBB324_2007:
	s_and_b64 vcc, exec, s[16:17]
	s_cbranch_vccz .LBB324_2023
; %bb.2008:
	s_cmp_lt_i32 s21, 27
	s_mov_b64 s[14:15], -1
	s_cbranch_scc1 .LBB324_2014
; %bb.2009:
	s_cmp_gt_i32 s21, 27
	s_cbranch_scc0 .LBB324_2011
; %bb.2010:
	v_cndmask_b32_e64 v1, 0, 1, s[2:3]
	s_mov_b64 s[14:15], 0
	global_store_dword v[5:6], v1, off
.LBB324_2011:
	s_andn2_b64 vcc, exec, s[14:15]
	s_cbranch_vccnz .LBB324_2013
; %bb.2012:
	v_cndmask_b32_e64 v1, 0, 1, s[2:3]
	global_store_short v[5:6], v1, off
.LBB324_2013:
	s_mov_b64 s[14:15], 0
.LBB324_2014:
	s_andn2_b64 vcc, exec, s[14:15]
	s_cbranch_vccnz .LBB324_2022
; %bb.2015:
	v_cndmask_b32_e64 v8, 0, 1.0, s[2:3]
	s_mov_b32 s14, 0x43800000
	v_cmp_gt_u32_e32 vcc, s14, v8
	v_mov_b32_e32 v11, 0x80
	s_and_saveexec_b64 s[14:15], vcc
	s_cbranch_execz .LBB324_2021
; %bb.2016:
	s_mov_b32 s16, 0x3bffffff
	v_cmp_lt_u32_e32 vcc, s16, v8
	s_mov_b64 s[16:17], 0
                                        ; implicit-def: $vgpr1
	s_and_saveexec_b64 s[18:19], vcc
	s_xor_b64 s[18:19], exec, s[18:19]
	s_cbranch_execz .LBB324_2470
; %bb.2017:
	v_bfe_u32 v1, v8, 20, 1
	s_mov_b32 s22, 0x487ffff
	v_add3_u32 v1, v8, v1, s22
	s_mov_b64 s[16:17], exec
	v_lshrrev_b32_e32 v1, 20, v1
                                        ; implicit-def: $vgpr8
	s_andn2_saveexec_b64 s[18:19], s[18:19]
	s_cbranch_execnz .LBB324_2471
.LBB324_2018:
	s_or_b64 exec, exec, s[18:19]
	v_mov_b32_e32 v11, 0
	s_and_saveexec_b64 s[18:19], s[16:17]
.LBB324_2019:
	v_mov_b32_e32 v11, v1
.LBB324_2020:
	s_or_b64 exec, exec, s[18:19]
.LBB324_2021:
	s_or_b64 exec, exec, s[14:15]
	global_store_byte v[5:6], v11, off
.LBB324_2022:
	s_mov_b64 s[14:15], -1
.LBB324_2023:
	s_mov_b64 s[16:17], 0
.LBB324_2024:
	s_and_b64 vcc, exec, s[16:17]
	s_cbranch_vccz .LBB324_2064
; %bb.2025:
	s_cmp_gt_i32 s21, 22
	s_mov_b64 s[10:11], -1
	s_cbranch_scc0 .LBB324_2057
; %bb.2026:
	s_cmp_lt_i32 s21, 24
	s_cbranch_scc1 .LBB324_2046
; %bb.2027:
	s_cmp_gt_i32 s21, 24
	s_cbranch_scc0 .LBB324_2035
; %bb.2028:
	v_cndmask_b32_e64 v8, 0, 1.0, s[2:3]
	s_mov_b32 s10, 0x47800000
	v_cmp_gt_u32_e32 vcc, s10, v8
	v_mov_b32_e32 v11, 0x80
	s_and_saveexec_b64 s[10:11], vcc
	s_cbranch_execz .LBB324_2034
; %bb.2029:
	s_mov_b32 s14, 0x37ffffff
	v_cmp_lt_u32_e32 vcc, s14, v8
	s_mov_b64 s[14:15], 0
                                        ; implicit-def: $vgpr1
	s_and_saveexec_b64 s[16:17], vcc
	s_xor_b64 s[16:17], exec, s[16:17]
	s_cbranch_execz .LBB324_2473
; %bb.2030:
	v_bfe_u32 v1, v8, 21, 1
	s_mov_b32 s18, 0x88fffff
	v_add3_u32 v1, v8, v1, s18
	s_mov_b64 s[14:15], exec
	v_lshrrev_b32_e32 v1, 21, v1
                                        ; implicit-def: $vgpr8
	s_andn2_saveexec_b64 s[16:17], s[16:17]
	s_cbranch_execnz .LBB324_2474
.LBB324_2031:
	s_or_b64 exec, exec, s[16:17]
	v_mov_b32_e32 v11, 0
	s_and_saveexec_b64 s[16:17], s[14:15]
.LBB324_2032:
	v_mov_b32_e32 v11, v1
.LBB324_2033:
	s_or_b64 exec, exec, s[16:17]
.LBB324_2034:
	s_or_b64 exec, exec, s[10:11]
	s_mov_b64 s[10:11], 0
	global_store_byte v[5:6], v11, off
.LBB324_2035:
	s_and_b64 vcc, exec, s[10:11]
	s_cbranch_vccz .LBB324_2045
; %bb.2036:
	v_cndmask_b32_e64 v1, 0, 1.0, s[2:3]
	s_mov_b32 s10, 0x43f00000
	v_cmp_gt_u32_e32 vcc, s10, v1
                                        ; implicit-def: $vgpr8
	s_and_saveexec_b64 s[10:11], vcc
	s_xor_b64 s[10:11], exec, s[10:11]
	s_cbranch_execz .LBB324_2042
; %bb.2037:
	s_mov_b32 s14, 0x3c7fffff
	v_cmp_lt_u32_e32 vcc, s14, v1
                                        ; implicit-def: $vgpr8
	s_and_saveexec_b64 s[14:15], vcc
	s_xor_b64 s[14:15], exec, s[14:15]
; %bb.2038:
	v_bfe_u32 v8, v1, 20, 1
	s_mov_b32 s16, 0x407ffff
	v_add3_u32 v1, v1, v8, s16
	v_lshrrev_b32_e32 v8, 20, v1
	v_and_b32_e32 v1, 0xff00000, v1
	s_mov_b32 s16, 0x7f00000
	v_mov_b32_e32 v11, 0x7e
	v_cmp_ne_u32_e32 vcc, s16, v1
	v_cndmask_b32_e32 v8, v11, v8, vcc
                                        ; implicit-def: $vgpr1
; %bb.2039:
	s_andn2_saveexec_b64 s[14:15], s[14:15]
; %bb.2040:
	v_add_f32_e32 v8, 0x46800000, v1
; %bb.2041:
	s_or_b64 exec, exec, s[14:15]
                                        ; implicit-def: $vgpr1
.LBB324_2042:
	s_andn2_saveexec_b64 s[10:11], s[10:11]
; %bb.2043:
	s_mov_b32 s14, 0x7f800000
	v_mov_b32_e32 v8, 0x7e
	v_mov_b32_e32 v11, 0x7f
	v_cmp_lt_u32_e32 vcc, s14, v1
	v_cndmask_b32_e32 v8, v8, v11, vcc
; %bb.2044:
	s_or_b64 exec, exec, s[10:11]
	global_store_byte v[5:6], v8, off
.LBB324_2045:
	s_mov_b64 s[10:11], 0
.LBB324_2046:
	s_andn2_b64 vcc, exec, s[10:11]
	s_cbranch_vccnz .LBB324_2056
; %bb.2047:
	v_cndmask_b32_e64 v1, 0, 1.0, s[2:3]
	s_mov_b32 s10, 0x47800000
	v_cmp_gt_u32_e32 vcc, s10, v1
                                        ; implicit-def: $vgpr8
	s_and_saveexec_b64 s[10:11], vcc
	s_xor_b64 s[10:11], exec, s[10:11]
	s_cbranch_execz .LBB324_2053
; %bb.2048:
	s_mov_b32 s14, 0x387fffff
	v_cmp_lt_u32_e32 vcc, s14, v1
                                        ; implicit-def: $vgpr8
	s_and_saveexec_b64 s[14:15], vcc
	s_xor_b64 s[14:15], exec, s[14:15]
; %bb.2049:
	v_bfe_u32 v8, v1, 21, 1
	s_mov_b32 s16, 0x80fffff
	v_add3_u32 v1, v1, v8, s16
	v_lshrrev_b32_e32 v8, 21, v1
                                        ; implicit-def: $vgpr1
; %bb.2050:
	s_andn2_saveexec_b64 s[14:15], s[14:15]
; %bb.2051:
	v_add_f32_e32 v8, 0x43000000, v1
; %bb.2052:
	s_or_b64 exec, exec, s[14:15]
                                        ; implicit-def: $vgpr1
.LBB324_2053:
	s_andn2_saveexec_b64 s[10:11], s[10:11]
; %bb.2054:
	s_mov_b32 s14, 0x7f800000
	v_mov_b32_e32 v8, 0x7c
	v_mov_b32_e32 v11, 0x7f
	v_cmp_lt_u32_e32 vcc, s14, v1
	v_cndmask_b32_e32 v8, v8, v11, vcc
; %bb.2055:
	s_or_b64 exec, exec, s[10:11]
	global_store_byte v[5:6], v8, off
.LBB324_2056:
	s_mov_b64 s[10:11], 0
	s_mov_b64 s[14:15], -1
.LBB324_2057:
	s_andn2_b64 vcc, exec, s[10:11]
	s_mov_b64 s[10:11], 0
	s_cbranch_vccnz .LBB324_2064
; %bb.2058:
	s_cmp_gt_i32 s21, 14
	s_mov_b64 s[16:17], -1
	s_cbranch_scc0 .LBB324_2062
; %bb.2059:
	s_cmp_eq_u32 s21, 15
	s_mov_b64 s[4:5], -1
	s_cbranch_scc0 .LBB324_2061
; %bb.2060:
	v_cndmask_b32_e64 v1, 0, 1.0, s[2:3]
	v_bfe_u32 v8, v1, 16, 1
	s_movk_i32 s4, 0x7fff
	v_add3_u32 v1, v1, v8, s4
	global_store_short_d16_hi v[5:6], v1, off
	s_mov_b64 s[4:5], 0
	s_mov_b64 s[14:15], -1
.LBB324_2061:
	s_mov_b64 s[16:17], 0
.LBB324_2062:
	s_and_b64 vcc, exec, s[16:17]
	s_cbranch_vccz .LBB324_2064
; %bb.2063:
	s_cmp_lg_u32 s21, 11
	s_mov_b64 s[10:11], -1
	s_cselect_b64 s[4:5], -1, 0
.LBB324_2064:
	s_and_b64 vcc, exec, s[4:5]
	s_cbranch_vccnz .LBB324_2472
; %bb.2065:
	s_andn2_b64 vcc, exec, s[10:11]
	s_cbranch_vccnz .LBB324_2067
.LBB324_2066:
	v_cndmask_b32_e64 v1, 0, 1, s[2:3]
	s_mov_b64 s[14:15], -1
	global_store_byte v[5:6], v1, off
.LBB324_2067:
	s_mov_b64 s[4:5], 0
	s_branch .LBB324_2069
.LBB324_2068:
	s_mov_b64 s[4:5], -1
	s_mov_b64 s[14:15], 0
.LBB324_2069:
	s_and_b64 vcc, exec, s[4:5]
	s_cbranch_vccz .LBB324_2108
; %bb.2070:
	s_and_b32 s10, 0xffff, s20
	s_cmp_lt_i32 s10, 5
	s_mov_b64 s[4:5], -1
	s_cbranch_scc1 .LBB324_2091
; %bb.2071:
	s_cmp_lt_i32 s10, 8
	s_cbranch_scc1 .LBB324_2081
; %bb.2072:
	s_cmp_lt_i32 s10, 9
	s_cbranch_scc1 .LBB324_2078
; %bb.2073:
	s_cmp_gt_i32 s10, 9
	s_cbranch_scc0 .LBB324_2075
; %bb.2074:
	v_cndmask_b32_e64 v1, 0, 1, s[2:3]
	v_cvt_f64_u32_e32 v[11:12], v1
	v_mov_b32_e32 v13, 0
	v_mov_b32_e32 v14, v13
	s_mov_b64 s[4:5], 0
	global_store_dwordx4 v[5:6], v[11:14], off
.LBB324_2075:
	s_andn2_b64 vcc, exec, s[4:5]
	s_cbranch_vccnz .LBB324_2077
; %bb.2076:
	v_cndmask_b32_e64 v11, 0, 1.0, s[2:3]
	v_mov_b32_e32 v12, 0
	global_store_dwordx2 v[5:6], v[11:12], off
.LBB324_2077:
	s_mov_b64 s[4:5], 0
.LBB324_2078:
	s_andn2_b64 vcc, exec, s[4:5]
	s_cbranch_vccnz .LBB324_2080
; %bb.2079:
	v_cndmask_b32_e64 v1, 0, 1.0, s[2:3]
	v_cvt_f16_f32_e32 v1, v1
	global_store_dword v[5:6], v1, off
.LBB324_2080:
	s_mov_b64 s[4:5], 0
.LBB324_2081:
	s_andn2_b64 vcc, exec, s[4:5]
	s_cbranch_vccnz .LBB324_2090
; %bb.2082:
	s_cmp_lt_i32 s10, 6
	s_mov_b64 s[4:5], -1
	s_cbranch_scc1 .LBB324_2088
; %bb.2083:
	s_cmp_gt_i32 s10, 6
	s_cbranch_scc0 .LBB324_2085
; %bb.2084:
	v_cndmask_b32_e64 v1, 0, 1, s[2:3]
	v_cvt_f64_u32_e32 v[11:12], v1
	s_mov_b64 s[4:5], 0
	global_store_dwordx2 v[5:6], v[11:12], off
.LBB324_2085:
	s_andn2_b64 vcc, exec, s[4:5]
	s_cbranch_vccnz .LBB324_2087
; %bb.2086:
	v_cndmask_b32_e64 v1, 0, 1.0, s[2:3]
	global_store_dword v[5:6], v1, off
.LBB324_2087:
	s_mov_b64 s[4:5], 0
.LBB324_2088:
	s_andn2_b64 vcc, exec, s[4:5]
	s_cbranch_vccnz .LBB324_2090
; %bb.2089:
	v_cndmask_b32_e64 v1, 0, 1.0, s[2:3]
	v_cvt_f16_f32_e32 v1, v1
	global_store_short v[5:6], v1, off
.LBB324_2090:
	s_mov_b64 s[4:5], 0
.LBB324_2091:
	s_andn2_b64 vcc, exec, s[4:5]
	s_cbranch_vccnz .LBB324_2107
; %bb.2092:
	s_cmp_lt_i32 s10, 2
	s_mov_b64 s[4:5], -1
	s_cbranch_scc1 .LBB324_2102
; %bb.2093:
	s_cmp_lt_i32 s10, 3
	s_cbranch_scc1 .LBB324_2099
; %bb.2094:
	s_cmp_gt_i32 s10, 3
	s_cbranch_scc0 .LBB324_2096
; %bb.2095:
	s_mov_b32 s4, 0
	v_cndmask_b32_e64 v11, 0, 1, s[2:3]
	v_mov_b32_e32 v12, s4
	global_store_dwordx2 v[5:6], v[11:12], off
	s_mov_b64 s[4:5], 0
.LBB324_2096:
	s_andn2_b64 vcc, exec, s[4:5]
	s_cbranch_vccnz .LBB324_2098
; %bb.2097:
	v_cndmask_b32_e64 v1, 0, 1, s[2:3]
	global_store_dword v[5:6], v1, off
.LBB324_2098:
	s_mov_b64 s[4:5], 0
.LBB324_2099:
	s_andn2_b64 vcc, exec, s[4:5]
	s_cbranch_vccnz .LBB324_2101
; %bb.2100:
	v_cndmask_b32_e64 v1, 0, 1, s[2:3]
	global_store_short v[5:6], v1, off
.LBB324_2101:
	s_mov_b64 s[4:5], 0
.LBB324_2102:
	s_andn2_b64 vcc, exec, s[4:5]
	s_cbranch_vccnz .LBB324_2107
; %bb.2103:
	s_mov_b64 s[4:5], -1
	s_cmp_gt_i32 s10, 0
	v_cndmask_b32_e64 v1, 0, 1, s[2:3]
	s_cbranch_scc0 .LBB324_2105
; %bb.2104:
	global_store_byte v[5:6], v1, off
	s_mov_b64 s[4:5], 0
.LBB324_2105:
	s_andn2_b64 vcc, exec, s[4:5]
	s_cbranch_vccnz .LBB324_2107
; %bb.2106:
	global_store_byte v[5:6], v1, off
.LBB324_2107:
	s_mov_b64 s[14:15], -1
.LBB324_2108:
	s_andn2_b64 vcc, exec, s[14:15]
	s_cbranch_vccnz .LBB324_2423
; %bb.2109:
	s_movk_i32 s2, 0xff
	v_mov_b32_e32 v1, 23
	s_waitcnt vmcnt(0)
	v_lshlrev_b32_sdwa v1, v1, v3 dst_sel:DWORD dst_unused:UNUSED_PAD src0_sel:DWORD src1_sel:BYTE_0
	v_mov_b32_e32 v5, 0x7f800001
	v_cmp_ne_u16_sdwa vcc, v3, s2 src0_sel:BYTE_0 src1_sel:DWORD
	v_cndmask_b32_e32 v1, v5, v1, vcc
	v_mov_b32_e32 v5, 0
	v_mov_b32_e32 v6, 0x400000
	v_cmp_ne_u16_sdwa vcc, v3, v5 src0_sel:BYTE_0 src1_sel:DWORD
	v_cndmask_b32_e32 v1, v6, v1, vcc
	v_cmp_eq_f32_e32 vcc, v7, v1
	v_cndmask_b32_e64 v3, 0, 1, vcc
	v_cmp_neq_f32_e32 vcc, v7, v1
	v_cndmask_b32_e64 v1, 0, 1, vcc
	v_cndmask_b32_e64 v1, v1, v3, s[0:1]
	v_and_b32_e32 v1, 1, v1
	v_cmp_eq_u32_e64 s[2:3], 1, v1
	v_mov_b32_e32 v1, s9
	s_and_b32 s21, 0xffff, s20
	v_add_co_u32_e32 v3, vcc, s8, v4
	s_cmp_lt_i32 s21, 11
	v_addc_co_u32_e32 v4, vcc, 0, v1, vcc
	s_cbranch_scc1 .LBB324_2187
; %bb.2110:
	s_mov_b64 s[16:17], -1
	s_mov_b64 s[10:11], 0
	s_cmp_gt_i32 s21, 25
	s_mov_b64 s[14:15], 0
	s_mov_b64 s[4:5], 0
	s_cbranch_scc0 .LBB324_2143
; %bb.2111:
	s_cmp_gt_i32 s21, 28
	s_cbranch_scc0 .LBB324_2126
; %bb.2112:
	s_cmp_gt_i32 s21, 43
	;; [unrolled: 3-line block ×3, first 2 shown]
	s_cbranch_scc0 .LBB324_2116
; %bb.2114:
	s_mov_b64 s[4:5], -1
	s_mov_b64 s[16:17], 0
	s_cmp_eq_u32 s21, 46
	s_cbranch_scc0 .LBB324_2116
; %bb.2115:
	v_cndmask_b32_e64 v1, 0, 1.0, s[2:3]
	v_bfe_u32 v5, v1, 16, 1
	s_movk_i32 s4, 0x7fff
	v_add3_u32 v1, v1, v5, s4
	v_lshrrev_b32_e32 v1, 16, v1
	global_store_dword v[3:4], v1, off
	s_mov_b64 s[4:5], 0
	s_mov_b64 s[14:15], -1
.LBB324_2116:
	s_and_b64 vcc, exec, s[16:17]
	s_cbranch_vccz .LBB324_2121
; %bb.2117:
	s_cmp_eq_u32 s21, 44
	s_mov_b64 s[4:5], -1
	s_cbranch_scc0 .LBB324_2121
; %bb.2118:
	v_cndmask_b32_e64 v5, 0, 1.0, s[2:3]
	v_lshrrev_b32_e32 v1, 23, v5
	s_movk_i32 s4, 0xff
	v_cmp_ne_u32_e32 vcc, s4, v1
	v_mov_b32_e32 v6, 0xff
	s_and_saveexec_b64 s[14:15], vcc
; %bb.2119:
	s_mov_b32 s4, 0x3fffff
	v_and_b32_e32 v6, 0x400000, v5
	v_and_or_b32 v5, v5, s4, v1
	v_cmp_ne_u32_e32 vcc, 0, v6
	v_cmp_ne_u32_e64 s[4:5], 0, v5
	s_and_b64 s[4:5], vcc, s[4:5]
	v_cndmask_b32_e64 v5, 0, 1, s[4:5]
	v_add_u32_e32 v6, v1, v5
; %bb.2120:
	s_or_b64 exec, exec, s[14:15]
	s_mov_b64 s[4:5], 0
	s_mov_b64 s[14:15], -1
	global_store_byte v[3:4], v6, off
.LBB324_2121:
	s_mov_b64 s[16:17], 0
.LBB324_2122:
	s_and_b64 vcc, exec, s[16:17]
	s_cbranch_vccz .LBB324_2125
; %bb.2123:
	s_cmp_eq_u32 s21, 29
	s_mov_b64 s[4:5], -1
	s_cbranch_scc0 .LBB324_2125
; %bb.2124:
	s_mov_b32 s4, 0
	v_cndmask_b32_e64 v5, 0, 1, s[2:3]
	v_mov_b32_e32 v6, s4
	global_store_dwordx2 v[3:4], v[5:6], off
	s_mov_b64 s[4:5], 0
	s_mov_b64 s[14:15], -1
.LBB324_2125:
	s_mov_b64 s[16:17], 0
.LBB324_2126:
	s_and_b64 vcc, exec, s[16:17]
	s_cbranch_vccz .LBB324_2142
; %bb.2127:
	s_cmp_lt_i32 s21, 27
	s_mov_b64 s[14:15], -1
	s_cbranch_scc1 .LBB324_2133
; %bb.2128:
	s_cmp_gt_i32 s21, 27
	s_cbranch_scc0 .LBB324_2130
; %bb.2129:
	v_cndmask_b32_e64 v1, 0, 1, s[2:3]
	s_mov_b64 s[14:15], 0
	global_store_dword v[3:4], v1, off
.LBB324_2130:
	s_andn2_b64 vcc, exec, s[14:15]
	s_cbranch_vccnz .LBB324_2132
; %bb.2131:
	v_cndmask_b32_e64 v1, 0, 1, s[2:3]
	global_store_short v[3:4], v1, off
.LBB324_2132:
	s_mov_b64 s[14:15], 0
.LBB324_2133:
	s_andn2_b64 vcc, exec, s[14:15]
	s_cbranch_vccnz .LBB324_2141
; %bb.2134:
	v_cndmask_b32_e64 v5, 0, 1.0, s[2:3]
	s_mov_b32 s14, 0x43800000
	v_cmp_gt_u32_e32 vcc, s14, v5
	v_mov_b32_e32 v6, 0x80
	s_and_saveexec_b64 s[14:15], vcc
	s_cbranch_execz .LBB324_2140
; %bb.2135:
	s_mov_b32 s16, 0x3bffffff
	v_cmp_lt_u32_e32 vcc, s16, v5
	s_mov_b64 s[16:17], 0
                                        ; implicit-def: $vgpr1
	s_and_saveexec_b64 s[18:19], vcc
	s_xor_b64 s[18:19], exec, s[18:19]
	s_cbranch_execz .LBB324_2475
; %bb.2136:
	v_bfe_u32 v1, v5, 20, 1
	s_mov_b32 s22, 0x487ffff
	v_add3_u32 v1, v5, v1, s22
	s_mov_b64 s[16:17], exec
	v_lshrrev_b32_e32 v1, 20, v1
                                        ; implicit-def: $vgpr5
	s_andn2_saveexec_b64 s[18:19], s[18:19]
	s_cbranch_execnz .LBB324_2476
.LBB324_2137:
	s_or_b64 exec, exec, s[18:19]
	v_mov_b32_e32 v6, 0
	s_and_saveexec_b64 s[18:19], s[16:17]
.LBB324_2138:
	v_mov_b32_e32 v6, v1
.LBB324_2139:
	s_or_b64 exec, exec, s[18:19]
.LBB324_2140:
	s_or_b64 exec, exec, s[14:15]
	global_store_byte v[3:4], v6, off
.LBB324_2141:
	s_mov_b64 s[14:15], -1
.LBB324_2142:
	s_mov_b64 s[16:17], 0
.LBB324_2143:
	s_and_b64 vcc, exec, s[16:17]
	s_cbranch_vccz .LBB324_2183
; %bb.2144:
	s_cmp_gt_i32 s21, 22
	s_mov_b64 s[10:11], -1
	s_cbranch_scc0 .LBB324_2176
; %bb.2145:
	s_cmp_lt_i32 s21, 24
	s_cbranch_scc1 .LBB324_2165
; %bb.2146:
	s_cmp_gt_i32 s21, 24
	s_cbranch_scc0 .LBB324_2154
; %bb.2147:
	v_cndmask_b32_e64 v5, 0, 1.0, s[2:3]
	s_mov_b32 s10, 0x47800000
	v_cmp_gt_u32_e32 vcc, s10, v5
	v_mov_b32_e32 v6, 0x80
	s_and_saveexec_b64 s[10:11], vcc
	s_cbranch_execz .LBB324_2153
; %bb.2148:
	s_mov_b32 s14, 0x37ffffff
	v_cmp_lt_u32_e32 vcc, s14, v5
	s_mov_b64 s[14:15], 0
                                        ; implicit-def: $vgpr1
	s_and_saveexec_b64 s[16:17], vcc
	s_xor_b64 s[16:17], exec, s[16:17]
	s_cbranch_execz .LBB324_2478
; %bb.2149:
	v_bfe_u32 v1, v5, 21, 1
	s_mov_b32 s18, 0x88fffff
	v_add3_u32 v1, v5, v1, s18
	s_mov_b64 s[14:15], exec
	v_lshrrev_b32_e32 v1, 21, v1
                                        ; implicit-def: $vgpr5
	s_andn2_saveexec_b64 s[16:17], s[16:17]
	s_cbranch_execnz .LBB324_2479
.LBB324_2150:
	s_or_b64 exec, exec, s[16:17]
	v_mov_b32_e32 v6, 0
	s_and_saveexec_b64 s[16:17], s[14:15]
.LBB324_2151:
	v_mov_b32_e32 v6, v1
.LBB324_2152:
	s_or_b64 exec, exec, s[16:17]
.LBB324_2153:
	s_or_b64 exec, exec, s[10:11]
	s_mov_b64 s[10:11], 0
	global_store_byte v[3:4], v6, off
.LBB324_2154:
	s_and_b64 vcc, exec, s[10:11]
	s_cbranch_vccz .LBB324_2164
; %bb.2155:
	v_cndmask_b32_e64 v1, 0, 1.0, s[2:3]
	s_mov_b32 s10, 0x43f00000
	v_cmp_gt_u32_e32 vcc, s10, v1
                                        ; implicit-def: $vgpr5
	s_and_saveexec_b64 s[10:11], vcc
	s_xor_b64 s[10:11], exec, s[10:11]
	s_cbranch_execz .LBB324_2161
; %bb.2156:
	s_mov_b32 s14, 0x3c7fffff
	v_cmp_lt_u32_e32 vcc, s14, v1
                                        ; implicit-def: $vgpr5
	s_and_saveexec_b64 s[14:15], vcc
	s_xor_b64 s[14:15], exec, s[14:15]
; %bb.2157:
	v_bfe_u32 v5, v1, 20, 1
	s_mov_b32 s16, 0x407ffff
	v_add3_u32 v1, v1, v5, s16
	v_lshrrev_b32_e32 v5, 20, v1
	v_and_b32_e32 v1, 0xff00000, v1
	s_mov_b32 s16, 0x7f00000
	v_mov_b32_e32 v6, 0x7e
	v_cmp_ne_u32_e32 vcc, s16, v1
	v_cndmask_b32_e32 v5, v6, v5, vcc
                                        ; implicit-def: $vgpr1
; %bb.2158:
	s_andn2_saveexec_b64 s[14:15], s[14:15]
; %bb.2159:
	v_add_f32_e32 v5, 0x46800000, v1
; %bb.2160:
	s_or_b64 exec, exec, s[14:15]
                                        ; implicit-def: $vgpr1
.LBB324_2161:
	s_andn2_saveexec_b64 s[10:11], s[10:11]
; %bb.2162:
	s_mov_b32 s14, 0x7f800000
	v_mov_b32_e32 v5, 0x7e
	v_mov_b32_e32 v6, 0x7f
	v_cmp_lt_u32_e32 vcc, s14, v1
	v_cndmask_b32_e32 v5, v5, v6, vcc
; %bb.2163:
	s_or_b64 exec, exec, s[10:11]
	global_store_byte v[3:4], v5, off
.LBB324_2164:
	s_mov_b64 s[10:11], 0
.LBB324_2165:
	s_andn2_b64 vcc, exec, s[10:11]
	s_cbranch_vccnz .LBB324_2175
; %bb.2166:
	v_cndmask_b32_e64 v1, 0, 1.0, s[2:3]
	s_mov_b32 s10, 0x47800000
	v_cmp_gt_u32_e32 vcc, s10, v1
                                        ; implicit-def: $vgpr5
	s_and_saveexec_b64 s[10:11], vcc
	s_xor_b64 s[10:11], exec, s[10:11]
	s_cbranch_execz .LBB324_2172
; %bb.2167:
	s_mov_b32 s14, 0x387fffff
	v_cmp_lt_u32_e32 vcc, s14, v1
                                        ; implicit-def: $vgpr5
	s_and_saveexec_b64 s[14:15], vcc
	s_xor_b64 s[14:15], exec, s[14:15]
; %bb.2168:
	v_bfe_u32 v5, v1, 21, 1
	s_mov_b32 s16, 0x80fffff
	v_add3_u32 v1, v1, v5, s16
	v_lshrrev_b32_e32 v5, 21, v1
                                        ; implicit-def: $vgpr1
; %bb.2169:
	s_andn2_saveexec_b64 s[14:15], s[14:15]
; %bb.2170:
	v_add_f32_e32 v5, 0x43000000, v1
; %bb.2171:
	s_or_b64 exec, exec, s[14:15]
                                        ; implicit-def: $vgpr1
.LBB324_2172:
	s_andn2_saveexec_b64 s[10:11], s[10:11]
; %bb.2173:
	s_mov_b32 s14, 0x7f800000
	v_mov_b32_e32 v5, 0x7c
	v_mov_b32_e32 v6, 0x7f
	v_cmp_lt_u32_e32 vcc, s14, v1
	v_cndmask_b32_e32 v5, v5, v6, vcc
; %bb.2174:
	s_or_b64 exec, exec, s[10:11]
	global_store_byte v[3:4], v5, off
.LBB324_2175:
	s_mov_b64 s[10:11], 0
	s_mov_b64 s[14:15], -1
.LBB324_2176:
	s_andn2_b64 vcc, exec, s[10:11]
	s_mov_b64 s[10:11], 0
	s_cbranch_vccnz .LBB324_2183
; %bb.2177:
	s_cmp_gt_i32 s21, 14
	s_mov_b64 s[16:17], -1
	s_cbranch_scc0 .LBB324_2181
; %bb.2178:
	s_cmp_eq_u32 s21, 15
	s_mov_b64 s[4:5], -1
	s_cbranch_scc0 .LBB324_2180
; %bb.2179:
	v_cndmask_b32_e64 v1, 0, 1.0, s[2:3]
	v_bfe_u32 v5, v1, 16, 1
	s_movk_i32 s4, 0x7fff
	v_add3_u32 v1, v1, v5, s4
	global_store_short_d16_hi v[3:4], v1, off
	s_mov_b64 s[4:5], 0
	s_mov_b64 s[14:15], -1
.LBB324_2180:
	s_mov_b64 s[16:17], 0
.LBB324_2181:
	s_and_b64 vcc, exec, s[16:17]
	s_cbranch_vccz .LBB324_2183
; %bb.2182:
	s_cmp_lg_u32 s21, 11
	s_mov_b64 s[10:11], -1
	s_cselect_b64 s[4:5], -1, 0
.LBB324_2183:
	s_and_b64 vcc, exec, s[4:5]
	s_cbranch_vccnz .LBB324_2477
; %bb.2184:
	s_andn2_b64 vcc, exec, s[10:11]
	s_cbranch_vccnz .LBB324_2186
.LBB324_2185:
	v_cndmask_b32_e64 v1, 0, 1, s[2:3]
	s_mov_b64 s[14:15], -1
	global_store_byte v[3:4], v1, off
.LBB324_2186:
	s_mov_b64 s[4:5], 0
	s_branch .LBB324_2188
.LBB324_2187:
	s_mov_b64 s[4:5], -1
	s_mov_b64 s[14:15], 0
.LBB324_2188:
	s_and_b64 vcc, exec, s[4:5]
	s_cbranch_vccz .LBB324_2227
; %bb.2189:
	s_cmp_lt_i32 s21, 5
	s_mov_b64 s[4:5], -1
	s_cbranch_scc1 .LBB324_2210
; %bb.2190:
	s_cmp_lt_i32 s21, 8
	s_cbranch_scc1 .LBB324_2200
; %bb.2191:
	s_cmp_lt_i32 s21, 9
	s_cbranch_scc1 .LBB324_2197
; %bb.2192:
	s_cmp_gt_i32 s21, 9
	s_cbranch_scc0 .LBB324_2194
; %bb.2193:
	v_cndmask_b32_e64 v1, 0, 1, s[2:3]
	v_cvt_f64_u32_e32 v[11:12], v1
	v_mov_b32_e32 v13, 0
	v_mov_b32_e32 v14, v13
	s_mov_b64 s[4:5], 0
	global_store_dwordx4 v[3:4], v[11:14], off
.LBB324_2194:
	s_andn2_b64 vcc, exec, s[4:5]
	s_cbranch_vccnz .LBB324_2196
; %bb.2195:
	v_cndmask_b32_e64 v5, 0, 1.0, s[2:3]
	v_mov_b32_e32 v6, 0
	global_store_dwordx2 v[3:4], v[5:6], off
.LBB324_2196:
	s_mov_b64 s[4:5], 0
.LBB324_2197:
	s_andn2_b64 vcc, exec, s[4:5]
	s_cbranch_vccnz .LBB324_2199
; %bb.2198:
	v_cndmask_b32_e64 v1, 0, 1.0, s[2:3]
	v_cvt_f16_f32_e32 v1, v1
	global_store_dword v[3:4], v1, off
.LBB324_2199:
	s_mov_b64 s[4:5], 0
.LBB324_2200:
	s_andn2_b64 vcc, exec, s[4:5]
	s_cbranch_vccnz .LBB324_2209
; %bb.2201:
	s_cmp_lt_i32 s21, 6
	s_mov_b64 s[4:5], -1
	s_cbranch_scc1 .LBB324_2207
; %bb.2202:
	s_cmp_gt_i32 s21, 6
	s_cbranch_scc0 .LBB324_2204
; %bb.2203:
	v_cndmask_b32_e64 v1, 0, 1, s[2:3]
	v_cvt_f64_u32_e32 v[5:6], v1
	s_mov_b64 s[4:5], 0
	global_store_dwordx2 v[3:4], v[5:6], off
.LBB324_2204:
	s_andn2_b64 vcc, exec, s[4:5]
	s_cbranch_vccnz .LBB324_2206
; %bb.2205:
	v_cndmask_b32_e64 v1, 0, 1.0, s[2:3]
	global_store_dword v[3:4], v1, off
.LBB324_2206:
	s_mov_b64 s[4:5], 0
.LBB324_2207:
	s_andn2_b64 vcc, exec, s[4:5]
	s_cbranch_vccnz .LBB324_2209
; %bb.2208:
	v_cndmask_b32_e64 v1, 0, 1.0, s[2:3]
	v_cvt_f16_f32_e32 v1, v1
	global_store_short v[3:4], v1, off
.LBB324_2209:
	s_mov_b64 s[4:5], 0
.LBB324_2210:
	s_andn2_b64 vcc, exec, s[4:5]
	s_cbranch_vccnz .LBB324_2226
; %bb.2211:
	s_cmp_lt_i32 s21, 2
	s_mov_b64 s[4:5], -1
	s_cbranch_scc1 .LBB324_2221
; %bb.2212:
	s_cmp_lt_i32 s21, 3
	s_cbranch_scc1 .LBB324_2218
; %bb.2213:
	s_cmp_gt_i32 s21, 3
	s_cbranch_scc0 .LBB324_2215
; %bb.2214:
	s_mov_b32 s4, 0
	v_cndmask_b32_e64 v5, 0, 1, s[2:3]
	v_mov_b32_e32 v6, s4
	global_store_dwordx2 v[3:4], v[5:6], off
	s_mov_b64 s[4:5], 0
.LBB324_2215:
	s_andn2_b64 vcc, exec, s[4:5]
	s_cbranch_vccnz .LBB324_2217
; %bb.2216:
	v_cndmask_b32_e64 v1, 0, 1, s[2:3]
	global_store_dword v[3:4], v1, off
.LBB324_2217:
	s_mov_b64 s[4:5], 0
.LBB324_2218:
	s_andn2_b64 vcc, exec, s[4:5]
	s_cbranch_vccnz .LBB324_2220
; %bb.2219:
	v_cndmask_b32_e64 v1, 0, 1, s[2:3]
	global_store_short v[3:4], v1, off
.LBB324_2220:
	s_mov_b64 s[4:5], 0
.LBB324_2221:
	s_andn2_b64 vcc, exec, s[4:5]
	s_cbranch_vccnz .LBB324_2226
; %bb.2222:
	s_mov_b64 s[4:5], -1
	s_cmp_gt_i32 s21, 0
	v_cndmask_b32_e64 v1, 0, 1, s[2:3]
	s_cbranch_scc0 .LBB324_2224
; %bb.2223:
	global_store_byte v[3:4], v1, off
	s_mov_b64 s[4:5], 0
.LBB324_2224:
	s_andn2_b64 vcc, exec, s[4:5]
	s_cbranch_vccnz .LBB324_2226
; %bb.2225:
	global_store_byte v[3:4], v1, off
.LBB324_2226:
	s_mov_b64 s[14:15], -1
.LBB324_2227:
	s_andn2_b64 vcc, exec, s[14:15]
	s_cbranch_vccnz .LBB324_2423
; %bb.2228:
	s_movk_i32 s2, 0xff
	v_mov_b32_e32 v1, 23
	v_lshlrev_b32_sdwa v1, v1, v10 dst_sel:DWORD dst_unused:UNUSED_PAD src0_sel:DWORD src1_sel:BYTE_0
	v_mov_b32_e32 v3, 0x7f800001
	v_cmp_ne_u16_sdwa vcc, v10, s2 src0_sel:BYTE_0 src1_sel:DWORD
	v_cndmask_b32_e32 v1, v3, v1, vcc
	v_mov_b32_e32 v3, 0
	v_mov_b32_e32 v4, 0x400000
	v_cmp_ne_u16_sdwa vcc, v10, v3 src0_sel:BYTE_0 src1_sel:DWORD
	v_cndmask_b32_e32 v1, v4, v1, vcc
	v_cmp_eq_f32_e32 vcc, v7, v1
	v_cndmask_b32_e64 v3, 0, 1, vcc
	v_cmp_neq_f32_e32 vcc, v7, v1
	v_cndmask_b32_e64 v1, 0, 1, vcc
	v_cndmask_b32_e64 v1, v1, v3, s[0:1]
	v_and_b32_e32 v1, 1, v1
	v_cmp_eq_u32_e64 s[2:3], 1, v1
	v_mov_b32_e32 v3, s9
	v_add_co_u32_e32 v1, vcc, s8, v2
	s_cmp_lt_i32 s21, 11
	v_addc_co_u32_e32 v2, vcc, 0, v3, vcc
	s_cbranch_scc1 .LBB324_2306
; %bb.2229:
	s_mov_b64 s[16:17], -1
	s_mov_b64 s[10:11], 0
	s_cmp_gt_i32 s21, 25
	s_mov_b64 s[14:15], 0
	s_mov_b64 s[4:5], 0
	s_cbranch_scc0 .LBB324_2262
; %bb.2230:
	s_cmp_gt_i32 s21, 28
	s_cbranch_scc0 .LBB324_2245
; %bb.2231:
	s_cmp_gt_i32 s21, 43
	;; [unrolled: 3-line block ×3, first 2 shown]
	s_cbranch_scc0 .LBB324_2235
; %bb.2233:
	s_mov_b64 s[4:5], -1
	s_mov_b64 s[16:17], 0
	s_cmp_eq_u32 s21, 46
	s_cbranch_scc0 .LBB324_2235
; %bb.2234:
	v_cndmask_b32_e64 v3, 0, 1.0, s[2:3]
	v_bfe_u32 v4, v3, 16, 1
	s_movk_i32 s4, 0x7fff
	v_add3_u32 v3, v3, v4, s4
	v_lshrrev_b32_e32 v3, 16, v3
	global_store_dword v[1:2], v3, off
	s_mov_b64 s[4:5], 0
	s_mov_b64 s[14:15], -1
.LBB324_2235:
	s_and_b64 vcc, exec, s[16:17]
	s_cbranch_vccz .LBB324_2240
; %bb.2236:
	s_cmp_eq_u32 s21, 44
	s_mov_b64 s[4:5], -1
	s_cbranch_scc0 .LBB324_2240
; %bb.2237:
	v_cndmask_b32_e64 v4, 0, 1.0, s[2:3]
	v_lshrrev_b32_e32 v3, 23, v4
	s_movk_i32 s4, 0xff
	v_cmp_ne_u32_e32 vcc, s4, v3
	v_mov_b32_e32 v5, 0xff
	s_and_saveexec_b64 s[14:15], vcc
; %bb.2238:
	s_mov_b32 s4, 0x3fffff
	v_and_b32_e32 v5, 0x400000, v4
	v_and_or_b32 v4, v4, s4, v3
	v_cmp_ne_u32_e32 vcc, 0, v5
	v_cmp_ne_u32_e64 s[4:5], 0, v4
	s_and_b64 s[4:5], vcc, s[4:5]
	v_cndmask_b32_e64 v4, 0, 1, s[4:5]
	v_add_u32_e32 v5, v3, v4
; %bb.2239:
	s_or_b64 exec, exec, s[14:15]
	s_mov_b64 s[4:5], 0
	s_mov_b64 s[14:15], -1
	global_store_byte v[1:2], v5, off
.LBB324_2240:
	s_mov_b64 s[16:17], 0
.LBB324_2241:
	s_and_b64 vcc, exec, s[16:17]
	s_cbranch_vccz .LBB324_2244
; %bb.2242:
	s_cmp_eq_u32 s21, 29
	s_mov_b64 s[4:5], -1
	s_cbranch_scc0 .LBB324_2244
; %bb.2243:
	s_mov_b32 s4, 0
	v_cndmask_b32_e64 v3, 0, 1, s[2:3]
	v_mov_b32_e32 v4, s4
	global_store_dwordx2 v[1:2], v[3:4], off
	s_mov_b64 s[4:5], 0
	s_mov_b64 s[14:15], -1
.LBB324_2244:
	s_mov_b64 s[16:17], 0
.LBB324_2245:
	s_and_b64 vcc, exec, s[16:17]
	s_cbranch_vccz .LBB324_2261
; %bb.2246:
	s_cmp_lt_i32 s21, 27
	s_mov_b64 s[14:15], -1
	s_cbranch_scc1 .LBB324_2252
; %bb.2247:
	s_cmp_gt_i32 s21, 27
	s_cbranch_scc0 .LBB324_2249
; %bb.2248:
	v_cndmask_b32_e64 v3, 0, 1, s[2:3]
	s_mov_b64 s[14:15], 0
	global_store_dword v[1:2], v3, off
.LBB324_2249:
	s_andn2_b64 vcc, exec, s[14:15]
	s_cbranch_vccnz .LBB324_2251
; %bb.2250:
	v_cndmask_b32_e64 v3, 0, 1, s[2:3]
	global_store_short v[1:2], v3, off
.LBB324_2251:
	s_mov_b64 s[14:15], 0
.LBB324_2252:
	s_andn2_b64 vcc, exec, s[14:15]
	s_cbranch_vccnz .LBB324_2260
; %bb.2253:
	v_cndmask_b32_e64 v4, 0, 1.0, s[2:3]
	s_mov_b32 s14, 0x43800000
	v_cmp_gt_u32_e32 vcc, s14, v4
	v_mov_b32_e32 v5, 0x80
	s_and_saveexec_b64 s[14:15], vcc
	s_cbranch_execz .LBB324_2259
; %bb.2254:
	s_mov_b32 s16, 0x3bffffff
	v_cmp_lt_u32_e32 vcc, s16, v4
	s_mov_b64 s[16:17], 0
                                        ; implicit-def: $vgpr3
	s_and_saveexec_b64 s[18:19], vcc
	s_xor_b64 s[18:19], exec, s[18:19]
	s_cbranch_execz .LBB324_2480
; %bb.2255:
	v_bfe_u32 v3, v4, 20, 1
	s_mov_b32 s22, 0x487ffff
	v_add3_u32 v3, v4, v3, s22
	s_mov_b64 s[16:17], exec
	v_lshrrev_b32_e32 v3, 20, v3
                                        ; implicit-def: $vgpr4
	s_andn2_saveexec_b64 s[18:19], s[18:19]
	s_cbranch_execnz .LBB324_2481
.LBB324_2256:
	s_or_b64 exec, exec, s[18:19]
	v_mov_b32_e32 v5, 0
	s_and_saveexec_b64 s[18:19], s[16:17]
.LBB324_2257:
	v_mov_b32_e32 v5, v3
.LBB324_2258:
	s_or_b64 exec, exec, s[18:19]
.LBB324_2259:
	s_or_b64 exec, exec, s[14:15]
	global_store_byte v[1:2], v5, off
.LBB324_2260:
	s_mov_b64 s[14:15], -1
.LBB324_2261:
	s_mov_b64 s[16:17], 0
.LBB324_2262:
	s_and_b64 vcc, exec, s[16:17]
	s_cbranch_vccz .LBB324_2302
; %bb.2263:
	s_cmp_gt_i32 s21, 22
	s_mov_b64 s[10:11], -1
	s_cbranch_scc0 .LBB324_2295
; %bb.2264:
	s_cmp_lt_i32 s21, 24
	s_cbranch_scc1 .LBB324_2284
; %bb.2265:
	s_cmp_gt_i32 s21, 24
	s_cbranch_scc0 .LBB324_2273
; %bb.2266:
	v_cndmask_b32_e64 v4, 0, 1.0, s[2:3]
	s_mov_b32 s10, 0x47800000
	v_cmp_gt_u32_e32 vcc, s10, v4
	v_mov_b32_e32 v5, 0x80
	s_and_saveexec_b64 s[10:11], vcc
	s_cbranch_execz .LBB324_2272
; %bb.2267:
	s_mov_b32 s14, 0x37ffffff
	v_cmp_lt_u32_e32 vcc, s14, v4
	s_mov_b64 s[14:15], 0
                                        ; implicit-def: $vgpr3
	s_and_saveexec_b64 s[16:17], vcc
	s_xor_b64 s[16:17], exec, s[16:17]
	s_cbranch_execz .LBB324_2483
; %bb.2268:
	v_bfe_u32 v3, v4, 21, 1
	s_mov_b32 s18, 0x88fffff
	v_add3_u32 v3, v4, v3, s18
	s_mov_b64 s[14:15], exec
	v_lshrrev_b32_e32 v3, 21, v3
                                        ; implicit-def: $vgpr4
	s_andn2_saveexec_b64 s[16:17], s[16:17]
	s_cbranch_execnz .LBB324_2484
.LBB324_2269:
	s_or_b64 exec, exec, s[16:17]
	v_mov_b32_e32 v5, 0
	s_and_saveexec_b64 s[16:17], s[14:15]
.LBB324_2270:
	v_mov_b32_e32 v5, v3
.LBB324_2271:
	s_or_b64 exec, exec, s[16:17]
.LBB324_2272:
	s_or_b64 exec, exec, s[10:11]
	s_mov_b64 s[10:11], 0
	global_store_byte v[1:2], v5, off
.LBB324_2273:
	s_and_b64 vcc, exec, s[10:11]
	s_cbranch_vccz .LBB324_2283
; %bb.2274:
	v_cndmask_b32_e64 v3, 0, 1.0, s[2:3]
	s_mov_b32 s10, 0x43f00000
	v_cmp_gt_u32_e32 vcc, s10, v3
                                        ; implicit-def: $vgpr4
	s_and_saveexec_b64 s[10:11], vcc
	s_xor_b64 s[10:11], exec, s[10:11]
	s_cbranch_execz .LBB324_2280
; %bb.2275:
	s_mov_b32 s14, 0x3c7fffff
	v_cmp_lt_u32_e32 vcc, s14, v3
                                        ; implicit-def: $vgpr4
	s_and_saveexec_b64 s[14:15], vcc
	s_xor_b64 s[14:15], exec, s[14:15]
; %bb.2276:
	v_bfe_u32 v4, v3, 20, 1
	s_mov_b32 s16, 0x407ffff
	v_add3_u32 v3, v3, v4, s16
	v_lshrrev_b32_e32 v4, 20, v3
	v_and_b32_e32 v3, 0xff00000, v3
	s_mov_b32 s16, 0x7f00000
	v_mov_b32_e32 v5, 0x7e
	v_cmp_ne_u32_e32 vcc, s16, v3
	v_cndmask_b32_e32 v4, v5, v4, vcc
                                        ; implicit-def: $vgpr3
; %bb.2277:
	s_andn2_saveexec_b64 s[14:15], s[14:15]
; %bb.2278:
	v_add_f32_e32 v4, 0x46800000, v3
; %bb.2279:
	s_or_b64 exec, exec, s[14:15]
                                        ; implicit-def: $vgpr3
.LBB324_2280:
	s_andn2_saveexec_b64 s[10:11], s[10:11]
; %bb.2281:
	s_mov_b32 s14, 0x7f800000
	v_mov_b32_e32 v4, 0x7e
	v_mov_b32_e32 v5, 0x7f
	v_cmp_lt_u32_e32 vcc, s14, v3
	v_cndmask_b32_e32 v4, v4, v5, vcc
; %bb.2282:
	s_or_b64 exec, exec, s[10:11]
	global_store_byte v[1:2], v4, off
.LBB324_2283:
	s_mov_b64 s[10:11], 0
.LBB324_2284:
	s_andn2_b64 vcc, exec, s[10:11]
	s_cbranch_vccnz .LBB324_2294
; %bb.2285:
	v_cndmask_b32_e64 v3, 0, 1.0, s[2:3]
	s_mov_b32 s10, 0x47800000
	v_cmp_gt_u32_e32 vcc, s10, v3
                                        ; implicit-def: $vgpr4
	s_and_saveexec_b64 s[10:11], vcc
	s_xor_b64 s[10:11], exec, s[10:11]
	s_cbranch_execz .LBB324_2291
; %bb.2286:
	s_mov_b32 s14, 0x387fffff
	v_cmp_lt_u32_e32 vcc, s14, v3
                                        ; implicit-def: $vgpr4
	s_and_saveexec_b64 s[14:15], vcc
	s_xor_b64 s[14:15], exec, s[14:15]
; %bb.2287:
	v_bfe_u32 v4, v3, 21, 1
	s_mov_b32 s16, 0x80fffff
	v_add3_u32 v3, v3, v4, s16
	v_lshrrev_b32_e32 v4, 21, v3
                                        ; implicit-def: $vgpr3
; %bb.2288:
	s_andn2_saveexec_b64 s[14:15], s[14:15]
; %bb.2289:
	v_add_f32_e32 v4, 0x43000000, v3
; %bb.2290:
	s_or_b64 exec, exec, s[14:15]
                                        ; implicit-def: $vgpr3
.LBB324_2291:
	s_andn2_saveexec_b64 s[10:11], s[10:11]
; %bb.2292:
	s_mov_b32 s14, 0x7f800000
	v_mov_b32_e32 v4, 0x7c
	v_mov_b32_e32 v5, 0x7f
	v_cmp_lt_u32_e32 vcc, s14, v3
	v_cndmask_b32_e32 v4, v4, v5, vcc
; %bb.2293:
	s_or_b64 exec, exec, s[10:11]
	global_store_byte v[1:2], v4, off
.LBB324_2294:
	s_mov_b64 s[10:11], 0
	s_mov_b64 s[14:15], -1
.LBB324_2295:
	s_andn2_b64 vcc, exec, s[10:11]
	s_mov_b64 s[10:11], 0
	s_cbranch_vccnz .LBB324_2302
; %bb.2296:
	s_cmp_gt_i32 s21, 14
	s_mov_b64 s[16:17], -1
	s_cbranch_scc0 .LBB324_2300
; %bb.2297:
	s_cmp_eq_u32 s21, 15
	s_mov_b64 s[4:5], -1
	s_cbranch_scc0 .LBB324_2299
; %bb.2298:
	v_cndmask_b32_e64 v3, 0, 1.0, s[2:3]
	v_bfe_u32 v4, v3, 16, 1
	s_movk_i32 s4, 0x7fff
	v_add3_u32 v3, v3, v4, s4
	global_store_short_d16_hi v[1:2], v3, off
	s_mov_b64 s[4:5], 0
	s_mov_b64 s[14:15], -1
.LBB324_2299:
	s_mov_b64 s[16:17], 0
.LBB324_2300:
	s_and_b64 vcc, exec, s[16:17]
	s_cbranch_vccz .LBB324_2302
; %bb.2301:
	s_cmp_lg_u32 s21, 11
	s_mov_b64 s[10:11], -1
	s_cselect_b64 s[4:5], -1, 0
.LBB324_2302:
	s_and_b64 vcc, exec, s[4:5]
	s_cbranch_vccnz .LBB324_2482
; %bb.2303:
	s_andn2_b64 vcc, exec, s[10:11]
	s_cbranch_vccnz .LBB324_2305
.LBB324_2304:
	v_cndmask_b32_e64 v3, 0, 1, s[2:3]
	s_mov_b64 s[14:15], -1
	global_store_byte v[1:2], v3, off
.LBB324_2305:
	s_mov_b64 s[4:5], 0
	s_branch .LBB324_2307
.LBB324_2306:
	s_mov_b64 s[4:5], -1
	s_mov_b64 s[14:15], 0
.LBB324_2307:
	s_and_b64 vcc, exec, s[4:5]
	s_cbranch_vccz .LBB324_2346
; %bb.2308:
	s_cmp_lt_i32 s21, 5
	s_mov_b64 s[4:5], -1
	s_cbranch_scc1 .LBB324_2329
; %bb.2309:
	s_cmp_lt_i32 s21, 8
	s_cbranch_scc1 .LBB324_2319
; %bb.2310:
	s_cmp_lt_i32 s21, 9
	s_cbranch_scc1 .LBB324_2316
; %bb.2311:
	s_cmp_gt_i32 s21, 9
	s_cbranch_scc0 .LBB324_2313
; %bb.2312:
	v_cndmask_b32_e64 v3, 0, 1, s[2:3]
	v_cvt_f64_u32_e32 v[3:4], v3
	v_mov_b32_e32 v5, 0
	v_mov_b32_e32 v6, v5
	s_mov_b64 s[4:5], 0
	global_store_dwordx4 v[1:2], v[3:6], off
.LBB324_2313:
	s_andn2_b64 vcc, exec, s[4:5]
	s_cbranch_vccnz .LBB324_2315
; %bb.2314:
	v_cndmask_b32_e64 v3, 0, 1.0, s[2:3]
	v_mov_b32_e32 v4, 0
	global_store_dwordx2 v[1:2], v[3:4], off
.LBB324_2315:
	s_mov_b64 s[4:5], 0
.LBB324_2316:
	s_andn2_b64 vcc, exec, s[4:5]
	s_cbranch_vccnz .LBB324_2318
; %bb.2317:
	v_cndmask_b32_e64 v3, 0, 1.0, s[2:3]
	v_cvt_f16_f32_e32 v3, v3
	global_store_dword v[1:2], v3, off
.LBB324_2318:
	s_mov_b64 s[4:5], 0
.LBB324_2319:
	s_andn2_b64 vcc, exec, s[4:5]
	s_cbranch_vccnz .LBB324_2328
; %bb.2320:
	s_cmp_lt_i32 s21, 6
	s_mov_b64 s[4:5], -1
	s_cbranch_scc1 .LBB324_2326
; %bb.2321:
	s_cmp_gt_i32 s21, 6
	s_cbranch_scc0 .LBB324_2323
; %bb.2322:
	v_cndmask_b32_e64 v3, 0, 1, s[2:3]
	v_cvt_f64_u32_e32 v[3:4], v3
	s_mov_b64 s[4:5], 0
	global_store_dwordx2 v[1:2], v[3:4], off
.LBB324_2323:
	s_andn2_b64 vcc, exec, s[4:5]
	s_cbranch_vccnz .LBB324_2325
; %bb.2324:
	v_cndmask_b32_e64 v3, 0, 1.0, s[2:3]
	global_store_dword v[1:2], v3, off
.LBB324_2325:
	s_mov_b64 s[4:5], 0
.LBB324_2326:
	s_andn2_b64 vcc, exec, s[4:5]
	s_cbranch_vccnz .LBB324_2328
; %bb.2327:
	v_cndmask_b32_e64 v3, 0, 1.0, s[2:3]
	v_cvt_f16_f32_e32 v3, v3
	global_store_short v[1:2], v3, off
.LBB324_2328:
	s_mov_b64 s[4:5], 0
.LBB324_2329:
	s_andn2_b64 vcc, exec, s[4:5]
	s_cbranch_vccnz .LBB324_2345
; %bb.2330:
	s_cmp_lt_i32 s21, 2
	s_mov_b64 s[4:5], -1
	s_cbranch_scc1 .LBB324_2340
; %bb.2331:
	s_cmp_lt_i32 s21, 3
	s_cbranch_scc1 .LBB324_2337
; %bb.2332:
	s_cmp_gt_i32 s21, 3
	s_cbranch_scc0 .LBB324_2334
; %bb.2333:
	s_mov_b32 s4, 0
	v_cndmask_b32_e64 v3, 0, 1, s[2:3]
	v_mov_b32_e32 v4, s4
	global_store_dwordx2 v[1:2], v[3:4], off
	s_mov_b64 s[4:5], 0
.LBB324_2334:
	s_andn2_b64 vcc, exec, s[4:5]
	s_cbranch_vccnz .LBB324_2336
; %bb.2335:
	v_cndmask_b32_e64 v3, 0, 1, s[2:3]
	global_store_dword v[1:2], v3, off
.LBB324_2336:
	s_mov_b64 s[4:5], 0
.LBB324_2337:
	s_andn2_b64 vcc, exec, s[4:5]
	s_cbranch_vccnz .LBB324_2339
; %bb.2338:
	v_cndmask_b32_e64 v3, 0, 1, s[2:3]
	global_store_short v[1:2], v3, off
.LBB324_2339:
	s_mov_b64 s[4:5], 0
.LBB324_2340:
	s_andn2_b64 vcc, exec, s[4:5]
	s_cbranch_vccnz .LBB324_2345
; %bb.2341:
	s_cmp_gt_i32 s21, 0
	s_mov_b64 s[4:5], -1
	s_cbranch_scc0 .LBB324_2343
; %bb.2342:
	v_cndmask_b32_e64 v3, 0, 1, s[2:3]
	global_store_byte v[1:2], v3, off
	s_mov_b64 s[4:5], 0
.LBB324_2343:
	s_andn2_b64 vcc, exec, s[4:5]
	s_cbranch_vccnz .LBB324_2345
; %bb.2344:
	v_cndmask_b32_e64 v3, 0, 1, s[2:3]
	global_store_byte v[1:2], v3, off
.LBB324_2345:
	s_mov_b64 s[14:15], -1
.LBB324_2346:
	s_andn2_b64 vcc, exec, s[14:15]
	s_cbranch_vccnz .LBB324_2423
; %bb.2347:
	s_movk_i32 s2, 0xff
	v_mov_b32_e32 v1, 23
	v_lshlrev_b32_sdwa v1, v1, v9 dst_sel:DWORD dst_unused:UNUSED_PAD src0_sel:DWORD src1_sel:BYTE_0
	v_mov_b32_e32 v2, 0x7f800001
	v_cmp_ne_u16_sdwa vcc, v9, s2 src0_sel:BYTE_0 src1_sel:DWORD
	v_cndmask_b32_e32 v1, v2, v1, vcc
	v_mov_b32_e32 v2, 0
	v_mov_b32_e32 v3, 0x400000
	v_cmp_ne_u16_sdwa vcc, v9, v2 src0_sel:BYTE_0 src1_sel:DWORD
	v_cndmask_b32_e32 v1, v3, v1, vcc
	v_cmp_eq_f32_e32 vcc, v7, v1
	v_cndmask_b32_e64 v2, 0, 1, vcc
	v_cmp_neq_f32_e32 vcc, v7, v1
	v_cndmask_b32_e64 v1, 0, 1, vcc
	v_cndmask_b32_e64 v1, v1, v2, s[0:1]
	v_and_b32_e32 v1, 1, v1
	v_cmp_eq_u32_e64 s[2:3], 1, v1
	v_mov_b32_e32 v1, s9
	v_add_co_u32_e32 v0, vcc, s8, v0
	s_cmp_lt_i32 s21, 11
	v_addc_co_u32_e32 v1, vcc, 0, v1, vcc
	s_cbranch_scc1 .LBB324_2468
; %bb.2348:
	s_mov_b64 s[8:9], -1
	s_mov_b64 s[4:5], 0
	s_cmp_gt_i32 s21, 25
	s_mov_b64 s[0:1], 0
	s_cbranch_scc0 .LBB324_2381
; %bb.2349:
	s_cmp_gt_i32 s21, 28
	s_cbranch_scc0 .LBB324_2365
; %bb.2350:
	s_cmp_gt_i32 s21, 43
	;; [unrolled: 3-line block ×3, first 2 shown]
	s_cbranch_scc0 .LBB324_2355
; %bb.2352:
	s_cmp_eq_u32 s21, 46
	s_mov_b64 s[0:1], -1
	s_cbranch_scc0 .LBB324_2354
; %bb.2353:
	v_cndmask_b32_e64 v2, 0, 1.0, s[2:3]
	v_bfe_u32 v3, v2, 16, 1
	s_movk_i32 s0, 0x7fff
	v_add3_u32 v2, v2, v3, s0
	v_lshrrev_b32_e32 v2, 16, v2
	global_store_dword v[0:1], v2, off
	s_mov_b64 s[0:1], 0
.LBB324_2354:
	s_mov_b64 s[8:9], 0
.LBB324_2355:
	s_and_b64 vcc, exec, s[8:9]
	s_cbranch_vccz .LBB324_2360
; %bb.2356:
	s_cmp_eq_u32 s21, 44
	s_mov_b64 s[0:1], -1
	s_cbranch_scc0 .LBB324_2360
; %bb.2357:
	v_cndmask_b32_e64 v3, 0, 1.0, s[2:3]
	v_lshrrev_b32_e32 v2, 23, v3
	s_movk_i32 s0, 0xff
	v_cmp_ne_u32_e32 vcc, s0, v2
	v_mov_b32_e32 v4, 0xff
	s_and_saveexec_b64 s[8:9], vcc
; %bb.2358:
	s_mov_b32 s0, 0x3fffff
	v_and_b32_e32 v4, 0x400000, v3
	v_and_or_b32 v3, v3, s0, v2
	v_cmp_ne_u32_e32 vcc, 0, v4
	v_cmp_ne_u32_e64 s[0:1], 0, v3
	s_and_b64 s[0:1], vcc, s[0:1]
	v_cndmask_b32_e64 v3, 0, 1, s[0:1]
	v_add_u32_e32 v4, v2, v3
; %bb.2359:
	s_or_b64 exec, exec, s[8:9]
	s_mov_b64 s[0:1], 0
	global_store_byte v[0:1], v4, off
.LBB324_2360:
	s_mov_b64 s[8:9], 0
.LBB324_2361:
	s_and_b64 vcc, exec, s[8:9]
	s_cbranch_vccz .LBB324_2364
; %bb.2362:
	s_cmp_eq_u32 s21, 29
	s_mov_b64 s[0:1], -1
	s_cbranch_scc0 .LBB324_2364
; %bb.2363:
	s_mov_b32 s0, 0
	v_cndmask_b32_e64 v2, 0, 1, s[2:3]
	v_mov_b32_e32 v3, s0
	global_store_dwordx2 v[0:1], v[2:3], off
	s_mov_b64 s[0:1], 0
.LBB324_2364:
	s_mov_b64 s[8:9], 0
.LBB324_2365:
	s_and_b64 vcc, exec, s[8:9]
	s_cbranch_vccz .LBB324_2380
; %bb.2366:
	s_cmp_lt_i32 s21, 27
	s_mov_b64 s[8:9], -1
	s_cbranch_scc1 .LBB324_2372
; %bb.2367:
	s_cmp_gt_i32 s21, 27
	s_cbranch_scc0 .LBB324_2369
; %bb.2368:
	v_cndmask_b32_e64 v2, 0, 1, s[2:3]
	global_store_dword v[0:1], v2, off
	s_mov_b64 s[8:9], 0
.LBB324_2369:
	s_andn2_b64 vcc, exec, s[8:9]
	s_cbranch_vccnz .LBB324_2371
; %bb.2370:
	v_cndmask_b32_e64 v2, 0, 1, s[2:3]
	global_store_short v[0:1], v2, off
.LBB324_2371:
	s_mov_b64 s[8:9], 0
.LBB324_2372:
	s_andn2_b64 vcc, exec, s[8:9]
	s_cbranch_vccnz .LBB324_2380
; %bb.2373:
	v_cndmask_b32_e64 v3, 0, 1.0, s[2:3]
	s_mov_b32 s8, 0x43800000
	v_cmp_gt_u32_e32 vcc, s8, v3
	v_mov_b32_e32 v4, 0x80
	s_and_saveexec_b64 s[8:9], vcc
	s_cbranch_execz .LBB324_2379
; %bb.2374:
	s_mov_b32 s10, 0x3bffffff
	v_cmp_lt_u32_e32 vcc, s10, v3
	s_mov_b64 s[10:11], 0
                                        ; implicit-def: $vgpr2
	s_and_saveexec_b64 s[14:15], vcc
	s_xor_b64 s[14:15], exec, s[14:15]
	s_cbranch_execz .LBB324_2485
; %bb.2375:
	v_bfe_u32 v2, v3, 20, 1
	s_mov_b32 s16, 0x487ffff
	v_add3_u32 v2, v3, v2, s16
	s_mov_b64 s[10:11], exec
	v_lshrrev_b32_e32 v2, 20, v2
                                        ; implicit-def: $vgpr3
	s_andn2_saveexec_b64 s[14:15], s[14:15]
	s_cbranch_execnz .LBB324_2486
.LBB324_2376:
	s_or_b64 exec, exec, s[14:15]
	v_mov_b32_e32 v4, 0
	s_and_saveexec_b64 s[14:15], s[10:11]
.LBB324_2377:
	v_mov_b32_e32 v4, v2
.LBB324_2378:
	s_or_b64 exec, exec, s[14:15]
.LBB324_2379:
	s_or_b64 exec, exec, s[8:9]
	global_store_byte v[0:1], v4, off
.LBB324_2380:
	s_mov_b64 s[8:9], 0
.LBB324_2381:
	s_and_b64 vcc, exec, s[8:9]
	s_cbranch_vccz .LBB324_2421
; %bb.2382:
	s_cmp_gt_i32 s21, 22
	s_mov_b64 s[4:5], -1
	s_cbranch_scc0 .LBB324_2414
; %bb.2383:
	s_cmp_lt_i32 s21, 24
	s_cbranch_scc1 .LBB324_2403
; %bb.2384:
	s_cmp_gt_i32 s21, 24
	s_cbranch_scc0 .LBB324_2392
; %bb.2385:
	v_cndmask_b32_e64 v3, 0, 1.0, s[2:3]
	s_mov_b32 s4, 0x47800000
	v_cmp_gt_u32_e32 vcc, s4, v3
	v_mov_b32_e32 v4, 0x80
	s_and_saveexec_b64 s[4:5], vcc
	s_cbranch_execz .LBB324_2391
; %bb.2386:
	s_mov_b32 s8, 0x37ffffff
	v_cmp_lt_u32_e32 vcc, s8, v3
	s_mov_b64 s[8:9], 0
                                        ; implicit-def: $vgpr2
	s_and_saveexec_b64 s[10:11], vcc
	s_xor_b64 s[10:11], exec, s[10:11]
	s_cbranch_execz .LBB324_2488
; %bb.2387:
	v_bfe_u32 v2, v3, 21, 1
	s_mov_b32 s14, 0x88fffff
	v_add3_u32 v2, v3, v2, s14
	s_mov_b64 s[8:9], exec
	v_lshrrev_b32_e32 v2, 21, v2
                                        ; implicit-def: $vgpr3
	s_andn2_saveexec_b64 s[10:11], s[10:11]
	s_cbranch_execnz .LBB324_2489
.LBB324_2388:
	s_or_b64 exec, exec, s[10:11]
	v_mov_b32_e32 v4, 0
	s_and_saveexec_b64 s[10:11], s[8:9]
.LBB324_2389:
	v_mov_b32_e32 v4, v2
.LBB324_2390:
	s_or_b64 exec, exec, s[10:11]
.LBB324_2391:
	s_or_b64 exec, exec, s[4:5]
	s_mov_b64 s[4:5], 0
	global_store_byte v[0:1], v4, off
.LBB324_2392:
	s_and_b64 vcc, exec, s[4:5]
	s_cbranch_vccz .LBB324_2402
; %bb.2393:
	v_cndmask_b32_e64 v2, 0, 1.0, s[2:3]
	s_mov_b32 s4, 0x43f00000
	v_cmp_gt_u32_e32 vcc, s4, v2
                                        ; implicit-def: $vgpr3
	s_and_saveexec_b64 s[4:5], vcc
	s_xor_b64 s[4:5], exec, s[4:5]
	s_cbranch_execz .LBB324_2399
; %bb.2394:
	s_mov_b32 s8, 0x3c7fffff
	v_cmp_lt_u32_e32 vcc, s8, v2
                                        ; implicit-def: $vgpr3
	s_and_saveexec_b64 s[8:9], vcc
	s_xor_b64 s[8:9], exec, s[8:9]
; %bb.2395:
	v_bfe_u32 v3, v2, 20, 1
	s_mov_b32 s10, 0x407ffff
	v_add3_u32 v2, v2, v3, s10
	v_lshrrev_b32_e32 v3, 20, v2
	v_and_b32_e32 v2, 0xff00000, v2
	s_mov_b32 s10, 0x7f00000
	v_mov_b32_e32 v4, 0x7e
	v_cmp_ne_u32_e32 vcc, s10, v2
	v_cndmask_b32_e32 v3, v4, v3, vcc
                                        ; implicit-def: $vgpr2
; %bb.2396:
	s_andn2_saveexec_b64 s[8:9], s[8:9]
; %bb.2397:
	v_add_f32_e32 v3, 0x46800000, v2
; %bb.2398:
	s_or_b64 exec, exec, s[8:9]
                                        ; implicit-def: $vgpr2
.LBB324_2399:
	s_andn2_saveexec_b64 s[4:5], s[4:5]
; %bb.2400:
	s_mov_b32 s8, 0x7f800000
	v_mov_b32_e32 v3, 0x7e
	v_mov_b32_e32 v4, 0x7f
	v_cmp_lt_u32_e32 vcc, s8, v2
	v_cndmask_b32_e32 v3, v3, v4, vcc
; %bb.2401:
	s_or_b64 exec, exec, s[4:5]
	global_store_byte v[0:1], v3, off
.LBB324_2402:
	s_mov_b64 s[4:5], 0
.LBB324_2403:
	s_andn2_b64 vcc, exec, s[4:5]
	s_cbranch_vccnz .LBB324_2413
; %bb.2404:
	v_cndmask_b32_e64 v2, 0, 1.0, s[2:3]
	s_mov_b32 s4, 0x47800000
	v_cmp_gt_u32_e32 vcc, s4, v2
                                        ; implicit-def: $vgpr3
	s_and_saveexec_b64 s[4:5], vcc
	s_xor_b64 s[4:5], exec, s[4:5]
	s_cbranch_execz .LBB324_2410
; %bb.2405:
	s_mov_b32 s8, 0x387fffff
	v_cmp_lt_u32_e32 vcc, s8, v2
                                        ; implicit-def: $vgpr3
	s_and_saveexec_b64 s[8:9], vcc
	s_xor_b64 s[8:9], exec, s[8:9]
; %bb.2406:
	v_bfe_u32 v3, v2, 21, 1
	s_mov_b32 s10, 0x80fffff
	v_add3_u32 v2, v2, v3, s10
	v_lshrrev_b32_e32 v3, 21, v2
                                        ; implicit-def: $vgpr2
; %bb.2407:
	s_andn2_saveexec_b64 s[8:9], s[8:9]
; %bb.2408:
	v_add_f32_e32 v3, 0x43000000, v2
; %bb.2409:
	s_or_b64 exec, exec, s[8:9]
                                        ; implicit-def: $vgpr2
.LBB324_2410:
	s_andn2_saveexec_b64 s[4:5], s[4:5]
; %bb.2411:
	s_mov_b32 s8, 0x7f800000
	v_mov_b32_e32 v3, 0x7c
	v_mov_b32_e32 v4, 0x7f
	v_cmp_lt_u32_e32 vcc, s8, v2
	v_cndmask_b32_e32 v3, v3, v4, vcc
; %bb.2412:
	s_or_b64 exec, exec, s[4:5]
	global_store_byte v[0:1], v3, off
.LBB324_2413:
	s_mov_b64 s[4:5], 0
.LBB324_2414:
	s_andn2_b64 vcc, exec, s[4:5]
	s_mov_b64 s[4:5], 0
	s_cbranch_vccnz .LBB324_2421
; %bb.2415:
	s_cmp_gt_i32 s21, 14
	s_mov_b64 s[8:9], -1
	s_cbranch_scc0 .LBB324_2419
; %bb.2416:
	s_cmp_eq_u32 s21, 15
	s_mov_b64 s[0:1], -1
	s_cbranch_scc0 .LBB324_2418
; %bb.2417:
	v_cndmask_b32_e64 v2, 0, 1.0, s[2:3]
	v_bfe_u32 v3, v2, 16, 1
	s_movk_i32 s0, 0x7fff
	v_add3_u32 v2, v2, v3, s0
	global_store_short_d16_hi v[0:1], v2, off
	s_mov_b64 s[0:1], 0
.LBB324_2418:
	s_mov_b64 s[8:9], 0
.LBB324_2419:
	s_and_b64 vcc, exec, s[8:9]
	s_cbranch_vccz .LBB324_2421
; %bb.2420:
	s_cmp_lg_u32 s21, 11
	s_mov_b64 s[4:5], -1
	s_cselect_b64 s[0:1], -1, 0
.LBB324_2421:
	s_and_b64 vcc, exec, s[0:1]
	s_cbranch_vccnz .LBB324_2487
.LBB324_2422:
	s_mov_b64 s[0:1], 0
	s_branch .LBB324_2424
.LBB324_2423:
	s_mov_b64 s[0:1], 0
	s_mov_b64 s[4:5], 0
                                        ; implicit-def: $sgpr2_sgpr3
                                        ; implicit-def: $vgpr0_vgpr1
                                        ; implicit-def: $sgpr20
.LBB324_2424:
	s_and_b64 s[44:45], s[4:5], exec
	s_andn2_b64 s[4:5], s[6:7], exec
	s_and_b64 s[6:7], s[12:13], exec
	s_and_b64 s[0:1], s[0:1], exec
	s_or_b64 s[6:7], s[4:5], s[6:7]
.LBB324_2425:
	s_or_b64 exec, exec, s[28:29]
	s_and_saveexec_b64 s[4:5], s[6:7]
	s_cbranch_execz .LBB324_2428
; %bb.2426:
	; divergent unreachable
	s_or_b64 exec, exec, s[4:5]
	s_and_saveexec_b64 s[4:5], s[44:45]
	s_xor_b64 s[4:5], exec, s[4:5]
	s_cbranch_execnz .LBB324_2429
.LBB324_2427:
	s_or_b64 exec, exec, s[4:5]
	s_and_saveexec_b64 s[4:5], s[0:1]
	s_cbranch_execnz .LBB324_2430
	s_branch .LBB324_2467
.LBB324_2428:
	s_or_b64 exec, exec, s[4:5]
	s_and_saveexec_b64 s[4:5], s[44:45]
	s_xor_b64 s[4:5], exec, s[4:5]
	s_cbranch_execz .LBB324_2427
.LBB324_2429:
	v_cndmask_b32_e64 v2, 0, 1, s[2:3]
	s_waitcnt vmcnt(0)
	global_store_byte v[0:1], v2, off
	s_or_b64 exec, exec, s[4:5]
	s_and_saveexec_b64 s[4:5], s[0:1]
	s_cbranch_execz .LBB324_2467
.LBB324_2430:
	s_sext_i32_i16 s4, s20
	s_cmp_lt_i32 s4, 5
	s_mov_b64 s[0:1], -1
	s_cbranch_scc1 .LBB324_2451
; %bb.2431:
	s_cmp_lt_i32 s4, 8
	s_cbranch_scc1 .LBB324_2441
; %bb.2432:
	s_cmp_lt_i32 s4, 9
	s_cbranch_scc1 .LBB324_2438
; %bb.2433:
	s_cmp_gt_i32 s4, 9
	s_cbranch_scc0 .LBB324_2435
; %bb.2434:
	v_cndmask_b32_e64 v2, 0, 1, s[2:3]
	s_waitcnt vmcnt(0)
	v_cvt_f64_u32_e32 v[2:3], v2
	v_mov_b32_e32 v4, 0
	v_mov_b32_e32 v5, v4
	s_mov_b64 s[0:1], 0
	global_store_dwordx4 v[0:1], v[2:5], off
.LBB324_2435:
	s_andn2_b64 vcc, exec, s[0:1]
	s_cbranch_vccnz .LBB324_2437
; %bb.2436:
	v_cndmask_b32_e64 v2, 0, 1.0, s[2:3]
	s_waitcnt vmcnt(0)
	v_mov_b32_e32 v3, 0
	global_store_dwordx2 v[0:1], v[2:3], off
.LBB324_2437:
	s_mov_b64 s[0:1], 0
.LBB324_2438:
	s_andn2_b64 vcc, exec, s[0:1]
	s_cbranch_vccnz .LBB324_2440
; %bb.2439:
	v_cndmask_b32_e64 v2, 0, 1.0, s[2:3]
	v_cvt_f16_f32_e32 v2, v2
	s_waitcnt vmcnt(0)
	global_store_dword v[0:1], v2, off
.LBB324_2440:
	s_mov_b64 s[0:1], 0
.LBB324_2441:
	s_andn2_b64 vcc, exec, s[0:1]
	s_cbranch_vccnz .LBB324_2450
; %bb.2442:
	s_sext_i32_i16 s4, s20
	s_cmp_lt_i32 s4, 6
	s_mov_b64 s[0:1], -1
	s_cbranch_scc1 .LBB324_2448
; %bb.2443:
	s_cmp_gt_i32 s4, 6
	s_cbranch_scc0 .LBB324_2445
; %bb.2444:
	v_cndmask_b32_e64 v2, 0, 1, s[2:3]
	s_waitcnt vmcnt(0)
	v_cvt_f64_u32_e32 v[2:3], v2
	s_mov_b64 s[0:1], 0
	global_store_dwordx2 v[0:1], v[2:3], off
.LBB324_2445:
	s_andn2_b64 vcc, exec, s[0:1]
	s_cbranch_vccnz .LBB324_2447
; %bb.2446:
	v_cndmask_b32_e64 v2, 0, 1.0, s[2:3]
	s_waitcnt vmcnt(0)
	global_store_dword v[0:1], v2, off
.LBB324_2447:
	s_mov_b64 s[0:1], 0
.LBB324_2448:
	s_andn2_b64 vcc, exec, s[0:1]
	s_cbranch_vccnz .LBB324_2450
; %bb.2449:
	v_cndmask_b32_e64 v2, 0, 1.0, s[2:3]
	v_cvt_f16_f32_e32 v2, v2
	s_waitcnt vmcnt(0)
	global_store_short v[0:1], v2, off
.LBB324_2450:
	s_mov_b64 s[0:1], 0
.LBB324_2451:
	s_andn2_b64 vcc, exec, s[0:1]
	s_cbranch_vccnz .LBB324_2467
; %bb.2452:
	s_sext_i32_i16 s4, s20
	s_cmp_lt_i32 s4, 2
	s_mov_b64 s[0:1], -1
	s_cbranch_scc1 .LBB324_2462
; %bb.2453:
	s_cmp_lt_i32 s4, 3
	s_cbranch_scc1 .LBB324_2459
; %bb.2454:
	s_cmp_gt_i32 s4, 3
	s_cbranch_scc0 .LBB324_2456
; %bb.2455:
	s_mov_b32 s0, 0
	v_cndmask_b32_e64 v2, 0, 1, s[2:3]
	s_waitcnt vmcnt(0)
	v_mov_b32_e32 v3, s0
	global_store_dwordx2 v[0:1], v[2:3], off
	s_mov_b64 s[0:1], 0
.LBB324_2456:
	s_andn2_b64 vcc, exec, s[0:1]
	s_cbranch_vccnz .LBB324_2458
; %bb.2457:
	v_cndmask_b32_e64 v2, 0, 1, s[2:3]
	s_waitcnt vmcnt(0)
	global_store_dword v[0:1], v2, off
.LBB324_2458:
	s_mov_b64 s[0:1], 0
.LBB324_2459:
	s_andn2_b64 vcc, exec, s[0:1]
	s_cbranch_vccnz .LBB324_2461
; %bb.2460:
	v_cndmask_b32_e64 v2, 0, 1, s[2:3]
	s_waitcnt vmcnt(0)
	global_store_short v[0:1], v2, off
.LBB324_2461:
	s_mov_b64 s[0:1], 0
.LBB324_2462:
	s_andn2_b64 vcc, exec, s[0:1]
	s_cbranch_vccnz .LBB324_2467
; %bb.2463:
	s_sext_i32_i16 s0, s20
	s_cmp_gt_i32 s0, 0
	s_mov_b64 s[0:1], -1
	s_cbranch_scc0 .LBB324_2465
; %bb.2464:
	v_cndmask_b32_e64 v2, 0, 1, s[2:3]
	s_waitcnt vmcnt(0)
	global_store_byte v[0:1], v2, off
	s_mov_b64 s[0:1], 0
.LBB324_2465:
	s_andn2_b64 vcc, exec, s[0:1]
	s_cbranch_vccnz .LBB324_2467
; %bb.2466:
	v_cndmask_b32_e64 v2, 0, 1, s[2:3]
	s_waitcnt vmcnt(0)
	global_store_byte v[0:1], v2, off
	s_endpgm
.LBB324_2467:
	s_endpgm
.LBB324_2468:
	s_mov_b64 s[4:5], 0
	s_mov_b64 s[0:1], -1
	s_branch .LBB324_2424
.LBB324_2469:
	s_trap 2
	s_or_b64 s[12:13], s[12:13], exec
	s_cbranch_execz .LBB324_1914
	s_branch .LBB324_1917
.LBB324_2470:
	s_andn2_saveexec_b64 s[18:19], s[18:19]
	s_cbranch_execz .LBB324_2018
.LBB324_2471:
	v_add_f32_e32 v1, 0x46000000, v8
	v_and_b32_e32 v1, 0xff, v1
	v_cmp_ne_u32_e32 vcc, 0, v1
	s_andn2_b64 s[16:17], s[16:17], exec
	s_and_b64 s[22:23], vcc, exec
	s_or_b64 s[16:17], s[16:17], s[22:23]
	s_or_b64 exec, exec, s[18:19]
	v_mov_b32_e32 v11, 0
	s_and_saveexec_b64 s[18:19], s[16:17]
	s_cbranch_execnz .LBB324_2019
	s_branch .LBB324_2020
.LBB324_2472:
	s_trap 2
	s_or_b64 s[12:13], s[12:13], exec
	s_cbranch_execz .LBB324_2066
	s_branch .LBB324_2067
.LBB324_2473:
	s_andn2_saveexec_b64 s[16:17], s[16:17]
	s_cbranch_execz .LBB324_2031
.LBB324_2474:
	v_add_f32_e32 v1, 0x42800000, v8
	v_and_b32_e32 v1, 0xff, v1
	v_cmp_ne_u32_e32 vcc, 0, v1
	s_andn2_b64 s[14:15], s[14:15], exec
	s_and_b64 s[18:19], vcc, exec
	s_or_b64 s[14:15], s[14:15], s[18:19]
	s_or_b64 exec, exec, s[16:17]
	v_mov_b32_e32 v11, 0
	s_and_saveexec_b64 s[16:17], s[14:15]
	s_cbranch_execnz .LBB324_2032
	s_branch .LBB324_2033
.LBB324_2475:
	s_andn2_saveexec_b64 s[18:19], s[18:19]
	s_cbranch_execz .LBB324_2137
.LBB324_2476:
	v_add_f32_e32 v1, 0x46000000, v5
	v_and_b32_e32 v1, 0xff, v1
	v_cmp_ne_u32_e32 vcc, 0, v1
	s_andn2_b64 s[16:17], s[16:17], exec
	s_and_b64 s[22:23], vcc, exec
	s_or_b64 s[16:17], s[16:17], s[22:23]
	s_or_b64 exec, exec, s[18:19]
	v_mov_b32_e32 v6, 0
	s_and_saveexec_b64 s[18:19], s[16:17]
	s_cbranch_execnz .LBB324_2138
	s_branch .LBB324_2139
.LBB324_2477:
	s_trap 2
	s_or_b64 s[12:13], s[12:13], exec
	s_cbranch_execz .LBB324_2185
	s_branch .LBB324_2186
.LBB324_2478:
	s_andn2_saveexec_b64 s[16:17], s[16:17]
	s_cbranch_execz .LBB324_2150
.LBB324_2479:
	v_add_f32_e32 v1, 0x42800000, v5
	v_and_b32_e32 v1, 0xff, v1
	v_cmp_ne_u32_e32 vcc, 0, v1
	s_andn2_b64 s[14:15], s[14:15], exec
	s_and_b64 s[18:19], vcc, exec
	s_or_b64 s[14:15], s[14:15], s[18:19]
	s_or_b64 exec, exec, s[16:17]
	v_mov_b32_e32 v6, 0
	s_and_saveexec_b64 s[16:17], s[14:15]
	s_cbranch_execnz .LBB324_2151
	s_branch .LBB324_2152
.LBB324_2480:
	s_andn2_saveexec_b64 s[18:19], s[18:19]
	s_cbranch_execz .LBB324_2256
.LBB324_2481:
	v_add_f32_e32 v3, 0x46000000, v4
	v_and_b32_e32 v3, 0xff, v3
	v_cmp_ne_u32_e32 vcc, 0, v3
	s_andn2_b64 s[16:17], s[16:17], exec
	s_and_b64 s[22:23], vcc, exec
	s_or_b64 s[16:17], s[16:17], s[22:23]
	s_or_b64 exec, exec, s[18:19]
	v_mov_b32_e32 v5, 0
	s_and_saveexec_b64 s[18:19], s[16:17]
	s_cbranch_execnz .LBB324_2257
	s_branch .LBB324_2258
.LBB324_2482:
	s_trap 2
	s_or_b64 s[12:13], s[12:13], exec
	s_cbranch_execz .LBB324_2304
	s_branch .LBB324_2305
.LBB324_2483:
	s_andn2_saveexec_b64 s[16:17], s[16:17]
	s_cbranch_execz .LBB324_2269
.LBB324_2484:
	v_add_f32_e32 v3, 0x42800000, v4
	v_and_b32_e32 v3, 0xff, v3
	v_cmp_ne_u32_e32 vcc, 0, v3
	s_andn2_b64 s[14:15], s[14:15], exec
	s_and_b64 s[18:19], vcc, exec
	s_or_b64 s[14:15], s[14:15], s[18:19]
	s_or_b64 exec, exec, s[16:17]
	v_mov_b32_e32 v5, 0
	s_and_saveexec_b64 s[16:17], s[14:15]
	s_cbranch_execnz .LBB324_2270
	s_branch .LBB324_2271
.LBB324_2485:
	s_andn2_saveexec_b64 s[14:15], s[14:15]
	s_cbranch_execz .LBB324_2376
.LBB324_2486:
	v_add_f32_e32 v2, 0x46000000, v3
	v_and_b32_e32 v2, 0xff, v2
	v_cmp_ne_u32_e32 vcc, 0, v2
	s_andn2_b64 s[10:11], s[10:11], exec
	s_and_b64 s[16:17], vcc, exec
	s_or_b64 s[10:11], s[10:11], s[16:17]
	s_or_b64 exec, exec, s[14:15]
	v_mov_b32_e32 v4, 0
	s_and_saveexec_b64 s[14:15], s[10:11]
	s_cbranch_execnz .LBB324_2377
	s_branch .LBB324_2378
.LBB324_2487:
	s_mov_b64 s[4:5], 0
	s_or_b64 s[12:13], s[12:13], exec
	s_trap 2
	s_branch .LBB324_2422
.LBB324_2488:
	s_andn2_saveexec_b64 s[10:11], s[10:11]
	s_cbranch_execz .LBB324_2388
.LBB324_2489:
	v_add_f32_e32 v2, 0x42800000, v3
	v_and_b32_e32 v2, 0xff, v2
	v_cmp_ne_u32_e32 vcc, 0, v2
	s_andn2_b64 s[8:9], s[8:9], exec
	s_and_b64 s[14:15], vcc, exec
	s_or_b64 s[8:9], s[8:9], s[14:15]
	s_or_b64 exec, exec, s[10:11]
	v_mov_b32_e32 v4, 0
	s_and_saveexec_b64 s[10:11], s[8:9]
	s_cbranch_execnz .LBB324_2389
	s_branch .LBB324_2390
	.section	.rodata,"a",@progbits
	.p2align	6, 0x0
	.amdhsa_kernel _ZN2at6native32elementwise_kernel_manual_unrollILi128ELi4EZNS0_15gpu_kernel_implINS0_13AUnaryFunctorIN3c1014Float8_e8m0fnuES5_bNS0_12_GLOBAL__N_116CompareEqFunctorIS5_EEEEEEvRNS_18TensorIteratorBaseERKT_EUlibE0_EEviT1_
		.amdhsa_group_segment_fixed_size 0
		.amdhsa_private_segment_fixed_size 0
		.amdhsa_kernarg_size 368
		.amdhsa_user_sgpr_count 6
		.amdhsa_user_sgpr_private_segment_buffer 1
		.amdhsa_user_sgpr_dispatch_ptr 0
		.amdhsa_user_sgpr_queue_ptr 0
		.amdhsa_user_sgpr_kernarg_segment_ptr 1
		.amdhsa_user_sgpr_dispatch_id 0
		.amdhsa_user_sgpr_flat_scratch_init 0
		.amdhsa_user_sgpr_private_segment_size 0
		.amdhsa_uses_dynamic_stack 0
		.amdhsa_system_sgpr_private_segment_wavefront_offset 0
		.amdhsa_system_sgpr_workgroup_id_x 1
		.amdhsa_system_sgpr_workgroup_id_y 0
		.amdhsa_system_sgpr_workgroup_id_z 0
		.amdhsa_system_sgpr_workgroup_info 0
		.amdhsa_system_vgpr_workitem_id 0
		.amdhsa_next_free_vgpr 18
		.amdhsa_next_free_sgpr 80
		.amdhsa_reserve_vcc 1
		.amdhsa_reserve_flat_scratch 0
		.amdhsa_float_round_mode_32 0
		.amdhsa_float_round_mode_16_64 0
		.amdhsa_float_denorm_mode_32 3
		.amdhsa_float_denorm_mode_16_64 3
		.amdhsa_dx10_clamp 1
		.amdhsa_ieee_mode 1
		.amdhsa_fp16_overflow 0
		.amdhsa_exception_fp_ieee_invalid_op 0
		.amdhsa_exception_fp_denorm_src 0
		.amdhsa_exception_fp_ieee_div_zero 0
		.amdhsa_exception_fp_ieee_overflow 0
		.amdhsa_exception_fp_ieee_underflow 0
		.amdhsa_exception_fp_ieee_inexact 0
		.amdhsa_exception_int_div_zero 0
	.end_amdhsa_kernel
	.section	.text._ZN2at6native32elementwise_kernel_manual_unrollILi128ELi4EZNS0_15gpu_kernel_implINS0_13AUnaryFunctorIN3c1014Float8_e8m0fnuES5_bNS0_12_GLOBAL__N_116CompareEqFunctorIS5_EEEEEEvRNS_18TensorIteratorBaseERKT_EUlibE0_EEviT1_,"axG",@progbits,_ZN2at6native32elementwise_kernel_manual_unrollILi128ELi4EZNS0_15gpu_kernel_implINS0_13AUnaryFunctorIN3c1014Float8_e8m0fnuES5_bNS0_12_GLOBAL__N_116CompareEqFunctorIS5_EEEEEEvRNS_18TensorIteratorBaseERKT_EUlibE0_EEviT1_,comdat
.Lfunc_end324:
	.size	_ZN2at6native32elementwise_kernel_manual_unrollILi128ELi4EZNS0_15gpu_kernel_implINS0_13AUnaryFunctorIN3c1014Float8_e8m0fnuES5_bNS0_12_GLOBAL__N_116CompareEqFunctorIS5_EEEEEEvRNS_18TensorIteratorBaseERKT_EUlibE0_EEviT1_, .Lfunc_end324-_ZN2at6native32elementwise_kernel_manual_unrollILi128ELi4EZNS0_15gpu_kernel_implINS0_13AUnaryFunctorIN3c1014Float8_e8m0fnuES5_bNS0_12_GLOBAL__N_116CompareEqFunctorIS5_EEEEEEvRNS_18TensorIteratorBaseERKT_EUlibE0_EEviT1_
                                        ; -- End function
	.set _ZN2at6native32elementwise_kernel_manual_unrollILi128ELi4EZNS0_15gpu_kernel_implINS0_13AUnaryFunctorIN3c1014Float8_e8m0fnuES5_bNS0_12_GLOBAL__N_116CompareEqFunctorIS5_EEEEEEvRNS_18TensorIteratorBaseERKT_EUlibE0_EEviT1_.num_vgpr, 18
	.set _ZN2at6native32elementwise_kernel_manual_unrollILi128ELi4EZNS0_15gpu_kernel_implINS0_13AUnaryFunctorIN3c1014Float8_e8m0fnuES5_bNS0_12_GLOBAL__N_116CompareEqFunctorIS5_EEEEEEvRNS_18TensorIteratorBaseERKT_EUlibE0_EEviT1_.num_agpr, 0
	.set _ZN2at6native32elementwise_kernel_manual_unrollILi128ELi4EZNS0_15gpu_kernel_implINS0_13AUnaryFunctorIN3c1014Float8_e8m0fnuES5_bNS0_12_GLOBAL__N_116CompareEqFunctorIS5_EEEEEEvRNS_18TensorIteratorBaseERKT_EUlibE0_EEviT1_.numbered_sgpr, 80
	.set _ZN2at6native32elementwise_kernel_manual_unrollILi128ELi4EZNS0_15gpu_kernel_implINS0_13AUnaryFunctorIN3c1014Float8_e8m0fnuES5_bNS0_12_GLOBAL__N_116CompareEqFunctorIS5_EEEEEEvRNS_18TensorIteratorBaseERKT_EUlibE0_EEviT1_.num_named_barrier, 0
	.set _ZN2at6native32elementwise_kernel_manual_unrollILi128ELi4EZNS0_15gpu_kernel_implINS0_13AUnaryFunctorIN3c1014Float8_e8m0fnuES5_bNS0_12_GLOBAL__N_116CompareEqFunctorIS5_EEEEEEvRNS_18TensorIteratorBaseERKT_EUlibE0_EEviT1_.private_seg_size, 0
	.set _ZN2at6native32elementwise_kernel_manual_unrollILi128ELi4EZNS0_15gpu_kernel_implINS0_13AUnaryFunctorIN3c1014Float8_e8m0fnuES5_bNS0_12_GLOBAL__N_116CompareEqFunctorIS5_EEEEEEvRNS_18TensorIteratorBaseERKT_EUlibE0_EEviT1_.uses_vcc, 1
	.set _ZN2at6native32elementwise_kernel_manual_unrollILi128ELi4EZNS0_15gpu_kernel_implINS0_13AUnaryFunctorIN3c1014Float8_e8m0fnuES5_bNS0_12_GLOBAL__N_116CompareEqFunctorIS5_EEEEEEvRNS_18TensorIteratorBaseERKT_EUlibE0_EEviT1_.uses_flat_scratch, 0
	.set _ZN2at6native32elementwise_kernel_manual_unrollILi128ELi4EZNS0_15gpu_kernel_implINS0_13AUnaryFunctorIN3c1014Float8_e8m0fnuES5_bNS0_12_GLOBAL__N_116CompareEqFunctorIS5_EEEEEEvRNS_18TensorIteratorBaseERKT_EUlibE0_EEviT1_.has_dyn_sized_stack, 0
	.set _ZN2at6native32elementwise_kernel_manual_unrollILi128ELi4EZNS0_15gpu_kernel_implINS0_13AUnaryFunctorIN3c1014Float8_e8m0fnuES5_bNS0_12_GLOBAL__N_116CompareEqFunctorIS5_EEEEEEvRNS_18TensorIteratorBaseERKT_EUlibE0_EEviT1_.has_recursion, 0
	.set _ZN2at6native32elementwise_kernel_manual_unrollILi128ELi4EZNS0_15gpu_kernel_implINS0_13AUnaryFunctorIN3c1014Float8_e8m0fnuES5_bNS0_12_GLOBAL__N_116CompareEqFunctorIS5_EEEEEEvRNS_18TensorIteratorBaseERKT_EUlibE0_EEviT1_.has_indirect_call, 0
	.section	.AMDGPU.csdata,"",@progbits
; Kernel info:
; codeLenInByte = 50748
; TotalNumSgprs: 84
; NumVgprs: 18
; ScratchSize: 0
; MemoryBound: 0
; FloatMode: 240
; IeeeMode: 1
; LDSByteSize: 0 bytes/workgroup (compile time only)
; SGPRBlocks: 10
; VGPRBlocks: 4
; NumSGPRsForWavesPerEU: 84
; NumVGPRsForWavesPerEU: 18
; Occupancy: 9
; WaveLimiterHint : 1
; COMPUTE_PGM_RSRC2:SCRATCH_EN: 0
; COMPUTE_PGM_RSRC2:USER_SGPR: 6
; COMPUTE_PGM_RSRC2:TRAP_HANDLER: 0
; COMPUTE_PGM_RSRC2:TGID_X_EN: 1
; COMPUTE_PGM_RSRC2:TGID_Y_EN: 0
; COMPUTE_PGM_RSRC2:TGID_Z_EN: 0
; COMPUTE_PGM_RSRC2:TIDIG_COMP_CNT: 0
	.section	.text._ZN2at6native29vectorized_elementwise_kernelILi16ENS0_13BinaryFunctorIttbNS0_12_GLOBAL__N_116CompareEqFunctorItEEEESt5arrayIPcLm3EEEEviT0_T1_,"axG",@progbits,_ZN2at6native29vectorized_elementwise_kernelILi16ENS0_13BinaryFunctorIttbNS0_12_GLOBAL__N_116CompareEqFunctorItEEEESt5arrayIPcLm3EEEEviT0_T1_,comdat
	.globl	_ZN2at6native29vectorized_elementwise_kernelILi16ENS0_13BinaryFunctorIttbNS0_12_GLOBAL__N_116CompareEqFunctorItEEEESt5arrayIPcLm3EEEEviT0_T1_ ; -- Begin function _ZN2at6native29vectorized_elementwise_kernelILi16ENS0_13BinaryFunctorIttbNS0_12_GLOBAL__N_116CompareEqFunctorItEEEESt5arrayIPcLm3EEEEviT0_T1_
	.p2align	8
	.type	_ZN2at6native29vectorized_elementwise_kernelILi16ENS0_13BinaryFunctorIttbNS0_12_GLOBAL__N_116CompareEqFunctorItEEEESt5arrayIPcLm3EEEEviT0_T1_,@function
_ZN2at6native29vectorized_elementwise_kernelILi16ENS0_13BinaryFunctorIttbNS0_12_GLOBAL__N_116CompareEqFunctorItEEEESt5arrayIPcLm3EEEEviT0_T1_: ; @_ZN2at6native29vectorized_elementwise_kernelILi16ENS0_13BinaryFunctorIttbNS0_12_GLOBAL__N_116CompareEqFunctorItEEEESt5arrayIPcLm3EEEEviT0_T1_
; %bb.0:
	s_load_dwordx2 s[20:21], s[4:5], 0x0
	s_load_dwordx4 s[16:19], s[4:5], 0x8
	s_load_dwordx2 s[22:23], s[4:5], 0x18
	s_lshl_b32 s14, s6, 12
	s_mov_b64 s[0:1], -1
	s_waitcnt lgkmcnt(0)
	s_sub_i32 s20, s20, s14
	s_cmpk_gt_i32 s20, 0xfff
	s_cbranch_scc0 .LBB325_2
; %bb.1:
	s_ashr_i32 s15, s14, 31
	s_lshl_b64 s[0:1], s[14:15], 1
	s_add_u32 s2, s18, s0
	s_addc_u32 s3, s19, s1
	s_add_u32 s0, s22, s0
	v_lshlrev_b32_e32 v17, 5, v0
	s_addc_u32 s1, s23, s1
	global_load_dwordx4 v[1:4], v17, s[0:1]
	global_load_dwordx4 v[5:8], v17, s[2:3]
	global_load_dwordx4 v[9:12], v17, s[2:3] offset:16
	global_load_dwordx4 v[13:16], v17, s[0:1] offset:16
	s_cmp_eq_u32 s21, 0
	s_cselect_b64 s[24:25], -1, 0
	s_add_u32 s26, s16, s14
	s_addc_u32 s27, s17, s15
	v_lshlrev_b32_e32 v17, 4, v0
	s_waitcnt vmcnt(2)
	v_cmp_ne_u16_e64 s[0:1], v6, v2
	v_cmp_ne_u16_sdwa s[34:35], v7, v3 src0_sel:WORD_1 src1_sel:WORD_1
	s_xor_b64 s[0:1], s[24:25], s[0:1]
	v_cmp_ne_u16_e64 s[2:3], v7, v3
	v_cmp_ne_u16_sdwa s[36:37], v8, v4 src0_sel:WORD_1 src1_sel:WORD_1
	v_cmp_ne_u16_e64 s[4:5], v8, v4
	v_cndmask_b32_e64 v4, 0, 1, s[0:1]
	s_xor_b64 s[0:1], s[24:25], s[34:35]
	v_cmp_ne_u16_sdwa s[28:29], v5, v1 src0_sel:WORD_1 src1_sel:WORD_1
	v_cmp_ne_u16_e32 vcc, v5, v1
	v_cndmask_b32_e64 v5, 0, 1, s[0:1]
	s_xor_b64 s[0:1], s[24:25], s[2:3]
	v_cmp_ne_u16_sdwa s[30:31], v6, v2 src0_sel:WORD_1 src1_sel:WORD_1
	v_cndmask_b32_e64 v6, 0, 1, s[0:1]
	s_xor_b64 s[0:1], s[24:25], s[36:37]
	s_waitcnt vmcnt(0)
	v_cmp_ne_u16_sdwa s[38:39], v9, v13 src0_sel:WORD_1 src1_sel:WORD_1
	v_cndmask_b32_e64 v7, 0, 1, s[0:1]
	s_xor_b64 s[0:1], s[24:25], s[4:5]
	v_cmp_ne_u16_e64 s[6:7], v9, v13
	v_cndmask_b32_e64 v8, 0, 1, s[0:1]
	s_xor_b64 s[0:1], s[24:25], s[38:39]
	v_cmp_ne_u16_sdwa s[40:41], v10, v14 src0_sel:WORD_1 src1_sel:WORD_1
	v_cndmask_b32_e64 v9, 0, 1, s[0:1]
	s_xor_b64 s[0:1], s[24:25], s[6:7]
	v_cmp_ne_u16_e64 s[8:9], v10, v14
	v_cndmask_b32_e64 v10, 0, 1, s[0:1]
	s_xor_b64 s[0:1], s[24:25], s[40:41]
	v_cmp_ne_u16_sdwa s[42:43], v11, v15 src0_sel:WORD_1 src1_sel:WORD_1
	v_cmp_ne_u16_e64 s[10:11], v11, v15
	v_cndmask_b32_e64 v11, 0, 1, s[0:1]
	s_xor_b64 s[0:1], s[24:25], s[8:9]
	v_cmp_ne_u16_sdwa s[44:45], v12, v16 src0_sel:WORD_1 src1_sel:WORD_1
	v_cmp_ne_u16_e64 s[12:13], v12, v16
	s_xor_b64 s[28:29], s[24:25], s[28:29]
	v_cndmask_b32_e64 v12, 0, 1, s[0:1]
	s_xor_b64 s[0:1], s[24:25], s[42:43]
	v_cndmask_b32_e64 v1, 0, 1, s[28:29]
	s_xor_b64 s[28:29], s[24:25], vcc
	v_cndmask_b32_e64 v13, 0, 1, s[0:1]
	s_xor_b64 s[0:1], s[24:25], s[10:11]
	v_cndmask_b32_e64 v2, 0, 1, s[28:29]
	s_xor_b64 s[28:29], s[24:25], s[30:31]
	;; [unrolled: 2-line block ×3, first 2 shown]
	v_cndmask_b32_e64 v3, 0, 1, s[28:29]
	v_cndmask_b32_e64 v15, 0, 1, s[0:1]
	s_xor_b64 s[0:1], s[24:25], s[12:13]
	v_cndmask_b32_e64 v16, 0, 1, s[0:1]
	v_lshlrev_b16_e32 v1, 8, v1
	v_lshlrev_b16_e32 v3, 8, v3
	;; [unrolled: 1-line block ×8, first 2 shown]
	v_or_b32_e32 v1, v2, v1
	v_or_b32_sdwa v2, v4, v3 dst_sel:WORD_1 dst_unused:UNUSED_PAD src0_sel:DWORD src1_sel:DWORD
	v_or_b32_e32 v3, v6, v5
	v_or_b32_sdwa v4, v8, v7 dst_sel:WORD_1 dst_unused:UNUSED_PAD src0_sel:DWORD src1_sel:DWORD
	v_or_b32_e32 v5, v10, v9
	v_or_b32_sdwa v6, v12, v11 dst_sel:WORD_1 dst_unused:UNUSED_PAD src0_sel:DWORD src1_sel:DWORD
	v_or_b32_e32 v7, v14, v13
	v_or_b32_sdwa v8, v16, v15 dst_sel:WORD_1 dst_unused:UNUSED_PAD src0_sel:DWORD src1_sel:DWORD
	v_or_b32_sdwa v1, v1, v2 dst_sel:DWORD dst_unused:UNUSED_PAD src0_sel:WORD_0 src1_sel:DWORD
	v_or_b32_sdwa v2, v3, v4 dst_sel:DWORD dst_unused:UNUSED_PAD src0_sel:WORD_0 src1_sel:DWORD
	;; [unrolled: 1-line block ×4, first 2 shown]
	global_store_dwordx4 v17, v[1:4], s[26:27]
	s_mov_b64 s[0:1], 0
.LBB325_2:
	s_andn2_b64 vcc, exec, s[0:1]
	s_cbranch_vccnz .LBB325_52
; %bb.3:
	v_cmp_gt_i32_e32 vcc, s20, v0
	s_mov_b64 s[2:3], 0
	v_or_b32_e32 v1, s14, v0
	s_mov_b64 s[4:5], 0
	v_mov_b32_e32 v2, v0
	s_and_saveexec_b64 s[6:7], vcc
	s_cbranch_execz .LBB325_5
; %bb.4:
	v_mov_b32_e32 v2, 0
	v_lshlrev_b64 v[2:3], 1, v[1:2]
	v_mov_b32_e32 v5, s23
	v_add_co_u32_e64 v4, s[0:1], s22, v2
	v_addc_co_u32_e64 v5, s[0:1], v5, v3, s[0:1]
	v_mov_b32_e32 v6, s19
	v_add_co_u32_e64 v2, s[0:1], s18, v2
	v_addc_co_u32_e64 v3, s[0:1], v6, v3, s[0:1]
	global_load_ushort v6, v[2:3], off
	global_load_ushort v7, v[4:5], off
	v_or_b32_e32 v2, 0x100, v0
	s_waitcnt vmcnt(0)
	v_cmp_ne_u16_e64 s[0:1], v6, v7
	s_and_b64 s[4:5], s[0:1], exec
.LBB325_5:
	s_or_b64 exec, exec, s[6:7]
	v_cmp_gt_i32_e64 s[0:1], s20, v2
	s_and_saveexec_b64 s[6:7], s[0:1]
	s_cbranch_execz .LBB325_7
; %bb.6:
	v_add_u32_e32 v3, s14, v2
	v_mov_b32_e32 v4, 0
	v_lshlrev_b64 v[3:4], 1, v[3:4]
	v_mov_b32_e32 v6, s23
	v_add_co_u32_e64 v5, s[0:1], s22, v3
	v_addc_co_u32_e64 v6, s[0:1], v6, v4, s[0:1]
	v_mov_b32_e32 v7, s19
	v_add_co_u32_e64 v3, s[0:1], s18, v3
	v_addc_co_u32_e64 v4, s[0:1], v7, v4, s[0:1]
	global_load_ushort v7, v[3:4], off
	global_load_ushort v8, v[5:6], off
	v_add_u32_e32 v2, 0x100, v2
	s_waitcnt vmcnt(0)
	v_cmp_ne_u16_e64 s[0:1], v7, v8
	s_and_b64 s[2:3], s[0:1], exec
.LBB325_7:
	s_or_b64 exec, exec, s[6:7]
	v_cmp_gt_i32_e64 s[0:1], s20, v2
	s_mov_b64 s[6:7], 0
	s_mov_b64 s[8:9], 0
	s_and_saveexec_b64 s[10:11], s[0:1]
	s_cbranch_execz .LBB325_9
; %bb.8:
	v_add_u32_e32 v3, s14, v2
	v_mov_b32_e32 v4, 0
	v_lshlrev_b64 v[3:4], 1, v[3:4]
	v_mov_b32_e32 v6, s23
	v_add_co_u32_e64 v5, s[0:1], s22, v3
	v_addc_co_u32_e64 v6, s[0:1], v6, v4, s[0:1]
	v_mov_b32_e32 v7, s19
	v_add_co_u32_e64 v3, s[0:1], s18, v3
	v_addc_co_u32_e64 v4, s[0:1], v7, v4, s[0:1]
	global_load_ushort v7, v[3:4], off
	global_load_ushort v8, v[5:6], off
	v_add_u32_e32 v2, 0x100, v2
	s_waitcnt vmcnt(0)
	v_cmp_ne_u16_e64 s[0:1], v7, v8
	s_and_b64 s[8:9], s[0:1], exec
.LBB325_9:
	s_or_b64 exec, exec, s[10:11]
	v_cmp_gt_i32_e64 s[0:1], s20, v2
	s_and_saveexec_b64 s[10:11], s[0:1]
	s_cbranch_execz .LBB325_11
; %bb.10:
	v_add_u32_e32 v3, s14, v2
	v_mov_b32_e32 v4, 0
	v_lshlrev_b64 v[3:4], 1, v[3:4]
	v_mov_b32_e32 v6, s23
	v_add_co_u32_e64 v5, s[0:1], s22, v3
	v_addc_co_u32_e64 v6, s[0:1], v6, v4, s[0:1]
	v_mov_b32_e32 v7, s19
	v_add_co_u32_e64 v3, s[0:1], s18, v3
	v_addc_co_u32_e64 v4, s[0:1], v7, v4, s[0:1]
	global_load_ushort v7, v[3:4], off
	global_load_ushort v8, v[5:6], off
	v_add_u32_e32 v2, 0x100, v2
	s_waitcnt vmcnt(0)
	v_cmp_ne_u16_e64 s[0:1], v7, v8
	s_and_b64 s[6:7], s[0:1], exec
.LBB325_11:
	s_or_b64 exec, exec, s[10:11]
	v_cmp_gt_i32_e64 s[0:1], s20, v2
	s_mov_b64 s[10:11], 0
	s_mov_b64 s[12:13], 0
	s_and_saveexec_b64 s[24:25], s[0:1]
	s_cbranch_execz .LBB325_13
; %bb.12:
	v_add_u32_e32 v3, s14, v2
	v_mov_b32_e32 v4, 0
	v_lshlrev_b64 v[3:4], 1, v[3:4]
	v_mov_b32_e32 v6, s23
	v_add_co_u32_e64 v5, s[0:1], s22, v3
	v_addc_co_u32_e64 v6, s[0:1], v6, v4, s[0:1]
	v_mov_b32_e32 v7, s19
	v_add_co_u32_e64 v3, s[0:1], s18, v3
	v_addc_co_u32_e64 v4, s[0:1], v7, v4, s[0:1]
	global_load_ushort v7, v[3:4], off
	global_load_ushort v8, v[5:6], off
	v_add_u32_e32 v2, 0x100, v2
	s_waitcnt vmcnt(0)
	v_cmp_ne_u16_e64 s[0:1], v7, v8
	s_and_b64 s[12:13], s[0:1], exec
.LBB325_13:
	;; [unrolled: 44-line block ×7, first 2 shown]
	s_or_b64 exec, exec, s[46:47]
	v_cmp_gt_i32_e64 s[0:1], s20, v2
	s_and_saveexec_b64 s[46:47], s[0:1]
	s_cbranch_execz .LBB325_35
; %bb.34:
	v_add_u32_e32 v2, s14, v2
	v_mov_b32_e32 v3, 0
	v_lshlrev_b64 v[2:3], 1, v[2:3]
	v_mov_b32_e32 v5, s23
	v_add_co_u32_e64 v4, s[0:1], s22, v2
	v_addc_co_u32_e64 v5, s[0:1], v5, v3, s[0:1]
	v_mov_b32_e32 v6, s19
	v_add_co_u32_e64 v2, s[0:1], s18, v2
	v_addc_co_u32_e64 v3, s[0:1], v6, v3, s[0:1]
	global_load_ushort v6, v[2:3], off
	global_load_ushort v7, v[4:5], off
	s_waitcnt vmcnt(0)
	v_cmp_ne_u16_e64 s[0:1], v6, v7
	s_and_b64 s[42:43], s[0:1], exec
.LBB325_35:
	s_or_b64 exec, exec, s[46:47]
	s_cmp_eq_u32 s21, 0
	s_cselect_b64 s[0:1], -1, 0
	s_and_saveexec_b64 s[18:19], vcc
	s_cbranch_execnz .LBB325_53
; %bb.36:
	s_or_b64 exec, exec, s[18:19]
	v_cmp_gt_i32_e32 vcc, s20, v0
	s_and_saveexec_b64 s[4:5], vcc
	s_cbranch_execnz .LBB325_54
.LBB325_37:
	s_or_b64 exec, exec, s[4:5]
	v_cmp_gt_i32_e32 vcc, s20, v0
	s_and_saveexec_b64 s[2:3], vcc
	s_cbranch_execnz .LBB325_55
.LBB325_38:
	s_or_b64 exec, exec, s[2:3]
	v_cmp_gt_i32_e32 vcc, s20, v0
	s_and_saveexec_b64 s[2:3], vcc
	s_cbranch_execnz .LBB325_56
.LBB325_39:
	s_or_b64 exec, exec, s[2:3]
	v_cmp_gt_i32_e32 vcc, s20, v0
	s_and_saveexec_b64 s[2:3], vcc
	s_cbranch_execnz .LBB325_57
.LBB325_40:
	s_or_b64 exec, exec, s[2:3]
	v_cmp_gt_i32_e32 vcc, s20, v0
	s_and_saveexec_b64 s[2:3], vcc
	s_cbranch_execnz .LBB325_58
.LBB325_41:
	s_or_b64 exec, exec, s[2:3]
	v_cmp_gt_i32_e32 vcc, s20, v0
	s_and_saveexec_b64 s[2:3], vcc
	s_cbranch_execnz .LBB325_59
.LBB325_42:
	s_or_b64 exec, exec, s[2:3]
	v_cmp_gt_i32_e32 vcc, s20, v0
	s_and_saveexec_b64 s[2:3], vcc
	s_cbranch_execnz .LBB325_60
.LBB325_43:
	s_or_b64 exec, exec, s[2:3]
	v_cmp_gt_i32_e32 vcc, s20, v0
	s_and_saveexec_b64 s[2:3], vcc
	s_cbranch_execnz .LBB325_61
.LBB325_44:
	s_or_b64 exec, exec, s[2:3]
	v_cmp_gt_i32_e32 vcc, s20, v0
	s_and_saveexec_b64 s[2:3], vcc
	s_cbranch_execnz .LBB325_62
.LBB325_45:
	s_or_b64 exec, exec, s[2:3]
	v_cmp_gt_i32_e32 vcc, s20, v0
	s_and_saveexec_b64 s[2:3], vcc
	s_cbranch_execnz .LBB325_63
.LBB325_46:
	s_or_b64 exec, exec, s[2:3]
	v_cmp_gt_i32_e32 vcc, s20, v0
	s_and_saveexec_b64 s[2:3], vcc
	s_cbranch_execnz .LBB325_64
.LBB325_47:
	s_or_b64 exec, exec, s[2:3]
	v_cmp_gt_i32_e32 vcc, s20, v0
	s_and_saveexec_b64 s[2:3], vcc
	s_cbranch_execnz .LBB325_65
.LBB325_48:
	s_or_b64 exec, exec, s[2:3]
	v_cmp_gt_i32_e32 vcc, s20, v0
	s_and_saveexec_b64 s[2:3], vcc
	s_cbranch_execnz .LBB325_66
.LBB325_49:
	s_or_b64 exec, exec, s[2:3]
	v_cmp_gt_i32_e32 vcc, s20, v0
	s_and_saveexec_b64 s[2:3], vcc
	s_cbranch_execnz .LBB325_67
.LBB325_50:
	s_or_b64 exec, exec, s[2:3]
	v_cmp_gt_i32_e32 vcc, s20, v0
	s_and_saveexec_b64 s[2:3], vcc
	s_cbranch_execz .LBB325_52
.LBB325_51:
	s_xor_b64 s[0:1], s[0:1], s[42:43]
	v_cndmask_b32_e64 v1, 0, 1, s[0:1]
	v_add_u32_e32 v0, s14, v0
	global_store_byte v0, v1, s[16:17]
.LBB325_52:
	s_endpgm
.LBB325_53:
	s_xor_b64 s[4:5], s[0:1], s[4:5]
	v_or_b32_e32 v0, 0x100, v0
	v_cndmask_b32_e64 v2, 0, 1, s[4:5]
	global_store_byte v1, v2, s[16:17]
	s_or_b64 exec, exec, s[18:19]
	v_cmp_gt_i32_e32 vcc, s20, v0
	s_and_saveexec_b64 s[4:5], vcc
	s_cbranch_execz .LBB325_37
.LBB325_54:
	s_xor_b64 s[2:3], s[0:1], s[2:3]
	v_cndmask_b32_e64 v1, 0, 1, s[2:3]
	v_add_u32_e32 v2, s14, v0
	v_add_u32_e32 v0, 0x100, v0
	global_store_byte v2, v1, s[16:17]
	s_or_b64 exec, exec, s[4:5]
	v_cmp_gt_i32_e32 vcc, s20, v0
	s_and_saveexec_b64 s[2:3], vcc
	s_cbranch_execz .LBB325_38
.LBB325_55:
	s_xor_b64 s[4:5], s[0:1], s[8:9]
	v_cndmask_b32_e64 v1, 0, 1, s[4:5]
	v_add_u32_e32 v2, s14, v0
	v_add_u32_e32 v0, 0x100, v0
	global_store_byte v2, v1, s[16:17]
	s_or_b64 exec, exec, s[2:3]
	v_cmp_gt_i32_e32 vcc, s20, v0
	s_and_saveexec_b64 s[2:3], vcc
	s_cbranch_execz .LBB325_39
.LBB325_56:
	s_xor_b64 s[4:5], s[0:1], s[6:7]
	v_cndmask_b32_e64 v1, 0, 1, s[4:5]
	v_add_u32_e32 v2, s14, v0
	v_add_u32_e32 v0, 0x100, v0
	global_store_byte v2, v1, s[16:17]
	s_or_b64 exec, exec, s[2:3]
	v_cmp_gt_i32_e32 vcc, s20, v0
	s_and_saveexec_b64 s[2:3], vcc
	s_cbranch_execz .LBB325_40
.LBB325_57:
	s_xor_b64 s[4:5], s[0:1], s[12:13]
	v_cndmask_b32_e64 v1, 0, 1, s[4:5]
	v_add_u32_e32 v2, s14, v0
	v_add_u32_e32 v0, 0x100, v0
	global_store_byte v2, v1, s[16:17]
	s_or_b64 exec, exec, s[2:3]
	v_cmp_gt_i32_e32 vcc, s20, v0
	s_and_saveexec_b64 s[2:3], vcc
	s_cbranch_execz .LBB325_41
.LBB325_58:
	s_xor_b64 s[4:5], s[0:1], s[10:11]
	v_cndmask_b32_e64 v1, 0, 1, s[4:5]
	v_add_u32_e32 v2, s14, v0
	v_add_u32_e32 v0, 0x100, v0
	global_store_byte v2, v1, s[16:17]
	s_or_b64 exec, exec, s[2:3]
	v_cmp_gt_i32_e32 vcc, s20, v0
	s_and_saveexec_b64 s[2:3], vcc
	s_cbranch_execz .LBB325_42
.LBB325_59:
	s_xor_b64 s[4:5], s[0:1], s[26:27]
	v_cndmask_b32_e64 v1, 0, 1, s[4:5]
	v_add_u32_e32 v2, s14, v0
	v_add_u32_e32 v0, 0x100, v0
	global_store_byte v2, v1, s[16:17]
	s_or_b64 exec, exec, s[2:3]
	v_cmp_gt_i32_e32 vcc, s20, v0
	s_and_saveexec_b64 s[2:3], vcc
	s_cbranch_execz .LBB325_43
.LBB325_60:
	s_xor_b64 s[4:5], s[0:1], s[24:25]
	v_cndmask_b32_e64 v1, 0, 1, s[4:5]
	v_add_u32_e32 v2, s14, v0
	v_add_u32_e32 v0, 0x100, v0
	global_store_byte v2, v1, s[16:17]
	s_or_b64 exec, exec, s[2:3]
	v_cmp_gt_i32_e32 vcc, s20, v0
	s_and_saveexec_b64 s[2:3], vcc
	s_cbranch_execz .LBB325_44
.LBB325_61:
	s_xor_b64 s[4:5], s[0:1], s[30:31]
	v_cndmask_b32_e64 v1, 0, 1, s[4:5]
	v_add_u32_e32 v2, s14, v0
	v_add_u32_e32 v0, 0x100, v0
	global_store_byte v2, v1, s[16:17]
	s_or_b64 exec, exec, s[2:3]
	v_cmp_gt_i32_e32 vcc, s20, v0
	s_and_saveexec_b64 s[2:3], vcc
	s_cbranch_execz .LBB325_45
.LBB325_62:
	s_xor_b64 s[4:5], s[0:1], s[28:29]
	v_cndmask_b32_e64 v1, 0, 1, s[4:5]
	v_add_u32_e32 v2, s14, v0
	v_add_u32_e32 v0, 0x100, v0
	global_store_byte v2, v1, s[16:17]
	s_or_b64 exec, exec, s[2:3]
	v_cmp_gt_i32_e32 vcc, s20, v0
	s_and_saveexec_b64 s[2:3], vcc
	s_cbranch_execz .LBB325_46
.LBB325_63:
	s_xor_b64 s[4:5], s[0:1], s[36:37]
	v_cndmask_b32_e64 v1, 0, 1, s[4:5]
	v_add_u32_e32 v2, s14, v0
	v_add_u32_e32 v0, 0x100, v0
	global_store_byte v2, v1, s[16:17]
	s_or_b64 exec, exec, s[2:3]
	v_cmp_gt_i32_e32 vcc, s20, v0
	s_and_saveexec_b64 s[2:3], vcc
	s_cbranch_execz .LBB325_47
.LBB325_64:
	s_xor_b64 s[4:5], s[0:1], s[34:35]
	v_cndmask_b32_e64 v1, 0, 1, s[4:5]
	v_add_u32_e32 v2, s14, v0
	v_add_u32_e32 v0, 0x100, v0
	global_store_byte v2, v1, s[16:17]
	s_or_b64 exec, exec, s[2:3]
	v_cmp_gt_i32_e32 vcc, s20, v0
	s_and_saveexec_b64 s[2:3], vcc
	s_cbranch_execz .LBB325_48
.LBB325_65:
	s_xor_b64 s[4:5], s[0:1], s[40:41]
	v_cndmask_b32_e64 v1, 0, 1, s[4:5]
	v_add_u32_e32 v2, s14, v0
	v_add_u32_e32 v0, 0x100, v0
	global_store_byte v2, v1, s[16:17]
	s_or_b64 exec, exec, s[2:3]
	v_cmp_gt_i32_e32 vcc, s20, v0
	s_and_saveexec_b64 s[2:3], vcc
	s_cbranch_execz .LBB325_49
.LBB325_66:
	s_xor_b64 s[4:5], s[0:1], s[38:39]
	v_cndmask_b32_e64 v1, 0, 1, s[4:5]
	v_add_u32_e32 v2, s14, v0
	v_add_u32_e32 v0, 0x100, v0
	global_store_byte v2, v1, s[16:17]
	s_or_b64 exec, exec, s[2:3]
	v_cmp_gt_i32_e32 vcc, s20, v0
	s_and_saveexec_b64 s[2:3], vcc
	s_cbranch_execz .LBB325_50
.LBB325_67:
	s_xor_b64 s[4:5], s[0:1], s[44:45]
	v_cndmask_b32_e64 v1, 0, 1, s[4:5]
	v_add_u32_e32 v2, s14, v0
	v_add_u32_e32 v0, 0x100, v0
	global_store_byte v2, v1, s[16:17]
	s_or_b64 exec, exec, s[2:3]
	v_cmp_gt_i32_e32 vcc, s20, v0
	s_and_saveexec_b64 s[2:3], vcc
	s_cbranch_execnz .LBB325_51
	s_branch .LBB325_52
	.section	.rodata,"a",@progbits
	.p2align	6, 0x0
	.amdhsa_kernel _ZN2at6native29vectorized_elementwise_kernelILi16ENS0_13BinaryFunctorIttbNS0_12_GLOBAL__N_116CompareEqFunctorItEEEESt5arrayIPcLm3EEEEviT0_T1_
		.amdhsa_group_segment_fixed_size 0
		.amdhsa_private_segment_fixed_size 0
		.amdhsa_kernarg_size 32
		.amdhsa_user_sgpr_count 6
		.amdhsa_user_sgpr_private_segment_buffer 1
		.amdhsa_user_sgpr_dispatch_ptr 0
		.amdhsa_user_sgpr_queue_ptr 0
		.amdhsa_user_sgpr_kernarg_segment_ptr 1
		.amdhsa_user_sgpr_dispatch_id 0
		.amdhsa_user_sgpr_flat_scratch_init 0
		.amdhsa_user_sgpr_private_segment_size 0
		.amdhsa_uses_dynamic_stack 0
		.amdhsa_system_sgpr_private_segment_wavefront_offset 0
		.amdhsa_system_sgpr_workgroup_id_x 1
		.amdhsa_system_sgpr_workgroup_id_y 0
		.amdhsa_system_sgpr_workgroup_id_z 0
		.amdhsa_system_sgpr_workgroup_info 0
		.amdhsa_system_vgpr_workitem_id 0
		.amdhsa_next_free_vgpr 18
		.amdhsa_next_free_sgpr 48
		.amdhsa_reserve_vcc 1
		.amdhsa_reserve_flat_scratch 0
		.amdhsa_float_round_mode_32 0
		.amdhsa_float_round_mode_16_64 0
		.amdhsa_float_denorm_mode_32 3
		.amdhsa_float_denorm_mode_16_64 3
		.amdhsa_dx10_clamp 1
		.amdhsa_ieee_mode 1
		.amdhsa_fp16_overflow 0
		.amdhsa_exception_fp_ieee_invalid_op 0
		.amdhsa_exception_fp_denorm_src 0
		.amdhsa_exception_fp_ieee_div_zero 0
		.amdhsa_exception_fp_ieee_overflow 0
		.amdhsa_exception_fp_ieee_underflow 0
		.amdhsa_exception_fp_ieee_inexact 0
		.amdhsa_exception_int_div_zero 0
	.end_amdhsa_kernel
	.section	.text._ZN2at6native29vectorized_elementwise_kernelILi16ENS0_13BinaryFunctorIttbNS0_12_GLOBAL__N_116CompareEqFunctorItEEEESt5arrayIPcLm3EEEEviT0_T1_,"axG",@progbits,_ZN2at6native29vectorized_elementwise_kernelILi16ENS0_13BinaryFunctorIttbNS0_12_GLOBAL__N_116CompareEqFunctorItEEEESt5arrayIPcLm3EEEEviT0_T1_,comdat
.Lfunc_end325:
	.size	_ZN2at6native29vectorized_elementwise_kernelILi16ENS0_13BinaryFunctorIttbNS0_12_GLOBAL__N_116CompareEqFunctorItEEEESt5arrayIPcLm3EEEEviT0_T1_, .Lfunc_end325-_ZN2at6native29vectorized_elementwise_kernelILi16ENS0_13BinaryFunctorIttbNS0_12_GLOBAL__N_116CompareEqFunctorItEEEESt5arrayIPcLm3EEEEviT0_T1_
                                        ; -- End function
	.set _ZN2at6native29vectorized_elementwise_kernelILi16ENS0_13BinaryFunctorIttbNS0_12_GLOBAL__N_116CompareEqFunctorItEEEESt5arrayIPcLm3EEEEviT0_T1_.num_vgpr, 18
	.set _ZN2at6native29vectorized_elementwise_kernelILi16ENS0_13BinaryFunctorIttbNS0_12_GLOBAL__N_116CompareEqFunctorItEEEESt5arrayIPcLm3EEEEviT0_T1_.num_agpr, 0
	.set _ZN2at6native29vectorized_elementwise_kernelILi16ENS0_13BinaryFunctorIttbNS0_12_GLOBAL__N_116CompareEqFunctorItEEEESt5arrayIPcLm3EEEEviT0_T1_.numbered_sgpr, 48
	.set _ZN2at6native29vectorized_elementwise_kernelILi16ENS0_13BinaryFunctorIttbNS0_12_GLOBAL__N_116CompareEqFunctorItEEEESt5arrayIPcLm3EEEEviT0_T1_.num_named_barrier, 0
	.set _ZN2at6native29vectorized_elementwise_kernelILi16ENS0_13BinaryFunctorIttbNS0_12_GLOBAL__N_116CompareEqFunctorItEEEESt5arrayIPcLm3EEEEviT0_T1_.private_seg_size, 0
	.set _ZN2at6native29vectorized_elementwise_kernelILi16ENS0_13BinaryFunctorIttbNS0_12_GLOBAL__N_116CompareEqFunctorItEEEESt5arrayIPcLm3EEEEviT0_T1_.uses_vcc, 1
	.set _ZN2at6native29vectorized_elementwise_kernelILi16ENS0_13BinaryFunctorIttbNS0_12_GLOBAL__N_116CompareEqFunctorItEEEESt5arrayIPcLm3EEEEviT0_T1_.uses_flat_scratch, 0
	.set _ZN2at6native29vectorized_elementwise_kernelILi16ENS0_13BinaryFunctorIttbNS0_12_GLOBAL__N_116CompareEqFunctorItEEEESt5arrayIPcLm3EEEEviT0_T1_.has_dyn_sized_stack, 0
	.set _ZN2at6native29vectorized_elementwise_kernelILi16ENS0_13BinaryFunctorIttbNS0_12_GLOBAL__N_116CompareEqFunctorItEEEESt5arrayIPcLm3EEEEviT0_T1_.has_recursion, 0
	.set _ZN2at6native29vectorized_elementwise_kernelILi16ENS0_13BinaryFunctorIttbNS0_12_GLOBAL__N_116CompareEqFunctorItEEEESt5arrayIPcLm3EEEEviT0_T1_.has_indirect_call, 0
	.section	.AMDGPU.csdata,"",@progbits
; Kernel info:
; codeLenInByte = 3500
; TotalNumSgprs: 52
; NumVgprs: 18
; ScratchSize: 0
; MemoryBound: 0
; FloatMode: 240
; IeeeMode: 1
; LDSByteSize: 0 bytes/workgroup (compile time only)
; SGPRBlocks: 6
; VGPRBlocks: 4
; NumSGPRsForWavesPerEU: 52
; NumVGPRsForWavesPerEU: 18
; Occupancy: 10
; WaveLimiterHint : 0
; COMPUTE_PGM_RSRC2:SCRATCH_EN: 0
; COMPUTE_PGM_RSRC2:USER_SGPR: 6
; COMPUTE_PGM_RSRC2:TRAP_HANDLER: 0
; COMPUTE_PGM_RSRC2:TGID_X_EN: 1
; COMPUTE_PGM_RSRC2:TGID_Y_EN: 0
; COMPUTE_PGM_RSRC2:TGID_Z_EN: 0
; COMPUTE_PGM_RSRC2:TIDIG_COMP_CNT: 0
	.section	.text._ZN2at6native29vectorized_elementwise_kernelILi8ENS0_13BinaryFunctorIttbNS0_12_GLOBAL__N_116CompareEqFunctorItEEEESt5arrayIPcLm3EEEEviT0_T1_,"axG",@progbits,_ZN2at6native29vectorized_elementwise_kernelILi8ENS0_13BinaryFunctorIttbNS0_12_GLOBAL__N_116CompareEqFunctorItEEEESt5arrayIPcLm3EEEEviT0_T1_,comdat
	.globl	_ZN2at6native29vectorized_elementwise_kernelILi8ENS0_13BinaryFunctorIttbNS0_12_GLOBAL__N_116CompareEqFunctorItEEEESt5arrayIPcLm3EEEEviT0_T1_ ; -- Begin function _ZN2at6native29vectorized_elementwise_kernelILi8ENS0_13BinaryFunctorIttbNS0_12_GLOBAL__N_116CompareEqFunctorItEEEESt5arrayIPcLm3EEEEviT0_T1_
	.p2align	8
	.type	_ZN2at6native29vectorized_elementwise_kernelILi8ENS0_13BinaryFunctorIttbNS0_12_GLOBAL__N_116CompareEqFunctorItEEEESt5arrayIPcLm3EEEEviT0_T1_,@function
_ZN2at6native29vectorized_elementwise_kernelILi8ENS0_13BinaryFunctorIttbNS0_12_GLOBAL__N_116CompareEqFunctorItEEEESt5arrayIPcLm3EEEEviT0_T1_: ; @_ZN2at6native29vectorized_elementwise_kernelILi8ENS0_13BinaryFunctorIttbNS0_12_GLOBAL__N_116CompareEqFunctorItEEEESt5arrayIPcLm3EEEEviT0_T1_
; %bb.0:
	s_load_dwordx2 s[12:13], s[4:5], 0x0
	s_load_dwordx4 s[8:11], s[4:5], 0x8
	s_load_dwordx2 s[14:15], s[4:5], 0x18
	s_lshl_b32 s6, s6, 12
	s_mov_b64 s[0:1], -1
	s_waitcnt lgkmcnt(0)
	s_sub_i32 s12, s12, s6
	s_cmpk_gt_i32 s12, 0xfff
	s_cbranch_scc0 .LBB326_2
; %bb.1:
	s_ashr_i32 s7, s6, 31
	s_lshl_b64 s[0:1], s[6:7], 1
	s_add_u32 s2, s10, s0
	s_addc_u32 s3, s11, s1
	v_lshlrev_b32_e32 v13, 4, v0
	s_add_u32 s0, s14, s0
	v_mov_b32_e32 v9, s3
	v_add_co_u32_e32 v10, vcc, s2, v13
	s_addc_u32 s1, s15, s1
	global_load_dwordx4 v[1:4], v13, s[2:3]
	global_load_dwordx4 v[5:8], v13, s[0:1]
	s_movk_i32 s4, 0x1000
	v_addc_co_u32_e32 v11, vcc, 0, v9, vcc
	v_add_co_u32_e32 v9, vcc, s4, v10
	v_addc_co_u32_e32 v10, vcc, 0, v11, vcc
	v_mov_b32_e32 v14, s1
	v_add_co_u32_e32 v13, vcc, s0, v13
	v_addc_co_u32_e32 v14, vcc, 0, v14, vcc
	v_add_co_u32_e32 v13, vcc, s4, v13
	v_addc_co_u32_e32 v14, vcc, 0, v14, vcc
	global_load_dwordx4 v[9:12], v[9:10], off
	s_cmp_eq_u32 s13, 0
	global_load_dwordx4 v[13:16], v[13:14], off
	s_cselect_b64 s[24:25], -1, 0
	v_mov_b32_e32 v17, 0x100
	v_mov_b32_e32 v18, 0x10000
	;; [unrolled: 1-line block ×3, first 2 shown]
	s_waitcnt vmcnt(2)
	v_cmp_ne_u16_e32 vcc, v1, v5
	v_cmp_ne_u16_sdwa s[16:17], v1, v5 src0_sel:WORD_1 src1_sel:WORD_1
	v_cmp_ne_u16_e64 s[0:1], v2, v6
	s_xor_b64 s[26:27], s[24:25], vcc
	s_xor_b64 vcc, s[24:25], s[16:17]
	v_cmp_ne_u16_sdwa s[18:19], v2, v6 src0_sel:WORD_1 src1_sel:WORD_1
	v_cndmask_b32_e32 v2, 0, v17, vcc
	s_xor_b64 vcc, s[24:25], s[0:1]
	v_cmp_ne_u16_sdwa s[20:21], v3, v7 src0_sel:WORD_1 src1_sel:WORD_1
	v_cmp_ne_u16_e64 s[4:5], v4, v8
	v_cmp_ne_u16_sdwa s[22:23], v4, v8 src0_sel:WORD_1 src1_sel:WORD_1
	v_cndmask_b32_e32 v4, 0, v18, vcc
	s_xor_b64 vcc, s[24:25], s[18:19]
	v_cndmask_b32_e32 v5, 0, v19, vcc
	s_xor_b64 vcc, s[24:25], s[20:21]
	v_cmp_ne_u16_e64 s[2:3], v3, v7
	v_cndmask_b32_e32 v7, 0, v17, vcc
	s_xor_b64 vcc, s[24:25], s[4:5]
	v_cndmask_b32_e64 v1, 0, 1, s[26:27]
	v_cndmask_b32_e32 v8, 0, v18, vcc
	s_xor_b64 vcc, s[24:25], s[22:23]
	s_xor_b64 s[0:1], s[24:25], s[2:3]
	v_or_b32_e32 v1, v2, v1
	v_cndmask_b32_e32 v2, 0, v19, vcc
	s_waitcnt vmcnt(0)
	v_cmp_ne_u16_e32 vcc, v9, v13
	v_cmp_ne_u16_sdwa s[16:17], v9, v13 src0_sel:WORD_1 src1_sel:WORD_1
	v_or3_b32 v3, 0, 0, 0
	v_cndmask_b32_e64 v6, 0, 1, s[0:1]
	v_cmp_ne_u16_e64 s[0:1], v10, v14
	s_xor_b64 s[26:27], s[24:25], vcc
	s_xor_b64 vcc, s[24:25], s[16:17]
	v_or3_b32 v6, v3, v6, v7
	v_or3_b32 v1, v1, v4, v5
	v_cmp_ne_u16_sdwa s[18:19], v10, v14 src0_sel:WORD_1 src1_sel:WORD_1
	v_cndmask_b32_e32 v5, 0, v17, vcc
	s_xor_b64 vcc, s[24:25], s[0:1]
	v_or3_b32 v2, v6, v8, v2
	v_cmp_ne_u16_sdwa s[20:21], v11, v15 src0_sel:WORD_1 src1_sel:WORD_1
	v_cndmask_b32_e32 v6, 0, v18, vcc
	s_xor_b64 vcc, s[24:25], s[18:19]
	v_cmp_ne_u16_e64 s[2:3], v11, v15
	v_cmp_ne_u16_e64 s[4:5], v12, v16
	v_cndmask_b32_e64 v4, 0, 1, s[26:27]
	v_cndmask_b32_e32 v7, 0, v19, vcc
	s_xor_b64 vcc, s[24:25], s[20:21]
	v_cmp_ne_u16_sdwa s[22:23], v12, v16 src0_sel:WORD_1 src1_sel:WORD_1
	s_xor_b64 s[0:1], s[24:25], s[2:3]
	v_cndmask_b32_e32 v9, 0, v17, vcc
	s_xor_b64 vcc, s[24:25], s[4:5]
	v_or_b32_e32 v4, v5, v4
	v_cndmask_b32_e64 v8, 0, 1, s[0:1]
	v_cndmask_b32_e32 v10, 0, v18, vcc
	s_xor_b64 vcc, s[24:25], s[22:23]
	v_or3_b32 v4, v4, v6, v7
	v_or3_b32 v1, v1, 0, 0
	v_cndmask_b32_e32 v11, 0, v19, vcc
	v_or3_b32 v3, v3, v8, v9
	v_or3_b32 v5, v4, 0, 0
	s_add_u32 s0, s8, s6
	v_or3_b32 v1, v1, 0, 0
	v_or3_b32 v4, v3, v10, v11
	;; [unrolled: 1-line block ×3, first 2 shown]
	s_addc_u32 s1, s9, s7
	v_lshlrev_b32_e32 v5, 3, v0
	global_store_dwordx2 v5, v[1:2], s[0:1]
	global_store_dwordx2 v5, v[3:4], s[0:1] offset:2048
	s_mov_b64 s[0:1], 0
.LBB326_2:
	s_andn2_b64 vcc, exec, s[0:1]
	s_cbranch_vccnz .LBB326_52
; %bb.3:
	v_cmp_gt_i32_e32 vcc, s12, v0
	s_mov_b64 s[2:3], 0
	v_or_b32_e32 v1, s6, v0
	s_mov_b64 s[4:5], 0
	v_mov_b32_e32 v2, v0
	s_and_saveexec_b64 s[16:17], vcc
	s_cbranch_execz .LBB326_5
; %bb.4:
	v_mov_b32_e32 v2, 0
	v_lshlrev_b64 v[2:3], 1, v[1:2]
	v_mov_b32_e32 v5, s15
	v_add_co_u32_e64 v4, s[0:1], s14, v2
	v_addc_co_u32_e64 v5, s[0:1], v5, v3, s[0:1]
	v_mov_b32_e32 v6, s11
	v_add_co_u32_e64 v2, s[0:1], s10, v2
	v_addc_co_u32_e64 v3, s[0:1], v6, v3, s[0:1]
	global_load_ushort v6, v[2:3], off
	global_load_ushort v7, v[4:5], off
	v_or_b32_e32 v2, 0x100, v0
	s_waitcnt vmcnt(0)
	v_cmp_ne_u16_e64 s[0:1], v6, v7
	s_and_b64 s[4:5], s[0:1], exec
.LBB326_5:
	s_or_b64 exec, exec, s[16:17]
	v_cmp_gt_i32_e64 s[0:1], s12, v2
	s_and_saveexec_b64 s[16:17], s[0:1]
	s_cbranch_execz .LBB326_7
; %bb.6:
	v_add_u32_e32 v3, s6, v2
	v_mov_b32_e32 v4, 0
	v_lshlrev_b64 v[3:4], 1, v[3:4]
	v_mov_b32_e32 v6, s15
	v_add_co_u32_e64 v5, s[0:1], s14, v3
	v_addc_co_u32_e64 v6, s[0:1], v6, v4, s[0:1]
	v_mov_b32_e32 v7, s11
	v_add_co_u32_e64 v3, s[0:1], s10, v3
	v_addc_co_u32_e64 v4, s[0:1], v7, v4, s[0:1]
	global_load_ushort v7, v[3:4], off
	global_load_ushort v8, v[5:6], off
	v_add_u32_e32 v2, 0x100, v2
	s_waitcnt vmcnt(0)
	v_cmp_ne_u16_e64 s[0:1], v7, v8
	s_and_b64 s[2:3], s[0:1], exec
.LBB326_7:
	s_or_b64 exec, exec, s[16:17]
	v_cmp_gt_i32_e64 s[0:1], s12, v2
	s_mov_b64 s[16:17], 0
	s_mov_b64 s[18:19], 0
	s_and_saveexec_b64 s[20:21], s[0:1]
	s_cbranch_execz .LBB326_9
; %bb.8:
	v_add_u32_e32 v3, s6, v2
	v_mov_b32_e32 v4, 0
	v_lshlrev_b64 v[3:4], 1, v[3:4]
	v_mov_b32_e32 v6, s15
	v_add_co_u32_e64 v5, s[0:1], s14, v3
	v_addc_co_u32_e64 v6, s[0:1], v6, v4, s[0:1]
	v_mov_b32_e32 v7, s11
	v_add_co_u32_e64 v3, s[0:1], s10, v3
	v_addc_co_u32_e64 v4, s[0:1], v7, v4, s[0:1]
	global_load_ushort v7, v[3:4], off
	global_load_ushort v8, v[5:6], off
	v_add_u32_e32 v2, 0x100, v2
	s_waitcnt vmcnt(0)
	v_cmp_ne_u16_e64 s[0:1], v7, v8
	s_and_b64 s[18:19], s[0:1], exec
.LBB326_9:
	s_or_b64 exec, exec, s[20:21]
	v_cmp_gt_i32_e64 s[0:1], s12, v2
	s_and_saveexec_b64 s[20:21], s[0:1]
	s_cbranch_execz .LBB326_11
; %bb.10:
	v_add_u32_e32 v3, s6, v2
	v_mov_b32_e32 v4, 0
	v_lshlrev_b64 v[3:4], 1, v[3:4]
	v_mov_b32_e32 v6, s15
	v_add_co_u32_e64 v5, s[0:1], s14, v3
	v_addc_co_u32_e64 v6, s[0:1], v6, v4, s[0:1]
	v_mov_b32_e32 v7, s11
	v_add_co_u32_e64 v3, s[0:1], s10, v3
	v_addc_co_u32_e64 v4, s[0:1], v7, v4, s[0:1]
	global_load_ushort v7, v[3:4], off
	global_load_ushort v8, v[5:6], off
	v_add_u32_e32 v2, 0x100, v2
	s_waitcnt vmcnt(0)
	v_cmp_ne_u16_e64 s[0:1], v7, v8
	s_and_b64 s[16:17], s[0:1], exec
.LBB326_11:
	s_or_b64 exec, exec, s[20:21]
	v_cmp_gt_i32_e64 s[0:1], s12, v2
	s_mov_b64 s[20:21], 0
	s_mov_b64 s[22:23], 0
	s_and_saveexec_b64 s[24:25], s[0:1]
	s_cbranch_execz .LBB326_13
; %bb.12:
	v_add_u32_e32 v3, s6, v2
	v_mov_b32_e32 v4, 0
	v_lshlrev_b64 v[3:4], 1, v[3:4]
	v_mov_b32_e32 v6, s15
	v_add_co_u32_e64 v5, s[0:1], s14, v3
	v_addc_co_u32_e64 v6, s[0:1], v6, v4, s[0:1]
	v_mov_b32_e32 v7, s11
	v_add_co_u32_e64 v3, s[0:1], s10, v3
	v_addc_co_u32_e64 v4, s[0:1], v7, v4, s[0:1]
	global_load_ushort v7, v[3:4], off
	global_load_ushort v8, v[5:6], off
	v_add_u32_e32 v2, 0x100, v2
	s_waitcnt vmcnt(0)
	v_cmp_ne_u16_e64 s[0:1], v7, v8
	s_and_b64 s[22:23], s[0:1], exec
.LBB326_13:
	;; [unrolled: 44-line block ×7, first 2 shown]
	s_or_b64 exec, exec, s[46:47]
	v_cmp_gt_i32_e64 s[0:1], s12, v2
	s_and_saveexec_b64 s[46:47], s[0:1]
	s_cbranch_execz .LBB326_35
; %bb.34:
	v_add_u32_e32 v2, s6, v2
	v_mov_b32_e32 v3, 0
	v_lshlrev_b64 v[2:3], 1, v[2:3]
	v_mov_b32_e32 v5, s15
	v_add_co_u32_e64 v4, s[0:1], s14, v2
	v_addc_co_u32_e64 v5, s[0:1], v5, v3, s[0:1]
	v_mov_b32_e32 v6, s11
	v_add_co_u32_e64 v2, s[0:1], s10, v2
	v_addc_co_u32_e64 v3, s[0:1], v6, v3, s[0:1]
	global_load_ushort v6, v[2:3], off
	global_load_ushort v7, v[4:5], off
	s_waitcnt vmcnt(0)
	v_cmp_ne_u16_e64 s[0:1], v6, v7
	s_and_b64 s[42:43], s[0:1], exec
.LBB326_35:
	s_or_b64 exec, exec, s[46:47]
	s_cmp_eq_u32 s13, 0
	s_cselect_b64 s[0:1], -1, 0
	s_and_saveexec_b64 s[10:11], vcc
	s_cbranch_execnz .LBB326_53
; %bb.36:
	s_or_b64 exec, exec, s[10:11]
	v_cmp_gt_i32_e32 vcc, s12, v0
	s_and_saveexec_b64 s[4:5], vcc
	s_cbranch_execnz .LBB326_54
.LBB326_37:
	s_or_b64 exec, exec, s[4:5]
	v_cmp_gt_i32_e32 vcc, s12, v0
	s_and_saveexec_b64 s[2:3], vcc
	s_cbranch_execnz .LBB326_55
.LBB326_38:
	s_or_b64 exec, exec, s[2:3]
	v_cmp_gt_i32_e32 vcc, s12, v0
	s_and_saveexec_b64 s[2:3], vcc
	s_cbranch_execnz .LBB326_56
.LBB326_39:
	s_or_b64 exec, exec, s[2:3]
	v_cmp_gt_i32_e32 vcc, s12, v0
	s_and_saveexec_b64 s[2:3], vcc
	s_cbranch_execnz .LBB326_57
.LBB326_40:
	s_or_b64 exec, exec, s[2:3]
	v_cmp_gt_i32_e32 vcc, s12, v0
	s_and_saveexec_b64 s[2:3], vcc
	s_cbranch_execnz .LBB326_58
.LBB326_41:
	s_or_b64 exec, exec, s[2:3]
	v_cmp_gt_i32_e32 vcc, s12, v0
	s_and_saveexec_b64 s[2:3], vcc
	s_cbranch_execnz .LBB326_59
.LBB326_42:
	s_or_b64 exec, exec, s[2:3]
	v_cmp_gt_i32_e32 vcc, s12, v0
	s_and_saveexec_b64 s[2:3], vcc
	s_cbranch_execnz .LBB326_60
.LBB326_43:
	s_or_b64 exec, exec, s[2:3]
	v_cmp_gt_i32_e32 vcc, s12, v0
	s_and_saveexec_b64 s[2:3], vcc
	s_cbranch_execnz .LBB326_61
.LBB326_44:
	s_or_b64 exec, exec, s[2:3]
	v_cmp_gt_i32_e32 vcc, s12, v0
	s_and_saveexec_b64 s[2:3], vcc
	s_cbranch_execnz .LBB326_62
.LBB326_45:
	s_or_b64 exec, exec, s[2:3]
	v_cmp_gt_i32_e32 vcc, s12, v0
	s_and_saveexec_b64 s[2:3], vcc
	s_cbranch_execnz .LBB326_63
.LBB326_46:
	s_or_b64 exec, exec, s[2:3]
	v_cmp_gt_i32_e32 vcc, s12, v0
	s_and_saveexec_b64 s[2:3], vcc
	s_cbranch_execnz .LBB326_64
.LBB326_47:
	s_or_b64 exec, exec, s[2:3]
	v_cmp_gt_i32_e32 vcc, s12, v0
	s_and_saveexec_b64 s[2:3], vcc
	s_cbranch_execnz .LBB326_65
.LBB326_48:
	s_or_b64 exec, exec, s[2:3]
	v_cmp_gt_i32_e32 vcc, s12, v0
	s_and_saveexec_b64 s[2:3], vcc
	s_cbranch_execnz .LBB326_66
.LBB326_49:
	s_or_b64 exec, exec, s[2:3]
	v_cmp_gt_i32_e32 vcc, s12, v0
	s_and_saveexec_b64 s[2:3], vcc
	s_cbranch_execnz .LBB326_67
.LBB326_50:
	s_or_b64 exec, exec, s[2:3]
	v_cmp_gt_i32_e32 vcc, s12, v0
	s_and_saveexec_b64 s[2:3], vcc
	s_cbranch_execz .LBB326_52
.LBB326_51:
	s_xor_b64 s[0:1], s[0:1], s[42:43]
	v_cndmask_b32_e64 v1, 0, 1, s[0:1]
	v_add_u32_e32 v0, s6, v0
	global_store_byte v0, v1, s[8:9]
.LBB326_52:
	s_endpgm
.LBB326_53:
	s_xor_b64 s[4:5], s[0:1], s[4:5]
	v_or_b32_e32 v0, 0x100, v0
	v_cndmask_b32_e64 v2, 0, 1, s[4:5]
	global_store_byte v1, v2, s[8:9]
	s_or_b64 exec, exec, s[10:11]
	v_cmp_gt_i32_e32 vcc, s12, v0
	s_and_saveexec_b64 s[4:5], vcc
	s_cbranch_execz .LBB326_37
.LBB326_54:
	s_xor_b64 s[2:3], s[0:1], s[2:3]
	v_cndmask_b32_e64 v1, 0, 1, s[2:3]
	v_add_u32_e32 v2, s6, v0
	v_add_u32_e32 v0, 0x100, v0
	global_store_byte v2, v1, s[8:9]
	s_or_b64 exec, exec, s[4:5]
	v_cmp_gt_i32_e32 vcc, s12, v0
	s_and_saveexec_b64 s[2:3], vcc
	s_cbranch_execz .LBB326_38
.LBB326_55:
	s_xor_b64 s[4:5], s[0:1], s[18:19]
	v_cndmask_b32_e64 v1, 0, 1, s[4:5]
	v_add_u32_e32 v2, s6, v0
	v_add_u32_e32 v0, 0x100, v0
	global_store_byte v2, v1, s[8:9]
	s_or_b64 exec, exec, s[2:3]
	v_cmp_gt_i32_e32 vcc, s12, v0
	s_and_saveexec_b64 s[2:3], vcc
	s_cbranch_execz .LBB326_39
.LBB326_56:
	s_xor_b64 s[4:5], s[0:1], s[16:17]
	v_cndmask_b32_e64 v1, 0, 1, s[4:5]
	v_add_u32_e32 v2, s6, v0
	v_add_u32_e32 v0, 0x100, v0
	global_store_byte v2, v1, s[8:9]
	s_or_b64 exec, exec, s[2:3]
	v_cmp_gt_i32_e32 vcc, s12, v0
	s_and_saveexec_b64 s[2:3], vcc
	s_cbranch_execz .LBB326_40
.LBB326_57:
	s_xor_b64 s[4:5], s[0:1], s[22:23]
	v_cndmask_b32_e64 v1, 0, 1, s[4:5]
	v_add_u32_e32 v2, s6, v0
	v_add_u32_e32 v0, 0x100, v0
	global_store_byte v2, v1, s[8:9]
	s_or_b64 exec, exec, s[2:3]
	v_cmp_gt_i32_e32 vcc, s12, v0
	s_and_saveexec_b64 s[2:3], vcc
	s_cbranch_execz .LBB326_41
.LBB326_58:
	s_xor_b64 s[4:5], s[0:1], s[20:21]
	v_cndmask_b32_e64 v1, 0, 1, s[4:5]
	v_add_u32_e32 v2, s6, v0
	v_add_u32_e32 v0, 0x100, v0
	global_store_byte v2, v1, s[8:9]
	s_or_b64 exec, exec, s[2:3]
	v_cmp_gt_i32_e32 vcc, s12, v0
	s_and_saveexec_b64 s[2:3], vcc
	s_cbranch_execz .LBB326_42
.LBB326_59:
	s_xor_b64 s[4:5], s[0:1], s[26:27]
	v_cndmask_b32_e64 v1, 0, 1, s[4:5]
	v_add_u32_e32 v2, s6, v0
	v_add_u32_e32 v0, 0x100, v0
	global_store_byte v2, v1, s[8:9]
	s_or_b64 exec, exec, s[2:3]
	v_cmp_gt_i32_e32 vcc, s12, v0
	s_and_saveexec_b64 s[2:3], vcc
	s_cbranch_execz .LBB326_43
.LBB326_60:
	s_xor_b64 s[4:5], s[0:1], s[24:25]
	v_cndmask_b32_e64 v1, 0, 1, s[4:5]
	v_add_u32_e32 v2, s6, v0
	v_add_u32_e32 v0, 0x100, v0
	global_store_byte v2, v1, s[8:9]
	s_or_b64 exec, exec, s[2:3]
	v_cmp_gt_i32_e32 vcc, s12, v0
	s_and_saveexec_b64 s[2:3], vcc
	s_cbranch_execz .LBB326_44
.LBB326_61:
	s_xor_b64 s[4:5], s[0:1], s[30:31]
	v_cndmask_b32_e64 v1, 0, 1, s[4:5]
	v_add_u32_e32 v2, s6, v0
	v_add_u32_e32 v0, 0x100, v0
	global_store_byte v2, v1, s[8:9]
	s_or_b64 exec, exec, s[2:3]
	v_cmp_gt_i32_e32 vcc, s12, v0
	s_and_saveexec_b64 s[2:3], vcc
	s_cbranch_execz .LBB326_45
.LBB326_62:
	s_xor_b64 s[4:5], s[0:1], s[28:29]
	v_cndmask_b32_e64 v1, 0, 1, s[4:5]
	v_add_u32_e32 v2, s6, v0
	v_add_u32_e32 v0, 0x100, v0
	global_store_byte v2, v1, s[8:9]
	s_or_b64 exec, exec, s[2:3]
	v_cmp_gt_i32_e32 vcc, s12, v0
	s_and_saveexec_b64 s[2:3], vcc
	s_cbranch_execz .LBB326_46
.LBB326_63:
	s_xor_b64 s[4:5], s[0:1], s[36:37]
	v_cndmask_b32_e64 v1, 0, 1, s[4:5]
	v_add_u32_e32 v2, s6, v0
	v_add_u32_e32 v0, 0x100, v0
	global_store_byte v2, v1, s[8:9]
	s_or_b64 exec, exec, s[2:3]
	v_cmp_gt_i32_e32 vcc, s12, v0
	s_and_saveexec_b64 s[2:3], vcc
	s_cbranch_execz .LBB326_47
.LBB326_64:
	s_xor_b64 s[4:5], s[0:1], s[34:35]
	v_cndmask_b32_e64 v1, 0, 1, s[4:5]
	v_add_u32_e32 v2, s6, v0
	v_add_u32_e32 v0, 0x100, v0
	global_store_byte v2, v1, s[8:9]
	s_or_b64 exec, exec, s[2:3]
	v_cmp_gt_i32_e32 vcc, s12, v0
	s_and_saveexec_b64 s[2:3], vcc
	s_cbranch_execz .LBB326_48
.LBB326_65:
	s_xor_b64 s[4:5], s[0:1], s[40:41]
	v_cndmask_b32_e64 v1, 0, 1, s[4:5]
	v_add_u32_e32 v2, s6, v0
	v_add_u32_e32 v0, 0x100, v0
	global_store_byte v2, v1, s[8:9]
	s_or_b64 exec, exec, s[2:3]
	v_cmp_gt_i32_e32 vcc, s12, v0
	s_and_saveexec_b64 s[2:3], vcc
	s_cbranch_execz .LBB326_49
.LBB326_66:
	s_xor_b64 s[4:5], s[0:1], s[38:39]
	v_cndmask_b32_e64 v1, 0, 1, s[4:5]
	v_add_u32_e32 v2, s6, v0
	v_add_u32_e32 v0, 0x100, v0
	global_store_byte v2, v1, s[8:9]
	s_or_b64 exec, exec, s[2:3]
	v_cmp_gt_i32_e32 vcc, s12, v0
	s_and_saveexec_b64 s[2:3], vcc
	s_cbranch_execz .LBB326_50
.LBB326_67:
	s_xor_b64 s[4:5], s[0:1], s[44:45]
	v_cndmask_b32_e64 v1, 0, 1, s[4:5]
	v_add_u32_e32 v2, s6, v0
	v_add_u32_e32 v0, 0x100, v0
	global_store_byte v2, v1, s[8:9]
	s_or_b64 exec, exec, s[2:3]
	v_cmp_gt_i32_e32 vcc, s12, v0
	s_and_saveexec_b64 s[2:3], vcc
	s_cbranch_execnz .LBB326_51
	s_branch .LBB326_52
	.section	.rodata,"a",@progbits
	.p2align	6, 0x0
	.amdhsa_kernel _ZN2at6native29vectorized_elementwise_kernelILi8ENS0_13BinaryFunctorIttbNS0_12_GLOBAL__N_116CompareEqFunctorItEEEESt5arrayIPcLm3EEEEviT0_T1_
		.amdhsa_group_segment_fixed_size 0
		.amdhsa_private_segment_fixed_size 0
		.amdhsa_kernarg_size 32
		.amdhsa_user_sgpr_count 6
		.amdhsa_user_sgpr_private_segment_buffer 1
		.amdhsa_user_sgpr_dispatch_ptr 0
		.amdhsa_user_sgpr_queue_ptr 0
		.amdhsa_user_sgpr_kernarg_segment_ptr 1
		.amdhsa_user_sgpr_dispatch_id 0
		.amdhsa_user_sgpr_flat_scratch_init 0
		.amdhsa_user_sgpr_private_segment_size 0
		.amdhsa_uses_dynamic_stack 0
		.amdhsa_system_sgpr_private_segment_wavefront_offset 0
		.amdhsa_system_sgpr_workgroup_id_x 1
		.amdhsa_system_sgpr_workgroup_id_y 0
		.amdhsa_system_sgpr_workgroup_id_z 0
		.amdhsa_system_sgpr_workgroup_info 0
		.amdhsa_system_vgpr_workitem_id 0
		.amdhsa_next_free_vgpr 20
		.amdhsa_next_free_sgpr 48
		.amdhsa_reserve_vcc 1
		.amdhsa_reserve_flat_scratch 0
		.amdhsa_float_round_mode_32 0
		.amdhsa_float_round_mode_16_64 0
		.amdhsa_float_denorm_mode_32 3
		.amdhsa_float_denorm_mode_16_64 3
		.amdhsa_dx10_clamp 1
		.amdhsa_ieee_mode 1
		.amdhsa_fp16_overflow 0
		.amdhsa_exception_fp_ieee_invalid_op 0
		.amdhsa_exception_fp_denorm_src 0
		.amdhsa_exception_fp_ieee_div_zero 0
		.amdhsa_exception_fp_ieee_overflow 0
		.amdhsa_exception_fp_ieee_underflow 0
		.amdhsa_exception_fp_ieee_inexact 0
		.amdhsa_exception_int_div_zero 0
	.end_amdhsa_kernel
	.section	.text._ZN2at6native29vectorized_elementwise_kernelILi8ENS0_13BinaryFunctorIttbNS0_12_GLOBAL__N_116CompareEqFunctorItEEEESt5arrayIPcLm3EEEEviT0_T1_,"axG",@progbits,_ZN2at6native29vectorized_elementwise_kernelILi8ENS0_13BinaryFunctorIttbNS0_12_GLOBAL__N_116CompareEqFunctorItEEEESt5arrayIPcLm3EEEEviT0_T1_,comdat
.Lfunc_end326:
	.size	_ZN2at6native29vectorized_elementwise_kernelILi8ENS0_13BinaryFunctorIttbNS0_12_GLOBAL__N_116CompareEqFunctorItEEEESt5arrayIPcLm3EEEEviT0_T1_, .Lfunc_end326-_ZN2at6native29vectorized_elementwise_kernelILi8ENS0_13BinaryFunctorIttbNS0_12_GLOBAL__N_116CompareEqFunctorItEEEESt5arrayIPcLm3EEEEviT0_T1_
                                        ; -- End function
	.set _ZN2at6native29vectorized_elementwise_kernelILi8ENS0_13BinaryFunctorIttbNS0_12_GLOBAL__N_116CompareEqFunctorItEEEESt5arrayIPcLm3EEEEviT0_T1_.num_vgpr, 20
	.set _ZN2at6native29vectorized_elementwise_kernelILi8ENS0_13BinaryFunctorIttbNS0_12_GLOBAL__N_116CompareEqFunctorItEEEESt5arrayIPcLm3EEEEviT0_T1_.num_agpr, 0
	.set _ZN2at6native29vectorized_elementwise_kernelILi8ENS0_13BinaryFunctorIttbNS0_12_GLOBAL__N_116CompareEqFunctorItEEEESt5arrayIPcLm3EEEEviT0_T1_.numbered_sgpr, 48
	.set _ZN2at6native29vectorized_elementwise_kernelILi8ENS0_13BinaryFunctorIttbNS0_12_GLOBAL__N_116CompareEqFunctorItEEEESt5arrayIPcLm3EEEEviT0_T1_.num_named_barrier, 0
	.set _ZN2at6native29vectorized_elementwise_kernelILi8ENS0_13BinaryFunctorIttbNS0_12_GLOBAL__N_116CompareEqFunctorItEEEESt5arrayIPcLm3EEEEviT0_T1_.private_seg_size, 0
	.set _ZN2at6native29vectorized_elementwise_kernelILi8ENS0_13BinaryFunctorIttbNS0_12_GLOBAL__N_116CompareEqFunctorItEEEESt5arrayIPcLm3EEEEviT0_T1_.uses_vcc, 1
	.set _ZN2at6native29vectorized_elementwise_kernelILi8ENS0_13BinaryFunctorIttbNS0_12_GLOBAL__N_116CompareEqFunctorItEEEESt5arrayIPcLm3EEEEviT0_T1_.uses_flat_scratch, 0
	.set _ZN2at6native29vectorized_elementwise_kernelILi8ENS0_13BinaryFunctorIttbNS0_12_GLOBAL__N_116CompareEqFunctorItEEEESt5arrayIPcLm3EEEEviT0_T1_.has_dyn_sized_stack, 0
	.set _ZN2at6native29vectorized_elementwise_kernelILi8ENS0_13BinaryFunctorIttbNS0_12_GLOBAL__N_116CompareEqFunctorItEEEESt5arrayIPcLm3EEEEviT0_T1_.has_recursion, 0
	.set _ZN2at6native29vectorized_elementwise_kernelILi8ENS0_13BinaryFunctorIttbNS0_12_GLOBAL__N_116CompareEqFunctorItEEEESt5arrayIPcLm3EEEEviT0_T1_.has_indirect_call, 0
	.section	.AMDGPU.csdata,"",@progbits
; Kernel info:
; codeLenInByte = 3508
; TotalNumSgprs: 52
; NumVgprs: 20
; ScratchSize: 0
; MemoryBound: 0
; FloatMode: 240
; IeeeMode: 1
; LDSByteSize: 0 bytes/workgroup (compile time only)
; SGPRBlocks: 6
; VGPRBlocks: 4
; NumSGPRsForWavesPerEU: 52
; NumVGPRsForWavesPerEU: 20
; Occupancy: 10
; WaveLimiterHint : 1
; COMPUTE_PGM_RSRC2:SCRATCH_EN: 0
; COMPUTE_PGM_RSRC2:USER_SGPR: 6
; COMPUTE_PGM_RSRC2:TRAP_HANDLER: 0
; COMPUTE_PGM_RSRC2:TGID_X_EN: 1
; COMPUTE_PGM_RSRC2:TGID_Y_EN: 0
; COMPUTE_PGM_RSRC2:TGID_Z_EN: 0
; COMPUTE_PGM_RSRC2:TIDIG_COMP_CNT: 0
	.section	.text._ZN2at6native29vectorized_elementwise_kernelILi4ENS0_13BinaryFunctorIttbNS0_12_GLOBAL__N_116CompareEqFunctorItEEEESt5arrayIPcLm3EEEEviT0_T1_,"axG",@progbits,_ZN2at6native29vectorized_elementwise_kernelILi4ENS0_13BinaryFunctorIttbNS0_12_GLOBAL__N_116CompareEqFunctorItEEEESt5arrayIPcLm3EEEEviT0_T1_,comdat
	.globl	_ZN2at6native29vectorized_elementwise_kernelILi4ENS0_13BinaryFunctorIttbNS0_12_GLOBAL__N_116CompareEqFunctorItEEEESt5arrayIPcLm3EEEEviT0_T1_ ; -- Begin function _ZN2at6native29vectorized_elementwise_kernelILi4ENS0_13BinaryFunctorIttbNS0_12_GLOBAL__N_116CompareEqFunctorItEEEESt5arrayIPcLm3EEEEviT0_T1_
	.p2align	8
	.type	_ZN2at6native29vectorized_elementwise_kernelILi4ENS0_13BinaryFunctorIttbNS0_12_GLOBAL__N_116CompareEqFunctorItEEEESt5arrayIPcLm3EEEEviT0_T1_,@function
_ZN2at6native29vectorized_elementwise_kernelILi4ENS0_13BinaryFunctorIttbNS0_12_GLOBAL__N_116CompareEqFunctorItEEEESt5arrayIPcLm3EEEEviT0_T1_: ; @_ZN2at6native29vectorized_elementwise_kernelILi4ENS0_13BinaryFunctorIttbNS0_12_GLOBAL__N_116CompareEqFunctorItEEEESt5arrayIPcLm3EEEEviT0_T1_
; %bb.0:
	s_load_dwordx2 s[12:13], s[4:5], 0x0
	s_load_dwordx4 s[8:11], s[4:5], 0x8
	s_load_dwordx2 s[14:15], s[4:5], 0x18
	s_lshl_b32 s6, s6, 12
	s_mov_b64 s[0:1], -1
	s_waitcnt lgkmcnt(0)
	s_sub_i32 s12, s12, s6
	s_cmpk_gt_i32 s12, 0xfff
	s_cbranch_scc0 .LBB327_2
; %bb.1:
	s_ashr_i32 s7, s6, 31
	s_lshl_b64 s[0:1], s[6:7], 1
	s_add_u32 s2, s10, s0
	s_addc_u32 s3, s11, s1
	v_lshlrev_b32_e32 v11, 3, v0
	s_add_u32 s0, s14, s0
	v_mov_b32_e32 v9, s3
	v_add_co_u32_e32 v10, vcc, s2, v11
	s_addc_u32 s1, s15, s1
	global_load_dwordx2 v[1:2], v11, s[2:3]
	global_load_dwordx2 v[3:4], v11, s[0:1]
	global_load_dwordx2 v[5:6], v11, s[2:3] offset:2048
	global_load_dwordx2 v[7:8], v11, s[0:1] offset:2048
	v_addc_co_u32_e32 v12, vcc, 0, v9, vcc
	v_add_co_u32_e32 v9, vcc, 0x1000, v10
	v_addc_co_u32_e32 v10, vcc, 0, v12, vcc
	v_mov_b32_e32 v12, s1
	v_add_co_u32_e32 v11, vcc, s0, v11
	s_movk_i32 s4, 0x1000
	v_addc_co_u32_e32 v12, vcc, 0, v12, vcc
	v_add_co_u32_e32 v11, vcc, s4, v11
	v_addc_co_u32_e32 v12, vcc, 0, v12, vcc
	global_load_dwordx2 v[13:14], v[11:12], off
	global_load_dwordx2 v[15:16], v[9:10], off
	global_load_dwordx2 v[17:18], v[9:10], off offset:2048
	global_load_dwordx2 v[19:20], v[11:12], off offset:2048
	s_cmp_eq_u32 s13, 0
	s_mov_b32 s20, 0xffff
	s_cselect_b64 s[16:17], -1, 0
	v_mov_b32_e32 v10, 0x10000
	v_mov_b32_e32 v9, 0x100
	s_waitcnt vmcnt(6)
	v_cmp_ne_u16_e32 vcc, v1, v3
	v_xor_b32_e32 v1, v3, v1
	v_cmp_ne_u16_e64 s[0:1], v2, v4
	v_xor_b32_e32 v2, v4, v2
	s_waitcnt vmcnt(4)
	v_cmp_ne_u16_e64 s[2:3], v5, v7
	v_cmp_ne_u16_e64 s[4:5], v6, v8
	s_xor_b64 s[18:19], s[16:17], vcc
	v_cmp_lt_u32_e32 vcc, s20, v1
	s_xor_b64 s[0:1], s[16:17], s[0:1]
	v_xor_b32_e32 v4, v7, v5
	v_xor_b32_e32 v5, v8, v6
	v_cndmask_b32_e64 v1, 0, v10, s[0:1]
	v_cmp_lt_u32_e64 s[0:1], s20, v2
	s_xor_b64 s[2:3], s[16:17], s[2:3]
	s_xor_b64 s[4:5], s[16:17], s[4:5]
	s_xor_b64 vcc, s[16:17], vcc
	v_mov_b32_e32 v3, 0x1000000
	v_cndmask_b32_e64 v2, 0, 1, s[2:3]
	v_cmp_lt_u32_e64 s[2:3], s20, v4
	v_cndmask_b32_e64 v4, 0, v10, s[4:5]
	v_cmp_lt_u32_e64 s[4:5], s20, v5
	v_cndmask_b32_e32 v5, 0, v9, vcc
	s_xor_b64 vcc, s[16:17], s[0:1]
	v_cndmask_b32_e32 v7, 0, v3, vcc
	s_xor_b64 vcc, s[16:17], s[2:3]
	v_cndmask_b32_e64 v6, 0, 1, s[18:19]
	v_cndmask_b32_e32 v8, 0, v9, vcc
	s_xor_b64 vcc, s[16:17], s[4:5]
	v_cndmask_b32_e32 v11, 0, v3, vcc
	v_or_b32_e32 v5, v5, v6
	s_waitcnt vmcnt(2)
	v_cmp_ne_u16_e32 vcc, v15, v13
	v_xor_b32_e32 v6, v13, v15
	v_cmp_ne_u16_e64 s[0:1], v16, v14
	v_or_b32_e32 v2, v8, v2
	v_xor_b32_e32 v8, v14, v16
	s_xor_b64 s[4:5], s[16:17], vcc
	v_cmp_lt_u32_e32 vcc, s20, v6
	s_xor_b64 s[0:1], s[16:17], s[0:1]
	v_or3_b32 v1, v5, v1, v7
	v_cndmask_b32_e64 v5, 0, v10, s[0:1]
	v_cmp_lt_u32_e64 s[0:1], s20, v8
	s_xor_b64 vcc, s[16:17], vcc
	s_waitcnt vmcnt(0)
	v_xor_b32_e32 v12, v19, v17
	v_cndmask_b32_e32 v7, 0, v9, vcc
	s_xor_b64 vcc, s[16:17], s[0:1]
	v_or3_b32 v2, v2, v4, v11
	v_cndmask_b32_e64 v4, 0, 1, s[4:5]
	v_cndmask_b32_e32 v8, 0, v3, vcc
	v_cmp_lt_u32_e32 vcc, s20, v12
	v_cmp_ne_u16_e64 s[2:3], v17, v19
	v_or_b32_e32 v4, v7, v4
	s_xor_b64 vcc, s[16:17], vcc
	s_xor_b64 s[2:3], s[16:17], s[2:3]
	v_or3_b32 v4, v4, v5, v8
	v_cndmask_b32_e32 v5, 0, v9, vcc
	v_cmp_ne_u16_e32 vcc, v18, v20
	v_cndmask_b32_e64 v6, 0, 1, s[2:3]
	s_xor_b64 vcc, s[16:17], vcc
	v_xor_b32_e32 v7, v20, v18
	v_or_b32_e32 v5, v5, v6
	v_cndmask_b32_e32 v6, 0, v10, vcc
	v_cmp_lt_u32_e32 vcc, s20, v7
	s_xor_b64 vcc, s[16:17], vcc
	v_cndmask_b32_e32 v3, 0, v3, vcc
	s_add_u32 s0, s8, s6
	v_or3_b32 v3, v5, v6, v3
	s_addc_u32 s1, s9, s7
	v_lshlrev_b32_e32 v5, 2, v0
	global_store_dword v5, v1, s[0:1]
	global_store_dword v5, v2, s[0:1] offset:1024
	global_store_dword v5, v4, s[0:1] offset:2048
	;; [unrolled: 1-line block ×3, first 2 shown]
	s_mov_b64 s[0:1], 0
.LBB327_2:
	s_andn2_b64 vcc, exec, s[0:1]
	s_cbranch_vccnz .LBB327_52
; %bb.3:
	v_cmp_gt_i32_e32 vcc, s12, v0
	s_mov_b64 s[2:3], 0
	v_or_b32_e32 v1, s6, v0
	s_mov_b64 s[4:5], 0
	v_mov_b32_e32 v2, v0
	s_and_saveexec_b64 s[16:17], vcc
	s_cbranch_execz .LBB327_5
; %bb.4:
	v_mov_b32_e32 v2, 0
	v_lshlrev_b64 v[2:3], 1, v[1:2]
	v_mov_b32_e32 v5, s15
	v_add_co_u32_e64 v4, s[0:1], s14, v2
	v_addc_co_u32_e64 v5, s[0:1], v5, v3, s[0:1]
	v_mov_b32_e32 v6, s11
	v_add_co_u32_e64 v2, s[0:1], s10, v2
	v_addc_co_u32_e64 v3, s[0:1], v6, v3, s[0:1]
	global_load_ushort v6, v[2:3], off
	global_load_ushort v7, v[4:5], off
	v_or_b32_e32 v2, 0x100, v0
	s_waitcnt vmcnt(0)
	v_cmp_ne_u16_e64 s[0:1], v6, v7
	s_and_b64 s[4:5], s[0:1], exec
.LBB327_5:
	s_or_b64 exec, exec, s[16:17]
	v_cmp_gt_i32_e64 s[0:1], s12, v2
	s_and_saveexec_b64 s[16:17], s[0:1]
	s_cbranch_execz .LBB327_7
; %bb.6:
	v_add_u32_e32 v3, s6, v2
	v_mov_b32_e32 v4, 0
	v_lshlrev_b64 v[3:4], 1, v[3:4]
	v_mov_b32_e32 v6, s15
	v_add_co_u32_e64 v5, s[0:1], s14, v3
	v_addc_co_u32_e64 v6, s[0:1], v6, v4, s[0:1]
	v_mov_b32_e32 v7, s11
	v_add_co_u32_e64 v3, s[0:1], s10, v3
	v_addc_co_u32_e64 v4, s[0:1], v7, v4, s[0:1]
	global_load_ushort v7, v[3:4], off
	global_load_ushort v8, v[5:6], off
	v_add_u32_e32 v2, 0x100, v2
	s_waitcnt vmcnt(0)
	v_cmp_ne_u16_e64 s[0:1], v7, v8
	s_and_b64 s[2:3], s[0:1], exec
.LBB327_7:
	s_or_b64 exec, exec, s[16:17]
	v_cmp_gt_i32_e64 s[0:1], s12, v2
	s_mov_b64 s[16:17], 0
	s_mov_b64 s[18:19], 0
	s_and_saveexec_b64 s[20:21], s[0:1]
	s_cbranch_execz .LBB327_9
; %bb.8:
	v_add_u32_e32 v3, s6, v2
	v_mov_b32_e32 v4, 0
	v_lshlrev_b64 v[3:4], 1, v[3:4]
	v_mov_b32_e32 v6, s15
	v_add_co_u32_e64 v5, s[0:1], s14, v3
	v_addc_co_u32_e64 v6, s[0:1], v6, v4, s[0:1]
	v_mov_b32_e32 v7, s11
	v_add_co_u32_e64 v3, s[0:1], s10, v3
	v_addc_co_u32_e64 v4, s[0:1], v7, v4, s[0:1]
	global_load_ushort v7, v[3:4], off
	global_load_ushort v8, v[5:6], off
	v_add_u32_e32 v2, 0x100, v2
	s_waitcnt vmcnt(0)
	v_cmp_ne_u16_e64 s[0:1], v7, v8
	s_and_b64 s[18:19], s[0:1], exec
.LBB327_9:
	s_or_b64 exec, exec, s[20:21]
	v_cmp_gt_i32_e64 s[0:1], s12, v2
	s_and_saveexec_b64 s[20:21], s[0:1]
	s_cbranch_execz .LBB327_11
; %bb.10:
	v_add_u32_e32 v3, s6, v2
	v_mov_b32_e32 v4, 0
	v_lshlrev_b64 v[3:4], 1, v[3:4]
	v_mov_b32_e32 v6, s15
	v_add_co_u32_e64 v5, s[0:1], s14, v3
	v_addc_co_u32_e64 v6, s[0:1], v6, v4, s[0:1]
	v_mov_b32_e32 v7, s11
	v_add_co_u32_e64 v3, s[0:1], s10, v3
	v_addc_co_u32_e64 v4, s[0:1], v7, v4, s[0:1]
	global_load_ushort v7, v[3:4], off
	global_load_ushort v8, v[5:6], off
	v_add_u32_e32 v2, 0x100, v2
	s_waitcnt vmcnt(0)
	v_cmp_ne_u16_e64 s[0:1], v7, v8
	s_and_b64 s[16:17], s[0:1], exec
.LBB327_11:
	s_or_b64 exec, exec, s[20:21]
	v_cmp_gt_i32_e64 s[0:1], s12, v2
	s_mov_b64 s[20:21], 0
	s_mov_b64 s[22:23], 0
	s_and_saveexec_b64 s[24:25], s[0:1]
	s_cbranch_execz .LBB327_13
; %bb.12:
	v_add_u32_e32 v3, s6, v2
	v_mov_b32_e32 v4, 0
	v_lshlrev_b64 v[3:4], 1, v[3:4]
	v_mov_b32_e32 v6, s15
	v_add_co_u32_e64 v5, s[0:1], s14, v3
	v_addc_co_u32_e64 v6, s[0:1], v6, v4, s[0:1]
	v_mov_b32_e32 v7, s11
	v_add_co_u32_e64 v3, s[0:1], s10, v3
	v_addc_co_u32_e64 v4, s[0:1], v7, v4, s[0:1]
	global_load_ushort v7, v[3:4], off
	global_load_ushort v8, v[5:6], off
	v_add_u32_e32 v2, 0x100, v2
	s_waitcnt vmcnt(0)
	v_cmp_ne_u16_e64 s[0:1], v7, v8
	s_and_b64 s[22:23], s[0:1], exec
.LBB327_13:
	;; [unrolled: 44-line block ×7, first 2 shown]
	s_or_b64 exec, exec, s[46:47]
	v_cmp_gt_i32_e64 s[0:1], s12, v2
	s_and_saveexec_b64 s[46:47], s[0:1]
	s_cbranch_execz .LBB327_35
; %bb.34:
	v_add_u32_e32 v2, s6, v2
	v_mov_b32_e32 v3, 0
	v_lshlrev_b64 v[2:3], 1, v[2:3]
	v_mov_b32_e32 v5, s15
	v_add_co_u32_e64 v4, s[0:1], s14, v2
	v_addc_co_u32_e64 v5, s[0:1], v5, v3, s[0:1]
	v_mov_b32_e32 v6, s11
	v_add_co_u32_e64 v2, s[0:1], s10, v2
	v_addc_co_u32_e64 v3, s[0:1], v6, v3, s[0:1]
	global_load_ushort v6, v[2:3], off
	global_load_ushort v7, v[4:5], off
	s_waitcnt vmcnt(0)
	v_cmp_ne_u16_e64 s[0:1], v6, v7
	s_and_b64 s[42:43], s[0:1], exec
.LBB327_35:
	s_or_b64 exec, exec, s[46:47]
	s_cmp_eq_u32 s13, 0
	s_cselect_b64 s[0:1], -1, 0
	s_and_saveexec_b64 s[10:11], vcc
	s_cbranch_execnz .LBB327_53
; %bb.36:
	s_or_b64 exec, exec, s[10:11]
	v_cmp_gt_i32_e32 vcc, s12, v0
	s_and_saveexec_b64 s[4:5], vcc
	s_cbranch_execnz .LBB327_54
.LBB327_37:
	s_or_b64 exec, exec, s[4:5]
	v_cmp_gt_i32_e32 vcc, s12, v0
	s_and_saveexec_b64 s[2:3], vcc
	s_cbranch_execnz .LBB327_55
.LBB327_38:
	s_or_b64 exec, exec, s[2:3]
	v_cmp_gt_i32_e32 vcc, s12, v0
	s_and_saveexec_b64 s[2:3], vcc
	s_cbranch_execnz .LBB327_56
.LBB327_39:
	s_or_b64 exec, exec, s[2:3]
	v_cmp_gt_i32_e32 vcc, s12, v0
	s_and_saveexec_b64 s[2:3], vcc
	s_cbranch_execnz .LBB327_57
.LBB327_40:
	s_or_b64 exec, exec, s[2:3]
	v_cmp_gt_i32_e32 vcc, s12, v0
	s_and_saveexec_b64 s[2:3], vcc
	s_cbranch_execnz .LBB327_58
.LBB327_41:
	s_or_b64 exec, exec, s[2:3]
	v_cmp_gt_i32_e32 vcc, s12, v0
	s_and_saveexec_b64 s[2:3], vcc
	s_cbranch_execnz .LBB327_59
.LBB327_42:
	s_or_b64 exec, exec, s[2:3]
	v_cmp_gt_i32_e32 vcc, s12, v0
	s_and_saveexec_b64 s[2:3], vcc
	s_cbranch_execnz .LBB327_60
.LBB327_43:
	s_or_b64 exec, exec, s[2:3]
	v_cmp_gt_i32_e32 vcc, s12, v0
	s_and_saveexec_b64 s[2:3], vcc
	s_cbranch_execnz .LBB327_61
.LBB327_44:
	s_or_b64 exec, exec, s[2:3]
	v_cmp_gt_i32_e32 vcc, s12, v0
	s_and_saveexec_b64 s[2:3], vcc
	s_cbranch_execnz .LBB327_62
.LBB327_45:
	s_or_b64 exec, exec, s[2:3]
	v_cmp_gt_i32_e32 vcc, s12, v0
	s_and_saveexec_b64 s[2:3], vcc
	s_cbranch_execnz .LBB327_63
.LBB327_46:
	s_or_b64 exec, exec, s[2:3]
	v_cmp_gt_i32_e32 vcc, s12, v0
	s_and_saveexec_b64 s[2:3], vcc
	s_cbranch_execnz .LBB327_64
.LBB327_47:
	s_or_b64 exec, exec, s[2:3]
	v_cmp_gt_i32_e32 vcc, s12, v0
	s_and_saveexec_b64 s[2:3], vcc
	s_cbranch_execnz .LBB327_65
.LBB327_48:
	s_or_b64 exec, exec, s[2:3]
	v_cmp_gt_i32_e32 vcc, s12, v0
	s_and_saveexec_b64 s[2:3], vcc
	s_cbranch_execnz .LBB327_66
.LBB327_49:
	s_or_b64 exec, exec, s[2:3]
	v_cmp_gt_i32_e32 vcc, s12, v0
	s_and_saveexec_b64 s[2:3], vcc
	s_cbranch_execnz .LBB327_67
.LBB327_50:
	s_or_b64 exec, exec, s[2:3]
	v_cmp_gt_i32_e32 vcc, s12, v0
	s_and_saveexec_b64 s[2:3], vcc
	s_cbranch_execz .LBB327_52
.LBB327_51:
	s_xor_b64 s[0:1], s[0:1], s[42:43]
	v_cndmask_b32_e64 v1, 0, 1, s[0:1]
	v_add_u32_e32 v0, s6, v0
	global_store_byte v0, v1, s[8:9]
.LBB327_52:
	s_endpgm
.LBB327_53:
	s_xor_b64 s[4:5], s[0:1], s[4:5]
	v_or_b32_e32 v0, 0x100, v0
	v_cndmask_b32_e64 v2, 0, 1, s[4:5]
	global_store_byte v1, v2, s[8:9]
	s_or_b64 exec, exec, s[10:11]
	v_cmp_gt_i32_e32 vcc, s12, v0
	s_and_saveexec_b64 s[4:5], vcc
	s_cbranch_execz .LBB327_37
.LBB327_54:
	s_xor_b64 s[2:3], s[0:1], s[2:3]
	v_cndmask_b32_e64 v1, 0, 1, s[2:3]
	v_add_u32_e32 v2, s6, v0
	v_add_u32_e32 v0, 0x100, v0
	global_store_byte v2, v1, s[8:9]
	s_or_b64 exec, exec, s[4:5]
	v_cmp_gt_i32_e32 vcc, s12, v0
	s_and_saveexec_b64 s[2:3], vcc
	s_cbranch_execz .LBB327_38
.LBB327_55:
	s_xor_b64 s[4:5], s[0:1], s[18:19]
	v_cndmask_b32_e64 v1, 0, 1, s[4:5]
	v_add_u32_e32 v2, s6, v0
	v_add_u32_e32 v0, 0x100, v0
	global_store_byte v2, v1, s[8:9]
	s_or_b64 exec, exec, s[2:3]
	v_cmp_gt_i32_e32 vcc, s12, v0
	s_and_saveexec_b64 s[2:3], vcc
	s_cbranch_execz .LBB327_39
.LBB327_56:
	s_xor_b64 s[4:5], s[0:1], s[16:17]
	v_cndmask_b32_e64 v1, 0, 1, s[4:5]
	v_add_u32_e32 v2, s6, v0
	v_add_u32_e32 v0, 0x100, v0
	global_store_byte v2, v1, s[8:9]
	s_or_b64 exec, exec, s[2:3]
	v_cmp_gt_i32_e32 vcc, s12, v0
	s_and_saveexec_b64 s[2:3], vcc
	s_cbranch_execz .LBB327_40
.LBB327_57:
	s_xor_b64 s[4:5], s[0:1], s[22:23]
	v_cndmask_b32_e64 v1, 0, 1, s[4:5]
	v_add_u32_e32 v2, s6, v0
	v_add_u32_e32 v0, 0x100, v0
	global_store_byte v2, v1, s[8:9]
	s_or_b64 exec, exec, s[2:3]
	v_cmp_gt_i32_e32 vcc, s12, v0
	s_and_saveexec_b64 s[2:3], vcc
	s_cbranch_execz .LBB327_41
.LBB327_58:
	s_xor_b64 s[4:5], s[0:1], s[20:21]
	v_cndmask_b32_e64 v1, 0, 1, s[4:5]
	v_add_u32_e32 v2, s6, v0
	v_add_u32_e32 v0, 0x100, v0
	global_store_byte v2, v1, s[8:9]
	s_or_b64 exec, exec, s[2:3]
	v_cmp_gt_i32_e32 vcc, s12, v0
	s_and_saveexec_b64 s[2:3], vcc
	s_cbranch_execz .LBB327_42
.LBB327_59:
	s_xor_b64 s[4:5], s[0:1], s[26:27]
	v_cndmask_b32_e64 v1, 0, 1, s[4:5]
	v_add_u32_e32 v2, s6, v0
	v_add_u32_e32 v0, 0x100, v0
	global_store_byte v2, v1, s[8:9]
	s_or_b64 exec, exec, s[2:3]
	v_cmp_gt_i32_e32 vcc, s12, v0
	s_and_saveexec_b64 s[2:3], vcc
	s_cbranch_execz .LBB327_43
.LBB327_60:
	s_xor_b64 s[4:5], s[0:1], s[24:25]
	v_cndmask_b32_e64 v1, 0, 1, s[4:5]
	v_add_u32_e32 v2, s6, v0
	v_add_u32_e32 v0, 0x100, v0
	global_store_byte v2, v1, s[8:9]
	s_or_b64 exec, exec, s[2:3]
	v_cmp_gt_i32_e32 vcc, s12, v0
	s_and_saveexec_b64 s[2:3], vcc
	s_cbranch_execz .LBB327_44
.LBB327_61:
	s_xor_b64 s[4:5], s[0:1], s[30:31]
	v_cndmask_b32_e64 v1, 0, 1, s[4:5]
	v_add_u32_e32 v2, s6, v0
	v_add_u32_e32 v0, 0x100, v0
	global_store_byte v2, v1, s[8:9]
	s_or_b64 exec, exec, s[2:3]
	v_cmp_gt_i32_e32 vcc, s12, v0
	s_and_saveexec_b64 s[2:3], vcc
	s_cbranch_execz .LBB327_45
.LBB327_62:
	s_xor_b64 s[4:5], s[0:1], s[28:29]
	v_cndmask_b32_e64 v1, 0, 1, s[4:5]
	v_add_u32_e32 v2, s6, v0
	v_add_u32_e32 v0, 0x100, v0
	global_store_byte v2, v1, s[8:9]
	s_or_b64 exec, exec, s[2:3]
	v_cmp_gt_i32_e32 vcc, s12, v0
	s_and_saveexec_b64 s[2:3], vcc
	s_cbranch_execz .LBB327_46
.LBB327_63:
	s_xor_b64 s[4:5], s[0:1], s[36:37]
	v_cndmask_b32_e64 v1, 0, 1, s[4:5]
	v_add_u32_e32 v2, s6, v0
	v_add_u32_e32 v0, 0x100, v0
	global_store_byte v2, v1, s[8:9]
	s_or_b64 exec, exec, s[2:3]
	v_cmp_gt_i32_e32 vcc, s12, v0
	s_and_saveexec_b64 s[2:3], vcc
	s_cbranch_execz .LBB327_47
.LBB327_64:
	s_xor_b64 s[4:5], s[0:1], s[34:35]
	v_cndmask_b32_e64 v1, 0, 1, s[4:5]
	v_add_u32_e32 v2, s6, v0
	v_add_u32_e32 v0, 0x100, v0
	global_store_byte v2, v1, s[8:9]
	s_or_b64 exec, exec, s[2:3]
	v_cmp_gt_i32_e32 vcc, s12, v0
	s_and_saveexec_b64 s[2:3], vcc
	s_cbranch_execz .LBB327_48
.LBB327_65:
	s_xor_b64 s[4:5], s[0:1], s[40:41]
	v_cndmask_b32_e64 v1, 0, 1, s[4:5]
	v_add_u32_e32 v2, s6, v0
	v_add_u32_e32 v0, 0x100, v0
	global_store_byte v2, v1, s[8:9]
	s_or_b64 exec, exec, s[2:3]
	v_cmp_gt_i32_e32 vcc, s12, v0
	s_and_saveexec_b64 s[2:3], vcc
	s_cbranch_execz .LBB327_49
.LBB327_66:
	s_xor_b64 s[4:5], s[0:1], s[38:39]
	v_cndmask_b32_e64 v1, 0, 1, s[4:5]
	v_add_u32_e32 v2, s6, v0
	v_add_u32_e32 v0, 0x100, v0
	global_store_byte v2, v1, s[8:9]
	s_or_b64 exec, exec, s[2:3]
	v_cmp_gt_i32_e32 vcc, s12, v0
	s_and_saveexec_b64 s[2:3], vcc
	s_cbranch_execz .LBB327_50
.LBB327_67:
	s_xor_b64 s[4:5], s[0:1], s[44:45]
	v_cndmask_b32_e64 v1, 0, 1, s[4:5]
	v_add_u32_e32 v2, s6, v0
	v_add_u32_e32 v0, 0x100, v0
	global_store_byte v2, v1, s[8:9]
	s_or_b64 exec, exec, s[2:3]
	v_cmp_gt_i32_e32 vcc, s12, v0
	s_and_saveexec_b64 s[2:3], vcc
	s_cbranch_execnz .LBB327_51
	s_branch .LBB327_52
	.section	.rodata,"a",@progbits
	.p2align	6, 0x0
	.amdhsa_kernel _ZN2at6native29vectorized_elementwise_kernelILi4ENS0_13BinaryFunctorIttbNS0_12_GLOBAL__N_116CompareEqFunctorItEEEESt5arrayIPcLm3EEEEviT0_T1_
		.amdhsa_group_segment_fixed_size 0
		.amdhsa_private_segment_fixed_size 0
		.amdhsa_kernarg_size 32
		.amdhsa_user_sgpr_count 6
		.amdhsa_user_sgpr_private_segment_buffer 1
		.amdhsa_user_sgpr_dispatch_ptr 0
		.amdhsa_user_sgpr_queue_ptr 0
		.amdhsa_user_sgpr_kernarg_segment_ptr 1
		.amdhsa_user_sgpr_dispatch_id 0
		.amdhsa_user_sgpr_flat_scratch_init 0
		.amdhsa_user_sgpr_private_segment_size 0
		.amdhsa_uses_dynamic_stack 0
		.amdhsa_system_sgpr_private_segment_wavefront_offset 0
		.amdhsa_system_sgpr_workgroup_id_x 1
		.amdhsa_system_sgpr_workgroup_id_y 0
		.amdhsa_system_sgpr_workgroup_id_z 0
		.amdhsa_system_sgpr_workgroup_info 0
		.amdhsa_system_vgpr_workitem_id 0
		.amdhsa_next_free_vgpr 21
		.amdhsa_next_free_sgpr 48
		.amdhsa_reserve_vcc 1
		.amdhsa_reserve_flat_scratch 0
		.amdhsa_float_round_mode_32 0
		.amdhsa_float_round_mode_16_64 0
		.amdhsa_float_denorm_mode_32 3
		.amdhsa_float_denorm_mode_16_64 3
		.amdhsa_dx10_clamp 1
		.amdhsa_ieee_mode 1
		.amdhsa_fp16_overflow 0
		.amdhsa_exception_fp_ieee_invalid_op 0
		.amdhsa_exception_fp_denorm_src 0
		.amdhsa_exception_fp_ieee_div_zero 0
		.amdhsa_exception_fp_ieee_overflow 0
		.amdhsa_exception_fp_ieee_underflow 0
		.amdhsa_exception_fp_ieee_inexact 0
		.amdhsa_exception_int_div_zero 0
	.end_amdhsa_kernel
	.section	.text._ZN2at6native29vectorized_elementwise_kernelILi4ENS0_13BinaryFunctorIttbNS0_12_GLOBAL__N_116CompareEqFunctorItEEEESt5arrayIPcLm3EEEEviT0_T1_,"axG",@progbits,_ZN2at6native29vectorized_elementwise_kernelILi4ENS0_13BinaryFunctorIttbNS0_12_GLOBAL__N_116CompareEqFunctorItEEEESt5arrayIPcLm3EEEEviT0_T1_,comdat
.Lfunc_end327:
	.size	_ZN2at6native29vectorized_elementwise_kernelILi4ENS0_13BinaryFunctorIttbNS0_12_GLOBAL__N_116CompareEqFunctorItEEEESt5arrayIPcLm3EEEEviT0_T1_, .Lfunc_end327-_ZN2at6native29vectorized_elementwise_kernelILi4ENS0_13BinaryFunctorIttbNS0_12_GLOBAL__N_116CompareEqFunctorItEEEESt5arrayIPcLm3EEEEviT0_T1_
                                        ; -- End function
	.set _ZN2at6native29vectorized_elementwise_kernelILi4ENS0_13BinaryFunctorIttbNS0_12_GLOBAL__N_116CompareEqFunctorItEEEESt5arrayIPcLm3EEEEviT0_T1_.num_vgpr, 21
	.set _ZN2at6native29vectorized_elementwise_kernelILi4ENS0_13BinaryFunctorIttbNS0_12_GLOBAL__N_116CompareEqFunctorItEEEESt5arrayIPcLm3EEEEviT0_T1_.num_agpr, 0
	.set _ZN2at6native29vectorized_elementwise_kernelILi4ENS0_13BinaryFunctorIttbNS0_12_GLOBAL__N_116CompareEqFunctorItEEEESt5arrayIPcLm3EEEEviT0_T1_.numbered_sgpr, 48
	.set _ZN2at6native29vectorized_elementwise_kernelILi4ENS0_13BinaryFunctorIttbNS0_12_GLOBAL__N_116CompareEqFunctorItEEEESt5arrayIPcLm3EEEEviT0_T1_.num_named_barrier, 0
	.set _ZN2at6native29vectorized_elementwise_kernelILi4ENS0_13BinaryFunctorIttbNS0_12_GLOBAL__N_116CompareEqFunctorItEEEESt5arrayIPcLm3EEEEviT0_T1_.private_seg_size, 0
	.set _ZN2at6native29vectorized_elementwise_kernelILi4ENS0_13BinaryFunctorIttbNS0_12_GLOBAL__N_116CompareEqFunctorItEEEESt5arrayIPcLm3EEEEviT0_T1_.uses_vcc, 1
	.set _ZN2at6native29vectorized_elementwise_kernelILi4ENS0_13BinaryFunctorIttbNS0_12_GLOBAL__N_116CompareEqFunctorItEEEESt5arrayIPcLm3EEEEviT0_T1_.uses_flat_scratch, 0
	.set _ZN2at6native29vectorized_elementwise_kernelILi4ENS0_13BinaryFunctorIttbNS0_12_GLOBAL__N_116CompareEqFunctorItEEEESt5arrayIPcLm3EEEEviT0_T1_.has_dyn_sized_stack, 0
	.set _ZN2at6native29vectorized_elementwise_kernelILi4ENS0_13BinaryFunctorIttbNS0_12_GLOBAL__N_116CompareEqFunctorItEEEESt5arrayIPcLm3EEEEviT0_T1_.has_recursion, 0
	.set _ZN2at6native29vectorized_elementwise_kernelILi4ENS0_13BinaryFunctorIttbNS0_12_GLOBAL__N_116CompareEqFunctorItEEEESt5arrayIPcLm3EEEEviT0_T1_.has_indirect_call, 0
	.section	.AMDGPU.csdata,"",@progbits
; Kernel info:
; codeLenInByte = 3552
; TotalNumSgprs: 52
; NumVgprs: 21
; ScratchSize: 0
; MemoryBound: 0
; FloatMode: 240
; IeeeMode: 1
; LDSByteSize: 0 bytes/workgroup (compile time only)
; SGPRBlocks: 6
; VGPRBlocks: 5
; NumSGPRsForWavesPerEU: 52
; NumVGPRsForWavesPerEU: 21
; Occupancy: 10
; WaveLimiterHint : 1
; COMPUTE_PGM_RSRC2:SCRATCH_EN: 0
; COMPUTE_PGM_RSRC2:USER_SGPR: 6
; COMPUTE_PGM_RSRC2:TRAP_HANDLER: 0
; COMPUTE_PGM_RSRC2:TGID_X_EN: 1
; COMPUTE_PGM_RSRC2:TGID_Y_EN: 0
; COMPUTE_PGM_RSRC2:TGID_Z_EN: 0
; COMPUTE_PGM_RSRC2:TIDIG_COMP_CNT: 0
	.section	.text._ZN2at6native29vectorized_elementwise_kernelILi2ENS0_13BinaryFunctorIttbNS0_12_GLOBAL__N_116CompareEqFunctorItEEEESt5arrayIPcLm3EEEEviT0_T1_,"axG",@progbits,_ZN2at6native29vectorized_elementwise_kernelILi2ENS0_13BinaryFunctorIttbNS0_12_GLOBAL__N_116CompareEqFunctorItEEEESt5arrayIPcLm3EEEEviT0_T1_,comdat
	.globl	_ZN2at6native29vectorized_elementwise_kernelILi2ENS0_13BinaryFunctorIttbNS0_12_GLOBAL__N_116CompareEqFunctorItEEEESt5arrayIPcLm3EEEEviT0_T1_ ; -- Begin function _ZN2at6native29vectorized_elementwise_kernelILi2ENS0_13BinaryFunctorIttbNS0_12_GLOBAL__N_116CompareEqFunctorItEEEESt5arrayIPcLm3EEEEviT0_T1_
	.p2align	8
	.type	_ZN2at6native29vectorized_elementwise_kernelILi2ENS0_13BinaryFunctorIttbNS0_12_GLOBAL__N_116CompareEqFunctorItEEEESt5arrayIPcLm3EEEEviT0_T1_,@function
_ZN2at6native29vectorized_elementwise_kernelILi2ENS0_13BinaryFunctorIttbNS0_12_GLOBAL__N_116CompareEqFunctorItEEEESt5arrayIPcLm3EEEEviT0_T1_: ; @_ZN2at6native29vectorized_elementwise_kernelILi2ENS0_13BinaryFunctorIttbNS0_12_GLOBAL__N_116CompareEqFunctorItEEEESt5arrayIPcLm3EEEEviT0_T1_
; %bb.0:
	s_load_dwordx2 s[12:13], s[4:5], 0x0
	s_load_dwordx4 s[8:11], s[4:5], 0x8
	s_load_dwordx2 s[14:15], s[4:5], 0x18
	s_lshl_b32 s6, s6, 12
	s_mov_b64 s[0:1], -1
	s_waitcnt lgkmcnt(0)
	s_sub_i32 s12, s12, s6
	s_cmpk_gt_i32 s12, 0xfff
	s_cbranch_scc0 .LBB328_2
; %bb.1:
	s_ashr_i32 s7, s6, 31
	s_lshl_b64 s[0:1], s[6:7], 1
	s_add_u32 s2, s10, s0
	s_addc_u32 s3, s11, s1
	v_lshlrev_b32_e32 v3, 2, v0
	s_add_u32 s0, s14, s0
	s_addc_u32 s1, s15, s1
	global_load_dword v5, v3, s[2:3]
	global_load_dword v6, v3, s[0:1]
	global_load_dword v7, v3, s[2:3] offset:1024
	global_load_dword v8, v3, s[0:1] offset:1024
	;; [unrolled: 1-line block ×6, first 2 shown]
	v_mov_b32_e32 v1, s3
	v_add_co_u32_e32 v2, vcc, s2, v3
	v_addc_co_u32_e32 v4, vcc, 0, v1, vcc
	v_add_co_u32_e32 v1, vcc, 0x1000, v2
	v_addc_co_u32_e32 v2, vcc, 0, v4, vcc
	v_mov_b32_e32 v4, s1
	v_add_co_u32_e32 v3, vcc, s0, v3
	s_movk_i32 s4, 0x1000
	v_addc_co_u32_e32 v4, vcc, 0, v4, vcc
	v_add_co_u32_e32 v3, vcc, s4, v3
	v_addc_co_u32_e32 v4, vcc, 0, v4, vcc
	global_load_dword v13, v[3:4], off
	global_load_dword v14, v[1:2], off
	global_load_dword v15, v[1:2], off offset:1024
	global_load_dword v16, v[3:4], off offset:1024
	;; [unrolled: 1-line block ×6, first 2 shown]
	s_cmp_eq_u32 s13, 0
	s_mov_b32 s20, 0xffff
	s_cselect_b64 s[16:17], -1, 0
	v_mov_b32_e32 v1, 0x100
	s_waitcnt vmcnt(14)
	v_cmp_ne_u16_e32 vcc, v5, v6
	v_xor_b32_e32 v2, v6, v5
	s_waitcnt vmcnt(12)
	v_cmp_ne_u16_e64 s[0:1], v7, v8
	v_xor_b32_e32 v3, v8, v7
	s_waitcnt vmcnt(10)
	v_cmp_ne_u16_e64 s[2:3], v9, v10
	s_xor_b64 s[18:19], s[16:17], vcc
	s_waitcnt vmcnt(8)
	v_cmp_ne_u16_e64 s[4:5], v11, v12
	v_cmp_lt_u32_e32 vcc, s20, v2
	s_xor_b64 s[0:1], s[16:17], s[0:1]
	v_xor_b32_e32 v4, v10, v9
	v_xor_b32_e32 v5, v12, v11
	v_cndmask_b32_e64 v2, 0, 1, s[0:1]
	v_cmp_lt_u32_e64 s[0:1], s20, v3
	s_xor_b64 s[2:3], s[16:17], s[2:3]
	s_xor_b64 s[4:5], s[16:17], s[4:5]
	s_xor_b64 vcc, s[16:17], vcc
	v_cndmask_b32_e64 v3, 0, 1, s[2:3]
	v_cmp_lt_u32_e64 s[2:3], s20, v4
	v_cndmask_b32_e64 v4, 0, 1, s[4:5]
	v_cmp_lt_u32_e64 s[4:5], s20, v5
	v_cndmask_b32_e32 v5, 0, v1, vcc
	s_xor_b64 vcc, s[16:17], s[0:1]
	v_cndmask_b32_e32 v7, 0, v1, vcc
	s_xor_b64 vcc, s[16:17], s[2:3]
	v_cndmask_b32_e64 v6, 0, 1, s[18:19]
	v_cndmask_b32_e32 v8, 0, v1, vcc
	s_xor_b64 vcc, s[16:17], s[4:5]
	v_cndmask_b32_e32 v9, 0, v1, vcc
	v_or_b32_e32 v5, v5, v6
	s_waitcnt vmcnt(6)
	v_cmp_ne_u16_e32 vcc, v14, v13
	v_xor_b32_e32 v6, v13, v14
	s_waitcnt vmcnt(4)
	v_cmp_ne_u16_e64 s[0:1], v15, v16
	v_or_b32_e32 v2, v7, v2
	v_xor_b32_e32 v7, v16, v15
	s_xor_b64 s[2:3], s[16:17], vcc
	v_cmp_lt_u32_e32 vcc, s20, v6
	s_xor_b64 s[0:1], s[16:17], s[0:1]
	v_cndmask_b32_e64 v6, 0, 1, s[0:1]
	v_cmp_lt_u32_e64 s[0:1], s20, v7
	s_xor_b64 vcc, s[16:17], vcc
	v_or_b32_e32 v3, v8, v3
	v_cndmask_b32_e64 v8, 0, 1, s[2:3]
	v_cndmask_b32_e32 v7, 0, v1, vcc
	s_xor_b64 vcc, s[16:17], s[0:1]
	v_or_b32_e32 v4, v9, v4
	v_or_b32_e32 v7, v7, v8
	v_cndmask_b32_e32 v8, 0, v1, vcc
	s_waitcnt vmcnt(2)
	v_cmp_ne_u16_e32 vcc, v18, v17
	v_xor_b32_e32 v9, v17, v18
	s_xor_b64 s[0:1], s[16:17], vcc
	v_cmp_lt_u32_e32 vcc, s20, v9
	s_xor_b64 vcc, s[16:17], vcc
	v_cndmask_b32_e32 v9, 0, v1, vcc
	s_waitcnt vmcnt(0)
	v_cmp_ne_u16_e32 vcc, v19, v20
	v_xor_b32_e32 v10, v20, v19
	v_or_b32_e32 v6, v8, v6
	v_cndmask_b32_e64 v8, 0, 1, s[0:1]
	s_xor_b64 s[0:1], s[16:17], vcc
	v_cmp_lt_u32_e32 vcc, s20, v10
	s_xor_b64 vcc, s[16:17], vcc
	v_or_b32_e32 v8, v9, v8
	v_cndmask_b32_e64 v9, 0, 1, s[0:1]
	v_cndmask_b32_e32 v1, 0, v1, vcc
	s_add_u32 s0, s8, s6
	v_or_b32_e32 v1, v1, v9
	s_addc_u32 s1, s9, s7
	v_lshlrev_b32_e32 v9, 1, v0
	global_store_short v9, v5, s[0:1]
	global_store_short v9, v2, s[0:1] offset:512
	global_store_short v9, v3, s[0:1] offset:1024
	;; [unrolled: 1-line block ×7, first 2 shown]
	s_mov_b64 s[0:1], 0
.LBB328_2:
	s_andn2_b64 vcc, exec, s[0:1]
	s_cbranch_vccnz .LBB328_52
; %bb.3:
	v_cmp_gt_i32_e32 vcc, s12, v0
	s_mov_b64 s[2:3], 0
	v_or_b32_e32 v1, s6, v0
	s_mov_b64 s[4:5], 0
	v_mov_b32_e32 v2, v0
	s_and_saveexec_b64 s[16:17], vcc
	s_cbranch_execz .LBB328_5
; %bb.4:
	v_mov_b32_e32 v2, 0
	v_lshlrev_b64 v[2:3], 1, v[1:2]
	v_mov_b32_e32 v5, s15
	v_add_co_u32_e64 v4, s[0:1], s14, v2
	v_addc_co_u32_e64 v5, s[0:1], v5, v3, s[0:1]
	v_mov_b32_e32 v6, s11
	v_add_co_u32_e64 v2, s[0:1], s10, v2
	v_addc_co_u32_e64 v3, s[0:1], v6, v3, s[0:1]
	global_load_ushort v6, v[2:3], off
	global_load_ushort v7, v[4:5], off
	v_or_b32_e32 v2, 0x100, v0
	s_waitcnt vmcnt(0)
	v_cmp_ne_u16_e64 s[0:1], v6, v7
	s_and_b64 s[4:5], s[0:1], exec
.LBB328_5:
	s_or_b64 exec, exec, s[16:17]
	v_cmp_gt_i32_e64 s[0:1], s12, v2
	s_and_saveexec_b64 s[16:17], s[0:1]
	s_cbranch_execz .LBB328_7
; %bb.6:
	v_add_u32_e32 v3, s6, v2
	v_mov_b32_e32 v4, 0
	v_lshlrev_b64 v[3:4], 1, v[3:4]
	v_mov_b32_e32 v6, s15
	v_add_co_u32_e64 v5, s[0:1], s14, v3
	v_addc_co_u32_e64 v6, s[0:1], v6, v4, s[0:1]
	v_mov_b32_e32 v7, s11
	v_add_co_u32_e64 v3, s[0:1], s10, v3
	v_addc_co_u32_e64 v4, s[0:1], v7, v4, s[0:1]
	global_load_ushort v7, v[3:4], off
	global_load_ushort v8, v[5:6], off
	v_add_u32_e32 v2, 0x100, v2
	s_waitcnt vmcnt(0)
	v_cmp_ne_u16_e64 s[0:1], v7, v8
	s_and_b64 s[2:3], s[0:1], exec
.LBB328_7:
	s_or_b64 exec, exec, s[16:17]
	v_cmp_gt_i32_e64 s[0:1], s12, v2
	s_mov_b64 s[16:17], 0
	s_mov_b64 s[18:19], 0
	s_and_saveexec_b64 s[20:21], s[0:1]
	s_cbranch_execz .LBB328_9
; %bb.8:
	v_add_u32_e32 v3, s6, v2
	v_mov_b32_e32 v4, 0
	v_lshlrev_b64 v[3:4], 1, v[3:4]
	v_mov_b32_e32 v6, s15
	v_add_co_u32_e64 v5, s[0:1], s14, v3
	v_addc_co_u32_e64 v6, s[0:1], v6, v4, s[0:1]
	v_mov_b32_e32 v7, s11
	v_add_co_u32_e64 v3, s[0:1], s10, v3
	v_addc_co_u32_e64 v4, s[0:1], v7, v4, s[0:1]
	global_load_ushort v7, v[3:4], off
	global_load_ushort v8, v[5:6], off
	v_add_u32_e32 v2, 0x100, v2
	s_waitcnt vmcnt(0)
	v_cmp_ne_u16_e64 s[0:1], v7, v8
	s_and_b64 s[18:19], s[0:1], exec
.LBB328_9:
	s_or_b64 exec, exec, s[20:21]
	v_cmp_gt_i32_e64 s[0:1], s12, v2
	s_and_saveexec_b64 s[20:21], s[0:1]
	s_cbranch_execz .LBB328_11
; %bb.10:
	v_add_u32_e32 v3, s6, v2
	v_mov_b32_e32 v4, 0
	v_lshlrev_b64 v[3:4], 1, v[3:4]
	v_mov_b32_e32 v6, s15
	v_add_co_u32_e64 v5, s[0:1], s14, v3
	v_addc_co_u32_e64 v6, s[0:1], v6, v4, s[0:1]
	v_mov_b32_e32 v7, s11
	v_add_co_u32_e64 v3, s[0:1], s10, v3
	v_addc_co_u32_e64 v4, s[0:1], v7, v4, s[0:1]
	global_load_ushort v7, v[3:4], off
	global_load_ushort v8, v[5:6], off
	v_add_u32_e32 v2, 0x100, v2
	s_waitcnt vmcnt(0)
	v_cmp_ne_u16_e64 s[0:1], v7, v8
	s_and_b64 s[16:17], s[0:1], exec
.LBB328_11:
	s_or_b64 exec, exec, s[20:21]
	v_cmp_gt_i32_e64 s[0:1], s12, v2
	s_mov_b64 s[20:21], 0
	s_mov_b64 s[22:23], 0
	s_and_saveexec_b64 s[24:25], s[0:1]
	s_cbranch_execz .LBB328_13
; %bb.12:
	v_add_u32_e32 v3, s6, v2
	v_mov_b32_e32 v4, 0
	v_lshlrev_b64 v[3:4], 1, v[3:4]
	v_mov_b32_e32 v6, s15
	v_add_co_u32_e64 v5, s[0:1], s14, v3
	v_addc_co_u32_e64 v6, s[0:1], v6, v4, s[0:1]
	v_mov_b32_e32 v7, s11
	v_add_co_u32_e64 v3, s[0:1], s10, v3
	v_addc_co_u32_e64 v4, s[0:1], v7, v4, s[0:1]
	global_load_ushort v7, v[3:4], off
	global_load_ushort v8, v[5:6], off
	v_add_u32_e32 v2, 0x100, v2
	s_waitcnt vmcnt(0)
	v_cmp_ne_u16_e64 s[0:1], v7, v8
	s_and_b64 s[22:23], s[0:1], exec
.LBB328_13:
	;; [unrolled: 44-line block ×7, first 2 shown]
	s_or_b64 exec, exec, s[46:47]
	v_cmp_gt_i32_e64 s[0:1], s12, v2
	s_and_saveexec_b64 s[46:47], s[0:1]
	s_cbranch_execz .LBB328_35
; %bb.34:
	v_add_u32_e32 v2, s6, v2
	v_mov_b32_e32 v3, 0
	v_lshlrev_b64 v[2:3], 1, v[2:3]
	v_mov_b32_e32 v5, s15
	v_add_co_u32_e64 v4, s[0:1], s14, v2
	v_addc_co_u32_e64 v5, s[0:1], v5, v3, s[0:1]
	v_mov_b32_e32 v6, s11
	v_add_co_u32_e64 v2, s[0:1], s10, v2
	v_addc_co_u32_e64 v3, s[0:1], v6, v3, s[0:1]
	global_load_ushort v6, v[2:3], off
	global_load_ushort v7, v[4:5], off
	s_waitcnt vmcnt(0)
	v_cmp_ne_u16_e64 s[0:1], v6, v7
	s_and_b64 s[42:43], s[0:1], exec
.LBB328_35:
	s_or_b64 exec, exec, s[46:47]
	s_cmp_eq_u32 s13, 0
	s_cselect_b64 s[0:1], -1, 0
	s_and_saveexec_b64 s[10:11], vcc
	s_cbranch_execnz .LBB328_53
; %bb.36:
	s_or_b64 exec, exec, s[10:11]
	v_cmp_gt_i32_e32 vcc, s12, v0
	s_and_saveexec_b64 s[4:5], vcc
	s_cbranch_execnz .LBB328_54
.LBB328_37:
	s_or_b64 exec, exec, s[4:5]
	v_cmp_gt_i32_e32 vcc, s12, v0
	s_and_saveexec_b64 s[2:3], vcc
	s_cbranch_execnz .LBB328_55
.LBB328_38:
	s_or_b64 exec, exec, s[2:3]
	v_cmp_gt_i32_e32 vcc, s12, v0
	s_and_saveexec_b64 s[2:3], vcc
	s_cbranch_execnz .LBB328_56
.LBB328_39:
	s_or_b64 exec, exec, s[2:3]
	v_cmp_gt_i32_e32 vcc, s12, v0
	s_and_saveexec_b64 s[2:3], vcc
	s_cbranch_execnz .LBB328_57
.LBB328_40:
	s_or_b64 exec, exec, s[2:3]
	v_cmp_gt_i32_e32 vcc, s12, v0
	s_and_saveexec_b64 s[2:3], vcc
	s_cbranch_execnz .LBB328_58
.LBB328_41:
	s_or_b64 exec, exec, s[2:3]
	v_cmp_gt_i32_e32 vcc, s12, v0
	s_and_saveexec_b64 s[2:3], vcc
	s_cbranch_execnz .LBB328_59
.LBB328_42:
	s_or_b64 exec, exec, s[2:3]
	v_cmp_gt_i32_e32 vcc, s12, v0
	s_and_saveexec_b64 s[2:3], vcc
	s_cbranch_execnz .LBB328_60
.LBB328_43:
	s_or_b64 exec, exec, s[2:3]
	v_cmp_gt_i32_e32 vcc, s12, v0
	s_and_saveexec_b64 s[2:3], vcc
	s_cbranch_execnz .LBB328_61
.LBB328_44:
	s_or_b64 exec, exec, s[2:3]
	v_cmp_gt_i32_e32 vcc, s12, v0
	s_and_saveexec_b64 s[2:3], vcc
	s_cbranch_execnz .LBB328_62
.LBB328_45:
	s_or_b64 exec, exec, s[2:3]
	v_cmp_gt_i32_e32 vcc, s12, v0
	s_and_saveexec_b64 s[2:3], vcc
	s_cbranch_execnz .LBB328_63
.LBB328_46:
	s_or_b64 exec, exec, s[2:3]
	v_cmp_gt_i32_e32 vcc, s12, v0
	s_and_saveexec_b64 s[2:3], vcc
	s_cbranch_execnz .LBB328_64
.LBB328_47:
	s_or_b64 exec, exec, s[2:3]
	v_cmp_gt_i32_e32 vcc, s12, v0
	s_and_saveexec_b64 s[2:3], vcc
	s_cbranch_execnz .LBB328_65
.LBB328_48:
	s_or_b64 exec, exec, s[2:3]
	v_cmp_gt_i32_e32 vcc, s12, v0
	s_and_saveexec_b64 s[2:3], vcc
	s_cbranch_execnz .LBB328_66
.LBB328_49:
	s_or_b64 exec, exec, s[2:3]
	v_cmp_gt_i32_e32 vcc, s12, v0
	s_and_saveexec_b64 s[2:3], vcc
	s_cbranch_execnz .LBB328_67
.LBB328_50:
	s_or_b64 exec, exec, s[2:3]
	v_cmp_gt_i32_e32 vcc, s12, v0
	s_and_saveexec_b64 s[2:3], vcc
	s_cbranch_execz .LBB328_52
.LBB328_51:
	s_xor_b64 s[0:1], s[0:1], s[42:43]
	v_cndmask_b32_e64 v1, 0, 1, s[0:1]
	v_add_u32_e32 v0, s6, v0
	global_store_byte v0, v1, s[8:9]
.LBB328_52:
	s_endpgm
.LBB328_53:
	s_xor_b64 s[4:5], s[0:1], s[4:5]
	v_or_b32_e32 v0, 0x100, v0
	v_cndmask_b32_e64 v2, 0, 1, s[4:5]
	global_store_byte v1, v2, s[8:9]
	s_or_b64 exec, exec, s[10:11]
	v_cmp_gt_i32_e32 vcc, s12, v0
	s_and_saveexec_b64 s[4:5], vcc
	s_cbranch_execz .LBB328_37
.LBB328_54:
	s_xor_b64 s[2:3], s[0:1], s[2:3]
	v_cndmask_b32_e64 v1, 0, 1, s[2:3]
	v_add_u32_e32 v2, s6, v0
	v_add_u32_e32 v0, 0x100, v0
	global_store_byte v2, v1, s[8:9]
	s_or_b64 exec, exec, s[4:5]
	v_cmp_gt_i32_e32 vcc, s12, v0
	s_and_saveexec_b64 s[2:3], vcc
	s_cbranch_execz .LBB328_38
.LBB328_55:
	s_xor_b64 s[4:5], s[0:1], s[18:19]
	v_cndmask_b32_e64 v1, 0, 1, s[4:5]
	v_add_u32_e32 v2, s6, v0
	v_add_u32_e32 v0, 0x100, v0
	global_store_byte v2, v1, s[8:9]
	s_or_b64 exec, exec, s[2:3]
	v_cmp_gt_i32_e32 vcc, s12, v0
	s_and_saveexec_b64 s[2:3], vcc
	s_cbranch_execz .LBB328_39
.LBB328_56:
	s_xor_b64 s[4:5], s[0:1], s[16:17]
	v_cndmask_b32_e64 v1, 0, 1, s[4:5]
	v_add_u32_e32 v2, s6, v0
	v_add_u32_e32 v0, 0x100, v0
	global_store_byte v2, v1, s[8:9]
	s_or_b64 exec, exec, s[2:3]
	v_cmp_gt_i32_e32 vcc, s12, v0
	s_and_saveexec_b64 s[2:3], vcc
	s_cbranch_execz .LBB328_40
.LBB328_57:
	s_xor_b64 s[4:5], s[0:1], s[22:23]
	v_cndmask_b32_e64 v1, 0, 1, s[4:5]
	v_add_u32_e32 v2, s6, v0
	v_add_u32_e32 v0, 0x100, v0
	global_store_byte v2, v1, s[8:9]
	s_or_b64 exec, exec, s[2:3]
	v_cmp_gt_i32_e32 vcc, s12, v0
	s_and_saveexec_b64 s[2:3], vcc
	s_cbranch_execz .LBB328_41
.LBB328_58:
	s_xor_b64 s[4:5], s[0:1], s[20:21]
	v_cndmask_b32_e64 v1, 0, 1, s[4:5]
	v_add_u32_e32 v2, s6, v0
	v_add_u32_e32 v0, 0x100, v0
	global_store_byte v2, v1, s[8:9]
	s_or_b64 exec, exec, s[2:3]
	v_cmp_gt_i32_e32 vcc, s12, v0
	s_and_saveexec_b64 s[2:3], vcc
	s_cbranch_execz .LBB328_42
.LBB328_59:
	s_xor_b64 s[4:5], s[0:1], s[26:27]
	v_cndmask_b32_e64 v1, 0, 1, s[4:5]
	v_add_u32_e32 v2, s6, v0
	v_add_u32_e32 v0, 0x100, v0
	global_store_byte v2, v1, s[8:9]
	s_or_b64 exec, exec, s[2:3]
	v_cmp_gt_i32_e32 vcc, s12, v0
	s_and_saveexec_b64 s[2:3], vcc
	s_cbranch_execz .LBB328_43
.LBB328_60:
	s_xor_b64 s[4:5], s[0:1], s[24:25]
	v_cndmask_b32_e64 v1, 0, 1, s[4:5]
	v_add_u32_e32 v2, s6, v0
	v_add_u32_e32 v0, 0x100, v0
	global_store_byte v2, v1, s[8:9]
	s_or_b64 exec, exec, s[2:3]
	v_cmp_gt_i32_e32 vcc, s12, v0
	s_and_saveexec_b64 s[2:3], vcc
	s_cbranch_execz .LBB328_44
.LBB328_61:
	s_xor_b64 s[4:5], s[0:1], s[30:31]
	v_cndmask_b32_e64 v1, 0, 1, s[4:5]
	v_add_u32_e32 v2, s6, v0
	v_add_u32_e32 v0, 0x100, v0
	global_store_byte v2, v1, s[8:9]
	s_or_b64 exec, exec, s[2:3]
	v_cmp_gt_i32_e32 vcc, s12, v0
	s_and_saveexec_b64 s[2:3], vcc
	s_cbranch_execz .LBB328_45
.LBB328_62:
	s_xor_b64 s[4:5], s[0:1], s[28:29]
	v_cndmask_b32_e64 v1, 0, 1, s[4:5]
	v_add_u32_e32 v2, s6, v0
	v_add_u32_e32 v0, 0x100, v0
	global_store_byte v2, v1, s[8:9]
	s_or_b64 exec, exec, s[2:3]
	v_cmp_gt_i32_e32 vcc, s12, v0
	s_and_saveexec_b64 s[2:3], vcc
	s_cbranch_execz .LBB328_46
.LBB328_63:
	s_xor_b64 s[4:5], s[0:1], s[36:37]
	v_cndmask_b32_e64 v1, 0, 1, s[4:5]
	v_add_u32_e32 v2, s6, v0
	v_add_u32_e32 v0, 0x100, v0
	global_store_byte v2, v1, s[8:9]
	s_or_b64 exec, exec, s[2:3]
	v_cmp_gt_i32_e32 vcc, s12, v0
	s_and_saveexec_b64 s[2:3], vcc
	s_cbranch_execz .LBB328_47
.LBB328_64:
	s_xor_b64 s[4:5], s[0:1], s[34:35]
	v_cndmask_b32_e64 v1, 0, 1, s[4:5]
	v_add_u32_e32 v2, s6, v0
	v_add_u32_e32 v0, 0x100, v0
	global_store_byte v2, v1, s[8:9]
	s_or_b64 exec, exec, s[2:3]
	v_cmp_gt_i32_e32 vcc, s12, v0
	s_and_saveexec_b64 s[2:3], vcc
	s_cbranch_execz .LBB328_48
.LBB328_65:
	s_xor_b64 s[4:5], s[0:1], s[40:41]
	v_cndmask_b32_e64 v1, 0, 1, s[4:5]
	v_add_u32_e32 v2, s6, v0
	v_add_u32_e32 v0, 0x100, v0
	global_store_byte v2, v1, s[8:9]
	s_or_b64 exec, exec, s[2:3]
	v_cmp_gt_i32_e32 vcc, s12, v0
	s_and_saveexec_b64 s[2:3], vcc
	s_cbranch_execz .LBB328_49
.LBB328_66:
	s_xor_b64 s[4:5], s[0:1], s[38:39]
	v_cndmask_b32_e64 v1, 0, 1, s[4:5]
	v_add_u32_e32 v2, s6, v0
	v_add_u32_e32 v0, 0x100, v0
	global_store_byte v2, v1, s[8:9]
	s_or_b64 exec, exec, s[2:3]
	v_cmp_gt_i32_e32 vcc, s12, v0
	s_and_saveexec_b64 s[2:3], vcc
	s_cbranch_execz .LBB328_50
.LBB328_67:
	s_xor_b64 s[4:5], s[0:1], s[44:45]
	v_cndmask_b32_e64 v1, 0, 1, s[4:5]
	v_add_u32_e32 v2, s6, v0
	v_add_u32_e32 v0, 0x100, v0
	global_store_byte v2, v1, s[8:9]
	s_or_b64 exec, exec, s[2:3]
	v_cmp_gt_i32_e32 vcc, s12, v0
	s_and_saveexec_b64 s[2:3], vcc
	s_cbranch_execnz .LBB328_51
	s_branch .LBB328_52
	.section	.rodata,"a",@progbits
	.p2align	6, 0x0
	.amdhsa_kernel _ZN2at6native29vectorized_elementwise_kernelILi2ENS0_13BinaryFunctorIttbNS0_12_GLOBAL__N_116CompareEqFunctorItEEEESt5arrayIPcLm3EEEEviT0_T1_
		.amdhsa_group_segment_fixed_size 0
		.amdhsa_private_segment_fixed_size 0
		.amdhsa_kernarg_size 32
		.amdhsa_user_sgpr_count 6
		.amdhsa_user_sgpr_private_segment_buffer 1
		.amdhsa_user_sgpr_dispatch_ptr 0
		.amdhsa_user_sgpr_queue_ptr 0
		.amdhsa_user_sgpr_kernarg_segment_ptr 1
		.amdhsa_user_sgpr_dispatch_id 0
		.amdhsa_user_sgpr_flat_scratch_init 0
		.amdhsa_user_sgpr_private_segment_size 0
		.amdhsa_uses_dynamic_stack 0
		.amdhsa_system_sgpr_private_segment_wavefront_offset 0
		.amdhsa_system_sgpr_workgroup_id_x 1
		.amdhsa_system_sgpr_workgroup_id_y 0
		.amdhsa_system_sgpr_workgroup_id_z 0
		.amdhsa_system_sgpr_workgroup_info 0
		.amdhsa_system_vgpr_workitem_id 0
		.amdhsa_next_free_vgpr 21
		.amdhsa_next_free_sgpr 48
		.amdhsa_reserve_vcc 1
		.amdhsa_reserve_flat_scratch 0
		.amdhsa_float_round_mode_32 0
		.amdhsa_float_round_mode_16_64 0
		.amdhsa_float_denorm_mode_32 3
		.amdhsa_float_denorm_mode_16_64 3
		.amdhsa_dx10_clamp 1
		.amdhsa_ieee_mode 1
		.amdhsa_fp16_overflow 0
		.amdhsa_exception_fp_ieee_invalid_op 0
		.amdhsa_exception_fp_denorm_src 0
		.amdhsa_exception_fp_ieee_div_zero 0
		.amdhsa_exception_fp_ieee_overflow 0
		.amdhsa_exception_fp_ieee_underflow 0
		.amdhsa_exception_fp_ieee_inexact 0
		.amdhsa_exception_int_div_zero 0
	.end_amdhsa_kernel
	.section	.text._ZN2at6native29vectorized_elementwise_kernelILi2ENS0_13BinaryFunctorIttbNS0_12_GLOBAL__N_116CompareEqFunctorItEEEESt5arrayIPcLm3EEEEviT0_T1_,"axG",@progbits,_ZN2at6native29vectorized_elementwise_kernelILi2ENS0_13BinaryFunctorIttbNS0_12_GLOBAL__N_116CompareEqFunctorItEEEESt5arrayIPcLm3EEEEviT0_T1_,comdat
.Lfunc_end328:
	.size	_ZN2at6native29vectorized_elementwise_kernelILi2ENS0_13BinaryFunctorIttbNS0_12_GLOBAL__N_116CompareEqFunctorItEEEESt5arrayIPcLm3EEEEviT0_T1_, .Lfunc_end328-_ZN2at6native29vectorized_elementwise_kernelILi2ENS0_13BinaryFunctorIttbNS0_12_GLOBAL__N_116CompareEqFunctorItEEEESt5arrayIPcLm3EEEEviT0_T1_
                                        ; -- End function
	.set _ZN2at6native29vectorized_elementwise_kernelILi2ENS0_13BinaryFunctorIttbNS0_12_GLOBAL__N_116CompareEqFunctorItEEEESt5arrayIPcLm3EEEEviT0_T1_.num_vgpr, 21
	.set _ZN2at6native29vectorized_elementwise_kernelILi2ENS0_13BinaryFunctorIttbNS0_12_GLOBAL__N_116CompareEqFunctorItEEEESt5arrayIPcLm3EEEEviT0_T1_.num_agpr, 0
	.set _ZN2at6native29vectorized_elementwise_kernelILi2ENS0_13BinaryFunctorIttbNS0_12_GLOBAL__N_116CompareEqFunctorItEEEESt5arrayIPcLm3EEEEviT0_T1_.numbered_sgpr, 48
	.set _ZN2at6native29vectorized_elementwise_kernelILi2ENS0_13BinaryFunctorIttbNS0_12_GLOBAL__N_116CompareEqFunctorItEEEESt5arrayIPcLm3EEEEviT0_T1_.num_named_barrier, 0
	.set _ZN2at6native29vectorized_elementwise_kernelILi2ENS0_13BinaryFunctorIttbNS0_12_GLOBAL__N_116CompareEqFunctorItEEEESt5arrayIPcLm3EEEEviT0_T1_.private_seg_size, 0
	.set _ZN2at6native29vectorized_elementwise_kernelILi2ENS0_13BinaryFunctorIttbNS0_12_GLOBAL__N_116CompareEqFunctorItEEEESt5arrayIPcLm3EEEEviT0_T1_.uses_vcc, 1
	.set _ZN2at6native29vectorized_elementwise_kernelILi2ENS0_13BinaryFunctorIttbNS0_12_GLOBAL__N_116CompareEqFunctorItEEEESt5arrayIPcLm3EEEEviT0_T1_.uses_flat_scratch, 0
	.set _ZN2at6native29vectorized_elementwise_kernelILi2ENS0_13BinaryFunctorIttbNS0_12_GLOBAL__N_116CompareEqFunctorItEEEESt5arrayIPcLm3EEEEviT0_T1_.has_dyn_sized_stack, 0
	.set _ZN2at6native29vectorized_elementwise_kernelILi2ENS0_13BinaryFunctorIttbNS0_12_GLOBAL__N_116CompareEqFunctorItEEEESt5arrayIPcLm3EEEEviT0_T1_.has_recursion, 0
	.set _ZN2at6native29vectorized_elementwise_kernelILi2ENS0_13BinaryFunctorIttbNS0_12_GLOBAL__N_116CompareEqFunctorItEEEESt5arrayIPcLm3EEEEviT0_T1_.has_indirect_call, 0
	.section	.AMDGPU.csdata,"",@progbits
; Kernel info:
; codeLenInByte = 3632
; TotalNumSgprs: 52
; NumVgprs: 21
; ScratchSize: 0
; MemoryBound: 0
; FloatMode: 240
; IeeeMode: 1
; LDSByteSize: 0 bytes/workgroup (compile time only)
; SGPRBlocks: 6
; VGPRBlocks: 5
; NumSGPRsForWavesPerEU: 52
; NumVGPRsForWavesPerEU: 21
; Occupancy: 10
; WaveLimiterHint : 1
; COMPUTE_PGM_RSRC2:SCRATCH_EN: 0
; COMPUTE_PGM_RSRC2:USER_SGPR: 6
; COMPUTE_PGM_RSRC2:TRAP_HANDLER: 0
; COMPUTE_PGM_RSRC2:TGID_X_EN: 1
; COMPUTE_PGM_RSRC2:TGID_Y_EN: 0
; COMPUTE_PGM_RSRC2:TGID_Z_EN: 0
; COMPUTE_PGM_RSRC2:TIDIG_COMP_CNT: 0
	.section	.text._ZN2at6native27unrolled_elementwise_kernelINS0_13BinaryFunctorIttbNS0_12_GLOBAL__N_116CompareEqFunctorItEEEESt5arrayIPcLm3EELi4E23TrivialOffsetCalculatorILi2EjESA_ILi1EjENS0_6memory15LoadWithoutCastENSD_16StoreWithoutCastEEEviT_T0_T2_T3_T4_T5_,"axG",@progbits,_ZN2at6native27unrolled_elementwise_kernelINS0_13BinaryFunctorIttbNS0_12_GLOBAL__N_116CompareEqFunctorItEEEESt5arrayIPcLm3EELi4E23TrivialOffsetCalculatorILi2EjESA_ILi1EjENS0_6memory15LoadWithoutCastENSD_16StoreWithoutCastEEEviT_T0_T2_T3_T4_T5_,comdat
	.globl	_ZN2at6native27unrolled_elementwise_kernelINS0_13BinaryFunctorIttbNS0_12_GLOBAL__N_116CompareEqFunctorItEEEESt5arrayIPcLm3EELi4E23TrivialOffsetCalculatorILi2EjESA_ILi1EjENS0_6memory15LoadWithoutCastENSD_16StoreWithoutCastEEEviT_T0_T2_T3_T4_T5_ ; -- Begin function _ZN2at6native27unrolled_elementwise_kernelINS0_13BinaryFunctorIttbNS0_12_GLOBAL__N_116CompareEqFunctorItEEEESt5arrayIPcLm3EELi4E23TrivialOffsetCalculatorILi2EjESA_ILi1EjENS0_6memory15LoadWithoutCastENSD_16StoreWithoutCastEEEviT_T0_T2_T3_T4_T5_
	.p2align	8
	.type	_ZN2at6native27unrolled_elementwise_kernelINS0_13BinaryFunctorIttbNS0_12_GLOBAL__N_116CompareEqFunctorItEEEESt5arrayIPcLm3EELi4E23TrivialOffsetCalculatorILi2EjESA_ILi1EjENS0_6memory15LoadWithoutCastENSD_16StoreWithoutCastEEEviT_T0_T2_T3_T4_T5_,@function
_ZN2at6native27unrolled_elementwise_kernelINS0_13BinaryFunctorIttbNS0_12_GLOBAL__N_116CompareEqFunctorItEEEESt5arrayIPcLm3EELi4E23TrivialOffsetCalculatorILi2EjESA_ILi1EjENS0_6memory15LoadWithoutCastENSD_16StoreWithoutCastEEEviT_T0_T2_T3_T4_T5_: ; @_ZN2at6native27unrolled_elementwise_kernelINS0_13BinaryFunctorIttbNS0_12_GLOBAL__N_116CompareEqFunctorItEEEESt5arrayIPcLm3EELi4E23TrivialOffsetCalculatorILi2EjESA_ILi1EjENS0_6memory15LoadWithoutCastENSD_16StoreWithoutCastEEEviT_T0_T2_T3_T4_T5_
; %bb.0:
	s_load_dwordx2 s[2:3], s[4:5], 0x0
	s_load_dwordx4 s[8:11], s[4:5], 0x8
	s_load_dwordx2 s[12:13], s[4:5], 0x18
	s_lshl_b32 s20, s6, 10
	s_mov_b64 s[4:5], 0
	s_waitcnt lgkmcnt(0)
	s_sub_i32 s2, s2, s20
	v_cmp_gt_i32_e32 vcc, s2, v0
	v_or_b32_e32 v1, s20, v0
	s_mov_b64 s[6:7], 0
	v_mov_b32_e32 v2, v0
	s_and_saveexec_b64 s[14:15], vcc
	s_cbranch_execz .LBB329_2
; %bb.1:
	v_mov_b32_e32 v2, 0
	v_lshlrev_b64 v[2:3], 1, v[1:2]
	v_mov_b32_e32 v5, s11
	v_add_co_u32_e64 v4, s[0:1], s10, v2
	v_addc_co_u32_e64 v5, s[0:1], v5, v3, s[0:1]
	v_mov_b32_e32 v6, s13
	v_add_co_u32_e64 v2, s[0:1], s12, v2
	v_addc_co_u32_e64 v3, s[0:1], v6, v3, s[0:1]
	global_load_ushort v6, v[4:5], off
	global_load_ushort v7, v[2:3], off
	v_or_b32_e32 v2, 0x100, v0
	s_waitcnt vmcnt(0)
	v_cmp_ne_u16_e64 s[0:1], v6, v7
	s_and_b64 s[6:7], s[0:1], exec
.LBB329_2:
	s_or_b64 exec, exec, s[14:15]
	v_cmp_gt_i32_e64 s[0:1], s2, v2
	s_and_saveexec_b64 s[14:15], s[0:1]
	s_cbranch_execz .LBB329_4
; %bb.3:
	v_add_u32_e32 v3, s20, v2
	v_mov_b32_e32 v4, 0
	v_lshlrev_b64 v[3:4], 1, v[3:4]
	v_mov_b32_e32 v6, s11
	v_add_co_u32_e64 v5, s[0:1], s10, v3
	v_addc_co_u32_e64 v6, s[0:1], v6, v4, s[0:1]
	v_mov_b32_e32 v7, s13
	v_add_co_u32_e64 v3, s[0:1], s12, v3
	v_addc_co_u32_e64 v4, s[0:1], v7, v4, s[0:1]
	global_load_ushort v7, v[5:6], off
	global_load_ushort v8, v[3:4], off
	v_add_u32_e32 v2, 0x100, v2
	s_waitcnt vmcnt(0)
	v_cmp_ne_u16_e64 s[0:1], v7, v8
	s_and_b64 s[4:5], s[0:1], exec
.LBB329_4:
	s_or_b64 exec, exec, s[14:15]
	v_cmp_gt_i32_e64 s[0:1], s2, v2
	s_mov_b64 s[14:15], 0
	s_mov_b64 s[16:17], 0
	s_and_saveexec_b64 s[18:19], s[0:1]
	s_cbranch_execz .LBB329_6
; %bb.5:
	v_add_u32_e32 v3, s20, v2
	v_mov_b32_e32 v4, 0
	v_lshlrev_b64 v[3:4], 1, v[3:4]
	v_mov_b32_e32 v6, s11
	v_add_co_u32_e64 v5, s[0:1], s10, v3
	v_addc_co_u32_e64 v6, s[0:1], v6, v4, s[0:1]
	v_mov_b32_e32 v7, s13
	v_add_co_u32_e64 v3, s[0:1], s12, v3
	v_addc_co_u32_e64 v4, s[0:1], v7, v4, s[0:1]
	global_load_ushort v7, v[5:6], off
	global_load_ushort v8, v[3:4], off
	v_add_u32_e32 v2, 0x100, v2
	s_waitcnt vmcnt(0)
	v_cmp_ne_u16_e64 s[0:1], v7, v8
	s_and_b64 s[16:17], s[0:1], exec
.LBB329_6:
	s_or_b64 exec, exec, s[18:19]
	v_cmp_gt_i32_e64 s[0:1], s2, v2
	s_and_saveexec_b64 s[18:19], s[0:1]
	s_cbranch_execz .LBB329_8
; %bb.7:
	v_add_u32_e32 v2, s20, v2
	v_mov_b32_e32 v3, 0
	v_lshlrev_b64 v[2:3], 1, v[2:3]
	v_mov_b32_e32 v5, s11
	v_add_co_u32_e64 v4, s[0:1], s10, v2
	v_addc_co_u32_e64 v5, s[0:1], v5, v3, s[0:1]
	v_mov_b32_e32 v6, s13
	v_add_co_u32_e64 v2, s[0:1], s12, v2
	v_addc_co_u32_e64 v3, s[0:1], v6, v3, s[0:1]
	global_load_ushort v6, v[4:5], off
	global_load_ushort v7, v[2:3], off
	s_waitcnt vmcnt(0)
	v_cmp_ne_u16_e64 s[0:1], v6, v7
	s_and_b64 s[14:15], s[0:1], exec
.LBB329_8:
	s_or_b64 exec, exec, s[18:19]
	s_cmp_eq_u32 s3, 0
	s_cselect_b64 s[10:11], -1, 0
	s_xor_b64 s[0:1], s[10:11], s[6:7]
	v_cndmask_b32_e64 v2, 0, 1, s[0:1]
	s_xor_b64 s[0:1], s[10:11], s[4:5]
	v_cndmask_b32_e64 v4, 0, 1, s[0:1]
	v_cndmask_b32_e32 v2, 0, v2, vcc
	v_lshlrev_b16_e32 v4, 8, v4
	v_or_b32_e32 v3, 0x100, v0
	v_or_b32_e32 v4, v2, v4
	v_and_b32_e32 v4, 0xffff, v4
	v_cmp_gt_i32_e64 s[0:1], s2, v3
	v_cndmask_b32_e64 v2, v2, v4, s[0:1]
	s_xor_b64 s[0:1], s[10:11], s[16:17]
	v_cndmask_b32_e64 v5, 0, 1, s[0:1]
	v_or_b32_e32 v4, 0x200, v0
	v_lshlrev_b32_e32 v5, 16, v5
	v_or_b32_e32 v5, v2, v5
	v_cmp_gt_i32_e64 s[0:1], s2, v4
	v_cndmask_b32_e64 v2, v2, v5, s[0:1]
	s_movk_i32 s0, 0xff
	v_and_b32_sdwa v4, v2, s0 dst_sel:DWORD dst_unused:UNUSED_PAD src0_sel:WORD_1 src1_sel:DWORD
	s_xor_b64 s[0:1], s[10:11], s[14:15]
	v_cndmask_b32_e64 v6, 0, 1, s[0:1]
	v_lshlrev_b16_e32 v6, 8, v6
	s_mov_b32 s3, 0xffff
	v_or_b32_e32 v5, 0x300, v0
	v_or_b32_sdwa v4, v4, v6 dst_sel:WORD_1 dst_unused:UNUSED_PAD src0_sel:DWORD src1_sel:DWORD
	v_and_or_b32 v4, v2, s3, v4
	v_cmp_gt_i32_e64 s[0:1], s2, v5
	v_cndmask_b32_e64 v2, v2, v4, s[0:1]
	s_and_saveexec_b64 s[0:1], vcc
	s_cbranch_execnz .LBB329_13
; %bb.9:
	s_or_b64 exec, exec, s[0:1]
	v_cmp_gt_i32_e32 vcc, s2, v0
	s_and_saveexec_b64 s[0:1], vcc
	s_cbranch_execnz .LBB329_14
.LBB329_10:
	s_or_b64 exec, exec, s[0:1]
	v_cmp_gt_i32_e32 vcc, s2, v0
	s_and_saveexec_b64 s[0:1], vcc
	s_cbranch_execnz .LBB329_15
.LBB329_11:
	s_or_b64 exec, exec, s[0:1]
	v_cmp_gt_i32_e32 vcc, s2, v0
	s_and_saveexec_b64 s[0:1], vcc
	s_cbranch_execnz .LBB329_16
.LBB329_12:
	s_endpgm
.LBB329_13:
	v_mov_b32_e32 v0, v3
	global_store_byte v1, v2, s[8:9]
	s_or_b64 exec, exec, s[0:1]
	v_cmp_gt_i32_e32 vcc, s2, v0
	s_and_saveexec_b64 s[0:1], vcc
	s_cbranch_execz .LBB329_10
.LBB329_14:
	v_add_u32_e32 v1, 0x100, v0
	v_add_u32_e32 v0, s20, v0
	v_lshrrev_b32_e32 v3, 8, v2
	global_store_byte v0, v3, s[8:9]
	v_mov_b32_e32 v0, v1
	s_or_b64 exec, exec, s[0:1]
	v_cmp_gt_i32_e32 vcc, s2, v0
	s_and_saveexec_b64 s[0:1], vcc
	s_cbranch_execz .LBB329_11
.LBB329_15:
	v_add_u32_e32 v1, 0x100, v0
	v_add_u32_e32 v0, s20, v0
	global_store_byte_d16_hi v0, v2, s[8:9]
	v_mov_b32_e32 v0, v1
	s_or_b64 exec, exec, s[0:1]
	v_cmp_gt_i32_e32 vcc, s2, v0
	s_and_saveexec_b64 s[0:1], vcc
	s_cbranch_execz .LBB329_12
.LBB329_16:
	v_add_u32_e32 v0, s20, v0
	v_lshrrev_b32_e32 v1, 24, v2
	global_store_byte v0, v1, s[8:9]
	s_endpgm
	.section	.rodata,"a",@progbits
	.p2align	6, 0x0
	.amdhsa_kernel _ZN2at6native27unrolled_elementwise_kernelINS0_13BinaryFunctorIttbNS0_12_GLOBAL__N_116CompareEqFunctorItEEEESt5arrayIPcLm3EELi4E23TrivialOffsetCalculatorILi2EjESA_ILi1EjENS0_6memory15LoadWithoutCastENSD_16StoreWithoutCastEEEviT_T0_T2_T3_T4_T5_
		.amdhsa_group_segment_fixed_size 0
		.amdhsa_private_segment_fixed_size 0
		.amdhsa_kernarg_size 36
		.amdhsa_user_sgpr_count 6
		.amdhsa_user_sgpr_private_segment_buffer 1
		.amdhsa_user_sgpr_dispatch_ptr 0
		.amdhsa_user_sgpr_queue_ptr 0
		.amdhsa_user_sgpr_kernarg_segment_ptr 1
		.amdhsa_user_sgpr_dispatch_id 0
		.amdhsa_user_sgpr_flat_scratch_init 0
		.amdhsa_user_sgpr_private_segment_size 0
		.amdhsa_uses_dynamic_stack 0
		.amdhsa_system_sgpr_private_segment_wavefront_offset 0
		.amdhsa_system_sgpr_workgroup_id_x 1
		.amdhsa_system_sgpr_workgroup_id_y 0
		.amdhsa_system_sgpr_workgroup_id_z 0
		.amdhsa_system_sgpr_workgroup_info 0
		.amdhsa_system_vgpr_workitem_id 0
		.amdhsa_next_free_vgpr 9
		.amdhsa_next_free_sgpr 21
		.amdhsa_reserve_vcc 1
		.amdhsa_reserve_flat_scratch 0
		.amdhsa_float_round_mode_32 0
		.amdhsa_float_round_mode_16_64 0
		.amdhsa_float_denorm_mode_32 3
		.amdhsa_float_denorm_mode_16_64 3
		.amdhsa_dx10_clamp 1
		.amdhsa_ieee_mode 1
		.amdhsa_fp16_overflow 0
		.amdhsa_exception_fp_ieee_invalid_op 0
		.amdhsa_exception_fp_denorm_src 0
		.amdhsa_exception_fp_ieee_div_zero 0
		.amdhsa_exception_fp_ieee_overflow 0
		.amdhsa_exception_fp_ieee_underflow 0
		.amdhsa_exception_fp_ieee_inexact 0
		.amdhsa_exception_int_div_zero 0
	.end_amdhsa_kernel
	.section	.text._ZN2at6native27unrolled_elementwise_kernelINS0_13BinaryFunctorIttbNS0_12_GLOBAL__N_116CompareEqFunctorItEEEESt5arrayIPcLm3EELi4E23TrivialOffsetCalculatorILi2EjESA_ILi1EjENS0_6memory15LoadWithoutCastENSD_16StoreWithoutCastEEEviT_T0_T2_T3_T4_T5_,"axG",@progbits,_ZN2at6native27unrolled_elementwise_kernelINS0_13BinaryFunctorIttbNS0_12_GLOBAL__N_116CompareEqFunctorItEEEESt5arrayIPcLm3EELi4E23TrivialOffsetCalculatorILi2EjESA_ILi1EjENS0_6memory15LoadWithoutCastENSD_16StoreWithoutCastEEEviT_T0_T2_T3_T4_T5_,comdat
.Lfunc_end329:
	.size	_ZN2at6native27unrolled_elementwise_kernelINS0_13BinaryFunctorIttbNS0_12_GLOBAL__N_116CompareEqFunctorItEEEESt5arrayIPcLm3EELi4E23TrivialOffsetCalculatorILi2EjESA_ILi1EjENS0_6memory15LoadWithoutCastENSD_16StoreWithoutCastEEEviT_T0_T2_T3_T4_T5_, .Lfunc_end329-_ZN2at6native27unrolled_elementwise_kernelINS0_13BinaryFunctorIttbNS0_12_GLOBAL__N_116CompareEqFunctorItEEEESt5arrayIPcLm3EELi4E23TrivialOffsetCalculatorILi2EjESA_ILi1EjENS0_6memory15LoadWithoutCastENSD_16StoreWithoutCastEEEviT_T0_T2_T3_T4_T5_
                                        ; -- End function
	.set _ZN2at6native27unrolled_elementwise_kernelINS0_13BinaryFunctorIttbNS0_12_GLOBAL__N_116CompareEqFunctorItEEEESt5arrayIPcLm3EELi4E23TrivialOffsetCalculatorILi2EjESA_ILi1EjENS0_6memory15LoadWithoutCastENSD_16StoreWithoutCastEEEviT_T0_T2_T3_T4_T5_.num_vgpr, 9
	.set _ZN2at6native27unrolled_elementwise_kernelINS0_13BinaryFunctorIttbNS0_12_GLOBAL__N_116CompareEqFunctorItEEEESt5arrayIPcLm3EELi4E23TrivialOffsetCalculatorILi2EjESA_ILi1EjENS0_6memory15LoadWithoutCastENSD_16StoreWithoutCastEEEviT_T0_T2_T3_T4_T5_.num_agpr, 0
	.set _ZN2at6native27unrolled_elementwise_kernelINS0_13BinaryFunctorIttbNS0_12_GLOBAL__N_116CompareEqFunctorItEEEESt5arrayIPcLm3EELi4E23TrivialOffsetCalculatorILi2EjESA_ILi1EjENS0_6memory15LoadWithoutCastENSD_16StoreWithoutCastEEEviT_T0_T2_T3_T4_T5_.numbered_sgpr, 21
	.set _ZN2at6native27unrolled_elementwise_kernelINS0_13BinaryFunctorIttbNS0_12_GLOBAL__N_116CompareEqFunctorItEEEESt5arrayIPcLm3EELi4E23TrivialOffsetCalculatorILi2EjESA_ILi1EjENS0_6memory15LoadWithoutCastENSD_16StoreWithoutCastEEEviT_T0_T2_T3_T4_T5_.num_named_barrier, 0
	.set _ZN2at6native27unrolled_elementwise_kernelINS0_13BinaryFunctorIttbNS0_12_GLOBAL__N_116CompareEqFunctorItEEEESt5arrayIPcLm3EELi4E23TrivialOffsetCalculatorILi2EjESA_ILi1EjENS0_6memory15LoadWithoutCastENSD_16StoreWithoutCastEEEviT_T0_T2_T3_T4_T5_.private_seg_size, 0
	.set _ZN2at6native27unrolled_elementwise_kernelINS0_13BinaryFunctorIttbNS0_12_GLOBAL__N_116CompareEqFunctorItEEEESt5arrayIPcLm3EELi4E23TrivialOffsetCalculatorILi2EjESA_ILi1EjENS0_6memory15LoadWithoutCastENSD_16StoreWithoutCastEEEviT_T0_T2_T3_T4_T5_.uses_vcc, 1
	.set _ZN2at6native27unrolled_elementwise_kernelINS0_13BinaryFunctorIttbNS0_12_GLOBAL__N_116CompareEqFunctorItEEEESt5arrayIPcLm3EELi4E23TrivialOffsetCalculatorILi2EjESA_ILi1EjENS0_6memory15LoadWithoutCastENSD_16StoreWithoutCastEEEviT_T0_T2_T3_T4_T5_.uses_flat_scratch, 0
	.set _ZN2at6native27unrolled_elementwise_kernelINS0_13BinaryFunctorIttbNS0_12_GLOBAL__N_116CompareEqFunctorItEEEESt5arrayIPcLm3EELi4E23TrivialOffsetCalculatorILi2EjESA_ILi1EjENS0_6memory15LoadWithoutCastENSD_16StoreWithoutCastEEEviT_T0_T2_T3_T4_T5_.has_dyn_sized_stack, 0
	.set _ZN2at6native27unrolled_elementwise_kernelINS0_13BinaryFunctorIttbNS0_12_GLOBAL__N_116CompareEqFunctorItEEEESt5arrayIPcLm3EELi4E23TrivialOffsetCalculatorILi2EjESA_ILi1EjENS0_6memory15LoadWithoutCastENSD_16StoreWithoutCastEEEviT_T0_T2_T3_T4_T5_.has_recursion, 0
	.set _ZN2at6native27unrolled_elementwise_kernelINS0_13BinaryFunctorIttbNS0_12_GLOBAL__N_116CompareEqFunctorItEEEESt5arrayIPcLm3EELi4E23TrivialOffsetCalculatorILi2EjESA_ILi1EjENS0_6memory15LoadWithoutCastENSD_16StoreWithoutCastEEEviT_T0_T2_T3_T4_T5_.has_indirect_call, 0
	.section	.AMDGPU.csdata,"",@progbits
; Kernel info:
; codeLenInByte = 896
; TotalNumSgprs: 25
; NumVgprs: 9
; ScratchSize: 0
; MemoryBound: 0
; FloatMode: 240
; IeeeMode: 1
; LDSByteSize: 0 bytes/workgroup (compile time only)
; SGPRBlocks: 3
; VGPRBlocks: 2
; NumSGPRsForWavesPerEU: 25
; NumVGPRsForWavesPerEU: 9
; Occupancy: 10
; WaveLimiterHint : 0
; COMPUTE_PGM_RSRC2:SCRATCH_EN: 0
; COMPUTE_PGM_RSRC2:USER_SGPR: 6
; COMPUTE_PGM_RSRC2:TRAP_HANDLER: 0
; COMPUTE_PGM_RSRC2:TGID_X_EN: 1
; COMPUTE_PGM_RSRC2:TGID_Y_EN: 0
; COMPUTE_PGM_RSRC2:TGID_Z_EN: 0
; COMPUTE_PGM_RSRC2:TIDIG_COMP_CNT: 0
	.section	.text._ZN2at6native32elementwise_kernel_manual_unrollILi128ELi8EZNS0_22gpu_kernel_impl_nocastINS0_13BinaryFunctorIttbNS0_12_GLOBAL__N_116CompareEqFunctorItEEEEEEvRNS_18TensorIteratorBaseERKT_EUlibE_EEviT1_,"axG",@progbits,_ZN2at6native32elementwise_kernel_manual_unrollILi128ELi8EZNS0_22gpu_kernel_impl_nocastINS0_13BinaryFunctorIttbNS0_12_GLOBAL__N_116CompareEqFunctorItEEEEEEvRNS_18TensorIteratorBaseERKT_EUlibE_EEviT1_,comdat
	.globl	_ZN2at6native32elementwise_kernel_manual_unrollILi128ELi8EZNS0_22gpu_kernel_impl_nocastINS0_13BinaryFunctorIttbNS0_12_GLOBAL__N_116CompareEqFunctorItEEEEEEvRNS_18TensorIteratorBaseERKT_EUlibE_EEviT1_ ; -- Begin function _ZN2at6native32elementwise_kernel_manual_unrollILi128ELi8EZNS0_22gpu_kernel_impl_nocastINS0_13BinaryFunctorIttbNS0_12_GLOBAL__N_116CompareEqFunctorItEEEEEEvRNS_18TensorIteratorBaseERKT_EUlibE_EEviT1_
	.p2align	8
	.type	_ZN2at6native32elementwise_kernel_manual_unrollILi128ELi8EZNS0_22gpu_kernel_impl_nocastINS0_13BinaryFunctorIttbNS0_12_GLOBAL__N_116CompareEqFunctorItEEEEEEvRNS_18TensorIteratorBaseERKT_EUlibE_EEviT1_,@function
_ZN2at6native32elementwise_kernel_manual_unrollILi128ELi8EZNS0_22gpu_kernel_impl_nocastINS0_13BinaryFunctorIttbNS0_12_GLOBAL__N_116CompareEqFunctorItEEEEEEvRNS_18TensorIteratorBaseERKT_EUlibE_EEviT1_: ; @_ZN2at6native32elementwise_kernel_manual_unrollILi128ELi8EZNS0_22gpu_kernel_impl_nocastINS0_13BinaryFunctorIttbNS0_12_GLOBAL__N_116CompareEqFunctorItEEEEEEvRNS_18TensorIteratorBaseERKT_EUlibE_EEviT1_
; %bb.0:
	s_load_dword s38, s[4:5], 0x0
	s_load_dword s33, s[4:5], 0x8
	s_add_u32 s12, s4, 8
	s_addc_u32 s13, s5, 0
	v_lshl_or_b32 v31, s6, 10, v0
	v_or_b32_e32 v41, 0x380, v31
	s_waitcnt lgkmcnt(0)
	s_add_i32 s36, s33, -1
	s_cmp_gt_u32 s36, 1
	v_cmp_le_i32_e32 vcc, s38, v41
	s_cselect_b64 s[14:15], -1, 0
	s_and_saveexec_b64 s[0:1], vcc
	s_xor_b64 s[16:17], exec, s[0:1]
	s_cbranch_execz .LBB330_106
; %bb.1:
	s_load_dwordx4 s[8:11], s[12:13], 0x4
	s_load_dwordx2 s[24:25], s[12:13], 0x14
	s_load_dwordx4 s[4:7], s[12:13], 0xc4
	s_load_dwordx2 s[22:23], s[12:13], 0xd4
	s_load_dword s20, s[12:13], 0x1a0
	s_cmp_lg_u32 s33, 0
	s_load_dwordx2 s[18:19], s[12:13], 0x198
	s_load_dwordx4 s[0:3], s[12:13], 0x188
	s_cselect_b64 s[28:29], -1, 0
	s_min_u32 s37, s36, 15
	s_cmp_gt_u32 s33, 1
	s_cselect_b64 s[26:27], -1, 0
	s_waitcnt lgkmcnt(0)
	s_cmp_eq_u32 s20, 0
	s_cselect_b64 s[20:21], -1, 0
	v_cmp_gt_i32_e32 vcc, s38, v31
	s_and_saveexec_b64 s[30:31], vcc
	s_cbranch_execnz .LBB330_9
; %bb.2:
	s_or_b64 exec, exec, s[30:31]
	v_cmp_gt_i32_e32 vcc, s38, v31
	s_and_saveexec_b64 s[30:31], vcc
	s_cbranch_execnz .LBB330_21
.LBB330_3:
	s_or_b64 exec, exec, s[30:31]
	v_cmp_gt_i32_e32 vcc, s38, v31
	s_and_saveexec_b64 s[30:31], vcc
	s_cbranch_execnz .LBB330_33
.LBB330_4:
	s_or_b64 exec, exec, s[30:31]
	v_cmp_gt_i32_e32 vcc, s38, v31
	s_and_saveexec_b64 s[30:31], vcc
	s_cbranch_execnz .LBB330_45
.LBB330_5:
	s_or_b64 exec, exec, s[30:31]
	v_cmp_gt_i32_e32 vcc, s38, v31
	s_and_saveexec_b64 s[30:31], vcc
	s_cbranch_execnz .LBB330_57
.LBB330_6:
	s_or_b64 exec, exec, s[30:31]
	v_cmp_gt_i32_e32 vcc, s38, v31
	s_and_saveexec_b64 s[30:31], vcc
	s_cbranch_execnz .LBB330_69
.LBB330_7:
	s_or_b64 exec, exec, s[30:31]
	v_cmp_gt_i32_e32 vcc, s38, v31
	s_and_saveexec_b64 s[30:31], vcc
	s_cbranch_execnz .LBB330_81
.LBB330_8:
	s_or_b64 exec, exec, s[30:31]
	v_cmp_gt_i32_e32 vcc, s38, v31
	s_and_saveexec_b64 s[30:31], vcc
	s_cbranch_execnz .LBB330_93
	s_branch .LBB330_105
.LBB330_9:
	s_andn2_b64 vcc, exec, s[14:15]
	s_cbranch_vccnz .LBB330_15
; %bb.10:
	s_andn2_b64 vcc, exec, s[28:29]
	s_cbranch_vccnz .LBB330_16
; %bb.11:
	s_add_i32 s34, s37, 1
	s_and_b32 s39, s34, 30
	s_add_u32 s34, s12, 0xffffffe8
	s_addc_u32 s35, s13, -1
	v_mov_b32_e32 v2, 0
	v_mov_b32_e32 v4, 0
	;; [unrolled: 1-line block ×4, first 2 shown]
.LBB330_12:                             ; =>This Inner Loop Header: Depth=1
	s_load_dwordx4 s[40:43], s[34:35], 0x1c
	s_load_dwordx2 s[48:49], s[34:35], 0x2c
	s_load_dwordx2 s[50:51], s[34:35], 0xec
	s_load_dwordx4 s[44:47], s[34:35], 0xdc
	s_add_u32 s34, s34, 24
	s_waitcnt lgkmcnt(0)
	v_mul_hi_u32 v3, s41, v1
	s_addc_u32 s35, s35, 0
	s_add_i32 s39, s39, -2
	s_cmp_lg_u32 s39, 0
	v_add_u32_e32 v3, v1, v3
	v_lshrrev_b32_e32 v3, s42, v3
	v_mul_lo_u32 v5, v3, s40
	v_mul_hi_u32 v6, s48, v3
	v_sub_u32_e32 v5, v1, v5
	v_add_u32_e32 v1, v3, v6
	v_lshrrev_b32_e32 v1, s49, v1
	v_mul_lo_u32 v8, v1, s43
	v_mul_lo_u32 v6, v5, s44
	;; [unrolled: 1-line block ×4, first 2 shown]
	v_sub_u32_e32 v3, v3, v8
	v_mul_lo_u32 v8, v3, s47
	v_mul_lo_u32 v9, v3, s50
	;; [unrolled: 1-line block ×3, first 2 shown]
	v_add3_u32 v0, v6, v0, v8
	v_add3_u32 v4, v7, v4, v9
	;; [unrolled: 1-line block ×3, first 2 shown]
	s_cbranch_scc1 .LBB330_12
; %bb.13:
	s_bitcmp1_b32 s37, 0
	s_cselect_b64 s[40:41], -1, 0
	s_and_b64 vcc, exec, s[40:41]
	s_cbranch_vccnz .LBB330_17
; %bb.14:
	s_load_dwordx2 s[40:41], s[34:35], 0x1c
	s_load_dword s39, s[34:35], 0x24
	s_load_dwordx2 s[42:43], s[34:35], 0xdc
	s_waitcnt lgkmcnt(0)
	v_mul_hi_u32 v3, s41, v1
	v_add_u32_e32 v3, v1, v3
	v_lshrrev_b32_e32 v3, s39, v3
	v_mul_lo_u32 v3, v3, s40
	s_load_dword s39, s[34:35], 0xe4
	v_sub_u32_e32 v3, v1, v3
	v_mad_u64_u32 v[0:1], s[34:35], v3, s42, v[0:1]
	v_mad_u64_u32 v[4:5], s[34:35], v3, s43, v[4:5]
	s_waitcnt lgkmcnt(0)
	v_mad_u64_u32 v[2:3], s[34:35], v3, s39, v[2:3]
	s_cbranch_execz .LBB330_18
	s_branch .LBB330_20
.LBB330_15:
                                        ; implicit-def: $vgpr0
                                        ; implicit-def: $vgpr4
                                        ; implicit-def: $vgpr2
	s_branch .LBB330_18
.LBB330_16:
	v_mov_b32_e32 v0, 0
	v_mov_b32_e32 v4, 0
	v_mov_b32_e32 v2, 0
.LBB330_17:
	s_cbranch_execnz .LBB330_20
.LBB330_18:
	v_mul_hi_u32 v0, s9, v31
	s_andn2_b64 vcc, exec, s[26:27]
	v_add_u32_e32 v0, v31, v0
	v_lshrrev_b32_e32 v1, s10, v0
	v_mul_lo_u32 v0, v1, s8
	v_sub_u32_e32 v2, v31, v0
	v_mul_lo_u32 v0, v2, s4
	v_mul_lo_u32 v4, v2, s5
	;; [unrolled: 1-line block ×3, first 2 shown]
	s_cbranch_vccnz .LBB330_20
; %bb.19:
	v_mul_hi_u32 v3, s24, v1
	v_add_u32_e32 v3, v1, v3
	v_lshrrev_b32_e32 v3, s25, v3
	v_mul_lo_u32 v3, v3, s11
	v_sub_u32_e32 v3, v1, v3
	v_mad_u64_u32 v[0:1], s[34:35], v3, s7, v[0:1]
	v_mad_u64_u32 v[4:5], s[34:35], v3, s22, v[4:5]
	;; [unrolled: 1-line block ×3, first 2 shown]
.LBB330_20:
	global_load_ushort v1, v4, s[2:3]
	global_load_ushort v3, v2, s[18:19]
	v_add_u32_e32 v31, 0x80, v31
	s_waitcnt vmcnt(0)
	v_cmp_ne_u16_e32 vcc, v1, v3
	s_xor_b64 s[34:35], s[20:21], vcc
	v_cndmask_b32_e64 v1, 0, 1, s[34:35]
	global_store_byte v0, v1, s[0:1]
	s_or_b64 exec, exec, s[30:31]
	v_cmp_gt_i32_e32 vcc, s38, v31
	s_and_saveexec_b64 s[30:31], vcc
	s_cbranch_execz .LBB330_3
.LBB330_21:
	s_andn2_b64 vcc, exec, s[14:15]
	s_cbranch_vccnz .LBB330_27
; %bb.22:
	s_andn2_b64 vcc, exec, s[28:29]
	s_cbranch_vccnz .LBB330_28
; %bb.23:
	s_add_i32 s34, s37, 1
	s_and_b32 s39, s34, 30
	s_add_u32 s34, s12, 0xffffffe8
	s_addc_u32 s35, s13, -1
	v_mov_b32_e32 v2, 0
	v_mov_b32_e32 v4, 0
	;; [unrolled: 1-line block ×4, first 2 shown]
.LBB330_24:                             ; =>This Inner Loop Header: Depth=1
	s_load_dwordx4 s[40:43], s[34:35], 0x1c
	s_load_dwordx2 s[48:49], s[34:35], 0x2c
	s_load_dwordx2 s[50:51], s[34:35], 0xec
	s_load_dwordx4 s[44:47], s[34:35], 0xdc
	s_add_u32 s34, s34, 24
	s_waitcnt lgkmcnt(0)
	v_mul_hi_u32 v3, s41, v1
	s_addc_u32 s35, s35, 0
	s_add_i32 s39, s39, -2
	s_cmp_eq_u32 s39, 0
	v_add_u32_e32 v3, v1, v3
	v_lshrrev_b32_e32 v3, s42, v3
	v_mul_lo_u32 v5, v3, s40
	v_mul_hi_u32 v6, s48, v3
	v_sub_u32_e32 v5, v1, v5
	v_add_u32_e32 v1, v3, v6
	v_lshrrev_b32_e32 v1, s49, v1
	v_mul_lo_u32 v8, v1, s43
	v_mul_lo_u32 v6, v5, s44
	;; [unrolled: 1-line block ×4, first 2 shown]
	v_sub_u32_e32 v3, v3, v8
	v_mul_lo_u32 v8, v3, s47
	v_mul_lo_u32 v9, v3, s50
	;; [unrolled: 1-line block ×3, first 2 shown]
	v_add3_u32 v0, v6, v0, v8
	v_add3_u32 v4, v7, v4, v9
	;; [unrolled: 1-line block ×3, first 2 shown]
	s_cbranch_scc0 .LBB330_24
; %bb.25:
	s_bitcmp1_b32 s37, 0
	s_cselect_b64 s[40:41], -1, 0
	s_and_b64 vcc, exec, s[40:41]
	s_cbranch_vccnz .LBB330_29
; %bb.26:
	s_load_dwordx2 s[40:41], s[34:35], 0x1c
	s_load_dword s39, s[34:35], 0x24
	s_load_dwordx2 s[42:43], s[34:35], 0xdc
	s_waitcnt lgkmcnt(0)
	v_mul_hi_u32 v3, s41, v1
	v_add_u32_e32 v3, v1, v3
	v_lshrrev_b32_e32 v3, s39, v3
	v_mul_lo_u32 v3, v3, s40
	s_load_dword s39, s[34:35], 0xe4
	v_sub_u32_e32 v3, v1, v3
	v_mad_u64_u32 v[0:1], s[34:35], v3, s42, v[0:1]
	v_mad_u64_u32 v[4:5], s[34:35], v3, s43, v[4:5]
	s_waitcnt lgkmcnt(0)
	v_mad_u64_u32 v[2:3], s[34:35], v3, s39, v[2:3]
	s_branch .LBB330_29
.LBB330_27:
                                        ; implicit-def: $vgpr0
                                        ; implicit-def: $vgpr4
                                        ; implicit-def: $vgpr2
	s_branch .LBB330_30
.LBB330_28:
	v_mov_b32_e32 v0, 0
	v_mov_b32_e32 v4, 0
	;; [unrolled: 1-line block ×3, first 2 shown]
.LBB330_29:
	s_cbranch_execnz .LBB330_32
.LBB330_30:
	v_mul_hi_u32 v0, s9, v31
	s_andn2_b64 vcc, exec, s[26:27]
	v_add_u32_e32 v0, v31, v0
	v_lshrrev_b32_e32 v1, s10, v0
	v_mul_lo_u32 v0, v1, s8
	v_sub_u32_e32 v2, v31, v0
	v_mul_lo_u32 v0, v2, s4
	v_mul_lo_u32 v4, v2, s5
	;; [unrolled: 1-line block ×3, first 2 shown]
	s_cbranch_vccnz .LBB330_32
; %bb.31:
	v_mul_hi_u32 v3, s24, v1
	v_add_u32_e32 v3, v1, v3
	v_lshrrev_b32_e32 v3, s25, v3
	v_mul_lo_u32 v3, v3, s11
	v_sub_u32_e32 v3, v1, v3
	v_mad_u64_u32 v[0:1], s[34:35], v3, s7, v[0:1]
	v_mad_u64_u32 v[4:5], s[34:35], v3, s22, v[4:5]
	;; [unrolled: 1-line block ×3, first 2 shown]
.LBB330_32:
	global_load_ushort v1, v4, s[2:3]
	global_load_ushort v3, v2, s[18:19]
	v_add_u32_e32 v31, 0x80, v31
	s_waitcnt vmcnt(0)
	v_cmp_ne_u16_e32 vcc, v1, v3
	s_xor_b64 s[34:35], s[20:21], vcc
	v_cndmask_b32_e64 v1, 0, 1, s[34:35]
	global_store_byte v0, v1, s[0:1]
	s_or_b64 exec, exec, s[30:31]
	v_cmp_gt_i32_e32 vcc, s38, v31
	s_and_saveexec_b64 s[30:31], vcc
	s_cbranch_execz .LBB330_4
.LBB330_33:
	s_andn2_b64 vcc, exec, s[14:15]
	s_cbranch_vccnz .LBB330_39
; %bb.34:
	s_andn2_b64 vcc, exec, s[28:29]
	s_cbranch_vccnz .LBB330_40
; %bb.35:
	s_add_i32 s34, s37, 1
	s_and_b32 s39, s34, 30
	s_add_u32 s34, s12, 0xffffffe8
	s_addc_u32 s35, s13, -1
	v_mov_b32_e32 v2, 0
	v_mov_b32_e32 v4, 0
	;; [unrolled: 1-line block ×4, first 2 shown]
.LBB330_36:                             ; =>This Inner Loop Header: Depth=1
	s_load_dwordx4 s[40:43], s[34:35], 0x1c
	s_load_dwordx2 s[48:49], s[34:35], 0x2c
	s_load_dwordx2 s[50:51], s[34:35], 0xec
	s_load_dwordx4 s[44:47], s[34:35], 0xdc
	s_add_u32 s34, s34, 24
	s_waitcnt lgkmcnt(0)
	v_mul_hi_u32 v3, s41, v1
	s_addc_u32 s35, s35, 0
	s_add_i32 s39, s39, -2
	s_cmp_eq_u32 s39, 0
	v_add_u32_e32 v3, v1, v3
	v_lshrrev_b32_e32 v3, s42, v3
	v_mul_lo_u32 v5, v3, s40
	v_mul_hi_u32 v6, s48, v3
	v_sub_u32_e32 v5, v1, v5
	v_add_u32_e32 v1, v3, v6
	v_lshrrev_b32_e32 v1, s49, v1
	v_mul_lo_u32 v8, v1, s43
	v_mul_lo_u32 v6, v5, s44
	;; [unrolled: 1-line block ×4, first 2 shown]
	v_sub_u32_e32 v3, v3, v8
	v_mul_lo_u32 v8, v3, s47
	v_mul_lo_u32 v9, v3, s50
	;; [unrolled: 1-line block ×3, first 2 shown]
	v_add3_u32 v0, v6, v0, v8
	v_add3_u32 v4, v7, v4, v9
	v_add3_u32 v2, v5, v2, v3
	s_cbranch_scc0 .LBB330_36
; %bb.37:
	s_bitcmp1_b32 s37, 0
	s_cselect_b64 s[40:41], -1, 0
	s_and_b64 vcc, exec, s[40:41]
	s_cbranch_vccnz .LBB330_41
; %bb.38:
	s_load_dwordx2 s[40:41], s[34:35], 0x1c
	s_load_dword s39, s[34:35], 0x24
	s_load_dwordx2 s[42:43], s[34:35], 0xdc
	s_waitcnt lgkmcnt(0)
	v_mul_hi_u32 v3, s41, v1
	v_add_u32_e32 v3, v1, v3
	v_lshrrev_b32_e32 v3, s39, v3
	v_mul_lo_u32 v3, v3, s40
	s_load_dword s39, s[34:35], 0xe4
	v_sub_u32_e32 v3, v1, v3
	v_mad_u64_u32 v[0:1], s[34:35], v3, s42, v[0:1]
	v_mad_u64_u32 v[4:5], s[34:35], v3, s43, v[4:5]
	s_waitcnt lgkmcnt(0)
	v_mad_u64_u32 v[2:3], s[34:35], v3, s39, v[2:3]
	s_branch .LBB330_41
.LBB330_39:
                                        ; implicit-def: $vgpr0
                                        ; implicit-def: $vgpr4
                                        ; implicit-def: $vgpr2
	s_branch .LBB330_42
.LBB330_40:
	v_mov_b32_e32 v0, 0
	v_mov_b32_e32 v4, 0
	;; [unrolled: 1-line block ×3, first 2 shown]
.LBB330_41:
	s_cbranch_execnz .LBB330_44
.LBB330_42:
	v_mul_hi_u32 v0, s9, v31
	s_andn2_b64 vcc, exec, s[26:27]
	v_add_u32_e32 v0, v31, v0
	v_lshrrev_b32_e32 v1, s10, v0
	v_mul_lo_u32 v0, v1, s8
	v_sub_u32_e32 v2, v31, v0
	v_mul_lo_u32 v0, v2, s4
	v_mul_lo_u32 v4, v2, s5
	;; [unrolled: 1-line block ×3, first 2 shown]
	s_cbranch_vccnz .LBB330_44
; %bb.43:
	v_mul_hi_u32 v3, s24, v1
	v_add_u32_e32 v3, v1, v3
	v_lshrrev_b32_e32 v3, s25, v3
	v_mul_lo_u32 v3, v3, s11
	v_sub_u32_e32 v3, v1, v3
	v_mad_u64_u32 v[0:1], s[34:35], v3, s7, v[0:1]
	v_mad_u64_u32 v[4:5], s[34:35], v3, s22, v[4:5]
	;; [unrolled: 1-line block ×3, first 2 shown]
.LBB330_44:
	global_load_ushort v1, v4, s[2:3]
	global_load_ushort v3, v2, s[18:19]
	v_add_u32_e32 v31, 0x80, v31
	s_waitcnt vmcnt(0)
	v_cmp_ne_u16_e32 vcc, v1, v3
	s_xor_b64 s[34:35], s[20:21], vcc
	v_cndmask_b32_e64 v1, 0, 1, s[34:35]
	global_store_byte v0, v1, s[0:1]
	s_or_b64 exec, exec, s[30:31]
	v_cmp_gt_i32_e32 vcc, s38, v31
	s_and_saveexec_b64 s[30:31], vcc
	s_cbranch_execz .LBB330_5
.LBB330_45:
	s_andn2_b64 vcc, exec, s[14:15]
	s_cbranch_vccnz .LBB330_51
; %bb.46:
	s_andn2_b64 vcc, exec, s[28:29]
	s_cbranch_vccnz .LBB330_52
; %bb.47:
	s_add_i32 s34, s37, 1
	s_and_b32 s39, s34, 30
	s_add_u32 s34, s12, 0xffffffe8
	s_addc_u32 s35, s13, -1
	v_mov_b32_e32 v2, 0
	v_mov_b32_e32 v4, 0
	;; [unrolled: 1-line block ×4, first 2 shown]
.LBB330_48:                             ; =>This Inner Loop Header: Depth=1
	s_load_dwordx4 s[40:43], s[34:35], 0x1c
	s_load_dwordx2 s[48:49], s[34:35], 0x2c
	s_load_dwordx2 s[50:51], s[34:35], 0xec
	s_load_dwordx4 s[44:47], s[34:35], 0xdc
	s_add_u32 s34, s34, 24
	s_waitcnt lgkmcnt(0)
	v_mul_hi_u32 v3, s41, v1
	s_addc_u32 s35, s35, 0
	s_add_i32 s39, s39, -2
	s_cmp_eq_u32 s39, 0
	v_add_u32_e32 v3, v1, v3
	v_lshrrev_b32_e32 v3, s42, v3
	v_mul_lo_u32 v5, v3, s40
	v_mul_hi_u32 v6, s48, v3
	v_sub_u32_e32 v5, v1, v5
	v_add_u32_e32 v1, v3, v6
	v_lshrrev_b32_e32 v1, s49, v1
	v_mul_lo_u32 v8, v1, s43
	v_mul_lo_u32 v6, v5, s44
	;; [unrolled: 1-line block ×4, first 2 shown]
	v_sub_u32_e32 v3, v3, v8
	v_mul_lo_u32 v8, v3, s47
	v_mul_lo_u32 v9, v3, s50
	;; [unrolled: 1-line block ×3, first 2 shown]
	v_add3_u32 v0, v6, v0, v8
	v_add3_u32 v4, v7, v4, v9
	;; [unrolled: 1-line block ×3, first 2 shown]
	s_cbranch_scc0 .LBB330_48
; %bb.49:
	s_bitcmp1_b32 s37, 0
	s_cselect_b64 s[40:41], -1, 0
	s_and_b64 vcc, exec, s[40:41]
	s_cbranch_vccnz .LBB330_53
; %bb.50:
	s_load_dwordx2 s[40:41], s[34:35], 0x1c
	s_load_dword s39, s[34:35], 0x24
	s_load_dwordx2 s[42:43], s[34:35], 0xdc
	s_waitcnt lgkmcnt(0)
	v_mul_hi_u32 v3, s41, v1
	v_add_u32_e32 v3, v1, v3
	v_lshrrev_b32_e32 v3, s39, v3
	v_mul_lo_u32 v3, v3, s40
	s_load_dword s39, s[34:35], 0xe4
	v_sub_u32_e32 v3, v1, v3
	v_mad_u64_u32 v[0:1], s[34:35], v3, s42, v[0:1]
	v_mad_u64_u32 v[4:5], s[34:35], v3, s43, v[4:5]
	s_waitcnt lgkmcnt(0)
	v_mad_u64_u32 v[2:3], s[34:35], v3, s39, v[2:3]
	s_branch .LBB330_53
.LBB330_51:
                                        ; implicit-def: $vgpr0
                                        ; implicit-def: $vgpr4
                                        ; implicit-def: $vgpr2
	s_branch .LBB330_54
.LBB330_52:
	v_mov_b32_e32 v0, 0
	v_mov_b32_e32 v4, 0
	;; [unrolled: 1-line block ×3, first 2 shown]
.LBB330_53:
	s_cbranch_execnz .LBB330_56
.LBB330_54:
	v_mul_hi_u32 v0, s9, v31
	s_andn2_b64 vcc, exec, s[26:27]
	v_add_u32_e32 v0, v31, v0
	v_lshrrev_b32_e32 v1, s10, v0
	v_mul_lo_u32 v0, v1, s8
	v_sub_u32_e32 v2, v31, v0
	v_mul_lo_u32 v0, v2, s4
	v_mul_lo_u32 v4, v2, s5
	;; [unrolled: 1-line block ×3, first 2 shown]
	s_cbranch_vccnz .LBB330_56
; %bb.55:
	v_mul_hi_u32 v3, s24, v1
	v_add_u32_e32 v3, v1, v3
	v_lshrrev_b32_e32 v3, s25, v3
	v_mul_lo_u32 v3, v3, s11
	v_sub_u32_e32 v3, v1, v3
	v_mad_u64_u32 v[0:1], s[34:35], v3, s7, v[0:1]
	v_mad_u64_u32 v[4:5], s[34:35], v3, s22, v[4:5]
	v_mad_u64_u32 v[2:3], s[34:35], v3, s23, v[2:3]
.LBB330_56:
	global_load_ushort v1, v4, s[2:3]
	global_load_ushort v3, v2, s[18:19]
	v_add_u32_e32 v31, 0x80, v31
	s_waitcnt vmcnt(0)
	v_cmp_ne_u16_e32 vcc, v1, v3
	s_xor_b64 s[34:35], s[20:21], vcc
	v_cndmask_b32_e64 v1, 0, 1, s[34:35]
	global_store_byte v0, v1, s[0:1]
	s_or_b64 exec, exec, s[30:31]
	v_cmp_gt_i32_e32 vcc, s38, v31
	s_and_saveexec_b64 s[30:31], vcc
	s_cbranch_execz .LBB330_6
.LBB330_57:
	s_andn2_b64 vcc, exec, s[14:15]
	s_cbranch_vccnz .LBB330_63
; %bb.58:
	s_andn2_b64 vcc, exec, s[28:29]
	s_cbranch_vccnz .LBB330_64
; %bb.59:
	s_add_i32 s34, s37, 1
	s_and_b32 s39, s34, 30
	s_add_u32 s34, s12, 0xffffffe8
	s_addc_u32 s35, s13, -1
	v_mov_b32_e32 v2, 0
	v_mov_b32_e32 v4, 0
	;; [unrolled: 1-line block ×4, first 2 shown]
.LBB330_60:                             ; =>This Inner Loop Header: Depth=1
	s_load_dwordx4 s[40:43], s[34:35], 0x1c
	s_load_dwordx2 s[48:49], s[34:35], 0x2c
	s_load_dwordx2 s[50:51], s[34:35], 0xec
	s_load_dwordx4 s[44:47], s[34:35], 0xdc
	s_add_u32 s34, s34, 24
	s_waitcnt lgkmcnt(0)
	v_mul_hi_u32 v3, s41, v1
	s_addc_u32 s35, s35, 0
	s_add_i32 s39, s39, -2
	s_cmp_eq_u32 s39, 0
	v_add_u32_e32 v3, v1, v3
	v_lshrrev_b32_e32 v3, s42, v3
	v_mul_lo_u32 v5, v3, s40
	v_mul_hi_u32 v6, s48, v3
	v_sub_u32_e32 v5, v1, v5
	v_add_u32_e32 v1, v3, v6
	v_lshrrev_b32_e32 v1, s49, v1
	v_mul_lo_u32 v8, v1, s43
	v_mul_lo_u32 v6, v5, s44
	;; [unrolled: 1-line block ×4, first 2 shown]
	v_sub_u32_e32 v3, v3, v8
	v_mul_lo_u32 v8, v3, s47
	v_mul_lo_u32 v9, v3, s50
	;; [unrolled: 1-line block ×3, first 2 shown]
	v_add3_u32 v0, v6, v0, v8
	v_add3_u32 v4, v7, v4, v9
	;; [unrolled: 1-line block ×3, first 2 shown]
	s_cbranch_scc0 .LBB330_60
; %bb.61:
	s_bitcmp1_b32 s37, 0
	s_cselect_b64 s[40:41], -1, 0
	s_and_b64 vcc, exec, s[40:41]
	s_cbranch_vccnz .LBB330_65
; %bb.62:
	s_load_dwordx2 s[40:41], s[34:35], 0x1c
	s_load_dword s39, s[34:35], 0x24
	s_load_dwordx2 s[42:43], s[34:35], 0xdc
	s_waitcnt lgkmcnt(0)
	v_mul_hi_u32 v3, s41, v1
	v_add_u32_e32 v3, v1, v3
	v_lshrrev_b32_e32 v3, s39, v3
	v_mul_lo_u32 v3, v3, s40
	s_load_dword s39, s[34:35], 0xe4
	v_sub_u32_e32 v3, v1, v3
	v_mad_u64_u32 v[0:1], s[34:35], v3, s42, v[0:1]
	v_mad_u64_u32 v[4:5], s[34:35], v3, s43, v[4:5]
	s_waitcnt lgkmcnt(0)
	v_mad_u64_u32 v[2:3], s[34:35], v3, s39, v[2:3]
	s_branch .LBB330_65
.LBB330_63:
                                        ; implicit-def: $vgpr0
                                        ; implicit-def: $vgpr4
                                        ; implicit-def: $vgpr2
	s_branch .LBB330_66
.LBB330_64:
	v_mov_b32_e32 v0, 0
	v_mov_b32_e32 v4, 0
	;; [unrolled: 1-line block ×3, first 2 shown]
.LBB330_65:
	s_cbranch_execnz .LBB330_68
.LBB330_66:
	v_mul_hi_u32 v0, s9, v31
	s_andn2_b64 vcc, exec, s[26:27]
	v_add_u32_e32 v0, v31, v0
	v_lshrrev_b32_e32 v1, s10, v0
	v_mul_lo_u32 v0, v1, s8
	v_sub_u32_e32 v2, v31, v0
	v_mul_lo_u32 v0, v2, s4
	v_mul_lo_u32 v4, v2, s5
	;; [unrolled: 1-line block ×3, first 2 shown]
	s_cbranch_vccnz .LBB330_68
; %bb.67:
	v_mul_hi_u32 v3, s24, v1
	v_add_u32_e32 v3, v1, v3
	v_lshrrev_b32_e32 v3, s25, v3
	v_mul_lo_u32 v3, v3, s11
	v_sub_u32_e32 v3, v1, v3
	v_mad_u64_u32 v[0:1], s[34:35], v3, s7, v[0:1]
	v_mad_u64_u32 v[4:5], s[34:35], v3, s22, v[4:5]
	;; [unrolled: 1-line block ×3, first 2 shown]
.LBB330_68:
	global_load_ushort v1, v4, s[2:3]
	global_load_ushort v3, v2, s[18:19]
	v_add_u32_e32 v31, 0x80, v31
	s_waitcnt vmcnt(0)
	v_cmp_ne_u16_e32 vcc, v1, v3
	s_xor_b64 s[34:35], s[20:21], vcc
	v_cndmask_b32_e64 v1, 0, 1, s[34:35]
	global_store_byte v0, v1, s[0:1]
	s_or_b64 exec, exec, s[30:31]
	v_cmp_gt_i32_e32 vcc, s38, v31
	s_and_saveexec_b64 s[30:31], vcc
	s_cbranch_execz .LBB330_7
.LBB330_69:
	s_andn2_b64 vcc, exec, s[14:15]
	s_cbranch_vccnz .LBB330_75
; %bb.70:
	s_andn2_b64 vcc, exec, s[28:29]
	s_cbranch_vccnz .LBB330_76
; %bb.71:
	s_add_i32 s34, s37, 1
	s_and_b32 s39, s34, 30
	s_add_u32 s34, s12, 0xffffffe8
	s_addc_u32 s35, s13, -1
	v_mov_b32_e32 v2, 0
	v_mov_b32_e32 v4, 0
	;; [unrolled: 1-line block ×4, first 2 shown]
.LBB330_72:                             ; =>This Inner Loop Header: Depth=1
	s_load_dwordx4 s[40:43], s[34:35], 0x1c
	s_load_dwordx2 s[48:49], s[34:35], 0x2c
	s_load_dwordx2 s[50:51], s[34:35], 0xec
	s_load_dwordx4 s[44:47], s[34:35], 0xdc
	s_add_u32 s34, s34, 24
	s_waitcnt lgkmcnt(0)
	v_mul_hi_u32 v3, s41, v1
	s_addc_u32 s35, s35, 0
	s_add_i32 s39, s39, -2
	s_cmp_eq_u32 s39, 0
	v_add_u32_e32 v3, v1, v3
	v_lshrrev_b32_e32 v3, s42, v3
	v_mul_lo_u32 v5, v3, s40
	v_mul_hi_u32 v6, s48, v3
	v_sub_u32_e32 v5, v1, v5
	v_add_u32_e32 v1, v3, v6
	v_lshrrev_b32_e32 v1, s49, v1
	v_mul_lo_u32 v8, v1, s43
	v_mul_lo_u32 v6, v5, s44
	;; [unrolled: 1-line block ×4, first 2 shown]
	v_sub_u32_e32 v3, v3, v8
	v_mul_lo_u32 v8, v3, s47
	v_mul_lo_u32 v9, v3, s50
	;; [unrolled: 1-line block ×3, first 2 shown]
	v_add3_u32 v0, v6, v0, v8
	v_add3_u32 v4, v7, v4, v9
	v_add3_u32 v2, v5, v2, v3
	s_cbranch_scc0 .LBB330_72
; %bb.73:
	s_bitcmp1_b32 s37, 0
	s_cselect_b64 s[40:41], -1, 0
	s_and_b64 vcc, exec, s[40:41]
	s_cbranch_vccnz .LBB330_77
; %bb.74:
	s_load_dwordx2 s[40:41], s[34:35], 0x1c
	s_load_dword s39, s[34:35], 0x24
	s_load_dwordx2 s[42:43], s[34:35], 0xdc
	s_waitcnt lgkmcnt(0)
	v_mul_hi_u32 v3, s41, v1
	v_add_u32_e32 v3, v1, v3
	v_lshrrev_b32_e32 v3, s39, v3
	v_mul_lo_u32 v3, v3, s40
	s_load_dword s39, s[34:35], 0xe4
	v_sub_u32_e32 v3, v1, v3
	v_mad_u64_u32 v[0:1], s[34:35], v3, s42, v[0:1]
	v_mad_u64_u32 v[4:5], s[34:35], v3, s43, v[4:5]
	s_waitcnt lgkmcnt(0)
	v_mad_u64_u32 v[2:3], s[34:35], v3, s39, v[2:3]
	s_branch .LBB330_77
.LBB330_75:
                                        ; implicit-def: $vgpr0
                                        ; implicit-def: $vgpr4
                                        ; implicit-def: $vgpr2
	s_branch .LBB330_78
.LBB330_76:
	v_mov_b32_e32 v0, 0
	v_mov_b32_e32 v4, 0
	;; [unrolled: 1-line block ×3, first 2 shown]
.LBB330_77:
	s_cbranch_execnz .LBB330_80
.LBB330_78:
	v_mul_hi_u32 v0, s9, v31
	s_andn2_b64 vcc, exec, s[26:27]
	v_add_u32_e32 v0, v31, v0
	v_lshrrev_b32_e32 v1, s10, v0
	v_mul_lo_u32 v0, v1, s8
	v_sub_u32_e32 v2, v31, v0
	v_mul_lo_u32 v0, v2, s4
	v_mul_lo_u32 v4, v2, s5
	;; [unrolled: 1-line block ×3, first 2 shown]
	s_cbranch_vccnz .LBB330_80
; %bb.79:
	v_mul_hi_u32 v3, s24, v1
	v_add_u32_e32 v3, v1, v3
	v_lshrrev_b32_e32 v3, s25, v3
	v_mul_lo_u32 v3, v3, s11
	v_sub_u32_e32 v3, v1, v3
	v_mad_u64_u32 v[0:1], s[34:35], v3, s7, v[0:1]
	v_mad_u64_u32 v[4:5], s[34:35], v3, s22, v[4:5]
	;; [unrolled: 1-line block ×3, first 2 shown]
.LBB330_80:
	global_load_ushort v1, v4, s[2:3]
	global_load_ushort v3, v2, s[18:19]
	v_add_u32_e32 v31, 0x80, v31
	s_waitcnt vmcnt(0)
	v_cmp_ne_u16_e32 vcc, v1, v3
	s_xor_b64 s[34:35], s[20:21], vcc
	v_cndmask_b32_e64 v1, 0, 1, s[34:35]
	global_store_byte v0, v1, s[0:1]
	s_or_b64 exec, exec, s[30:31]
	v_cmp_gt_i32_e32 vcc, s38, v31
	s_and_saveexec_b64 s[30:31], vcc
	s_cbranch_execz .LBB330_8
.LBB330_81:
	s_andn2_b64 vcc, exec, s[14:15]
	s_cbranch_vccnz .LBB330_87
; %bb.82:
	s_andn2_b64 vcc, exec, s[28:29]
	s_cbranch_vccnz .LBB330_88
; %bb.83:
	s_add_i32 s34, s37, 1
	s_and_b32 s39, s34, 30
	s_add_u32 s34, s12, 0xffffffe8
	s_addc_u32 s35, s13, -1
	v_mov_b32_e32 v2, 0
	v_mov_b32_e32 v4, 0
	;; [unrolled: 1-line block ×4, first 2 shown]
.LBB330_84:                             ; =>This Inner Loop Header: Depth=1
	s_load_dwordx4 s[40:43], s[34:35], 0x1c
	s_load_dwordx2 s[48:49], s[34:35], 0x2c
	s_load_dwordx2 s[50:51], s[34:35], 0xec
	s_load_dwordx4 s[44:47], s[34:35], 0xdc
	s_add_u32 s34, s34, 24
	s_waitcnt lgkmcnt(0)
	v_mul_hi_u32 v3, s41, v1
	s_addc_u32 s35, s35, 0
	s_add_i32 s39, s39, -2
	s_cmp_eq_u32 s39, 0
	v_add_u32_e32 v3, v1, v3
	v_lshrrev_b32_e32 v3, s42, v3
	v_mul_lo_u32 v5, v3, s40
	v_mul_hi_u32 v6, s48, v3
	v_sub_u32_e32 v5, v1, v5
	v_add_u32_e32 v1, v3, v6
	v_lshrrev_b32_e32 v1, s49, v1
	v_mul_lo_u32 v8, v1, s43
	v_mul_lo_u32 v6, v5, s44
	;; [unrolled: 1-line block ×4, first 2 shown]
	v_sub_u32_e32 v3, v3, v8
	v_mul_lo_u32 v8, v3, s47
	v_mul_lo_u32 v9, v3, s50
	;; [unrolled: 1-line block ×3, first 2 shown]
	v_add3_u32 v0, v6, v0, v8
	v_add3_u32 v4, v7, v4, v9
	;; [unrolled: 1-line block ×3, first 2 shown]
	s_cbranch_scc0 .LBB330_84
; %bb.85:
	s_bitcmp1_b32 s37, 0
	s_cselect_b64 s[40:41], -1, 0
	s_and_b64 vcc, exec, s[40:41]
	s_cbranch_vccnz .LBB330_89
; %bb.86:
	s_load_dwordx2 s[40:41], s[34:35], 0x1c
	s_load_dword s39, s[34:35], 0x24
	s_load_dwordx2 s[42:43], s[34:35], 0xdc
	s_waitcnt lgkmcnt(0)
	v_mul_hi_u32 v3, s41, v1
	v_add_u32_e32 v3, v1, v3
	v_lshrrev_b32_e32 v3, s39, v3
	v_mul_lo_u32 v3, v3, s40
	s_load_dword s39, s[34:35], 0xe4
	v_sub_u32_e32 v3, v1, v3
	v_mad_u64_u32 v[0:1], s[34:35], v3, s42, v[0:1]
	v_mad_u64_u32 v[4:5], s[34:35], v3, s43, v[4:5]
	s_waitcnt lgkmcnt(0)
	v_mad_u64_u32 v[2:3], s[34:35], v3, s39, v[2:3]
	s_branch .LBB330_89
.LBB330_87:
                                        ; implicit-def: $vgpr0
                                        ; implicit-def: $vgpr4
                                        ; implicit-def: $vgpr2
	s_branch .LBB330_90
.LBB330_88:
	v_mov_b32_e32 v0, 0
	v_mov_b32_e32 v4, 0
	;; [unrolled: 1-line block ×3, first 2 shown]
.LBB330_89:
	s_cbranch_execnz .LBB330_92
.LBB330_90:
	v_mul_hi_u32 v0, s9, v31
	s_andn2_b64 vcc, exec, s[26:27]
	v_add_u32_e32 v0, v31, v0
	v_lshrrev_b32_e32 v1, s10, v0
	v_mul_lo_u32 v0, v1, s8
	v_sub_u32_e32 v2, v31, v0
	v_mul_lo_u32 v0, v2, s4
	v_mul_lo_u32 v4, v2, s5
	;; [unrolled: 1-line block ×3, first 2 shown]
	s_cbranch_vccnz .LBB330_92
; %bb.91:
	v_mul_hi_u32 v3, s24, v1
	v_add_u32_e32 v3, v1, v3
	v_lshrrev_b32_e32 v3, s25, v3
	v_mul_lo_u32 v3, v3, s11
	v_sub_u32_e32 v3, v1, v3
	v_mad_u64_u32 v[0:1], s[34:35], v3, s7, v[0:1]
	v_mad_u64_u32 v[4:5], s[34:35], v3, s22, v[4:5]
	;; [unrolled: 1-line block ×3, first 2 shown]
.LBB330_92:
	global_load_ushort v1, v4, s[2:3]
	global_load_ushort v3, v2, s[18:19]
	v_add_u32_e32 v31, 0x80, v31
	s_waitcnt vmcnt(0)
	v_cmp_ne_u16_e32 vcc, v1, v3
	s_xor_b64 s[34:35], s[20:21], vcc
	v_cndmask_b32_e64 v1, 0, 1, s[34:35]
	global_store_byte v0, v1, s[0:1]
	s_or_b64 exec, exec, s[30:31]
	v_cmp_gt_i32_e32 vcc, s38, v31
	s_and_saveexec_b64 s[30:31], vcc
	s_cbranch_execz .LBB330_105
.LBB330_93:
	s_andn2_b64 vcc, exec, s[14:15]
	s_cbranch_vccnz .LBB330_99
; %bb.94:
	s_andn2_b64 vcc, exec, s[28:29]
	s_cbranch_vccnz .LBB330_100
; %bb.95:
	s_add_i32 s28, s37, 1
	s_and_b32 s34, s28, 30
	s_add_u32 s28, s12, 0xffffffe8
	s_addc_u32 s29, s13, -1
	v_mov_b32_e32 v4, 0
	v_mov_b32_e32 v2, 0
	;; [unrolled: 1-line block ×4, first 2 shown]
.LBB330_96:                             ; =>This Inner Loop Header: Depth=1
	s_load_dwordx4 s[40:43], s[28:29], 0x1c
	s_load_dwordx2 s[38:39], s[28:29], 0x2c
	s_load_dwordx2 s[48:49], s[28:29], 0xec
	s_load_dwordx4 s[44:47], s[28:29], 0xdc
	s_add_u32 s28, s28, 24
	s_waitcnt lgkmcnt(0)
	v_mul_hi_u32 v3, s41, v1
	s_addc_u32 s29, s29, 0
	s_add_i32 s34, s34, -2
	s_cmp_eq_u32 s34, 0
	v_add_u32_e32 v3, v1, v3
	v_lshrrev_b32_e32 v3, s42, v3
	v_mul_lo_u32 v5, v3, s40
	v_mul_hi_u32 v6, s38, v3
	v_sub_u32_e32 v5, v1, v5
	v_add_u32_e32 v1, v3, v6
	v_lshrrev_b32_e32 v1, s39, v1
	v_mul_lo_u32 v8, v1, s43
	v_mul_lo_u32 v6, v5, s44
	;; [unrolled: 1-line block ×4, first 2 shown]
	v_sub_u32_e32 v3, v3, v8
	v_mul_lo_u32 v8, v3, s47
	v_mul_lo_u32 v9, v3, s48
	;; [unrolled: 1-line block ×3, first 2 shown]
	v_add3_u32 v0, v6, v0, v8
	v_add3_u32 v2, v7, v2, v9
	v_add3_u32 v4, v5, v4, v3
	s_cbranch_scc0 .LBB330_96
; %bb.97:
	s_bitcmp1_b32 s37, 0
	s_cselect_b64 s[34:35], -1, 0
	s_and_b64 vcc, exec, s[34:35]
	s_cbranch_vccnz .LBB330_101
; %bb.98:
	s_load_dwordx2 s[34:35], s[28:29], 0x1c
	s_load_dword s37, s[28:29], 0x24
	s_load_dwordx2 s[38:39], s[28:29], 0xdc
	s_waitcnt lgkmcnt(0)
	v_mul_hi_u32 v3, s35, v1
	v_add_u32_e32 v3, v1, v3
	v_lshrrev_b32_e32 v3, s37, v3
	v_mul_lo_u32 v3, v3, s34
	s_load_dword s34, s[28:29], 0xe4
	v_sub_u32_e32 v5, v1, v3
	v_mad_u64_u32 v[0:1], s[28:29], v5, s38, v[0:1]
	v_mad_u64_u32 v[2:3], s[28:29], v5, s39, v[2:3]
	s_waitcnt lgkmcnt(0)
	v_mad_u64_u32 v[4:5], s[28:29], v5, s34, v[4:5]
	s_branch .LBB330_101
.LBB330_99:
                                        ; implicit-def: $vgpr0
                                        ; implicit-def: $vgpr2
                                        ; implicit-def: $vgpr4
	s_branch .LBB330_102
.LBB330_100:
	v_mov_b32_e32 v0, 0
	v_mov_b32_e32 v2, 0
	;; [unrolled: 1-line block ×3, first 2 shown]
.LBB330_101:
	s_cbranch_execnz .LBB330_104
.LBB330_102:
	v_mul_hi_u32 v0, s9, v31
	s_andn2_b64 vcc, exec, s[26:27]
	v_add_u32_e32 v0, v31, v0
	v_lshrrev_b32_e32 v1, s10, v0
	v_mul_lo_u32 v0, v1, s8
	v_sub_u32_e32 v3, v31, v0
	v_mul_lo_u32 v0, v3, s4
	v_mul_lo_u32 v2, v3, s5
	;; [unrolled: 1-line block ×3, first 2 shown]
	s_cbranch_vccnz .LBB330_104
; %bb.103:
	v_mul_hi_u32 v3, s24, v1
	v_add_u32_e32 v3, v1, v3
	v_lshrrev_b32_e32 v3, s25, v3
	v_mul_lo_u32 v3, v3, s11
	v_sub_u32_e32 v5, v1, v3
	v_mad_u64_u32 v[0:1], s[4:5], v5, s7, v[0:1]
	v_mad_u64_u32 v[2:3], s[4:5], v5, s22, v[2:3]
	;; [unrolled: 1-line block ×3, first 2 shown]
.LBB330_104:
	global_load_ushort v1, v2, s[2:3]
	global_load_ushort v3, v4, s[18:19]
	s_waitcnt vmcnt(0)
	v_cmp_ne_u16_e32 vcc, v1, v3
	s_xor_b64 s[2:3], s[20:21], vcc
	v_cndmask_b32_e64 v1, 0, 1, s[2:3]
	global_store_byte v0, v1, s[0:1]
.LBB330_105:
	s_or_b64 exec, exec, s[30:31]
                                        ; implicit-def: $vgpr41
                                        ; implicit-def: $vgpr31
.LBB330_106:
	s_andn2_saveexec_b64 s[0:1], s[16:17]
	s_cbranch_execz .LBB330_113
; %bb.107:
	v_cndmask_b32_e64 v0, 0, 1, s[14:15]
	v_cmp_ne_u32_e64 s[0:1], 1, v0
	s_andn2_b64 vcc, exec, s[14:15]
	s_cbranch_vccnz .LBB330_114
; %bb.108:
	s_cmp_lg_u32 s33, 0
	s_cbranch_scc0 .LBB330_115
; %bb.109:
	s_min_u32 s4, s36, 15
	s_add_i32 s2, s4, 1
	s_and_b32 s5, s2, 30
	s_add_u32 s2, s12, 0xffffffe8
	s_addc_u32 s3, s13, -1
	v_mov_b32_e32 v2, 0
	v_mov_b32_e32 v4, 0
	;; [unrolled: 1-line block ×4, first 2 shown]
.LBB330_110:                            ; =>This Inner Loop Header: Depth=1
	s_load_dwordx4 s[8:11], s[2:3], 0x1c
	s_load_dwordx2 s[6:7], s[2:3], 0x2c
	s_load_dwordx2 s[14:15], s[2:3], 0xec
	s_load_dwordx4 s[16:19], s[2:3], 0xdc
	s_add_u32 s2, s2, 24
	s_waitcnt lgkmcnt(0)
	v_mul_hi_u32 v3, s9, v1
	s_addc_u32 s3, s3, 0
	s_add_i32 s5, s5, -2
	s_cmp_lg_u32 s5, 0
	v_add_u32_e32 v3, v1, v3
	v_lshrrev_b32_e32 v3, s10, v3
	v_mul_lo_u32 v5, v3, s8
	v_mul_hi_u32 v6, s6, v3
	v_sub_u32_e32 v5, v1, v5
	v_add_u32_e32 v1, v3, v6
	v_lshrrev_b32_e32 v1, s7, v1
	v_mul_lo_u32 v8, v1, s11
	v_mul_lo_u32 v6, v5, s16
	;; [unrolled: 1-line block ×4, first 2 shown]
	v_sub_u32_e32 v3, v3, v8
	v_mul_lo_u32 v8, v3, s19
	v_mul_lo_u32 v9, v3, s14
	;; [unrolled: 1-line block ×3, first 2 shown]
	v_add3_u32 v0, v6, v0, v8
	v_add3_u32 v4, v7, v4, v9
	v_add3_u32 v2, v5, v2, v3
	s_cbranch_scc1 .LBB330_110
; %bb.111:
	s_bitcmp1_b32 s4, 0
	s_cselect_b64 s[4:5], -1, 0
	s_and_b64 vcc, exec, s[4:5]
	s_cbranch_vccnz .LBB330_116
; %bb.112:
	s_load_dwordx2 s[4:5], s[2:3], 0x1c
	s_load_dword s8, s[2:3], 0x24
	s_load_dwordx2 s[6:7], s[2:3], 0xdc
	s_waitcnt lgkmcnt(0)
	v_mul_hi_u32 v3, s5, v1
	v_add_u32_e32 v3, v1, v3
	v_lshrrev_b32_e32 v3, s8, v3
	v_mul_lo_u32 v3, v3, s4
	s_load_dword s4, s[2:3], 0xe4
	v_sub_u32_e32 v3, v1, v3
	v_mad_u64_u32 v[0:1], s[2:3], v3, s6, v[0:1]
	v_mad_u64_u32 v[4:5], s[2:3], v3, s7, v[4:5]
	s_waitcnt lgkmcnt(0)
	v_mad_u64_u32 v[2:3], s[2:3], v3, s4, v[2:3]
	s_cbranch_execz .LBB330_117
	s_branch .LBB330_119
.LBB330_113:
	s_endpgm
.LBB330_114:
                                        ; implicit-def: $vgpr0
                                        ; implicit-def: $vgpr4
                                        ; implicit-def: $vgpr2
	s_branch .LBB330_117
.LBB330_115:
	v_mov_b32_e32 v0, 0
	v_mov_b32_e32 v4, 0
	;; [unrolled: 1-line block ×3, first 2 shown]
.LBB330_116:
	s_cbranch_execnz .LBB330_119
.LBB330_117:
	s_load_dwordx4 s[4:7], s[12:13], 0x4
	s_load_dwordx4 s[8:11], s[12:13], 0xc4
	s_cmp_lt_u32 s33, 2
	s_waitcnt lgkmcnt(0)
	v_mul_hi_u32 v0, s5, v31
	v_add_u32_e32 v0, v31, v0
	v_lshrrev_b32_e32 v1, s6, v0
	v_mul_lo_u32 v0, v1, s4
	v_sub_u32_e32 v2, v31, v0
	v_mul_lo_u32 v0, v2, s8
	v_mul_lo_u32 v4, v2, s9
	;; [unrolled: 1-line block ×3, first 2 shown]
	s_cbranch_scc1 .LBB330_119
; %bb.118:
	s_load_dwordx4 s[4:7], s[12:13], 0x10
	s_load_dwordx4 s[8:11], s[12:13], 0xd0
	s_waitcnt lgkmcnt(0)
	v_mul_hi_u32 v3, s5, v1
	v_add_u32_e32 v3, v1, v3
	v_lshrrev_b32_e32 v3, s6, v3
	v_mul_lo_u32 v3, v3, s4
	v_sub_u32_e32 v3, v1, v3
	v_mad_u64_u32 v[0:1], s[2:3], v3, s8, v[0:1]
	v_mad_u64_u32 v[4:5], s[2:3], v3, s9, v[4:5]
	;; [unrolled: 1-line block ×3, first 2 shown]
.LBB330_119:
	s_and_b64 vcc, exec, s[0:1]
	v_add_u32_e32 v1, 0x80, v31
	s_cbranch_vccnz .LBB330_125
; %bb.120:
	s_cmp_lg_u32 s33, 0
	s_cbranch_scc0 .LBB330_126
; %bb.121:
	s_min_u32 s4, s36, 15
	s_add_i32 s2, s4, 1
	s_and_b32 s5, s2, 30
	s_add_u32 s2, s12, 0xffffffe8
	s_addc_u32 s3, s13, -1
	v_mov_b32_e32 v7, 0
	v_mov_b32_e32 v9, 0
	;; [unrolled: 1-line block ×4, first 2 shown]
.LBB330_122:                            ; =>This Inner Loop Header: Depth=1
	s_load_dwordx4 s[8:11], s[2:3], 0x1c
	s_load_dwordx2 s[6:7], s[2:3], 0x2c
	s_load_dwordx2 s[14:15], s[2:3], 0xec
	s_load_dwordx4 s[16:19], s[2:3], 0xdc
	s_add_u32 s2, s2, 24
	s_waitcnt lgkmcnt(0)
	v_mul_hi_u32 v6, s9, v3
	s_addc_u32 s3, s3, 0
	s_add_i32 s5, s5, -2
	s_cmp_lg_u32 s5, 0
	v_add_u32_e32 v6, v3, v6
	v_lshrrev_b32_e32 v6, s10, v6
	v_mul_lo_u32 v8, v6, s8
	v_mul_hi_u32 v10, s6, v6
	v_sub_u32_e32 v8, v3, v8
	v_add_u32_e32 v3, v6, v10
	v_lshrrev_b32_e32 v3, s7, v3
	v_mul_lo_u32 v12, v3, s11
	v_mul_lo_u32 v10, v8, s16
	;; [unrolled: 1-line block ×4, first 2 shown]
	v_sub_u32_e32 v6, v6, v12
	v_mul_lo_u32 v12, v6, s19
	v_mul_lo_u32 v13, v6, s14
	;; [unrolled: 1-line block ×3, first 2 shown]
	v_add3_u32 v5, v10, v5, v12
	v_add3_u32 v9, v11, v9, v13
	;; [unrolled: 1-line block ×3, first 2 shown]
	s_cbranch_scc1 .LBB330_122
; %bb.123:
	s_bitcmp1_b32 s4, 0
	s_cselect_b64 s[4:5], -1, 0
	s_and_b64 vcc, exec, s[4:5]
	s_cbranch_vccnz .LBB330_127
; %bb.124:
	s_load_dwordx2 s[4:5], s[2:3], 0x1c
	s_load_dword s8, s[2:3], 0x24
	s_load_dwordx2 s[6:7], s[2:3], 0xdc
	s_waitcnt lgkmcnt(0)
	v_mul_hi_u32 v6, s5, v3
	v_add_u32_e32 v6, v3, v6
	v_lshrrev_b32_e32 v6, s8, v6
	v_mul_lo_u32 v6, v6, s4
	s_load_dword s4, s[2:3], 0xe4
	v_sub_u32_e32 v3, v3, v6
	v_mad_u64_u32 v[5:6], s[2:3], v3, s6, v[5:6]
	v_mad_u64_u32 v[9:10], s[2:3], v3, s7, v[9:10]
	s_waitcnt lgkmcnt(0)
	v_mad_u64_u32 v[7:8], s[2:3], v3, s4, v[7:8]
	s_cbranch_execz .LBB330_128
	s_branch .LBB330_130
.LBB330_125:
                                        ; implicit-def: $vgpr5
                                        ; implicit-def: $vgpr9
                                        ; implicit-def: $vgpr7
	s_branch .LBB330_128
.LBB330_126:
	v_mov_b32_e32 v5, 0
	v_mov_b32_e32 v9, 0
	;; [unrolled: 1-line block ×3, first 2 shown]
.LBB330_127:
	s_cbranch_execnz .LBB330_130
.LBB330_128:
	s_load_dwordx4 s[4:7], s[12:13], 0x4
	s_load_dwordx4 s[8:11], s[12:13], 0xc4
	s_cmp_lt_u32 s33, 2
	s_waitcnt lgkmcnt(0)
	v_mul_hi_u32 v3, s5, v1
	v_add_u32_e32 v3, v1, v3
	v_lshrrev_b32_e32 v3, s6, v3
	v_mul_lo_u32 v5, v3, s4
	v_sub_u32_e32 v1, v1, v5
	v_mul_lo_u32 v5, v1, s8
	v_mul_lo_u32 v9, v1, s9
	v_mul_lo_u32 v7, v1, s10
	s_cbranch_scc1 .LBB330_130
; %bb.129:
	s_load_dwordx4 s[4:7], s[12:13], 0x10
	s_load_dwordx4 s[8:11], s[12:13], 0xd0
	s_waitcnt lgkmcnt(0)
	v_mul_hi_u32 v1, s5, v3
	v_add_u32_e32 v1, v3, v1
	v_lshrrev_b32_e32 v1, s6, v1
	v_mul_lo_u32 v1, v1, s4
	v_sub_u32_e32 v1, v3, v1
	v_mad_u64_u32 v[5:6], s[2:3], v1, s8, v[5:6]
	v_mad_u64_u32 v[9:10], s[2:3], v1, s9, v[9:10]
	;; [unrolled: 1-line block ×3, first 2 shown]
.LBB330_130:
	s_and_b64 vcc, exec, s[0:1]
	v_add_u32_e32 v1, 0x100, v31
	s_cbranch_vccnz .LBB330_136
; %bb.131:
	s_cmp_lg_u32 s33, 0
	s_cbranch_scc0 .LBB330_137
; %bb.132:
	s_min_u32 s4, s36, 15
	s_add_i32 s2, s4, 1
	s_and_b32 s5, s2, 30
	s_add_u32 s2, s12, 0xffffffe8
	s_addc_u32 s3, s13, -1
	v_mov_b32_e32 v12, 0
	v_mov_b32_e32 v14, 0
	;; [unrolled: 1-line block ×4, first 2 shown]
.LBB330_133:                            ; =>This Inner Loop Header: Depth=1
	s_load_dwordx4 s[8:11], s[2:3], 0x1c
	s_load_dwordx2 s[6:7], s[2:3], 0x2c
	s_load_dwordx2 s[14:15], s[2:3], 0xec
	s_load_dwordx4 s[16:19], s[2:3], 0xdc
	s_add_u32 s2, s2, 24
	s_waitcnt lgkmcnt(0)
	v_mul_hi_u32 v6, s9, v3
	s_addc_u32 s3, s3, 0
	s_add_i32 s5, s5, -2
	s_cmp_lg_u32 s5, 0
	v_add_u32_e32 v6, v3, v6
	v_lshrrev_b32_e32 v6, s10, v6
	v_mul_lo_u32 v8, v6, s8
	v_mul_hi_u32 v11, s6, v6
	v_sub_u32_e32 v8, v3, v8
	v_add_u32_e32 v3, v6, v11
	v_lshrrev_b32_e32 v3, s7, v3
	v_mul_lo_u32 v15, v3, s11
	v_mul_lo_u32 v11, v8, s16
	;; [unrolled: 1-line block ×4, first 2 shown]
	v_sub_u32_e32 v6, v6, v15
	v_mul_lo_u32 v15, v6, s19
	v_mul_lo_u32 v16, v6, s14
	v_mul_lo_u32 v6, v6, s15
	v_add3_u32 v10, v11, v10, v15
	v_add3_u32 v14, v13, v14, v16
	v_add3_u32 v12, v8, v12, v6
	s_cbranch_scc1 .LBB330_133
; %bb.134:
	s_bitcmp1_b32 s4, 0
	s_cselect_b64 s[4:5], -1, 0
	s_and_b64 vcc, exec, s[4:5]
	s_cbranch_vccnz .LBB330_138
; %bb.135:
	s_load_dwordx2 s[4:5], s[2:3], 0x1c
	s_load_dword s8, s[2:3], 0x24
	s_load_dwordx2 s[6:7], s[2:3], 0xdc
	s_waitcnt lgkmcnt(0)
	v_mul_hi_u32 v6, s5, v3
	v_add_u32_e32 v6, v3, v6
	v_lshrrev_b32_e32 v6, s8, v6
	v_mul_lo_u32 v6, v6, s4
	s_load_dword s4, s[2:3], 0xe4
	v_sub_u32_e32 v3, v3, v6
	v_mad_u64_u32 v[10:11], s[2:3], v3, s6, v[10:11]
	v_mad_u64_u32 v[14:15], s[2:3], v3, s7, v[14:15]
	s_waitcnt lgkmcnt(0)
	v_mad_u64_u32 v[12:13], s[2:3], v3, s4, v[12:13]
	s_cbranch_execz .LBB330_139
	s_branch .LBB330_141
.LBB330_136:
                                        ; implicit-def: $vgpr10
                                        ; implicit-def: $vgpr14
                                        ; implicit-def: $vgpr12
	s_branch .LBB330_139
.LBB330_137:
	v_mov_b32_e32 v10, 0
	v_mov_b32_e32 v14, 0
	;; [unrolled: 1-line block ×3, first 2 shown]
.LBB330_138:
	s_cbranch_execnz .LBB330_141
.LBB330_139:
	s_load_dwordx4 s[4:7], s[12:13], 0x4
	s_load_dwordx4 s[8:11], s[12:13], 0xc4
	s_cmp_lt_u32 s33, 2
	s_waitcnt lgkmcnt(0)
	v_mul_hi_u32 v3, s5, v1
	v_add_u32_e32 v3, v1, v3
	v_lshrrev_b32_e32 v3, s6, v3
	v_mul_lo_u32 v6, v3, s4
	v_sub_u32_e32 v1, v1, v6
	v_mul_lo_u32 v10, v1, s8
	v_mul_lo_u32 v14, v1, s9
	v_mul_lo_u32 v12, v1, s10
	s_cbranch_scc1 .LBB330_141
; %bb.140:
	s_load_dwordx4 s[4:7], s[12:13], 0x10
	s_load_dwordx4 s[8:11], s[12:13], 0xd0
	s_waitcnt lgkmcnt(0)
	v_mul_hi_u32 v1, s5, v3
	v_add_u32_e32 v1, v3, v1
	v_lshrrev_b32_e32 v1, s6, v1
	v_mul_lo_u32 v1, v1, s4
	v_sub_u32_e32 v1, v3, v1
	v_mad_u64_u32 v[10:11], s[2:3], v1, s8, v[10:11]
	v_mad_u64_u32 v[14:15], s[2:3], v1, s9, v[14:15]
	;; [unrolled: 1-line block ×3, first 2 shown]
.LBB330_141:
	s_and_b64 vcc, exec, s[0:1]
	v_add_u32_e32 v1, 0x180, v31
	s_cbranch_vccnz .LBB330_147
; %bb.142:
	s_cmp_lg_u32 s33, 0
	s_cbranch_scc0 .LBB330_148
; %bb.143:
	s_min_u32 s4, s36, 15
	s_add_i32 s2, s4, 1
	s_and_b32 s5, s2, 30
	s_add_u32 s2, s12, 0xffffffe8
	s_addc_u32 s3, s13, -1
	v_mov_b32_e32 v17, 0
	v_mov_b32_e32 v19, 0
	v_mov_b32_e32 v15, 0
	v_mov_b32_e32 v3, v1
.LBB330_144:                            ; =>This Inner Loop Header: Depth=1
	s_load_dwordx4 s[8:11], s[2:3], 0x1c
	s_load_dwordx2 s[6:7], s[2:3], 0x2c
	s_load_dwordx2 s[14:15], s[2:3], 0xec
	s_load_dwordx4 s[16:19], s[2:3], 0xdc
	s_add_u32 s2, s2, 24
	s_waitcnt lgkmcnt(0)
	v_mul_hi_u32 v6, s9, v3
	s_addc_u32 s3, s3, 0
	s_add_i32 s5, s5, -2
	s_cmp_lg_u32 s5, 0
	v_add_u32_e32 v6, v3, v6
	v_lshrrev_b32_e32 v6, s10, v6
	v_mul_lo_u32 v8, v6, s8
	v_mul_hi_u32 v11, s6, v6
	v_sub_u32_e32 v8, v3, v8
	v_add_u32_e32 v3, v6, v11
	v_lshrrev_b32_e32 v3, s7, v3
	v_mul_lo_u32 v16, v3, s11
	v_mul_lo_u32 v11, v8, s16
	;; [unrolled: 1-line block ×4, first 2 shown]
	v_sub_u32_e32 v6, v6, v16
	v_mul_lo_u32 v16, v6, s19
	v_mul_lo_u32 v18, v6, s14
	;; [unrolled: 1-line block ×3, first 2 shown]
	v_add3_u32 v15, v11, v15, v16
	v_add3_u32 v19, v13, v19, v18
	;; [unrolled: 1-line block ×3, first 2 shown]
	s_cbranch_scc1 .LBB330_144
; %bb.145:
	s_bitcmp1_b32 s4, 0
	s_cselect_b64 s[4:5], -1, 0
	s_and_b64 vcc, exec, s[4:5]
	s_cbranch_vccnz .LBB330_149
; %bb.146:
	s_load_dwordx2 s[4:5], s[2:3], 0x1c
	s_load_dword s8, s[2:3], 0x24
	s_load_dwordx2 s[6:7], s[2:3], 0xdc
	s_waitcnt lgkmcnt(0)
	v_mul_hi_u32 v6, s5, v3
	v_add_u32_e32 v6, v3, v6
	v_lshrrev_b32_e32 v6, s8, v6
	v_mul_lo_u32 v6, v6, s4
	s_load_dword s4, s[2:3], 0xe4
	v_sub_u32_e32 v3, v3, v6
	v_mad_u64_u32 v[15:16], s[2:3], v3, s6, v[15:16]
	v_mad_u64_u32 v[19:20], s[2:3], v3, s7, v[19:20]
	s_waitcnt lgkmcnt(0)
	v_mad_u64_u32 v[17:18], s[2:3], v3, s4, v[17:18]
	s_cbranch_execz .LBB330_150
	s_branch .LBB330_152
.LBB330_147:
                                        ; implicit-def: $vgpr15
                                        ; implicit-def: $vgpr19
                                        ; implicit-def: $vgpr17
	s_branch .LBB330_150
.LBB330_148:
	v_mov_b32_e32 v15, 0
	v_mov_b32_e32 v19, 0
	;; [unrolled: 1-line block ×3, first 2 shown]
.LBB330_149:
	s_cbranch_execnz .LBB330_152
.LBB330_150:
	s_load_dwordx4 s[4:7], s[12:13], 0x4
	s_load_dwordx4 s[8:11], s[12:13], 0xc4
	s_cmp_lt_u32 s33, 2
	s_waitcnt lgkmcnt(0)
	v_mul_hi_u32 v3, s5, v1
	v_add_u32_e32 v3, v1, v3
	v_lshrrev_b32_e32 v3, s6, v3
	v_mul_lo_u32 v6, v3, s4
	v_sub_u32_e32 v1, v1, v6
	v_mul_lo_u32 v15, v1, s8
	v_mul_lo_u32 v19, v1, s9
	;; [unrolled: 1-line block ×3, first 2 shown]
	s_cbranch_scc1 .LBB330_152
; %bb.151:
	s_load_dwordx4 s[4:7], s[12:13], 0x10
	s_load_dwordx4 s[8:11], s[12:13], 0xd0
	s_waitcnt lgkmcnt(0)
	v_mul_hi_u32 v1, s5, v3
	v_add_u32_e32 v1, v3, v1
	v_lshrrev_b32_e32 v1, s6, v1
	v_mul_lo_u32 v1, v1, s4
	v_sub_u32_e32 v1, v3, v1
	v_mad_u64_u32 v[15:16], s[2:3], v1, s8, v[15:16]
	v_mad_u64_u32 v[19:20], s[2:3], v1, s9, v[19:20]
	;; [unrolled: 1-line block ×3, first 2 shown]
.LBB330_152:
	s_and_b64 vcc, exec, s[0:1]
	v_add_u32_e32 v1, 0x200, v31
	s_cbranch_vccnz .LBB330_158
; %bb.153:
	s_cmp_lg_u32 s33, 0
	s_cbranch_scc0 .LBB330_159
; %bb.154:
	s_min_u32 s4, s36, 15
	s_add_i32 s2, s4, 1
	s_and_b32 s5, s2, 30
	s_add_u32 s2, s12, 0xffffffe8
	s_addc_u32 s3, s13, -1
	v_mov_b32_e32 v22, 0
	v_mov_b32_e32 v24, 0
	;; [unrolled: 1-line block ×4, first 2 shown]
.LBB330_155:                            ; =>This Inner Loop Header: Depth=1
	s_load_dwordx4 s[8:11], s[2:3], 0x1c
	s_load_dwordx2 s[6:7], s[2:3], 0x2c
	s_load_dwordx2 s[14:15], s[2:3], 0xec
	s_load_dwordx4 s[16:19], s[2:3], 0xdc
	s_add_u32 s2, s2, 24
	s_waitcnt lgkmcnt(0)
	v_mul_hi_u32 v6, s9, v3
	s_addc_u32 s3, s3, 0
	s_add_i32 s5, s5, -2
	s_cmp_lg_u32 s5, 0
	v_add_u32_e32 v6, v3, v6
	v_lshrrev_b32_e32 v6, s10, v6
	v_mul_lo_u32 v8, v6, s8
	v_mul_hi_u32 v11, s6, v6
	v_sub_u32_e32 v8, v3, v8
	v_add_u32_e32 v3, v6, v11
	v_lshrrev_b32_e32 v3, s7, v3
	v_mul_lo_u32 v16, v3, s11
	v_mul_lo_u32 v11, v8, s16
	;; [unrolled: 1-line block ×4, first 2 shown]
	v_sub_u32_e32 v6, v6, v16
	v_mul_lo_u32 v16, v6, s19
	v_mul_lo_u32 v18, v6, s14
	;; [unrolled: 1-line block ×3, first 2 shown]
	v_add3_u32 v20, v11, v20, v16
	v_add3_u32 v24, v13, v24, v18
	;; [unrolled: 1-line block ×3, first 2 shown]
	s_cbranch_scc1 .LBB330_155
; %bb.156:
	s_bitcmp1_b32 s4, 0
	s_cselect_b64 s[4:5], -1, 0
	s_and_b64 vcc, exec, s[4:5]
	s_cbranch_vccnz .LBB330_160
; %bb.157:
	s_load_dwordx2 s[4:5], s[2:3], 0x1c
	s_load_dword s8, s[2:3], 0x24
	s_load_dwordx2 s[6:7], s[2:3], 0xdc
	s_waitcnt lgkmcnt(0)
	v_mul_hi_u32 v6, s5, v3
	v_add_u32_e32 v6, v3, v6
	v_lshrrev_b32_e32 v6, s8, v6
	v_mul_lo_u32 v6, v6, s4
	s_load_dword s4, s[2:3], 0xe4
	v_sub_u32_e32 v3, v3, v6
	v_mad_u64_u32 v[20:21], s[2:3], v3, s6, v[20:21]
	v_mad_u64_u32 v[24:25], s[2:3], v3, s7, v[24:25]
	s_waitcnt lgkmcnt(0)
	v_mad_u64_u32 v[22:23], s[2:3], v3, s4, v[22:23]
	s_cbranch_execz .LBB330_161
	s_branch .LBB330_163
.LBB330_158:
                                        ; implicit-def: $vgpr20
                                        ; implicit-def: $vgpr24
                                        ; implicit-def: $vgpr22
	s_branch .LBB330_161
.LBB330_159:
	v_mov_b32_e32 v20, 0
	v_mov_b32_e32 v24, 0
	;; [unrolled: 1-line block ×3, first 2 shown]
.LBB330_160:
	s_cbranch_execnz .LBB330_163
.LBB330_161:
	s_load_dwordx4 s[4:7], s[12:13], 0x4
	s_load_dwordx4 s[8:11], s[12:13], 0xc4
	s_cmp_lt_u32 s33, 2
	s_waitcnt lgkmcnt(0)
	v_mul_hi_u32 v3, s5, v1
	v_add_u32_e32 v3, v1, v3
	v_lshrrev_b32_e32 v3, s6, v3
	v_mul_lo_u32 v6, v3, s4
	v_sub_u32_e32 v1, v1, v6
	v_mul_lo_u32 v20, v1, s8
	v_mul_lo_u32 v24, v1, s9
	;; [unrolled: 1-line block ×3, first 2 shown]
	s_cbranch_scc1 .LBB330_163
; %bb.162:
	s_load_dwordx4 s[4:7], s[12:13], 0x10
	s_load_dwordx4 s[8:11], s[12:13], 0xd0
	s_waitcnt lgkmcnt(0)
	v_mul_hi_u32 v1, s5, v3
	v_add_u32_e32 v1, v3, v1
	v_lshrrev_b32_e32 v1, s6, v1
	v_mul_lo_u32 v1, v1, s4
	v_sub_u32_e32 v1, v3, v1
	v_mad_u64_u32 v[20:21], s[2:3], v1, s8, v[20:21]
	v_mad_u64_u32 v[24:25], s[2:3], v1, s9, v[24:25]
	;; [unrolled: 1-line block ×3, first 2 shown]
.LBB330_163:
	s_and_b64 vcc, exec, s[0:1]
	v_add_u32_e32 v1, 0x280, v31
	s_cbranch_vccnz .LBB330_169
; %bb.164:
	s_cmp_lg_u32 s33, 0
	s_cbranch_scc0 .LBB330_170
; %bb.165:
	s_min_u32 s4, s36, 15
	s_add_i32 s2, s4, 1
	s_and_b32 s5, s2, 30
	s_add_u32 s2, s12, 0xffffffe8
	s_addc_u32 s3, s13, -1
	v_mov_b32_e32 v27, 0
	v_mov_b32_e32 v29, 0
	;; [unrolled: 1-line block ×4, first 2 shown]
.LBB330_166:                            ; =>This Inner Loop Header: Depth=1
	s_load_dwordx4 s[8:11], s[2:3], 0x1c
	s_load_dwordx2 s[6:7], s[2:3], 0x2c
	s_load_dwordx2 s[14:15], s[2:3], 0xec
	s_load_dwordx4 s[16:19], s[2:3], 0xdc
	s_add_u32 s2, s2, 24
	s_waitcnt lgkmcnt(0)
	v_mul_hi_u32 v6, s9, v3
	s_addc_u32 s3, s3, 0
	s_add_i32 s5, s5, -2
	s_cmp_lg_u32 s5, 0
	v_add_u32_e32 v6, v3, v6
	v_lshrrev_b32_e32 v6, s10, v6
	v_mul_lo_u32 v8, v6, s8
	v_mul_hi_u32 v11, s6, v6
	v_sub_u32_e32 v8, v3, v8
	v_add_u32_e32 v3, v6, v11
	v_lshrrev_b32_e32 v3, s7, v3
	v_mul_lo_u32 v16, v3, s11
	v_mul_lo_u32 v11, v8, s16
	;; [unrolled: 1-line block ×4, first 2 shown]
	v_sub_u32_e32 v6, v6, v16
	v_mul_lo_u32 v16, v6, s19
	v_mul_lo_u32 v18, v6, s14
	;; [unrolled: 1-line block ×3, first 2 shown]
	v_add3_u32 v25, v11, v25, v16
	v_add3_u32 v29, v13, v29, v18
	;; [unrolled: 1-line block ×3, first 2 shown]
	s_cbranch_scc1 .LBB330_166
; %bb.167:
	s_bitcmp1_b32 s4, 0
	s_cselect_b64 s[4:5], -1, 0
	s_and_b64 vcc, exec, s[4:5]
	s_cbranch_vccnz .LBB330_171
; %bb.168:
	s_load_dwordx2 s[4:5], s[2:3], 0x1c
	s_load_dword s8, s[2:3], 0x24
	s_load_dwordx2 s[6:7], s[2:3], 0xdc
	s_waitcnt lgkmcnt(0)
	v_mul_hi_u32 v6, s5, v3
	v_add_u32_e32 v6, v3, v6
	v_lshrrev_b32_e32 v6, s8, v6
	v_mul_lo_u32 v6, v6, s4
	s_load_dword s4, s[2:3], 0xe4
	v_sub_u32_e32 v3, v3, v6
	v_mad_u64_u32 v[25:26], s[2:3], v3, s6, v[25:26]
	v_mad_u64_u32 v[29:30], s[2:3], v3, s7, v[29:30]
	s_waitcnt lgkmcnt(0)
	v_mad_u64_u32 v[27:28], s[2:3], v3, s4, v[27:28]
	s_cbranch_execz .LBB330_172
	s_branch .LBB330_174
.LBB330_169:
                                        ; implicit-def: $vgpr25
                                        ; implicit-def: $vgpr29
                                        ; implicit-def: $vgpr27
	s_branch .LBB330_172
.LBB330_170:
	v_mov_b32_e32 v25, 0
	v_mov_b32_e32 v29, 0
	;; [unrolled: 1-line block ×3, first 2 shown]
.LBB330_171:
	s_cbranch_execnz .LBB330_174
.LBB330_172:
	s_load_dwordx4 s[4:7], s[12:13], 0x4
	s_load_dwordx4 s[8:11], s[12:13], 0xc4
	s_cmp_lt_u32 s33, 2
	s_waitcnt lgkmcnt(0)
	v_mul_hi_u32 v3, s5, v1
	v_add_u32_e32 v3, v1, v3
	v_lshrrev_b32_e32 v3, s6, v3
	v_mul_lo_u32 v6, v3, s4
	v_sub_u32_e32 v1, v1, v6
	v_mul_lo_u32 v25, v1, s8
	v_mul_lo_u32 v29, v1, s9
	;; [unrolled: 1-line block ×3, first 2 shown]
	s_cbranch_scc1 .LBB330_174
; %bb.173:
	s_load_dwordx4 s[4:7], s[12:13], 0x10
	s_load_dwordx4 s[8:11], s[12:13], 0xd0
	s_waitcnt lgkmcnt(0)
	v_mul_hi_u32 v1, s5, v3
	v_add_u32_e32 v1, v3, v1
	v_lshrrev_b32_e32 v1, s6, v1
	v_mul_lo_u32 v1, v1, s4
	v_sub_u32_e32 v1, v3, v1
	v_mad_u64_u32 v[25:26], s[2:3], v1, s8, v[25:26]
	v_mad_u64_u32 v[29:30], s[2:3], v1, s9, v[29:30]
	;; [unrolled: 1-line block ×3, first 2 shown]
.LBB330_174:
	s_and_b64 vcc, exec, s[0:1]
	v_add_u32_e32 v1, 0x300, v31
	s_cbranch_vccnz .LBB330_180
; %bb.175:
	s_cmp_lg_u32 s33, 0
	s_cbranch_scc0 .LBB330_181
; %bb.176:
	s_min_u32 s4, s36, 15
	s_add_i32 s2, s4, 1
	s_and_b32 s5, s2, 30
	s_add_u32 s2, s12, 0xffffffe8
	s_addc_u32 s3, s13, -1
	v_mov_b32_e32 v34, 0
	v_mov_b32_e32 v32, 0
	;; [unrolled: 1-line block ×4, first 2 shown]
.LBB330_177:                            ; =>This Inner Loop Header: Depth=1
	s_load_dwordx4 s[8:11], s[2:3], 0x1c
	s_load_dwordx2 s[6:7], s[2:3], 0x2c
	s_load_dwordx2 s[14:15], s[2:3], 0xec
	s_load_dwordx4 s[16:19], s[2:3], 0xdc
	s_add_u32 s2, s2, 24
	s_waitcnt lgkmcnt(0)
	v_mul_hi_u32 v6, s9, v3
	s_addc_u32 s3, s3, 0
	s_add_i32 s5, s5, -2
	s_cmp_lg_u32 s5, 0
	v_add_u32_e32 v6, v3, v6
	v_lshrrev_b32_e32 v6, s10, v6
	v_mul_lo_u32 v8, v6, s8
	v_mul_hi_u32 v11, s6, v6
	v_sub_u32_e32 v8, v3, v8
	v_add_u32_e32 v3, v6, v11
	v_lshrrev_b32_e32 v3, s7, v3
	v_mul_lo_u32 v16, v3, s11
	v_mul_lo_u32 v11, v8, s16
	;; [unrolled: 1-line block ×4, first 2 shown]
	v_sub_u32_e32 v6, v6, v16
	v_mul_lo_u32 v16, v6, s19
	v_mul_lo_u32 v18, v6, s14
	;; [unrolled: 1-line block ×3, first 2 shown]
	v_add3_u32 v30, v11, v30, v16
	v_add3_u32 v32, v13, v32, v18
	v_add3_u32 v34, v8, v34, v6
	s_cbranch_scc1 .LBB330_177
; %bb.178:
	s_bitcmp1_b32 s4, 0
	s_cselect_b64 s[4:5], -1, 0
	s_and_b64 vcc, exec, s[4:5]
	s_cbranch_vccnz .LBB330_182
; %bb.179:
	s_load_dwordx2 s[4:5], s[2:3], 0x1c
	s_load_dword s8, s[2:3], 0x24
	s_load_dwordx2 s[6:7], s[2:3], 0xdc
	s_waitcnt lgkmcnt(0)
	v_mul_hi_u32 v6, s5, v3
	v_add_u32_e32 v6, v3, v6
	v_lshrrev_b32_e32 v6, s8, v6
	v_mul_lo_u32 v6, v6, s4
	s_load_dword s4, s[2:3], 0xe4
	v_sub_u32_e32 v3, v3, v6
	v_mad_u64_u32 v[30:31], s[2:3], v3, s6, v[30:31]
	v_mad_u64_u32 v[32:33], s[2:3], v3, s7, v[32:33]
	s_waitcnt lgkmcnt(0)
	v_mad_u64_u32 v[34:35], s[2:3], v3, s4, v[34:35]
	s_cbranch_execz .LBB330_183
	s_branch .LBB330_185
.LBB330_180:
                                        ; implicit-def: $vgpr30
                                        ; implicit-def: $vgpr32
                                        ; implicit-def: $vgpr34
	s_branch .LBB330_183
.LBB330_181:
	v_mov_b32_e32 v30, 0
	v_mov_b32_e32 v32, 0
	;; [unrolled: 1-line block ×3, first 2 shown]
.LBB330_182:
	s_cbranch_execnz .LBB330_185
.LBB330_183:
	s_load_dwordx4 s[4:7], s[12:13], 0x4
	s_load_dwordx4 s[8:11], s[12:13], 0xc4
	s_cmp_lt_u32 s33, 2
	s_waitcnt lgkmcnt(0)
	v_mul_hi_u32 v3, s5, v1
	v_add_u32_e32 v3, v1, v3
	v_lshrrev_b32_e32 v3, s6, v3
	v_mul_lo_u32 v6, v3, s4
	v_sub_u32_e32 v1, v1, v6
	v_mul_lo_u32 v30, v1, s8
	v_mul_lo_u32 v32, v1, s9
	;; [unrolled: 1-line block ×3, first 2 shown]
	s_cbranch_scc1 .LBB330_185
; %bb.184:
	s_load_dwordx4 s[4:7], s[12:13], 0x10
	s_load_dwordx4 s[8:11], s[12:13], 0xd0
	s_waitcnt lgkmcnt(0)
	v_mul_hi_u32 v1, s5, v3
	v_add_u32_e32 v1, v3, v1
	v_lshrrev_b32_e32 v1, s6, v1
	v_mul_lo_u32 v1, v1, s4
	v_sub_u32_e32 v1, v3, v1
	v_mad_u64_u32 v[30:31], s[2:3], v1, s8, v[30:31]
	v_mad_u64_u32 v[32:33], s[2:3], v1, s9, v[32:33]
	;; [unrolled: 1-line block ×3, first 2 shown]
.LBB330_185:
	s_and_b64 vcc, exec, s[0:1]
	s_cbranch_vccnz .LBB330_191
; %bb.186:
	s_cmp_lg_u32 s33, 0
	s_cbranch_scc0 .LBB330_192
; %bb.187:
	s_min_u32 s2, s36, 15
	s_add_i32 s0, s2, 1
	s_and_b32 s3, s0, 30
	s_add_u32 s0, s12, 0xffffffe8
	s_addc_u32 s1, s13, -1
	v_mov_b32_e32 v39, 0
	v_mov_b32_e32 v37, 0
	;; [unrolled: 1-line block ×4, first 2 shown]
.LBB330_188:                            ; =>This Inner Loop Header: Depth=1
	s_load_dwordx4 s[4:7], s[0:1], 0x1c
	s_load_dwordx2 s[14:15], s[0:1], 0x2c
	s_load_dwordx2 s[16:17], s[0:1], 0xec
	s_load_dwordx4 s[8:11], s[0:1], 0xdc
	s_add_u32 s0, s0, 24
	s_waitcnt lgkmcnt(0)
	v_mul_hi_u32 v3, s5, v1
	s_addc_u32 s1, s1, 0
	s_add_i32 s3, s3, -2
	s_cmp_lg_u32 s3, 0
	v_add_u32_e32 v3, v1, v3
	v_lshrrev_b32_e32 v3, s6, v3
	v_mul_lo_u32 v6, v3, s4
	v_mul_hi_u32 v8, s14, v3
	v_sub_u32_e32 v6, v1, v6
	v_add_u32_e32 v1, v3, v8
	v_lshrrev_b32_e32 v1, s15, v1
	v_mul_lo_u32 v13, v1, s7
	v_mul_lo_u32 v8, v6, s8
	;; [unrolled: 1-line block ×4, first 2 shown]
	v_sub_u32_e32 v3, v3, v13
	v_mul_lo_u32 v13, v3, s11
	v_mul_lo_u32 v16, v3, s16
	;; [unrolled: 1-line block ×3, first 2 shown]
	v_add3_u32 v35, v8, v35, v13
	v_add3_u32 v37, v11, v37, v16
	;; [unrolled: 1-line block ×3, first 2 shown]
	s_cbranch_scc1 .LBB330_188
; %bb.189:
	s_bitcmp1_b32 s2, 0
	s_cselect_b64 s[2:3], -1, 0
	s_and_b64 vcc, exec, s[2:3]
	s_cbranch_vccnz .LBB330_193
; %bb.190:
	s_load_dwordx2 s[2:3], s[0:1], 0x1c
	s_load_dword s6, s[0:1], 0x24
	s_load_dwordx2 s[4:5], s[0:1], 0xdc
	s_waitcnt lgkmcnt(0)
	v_mul_hi_u32 v3, s3, v1
	v_add_u32_e32 v3, v1, v3
	v_lshrrev_b32_e32 v3, s6, v3
	v_mul_lo_u32 v3, v3, s2
	s_load_dword s2, s[0:1], 0xe4
	v_sub_u32_e32 v1, v1, v3
	v_mad_u64_u32 v[35:36], s[0:1], v1, s4, v[35:36]
	v_mad_u64_u32 v[37:38], s[0:1], v1, s5, v[37:38]
	s_waitcnt lgkmcnt(0)
	v_mad_u64_u32 v[39:40], s[0:1], v1, s2, v[39:40]
	s_cbranch_execz .LBB330_194
	s_branch .LBB330_196
.LBB330_191:
                                        ; implicit-def: $vgpr35
                                        ; implicit-def: $vgpr37
                                        ; implicit-def: $vgpr39
	s_branch .LBB330_194
.LBB330_192:
	v_mov_b32_e32 v35, 0
	v_mov_b32_e32 v37, 0
	;; [unrolled: 1-line block ×3, first 2 shown]
.LBB330_193:
	s_cbranch_execnz .LBB330_196
.LBB330_194:
	s_load_dwordx4 s[0:3], s[12:13], 0x4
	s_load_dwordx4 s[4:7], s[12:13], 0xc4
	s_cmp_lt_u32 s33, 2
	s_waitcnt lgkmcnt(0)
	v_mul_hi_u32 v1, s1, v41
	v_add_u32_e32 v1, v41, v1
	v_lshrrev_b32_e32 v1, s2, v1
	v_mul_lo_u32 v3, v1, s0
	v_sub_u32_e32 v3, v41, v3
	v_mul_lo_u32 v35, v3, s4
	v_mul_lo_u32 v37, v3, s5
	;; [unrolled: 1-line block ×3, first 2 shown]
	s_cbranch_scc1 .LBB330_196
; %bb.195:
	s_load_dwordx4 s[0:3], s[12:13], 0x10
	s_load_dwordx4 s[4:7], s[12:13], 0xd0
	s_waitcnt lgkmcnt(0)
	v_mul_hi_u32 v3, s1, v1
	v_add_u32_e32 v3, v1, v3
	v_lshrrev_b32_e32 v3, s2, v3
	v_mul_lo_u32 v3, v3, s0
	v_sub_u32_e32 v1, v1, v3
	v_mad_u64_u32 v[35:36], s[0:1], v1, s4, v[35:36]
	v_mad_u64_u32 v[37:38], s[0:1], v1, s5, v[37:38]
	;; [unrolled: 1-line block ×3, first 2 shown]
.LBB330_196:
	s_load_dwordx4 s[16:19], s[12:13], 0x188
	s_load_dwordx2 s[0:1], s[12:13], 0x198
	s_waitcnt lgkmcnt(0)
	global_load_ushort v1, v4, s[18:19]
	s_nop 0
	global_load_ushort v3, v2, s[0:1]
	global_load_ushort v6, v9, s[18:19]
	;; [unrolled: 1-line block ×7, first 2 shown]
                                        ; kill: killed $vgpr4
                                        ; kill: killed $vgpr9
                                        ; kill: killed $vgpr2
                                        ; kill: killed $vgpr14
                                        ; kill: killed $vgpr7
                                        ; kill: killed $vgpr19
                                        ; kill: killed $vgpr12
                                        ; kill: killed $vgpr17
	global_load_ushort v2, v24, s[18:19]
	global_load_ushort v4, v22, s[0:1]
	global_load_ushort v7, v29, s[18:19]
	global_load_ushort v9, v27, s[0:1]
	global_load_ushort v12, v32, s[18:19]
	global_load_ushort v14, v34, s[0:1]
	global_load_ushort v17, v37, s[18:19]
	global_load_ushort v19, v39, s[0:1]
	s_load_dword s0, s[12:13], 0x1a0
	s_waitcnt lgkmcnt(0)
	s_cmp_eq_u32 s0, 0
	s_cselect_b64 s[14:15], -1, 0
	s_waitcnt vmcnt(14)
	v_cmp_ne_u16_e32 vcc, v1, v3
	s_xor_b64 s[18:19], s[14:15], vcc
	s_waitcnt vmcnt(12)
	v_cmp_ne_u16_e64 s[0:1], v6, v8
	s_xor_b64 s[0:1], s[14:15], s[0:1]
	s_waitcnt vmcnt(10)
	v_cmp_ne_u16_e64 s[2:3], v11, v13
	v_cndmask_b32_e64 v1, 0, 1, s[18:19]
	s_waitcnt vmcnt(8)
	v_cmp_ne_u16_e64 s[4:5], v16, v18
	s_waitcnt vmcnt(6)
	v_cmp_ne_u16_e64 s[6:7], v2, v4
	v_cndmask_b32_e64 v2, 0, 1, s[0:1]
	s_xor_b64 s[0:1], s[14:15], s[2:3]
	v_cndmask_b32_e64 v3, 0, 1, s[0:1]
	s_xor_b64 s[0:1], s[14:15], s[4:5]
	s_waitcnt vmcnt(4)
	v_cmp_ne_u16_e64 s[8:9], v7, v9
	v_cndmask_b32_e64 v4, 0, 1, s[0:1]
	s_xor_b64 s[0:1], s[14:15], s[6:7]
	s_waitcnt vmcnt(2)
	v_cmp_ne_u16_e64 s[10:11], v12, v14
	;; [unrolled: 4-line block ×3, first 2 shown]
	v_cndmask_b32_e64 v7, 0, 1, s[0:1]
	s_xor_b64 s[0:1], s[14:15], s[10:11]
	v_cndmask_b32_e64 v8, 0, 1, s[0:1]
	s_xor_b64 s[0:1], s[14:15], s[12:13]
	v_cndmask_b32_e64 v9, 0, 1, s[0:1]
	global_store_byte v0, v1, s[16:17]
	global_store_byte v5, v2, s[16:17]
	global_store_byte v10, v3, s[16:17]
	global_store_byte v15, v4, s[16:17]
	global_store_byte v20, v6, s[16:17]
	global_store_byte v25, v7, s[16:17]
	global_store_byte v30, v8, s[16:17]
	global_store_byte v35, v9, s[16:17]
	s_endpgm
	.section	.rodata,"a",@progbits
	.p2align	6, 0x0
	.amdhsa_kernel _ZN2at6native32elementwise_kernel_manual_unrollILi128ELi8EZNS0_22gpu_kernel_impl_nocastINS0_13BinaryFunctorIttbNS0_12_GLOBAL__N_116CompareEqFunctorItEEEEEEvRNS_18TensorIteratorBaseERKT_EUlibE_EEviT1_
		.amdhsa_group_segment_fixed_size 0
		.amdhsa_private_segment_fixed_size 0
		.amdhsa_kernarg_size 432
		.amdhsa_user_sgpr_count 6
		.amdhsa_user_sgpr_private_segment_buffer 1
		.amdhsa_user_sgpr_dispatch_ptr 0
		.amdhsa_user_sgpr_queue_ptr 0
		.amdhsa_user_sgpr_kernarg_segment_ptr 1
		.amdhsa_user_sgpr_dispatch_id 0
		.amdhsa_user_sgpr_flat_scratch_init 0
		.amdhsa_user_sgpr_private_segment_size 0
		.amdhsa_uses_dynamic_stack 0
		.amdhsa_system_sgpr_private_segment_wavefront_offset 0
		.amdhsa_system_sgpr_workgroup_id_x 1
		.amdhsa_system_sgpr_workgroup_id_y 0
		.amdhsa_system_sgpr_workgroup_id_z 0
		.amdhsa_system_sgpr_workgroup_info 0
		.amdhsa_system_vgpr_workitem_id 0
		.amdhsa_next_free_vgpr 42
		.amdhsa_next_free_sgpr 52
		.amdhsa_reserve_vcc 1
		.amdhsa_reserve_flat_scratch 0
		.amdhsa_float_round_mode_32 0
		.amdhsa_float_round_mode_16_64 0
		.amdhsa_float_denorm_mode_32 3
		.amdhsa_float_denorm_mode_16_64 3
		.amdhsa_dx10_clamp 1
		.amdhsa_ieee_mode 1
		.amdhsa_fp16_overflow 0
		.amdhsa_exception_fp_ieee_invalid_op 0
		.amdhsa_exception_fp_denorm_src 0
		.amdhsa_exception_fp_ieee_div_zero 0
		.amdhsa_exception_fp_ieee_overflow 0
		.amdhsa_exception_fp_ieee_underflow 0
		.amdhsa_exception_fp_ieee_inexact 0
		.amdhsa_exception_int_div_zero 0
	.end_amdhsa_kernel
	.section	.text._ZN2at6native32elementwise_kernel_manual_unrollILi128ELi8EZNS0_22gpu_kernel_impl_nocastINS0_13BinaryFunctorIttbNS0_12_GLOBAL__N_116CompareEqFunctorItEEEEEEvRNS_18TensorIteratorBaseERKT_EUlibE_EEviT1_,"axG",@progbits,_ZN2at6native32elementwise_kernel_manual_unrollILi128ELi8EZNS0_22gpu_kernel_impl_nocastINS0_13BinaryFunctorIttbNS0_12_GLOBAL__N_116CompareEqFunctorItEEEEEEvRNS_18TensorIteratorBaseERKT_EUlibE_EEviT1_,comdat
.Lfunc_end330:
	.size	_ZN2at6native32elementwise_kernel_manual_unrollILi128ELi8EZNS0_22gpu_kernel_impl_nocastINS0_13BinaryFunctorIttbNS0_12_GLOBAL__N_116CompareEqFunctorItEEEEEEvRNS_18TensorIteratorBaseERKT_EUlibE_EEviT1_, .Lfunc_end330-_ZN2at6native32elementwise_kernel_manual_unrollILi128ELi8EZNS0_22gpu_kernel_impl_nocastINS0_13BinaryFunctorIttbNS0_12_GLOBAL__N_116CompareEqFunctorItEEEEEEvRNS_18TensorIteratorBaseERKT_EUlibE_EEviT1_
                                        ; -- End function
	.set _ZN2at6native32elementwise_kernel_manual_unrollILi128ELi8EZNS0_22gpu_kernel_impl_nocastINS0_13BinaryFunctorIttbNS0_12_GLOBAL__N_116CompareEqFunctorItEEEEEEvRNS_18TensorIteratorBaseERKT_EUlibE_EEviT1_.num_vgpr, 42
	.set _ZN2at6native32elementwise_kernel_manual_unrollILi128ELi8EZNS0_22gpu_kernel_impl_nocastINS0_13BinaryFunctorIttbNS0_12_GLOBAL__N_116CompareEqFunctorItEEEEEEvRNS_18TensorIteratorBaseERKT_EUlibE_EEviT1_.num_agpr, 0
	.set _ZN2at6native32elementwise_kernel_manual_unrollILi128ELi8EZNS0_22gpu_kernel_impl_nocastINS0_13BinaryFunctorIttbNS0_12_GLOBAL__N_116CompareEqFunctorItEEEEEEvRNS_18TensorIteratorBaseERKT_EUlibE_EEviT1_.numbered_sgpr, 52
	.set _ZN2at6native32elementwise_kernel_manual_unrollILi128ELi8EZNS0_22gpu_kernel_impl_nocastINS0_13BinaryFunctorIttbNS0_12_GLOBAL__N_116CompareEqFunctorItEEEEEEvRNS_18TensorIteratorBaseERKT_EUlibE_EEviT1_.num_named_barrier, 0
	.set _ZN2at6native32elementwise_kernel_manual_unrollILi128ELi8EZNS0_22gpu_kernel_impl_nocastINS0_13BinaryFunctorIttbNS0_12_GLOBAL__N_116CompareEqFunctorItEEEEEEvRNS_18TensorIteratorBaseERKT_EUlibE_EEviT1_.private_seg_size, 0
	.set _ZN2at6native32elementwise_kernel_manual_unrollILi128ELi8EZNS0_22gpu_kernel_impl_nocastINS0_13BinaryFunctorIttbNS0_12_GLOBAL__N_116CompareEqFunctorItEEEEEEvRNS_18TensorIteratorBaseERKT_EUlibE_EEviT1_.uses_vcc, 1
	.set _ZN2at6native32elementwise_kernel_manual_unrollILi128ELi8EZNS0_22gpu_kernel_impl_nocastINS0_13BinaryFunctorIttbNS0_12_GLOBAL__N_116CompareEqFunctorItEEEEEEvRNS_18TensorIteratorBaseERKT_EUlibE_EEviT1_.uses_flat_scratch, 0
	.set _ZN2at6native32elementwise_kernel_manual_unrollILi128ELi8EZNS0_22gpu_kernel_impl_nocastINS0_13BinaryFunctorIttbNS0_12_GLOBAL__N_116CompareEqFunctorItEEEEEEvRNS_18TensorIteratorBaseERKT_EUlibE_EEviT1_.has_dyn_sized_stack, 0
	.set _ZN2at6native32elementwise_kernel_manual_unrollILi128ELi8EZNS0_22gpu_kernel_impl_nocastINS0_13BinaryFunctorIttbNS0_12_GLOBAL__N_116CompareEqFunctorItEEEEEEvRNS_18TensorIteratorBaseERKT_EUlibE_EEviT1_.has_recursion, 0
	.set _ZN2at6native32elementwise_kernel_manual_unrollILi128ELi8EZNS0_22gpu_kernel_impl_nocastINS0_13BinaryFunctorIttbNS0_12_GLOBAL__N_116CompareEqFunctorItEEEEEEvRNS_18TensorIteratorBaseERKT_EUlibE_EEviT1_.has_indirect_call, 0
	.section	.AMDGPU.csdata,"",@progbits
; Kernel info:
; codeLenInByte = 9384
; TotalNumSgprs: 56
; NumVgprs: 42
; ScratchSize: 0
; MemoryBound: 0
; FloatMode: 240
; IeeeMode: 1
; LDSByteSize: 0 bytes/workgroup (compile time only)
; SGPRBlocks: 6
; VGPRBlocks: 10
; NumSGPRsForWavesPerEU: 56
; NumVGPRsForWavesPerEU: 42
; Occupancy: 5
; WaveLimiterHint : 1
; COMPUTE_PGM_RSRC2:SCRATCH_EN: 0
; COMPUTE_PGM_RSRC2:USER_SGPR: 6
; COMPUTE_PGM_RSRC2:TRAP_HANDLER: 0
; COMPUTE_PGM_RSRC2:TGID_X_EN: 1
; COMPUTE_PGM_RSRC2:TGID_Y_EN: 0
; COMPUTE_PGM_RSRC2:TGID_Z_EN: 0
; COMPUTE_PGM_RSRC2:TIDIG_COMP_CNT: 0
	.section	.text._ZN2at6native32elementwise_kernel_manual_unrollILi128ELi4EZNS0_15gpu_kernel_implINS0_13BinaryFunctorIttbNS0_12_GLOBAL__N_116CompareEqFunctorItEEEEEEvRNS_18TensorIteratorBaseERKT_EUlibE_EEviT1_,"axG",@progbits,_ZN2at6native32elementwise_kernel_manual_unrollILi128ELi4EZNS0_15gpu_kernel_implINS0_13BinaryFunctorIttbNS0_12_GLOBAL__N_116CompareEqFunctorItEEEEEEvRNS_18TensorIteratorBaseERKT_EUlibE_EEviT1_,comdat
	.globl	_ZN2at6native32elementwise_kernel_manual_unrollILi128ELi4EZNS0_15gpu_kernel_implINS0_13BinaryFunctorIttbNS0_12_GLOBAL__N_116CompareEqFunctorItEEEEEEvRNS_18TensorIteratorBaseERKT_EUlibE_EEviT1_ ; -- Begin function _ZN2at6native32elementwise_kernel_manual_unrollILi128ELi4EZNS0_15gpu_kernel_implINS0_13BinaryFunctorIttbNS0_12_GLOBAL__N_116CompareEqFunctorItEEEEEEvRNS_18TensorIteratorBaseERKT_EUlibE_EEviT1_
	.p2align	8
	.type	_ZN2at6native32elementwise_kernel_manual_unrollILi128ELi4EZNS0_15gpu_kernel_implINS0_13BinaryFunctorIttbNS0_12_GLOBAL__N_116CompareEqFunctorItEEEEEEvRNS_18TensorIteratorBaseERKT_EUlibE_EEviT1_,@function
_ZN2at6native32elementwise_kernel_manual_unrollILi128ELi4EZNS0_15gpu_kernel_implINS0_13BinaryFunctorIttbNS0_12_GLOBAL__N_116CompareEqFunctorItEEEEEEvRNS_18TensorIteratorBaseERKT_EUlibE_EEviT1_: ; @_ZN2at6native32elementwise_kernel_manual_unrollILi128ELi4EZNS0_15gpu_kernel_implINS0_13BinaryFunctorIttbNS0_12_GLOBAL__N_116CompareEqFunctorItEEEEEEvRNS_18TensorIteratorBaseERKT_EUlibE_EEviT1_
; %bb.0:
	s_load_dword s33, s[4:5], 0x30
	s_load_dword s50, s[4:5], 0x0
	s_load_dwordx4 s[8:11], s[4:5], 0x8
	s_load_dwordx2 s[2:3], s[4:5], 0x18
	s_load_dwordx4 s[12:15], s[4:5], 0x20
	v_lshl_or_b32 v14, s6, 9, v0
	v_or_b32_e32 v0, 0x180, v14
	s_waitcnt lgkmcnt(0)
	s_lshr_b32 s57, s33, 8
	s_lshr_b32 s56, s33, 16
	v_cmp_le_i32_e32 vcc, s50, v0
	s_mov_b64 s[4:5], 0
	s_mov_b64 s[16:17], 0
	s_and_saveexec_b64 s[0:1], vcc
	s_xor_b64 s[6:7], exec, s[0:1]
	s_cbranch_execz .LBB331_1512
; %bb.1:
	s_cmp_eq_u32 s15, 0
	s_cselect_b64 s[16:17], -1, 0
	v_cmp_gt_i32_e32 vcc, s50, v14
	s_mov_b64 s[0:1], -1
	s_mov_b64 s[28:29], 0
	s_mov_b64 s[22:23], 0
	;; [unrolled: 1-line block ×4, first 2 shown]
	s_and_saveexec_b64 s[24:25], vcc
	s_cbranch_execz .LBB331_375
; %bb.2:
	v_mul_lo_u32 v0, v14, s13
	v_mov_b32_e32 v1, s11
	s_and_b32 s20, s57, 0xff
	s_cmp_lt_i32 s20, 11
	v_ashrrev_i32_e32 v3, 31, v0
	v_add_co_u32_e32 v2, vcc, s10, v0
	v_addc_co_u32_e32 v3, vcc, v1, v3, vcc
	s_cbranch_scc1 .LBB331_9
; %bb.3:
	s_and_b32 s21, 0xffff, s20
	s_cmp_gt_i32 s21, 25
	s_cbranch_scc0 .LBB331_18
; %bb.4:
	s_cmp_gt_i32 s21, 28
	s_cbranch_scc0 .LBB331_28
; %bb.5:
	;; [unrolled: 3-line block ×4, first 2 shown]
	s_cmp_eq_u32 s21, 46
	s_cbranch_scc0 .LBB331_37
; %bb.8:
	global_load_dword v0, v[2:3], off
	s_waitcnt vmcnt(0)
	v_lshlrev_b32_e32 v0, 16, v0
	v_cvt_u32_f32_e32 v0, v0
	s_branch .LBB331_39
.LBB331_9:
                                        ; implicit-def: $vgpr0
	s_mov_b64 s[0:1], 0
	s_cbranch_execnz .LBB331_101
.LBB331_10:
	s_andn2_b64 vcc, exec, s[0:1]
	s_cbranch_vccnz .LBB331_148
.LBB331_11:
	s_waitcnt vmcnt(0)
	v_mul_lo_u32 v1, v14, s14
	v_mov_b32_e32 v2, s3
	s_and_b32 s26, s56, 0xff
	s_cmp_lt_i32 s26, 11
	v_ashrrev_i32_e32 v3, 31, v1
	v_add_co_u32_e32 v1, vcc, s2, v1
	v_addc_co_u32_e32 v2, vcc, v2, v3, vcc
	s_cbranch_scc1 .LBB331_19
; %bb.12:
	s_and_b32 s27, 0xffff, s26
	s_cmp_gt_i32 s27, 25
	s_cbranch_scc0 .LBB331_29
; %bb.13:
	s_cmp_gt_i32 s27, 28
	s_cbranch_scc0 .LBB331_32
; %bb.14:
	;; [unrolled: 3-line block ×4, first 2 shown]
	s_cmp_eq_u32 s27, 46
	s_mov_b64 s[18:19], 0
	s_cbranch_scc0 .LBB331_149
; %bb.17:
	global_load_dword v3, v[1:2], off
	s_mov_b64 s[0:1], -1
	s_mov_b64 s[20:21], 0
	s_waitcnt vmcnt(0)
	v_lshlrev_b32_e32 v3, 16, v3
	v_cvt_u32_f32_e32 v3, v3
	s_branch .LBB331_151
.LBB331_18:
	s_mov_b64 s[0:1], 0
                                        ; implicit-def: $vgpr0
	s_cbranch_execnz .LBB331_68
	s_branch .LBB331_100
.LBB331_19:
	s_mov_b64 s[20:21], 0
                                        ; implicit-def: $vgpr3
	s_mov_b64 s[0:1], 0
	s_cbranch_execnz .LBB331_324
.LBB331_20:
	s_andn2_b64 vcc, exec, s[0:1]
	s_cbranch_vccnz .LBB331_372
.LBB331_21:
	v_mul_lo_u32 v1, v14, s12
	s_waitcnt vmcnt(0)
	v_cmp_ne_u16_e32 vcc, v0, v3
	v_mov_b32_e32 v2, s9
	s_xor_b64 s[18:19], s[16:17], vcc
	v_ashrrev_i32_e32 v3, 31, v1
	s_and_b32 s36, s33, 0xff
	v_add_co_u32_e32 v0, vcc, s8, v1
	s_cmp_lt_i32 s36, 11
	v_addc_co_u32_e32 v1, vcc, v2, v3, vcc
	s_cbranch_scc1 .LBB331_30
; %bb.22:
	s_and_b32 s37, 0xffff, s36
	s_cmp_gt_i32 s37, 25
	s_cbranch_scc0 .LBB331_33
; %bb.23:
	s_cmp_gt_i32 s37, 28
	s_cbranch_scc0 .LBB331_36
; %bb.24:
	;; [unrolled: 3-line block ×4, first 2 shown]
	s_mov_b64 s[30:31], 0
	s_mov_b64 s[0:1], -1
	s_cmp_eq_u32 s37, 46
	s_mov_b64 s[26:27], 0
	s_cbranch_scc0 .LBB331_155
; %bb.27:
	v_cndmask_b32_e64 v2, 0, 1.0, s[18:19]
	v_bfe_u32 v3, v2, 16, 1
	s_movk_i32 s0, 0x7fff
	v_add3_u32 v2, v2, v3, s0
	v_lshrrev_b32_e32 v2, 16, v2
	global_store_dword v[0:1], v2, off
	s_mov_b64 s[26:27], -1
	s_mov_b64 s[0:1], 0
	s_branch .LBB331_155
.LBB331_28:
	s_mov_b64 s[18:19], -1
	s_mov_b64 s[0:1], 0
                                        ; implicit-def: $vgpr0
	s_branch .LBB331_51
.LBB331_29:
	s_mov_b64 s[18:19], -1
	s_mov_b64 s[20:21], 0
	s_mov_b64 s[0:1], 0
                                        ; implicit-def: $vgpr3
	s_branch .LBB331_290
.LBB331_30:
	s_mov_b64 s[30:31], -1
	s_mov_b64 s[0:1], 0
	s_mov_b64 s[26:27], 0
	s_branch .LBB331_224
.LBB331_31:
	s_mov_b64 s[18:19], -1
	s_mov_b64 s[0:1], 0
                                        ; implicit-def: $vgpr0
	s_branch .LBB331_46
.LBB331_32:
	s_mov_b64 s[18:19], -1
	s_mov_b64 s[20:21], 0
	s_mov_b64 s[0:1], 0
                                        ; implicit-def: $vgpr3
	s_branch .LBB331_273
.LBB331_33:
	s_mov_b64 s[30:31], -1
	s_mov_b64 s[0:1], 0
	s_mov_b64 s[26:27], 0
	s_branch .LBB331_182
.LBB331_34:
	s_mov_b64 s[18:19], -1
	s_branch .LBB331_38
.LBB331_35:
	s_mov_b64 s[18:19], -1
	s_mov_b64 s[20:21], 0
	s_mov_b64 s[0:1], 0
                                        ; implicit-def: $vgpr3
	s_branch .LBB331_268
.LBB331_36:
	s_mov_b64 s[30:31], -1
	s_mov_b64 s[0:1], 0
	s_mov_b64 s[26:27], 0
	s_branch .LBB331_165
.LBB331_37:
	s_mov_b64 s[22:23], -1
.LBB331_38:
	s_mov_b64 s[0:1], 0
                                        ; implicit-def: $vgpr0
.LBB331_39:
	s_and_b64 vcc, exec, s[18:19]
	s_cbranch_vccz .LBB331_45
; %bb.40:
	s_cmp_eq_u32 s21, 44
	s_cbranch_scc0 .LBB331_44
; %bb.41:
	global_load_ubyte v0, v[2:3], off
	s_mov_b64 s[0:1], -1
	s_mov_b64 s[22:23], 0
	s_waitcnt vmcnt(0)
	v_lshlrev_b32_e32 v1, 23, v0
	v_cvt_u32_f32_e32 v1, v1
	v_cmp_ne_u32_e32 vcc, 0, v0
	v_cndmask_b32_e32 v0, 0, v1, vcc
	s_branch .LBB331_45
.LBB331_42:
	s_mov_b64 s[18:19], -1
	s_mov_b64 s[20:21], 0
	s_branch .LBB331_150
.LBB331_43:
	s_mov_b64 s[30:31], -1
	s_mov_b64 s[0:1], 0
	s_mov_b64 s[26:27], 0
	s_branch .LBB331_161
.LBB331_44:
	s_mov_b64 s[22:23], -1
                                        ; implicit-def: $vgpr0
.LBB331_45:
	s_mov_b64 s[18:19], 0
.LBB331_46:
	s_and_b64 vcc, exec, s[18:19]
	s_cbranch_vccz .LBB331_50
; %bb.47:
	s_cmp_eq_u32 s21, 29
	s_cbranch_scc0 .LBB331_49
; %bb.48:
	global_load_dwordx2 v[0:1], v[2:3], off
	s_mov_b64 s[0:1], -1
	s_mov_b64 s[22:23], 0
	s_branch .LBB331_50
.LBB331_49:
	s_mov_b64 s[22:23], -1
                                        ; implicit-def: $vgpr0
.LBB331_50:
	s_mov_b64 s[18:19], 0
.LBB331_51:
	s_and_b64 vcc, exec, s[18:19]
	s_cbranch_vccz .LBB331_67
; %bb.52:
	s_cmp_lt_i32 s21, 27
	s_cbranch_scc1 .LBB331_55
; %bb.53:
	s_cmp_gt_i32 s21, 27
	s_cbranch_scc0 .LBB331_56
; %bb.54:
	global_load_dword v0, v[2:3], off
	s_mov_b64 s[0:1], 0
	s_branch .LBB331_57
.LBB331_55:
	s_mov_b64 s[0:1], -1
                                        ; implicit-def: $vgpr0
	s_branch .LBB331_60
.LBB331_56:
	s_mov_b64 s[0:1], -1
                                        ; implicit-def: $vgpr0
.LBB331_57:
	s_andn2_b64 vcc, exec, s[0:1]
	s_cbranch_vccnz .LBB331_59
; %bb.58:
	global_load_ushort v0, v[2:3], off
.LBB331_59:
	s_mov_b64 s[0:1], 0
.LBB331_60:
	s_andn2_b64 vcc, exec, s[0:1]
	s_cbranch_vccnz .LBB331_66
; %bb.61:
	global_load_ubyte v1, v[2:3], off
	s_movk_i32 s0, 0x7f
	s_mov_b64 s[18:19], 0
	s_waitcnt vmcnt(0)
	v_cmp_lt_i16_e32 vcc, s0, v1
	s_and_saveexec_b64 s[0:1], vcc
	s_xor_b64 s[0:1], exec, s[0:1]
	s_cbranch_execz .LBB331_77
; %bb.62:
	s_movk_i32 s18, 0x80
	v_cmp_ne_u16_e32 vcc, s18, v1
	s_and_b64 s[18:19], vcc, exec
	s_andn2_saveexec_b64 s[0:1], s[0:1]
	s_cbranch_execnz .LBB331_78
.LBB331_63:
	s_or_b64 exec, exec, s[0:1]
	v_mov_b32_e32 v0, 0
	s_and_saveexec_b64 s[0:1], s[18:19]
	s_cbranch_execz .LBB331_65
.LBB331_64:
	v_lshlrev_b32_e32 v0, 24, v1
	v_and_b32_e32 v1, 0xffff, v1
	v_and_b32_e32 v4, 7, v1
	v_ffbh_u32_e32 v6, v4
	v_min_u32_e32 v6, 32, v6
	v_subrev_u32_e32 v7, 28, v6
	v_bfe_u32 v5, v1, 3, 4
	v_lshlrev_b32_e32 v1, v7, v1
	v_sub_u32_e32 v6, 29, v6
	v_and_b32_e32 v1, 7, v1
	v_cmp_eq_u32_e32 vcc, 0, v5
	v_cndmask_b32_e32 v5, v5, v6, vcc
	v_cndmask_b32_e32 v1, v4, v1, vcc
	v_mov_b32_e32 v4, 0x3b800000
	v_lshlrev_b32_e32 v1, 20, v1
	v_and_b32_e32 v0, 0x80000000, v0
	v_lshl_add_u32 v4, v5, 23, v4
	v_or3_b32 v0, v0, v4, v1
	v_cvt_u32_f32_e32 v0, v0
.LBB331_65:
	s_or_b64 exec, exec, s[0:1]
.LBB331_66:
	s_mov_b64 s[0:1], -1
.LBB331_67:
	s_branch .LBB331_100
.LBB331_68:
	s_cmp_gt_i32 s21, 22
	s_cbranch_scc0 .LBB331_76
; %bb.69:
	s_cmp_lt_i32 s21, 24
	s_cbranch_scc1 .LBB331_79
; %bb.70:
	s_cmp_gt_i32 s21, 24
	s_cbranch_scc0 .LBB331_80
; %bb.71:
	global_load_ubyte v1, v[2:3], off
	s_movk_i32 s0, 0x7f
	s_mov_b64 s[18:19], 0
	s_waitcnt vmcnt(0)
	v_cmp_lt_i16_e32 vcc, s0, v1
	s_and_saveexec_b64 s[0:1], vcc
	s_xor_b64 s[0:1], exec, s[0:1]
	s_cbranch_execz .LBB331_92
; %bb.72:
	s_movk_i32 s18, 0x80
	v_cmp_ne_u16_e32 vcc, s18, v1
	s_and_b64 s[18:19], vcc, exec
	s_andn2_saveexec_b64 s[0:1], s[0:1]
	s_cbranch_execnz .LBB331_93
.LBB331_73:
	s_or_b64 exec, exec, s[0:1]
	v_mov_b32_e32 v0, 0
	s_and_saveexec_b64 s[0:1], s[18:19]
	s_cbranch_execz .LBB331_75
.LBB331_74:
	v_lshlrev_b32_e32 v0, 24, v1
	v_and_b32_e32 v1, 0xffff, v1
	v_and_b32_e32 v4, 3, v1
	v_ffbh_u32_e32 v6, v4
	v_min_u32_e32 v6, 32, v6
	v_subrev_u32_e32 v7, 29, v6
	v_bfe_u32 v5, v1, 2, 5
	v_lshlrev_b32_e32 v1, v7, v1
	v_sub_u32_e32 v6, 30, v6
	v_and_b32_e32 v1, 3, v1
	v_cmp_eq_u32_e32 vcc, 0, v5
	v_cndmask_b32_e32 v5, v5, v6, vcc
	v_cndmask_b32_e32 v1, v4, v1, vcc
	v_mov_b32_e32 v4, 0x37800000
	v_lshlrev_b32_e32 v1, 21, v1
	v_and_b32_e32 v0, 0x80000000, v0
	v_lshl_add_u32 v4, v5, 23, v4
	v_or3_b32 v0, v0, v4, v1
	v_cvt_u32_f32_e32 v0, v0
.LBB331_75:
	s_or_b64 exec, exec, s[0:1]
	s_mov_b64 s[0:1], 0
	s_branch .LBB331_81
.LBB331_76:
	s_mov_b64 s[18:19], -1
                                        ; implicit-def: $vgpr0
	s_branch .LBB331_87
.LBB331_77:
	s_andn2_saveexec_b64 s[0:1], s[0:1]
	s_cbranch_execz .LBB331_63
.LBB331_78:
	v_cmp_ne_u16_e32 vcc, 0, v1
	s_andn2_b64 s[18:19], s[18:19], exec
	s_and_b64 s[26:27], vcc, exec
	s_or_b64 s[18:19], s[18:19], s[26:27]
	s_or_b64 exec, exec, s[0:1]
	v_mov_b32_e32 v0, 0
	s_and_saveexec_b64 s[0:1], s[18:19]
	s_cbranch_execnz .LBB331_64
	s_branch .LBB331_65
.LBB331_79:
	s_mov_b64 s[0:1], -1
                                        ; implicit-def: $vgpr0
	s_branch .LBB331_84
.LBB331_80:
	s_mov_b64 s[0:1], -1
                                        ; implicit-def: $vgpr0
.LBB331_81:
	s_and_b64 vcc, exec, s[0:1]
	s_cbranch_vccz .LBB331_83
; %bb.82:
	global_load_ubyte v0, v[2:3], off
	s_mov_b32 s0, 0x7f800000
	s_waitcnt vmcnt(0)
	v_lshlrev_b32_e32 v0, 24, v0
	v_and_b32_e32 v1, 0x7f000000, v0
	v_ffbh_u32_e32 v4, v1
	v_min_u32_e32 v4, 32, v4
	v_sub_u32_e64 v4, v4, 4 clamp
	v_lshlrev_b32_e32 v6, v4, v1
	v_lshlrev_b32_e32 v4, 23, v4
	v_lshrrev_b32_e32 v6, 4, v6
	v_add_u32_e32 v5, 0x1000000, v1
	v_sub_u32_e32 v4, v6, v4
	v_ashrrev_i32_e32 v5, 8, v5
	v_add_u32_e32 v4, 0x3c000000, v4
	v_and_or_b32 v4, v5, s0, v4
	v_cmp_ne_u32_e32 vcc, 0, v1
	v_cndmask_b32_e32 v1, 0, v4, vcc
	s_brev_b32 s0, 1
	v_and_or_b32 v0, v0, s0, v1
	v_cvt_u32_f32_e32 v0, v0
.LBB331_83:
	s_mov_b64 s[0:1], 0
.LBB331_84:
	s_andn2_b64 vcc, exec, s[0:1]
	s_cbranch_vccnz .LBB331_86
; %bb.85:
	global_load_ubyte v0, v[2:3], off
	s_movk_i32 s0, 0x7f00
	s_brev_b32 s1, 16
	s_waitcnt vmcnt(0)
	v_lshlrev_b16_e32 v1, 8, v0
	v_lshlrev_b32_e32 v0, 25, v0
	v_lshrrev_b32_e32 v4, 4, v0
	v_and_or_b32 v5, v1, s0, 0.5
	v_or_b32_e32 v4, 0x70000000, v4
	v_add_f32_e32 v5, -0.5, v5
	v_mul_f32_e32 v4, 0x7800000, v4
	v_cmp_gt_u32_e32 vcc, s1, v0
	v_bfe_i32 v1, v1, 0, 16
	v_cndmask_b32_e32 v0, v4, v5, vcc
	s_brev_b32 s0, 1
	v_and_or_b32 v0, v1, s0, v0
	v_cvt_u32_f32_e32 v0, v0
.LBB331_86:
	s_mov_b64 s[18:19], 0
	s_mov_b64 s[0:1], -1
.LBB331_87:
	s_andn2_b64 vcc, exec, s[18:19]
	s_cbranch_vccnz .LBB331_100
; %bb.88:
	s_cmp_gt_i32 s21, 14
	s_cbranch_scc0 .LBB331_91
; %bb.89:
	s_cmp_eq_u32 s21, 15
	s_cbranch_scc0 .LBB331_94
; %bb.90:
	global_load_ushort v0, v[2:3], off
	s_mov_b64 s[0:1], -1
	s_mov_b64 s[22:23], 0
	s_waitcnt vmcnt(0)
	v_lshlrev_b32_e32 v0, 16, v0
	v_cvt_u32_f32_e32 v0, v0
	s_branch .LBB331_95
.LBB331_91:
	s_mov_b64 s[18:19], -1
                                        ; implicit-def: $vgpr0
	s_branch .LBB331_96
.LBB331_92:
	s_andn2_saveexec_b64 s[0:1], s[0:1]
	s_cbranch_execz .LBB331_73
.LBB331_93:
	v_cmp_ne_u16_e32 vcc, 0, v1
	s_andn2_b64 s[18:19], s[18:19], exec
	s_and_b64 s[26:27], vcc, exec
	s_or_b64 s[18:19], s[18:19], s[26:27]
	s_or_b64 exec, exec, s[0:1]
	v_mov_b32_e32 v0, 0
	s_and_saveexec_b64 s[0:1], s[18:19]
	s_cbranch_execnz .LBB331_74
	s_branch .LBB331_75
.LBB331_94:
	s_mov_b64 s[22:23], -1
                                        ; implicit-def: $vgpr0
.LBB331_95:
	s_mov_b64 s[18:19], 0
.LBB331_96:
	s_and_b64 vcc, exec, s[18:19]
	s_cbranch_vccz .LBB331_100
; %bb.97:
	s_cmp_eq_u32 s21, 11
	s_cbranch_scc0 .LBB331_99
; %bb.98:
	global_load_ubyte v0, v[2:3], off
	s_mov_b64 s[0:1], -1
	s_mov_b64 s[22:23], 0
	s_waitcnt vmcnt(0)
	v_cmp_ne_u16_e32 vcc, 0, v0
	v_cndmask_b32_e64 v0, 0, 1, vcc
	s_branch .LBB331_100
.LBB331_99:
	s_mov_b64 s[22:23], -1
                                        ; implicit-def: $vgpr0
.LBB331_100:
	s_branch .LBB331_10
.LBB331_101:
	s_and_b32 s18, 0xffff, s20
	s_cmp_lt_i32 s18, 5
	s_cbranch_scc1 .LBB331_106
; %bb.102:
	s_cmp_lt_i32 s18, 8
	s_cbranch_scc1 .LBB331_107
; %bb.103:
	;; [unrolled: 3-line block ×3, first 2 shown]
	s_cmp_gt_i32 s18, 9
	s_cbranch_scc0 .LBB331_109
; %bb.105:
	global_load_dwordx2 v[0:1], v[2:3], off
	s_mov_b64 s[0:1], 0
	s_waitcnt vmcnt(0)
	v_cvt_u32_f64_e32 v0, v[0:1]
	s_branch .LBB331_110
.LBB331_106:
                                        ; implicit-def: $vgpr0
	s_branch .LBB331_128
.LBB331_107:
	s_mov_b64 s[0:1], -1
                                        ; implicit-def: $vgpr0
	s_branch .LBB331_116
.LBB331_108:
	s_mov_b64 s[0:1], -1
                                        ; implicit-def: $vgpr0
	s_branch .LBB331_113
.LBB331_109:
	s_mov_b64 s[0:1], -1
                                        ; implicit-def: $vgpr0
.LBB331_110:
	s_andn2_b64 vcc, exec, s[0:1]
	s_cbranch_vccnz .LBB331_112
; %bb.111:
	global_load_dword v0, v[2:3], off
	s_waitcnt vmcnt(0)
	v_cvt_u32_f32_e32 v0, v0
.LBB331_112:
	s_mov_b64 s[0:1], 0
.LBB331_113:
	s_andn2_b64 vcc, exec, s[0:1]
	s_cbranch_vccnz .LBB331_115
; %bb.114:
	global_load_dword v0, v[2:3], off
	s_waitcnt vmcnt(0)
	v_cvt_u16_f16_e32 v0, v0
.LBB331_115:
	s_mov_b64 s[0:1], 0
.LBB331_116:
	s_andn2_b64 vcc, exec, s[0:1]
	s_cbranch_vccnz .LBB331_127
; %bb.117:
	s_cmp_lt_i32 s18, 6
	s_cbranch_scc1 .LBB331_120
; %bb.118:
	s_cmp_gt_i32 s18, 6
	s_cbranch_scc0 .LBB331_121
; %bb.119:
	global_load_dwordx2 v[0:1], v[2:3], off
	s_mov_b64 s[0:1], 0
	s_waitcnt vmcnt(0)
	v_cvt_u32_f64_e32 v0, v[0:1]
	s_branch .LBB331_122
.LBB331_120:
	s_mov_b64 s[0:1], -1
                                        ; implicit-def: $vgpr0
	s_branch .LBB331_125
.LBB331_121:
	s_mov_b64 s[0:1], -1
                                        ; implicit-def: $vgpr0
.LBB331_122:
	s_andn2_b64 vcc, exec, s[0:1]
	s_cbranch_vccnz .LBB331_124
; %bb.123:
	global_load_dword v0, v[2:3], off
	s_waitcnt vmcnt(0)
	v_cvt_u32_f32_e32 v0, v0
.LBB331_124:
	s_mov_b64 s[0:1], 0
.LBB331_125:
	s_andn2_b64 vcc, exec, s[0:1]
	s_cbranch_vccnz .LBB331_127
; %bb.126:
	global_load_ushort v0, v[2:3], off
	s_waitcnt vmcnt(0)
	v_cvt_u16_f16_e32 v0, v0
.LBB331_127:
	s_cbranch_execnz .LBB331_147
.LBB331_128:
	s_cmp_lt_i32 s18, 2
	s_cbranch_scc1 .LBB331_132
; %bb.129:
	s_cmp_lt_i32 s18, 3
	s_cbranch_scc1 .LBB331_133
; %bb.130:
	s_cmp_gt_i32 s18, 3
	s_cbranch_scc0 .LBB331_134
; %bb.131:
	global_load_dwordx2 v[0:1], v[2:3], off
	s_mov_b64 s[0:1], 0
	s_branch .LBB331_135
.LBB331_132:
	s_mov_b64 s[0:1], -1
                                        ; implicit-def: $vgpr0
	s_branch .LBB331_141
.LBB331_133:
	s_mov_b64 s[0:1], -1
                                        ; implicit-def: $vgpr0
	s_branch .LBB331_138
.LBB331_134:
	s_mov_b64 s[0:1], -1
                                        ; implicit-def: $vgpr0
.LBB331_135:
	s_andn2_b64 vcc, exec, s[0:1]
	s_cbranch_vccnz .LBB331_137
; %bb.136:
	global_load_dword v0, v[2:3], off
.LBB331_137:
	s_mov_b64 s[0:1], 0
.LBB331_138:
	s_andn2_b64 vcc, exec, s[0:1]
	s_cbranch_vccnz .LBB331_140
; %bb.139:
	global_load_ushort v0, v[2:3], off
.LBB331_140:
	s_mov_b64 s[0:1], 0
.LBB331_141:
	s_andn2_b64 vcc, exec, s[0:1]
	s_cbranch_vccnz .LBB331_147
; %bb.142:
	s_cmp_gt_i32 s18, 0
	s_cbranch_scc0 .LBB331_144
; %bb.143:
	global_load_sbyte v0, v[2:3], off
	s_mov_b64 s[0:1], 0
	s_branch .LBB331_145
.LBB331_144:
	s_mov_b64 s[0:1], -1
                                        ; implicit-def: $vgpr0
.LBB331_145:
	s_andn2_b64 vcc, exec, s[0:1]
	s_cbranch_vccnz .LBB331_147
; %bb.146:
	global_load_ubyte v0, v[2:3], off
.LBB331_147:
	s_branch .LBB331_11
.LBB331_148:
	s_mov_b64 s[0:1], 0
	s_mov_b64 s[20:21], 0
	s_branch .LBB331_373
.LBB331_149:
	s_mov_b64 s[20:21], -1
.LBB331_150:
	s_mov_b64 s[0:1], 0
                                        ; implicit-def: $vgpr3
.LBB331_151:
	s_and_b64 vcc, exec, s[18:19]
	s_cbranch_vccz .LBB331_267
; %bb.152:
	s_cmp_eq_u32 s27, 44
	s_cbranch_scc0 .LBB331_266
; %bb.153:
	global_load_ubyte v3, v[1:2], off
	s_mov_b64 s[0:1], -1
	s_mov_b64 s[20:21], 0
	s_waitcnt vmcnt(0)
	v_lshlrev_b32_e32 v4, 23, v3
	v_cvt_u32_f32_e32 v4, v4
	v_cmp_ne_u32_e32 vcc, 0, v3
	v_cndmask_b32_e32 v3, 0, v4, vcc
	s_branch .LBB331_267
.LBB331_154:
	s_mov_b64 s[30:31], -1
	s_mov_b64 s[0:1], 0
	s_mov_b64 s[26:27], 0
.LBB331_155:
	s_and_b64 vcc, exec, s[30:31]
	s_cbranch_vccz .LBB331_160
; %bb.156:
	s_cmp_eq_u32 s37, 44
	s_mov_b64 s[0:1], -1
	s_cbranch_scc0 .LBB331_160
; %bb.157:
	v_cndmask_b32_e64 v3, 0, 1.0, s[18:19]
	v_lshrrev_b32_e32 v2, 23, v3
	s_movk_i32 s0, 0xff
	v_cmp_ne_u32_e32 vcc, s0, v2
	v_mov_b32_e32 v4, 0xff
	s_and_saveexec_b64 s[26:27], vcc
; %bb.158:
	s_mov_b32 s0, 0x3fffff
	v_and_b32_e32 v4, 0x400000, v3
	v_and_or_b32 v3, v3, s0, v2
	v_cmp_ne_u32_e32 vcc, 0, v4
	v_cmp_ne_u32_e64 s[0:1], 0, v3
	s_and_b64 s[0:1], vcc, s[0:1]
	v_cndmask_b32_e64 v3, 0, 1, s[0:1]
	v_add_u32_e32 v4, v2, v3
; %bb.159:
	s_or_b64 exec, exec, s[26:27]
	s_mov_b64 s[26:27], -1
	s_mov_b64 s[0:1], 0
	global_store_byte v[0:1], v4, off
.LBB331_160:
	s_mov_b64 s[30:31], 0
.LBB331_161:
	s_and_b64 vcc, exec, s[30:31]
	s_cbranch_vccz .LBB331_164
; %bb.162:
	s_cmp_eq_u32 s37, 29
	s_mov_b64 s[0:1], -1
	s_cbranch_scc0 .LBB331_164
; %bb.163:
	s_mov_b32 s0, 0
	v_cndmask_b32_e64 v2, 0, 1, s[18:19]
	v_mov_b32_e32 v3, s0
	global_store_dwordx2 v[0:1], v[2:3], off
	s_mov_b64 s[26:27], -1
	s_mov_b64 s[0:1], 0
.LBB331_164:
	s_mov_b64 s[30:31], 0
.LBB331_165:
	s_and_b64 vcc, exec, s[30:31]
	s_cbranch_vccz .LBB331_181
; %bb.166:
	s_cmp_lt_i32 s37, 27
	s_mov_b64 s[26:27], -1
	s_cbranch_scc1 .LBB331_172
; %bb.167:
	s_cmp_gt_i32 s37, 27
	s_cbranch_scc0 .LBB331_169
; %bb.168:
	v_cndmask_b32_e64 v2, 0, 1, s[18:19]
	s_mov_b64 s[26:27], 0
	global_store_dword v[0:1], v2, off
.LBB331_169:
	s_andn2_b64 vcc, exec, s[26:27]
	s_cbranch_vccnz .LBB331_171
; %bb.170:
	v_cndmask_b32_e64 v2, 0, 1, s[18:19]
	global_store_short v[0:1], v2, off
.LBB331_171:
	s_mov_b64 s[26:27], 0
.LBB331_172:
	s_andn2_b64 vcc, exec, s[26:27]
	s_cbranch_vccnz .LBB331_180
; %bb.173:
	v_cndmask_b32_e64 v3, 0, 1.0, s[18:19]
	s_mov_b32 s26, 0x43800000
	v_cmp_gt_u32_e32 vcc, s26, v3
	v_mov_b32_e32 v4, 0x80
	s_and_saveexec_b64 s[26:27], vcc
	s_cbranch_execz .LBB331_179
; %bb.174:
	s_mov_b32 s30, 0x3bffffff
	v_cmp_lt_u32_e32 vcc, s30, v3
	s_mov_b64 s[30:31], 0
                                        ; implicit-def: $vgpr2
	s_and_saveexec_b64 s[34:35], vcc
	s_xor_b64 s[34:35], exec, s[34:35]
	s_cbranch_execz .LBB331_404
; %bb.175:
	v_bfe_u32 v2, v3, 20, 1
	s_mov_b32 s38, 0x487ffff
	v_add3_u32 v2, v3, v2, s38
	s_mov_b64 s[30:31], exec
	v_lshrrev_b32_e32 v2, 20, v2
                                        ; implicit-def: $vgpr3
	s_andn2_saveexec_b64 s[34:35], s[34:35]
	s_cbranch_execnz .LBB331_405
.LBB331_176:
	s_or_b64 exec, exec, s[34:35]
	v_mov_b32_e32 v4, 0
	s_and_saveexec_b64 s[34:35], s[30:31]
.LBB331_177:
	v_mov_b32_e32 v4, v2
.LBB331_178:
	s_or_b64 exec, exec, s[34:35]
.LBB331_179:
	s_or_b64 exec, exec, s[26:27]
	global_store_byte v[0:1], v4, off
.LBB331_180:
	s_mov_b64 s[26:27], -1
.LBB331_181:
	s_mov_b64 s[30:31], 0
.LBB331_182:
	s_and_b64 vcc, exec, s[30:31]
	s_cbranch_vccz .LBB331_223
; %bb.183:
	s_cmp_gt_i32 s37, 22
	s_mov_b64 s[30:31], -1
	s_cbranch_scc0 .LBB331_215
; %bb.184:
	s_cmp_lt_i32 s37, 24
	s_mov_b64 s[26:27], -1
	s_cbranch_scc1 .LBB331_204
; %bb.185:
	s_cmp_gt_i32 s37, 24
	s_cbranch_scc0 .LBB331_193
; %bb.186:
	v_cndmask_b32_e64 v3, 0, 1.0, s[18:19]
	s_mov_b32 s26, 0x47800000
	v_cmp_gt_u32_e32 vcc, s26, v3
	v_mov_b32_e32 v4, 0x80
	s_and_saveexec_b64 s[26:27], vcc
	s_cbranch_execz .LBB331_192
; %bb.187:
	s_mov_b32 s30, 0x37ffffff
	v_cmp_lt_u32_e32 vcc, s30, v3
	s_mov_b64 s[30:31], 0
                                        ; implicit-def: $vgpr2
	s_and_saveexec_b64 s[34:35], vcc
	s_xor_b64 s[34:35], exec, s[34:35]
	s_cbranch_execz .LBB331_519
; %bb.188:
	v_bfe_u32 v2, v3, 21, 1
	s_mov_b32 s38, 0x88fffff
	v_add3_u32 v2, v3, v2, s38
	s_mov_b64 s[30:31], exec
	v_lshrrev_b32_e32 v2, 21, v2
                                        ; implicit-def: $vgpr3
	s_andn2_saveexec_b64 s[34:35], s[34:35]
	s_cbranch_execnz .LBB331_520
.LBB331_189:
	s_or_b64 exec, exec, s[34:35]
	v_mov_b32_e32 v4, 0
	s_and_saveexec_b64 s[34:35], s[30:31]
.LBB331_190:
	v_mov_b32_e32 v4, v2
.LBB331_191:
	s_or_b64 exec, exec, s[34:35]
.LBB331_192:
	s_or_b64 exec, exec, s[26:27]
	s_mov_b64 s[26:27], 0
	global_store_byte v[0:1], v4, off
.LBB331_193:
	s_and_b64 vcc, exec, s[26:27]
	s_cbranch_vccz .LBB331_203
; %bb.194:
	v_cndmask_b32_e64 v2, 0, 1.0, s[18:19]
	s_mov_b32 s26, 0x43f00000
	v_cmp_gt_u32_e32 vcc, s26, v2
                                        ; implicit-def: $vgpr3
	s_and_saveexec_b64 s[26:27], vcc
	s_xor_b64 s[26:27], exec, s[26:27]
	s_cbranch_execz .LBB331_200
; %bb.195:
	s_mov_b32 s30, 0x3c7fffff
	v_cmp_lt_u32_e32 vcc, s30, v2
                                        ; implicit-def: $vgpr3
	s_and_saveexec_b64 s[30:31], vcc
	s_xor_b64 s[30:31], exec, s[30:31]
; %bb.196:
	v_bfe_u32 v3, v2, 20, 1
	s_mov_b32 s34, 0x407ffff
	v_add3_u32 v2, v2, v3, s34
	v_lshrrev_b32_e32 v3, 20, v2
	v_and_b32_e32 v2, 0xff00000, v2
	s_mov_b32 s34, 0x7f00000
	v_mov_b32_e32 v4, 0x7e
	v_cmp_ne_u32_e32 vcc, s34, v2
	v_cndmask_b32_e32 v3, v4, v3, vcc
                                        ; implicit-def: $vgpr2
; %bb.197:
	s_andn2_saveexec_b64 s[30:31], s[30:31]
; %bb.198:
	v_add_f32_e32 v3, 0x46800000, v2
; %bb.199:
	s_or_b64 exec, exec, s[30:31]
                                        ; implicit-def: $vgpr2
.LBB331_200:
	s_andn2_saveexec_b64 s[26:27], s[26:27]
; %bb.201:
	s_mov_b32 s30, 0x7f800000
	v_mov_b32_e32 v3, 0x7e
	v_mov_b32_e32 v4, 0x7f
	v_cmp_lt_u32_e32 vcc, s30, v2
	v_cndmask_b32_e32 v3, v3, v4, vcc
; %bb.202:
	s_or_b64 exec, exec, s[26:27]
	global_store_byte v[0:1], v3, off
.LBB331_203:
	s_mov_b64 s[26:27], 0
.LBB331_204:
	s_andn2_b64 vcc, exec, s[26:27]
	s_cbranch_vccnz .LBB331_214
; %bb.205:
	v_cndmask_b32_e64 v2, 0, 1.0, s[18:19]
	s_mov_b32 s26, 0x47800000
	v_cmp_gt_u32_e32 vcc, s26, v2
                                        ; implicit-def: $vgpr3
	s_and_saveexec_b64 s[26:27], vcc
	s_xor_b64 s[26:27], exec, s[26:27]
	s_cbranch_execz .LBB331_211
; %bb.206:
	s_mov_b32 s30, 0x387fffff
	v_cmp_lt_u32_e32 vcc, s30, v2
                                        ; implicit-def: $vgpr3
	s_and_saveexec_b64 s[30:31], vcc
	s_xor_b64 s[30:31], exec, s[30:31]
; %bb.207:
	v_bfe_u32 v3, v2, 21, 1
	s_mov_b32 s34, 0x80fffff
	v_add3_u32 v2, v2, v3, s34
	v_lshrrev_b32_e32 v3, 21, v2
                                        ; implicit-def: $vgpr2
; %bb.208:
	s_andn2_saveexec_b64 s[30:31], s[30:31]
; %bb.209:
	v_add_f32_e32 v3, 0x43000000, v2
; %bb.210:
	s_or_b64 exec, exec, s[30:31]
                                        ; implicit-def: $vgpr2
.LBB331_211:
	s_andn2_saveexec_b64 s[26:27], s[26:27]
; %bb.212:
	s_mov_b32 s30, 0x7f800000
	v_mov_b32_e32 v3, 0x7c
	v_mov_b32_e32 v4, 0x7f
	v_cmp_lt_u32_e32 vcc, s30, v2
	v_cndmask_b32_e32 v3, v3, v4, vcc
; %bb.213:
	s_or_b64 exec, exec, s[26:27]
	global_store_byte v[0:1], v3, off
.LBB331_214:
	s_mov_b64 s[30:31], 0
	s_mov_b64 s[26:27], -1
.LBB331_215:
	s_andn2_b64 vcc, exec, s[30:31]
	s_cbranch_vccnz .LBB331_223
; %bb.216:
	s_cmp_gt_i32 s37, 14
	s_mov_b64 s[30:31], -1
	s_cbranch_scc0 .LBB331_220
; %bb.217:
	s_cmp_eq_u32 s37, 15
	s_mov_b64 s[0:1], -1
	s_cbranch_scc0 .LBB331_219
; %bb.218:
	v_cndmask_b32_e64 v2, 0, 1.0, s[18:19]
	v_bfe_u32 v3, v2, 16, 1
	s_movk_i32 s0, 0x7fff
	v_add3_u32 v2, v2, v3, s0
	global_store_short_d16_hi v[0:1], v2, off
	s_mov_b64 s[26:27], -1
	s_mov_b64 s[0:1], 0
.LBB331_219:
	s_mov_b64 s[30:31], 0
.LBB331_220:
	s_and_b64 vcc, exec, s[30:31]
	s_cbranch_vccz .LBB331_223
; %bb.221:
	s_cmp_eq_u32 s37, 11
	s_mov_b64 s[0:1], -1
	s_cbranch_scc0 .LBB331_223
; %bb.222:
	v_cndmask_b32_e64 v2, 0, 1, s[18:19]
	s_mov_b64 s[26:27], -1
	s_mov_b64 s[0:1], 0
	global_store_byte v[0:1], v2, off
.LBB331_223:
	s_mov_b64 s[30:31], 0
.LBB331_224:
	s_and_b64 vcc, exec, s[30:31]
	s_cbranch_vccz .LBB331_263
; %bb.225:
	s_and_b32 s30, 0xffff, s36
	s_cmp_lt_i32 s30, 5
	s_mov_b64 s[26:27], -1
	s_cbranch_scc1 .LBB331_246
; %bb.226:
	s_cmp_lt_i32 s30, 8
	s_cbranch_scc1 .LBB331_236
; %bb.227:
	s_cmp_lt_i32 s30, 9
	s_cbranch_scc1 .LBB331_233
; %bb.228:
	s_cmp_gt_i32 s30, 9
	s_cbranch_scc0 .LBB331_230
; %bb.229:
	v_cndmask_b32_e64 v2, 0, 1, s[18:19]
	v_cvt_f64_u32_e32 v[2:3], v2
	v_mov_b32_e32 v4, 0
	v_mov_b32_e32 v5, v4
	s_mov_b64 s[26:27], 0
	global_store_dwordx4 v[0:1], v[2:5], off
.LBB331_230:
	s_andn2_b64 vcc, exec, s[26:27]
	s_cbranch_vccnz .LBB331_232
; %bb.231:
	v_cndmask_b32_e64 v2, 0, 1.0, s[18:19]
	v_mov_b32_e32 v3, 0
	global_store_dwordx2 v[0:1], v[2:3], off
.LBB331_232:
	s_mov_b64 s[26:27], 0
.LBB331_233:
	s_andn2_b64 vcc, exec, s[26:27]
	s_cbranch_vccnz .LBB331_235
; %bb.234:
	v_cndmask_b32_e64 v2, 0, 1.0, s[18:19]
	v_cvt_f16_f32_e32 v2, v2
	global_store_dword v[0:1], v2, off
.LBB331_235:
	s_mov_b64 s[26:27], 0
.LBB331_236:
	s_andn2_b64 vcc, exec, s[26:27]
	s_cbranch_vccnz .LBB331_245
; %bb.237:
	s_cmp_lt_i32 s30, 6
	s_mov_b64 s[26:27], -1
	s_cbranch_scc1 .LBB331_243
; %bb.238:
	s_cmp_gt_i32 s30, 6
	s_cbranch_scc0 .LBB331_240
; %bb.239:
	v_cndmask_b32_e64 v2, 0, 1, s[18:19]
	v_cvt_f64_u32_e32 v[2:3], v2
	s_mov_b64 s[26:27], 0
	global_store_dwordx2 v[0:1], v[2:3], off
.LBB331_240:
	s_andn2_b64 vcc, exec, s[26:27]
	s_cbranch_vccnz .LBB331_242
; %bb.241:
	v_cndmask_b32_e64 v2, 0, 1.0, s[18:19]
	global_store_dword v[0:1], v2, off
.LBB331_242:
	s_mov_b64 s[26:27], 0
.LBB331_243:
	s_andn2_b64 vcc, exec, s[26:27]
	s_cbranch_vccnz .LBB331_245
; %bb.244:
	v_cndmask_b32_e64 v2, 0, 1.0, s[18:19]
	v_cvt_f16_f32_e32 v2, v2
	global_store_short v[0:1], v2, off
.LBB331_245:
	s_mov_b64 s[26:27], 0
.LBB331_246:
	s_andn2_b64 vcc, exec, s[26:27]
	s_cbranch_vccnz .LBB331_262
; %bb.247:
	s_cmp_lt_i32 s30, 2
	s_mov_b64 s[26:27], -1
	s_cbranch_scc1 .LBB331_257
; %bb.248:
	s_cmp_lt_i32 s30, 3
	s_cbranch_scc1 .LBB331_254
; %bb.249:
	s_cmp_gt_i32 s30, 3
	s_cbranch_scc0 .LBB331_251
; %bb.250:
	s_mov_b32 s26, 0
	v_cndmask_b32_e64 v2, 0, 1, s[18:19]
	v_mov_b32_e32 v3, s26
	global_store_dwordx2 v[0:1], v[2:3], off
	s_mov_b64 s[26:27], 0
.LBB331_251:
	s_andn2_b64 vcc, exec, s[26:27]
	s_cbranch_vccnz .LBB331_253
; %bb.252:
	v_cndmask_b32_e64 v2, 0, 1, s[18:19]
	global_store_dword v[0:1], v2, off
.LBB331_253:
	s_mov_b64 s[26:27], 0
.LBB331_254:
	s_andn2_b64 vcc, exec, s[26:27]
	s_cbranch_vccnz .LBB331_256
; %bb.255:
	v_cndmask_b32_e64 v2, 0, 1, s[18:19]
	global_store_short v[0:1], v2, off
.LBB331_256:
	s_mov_b64 s[26:27], 0
.LBB331_257:
	s_andn2_b64 vcc, exec, s[26:27]
	s_cbranch_vccnz .LBB331_262
; %bb.258:
	s_mov_b64 s[26:27], -1
	s_cmp_gt_i32 s30, 0
	v_cndmask_b32_e64 v2, 0, 1, s[18:19]
	s_cbranch_scc0 .LBB331_260
; %bb.259:
	global_store_byte v[0:1], v2, off
	s_mov_b64 s[26:27], 0
.LBB331_260:
	s_andn2_b64 vcc, exec, s[26:27]
	s_cbranch_vccnz .LBB331_262
; %bb.261:
	global_store_byte v[0:1], v2, off
.LBB331_262:
	s_mov_b64 s[26:27], -1
.LBB331_263:
	s_andn2_b64 vcc, exec, s[26:27]
	s_cbranch_vccnz .LBB331_265
; %bb.264:
	v_add_u32_e32 v14, 0x80, v14
	s_mov_b64 s[26:27], -1
	s_branch .LBB331_374
.LBB331_265:
	s_mov_b64 s[26:27], 0
                                        ; implicit-def: $vgpr14
	s_branch .LBB331_374
.LBB331_266:
	s_mov_b64 s[20:21], -1
                                        ; implicit-def: $vgpr3
.LBB331_267:
	s_mov_b64 s[18:19], 0
.LBB331_268:
	s_and_b64 vcc, exec, s[18:19]
	s_cbranch_vccz .LBB331_272
; %bb.269:
	s_cmp_eq_u32 s27, 29
	s_cbranch_scc0 .LBB331_271
; %bb.270:
	global_load_dwordx2 v[3:4], v[1:2], off
	s_mov_b64 s[0:1], -1
	s_mov_b64 s[20:21], 0
	s_branch .LBB331_272
.LBB331_271:
	s_mov_b64 s[20:21], -1
                                        ; implicit-def: $vgpr3
.LBB331_272:
	s_mov_b64 s[18:19], 0
.LBB331_273:
	s_and_b64 vcc, exec, s[18:19]
	s_cbranch_vccz .LBB331_289
; %bb.274:
	s_cmp_lt_i32 s27, 27
	s_cbranch_scc1 .LBB331_277
; %bb.275:
	s_cmp_gt_i32 s27, 27
	s_cbranch_scc0 .LBB331_278
; %bb.276:
	global_load_dword v3, v[1:2], off
	s_mov_b64 s[0:1], 0
	s_branch .LBB331_279
.LBB331_277:
	s_mov_b64 s[0:1], -1
                                        ; implicit-def: $vgpr3
	s_branch .LBB331_282
.LBB331_278:
	s_mov_b64 s[0:1], -1
                                        ; implicit-def: $vgpr3
.LBB331_279:
	s_andn2_b64 vcc, exec, s[0:1]
	s_cbranch_vccnz .LBB331_281
; %bb.280:
	global_load_ushort v3, v[1:2], off
.LBB331_281:
	s_mov_b64 s[0:1], 0
.LBB331_282:
	s_andn2_b64 vcc, exec, s[0:1]
	s_cbranch_vccnz .LBB331_288
; %bb.283:
	global_load_ubyte v4, v[1:2], off
	s_movk_i32 s0, 0x7f
	s_mov_b64 s[18:19], 0
	s_waitcnt vmcnt(0)
	v_cmp_lt_i16_e32 vcc, s0, v4
	s_and_saveexec_b64 s[0:1], vcc
	s_xor_b64 s[0:1], exec, s[0:1]
	s_cbranch_execz .LBB331_300
; %bb.284:
	s_movk_i32 s18, 0x80
	v_cmp_ne_u16_e32 vcc, s18, v4
	s_and_b64 s[18:19], vcc, exec
	s_andn2_saveexec_b64 s[0:1], s[0:1]
	s_cbranch_execnz .LBB331_301
.LBB331_285:
	s_or_b64 exec, exec, s[0:1]
	v_mov_b32_e32 v3, 0
	s_and_saveexec_b64 s[0:1], s[18:19]
	s_cbranch_execz .LBB331_287
.LBB331_286:
	v_lshlrev_b32_e32 v3, 24, v4
	v_and_b32_e32 v4, 0xffff, v4
	v_and_b32_e32 v5, 7, v4
	v_ffbh_u32_e32 v7, v5
	v_min_u32_e32 v7, 32, v7
	v_subrev_u32_e32 v8, 28, v7
	v_bfe_u32 v6, v4, 3, 4
	v_lshlrev_b32_e32 v4, v8, v4
	v_sub_u32_e32 v7, 29, v7
	v_and_b32_e32 v4, 7, v4
	v_cmp_eq_u32_e32 vcc, 0, v6
	v_cndmask_b32_e32 v6, v6, v7, vcc
	v_cndmask_b32_e32 v4, v5, v4, vcc
	v_mov_b32_e32 v5, 0x3b800000
	v_lshlrev_b32_e32 v4, 20, v4
	v_and_b32_e32 v3, 0x80000000, v3
	v_lshl_add_u32 v5, v6, 23, v5
	v_or3_b32 v3, v3, v5, v4
	v_cvt_u32_f32_e32 v3, v3
.LBB331_287:
	s_or_b64 exec, exec, s[0:1]
.LBB331_288:
	s_mov_b64 s[0:1], -1
.LBB331_289:
	s_mov_b64 s[18:19], 0
.LBB331_290:
	s_and_b64 vcc, exec, s[18:19]
	s_cbranch_vccz .LBB331_323
; %bb.291:
	s_cmp_gt_i32 s27, 22
	s_cbranch_scc0 .LBB331_299
; %bb.292:
	s_cmp_lt_i32 s27, 24
	s_cbranch_scc1 .LBB331_302
; %bb.293:
	s_cmp_gt_i32 s27, 24
	s_cbranch_scc0 .LBB331_303
; %bb.294:
	global_load_ubyte v4, v[1:2], off
	s_movk_i32 s0, 0x7f
	s_mov_b64 s[18:19], 0
	s_waitcnt vmcnt(0)
	v_cmp_lt_i16_e32 vcc, s0, v4
	s_and_saveexec_b64 s[0:1], vcc
	s_xor_b64 s[0:1], exec, s[0:1]
	s_cbranch_execz .LBB331_315
; %bb.295:
	s_movk_i32 s18, 0x80
	v_cmp_ne_u16_e32 vcc, s18, v4
	s_and_b64 s[18:19], vcc, exec
	s_andn2_saveexec_b64 s[0:1], s[0:1]
	s_cbranch_execnz .LBB331_316
.LBB331_296:
	s_or_b64 exec, exec, s[0:1]
	v_mov_b32_e32 v3, 0
	s_and_saveexec_b64 s[0:1], s[18:19]
	s_cbranch_execz .LBB331_298
.LBB331_297:
	v_lshlrev_b32_e32 v3, 24, v4
	v_and_b32_e32 v4, 0xffff, v4
	v_and_b32_e32 v5, 3, v4
	v_ffbh_u32_e32 v7, v5
	v_min_u32_e32 v7, 32, v7
	v_subrev_u32_e32 v8, 29, v7
	v_bfe_u32 v6, v4, 2, 5
	v_lshlrev_b32_e32 v4, v8, v4
	v_sub_u32_e32 v7, 30, v7
	v_and_b32_e32 v4, 3, v4
	v_cmp_eq_u32_e32 vcc, 0, v6
	v_cndmask_b32_e32 v6, v6, v7, vcc
	v_cndmask_b32_e32 v4, v5, v4, vcc
	v_mov_b32_e32 v5, 0x37800000
	v_lshlrev_b32_e32 v4, 21, v4
	v_and_b32_e32 v3, 0x80000000, v3
	v_lshl_add_u32 v5, v6, 23, v5
	v_or3_b32 v3, v3, v5, v4
	v_cvt_u32_f32_e32 v3, v3
.LBB331_298:
	s_or_b64 exec, exec, s[0:1]
	s_mov_b64 s[0:1], 0
	s_branch .LBB331_304
.LBB331_299:
	s_mov_b64 s[18:19], -1
                                        ; implicit-def: $vgpr3
	s_branch .LBB331_310
.LBB331_300:
	s_andn2_saveexec_b64 s[0:1], s[0:1]
	s_cbranch_execz .LBB331_285
.LBB331_301:
	v_cmp_ne_u16_e32 vcc, 0, v4
	s_andn2_b64 s[18:19], s[18:19], exec
	s_and_b64 s[30:31], vcc, exec
	s_or_b64 s[18:19], s[18:19], s[30:31]
	s_or_b64 exec, exec, s[0:1]
	v_mov_b32_e32 v3, 0
	s_and_saveexec_b64 s[0:1], s[18:19]
	s_cbranch_execnz .LBB331_286
	s_branch .LBB331_287
.LBB331_302:
	s_mov_b64 s[0:1], -1
                                        ; implicit-def: $vgpr3
	s_branch .LBB331_307
.LBB331_303:
	s_mov_b64 s[0:1], -1
                                        ; implicit-def: $vgpr3
.LBB331_304:
	s_and_b64 vcc, exec, s[0:1]
	s_cbranch_vccz .LBB331_306
; %bb.305:
	global_load_ubyte v3, v[1:2], off
	s_mov_b32 s0, 0x7f800000
	s_waitcnt vmcnt(0)
	v_lshlrev_b32_e32 v3, 24, v3
	v_and_b32_e32 v4, 0x7f000000, v3
	v_ffbh_u32_e32 v5, v4
	v_min_u32_e32 v5, 32, v5
	v_sub_u32_e64 v5, v5, 4 clamp
	v_lshlrev_b32_e32 v7, v5, v4
	v_lshlrev_b32_e32 v5, 23, v5
	v_lshrrev_b32_e32 v7, 4, v7
	v_add_u32_e32 v6, 0x1000000, v4
	v_sub_u32_e32 v5, v7, v5
	v_ashrrev_i32_e32 v6, 8, v6
	v_add_u32_e32 v5, 0x3c000000, v5
	v_and_or_b32 v5, v6, s0, v5
	v_cmp_ne_u32_e32 vcc, 0, v4
	v_cndmask_b32_e32 v4, 0, v5, vcc
	s_brev_b32 s0, 1
	v_and_or_b32 v3, v3, s0, v4
	v_cvt_u32_f32_e32 v3, v3
.LBB331_306:
	s_mov_b64 s[0:1], 0
.LBB331_307:
	s_andn2_b64 vcc, exec, s[0:1]
	s_cbranch_vccnz .LBB331_309
; %bb.308:
	global_load_ubyte v3, v[1:2], off
	s_movk_i32 s0, 0x7f00
	s_brev_b32 s1, 16
	s_waitcnt vmcnt(0)
	v_lshlrev_b16_e32 v4, 8, v3
	v_lshlrev_b32_e32 v3, 25, v3
	v_lshrrev_b32_e32 v5, 4, v3
	v_and_or_b32 v6, v4, s0, 0.5
	v_or_b32_e32 v5, 0x70000000, v5
	v_add_f32_e32 v6, -0.5, v6
	v_mul_f32_e32 v5, 0x7800000, v5
	v_cmp_gt_u32_e32 vcc, s1, v3
	v_bfe_i32 v4, v4, 0, 16
	v_cndmask_b32_e32 v3, v5, v6, vcc
	s_brev_b32 s0, 1
	v_and_or_b32 v3, v4, s0, v3
	v_cvt_u32_f32_e32 v3, v3
.LBB331_309:
	s_mov_b64 s[18:19], 0
	s_mov_b64 s[0:1], -1
.LBB331_310:
	s_andn2_b64 vcc, exec, s[18:19]
	s_cbranch_vccnz .LBB331_323
; %bb.311:
	s_cmp_gt_i32 s27, 14
	s_cbranch_scc0 .LBB331_314
; %bb.312:
	s_cmp_eq_u32 s27, 15
	s_cbranch_scc0 .LBB331_317
; %bb.313:
	global_load_ushort v3, v[1:2], off
	s_mov_b64 s[0:1], -1
	s_mov_b64 s[20:21], 0
	s_waitcnt vmcnt(0)
	v_lshlrev_b32_e32 v3, 16, v3
	v_cvt_u32_f32_e32 v3, v3
	s_branch .LBB331_318
.LBB331_314:
	s_mov_b64 s[18:19], -1
                                        ; implicit-def: $vgpr3
	s_branch .LBB331_319
.LBB331_315:
	s_andn2_saveexec_b64 s[0:1], s[0:1]
	s_cbranch_execz .LBB331_296
.LBB331_316:
	v_cmp_ne_u16_e32 vcc, 0, v4
	s_andn2_b64 s[18:19], s[18:19], exec
	s_and_b64 s[30:31], vcc, exec
	s_or_b64 s[18:19], s[18:19], s[30:31]
	s_or_b64 exec, exec, s[0:1]
	v_mov_b32_e32 v3, 0
	s_and_saveexec_b64 s[0:1], s[18:19]
	s_cbranch_execnz .LBB331_297
	s_branch .LBB331_298
.LBB331_317:
	s_mov_b64 s[20:21], -1
                                        ; implicit-def: $vgpr3
.LBB331_318:
	s_mov_b64 s[18:19], 0
.LBB331_319:
	s_and_b64 vcc, exec, s[18:19]
	s_cbranch_vccz .LBB331_323
; %bb.320:
	s_cmp_eq_u32 s27, 11
	s_cbranch_scc0 .LBB331_322
; %bb.321:
	global_load_ubyte v3, v[1:2], off
	s_mov_b64 s[0:1], -1
	s_mov_b64 s[20:21], 0
	s_waitcnt vmcnt(0)
	v_cmp_ne_u16_e32 vcc, 0, v3
	v_cndmask_b32_e64 v3, 0, 1, vcc
	s_branch .LBB331_323
.LBB331_322:
	s_mov_b64 s[20:21], -1
                                        ; implicit-def: $vgpr3
.LBB331_323:
	s_branch .LBB331_20
.LBB331_324:
	s_and_b32 s18, 0xffff, s26
	s_cmp_lt_i32 s18, 5
	s_cbranch_scc1 .LBB331_329
; %bb.325:
	s_cmp_lt_i32 s18, 8
	s_cbranch_scc1 .LBB331_330
; %bb.326:
	s_cmp_lt_i32 s18, 9
	s_cbranch_scc1 .LBB331_331
; %bb.327:
	s_cmp_gt_i32 s18, 9
	s_cbranch_scc0 .LBB331_332
; %bb.328:
	global_load_dwordx2 v[3:4], v[1:2], off
	s_mov_b64 s[0:1], 0
	s_waitcnt vmcnt(0)
	v_cvt_u32_f64_e32 v3, v[3:4]
	s_branch .LBB331_333
.LBB331_329:
	s_mov_b64 s[0:1], -1
                                        ; implicit-def: $vgpr3
	s_branch .LBB331_351
.LBB331_330:
	s_mov_b64 s[0:1], -1
                                        ; implicit-def: $vgpr3
	s_branch .LBB331_339
.LBB331_331:
	s_mov_b64 s[0:1], -1
                                        ; implicit-def: $vgpr3
	s_branch .LBB331_336
.LBB331_332:
	s_mov_b64 s[0:1], -1
                                        ; implicit-def: $vgpr3
.LBB331_333:
	s_andn2_b64 vcc, exec, s[0:1]
	s_cbranch_vccnz .LBB331_335
; %bb.334:
	global_load_dword v3, v[1:2], off
	s_waitcnt vmcnt(0)
	v_cvt_u32_f32_e32 v3, v3
.LBB331_335:
	s_mov_b64 s[0:1], 0
.LBB331_336:
	s_andn2_b64 vcc, exec, s[0:1]
	s_cbranch_vccnz .LBB331_338
; %bb.337:
	global_load_dword v3, v[1:2], off
	s_waitcnt vmcnt(0)
	v_cvt_u16_f16_e32 v3, v3
.LBB331_338:
	s_mov_b64 s[0:1], 0
.LBB331_339:
	s_andn2_b64 vcc, exec, s[0:1]
	s_cbranch_vccnz .LBB331_350
; %bb.340:
	s_cmp_lt_i32 s18, 6
	s_cbranch_scc1 .LBB331_343
; %bb.341:
	s_cmp_gt_i32 s18, 6
	s_cbranch_scc0 .LBB331_344
; %bb.342:
	global_load_dwordx2 v[3:4], v[1:2], off
	s_mov_b64 s[0:1], 0
	s_waitcnt vmcnt(0)
	v_cvt_u32_f64_e32 v3, v[3:4]
	s_branch .LBB331_345
.LBB331_343:
	s_mov_b64 s[0:1], -1
                                        ; implicit-def: $vgpr3
	s_branch .LBB331_348
.LBB331_344:
	s_mov_b64 s[0:1], -1
                                        ; implicit-def: $vgpr3
.LBB331_345:
	s_andn2_b64 vcc, exec, s[0:1]
	s_cbranch_vccnz .LBB331_347
; %bb.346:
	global_load_dword v3, v[1:2], off
	s_waitcnt vmcnt(0)
	v_cvt_u32_f32_e32 v3, v3
.LBB331_347:
	s_mov_b64 s[0:1], 0
.LBB331_348:
	s_andn2_b64 vcc, exec, s[0:1]
	s_cbranch_vccnz .LBB331_350
; %bb.349:
	global_load_ushort v3, v[1:2], off
	s_waitcnt vmcnt(0)
	v_cvt_u16_f16_e32 v3, v3
.LBB331_350:
	s_mov_b64 s[0:1], 0
.LBB331_351:
	s_andn2_b64 vcc, exec, s[0:1]
	s_cbranch_vccnz .LBB331_371
; %bb.352:
	s_cmp_lt_i32 s18, 2
	s_cbranch_scc1 .LBB331_356
; %bb.353:
	s_cmp_lt_i32 s18, 3
	s_cbranch_scc1 .LBB331_357
; %bb.354:
	s_cmp_gt_i32 s18, 3
	s_cbranch_scc0 .LBB331_358
; %bb.355:
	global_load_dwordx2 v[3:4], v[1:2], off
	s_mov_b64 s[0:1], 0
	s_branch .LBB331_359
.LBB331_356:
	s_mov_b64 s[0:1], -1
                                        ; implicit-def: $vgpr3
	s_branch .LBB331_365
.LBB331_357:
	s_mov_b64 s[0:1], -1
                                        ; implicit-def: $vgpr3
	s_branch .LBB331_362
.LBB331_358:
	s_mov_b64 s[0:1], -1
                                        ; implicit-def: $vgpr3
.LBB331_359:
	s_andn2_b64 vcc, exec, s[0:1]
	s_cbranch_vccnz .LBB331_361
; %bb.360:
	global_load_dword v3, v[1:2], off
.LBB331_361:
	s_mov_b64 s[0:1], 0
.LBB331_362:
	s_andn2_b64 vcc, exec, s[0:1]
	s_cbranch_vccnz .LBB331_364
; %bb.363:
	global_load_ushort v3, v[1:2], off
.LBB331_364:
	s_mov_b64 s[0:1], 0
.LBB331_365:
	s_andn2_b64 vcc, exec, s[0:1]
	s_cbranch_vccnz .LBB331_371
; %bb.366:
	s_cmp_gt_i32 s18, 0
	s_cbranch_scc0 .LBB331_368
; %bb.367:
	global_load_sbyte v3, v[1:2], off
	s_mov_b64 s[0:1], 0
	s_branch .LBB331_369
.LBB331_368:
	s_mov_b64 s[0:1], -1
                                        ; implicit-def: $vgpr3
.LBB331_369:
	s_andn2_b64 vcc, exec, s[0:1]
	s_cbranch_vccnz .LBB331_371
; %bb.370:
	global_load_ubyte v3, v[1:2], off
.LBB331_371:
	s_branch .LBB331_21
.LBB331_372:
	s_mov_b64 s[0:1], 0
.LBB331_373:
                                        ; implicit-def: $vgpr14
	s_mov_b64 s[26:27], 0
.LBB331_374:
	s_and_b64 s[18:19], s[0:1], exec
	s_and_b64 s[20:21], s[20:21], exec
	;; [unrolled: 1-line block ×3, first 2 shown]
	s_orn2_b64 s[0:1], s[26:27], exec
.LBB331_375:
	s_or_b64 exec, exec, s[24:25]
	s_mov_b64 s[34:35], 0
	s_mov_b64 s[30:31], 0
                                        ; implicit-def: $sgpr58
                                        ; implicit-def: $vgpr2_vgpr3
                                        ; implicit-def: $vgpr0
	s_and_saveexec_b64 s[24:25], s[0:1]
	s_cbranch_execz .LBB331_384
; %bb.376:
	v_cmp_gt_i32_e32 vcc, s50, v14
	s_mov_b64 s[0:1], -1
	s_mov_b64 s[26:27], s[22:23]
	s_mov_b64 s[28:29], s[20:21]
	;; [unrolled: 1-line block ×3, first 2 shown]
	s_and_saveexec_b64 s[34:35], vcc
	s_cbranch_execz .LBB331_757
; %bb.377:
	s_waitcnt vmcnt(0)
	v_mul_lo_u32 v0, v14, s13
	v_mov_b32_e32 v1, s11
	s_and_b32 s30, s57, 0xff
	s_cmp_lt_i32 s30, 11
	v_ashrrev_i32_e32 v3, 31, v0
	v_add_co_u32_e32 v2, vcc, s10, v0
	v_addc_co_u32_e32 v3, vcc, v1, v3, vcc
	s_cbranch_scc1 .LBB331_387
; %bb.378:
	s_and_b32 s31, 0xffff, s30
	s_cmp_gt_i32 s31, 25
	s_cbranch_scc0 .LBB331_396
; %bb.379:
	s_cmp_gt_i32 s31, 28
	s_cbranch_scc0 .LBB331_398
; %bb.380:
	s_cmp_gt_i32 s31, 43
	s_cbranch_scc0 .LBB331_400
; %bb.381:
	s_cmp_gt_i32 s31, 45
	s_cbranch_scc0 .LBB331_402
; %bb.382:
	s_cmp_eq_u32 s31, 46
	s_mov_b64 s[28:29], 0
	s_cbranch_scc0 .LBB331_406
; %bb.383:
	global_load_dword v0, v[2:3], off
	s_mov_b64 s[26:27], 0
	s_waitcnt vmcnt(0)
	v_lshlrev_b32_e32 v0, 16, v0
	v_cvt_u32_f32_e32 v0, v0
	s_branch .LBB331_407
.LBB331_384:
	s_or_b64 exec, exec, s[24:25]
	s_mov_b64 s[24:25], 0
	s_and_saveexec_b64 s[0:1], s[22:23]
	s_cbranch_execnz .LBB331_1220
.LBB331_385:
	s_or_b64 exec, exec, s[0:1]
	s_and_saveexec_b64 s[0:1], s[28:29]
	s_xor_b64 s[0:1], exec, s[0:1]
	s_cbranch_execz .LBB331_1221
.LBB331_386:
	s_waitcnt vmcnt(0)
	global_load_ubyte v0, v[2:3], off
	s_or_b64 s[30:31], s[30:31], exec
	s_waitcnt vmcnt(0)
	v_cmp_ne_u16_e32 vcc, 0, v0
	v_cndmask_b32_e64 v0, 0, 1, vcc
	s_or_b64 exec, exec, s[0:1]
	s_and_saveexec_b64 s[0:1], s[34:35]
	s_cbranch_execz .LBB331_1267
	s_branch .LBB331_1222
.LBB331_387:
	s_mov_b64 s[0:1], 0
                                        ; implicit-def: $vgpr0
	s_mov_b64 s[26:27], s[22:23]
	s_cbranch_execnz .LBB331_469
.LBB331_388:
	s_andn2_b64 vcc, exec, s[0:1]
	s_cbranch_vccnz .LBB331_517
.LBB331_389:
	s_waitcnt vmcnt(0)
	v_mul_lo_u32 v1, v14, s14
	v_mov_b32_e32 v2, s3
	s_and_b32 s36, s56, 0xff
	s_cmp_lt_i32 s36, 11
	v_ashrrev_i32_e32 v3, 31, v1
	v_add_co_u32_e32 v1, vcc, s2, v1
	v_addc_co_u32_e32 v2, vcc, v2, v3, vcc
	s_cbranch_scc1 .LBB331_397
; %bb.390:
	s_and_b32 s37, 0xffff, s36
	s_cmp_gt_i32 s37, 25
	s_cbranch_scc0 .LBB331_399
; %bb.391:
	s_cmp_gt_i32 s37, 28
	s_cbranch_scc0 .LBB331_401
; %bb.392:
	;; [unrolled: 3-line block ×4, first 2 shown]
	s_cmp_eq_u32 s37, 46
	s_mov_b64 s[30:31], 0
	s_cbranch_scc0 .LBB331_521
; %bb.395:
	global_load_dword v3, v[1:2], off
	s_mov_b64 s[0:1], -1
	s_mov_b64 s[28:29], 0
	s_waitcnt vmcnt(0)
	v_lshlrev_b32_e32 v3, 16, v3
	v_cvt_u32_f32_e32 v3, v3
	s_branch .LBB331_522
.LBB331_396:
	s_mov_b64 s[28:29], -1
	s_mov_b64 s[0:1], 0
	s_mov_b64 s[26:27], s[22:23]
                                        ; implicit-def: $vgpr0
	s_branch .LBB331_435
.LBB331_397:
	s_mov_b64 s[30:31], -1
	s_mov_b64 s[0:1], 0
                                        ; implicit-def: $vgpr3
	s_mov_b64 s[28:29], s[20:21]
	s_branch .LBB331_583
.LBB331_398:
	s_mov_b64 s[28:29], -1
	s_mov_b64 s[0:1], 0
	s_mov_b64 s[26:27], s[22:23]
                                        ; implicit-def: $vgpr0
	s_branch .LBB331_418
.LBB331_399:
	s_mov_b64 s[30:31], -1
	s_mov_b64 s[0:1], 0
	s_mov_b64 s[28:29], s[20:21]
                                        ; implicit-def: $vgpr3
	s_branch .LBB331_549
.LBB331_400:
	s_mov_b64 s[28:29], -1
	s_mov_b64 s[0:1], 0
	s_mov_b64 s[26:27], s[22:23]
                                        ; implicit-def: $vgpr0
	s_branch .LBB331_413
.LBB331_401:
	s_mov_b64 s[30:31], -1
	s_mov_b64 s[0:1], 0
	s_mov_b64 s[28:29], s[20:21]
                                        ; implicit-def: $vgpr3
	s_branch .LBB331_532
.LBB331_402:
	s_mov_b64 s[28:29], -1
	s_mov_b64 s[0:1], 0
	s_mov_b64 s[26:27], s[22:23]
                                        ; implicit-def: $vgpr0
	s_branch .LBB331_407
.LBB331_403:
	s_mov_b64 s[30:31], -1
	s_mov_b64 s[0:1], 0
	s_mov_b64 s[28:29], s[20:21]
                                        ; implicit-def: $vgpr3
	s_branch .LBB331_527
.LBB331_404:
	s_andn2_saveexec_b64 s[34:35], s[34:35]
	s_cbranch_execz .LBB331_176
.LBB331_405:
	v_add_f32_e32 v2, 0x46000000, v3
	v_and_b32_e32 v2, 0xff, v2
	v_cmp_ne_u32_e32 vcc, 0, v2
	s_andn2_b64 s[30:31], s[30:31], exec
	s_and_b64 s[38:39], vcc, exec
	s_or_b64 s[30:31], s[30:31], s[38:39]
	s_or_b64 exec, exec, s[34:35]
	v_mov_b32_e32 v4, 0
	s_and_saveexec_b64 s[34:35], s[30:31]
	s_cbranch_execnz .LBB331_177
	s_branch .LBB331_178
.LBB331_406:
	s_mov_b64 s[26:27], -1
                                        ; implicit-def: $vgpr0
	s_mov_b64 s[0:1], 0
.LBB331_407:
	s_and_b64 vcc, exec, s[28:29]
	s_cbranch_vccz .LBB331_412
; %bb.408:
	s_cmp_eq_u32 s31, 44
	s_cbranch_scc0 .LBB331_411
; %bb.409:
	global_load_ubyte v0, v[2:3], off
	s_mov_b64 s[0:1], -1
	s_mov_b64 s[26:27], 0
	s_waitcnt vmcnt(0)
	v_lshlrev_b32_e32 v1, 23, v0
	v_cvt_u32_f32_e32 v1, v1
	v_cmp_ne_u32_e32 vcc, 0, v0
	v_cndmask_b32_e32 v0, 0, v1, vcc
	s_branch .LBB331_412
.LBB331_410:
	s_mov_b64 s[30:31], -1
	s_mov_b64 s[0:1], 0
	s_mov_b64 s[28:29], s[20:21]
                                        ; implicit-def: $vgpr3
	s_branch .LBB331_522
.LBB331_411:
	s_mov_b64 s[26:27], -1
                                        ; implicit-def: $vgpr0
.LBB331_412:
	s_mov_b64 s[28:29], 0
.LBB331_413:
	s_and_b64 vcc, exec, s[28:29]
	s_cbranch_vccz .LBB331_417
; %bb.414:
	s_cmp_eq_u32 s31, 29
	s_cbranch_scc0 .LBB331_416
; %bb.415:
	global_load_dwordx2 v[0:1], v[2:3], off
	s_mov_b64 s[0:1], -1
	s_mov_b64 s[26:27], 0
	s_branch .LBB331_417
.LBB331_416:
	s_mov_b64 s[26:27], -1
                                        ; implicit-def: $vgpr0
.LBB331_417:
	s_mov_b64 s[28:29], 0
.LBB331_418:
	s_and_b64 vcc, exec, s[28:29]
	s_cbranch_vccz .LBB331_434
; %bb.419:
	s_cmp_lt_i32 s31, 27
	s_cbranch_scc1 .LBB331_422
; %bb.420:
	s_cmp_gt_i32 s31, 27
	s_cbranch_scc0 .LBB331_423
; %bb.421:
	global_load_dword v0, v[2:3], off
	s_mov_b64 s[0:1], 0
	s_branch .LBB331_424
.LBB331_422:
	s_mov_b64 s[0:1], -1
                                        ; implicit-def: $vgpr0
	s_branch .LBB331_427
.LBB331_423:
	s_mov_b64 s[0:1], -1
                                        ; implicit-def: $vgpr0
.LBB331_424:
	s_andn2_b64 vcc, exec, s[0:1]
	s_cbranch_vccnz .LBB331_426
; %bb.425:
	global_load_ushort v0, v[2:3], off
.LBB331_426:
	s_mov_b64 s[0:1], 0
.LBB331_427:
	s_andn2_b64 vcc, exec, s[0:1]
	s_cbranch_vccnz .LBB331_433
; %bb.428:
	global_load_ubyte v1, v[2:3], off
	s_movk_i32 s0, 0x7f
	s_mov_b64 s[28:29], 0
	s_waitcnt vmcnt(0)
	v_cmp_lt_i16_e32 vcc, s0, v1
	s_and_saveexec_b64 s[0:1], vcc
	s_xor_b64 s[0:1], exec, s[0:1]
	s_cbranch_execz .LBB331_445
; %bb.429:
	s_movk_i32 s28, 0x80
	v_cmp_ne_u16_e32 vcc, s28, v1
	s_and_b64 s[28:29], vcc, exec
	s_andn2_saveexec_b64 s[0:1], s[0:1]
	s_cbranch_execnz .LBB331_446
.LBB331_430:
	s_or_b64 exec, exec, s[0:1]
	v_mov_b32_e32 v0, 0
	s_and_saveexec_b64 s[0:1], s[28:29]
	s_cbranch_execz .LBB331_432
.LBB331_431:
	v_lshlrev_b32_e32 v0, 24, v1
	v_and_b32_e32 v1, 0xffff, v1
	v_and_b32_e32 v4, 7, v1
	v_ffbh_u32_e32 v6, v4
	v_min_u32_e32 v6, 32, v6
	v_subrev_u32_e32 v7, 28, v6
	v_bfe_u32 v5, v1, 3, 4
	v_lshlrev_b32_e32 v1, v7, v1
	v_sub_u32_e32 v6, 29, v6
	v_and_b32_e32 v1, 7, v1
	v_cmp_eq_u32_e32 vcc, 0, v5
	v_cndmask_b32_e32 v5, v5, v6, vcc
	v_cndmask_b32_e32 v1, v4, v1, vcc
	v_mov_b32_e32 v4, 0x3b800000
	v_lshlrev_b32_e32 v1, 20, v1
	v_and_b32_e32 v0, 0x80000000, v0
	v_lshl_add_u32 v4, v5, 23, v4
	v_or3_b32 v0, v0, v4, v1
	v_cvt_u32_f32_e32 v0, v0
.LBB331_432:
	s_or_b64 exec, exec, s[0:1]
.LBB331_433:
	s_mov_b64 s[0:1], -1
.LBB331_434:
	s_mov_b64 s[28:29], 0
.LBB331_435:
	s_and_b64 vcc, exec, s[28:29]
	s_cbranch_vccz .LBB331_468
; %bb.436:
	s_cmp_gt_i32 s31, 22
	s_cbranch_scc0 .LBB331_444
; %bb.437:
	s_cmp_lt_i32 s31, 24
	s_cbranch_scc1 .LBB331_447
; %bb.438:
	s_cmp_gt_i32 s31, 24
	s_cbranch_scc0 .LBB331_448
; %bb.439:
	global_load_ubyte v1, v[2:3], off
	s_movk_i32 s0, 0x7f
	s_mov_b64 s[28:29], 0
	s_waitcnt vmcnt(0)
	v_cmp_lt_i16_e32 vcc, s0, v1
	s_and_saveexec_b64 s[0:1], vcc
	s_xor_b64 s[0:1], exec, s[0:1]
	s_cbranch_execz .LBB331_460
; %bb.440:
	s_movk_i32 s28, 0x80
	v_cmp_ne_u16_e32 vcc, s28, v1
	s_and_b64 s[28:29], vcc, exec
	s_andn2_saveexec_b64 s[0:1], s[0:1]
	s_cbranch_execnz .LBB331_461
.LBB331_441:
	s_or_b64 exec, exec, s[0:1]
	v_mov_b32_e32 v0, 0
	s_and_saveexec_b64 s[0:1], s[28:29]
	s_cbranch_execz .LBB331_443
.LBB331_442:
	v_lshlrev_b32_e32 v0, 24, v1
	v_and_b32_e32 v1, 0xffff, v1
	v_and_b32_e32 v4, 3, v1
	v_ffbh_u32_e32 v6, v4
	v_min_u32_e32 v6, 32, v6
	v_subrev_u32_e32 v7, 29, v6
	v_bfe_u32 v5, v1, 2, 5
	v_lshlrev_b32_e32 v1, v7, v1
	v_sub_u32_e32 v6, 30, v6
	v_and_b32_e32 v1, 3, v1
	v_cmp_eq_u32_e32 vcc, 0, v5
	v_cndmask_b32_e32 v5, v5, v6, vcc
	v_cndmask_b32_e32 v1, v4, v1, vcc
	v_mov_b32_e32 v4, 0x37800000
	v_lshlrev_b32_e32 v1, 21, v1
	v_and_b32_e32 v0, 0x80000000, v0
	v_lshl_add_u32 v4, v5, 23, v4
	v_or3_b32 v0, v0, v4, v1
	v_cvt_u32_f32_e32 v0, v0
.LBB331_443:
	s_or_b64 exec, exec, s[0:1]
	s_mov_b64 s[0:1], 0
	s_branch .LBB331_449
.LBB331_444:
	s_mov_b64 s[28:29], -1
                                        ; implicit-def: $vgpr0
	s_branch .LBB331_455
.LBB331_445:
	s_andn2_saveexec_b64 s[0:1], s[0:1]
	s_cbranch_execz .LBB331_430
.LBB331_446:
	v_cmp_ne_u16_e32 vcc, 0, v1
	s_andn2_b64 s[28:29], s[28:29], exec
	s_and_b64 s[36:37], vcc, exec
	s_or_b64 s[28:29], s[28:29], s[36:37]
	s_or_b64 exec, exec, s[0:1]
	v_mov_b32_e32 v0, 0
	s_and_saveexec_b64 s[0:1], s[28:29]
	s_cbranch_execnz .LBB331_431
	s_branch .LBB331_432
.LBB331_447:
	s_mov_b64 s[0:1], -1
                                        ; implicit-def: $vgpr0
	s_branch .LBB331_452
.LBB331_448:
	s_mov_b64 s[0:1], -1
                                        ; implicit-def: $vgpr0
.LBB331_449:
	s_and_b64 vcc, exec, s[0:1]
	s_cbranch_vccz .LBB331_451
; %bb.450:
	global_load_ubyte v0, v[2:3], off
	s_mov_b32 s0, 0x7f800000
	s_waitcnt vmcnt(0)
	v_lshlrev_b32_e32 v0, 24, v0
	v_and_b32_e32 v1, 0x7f000000, v0
	v_ffbh_u32_e32 v4, v1
	v_min_u32_e32 v4, 32, v4
	v_sub_u32_e64 v4, v4, 4 clamp
	v_lshlrev_b32_e32 v6, v4, v1
	v_lshlrev_b32_e32 v4, 23, v4
	v_lshrrev_b32_e32 v6, 4, v6
	v_add_u32_e32 v5, 0x1000000, v1
	v_sub_u32_e32 v4, v6, v4
	v_ashrrev_i32_e32 v5, 8, v5
	v_add_u32_e32 v4, 0x3c000000, v4
	v_and_or_b32 v4, v5, s0, v4
	v_cmp_ne_u32_e32 vcc, 0, v1
	v_cndmask_b32_e32 v1, 0, v4, vcc
	s_brev_b32 s0, 1
	v_and_or_b32 v0, v0, s0, v1
	v_cvt_u32_f32_e32 v0, v0
.LBB331_451:
	s_mov_b64 s[0:1], 0
.LBB331_452:
	s_andn2_b64 vcc, exec, s[0:1]
	s_cbranch_vccnz .LBB331_454
; %bb.453:
	global_load_ubyte v0, v[2:3], off
	s_movk_i32 s0, 0x7f00
	s_brev_b32 s1, 16
	s_waitcnt vmcnt(0)
	v_lshlrev_b16_e32 v1, 8, v0
	v_lshlrev_b32_e32 v0, 25, v0
	v_lshrrev_b32_e32 v4, 4, v0
	v_and_or_b32 v5, v1, s0, 0.5
	v_or_b32_e32 v4, 0x70000000, v4
	v_add_f32_e32 v5, -0.5, v5
	v_mul_f32_e32 v4, 0x7800000, v4
	v_cmp_gt_u32_e32 vcc, s1, v0
	v_bfe_i32 v1, v1, 0, 16
	v_cndmask_b32_e32 v0, v4, v5, vcc
	s_brev_b32 s0, 1
	v_and_or_b32 v0, v1, s0, v0
	v_cvt_u32_f32_e32 v0, v0
.LBB331_454:
	s_mov_b64 s[28:29], 0
	s_mov_b64 s[0:1], -1
.LBB331_455:
	s_andn2_b64 vcc, exec, s[28:29]
	s_cbranch_vccnz .LBB331_468
; %bb.456:
	s_cmp_gt_i32 s31, 14
	s_cbranch_scc0 .LBB331_459
; %bb.457:
	s_cmp_eq_u32 s31, 15
	s_cbranch_scc0 .LBB331_462
; %bb.458:
	global_load_ushort v0, v[2:3], off
	s_mov_b64 s[0:1], -1
	s_mov_b64 s[26:27], 0
	s_waitcnt vmcnt(0)
	v_lshlrev_b32_e32 v0, 16, v0
	v_cvt_u32_f32_e32 v0, v0
	s_branch .LBB331_463
.LBB331_459:
	s_mov_b64 s[28:29], -1
                                        ; implicit-def: $vgpr0
	s_branch .LBB331_464
.LBB331_460:
	s_andn2_saveexec_b64 s[0:1], s[0:1]
	s_cbranch_execz .LBB331_441
.LBB331_461:
	v_cmp_ne_u16_e32 vcc, 0, v1
	s_andn2_b64 s[28:29], s[28:29], exec
	s_and_b64 s[36:37], vcc, exec
	s_or_b64 s[28:29], s[28:29], s[36:37]
	s_or_b64 exec, exec, s[0:1]
	v_mov_b32_e32 v0, 0
	s_and_saveexec_b64 s[0:1], s[28:29]
	s_cbranch_execnz .LBB331_442
	s_branch .LBB331_443
.LBB331_462:
	s_mov_b64 s[26:27], -1
                                        ; implicit-def: $vgpr0
.LBB331_463:
	s_mov_b64 s[28:29], 0
.LBB331_464:
	s_and_b64 vcc, exec, s[28:29]
	s_cbranch_vccz .LBB331_468
; %bb.465:
	s_cmp_eq_u32 s31, 11
	s_cbranch_scc0 .LBB331_467
; %bb.466:
	global_load_ubyte v0, v[2:3], off
	s_mov_b64 s[0:1], -1
	s_mov_b64 s[26:27], 0
	s_waitcnt vmcnt(0)
	v_cmp_ne_u16_e32 vcc, 0, v0
	v_cndmask_b32_e64 v0, 0, 1, vcc
	s_branch .LBB331_468
.LBB331_467:
	s_mov_b64 s[26:27], -1
                                        ; implicit-def: $vgpr0
.LBB331_468:
	s_branch .LBB331_388
.LBB331_469:
	s_and_b32 s28, 0xffff, s30
	s_cmp_lt_i32 s28, 5
	s_cbranch_scc1 .LBB331_474
; %bb.470:
	s_cmp_lt_i32 s28, 8
	s_cbranch_scc1 .LBB331_475
; %bb.471:
	;; [unrolled: 3-line block ×3, first 2 shown]
	s_cmp_gt_i32 s28, 9
	s_cbranch_scc0 .LBB331_477
; %bb.473:
	global_load_dwordx2 v[0:1], v[2:3], off
	s_mov_b64 s[0:1], 0
	s_waitcnt vmcnt(0)
	v_cvt_u32_f64_e32 v0, v[0:1]
	s_branch .LBB331_478
.LBB331_474:
	s_mov_b64 s[0:1], -1
                                        ; implicit-def: $vgpr0
	s_branch .LBB331_496
.LBB331_475:
	s_mov_b64 s[0:1], -1
                                        ; implicit-def: $vgpr0
	s_branch .LBB331_484
.LBB331_476:
	s_mov_b64 s[0:1], -1
                                        ; implicit-def: $vgpr0
	s_branch .LBB331_481
.LBB331_477:
	s_mov_b64 s[0:1], -1
                                        ; implicit-def: $vgpr0
.LBB331_478:
	s_andn2_b64 vcc, exec, s[0:1]
	s_cbranch_vccnz .LBB331_480
; %bb.479:
	global_load_dword v0, v[2:3], off
	s_waitcnt vmcnt(0)
	v_cvt_u32_f32_e32 v0, v0
.LBB331_480:
	s_mov_b64 s[0:1], 0
.LBB331_481:
	s_andn2_b64 vcc, exec, s[0:1]
	s_cbranch_vccnz .LBB331_483
; %bb.482:
	global_load_dword v0, v[2:3], off
	s_waitcnt vmcnt(0)
	v_cvt_u16_f16_e32 v0, v0
.LBB331_483:
	s_mov_b64 s[0:1], 0
.LBB331_484:
	s_andn2_b64 vcc, exec, s[0:1]
	s_cbranch_vccnz .LBB331_495
; %bb.485:
	s_cmp_lt_i32 s28, 6
	s_cbranch_scc1 .LBB331_488
; %bb.486:
	s_cmp_gt_i32 s28, 6
	s_cbranch_scc0 .LBB331_489
; %bb.487:
	global_load_dwordx2 v[0:1], v[2:3], off
	s_mov_b64 s[0:1], 0
	s_waitcnt vmcnt(0)
	v_cvt_u32_f64_e32 v0, v[0:1]
	s_branch .LBB331_490
.LBB331_488:
	s_mov_b64 s[0:1], -1
                                        ; implicit-def: $vgpr0
	s_branch .LBB331_493
.LBB331_489:
	s_mov_b64 s[0:1], -1
                                        ; implicit-def: $vgpr0
.LBB331_490:
	s_andn2_b64 vcc, exec, s[0:1]
	s_cbranch_vccnz .LBB331_492
; %bb.491:
	global_load_dword v0, v[2:3], off
	s_waitcnt vmcnt(0)
	v_cvt_u32_f32_e32 v0, v0
.LBB331_492:
	s_mov_b64 s[0:1], 0
.LBB331_493:
	s_andn2_b64 vcc, exec, s[0:1]
	s_cbranch_vccnz .LBB331_495
; %bb.494:
	global_load_ushort v0, v[2:3], off
	s_waitcnt vmcnt(0)
	v_cvt_u16_f16_e32 v0, v0
.LBB331_495:
	s_mov_b64 s[0:1], 0
.LBB331_496:
	s_andn2_b64 vcc, exec, s[0:1]
	s_cbranch_vccnz .LBB331_516
; %bb.497:
	s_cmp_lt_i32 s28, 2
	s_cbranch_scc1 .LBB331_501
; %bb.498:
	s_cmp_lt_i32 s28, 3
	s_cbranch_scc1 .LBB331_502
; %bb.499:
	s_cmp_gt_i32 s28, 3
	s_cbranch_scc0 .LBB331_503
; %bb.500:
	global_load_dwordx2 v[0:1], v[2:3], off
	s_mov_b64 s[0:1], 0
	s_branch .LBB331_504
.LBB331_501:
	s_mov_b64 s[0:1], -1
                                        ; implicit-def: $vgpr0
	s_branch .LBB331_510
.LBB331_502:
	s_mov_b64 s[0:1], -1
                                        ; implicit-def: $vgpr0
	s_branch .LBB331_507
.LBB331_503:
	s_mov_b64 s[0:1], -1
                                        ; implicit-def: $vgpr0
.LBB331_504:
	s_andn2_b64 vcc, exec, s[0:1]
	s_cbranch_vccnz .LBB331_506
; %bb.505:
	global_load_dword v0, v[2:3], off
.LBB331_506:
	s_mov_b64 s[0:1], 0
.LBB331_507:
	s_andn2_b64 vcc, exec, s[0:1]
	s_cbranch_vccnz .LBB331_509
; %bb.508:
	global_load_ushort v0, v[2:3], off
.LBB331_509:
	s_mov_b64 s[0:1], 0
.LBB331_510:
	s_andn2_b64 vcc, exec, s[0:1]
	s_cbranch_vccnz .LBB331_516
; %bb.511:
	s_cmp_gt_i32 s28, 0
	s_cbranch_scc0 .LBB331_513
; %bb.512:
	global_load_sbyte v0, v[2:3], off
	s_mov_b64 s[0:1], 0
	s_branch .LBB331_514
.LBB331_513:
	s_mov_b64 s[0:1], -1
                                        ; implicit-def: $vgpr0
.LBB331_514:
	s_andn2_b64 vcc, exec, s[0:1]
	s_cbranch_vccnz .LBB331_516
; %bb.515:
	global_load_ubyte v0, v[2:3], off
.LBB331_516:
	s_branch .LBB331_389
.LBB331_517:
	s_mov_b64 s[36:37], 0
	s_mov_b64 s[0:1], s[18:19]
	;; [unrolled: 1-line block ×3, first 2 shown]
.LBB331_518:
                                        ; implicit-def: $vgpr14
	s_branch .LBB331_756
.LBB331_519:
	s_andn2_saveexec_b64 s[34:35], s[34:35]
	s_cbranch_execz .LBB331_189
.LBB331_520:
	v_add_f32_e32 v2, 0x42800000, v3
	v_and_b32_e32 v2, 0xff, v2
	v_cmp_ne_u32_e32 vcc, 0, v2
	s_andn2_b64 s[30:31], s[30:31], exec
	s_and_b64 s[38:39], vcc, exec
	s_or_b64 s[30:31], s[30:31], s[38:39]
	s_or_b64 exec, exec, s[34:35]
	v_mov_b32_e32 v4, 0
	s_and_saveexec_b64 s[34:35], s[30:31]
	s_cbranch_execnz .LBB331_190
	s_branch .LBB331_191
.LBB331_521:
	s_mov_b64 s[28:29], -1
                                        ; implicit-def: $vgpr3
	s_mov_b64 s[0:1], 0
.LBB331_522:
	s_and_b64 vcc, exec, s[30:31]
	s_cbranch_vccz .LBB331_526
; %bb.523:
	s_cmp_eq_u32 s37, 44
	s_cbranch_scc0 .LBB331_525
; %bb.524:
	global_load_ubyte v3, v[1:2], off
	s_mov_b64 s[0:1], -1
	s_mov_b64 s[28:29], 0
	s_waitcnt vmcnt(0)
	v_lshlrev_b32_e32 v4, 23, v3
	v_cvt_u32_f32_e32 v4, v4
	v_cmp_ne_u32_e32 vcc, 0, v3
	v_cndmask_b32_e32 v3, 0, v4, vcc
	s_branch .LBB331_526
.LBB331_525:
	s_mov_b64 s[28:29], -1
                                        ; implicit-def: $vgpr3
.LBB331_526:
	s_mov_b64 s[30:31], 0
.LBB331_527:
	s_and_b64 vcc, exec, s[30:31]
	s_cbranch_vccz .LBB331_531
; %bb.528:
	s_cmp_eq_u32 s37, 29
	s_cbranch_scc0 .LBB331_530
; %bb.529:
	global_load_dwordx2 v[3:4], v[1:2], off
	s_mov_b64 s[0:1], -1
	s_mov_b64 s[28:29], 0
	s_branch .LBB331_531
.LBB331_530:
	s_mov_b64 s[28:29], -1
                                        ; implicit-def: $vgpr3
.LBB331_531:
	s_mov_b64 s[30:31], 0
.LBB331_532:
	s_and_b64 vcc, exec, s[30:31]
	s_cbranch_vccz .LBB331_548
; %bb.533:
	s_cmp_lt_i32 s37, 27
	s_cbranch_scc1 .LBB331_536
; %bb.534:
	s_cmp_gt_i32 s37, 27
	s_cbranch_scc0 .LBB331_537
; %bb.535:
	global_load_dword v3, v[1:2], off
	s_mov_b64 s[0:1], 0
	s_branch .LBB331_538
.LBB331_536:
	s_mov_b64 s[0:1], -1
                                        ; implicit-def: $vgpr3
	s_branch .LBB331_541
.LBB331_537:
	s_mov_b64 s[0:1], -1
                                        ; implicit-def: $vgpr3
.LBB331_538:
	s_andn2_b64 vcc, exec, s[0:1]
	s_cbranch_vccnz .LBB331_540
; %bb.539:
	global_load_ushort v3, v[1:2], off
.LBB331_540:
	s_mov_b64 s[0:1], 0
.LBB331_541:
	s_andn2_b64 vcc, exec, s[0:1]
	s_cbranch_vccnz .LBB331_547
; %bb.542:
	global_load_ubyte v4, v[1:2], off
	s_movk_i32 s0, 0x7f
	s_mov_b64 s[30:31], 0
	s_waitcnt vmcnt(0)
	v_cmp_lt_i16_e32 vcc, s0, v4
	s_and_saveexec_b64 s[0:1], vcc
	s_xor_b64 s[0:1], exec, s[0:1]
	s_cbranch_execz .LBB331_559
; %bb.543:
	s_movk_i32 s30, 0x80
	v_cmp_ne_u16_e32 vcc, s30, v4
	s_and_b64 s[30:31], vcc, exec
	s_andn2_saveexec_b64 s[0:1], s[0:1]
	s_cbranch_execnz .LBB331_560
.LBB331_544:
	s_or_b64 exec, exec, s[0:1]
	v_mov_b32_e32 v3, 0
	s_and_saveexec_b64 s[0:1], s[30:31]
	s_cbranch_execz .LBB331_546
.LBB331_545:
	v_lshlrev_b32_e32 v3, 24, v4
	v_and_b32_e32 v4, 0xffff, v4
	v_and_b32_e32 v5, 7, v4
	v_ffbh_u32_e32 v7, v5
	v_min_u32_e32 v7, 32, v7
	v_subrev_u32_e32 v8, 28, v7
	v_bfe_u32 v6, v4, 3, 4
	v_lshlrev_b32_e32 v4, v8, v4
	v_sub_u32_e32 v7, 29, v7
	v_and_b32_e32 v4, 7, v4
	v_cmp_eq_u32_e32 vcc, 0, v6
	v_cndmask_b32_e32 v6, v6, v7, vcc
	v_cndmask_b32_e32 v4, v5, v4, vcc
	v_mov_b32_e32 v5, 0x3b800000
	v_lshlrev_b32_e32 v4, 20, v4
	v_and_b32_e32 v3, 0x80000000, v3
	v_lshl_add_u32 v5, v6, 23, v5
	v_or3_b32 v3, v3, v5, v4
	v_cvt_u32_f32_e32 v3, v3
.LBB331_546:
	s_or_b64 exec, exec, s[0:1]
.LBB331_547:
	s_mov_b64 s[0:1], -1
.LBB331_548:
	s_mov_b64 s[30:31], 0
.LBB331_549:
	s_and_b64 vcc, exec, s[30:31]
	s_cbranch_vccz .LBB331_582
; %bb.550:
	s_cmp_gt_i32 s37, 22
	s_cbranch_scc0 .LBB331_558
; %bb.551:
	s_cmp_lt_i32 s37, 24
	s_cbranch_scc1 .LBB331_561
; %bb.552:
	s_cmp_gt_i32 s37, 24
	s_cbranch_scc0 .LBB331_562
; %bb.553:
	global_load_ubyte v4, v[1:2], off
	s_movk_i32 s0, 0x7f
	s_mov_b64 s[30:31], 0
	s_waitcnt vmcnt(0)
	v_cmp_lt_i16_e32 vcc, s0, v4
	s_and_saveexec_b64 s[0:1], vcc
	s_xor_b64 s[0:1], exec, s[0:1]
	s_cbranch_execz .LBB331_574
; %bb.554:
	s_movk_i32 s30, 0x80
	v_cmp_ne_u16_e32 vcc, s30, v4
	s_and_b64 s[30:31], vcc, exec
	s_andn2_saveexec_b64 s[0:1], s[0:1]
	s_cbranch_execnz .LBB331_575
.LBB331_555:
	s_or_b64 exec, exec, s[0:1]
	v_mov_b32_e32 v3, 0
	s_and_saveexec_b64 s[0:1], s[30:31]
	s_cbranch_execz .LBB331_557
.LBB331_556:
	v_lshlrev_b32_e32 v3, 24, v4
	v_and_b32_e32 v4, 0xffff, v4
	v_and_b32_e32 v5, 3, v4
	v_ffbh_u32_e32 v7, v5
	v_min_u32_e32 v7, 32, v7
	v_subrev_u32_e32 v8, 29, v7
	v_bfe_u32 v6, v4, 2, 5
	v_lshlrev_b32_e32 v4, v8, v4
	v_sub_u32_e32 v7, 30, v7
	v_and_b32_e32 v4, 3, v4
	v_cmp_eq_u32_e32 vcc, 0, v6
	v_cndmask_b32_e32 v6, v6, v7, vcc
	v_cndmask_b32_e32 v4, v5, v4, vcc
	v_mov_b32_e32 v5, 0x37800000
	v_lshlrev_b32_e32 v4, 21, v4
	v_and_b32_e32 v3, 0x80000000, v3
	v_lshl_add_u32 v5, v6, 23, v5
	v_or3_b32 v3, v3, v5, v4
	v_cvt_u32_f32_e32 v3, v3
.LBB331_557:
	s_or_b64 exec, exec, s[0:1]
	s_mov_b64 s[0:1], 0
	s_branch .LBB331_563
.LBB331_558:
	s_mov_b64 s[30:31], -1
                                        ; implicit-def: $vgpr3
	s_branch .LBB331_569
.LBB331_559:
	s_andn2_saveexec_b64 s[0:1], s[0:1]
	s_cbranch_execz .LBB331_544
.LBB331_560:
	v_cmp_ne_u16_e32 vcc, 0, v4
	s_andn2_b64 s[30:31], s[30:31], exec
	s_and_b64 s[38:39], vcc, exec
	s_or_b64 s[30:31], s[30:31], s[38:39]
	s_or_b64 exec, exec, s[0:1]
	v_mov_b32_e32 v3, 0
	s_and_saveexec_b64 s[0:1], s[30:31]
	s_cbranch_execnz .LBB331_545
	s_branch .LBB331_546
.LBB331_561:
	s_mov_b64 s[0:1], -1
                                        ; implicit-def: $vgpr3
	s_branch .LBB331_566
.LBB331_562:
	s_mov_b64 s[0:1], -1
                                        ; implicit-def: $vgpr3
.LBB331_563:
	s_and_b64 vcc, exec, s[0:1]
	s_cbranch_vccz .LBB331_565
; %bb.564:
	global_load_ubyte v3, v[1:2], off
	s_mov_b32 s0, 0x7f800000
	s_waitcnt vmcnt(0)
	v_lshlrev_b32_e32 v3, 24, v3
	v_and_b32_e32 v4, 0x7f000000, v3
	v_ffbh_u32_e32 v5, v4
	v_min_u32_e32 v5, 32, v5
	v_sub_u32_e64 v5, v5, 4 clamp
	v_lshlrev_b32_e32 v7, v5, v4
	v_lshlrev_b32_e32 v5, 23, v5
	v_lshrrev_b32_e32 v7, 4, v7
	v_add_u32_e32 v6, 0x1000000, v4
	v_sub_u32_e32 v5, v7, v5
	v_ashrrev_i32_e32 v6, 8, v6
	v_add_u32_e32 v5, 0x3c000000, v5
	v_and_or_b32 v5, v6, s0, v5
	v_cmp_ne_u32_e32 vcc, 0, v4
	v_cndmask_b32_e32 v4, 0, v5, vcc
	s_brev_b32 s0, 1
	v_and_or_b32 v3, v3, s0, v4
	v_cvt_u32_f32_e32 v3, v3
.LBB331_565:
	s_mov_b64 s[0:1], 0
.LBB331_566:
	s_andn2_b64 vcc, exec, s[0:1]
	s_cbranch_vccnz .LBB331_568
; %bb.567:
	global_load_ubyte v3, v[1:2], off
	s_movk_i32 s0, 0x7f00
	s_brev_b32 s1, 16
	s_waitcnt vmcnt(0)
	v_lshlrev_b16_e32 v4, 8, v3
	v_lshlrev_b32_e32 v3, 25, v3
	v_lshrrev_b32_e32 v5, 4, v3
	v_and_or_b32 v6, v4, s0, 0.5
	v_or_b32_e32 v5, 0x70000000, v5
	v_add_f32_e32 v6, -0.5, v6
	v_mul_f32_e32 v5, 0x7800000, v5
	v_cmp_gt_u32_e32 vcc, s1, v3
	v_bfe_i32 v4, v4, 0, 16
	v_cndmask_b32_e32 v3, v5, v6, vcc
	s_brev_b32 s0, 1
	v_and_or_b32 v3, v4, s0, v3
	v_cvt_u32_f32_e32 v3, v3
.LBB331_568:
	s_mov_b64 s[30:31], 0
	s_mov_b64 s[0:1], -1
.LBB331_569:
	s_andn2_b64 vcc, exec, s[30:31]
	s_cbranch_vccnz .LBB331_582
; %bb.570:
	s_cmp_gt_i32 s37, 14
	s_cbranch_scc0 .LBB331_573
; %bb.571:
	s_cmp_eq_u32 s37, 15
	s_cbranch_scc0 .LBB331_576
; %bb.572:
	global_load_ushort v3, v[1:2], off
	s_mov_b64 s[0:1], -1
	s_mov_b64 s[28:29], 0
	s_waitcnt vmcnt(0)
	v_lshlrev_b32_e32 v3, 16, v3
	v_cvt_u32_f32_e32 v3, v3
	s_branch .LBB331_577
.LBB331_573:
	s_mov_b64 s[30:31], -1
                                        ; implicit-def: $vgpr3
	s_branch .LBB331_578
.LBB331_574:
	s_andn2_saveexec_b64 s[0:1], s[0:1]
	s_cbranch_execz .LBB331_555
.LBB331_575:
	v_cmp_ne_u16_e32 vcc, 0, v4
	s_andn2_b64 s[30:31], s[30:31], exec
	s_and_b64 s[38:39], vcc, exec
	s_or_b64 s[30:31], s[30:31], s[38:39]
	s_or_b64 exec, exec, s[0:1]
	v_mov_b32_e32 v3, 0
	s_and_saveexec_b64 s[0:1], s[30:31]
	s_cbranch_execnz .LBB331_556
	s_branch .LBB331_557
.LBB331_576:
	s_mov_b64 s[28:29], -1
                                        ; implicit-def: $vgpr3
.LBB331_577:
	s_mov_b64 s[30:31], 0
.LBB331_578:
	s_and_b64 vcc, exec, s[30:31]
	s_cbranch_vccz .LBB331_582
; %bb.579:
	s_cmp_eq_u32 s37, 11
	s_cbranch_scc0 .LBB331_581
; %bb.580:
	global_load_ubyte v3, v[1:2], off
	s_mov_b64 s[0:1], -1
	s_mov_b64 s[28:29], 0
	s_waitcnt vmcnt(0)
	v_cmp_ne_u16_e32 vcc, 0, v3
	v_cndmask_b32_e64 v3, 0, 1, vcc
	s_branch .LBB331_582
.LBB331_581:
	s_mov_b64 s[28:29], -1
                                        ; implicit-def: $vgpr3
.LBB331_582:
	s_mov_b64 s[30:31], 0
.LBB331_583:
	s_and_b64 vcc, exec, s[30:31]
	s_cbranch_vccz .LBB331_632
; %bb.584:
	s_and_b32 s30, 0xffff, s36
	s_cmp_lt_i32 s30, 5
	s_cbranch_scc1 .LBB331_589
; %bb.585:
	s_cmp_lt_i32 s30, 8
	s_cbranch_scc1 .LBB331_590
; %bb.586:
	;; [unrolled: 3-line block ×3, first 2 shown]
	s_cmp_gt_i32 s30, 9
	s_cbranch_scc0 .LBB331_592
; %bb.588:
	global_load_dwordx2 v[3:4], v[1:2], off
	s_mov_b64 s[0:1], 0
	s_waitcnt vmcnt(0)
	v_cvt_u32_f64_e32 v3, v[3:4]
	s_branch .LBB331_593
.LBB331_589:
	s_mov_b64 s[0:1], -1
                                        ; implicit-def: $vgpr3
	s_branch .LBB331_611
.LBB331_590:
	s_mov_b64 s[0:1], -1
                                        ; implicit-def: $vgpr3
	s_branch .LBB331_599
.LBB331_591:
	s_mov_b64 s[0:1], -1
                                        ; implicit-def: $vgpr3
	s_branch .LBB331_596
.LBB331_592:
	s_mov_b64 s[0:1], -1
                                        ; implicit-def: $vgpr3
.LBB331_593:
	s_andn2_b64 vcc, exec, s[0:1]
	s_cbranch_vccnz .LBB331_595
; %bb.594:
	global_load_dword v3, v[1:2], off
	s_waitcnt vmcnt(0)
	v_cvt_u32_f32_e32 v3, v3
.LBB331_595:
	s_mov_b64 s[0:1], 0
.LBB331_596:
	s_andn2_b64 vcc, exec, s[0:1]
	s_cbranch_vccnz .LBB331_598
; %bb.597:
	global_load_dword v3, v[1:2], off
	s_waitcnt vmcnt(0)
	v_cvt_u16_f16_e32 v3, v3
.LBB331_598:
	s_mov_b64 s[0:1], 0
.LBB331_599:
	s_andn2_b64 vcc, exec, s[0:1]
	s_cbranch_vccnz .LBB331_610
; %bb.600:
	s_cmp_lt_i32 s30, 6
	s_cbranch_scc1 .LBB331_603
; %bb.601:
	s_cmp_gt_i32 s30, 6
	s_cbranch_scc0 .LBB331_604
; %bb.602:
	global_load_dwordx2 v[3:4], v[1:2], off
	s_mov_b64 s[0:1], 0
	s_waitcnt vmcnt(0)
	v_cvt_u32_f64_e32 v3, v[3:4]
	s_branch .LBB331_605
.LBB331_603:
	s_mov_b64 s[0:1], -1
                                        ; implicit-def: $vgpr3
	s_branch .LBB331_608
.LBB331_604:
	s_mov_b64 s[0:1], -1
                                        ; implicit-def: $vgpr3
.LBB331_605:
	s_andn2_b64 vcc, exec, s[0:1]
	s_cbranch_vccnz .LBB331_607
; %bb.606:
	global_load_dword v3, v[1:2], off
	s_waitcnt vmcnt(0)
	v_cvt_u32_f32_e32 v3, v3
.LBB331_607:
	s_mov_b64 s[0:1], 0
.LBB331_608:
	s_andn2_b64 vcc, exec, s[0:1]
	s_cbranch_vccnz .LBB331_610
; %bb.609:
	global_load_ushort v3, v[1:2], off
	s_waitcnt vmcnt(0)
	v_cvt_u16_f16_e32 v3, v3
.LBB331_610:
	s_mov_b64 s[0:1], 0
.LBB331_611:
	s_andn2_b64 vcc, exec, s[0:1]
	s_cbranch_vccnz .LBB331_631
; %bb.612:
	s_cmp_lt_i32 s30, 2
	s_cbranch_scc1 .LBB331_616
; %bb.613:
	s_cmp_lt_i32 s30, 3
	s_cbranch_scc1 .LBB331_617
; %bb.614:
	s_cmp_gt_i32 s30, 3
	s_cbranch_scc0 .LBB331_618
; %bb.615:
	global_load_dwordx2 v[3:4], v[1:2], off
	s_mov_b64 s[0:1], 0
	s_branch .LBB331_619
.LBB331_616:
	s_mov_b64 s[0:1], -1
                                        ; implicit-def: $vgpr3
	s_branch .LBB331_625
.LBB331_617:
	s_mov_b64 s[0:1], -1
                                        ; implicit-def: $vgpr3
	s_branch .LBB331_622
.LBB331_618:
	s_mov_b64 s[0:1], -1
                                        ; implicit-def: $vgpr3
.LBB331_619:
	s_andn2_b64 vcc, exec, s[0:1]
	s_cbranch_vccnz .LBB331_621
; %bb.620:
	global_load_dword v3, v[1:2], off
.LBB331_621:
	s_mov_b64 s[0:1], 0
.LBB331_622:
	s_andn2_b64 vcc, exec, s[0:1]
	s_cbranch_vccnz .LBB331_624
; %bb.623:
	global_load_ushort v3, v[1:2], off
.LBB331_624:
	s_mov_b64 s[0:1], 0
.LBB331_625:
	s_andn2_b64 vcc, exec, s[0:1]
	s_cbranch_vccnz .LBB331_631
; %bb.626:
	s_cmp_gt_i32 s30, 0
	s_cbranch_scc0 .LBB331_628
; %bb.627:
	global_load_sbyte v3, v[1:2], off
	s_mov_b64 s[0:1], 0
	s_branch .LBB331_629
.LBB331_628:
	s_mov_b64 s[0:1], -1
                                        ; implicit-def: $vgpr3
.LBB331_629:
	s_andn2_b64 vcc, exec, s[0:1]
	s_cbranch_vccnz .LBB331_631
; %bb.630:
	global_load_ubyte v3, v[1:2], off
.LBB331_631:
	s_mov_b64 s[0:1], -1
.LBB331_632:
	s_andn2_b64 vcc, exec, s[0:1]
	s_cbranch_vccnz .LBB331_640
; %bb.633:
	v_mul_lo_u32 v1, v14, s12
	s_waitcnt vmcnt(0)
	v_cmp_ne_u16_e32 vcc, v0, v3
	v_mov_b32_e32 v2, s9
	s_xor_b64 s[30:31], s[16:17], vcc
	v_ashrrev_i32_e32 v3, 31, v1
	s_and_b32 s42, s33, 0xff
	v_add_co_u32_e32 v0, vcc, s8, v1
	s_cmp_lt_i32 s42, 11
	v_addc_co_u32_e32 v1, vcc, v2, v3, vcc
	s_cbranch_scc1 .LBB331_641
; %bb.634:
	s_and_b32 s43, 0xffff, s42
	s_cmp_gt_i32 s43, 25
	s_cbranch_scc0 .LBB331_642
; %bb.635:
	s_cmp_gt_i32 s43, 28
	s_cbranch_scc0 .LBB331_643
; %bb.636:
	;; [unrolled: 3-line block ×4, first 2 shown]
	s_mov_b64 s[38:39], 0
	s_mov_b64 s[0:1], -1
	s_cmp_eq_u32 s43, 46
	s_mov_b64 s[36:37], 0
	s_cbranch_scc0 .LBB331_646
; %bb.639:
	v_cndmask_b32_e64 v2, 0, 1.0, s[30:31]
	v_bfe_u32 v3, v2, 16, 1
	s_movk_i32 s0, 0x7fff
	v_add3_u32 v2, v2, v3, s0
	v_lshrrev_b32_e32 v2, 16, v2
	global_store_dword v[0:1], v2, off
	s_mov_b64 s[36:37], -1
	s_mov_b64 s[0:1], 0
	s_branch .LBB331_646
.LBB331_640:
	s_mov_b64 s[36:37], 0
                                        ; implicit-def: $vgpr14
	s_mov_b64 s[0:1], s[18:19]
	s_branch .LBB331_756
.LBB331_641:
	s_mov_b64 s[38:39], -1
	s_mov_b64 s[36:37], 0
	s_mov_b64 s[0:1], s[18:19]
	s_branch .LBB331_715
.LBB331_642:
	s_mov_b64 s[38:39], -1
	s_mov_b64 s[36:37], 0
	s_mov_b64 s[0:1], s[18:19]
	s_branch .LBB331_673
.LBB331_643:
	s_mov_b64 s[38:39], -1
	s_mov_b64 s[36:37], 0
	s_mov_b64 s[0:1], s[18:19]
	s_branch .LBB331_656
.LBB331_644:
	s_mov_b64 s[38:39], -1
	s_mov_b64 s[36:37], 0
	s_mov_b64 s[0:1], s[18:19]
	s_branch .LBB331_652
.LBB331_645:
	s_mov_b64 s[38:39], -1
	s_mov_b64 s[36:37], 0
	s_mov_b64 s[0:1], s[18:19]
.LBB331_646:
	s_and_b64 vcc, exec, s[38:39]
	s_cbranch_vccz .LBB331_651
; %bb.647:
	s_cmp_eq_u32 s43, 44
	s_mov_b64 s[0:1], -1
	s_cbranch_scc0 .LBB331_651
; %bb.648:
	v_cndmask_b32_e64 v3, 0, 1.0, s[30:31]
	v_lshrrev_b32_e32 v2, 23, v3
	s_movk_i32 s0, 0xff
	v_cmp_ne_u32_e32 vcc, s0, v2
	v_mov_b32_e32 v4, 0xff
	s_and_saveexec_b64 s[36:37], vcc
; %bb.649:
	s_mov_b32 s0, 0x3fffff
	v_and_b32_e32 v4, 0x400000, v3
	v_and_or_b32 v3, v3, s0, v2
	v_cmp_ne_u32_e32 vcc, 0, v4
	v_cmp_ne_u32_e64 s[0:1], 0, v3
	s_and_b64 s[0:1], vcc, s[0:1]
	v_cndmask_b32_e64 v3, 0, 1, s[0:1]
	v_add_u32_e32 v4, v2, v3
; %bb.650:
	s_or_b64 exec, exec, s[36:37]
	s_mov_b64 s[36:37], -1
	s_mov_b64 s[0:1], 0
	global_store_byte v[0:1], v4, off
.LBB331_651:
	s_mov_b64 s[38:39], 0
.LBB331_652:
	s_and_b64 vcc, exec, s[38:39]
	s_cbranch_vccz .LBB331_655
; %bb.653:
	s_cmp_eq_u32 s43, 29
	s_mov_b64 s[0:1], -1
	s_cbranch_scc0 .LBB331_655
; %bb.654:
	s_mov_b32 s0, 0
	v_cndmask_b32_e64 v2, 0, 1, s[30:31]
	v_mov_b32_e32 v3, s0
	global_store_dwordx2 v[0:1], v[2:3], off
	s_mov_b64 s[36:37], -1
	s_mov_b64 s[0:1], 0
.LBB331_655:
	s_mov_b64 s[38:39], 0
.LBB331_656:
	s_and_b64 vcc, exec, s[38:39]
	s_cbranch_vccz .LBB331_672
; %bb.657:
	s_cmp_lt_i32 s43, 27
	s_mov_b64 s[36:37], -1
	s_cbranch_scc1 .LBB331_663
; %bb.658:
	s_cmp_gt_i32 s43, 27
	s_cbranch_scc0 .LBB331_660
; %bb.659:
	v_cndmask_b32_e64 v2, 0, 1, s[30:31]
	s_mov_b64 s[36:37], 0
	global_store_dword v[0:1], v2, off
.LBB331_660:
	s_andn2_b64 vcc, exec, s[36:37]
	s_cbranch_vccnz .LBB331_662
; %bb.661:
	v_cndmask_b32_e64 v2, 0, 1, s[30:31]
	global_store_short v[0:1], v2, off
.LBB331_662:
	s_mov_b64 s[36:37], 0
.LBB331_663:
	s_andn2_b64 vcc, exec, s[36:37]
	s_cbranch_vccnz .LBB331_671
; %bb.664:
	v_cndmask_b32_e64 v3, 0, 1.0, s[30:31]
	s_mov_b32 s36, 0x43800000
	v_cmp_gt_u32_e32 vcc, s36, v3
	v_mov_b32_e32 v4, 0x80
	s_and_saveexec_b64 s[36:37], vcc
	s_cbranch_execz .LBB331_670
; %bb.665:
	s_mov_b32 s38, 0x3bffffff
	v_cmp_lt_u32_e32 vcc, s38, v3
	s_mov_b64 s[38:39], 0
                                        ; implicit-def: $vgpr2
	s_and_saveexec_b64 s[40:41], vcc
	s_xor_b64 s[40:41], exec, s[40:41]
	s_cbranch_execz .LBB331_772
; %bb.666:
	v_bfe_u32 v2, v3, 20, 1
	s_mov_b32 s44, 0x487ffff
	v_add3_u32 v2, v3, v2, s44
	s_mov_b64 s[38:39], exec
	v_lshrrev_b32_e32 v2, 20, v2
                                        ; implicit-def: $vgpr3
	s_andn2_saveexec_b64 s[40:41], s[40:41]
	s_cbranch_execnz .LBB331_773
.LBB331_667:
	s_or_b64 exec, exec, s[40:41]
	v_mov_b32_e32 v4, 0
	s_and_saveexec_b64 s[40:41], s[38:39]
.LBB331_668:
	v_mov_b32_e32 v4, v2
.LBB331_669:
	s_or_b64 exec, exec, s[40:41]
.LBB331_670:
	s_or_b64 exec, exec, s[36:37]
	global_store_byte v[0:1], v4, off
.LBB331_671:
	s_mov_b64 s[36:37], -1
.LBB331_672:
	s_mov_b64 s[38:39], 0
.LBB331_673:
	s_and_b64 vcc, exec, s[38:39]
	s_cbranch_vccz .LBB331_714
; %bb.674:
	s_cmp_gt_i32 s43, 22
	s_mov_b64 s[38:39], -1
	s_cbranch_scc0 .LBB331_706
; %bb.675:
	s_cmp_lt_i32 s43, 24
	s_mov_b64 s[36:37], -1
	s_cbranch_scc1 .LBB331_695
; %bb.676:
	s_cmp_gt_i32 s43, 24
	s_cbranch_scc0 .LBB331_684
; %bb.677:
	v_cndmask_b32_e64 v3, 0, 1.0, s[30:31]
	s_mov_b32 s36, 0x47800000
	v_cmp_gt_u32_e32 vcc, s36, v3
	v_mov_b32_e32 v4, 0x80
	s_and_saveexec_b64 s[36:37], vcc
	s_cbranch_execz .LBB331_683
; %bb.678:
	s_mov_b32 s38, 0x37ffffff
	v_cmp_lt_u32_e32 vcc, s38, v3
	s_mov_b64 s[38:39], 0
                                        ; implicit-def: $vgpr2
	s_and_saveexec_b64 s[40:41], vcc
	s_xor_b64 s[40:41], exec, s[40:41]
	s_cbranch_execz .LBB331_900
; %bb.679:
	v_bfe_u32 v2, v3, 21, 1
	s_mov_b32 s44, 0x88fffff
	v_add3_u32 v2, v3, v2, s44
	s_mov_b64 s[38:39], exec
	v_lshrrev_b32_e32 v2, 21, v2
                                        ; implicit-def: $vgpr3
	s_andn2_saveexec_b64 s[40:41], s[40:41]
	s_cbranch_execnz .LBB331_901
.LBB331_680:
	s_or_b64 exec, exec, s[40:41]
	v_mov_b32_e32 v4, 0
	s_and_saveexec_b64 s[40:41], s[38:39]
.LBB331_681:
	v_mov_b32_e32 v4, v2
.LBB331_682:
	s_or_b64 exec, exec, s[40:41]
.LBB331_683:
	s_or_b64 exec, exec, s[36:37]
	s_mov_b64 s[36:37], 0
	global_store_byte v[0:1], v4, off
.LBB331_684:
	s_and_b64 vcc, exec, s[36:37]
	s_cbranch_vccz .LBB331_694
; %bb.685:
	v_cndmask_b32_e64 v2, 0, 1.0, s[30:31]
	s_mov_b32 s36, 0x43f00000
	v_cmp_gt_u32_e32 vcc, s36, v2
                                        ; implicit-def: $vgpr3
	s_and_saveexec_b64 s[36:37], vcc
	s_xor_b64 s[36:37], exec, s[36:37]
	s_cbranch_execz .LBB331_691
; %bb.686:
	s_mov_b32 s38, 0x3c7fffff
	v_cmp_lt_u32_e32 vcc, s38, v2
                                        ; implicit-def: $vgpr3
	s_and_saveexec_b64 s[38:39], vcc
	s_xor_b64 s[38:39], exec, s[38:39]
; %bb.687:
	v_bfe_u32 v3, v2, 20, 1
	s_mov_b32 s40, 0x407ffff
	v_add3_u32 v2, v2, v3, s40
	v_lshrrev_b32_e32 v3, 20, v2
	v_and_b32_e32 v2, 0xff00000, v2
	s_mov_b32 s40, 0x7f00000
	v_mov_b32_e32 v4, 0x7e
	v_cmp_ne_u32_e32 vcc, s40, v2
	v_cndmask_b32_e32 v3, v4, v3, vcc
                                        ; implicit-def: $vgpr2
; %bb.688:
	s_andn2_saveexec_b64 s[38:39], s[38:39]
; %bb.689:
	v_add_f32_e32 v3, 0x46800000, v2
; %bb.690:
	s_or_b64 exec, exec, s[38:39]
                                        ; implicit-def: $vgpr2
.LBB331_691:
	s_andn2_saveexec_b64 s[36:37], s[36:37]
; %bb.692:
	s_mov_b32 s38, 0x7f800000
	v_mov_b32_e32 v3, 0x7e
	v_mov_b32_e32 v4, 0x7f
	v_cmp_lt_u32_e32 vcc, s38, v2
	v_cndmask_b32_e32 v3, v3, v4, vcc
; %bb.693:
	s_or_b64 exec, exec, s[36:37]
	global_store_byte v[0:1], v3, off
.LBB331_694:
	s_mov_b64 s[36:37], 0
.LBB331_695:
	s_andn2_b64 vcc, exec, s[36:37]
	s_cbranch_vccnz .LBB331_705
; %bb.696:
	v_cndmask_b32_e64 v2, 0, 1.0, s[30:31]
	s_mov_b32 s36, 0x47800000
	v_cmp_gt_u32_e32 vcc, s36, v2
                                        ; implicit-def: $vgpr3
	s_and_saveexec_b64 s[36:37], vcc
	s_xor_b64 s[36:37], exec, s[36:37]
	s_cbranch_execz .LBB331_702
; %bb.697:
	s_mov_b32 s38, 0x387fffff
	v_cmp_lt_u32_e32 vcc, s38, v2
                                        ; implicit-def: $vgpr3
	s_and_saveexec_b64 s[38:39], vcc
	s_xor_b64 s[38:39], exec, s[38:39]
; %bb.698:
	v_bfe_u32 v3, v2, 21, 1
	s_mov_b32 s40, 0x80fffff
	v_add3_u32 v2, v2, v3, s40
	v_lshrrev_b32_e32 v3, 21, v2
                                        ; implicit-def: $vgpr2
; %bb.699:
	s_andn2_saveexec_b64 s[38:39], s[38:39]
; %bb.700:
	v_add_f32_e32 v3, 0x43000000, v2
; %bb.701:
	s_or_b64 exec, exec, s[38:39]
                                        ; implicit-def: $vgpr2
.LBB331_702:
	s_andn2_saveexec_b64 s[36:37], s[36:37]
; %bb.703:
	s_mov_b32 s38, 0x7f800000
	v_mov_b32_e32 v3, 0x7c
	v_mov_b32_e32 v4, 0x7f
	v_cmp_lt_u32_e32 vcc, s38, v2
	v_cndmask_b32_e32 v3, v3, v4, vcc
; %bb.704:
	s_or_b64 exec, exec, s[36:37]
	global_store_byte v[0:1], v3, off
.LBB331_705:
	s_mov_b64 s[38:39], 0
	s_mov_b64 s[36:37], -1
.LBB331_706:
	s_andn2_b64 vcc, exec, s[38:39]
	s_cbranch_vccnz .LBB331_714
; %bb.707:
	s_cmp_gt_i32 s43, 14
	s_mov_b64 s[38:39], -1
	s_cbranch_scc0 .LBB331_711
; %bb.708:
	s_cmp_eq_u32 s43, 15
	s_mov_b64 s[0:1], -1
	s_cbranch_scc0 .LBB331_710
; %bb.709:
	v_cndmask_b32_e64 v2, 0, 1.0, s[30:31]
	v_bfe_u32 v3, v2, 16, 1
	s_movk_i32 s0, 0x7fff
	v_add3_u32 v2, v2, v3, s0
	global_store_short_d16_hi v[0:1], v2, off
	s_mov_b64 s[36:37], -1
	s_mov_b64 s[0:1], 0
.LBB331_710:
	s_mov_b64 s[38:39], 0
.LBB331_711:
	s_and_b64 vcc, exec, s[38:39]
	s_cbranch_vccz .LBB331_714
; %bb.712:
	s_cmp_eq_u32 s43, 11
	s_mov_b64 s[0:1], -1
	s_cbranch_scc0 .LBB331_714
; %bb.713:
	v_cndmask_b32_e64 v2, 0, 1, s[30:31]
	s_mov_b64 s[36:37], -1
	s_mov_b64 s[0:1], 0
	global_store_byte v[0:1], v2, off
.LBB331_714:
	s_mov_b64 s[38:39], 0
.LBB331_715:
	s_and_b64 vcc, exec, s[38:39]
	s_cbranch_vccz .LBB331_754
; %bb.716:
	s_and_b32 s38, 0xffff, s42
	s_cmp_lt_i32 s38, 5
	s_mov_b64 s[36:37], -1
	s_cbranch_scc1 .LBB331_737
; %bb.717:
	s_cmp_lt_i32 s38, 8
	s_cbranch_scc1 .LBB331_727
; %bb.718:
	s_cmp_lt_i32 s38, 9
	s_cbranch_scc1 .LBB331_724
; %bb.719:
	s_cmp_gt_i32 s38, 9
	s_cbranch_scc0 .LBB331_721
; %bb.720:
	v_cndmask_b32_e64 v2, 0, 1, s[30:31]
	v_cvt_f64_u32_e32 v[2:3], v2
	v_mov_b32_e32 v4, 0
	v_mov_b32_e32 v5, v4
	s_mov_b64 s[36:37], 0
	global_store_dwordx4 v[0:1], v[2:5], off
.LBB331_721:
	s_andn2_b64 vcc, exec, s[36:37]
	s_cbranch_vccnz .LBB331_723
; %bb.722:
	v_cndmask_b32_e64 v2, 0, 1.0, s[30:31]
	v_mov_b32_e32 v3, 0
	global_store_dwordx2 v[0:1], v[2:3], off
.LBB331_723:
	s_mov_b64 s[36:37], 0
.LBB331_724:
	s_andn2_b64 vcc, exec, s[36:37]
	s_cbranch_vccnz .LBB331_726
; %bb.725:
	v_cndmask_b32_e64 v2, 0, 1.0, s[30:31]
	v_cvt_f16_f32_e32 v2, v2
	global_store_dword v[0:1], v2, off
.LBB331_726:
	s_mov_b64 s[36:37], 0
.LBB331_727:
	s_andn2_b64 vcc, exec, s[36:37]
	s_cbranch_vccnz .LBB331_736
; %bb.728:
	s_cmp_lt_i32 s38, 6
	s_mov_b64 s[36:37], -1
	s_cbranch_scc1 .LBB331_734
; %bb.729:
	s_cmp_gt_i32 s38, 6
	s_cbranch_scc0 .LBB331_731
; %bb.730:
	v_cndmask_b32_e64 v2, 0, 1, s[30:31]
	v_cvt_f64_u32_e32 v[2:3], v2
	s_mov_b64 s[36:37], 0
	global_store_dwordx2 v[0:1], v[2:3], off
.LBB331_731:
	s_andn2_b64 vcc, exec, s[36:37]
	s_cbranch_vccnz .LBB331_733
; %bb.732:
	v_cndmask_b32_e64 v2, 0, 1.0, s[30:31]
	global_store_dword v[0:1], v2, off
.LBB331_733:
	s_mov_b64 s[36:37], 0
.LBB331_734:
	s_andn2_b64 vcc, exec, s[36:37]
	s_cbranch_vccnz .LBB331_736
; %bb.735:
	v_cndmask_b32_e64 v2, 0, 1.0, s[30:31]
	v_cvt_f16_f32_e32 v2, v2
	global_store_short v[0:1], v2, off
.LBB331_736:
	s_mov_b64 s[36:37], 0
.LBB331_737:
	s_andn2_b64 vcc, exec, s[36:37]
	s_cbranch_vccnz .LBB331_753
; %bb.738:
	s_cmp_lt_i32 s38, 2
	s_mov_b64 s[36:37], -1
	s_cbranch_scc1 .LBB331_748
; %bb.739:
	s_cmp_lt_i32 s38, 3
	s_cbranch_scc1 .LBB331_745
; %bb.740:
	s_cmp_gt_i32 s38, 3
	s_cbranch_scc0 .LBB331_742
; %bb.741:
	s_mov_b32 s36, 0
	v_cndmask_b32_e64 v2, 0, 1, s[30:31]
	v_mov_b32_e32 v3, s36
	s_mov_b64 s[36:37], 0
	global_store_dwordx2 v[0:1], v[2:3], off
.LBB331_742:
	s_andn2_b64 vcc, exec, s[36:37]
	s_cbranch_vccnz .LBB331_744
; %bb.743:
	v_cndmask_b32_e64 v2, 0, 1, s[30:31]
	global_store_dword v[0:1], v2, off
.LBB331_744:
	s_mov_b64 s[36:37], 0
.LBB331_745:
	s_andn2_b64 vcc, exec, s[36:37]
	s_cbranch_vccnz .LBB331_747
; %bb.746:
	v_cndmask_b32_e64 v2, 0, 1, s[30:31]
	global_store_short v[0:1], v2, off
.LBB331_747:
	s_mov_b64 s[36:37], 0
.LBB331_748:
	s_andn2_b64 vcc, exec, s[36:37]
	s_cbranch_vccnz .LBB331_753
; %bb.749:
	s_mov_b64 s[36:37], -1
	s_cmp_gt_i32 s38, 0
	v_cndmask_b32_e64 v2, 0, 1, s[30:31]
	s_cbranch_scc0 .LBB331_751
; %bb.750:
	s_mov_b64 s[36:37], 0
	global_store_byte v[0:1], v2, off
.LBB331_751:
	s_andn2_b64 vcc, exec, s[36:37]
	s_cbranch_vccnz .LBB331_753
; %bb.752:
	global_store_byte v[0:1], v2, off
.LBB331_753:
	s_mov_b64 s[36:37], -1
.LBB331_754:
	s_andn2_b64 vcc, exec, s[36:37]
	s_cbranch_vccnz .LBB331_767
; %bb.755:
	v_add_u32_e32 v14, 0x80, v14
	s_mov_b64 s[36:37], -1
.LBB331_756:
	s_andn2_b64 s[30:31], s[18:19], exec
	s_and_b64 s[0:1], s[0:1], exec
	s_or_b64 s[30:31], s[30:31], s[0:1]
	s_andn2_b64 s[0:1], s[20:21], exec
	s_and_b64 s[28:29], s[28:29], exec
	s_or_b64 s[28:29], s[0:1], s[28:29]
	;; [unrolled: 3-line block ×3, first 2 shown]
	s_orn2_b64 s[0:1], s[36:37], exec
.LBB331_757:
	s_or_b64 exec, exec, s[34:35]
	s_mov_b64 s[36:37], 0
	s_mov_b64 s[38:39], 0
	;; [unrolled: 1-line block ×3, first 2 shown]
                                        ; implicit-def: $sgpr58
                                        ; implicit-def: $vgpr2_vgpr3
                                        ; implicit-def: $vgpr0
	s_and_saveexec_b64 s[34:35], s[0:1]
	s_cbranch_execz .LBB331_1219
; %bb.758:
	v_cmp_gt_i32_e32 vcc, s50, v14
	s_mov_b64 s[48:49], -1
	s_mov_b64 s[0:1], s[26:27]
	s_mov_b64 s[40:41], s[28:29]
	;; [unrolled: 1-line block ×3, first 2 shown]
	s_and_saveexec_b64 s[36:37], vcc
	s_cbranch_execz .LBB331_1138
; %bb.759:
	s_waitcnt vmcnt(0)
	v_mul_lo_u32 v0, v14, s13
	v_mov_b32_e32 v1, s11
	s_and_b32 s42, s57, 0xff
	s_cmp_lt_i32 s42, 11
	v_ashrrev_i32_e32 v3, 31, v0
	v_add_co_u32_e32 v2, vcc, s10, v0
	v_addc_co_u32_e32 v3, vcc, v1, v3, vcc
	s_cbranch_scc1 .LBB331_766
; %bb.760:
	s_and_b32 s43, 0xffff, s42
	s_cmp_gt_i32 s43, 25
	s_cbranch_scc0 .LBB331_768
; %bb.761:
	s_cmp_gt_i32 s43, 28
	s_cbranch_scc0 .LBB331_769
; %bb.762:
	;; [unrolled: 3-line block ×4, first 2 shown]
	s_cmp_eq_u32 s43, 46
	s_mov_b64 s[40:41], 0
	s_cbranch_scc0 .LBB331_774
; %bb.765:
	global_load_dword v0, v[2:3], off
	s_mov_b64 s[0:1], -1
	s_waitcnt vmcnt(0)
	v_lshlrev_b32_e32 v0, 16, v0
	v_cvt_u32_f32_e32 v0, v0
	s_branch .LBB331_775
.LBB331_766:
	s_mov_b64 s[40:41], -1
	s_mov_b64 s[0:1], 0
                                        ; implicit-def: $vgpr0
	s_mov_b64 s[38:39], s[26:27]
	s_branch .LBB331_836
.LBB331_767:
	s_mov_b64 s[36:37], 0
	s_branch .LBB331_518
.LBB331_768:
	s_mov_b64 s[40:41], -1
	s_mov_b64 s[0:1], 0
	s_mov_b64 s[38:39], s[26:27]
                                        ; implicit-def: $vgpr0
	s_branch .LBB331_802
.LBB331_769:
	s_mov_b64 s[40:41], -1
	s_mov_b64 s[0:1], 0
	s_mov_b64 s[38:39], s[26:27]
                                        ; implicit-def: $vgpr0
	s_branch .LBB331_785
.LBB331_770:
	s_mov_b64 s[40:41], -1
	s_mov_b64 s[0:1], 0
	s_mov_b64 s[38:39], s[26:27]
                                        ; implicit-def: $vgpr0
	s_branch .LBB331_780
.LBB331_771:
	s_mov_b64 s[40:41], -1
	s_mov_b64 s[0:1], 0
	s_mov_b64 s[38:39], s[26:27]
                                        ; implicit-def: $vgpr0
	s_branch .LBB331_775
.LBB331_772:
	s_andn2_saveexec_b64 s[40:41], s[40:41]
	s_cbranch_execz .LBB331_667
.LBB331_773:
	v_add_f32_e32 v2, 0x46000000, v3
	v_and_b32_e32 v2, 0xff, v2
	v_cmp_ne_u32_e32 vcc, 0, v2
	s_andn2_b64 s[38:39], s[38:39], exec
	s_and_b64 s[44:45], vcc, exec
	s_or_b64 s[38:39], s[38:39], s[44:45]
	s_or_b64 exec, exec, s[40:41]
	v_mov_b32_e32 v4, 0
	s_and_saveexec_b64 s[40:41], s[38:39]
	s_cbranch_execnz .LBB331_668
	s_branch .LBB331_669
.LBB331_774:
	s_mov_b64 s[38:39], -1
                                        ; implicit-def: $vgpr0
	s_mov_b64 s[0:1], 0
.LBB331_775:
	s_and_b64 vcc, exec, s[40:41]
	s_cbranch_vccz .LBB331_779
; %bb.776:
	s_cmp_eq_u32 s43, 44
	s_cbranch_scc0 .LBB331_778
; %bb.777:
	global_load_ubyte v0, v[2:3], off
	s_mov_b64 s[0:1], -1
	s_mov_b64 s[38:39], 0
	s_waitcnt vmcnt(0)
	v_lshlrev_b32_e32 v1, 23, v0
	v_cvt_u32_f32_e32 v1, v1
	v_cmp_ne_u32_e32 vcc, 0, v0
	v_cndmask_b32_e32 v0, 0, v1, vcc
	s_branch .LBB331_779
.LBB331_778:
	s_mov_b64 s[38:39], -1
                                        ; implicit-def: $vgpr0
.LBB331_779:
	s_mov_b64 s[40:41], 0
.LBB331_780:
	s_and_b64 vcc, exec, s[40:41]
	s_cbranch_vccz .LBB331_784
; %bb.781:
	s_cmp_eq_u32 s43, 29
	s_cbranch_scc0 .LBB331_783
; %bb.782:
	global_load_dwordx2 v[0:1], v[2:3], off
	s_mov_b64 s[0:1], -1
	s_mov_b64 s[38:39], 0
	s_branch .LBB331_784
.LBB331_783:
	s_mov_b64 s[38:39], -1
                                        ; implicit-def: $vgpr0
.LBB331_784:
	s_mov_b64 s[40:41], 0
.LBB331_785:
	s_and_b64 vcc, exec, s[40:41]
	s_cbranch_vccz .LBB331_801
; %bb.786:
	s_cmp_lt_i32 s43, 27
	s_cbranch_scc1 .LBB331_789
; %bb.787:
	s_cmp_gt_i32 s43, 27
	s_cbranch_scc0 .LBB331_790
; %bb.788:
	global_load_dword v0, v[2:3], off
	s_mov_b64 s[0:1], 0
	s_branch .LBB331_791
.LBB331_789:
	s_mov_b64 s[0:1], -1
                                        ; implicit-def: $vgpr0
	s_branch .LBB331_794
.LBB331_790:
	s_mov_b64 s[0:1], -1
                                        ; implicit-def: $vgpr0
.LBB331_791:
	s_andn2_b64 vcc, exec, s[0:1]
	s_cbranch_vccnz .LBB331_793
; %bb.792:
	global_load_ushort v0, v[2:3], off
.LBB331_793:
	s_mov_b64 s[0:1], 0
.LBB331_794:
	s_andn2_b64 vcc, exec, s[0:1]
	s_cbranch_vccnz .LBB331_800
; %bb.795:
	global_load_ubyte v1, v[2:3], off
	s_movk_i32 s0, 0x7f
	s_mov_b64 s[40:41], 0
	s_waitcnt vmcnt(0)
	v_cmp_lt_i16_e32 vcc, s0, v1
	s_and_saveexec_b64 s[0:1], vcc
	s_xor_b64 s[0:1], exec, s[0:1]
	s_cbranch_execz .LBB331_812
; %bb.796:
	s_movk_i32 s40, 0x80
	v_cmp_ne_u16_e32 vcc, s40, v1
	s_and_b64 s[40:41], vcc, exec
	s_andn2_saveexec_b64 s[0:1], s[0:1]
	s_cbranch_execnz .LBB331_813
.LBB331_797:
	s_or_b64 exec, exec, s[0:1]
	v_mov_b32_e32 v0, 0
	s_and_saveexec_b64 s[0:1], s[40:41]
	s_cbranch_execz .LBB331_799
.LBB331_798:
	v_lshlrev_b32_e32 v0, 24, v1
	v_and_b32_e32 v1, 0xffff, v1
	v_and_b32_e32 v4, 7, v1
	v_ffbh_u32_e32 v6, v4
	v_min_u32_e32 v6, 32, v6
	v_subrev_u32_e32 v7, 28, v6
	v_bfe_u32 v5, v1, 3, 4
	v_lshlrev_b32_e32 v1, v7, v1
	v_sub_u32_e32 v6, 29, v6
	v_and_b32_e32 v1, 7, v1
	v_cmp_eq_u32_e32 vcc, 0, v5
	v_cndmask_b32_e32 v5, v5, v6, vcc
	v_cndmask_b32_e32 v1, v4, v1, vcc
	v_mov_b32_e32 v4, 0x3b800000
	v_lshlrev_b32_e32 v1, 20, v1
	v_and_b32_e32 v0, 0x80000000, v0
	v_lshl_add_u32 v4, v5, 23, v4
	v_or3_b32 v0, v0, v4, v1
	v_cvt_u32_f32_e32 v0, v0
.LBB331_799:
	s_or_b64 exec, exec, s[0:1]
.LBB331_800:
	s_mov_b64 s[0:1], -1
.LBB331_801:
	s_mov_b64 s[40:41], 0
.LBB331_802:
	s_and_b64 vcc, exec, s[40:41]
	s_cbranch_vccz .LBB331_835
; %bb.803:
	s_cmp_gt_i32 s43, 22
	s_cbranch_scc0 .LBB331_811
; %bb.804:
	s_cmp_lt_i32 s43, 24
	s_cbranch_scc1 .LBB331_814
; %bb.805:
	s_cmp_gt_i32 s43, 24
	s_cbranch_scc0 .LBB331_815
; %bb.806:
	global_load_ubyte v1, v[2:3], off
	s_movk_i32 s0, 0x7f
	s_mov_b64 s[40:41], 0
	s_waitcnt vmcnt(0)
	v_cmp_lt_i16_e32 vcc, s0, v1
	s_and_saveexec_b64 s[0:1], vcc
	s_xor_b64 s[0:1], exec, s[0:1]
	s_cbranch_execz .LBB331_827
; %bb.807:
	s_movk_i32 s40, 0x80
	v_cmp_ne_u16_e32 vcc, s40, v1
	s_and_b64 s[40:41], vcc, exec
	s_andn2_saveexec_b64 s[0:1], s[0:1]
	s_cbranch_execnz .LBB331_828
.LBB331_808:
	s_or_b64 exec, exec, s[0:1]
	v_mov_b32_e32 v0, 0
	s_and_saveexec_b64 s[0:1], s[40:41]
	s_cbranch_execz .LBB331_810
.LBB331_809:
	v_lshlrev_b32_e32 v0, 24, v1
	v_and_b32_e32 v1, 0xffff, v1
	v_and_b32_e32 v4, 3, v1
	v_ffbh_u32_e32 v6, v4
	v_min_u32_e32 v6, 32, v6
	v_subrev_u32_e32 v7, 29, v6
	v_bfe_u32 v5, v1, 2, 5
	v_lshlrev_b32_e32 v1, v7, v1
	v_sub_u32_e32 v6, 30, v6
	v_and_b32_e32 v1, 3, v1
	v_cmp_eq_u32_e32 vcc, 0, v5
	v_cndmask_b32_e32 v5, v5, v6, vcc
	v_cndmask_b32_e32 v1, v4, v1, vcc
	v_mov_b32_e32 v4, 0x37800000
	v_lshlrev_b32_e32 v1, 21, v1
	v_and_b32_e32 v0, 0x80000000, v0
	v_lshl_add_u32 v4, v5, 23, v4
	v_or3_b32 v0, v0, v4, v1
	v_cvt_u32_f32_e32 v0, v0
.LBB331_810:
	s_or_b64 exec, exec, s[0:1]
	s_mov_b64 s[0:1], 0
	s_branch .LBB331_816
.LBB331_811:
	s_mov_b64 s[40:41], -1
                                        ; implicit-def: $vgpr0
	s_branch .LBB331_822
.LBB331_812:
	s_andn2_saveexec_b64 s[0:1], s[0:1]
	s_cbranch_execz .LBB331_797
.LBB331_813:
	v_cmp_ne_u16_e32 vcc, 0, v1
	s_andn2_b64 s[40:41], s[40:41], exec
	s_and_b64 s[44:45], vcc, exec
	s_or_b64 s[40:41], s[40:41], s[44:45]
	s_or_b64 exec, exec, s[0:1]
	v_mov_b32_e32 v0, 0
	s_and_saveexec_b64 s[0:1], s[40:41]
	s_cbranch_execnz .LBB331_798
	s_branch .LBB331_799
.LBB331_814:
	s_mov_b64 s[0:1], -1
                                        ; implicit-def: $vgpr0
	s_branch .LBB331_819
.LBB331_815:
	s_mov_b64 s[0:1], -1
                                        ; implicit-def: $vgpr0
.LBB331_816:
	s_and_b64 vcc, exec, s[0:1]
	s_cbranch_vccz .LBB331_818
; %bb.817:
	global_load_ubyte v0, v[2:3], off
	s_mov_b32 s0, 0x7f800000
	s_waitcnt vmcnt(0)
	v_lshlrev_b32_e32 v0, 24, v0
	v_and_b32_e32 v1, 0x7f000000, v0
	v_ffbh_u32_e32 v4, v1
	v_min_u32_e32 v4, 32, v4
	v_sub_u32_e64 v4, v4, 4 clamp
	v_lshlrev_b32_e32 v6, v4, v1
	v_lshlrev_b32_e32 v4, 23, v4
	v_lshrrev_b32_e32 v6, 4, v6
	v_add_u32_e32 v5, 0x1000000, v1
	v_sub_u32_e32 v4, v6, v4
	v_ashrrev_i32_e32 v5, 8, v5
	v_add_u32_e32 v4, 0x3c000000, v4
	v_and_or_b32 v4, v5, s0, v4
	v_cmp_ne_u32_e32 vcc, 0, v1
	v_cndmask_b32_e32 v1, 0, v4, vcc
	s_brev_b32 s0, 1
	v_and_or_b32 v0, v0, s0, v1
	v_cvt_u32_f32_e32 v0, v0
.LBB331_818:
	s_mov_b64 s[0:1], 0
.LBB331_819:
	s_andn2_b64 vcc, exec, s[0:1]
	s_cbranch_vccnz .LBB331_821
; %bb.820:
	global_load_ubyte v0, v[2:3], off
	s_movk_i32 s0, 0x7f00
	s_brev_b32 s1, 16
	s_waitcnt vmcnt(0)
	v_lshlrev_b16_e32 v1, 8, v0
	v_lshlrev_b32_e32 v0, 25, v0
	v_lshrrev_b32_e32 v4, 4, v0
	v_and_or_b32 v5, v1, s0, 0.5
	v_or_b32_e32 v4, 0x70000000, v4
	v_add_f32_e32 v5, -0.5, v5
	v_mul_f32_e32 v4, 0x7800000, v4
	v_cmp_gt_u32_e32 vcc, s1, v0
	v_bfe_i32 v1, v1, 0, 16
	v_cndmask_b32_e32 v0, v4, v5, vcc
	s_brev_b32 s0, 1
	v_and_or_b32 v0, v1, s0, v0
	v_cvt_u32_f32_e32 v0, v0
.LBB331_821:
	s_mov_b64 s[40:41], 0
	s_mov_b64 s[0:1], -1
.LBB331_822:
	s_andn2_b64 vcc, exec, s[40:41]
	s_cbranch_vccnz .LBB331_835
; %bb.823:
	s_cmp_gt_i32 s43, 14
	s_cbranch_scc0 .LBB331_826
; %bb.824:
	s_cmp_eq_u32 s43, 15
	s_cbranch_scc0 .LBB331_829
; %bb.825:
	global_load_ushort v0, v[2:3], off
	s_mov_b64 s[0:1], -1
	s_mov_b64 s[38:39], 0
	s_waitcnt vmcnt(0)
	v_lshlrev_b32_e32 v0, 16, v0
	v_cvt_u32_f32_e32 v0, v0
	s_branch .LBB331_830
.LBB331_826:
	s_mov_b64 s[40:41], -1
                                        ; implicit-def: $vgpr0
	s_branch .LBB331_831
.LBB331_827:
	s_andn2_saveexec_b64 s[0:1], s[0:1]
	s_cbranch_execz .LBB331_808
.LBB331_828:
	v_cmp_ne_u16_e32 vcc, 0, v1
	s_andn2_b64 s[40:41], s[40:41], exec
	s_and_b64 s[44:45], vcc, exec
	s_or_b64 s[40:41], s[40:41], s[44:45]
	s_or_b64 exec, exec, s[0:1]
	v_mov_b32_e32 v0, 0
	s_and_saveexec_b64 s[0:1], s[40:41]
	s_cbranch_execnz .LBB331_809
	s_branch .LBB331_810
.LBB331_829:
	s_mov_b64 s[38:39], -1
                                        ; implicit-def: $vgpr0
.LBB331_830:
	s_mov_b64 s[40:41], 0
.LBB331_831:
	s_and_b64 vcc, exec, s[40:41]
	s_cbranch_vccz .LBB331_835
; %bb.832:
	s_cmp_eq_u32 s43, 11
	s_cbranch_scc0 .LBB331_834
; %bb.833:
	global_load_ubyte v0, v[2:3], off
	s_mov_b64 s[0:1], -1
	s_mov_b64 s[38:39], 0
	s_waitcnt vmcnt(0)
	v_cmp_ne_u16_e32 vcc, 0, v0
	v_cndmask_b32_e64 v0, 0, 1, vcc
	s_branch .LBB331_835
.LBB331_834:
	s_mov_b64 s[38:39], -1
                                        ; implicit-def: $vgpr0
.LBB331_835:
	s_mov_b64 s[40:41], 0
.LBB331_836:
	s_and_b64 vcc, exec, s[40:41]
	s_cbranch_vccz .LBB331_885
; %bb.837:
	s_and_b32 s40, 0xffff, s42
	s_cmp_lt_i32 s40, 5
	s_cbranch_scc1 .LBB331_842
; %bb.838:
	s_cmp_lt_i32 s40, 8
	s_cbranch_scc1 .LBB331_843
; %bb.839:
	;; [unrolled: 3-line block ×3, first 2 shown]
	s_cmp_gt_i32 s40, 9
	s_cbranch_scc0 .LBB331_845
; %bb.841:
	global_load_dwordx2 v[0:1], v[2:3], off
	s_mov_b64 s[0:1], 0
	s_waitcnt vmcnt(0)
	v_cvt_u32_f64_e32 v0, v[0:1]
	s_branch .LBB331_846
.LBB331_842:
	s_mov_b64 s[0:1], -1
                                        ; implicit-def: $vgpr0
	s_branch .LBB331_864
.LBB331_843:
	s_mov_b64 s[0:1], -1
                                        ; implicit-def: $vgpr0
	s_branch .LBB331_852
.LBB331_844:
	s_mov_b64 s[0:1], -1
                                        ; implicit-def: $vgpr0
	s_branch .LBB331_849
.LBB331_845:
	s_mov_b64 s[0:1], -1
                                        ; implicit-def: $vgpr0
.LBB331_846:
	s_andn2_b64 vcc, exec, s[0:1]
	s_cbranch_vccnz .LBB331_848
; %bb.847:
	global_load_dword v0, v[2:3], off
	s_waitcnt vmcnt(0)
	v_cvt_u32_f32_e32 v0, v0
.LBB331_848:
	s_mov_b64 s[0:1], 0
.LBB331_849:
	s_andn2_b64 vcc, exec, s[0:1]
	s_cbranch_vccnz .LBB331_851
; %bb.850:
	global_load_dword v0, v[2:3], off
	s_waitcnt vmcnt(0)
	v_cvt_u16_f16_e32 v0, v0
.LBB331_851:
	s_mov_b64 s[0:1], 0
.LBB331_852:
	s_andn2_b64 vcc, exec, s[0:1]
	s_cbranch_vccnz .LBB331_863
; %bb.853:
	s_cmp_lt_i32 s40, 6
	s_cbranch_scc1 .LBB331_856
; %bb.854:
	s_cmp_gt_i32 s40, 6
	s_cbranch_scc0 .LBB331_857
; %bb.855:
	global_load_dwordx2 v[0:1], v[2:3], off
	s_mov_b64 s[0:1], 0
	s_waitcnt vmcnt(0)
	v_cvt_u32_f64_e32 v0, v[0:1]
	s_branch .LBB331_858
.LBB331_856:
	s_mov_b64 s[0:1], -1
                                        ; implicit-def: $vgpr0
	s_branch .LBB331_861
.LBB331_857:
	s_mov_b64 s[0:1], -1
                                        ; implicit-def: $vgpr0
.LBB331_858:
	s_andn2_b64 vcc, exec, s[0:1]
	s_cbranch_vccnz .LBB331_860
; %bb.859:
	global_load_dword v0, v[2:3], off
	s_waitcnt vmcnt(0)
	v_cvt_u32_f32_e32 v0, v0
.LBB331_860:
	s_mov_b64 s[0:1], 0
.LBB331_861:
	s_andn2_b64 vcc, exec, s[0:1]
	s_cbranch_vccnz .LBB331_863
; %bb.862:
	global_load_ushort v0, v[2:3], off
	s_waitcnt vmcnt(0)
	v_cvt_u16_f16_e32 v0, v0
.LBB331_863:
	s_mov_b64 s[0:1], 0
.LBB331_864:
	s_andn2_b64 vcc, exec, s[0:1]
	s_cbranch_vccnz .LBB331_884
; %bb.865:
	s_cmp_lt_i32 s40, 2
	s_cbranch_scc1 .LBB331_869
; %bb.866:
	s_cmp_lt_i32 s40, 3
	s_cbranch_scc1 .LBB331_870
; %bb.867:
	s_cmp_gt_i32 s40, 3
	s_cbranch_scc0 .LBB331_871
; %bb.868:
	global_load_dwordx2 v[0:1], v[2:3], off
	s_mov_b64 s[0:1], 0
	s_branch .LBB331_872
.LBB331_869:
	s_mov_b64 s[0:1], -1
                                        ; implicit-def: $vgpr0
	s_branch .LBB331_878
.LBB331_870:
	s_mov_b64 s[0:1], -1
                                        ; implicit-def: $vgpr0
	s_branch .LBB331_875
.LBB331_871:
	s_mov_b64 s[0:1], -1
                                        ; implicit-def: $vgpr0
.LBB331_872:
	s_andn2_b64 vcc, exec, s[0:1]
	s_cbranch_vccnz .LBB331_874
; %bb.873:
	global_load_dword v0, v[2:3], off
.LBB331_874:
	s_mov_b64 s[0:1], 0
.LBB331_875:
	s_andn2_b64 vcc, exec, s[0:1]
	s_cbranch_vccnz .LBB331_877
; %bb.876:
	global_load_ushort v0, v[2:3], off
.LBB331_877:
	s_mov_b64 s[0:1], 0
.LBB331_878:
	s_andn2_b64 vcc, exec, s[0:1]
	s_cbranch_vccnz .LBB331_884
; %bb.879:
	s_cmp_gt_i32 s40, 0
	s_cbranch_scc0 .LBB331_881
; %bb.880:
	global_load_sbyte v0, v[2:3], off
	s_mov_b64 s[0:1], 0
	s_branch .LBB331_882
.LBB331_881:
	s_mov_b64 s[0:1], -1
                                        ; implicit-def: $vgpr0
.LBB331_882:
	s_andn2_b64 vcc, exec, s[0:1]
	s_cbranch_vccnz .LBB331_884
; %bb.883:
	global_load_ubyte v0, v[2:3], off
.LBB331_884:
	s_mov_b64 s[0:1], -1
.LBB331_885:
	s_andn2_b64 vcc, exec, s[0:1]
	s_cbranch_vccnz .LBB331_893
; %bb.886:
	s_waitcnt vmcnt(0)
	v_mul_lo_u32 v1, v14, s14
	v_mov_b32_e32 v2, s3
	s_and_b32 s44, s56, 0xff
	s_cmp_lt_i32 s44, 11
	v_ashrrev_i32_e32 v3, 31, v1
	v_add_co_u32_e32 v1, vcc, s2, v1
	v_addc_co_u32_e32 v2, vcc, v2, v3, vcc
	s_cbranch_scc1 .LBB331_895
; %bb.887:
	s_and_b32 s45, 0xffff, s44
	s_cmp_gt_i32 s45, 25
	s_cbranch_scc0 .LBB331_896
; %bb.888:
	s_cmp_gt_i32 s45, 28
	s_cbranch_scc0 .LBB331_897
; %bb.889:
	;; [unrolled: 3-line block ×4, first 2 shown]
	s_cmp_eq_u32 s45, 46
	s_mov_b64 s[42:43], 0
	s_cbranch_scc0 .LBB331_902
; %bb.892:
	global_load_dword v3, v[1:2], off
	s_mov_b64 s[0:1], -1
	s_mov_b64 s[40:41], 0
	s_waitcnt vmcnt(0)
	v_lshlrev_b32_e32 v3, 16, v3
	v_cvt_u32_f32_e32 v3, v3
	s_branch .LBB331_903
.LBB331_893:
	s_mov_b64 s[44:45], 0
	s_mov_b64 s[0:1], s[30:31]
	s_mov_b64 s[40:41], s[28:29]
.LBB331_894:
                                        ; implicit-def: $vgpr14
	s_branch .LBB331_1137
.LBB331_895:
	s_mov_b64 s[42:43], -1
	s_mov_b64 s[0:1], 0
                                        ; implicit-def: $vgpr3
	s_mov_b64 s[40:41], s[28:29]
	s_branch .LBB331_964
.LBB331_896:
	s_mov_b64 s[42:43], -1
	s_mov_b64 s[0:1], 0
	s_mov_b64 s[40:41], s[28:29]
                                        ; implicit-def: $vgpr3
	s_branch .LBB331_930
.LBB331_897:
	s_mov_b64 s[42:43], -1
	s_mov_b64 s[0:1], 0
	s_mov_b64 s[40:41], s[28:29]
                                        ; implicit-def: $vgpr3
	s_branch .LBB331_913
.LBB331_898:
	s_mov_b64 s[42:43], -1
	s_mov_b64 s[0:1], 0
	s_mov_b64 s[40:41], s[28:29]
                                        ; implicit-def: $vgpr3
	s_branch .LBB331_908
.LBB331_899:
	s_mov_b64 s[42:43], -1
	s_mov_b64 s[0:1], 0
	s_mov_b64 s[40:41], s[28:29]
                                        ; implicit-def: $vgpr3
	s_branch .LBB331_903
.LBB331_900:
	s_andn2_saveexec_b64 s[40:41], s[40:41]
	s_cbranch_execz .LBB331_680
.LBB331_901:
	v_add_f32_e32 v2, 0x42800000, v3
	v_and_b32_e32 v2, 0xff, v2
	v_cmp_ne_u32_e32 vcc, 0, v2
	s_andn2_b64 s[38:39], s[38:39], exec
	s_and_b64 s[44:45], vcc, exec
	s_or_b64 s[38:39], s[38:39], s[44:45]
	s_or_b64 exec, exec, s[40:41]
	v_mov_b32_e32 v4, 0
	s_and_saveexec_b64 s[40:41], s[38:39]
	s_cbranch_execnz .LBB331_681
	s_branch .LBB331_682
.LBB331_902:
	s_mov_b64 s[40:41], -1
                                        ; implicit-def: $vgpr3
	s_mov_b64 s[0:1], 0
.LBB331_903:
	s_and_b64 vcc, exec, s[42:43]
	s_cbranch_vccz .LBB331_907
; %bb.904:
	s_cmp_eq_u32 s45, 44
	s_cbranch_scc0 .LBB331_906
; %bb.905:
	global_load_ubyte v3, v[1:2], off
	s_mov_b64 s[0:1], -1
	s_mov_b64 s[40:41], 0
	s_waitcnt vmcnt(0)
	v_lshlrev_b32_e32 v4, 23, v3
	v_cvt_u32_f32_e32 v4, v4
	v_cmp_ne_u32_e32 vcc, 0, v3
	v_cndmask_b32_e32 v3, 0, v4, vcc
	s_branch .LBB331_907
.LBB331_906:
	s_mov_b64 s[40:41], -1
                                        ; implicit-def: $vgpr3
.LBB331_907:
	s_mov_b64 s[42:43], 0
.LBB331_908:
	s_and_b64 vcc, exec, s[42:43]
	s_cbranch_vccz .LBB331_912
; %bb.909:
	s_cmp_eq_u32 s45, 29
	s_cbranch_scc0 .LBB331_911
; %bb.910:
	global_load_dwordx2 v[3:4], v[1:2], off
	s_mov_b64 s[0:1], -1
	s_mov_b64 s[40:41], 0
	s_branch .LBB331_912
.LBB331_911:
	s_mov_b64 s[40:41], -1
                                        ; implicit-def: $vgpr3
.LBB331_912:
	s_mov_b64 s[42:43], 0
.LBB331_913:
	s_and_b64 vcc, exec, s[42:43]
	s_cbranch_vccz .LBB331_929
; %bb.914:
	s_cmp_lt_i32 s45, 27
	s_cbranch_scc1 .LBB331_917
; %bb.915:
	s_cmp_gt_i32 s45, 27
	s_cbranch_scc0 .LBB331_918
; %bb.916:
	global_load_dword v3, v[1:2], off
	s_mov_b64 s[0:1], 0
	s_branch .LBB331_919
.LBB331_917:
	s_mov_b64 s[0:1], -1
                                        ; implicit-def: $vgpr3
	s_branch .LBB331_922
.LBB331_918:
	s_mov_b64 s[0:1], -1
                                        ; implicit-def: $vgpr3
.LBB331_919:
	s_andn2_b64 vcc, exec, s[0:1]
	s_cbranch_vccnz .LBB331_921
; %bb.920:
	global_load_ushort v3, v[1:2], off
.LBB331_921:
	s_mov_b64 s[0:1], 0
.LBB331_922:
	s_andn2_b64 vcc, exec, s[0:1]
	s_cbranch_vccnz .LBB331_928
; %bb.923:
	global_load_ubyte v4, v[1:2], off
	s_movk_i32 s0, 0x7f
	s_mov_b64 s[42:43], 0
	s_waitcnt vmcnt(0)
	v_cmp_lt_i16_e32 vcc, s0, v4
	s_and_saveexec_b64 s[0:1], vcc
	s_xor_b64 s[0:1], exec, s[0:1]
	s_cbranch_execz .LBB331_940
; %bb.924:
	s_movk_i32 s42, 0x80
	v_cmp_ne_u16_e32 vcc, s42, v4
	s_and_b64 s[42:43], vcc, exec
	s_andn2_saveexec_b64 s[0:1], s[0:1]
	s_cbranch_execnz .LBB331_941
.LBB331_925:
	s_or_b64 exec, exec, s[0:1]
	v_mov_b32_e32 v3, 0
	s_and_saveexec_b64 s[0:1], s[42:43]
	s_cbranch_execz .LBB331_927
.LBB331_926:
	v_lshlrev_b32_e32 v3, 24, v4
	v_and_b32_e32 v4, 0xffff, v4
	v_and_b32_e32 v5, 7, v4
	v_ffbh_u32_e32 v7, v5
	v_min_u32_e32 v7, 32, v7
	v_subrev_u32_e32 v8, 28, v7
	v_bfe_u32 v6, v4, 3, 4
	v_lshlrev_b32_e32 v4, v8, v4
	v_sub_u32_e32 v7, 29, v7
	v_and_b32_e32 v4, 7, v4
	v_cmp_eq_u32_e32 vcc, 0, v6
	v_cndmask_b32_e32 v6, v6, v7, vcc
	v_cndmask_b32_e32 v4, v5, v4, vcc
	v_mov_b32_e32 v5, 0x3b800000
	v_lshlrev_b32_e32 v4, 20, v4
	v_and_b32_e32 v3, 0x80000000, v3
	v_lshl_add_u32 v5, v6, 23, v5
	v_or3_b32 v3, v3, v5, v4
	v_cvt_u32_f32_e32 v3, v3
.LBB331_927:
	s_or_b64 exec, exec, s[0:1]
.LBB331_928:
	s_mov_b64 s[0:1], -1
.LBB331_929:
	s_mov_b64 s[42:43], 0
.LBB331_930:
	s_and_b64 vcc, exec, s[42:43]
	s_cbranch_vccz .LBB331_963
; %bb.931:
	s_cmp_gt_i32 s45, 22
	s_cbranch_scc0 .LBB331_939
; %bb.932:
	s_cmp_lt_i32 s45, 24
	s_cbranch_scc1 .LBB331_942
; %bb.933:
	s_cmp_gt_i32 s45, 24
	s_cbranch_scc0 .LBB331_943
; %bb.934:
	global_load_ubyte v4, v[1:2], off
	s_movk_i32 s0, 0x7f
	s_mov_b64 s[42:43], 0
	s_waitcnt vmcnt(0)
	v_cmp_lt_i16_e32 vcc, s0, v4
	s_and_saveexec_b64 s[0:1], vcc
	s_xor_b64 s[0:1], exec, s[0:1]
	s_cbranch_execz .LBB331_955
; %bb.935:
	s_movk_i32 s42, 0x80
	v_cmp_ne_u16_e32 vcc, s42, v4
	s_and_b64 s[42:43], vcc, exec
	s_andn2_saveexec_b64 s[0:1], s[0:1]
	s_cbranch_execnz .LBB331_956
.LBB331_936:
	s_or_b64 exec, exec, s[0:1]
	v_mov_b32_e32 v3, 0
	s_and_saveexec_b64 s[0:1], s[42:43]
	s_cbranch_execz .LBB331_938
.LBB331_937:
	v_lshlrev_b32_e32 v3, 24, v4
	v_and_b32_e32 v4, 0xffff, v4
	v_and_b32_e32 v5, 3, v4
	v_ffbh_u32_e32 v7, v5
	v_min_u32_e32 v7, 32, v7
	v_subrev_u32_e32 v8, 29, v7
	v_bfe_u32 v6, v4, 2, 5
	v_lshlrev_b32_e32 v4, v8, v4
	v_sub_u32_e32 v7, 30, v7
	v_and_b32_e32 v4, 3, v4
	v_cmp_eq_u32_e32 vcc, 0, v6
	v_cndmask_b32_e32 v6, v6, v7, vcc
	v_cndmask_b32_e32 v4, v5, v4, vcc
	v_mov_b32_e32 v5, 0x37800000
	v_lshlrev_b32_e32 v4, 21, v4
	v_and_b32_e32 v3, 0x80000000, v3
	v_lshl_add_u32 v5, v6, 23, v5
	v_or3_b32 v3, v3, v5, v4
	v_cvt_u32_f32_e32 v3, v3
.LBB331_938:
	s_or_b64 exec, exec, s[0:1]
	s_mov_b64 s[0:1], 0
	s_branch .LBB331_944
.LBB331_939:
	s_mov_b64 s[42:43], -1
                                        ; implicit-def: $vgpr3
	s_branch .LBB331_950
.LBB331_940:
	s_andn2_saveexec_b64 s[0:1], s[0:1]
	s_cbranch_execz .LBB331_925
.LBB331_941:
	v_cmp_ne_u16_e32 vcc, 0, v4
	s_andn2_b64 s[42:43], s[42:43], exec
	s_and_b64 s[46:47], vcc, exec
	s_or_b64 s[42:43], s[42:43], s[46:47]
	s_or_b64 exec, exec, s[0:1]
	v_mov_b32_e32 v3, 0
	s_and_saveexec_b64 s[0:1], s[42:43]
	s_cbranch_execnz .LBB331_926
	s_branch .LBB331_927
.LBB331_942:
	s_mov_b64 s[0:1], -1
                                        ; implicit-def: $vgpr3
	s_branch .LBB331_947
.LBB331_943:
	s_mov_b64 s[0:1], -1
                                        ; implicit-def: $vgpr3
.LBB331_944:
	s_and_b64 vcc, exec, s[0:1]
	s_cbranch_vccz .LBB331_946
; %bb.945:
	global_load_ubyte v3, v[1:2], off
	s_mov_b32 s0, 0x7f800000
	s_waitcnt vmcnt(0)
	v_lshlrev_b32_e32 v3, 24, v3
	v_and_b32_e32 v4, 0x7f000000, v3
	v_ffbh_u32_e32 v5, v4
	v_min_u32_e32 v5, 32, v5
	v_sub_u32_e64 v5, v5, 4 clamp
	v_lshlrev_b32_e32 v7, v5, v4
	v_lshlrev_b32_e32 v5, 23, v5
	v_lshrrev_b32_e32 v7, 4, v7
	v_add_u32_e32 v6, 0x1000000, v4
	v_sub_u32_e32 v5, v7, v5
	v_ashrrev_i32_e32 v6, 8, v6
	v_add_u32_e32 v5, 0x3c000000, v5
	v_and_or_b32 v5, v6, s0, v5
	v_cmp_ne_u32_e32 vcc, 0, v4
	v_cndmask_b32_e32 v4, 0, v5, vcc
	s_brev_b32 s0, 1
	v_and_or_b32 v3, v3, s0, v4
	v_cvt_u32_f32_e32 v3, v3
.LBB331_946:
	s_mov_b64 s[0:1], 0
.LBB331_947:
	s_andn2_b64 vcc, exec, s[0:1]
	s_cbranch_vccnz .LBB331_949
; %bb.948:
	global_load_ubyte v3, v[1:2], off
	s_movk_i32 s0, 0x7f00
	s_brev_b32 s1, 16
	s_waitcnt vmcnt(0)
	v_lshlrev_b16_e32 v4, 8, v3
	v_lshlrev_b32_e32 v3, 25, v3
	v_lshrrev_b32_e32 v5, 4, v3
	v_and_or_b32 v6, v4, s0, 0.5
	v_or_b32_e32 v5, 0x70000000, v5
	v_add_f32_e32 v6, -0.5, v6
	v_mul_f32_e32 v5, 0x7800000, v5
	v_cmp_gt_u32_e32 vcc, s1, v3
	v_bfe_i32 v4, v4, 0, 16
	v_cndmask_b32_e32 v3, v5, v6, vcc
	s_brev_b32 s0, 1
	v_and_or_b32 v3, v4, s0, v3
	v_cvt_u32_f32_e32 v3, v3
.LBB331_949:
	s_mov_b64 s[42:43], 0
	s_mov_b64 s[0:1], -1
.LBB331_950:
	s_andn2_b64 vcc, exec, s[42:43]
	s_cbranch_vccnz .LBB331_963
; %bb.951:
	s_cmp_gt_i32 s45, 14
	s_cbranch_scc0 .LBB331_954
; %bb.952:
	s_cmp_eq_u32 s45, 15
	s_cbranch_scc0 .LBB331_957
; %bb.953:
	global_load_ushort v3, v[1:2], off
	s_mov_b64 s[0:1], -1
	s_mov_b64 s[40:41], 0
	s_waitcnt vmcnt(0)
	v_lshlrev_b32_e32 v3, 16, v3
	v_cvt_u32_f32_e32 v3, v3
	s_branch .LBB331_958
.LBB331_954:
	s_mov_b64 s[42:43], -1
                                        ; implicit-def: $vgpr3
	s_branch .LBB331_959
.LBB331_955:
	s_andn2_saveexec_b64 s[0:1], s[0:1]
	s_cbranch_execz .LBB331_936
.LBB331_956:
	v_cmp_ne_u16_e32 vcc, 0, v4
	s_andn2_b64 s[42:43], s[42:43], exec
	s_and_b64 s[46:47], vcc, exec
	s_or_b64 s[42:43], s[42:43], s[46:47]
	s_or_b64 exec, exec, s[0:1]
	v_mov_b32_e32 v3, 0
	s_and_saveexec_b64 s[0:1], s[42:43]
	s_cbranch_execnz .LBB331_937
	s_branch .LBB331_938
.LBB331_957:
	s_mov_b64 s[40:41], -1
                                        ; implicit-def: $vgpr3
.LBB331_958:
	s_mov_b64 s[42:43], 0
.LBB331_959:
	s_and_b64 vcc, exec, s[42:43]
	s_cbranch_vccz .LBB331_963
; %bb.960:
	s_cmp_eq_u32 s45, 11
	s_cbranch_scc0 .LBB331_962
; %bb.961:
	global_load_ubyte v3, v[1:2], off
	s_mov_b64 s[0:1], -1
	s_mov_b64 s[40:41], 0
	s_waitcnt vmcnt(0)
	v_cmp_ne_u16_e32 vcc, 0, v3
	v_cndmask_b32_e64 v3, 0, 1, vcc
	s_branch .LBB331_963
.LBB331_962:
	s_mov_b64 s[40:41], -1
                                        ; implicit-def: $vgpr3
.LBB331_963:
	s_mov_b64 s[42:43], 0
.LBB331_964:
	s_and_b64 vcc, exec, s[42:43]
	s_cbranch_vccz .LBB331_1013
; %bb.965:
	s_and_b32 s42, 0xffff, s44
	s_cmp_lt_i32 s42, 5
	s_cbranch_scc1 .LBB331_970
; %bb.966:
	s_cmp_lt_i32 s42, 8
	s_cbranch_scc1 .LBB331_971
; %bb.967:
	;; [unrolled: 3-line block ×3, first 2 shown]
	s_cmp_gt_i32 s42, 9
	s_cbranch_scc0 .LBB331_973
; %bb.969:
	global_load_dwordx2 v[3:4], v[1:2], off
	s_mov_b64 s[0:1], 0
	s_waitcnt vmcnt(0)
	v_cvt_u32_f64_e32 v3, v[3:4]
	s_branch .LBB331_974
.LBB331_970:
	s_mov_b64 s[0:1], -1
                                        ; implicit-def: $vgpr3
	s_branch .LBB331_992
.LBB331_971:
	s_mov_b64 s[0:1], -1
                                        ; implicit-def: $vgpr3
	s_branch .LBB331_980
.LBB331_972:
	s_mov_b64 s[0:1], -1
                                        ; implicit-def: $vgpr3
	s_branch .LBB331_977
.LBB331_973:
	s_mov_b64 s[0:1], -1
                                        ; implicit-def: $vgpr3
.LBB331_974:
	s_andn2_b64 vcc, exec, s[0:1]
	s_cbranch_vccnz .LBB331_976
; %bb.975:
	global_load_dword v3, v[1:2], off
	s_waitcnt vmcnt(0)
	v_cvt_u32_f32_e32 v3, v3
.LBB331_976:
	s_mov_b64 s[0:1], 0
.LBB331_977:
	s_andn2_b64 vcc, exec, s[0:1]
	s_cbranch_vccnz .LBB331_979
; %bb.978:
	global_load_dword v3, v[1:2], off
	s_waitcnt vmcnt(0)
	v_cvt_u16_f16_e32 v3, v3
.LBB331_979:
	s_mov_b64 s[0:1], 0
.LBB331_980:
	s_andn2_b64 vcc, exec, s[0:1]
	s_cbranch_vccnz .LBB331_991
; %bb.981:
	s_cmp_lt_i32 s42, 6
	s_cbranch_scc1 .LBB331_984
; %bb.982:
	s_cmp_gt_i32 s42, 6
	s_cbranch_scc0 .LBB331_985
; %bb.983:
	global_load_dwordx2 v[3:4], v[1:2], off
	s_mov_b64 s[0:1], 0
	s_waitcnt vmcnt(0)
	v_cvt_u32_f64_e32 v3, v[3:4]
	s_branch .LBB331_986
.LBB331_984:
	s_mov_b64 s[0:1], -1
                                        ; implicit-def: $vgpr3
	s_branch .LBB331_989
.LBB331_985:
	s_mov_b64 s[0:1], -1
                                        ; implicit-def: $vgpr3
.LBB331_986:
	s_andn2_b64 vcc, exec, s[0:1]
	s_cbranch_vccnz .LBB331_988
; %bb.987:
	global_load_dword v3, v[1:2], off
	s_waitcnt vmcnt(0)
	v_cvt_u32_f32_e32 v3, v3
.LBB331_988:
	s_mov_b64 s[0:1], 0
.LBB331_989:
	s_andn2_b64 vcc, exec, s[0:1]
	s_cbranch_vccnz .LBB331_991
; %bb.990:
	global_load_ushort v3, v[1:2], off
	s_waitcnt vmcnt(0)
	v_cvt_u16_f16_e32 v3, v3
.LBB331_991:
	s_mov_b64 s[0:1], 0
.LBB331_992:
	s_andn2_b64 vcc, exec, s[0:1]
	s_cbranch_vccnz .LBB331_1012
; %bb.993:
	s_cmp_lt_i32 s42, 2
	s_cbranch_scc1 .LBB331_997
; %bb.994:
	s_cmp_lt_i32 s42, 3
	s_cbranch_scc1 .LBB331_998
; %bb.995:
	s_cmp_gt_i32 s42, 3
	s_cbranch_scc0 .LBB331_999
; %bb.996:
	global_load_dwordx2 v[3:4], v[1:2], off
	s_mov_b64 s[0:1], 0
	s_branch .LBB331_1000
.LBB331_997:
	s_mov_b64 s[0:1], -1
                                        ; implicit-def: $vgpr3
	s_branch .LBB331_1006
.LBB331_998:
	s_mov_b64 s[0:1], -1
                                        ; implicit-def: $vgpr3
	s_branch .LBB331_1003
.LBB331_999:
	s_mov_b64 s[0:1], -1
                                        ; implicit-def: $vgpr3
.LBB331_1000:
	s_andn2_b64 vcc, exec, s[0:1]
	s_cbranch_vccnz .LBB331_1002
; %bb.1001:
	global_load_dword v3, v[1:2], off
.LBB331_1002:
	s_mov_b64 s[0:1], 0
.LBB331_1003:
	s_andn2_b64 vcc, exec, s[0:1]
	s_cbranch_vccnz .LBB331_1005
; %bb.1004:
	global_load_ushort v3, v[1:2], off
.LBB331_1005:
	s_mov_b64 s[0:1], 0
.LBB331_1006:
	s_andn2_b64 vcc, exec, s[0:1]
	s_cbranch_vccnz .LBB331_1012
; %bb.1007:
	s_cmp_gt_i32 s42, 0
	s_cbranch_scc0 .LBB331_1009
; %bb.1008:
	global_load_sbyte v3, v[1:2], off
	s_mov_b64 s[0:1], 0
	s_branch .LBB331_1010
.LBB331_1009:
	s_mov_b64 s[0:1], -1
                                        ; implicit-def: $vgpr3
.LBB331_1010:
	s_andn2_b64 vcc, exec, s[0:1]
	s_cbranch_vccnz .LBB331_1012
; %bb.1011:
	global_load_ubyte v3, v[1:2], off
.LBB331_1012:
	s_mov_b64 s[0:1], -1
.LBB331_1013:
	s_andn2_b64 vcc, exec, s[0:1]
	s_cbranch_vccnz .LBB331_1021
; %bb.1014:
	v_mul_lo_u32 v1, v14, s12
	s_waitcnt vmcnt(0)
	v_cmp_ne_u16_e32 vcc, v0, v3
	v_mov_b32_e32 v2, s9
	s_xor_b64 s[42:43], s[16:17], vcc
	v_ashrrev_i32_e32 v3, 31, v1
	s_and_b32 s51, s33, 0xff
	v_add_co_u32_e32 v0, vcc, s8, v1
	s_cmp_lt_i32 s51, 11
	v_addc_co_u32_e32 v1, vcc, v2, v3, vcc
	s_cbranch_scc1 .LBB331_1022
; %bb.1015:
	s_and_b32 s52, 0xffff, s51
	s_cmp_gt_i32 s52, 25
	s_cbranch_scc0 .LBB331_1023
; %bb.1016:
	s_cmp_gt_i32 s52, 28
	s_cbranch_scc0 .LBB331_1024
; %bb.1017:
	;; [unrolled: 3-line block ×4, first 2 shown]
	s_mov_b64 s[46:47], 0
	s_mov_b64 s[0:1], -1
	s_cmp_eq_u32 s52, 46
	s_mov_b64 s[44:45], 0
	s_cbranch_scc0 .LBB331_1027
; %bb.1020:
	v_cndmask_b32_e64 v2, 0, 1.0, s[42:43]
	v_bfe_u32 v3, v2, 16, 1
	s_movk_i32 s0, 0x7fff
	v_add3_u32 v2, v2, v3, s0
	v_lshrrev_b32_e32 v2, 16, v2
	global_store_dword v[0:1], v2, off
	s_mov_b64 s[44:45], -1
	s_mov_b64 s[0:1], 0
	s_branch .LBB331_1027
.LBB331_1021:
	s_mov_b64 s[44:45], 0
                                        ; implicit-def: $vgpr14
	s_mov_b64 s[0:1], s[30:31]
	s_branch .LBB331_1137
.LBB331_1022:
	s_mov_b64 s[46:47], -1
	s_mov_b64 s[44:45], 0
	s_mov_b64 s[0:1], s[30:31]
	s_branch .LBB331_1096
.LBB331_1023:
	s_mov_b64 s[46:47], -1
	s_mov_b64 s[44:45], 0
	s_mov_b64 s[0:1], s[30:31]
	s_branch .LBB331_1054
.LBB331_1024:
	s_mov_b64 s[46:47], -1
	s_mov_b64 s[44:45], 0
	s_mov_b64 s[0:1], s[30:31]
	s_branch .LBB331_1037
.LBB331_1025:
	s_mov_b64 s[46:47], -1
	s_mov_b64 s[44:45], 0
	s_mov_b64 s[0:1], s[30:31]
	s_branch .LBB331_1033
.LBB331_1026:
	s_mov_b64 s[46:47], -1
	s_mov_b64 s[44:45], 0
	s_mov_b64 s[0:1], s[30:31]
.LBB331_1027:
	s_and_b64 vcc, exec, s[46:47]
	s_cbranch_vccz .LBB331_1032
; %bb.1028:
	s_cmp_eq_u32 s52, 44
	s_mov_b64 s[0:1], -1
	s_cbranch_scc0 .LBB331_1032
; %bb.1029:
	v_cndmask_b32_e64 v3, 0, 1.0, s[42:43]
	v_lshrrev_b32_e32 v2, 23, v3
	s_movk_i32 s0, 0xff
	v_cmp_ne_u32_e32 vcc, s0, v2
	v_mov_b32_e32 v4, 0xff
	s_and_saveexec_b64 s[44:45], vcc
; %bb.1030:
	s_mov_b32 s0, 0x3fffff
	v_and_b32_e32 v4, 0x400000, v3
	v_and_or_b32 v3, v3, s0, v2
	v_cmp_ne_u32_e32 vcc, 0, v4
	v_cmp_ne_u32_e64 s[0:1], 0, v3
	s_and_b64 s[0:1], vcc, s[0:1]
	v_cndmask_b32_e64 v3, 0, 1, s[0:1]
	v_add_u32_e32 v4, v2, v3
; %bb.1031:
	s_or_b64 exec, exec, s[44:45]
	s_mov_b64 s[44:45], -1
	s_mov_b64 s[0:1], 0
	global_store_byte v[0:1], v4, off
.LBB331_1032:
	s_mov_b64 s[46:47], 0
.LBB331_1033:
	s_and_b64 vcc, exec, s[46:47]
	s_cbranch_vccz .LBB331_1036
; %bb.1034:
	s_cmp_eq_u32 s52, 29
	s_mov_b64 s[0:1], -1
	s_cbranch_scc0 .LBB331_1036
; %bb.1035:
	s_mov_b32 s0, 0
	v_cndmask_b32_e64 v2, 0, 1, s[42:43]
	v_mov_b32_e32 v3, s0
	global_store_dwordx2 v[0:1], v[2:3], off
	s_mov_b64 s[44:45], -1
	s_mov_b64 s[0:1], 0
.LBB331_1036:
	s_mov_b64 s[46:47], 0
.LBB331_1037:
	s_and_b64 vcc, exec, s[46:47]
	s_cbranch_vccz .LBB331_1053
; %bb.1038:
	s_cmp_lt_i32 s52, 27
	s_mov_b64 s[44:45], -1
	s_cbranch_scc1 .LBB331_1044
; %bb.1039:
	s_cmp_gt_i32 s52, 27
	s_cbranch_scc0 .LBB331_1041
; %bb.1040:
	v_cndmask_b32_e64 v2, 0, 1, s[42:43]
	s_mov_b64 s[44:45], 0
	global_store_dword v[0:1], v2, off
.LBB331_1041:
	s_andn2_b64 vcc, exec, s[44:45]
	s_cbranch_vccnz .LBB331_1043
; %bb.1042:
	v_cndmask_b32_e64 v2, 0, 1, s[42:43]
	global_store_short v[0:1], v2, off
.LBB331_1043:
	s_mov_b64 s[44:45], 0
.LBB331_1044:
	s_andn2_b64 vcc, exec, s[44:45]
	s_cbranch_vccnz .LBB331_1052
; %bb.1045:
	v_cndmask_b32_e64 v3, 0, 1.0, s[42:43]
	s_mov_b32 s44, 0x43800000
	v_cmp_gt_u32_e32 vcc, s44, v3
	v_mov_b32_e32 v4, 0x80
	s_and_saveexec_b64 s[44:45], vcc
	s_cbranch_execz .LBB331_1051
; %bb.1046:
	s_mov_b32 s46, 0x3bffffff
	v_cmp_lt_u32_e32 vcc, s46, v3
	s_mov_b64 s[46:47], 0
                                        ; implicit-def: $vgpr2
	s_and_saveexec_b64 s[48:49], vcc
	s_xor_b64 s[48:49], exec, s[48:49]
	s_cbranch_execz .LBB331_1153
; %bb.1047:
	v_bfe_u32 v2, v3, 20, 1
	s_mov_b32 s53, 0x487ffff
	v_add3_u32 v2, v3, v2, s53
	s_mov_b64 s[46:47], exec
	v_lshrrev_b32_e32 v2, 20, v2
                                        ; implicit-def: $vgpr3
	s_andn2_saveexec_b64 s[48:49], s[48:49]
	s_cbranch_execnz .LBB331_1154
.LBB331_1048:
	s_or_b64 exec, exec, s[48:49]
	v_mov_b32_e32 v4, 0
	s_and_saveexec_b64 s[48:49], s[46:47]
.LBB331_1049:
	v_mov_b32_e32 v4, v2
.LBB331_1050:
	s_or_b64 exec, exec, s[48:49]
.LBB331_1051:
	s_or_b64 exec, exec, s[44:45]
	global_store_byte v[0:1], v4, off
.LBB331_1052:
	s_mov_b64 s[44:45], -1
.LBB331_1053:
	s_mov_b64 s[46:47], 0
.LBB331_1054:
	s_and_b64 vcc, exec, s[46:47]
	s_cbranch_vccz .LBB331_1095
; %bb.1055:
	s_cmp_gt_i32 s52, 22
	s_mov_b64 s[46:47], -1
	s_cbranch_scc0 .LBB331_1087
; %bb.1056:
	s_cmp_lt_i32 s52, 24
	s_mov_b64 s[44:45], -1
	s_cbranch_scc1 .LBB331_1076
; %bb.1057:
	s_cmp_gt_i32 s52, 24
	s_cbranch_scc0 .LBB331_1065
; %bb.1058:
	v_cndmask_b32_e64 v3, 0, 1.0, s[42:43]
	s_mov_b32 s44, 0x47800000
	v_cmp_gt_u32_e32 vcc, s44, v3
	v_mov_b32_e32 v4, 0x80
	s_and_saveexec_b64 s[44:45], vcc
	s_cbranch_execz .LBB331_1064
; %bb.1059:
	s_mov_b32 s46, 0x37ffffff
	v_cmp_lt_u32_e32 vcc, s46, v3
	s_mov_b64 s[46:47], 0
                                        ; implicit-def: $vgpr2
	s_and_saveexec_b64 s[48:49], vcc
	s_xor_b64 s[48:49], exec, s[48:49]
	s_cbranch_execz .LBB331_2147
; %bb.1060:
	v_bfe_u32 v2, v3, 21, 1
	s_mov_b32 s53, 0x88fffff
	v_add3_u32 v2, v3, v2, s53
	s_mov_b64 s[46:47], exec
	v_lshrrev_b32_e32 v2, 21, v2
                                        ; implicit-def: $vgpr3
	s_andn2_saveexec_b64 s[48:49], s[48:49]
	s_cbranch_execnz .LBB331_2148
.LBB331_1061:
	s_or_b64 exec, exec, s[48:49]
	v_mov_b32_e32 v4, 0
	s_and_saveexec_b64 s[48:49], s[46:47]
.LBB331_1062:
	v_mov_b32_e32 v4, v2
.LBB331_1063:
	s_or_b64 exec, exec, s[48:49]
.LBB331_1064:
	s_or_b64 exec, exec, s[44:45]
	s_mov_b64 s[44:45], 0
	global_store_byte v[0:1], v4, off
.LBB331_1065:
	s_and_b64 vcc, exec, s[44:45]
	s_cbranch_vccz .LBB331_1075
; %bb.1066:
	v_cndmask_b32_e64 v2, 0, 1.0, s[42:43]
	s_mov_b32 s44, 0x43f00000
	v_cmp_gt_u32_e32 vcc, s44, v2
                                        ; implicit-def: $vgpr3
	s_and_saveexec_b64 s[44:45], vcc
	s_xor_b64 s[44:45], exec, s[44:45]
	s_cbranch_execz .LBB331_1072
; %bb.1067:
	s_mov_b32 s46, 0x3c7fffff
	v_cmp_lt_u32_e32 vcc, s46, v2
                                        ; implicit-def: $vgpr3
	s_and_saveexec_b64 s[46:47], vcc
	s_xor_b64 s[46:47], exec, s[46:47]
; %bb.1068:
	v_bfe_u32 v3, v2, 20, 1
	s_mov_b32 s48, 0x407ffff
	v_add3_u32 v2, v2, v3, s48
	v_lshrrev_b32_e32 v3, 20, v2
	v_and_b32_e32 v2, 0xff00000, v2
	s_mov_b32 s48, 0x7f00000
	v_mov_b32_e32 v4, 0x7e
	v_cmp_ne_u32_e32 vcc, s48, v2
	v_cndmask_b32_e32 v3, v4, v3, vcc
                                        ; implicit-def: $vgpr2
; %bb.1069:
	s_andn2_saveexec_b64 s[46:47], s[46:47]
; %bb.1070:
	v_add_f32_e32 v3, 0x46800000, v2
; %bb.1071:
	s_or_b64 exec, exec, s[46:47]
                                        ; implicit-def: $vgpr2
.LBB331_1072:
	s_andn2_saveexec_b64 s[44:45], s[44:45]
; %bb.1073:
	s_mov_b32 s46, 0x7f800000
	v_mov_b32_e32 v3, 0x7e
	v_mov_b32_e32 v4, 0x7f
	v_cmp_lt_u32_e32 vcc, s46, v2
	v_cndmask_b32_e32 v3, v3, v4, vcc
; %bb.1074:
	s_or_b64 exec, exec, s[44:45]
	global_store_byte v[0:1], v3, off
.LBB331_1075:
	s_mov_b64 s[44:45], 0
.LBB331_1076:
	s_andn2_b64 vcc, exec, s[44:45]
	s_cbranch_vccnz .LBB331_1086
; %bb.1077:
	v_cndmask_b32_e64 v2, 0, 1.0, s[42:43]
	s_mov_b32 s44, 0x47800000
	v_cmp_gt_u32_e32 vcc, s44, v2
                                        ; implicit-def: $vgpr3
	s_and_saveexec_b64 s[44:45], vcc
	s_xor_b64 s[44:45], exec, s[44:45]
	s_cbranch_execz .LBB331_1083
; %bb.1078:
	s_mov_b32 s46, 0x387fffff
	v_cmp_lt_u32_e32 vcc, s46, v2
                                        ; implicit-def: $vgpr3
	s_and_saveexec_b64 s[46:47], vcc
	s_xor_b64 s[46:47], exec, s[46:47]
; %bb.1079:
	v_bfe_u32 v3, v2, 21, 1
	s_mov_b32 s48, 0x80fffff
	v_add3_u32 v2, v2, v3, s48
	v_lshrrev_b32_e32 v3, 21, v2
                                        ; implicit-def: $vgpr2
; %bb.1080:
	s_andn2_saveexec_b64 s[46:47], s[46:47]
; %bb.1081:
	v_add_f32_e32 v3, 0x43000000, v2
; %bb.1082:
	s_or_b64 exec, exec, s[46:47]
                                        ; implicit-def: $vgpr2
.LBB331_1083:
	s_andn2_saveexec_b64 s[44:45], s[44:45]
; %bb.1084:
	s_mov_b32 s46, 0x7f800000
	v_mov_b32_e32 v3, 0x7c
	v_mov_b32_e32 v4, 0x7f
	v_cmp_lt_u32_e32 vcc, s46, v2
	v_cndmask_b32_e32 v3, v3, v4, vcc
; %bb.1085:
	s_or_b64 exec, exec, s[44:45]
	global_store_byte v[0:1], v3, off
.LBB331_1086:
	s_mov_b64 s[46:47], 0
	s_mov_b64 s[44:45], -1
.LBB331_1087:
	s_andn2_b64 vcc, exec, s[46:47]
	s_cbranch_vccnz .LBB331_1095
; %bb.1088:
	s_cmp_gt_i32 s52, 14
	s_mov_b64 s[46:47], -1
	s_cbranch_scc0 .LBB331_1092
; %bb.1089:
	s_cmp_eq_u32 s52, 15
	s_mov_b64 s[0:1], -1
	s_cbranch_scc0 .LBB331_1091
; %bb.1090:
	v_cndmask_b32_e64 v2, 0, 1.0, s[42:43]
	v_bfe_u32 v3, v2, 16, 1
	s_movk_i32 s0, 0x7fff
	v_add3_u32 v2, v2, v3, s0
	global_store_short_d16_hi v[0:1], v2, off
	s_mov_b64 s[44:45], -1
	s_mov_b64 s[0:1], 0
.LBB331_1091:
	s_mov_b64 s[46:47], 0
.LBB331_1092:
	s_and_b64 vcc, exec, s[46:47]
	s_cbranch_vccz .LBB331_1095
; %bb.1093:
	s_cmp_eq_u32 s52, 11
	s_mov_b64 s[0:1], -1
	s_cbranch_scc0 .LBB331_1095
; %bb.1094:
	v_cndmask_b32_e64 v2, 0, 1, s[42:43]
	s_mov_b64 s[44:45], -1
	s_mov_b64 s[0:1], 0
	global_store_byte v[0:1], v2, off
.LBB331_1095:
	s_mov_b64 s[46:47], 0
.LBB331_1096:
	s_and_b64 vcc, exec, s[46:47]
	s_cbranch_vccz .LBB331_1135
; %bb.1097:
	s_and_b32 s46, 0xffff, s51
	s_cmp_lt_i32 s46, 5
	s_mov_b64 s[44:45], -1
	s_cbranch_scc1 .LBB331_1118
; %bb.1098:
	s_cmp_lt_i32 s46, 8
	s_cbranch_scc1 .LBB331_1108
; %bb.1099:
	s_cmp_lt_i32 s46, 9
	s_cbranch_scc1 .LBB331_1105
; %bb.1100:
	s_cmp_gt_i32 s46, 9
	s_cbranch_scc0 .LBB331_1102
; %bb.1101:
	v_cndmask_b32_e64 v2, 0, 1, s[42:43]
	v_cvt_f64_u32_e32 v[2:3], v2
	v_mov_b32_e32 v4, 0
	v_mov_b32_e32 v5, v4
	s_mov_b64 s[44:45], 0
	global_store_dwordx4 v[0:1], v[2:5], off
.LBB331_1102:
	s_andn2_b64 vcc, exec, s[44:45]
	s_cbranch_vccnz .LBB331_1104
; %bb.1103:
	v_cndmask_b32_e64 v2, 0, 1.0, s[42:43]
	v_mov_b32_e32 v3, 0
	global_store_dwordx2 v[0:1], v[2:3], off
.LBB331_1104:
	s_mov_b64 s[44:45], 0
.LBB331_1105:
	s_andn2_b64 vcc, exec, s[44:45]
	s_cbranch_vccnz .LBB331_1107
; %bb.1106:
	v_cndmask_b32_e64 v2, 0, 1.0, s[42:43]
	v_cvt_f16_f32_e32 v2, v2
	global_store_dword v[0:1], v2, off
.LBB331_1107:
	s_mov_b64 s[44:45], 0
.LBB331_1108:
	s_andn2_b64 vcc, exec, s[44:45]
	s_cbranch_vccnz .LBB331_1117
; %bb.1109:
	s_cmp_lt_i32 s46, 6
	s_mov_b64 s[44:45], -1
	s_cbranch_scc1 .LBB331_1115
; %bb.1110:
	s_cmp_gt_i32 s46, 6
	s_cbranch_scc0 .LBB331_1112
; %bb.1111:
	v_cndmask_b32_e64 v2, 0, 1, s[42:43]
	v_cvt_f64_u32_e32 v[2:3], v2
	s_mov_b64 s[44:45], 0
	global_store_dwordx2 v[0:1], v[2:3], off
.LBB331_1112:
	s_andn2_b64 vcc, exec, s[44:45]
	s_cbranch_vccnz .LBB331_1114
; %bb.1113:
	v_cndmask_b32_e64 v2, 0, 1.0, s[42:43]
	global_store_dword v[0:1], v2, off
.LBB331_1114:
	s_mov_b64 s[44:45], 0
.LBB331_1115:
	s_andn2_b64 vcc, exec, s[44:45]
	s_cbranch_vccnz .LBB331_1117
; %bb.1116:
	v_cndmask_b32_e64 v2, 0, 1.0, s[42:43]
	v_cvt_f16_f32_e32 v2, v2
	global_store_short v[0:1], v2, off
.LBB331_1117:
	s_mov_b64 s[44:45], 0
.LBB331_1118:
	s_andn2_b64 vcc, exec, s[44:45]
	s_cbranch_vccnz .LBB331_1134
; %bb.1119:
	s_cmp_lt_i32 s46, 2
	s_mov_b64 s[44:45], -1
	s_cbranch_scc1 .LBB331_1129
; %bb.1120:
	s_cmp_lt_i32 s46, 3
	s_cbranch_scc1 .LBB331_1126
; %bb.1121:
	s_cmp_gt_i32 s46, 3
	s_cbranch_scc0 .LBB331_1123
; %bb.1122:
	s_mov_b32 s44, 0
	v_cndmask_b32_e64 v2, 0, 1, s[42:43]
	v_mov_b32_e32 v3, s44
	s_mov_b64 s[44:45], 0
	global_store_dwordx2 v[0:1], v[2:3], off
.LBB331_1123:
	s_andn2_b64 vcc, exec, s[44:45]
	s_cbranch_vccnz .LBB331_1125
; %bb.1124:
	v_cndmask_b32_e64 v2, 0, 1, s[42:43]
	global_store_dword v[0:1], v2, off
.LBB331_1125:
	s_mov_b64 s[44:45], 0
.LBB331_1126:
	s_andn2_b64 vcc, exec, s[44:45]
	s_cbranch_vccnz .LBB331_1128
; %bb.1127:
	v_cndmask_b32_e64 v2, 0, 1, s[42:43]
	global_store_short v[0:1], v2, off
.LBB331_1128:
	s_mov_b64 s[44:45], 0
.LBB331_1129:
	s_andn2_b64 vcc, exec, s[44:45]
	s_cbranch_vccnz .LBB331_1134
; %bb.1130:
	s_mov_b64 s[44:45], -1
	s_cmp_gt_i32 s46, 0
	v_cndmask_b32_e64 v2, 0, 1, s[42:43]
	s_cbranch_scc0 .LBB331_1132
; %bb.1131:
	s_mov_b64 s[44:45], 0
	global_store_byte v[0:1], v2, off
.LBB331_1132:
	s_andn2_b64 vcc, exec, s[44:45]
	s_cbranch_vccnz .LBB331_1134
; %bb.1133:
	global_store_byte v[0:1], v2, off
.LBB331_1134:
	s_mov_b64 s[44:45], -1
.LBB331_1135:
	s_andn2_b64 vcc, exec, s[44:45]
	s_cbranch_vccnz .LBB331_1148
; %bb.1136:
	v_add_u32_e32 v14, 0x80, v14
	s_mov_b64 s[44:45], -1
.LBB331_1137:
	s_andn2_b64 s[42:43], s[30:31], exec
	s_and_b64 s[0:1], s[0:1], exec
	s_or_b64 s[42:43], s[42:43], s[0:1]
	s_andn2_b64 s[0:1], s[28:29], exec
	s_and_b64 s[40:41], s[40:41], exec
	s_or_b64 s[40:41], s[0:1], s[40:41]
	s_andn2_b64 s[0:1], s[26:27], exec
	s_and_b64 s[38:39], s[38:39], exec
	s_or_b64 s[0:1], s[0:1], s[38:39]
	s_orn2_b64 s[48:49], s[44:45], exec
.LBB331_1138:
	s_or_b64 exec, exec, s[36:37]
	s_mov_b64 s[44:45], 0
	s_mov_b64 s[38:39], 0
	;; [unrolled: 1-line block ×3, first 2 shown]
                                        ; implicit-def: $sgpr58
                                        ; implicit-def: $vgpr2_vgpr3
                                        ; implicit-def: $vgpr0
	s_and_saveexec_b64 s[36:37], s[48:49]
	s_cbranch_execz .LBB331_1218
; %bb.1139:
	v_cmp_gt_i32_e32 vcc, s50, v14
	s_mov_b64 s[48:49], 0
	s_mov_b64 s[50:51], s[0:1]
	;; [unrolled: 1-line block ×4, first 2 shown]
                                        ; implicit-def: $sgpr58
                                        ; implicit-def: $vgpr2_vgpr3
                                        ; implicit-def: $vgpr0
	s_and_saveexec_b64 s[38:39], vcc
	s_cbranch_execz .LBB331_1217
; %bb.1140:
	s_waitcnt vmcnt(0)
	v_mul_lo_u32 v0, v14, s13
	v_mov_b32_e32 v1, s11
	s_and_b32 s58, s57, 0xff
	s_cmp_lt_i32 s58, 11
	v_ashrrev_i32_e32 v3, 31, v0
	v_add_co_u32_e32 v2, vcc, s10, v0
	v_addc_co_u32_e32 v3, vcc, v1, v3, vcc
	s_cbranch_scc1 .LBB331_1147
; %bb.1141:
	s_and_b32 s52, 0xffff, s58
	s_cmp_gt_i32 s52, 25
	s_cbranch_scc0 .LBB331_1149
; %bb.1142:
	s_cmp_gt_i32 s52, 28
	s_cbranch_scc0 .LBB331_1150
; %bb.1143:
	;; [unrolled: 3-line block ×4, first 2 shown]
	s_cmp_eq_u32 s52, 46
	s_mov_b64 s[50:51], 0
	s_cbranch_scc0 .LBB331_1155
; %bb.1146:
	global_load_dword v0, v[2:3], off
	s_mov_b64 s[48:49], -1
	s_waitcnt vmcnt(0)
	v_lshlrev_b32_e32 v0, 16, v0
	v_cvt_u32_f32_e32 v0, v0
	s_branch .LBB331_1157
.LBB331_1147:
	s_mov_b64 s[50:51], -1
                                        ; implicit-def: $vgpr0
	s_mov_b64 s[44:45], s[0:1]
	s_branch .LBB331_1216
.LBB331_1148:
	s_mov_b64 s[44:45], 0
	s_branch .LBB331_894
.LBB331_1149:
	s_mov_b64 s[50:51], -1
	s_mov_b64 s[44:45], s[0:1]
                                        ; implicit-def: $vgpr0
	s_branch .LBB331_1184
.LBB331_1150:
	s_mov_b64 s[50:51], -1
	s_mov_b64 s[44:45], s[0:1]
                                        ; implicit-def: $vgpr0
	s_branch .LBB331_1167
.LBB331_1151:
	s_mov_b64 s[50:51], -1
	s_mov_b64 s[44:45], s[0:1]
                                        ; implicit-def: $vgpr0
	s_branch .LBB331_1162
.LBB331_1152:
	s_mov_b64 s[50:51], -1
	s_mov_b64 s[44:45], s[0:1]
	s_branch .LBB331_1156
.LBB331_1153:
	s_andn2_saveexec_b64 s[48:49], s[48:49]
	s_cbranch_execz .LBB331_1048
.LBB331_1154:
	v_add_f32_e32 v2, 0x46000000, v3
	v_and_b32_e32 v2, 0xff, v2
	v_cmp_ne_u32_e32 vcc, 0, v2
	s_andn2_b64 s[46:47], s[46:47], exec
	s_and_b64 s[54:55], vcc, exec
	s_or_b64 s[46:47], s[46:47], s[54:55]
	s_or_b64 exec, exec, s[48:49]
	v_mov_b32_e32 v4, 0
	s_and_saveexec_b64 s[48:49], s[46:47]
	s_cbranch_execnz .LBB331_1049
	s_branch .LBB331_1050
.LBB331_1155:
	s_mov_b64 s[44:45], -1
.LBB331_1156:
                                        ; implicit-def: $vgpr0
.LBB331_1157:
	s_and_b64 vcc, exec, s[50:51]
	s_cbranch_vccz .LBB331_1161
; %bb.1158:
	s_cmp_eq_u32 s52, 44
	s_cbranch_scc0 .LBB331_1160
; %bb.1159:
	global_load_ubyte v0, v[2:3], off
	s_mov_b64 s[44:45], 0
	s_mov_b64 s[48:49], -1
	s_waitcnt vmcnt(0)
	v_lshlrev_b32_e32 v1, 23, v0
	v_cvt_u32_f32_e32 v1, v1
	v_cmp_ne_u32_e32 vcc, 0, v0
	v_cndmask_b32_e32 v0, 0, v1, vcc
	s_branch .LBB331_1161
.LBB331_1160:
	s_mov_b64 s[44:45], -1
                                        ; implicit-def: $vgpr0
.LBB331_1161:
	s_mov_b64 s[50:51], 0
.LBB331_1162:
	s_and_b64 vcc, exec, s[50:51]
	s_cbranch_vccz .LBB331_1166
; %bb.1163:
	s_cmp_eq_u32 s52, 29
	s_cbranch_scc0 .LBB331_1165
; %bb.1164:
	global_load_dwordx2 v[0:1], v[2:3], off
	s_mov_b64 s[44:45], 0
	s_mov_b64 s[48:49], -1
	s_branch .LBB331_1166
.LBB331_1165:
	s_mov_b64 s[44:45], -1
                                        ; implicit-def: $vgpr0
.LBB331_1166:
	s_mov_b64 s[50:51], 0
.LBB331_1167:
	s_and_b64 vcc, exec, s[50:51]
	s_cbranch_vccz .LBB331_1183
; %bb.1168:
	s_cmp_lt_i32 s52, 27
	s_cbranch_scc1 .LBB331_1171
; %bb.1169:
	s_cmp_gt_i32 s52, 27
	s_cbranch_scc0 .LBB331_1172
; %bb.1170:
	global_load_dword v0, v[2:3], off
	s_mov_b64 s[48:49], 0
	s_branch .LBB331_1173
.LBB331_1171:
	s_mov_b64 s[48:49], -1
                                        ; implicit-def: $vgpr0
	s_branch .LBB331_1176
.LBB331_1172:
	s_mov_b64 s[48:49], -1
                                        ; implicit-def: $vgpr0
.LBB331_1173:
	s_andn2_b64 vcc, exec, s[48:49]
	s_cbranch_vccnz .LBB331_1175
; %bb.1174:
	global_load_ushort v0, v[2:3], off
.LBB331_1175:
	s_mov_b64 s[48:49], 0
.LBB331_1176:
	s_andn2_b64 vcc, exec, s[48:49]
	s_cbranch_vccnz .LBB331_1182
; %bb.1177:
	global_load_ubyte v1, v[2:3], off
	s_movk_i32 s48, 0x7f
	s_mov_b64 s[50:51], 0
	s_waitcnt vmcnt(0)
	v_cmp_lt_i16_e32 vcc, s48, v1
	s_and_saveexec_b64 s[48:49], vcc
	s_xor_b64 s[48:49], exec, s[48:49]
	s_cbranch_execz .LBB331_1194
; %bb.1178:
	s_movk_i32 s50, 0x80
	v_cmp_ne_u16_e32 vcc, s50, v1
	s_and_b64 s[50:51], vcc, exec
	s_andn2_saveexec_b64 s[48:49], s[48:49]
	s_cbranch_execnz .LBB331_1195
.LBB331_1179:
	s_or_b64 exec, exec, s[48:49]
	v_mov_b32_e32 v0, 0
	s_and_saveexec_b64 s[48:49], s[50:51]
	s_cbranch_execz .LBB331_1181
.LBB331_1180:
	v_lshlrev_b32_e32 v0, 24, v1
	v_and_b32_e32 v1, 0xffff, v1
	v_and_b32_e32 v4, 7, v1
	v_ffbh_u32_e32 v6, v4
	v_min_u32_e32 v6, 32, v6
	v_subrev_u32_e32 v7, 28, v6
	v_bfe_u32 v5, v1, 3, 4
	v_lshlrev_b32_e32 v1, v7, v1
	v_sub_u32_e32 v6, 29, v6
	v_and_b32_e32 v1, 7, v1
	v_cmp_eq_u32_e32 vcc, 0, v5
	v_cndmask_b32_e32 v5, v5, v6, vcc
	v_cndmask_b32_e32 v1, v4, v1, vcc
	v_mov_b32_e32 v4, 0x3b800000
	v_lshlrev_b32_e32 v1, 20, v1
	v_and_b32_e32 v0, 0x80000000, v0
	v_lshl_add_u32 v4, v5, 23, v4
	v_or3_b32 v0, v0, v4, v1
	v_cvt_u32_f32_e32 v0, v0
.LBB331_1181:
	s_or_b64 exec, exec, s[48:49]
.LBB331_1182:
	s_mov_b64 s[48:49], -1
.LBB331_1183:
	s_mov_b64 s[50:51], 0
.LBB331_1184:
	s_and_b64 vcc, exec, s[50:51]
	s_cbranch_vccz .LBB331_1215
; %bb.1185:
	s_cmp_gt_i32 s52, 22
	s_cbranch_scc0 .LBB331_1193
; %bb.1186:
	s_cmp_lt_i32 s52, 24
	s_cbranch_scc1 .LBB331_1196
; %bb.1187:
	s_cmp_gt_i32 s52, 24
	s_cbranch_scc0 .LBB331_1197
; %bb.1188:
	global_load_ubyte v1, v[2:3], off
	s_movk_i32 s46, 0x7f
	s_mov_b64 s[48:49], 0
	s_waitcnt vmcnt(0)
	v_cmp_lt_i16_e32 vcc, s46, v1
	s_and_saveexec_b64 s[46:47], vcc
	s_xor_b64 s[46:47], exec, s[46:47]
	s_cbranch_execz .LBB331_1209
; %bb.1189:
	s_movk_i32 s48, 0x80
	v_cmp_ne_u16_e32 vcc, s48, v1
	s_and_b64 s[48:49], vcc, exec
	s_andn2_saveexec_b64 s[46:47], s[46:47]
	s_cbranch_execnz .LBB331_1210
.LBB331_1190:
	s_or_b64 exec, exec, s[46:47]
	v_mov_b32_e32 v0, 0
	s_and_saveexec_b64 s[46:47], s[48:49]
	s_cbranch_execz .LBB331_1192
.LBB331_1191:
	v_lshlrev_b32_e32 v0, 24, v1
	v_and_b32_e32 v1, 0xffff, v1
	v_and_b32_e32 v4, 3, v1
	v_ffbh_u32_e32 v6, v4
	v_min_u32_e32 v6, 32, v6
	v_subrev_u32_e32 v7, 29, v6
	v_bfe_u32 v5, v1, 2, 5
	v_lshlrev_b32_e32 v1, v7, v1
	v_sub_u32_e32 v6, 30, v6
	v_and_b32_e32 v1, 3, v1
	v_cmp_eq_u32_e32 vcc, 0, v5
	v_cndmask_b32_e32 v5, v5, v6, vcc
	v_cndmask_b32_e32 v1, v4, v1, vcc
	v_mov_b32_e32 v4, 0x37800000
	v_lshlrev_b32_e32 v1, 21, v1
	v_and_b32_e32 v0, 0x80000000, v0
	v_lshl_add_u32 v4, v5, 23, v4
	v_or3_b32 v0, v0, v4, v1
	v_cvt_u32_f32_e32 v0, v0
.LBB331_1192:
	s_or_b64 exec, exec, s[46:47]
	s_mov_b64 s[46:47], 0
	s_branch .LBB331_1198
.LBB331_1193:
	s_mov_b64 s[46:47], -1
                                        ; implicit-def: $vgpr0
	s_branch .LBB331_1204
.LBB331_1194:
	s_andn2_saveexec_b64 s[48:49], s[48:49]
	s_cbranch_execz .LBB331_1179
.LBB331_1195:
	v_cmp_ne_u16_e32 vcc, 0, v1
	s_andn2_b64 s[50:51], s[50:51], exec
	s_and_b64 s[54:55], vcc, exec
	s_or_b64 s[50:51], s[50:51], s[54:55]
	s_or_b64 exec, exec, s[48:49]
	v_mov_b32_e32 v0, 0
	s_and_saveexec_b64 s[48:49], s[50:51]
	s_cbranch_execnz .LBB331_1180
	s_branch .LBB331_1181
.LBB331_1196:
	s_mov_b64 s[46:47], -1
                                        ; implicit-def: $vgpr0
	s_branch .LBB331_1201
.LBB331_1197:
	s_mov_b64 s[46:47], -1
                                        ; implicit-def: $vgpr0
.LBB331_1198:
	s_and_b64 vcc, exec, s[46:47]
	s_cbranch_vccz .LBB331_1200
; %bb.1199:
	global_load_ubyte v0, v[2:3], off
	s_mov_b32 s46, 0x7f800000
	s_waitcnt vmcnt(0)
	v_lshlrev_b32_e32 v0, 24, v0
	v_and_b32_e32 v1, 0x7f000000, v0
	v_ffbh_u32_e32 v4, v1
	v_min_u32_e32 v4, 32, v4
	v_sub_u32_e64 v4, v4, 4 clamp
	v_lshlrev_b32_e32 v6, v4, v1
	v_lshlrev_b32_e32 v4, 23, v4
	v_lshrrev_b32_e32 v6, 4, v6
	v_add_u32_e32 v5, 0x1000000, v1
	v_sub_u32_e32 v4, v6, v4
	v_ashrrev_i32_e32 v5, 8, v5
	v_add_u32_e32 v4, 0x3c000000, v4
	v_and_or_b32 v4, v5, s46, v4
	v_cmp_ne_u32_e32 vcc, 0, v1
	v_cndmask_b32_e32 v1, 0, v4, vcc
	s_brev_b32 s46, 1
	v_and_or_b32 v0, v0, s46, v1
	v_cvt_u32_f32_e32 v0, v0
.LBB331_1200:
	s_mov_b64 s[46:47], 0
.LBB331_1201:
	s_andn2_b64 vcc, exec, s[46:47]
	s_cbranch_vccnz .LBB331_1203
; %bb.1202:
	global_load_ubyte v0, v[2:3], off
	s_movk_i32 s46, 0x7f00
	s_brev_b32 s47, 16
	s_waitcnt vmcnt(0)
	v_lshlrev_b16_e32 v1, 8, v0
	v_lshlrev_b32_e32 v0, 25, v0
	v_lshrrev_b32_e32 v4, 4, v0
	v_and_or_b32 v5, v1, s46, 0.5
	v_or_b32_e32 v4, 0x70000000, v4
	v_add_f32_e32 v5, -0.5, v5
	v_mul_f32_e32 v4, 0x7800000, v4
	v_cmp_gt_u32_e32 vcc, s47, v0
	v_bfe_i32 v1, v1, 0, 16
	v_cndmask_b32_e32 v0, v4, v5, vcc
	s_brev_b32 s46, 1
	v_and_or_b32 v0, v1, s46, v0
	v_cvt_u32_f32_e32 v0, v0
.LBB331_1203:
	s_mov_b64 s[46:47], 0
	s_mov_b64 s[48:49], -1
.LBB331_1204:
	s_andn2_b64 vcc, exec, s[46:47]
	s_mov_b64 s[46:47], 0
	s_cbranch_vccnz .LBB331_1215
; %bb.1205:
	s_cmp_gt_i32 s52, 14
	s_cbranch_scc0 .LBB331_1208
; %bb.1206:
	s_cmp_eq_u32 s52, 15
	s_cbranch_scc0 .LBB331_1211
; %bb.1207:
	global_load_ushort v0, v[2:3], off
	s_mov_b64 s[44:45], 0
	s_mov_b64 s[48:49], -1
	s_waitcnt vmcnt(0)
	v_lshlrev_b32_e32 v0, 16, v0
	v_cvt_u32_f32_e32 v0, v0
	s_branch .LBB331_1212
.LBB331_1208:
	s_mov_b64 s[50:51], -1
                                        ; implicit-def: $vgpr0
	s_branch .LBB331_1213
.LBB331_1209:
	s_andn2_saveexec_b64 s[46:47], s[46:47]
	s_cbranch_execz .LBB331_1190
.LBB331_1210:
	v_cmp_ne_u16_e32 vcc, 0, v1
	s_andn2_b64 s[48:49], s[48:49], exec
	s_and_b64 s[50:51], vcc, exec
	s_or_b64 s[48:49], s[48:49], s[50:51]
	s_or_b64 exec, exec, s[46:47]
	v_mov_b32_e32 v0, 0
	s_and_saveexec_b64 s[46:47], s[48:49]
	s_cbranch_execnz .LBB331_1191
	s_branch .LBB331_1192
.LBB331_1211:
	s_mov_b64 s[44:45], -1
                                        ; implicit-def: $vgpr0
.LBB331_1212:
	s_mov_b64 s[50:51], 0
.LBB331_1213:
	s_and_b64 vcc, exec, s[50:51]
	s_cbranch_vccz .LBB331_1215
; %bb.1214:
	s_cmp_lg_u32 s52, 11
	s_cselect_b64 s[50:51], -1, 0
	s_andn2_b64 s[44:45], s[44:45], exec
	s_and_b64 s[50:51], s[50:51], exec
	s_mov_b64 s[46:47], -1
	s_or_b64 s[44:45], s[44:45], s[50:51]
.LBB331_1215:
	s_mov_b64 s[50:51], 0
.LBB331_1216:
	s_and_b64 s[54:55], s[48:49], exec
	s_and_b64 s[48:49], s[46:47], exec
	s_andn2_b64 s[46:47], s[0:1], exec
	s_and_b64 s[44:45], s[44:45], exec
	s_and_b64 s[52:53], s[50:51], exec
	s_or_b64 s[50:51], s[46:47], s[44:45]
.LBB331_1217:
	s_or_b64 exec, exec, s[38:39]
	s_and_b64 s[44:45], s[48:49], exec
	s_andn2_b64 s[0:1], s[0:1], exec
	s_and_b64 s[48:49], s[50:51], exec
	s_and_b64 s[46:47], s[54:55], exec
	;; [unrolled: 1-line block ×3, first 2 shown]
	s_or_b64 s[0:1], s[0:1], s[48:49]
.LBB331_1218:
	s_or_b64 exec, exec, s[36:37]
	s_andn2_b64 s[30:31], s[30:31], exec
	s_and_b64 s[36:37], s[42:43], exec
	s_or_b64 s[30:31], s[30:31], s[36:37]
	s_andn2_b64 s[28:29], s[28:29], exec
	s_and_b64 s[36:37], s[40:41], exec
	s_andn2_b64 s[26:27], s[26:27], exec
	s_and_b64 s[0:1], s[0:1], exec
	s_or_b64 s[28:29], s[28:29], s[36:37]
	s_and_b64 s[40:41], s[46:47], exec
	s_and_b64 s[38:39], s[38:39], exec
	;; [unrolled: 1-line block ×3, first 2 shown]
	s_or_b64 s[26:27], s[26:27], s[0:1]
.LBB331_1219:
	s_or_b64 exec, exec, s[34:35]
	s_andn2_b64 s[0:1], s[18:19], exec
	s_and_b64 s[18:19], s[30:31], exec
	s_or_b64 s[18:19], s[0:1], s[18:19]
	s_andn2_b64 s[0:1], s[20:21], exec
	s_and_b64 s[20:21], s[28:29], exec
	s_or_b64 s[20:21], s[0:1], s[20:21]
	s_andn2_b64 s[0:1], s[22:23], exec
	s_and_b64 s[22:23], s[26:27], exec
	s_and_b64 s[30:31], s[40:41], exec
	;; [unrolled: 1-line block ×4, first 2 shown]
	s_or_b64 s[22:23], s[0:1], s[22:23]
	s_or_b64 exec, exec, s[24:25]
	s_mov_b64 s[24:25], 0
	s_and_saveexec_b64 s[0:1], s[22:23]
	s_cbranch_execz .LBB331_385
.LBB331_1220:
	s_mov_b64 s[24:25], exec
	s_andn2_b64 s[28:29], s[28:29], exec
	s_trap 2
	s_or_b64 exec, exec, s[0:1]
	s_and_saveexec_b64 s[0:1], s[28:29]
	s_xor_b64 s[0:1], exec, s[0:1]
	s_cbranch_execnz .LBB331_386
.LBB331_1221:
	s_or_b64 exec, exec, s[0:1]
	s_and_saveexec_b64 s[0:1], s[34:35]
	s_cbranch_execz .LBB331_1267
.LBB331_1222:
	s_sext_i32_i16 s22, s58
	s_cmp_lt_i32 s22, 5
	s_cbranch_scc1 .LBB331_1227
; %bb.1223:
	s_cmp_lt_i32 s22, 8
	s_cbranch_scc1 .LBB331_1228
; %bb.1224:
	;; [unrolled: 3-line block ×3, first 2 shown]
	s_cmp_gt_i32 s22, 9
	s_cbranch_scc0 .LBB331_1230
; %bb.1226:
	s_waitcnt vmcnt(0)
	global_load_dwordx2 v[0:1], v[2:3], off
	s_mov_b64 s[22:23], 0
	s_waitcnt vmcnt(0)
	v_cvt_u32_f64_e32 v0, v[0:1]
	s_branch .LBB331_1231
.LBB331_1227:
                                        ; implicit-def: $vgpr0
	s_branch .LBB331_1248
.LBB331_1228:
                                        ; implicit-def: $vgpr0
	s_branch .LBB331_1237
.LBB331_1229:
	s_mov_b64 s[22:23], -1
                                        ; implicit-def: $vgpr0
	s_branch .LBB331_1234
.LBB331_1230:
	s_mov_b64 s[22:23], -1
                                        ; implicit-def: $vgpr0
.LBB331_1231:
	s_andn2_b64 vcc, exec, s[22:23]
	s_cbranch_vccnz .LBB331_1233
; %bb.1232:
	s_waitcnt vmcnt(0)
	global_load_dword v0, v[2:3], off
	s_waitcnt vmcnt(0)
	v_cvt_u32_f32_e32 v0, v0
.LBB331_1233:
	s_mov_b64 s[22:23], 0
.LBB331_1234:
	s_andn2_b64 vcc, exec, s[22:23]
	s_cbranch_vccnz .LBB331_1236
; %bb.1235:
	s_waitcnt vmcnt(0)
	global_load_dword v0, v[2:3], off
	s_waitcnt vmcnt(0)
	v_cvt_u16_f16_e32 v0, v0
.LBB331_1236:
	s_cbranch_execnz .LBB331_1247
.LBB331_1237:
	s_sext_i32_i16 s22, s58
	s_cmp_lt_i32 s22, 6
	s_cbranch_scc1 .LBB331_1240
; %bb.1238:
	s_cmp_gt_i32 s22, 6
	s_cbranch_scc0 .LBB331_1241
; %bb.1239:
	s_waitcnt vmcnt(0)
	global_load_dwordx2 v[0:1], v[2:3], off
	s_mov_b64 s[22:23], 0
	s_waitcnt vmcnt(0)
	v_cvt_u32_f64_e32 v0, v[0:1]
	s_branch .LBB331_1242
.LBB331_1240:
	s_mov_b64 s[22:23], -1
                                        ; implicit-def: $vgpr0
	s_branch .LBB331_1245
.LBB331_1241:
	s_mov_b64 s[22:23], -1
                                        ; implicit-def: $vgpr0
.LBB331_1242:
	s_andn2_b64 vcc, exec, s[22:23]
	s_cbranch_vccnz .LBB331_1244
; %bb.1243:
	s_waitcnt vmcnt(0)
	global_load_dword v0, v[2:3], off
	s_waitcnt vmcnt(0)
	v_cvt_u32_f32_e32 v0, v0
.LBB331_1244:
	s_mov_b64 s[22:23], 0
.LBB331_1245:
	s_andn2_b64 vcc, exec, s[22:23]
	s_cbranch_vccnz .LBB331_1247
; %bb.1246:
	s_waitcnt vmcnt(0)
	global_load_ushort v0, v[2:3], off
	s_waitcnt vmcnt(0)
	v_cvt_u16_f16_e32 v0, v0
.LBB331_1247:
	s_cbranch_execnz .LBB331_1266
.LBB331_1248:
	s_sext_i32_i16 s22, s58
	s_cmp_lt_i32 s22, 2
	s_cbranch_scc1 .LBB331_1252
; %bb.1249:
	s_cmp_lt_i32 s22, 3
	s_cbranch_scc1 .LBB331_1253
; %bb.1250:
	s_cmp_gt_i32 s22, 3
	s_cbranch_scc0 .LBB331_1254
; %bb.1251:
	s_waitcnt vmcnt(0)
	global_load_dwordx2 v[0:1], v[2:3], off
	s_mov_b64 s[22:23], 0
	s_branch .LBB331_1255
.LBB331_1252:
                                        ; implicit-def: $vgpr0
	s_branch .LBB331_1261
.LBB331_1253:
	s_mov_b64 s[22:23], -1
                                        ; implicit-def: $vgpr0
	s_branch .LBB331_1258
.LBB331_1254:
	s_mov_b64 s[22:23], -1
                                        ; implicit-def: $vgpr0
.LBB331_1255:
	s_andn2_b64 vcc, exec, s[22:23]
	s_cbranch_vccnz .LBB331_1257
; %bb.1256:
	s_waitcnt vmcnt(0)
	global_load_dword v0, v[2:3], off
.LBB331_1257:
	s_mov_b64 s[22:23], 0
.LBB331_1258:
	s_andn2_b64 vcc, exec, s[22:23]
	s_cbranch_vccnz .LBB331_1260
; %bb.1259:
	s_waitcnt vmcnt(0)
	global_load_ushort v0, v[2:3], off
.LBB331_1260:
	s_cbranch_execnz .LBB331_1266
.LBB331_1261:
	s_sext_i32_i16 s22, s58
	s_cmp_gt_i32 s22, 0
	s_cbranch_scc0 .LBB331_1263
; %bb.1262:
	s_waitcnt vmcnt(0)
	global_load_sbyte v0, v[2:3], off
	s_mov_b64 s[22:23], 0
	s_branch .LBB331_1264
.LBB331_1263:
	s_mov_b64 s[22:23], -1
                                        ; implicit-def: $vgpr0
.LBB331_1264:
	s_andn2_b64 vcc, exec, s[22:23]
	s_cbranch_vccnz .LBB331_1266
; %bb.1265:
	s_waitcnt vmcnt(0)
	global_load_ubyte v0, v[2:3], off
.LBB331_1266:
	s_or_b64 s[30:31], s[30:31], exec
.LBB331_1267:
	s_or_b64 exec, exec, s[0:1]
	s_mov_b64 s[28:29], 0
	s_mov_b64 s[34:35], 0
	;; [unrolled: 1-line block ×3, first 2 shown]
                                        ; implicit-def: $sgpr36
                                        ; implicit-def: $vgpr1_vgpr2
                                        ; implicit-def: $vgpr3
	s_and_saveexec_b64 s[0:1], s[30:31]
	s_cbranch_execz .LBB331_1275
; %bb.1268:
	s_waitcnt vmcnt(0)
	v_mul_lo_u32 v1, v14, s14
	v_mov_b32_e32 v2, s3
	s_and_b32 s36, s56, 0xff
	s_cmp_lt_i32 s36, 11
	v_ashrrev_i32_e32 v3, 31, v1
	v_add_co_u32_e32 v1, vcc, s2, v1
	v_addc_co_u32_e32 v2, vcc, v2, v3, vcc
	s_cbranch_scc1 .LBB331_1278
; %bb.1269:
	s_and_b32 s34, 0xffff, s36
	s_cmp_gt_i32 s34, 25
	s_cbranch_scc0 .LBB331_1279
; %bb.1270:
	s_cmp_gt_i32 s34, 28
	s_cbranch_scc0 .LBB331_1280
; %bb.1271:
	;; [unrolled: 3-line block ×4, first 2 shown]
	s_cmp_eq_u32 s34, 46
	s_mov_b64 s[30:31], 0
	s_cbranch_scc0 .LBB331_1283
; %bb.1274:
	global_load_dword v3, v[1:2], off
	s_mov_b64 s[22:23], 0
	s_mov_b64 s[26:27], -1
	s_waitcnt vmcnt(0)
	v_lshlrev_b32_e32 v3, 16, v3
	v_cvt_u32_f32_e32 v3, v3
	s_branch .LBB331_1285
.LBB331_1275:
	s_or_b64 exec, exec, s[0:1]
	s_and_saveexec_b64 s[0:1], s[20:21]
	s_cbranch_execnz .LBB331_1344
.LBB331_1276:
	s_or_b64 exec, exec, s[0:1]
	s_and_saveexec_b64 s[0:1], s[28:29]
	s_xor_b64 s[0:1], exec, s[0:1]
	s_cbranch_execz .LBB331_1345
.LBB331_1277:
	s_waitcnt vmcnt(0)
	global_load_ubyte v3, v[1:2], off
	s_or_b64 s[26:27], s[26:27], exec
	s_waitcnt vmcnt(0)
	v_cmp_ne_u16_e32 vcc, 0, v3
	v_cndmask_b32_e64 v3, 0, 1, vcc
	s_or_b64 exec, exec, s[0:1]
	s_and_saveexec_b64 s[0:1], s[34:35]
	s_cbranch_execz .LBB331_1391
	s_branch .LBB331_1346
.LBB331_1278:
	s_mov_b64 s[30:31], -1
                                        ; implicit-def: $vgpr3
	s_mov_b64 s[22:23], s[20:21]
	s_branch .LBB331_1343
.LBB331_1279:
	s_mov_b64 s[22:23], s[20:21]
                                        ; implicit-def: $vgpr3
	s_cbranch_execnz .LBB331_1312
	s_branch .LBB331_1342
.LBB331_1280:
	s_mov_b64 s[30:31], -1
	s_mov_b64 s[22:23], s[20:21]
                                        ; implicit-def: $vgpr3
	s_branch .LBB331_1295
.LBB331_1281:
	s_mov_b64 s[30:31], -1
	s_mov_b64 s[22:23], s[20:21]
                                        ; implicit-def: $vgpr3
	s_branch .LBB331_1290
.LBB331_1282:
	s_mov_b64 s[30:31], -1
	s_mov_b64 s[22:23], s[20:21]
	s_branch .LBB331_1284
.LBB331_1283:
	s_mov_b64 s[22:23], -1
.LBB331_1284:
                                        ; implicit-def: $vgpr3
.LBB331_1285:
	s_and_b64 vcc, exec, s[30:31]
	s_cbranch_vccz .LBB331_1289
; %bb.1286:
	s_cmp_eq_u32 s34, 44
	s_cbranch_scc0 .LBB331_1288
; %bb.1287:
	global_load_ubyte v3, v[1:2], off
	s_mov_b64 s[22:23], 0
	s_mov_b64 s[26:27], -1
	s_waitcnt vmcnt(0)
	v_lshlrev_b32_e32 v4, 23, v3
	v_cvt_u32_f32_e32 v4, v4
	v_cmp_ne_u32_e32 vcc, 0, v3
	v_cndmask_b32_e32 v3, 0, v4, vcc
	s_branch .LBB331_1289
.LBB331_1288:
	s_mov_b64 s[22:23], -1
                                        ; implicit-def: $vgpr3
.LBB331_1289:
	s_mov_b64 s[30:31], 0
.LBB331_1290:
	s_and_b64 vcc, exec, s[30:31]
	s_cbranch_vccz .LBB331_1294
; %bb.1291:
	s_cmp_eq_u32 s34, 29
	s_cbranch_scc0 .LBB331_1293
; %bb.1292:
	global_load_dwordx2 v[3:4], v[1:2], off
	s_mov_b64 s[22:23], 0
	s_mov_b64 s[26:27], -1
	s_branch .LBB331_1294
.LBB331_1293:
	s_mov_b64 s[22:23], -1
                                        ; implicit-def: $vgpr3
.LBB331_1294:
	s_mov_b64 s[30:31], 0
.LBB331_1295:
	s_and_b64 vcc, exec, s[30:31]
	s_cbranch_vccz .LBB331_1311
; %bb.1296:
	s_cmp_lt_i32 s34, 27
	s_cbranch_scc1 .LBB331_1299
; %bb.1297:
	s_cmp_gt_i32 s34, 27
	s_cbranch_scc0 .LBB331_1300
; %bb.1298:
	global_load_dword v3, v[1:2], off
	s_mov_b64 s[26:27], 0
	s_branch .LBB331_1301
.LBB331_1299:
	s_mov_b64 s[26:27], -1
                                        ; implicit-def: $vgpr3
	s_branch .LBB331_1304
.LBB331_1300:
	s_mov_b64 s[26:27], -1
                                        ; implicit-def: $vgpr3
.LBB331_1301:
	s_andn2_b64 vcc, exec, s[26:27]
	s_cbranch_vccnz .LBB331_1303
; %bb.1302:
	global_load_ushort v3, v[1:2], off
.LBB331_1303:
	s_mov_b64 s[26:27], 0
.LBB331_1304:
	s_andn2_b64 vcc, exec, s[26:27]
	s_cbranch_vccnz .LBB331_1310
; %bb.1305:
	global_load_ubyte v4, v[1:2], off
	s_movk_i32 s26, 0x7f
	s_mov_b64 s[30:31], 0
	s_waitcnt vmcnt(0)
	v_cmp_lt_i16_e32 vcc, s26, v4
	s_and_saveexec_b64 s[26:27], vcc
	s_xor_b64 s[26:27], exec, s[26:27]
	s_cbranch_execz .LBB331_1321
; %bb.1306:
	s_movk_i32 s30, 0x80
	v_cmp_ne_u16_e32 vcc, s30, v4
	s_and_b64 s[30:31], vcc, exec
	s_andn2_saveexec_b64 s[26:27], s[26:27]
	s_cbranch_execnz .LBB331_1322
.LBB331_1307:
	s_or_b64 exec, exec, s[26:27]
	v_mov_b32_e32 v3, 0
	s_and_saveexec_b64 s[26:27], s[30:31]
	s_cbranch_execz .LBB331_1309
.LBB331_1308:
	v_lshlrev_b32_e32 v3, 24, v4
	v_and_b32_e32 v4, 0xffff, v4
	v_and_b32_e32 v5, 7, v4
	v_ffbh_u32_e32 v7, v5
	v_min_u32_e32 v7, 32, v7
	v_subrev_u32_e32 v8, 28, v7
	v_bfe_u32 v6, v4, 3, 4
	v_lshlrev_b32_e32 v4, v8, v4
	v_sub_u32_e32 v7, 29, v7
	v_and_b32_e32 v4, 7, v4
	v_cmp_eq_u32_e32 vcc, 0, v6
	v_cndmask_b32_e32 v6, v6, v7, vcc
	v_cndmask_b32_e32 v4, v5, v4, vcc
	v_mov_b32_e32 v5, 0x3b800000
	v_lshlrev_b32_e32 v4, 20, v4
	v_and_b32_e32 v3, 0x80000000, v3
	v_lshl_add_u32 v5, v6, 23, v5
	v_or3_b32 v3, v3, v5, v4
	v_cvt_u32_f32_e32 v3, v3
.LBB331_1309:
	s_or_b64 exec, exec, s[26:27]
.LBB331_1310:
	s_mov_b64 s[26:27], -1
.LBB331_1311:
	s_branch .LBB331_1342
.LBB331_1312:
	s_cmp_gt_i32 s34, 22
	s_cbranch_scc0 .LBB331_1320
; %bb.1313:
	s_cmp_lt_i32 s34, 24
	s_cbranch_scc1 .LBB331_1323
; %bb.1314:
	s_cmp_gt_i32 s34, 24
	s_cbranch_scc0 .LBB331_1324
; %bb.1315:
	global_load_ubyte v4, v[1:2], off
	s_movk_i32 s26, 0x7f
	s_waitcnt vmcnt(0)
	v_cmp_lt_i16_e32 vcc, s26, v4
	s_and_saveexec_b64 s[26:27], vcc
	s_xor_b64 s[26:27], exec, s[26:27]
	s_cbranch_execz .LBB331_1336
; %bb.1316:
	s_movk_i32 s28, 0x80
	v_cmp_ne_u16_e32 vcc, s28, v4
	s_and_b64 s[28:29], vcc, exec
	s_andn2_saveexec_b64 s[26:27], s[26:27]
	s_cbranch_execnz .LBB331_1337
.LBB331_1317:
	s_or_b64 exec, exec, s[26:27]
	v_mov_b32_e32 v3, 0
	s_and_saveexec_b64 s[26:27], s[28:29]
	s_cbranch_execz .LBB331_1319
.LBB331_1318:
	v_lshlrev_b32_e32 v3, 24, v4
	v_and_b32_e32 v4, 0xffff, v4
	v_and_b32_e32 v5, 3, v4
	v_ffbh_u32_e32 v7, v5
	v_min_u32_e32 v7, 32, v7
	v_subrev_u32_e32 v8, 29, v7
	v_bfe_u32 v6, v4, 2, 5
	v_lshlrev_b32_e32 v4, v8, v4
	v_sub_u32_e32 v7, 30, v7
	v_and_b32_e32 v4, 3, v4
	v_cmp_eq_u32_e32 vcc, 0, v6
	v_cndmask_b32_e32 v6, v6, v7, vcc
	v_cndmask_b32_e32 v4, v5, v4, vcc
	v_mov_b32_e32 v5, 0x37800000
	v_lshlrev_b32_e32 v4, 21, v4
	v_and_b32_e32 v3, 0x80000000, v3
	v_lshl_add_u32 v5, v6, 23, v5
	v_or3_b32 v3, v3, v5, v4
	v_cvt_u32_f32_e32 v3, v3
.LBB331_1319:
	s_or_b64 exec, exec, s[26:27]
	s_mov_b64 s[26:27], 0
	s_branch .LBB331_1325
.LBB331_1320:
	s_mov_b64 s[28:29], -1
                                        ; implicit-def: $vgpr3
	s_branch .LBB331_1331
.LBB331_1321:
	s_andn2_saveexec_b64 s[26:27], s[26:27]
	s_cbranch_execz .LBB331_1307
.LBB331_1322:
	v_cmp_ne_u16_e32 vcc, 0, v4
	s_andn2_b64 s[30:31], s[30:31], exec
	s_and_b64 s[38:39], vcc, exec
	s_or_b64 s[30:31], s[30:31], s[38:39]
	s_or_b64 exec, exec, s[26:27]
	v_mov_b32_e32 v3, 0
	s_and_saveexec_b64 s[26:27], s[30:31]
	s_cbranch_execnz .LBB331_1308
	s_branch .LBB331_1309
.LBB331_1323:
	s_mov_b64 s[26:27], -1
                                        ; implicit-def: $vgpr3
	s_branch .LBB331_1328
.LBB331_1324:
	s_mov_b64 s[26:27], -1
                                        ; implicit-def: $vgpr3
.LBB331_1325:
	s_and_b64 vcc, exec, s[26:27]
	s_cbranch_vccz .LBB331_1327
; %bb.1326:
	global_load_ubyte v3, v[1:2], off
	s_mov_b32 s26, 0x7f800000
	s_waitcnt vmcnt(0)
	v_lshlrev_b32_e32 v3, 24, v3
	v_and_b32_e32 v4, 0x7f000000, v3
	v_ffbh_u32_e32 v5, v4
	v_min_u32_e32 v5, 32, v5
	v_sub_u32_e64 v5, v5, 4 clamp
	v_lshlrev_b32_e32 v7, v5, v4
	v_lshlrev_b32_e32 v5, 23, v5
	v_lshrrev_b32_e32 v7, 4, v7
	v_add_u32_e32 v6, 0x1000000, v4
	v_sub_u32_e32 v5, v7, v5
	v_ashrrev_i32_e32 v6, 8, v6
	v_add_u32_e32 v5, 0x3c000000, v5
	v_and_or_b32 v5, v6, s26, v5
	v_cmp_ne_u32_e32 vcc, 0, v4
	v_cndmask_b32_e32 v4, 0, v5, vcc
	s_brev_b32 s26, 1
	v_and_or_b32 v3, v3, s26, v4
	v_cvt_u32_f32_e32 v3, v3
.LBB331_1327:
	s_mov_b64 s[26:27], 0
.LBB331_1328:
	s_andn2_b64 vcc, exec, s[26:27]
	s_cbranch_vccnz .LBB331_1330
; %bb.1329:
	global_load_ubyte v3, v[1:2], off
	s_movk_i32 s26, 0x7f00
	s_brev_b32 s27, 16
	s_waitcnt vmcnt(0)
	v_lshlrev_b16_e32 v4, 8, v3
	v_lshlrev_b32_e32 v3, 25, v3
	v_lshrrev_b32_e32 v5, 4, v3
	v_and_or_b32 v6, v4, s26, 0.5
	v_or_b32_e32 v5, 0x70000000, v5
	v_add_f32_e32 v6, -0.5, v6
	v_mul_f32_e32 v5, 0x7800000, v5
	v_cmp_gt_u32_e32 vcc, s27, v3
	v_bfe_i32 v4, v4, 0, 16
	v_cndmask_b32_e32 v3, v5, v6, vcc
	s_brev_b32 s26, 1
	v_and_or_b32 v3, v4, s26, v3
	v_cvt_u32_f32_e32 v3, v3
.LBB331_1330:
	s_mov_b64 s[28:29], 0
	s_mov_b64 s[26:27], -1
.LBB331_1331:
	s_andn2_b64 vcc, exec, s[28:29]
	s_mov_b64 s[28:29], 0
	s_cbranch_vccnz .LBB331_1342
; %bb.1332:
	s_cmp_gt_i32 s34, 14
	s_cbranch_scc0 .LBB331_1335
; %bb.1333:
	s_cmp_eq_u32 s34, 15
	s_cbranch_scc0 .LBB331_1338
; %bb.1334:
	global_load_ushort v3, v[1:2], off
	s_mov_b64 s[22:23], 0
	s_mov_b64 s[26:27], -1
	s_waitcnt vmcnt(0)
	v_lshlrev_b32_e32 v3, 16, v3
	v_cvt_u32_f32_e32 v3, v3
	s_branch .LBB331_1339
.LBB331_1335:
	s_mov_b64 s[30:31], -1
                                        ; implicit-def: $vgpr3
	s_branch .LBB331_1340
.LBB331_1336:
	s_andn2_saveexec_b64 s[26:27], s[26:27]
	s_cbranch_execz .LBB331_1317
.LBB331_1337:
	v_cmp_ne_u16_e32 vcc, 0, v4
	s_andn2_b64 s[28:29], s[28:29], exec
	s_and_b64 s[30:31], vcc, exec
	s_or_b64 s[28:29], s[28:29], s[30:31]
	s_or_b64 exec, exec, s[26:27]
	v_mov_b32_e32 v3, 0
	s_and_saveexec_b64 s[26:27], s[28:29]
	s_cbranch_execnz .LBB331_1318
	s_branch .LBB331_1319
.LBB331_1338:
	s_mov_b64 s[22:23], -1
                                        ; implicit-def: $vgpr3
.LBB331_1339:
	s_mov_b64 s[30:31], 0
.LBB331_1340:
	s_and_b64 vcc, exec, s[30:31]
	s_cbranch_vccz .LBB331_1342
; %bb.1341:
	s_cmp_lg_u32 s34, 11
	s_cselect_b64 s[30:31], -1, 0
	s_andn2_b64 s[22:23], s[22:23], exec
	s_and_b64 s[30:31], s[30:31], exec
	s_mov_b64 s[28:29], -1
	s_or_b64 s[22:23], s[22:23], s[30:31]
.LBB331_1342:
	s_mov_b64 s[30:31], 0
.LBB331_1343:
	s_andn2_b64 s[20:21], s[20:21], exec
	s_and_b64 s[22:23], s[22:23], exec
	s_and_b64 s[26:27], s[26:27], exec
	;; [unrolled: 1-line block ×4, first 2 shown]
	s_or_b64 s[20:21], s[20:21], s[22:23]
	s_or_b64 exec, exec, s[0:1]
	s_and_saveexec_b64 s[0:1], s[20:21]
	s_cbranch_execz .LBB331_1276
.LBB331_1344:
	s_or_b64 s[24:25], s[24:25], exec
	s_andn2_b64 s[28:29], s[28:29], exec
	s_trap 2
	s_or_b64 exec, exec, s[0:1]
	s_and_saveexec_b64 s[0:1], s[28:29]
	s_xor_b64 s[0:1], exec, s[0:1]
	s_cbranch_execnz .LBB331_1277
.LBB331_1345:
	s_or_b64 exec, exec, s[0:1]
	s_and_saveexec_b64 s[0:1], s[34:35]
	s_cbranch_execz .LBB331_1391
.LBB331_1346:
	s_sext_i32_i16 s20, s36
	s_cmp_lt_i32 s20, 5
	s_cbranch_scc1 .LBB331_1351
; %bb.1347:
	s_cmp_lt_i32 s20, 8
	s_cbranch_scc1 .LBB331_1352
; %bb.1348:
	;; [unrolled: 3-line block ×3, first 2 shown]
	s_cmp_gt_i32 s20, 9
	s_cbranch_scc0 .LBB331_1354
; %bb.1350:
	s_waitcnt vmcnt(0)
	global_load_dwordx2 v[3:4], v[1:2], off
	s_mov_b64 s[20:21], 0
	s_waitcnt vmcnt(0)
	v_cvt_u32_f64_e32 v3, v[3:4]
	s_branch .LBB331_1355
.LBB331_1351:
                                        ; implicit-def: $vgpr3
	s_branch .LBB331_1372
.LBB331_1352:
                                        ; implicit-def: $vgpr3
	s_branch .LBB331_1361
.LBB331_1353:
	s_mov_b64 s[20:21], -1
                                        ; implicit-def: $vgpr3
	s_branch .LBB331_1358
.LBB331_1354:
	s_mov_b64 s[20:21], -1
                                        ; implicit-def: $vgpr3
.LBB331_1355:
	s_andn2_b64 vcc, exec, s[20:21]
	s_cbranch_vccnz .LBB331_1357
; %bb.1356:
	s_waitcnt vmcnt(0)
	global_load_dword v3, v[1:2], off
	s_waitcnt vmcnt(0)
	v_cvt_u32_f32_e32 v3, v3
.LBB331_1357:
	s_mov_b64 s[20:21], 0
.LBB331_1358:
	s_andn2_b64 vcc, exec, s[20:21]
	s_cbranch_vccnz .LBB331_1360
; %bb.1359:
	s_waitcnt vmcnt(0)
	global_load_dword v3, v[1:2], off
	s_waitcnt vmcnt(0)
	v_cvt_u16_f16_e32 v3, v3
.LBB331_1360:
	s_cbranch_execnz .LBB331_1371
.LBB331_1361:
	s_sext_i32_i16 s20, s36
	s_cmp_lt_i32 s20, 6
	s_cbranch_scc1 .LBB331_1364
; %bb.1362:
	s_cmp_gt_i32 s20, 6
	s_cbranch_scc0 .LBB331_1365
; %bb.1363:
	s_waitcnt vmcnt(0)
	global_load_dwordx2 v[3:4], v[1:2], off
	s_mov_b64 s[20:21], 0
	s_waitcnt vmcnt(0)
	v_cvt_u32_f64_e32 v3, v[3:4]
	s_branch .LBB331_1366
.LBB331_1364:
	s_mov_b64 s[20:21], -1
                                        ; implicit-def: $vgpr3
	s_branch .LBB331_1369
.LBB331_1365:
	s_mov_b64 s[20:21], -1
                                        ; implicit-def: $vgpr3
.LBB331_1366:
	s_andn2_b64 vcc, exec, s[20:21]
	s_cbranch_vccnz .LBB331_1368
; %bb.1367:
	s_waitcnt vmcnt(0)
	global_load_dword v3, v[1:2], off
	s_waitcnt vmcnt(0)
	v_cvt_u32_f32_e32 v3, v3
.LBB331_1368:
	s_mov_b64 s[20:21], 0
.LBB331_1369:
	s_andn2_b64 vcc, exec, s[20:21]
	s_cbranch_vccnz .LBB331_1371
; %bb.1370:
	s_waitcnt vmcnt(0)
	global_load_ushort v3, v[1:2], off
	s_waitcnt vmcnt(0)
	v_cvt_u16_f16_e32 v3, v3
.LBB331_1371:
	s_cbranch_execnz .LBB331_1390
.LBB331_1372:
	s_sext_i32_i16 s20, s36
	s_cmp_lt_i32 s20, 2
	s_cbranch_scc1 .LBB331_1376
; %bb.1373:
	s_cmp_lt_i32 s20, 3
	s_cbranch_scc1 .LBB331_1377
; %bb.1374:
	s_cmp_gt_i32 s20, 3
	s_cbranch_scc0 .LBB331_1378
; %bb.1375:
	s_waitcnt vmcnt(0)
	global_load_dwordx2 v[3:4], v[1:2], off
	s_mov_b64 s[20:21], 0
	s_branch .LBB331_1379
.LBB331_1376:
                                        ; implicit-def: $vgpr3
	s_branch .LBB331_1385
.LBB331_1377:
	s_mov_b64 s[20:21], -1
                                        ; implicit-def: $vgpr3
	s_branch .LBB331_1382
.LBB331_1378:
	s_mov_b64 s[20:21], -1
                                        ; implicit-def: $vgpr3
.LBB331_1379:
	s_andn2_b64 vcc, exec, s[20:21]
	s_cbranch_vccnz .LBB331_1381
; %bb.1380:
	s_waitcnt vmcnt(0)
	global_load_dword v3, v[1:2], off
.LBB331_1381:
	s_mov_b64 s[20:21], 0
.LBB331_1382:
	s_andn2_b64 vcc, exec, s[20:21]
	s_cbranch_vccnz .LBB331_1384
; %bb.1383:
	s_waitcnt vmcnt(0)
	global_load_ushort v3, v[1:2], off
.LBB331_1384:
	s_cbranch_execnz .LBB331_1390
.LBB331_1385:
	s_sext_i32_i16 s20, s36
	s_cmp_gt_i32 s20, 0
	s_cbranch_scc0 .LBB331_1387
; %bb.1386:
	s_waitcnt vmcnt(0)
	global_load_sbyte v3, v[1:2], off
	s_mov_b64 s[20:21], 0
	s_branch .LBB331_1388
.LBB331_1387:
	s_mov_b64 s[20:21], -1
                                        ; implicit-def: $vgpr3
.LBB331_1388:
	s_andn2_b64 vcc, exec, s[20:21]
	s_cbranch_vccnz .LBB331_1390
; %bb.1389:
	s_waitcnt vmcnt(0)
	global_load_ubyte v3, v[1:2], off
.LBB331_1390:
	s_or_b64 s[26:27], s[26:27], exec
.LBB331_1391:
	s_or_b64 exec, exec, s[0:1]
	s_mov_b64 s[30:31], 0
	s_mov_b64 s[28:29], 0
                                        ; implicit-def: $sgpr20_sgpr21
                                        ; implicit-def: $sgpr34
                                        ; implicit-def: $vgpr1_vgpr2
	s_and_saveexec_b64 s[22:23], s[26:27]
	s_cbranch_execz .LBB331_1466
; %bb.1392:
	s_waitcnt vmcnt(0)
	v_mul_lo_u32 v1, v14, s12
	v_cmp_ne_u16_e32 vcc, v0, v3
	v_mov_b32_e32 v0, s9
	s_xor_b64 s[20:21], s[16:17], vcc
	v_ashrrev_i32_e32 v2, 31, v1
	s_and_b32 s34, s33, 0xff
	v_add_co_u32_e32 v1, vcc, s8, v1
	s_cmp_lt_i32 s34, 11
	v_addc_co_u32_e32 v2, vcc, v0, v2, vcc
	s_cbranch_scc1 .LBB331_1469
; %bb.1393:
	s_and_b32 s35, 0xffff, s34
	s_mov_b64 s[26:27], -1
	s_cmp_gt_i32 s35, 25
	s_mov_b64 s[0:1], s[18:19]
	s_cbranch_scc0 .LBB331_1426
; %bb.1394:
	s_mov_b64 s[16:17], -1
	s_cmp_gt_i32 s35, 28
	s_mov_b64 s[0:1], s[18:19]
	s_cbranch_scc0 .LBB331_1410
; %bb.1395:
	s_cmp_gt_i32 s35, 43
	s_mov_b64 s[0:1], s[18:19]
	s_cbranch_scc0 .LBB331_1406
; %bb.1396:
	s_cmp_gt_i32 s35, 45
	s_mov_b64 s[0:1], s[18:19]
	s_cbranch_scc0 .LBB331_1400
; %bb.1397:
	s_cmp_eq_u32 s35, 46
	s_mov_b64 s[0:1], -1
	s_cbranch_scc0 .LBB331_1399
; %bb.1398:
	v_cndmask_b32_e64 v0, 0, 1.0, s[20:21]
	v_bfe_u32 v3, v0, 16, 1
	s_movk_i32 s0, 0x7fff
	v_add3_u32 v0, v0, v3, s0
	v_lshrrev_b32_e32 v0, 16, v0
	global_store_dword v[1:2], v0, off
	s_mov_b64 s[0:1], 0
.LBB331_1399:
	s_mov_b64 s[16:17], 0
.LBB331_1400:
	s_and_b64 vcc, exec, s[16:17]
	s_cbranch_vccz .LBB331_1405
; %bb.1401:
	s_cmp_eq_u32 s35, 44
	s_mov_b64 s[0:1], -1
	s_cbranch_scc0 .LBB331_1405
; %bb.1402:
	v_cndmask_b32_e64 v3, 0, 1.0, s[20:21]
	v_lshrrev_b32_e32 v0, 23, v3
	s_movk_i32 s0, 0xff
	v_cmp_ne_u32_e32 vcc, s0, v0
	v_mov_b32_e32 v4, 0xff
	s_and_saveexec_b64 s[16:17], vcc
; %bb.1403:
	s_mov_b32 s0, 0x3fffff
	v_and_b32_e32 v4, 0x400000, v3
	v_and_or_b32 v3, v3, s0, v0
	v_cmp_ne_u32_e32 vcc, 0, v4
	v_cmp_ne_u32_e64 s[0:1], 0, v3
	s_and_b64 s[0:1], vcc, s[0:1]
	v_cndmask_b32_e64 v3, 0, 1, s[0:1]
	v_add_u32_e32 v4, v0, v3
; %bb.1404:
	s_or_b64 exec, exec, s[16:17]
	s_mov_b64 s[0:1], 0
	global_store_byte v[1:2], v4, off
.LBB331_1405:
	s_mov_b64 s[16:17], 0
.LBB331_1406:
	s_and_b64 vcc, exec, s[16:17]
	s_cbranch_vccz .LBB331_1409
; %bb.1407:
	s_cmp_eq_u32 s35, 29
	s_mov_b64 s[0:1], -1
	s_cbranch_scc0 .LBB331_1409
; %bb.1408:
	s_mov_b32 s0, 0
	v_cndmask_b32_e64 v3, 0, 1, s[20:21]
	v_mov_b32_e32 v4, s0
	global_store_dwordx2 v[1:2], v[3:4], off
	s_mov_b64 s[0:1], 0
.LBB331_1409:
	s_mov_b64 s[16:17], 0
.LBB331_1410:
	s_and_b64 vcc, exec, s[16:17]
	s_cbranch_vccz .LBB331_1425
; %bb.1411:
	s_cmp_lt_i32 s35, 27
	s_mov_b64 s[16:17], -1
	s_cbranch_scc1 .LBB331_1417
; %bb.1412:
	s_cmp_gt_i32 s35, 27
	v_cndmask_b32_e64 v0, 0, 1, s[20:21]
	s_cbranch_scc0 .LBB331_1414
; %bb.1413:
	s_mov_b64 s[16:17], 0
	global_store_dword v[1:2], v0, off
.LBB331_1414:
	s_andn2_b64 vcc, exec, s[16:17]
	s_cbranch_vccnz .LBB331_1416
; %bb.1415:
	global_store_short v[1:2], v0, off
.LBB331_1416:
	s_mov_b64 s[16:17], 0
.LBB331_1417:
	s_andn2_b64 vcc, exec, s[16:17]
	s_cbranch_vccnz .LBB331_1425
; %bb.1418:
	v_cndmask_b32_e64 v3, 0, 1.0, s[20:21]
	s_mov_b32 s16, 0x43800000
	v_cmp_gt_u32_e32 vcc, s16, v3
	v_mov_b32_e32 v4, 0x80
	s_and_saveexec_b64 s[16:17], vcc
	s_cbranch_execz .LBB331_1424
; %bb.1419:
	s_mov_b32 s26, 0x3bffffff
	v_cmp_lt_u32_e32 vcc, s26, v3
	s_mov_b64 s[26:27], 0
                                        ; implicit-def: $vgpr0
	s_and_saveexec_b64 s[28:29], vcc
	s_xor_b64 s[28:29], exec, s[28:29]
	s_cbranch_execz .LBB331_1526
; %bb.1420:
	v_bfe_u32 v0, v3, 20, 1
	s_mov_b32 s30, 0x487ffff
	v_add3_u32 v0, v3, v0, s30
	s_mov_b64 s[26:27], exec
	v_lshrrev_b32_e32 v0, 20, v0
                                        ; implicit-def: $vgpr3
	s_andn2_saveexec_b64 s[28:29], s[28:29]
	s_cbranch_execnz .LBB331_1527
.LBB331_1421:
	s_or_b64 exec, exec, s[28:29]
	v_mov_b32_e32 v4, 0
	s_and_saveexec_b64 s[28:29], s[26:27]
.LBB331_1422:
	v_mov_b32_e32 v4, v0
.LBB331_1423:
	s_or_b64 exec, exec, s[28:29]
.LBB331_1424:
	s_or_b64 exec, exec, s[16:17]
	global_store_byte v[1:2], v4, off
.LBB331_1425:
	s_mov_b64 s[26:27], 0
.LBB331_1426:
	s_mov_b64 s[16:17], 0
	s_and_b64 vcc, exec, s[26:27]
	s_cbranch_vccz .LBB331_1470
; %bb.1427:
	s_cmp_gt_i32 s35, 22
	s_mov_b64 s[26:27], -1
	s_cbranch_scc0 .LBB331_1459
; %bb.1428:
	s_cmp_lt_i32 s35, 24
	s_cbranch_scc1 .LBB331_1448
; %bb.1429:
	s_cmp_gt_i32 s35, 24
	s_cbranch_scc0 .LBB331_1437
; %bb.1430:
	v_cndmask_b32_e64 v3, 0, 1.0, s[20:21]
	s_mov_b32 s26, 0x47800000
	v_cmp_gt_u32_e32 vcc, s26, v3
	v_mov_b32_e32 v4, 0x80
	s_and_saveexec_b64 s[26:27], vcc
	s_cbranch_execz .LBB331_1436
; %bb.1431:
	s_mov_b32 s28, 0x37ffffff
	v_cmp_lt_u32_e32 vcc, s28, v3
	s_mov_b64 s[28:29], 0
                                        ; implicit-def: $vgpr0
	s_and_saveexec_b64 s[30:31], vcc
	s_xor_b64 s[30:31], exec, s[30:31]
	s_cbranch_execz .LBB331_1646
; %bb.1432:
	v_bfe_u32 v0, v3, 21, 1
	s_mov_b32 s36, 0x88fffff
	v_add3_u32 v0, v3, v0, s36
	s_mov_b64 s[28:29], exec
	v_lshrrev_b32_e32 v0, 21, v0
                                        ; implicit-def: $vgpr3
	s_andn2_saveexec_b64 s[30:31], s[30:31]
	s_cbranch_execnz .LBB331_1647
.LBB331_1433:
	s_or_b64 exec, exec, s[30:31]
	v_mov_b32_e32 v4, 0
	s_and_saveexec_b64 s[30:31], s[28:29]
.LBB331_1434:
	v_mov_b32_e32 v4, v0
.LBB331_1435:
	s_or_b64 exec, exec, s[30:31]
.LBB331_1436:
	s_or_b64 exec, exec, s[26:27]
	s_mov_b64 s[26:27], 0
	global_store_byte v[1:2], v4, off
.LBB331_1437:
	s_and_b64 vcc, exec, s[26:27]
	s_cbranch_vccz .LBB331_1447
; %bb.1438:
	v_cndmask_b32_e64 v0, 0, 1.0, s[20:21]
	s_mov_b32 s26, 0x43f00000
	v_cmp_gt_u32_e32 vcc, s26, v0
                                        ; implicit-def: $vgpr3
	s_and_saveexec_b64 s[26:27], vcc
	s_xor_b64 s[26:27], exec, s[26:27]
	s_cbranch_execz .LBB331_1444
; %bb.1439:
	s_mov_b32 s28, 0x3c7fffff
	v_cmp_lt_u32_e32 vcc, s28, v0
                                        ; implicit-def: $vgpr3
	s_and_saveexec_b64 s[28:29], vcc
	s_xor_b64 s[28:29], exec, s[28:29]
; %bb.1440:
	v_bfe_u32 v3, v0, 20, 1
	s_mov_b32 s30, 0x407ffff
	v_add3_u32 v0, v0, v3, s30
	v_lshrrev_b32_e32 v3, 20, v0
	v_and_b32_e32 v0, 0xff00000, v0
	s_mov_b32 s30, 0x7f00000
	v_mov_b32_e32 v4, 0x7e
	v_cmp_ne_u32_e32 vcc, s30, v0
	v_cndmask_b32_e32 v3, v4, v3, vcc
                                        ; implicit-def: $vgpr0
; %bb.1441:
	s_andn2_saveexec_b64 s[28:29], s[28:29]
; %bb.1442:
	v_add_f32_e32 v3, 0x46800000, v0
; %bb.1443:
	s_or_b64 exec, exec, s[28:29]
                                        ; implicit-def: $vgpr0
.LBB331_1444:
	s_andn2_saveexec_b64 s[26:27], s[26:27]
; %bb.1445:
	s_mov_b32 s28, 0x7f800000
	v_mov_b32_e32 v3, 0x7e
	v_mov_b32_e32 v4, 0x7f
	v_cmp_lt_u32_e32 vcc, s28, v0
	v_cndmask_b32_e32 v3, v3, v4, vcc
; %bb.1446:
	s_or_b64 exec, exec, s[26:27]
	global_store_byte v[1:2], v3, off
.LBB331_1447:
	s_mov_b64 s[26:27], 0
.LBB331_1448:
	s_andn2_b64 vcc, exec, s[26:27]
	s_cbranch_vccnz .LBB331_1458
; %bb.1449:
	v_cndmask_b32_e64 v0, 0, 1.0, s[20:21]
	s_mov_b32 s26, 0x47800000
	v_cmp_gt_u32_e32 vcc, s26, v0
                                        ; implicit-def: $vgpr3
	s_and_saveexec_b64 s[26:27], vcc
	s_xor_b64 s[26:27], exec, s[26:27]
	s_cbranch_execz .LBB331_1455
; %bb.1450:
	s_mov_b32 s28, 0x387fffff
	v_cmp_lt_u32_e32 vcc, s28, v0
                                        ; implicit-def: $vgpr3
	s_and_saveexec_b64 s[28:29], vcc
	s_xor_b64 s[28:29], exec, s[28:29]
; %bb.1451:
	v_bfe_u32 v3, v0, 21, 1
	s_mov_b32 s30, 0x80fffff
	v_add3_u32 v0, v0, v3, s30
	v_lshrrev_b32_e32 v3, 21, v0
                                        ; implicit-def: $vgpr0
; %bb.1452:
	s_andn2_saveexec_b64 s[28:29], s[28:29]
; %bb.1453:
	v_add_f32_e32 v3, 0x43000000, v0
; %bb.1454:
	s_or_b64 exec, exec, s[28:29]
                                        ; implicit-def: $vgpr0
.LBB331_1455:
	s_andn2_saveexec_b64 s[26:27], s[26:27]
; %bb.1456:
	s_mov_b32 s28, 0x7f800000
	v_mov_b32_e32 v3, 0x7c
	v_mov_b32_e32 v4, 0x7f
	v_cmp_lt_u32_e32 vcc, s28, v0
	v_cndmask_b32_e32 v3, v3, v4, vcc
; %bb.1457:
	s_or_b64 exec, exec, s[26:27]
	global_store_byte v[1:2], v3, off
.LBB331_1458:
	s_mov_b64 s[26:27], 0
.LBB331_1459:
	s_andn2_b64 vcc, exec, s[26:27]
	s_mov_b64 s[26:27], 0
	s_cbranch_vccnz .LBB331_1471
; %bb.1460:
	s_cmp_gt_i32 s35, 14
	s_mov_b64 s[28:29], -1
	s_cbranch_scc0 .LBB331_1464
; %bb.1461:
	s_cmp_eq_u32 s35, 15
	s_mov_b64 s[0:1], -1
	s_cbranch_scc0 .LBB331_1463
; %bb.1462:
	v_cndmask_b32_e64 v0, 0, 1.0, s[20:21]
	v_bfe_u32 v3, v0, 16, 1
	s_movk_i32 s0, 0x7fff
	v_add3_u32 v0, v0, v3, s0
	global_store_short_d16_hi v[1:2], v0, off
	s_mov_b64 s[0:1], 0
.LBB331_1463:
	s_mov_b64 s[28:29], 0
.LBB331_1464:
	s_and_b64 vcc, exec, s[28:29]
	s_cbranch_vccz .LBB331_1471
; %bb.1465:
	s_cmp_lg_u32 s35, 11
	s_cselect_b64 s[28:29], -1, 0
	s_andn2_b64 s[0:1], s[0:1], exec
	s_and_b64 s[28:29], s[28:29], exec
	s_mov_b64 s[26:27], -1
	s_or_b64 s[0:1], s[0:1], s[28:29]
	s_branch .LBB331_1471
.LBB331_1466:
	s_or_b64 exec, exec, s[22:23]
	s_and_saveexec_b64 s[0:1], s[18:19]
	s_cbranch_execnz .LBB331_1472
.LBB331_1467:
	s_or_b64 exec, exec, s[0:1]
	s_and_saveexec_b64 s[0:1], s[30:31]
	s_xor_b64 s[0:1], exec, s[0:1]
	s_cbranch_execz .LBB331_1473
.LBB331_1468:
	s_waitcnt vmcnt(0)
	v_cndmask_b32_e64 v0, 0, 1, s[20:21]
	global_store_byte v[1:2], v0, off
	s_or_b64 exec, exec, s[0:1]
	s_and_saveexec_b64 s[0:1], s[28:29]
	s_xor_b64 s[0:1], exec, s[0:1]
	s_cbranch_execz .LBB331_1511
	s_branch .LBB331_1474
.LBB331_1469:
	s_mov_b64 s[26:27], 0
	s_mov_b64 s[16:17], -1
	s_mov_b64 s[0:1], s[18:19]
	s_branch .LBB331_1471
.LBB331_1470:
	s_mov_b64 s[26:27], 0
.LBB331_1471:
	s_and_b64 s[28:29], s[16:17], exec
	s_andn2_b64 s[16:17], s[18:19], exec
	s_and_b64 s[0:1], s[0:1], exec
	s_and_b64 s[30:31], s[26:27], exec
	s_or_b64 s[18:19], s[16:17], s[0:1]
	s_or_b64 exec, exec, s[22:23]
	s_and_saveexec_b64 s[0:1], s[18:19]
	s_cbranch_execz .LBB331_1467
.LBB331_1472:
	s_or_b64 s[24:25], s[24:25], exec
	s_andn2_b64 s[30:31], s[30:31], exec
	s_trap 2
	s_or_b64 exec, exec, s[0:1]
	s_and_saveexec_b64 s[0:1], s[30:31]
	s_xor_b64 s[0:1], exec, s[0:1]
	s_cbranch_execnz .LBB331_1468
.LBB331_1473:
	s_or_b64 exec, exec, s[0:1]
	s_and_saveexec_b64 s[0:1], s[28:29]
	s_xor_b64 s[0:1], exec, s[0:1]
	s_cbranch_execz .LBB331_1511
.LBB331_1474:
	s_sext_i32_i16 s18, s34
	s_cmp_lt_i32 s18, 5
	s_mov_b64 s[16:17], -1
	s_cbranch_scc1 .LBB331_1495
; %bb.1475:
	s_cmp_lt_i32 s18, 8
	s_cbranch_scc1 .LBB331_1485
; %bb.1476:
	s_cmp_lt_i32 s18, 9
	s_cbranch_scc1 .LBB331_1482
; %bb.1477:
	s_cmp_gt_i32 s18, 9
	s_cbranch_scc0 .LBB331_1479
; %bb.1478:
	s_waitcnt vmcnt(0)
	v_cndmask_b32_e64 v0, 0, 1, s[20:21]
	v_cvt_f64_u32_e32 v[3:4], v0
	v_mov_b32_e32 v5, 0
	v_mov_b32_e32 v6, v5
	s_mov_b64 s[16:17], 0
	global_store_dwordx4 v[1:2], v[3:6], off
.LBB331_1479:
	s_andn2_b64 vcc, exec, s[16:17]
	s_cbranch_vccnz .LBB331_1481
; %bb.1480:
	s_waitcnt vmcnt(0)
	v_cndmask_b32_e64 v3, 0, 1.0, s[20:21]
	v_mov_b32_e32 v4, 0
	global_store_dwordx2 v[1:2], v[3:4], off
.LBB331_1481:
	s_mov_b64 s[16:17], 0
.LBB331_1482:
	s_andn2_b64 vcc, exec, s[16:17]
	s_cbranch_vccnz .LBB331_1484
; %bb.1483:
	s_waitcnt vmcnt(0)
	v_cndmask_b32_e64 v0, 0, 1.0, s[20:21]
	v_cvt_f16_f32_e32 v0, v0
	global_store_dword v[1:2], v0, off
.LBB331_1484:
	s_mov_b64 s[16:17], 0
.LBB331_1485:
	s_andn2_b64 vcc, exec, s[16:17]
	s_cbranch_vccnz .LBB331_1494
; %bb.1486:
	s_sext_i32_i16 s18, s34
	s_cmp_lt_i32 s18, 6
	s_mov_b64 s[16:17], -1
	s_cbranch_scc1 .LBB331_1492
; %bb.1487:
	s_cmp_gt_i32 s18, 6
	s_cbranch_scc0 .LBB331_1489
; %bb.1488:
	s_waitcnt vmcnt(0)
	v_cndmask_b32_e64 v0, 0, 1, s[20:21]
	v_cvt_f64_u32_e32 v[3:4], v0
	s_mov_b64 s[16:17], 0
	global_store_dwordx2 v[1:2], v[3:4], off
.LBB331_1489:
	s_andn2_b64 vcc, exec, s[16:17]
	s_cbranch_vccnz .LBB331_1491
; %bb.1490:
	s_waitcnt vmcnt(0)
	v_cndmask_b32_e64 v0, 0, 1.0, s[20:21]
	global_store_dword v[1:2], v0, off
.LBB331_1491:
	s_mov_b64 s[16:17], 0
.LBB331_1492:
	s_andn2_b64 vcc, exec, s[16:17]
	s_cbranch_vccnz .LBB331_1494
; %bb.1493:
	s_waitcnt vmcnt(0)
	v_cndmask_b32_e64 v0, 0, 1.0, s[20:21]
	v_cvt_f16_f32_e32 v0, v0
	global_store_short v[1:2], v0, off
.LBB331_1494:
	s_mov_b64 s[16:17], 0
.LBB331_1495:
	s_andn2_b64 vcc, exec, s[16:17]
	s_cbranch_vccnz .LBB331_1511
; %bb.1496:
	s_sext_i32_i16 s18, s34
	s_cmp_lt_i32 s18, 2
	s_mov_b64 s[16:17], -1
	s_cbranch_scc1 .LBB331_1506
; %bb.1497:
	s_cmp_lt_i32 s18, 3
	s_cbranch_scc1 .LBB331_1503
; %bb.1498:
	s_cmp_gt_i32 s18, 3
	s_cbranch_scc0 .LBB331_1500
; %bb.1499:
	s_mov_b32 s16, 0
	s_waitcnt vmcnt(0)
	v_cndmask_b32_e64 v3, 0, 1, s[20:21]
	v_mov_b32_e32 v4, s16
	s_mov_b64 s[16:17], 0
	global_store_dwordx2 v[1:2], v[3:4], off
.LBB331_1500:
	s_andn2_b64 vcc, exec, s[16:17]
	s_cbranch_vccnz .LBB331_1502
; %bb.1501:
	s_waitcnt vmcnt(0)
	v_cndmask_b32_e64 v0, 0, 1, s[20:21]
	global_store_dword v[1:2], v0, off
.LBB331_1502:
	s_mov_b64 s[16:17], 0
.LBB331_1503:
	s_andn2_b64 vcc, exec, s[16:17]
	s_cbranch_vccnz .LBB331_1505
; %bb.1504:
	s_waitcnt vmcnt(0)
	v_cndmask_b32_e64 v0, 0, 1, s[20:21]
	global_store_short v[1:2], v0, off
.LBB331_1505:
	s_mov_b64 s[16:17], 0
.LBB331_1506:
	s_andn2_b64 vcc, exec, s[16:17]
	s_cbranch_vccnz .LBB331_1511
; %bb.1507:
	s_sext_i32_i16 s18, s34
	s_mov_b64 s[16:17], -1
	s_cmp_gt_i32 s18, 0
	s_waitcnt vmcnt(0)
	v_cndmask_b32_e64 v0, 0, 1, s[20:21]
	s_cbranch_scc0 .LBB331_1509
; %bb.1508:
	s_mov_b64 s[16:17], 0
	global_store_byte v[1:2], v0, off
.LBB331_1509:
	s_andn2_b64 vcc, exec, s[16:17]
	s_cbranch_vccnz .LBB331_1511
; %bb.1510:
	global_store_byte v[1:2], v0, off
.LBB331_1511:
	s_or_b64 exec, exec, s[0:1]
	s_and_b64 s[16:17], s[24:25], exec
                                        ; implicit-def: $vgpr14
.LBB331_1512:
	s_or_saveexec_b64 s[6:7], s[6:7]
	s_mov_b64 s[0:1], 0
                                        ; implicit-def: $sgpr20_sgpr21
                                        ; implicit-def: $sgpr24
                                        ; implicit-def: $vgpr0_vgpr1
	s_xor_b64 exec, exec, s[6:7]
	s_cbranch_execz .LBB331_2949
; %bb.1513:
	v_mul_lo_u32 v5, s13, v14
	s_waitcnt vmcnt(0)
	v_mov_b32_e32 v0, s11
	s_and_b32 s24, s57, 0xff
	s_cmp_lt_i32 s24, 11
	v_ashrrev_i32_e32 v1, 31, v5
	v_add_co_u32_e32 v2, vcc, s10, v5
	v_addc_co_u32_e32 v3, vcc, v0, v1, vcc
	s_cbranch_scc1 .LBB331_1520
; %bb.1514:
	s_and_b32 s22, 0xffff, s24
	s_cmp_gt_i32 s22, 25
	s_cbranch_scc0 .LBB331_1522
; %bb.1515:
	s_cmp_gt_i32 s22, 28
	s_cbranch_scc0 .LBB331_1523
; %bb.1516:
	;; [unrolled: 3-line block ×4, first 2 shown]
	s_cmp_eq_u32 s22, 46
	s_mov_b64 s[18:19], 0
	s_cbranch_scc0 .LBB331_1528
; %bb.1519:
	global_load_dword v0, v[2:3], off
	s_mov_b64 s[20:21], -1
	s_waitcnt vmcnt(0)
	v_lshlrev_b32_e32 v0, 16, v0
	v_cvt_u32_f32_e32 v0, v0
	s_branch .LBB331_1529
.LBB331_1520:
	s_mov_b64 s[20:21], 0
                                        ; implicit-def: $vgpr0
	s_mov_b64 s[18:19], s[16:17]
	s_cbranch_execnz .LBB331_1587
.LBB331_1521:
	s_andn2_b64 vcc, exec, s[20:21]
	s_cbranch_vccz .LBB331_1632
	s_branch .LBB331_2947
.LBB331_1522:
	s_mov_b64 s[20:21], 0
                                        ; implicit-def: $vgpr0
	s_cbranch_execnz .LBB331_1554
	s_branch .LBB331_1583
.LBB331_1523:
	s_mov_b64 s[20:21], 0
                                        ; implicit-def: $vgpr0
	s_cbranch_execz .LBB331_1553
	s_branch .LBB331_1538
.LBB331_1524:
	s_mov_b64 s[20:21], 0
                                        ; implicit-def: $vgpr0
	s_cbranch_execnz .LBB331_1534
	s_branch .LBB331_1537
.LBB331_1525:
	s_mov_b64 s[18:19], -1
	s_mov_b64 s[20:21], 0
                                        ; implicit-def: $vgpr0
	s_branch .LBB331_1529
.LBB331_1526:
	s_andn2_saveexec_b64 s[28:29], s[28:29]
	s_cbranch_execz .LBB331_1421
.LBB331_1527:
	v_add_f32_e32 v0, 0x46000000, v3
	v_and_b32_e32 v0, 0xff, v0
	v_cmp_ne_u32_e32 vcc, 0, v0
	s_andn2_b64 s[26:27], s[26:27], exec
	s_and_b64 s[30:31], vcc, exec
	s_or_b64 s[26:27], s[26:27], s[30:31]
	s_or_b64 exec, exec, s[28:29]
	v_mov_b32_e32 v4, 0
	s_and_saveexec_b64 s[28:29], s[26:27]
	s_cbranch_execnz .LBB331_1422
	s_branch .LBB331_1423
.LBB331_1528:
	s_mov_b64 s[0:1], -1
                                        ; implicit-def: $vgpr0
	s_mov_b64 s[20:21], 0
.LBB331_1529:
	s_and_b64 vcc, exec, s[18:19]
	s_cbranch_vccz .LBB331_1532
; %bb.1530:
	s_cmp_eq_u32 s22, 44
	s_cbranch_scc0 .LBB331_1533
; %bb.1531:
	global_load_ubyte v0, v[2:3], off
	s_mov_b64 s[0:1], 0
	s_mov_b64 s[20:21], -1
	s_waitcnt vmcnt(0)
	v_lshlrev_b32_e32 v1, 23, v0
	v_cvt_u32_f32_e32 v1, v1
	v_cmp_ne_u32_e32 vcc, 0, v0
	v_cndmask_b32_e32 v0, 0, v1, vcc
.LBB331_1532:
	s_branch .LBB331_1537
.LBB331_1533:
	s_mov_b64 s[0:1], -1
                                        ; implicit-def: $vgpr0
	s_branch .LBB331_1537
.LBB331_1534:
	s_cmp_eq_u32 s22, 29
	s_cbranch_scc0 .LBB331_1536
; %bb.1535:
	global_load_dwordx2 v[0:1], v[2:3], off
	s_mov_b64 s[0:1], 0
	s_mov_b64 s[20:21], -1
	s_branch .LBB331_1537
.LBB331_1536:
	s_mov_b64 s[0:1], -1
                                        ; implicit-def: $vgpr0
.LBB331_1537:
	s_branch .LBB331_1553
.LBB331_1538:
	s_cmp_lt_i32 s22, 27
	s_cbranch_scc1 .LBB331_1541
; %bb.1539:
	s_cmp_gt_i32 s22, 27
	s_cbranch_scc0 .LBB331_1542
; %bb.1540:
	global_load_dword v0, v[2:3], off
	s_mov_b64 s[18:19], 0
	s_branch .LBB331_1543
.LBB331_1541:
	s_mov_b64 s[18:19], -1
                                        ; implicit-def: $vgpr0
	s_branch .LBB331_1546
.LBB331_1542:
	s_mov_b64 s[18:19], -1
                                        ; implicit-def: $vgpr0
.LBB331_1543:
	s_andn2_b64 vcc, exec, s[18:19]
	s_cbranch_vccnz .LBB331_1545
; %bb.1544:
	global_load_ushort v0, v[2:3], off
.LBB331_1545:
	s_mov_b64 s[18:19], 0
.LBB331_1546:
	s_andn2_b64 vcc, exec, s[18:19]
	s_cbranch_vccnz .LBB331_1552
; %bb.1547:
	global_load_ubyte v1, v[2:3], off
	s_movk_i32 s18, 0x7f
	s_mov_b64 s[20:21], 0
	s_waitcnt vmcnt(0)
	v_cmp_lt_i16_e32 vcc, s18, v1
	s_and_saveexec_b64 s[18:19], vcc
	s_xor_b64 s[18:19], exec, s[18:19]
	s_cbranch_execz .LBB331_1563
; %bb.1548:
	s_movk_i32 s20, 0x80
	v_cmp_ne_u16_e32 vcc, s20, v1
	s_and_b64 s[20:21], vcc, exec
	s_andn2_saveexec_b64 s[18:19], s[18:19]
	s_cbranch_execnz .LBB331_1564
.LBB331_1549:
	s_or_b64 exec, exec, s[18:19]
	v_mov_b32_e32 v0, 0
	s_and_saveexec_b64 s[18:19], s[20:21]
	s_cbranch_execz .LBB331_1551
.LBB331_1550:
	v_lshlrev_b32_e32 v0, 24, v1
	v_and_b32_e32 v1, 0xffff, v1
	v_and_b32_e32 v4, 7, v1
	v_ffbh_u32_e32 v7, v4
	v_min_u32_e32 v7, 32, v7
	v_subrev_u32_e32 v8, 28, v7
	v_bfe_u32 v6, v1, 3, 4
	v_lshlrev_b32_e32 v1, v8, v1
	v_sub_u32_e32 v7, 29, v7
	v_and_b32_e32 v1, 7, v1
	v_cmp_eq_u32_e32 vcc, 0, v6
	v_cndmask_b32_e32 v6, v6, v7, vcc
	v_cndmask_b32_e32 v1, v4, v1, vcc
	v_mov_b32_e32 v4, 0x3b800000
	v_lshlrev_b32_e32 v1, 20, v1
	v_and_b32_e32 v0, 0x80000000, v0
	v_lshl_add_u32 v4, v6, 23, v4
	v_or3_b32 v0, v0, v4, v1
	v_cvt_u32_f32_e32 v0, v0
.LBB331_1551:
	s_or_b64 exec, exec, s[18:19]
.LBB331_1552:
	s_mov_b64 s[20:21], -1
.LBB331_1553:
	s_branch .LBB331_1583
.LBB331_1554:
	s_cmp_gt_i32 s22, 22
	s_cbranch_scc0 .LBB331_1562
; %bb.1555:
	s_cmp_lt_i32 s22, 24
	s_cbranch_scc1 .LBB331_1565
; %bb.1556:
	s_cmp_gt_i32 s22, 24
	s_cbranch_scc0 .LBB331_1566
; %bb.1557:
	global_load_ubyte v1, v[2:3], off
	s_movk_i32 s4, 0x7f
	s_mov_b64 s[18:19], 0
	s_waitcnt vmcnt(0)
	v_cmp_lt_i16_e32 vcc, s4, v1
	s_and_saveexec_b64 s[4:5], vcc
	s_xor_b64 s[4:5], exec, s[4:5]
	s_cbranch_execz .LBB331_1577
; %bb.1558:
	s_movk_i32 s18, 0x80
	v_cmp_ne_u16_e32 vcc, s18, v1
	s_and_b64 s[18:19], vcc, exec
	s_andn2_saveexec_b64 s[4:5], s[4:5]
	s_cbranch_execnz .LBB331_1578
.LBB331_1559:
	s_or_b64 exec, exec, s[4:5]
	v_mov_b32_e32 v0, 0
	s_and_saveexec_b64 s[4:5], s[18:19]
	s_cbranch_execz .LBB331_1561
.LBB331_1560:
	v_lshlrev_b32_e32 v0, 24, v1
	v_and_b32_e32 v1, 0xffff, v1
	v_and_b32_e32 v4, 3, v1
	v_ffbh_u32_e32 v7, v4
	v_min_u32_e32 v7, 32, v7
	v_subrev_u32_e32 v8, 29, v7
	v_bfe_u32 v6, v1, 2, 5
	v_lshlrev_b32_e32 v1, v8, v1
	v_sub_u32_e32 v7, 30, v7
	v_and_b32_e32 v1, 3, v1
	v_cmp_eq_u32_e32 vcc, 0, v6
	v_cndmask_b32_e32 v6, v6, v7, vcc
	v_cndmask_b32_e32 v1, v4, v1, vcc
	v_mov_b32_e32 v4, 0x37800000
	v_lshlrev_b32_e32 v1, 21, v1
	v_and_b32_e32 v0, 0x80000000, v0
	v_lshl_add_u32 v4, v6, 23, v4
	v_or3_b32 v0, v0, v4, v1
	v_cvt_u32_f32_e32 v0, v0
.LBB331_1561:
	s_or_b64 exec, exec, s[4:5]
	s_mov_b64 s[4:5], 0
	s_branch .LBB331_1567
.LBB331_1562:
                                        ; implicit-def: $vgpr0
	s_mov_b64 s[4:5], 0
	s_branch .LBB331_1573
.LBB331_1563:
	s_andn2_saveexec_b64 s[18:19], s[18:19]
	s_cbranch_execz .LBB331_1549
.LBB331_1564:
	v_cmp_ne_u16_e32 vcc, 0, v1
	s_andn2_b64 s[20:21], s[20:21], exec
	s_and_b64 s[26:27], vcc, exec
	s_or_b64 s[20:21], s[20:21], s[26:27]
	s_or_b64 exec, exec, s[18:19]
	v_mov_b32_e32 v0, 0
	s_and_saveexec_b64 s[18:19], s[20:21]
	s_cbranch_execnz .LBB331_1550
	s_branch .LBB331_1551
.LBB331_1565:
	s_mov_b64 s[4:5], -1
                                        ; implicit-def: $vgpr0
	s_branch .LBB331_1570
.LBB331_1566:
	s_mov_b64 s[4:5], -1
                                        ; implicit-def: $vgpr0
.LBB331_1567:
	s_and_b64 vcc, exec, s[4:5]
	s_cbranch_vccz .LBB331_1569
; %bb.1568:
	global_load_ubyte v0, v[2:3], off
	s_mov_b32 s4, 0x7f800000
	s_waitcnt vmcnt(0)
	v_lshlrev_b32_e32 v0, 24, v0
	v_and_b32_e32 v1, 0x7f000000, v0
	v_ffbh_u32_e32 v4, v1
	v_min_u32_e32 v4, 32, v4
	v_sub_u32_e64 v4, v4, 4 clamp
	v_lshlrev_b32_e32 v7, v4, v1
	v_lshlrev_b32_e32 v4, 23, v4
	v_lshrrev_b32_e32 v7, 4, v7
	v_add_u32_e32 v6, 0x1000000, v1
	v_sub_u32_e32 v4, v7, v4
	v_ashrrev_i32_e32 v6, 8, v6
	v_add_u32_e32 v4, 0x3c000000, v4
	v_and_or_b32 v4, v6, s4, v4
	v_cmp_ne_u32_e32 vcc, 0, v1
	v_cndmask_b32_e32 v1, 0, v4, vcc
	s_brev_b32 s4, 1
	v_and_or_b32 v0, v0, s4, v1
	v_cvt_u32_f32_e32 v0, v0
.LBB331_1569:
	s_mov_b64 s[4:5], 0
.LBB331_1570:
	s_andn2_b64 vcc, exec, s[4:5]
	s_cbranch_vccnz .LBB331_1572
; %bb.1571:
	global_load_ubyte v0, v[2:3], off
	s_movk_i32 s4, 0x7f00
	s_brev_b32 s5, 16
	s_waitcnt vmcnt(0)
	v_lshlrev_b16_e32 v1, 8, v0
	v_lshlrev_b32_e32 v0, 25, v0
	v_lshrrev_b32_e32 v4, 4, v0
	v_and_or_b32 v6, v1, s4, 0.5
	v_or_b32_e32 v4, 0x70000000, v4
	v_add_f32_e32 v6, -0.5, v6
	v_mul_f32_e32 v4, 0x7800000, v4
	v_cmp_gt_u32_e32 vcc, s5, v0
	v_bfe_i32 v1, v1, 0, 16
	v_cndmask_b32_e32 v0, v4, v6, vcc
	s_brev_b32 s4, 1
	v_and_or_b32 v0, v1, s4, v0
	v_cvt_u32_f32_e32 v0, v0
.LBB331_1572:
	s_mov_b64 s[20:21], -1
	s_mov_b64 s[4:5], 0
	s_cbranch_execnz .LBB331_1583
.LBB331_1573:
	s_cmp_gt_i32 s22, 14
	s_cbranch_scc0 .LBB331_1576
; %bb.1574:
	s_cmp_eq_u32 s22, 15
	s_cbranch_scc0 .LBB331_1579
; %bb.1575:
	global_load_ushort v0, v[2:3], off
	s_mov_b64 s[0:1], 0
	s_mov_b64 s[20:21], -1
	s_waitcnt vmcnt(0)
	v_lshlrev_b32_e32 v0, 16, v0
	v_cvt_u32_f32_e32 v0, v0
	s_branch .LBB331_1580
.LBB331_1576:
	s_mov_b64 s[18:19], -1
                                        ; implicit-def: $vgpr0
	s_branch .LBB331_1581
.LBB331_1577:
	s_andn2_saveexec_b64 s[4:5], s[4:5]
	s_cbranch_execz .LBB331_1559
.LBB331_1578:
	v_cmp_ne_u16_e32 vcc, 0, v1
	s_andn2_b64 s[18:19], s[18:19], exec
	s_and_b64 s[20:21], vcc, exec
	s_or_b64 s[18:19], s[18:19], s[20:21]
	s_or_b64 exec, exec, s[4:5]
	v_mov_b32_e32 v0, 0
	s_and_saveexec_b64 s[4:5], s[18:19]
	s_cbranch_execnz .LBB331_1560
	s_branch .LBB331_1561
.LBB331_1579:
	s_mov_b64 s[0:1], -1
                                        ; implicit-def: $vgpr0
.LBB331_1580:
	s_mov_b64 s[18:19], 0
.LBB331_1581:
	s_and_b64 vcc, exec, s[18:19]
	s_cbranch_vccz .LBB331_1583
; %bb.1582:
	s_cmp_lg_u32 s22, 11
	s_mov_b64 s[4:5], -1
	s_cselect_b64 s[0:1], -1, 0
.LBB331_1583:
	s_and_b64 vcc, exec, s[0:1]
	s_mov_b64 s[18:19], s[16:17]
	s_cbranch_vccnz .LBB331_1644
; %bb.1584:
	s_andn2_b64 vcc, exec, s[4:5]
	s_cbranch_vccnz .LBB331_1586
.LBB331_1585:
	global_load_ubyte v0, v[2:3], off
	s_mov_b64 s[20:21], -1
	s_waitcnt vmcnt(0)
	v_cmp_ne_u16_e32 vcc, 0, v0
	v_cndmask_b32_e64 v0, 0, 1, vcc
.LBB331_1586:
	s_branch .LBB331_1521
.LBB331_1587:
	s_and_b32 s4, 0xffff, s24
	s_cmp_lt_i32 s4, 5
	s_cbranch_scc1 .LBB331_1592
; %bb.1588:
	s_cmp_lt_i32 s4, 8
	s_cbranch_scc1 .LBB331_1593
; %bb.1589:
	s_cmp_lt_i32 s4, 9
	s_cbranch_scc1 .LBB331_1594
; %bb.1590:
	s_cmp_gt_i32 s4, 9
	s_cbranch_scc0 .LBB331_1595
; %bb.1591:
	global_load_dwordx2 v[0:1], v[2:3], off
	s_mov_b64 s[0:1], 0
	s_waitcnt vmcnt(0)
	v_cvt_u32_f64_e32 v0, v[0:1]
	s_branch .LBB331_1596
.LBB331_1592:
                                        ; implicit-def: $vgpr0
	s_branch .LBB331_1613
.LBB331_1593:
                                        ; implicit-def: $vgpr0
	s_branch .LBB331_1602
.LBB331_1594:
	s_mov_b64 s[0:1], -1
                                        ; implicit-def: $vgpr0
	s_branch .LBB331_1599
.LBB331_1595:
	s_mov_b64 s[0:1], -1
                                        ; implicit-def: $vgpr0
.LBB331_1596:
	s_andn2_b64 vcc, exec, s[0:1]
	s_cbranch_vccnz .LBB331_1598
; %bb.1597:
	global_load_dword v0, v[2:3], off
	s_waitcnt vmcnt(0)
	v_cvt_u32_f32_e32 v0, v0
.LBB331_1598:
	s_mov_b64 s[0:1], 0
.LBB331_1599:
	s_andn2_b64 vcc, exec, s[0:1]
	s_cbranch_vccnz .LBB331_1601
; %bb.1600:
	global_load_dword v0, v[2:3], off
	s_waitcnt vmcnt(0)
	v_cvt_u16_f16_e32 v0, v0
.LBB331_1601:
	s_cbranch_execnz .LBB331_1612
.LBB331_1602:
	s_cmp_lt_i32 s4, 6
	s_cbranch_scc1 .LBB331_1605
; %bb.1603:
	s_cmp_gt_i32 s4, 6
	s_cbranch_scc0 .LBB331_1606
; %bb.1604:
	global_load_dwordx2 v[0:1], v[2:3], off
	s_mov_b64 s[0:1], 0
	s_waitcnt vmcnt(0)
	v_cvt_u32_f64_e32 v0, v[0:1]
	s_branch .LBB331_1607
.LBB331_1605:
	s_mov_b64 s[0:1], -1
                                        ; implicit-def: $vgpr0
	s_branch .LBB331_1610
.LBB331_1606:
	s_mov_b64 s[0:1], -1
                                        ; implicit-def: $vgpr0
.LBB331_1607:
	s_andn2_b64 vcc, exec, s[0:1]
	s_cbranch_vccnz .LBB331_1609
; %bb.1608:
	global_load_dword v0, v[2:3], off
	s_waitcnt vmcnt(0)
	v_cvt_u32_f32_e32 v0, v0
.LBB331_1609:
	s_mov_b64 s[0:1], 0
.LBB331_1610:
	s_andn2_b64 vcc, exec, s[0:1]
	s_cbranch_vccnz .LBB331_1612
; %bb.1611:
	global_load_ushort v0, v[2:3], off
	s_waitcnt vmcnt(0)
	v_cvt_u16_f16_e32 v0, v0
.LBB331_1612:
	s_cbranch_execnz .LBB331_1631
.LBB331_1613:
	s_cmp_lt_i32 s4, 2
	s_cbranch_scc1 .LBB331_1617
; %bb.1614:
	s_cmp_lt_i32 s4, 3
	s_cbranch_scc1 .LBB331_1618
; %bb.1615:
	s_cmp_gt_i32 s4, 3
	s_cbranch_scc0 .LBB331_1619
; %bb.1616:
	global_load_dwordx2 v[0:1], v[2:3], off
	s_mov_b64 s[0:1], 0
	s_branch .LBB331_1620
.LBB331_1617:
                                        ; implicit-def: $vgpr0
	s_branch .LBB331_1626
.LBB331_1618:
	s_mov_b64 s[0:1], -1
                                        ; implicit-def: $vgpr0
	s_branch .LBB331_1623
.LBB331_1619:
	s_mov_b64 s[0:1], -1
                                        ; implicit-def: $vgpr0
.LBB331_1620:
	s_andn2_b64 vcc, exec, s[0:1]
	s_cbranch_vccnz .LBB331_1622
; %bb.1621:
	global_load_dword v0, v[2:3], off
.LBB331_1622:
	s_mov_b64 s[0:1], 0
.LBB331_1623:
	s_andn2_b64 vcc, exec, s[0:1]
	s_cbranch_vccnz .LBB331_1625
; %bb.1624:
	global_load_ushort v0, v[2:3], off
.LBB331_1625:
	s_cbranch_execnz .LBB331_1631
.LBB331_1626:
	s_cmp_gt_i32 s4, 0
	s_cbranch_scc0 .LBB331_1628
; %bb.1627:
	global_load_sbyte v0, v[2:3], off
	s_mov_b64 s[0:1], 0
	s_branch .LBB331_1629
.LBB331_1628:
	s_mov_b64 s[0:1], -1
                                        ; implicit-def: $vgpr0
.LBB331_1629:
	s_andn2_b64 vcc, exec, s[0:1]
	s_cbranch_vccnz .LBB331_1631
; %bb.1630:
	global_load_ubyte v0, v[2:3], off
.LBB331_1631:
.LBB331_1632:
	v_mul_lo_u32 v6, s14, v14
	v_mov_b32_e32 v2, s3
	s_and_b32 s25, s56, 0xff
	s_cmp_lt_i32 s25, 11
	v_ashrrev_i32_e32 v3, 31, v6
	s_waitcnt vmcnt(0)
	v_add_co_u32_e32 v1, vcc, s2, v6
	v_addc_co_u32_e32 v2, vcc, v2, v3, vcc
	s_cbranch_scc1 .LBB331_1639
; %bb.1633:
	s_and_b32 s26, 0xffff, s25
	s_cmp_gt_i32 s26, 25
	s_mov_b64 s[4:5], 0
	s_cbranch_scc0 .LBB331_1641
; %bb.1634:
	s_cmp_gt_i32 s26, 28
	s_cbranch_scc0 .LBB331_1642
; %bb.1635:
	s_cmp_gt_i32 s26, 43
	;; [unrolled: 3-line block ×3, first 2 shown]
	s_cbranch_scc0 .LBB331_1645
; %bb.1637:
	s_cmp_eq_u32 s26, 46
	s_mov_b64 s[22:23], 0
	s_cbranch_scc0 .LBB331_1648
; %bb.1638:
	global_load_dword v3, v[1:2], off
	s_mov_b64 s[0:1], 0
	s_mov_b64 s[20:21], -1
	s_waitcnt vmcnt(0)
	v_lshlrev_b32_e32 v3, 16, v3
	v_cvt_u32_f32_e32 v3, v3
	s_branch .LBB331_1649
.LBB331_1639:
	s_mov_b64 s[20:21], 0
                                        ; implicit-def: $vgpr3
	s_cbranch_execnz .LBB331_1710
.LBB331_1640:
	s_andn2_b64 vcc, exec, s[20:21]
	s_cbranch_vccnz .LBB331_2947
	s_branch .LBB331_1757
.LBB331_1641:
	s_mov_b64 s[20:21], 0
	s_mov_b64 s[0:1], 0
                                        ; implicit-def: $vgpr3
	s_cbranch_execnz .LBB331_1676
	s_branch .LBB331_1706
.LBB331_1642:
	s_mov_b64 s[22:23], -1
	s_mov_b64 s[20:21], 0
	s_mov_b64 s[0:1], 0
                                        ; implicit-def: $vgpr3
	s_branch .LBB331_1659
.LBB331_1643:
	s_mov_b64 s[22:23], -1
	s_mov_b64 s[20:21], 0
	s_mov_b64 s[0:1], 0
                                        ; implicit-def: $vgpr3
	s_branch .LBB331_1654
.LBB331_1644:
	s_or_b64 s[18:19], s[16:17], exec
	s_trap 2
	s_cbranch_execz .LBB331_1585
	s_branch .LBB331_1586
.LBB331_1645:
	s_mov_b64 s[22:23], -1
	s_mov_b64 s[20:21], 0
	s_mov_b64 s[0:1], 0
                                        ; implicit-def: $vgpr3
	s_branch .LBB331_1649
.LBB331_1646:
	s_andn2_saveexec_b64 s[30:31], s[30:31]
	s_cbranch_execz .LBB331_1433
.LBB331_1647:
	v_add_f32_e32 v0, 0x42800000, v3
	v_and_b32_e32 v0, 0xff, v0
	v_cmp_ne_u32_e32 vcc, 0, v0
	s_andn2_b64 s[28:29], s[28:29], exec
	s_and_b64 s[36:37], vcc, exec
	s_or_b64 s[28:29], s[28:29], s[36:37]
	s_or_b64 exec, exec, s[30:31]
	v_mov_b32_e32 v4, 0
	s_and_saveexec_b64 s[30:31], s[28:29]
	s_cbranch_execnz .LBB331_1434
	s_branch .LBB331_1435
.LBB331_1648:
	s_mov_b64 s[0:1], -1
                                        ; implicit-def: $vgpr3
	s_mov_b64 s[20:21], 0
.LBB331_1649:
	s_and_b64 vcc, exec, s[22:23]
	s_cbranch_vccz .LBB331_1653
; %bb.1650:
	s_cmp_eq_u32 s26, 44
	s_cbranch_scc0 .LBB331_1652
; %bb.1651:
	global_load_ubyte v3, v[1:2], off
	s_mov_b64 s[0:1], 0
	s_mov_b64 s[20:21], -1
	s_waitcnt vmcnt(0)
	v_lshlrev_b32_e32 v4, 23, v3
	v_cvt_u32_f32_e32 v4, v4
	v_cmp_ne_u32_e32 vcc, 0, v3
	v_cndmask_b32_e32 v3, 0, v4, vcc
	s_branch .LBB331_1653
.LBB331_1652:
	s_mov_b64 s[0:1], -1
                                        ; implicit-def: $vgpr3
.LBB331_1653:
	s_mov_b64 s[22:23], 0
.LBB331_1654:
	s_and_b64 vcc, exec, s[22:23]
	s_cbranch_vccz .LBB331_1658
; %bb.1655:
	s_cmp_eq_u32 s26, 29
	s_cbranch_scc0 .LBB331_1657
; %bb.1656:
	global_load_dwordx2 v[3:4], v[1:2], off
	s_mov_b64 s[0:1], 0
	s_mov_b64 s[20:21], -1
	s_branch .LBB331_1658
.LBB331_1657:
	s_mov_b64 s[0:1], -1
                                        ; implicit-def: $vgpr3
.LBB331_1658:
	s_mov_b64 s[22:23], 0
.LBB331_1659:
	s_and_b64 vcc, exec, s[22:23]
	s_cbranch_vccz .LBB331_1675
; %bb.1660:
	s_cmp_lt_i32 s26, 27
	s_cbranch_scc1 .LBB331_1663
; %bb.1661:
	s_cmp_gt_i32 s26, 27
	s_cbranch_scc0 .LBB331_1664
; %bb.1662:
	global_load_dword v3, v[1:2], off
	s_mov_b64 s[20:21], 0
	s_branch .LBB331_1665
.LBB331_1663:
	s_mov_b64 s[20:21], -1
                                        ; implicit-def: $vgpr3
	s_branch .LBB331_1668
.LBB331_1664:
	s_mov_b64 s[20:21], -1
                                        ; implicit-def: $vgpr3
.LBB331_1665:
	s_andn2_b64 vcc, exec, s[20:21]
	s_cbranch_vccnz .LBB331_1667
; %bb.1666:
	global_load_ushort v3, v[1:2], off
.LBB331_1667:
	s_mov_b64 s[20:21], 0
.LBB331_1668:
	s_andn2_b64 vcc, exec, s[20:21]
	s_cbranch_vccnz .LBB331_1674
; %bb.1669:
	global_load_ubyte v4, v[1:2], off
	s_movk_i32 s20, 0x7f
	s_mov_b64 s[22:23], 0
	s_waitcnt vmcnt(0)
	v_cmp_lt_i16_e32 vcc, s20, v4
	s_and_saveexec_b64 s[20:21], vcc
	s_xor_b64 s[20:21], exec, s[20:21]
	s_cbranch_execz .LBB331_1685
; %bb.1670:
	s_movk_i32 s22, 0x80
	v_cmp_ne_u16_e32 vcc, s22, v4
	s_and_b64 s[22:23], vcc, exec
	s_andn2_saveexec_b64 s[20:21], s[20:21]
	s_cbranch_execnz .LBB331_1686
.LBB331_1671:
	s_or_b64 exec, exec, s[20:21]
	v_mov_b32_e32 v3, 0
	s_and_saveexec_b64 s[20:21], s[22:23]
	s_cbranch_execz .LBB331_1673
.LBB331_1672:
	v_lshlrev_b32_e32 v3, 24, v4
	v_and_b32_e32 v4, 0xffff, v4
	v_and_b32_e32 v7, 7, v4
	v_ffbh_u32_e32 v9, v7
	v_min_u32_e32 v9, 32, v9
	v_subrev_u32_e32 v10, 28, v9
	v_bfe_u32 v8, v4, 3, 4
	v_lshlrev_b32_e32 v4, v10, v4
	v_sub_u32_e32 v9, 29, v9
	v_and_b32_e32 v4, 7, v4
	v_cmp_eq_u32_e32 vcc, 0, v8
	v_cndmask_b32_e32 v8, v8, v9, vcc
	v_cndmask_b32_e32 v4, v7, v4, vcc
	v_mov_b32_e32 v7, 0x3b800000
	v_lshlrev_b32_e32 v4, 20, v4
	v_and_b32_e32 v3, 0x80000000, v3
	v_lshl_add_u32 v7, v8, 23, v7
	v_or3_b32 v3, v3, v7, v4
	v_cvt_u32_f32_e32 v3, v3
.LBB331_1673:
	s_or_b64 exec, exec, s[20:21]
.LBB331_1674:
	s_mov_b64 s[20:21], -1
.LBB331_1675:
	s_branch .LBB331_1706
.LBB331_1676:
	s_cmp_gt_i32 s26, 22
	s_cbranch_scc0 .LBB331_1684
; %bb.1677:
	s_cmp_lt_i32 s26, 24
	s_cbranch_scc1 .LBB331_1687
; %bb.1678:
	s_cmp_gt_i32 s26, 24
	s_cbranch_scc0 .LBB331_1688
; %bb.1679:
	global_load_ubyte v4, v[1:2], off
	s_movk_i32 s4, 0x7f
	s_mov_b64 s[20:21], 0
	s_waitcnt vmcnt(0)
	v_cmp_lt_i16_e32 vcc, s4, v4
	s_and_saveexec_b64 s[4:5], vcc
	s_xor_b64 s[4:5], exec, s[4:5]
	s_cbranch_execz .LBB331_1700
; %bb.1680:
	s_movk_i32 s20, 0x80
	v_cmp_ne_u16_e32 vcc, s20, v4
	s_and_b64 s[20:21], vcc, exec
	s_andn2_saveexec_b64 s[4:5], s[4:5]
	s_cbranch_execnz .LBB331_1701
.LBB331_1681:
	s_or_b64 exec, exec, s[4:5]
	v_mov_b32_e32 v3, 0
	s_and_saveexec_b64 s[4:5], s[20:21]
	s_cbranch_execz .LBB331_1683
.LBB331_1682:
	v_lshlrev_b32_e32 v3, 24, v4
	v_and_b32_e32 v4, 0xffff, v4
	v_and_b32_e32 v7, 3, v4
	v_ffbh_u32_e32 v9, v7
	v_min_u32_e32 v9, 32, v9
	v_subrev_u32_e32 v10, 29, v9
	v_bfe_u32 v8, v4, 2, 5
	v_lshlrev_b32_e32 v4, v10, v4
	v_sub_u32_e32 v9, 30, v9
	v_and_b32_e32 v4, 3, v4
	v_cmp_eq_u32_e32 vcc, 0, v8
	v_cndmask_b32_e32 v8, v8, v9, vcc
	v_cndmask_b32_e32 v4, v7, v4, vcc
	v_mov_b32_e32 v7, 0x37800000
	v_lshlrev_b32_e32 v4, 21, v4
	v_and_b32_e32 v3, 0x80000000, v3
	v_lshl_add_u32 v7, v8, 23, v7
	v_or3_b32 v3, v3, v7, v4
	v_cvt_u32_f32_e32 v3, v3
.LBB331_1683:
	s_or_b64 exec, exec, s[4:5]
	s_mov_b64 s[4:5], 0
	s_branch .LBB331_1689
.LBB331_1684:
	s_mov_b64 s[4:5], -1
                                        ; implicit-def: $vgpr3
	s_branch .LBB331_1695
.LBB331_1685:
	s_andn2_saveexec_b64 s[20:21], s[20:21]
	s_cbranch_execz .LBB331_1671
.LBB331_1686:
	v_cmp_ne_u16_e32 vcc, 0, v4
	s_andn2_b64 s[22:23], s[22:23], exec
	s_and_b64 s[28:29], vcc, exec
	s_or_b64 s[22:23], s[22:23], s[28:29]
	s_or_b64 exec, exec, s[20:21]
	v_mov_b32_e32 v3, 0
	s_and_saveexec_b64 s[20:21], s[22:23]
	s_cbranch_execnz .LBB331_1672
	s_branch .LBB331_1673
.LBB331_1687:
	s_mov_b64 s[4:5], -1
                                        ; implicit-def: $vgpr3
	s_branch .LBB331_1692
.LBB331_1688:
	s_mov_b64 s[4:5], -1
                                        ; implicit-def: $vgpr3
.LBB331_1689:
	s_and_b64 vcc, exec, s[4:5]
	s_cbranch_vccz .LBB331_1691
; %bb.1690:
	global_load_ubyte v3, v[1:2], off
	s_mov_b32 s4, 0x7f800000
	s_waitcnt vmcnt(0)
	v_lshlrev_b32_e32 v3, 24, v3
	v_and_b32_e32 v4, 0x7f000000, v3
	v_ffbh_u32_e32 v7, v4
	v_min_u32_e32 v7, 32, v7
	v_sub_u32_e64 v7, v7, 4 clamp
	v_lshlrev_b32_e32 v9, v7, v4
	v_lshlrev_b32_e32 v7, 23, v7
	v_lshrrev_b32_e32 v9, 4, v9
	v_add_u32_e32 v8, 0x1000000, v4
	v_sub_u32_e32 v7, v9, v7
	v_ashrrev_i32_e32 v8, 8, v8
	v_add_u32_e32 v7, 0x3c000000, v7
	v_and_or_b32 v7, v8, s4, v7
	v_cmp_ne_u32_e32 vcc, 0, v4
	v_cndmask_b32_e32 v4, 0, v7, vcc
	s_brev_b32 s4, 1
	v_and_or_b32 v3, v3, s4, v4
	v_cvt_u32_f32_e32 v3, v3
.LBB331_1691:
	s_mov_b64 s[4:5], 0
.LBB331_1692:
	s_andn2_b64 vcc, exec, s[4:5]
	s_cbranch_vccnz .LBB331_1694
; %bb.1693:
	global_load_ubyte v3, v[1:2], off
	s_movk_i32 s4, 0x7f00
	s_brev_b32 s5, 16
	s_waitcnt vmcnt(0)
	v_lshlrev_b16_e32 v4, 8, v3
	v_lshlrev_b32_e32 v3, 25, v3
	v_lshrrev_b32_e32 v7, 4, v3
	v_and_or_b32 v8, v4, s4, 0.5
	v_or_b32_e32 v7, 0x70000000, v7
	v_add_f32_e32 v8, -0.5, v8
	v_mul_f32_e32 v7, 0x7800000, v7
	v_cmp_gt_u32_e32 vcc, s5, v3
	v_bfe_i32 v4, v4, 0, 16
	v_cndmask_b32_e32 v3, v7, v8, vcc
	s_brev_b32 s4, 1
	v_and_or_b32 v3, v4, s4, v3
	v_cvt_u32_f32_e32 v3, v3
.LBB331_1694:
	s_mov_b64 s[4:5], 0
	s_mov_b64 s[20:21], -1
.LBB331_1695:
	s_andn2_b64 vcc, exec, s[4:5]
	s_mov_b64 s[4:5], 0
	s_cbranch_vccnz .LBB331_1706
; %bb.1696:
	s_cmp_gt_i32 s26, 14
	s_cbranch_scc0 .LBB331_1699
; %bb.1697:
	s_cmp_eq_u32 s26, 15
	s_cbranch_scc0 .LBB331_1702
; %bb.1698:
	global_load_ushort v3, v[1:2], off
	s_mov_b64 s[0:1], 0
	s_mov_b64 s[20:21], -1
	s_waitcnt vmcnt(0)
	v_lshlrev_b32_e32 v3, 16, v3
	v_cvt_u32_f32_e32 v3, v3
	s_branch .LBB331_1703
.LBB331_1699:
	s_mov_b64 s[22:23], -1
                                        ; implicit-def: $vgpr3
	s_branch .LBB331_1704
.LBB331_1700:
	s_andn2_saveexec_b64 s[4:5], s[4:5]
	s_cbranch_execz .LBB331_1681
.LBB331_1701:
	v_cmp_ne_u16_e32 vcc, 0, v4
	s_andn2_b64 s[20:21], s[20:21], exec
	s_and_b64 s[22:23], vcc, exec
	s_or_b64 s[20:21], s[20:21], s[22:23]
	s_or_b64 exec, exec, s[4:5]
	v_mov_b32_e32 v3, 0
	s_and_saveexec_b64 s[4:5], s[20:21]
	s_cbranch_execnz .LBB331_1682
	s_branch .LBB331_1683
.LBB331_1702:
	s_mov_b64 s[0:1], -1
                                        ; implicit-def: $vgpr3
.LBB331_1703:
	s_mov_b64 s[22:23], 0
.LBB331_1704:
	s_and_b64 vcc, exec, s[22:23]
	s_cbranch_vccz .LBB331_1706
; %bb.1705:
	s_cmp_lg_u32 s26, 11
	s_mov_b64 s[4:5], -1
	s_cselect_b64 s[0:1], -1, 0
.LBB331_1706:
	s_and_b64 vcc, exec, s[0:1]
	s_cbranch_vccnz .LBB331_1769
; %bb.1707:
	s_andn2_b64 vcc, exec, s[4:5]
	s_cbranch_vccnz .LBB331_1709
.LBB331_1708:
	global_load_ubyte v3, v[1:2], off
	s_mov_b64 s[20:21], -1
	s_waitcnt vmcnt(0)
	v_cmp_ne_u16_e32 vcc, 0, v3
	v_cndmask_b32_e64 v3, 0, 1, vcc
.LBB331_1709:
	s_branch .LBB331_1640
.LBB331_1710:
	s_and_b32 s4, 0xffff, s25
	s_cmp_lt_i32 s4, 5
	s_cbranch_scc1 .LBB331_1715
; %bb.1711:
	s_cmp_lt_i32 s4, 8
	s_cbranch_scc1 .LBB331_1716
; %bb.1712:
	;; [unrolled: 3-line block ×3, first 2 shown]
	s_cmp_gt_i32 s4, 9
	s_cbranch_scc0 .LBB331_1718
; %bb.1714:
	global_load_dwordx2 v[3:4], v[1:2], off
	s_mov_b64 s[0:1], 0
	s_waitcnt vmcnt(0)
	v_cvt_u32_f64_e32 v3, v[3:4]
	s_branch .LBB331_1719
.LBB331_1715:
                                        ; implicit-def: $vgpr3
	s_branch .LBB331_1737
.LBB331_1716:
	s_mov_b64 s[0:1], -1
                                        ; implicit-def: $vgpr3
	s_branch .LBB331_1725
.LBB331_1717:
	s_mov_b64 s[0:1], -1
                                        ; implicit-def: $vgpr3
	s_branch .LBB331_1722
.LBB331_1718:
	s_mov_b64 s[0:1], -1
                                        ; implicit-def: $vgpr3
.LBB331_1719:
	s_andn2_b64 vcc, exec, s[0:1]
	s_cbranch_vccnz .LBB331_1721
; %bb.1720:
	global_load_dword v3, v[1:2], off
	s_waitcnt vmcnt(0)
	v_cvt_u32_f32_e32 v3, v3
.LBB331_1721:
	s_mov_b64 s[0:1], 0
.LBB331_1722:
	s_andn2_b64 vcc, exec, s[0:1]
	s_cbranch_vccnz .LBB331_1724
; %bb.1723:
	global_load_dword v3, v[1:2], off
	s_waitcnt vmcnt(0)
	v_cvt_u16_f16_e32 v3, v3
.LBB331_1724:
	s_mov_b64 s[0:1], 0
.LBB331_1725:
	s_andn2_b64 vcc, exec, s[0:1]
	s_cbranch_vccnz .LBB331_1736
; %bb.1726:
	s_cmp_lt_i32 s4, 6
	s_cbranch_scc1 .LBB331_1729
; %bb.1727:
	s_cmp_gt_i32 s4, 6
	s_cbranch_scc0 .LBB331_1730
; %bb.1728:
	global_load_dwordx2 v[3:4], v[1:2], off
	s_mov_b64 s[0:1], 0
	s_waitcnt vmcnt(0)
	v_cvt_u32_f64_e32 v3, v[3:4]
	s_branch .LBB331_1731
.LBB331_1729:
	s_mov_b64 s[0:1], -1
                                        ; implicit-def: $vgpr3
	s_branch .LBB331_1734
.LBB331_1730:
	s_mov_b64 s[0:1], -1
                                        ; implicit-def: $vgpr3
.LBB331_1731:
	s_andn2_b64 vcc, exec, s[0:1]
	s_cbranch_vccnz .LBB331_1733
; %bb.1732:
	global_load_dword v3, v[1:2], off
	s_waitcnt vmcnt(0)
	v_cvt_u32_f32_e32 v3, v3
.LBB331_1733:
	s_mov_b64 s[0:1], 0
.LBB331_1734:
	s_andn2_b64 vcc, exec, s[0:1]
	s_cbranch_vccnz .LBB331_1736
; %bb.1735:
	global_load_ushort v3, v[1:2], off
	s_waitcnt vmcnt(0)
	v_cvt_u16_f16_e32 v3, v3
.LBB331_1736:
	s_cbranch_execnz .LBB331_1756
.LBB331_1737:
	s_cmp_lt_i32 s4, 2
	s_cbranch_scc1 .LBB331_1741
; %bb.1738:
	s_cmp_lt_i32 s4, 3
	s_cbranch_scc1 .LBB331_1742
; %bb.1739:
	s_cmp_gt_i32 s4, 3
	s_cbranch_scc0 .LBB331_1743
; %bb.1740:
	global_load_dwordx2 v[3:4], v[1:2], off
	s_mov_b64 s[0:1], 0
	s_branch .LBB331_1744
.LBB331_1741:
	s_mov_b64 s[0:1], -1
                                        ; implicit-def: $vgpr3
	s_branch .LBB331_1750
.LBB331_1742:
	s_mov_b64 s[0:1], -1
                                        ; implicit-def: $vgpr3
	s_branch .LBB331_1747
.LBB331_1743:
	s_mov_b64 s[0:1], -1
                                        ; implicit-def: $vgpr3
.LBB331_1744:
	s_andn2_b64 vcc, exec, s[0:1]
	s_cbranch_vccnz .LBB331_1746
; %bb.1745:
	global_load_dword v3, v[1:2], off
.LBB331_1746:
	s_mov_b64 s[0:1], 0
.LBB331_1747:
	s_andn2_b64 vcc, exec, s[0:1]
	s_cbranch_vccnz .LBB331_1749
; %bb.1748:
	global_load_ushort v3, v[1:2], off
.LBB331_1749:
	s_mov_b64 s[0:1], 0
.LBB331_1750:
	s_andn2_b64 vcc, exec, s[0:1]
	s_cbranch_vccnz .LBB331_1756
; %bb.1751:
	s_cmp_gt_i32 s4, 0
	s_cbranch_scc0 .LBB331_1753
; %bb.1752:
	global_load_sbyte v3, v[1:2], off
	s_mov_b64 s[0:1], 0
	s_branch .LBB331_1754
.LBB331_1753:
	s_mov_b64 s[0:1], -1
                                        ; implicit-def: $vgpr3
.LBB331_1754:
	s_andn2_b64 vcc, exec, s[0:1]
	s_cbranch_vccnz .LBB331_1756
; %bb.1755:
	global_load_ubyte v3, v[1:2], off
.LBB331_1756:
.LBB331_1757:
	s_lshl_b32 s13, s13, 7
	v_add_u32_e32 v8, s13, v5
	v_ashrrev_i32_e32 v1, 31, v8
	v_mov_b32_e32 v2, s11
	s_waitcnt vmcnt(0)
	v_add_co_u32_e32 v4, vcc, s10, v8
	s_cmp_lt_i32 s24, 11
	v_addc_co_u32_e32 v5, vcc, v2, v1, vcc
	s_cbranch_scc1 .LBB331_1764
; %bb.1758:
	s_and_b32 s26, 0xffff, s24
	s_cmp_gt_i32 s26, 25
	s_mov_b64 s[4:5], 0
	s_cbranch_scc0 .LBB331_1766
; %bb.1759:
	s_cmp_gt_i32 s26, 28
	s_cbranch_scc0 .LBB331_1767
; %bb.1760:
	s_cmp_gt_i32 s26, 43
	;; [unrolled: 3-line block ×3, first 2 shown]
	s_cbranch_scc0 .LBB331_1770
; %bb.1762:
	s_cmp_eq_u32 s26, 46
	s_mov_b64 s[22:23], 0
	s_cbranch_scc0 .LBB331_1771
; %bb.1763:
	global_load_dword v1, v[4:5], off
	s_mov_b64 s[0:1], 0
	s_mov_b64 s[20:21], -1
	s_waitcnt vmcnt(0)
	v_lshlrev_b32_e32 v1, 16, v1
	v_cvt_u32_f32_e32 v1, v1
	s_branch .LBB331_1772
.LBB331_1764:
	s_mov_b64 s[20:21], 0
                                        ; implicit-def: $vgpr1
	s_cbranch_execnz .LBB331_1834
.LBB331_1765:
	s_andn2_b64 vcc, exec, s[20:21]
	s_cbranch_vccnz .LBB331_2947
	s_branch .LBB331_1882
.LBB331_1766:
	s_mov_b64 s[22:23], -1
	s_mov_b64 s[20:21], 0
	s_mov_b64 s[0:1], 0
                                        ; implicit-def: $vgpr1
	s_branch .LBB331_1799
.LBB331_1767:
	s_mov_b64 s[22:23], -1
	s_mov_b64 s[20:21], 0
	s_mov_b64 s[0:1], 0
                                        ; implicit-def: $vgpr1
	s_branch .LBB331_1782
.LBB331_1768:
	s_mov_b64 s[22:23], -1
	s_mov_b64 s[20:21], 0
	s_mov_b64 s[0:1], 0
                                        ; implicit-def: $vgpr1
	s_branch .LBB331_1777
.LBB331_1769:
	s_trap 2
	s_or_b64 s[18:19], s[18:19], exec
	s_cbranch_execz .LBB331_1708
	s_branch .LBB331_1709
.LBB331_1770:
	s_mov_b64 s[22:23], -1
	s_mov_b64 s[20:21], 0
	s_mov_b64 s[0:1], 0
                                        ; implicit-def: $vgpr1
	s_branch .LBB331_1772
.LBB331_1771:
	s_mov_b64 s[0:1], -1
                                        ; implicit-def: $vgpr1
	s_mov_b64 s[20:21], 0
.LBB331_1772:
	s_and_b64 vcc, exec, s[22:23]
	s_cbranch_vccz .LBB331_1776
; %bb.1773:
	s_cmp_eq_u32 s26, 44
	s_cbranch_scc0 .LBB331_1775
; %bb.1774:
	global_load_ubyte v1, v[4:5], off
	s_mov_b64 s[0:1], 0
	s_mov_b64 s[20:21], -1
	s_waitcnt vmcnt(0)
	v_lshlrev_b32_e32 v2, 23, v1
	v_cvt_u32_f32_e32 v2, v2
	v_cmp_ne_u32_e32 vcc, 0, v1
	v_cndmask_b32_e32 v1, 0, v2, vcc
	s_branch .LBB331_1776
.LBB331_1775:
	s_mov_b64 s[0:1], -1
                                        ; implicit-def: $vgpr1
.LBB331_1776:
	s_mov_b64 s[22:23], 0
.LBB331_1777:
	s_and_b64 vcc, exec, s[22:23]
	s_cbranch_vccz .LBB331_1781
; %bb.1778:
	s_cmp_eq_u32 s26, 29
	s_cbranch_scc0 .LBB331_1780
; %bb.1779:
	global_load_dwordx2 v[1:2], v[4:5], off
	s_mov_b64 s[0:1], 0
	s_mov_b64 s[20:21], -1
	s_branch .LBB331_1781
.LBB331_1780:
	s_mov_b64 s[0:1], -1
                                        ; implicit-def: $vgpr1
.LBB331_1781:
	s_mov_b64 s[22:23], 0
.LBB331_1782:
	s_and_b64 vcc, exec, s[22:23]
	s_cbranch_vccz .LBB331_1798
; %bb.1783:
	s_cmp_lt_i32 s26, 27
	s_cbranch_scc1 .LBB331_1786
; %bb.1784:
	s_cmp_gt_i32 s26, 27
	s_cbranch_scc0 .LBB331_1787
; %bb.1785:
	global_load_dword v1, v[4:5], off
	s_mov_b64 s[20:21], 0
	s_branch .LBB331_1788
.LBB331_1786:
	s_mov_b64 s[20:21], -1
                                        ; implicit-def: $vgpr1
	s_branch .LBB331_1791
.LBB331_1787:
	s_mov_b64 s[20:21], -1
                                        ; implicit-def: $vgpr1
.LBB331_1788:
	s_andn2_b64 vcc, exec, s[20:21]
	s_cbranch_vccnz .LBB331_1790
; %bb.1789:
	global_load_ushort v1, v[4:5], off
.LBB331_1790:
	s_mov_b64 s[20:21], 0
.LBB331_1791:
	s_andn2_b64 vcc, exec, s[20:21]
	s_cbranch_vccnz .LBB331_1797
; %bb.1792:
	global_load_ubyte v2, v[4:5], off
	s_movk_i32 s20, 0x7f
	s_mov_b64 s[22:23], 0
	s_waitcnt vmcnt(0)
	v_cmp_lt_i16_e32 vcc, s20, v2
	s_and_saveexec_b64 s[20:21], vcc
	s_xor_b64 s[20:21], exec, s[20:21]
	s_cbranch_execz .LBB331_1809
; %bb.1793:
	s_movk_i32 s22, 0x80
	v_cmp_ne_u16_e32 vcc, s22, v2
	s_and_b64 s[22:23], vcc, exec
	s_andn2_saveexec_b64 s[20:21], s[20:21]
	s_cbranch_execnz .LBB331_1810
.LBB331_1794:
	s_or_b64 exec, exec, s[20:21]
	v_mov_b32_e32 v1, 0
	s_and_saveexec_b64 s[20:21], s[22:23]
	s_cbranch_execz .LBB331_1796
.LBB331_1795:
	v_lshlrev_b32_e32 v1, 24, v2
	v_and_b32_e32 v2, 0xffff, v2
	v_and_b32_e32 v7, 7, v2
	v_ffbh_u32_e32 v10, v7
	v_min_u32_e32 v10, 32, v10
	v_subrev_u32_e32 v11, 28, v10
	v_bfe_u32 v9, v2, 3, 4
	v_lshlrev_b32_e32 v2, v11, v2
	v_sub_u32_e32 v10, 29, v10
	v_and_b32_e32 v2, 7, v2
	v_cmp_eq_u32_e32 vcc, 0, v9
	v_cndmask_b32_e32 v9, v9, v10, vcc
	v_cndmask_b32_e32 v2, v7, v2, vcc
	v_mov_b32_e32 v7, 0x3b800000
	v_lshlrev_b32_e32 v2, 20, v2
	v_and_b32_e32 v1, 0x80000000, v1
	v_lshl_add_u32 v7, v9, 23, v7
	v_or3_b32 v1, v1, v7, v2
	v_cvt_u32_f32_e32 v1, v1
.LBB331_1796:
	s_or_b64 exec, exec, s[20:21]
.LBB331_1797:
	s_mov_b64 s[20:21], -1
.LBB331_1798:
	s_mov_b64 s[22:23], 0
.LBB331_1799:
	s_and_b64 vcc, exec, s[22:23]
	s_cbranch_vccz .LBB331_1830
; %bb.1800:
	s_cmp_gt_i32 s26, 22
	s_cbranch_scc0 .LBB331_1808
; %bb.1801:
	s_cmp_lt_i32 s26, 24
	s_cbranch_scc1 .LBB331_1811
; %bb.1802:
	s_cmp_gt_i32 s26, 24
	s_cbranch_scc0 .LBB331_1812
; %bb.1803:
	global_load_ubyte v2, v[4:5], off
	s_movk_i32 s4, 0x7f
	s_mov_b64 s[20:21], 0
	s_waitcnt vmcnt(0)
	v_cmp_lt_i16_e32 vcc, s4, v2
	s_and_saveexec_b64 s[4:5], vcc
	s_xor_b64 s[4:5], exec, s[4:5]
	s_cbranch_execz .LBB331_1824
; %bb.1804:
	s_movk_i32 s20, 0x80
	v_cmp_ne_u16_e32 vcc, s20, v2
	s_and_b64 s[20:21], vcc, exec
	s_andn2_saveexec_b64 s[4:5], s[4:5]
	s_cbranch_execnz .LBB331_1825
.LBB331_1805:
	s_or_b64 exec, exec, s[4:5]
	v_mov_b32_e32 v1, 0
	s_and_saveexec_b64 s[4:5], s[20:21]
	s_cbranch_execz .LBB331_1807
.LBB331_1806:
	v_lshlrev_b32_e32 v1, 24, v2
	v_and_b32_e32 v2, 0xffff, v2
	v_and_b32_e32 v7, 3, v2
	v_ffbh_u32_e32 v10, v7
	v_min_u32_e32 v10, 32, v10
	v_subrev_u32_e32 v11, 29, v10
	v_bfe_u32 v9, v2, 2, 5
	v_lshlrev_b32_e32 v2, v11, v2
	v_sub_u32_e32 v10, 30, v10
	v_and_b32_e32 v2, 3, v2
	v_cmp_eq_u32_e32 vcc, 0, v9
	v_cndmask_b32_e32 v9, v9, v10, vcc
	v_cndmask_b32_e32 v2, v7, v2, vcc
	v_mov_b32_e32 v7, 0x37800000
	v_lshlrev_b32_e32 v2, 21, v2
	v_and_b32_e32 v1, 0x80000000, v1
	v_lshl_add_u32 v7, v9, 23, v7
	v_or3_b32 v1, v1, v7, v2
	v_cvt_u32_f32_e32 v1, v1
.LBB331_1807:
	s_or_b64 exec, exec, s[4:5]
	s_mov_b64 s[4:5], 0
	s_branch .LBB331_1813
.LBB331_1808:
	s_mov_b64 s[4:5], -1
                                        ; implicit-def: $vgpr1
	s_branch .LBB331_1819
.LBB331_1809:
	s_andn2_saveexec_b64 s[20:21], s[20:21]
	s_cbranch_execz .LBB331_1794
.LBB331_1810:
	v_cmp_ne_u16_e32 vcc, 0, v2
	s_andn2_b64 s[22:23], s[22:23], exec
	s_and_b64 s[28:29], vcc, exec
	s_or_b64 s[22:23], s[22:23], s[28:29]
	s_or_b64 exec, exec, s[20:21]
	v_mov_b32_e32 v1, 0
	s_and_saveexec_b64 s[20:21], s[22:23]
	s_cbranch_execnz .LBB331_1795
	s_branch .LBB331_1796
.LBB331_1811:
	s_mov_b64 s[4:5], -1
                                        ; implicit-def: $vgpr1
	s_branch .LBB331_1816
.LBB331_1812:
	s_mov_b64 s[4:5], -1
                                        ; implicit-def: $vgpr1
.LBB331_1813:
	s_and_b64 vcc, exec, s[4:5]
	s_cbranch_vccz .LBB331_1815
; %bb.1814:
	global_load_ubyte v1, v[4:5], off
	s_mov_b32 s4, 0x7f800000
	s_waitcnt vmcnt(0)
	v_lshlrev_b32_e32 v1, 24, v1
	v_and_b32_e32 v2, 0x7f000000, v1
	v_ffbh_u32_e32 v7, v2
	v_min_u32_e32 v7, 32, v7
	v_sub_u32_e64 v7, v7, 4 clamp
	v_lshlrev_b32_e32 v10, v7, v2
	v_lshlrev_b32_e32 v7, 23, v7
	v_lshrrev_b32_e32 v10, 4, v10
	v_add_u32_e32 v9, 0x1000000, v2
	v_sub_u32_e32 v7, v10, v7
	v_ashrrev_i32_e32 v9, 8, v9
	v_add_u32_e32 v7, 0x3c000000, v7
	v_and_or_b32 v7, v9, s4, v7
	v_cmp_ne_u32_e32 vcc, 0, v2
	v_cndmask_b32_e32 v2, 0, v7, vcc
	s_brev_b32 s4, 1
	v_and_or_b32 v1, v1, s4, v2
	v_cvt_u32_f32_e32 v1, v1
.LBB331_1815:
	s_mov_b64 s[4:5], 0
.LBB331_1816:
	s_andn2_b64 vcc, exec, s[4:5]
	s_cbranch_vccnz .LBB331_1818
; %bb.1817:
	global_load_ubyte v1, v[4:5], off
	s_movk_i32 s4, 0x7f00
	s_brev_b32 s5, 16
	s_waitcnt vmcnt(0)
	v_lshlrev_b16_e32 v2, 8, v1
	v_lshlrev_b32_e32 v1, 25, v1
	v_lshrrev_b32_e32 v7, 4, v1
	v_and_or_b32 v9, v2, s4, 0.5
	v_or_b32_e32 v7, 0x70000000, v7
	v_add_f32_e32 v9, -0.5, v9
	v_mul_f32_e32 v7, 0x7800000, v7
	v_cmp_gt_u32_e32 vcc, s5, v1
	v_bfe_i32 v2, v2, 0, 16
	v_cndmask_b32_e32 v1, v7, v9, vcc
	s_brev_b32 s4, 1
	v_and_or_b32 v1, v2, s4, v1
	v_cvt_u32_f32_e32 v1, v1
.LBB331_1818:
	s_mov_b64 s[4:5], 0
	s_mov_b64 s[20:21], -1
.LBB331_1819:
	s_andn2_b64 vcc, exec, s[4:5]
	s_mov_b64 s[4:5], 0
	s_cbranch_vccnz .LBB331_1830
; %bb.1820:
	s_cmp_gt_i32 s26, 14
	s_cbranch_scc0 .LBB331_1823
; %bb.1821:
	s_cmp_eq_u32 s26, 15
	s_cbranch_scc0 .LBB331_1826
; %bb.1822:
	global_load_ushort v1, v[4:5], off
	s_mov_b64 s[0:1], 0
	s_mov_b64 s[20:21], -1
	s_waitcnt vmcnt(0)
	v_lshlrev_b32_e32 v1, 16, v1
	v_cvt_u32_f32_e32 v1, v1
	s_branch .LBB331_1827
.LBB331_1823:
	s_mov_b64 s[22:23], -1
                                        ; implicit-def: $vgpr1
	s_branch .LBB331_1828
.LBB331_1824:
	s_andn2_saveexec_b64 s[4:5], s[4:5]
	s_cbranch_execz .LBB331_1805
.LBB331_1825:
	v_cmp_ne_u16_e32 vcc, 0, v2
	s_andn2_b64 s[20:21], s[20:21], exec
	s_and_b64 s[22:23], vcc, exec
	s_or_b64 s[20:21], s[20:21], s[22:23]
	s_or_b64 exec, exec, s[4:5]
	v_mov_b32_e32 v1, 0
	s_and_saveexec_b64 s[4:5], s[20:21]
	s_cbranch_execnz .LBB331_1806
	s_branch .LBB331_1807
.LBB331_1826:
	s_mov_b64 s[0:1], -1
                                        ; implicit-def: $vgpr1
.LBB331_1827:
	s_mov_b64 s[22:23], 0
.LBB331_1828:
	s_and_b64 vcc, exec, s[22:23]
	s_cbranch_vccz .LBB331_1830
; %bb.1829:
	s_cmp_lg_u32 s26, 11
	s_mov_b64 s[4:5], -1
	s_cselect_b64 s[0:1], -1, 0
.LBB331_1830:
	s_and_b64 vcc, exec, s[0:1]
	s_cbranch_vccnz .LBB331_1893
; %bb.1831:
	s_andn2_b64 vcc, exec, s[4:5]
	s_cbranch_vccnz .LBB331_1833
.LBB331_1832:
	global_load_ubyte v1, v[4:5], off
	s_mov_b64 s[20:21], -1
	s_waitcnt vmcnt(0)
	v_cmp_ne_u16_e32 vcc, 0, v1
	v_cndmask_b32_e64 v1, 0, 1, vcc
.LBB331_1833:
	s_branch .LBB331_1765
.LBB331_1834:
	s_and_b32 s4, 0xffff, s24
	s_cmp_lt_i32 s4, 5
	s_cbranch_scc1 .LBB331_1839
; %bb.1835:
	s_cmp_lt_i32 s4, 8
	s_cbranch_scc1 .LBB331_1840
; %bb.1836:
	;; [unrolled: 3-line block ×3, first 2 shown]
	s_cmp_gt_i32 s4, 9
	s_cbranch_scc0 .LBB331_1842
; %bb.1838:
	global_load_dwordx2 v[1:2], v[4:5], off
	s_mov_b64 s[0:1], 0
	s_waitcnt vmcnt(0)
	v_cvt_u32_f64_e32 v1, v[1:2]
	s_branch .LBB331_1843
.LBB331_1839:
	s_mov_b64 s[0:1], -1
                                        ; implicit-def: $vgpr1
	s_branch .LBB331_1861
.LBB331_1840:
	s_mov_b64 s[0:1], -1
                                        ; implicit-def: $vgpr1
	s_branch .LBB331_1849
.LBB331_1841:
	s_mov_b64 s[0:1], -1
                                        ; implicit-def: $vgpr1
	s_branch .LBB331_1846
.LBB331_1842:
	s_mov_b64 s[0:1], -1
                                        ; implicit-def: $vgpr1
.LBB331_1843:
	s_andn2_b64 vcc, exec, s[0:1]
	s_cbranch_vccnz .LBB331_1845
; %bb.1844:
	global_load_dword v1, v[4:5], off
	s_waitcnt vmcnt(0)
	v_cvt_u32_f32_e32 v1, v1
.LBB331_1845:
	s_mov_b64 s[0:1], 0
.LBB331_1846:
	s_andn2_b64 vcc, exec, s[0:1]
	s_cbranch_vccnz .LBB331_1848
; %bb.1847:
	global_load_dword v1, v[4:5], off
	s_waitcnt vmcnt(0)
	v_cvt_u16_f16_e32 v1, v1
.LBB331_1848:
	s_mov_b64 s[0:1], 0
.LBB331_1849:
	s_andn2_b64 vcc, exec, s[0:1]
	s_cbranch_vccnz .LBB331_1860
; %bb.1850:
	s_cmp_lt_i32 s4, 6
	s_cbranch_scc1 .LBB331_1853
; %bb.1851:
	s_cmp_gt_i32 s4, 6
	s_cbranch_scc0 .LBB331_1854
; %bb.1852:
	global_load_dwordx2 v[1:2], v[4:5], off
	s_mov_b64 s[0:1], 0
	s_waitcnt vmcnt(0)
	v_cvt_u32_f64_e32 v1, v[1:2]
	s_branch .LBB331_1855
.LBB331_1853:
	s_mov_b64 s[0:1], -1
                                        ; implicit-def: $vgpr1
	s_branch .LBB331_1858
.LBB331_1854:
	s_mov_b64 s[0:1], -1
                                        ; implicit-def: $vgpr1
.LBB331_1855:
	s_andn2_b64 vcc, exec, s[0:1]
	s_cbranch_vccnz .LBB331_1857
; %bb.1856:
	global_load_dword v1, v[4:5], off
	s_waitcnt vmcnt(0)
	v_cvt_u32_f32_e32 v1, v1
.LBB331_1857:
	s_mov_b64 s[0:1], 0
.LBB331_1858:
	s_andn2_b64 vcc, exec, s[0:1]
	s_cbranch_vccnz .LBB331_1860
; %bb.1859:
	global_load_ushort v1, v[4:5], off
	s_waitcnt vmcnt(0)
	v_cvt_u16_f16_e32 v1, v1
.LBB331_1860:
	s_mov_b64 s[0:1], 0
.LBB331_1861:
	s_andn2_b64 vcc, exec, s[0:1]
	s_cbranch_vccnz .LBB331_1881
; %bb.1862:
	s_cmp_lt_i32 s4, 2
	s_cbranch_scc1 .LBB331_1866
; %bb.1863:
	s_cmp_lt_i32 s4, 3
	s_cbranch_scc1 .LBB331_1867
; %bb.1864:
	s_cmp_gt_i32 s4, 3
	s_cbranch_scc0 .LBB331_1868
; %bb.1865:
	global_load_dwordx2 v[1:2], v[4:5], off
	s_mov_b64 s[0:1], 0
	s_branch .LBB331_1869
.LBB331_1866:
	s_mov_b64 s[0:1], -1
                                        ; implicit-def: $vgpr1
	s_branch .LBB331_1875
.LBB331_1867:
	s_mov_b64 s[0:1], -1
                                        ; implicit-def: $vgpr1
	s_branch .LBB331_1872
.LBB331_1868:
	s_mov_b64 s[0:1], -1
                                        ; implicit-def: $vgpr1
.LBB331_1869:
	s_andn2_b64 vcc, exec, s[0:1]
	s_cbranch_vccnz .LBB331_1871
; %bb.1870:
	global_load_dword v1, v[4:5], off
.LBB331_1871:
	s_mov_b64 s[0:1], 0
.LBB331_1872:
	s_andn2_b64 vcc, exec, s[0:1]
	s_cbranch_vccnz .LBB331_1874
; %bb.1873:
	global_load_ushort v1, v[4:5], off
.LBB331_1874:
	s_mov_b64 s[0:1], 0
.LBB331_1875:
	s_andn2_b64 vcc, exec, s[0:1]
	s_cbranch_vccnz .LBB331_1881
; %bb.1876:
	s_cmp_gt_i32 s4, 0
	s_cbranch_scc0 .LBB331_1878
; %bb.1877:
	global_load_sbyte v1, v[4:5], off
	s_mov_b64 s[0:1], 0
	s_branch .LBB331_1879
.LBB331_1878:
	s_mov_b64 s[0:1], -1
                                        ; implicit-def: $vgpr1
.LBB331_1879:
	s_andn2_b64 vcc, exec, s[0:1]
	s_cbranch_vccnz .LBB331_1881
; %bb.1880:
	global_load_ubyte v1, v[4:5], off
.LBB331_1881:
.LBB331_1882:
	s_lshl_b32 s14, s14, 7
	s_waitcnt vmcnt(0)
	v_add_u32_e32 v2, s14, v6
	v_ashrrev_i32_e32 v5, 31, v2
	v_mov_b32_e32 v6, s3
	v_add_co_u32_e32 v4, vcc, s2, v2
	s_cmp_lt_i32 s25, 11
	v_addc_co_u32_e32 v5, vcc, v6, v5, vcc
	s_cbranch_scc1 .LBB331_1889
; %bb.1883:
	s_and_b32 s26, 0xffff, s25
	s_cmp_gt_i32 s26, 25
	s_mov_b64 s[4:5], 0
	s_cbranch_scc0 .LBB331_1890
; %bb.1884:
	s_cmp_gt_i32 s26, 28
	s_cbranch_scc0 .LBB331_1891
; %bb.1885:
	s_cmp_gt_i32 s26, 43
	;; [unrolled: 3-line block ×3, first 2 shown]
	s_cbranch_scc0 .LBB331_1894
; %bb.1887:
	s_cmp_eq_u32 s26, 46
	s_mov_b64 s[22:23], 0
	s_cbranch_scc0 .LBB331_1895
; %bb.1888:
	global_load_dword v6, v[4:5], off
	s_mov_b64 s[0:1], 0
	s_mov_b64 s[20:21], -1
	s_waitcnt vmcnt(0)
	v_lshlrev_b32_e32 v6, 16, v6
	v_cvt_u32_f32_e32 v6, v6
	s_branch .LBB331_1896
.LBB331_1889:
	s_mov_b64 s[0:1], -1
	s_mov_b64 s[20:21], 0
                                        ; implicit-def: $vgpr6
	s_branch .LBB331_1958
.LBB331_1890:
	s_mov_b64 s[22:23], -1
	s_mov_b64 s[20:21], 0
	s_mov_b64 s[0:1], 0
                                        ; implicit-def: $vgpr6
	s_branch .LBB331_1923
.LBB331_1891:
	s_mov_b64 s[22:23], -1
	s_mov_b64 s[20:21], 0
	s_mov_b64 s[0:1], 0
                                        ; implicit-def: $vgpr6
	s_branch .LBB331_1906
.LBB331_1892:
	s_mov_b64 s[22:23], -1
	s_mov_b64 s[20:21], 0
	s_mov_b64 s[0:1], 0
                                        ; implicit-def: $vgpr6
	s_branch .LBB331_1901
.LBB331_1893:
	s_trap 2
	s_or_b64 s[18:19], s[18:19], exec
	s_cbranch_execz .LBB331_1832
	s_branch .LBB331_1833
.LBB331_1894:
	s_mov_b64 s[22:23], -1
	s_mov_b64 s[20:21], 0
	s_mov_b64 s[0:1], 0
                                        ; implicit-def: $vgpr6
	s_branch .LBB331_1896
.LBB331_1895:
	s_mov_b64 s[0:1], -1
                                        ; implicit-def: $vgpr6
	s_mov_b64 s[20:21], 0
.LBB331_1896:
	s_and_b64 vcc, exec, s[22:23]
	s_cbranch_vccz .LBB331_1900
; %bb.1897:
	s_cmp_eq_u32 s26, 44
	s_cbranch_scc0 .LBB331_1899
; %bb.1898:
	global_load_ubyte v6, v[4:5], off
	s_mov_b64 s[0:1], 0
	s_mov_b64 s[20:21], -1
	s_waitcnt vmcnt(0)
	v_lshlrev_b32_e32 v7, 23, v6
	v_cvt_u32_f32_e32 v7, v7
	v_cmp_ne_u32_e32 vcc, 0, v6
	v_cndmask_b32_e32 v6, 0, v7, vcc
	s_branch .LBB331_1900
.LBB331_1899:
	s_mov_b64 s[0:1], -1
                                        ; implicit-def: $vgpr6
.LBB331_1900:
	s_mov_b64 s[22:23], 0
.LBB331_1901:
	s_and_b64 vcc, exec, s[22:23]
	s_cbranch_vccz .LBB331_1905
; %bb.1902:
	s_cmp_eq_u32 s26, 29
	s_cbranch_scc0 .LBB331_1904
; %bb.1903:
	global_load_dwordx2 v[6:7], v[4:5], off
	s_mov_b64 s[0:1], 0
	s_mov_b64 s[20:21], -1
	s_branch .LBB331_1905
.LBB331_1904:
	s_mov_b64 s[0:1], -1
                                        ; implicit-def: $vgpr6
.LBB331_1905:
	s_mov_b64 s[22:23], 0
.LBB331_1906:
	s_and_b64 vcc, exec, s[22:23]
	s_cbranch_vccz .LBB331_1922
; %bb.1907:
	s_cmp_lt_i32 s26, 27
	s_cbranch_scc1 .LBB331_1910
; %bb.1908:
	s_cmp_gt_i32 s26, 27
	s_cbranch_scc0 .LBB331_1911
; %bb.1909:
	global_load_dword v6, v[4:5], off
	s_mov_b64 s[20:21], 0
	s_branch .LBB331_1912
.LBB331_1910:
	s_mov_b64 s[20:21], -1
                                        ; implicit-def: $vgpr6
	s_branch .LBB331_1915
.LBB331_1911:
	s_mov_b64 s[20:21], -1
                                        ; implicit-def: $vgpr6
.LBB331_1912:
	s_andn2_b64 vcc, exec, s[20:21]
	s_cbranch_vccnz .LBB331_1914
; %bb.1913:
	global_load_ushort v6, v[4:5], off
.LBB331_1914:
	s_mov_b64 s[20:21], 0
.LBB331_1915:
	s_andn2_b64 vcc, exec, s[20:21]
	s_cbranch_vccnz .LBB331_1921
; %bb.1916:
	global_load_ubyte v7, v[4:5], off
	s_movk_i32 s20, 0x7f
	s_mov_b64 s[22:23], 0
	s_waitcnt vmcnt(0)
	v_cmp_lt_i16_e32 vcc, s20, v7
	s_and_saveexec_b64 s[20:21], vcc
	s_xor_b64 s[20:21], exec, s[20:21]
	s_cbranch_execz .LBB331_1933
; %bb.1917:
	s_movk_i32 s22, 0x80
	v_cmp_ne_u16_e32 vcc, s22, v7
	s_and_b64 s[22:23], vcc, exec
	s_andn2_saveexec_b64 s[20:21], s[20:21]
	s_cbranch_execnz .LBB331_1934
.LBB331_1918:
	s_or_b64 exec, exec, s[20:21]
	v_mov_b32_e32 v6, 0
	s_and_saveexec_b64 s[20:21], s[22:23]
	s_cbranch_execz .LBB331_1920
.LBB331_1919:
	v_lshlrev_b32_e32 v6, 24, v7
	v_and_b32_e32 v7, 0xffff, v7
	v_and_b32_e32 v9, 7, v7
	v_ffbh_u32_e32 v11, v9
	v_min_u32_e32 v11, 32, v11
	v_subrev_u32_e32 v12, 28, v11
	v_bfe_u32 v10, v7, 3, 4
	v_lshlrev_b32_e32 v7, v12, v7
	v_sub_u32_e32 v11, 29, v11
	v_and_b32_e32 v7, 7, v7
	v_cmp_eq_u32_e32 vcc, 0, v10
	v_cndmask_b32_e32 v10, v10, v11, vcc
	v_cndmask_b32_e32 v7, v9, v7, vcc
	v_mov_b32_e32 v9, 0x3b800000
	v_lshlrev_b32_e32 v7, 20, v7
	v_and_b32_e32 v6, 0x80000000, v6
	v_lshl_add_u32 v9, v10, 23, v9
	v_or3_b32 v6, v6, v9, v7
	v_cvt_u32_f32_e32 v6, v6
.LBB331_1920:
	s_or_b64 exec, exec, s[20:21]
.LBB331_1921:
	s_mov_b64 s[20:21], -1
.LBB331_1922:
	s_mov_b64 s[22:23], 0
.LBB331_1923:
	s_and_b64 vcc, exec, s[22:23]
	s_cbranch_vccz .LBB331_1954
; %bb.1924:
	s_cmp_gt_i32 s26, 22
	s_cbranch_scc0 .LBB331_1932
; %bb.1925:
	s_cmp_lt_i32 s26, 24
	s_cbranch_scc1 .LBB331_1935
; %bb.1926:
	s_cmp_gt_i32 s26, 24
	s_cbranch_scc0 .LBB331_1936
; %bb.1927:
	global_load_ubyte v7, v[4:5], off
	s_movk_i32 s4, 0x7f
	s_mov_b64 s[20:21], 0
	s_waitcnt vmcnt(0)
	v_cmp_lt_i16_e32 vcc, s4, v7
	s_and_saveexec_b64 s[4:5], vcc
	s_xor_b64 s[4:5], exec, s[4:5]
	s_cbranch_execz .LBB331_1948
; %bb.1928:
	s_movk_i32 s20, 0x80
	v_cmp_ne_u16_e32 vcc, s20, v7
	s_and_b64 s[20:21], vcc, exec
	s_andn2_saveexec_b64 s[4:5], s[4:5]
	s_cbranch_execnz .LBB331_1949
.LBB331_1929:
	s_or_b64 exec, exec, s[4:5]
	v_mov_b32_e32 v6, 0
	s_and_saveexec_b64 s[4:5], s[20:21]
	s_cbranch_execz .LBB331_1931
.LBB331_1930:
	v_lshlrev_b32_e32 v6, 24, v7
	v_and_b32_e32 v7, 0xffff, v7
	v_and_b32_e32 v9, 3, v7
	v_ffbh_u32_e32 v11, v9
	v_min_u32_e32 v11, 32, v11
	v_subrev_u32_e32 v12, 29, v11
	v_bfe_u32 v10, v7, 2, 5
	v_lshlrev_b32_e32 v7, v12, v7
	v_sub_u32_e32 v11, 30, v11
	v_and_b32_e32 v7, 3, v7
	v_cmp_eq_u32_e32 vcc, 0, v10
	v_cndmask_b32_e32 v10, v10, v11, vcc
	v_cndmask_b32_e32 v7, v9, v7, vcc
	v_mov_b32_e32 v9, 0x37800000
	v_lshlrev_b32_e32 v7, 21, v7
	v_and_b32_e32 v6, 0x80000000, v6
	v_lshl_add_u32 v9, v10, 23, v9
	v_or3_b32 v6, v6, v9, v7
	v_cvt_u32_f32_e32 v6, v6
.LBB331_1931:
	s_or_b64 exec, exec, s[4:5]
	s_mov_b64 s[4:5], 0
	s_branch .LBB331_1937
.LBB331_1932:
	s_mov_b64 s[4:5], -1
                                        ; implicit-def: $vgpr6
	s_branch .LBB331_1943
.LBB331_1933:
	s_andn2_saveexec_b64 s[20:21], s[20:21]
	s_cbranch_execz .LBB331_1918
.LBB331_1934:
	v_cmp_ne_u16_e32 vcc, 0, v7
	s_andn2_b64 s[22:23], s[22:23], exec
	s_and_b64 s[28:29], vcc, exec
	s_or_b64 s[22:23], s[22:23], s[28:29]
	s_or_b64 exec, exec, s[20:21]
	v_mov_b32_e32 v6, 0
	s_and_saveexec_b64 s[20:21], s[22:23]
	s_cbranch_execnz .LBB331_1919
	s_branch .LBB331_1920
.LBB331_1935:
	s_mov_b64 s[4:5], -1
                                        ; implicit-def: $vgpr6
	s_branch .LBB331_1940
.LBB331_1936:
	s_mov_b64 s[4:5], -1
                                        ; implicit-def: $vgpr6
.LBB331_1937:
	s_and_b64 vcc, exec, s[4:5]
	s_cbranch_vccz .LBB331_1939
; %bb.1938:
	global_load_ubyte v6, v[4:5], off
	s_mov_b32 s4, 0x7f800000
	s_waitcnt vmcnt(0)
	v_lshlrev_b32_e32 v6, 24, v6
	v_and_b32_e32 v7, 0x7f000000, v6
	v_ffbh_u32_e32 v9, v7
	v_min_u32_e32 v9, 32, v9
	v_sub_u32_e64 v9, v9, 4 clamp
	v_lshlrev_b32_e32 v11, v9, v7
	v_lshlrev_b32_e32 v9, 23, v9
	v_lshrrev_b32_e32 v11, 4, v11
	v_add_u32_e32 v10, 0x1000000, v7
	v_sub_u32_e32 v9, v11, v9
	v_ashrrev_i32_e32 v10, 8, v10
	v_add_u32_e32 v9, 0x3c000000, v9
	v_and_or_b32 v9, v10, s4, v9
	v_cmp_ne_u32_e32 vcc, 0, v7
	v_cndmask_b32_e32 v7, 0, v9, vcc
	s_brev_b32 s4, 1
	v_and_or_b32 v6, v6, s4, v7
	v_cvt_u32_f32_e32 v6, v6
.LBB331_1939:
	s_mov_b64 s[4:5], 0
.LBB331_1940:
	s_andn2_b64 vcc, exec, s[4:5]
	s_cbranch_vccnz .LBB331_1942
; %bb.1941:
	global_load_ubyte v6, v[4:5], off
	s_movk_i32 s4, 0x7f00
	s_brev_b32 s5, 16
	s_waitcnt vmcnt(0)
	v_lshlrev_b16_e32 v7, 8, v6
	v_lshlrev_b32_e32 v6, 25, v6
	v_lshrrev_b32_e32 v9, 4, v6
	v_and_or_b32 v10, v7, s4, 0.5
	v_or_b32_e32 v9, 0x70000000, v9
	v_add_f32_e32 v10, -0.5, v10
	v_mul_f32_e32 v9, 0x7800000, v9
	v_cmp_gt_u32_e32 vcc, s5, v6
	v_bfe_i32 v7, v7, 0, 16
	v_cndmask_b32_e32 v6, v9, v10, vcc
	s_brev_b32 s4, 1
	v_and_or_b32 v6, v7, s4, v6
	v_cvt_u32_f32_e32 v6, v6
.LBB331_1942:
	s_mov_b64 s[4:5], 0
	s_mov_b64 s[20:21], -1
.LBB331_1943:
	s_andn2_b64 vcc, exec, s[4:5]
	s_mov_b64 s[4:5], 0
	s_cbranch_vccnz .LBB331_1954
; %bb.1944:
	s_cmp_gt_i32 s26, 14
	s_cbranch_scc0 .LBB331_1947
; %bb.1945:
	s_cmp_eq_u32 s26, 15
	s_cbranch_scc0 .LBB331_1950
; %bb.1946:
	global_load_ushort v6, v[4:5], off
	s_mov_b64 s[0:1], 0
	s_mov_b64 s[20:21], -1
	s_waitcnt vmcnt(0)
	v_lshlrev_b32_e32 v6, 16, v6
	v_cvt_u32_f32_e32 v6, v6
	s_branch .LBB331_1951
.LBB331_1947:
	s_mov_b64 s[22:23], -1
                                        ; implicit-def: $vgpr6
	s_branch .LBB331_1952
.LBB331_1948:
	s_andn2_saveexec_b64 s[4:5], s[4:5]
	s_cbranch_execz .LBB331_1929
.LBB331_1949:
	v_cmp_ne_u16_e32 vcc, 0, v7
	s_andn2_b64 s[20:21], s[20:21], exec
	s_and_b64 s[22:23], vcc, exec
	s_or_b64 s[20:21], s[20:21], s[22:23]
	s_or_b64 exec, exec, s[4:5]
	v_mov_b32_e32 v6, 0
	s_and_saveexec_b64 s[4:5], s[20:21]
	s_cbranch_execnz .LBB331_1930
	s_branch .LBB331_1931
.LBB331_1950:
	s_mov_b64 s[0:1], -1
                                        ; implicit-def: $vgpr6
.LBB331_1951:
	s_mov_b64 s[22:23], 0
.LBB331_1952:
	s_and_b64 vcc, exec, s[22:23]
	s_cbranch_vccz .LBB331_1954
; %bb.1953:
	s_cmp_lg_u32 s26, 11
	s_mov_b64 s[4:5], -1
	s_cselect_b64 s[0:1], -1, 0
.LBB331_1954:
	s_and_b64 vcc, exec, s[0:1]
	s_cbranch_vccnz .LBB331_2019
; %bb.1955:
	s_andn2_b64 vcc, exec, s[4:5]
	s_cbranch_vccnz .LBB331_1957
.LBB331_1956:
	global_load_ubyte v6, v[4:5], off
	s_mov_b64 s[20:21], -1
	s_waitcnt vmcnt(0)
	v_cmp_ne_u16_e32 vcc, 0, v6
	v_cndmask_b32_e64 v6, 0, 1, vcc
.LBB331_1957:
	s_mov_b64 s[0:1], 0
.LBB331_1958:
	s_and_b64 vcc, exec, s[0:1]
	s_cbranch_vccz .LBB331_2007
; %bb.1959:
	s_and_b32 s4, 0xffff, s25
	s_cmp_lt_i32 s4, 5
	s_cbranch_scc1 .LBB331_1964
; %bb.1960:
	s_cmp_lt_i32 s4, 8
	s_cbranch_scc1 .LBB331_1965
; %bb.1961:
	;; [unrolled: 3-line block ×3, first 2 shown]
	s_cmp_gt_i32 s4, 9
	s_cbranch_scc0 .LBB331_1967
; %bb.1963:
	global_load_dwordx2 v[6:7], v[4:5], off
	s_mov_b64 s[0:1], 0
	s_waitcnt vmcnt(0)
	v_cvt_u32_f64_e32 v6, v[6:7]
	s_branch .LBB331_1968
.LBB331_1964:
	s_mov_b64 s[0:1], -1
                                        ; implicit-def: $vgpr6
	s_branch .LBB331_1986
.LBB331_1965:
	s_mov_b64 s[0:1], -1
                                        ; implicit-def: $vgpr6
	s_branch .LBB331_1974
.LBB331_1966:
	s_mov_b64 s[0:1], -1
                                        ; implicit-def: $vgpr6
	s_branch .LBB331_1971
.LBB331_1967:
	s_mov_b64 s[0:1], -1
                                        ; implicit-def: $vgpr6
.LBB331_1968:
	s_andn2_b64 vcc, exec, s[0:1]
	s_cbranch_vccnz .LBB331_1970
; %bb.1969:
	global_load_dword v6, v[4:5], off
	s_waitcnt vmcnt(0)
	v_cvt_u32_f32_e32 v6, v6
.LBB331_1970:
	s_mov_b64 s[0:1], 0
.LBB331_1971:
	s_andn2_b64 vcc, exec, s[0:1]
	s_cbranch_vccnz .LBB331_1973
; %bb.1972:
	global_load_dword v6, v[4:5], off
	s_waitcnt vmcnt(0)
	v_cvt_u16_f16_e32 v6, v6
.LBB331_1973:
	s_mov_b64 s[0:1], 0
.LBB331_1974:
	s_andn2_b64 vcc, exec, s[0:1]
	s_cbranch_vccnz .LBB331_1985
; %bb.1975:
	s_cmp_lt_i32 s4, 6
	s_cbranch_scc1 .LBB331_1978
; %bb.1976:
	s_cmp_gt_i32 s4, 6
	s_cbranch_scc0 .LBB331_1979
; %bb.1977:
	global_load_dwordx2 v[6:7], v[4:5], off
	s_mov_b64 s[0:1], 0
	s_waitcnt vmcnt(0)
	v_cvt_u32_f64_e32 v6, v[6:7]
	s_branch .LBB331_1980
.LBB331_1978:
	s_mov_b64 s[0:1], -1
                                        ; implicit-def: $vgpr6
	s_branch .LBB331_1983
.LBB331_1979:
	s_mov_b64 s[0:1], -1
                                        ; implicit-def: $vgpr6
.LBB331_1980:
	s_andn2_b64 vcc, exec, s[0:1]
	s_cbranch_vccnz .LBB331_1982
; %bb.1981:
	global_load_dword v6, v[4:5], off
	s_waitcnt vmcnt(0)
	v_cvt_u32_f32_e32 v6, v6
.LBB331_1982:
	s_mov_b64 s[0:1], 0
.LBB331_1983:
	s_andn2_b64 vcc, exec, s[0:1]
	s_cbranch_vccnz .LBB331_1985
; %bb.1984:
	global_load_ushort v6, v[4:5], off
	s_waitcnt vmcnt(0)
	v_cvt_u16_f16_e32 v6, v6
.LBB331_1985:
	s_mov_b64 s[0:1], 0
.LBB331_1986:
	s_andn2_b64 vcc, exec, s[0:1]
	s_cbranch_vccnz .LBB331_2006
; %bb.1987:
	s_cmp_lt_i32 s4, 2
	s_cbranch_scc1 .LBB331_1991
; %bb.1988:
	s_cmp_lt_i32 s4, 3
	s_cbranch_scc1 .LBB331_1992
; %bb.1989:
	s_cmp_gt_i32 s4, 3
	s_cbranch_scc0 .LBB331_1993
; %bb.1990:
	global_load_dwordx2 v[6:7], v[4:5], off
	s_mov_b64 s[0:1], 0
	s_branch .LBB331_1994
.LBB331_1991:
	s_mov_b64 s[0:1], -1
                                        ; implicit-def: $vgpr6
	s_branch .LBB331_2000
.LBB331_1992:
	s_mov_b64 s[0:1], -1
                                        ; implicit-def: $vgpr6
	s_branch .LBB331_1997
.LBB331_1993:
	s_mov_b64 s[0:1], -1
                                        ; implicit-def: $vgpr6
.LBB331_1994:
	s_andn2_b64 vcc, exec, s[0:1]
	s_cbranch_vccnz .LBB331_1996
; %bb.1995:
	global_load_dword v6, v[4:5], off
.LBB331_1996:
	s_mov_b64 s[0:1], 0
.LBB331_1997:
	s_andn2_b64 vcc, exec, s[0:1]
	s_cbranch_vccnz .LBB331_1999
; %bb.1998:
	global_load_ushort v6, v[4:5], off
.LBB331_1999:
	s_mov_b64 s[0:1], 0
.LBB331_2000:
	s_andn2_b64 vcc, exec, s[0:1]
	s_cbranch_vccnz .LBB331_2006
; %bb.2001:
	s_cmp_gt_i32 s4, 0
	s_cbranch_scc0 .LBB331_2003
; %bb.2002:
	global_load_sbyte v6, v[4:5], off
	s_mov_b64 s[0:1], 0
	s_branch .LBB331_2004
.LBB331_2003:
	s_mov_b64 s[0:1], -1
                                        ; implicit-def: $vgpr6
.LBB331_2004:
	s_andn2_b64 vcc, exec, s[0:1]
	s_cbranch_vccnz .LBB331_2006
; %bb.2005:
	global_load_ubyte v6, v[4:5], off
.LBB331_2006:
	s_mov_b64 s[20:21], -1
.LBB331_2007:
	s_andn2_b64 vcc, exec, s[20:21]
	s_cbranch_vccnz .LBB331_2947
; %bb.2008:
	v_add_u32_e32 v11, s13, v8
	v_ashrrev_i32_e32 v4, 31, v11
	v_mov_b32_e32 v5, s11
	s_waitcnt vmcnt(0)
	v_add_co_u32_e32 v7, vcc, s10, v11
	s_cmp_lt_i32 s24, 11
	v_addc_co_u32_e32 v8, vcc, v5, v4, vcc
	s_cbranch_scc1 .LBB331_2015
; %bb.2009:
	s_and_b32 s26, 0xffff, s24
	s_cmp_gt_i32 s26, 25
	s_mov_b64 s[4:5], 0
	s_cbranch_scc0 .LBB331_2016
; %bb.2010:
	s_cmp_gt_i32 s26, 28
	s_cbranch_scc0 .LBB331_2017
; %bb.2011:
	s_cmp_gt_i32 s26, 43
	;; [unrolled: 3-line block ×3, first 2 shown]
	s_cbranch_scc0 .LBB331_2020
; %bb.2013:
	s_cmp_eq_u32 s26, 46
	s_mov_b64 s[22:23], 0
	s_cbranch_scc0 .LBB331_2021
; %bb.2014:
	global_load_dword v4, v[7:8], off
	s_mov_b64 s[0:1], 0
	s_mov_b64 s[20:21], -1
	s_waitcnt vmcnt(0)
	v_lshlrev_b32_e32 v4, 16, v4
	v_cvt_u32_f32_e32 v4, v4
	s_branch .LBB331_2022
.LBB331_2015:
	s_mov_b64 s[0:1], -1
	s_mov_b64 s[20:21], 0
                                        ; implicit-def: $vgpr4
	s_branch .LBB331_2084
.LBB331_2016:
	s_mov_b64 s[22:23], -1
	s_mov_b64 s[20:21], 0
	s_mov_b64 s[0:1], 0
                                        ; implicit-def: $vgpr4
	s_branch .LBB331_2049
.LBB331_2017:
	s_mov_b64 s[22:23], -1
	s_mov_b64 s[20:21], 0
	s_mov_b64 s[0:1], 0
                                        ; implicit-def: $vgpr4
	s_branch .LBB331_2032
.LBB331_2018:
	s_mov_b64 s[22:23], -1
	s_mov_b64 s[20:21], 0
	s_mov_b64 s[0:1], 0
                                        ; implicit-def: $vgpr4
	s_branch .LBB331_2027
.LBB331_2019:
	s_trap 2
	s_or_b64 s[18:19], s[18:19], exec
	s_cbranch_execz .LBB331_1956
	s_branch .LBB331_1957
.LBB331_2020:
	s_mov_b64 s[22:23], -1
	s_mov_b64 s[20:21], 0
	s_mov_b64 s[0:1], 0
                                        ; implicit-def: $vgpr4
	s_branch .LBB331_2022
.LBB331_2021:
	s_mov_b64 s[0:1], -1
                                        ; implicit-def: $vgpr4
	s_mov_b64 s[20:21], 0
.LBB331_2022:
	s_and_b64 vcc, exec, s[22:23]
	s_cbranch_vccz .LBB331_2026
; %bb.2023:
	s_cmp_eq_u32 s26, 44
	s_cbranch_scc0 .LBB331_2025
; %bb.2024:
	global_load_ubyte v4, v[7:8], off
	s_mov_b64 s[0:1], 0
	s_mov_b64 s[20:21], -1
	s_waitcnt vmcnt(0)
	v_lshlrev_b32_e32 v5, 23, v4
	v_cvt_u32_f32_e32 v5, v5
	v_cmp_ne_u32_e32 vcc, 0, v4
	v_cndmask_b32_e32 v4, 0, v5, vcc
	s_branch .LBB331_2026
.LBB331_2025:
	s_mov_b64 s[0:1], -1
                                        ; implicit-def: $vgpr4
.LBB331_2026:
	s_mov_b64 s[22:23], 0
.LBB331_2027:
	s_and_b64 vcc, exec, s[22:23]
	s_cbranch_vccz .LBB331_2031
; %bb.2028:
	s_cmp_eq_u32 s26, 29
	s_cbranch_scc0 .LBB331_2030
; %bb.2029:
	global_load_dwordx2 v[4:5], v[7:8], off
	s_mov_b64 s[0:1], 0
	s_mov_b64 s[20:21], -1
	s_branch .LBB331_2031
.LBB331_2030:
	s_mov_b64 s[0:1], -1
                                        ; implicit-def: $vgpr4
.LBB331_2031:
	s_mov_b64 s[22:23], 0
.LBB331_2032:
	s_and_b64 vcc, exec, s[22:23]
	s_cbranch_vccz .LBB331_2048
; %bb.2033:
	s_cmp_lt_i32 s26, 27
	s_cbranch_scc1 .LBB331_2036
; %bb.2034:
	s_cmp_gt_i32 s26, 27
	s_cbranch_scc0 .LBB331_2037
; %bb.2035:
	global_load_dword v4, v[7:8], off
	s_mov_b64 s[20:21], 0
	s_branch .LBB331_2038
.LBB331_2036:
	s_mov_b64 s[20:21], -1
                                        ; implicit-def: $vgpr4
	s_branch .LBB331_2041
.LBB331_2037:
	s_mov_b64 s[20:21], -1
                                        ; implicit-def: $vgpr4
.LBB331_2038:
	s_andn2_b64 vcc, exec, s[20:21]
	s_cbranch_vccnz .LBB331_2040
; %bb.2039:
	global_load_ushort v4, v[7:8], off
.LBB331_2040:
	s_mov_b64 s[20:21], 0
.LBB331_2041:
	s_andn2_b64 vcc, exec, s[20:21]
	s_cbranch_vccnz .LBB331_2047
; %bb.2042:
	global_load_ubyte v5, v[7:8], off
	s_movk_i32 s20, 0x7f
	s_mov_b64 s[22:23], 0
	s_waitcnt vmcnt(0)
	v_cmp_lt_i16_e32 vcc, s20, v5
	s_and_saveexec_b64 s[20:21], vcc
	s_xor_b64 s[20:21], exec, s[20:21]
	s_cbranch_execz .LBB331_2059
; %bb.2043:
	s_movk_i32 s22, 0x80
	v_cmp_ne_u16_e32 vcc, s22, v5
	s_and_b64 s[22:23], vcc, exec
	s_andn2_saveexec_b64 s[20:21], s[20:21]
	s_cbranch_execnz .LBB331_2060
.LBB331_2044:
	s_or_b64 exec, exec, s[20:21]
	v_mov_b32_e32 v4, 0
	s_and_saveexec_b64 s[20:21], s[22:23]
	s_cbranch_execz .LBB331_2046
.LBB331_2045:
	v_lshlrev_b32_e32 v4, 24, v5
	v_and_b32_e32 v5, 0xffff, v5
	v_and_b32_e32 v9, 7, v5
	v_ffbh_u32_e32 v12, v9
	v_min_u32_e32 v12, 32, v12
	v_subrev_u32_e32 v13, 28, v12
	v_bfe_u32 v10, v5, 3, 4
	v_lshlrev_b32_e32 v5, v13, v5
	v_sub_u32_e32 v12, 29, v12
	v_and_b32_e32 v5, 7, v5
	v_cmp_eq_u32_e32 vcc, 0, v10
	v_cndmask_b32_e32 v10, v10, v12, vcc
	v_cndmask_b32_e32 v5, v9, v5, vcc
	v_mov_b32_e32 v9, 0x3b800000
	v_lshlrev_b32_e32 v5, 20, v5
	v_and_b32_e32 v4, 0x80000000, v4
	v_lshl_add_u32 v9, v10, 23, v9
	v_or3_b32 v4, v4, v9, v5
	v_cvt_u32_f32_e32 v4, v4
.LBB331_2046:
	s_or_b64 exec, exec, s[20:21]
.LBB331_2047:
	s_mov_b64 s[20:21], -1
.LBB331_2048:
	s_mov_b64 s[22:23], 0
.LBB331_2049:
	s_and_b64 vcc, exec, s[22:23]
	s_cbranch_vccz .LBB331_2080
; %bb.2050:
	s_cmp_gt_i32 s26, 22
	s_cbranch_scc0 .LBB331_2058
; %bb.2051:
	s_cmp_lt_i32 s26, 24
	s_cbranch_scc1 .LBB331_2061
; %bb.2052:
	s_cmp_gt_i32 s26, 24
	s_cbranch_scc0 .LBB331_2062
; %bb.2053:
	global_load_ubyte v5, v[7:8], off
	s_movk_i32 s4, 0x7f
	s_mov_b64 s[20:21], 0
	s_waitcnt vmcnt(0)
	v_cmp_lt_i16_e32 vcc, s4, v5
	s_and_saveexec_b64 s[4:5], vcc
	s_xor_b64 s[4:5], exec, s[4:5]
	s_cbranch_execz .LBB331_2074
; %bb.2054:
	s_movk_i32 s20, 0x80
	v_cmp_ne_u16_e32 vcc, s20, v5
	s_and_b64 s[20:21], vcc, exec
	s_andn2_saveexec_b64 s[4:5], s[4:5]
	s_cbranch_execnz .LBB331_2075
.LBB331_2055:
	s_or_b64 exec, exec, s[4:5]
	v_mov_b32_e32 v4, 0
	s_and_saveexec_b64 s[4:5], s[20:21]
	s_cbranch_execz .LBB331_2057
.LBB331_2056:
	v_lshlrev_b32_e32 v4, 24, v5
	v_and_b32_e32 v5, 0xffff, v5
	v_and_b32_e32 v9, 3, v5
	v_ffbh_u32_e32 v12, v9
	v_min_u32_e32 v12, 32, v12
	v_subrev_u32_e32 v13, 29, v12
	v_bfe_u32 v10, v5, 2, 5
	v_lshlrev_b32_e32 v5, v13, v5
	v_sub_u32_e32 v12, 30, v12
	v_and_b32_e32 v5, 3, v5
	v_cmp_eq_u32_e32 vcc, 0, v10
	v_cndmask_b32_e32 v10, v10, v12, vcc
	v_cndmask_b32_e32 v5, v9, v5, vcc
	v_mov_b32_e32 v9, 0x37800000
	v_lshlrev_b32_e32 v5, 21, v5
	v_and_b32_e32 v4, 0x80000000, v4
	v_lshl_add_u32 v9, v10, 23, v9
	v_or3_b32 v4, v4, v9, v5
	v_cvt_u32_f32_e32 v4, v4
.LBB331_2057:
	s_or_b64 exec, exec, s[4:5]
	s_mov_b64 s[4:5], 0
	s_branch .LBB331_2063
.LBB331_2058:
	s_mov_b64 s[4:5], -1
                                        ; implicit-def: $vgpr4
	s_branch .LBB331_2069
.LBB331_2059:
	s_andn2_saveexec_b64 s[20:21], s[20:21]
	s_cbranch_execz .LBB331_2044
.LBB331_2060:
	v_cmp_ne_u16_e32 vcc, 0, v5
	s_andn2_b64 s[22:23], s[22:23], exec
	s_and_b64 s[28:29], vcc, exec
	s_or_b64 s[22:23], s[22:23], s[28:29]
	s_or_b64 exec, exec, s[20:21]
	v_mov_b32_e32 v4, 0
	s_and_saveexec_b64 s[20:21], s[22:23]
	s_cbranch_execnz .LBB331_2045
	s_branch .LBB331_2046
.LBB331_2061:
	s_mov_b64 s[4:5], -1
                                        ; implicit-def: $vgpr4
	s_branch .LBB331_2066
.LBB331_2062:
	s_mov_b64 s[4:5], -1
                                        ; implicit-def: $vgpr4
.LBB331_2063:
	s_and_b64 vcc, exec, s[4:5]
	s_cbranch_vccz .LBB331_2065
; %bb.2064:
	global_load_ubyte v4, v[7:8], off
	s_mov_b32 s4, 0x7f800000
	s_waitcnt vmcnt(0)
	v_lshlrev_b32_e32 v4, 24, v4
	v_and_b32_e32 v5, 0x7f000000, v4
	v_ffbh_u32_e32 v9, v5
	v_min_u32_e32 v9, 32, v9
	v_sub_u32_e64 v9, v9, 4 clamp
	v_lshlrev_b32_e32 v12, v9, v5
	v_lshlrev_b32_e32 v9, 23, v9
	v_lshrrev_b32_e32 v12, 4, v12
	v_add_u32_e32 v10, 0x1000000, v5
	v_sub_u32_e32 v9, v12, v9
	v_ashrrev_i32_e32 v10, 8, v10
	v_add_u32_e32 v9, 0x3c000000, v9
	v_and_or_b32 v9, v10, s4, v9
	v_cmp_ne_u32_e32 vcc, 0, v5
	v_cndmask_b32_e32 v5, 0, v9, vcc
	s_brev_b32 s4, 1
	v_and_or_b32 v4, v4, s4, v5
	v_cvt_u32_f32_e32 v4, v4
.LBB331_2065:
	s_mov_b64 s[4:5], 0
.LBB331_2066:
	s_andn2_b64 vcc, exec, s[4:5]
	s_cbranch_vccnz .LBB331_2068
; %bb.2067:
	global_load_ubyte v4, v[7:8], off
	s_movk_i32 s4, 0x7f00
	s_brev_b32 s5, 16
	s_waitcnt vmcnt(0)
	v_lshlrev_b16_e32 v5, 8, v4
	v_lshlrev_b32_e32 v4, 25, v4
	v_lshrrev_b32_e32 v9, 4, v4
	v_and_or_b32 v10, v5, s4, 0.5
	v_or_b32_e32 v9, 0x70000000, v9
	v_add_f32_e32 v10, -0.5, v10
	v_mul_f32_e32 v9, 0x7800000, v9
	v_cmp_gt_u32_e32 vcc, s5, v4
	v_bfe_i32 v5, v5, 0, 16
	v_cndmask_b32_e32 v4, v9, v10, vcc
	s_brev_b32 s4, 1
	v_and_or_b32 v4, v5, s4, v4
	v_cvt_u32_f32_e32 v4, v4
.LBB331_2068:
	s_mov_b64 s[4:5], 0
	s_mov_b64 s[20:21], -1
.LBB331_2069:
	s_andn2_b64 vcc, exec, s[4:5]
	s_mov_b64 s[4:5], 0
	s_cbranch_vccnz .LBB331_2080
; %bb.2070:
	s_cmp_gt_i32 s26, 14
	s_cbranch_scc0 .LBB331_2073
; %bb.2071:
	s_cmp_eq_u32 s26, 15
	s_cbranch_scc0 .LBB331_2076
; %bb.2072:
	global_load_ushort v4, v[7:8], off
	s_mov_b64 s[0:1], 0
	s_mov_b64 s[20:21], -1
	s_waitcnt vmcnt(0)
	v_lshlrev_b32_e32 v4, 16, v4
	v_cvt_u32_f32_e32 v4, v4
	s_branch .LBB331_2077
.LBB331_2073:
	s_mov_b64 s[22:23], -1
                                        ; implicit-def: $vgpr4
	s_branch .LBB331_2078
.LBB331_2074:
	s_andn2_saveexec_b64 s[4:5], s[4:5]
	s_cbranch_execz .LBB331_2055
.LBB331_2075:
	v_cmp_ne_u16_e32 vcc, 0, v5
	s_andn2_b64 s[20:21], s[20:21], exec
	s_and_b64 s[22:23], vcc, exec
	s_or_b64 s[20:21], s[20:21], s[22:23]
	s_or_b64 exec, exec, s[4:5]
	v_mov_b32_e32 v4, 0
	s_and_saveexec_b64 s[4:5], s[20:21]
	s_cbranch_execnz .LBB331_2056
	s_branch .LBB331_2057
.LBB331_2076:
	s_mov_b64 s[0:1], -1
                                        ; implicit-def: $vgpr4
.LBB331_2077:
	s_mov_b64 s[22:23], 0
.LBB331_2078:
	s_and_b64 vcc, exec, s[22:23]
	s_cbranch_vccz .LBB331_2080
; %bb.2079:
	s_cmp_lg_u32 s26, 11
	s_mov_b64 s[4:5], -1
	s_cselect_b64 s[0:1], -1, 0
.LBB331_2080:
	s_and_b64 vcc, exec, s[0:1]
	s_cbranch_vccnz .LBB331_2145
; %bb.2081:
	s_andn2_b64 vcc, exec, s[4:5]
	s_cbranch_vccnz .LBB331_2083
.LBB331_2082:
	global_load_ubyte v4, v[7:8], off
	s_mov_b64 s[20:21], -1
	s_waitcnt vmcnt(0)
	v_cmp_ne_u16_e32 vcc, 0, v4
	v_cndmask_b32_e64 v4, 0, 1, vcc
.LBB331_2083:
	s_mov_b64 s[0:1], 0
.LBB331_2084:
	s_and_b64 vcc, exec, s[0:1]
	s_cbranch_vccz .LBB331_2133
; %bb.2085:
	s_and_b32 s4, 0xffff, s24
	s_cmp_lt_i32 s4, 5
	s_cbranch_scc1 .LBB331_2090
; %bb.2086:
	s_cmp_lt_i32 s4, 8
	s_cbranch_scc1 .LBB331_2091
; %bb.2087:
	;; [unrolled: 3-line block ×3, first 2 shown]
	s_cmp_gt_i32 s4, 9
	s_cbranch_scc0 .LBB331_2093
; %bb.2089:
	global_load_dwordx2 v[4:5], v[7:8], off
	s_mov_b64 s[0:1], 0
	s_waitcnt vmcnt(0)
	v_cvt_u32_f64_e32 v4, v[4:5]
	s_branch .LBB331_2094
.LBB331_2090:
	s_mov_b64 s[0:1], -1
                                        ; implicit-def: $vgpr4
	s_branch .LBB331_2112
.LBB331_2091:
	s_mov_b64 s[0:1], -1
                                        ; implicit-def: $vgpr4
	s_branch .LBB331_2100
.LBB331_2092:
	s_mov_b64 s[0:1], -1
                                        ; implicit-def: $vgpr4
	s_branch .LBB331_2097
.LBB331_2093:
	s_mov_b64 s[0:1], -1
                                        ; implicit-def: $vgpr4
.LBB331_2094:
	s_andn2_b64 vcc, exec, s[0:1]
	s_cbranch_vccnz .LBB331_2096
; %bb.2095:
	global_load_dword v4, v[7:8], off
	s_waitcnt vmcnt(0)
	v_cvt_u32_f32_e32 v4, v4
.LBB331_2096:
	s_mov_b64 s[0:1], 0
.LBB331_2097:
	s_andn2_b64 vcc, exec, s[0:1]
	s_cbranch_vccnz .LBB331_2099
; %bb.2098:
	global_load_dword v4, v[7:8], off
	s_waitcnt vmcnt(0)
	v_cvt_u16_f16_e32 v4, v4
.LBB331_2099:
	s_mov_b64 s[0:1], 0
.LBB331_2100:
	s_andn2_b64 vcc, exec, s[0:1]
	s_cbranch_vccnz .LBB331_2111
; %bb.2101:
	s_cmp_lt_i32 s4, 6
	s_cbranch_scc1 .LBB331_2104
; %bb.2102:
	s_cmp_gt_i32 s4, 6
	s_cbranch_scc0 .LBB331_2105
; %bb.2103:
	global_load_dwordx2 v[4:5], v[7:8], off
	s_mov_b64 s[0:1], 0
	s_waitcnt vmcnt(0)
	v_cvt_u32_f64_e32 v4, v[4:5]
	s_branch .LBB331_2106
.LBB331_2104:
	s_mov_b64 s[0:1], -1
                                        ; implicit-def: $vgpr4
	s_branch .LBB331_2109
.LBB331_2105:
	s_mov_b64 s[0:1], -1
                                        ; implicit-def: $vgpr4
.LBB331_2106:
	s_andn2_b64 vcc, exec, s[0:1]
	s_cbranch_vccnz .LBB331_2108
; %bb.2107:
	global_load_dword v4, v[7:8], off
	s_waitcnt vmcnt(0)
	v_cvt_u32_f32_e32 v4, v4
.LBB331_2108:
	s_mov_b64 s[0:1], 0
.LBB331_2109:
	s_andn2_b64 vcc, exec, s[0:1]
	s_cbranch_vccnz .LBB331_2111
; %bb.2110:
	global_load_ushort v4, v[7:8], off
	s_waitcnt vmcnt(0)
	v_cvt_u16_f16_e32 v4, v4
.LBB331_2111:
	s_mov_b64 s[0:1], 0
.LBB331_2112:
	s_andn2_b64 vcc, exec, s[0:1]
	s_cbranch_vccnz .LBB331_2132
; %bb.2113:
	s_cmp_lt_i32 s4, 2
	s_cbranch_scc1 .LBB331_2117
; %bb.2114:
	s_cmp_lt_i32 s4, 3
	s_cbranch_scc1 .LBB331_2118
; %bb.2115:
	s_cmp_gt_i32 s4, 3
	s_cbranch_scc0 .LBB331_2119
; %bb.2116:
	global_load_dwordx2 v[4:5], v[7:8], off
	s_mov_b64 s[0:1], 0
	s_branch .LBB331_2120
.LBB331_2117:
	s_mov_b64 s[0:1], -1
                                        ; implicit-def: $vgpr4
	s_branch .LBB331_2126
.LBB331_2118:
	s_mov_b64 s[0:1], -1
                                        ; implicit-def: $vgpr4
	s_branch .LBB331_2123
.LBB331_2119:
	s_mov_b64 s[0:1], -1
                                        ; implicit-def: $vgpr4
.LBB331_2120:
	s_andn2_b64 vcc, exec, s[0:1]
	s_cbranch_vccnz .LBB331_2122
; %bb.2121:
	global_load_dword v4, v[7:8], off
.LBB331_2122:
	s_mov_b64 s[0:1], 0
.LBB331_2123:
	s_andn2_b64 vcc, exec, s[0:1]
	s_cbranch_vccnz .LBB331_2125
; %bb.2124:
	global_load_ushort v4, v[7:8], off
.LBB331_2125:
	s_mov_b64 s[0:1], 0
.LBB331_2126:
	s_andn2_b64 vcc, exec, s[0:1]
	s_cbranch_vccnz .LBB331_2132
; %bb.2127:
	s_cmp_gt_i32 s4, 0
	s_cbranch_scc0 .LBB331_2129
; %bb.2128:
	global_load_sbyte v4, v[7:8], off
	s_mov_b64 s[0:1], 0
	s_branch .LBB331_2130
.LBB331_2129:
	s_mov_b64 s[0:1], -1
                                        ; implicit-def: $vgpr4
.LBB331_2130:
	s_andn2_b64 vcc, exec, s[0:1]
	s_cbranch_vccnz .LBB331_2132
; %bb.2131:
	global_load_ubyte v4, v[7:8], off
.LBB331_2132:
	s_mov_b64 s[20:21], -1
.LBB331_2133:
	s_andn2_b64 vcc, exec, s[20:21]
	s_cbranch_vccnz .LBB331_2947
; %bb.2134:
	v_add_u32_e32 v2, s14, v2
	s_waitcnt vmcnt(0)
	v_ashrrev_i32_e32 v5, 31, v2
	v_mov_b32_e32 v8, s3
	v_add_co_u32_e32 v7, vcc, s2, v2
	s_cmp_lt_i32 s25, 11
	v_addc_co_u32_e32 v8, vcc, v8, v5, vcc
	s_cbranch_scc1 .LBB331_2141
; %bb.2135:
	s_and_b32 s26, 0xffff, s25
	s_cmp_gt_i32 s26, 25
	s_mov_b64 s[4:5], 0
	s_cbranch_scc0 .LBB331_2142
; %bb.2136:
	s_cmp_gt_i32 s26, 28
	s_cbranch_scc0 .LBB331_2143
; %bb.2137:
	s_cmp_gt_i32 s26, 43
	;; [unrolled: 3-line block ×3, first 2 shown]
	s_cbranch_scc0 .LBB331_2146
; %bb.2139:
	s_cmp_eq_u32 s26, 46
	s_mov_b64 s[22:23], 0
	s_cbranch_scc0 .LBB331_2149
; %bb.2140:
	global_load_dword v5, v[7:8], off
	s_mov_b64 s[0:1], 0
	s_mov_b64 s[20:21], -1
	s_waitcnt vmcnt(0)
	v_lshlrev_b32_e32 v5, 16, v5
	v_cvt_u32_f32_e32 v9, v5
	s_branch .LBB331_2150
.LBB331_2141:
	s_mov_b64 s[0:1], -1
	s_mov_b64 s[20:21], 0
                                        ; implicit-def: $vgpr9
	s_branch .LBB331_2212
.LBB331_2142:
	s_mov_b64 s[22:23], -1
	s_mov_b64 s[20:21], 0
	s_mov_b64 s[0:1], 0
                                        ; implicit-def: $vgpr9
	s_branch .LBB331_2177
.LBB331_2143:
	s_mov_b64 s[22:23], -1
	s_mov_b64 s[20:21], 0
	s_mov_b64 s[0:1], 0
                                        ; implicit-def: $vgpr9
	s_branch .LBB331_2160
.LBB331_2144:
	s_mov_b64 s[22:23], -1
	s_mov_b64 s[20:21], 0
	s_mov_b64 s[0:1], 0
                                        ; implicit-def: $vgpr9
	s_branch .LBB331_2155
.LBB331_2145:
	s_trap 2
	s_or_b64 s[18:19], s[18:19], exec
	s_cbranch_execz .LBB331_2082
	s_branch .LBB331_2083
.LBB331_2146:
	s_mov_b64 s[22:23], -1
	s_mov_b64 s[20:21], 0
	s_mov_b64 s[0:1], 0
                                        ; implicit-def: $vgpr9
	s_branch .LBB331_2150
.LBB331_2147:
	s_andn2_saveexec_b64 s[48:49], s[48:49]
	s_cbranch_execz .LBB331_1061
.LBB331_2148:
	v_add_f32_e32 v2, 0x42800000, v3
	v_and_b32_e32 v2, 0xff, v2
	v_cmp_ne_u32_e32 vcc, 0, v2
	s_andn2_b64 s[46:47], s[46:47], exec
	s_and_b64 s[54:55], vcc, exec
	s_or_b64 s[46:47], s[46:47], s[54:55]
	s_or_b64 exec, exec, s[48:49]
	v_mov_b32_e32 v4, 0
	s_and_saveexec_b64 s[48:49], s[46:47]
	s_cbranch_execnz .LBB331_1062
	s_branch .LBB331_1063
.LBB331_2149:
	s_mov_b64 s[0:1], -1
                                        ; implicit-def: $vgpr9
	s_mov_b64 s[20:21], 0
.LBB331_2150:
	s_and_b64 vcc, exec, s[22:23]
	s_cbranch_vccz .LBB331_2154
; %bb.2151:
	s_cmp_eq_u32 s26, 44
	s_cbranch_scc0 .LBB331_2153
; %bb.2152:
	global_load_ubyte v5, v[7:8], off
	s_mov_b64 s[0:1], 0
	s_mov_b64 s[20:21], -1
	s_waitcnt vmcnt(0)
	v_lshlrev_b32_e32 v9, 23, v5
	v_cvt_u32_f32_e32 v9, v9
	v_cmp_ne_u32_e32 vcc, 0, v5
	v_cndmask_b32_e32 v9, 0, v9, vcc
	s_branch .LBB331_2154
.LBB331_2153:
	s_mov_b64 s[0:1], -1
                                        ; implicit-def: $vgpr9
.LBB331_2154:
	s_mov_b64 s[22:23], 0
.LBB331_2155:
	s_and_b64 vcc, exec, s[22:23]
	s_cbranch_vccz .LBB331_2159
; %bb.2156:
	s_cmp_eq_u32 s26, 29
	s_cbranch_scc0 .LBB331_2158
; %bb.2157:
	global_load_dwordx2 v[9:10], v[7:8], off
	s_mov_b64 s[0:1], 0
	s_mov_b64 s[20:21], -1
	s_branch .LBB331_2159
.LBB331_2158:
	s_mov_b64 s[0:1], -1
                                        ; implicit-def: $vgpr9
.LBB331_2159:
	s_mov_b64 s[22:23], 0
.LBB331_2160:
	s_and_b64 vcc, exec, s[22:23]
	s_cbranch_vccz .LBB331_2176
; %bb.2161:
	s_cmp_lt_i32 s26, 27
	s_cbranch_scc1 .LBB331_2164
; %bb.2162:
	s_cmp_gt_i32 s26, 27
	s_cbranch_scc0 .LBB331_2165
; %bb.2163:
	global_load_dword v9, v[7:8], off
	s_mov_b64 s[20:21], 0
	s_branch .LBB331_2166
.LBB331_2164:
	s_mov_b64 s[20:21], -1
                                        ; implicit-def: $vgpr9
	s_branch .LBB331_2169
.LBB331_2165:
	s_mov_b64 s[20:21], -1
                                        ; implicit-def: $vgpr9
.LBB331_2166:
	s_andn2_b64 vcc, exec, s[20:21]
	s_cbranch_vccnz .LBB331_2168
; %bb.2167:
	global_load_ushort v9, v[7:8], off
.LBB331_2168:
	s_mov_b64 s[20:21], 0
.LBB331_2169:
	s_andn2_b64 vcc, exec, s[20:21]
	s_cbranch_vccnz .LBB331_2175
; %bb.2170:
	global_load_ubyte v5, v[7:8], off
	s_movk_i32 s20, 0x7f
	s_mov_b64 s[22:23], 0
	s_waitcnt vmcnt(0)
	v_cmp_lt_i16_e32 vcc, s20, v5
	s_and_saveexec_b64 s[20:21], vcc
	s_xor_b64 s[20:21], exec, s[20:21]
	s_cbranch_execz .LBB331_2187
; %bb.2171:
	s_movk_i32 s22, 0x80
	v_cmp_ne_u16_e32 vcc, s22, v5
	s_and_b64 s[22:23], vcc, exec
	s_andn2_saveexec_b64 s[20:21], s[20:21]
	s_cbranch_execnz .LBB331_2188
.LBB331_2172:
	s_or_b64 exec, exec, s[20:21]
	v_mov_b32_e32 v9, 0
	s_and_saveexec_b64 s[20:21], s[22:23]
	s_cbranch_execz .LBB331_2174
.LBB331_2173:
	v_lshlrev_b32_e32 v9, 24, v5
	v_and_b32_e32 v5, 0xffff, v5
	v_and_b32_e32 v10, 7, v5
	v_ffbh_u32_e32 v13, v10
	v_min_u32_e32 v13, 32, v13
	v_subrev_u32_e32 v15, 28, v13
	v_bfe_u32 v12, v5, 3, 4
	v_lshlrev_b32_e32 v5, v15, v5
	v_sub_u32_e32 v13, 29, v13
	v_and_b32_e32 v5, 7, v5
	v_cmp_eq_u32_e32 vcc, 0, v12
	v_cndmask_b32_e32 v12, v12, v13, vcc
	v_cndmask_b32_e32 v5, v10, v5, vcc
	v_mov_b32_e32 v10, 0x3b800000
	v_lshlrev_b32_e32 v5, 20, v5
	v_and_b32_e32 v9, 0x80000000, v9
	v_lshl_add_u32 v10, v12, 23, v10
	v_or3_b32 v5, v9, v10, v5
	v_cvt_u32_f32_e32 v9, v5
.LBB331_2174:
	s_or_b64 exec, exec, s[20:21]
.LBB331_2175:
	s_mov_b64 s[20:21], -1
.LBB331_2176:
	s_mov_b64 s[22:23], 0
.LBB331_2177:
	s_and_b64 vcc, exec, s[22:23]
	s_cbranch_vccz .LBB331_2208
; %bb.2178:
	s_cmp_gt_i32 s26, 22
	s_cbranch_scc0 .LBB331_2186
; %bb.2179:
	s_cmp_lt_i32 s26, 24
	s_cbranch_scc1 .LBB331_2189
; %bb.2180:
	s_cmp_gt_i32 s26, 24
	s_cbranch_scc0 .LBB331_2190
; %bb.2181:
	global_load_ubyte v5, v[7:8], off
	s_movk_i32 s4, 0x7f
	s_mov_b64 s[20:21], 0
	s_waitcnt vmcnt(0)
	v_cmp_lt_i16_e32 vcc, s4, v5
	s_and_saveexec_b64 s[4:5], vcc
	s_xor_b64 s[4:5], exec, s[4:5]
	s_cbranch_execz .LBB331_2202
; %bb.2182:
	s_movk_i32 s20, 0x80
	v_cmp_ne_u16_e32 vcc, s20, v5
	s_and_b64 s[20:21], vcc, exec
	s_andn2_saveexec_b64 s[4:5], s[4:5]
	s_cbranch_execnz .LBB331_2203
.LBB331_2183:
	s_or_b64 exec, exec, s[4:5]
	v_mov_b32_e32 v9, 0
	s_and_saveexec_b64 s[4:5], s[20:21]
	s_cbranch_execz .LBB331_2185
.LBB331_2184:
	v_lshlrev_b32_e32 v9, 24, v5
	v_and_b32_e32 v5, 0xffff, v5
	v_and_b32_e32 v10, 3, v5
	v_ffbh_u32_e32 v13, v10
	v_min_u32_e32 v13, 32, v13
	v_subrev_u32_e32 v15, 29, v13
	v_bfe_u32 v12, v5, 2, 5
	v_lshlrev_b32_e32 v5, v15, v5
	v_sub_u32_e32 v13, 30, v13
	v_and_b32_e32 v5, 3, v5
	v_cmp_eq_u32_e32 vcc, 0, v12
	v_cndmask_b32_e32 v12, v12, v13, vcc
	v_cndmask_b32_e32 v5, v10, v5, vcc
	v_mov_b32_e32 v10, 0x37800000
	v_lshlrev_b32_e32 v5, 21, v5
	v_and_b32_e32 v9, 0x80000000, v9
	v_lshl_add_u32 v10, v12, 23, v10
	v_or3_b32 v5, v9, v10, v5
	v_cvt_u32_f32_e32 v9, v5
.LBB331_2185:
	s_or_b64 exec, exec, s[4:5]
	s_mov_b64 s[4:5], 0
	s_branch .LBB331_2191
.LBB331_2186:
	s_mov_b64 s[4:5], -1
                                        ; implicit-def: $vgpr9
	s_branch .LBB331_2197
.LBB331_2187:
	s_andn2_saveexec_b64 s[20:21], s[20:21]
	s_cbranch_execz .LBB331_2172
.LBB331_2188:
	v_cmp_ne_u16_e32 vcc, 0, v5
	s_andn2_b64 s[22:23], s[22:23], exec
	s_and_b64 s[28:29], vcc, exec
	s_or_b64 s[22:23], s[22:23], s[28:29]
	s_or_b64 exec, exec, s[20:21]
	v_mov_b32_e32 v9, 0
	s_and_saveexec_b64 s[20:21], s[22:23]
	s_cbranch_execnz .LBB331_2173
	s_branch .LBB331_2174
.LBB331_2189:
	s_mov_b64 s[4:5], -1
                                        ; implicit-def: $vgpr9
	s_branch .LBB331_2194
.LBB331_2190:
	s_mov_b64 s[4:5], -1
                                        ; implicit-def: $vgpr9
.LBB331_2191:
	s_and_b64 vcc, exec, s[4:5]
	s_cbranch_vccz .LBB331_2193
; %bb.2192:
	global_load_ubyte v5, v[7:8], off
	s_mov_b32 s4, 0x7f800000
	s_waitcnt vmcnt(0)
	v_lshlrev_b32_e32 v5, 24, v5
	v_and_b32_e32 v9, 0x7f000000, v5
	v_ffbh_u32_e32 v10, v9
	v_min_u32_e32 v10, 32, v10
	v_sub_u32_e64 v10, v10, 4 clamp
	v_lshlrev_b32_e32 v13, v10, v9
	v_lshlrev_b32_e32 v10, 23, v10
	v_lshrrev_b32_e32 v13, 4, v13
	v_add_u32_e32 v12, 0x1000000, v9
	v_sub_u32_e32 v10, v13, v10
	v_ashrrev_i32_e32 v12, 8, v12
	v_add_u32_e32 v10, 0x3c000000, v10
	v_and_or_b32 v10, v12, s4, v10
	v_cmp_ne_u32_e32 vcc, 0, v9
	v_cndmask_b32_e32 v9, 0, v10, vcc
	s_brev_b32 s4, 1
	v_and_or_b32 v5, v5, s4, v9
	v_cvt_u32_f32_e32 v9, v5
.LBB331_2193:
	s_mov_b64 s[4:5], 0
.LBB331_2194:
	s_andn2_b64 vcc, exec, s[4:5]
	s_cbranch_vccnz .LBB331_2196
; %bb.2195:
	global_load_ubyte v5, v[7:8], off
	s_movk_i32 s4, 0x7f00
	s_brev_b32 s5, 16
	s_waitcnt vmcnt(0)
	v_lshlrev_b16_e32 v9, 8, v5
	v_lshlrev_b32_e32 v5, 25, v5
	v_lshrrev_b32_e32 v10, 4, v5
	v_and_or_b32 v12, v9, s4, 0.5
	v_or_b32_e32 v10, 0x70000000, v10
	v_add_f32_e32 v12, -0.5, v12
	v_mul_f32_e32 v10, 0x7800000, v10
	v_cmp_gt_u32_e32 vcc, s5, v5
	v_bfe_i32 v9, v9, 0, 16
	v_cndmask_b32_e32 v5, v10, v12, vcc
	s_brev_b32 s4, 1
	v_and_or_b32 v5, v9, s4, v5
	v_cvt_u32_f32_e32 v9, v5
.LBB331_2196:
	s_mov_b64 s[4:5], 0
	s_mov_b64 s[20:21], -1
.LBB331_2197:
	s_andn2_b64 vcc, exec, s[4:5]
	s_mov_b64 s[4:5], 0
	s_cbranch_vccnz .LBB331_2208
; %bb.2198:
	s_cmp_gt_i32 s26, 14
	s_cbranch_scc0 .LBB331_2201
; %bb.2199:
	s_cmp_eq_u32 s26, 15
	s_cbranch_scc0 .LBB331_2204
; %bb.2200:
	global_load_ushort v5, v[7:8], off
	s_mov_b64 s[0:1], 0
	s_mov_b64 s[20:21], -1
	s_waitcnt vmcnt(0)
	v_lshlrev_b32_e32 v5, 16, v5
	v_cvt_u32_f32_e32 v9, v5
	s_branch .LBB331_2205
.LBB331_2201:
	s_mov_b64 s[22:23], -1
                                        ; implicit-def: $vgpr9
	s_branch .LBB331_2206
.LBB331_2202:
	s_andn2_saveexec_b64 s[4:5], s[4:5]
	s_cbranch_execz .LBB331_2183
.LBB331_2203:
	v_cmp_ne_u16_e32 vcc, 0, v5
	s_andn2_b64 s[20:21], s[20:21], exec
	s_and_b64 s[22:23], vcc, exec
	s_or_b64 s[20:21], s[20:21], s[22:23]
	s_or_b64 exec, exec, s[4:5]
	v_mov_b32_e32 v9, 0
	s_and_saveexec_b64 s[4:5], s[20:21]
	s_cbranch_execnz .LBB331_2184
	s_branch .LBB331_2185
.LBB331_2204:
	s_mov_b64 s[0:1], -1
                                        ; implicit-def: $vgpr9
.LBB331_2205:
	s_mov_b64 s[22:23], 0
.LBB331_2206:
	s_and_b64 vcc, exec, s[22:23]
	s_cbranch_vccz .LBB331_2208
; %bb.2207:
	s_cmp_lg_u32 s26, 11
	s_mov_b64 s[4:5], -1
	s_cselect_b64 s[0:1], -1, 0
.LBB331_2208:
	s_and_b64 vcc, exec, s[0:1]
	s_cbranch_vccnz .LBB331_2273
; %bb.2209:
	s_andn2_b64 vcc, exec, s[4:5]
	s_cbranch_vccnz .LBB331_2211
.LBB331_2210:
	global_load_ubyte v5, v[7:8], off
	s_mov_b64 s[20:21], -1
	s_waitcnt vmcnt(0)
	v_cmp_ne_u16_e32 vcc, 0, v5
	v_cndmask_b32_e64 v9, 0, 1, vcc
.LBB331_2211:
	s_mov_b64 s[0:1], 0
.LBB331_2212:
	s_and_b64 vcc, exec, s[0:1]
	s_cbranch_vccz .LBB331_2261
; %bb.2213:
	s_and_b32 s4, 0xffff, s25
	s_cmp_lt_i32 s4, 5
	s_cbranch_scc1 .LBB331_2218
; %bb.2214:
	s_cmp_lt_i32 s4, 8
	s_cbranch_scc1 .LBB331_2219
; %bb.2215:
	;; [unrolled: 3-line block ×3, first 2 shown]
	s_cmp_gt_i32 s4, 9
	s_cbranch_scc0 .LBB331_2221
; %bb.2217:
	global_load_dwordx2 v[9:10], v[7:8], off
	s_mov_b64 s[0:1], 0
	s_waitcnt vmcnt(0)
	v_cvt_u32_f64_e32 v9, v[9:10]
	s_branch .LBB331_2222
.LBB331_2218:
	s_mov_b64 s[0:1], -1
                                        ; implicit-def: $vgpr9
	s_branch .LBB331_2240
.LBB331_2219:
	s_mov_b64 s[0:1], -1
                                        ; implicit-def: $vgpr9
	s_branch .LBB331_2228
.LBB331_2220:
	s_mov_b64 s[0:1], -1
                                        ; implicit-def: $vgpr9
	s_branch .LBB331_2225
.LBB331_2221:
	s_mov_b64 s[0:1], -1
                                        ; implicit-def: $vgpr9
.LBB331_2222:
	s_andn2_b64 vcc, exec, s[0:1]
	s_cbranch_vccnz .LBB331_2224
; %bb.2223:
	global_load_dword v5, v[7:8], off
	s_waitcnt vmcnt(0)
	v_cvt_u32_f32_e32 v9, v5
.LBB331_2224:
	s_mov_b64 s[0:1], 0
.LBB331_2225:
	s_andn2_b64 vcc, exec, s[0:1]
	s_cbranch_vccnz .LBB331_2227
; %bb.2226:
	global_load_dword v5, v[7:8], off
	s_waitcnt vmcnt(0)
	v_cvt_u16_f16_e32 v9, v5
.LBB331_2227:
	s_mov_b64 s[0:1], 0
.LBB331_2228:
	s_andn2_b64 vcc, exec, s[0:1]
	s_cbranch_vccnz .LBB331_2239
; %bb.2229:
	s_cmp_lt_i32 s4, 6
	s_cbranch_scc1 .LBB331_2232
; %bb.2230:
	s_cmp_gt_i32 s4, 6
	s_cbranch_scc0 .LBB331_2233
; %bb.2231:
	global_load_dwordx2 v[9:10], v[7:8], off
	s_mov_b64 s[0:1], 0
	s_waitcnt vmcnt(0)
	v_cvt_u32_f64_e32 v9, v[9:10]
	s_branch .LBB331_2234
.LBB331_2232:
	s_mov_b64 s[0:1], -1
                                        ; implicit-def: $vgpr9
	s_branch .LBB331_2237
.LBB331_2233:
	s_mov_b64 s[0:1], -1
                                        ; implicit-def: $vgpr9
.LBB331_2234:
	s_andn2_b64 vcc, exec, s[0:1]
	s_cbranch_vccnz .LBB331_2236
; %bb.2235:
	global_load_dword v5, v[7:8], off
	s_waitcnt vmcnt(0)
	v_cvt_u32_f32_e32 v9, v5
.LBB331_2236:
	s_mov_b64 s[0:1], 0
.LBB331_2237:
	s_andn2_b64 vcc, exec, s[0:1]
	s_cbranch_vccnz .LBB331_2239
; %bb.2238:
	global_load_ushort v5, v[7:8], off
	s_waitcnt vmcnt(0)
	v_cvt_u16_f16_e32 v9, v5
.LBB331_2239:
	s_mov_b64 s[0:1], 0
.LBB331_2240:
	s_andn2_b64 vcc, exec, s[0:1]
	s_cbranch_vccnz .LBB331_2260
; %bb.2241:
	s_cmp_lt_i32 s4, 2
	s_cbranch_scc1 .LBB331_2245
; %bb.2242:
	s_cmp_lt_i32 s4, 3
	s_cbranch_scc1 .LBB331_2246
; %bb.2243:
	s_cmp_gt_i32 s4, 3
	s_cbranch_scc0 .LBB331_2247
; %bb.2244:
	global_load_dwordx2 v[9:10], v[7:8], off
	s_mov_b64 s[0:1], 0
	s_branch .LBB331_2248
.LBB331_2245:
	s_mov_b64 s[0:1], -1
                                        ; implicit-def: $vgpr9
	s_branch .LBB331_2254
.LBB331_2246:
	s_mov_b64 s[0:1], -1
                                        ; implicit-def: $vgpr9
	s_branch .LBB331_2251
.LBB331_2247:
	s_mov_b64 s[0:1], -1
                                        ; implicit-def: $vgpr9
.LBB331_2248:
	s_andn2_b64 vcc, exec, s[0:1]
	s_cbranch_vccnz .LBB331_2250
; %bb.2249:
	global_load_dword v9, v[7:8], off
.LBB331_2250:
	s_mov_b64 s[0:1], 0
.LBB331_2251:
	s_andn2_b64 vcc, exec, s[0:1]
	s_cbranch_vccnz .LBB331_2253
; %bb.2252:
	global_load_ushort v9, v[7:8], off
.LBB331_2253:
	s_mov_b64 s[0:1], 0
.LBB331_2254:
	s_andn2_b64 vcc, exec, s[0:1]
	s_cbranch_vccnz .LBB331_2260
; %bb.2255:
	s_cmp_gt_i32 s4, 0
	s_cbranch_scc0 .LBB331_2257
; %bb.2256:
	global_load_sbyte v9, v[7:8], off
	s_mov_b64 s[0:1], 0
	s_branch .LBB331_2258
.LBB331_2257:
	s_mov_b64 s[0:1], -1
                                        ; implicit-def: $vgpr9
.LBB331_2258:
	s_andn2_b64 vcc, exec, s[0:1]
	s_cbranch_vccnz .LBB331_2260
; %bb.2259:
	global_load_ubyte v9, v[7:8], off
.LBB331_2260:
	s_mov_b64 s[20:21], -1
.LBB331_2261:
	s_andn2_b64 vcc, exec, s[20:21]
	s_cbranch_vccnz .LBB331_2947
; %bb.2262:
	v_add_u32_e32 v5, s13, v11
	v_ashrrev_i32_e32 v7, 31, v5
	v_mov_b32_e32 v8, s11
	s_waitcnt vmcnt(0)
	v_add_co_u32_e32 v10, vcc, s10, v5
	s_cmp_lt_i32 s24, 11
	v_addc_co_u32_e32 v11, vcc, v8, v7, vcc
	s_cbranch_scc1 .LBB331_2269
; %bb.2263:
	s_and_b32 s13, 0xffff, s24
	s_cmp_gt_i32 s13, 25
	s_mov_b64 s[4:5], 0
	s_cbranch_scc0 .LBB331_2270
; %bb.2264:
	s_cmp_gt_i32 s13, 28
	s_cbranch_scc0 .LBB331_2271
; %bb.2265:
	s_cmp_gt_i32 s13, 43
	;; [unrolled: 3-line block ×3, first 2 shown]
	s_cbranch_scc0 .LBB331_2274
; %bb.2267:
	s_cmp_eq_u32 s13, 46
	s_mov_b64 s[20:21], 0
	s_cbranch_scc0 .LBB331_2275
; %bb.2268:
	global_load_dword v5, v[10:11], off
	s_mov_b64 s[0:1], 0
	s_mov_b64 s[10:11], -1
	s_waitcnt vmcnt(0)
	v_lshlrev_b32_e32 v5, 16, v5
	v_cvt_u32_f32_e32 v7, v5
	s_branch .LBB331_2276
.LBB331_2269:
	s_mov_b64 s[0:1], -1
	s_mov_b64 s[10:11], 0
                                        ; implicit-def: $vgpr7
	s_branch .LBB331_2338
.LBB331_2270:
	s_mov_b64 s[20:21], -1
	s_mov_b64 s[10:11], 0
	s_mov_b64 s[0:1], 0
                                        ; implicit-def: $vgpr7
	s_branch .LBB331_2303
.LBB331_2271:
	s_mov_b64 s[20:21], -1
	s_mov_b64 s[10:11], 0
	s_mov_b64 s[0:1], 0
                                        ; implicit-def: $vgpr7
	s_branch .LBB331_2286
.LBB331_2272:
	s_mov_b64 s[20:21], -1
	s_mov_b64 s[10:11], 0
	s_mov_b64 s[0:1], 0
                                        ; implicit-def: $vgpr7
	s_branch .LBB331_2281
.LBB331_2273:
	s_trap 2
	s_or_b64 s[18:19], s[18:19], exec
	s_cbranch_execz .LBB331_2210
	s_branch .LBB331_2211
.LBB331_2274:
	s_mov_b64 s[20:21], -1
	s_mov_b64 s[10:11], 0
	s_mov_b64 s[0:1], 0
                                        ; implicit-def: $vgpr7
	s_branch .LBB331_2276
.LBB331_2275:
	s_mov_b64 s[0:1], -1
                                        ; implicit-def: $vgpr7
	s_mov_b64 s[10:11], 0
.LBB331_2276:
	s_and_b64 vcc, exec, s[20:21]
	s_cbranch_vccz .LBB331_2280
; %bb.2277:
	s_cmp_eq_u32 s13, 44
	s_cbranch_scc0 .LBB331_2279
; %bb.2278:
	global_load_ubyte v5, v[10:11], off
	s_mov_b64 s[0:1], 0
	s_mov_b64 s[10:11], -1
	s_waitcnt vmcnt(0)
	v_lshlrev_b32_e32 v7, 23, v5
	v_cvt_u32_f32_e32 v7, v7
	v_cmp_ne_u32_e32 vcc, 0, v5
	v_cndmask_b32_e32 v7, 0, v7, vcc
	s_branch .LBB331_2280
.LBB331_2279:
	s_mov_b64 s[0:1], -1
                                        ; implicit-def: $vgpr7
.LBB331_2280:
	s_mov_b64 s[20:21], 0
.LBB331_2281:
	s_and_b64 vcc, exec, s[20:21]
	s_cbranch_vccz .LBB331_2285
; %bb.2282:
	s_cmp_eq_u32 s13, 29
	s_cbranch_scc0 .LBB331_2284
; %bb.2283:
	global_load_dwordx2 v[7:8], v[10:11], off
	s_mov_b64 s[0:1], 0
	s_mov_b64 s[10:11], -1
	s_branch .LBB331_2285
.LBB331_2284:
	s_mov_b64 s[0:1], -1
                                        ; implicit-def: $vgpr7
.LBB331_2285:
	s_mov_b64 s[20:21], 0
.LBB331_2286:
	s_and_b64 vcc, exec, s[20:21]
	s_cbranch_vccz .LBB331_2302
; %bb.2287:
	s_cmp_lt_i32 s13, 27
	s_cbranch_scc1 .LBB331_2290
; %bb.2288:
	s_cmp_gt_i32 s13, 27
	s_cbranch_scc0 .LBB331_2291
; %bb.2289:
	global_load_dword v7, v[10:11], off
	s_mov_b64 s[10:11], 0
	s_branch .LBB331_2292
.LBB331_2290:
	s_mov_b64 s[10:11], -1
                                        ; implicit-def: $vgpr7
	s_branch .LBB331_2295
.LBB331_2291:
	s_mov_b64 s[10:11], -1
                                        ; implicit-def: $vgpr7
.LBB331_2292:
	s_andn2_b64 vcc, exec, s[10:11]
	s_cbranch_vccnz .LBB331_2294
; %bb.2293:
	global_load_ushort v7, v[10:11], off
.LBB331_2294:
	s_mov_b64 s[10:11], 0
.LBB331_2295:
	s_andn2_b64 vcc, exec, s[10:11]
	s_cbranch_vccnz .LBB331_2301
; %bb.2296:
	global_load_ubyte v5, v[10:11], off
	s_movk_i32 s10, 0x7f
	s_mov_b64 s[20:21], 0
	s_waitcnt vmcnt(0)
	v_cmp_lt_i16_e32 vcc, s10, v5
	s_and_saveexec_b64 s[10:11], vcc
	s_xor_b64 s[10:11], exec, s[10:11]
	s_cbranch_execz .LBB331_2313
; %bb.2297:
	s_movk_i32 s20, 0x80
	v_cmp_ne_u16_e32 vcc, s20, v5
	s_and_b64 s[20:21], vcc, exec
	s_andn2_saveexec_b64 s[10:11], s[10:11]
	s_cbranch_execnz .LBB331_2314
.LBB331_2298:
	s_or_b64 exec, exec, s[10:11]
	v_mov_b32_e32 v7, 0
	s_and_saveexec_b64 s[10:11], s[20:21]
	s_cbranch_execz .LBB331_2300
.LBB331_2299:
	v_lshlrev_b32_e32 v7, 24, v5
	v_and_b32_e32 v5, 0xffff, v5
	v_and_b32_e32 v8, 7, v5
	v_ffbh_u32_e32 v13, v8
	v_min_u32_e32 v13, 32, v13
	v_subrev_u32_e32 v15, 28, v13
	v_bfe_u32 v12, v5, 3, 4
	v_lshlrev_b32_e32 v5, v15, v5
	v_sub_u32_e32 v13, 29, v13
	v_and_b32_e32 v5, 7, v5
	v_cmp_eq_u32_e32 vcc, 0, v12
	v_cndmask_b32_e32 v12, v12, v13, vcc
	v_cndmask_b32_e32 v5, v8, v5, vcc
	v_mov_b32_e32 v8, 0x3b800000
	v_lshlrev_b32_e32 v5, 20, v5
	v_and_b32_e32 v7, 0x80000000, v7
	v_lshl_add_u32 v8, v12, 23, v8
	v_or3_b32 v5, v7, v8, v5
	v_cvt_u32_f32_e32 v7, v5
.LBB331_2300:
	s_or_b64 exec, exec, s[10:11]
.LBB331_2301:
	s_mov_b64 s[10:11], -1
.LBB331_2302:
	s_mov_b64 s[20:21], 0
.LBB331_2303:
	s_and_b64 vcc, exec, s[20:21]
	s_cbranch_vccz .LBB331_2334
; %bb.2304:
	s_cmp_gt_i32 s13, 22
	s_cbranch_scc0 .LBB331_2312
; %bb.2305:
	s_cmp_lt_i32 s13, 24
	s_cbranch_scc1 .LBB331_2315
; %bb.2306:
	s_cmp_gt_i32 s13, 24
	s_cbranch_scc0 .LBB331_2316
; %bb.2307:
	global_load_ubyte v5, v[10:11], off
	s_movk_i32 s4, 0x7f
	s_mov_b64 s[10:11], 0
	s_waitcnt vmcnt(0)
	v_cmp_lt_i16_e32 vcc, s4, v5
	s_and_saveexec_b64 s[4:5], vcc
	s_xor_b64 s[4:5], exec, s[4:5]
	s_cbranch_execz .LBB331_2328
; %bb.2308:
	s_movk_i32 s10, 0x80
	v_cmp_ne_u16_e32 vcc, s10, v5
	s_and_b64 s[10:11], vcc, exec
	s_andn2_saveexec_b64 s[4:5], s[4:5]
	s_cbranch_execnz .LBB331_2329
.LBB331_2309:
	s_or_b64 exec, exec, s[4:5]
	v_mov_b32_e32 v7, 0
	s_and_saveexec_b64 s[4:5], s[10:11]
	s_cbranch_execz .LBB331_2311
.LBB331_2310:
	v_lshlrev_b32_e32 v7, 24, v5
	v_and_b32_e32 v5, 0xffff, v5
	v_and_b32_e32 v8, 3, v5
	v_ffbh_u32_e32 v13, v8
	v_min_u32_e32 v13, 32, v13
	v_subrev_u32_e32 v15, 29, v13
	v_bfe_u32 v12, v5, 2, 5
	v_lshlrev_b32_e32 v5, v15, v5
	v_sub_u32_e32 v13, 30, v13
	v_and_b32_e32 v5, 3, v5
	v_cmp_eq_u32_e32 vcc, 0, v12
	v_cndmask_b32_e32 v12, v12, v13, vcc
	v_cndmask_b32_e32 v5, v8, v5, vcc
	v_mov_b32_e32 v8, 0x37800000
	v_lshlrev_b32_e32 v5, 21, v5
	v_and_b32_e32 v7, 0x80000000, v7
	v_lshl_add_u32 v8, v12, 23, v8
	v_or3_b32 v5, v7, v8, v5
	v_cvt_u32_f32_e32 v7, v5
.LBB331_2311:
	s_or_b64 exec, exec, s[4:5]
	s_mov_b64 s[4:5], 0
	s_branch .LBB331_2317
.LBB331_2312:
	s_mov_b64 s[4:5], -1
                                        ; implicit-def: $vgpr7
	s_branch .LBB331_2323
.LBB331_2313:
	s_andn2_saveexec_b64 s[10:11], s[10:11]
	s_cbranch_execz .LBB331_2298
.LBB331_2314:
	v_cmp_ne_u16_e32 vcc, 0, v5
	s_andn2_b64 s[20:21], s[20:21], exec
	s_and_b64 s[22:23], vcc, exec
	s_or_b64 s[20:21], s[20:21], s[22:23]
	s_or_b64 exec, exec, s[10:11]
	v_mov_b32_e32 v7, 0
	s_and_saveexec_b64 s[10:11], s[20:21]
	s_cbranch_execnz .LBB331_2299
	s_branch .LBB331_2300
.LBB331_2315:
	s_mov_b64 s[4:5], -1
                                        ; implicit-def: $vgpr7
	s_branch .LBB331_2320
.LBB331_2316:
	s_mov_b64 s[4:5], -1
                                        ; implicit-def: $vgpr7
.LBB331_2317:
	s_and_b64 vcc, exec, s[4:5]
	s_cbranch_vccz .LBB331_2319
; %bb.2318:
	global_load_ubyte v5, v[10:11], off
	s_mov_b32 s4, 0x7f800000
	s_waitcnt vmcnt(0)
	v_lshlrev_b32_e32 v5, 24, v5
	v_and_b32_e32 v7, 0x7f000000, v5
	v_ffbh_u32_e32 v8, v7
	v_min_u32_e32 v8, 32, v8
	v_sub_u32_e64 v8, v8, 4 clamp
	v_lshlrev_b32_e32 v13, v8, v7
	v_lshlrev_b32_e32 v8, 23, v8
	v_lshrrev_b32_e32 v13, 4, v13
	v_add_u32_e32 v12, 0x1000000, v7
	v_sub_u32_e32 v8, v13, v8
	v_ashrrev_i32_e32 v12, 8, v12
	v_add_u32_e32 v8, 0x3c000000, v8
	v_and_or_b32 v8, v12, s4, v8
	v_cmp_ne_u32_e32 vcc, 0, v7
	v_cndmask_b32_e32 v7, 0, v8, vcc
	s_brev_b32 s4, 1
	v_and_or_b32 v5, v5, s4, v7
	v_cvt_u32_f32_e32 v7, v5
.LBB331_2319:
	s_mov_b64 s[4:5], 0
.LBB331_2320:
	s_andn2_b64 vcc, exec, s[4:5]
	s_cbranch_vccnz .LBB331_2322
; %bb.2321:
	global_load_ubyte v5, v[10:11], off
	s_movk_i32 s4, 0x7f00
	s_brev_b32 s5, 16
	s_waitcnt vmcnt(0)
	v_lshlrev_b16_e32 v7, 8, v5
	v_lshlrev_b32_e32 v5, 25, v5
	v_lshrrev_b32_e32 v8, 4, v5
	v_and_or_b32 v12, v7, s4, 0.5
	v_or_b32_e32 v8, 0x70000000, v8
	v_add_f32_e32 v12, -0.5, v12
	v_mul_f32_e32 v8, 0x7800000, v8
	v_cmp_gt_u32_e32 vcc, s5, v5
	v_bfe_i32 v7, v7, 0, 16
	v_cndmask_b32_e32 v5, v8, v12, vcc
	s_brev_b32 s4, 1
	v_and_or_b32 v5, v7, s4, v5
	v_cvt_u32_f32_e32 v7, v5
.LBB331_2322:
	s_mov_b64 s[4:5], 0
	s_mov_b64 s[10:11], -1
.LBB331_2323:
	s_andn2_b64 vcc, exec, s[4:5]
	s_mov_b64 s[4:5], 0
	s_cbranch_vccnz .LBB331_2334
; %bb.2324:
	s_cmp_gt_i32 s13, 14
	s_cbranch_scc0 .LBB331_2327
; %bb.2325:
	s_cmp_eq_u32 s13, 15
	s_cbranch_scc0 .LBB331_2330
; %bb.2326:
	global_load_ushort v5, v[10:11], off
	s_mov_b64 s[0:1], 0
	s_mov_b64 s[10:11], -1
	s_waitcnt vmcnt(0)
	v_lshlrev_b32_e32 v5, 16, v5
	v_cvt_u32_f32_e32 v7, v5
	s_branch .LBB331_2331
.LBB331_2327:
	s_mov_b64 s[20:21], -1
                                        ; implicit-def: $vgpr7
	s_branch .LBB331_2332
.LBB331_2328:
	s_andn2_saveexec_b64 s[4:5], s[4:5]
	s_cbranch_execz .LBB331_2309
.LBB331_2329:
	v_cmp_ne_u16_e32 vcc, 0, v5
	s_andn2_b64 s[10:11], s[10:11], exec
	s_and_b64 s[20:21], vcc, exec
	s_or_b64 s[10:11], s[10:11], s[20:21]
	s_or_b64 exec, exec, s[4:5]
	v_mov_b32_e32 v7, 0
	s_and_saveexec_b64 s[4:5], s[10:11]
	s_cbranch_execnz .LBB331_2310
	s_branch .LBB331_2311
.LBB331_2330:
	s_mov_b64 s[0:1], -1
                                        ; implicit-def: $vgpr7
.LBB331_2331:
	s_mov_b64 s[20:21], 0
.LBB331_2332:
	s_and_b64 vcc, exec, s[20:21]
	s_cbranch_vccz .LBB331_2334
; %bb.2333:
	s_cmp_lg_u32 s13, 11
	s_mov_b64 s[4:5], -1
	s_cselect_b64 s[0:1], -1, 0
.LBB331_2334:
	s_and_b64 vcc, exec, s[0:1]
	s_cbranch_vccnz .LBB331_2399
; %bb.2335:
	s_andn2_b64 vcc, exec, s[4:5]
	s_cbranch_vccnz .LBB331_2337
.LBB331_2336:
	global_load_ubyte v5, v[10:11], off
	s_mov_b64 s[10:11], -1
	s_waitcnt vmcnt(0)
	v_cmp_ne_u16_e32 vcc, 0, v5
	v_cndmask_b32_e64 v7, 0, 1, vcc
.LBB331_2337:
	s_mov_b64 s[0:1], 0
.LBB331_2338:
	s_and_b64 vcc, exec, s[0:1]
	s_cbranch_vccz .LBB331_2387
; %bb.2339:
	s_and_b32 s4, 0xffff, s24
	s_cmp_lt_i32 s4, 5
	s_cbranch_scc1 .LBB331_2344
; %bb.2340:
	s_cmp_lt_i32 s4, 8
	s_cbranch_scc1 .LBB331_2345
; %bb.2341:
	;; [unrolled: 3-line block ×3, first 2 shown]
	s_cmp_gt_i32 s4, 9
	s_cbranch_scc0 .LBB331_2347
; %bb.2343:
	global_load_dwordx2 v[7:8], v[10:11], off
	s_mov_b64 s[0:1], 0
	s_waitcnt vmcnt(0)
	v_cvt_u32_f64_e32 v7, v[7:8]
	s_branch .LBB331_2348
.LBB331_2344:
	s_mov_b64 s[0:1], -1
                                        ; implicit-def: $vgpr7
	s_branch .LBB331_2366
.LBB331_2345:
	s_mov_b64 s[0:1], -1
                                        ; implicit-def: $vgpr7
	s_branch .LBB331_2354
.LBB331_2346:
	s_mov_b64 s[0:1], -1
                                        ; implicit-def: $vgpr7
	s_branch .LBB331_2351
.LBB331_2347:
	s_mov_b64 s[0:1], -1
                                        ; implicit-def: $vgpr7
.LBB331_2348:
	s_andn2_b64 vcc, exec, s[0:1]
	s_cbranch_vccnz .LBB331_2350
; %bb.2349:
	global_load_dword v5, v[10:11], off
	s_waitcnt vmcnt(0)
	v_cvt_u32_f32_e32 v7, v5
.LBB331_2350:
	s_mov_b64 s[0:1], 0
.LBB331_2351:
	s_andn2_b64 vcc, exec, s[0:1]
	s_cbranch_vccnz .LBB331_2353
; %bb.2352:
	global_load_dword v5, v[10:11], off
	s_waitcnt vmcnt(0)
	v_cvt_u16_f16_e32 v7, v5
.LBB331_2353:
	s_mov_b64 s[0:1], 0
.LBB331_2354:
	s_andn2_b64 vcc, exec, s[0:1]
	s_cbranch_vccnz .LBB331_2365
; %bb.2355:
	s_cmp_lt_i32 s4, 6
	s_cbranch_scc1 .LBB331_2358
; %bb.2356:
	s_cmp_gt_i32 s4, 6
	s_cbranch_scc0 .LBB331_2359
; %bb.2357:
	global_load_dwordx2 v[7:8], v[10:11], off
	s_mov_b64 s[0:1], 0
	s_waitcnt vmcnt(0)
	v_cvt_u32_f64_e32 v7, v[7:8]
	s_branch .LBB331_2360
.LBB331_2358:
	s_mov_b64 s[0:1], -1
                                        ; implicit-def: $vgpr7
	s_branch .LBB331_2363
.LBB331_2359:
	s_mov_b64 s[0:1], -1
                                        ; implicit-def: $vgpr7
.LBB331_2360:
	s_andn2_b64 vcc, exec, s[0:1]
	s_cbranch_vccnz .LBB331_2362
; %bb.2361:
	global_load_dword v5, v[10:11], off
	s_waitcnt vmcnt(0)
	v_cvt_u32_f32_e32 v7, v5
.LBB331_2362:
	s_mov_b64 s[0:1], 0
.LBB331_2363:
	s_andn2_b64 vcc, exec, s[0:1]
	s_cbranch_vccnz .LBB331_2365
; %bb.2364:
	global_load_ushort v5, v[10:11], off
	s_waitcnt vmcnt(0)
	v_cvt_u16_f16_e32 v7, v5
.LBB331_2365:
	s_mov_b64 s[0:1], 0
.LBB331_2366:
	s_andn2_b64 vcc, exec, s[0:1]
	s_cbranch_vccnz .LBB331_2386
; %bb.2367:
	s_cmp_lt_i32 s4, 2
	s_cbranch_scc1 .LBB331_2371
; %bb.2368:
	s_cmp_lt_i32 s4, 3
	s_cbranch_scc1 .LBB331_2372
; %bb.2369:
	s_cmp_gt_i32 s4, 3
	s_cbranch_scc0 .LBB331_2373
; %bb.2370:
	global_load_dwordx2 v[7:8], v[10:11], off
	s_mov_b64 s[0:1], 0
	s_branch .LBB331_2374
.LBB331_2371:
	s_mov_b64 s[0:1], -1
                                        ; implicit-def: $vgpr7
	s_branch .LBB331_2380
.LBB331_2372:
	s_mov_b64 s[0:1], -1
                                        ; implicit-def: $vgpr7
	s_branch .LBB331_2377
.LBB331_2373:
	s_mov_b64 s[0:1], -1
                                        ; implicit-def: $vgpr7
.LBB331_2374:
	s_andn2_b64 vcc, exec, s[0:1]
	s_cbranch_vccnz .LBB331_2376
; %bb.2375:
	global_load_dword v7, v[10:11], off
.LBB331_2376:
	s_mov_b64 s[0:1], 0
.LBB331_2377:
	s_andn2_b64 vcc, exec, s[0:1]
	s_cbranch_vccnz .LBB331_2379
; %bb.2378:
	global_load_ushort v7, v[10:11], off
.LBB331_2379:
	s_mov_b64 s[0:1], 0
.LBB331_2380:
	s_andn2_b64 vcc, exec, s[0:1]
	s_cbranch_vccnz .LBB331_2386
; %bb.2381:
	s_cmp_gt_i32 s4, 0
	s_cbranch_scc0 .LBB331_2383
; %bb.2382:
	global_load_sbyte v7, v[10:11], off
	s_mov_b64 s[0:1], 0
	s_branch .LBB331_2384
.LBB331_2383:
	s_mov_b64 s[0:1], -1
                                        ; implicit-def: $vgpr7
.LBB331_2384:
	s_andn2_b64 vcc, exec, s[0:1]
	s_cbranch_vccnz .LBB331_2386
; %bb.2385:
	global_load_ubyte v7, v[10:11], off
.LBB331_2386:
	s_mov_b64 s[10:11], -1
.LBB331_2387:
	s_andn2_b64 vcc, exec, s[10:11]
	s_cbranch_vccnz .LBB331_2947
; %bb.2388:
	v_add_u32_e32 v2, s14, v2
	v_ashrrev_i32_e32 v5, 31, v2
	s_waitcnt vmcnt(0)
	v_mov_b32_e32 v8, s3
	v_add_co_u32_e32 v12, vcc, s2, v2
	s_cmp_lt_i32 s25, 11
	v_addc_co_u32_e32 v13, vcc, v8, v5, vcc
	s_cbranch_scc1 .LBB331_2395
; %bb.2389:
	s_and_b32 s13, 0xffff, s25
	s_cmp_gt_i32 s13, 25
	s_mov_b64 s[2:3], 0
	s_cbranch_scc0 .LBB331_2396
; %bb.2390:
	s_cmp_gt_i32 s13, 28
	s_cbranch_scc0 .LBB331_2397
; %bb.2391:
	s_cmp_gt_i32 s13, 43
	;; [unrolled: 3-line block ×3, first 2 shown]
	s_cbranch_scc0 .LBB331_2400
; %bb.2393:
	s_cmp_eq_u32 s13, 46
	s_mov_b64 s[10:11], 0
	s_cbranch_scc0 .LBB331_2401
; %bb.2394:
	global_load_dword v2, v[12:13], off
	s_mov_b64 s[0:1], 0
	s_mov_b64 s[4:5], -1
	s_waitcnt vmcnt(0)
	v_lshlrev_b32_e32 v2, 16, v2
	v_cvt_u32_f32_e32 v10, v2
	s_branch .LBB331_2402
.LBB331_2395:
	s_mov_b64 s[0:1], -1
	s_mov_b64 s[4:5], 0
                                        ; implicit-def: $vgpr10
	s_branch .LBB331_2464
.LBB331_2396:
	s_mov_b64 s[10:11], -1
	s_mov_b64 s[4:5], 0
	s_mov_b64 s[0:1], 0
                                        ; implicit-def: $vgpr10
	s_branch .LBB331_2429
.LBB331_2397:
	s_mov_b64 s[10:11], -1
	s_mov_b64 s[4:5], 0
	s_mov_b64 s[0:1], 0
                                        ; implicit-def: $vgpr10
	s_branch .LBB331_2412
.LBB331_2398:
	s_mov_b64 s[10:11], -1
	s_mov_b64 s[4:5], 0
	s_mov_b64 s[0:1], 0
                                        ; implicit-def: $vgpr10
	s_branch .LBB331_2407
.LBB331_2399:
	s_trap 2
	s_or_b64 s[18:19], s[18:19], exec
	s_cbranch_execz .LBB331_2336
	s_branch .LBB331_2337
.LBB331_2400:
	s_mov_b64 s[10:11], -1
	s_mov_b64 s[4:5], 0
	s_mov_b64 s[0:1], 0
                                        ; implicit-def: $vgpr10
	s_branch .LBB331_2402
.LBB331_2401:
	s_mov_b64 s[0:1], -1
                                        ; implicit-def: $vgpr10
	s_mov_b64 s[4:5], 0
.LBB331_2402:
	s_and_b64 vcc, exec, s[10:11]
	s_cbranch_vccz .LBB331_2406
; %bb.2403:
	s_cmp_eq_u32 s13, 44
	s_cbranch_scc0 .LBB331_2405
; %bb.2404:
	global_load_ubyte v2, v[12:13], off
	s_mov_b64 s[0:1], 0
	s_mov_b64 s[4:5], -1
	s_waitcnt vmcnt(0)
	v_lshlrev_b32_e32 v5, 23, v2
	v_cvt_u32_f32_e32 v5, v5
	v_cmp_ne_u32_e32 vcc, 0, v2
	v_cndmask_b32_e32 v10, 0, v5, vcc
	s_branch .LBB331_2406
.LBB331_2405:
	s_mov_b64 s[0:1], -1
                                        ; implicit-def: $vgpr10
.LBB331_2406:
	s_mov_b64 s[10:11], 0
.LBB331_2407:
	s_and_b64 vcc, exec, s[10:11]
	s_cbranch_vccz .LBB331_2411
; %bb.2408:
	s_cmp_eq_u32 s13, 29
	s_cbranch_scc0 .LBB331_2410
; %bb.2409:
	global_load_dwordx2 v[10:11], v[12:13], off
	s_mov_b64 s[0:1], 0
	s_mov_b64 s[4:5], -1
	s_branch .LBB331_2411
.LBB331_2410:
	s_mov_b64 s[0:1], -1
                                        ; implicit-def: $vgpr10
.LBB331_2411:
	s_mov_b64 s[10:11], 0
.LBB331_2412:
	s_and_b64 vcc, exec, s[10:11]
	s_cbranch_vccz .LBB331_2428
; %bb.2413:
	s_cmp_lt_i32 s13, 27
	s_cbranch_scc1 .LBB331_2416
; %bb.2414:
	s_cmp_gt_i32 s13, 27
	s_cbranch_scc0 .LBB331_2417
; %bb.2415:
	global_load_dword v10, v[12:13], off
	s_mov_b64 s[4:5], 0
	s_branch .LBB331_2418
.LBB331_2416:
	s_mov_b64 s[4:5], -1
                                        ; implicit-def: $vgpr10
	s_branch .LBB331_2421
.LBB331_2417:
	s_mov_b64 s[4:5], -1
                                        ; implicit-def: $vgpr10
.LBB331_2418:
	s_andn2_b64 vcc, exec, s[4:5]
	s_cbranch_vccnz .LBB331_2420
; %bb.2419:
	global_load_ushort v10, v[12:13], off
.LBB331_2420:
	s_mov_b64 s[4:5], 0
.LBB331_2421:
	s_andn2_b64 vcc, exec, s[4:5]
	s_cbranch_vccnz .LBB331_2427
; %bb.2422:
	global_load_ubyte v2, v[12:13], off
	s_movk_i32 s4, 0x7f
	s_mov_b64 s[10:11], 0
	s_waitcnt vmcnt(0)
	v_cmp_lt_i16_e32 vcc, s4, v2
	s_and_saveexec_b64 s[4:5], vcc
	s_xor_b64 s[4:5], exec, s[4:5]
	s_cbranch_execz .LBB331_2439
; %bb.2423:
	s_movk_i32 s10, 0x80
	v_cmp_ne_u16_e32 vcc, s10, v2
	s_and_b64 s[10:11], vcc, exec
	s_andn2_saveexec_b64 s[4:5], s[4:5]
	s_cbranch_execnz .LBB331_2440
.LBB331_2424:
	s_or_b64 exec, exec, s[4:5]
	v_mov_b32_e32 v10, 0
	s_and_saveexec_b64 s[4:5], s[10:11]
	s_cbranch_execz .LBB331_2426
.LBB331_2425:
	v_lshlrev_b32_e32 v5, 24, v2
	v_and_b32_e32 v2, 0xffff, v2
	v_and_b32_e32 v8, 7, v2
	v_ffbh_u32_e32 v11, v8
	v_min_u32_e32 v11, 32, v11
	v_subrev_u32_e32 v15, 28, v11
	v_bfe_u32 v10, v2, 3, 4
	v_lshlrev_b32_e32 v2, v15, v2
	v_sub_u32_e32 v11, 29, v11
	v_and_b32_e32 v2, 7, v2
	v_cmp_eq_u32_e32 vcc, 0, v10
	v_cndmask_b32_e32 v10, v10, v11, vcc
	v_cndmask_b32_e32 v2, v8, v2, vcc
	v_mov_b32_e32 v8, 0x3b800000
	v_lshlrev_b32_e32 v2, 20, v2
	v_and_b32_e32 v5, 0x80000000, v5
	v_lshl_add_u32 v8, v10, 23, v8
	v_or3_b32 v2, v5, v8, v2
	v_cvt_u32_f32_e32 v10, v2
.LBB331_2426:
	s_or_b64 exec, exec, s[4:5]
.LBB331_2427:
	s_mov_b64 s[4:5], -1
.LBB331_2428:
	s_mov_b64 s[10:11], 0
.LBB331_2429:
	s_and_b64 vcc, exec, s[10:11]
	s_cbranch_vccz .LBB331_2460
; %bb.2430:
	s_cmp_gt_i32 s13, 22
	s_cbranch_scc0 .LBB331_2438
; %bb.2431:
	s_cmp_lt_i32 s13, 24
	s_cbranch_scc1 .LBB331_2441
; %bb.2432:
	s_cmp_gt_i32 s13, 24
	s_cbranch_scc0 .LBB331_2442
; %bb.2433:
	global_load_ubyte v2, v[12:13], off
	s_movk_i32 s2, 0x7f
	s_mov_b64 s[4:5], 0
	s_waitcnt vmcnt(0)
	v_cmp_lt_i16_e32 vcc, s2, v2
	s_and_saveexec_b64 s[2:3], vcc
	s_xor_b64 s[2:3], exec, s[2:3]
	s_cbranch_execz .LBB331_2454
; %bb.2434:
	s_movk_i32 s4, 0x80
	v_cmp_ne_u16_e32 vcc, s4, v2
	s_and_b64 s[4:5], vcc, exec
	s_andn2_saveexec_b64 s[2:3], s[2:3]
	s_cbranch_execnz .LBB331_2455
.LBB331_2435:
	s_or_b64 exec, exec, s[2:3]
	v_mov_b32_e32 v10, 0
	s_and_saveexec_b64 s[2:3], s[4:5]
	s_cbranch_execz .LBB331_2437
.LBB331_2436:
	v_lshlrev_b32_e32 v5, 24, v2
	v_and_b32_e32 v2, 0xffff, v2
	v_and_b32_e32 v8, 3, v2
	v_ffbh_u32_e32 v11, v8
	v_min_u32_e32 v11, 32, v11
	v_subrev_u32_e32 v15, 29, v11
	v_bfe_u32 v10, v2, 2, 5
	v_lshlrev_b32_e32 v2, v15, v2
	v_sub_u32_e32 v11, 30, v11
	v_and_b32_e32 v2, 3, v2
	v_cmp_eq_u32_e32 vcc, 0, v10
	v_cndmask_b32_e32 v10, v10, v11, vcc
	v_cndmask_b32_e32 v2, v8, v2, vcc
	v_mov_b32_e32 v8, 0x37800000
	v_lshlrev_b32_e32 v2, 21, v2
	v_and_b32_e32 v5, 0x80000000, v5
	v_lshl_add_u32 v8, v10, 23, v8
	v_or3_b32 v2, v5, v8, v2
	v_cvt_u32_f32_e32 v10, v2
.LBB331_2437:
	s_or_b64 exec, exec, s[2:3]
	s_mov_b64 s[2:3], 0
	s_branch .LBB331_2443
.LBB331_2438:
	s_mov_b64 s[2:3], -1
                                        ; implicit-def: $vgpr10
	s_branch .LBB331_2449
.LBB331_2439:
	s_andn2_saveexec_b64 s[4:5], s[4:5]
	s_cbranch_execz .LBB331_2424
.LBB331_2440:
	v_cmp_ne_u16_e32 vcc, 0, v2
	s_andn2_b64 s[10:11], s[10:11], exec
	s_and_b64 s[20:21], vcc, exec
	s_or_b64 s[10:11], s[10:11], s[20:21]
	s_or_b64 exec, exec, s[4:5]
	v_mov_b32_e32 v10, 0
	s_and_saveexec_b64 s[4:5], s[10:11]
	s_cbranch_execnz .LBB331_2425
	s_branch .LBB331_2426
.LBB331_2441:
	s_mov_b64 s[2:3], -1
                                        ; implicit-def: $vgpr10
	s_branch .LBB331_2446
.LBB331_2442:
	s_mov_b64 s[2:3], -1
                                        ; implicit-def: $vgpr10
.LBB331_2443:
	s_and_b64 vcc, exec, s[2:3]
	s_cbranch_vccz .LBB331_2445
; %bb.2444:
	global_load_ubyte v2, v[12:13], off
	s_mov_b32 s2, 0x7f800000
	s_waitcnt vmcnt(0)
	v_lshlrev_b32_e32 v2, 24, v2
	v_and_b32_e32 v5, 0x7f000000, v2
	v_ffbh_u32_e32 v8, v5
	v_min_u32_e32 v8, 32, v8
	v_sub_u32_e64 v8, v8, 4 clamp
	v_lshlrev_b32_e32 v11, v8, v5
	v_lshlrev_b32_e32 v8, 23, v8
	v_lshrrev_b32_e32 v11, 4, v11
	v_add_u32_e32 v10, 0x1000000, v5
	v_sub_u32_e32 v8, v11, v8
	v_ashrrev_i32_e32 v10, 8, v10
	v_add_u32_e32 v8, 0x3c000000, v8
	v_and_or_b32 v8, v10, s2, v8
	v_cmp_ne_u32_e32 vcc, 0, v5
	v_cndmask_b32_e32 v5, 0, v8, vcc
	s_brev_b32 s2, 1
	v_and_or_b32 v2, v2, s2, v5
	v_cvt_u32_f32_e32 v10, v2
.LBB331_2445:
	s_mov_b64 s[2:3], 0
.LBB331_2446:
	s_andn2_b64 vcc, exec, s[2:3]
	s_cbranch_vccnz .LBB331_2448
; %bb.2447:
	global_load_ubyte v2, v[12:13], off
	s_movk_i32 s2, 0x7f00
	s_brev_b32 s3, 16
	s_waitcnt vmcnt(0)
	v_lshlrev_b16_e32 v5, 8, v2
	v_lshlrev_b32_e32 v2, 25, v2
	v_lshrrev_b32_e32 v8, 4, v2
	v_and_or_b32 v10, v5, s2, 0.5
	v_or_b32_e32 v8, 0x70000000, v8
	v_add_f32_e32 v10, -0.5, v10
	v_mul_f32_e32 v8, 0x7800000, v8
	v_cmp_gt_u32_e32 vcc, s3, v2
	v_bfe_i32 v5, v5, 0, 16
	v_cndmask_b32_e32 v2, v8, v10, vcc
	s_brev_b32 s2, 1
	v_and_or_b32 v2, v5, s2, v2
	v_cvt_u32_f32_e32 v10, v2
.LBB331_2448:
	s_mov_b64 s[2:3], 0
	s_mov_b64 s[4:5], -1
.LBB331_2449:
	s_andn2_b64 vcc, exec, s[2:3]
	s_mov_b64 s[2:3], 0
	s_cbranch_vccnz .LBB331_2460
; %bb.2450:
	s_cmp_gt_i32 s13, 14
	s_cbranch_scc0 .LBB331_2453
; %bb.2451:
	s_cmp_eq_u32 s13, 15
	s_cbranch_scc0 .LBB331_2456
; %bb.2452:
	global_load_ushort v2, v[12:13], off
	s_mov_b64 s[0:1], 0
	s_mov_b64 s[4:5], -1
	s_waitcnt vmcnt(0)
	v_lshlrev_b32_e32 v2, 16, v2
	v_cvt_u32_f32_e32 v10, v2
	s_branch .LBB331_2457
.LBB331_2453:
	s_mov_b64 s[10:11], -1
                                        ; implicit-def: $vgpr10
	s_branch .LBB331_2458
.LBB331_2454:
	s_andn2_saveexec_b64 s[2:3], s[2:3]
	s_cbranch_execz .LBB331_2435
.LBB331_2455:
	v_cmp_ne_u16_e32 vcc, 0, v2
	s_andn2_b64 s[4:5], s[4:5], exec
	s_and_b64 s[10:11], vcc, exec
	s_or_b64 s[4:5], s[4:5], s[10:11]
	s_or_b64 exec, exec, s[2:3]
	v_mov_b32_e32 v10, 0
	s_and_saveexec_b64 s[2:3], s[4:5]
	s_cbranch_execnz .LBB331_2436
	s_branch .LBB331_2437
.LBB331_2456:
	s_mov_b64 s[0:1], -1
                                        ; implicit-def: $vgpr10
.LBB331_2457:
	s_mov_b64 s[10:11], 0
.LBB331_2458:
	s_and_b64 vcc, exec, s[10:11]
	s_cbranch_vccz .LBB331_2460
; %bb.2459:
	s_cmp_lg_u32 s13, 11
	s_mov_b64 s[2:3], -1
	s_cselect_b64 s[0:1], -1, 0
.LBB331_2460:
	s_and_b64 vcc, exec, s[0:1]
	s_cbranch_vccnz .LBB331_2993
; %bb.2461:
	s_andn2_b64 vcc, exec, s[2:3]
	s_cbranch_vccnz .LBB331_2463
.LBB331_2462:
	global_load_ubyte v2, v[12:13], off
	s_mov_b64 s[4:5], -1
	s_waitcnt vmcnt(0)
	v_cmp_ne_u16_e32 vcc, 0, v2
	v_cndmask_b32_e64 v10, 0, 1, vcc
.LBB331_2463:
	s_mov_b64 s[0:1], 0
.LBB331_2464:
	s_and_b64 vcc, exec, s[0:1]
	s_cbranch_vccz .LBB331_2513
; %bb.2465:
	s_and_b32 s2, 0xffff, s25
	s_cmp_lt_i32 s2, 5
	s_cbranch_scc1 .LBB331_2470
; %bb.2466:
	s_cmp_lt_i32 s2, 8
	s_cbranch_scc1 .LBB331_2471
; %bb.2467:
	;; [unrolled: 3-line block ×3, first 2 shown]
	s_cmp_gt_i32 s2, 9
	s_cbranch_scc0 .LBB331_2473
; %bb.2469:
	global_load_dwordx2 v[10:11], v[12:13], off
	s_mov_b64 s[0:1], 0
	s_waitcnt vmcnt(0)
	v_cvt_u32_f64_e32 v10, v[10:11]
	s_branch .LBB331_2474
.LBB331_2470:
	s_mov_b64 s[0:1], -1
                                        ; implicit-def: $vgpr10
	s_branch .LBB331_2492
.LBB331_2471:
	s_mov_b64 s[0:1], -1
                                        ; implicit-def: $vgpr10
	s_branch .LBB331_2480
.LBB331_2472:
	s_mov_b64 s[0:1], -1
                                        ; implicit-def: $vgpr10
	s_branch .LBB331_2477
.LBB331_2473:
	s_mov_b64 s[0:1], -1
                                        ; implicit-def: $vgpr10
.LBB331_2474:
	s_andn2_b64 vcc, exec, s[0:1]
	s_cbranch_vccnz .LBB331_2476
; %bb.2475:
	global_load_dword v2, v[12:13], off
	s_waitcnt vmcnt(0)
	v_cvt_u32_f32_e32 v10, v2
.LBB331_2476:
	s_mov_b64 s[0:1], 0
.LBB331_2477:
	s_andn2_b64 vcc, exec, s[0:1]
	s_cbranch_vccnz .LBB331_2479
; %bb.2478:
	global_load_dword v2, v[12:13], off
	s_waitcnt vmcnt(0)
	v_cvt_u16_f16_e32 v10, v2
.LBB331_2479:
	s_mov_b64 s[0:1], 0
.LBB331_2480:
	s_andn2_b64 vcc, exec, s[0:1]
	s_cbranch_vccnz .LBB331_2491
; %bb.2481:
	s_cmp_lt_i32 s2, 6
	s_cbranch_scc1 .LBB331_2484
; %bb.2482:
	s_cmp_gt_i32 s2, 6
	s_cbranch_scc0 .LBB331_2485
; %bb.2483:
	global_load_dwordx2 v[10:11], v[12:13], off
	s_mov_b64 s[0:1], 0
	s_waitcnt vmcnt(0)
	v_cvt_u32_f64_e32 v10, v[10:11]
	s_branch .LBB331_2486
.LBB331_2484:
	s_mov_b64 s[0:1], -1
                                        ; implicit-def: $vgpr10
	s_branch .LBB331_2489
.LBB331_2485:
	s_mov_b64 s[0:1], -1
                                        ; implicit-def: $vgpr10
.LBB331_2486:
	s_andn2_b64 vcc, exec, s[0:1]
	s_cbranch_vccnz .LBB331_2488
; %bb.2487:
	global_load_dword v2, v[12:13], off
	s_waitcnt vmcnt(0)
	v_cvt_u32_f32_e32 v10, v2
.LBB331_2488:
	s_mov_b64 s[0:1], 0
.LBB331_2489:
	s_andn2_b64 vcc, exec, s[0:1]
	s_cbranch_vccnz .LBB331_2491
; %bb.2490:
	global_load_ushort v2, v[12:13], off
	s_waitcnt vmcnt(0)
	v_cvt_u16_f16_e32 v10, v2
.LBB331_2491:
	s_mov_b64 s[0:1], 0
.LBB331_2492:
	s_andn2_b64 vcc, exec, s[0:1]
	s_cbranch_vccnz .LBB331_2512
; %bb.2493:
	s_cmp_lt_i32 s2, 2
	s_cbranch_scc1 .LBB331_2497
; %bb.2494:
	s_cmp_lt_i32 s2, 3
	s_cbranch_scc1 .LBB331_2498
; %bb.2495:
	s_cmp_gt_i32 s2, 3
	s_cbranch_scc0 .LBB331_2499
; %bb.2496:
	global_load_dwordx2 v[10:11], v[12:13], off
	s_mov_b64 s[0:1], 0
	s_branch .LBB331_2500
.LBB331_2497:
	s_mov_b64 s[0:1], -1
                                        ; implicit-def: $vgpr10
	s_branch .LBB331_2506
.LBB331_2498:
	s_mov_b64 s[0:1], -1
                                        ; implicit-def: $vgpr10
	s_branch .LBB331_2503
.LBB331_2499:
	s_mov_b64 s[0:1], -1
                                        ; implicit-def: $vgpr10
.LBB331_2500:
	s_andn2_b64 vcc, exec, s[0:1]
	s_cbranch_vccnz .LBB331_2502
; %bb.2501:
	global_load_dword v10, v[12:13], off
.LBB331_2502:
	s_mov_b64 s[0:1], 0
.LBB331_2503:
	s_andn2_b64 vcc, exec, s[0:1]
	s_cbranch_vccnz .LBB331_2505
; %bb.2504:
	global_load_ushort v10, v[12:13], off
.LBB331_2505:
	s_mov_b64 s[0:1], 0
.LBB331_2506:
	s_andn2_b64 vcc, exec, s[0:1]
	s_cbranch_vccnz .LBB331_2512
; %bb.2507:
	s_cmp_gt_i32 s2, 0
	s_cbranch_scc0 .LBB331_2509
; %bb.2508:
	global_load_sbyte v10, v[12:13], off
	s_mov_b64 s[0:1], 0
	s_branch .LBB331_2510
.LBB331_2509:
	s_mov_b64 s[0:1], -1
                                        ; implicit-def: $vgpr10
.LBB331_2510:
	s_andn2_b64 vcc, exec, s[0:1]
	s_cbranch_vccnz .LBB331_2512
; %bb.2511:
	global_load_ubyte v10, v[12:13], off
.LBB331_2512:
	s_mov_b64 s[4:5], -1
.LBB331_2513:
	s_andn2_b64 vcc, exec, s[4:5]
	s_cbranch_vccnz .LBB331_2947
; %bb.2514:
	v_mul_lo_u32 v5, s12, v14
	s_cmp_eq_u32 s15, 0
	s_cselect_b64 s[2:3], -1, 0
	v_cmp_ne_u16_e32 vcc, v0, v3
	s_xor_b64 s[4:5], s[2:3], vcc
	v_ashrrev_i32_e32 v0, 31, v5
	v_mov_b32_e32 v3, s9
	s_and_b32 s24, s33, 0xff
	v_add_co_u32_e32 v2, vcc, s8, v5
	s_cmp_lt_i32 s24, 11
	v_addc_co_u32_e32 v3, vcc, v3, v0, vcc
	s_cbranch_scc1 .LBB331_2592
; %bb.2515:
	s_and_b32 s13, 0xffff, s24
	s_mov_b64 s[20:21], -1
	s_mov_b64 s[10:11], 0
	s_cmp_gt_i32 s13, 25
	s_mov_b64 s[14:15], 0
	s_mov_b64 s[0:1], 0
	s_cbranch_scc0 .LBB331_2548
; %bb.2516:
	s_cmp_gt_i32 s13, 28
	s_cbranch_scc0 .LBB331_2531
; %bb.2517:
	s_cmp_gt_i32 s13, 43
	;; [unrolled: 3-line block ×3, first 2 shown]
	s_cbranch_scc0 .LBB331_2521
; %bb.2519:
	s_mov_b64 s[0:1], -1
	s_mov_b64 s[20:21], 0
	s_cmp_eq_u32 s13, 46
	s_cbranch_scc0 .LBB331_2521
; %bb.2520:
	v_cndmask_b32_e64 v0, 0, 1.0, s[4:5]
	v_bfe_u32 v8, v0, 16, 1
	s_movk_i32 s0, 0x7fff
	v_add3_u32 v0, v0, v8, s0
	v_lshrrev_b32_e32 v0, 16, v0
	global_store_dword v[2:3], v0, off
	s_mov_b64 s[0:1], 0
	s_mov_b64 s[14:15], -1
.LBB331_2521:
	s_and_b64 vcc, exec, s[20:21]
	s_cbranch_vccz .LBB331_2526
; %bb.2522:
	s_cmp_eq_u32 s13, 44
	s_mov_b64 s[0:1], -1
	s_cbranch_scc0 .LBB331_2526
; %bb.2523:
	v_cndmask_b32_e64 v8, 0, 1.0, s[4:5]
	v_lshrrev_b32_e32 v0, 23, v8
	s_movk_i32 s0, 0xff
	v_cmp_ne_u32_e32 vcc, s0, v0
	s_waitcnt vmcnt(0)
	v_mov_b32_e32 v11, 0xff
	s_and_saveexec_b64 s[14:15], vcc
; %bb.2524:
	s_mov_b32 s0, 0x3fffff
	v_and_b32_e32 v11, 0x400000, v8
	v_and_or_b32 v8, v8, s0, v0
	v_cmp_ne_u32_e32 vcc, 0, v11
	v_cmp_ne_u32_e64 s[0:1], 0, v8
	s_and_b64 s[0:1], vcc, s[0:1]
	v_cndmask_b32_e64 v8, 0, 1, s[0:1]
	v_add_u32_e32 v11, v0, v8
; %bb.2525:
	s_or_b64 exec, exec, s[14:15]
	s_mov_b64 s[0:1], 0
	s_mov_b64 s[14:15], -1
	global_store_byte v[2:3], v11, off
.LBB331_2526:
	s_mov_b64 s[20:21], 0
.LBB331_2527:
	s_and_b64 vcc, exec, s[20:21]
	s_cbranch_vccz .LBB331_2530
; %bb.2528:
	s_cmp_eq_u32 s13, 29
	s_mov_b64 s[0:1], -1
	s_cbranch_scc0 .LBB331_2530
; %bb.2529:
	s_mov_b32 s0, 0
	s_waitcnt vmcnt(0)
	v_cndmask_b32_e64 v11, 0, 1, s[4:5]
	v_mov_b32_e32 v12, s0
	global_store_dwordx2 v[2:3], v[11:12], off
	s_mov_b64 s[0:1], 0
	s_mov_b64 s[14:15], -1
.LBB331_2530:
	s_mov_b64 s[20:21], 0
.LBB331_2531:
	s_and_b64 vcc, exec, s[20:21]
	s_cbranch_vccz .LBB331_2547
; %bb.2532:
	s_cmp_lt_i32 s13, 27
	s_mov_b64 s[14:15], -1
	s_cbranch_scc1 .LBB331_2538
; %bb.2533:
	s_cmp_gt_i32 s13, 27
	s_cbranch_scc0 .LBB331_2535
; %bb.2534:
	v_cndmask_b32_e64 v0, 0, 1, s[4:5]
	s_mov_b64 s[14:15], 0
	global_store_dword v[2:3], v0, off
.LBB331_2535:
	s_andn2_b64 vcc, exec, s[14:15]
	s_cbranch_vccnz .LBB331_2537
; %bb.2536:
	v_cndmask_b32_e64 v0, 0, 1, s[4:5]
	global_store_short v[2:3], v0, off
.LBB331_2537:
	s_mov_b64 s[14:15], 0
.LBB331_2538:
	s_andn2_b64 vcc, exec, s[14:15]
	s_cbranch_vccnz .LBB331_2546
; %bb.2539:
	v_cndmask_b32_e64 v8, 0, 1.0, s[4:5]
	s_mov_b32 s14, 0x43800000
	v_cmp_gt_u32_e32 vcc, s14, v8
	s_waitcnt vmcnt(0)
	v_mov_b32_e32 v11, 0x80
	s_and_saveexec_b64 s[14:15], vcc
	s_cbranch_execz .LBB331_2545
; %bb.2540:
	s_mov_b32 s20, 0x3bffffff
	v_cmp_lt_u32_e32 vcc, s20, v8
	s_mov_b64 s[20:21], 0
                                        ; implicit-def: $vgpr0
	s_and_saveexec_b64 s[22:23], vcc
	s_xor_b64 s[22:23], exec, s[22:23]
	s_cbranch_execz .LBB331_2994
; %bb.2541:
	v_bfe_u32 v0, v8, 20, 1
	s_mov_b32 s25, 0x487ffff
	v_add3_u32 v0, v8, v0, s25
	s_mov_b64 s[20:21], exec
	v_lshrrev_b32_e32 v0, 20, v0
                                        ; implicit-def: $vgpr8
	s_andn2_saveexec_b64 s[22:23], s[22:23]
	s_cbranch_execnz .LBB331_2995
.LBB331_2542:
	s_or_b64 exec, exec, s[22:23]
	v_mov_b32_e32 v11, 0
	s_and_saveexec_b64 s[22:23], s[20:21]
.LBB331_2543:
	v_mov_b32_e32 v11, v0
.LBB331_2544:
	s_or_b64 exec, exec, s[22:23]
.LBB331_2545:
	s_or_b64 exec, exec, s[14:15]
	global_store_byte v[2:3], v11, off
.LBB331_2546:
	s_mov_b64 s[14:15], -1
.LBB331_2547:
	s_mov_b64 s[20:21], 0
.LBB331_2548:
	s_and_b64 vcc, exec, s[20:21]
	s_cbranch_vccz .LBB331_2588
; %bb.2549:
	s_cmp_gt_i32 s13, 22
	s_mov_b64 s[10:11], -1
	s_cbranch_scc0 .LBB331_2581
; %bb.2550:
	s_cmp_lt_i32 s13, 24
	s_cbranch_scc1 .LBB331_2570
; %bb.2551:
	s_cmp_gt_i32 s13, 24
	s_cbranch_scc0 .LBB331_2559
; %bb.2552:
	v_cndmask_b32_e64 v8, 0, 1.0, s[4:5]
	s_mov_b32 s10, 0x47800000
	v_cmp_gt_u32_e32 vcc, s10, v8
	s_waitcnt vmcnt(0)
	v_mov_b32_e32 v11, 0x80
	s_and_saveexec_b64 s[10:11], vcc
	s_cbranch_execz .LBB331_2558
; %bb.2553:
	s_mov_b32 s14, 0x37ffffff
	v_cmp_lt_u32_e32 vcc, s14, v8
	s_mov_b64 s[14:15], 0
                                        ; implicit-def: $vgpr0
	s_and_saveexec_b64 s[20:21], vcc
	s_xor_b64 s[20:21], exec, s[20:21]
	s_cbranch_execz .LBB331_2997
; %bb.2554:
	v_bfe_u32 v0, v8, 21, 1
	s_mov_b32 s22, 0x88fffff
	v_add3_u32 v0, v8, v0, s22
	s_mov_b64 s[14:15], exec
	v_lshrrev_b32_e32 v0, 21, v0
                                        ; implicit-def: $vgpr8
	s_andn2_saveexec_b64 s[20:21], s[20:21]
	s_cbranch_execnz .LBB331_2998
.LBB331_2555:
	s_or_b64 exec, exec, s[20:21]
	v_mov_b32_e32 v11, 0
	s_and_saveexec_b64 s[20:21], s[14:15]
.LBB331_2556:
	v_mov_b32_e32 v11, v0
.LBB331_2557:
	s_or_b64 exec, exec, s[20:21]
.LBB331_2558:
	s_or_b64 exec, exec, s[10:11]
	s_mov_b64 s[10:11], 0
	global_store_byte v[2:3], v11, off
.LBB331_2559:
	s_and_b64 vcc, exec, s[10:11]
	s_cbranch_vccz .LBB331_2569
; %bb.2560:
	v_cndmask_b32_e64 v0, 0, 1.0, s[4:5]
	s_mov_b32 s10, 0x43f00000
	v_cmp_gt_u32_e32 vcc, s10, v0
                                        ; implicit-def: $vgpr8
	s_and_saveexec_b64 s[10:11], vcc
	s_xor_b64 s[10:11], exec, s[10:11]
	s_cbranch_execz .LBB331_2566
; %bb.2561:
	s_mov_b32 s14, 0x3c7fffff
	v_cmp_lt_u32_e32 vcc, s14, v0
                                        ; implicit-def: $vgpr8
	s_and_saveexec_b64 s[14:15], vcc
	s_xor_b64 s[14:15], exec, s[14:15]
	s_cbranch_execz .LBB331_2563
; %bb.2562:
	v_bfe_u32 v8, v0, 20, 1
	s_mov_b32 s20, 0x407ffff
	v_add3_u32 v0, v0, v8, s20
	v_lshrrev_b32_e32 v8, 20, v0
	v_and_b32_e32 v0, 0xff00000, v0
	s_mov_b32 s20, 0x7f00000
	s_waitcnt vmcnt(0)
	v_mov_b32_e32 v11, 0x7e
	v_cmp_ne_u32_e32 vcc, s20, v0
	v_cndmask_b32_e32 v8, v11, v8, vcc
                                        ; implicit-def: $vgpr0
.LBB331_2563:
	s_andn2_saveexec_b64 s[14:15], s[14:15]
; %bb.2564:
	v_add_f32_e32 v8, 0x46800000, v0
; %bb.2565:
	s_or_b64 exec, exec, s[14:15]
                                        ; implicit-def: $vgpr0
.LBB331_2566:
	s_andn2_saveexec_b64 s[10:11], s[10:11]
	s_cbranch_execz .LBB331_2568
; %bb.2567:
	s_mov_b32 s14, 0x7f800000
	v_mov_b32_e32 v8, 0x7e
	s_waitcnt vmcnt(0)
	v_mov_b32_e32 v11, 0x7f
	v_cmp_lt_u32_e32 vcc, s14, v0
	v_cndmask_b32_e32 v8, v8, v11, vcc
.LBB331_2568:
	s_or_b64 exec, exec, s[10:11]
	global_store_byte v[2:3], v8, off
.LBB331_2569:
	s_mov_b64 s[10:11], 0
.LBB331_2570:
	s_andn2_b64 vcc, exec, s[10:11]
	s_cbranch_vccnz .LBB331_2580
; %bb.2571:
	v_cndmask_b32_e64 v0, 0, 1.0, s[4:5]
	s_mov_b32 s10, 0x47800000
	v_cmp_gt_u32_e32 vcc, s10, v0
                                        ; implicit-def: $vgpr8
	s_and_saveexec_b64 s[10:11], vcc
	s_xor_b64 s[10:11], exec, s[10:11]
	s_cbranch_execz .LBB331_2577
; %bb.2572:
	s_mov_b32 s14, 0x387fffff
	v_cmp_lt_u32_e32 vcc, s14, v0
                                        ; implicit-def: $vgpr8
	s_and_saveexec_b64 s[14:15], vcc
	s_xor_b64 s[14:15], exec, s[14:15]
; %bb.2573:
	v_bfe_u32 v8, v0, 21, 1
	s_mov_b32 s20, 0x80fffff
	v_add3_u32 v0, v0, v8, s20
	v_lshrrev_b32_e32 v8, 21, v0
                                        ; implicit-def: $vgpr0
; %bb.2574:
	s_andn2_saveexec_b64 s[14:15], s[14:15]
; %bb.2575:
	v_add_f32_e32 v8, 0x43000000, v0
; %bb.2576:
	s_or_b64 exec, exec, s[14:15]
                                        ; implicit-def: $vgpr0
.LBB331_2577:
	s_andn2_saveexec_b64 s[10:11], s[10:11]
	s_cbranch_execz .LBB331_2579
; %bb.2578:
	s_mov_b32 s14, 0x7f800000
	v_mov_b32_e32 v8, 0x7c
	s_waitcnt vmcnt(0)
	v_mov_b32_e32 v11, 0x7f
	v_cmp_lt_u32_e32 vcc, s14, v0
	v_cndmask_b32_e32 v8, v8, v11, vcc
.LBB331_2579:
	s_or_b64 exec, exec, s[10:11]
	global_store_byte v[2:3], v8, off
.LBB331_2580:
	s_mov_b64 s[10:11], 0
	s_mov_b64 s[14:15], -1
.LBB331_2581:
	s_andn2_b64 vcc, exec, s[10:11]
	s_mov_b64 s[10:11], 0
	s_cbranch_vccnz .LBB331_2588
; %bb.2582:
	s_cmp_gt_i32 s13, 14
	s_mov_b64 s[20:21], -1
	s_cbranch_scc0 .LBB331_2586
; %bb.2583:
	s_cmp_eq_u32 s13, 15
	s_mov_b64 s[0:1], -1
	s_cbranch_scc0 .LBB331_2585
; %bb.2584:
	v_cndmask_b32_e64 v0, 0, 1.0, s[4:5]
	v_bfe_u32 v8, v0, 16, 1
	s_movk_i32 s0, 0x7fff
	v_add3_u32 v0, v0, v8, s0
	global_store_short_d16_hi v[2:3], v0, off
	s_mov_b64 s[0:1], 0
	s_mov_b64 s[14:15], -1
.LBB331_2585:
	s_mov_b64 s[20:21], 0
.LBB331_2586:
	s_and_b64 vcc, exec, s[20:21]
	s_cbranch_vccz .LBB331_2588
; %bb.2587:
	s_cmp_lg_u32 s13, 11
	s_mov_b64 s[10:11], -1
	s_cselect_b64 s[0:1], -1, 0
.LBB331_2588:
	s_and_b64 vcc, exec, s[0:1]
	s_cbranch_vccnz .LBB331_2996
; %bb.2589:
	s_andn2_b64 vcc, exec, s[10:11]
	s_cbranch_vccnz .LBB331_2591
.LBB331_2590:
	v_cndmask_b32_e64 v0, 0, 1, s[4:5]
	s_mov_b64 s[14:15], -1
	global_store_byte v[2:3], v0, off
.LBB331_2591:
	s_mov_b64 s[0:1], 0
	s_branch .LBB331_2593
.LBB331_2592:
	s_mov_b64 s[0:1], -1
	s_mov_b64 s[14:15], 0
.LBB331_2593:
	s_and_b64 vcc, exec, s[0:1]
	s_cbranch_vccz .LBB331_2632
; %bb.2594:
	s_and_b32 s10, 0xffff, s24
	s_cmp_lt_i32 s10, 5
	s_mov_b64 s[0:1], -1
	s_cbranch_scc1 .LBB331_2615
; %bb.2595:
	s_cmp_lt_i32 s10, 8
	s_cbranch_scc1 .LBB331_2605
; %bb.2596:
	s_cmp_lt_i32 s10, 9
	s_cbranch_scc1 .LBB331_2602
; %bb.2597:
	s_cmp_gt_i32 s10, 9
	s_cbranch_scc0 .LBB331_2599
; %bb.2598:
	v_cndmask_b32_e64 v0, 0, 1, s[4:5]
	s_waitcnt vmcnt(0)
	v_cvt_f64_u32_e32 v[11:12], v0
	v_mov_b32_e32 v13, 0
	v_mov_b32_e32 v14, v13
	s_mov_b64 s[0:1], 0
	global_store_dwordx4 v[2:3], v[11:14], off
.LBB331_2599:
	s_andn2_b64 vcc, exec, s[0:1]
	s_cbranch_vccnz .LBB331_2601
; %bb.2600:
	s_waitcnt vmcnt(0)
	v_cndmask_b32_e64 v11, 0, 1.0, s[4:5]
	v_mov_b32_e32 v12, 0
	global_store_dwordx2 v[2:3], v[11:12], off
.LBB331_2601:
	s_mov_b64 s[0:1], 0
.LBB331_2602:
	s_andn2_b64 vcc, exec, s[0:1]
	s_cbranch_vccnz .LBB331_2604
; %bb.2603:
	v_cndmask_b32_e64 v0, 0, 1.0, s[4:5]
	v_cvt_f16_f32_e32 v0, v0
	global_store_dword v[2:3], v0, off
.LBB331_2604:
	s_mov_b64 s[0:1], 0
.LBB331_2605:
	s_andn2_b64 vcc, exec, s[0:1]
	s_cbranch_vccnz .LBB331_2614
; %bb.2606:
	s_cmp_lt_i32 s10, 6
	s_mov_b64 s[0:1], -1
	s_cbranch_scc1 .LBB331_2612
; %bb.2607:
	s_cmp_gt_i32 s10, 6
	s_cbranch_scc0 .LBB331_2609
; %bb.2608:
	v_cndmask_b32_e64 v0, 0, 1, s[4:5]
	s_waitcnt vmcnt(0)
	v_cvt_f64_u32_e32 v[11:12], v0
	s_mov_b64 s[0:1], 0
	global_store_dwordx2 v[2:3], v[11:12], off
.LBB331_2609:
	s_andn2_b64 vcc, exec, s[0:1]
	s_cbranch_vccnz .LBB331_2611
; %bb.2610:
	v_cndmask_b32_e64 v0, 0, 1.0, s[4:5]
	global_store_dword v[2:3], v0, off
.LBB331_2611:
	s_mov_b64 s[0:1], 0
.LBB331_2612:
	s_andn2_b64 vcc, exec, s[0:1]
	s_cbranch_vccnz .LBB331_2614
; %bb.2613:
	v_cndmask_b32_e64 v0, 0, 1.0, s[4:5]
	v_cvt_f16_f32_e32 v0, v0
	global_store_short v[2:3], v0, off
.LBB331_2614:
	s_mov_b64 s[0:1], 0
.LBB331_2615:
	s_andn2_b64 vcc, exec, s[0:1]
	s_cbranch_vccnz .LBB331_2631
; %bb.2616:
	s_cmp_lt_i32 s10, 2
	s_mov_b64 s[0:1], -1
	s_cbranch_scc1 .LBB331_2626
; %bb.2617:
	s_cmp_lt_i32 s10, 3
	s_cbranch_scc1 .LBB331_2623
; %bb.2618:
	s_cmp_gt_i32 s10, 3
	s_cbranch_scc0 .LBB331_2620
; %bb.2619:
	s_mov_b32 s0, 0
	s_waitcnt vmcnt(0)
	v_cndmask_b32_e64 v11, 0, 1, s[4:5]
	v_mov_b32_e32 v12, s0
	global_store_dwordx2 v[2:3], v[11:12], off
	s_mov_b64 s[0:1], 0
.LBB331_2620:
	s_andn2_b64 vcc, exec, s[0:1]
	s_cbranch_vccnz .LBB331_2622
; %bb.2621:
	v_cndmask_b32_e64 v0, 0, 1, s[4:5]
	global_store_dword v[2:3], v0, off
.LBB331_2622:
	s_mov_b64 s[0:1], 0
.LBB331_2623:
	s_andn2_b64 vcc, exec, s[0:1]
	s_cbranch_vccnz .LBB331_2625
; %bb.2624:
	v_cndmask_b32_e64 v0, 0, 1, s[4:5]
	global_store_short v[2:3], v0, off
.LBB331_2625:
	s_mov_b64 s[0:1], 0
.LBB331_2626:
	s_andn2_b64 vcc, exec, s[0:1]
	s_cbranch_vccnz .LBB331_2631
; %bb.2627:
	s_mov_b64 s[0:1], -1
	s_cmp_gt_i32 s10, 0
	v_cndmask_b32_e64 v0, 0, 1, s[4:5]
	s_cbranch_scc0 .LBB331_2629
; %bb.2628:
	global_store_byte v[2:3], v0, off
	s_mov_b64 s[0:1], 0
.LBB331_2629:
	s_andn2_b64 vcc, exec, s[0:1]
	s_cbranch_vccnz .LBB331_2631
; %bb.2630:
	global_store_byte v[2:3], v0, off
.LBB331_2631:
	s_mov_b64 s[14:15], -1
.LBB331_2632:
	s_andn2_b64 vcc, exec, s[14:15]
	s_cbranch_vccnz .LBB331_2947
; %bb.2633:
	s_lshl_b32 s22, s12, 7
	v_cmp_ne_u16_e32 vcc, v1, v6
	v_add_u32_e32 v2, s22, v5
	s_xor_b64 s[4:5], s[2:3], vcc
	v_ashrrev_i32_e32 v1, 31, v2
	v_mov_b32_e32 v3, s9
	v_add_co_u32_e32 v0, vcc, s8, v2
	s_cmp_lt_i32 s24, 11
	v_addc_co_u32_e32 v1, vcc, v3, v1, vcc
	s_cbranch_scc1 .LBB331_2711
; %bb.2634:
	s_and_b32 s23, 0xffff, s24
	s_mov_b64 s[14:15], -1
	s_mov_b64 s[10:11], 0
	s_cmp_gt_i32 s23, 25
	s_mov_b64 s[12:13], 0
	s_mov_b64 s[0:1], 0
	s_cbranch_scc0 .LBB331_2667
; %bb.2635:
	s_cmp_gt_i32 s23, 28
	s_cbranch_scc0 .LBB331_2650
; %bb.2636:
	s_cmp_gt_i32 s23, 43
	;; [unrolled: 3-line block ×3, first 2 shown]
	s_cbranch_scc0 .LBB331_2640
; %bb.2638:
	s_mov_b64 s[0:1], -1
	s_mov_b64 s[14:15], 0
	s_cmp_eq_u32 s23, 46
	s_cbranch_scc0 .LBB331_2640
; %bb.2639:
	v_cndmask_b32_e64 v3, 0, 1.0, s[4:5]
	v_bfe_u32 v5, v3, 16, 1
	s_movk_i32 s0, 0x7fff
	v_add3_u32 v3, v3, v5, s0
	v_lshrrev_b32_e32 v3, 16, v3
	global_store_dword v[0:1], v3, off
	s_mov_b64 s[0:1], 0
	s_mov_b64 s[12:13], -1
.LBB331_2640:
	s_and_b64 vcc, exec, s[14:15]
	s_cbranch_vccz .LBB331_2645
; %bb.2641:
	s_cmp_eq_u32 s23, 44
	s_mov_b64 s[0:1], -1
	s_cbranch_scc0 .LBB331_2645
; %bb.2642:
	v_cndmask_b32_e64 v5, 0, 1.0, s[4:5]
	v_lshrrev_b32_e32 v3, 23, v5
	s_movk_i32 s0, 0xff
	v_cmp_ne_u32_e32 vcc, s0, v3
	v_mov_b32_e32 v6, 0xff
	s_and_saveexec_b64 s[12:13], vcc
; %bb.2643:
	s_mov_b32 s0, 0x3fffff
	v_and_b32_e32 v6, 0x400000, v5
	v_and_or_b32 v5, v5, s0, v3
	v_cmp_ne_u32_e32 vcc, 0, v6
	v_cmp_ne_u32_e64 s[0:1], 0, v5
	s_and_b64 s[0:1], vcc, s[0:1]
	v_cndmask_b32_e64 v5, 0, 1, s[0:1]
	v_add_u32_e32 v6, v3, v5
; %bb.2644:
	s_or_b64 exec, exec, s[12:13]
	s_mov_b64 s[0:1], 0
	s_mov_b64 s[12:13], -1
	global_store_byte v[0:1], v6, off
.LBB331_2645:
	s_mov_b64 s[14:15], 0
.LBB331_2646:
	s_and_b64 vcc, exec, s[14:15]
	s_cbranch_vccz .LBB331_2649
; %bb.2647:
	s_cmp_eq_u32 s23, 29
	s_mov_b64 s[0:1], -1
	s_cbranch_scc0 .LBB331_2649
; %bb.2648:
	s_mov_b32 s0, 0
	v_cndmask_b32_e64 v5, 0, 1, s[4:5]
	v_mov_b32_e32 v6, s0
	global_store_dwordx2 v[0:1], v[5:6], off
	s_mov_b64 s[0:1], 0
	s_mov_b64 s[12:13], -1
.LBB331_2649:
	s_mov_b64 s[14:15], 0
.LBB331_2650:
	s_and_b64 vcc, exec, s[14:15]
	s_cbranch_vccz .LBB331_2666
; %bb.2651:
	s_cmp_lt_i32 s23, 27
	s_mov_b64 s[12:13], -1
	s_cbranch_scc1 .LBB331_2657
; %bb.2652:
	s_cmp_gt_i32 s23, 27
	s_cbranch_scc0 .LBB331_2654
; %bb.2653:
	v_cndmask_b32_e64 v3, 0, 1, s[4:5]
	s_mov_b64 s[12:13], 0
	global_store_dword v[0:1], v3, off
.LBB331_2654:
	s_andn2_b64 vcc, exec, s[12:13]
	s_cbranch_vccnz .LBB331_2656
; %bb.2655:
	v_cndmask_b32_e64 v3, 0, 1, s[4:5]
	global_store_short v[0:1], v3, off
.LBB331_2656:
	s_mov_b64 s[12:13], 0
.LBB331_2657:
	s_andn2_b64 vcc, exec, s[12:13]
	s_cbranch_vccnz .LBB331_2665
; %bb.2658:
	v_cndmask_b32_e64 v5, 0, 1.0, s[4:5]
	s_mov_b32 s12, 0x43800000
	v_cmp_gt_u32_e32 vcc, s12, v5
	v_mov_b32_e32 v6, 0x80
	s_and_saveexec_b64 s[12:13], vcc
	s_cbranch_execz .LBB331_2664
; %bb.2659:
	s_mov_b32 s14, 0x3bffffff
	v_cmp_lt_u32_e32 vcc, s14, v5
	s_mov_b64 s[14:15], 0
                                        ; implicit-def: $vgpr3
	s_and_saveexec_b64 s[20:21], vcc
	s_xor_b64 s[20:21], exec, s[20:21]
	s_cbranch_execz .LBB331_2999
; %bb.2660:
	v_bfe_u32 v3, v5, 20, 1
	s_mov_b32 s25, 0x487ffff
	v_add3_u32 v3, v5, v3, s25
	s_mov_b64 s[14:15], exec
	v_lshrrev_b32_e32 v3, 20, v3
                                        ; implicit-def: $vgpr5
	s_andn2_saveexec_b64 s[20:21], s[20:21]
	s_cbranch_execnz .LBB331_3000
.LBB331_2661:
	s_or_b64 exec, exec, s[20:21]
	v_mov_b32_e32 v6, 0
	s_and_saveexec_b64 s[20:21], s[14:15]
.LBB331_2662:
	v_mov_b32_e32 v6, v3
.LBB331_2663:
	s_or_b64 exec, exec, s[20:21]
.LBB331_2664:
	s_or_b64 exec, exec, s[12:13]
	global_store_byte v[0:1], v6, off
.LBB331_2665:
	s_mov_b64 s[12:13], -1
.LBB331_2666:
	s_mov_b64 s[14:15], 0
.LBB331_2667:
	s_and_b64 vcc, exec, s[14:15]
	s_cbranch_vccz .LBB331_2707
; %bb.2668:
	s_cmp_gt_i32 s23, 22
	s_mov_b64 s[10:11], -1
	s_cbranch_scc0 .LBB331_2700
; %bb.2669:
	s_cmp_lt_i32 s23, 24
	s_cbranch_scc1 .LBB331_2689
; %bb.2670:
	s_cmp_gt_i32 s23, 24
	s_cbranch_scc0 .LBB331_2678
; %bb.2671:
	v_cndmask_b32_e64 v5, 0, 1.0, s[4:5]
	s_mov_b32 s10, 0x47800000
	v_cmp_gt_u32_e32 vcc, s10, v5
	v_mov_b32_e32 v6, 0x80
	s_and_saveexec_b64 s[10:11], vcc
	s_cbranch_execz .LBB331_2677
; %bb.2672:
	s_mov_b32 s12, 0x37ffffff
	v_cmp_lt_u32_e32 vcc, s12, v5
	s_mov_b64 s[12:13], 0
                                        ; implicit-def: $vgpr3
	s_and_saveexec_b64 s[14:15], vcc
	s_xor_b64 s[14:15], exec, s[14:15]
	s_cbranch_execz .LBB331_3002
; %bb.2673:
	v_bfe_u32 v3, v5, 21, 1
	s_mov_b32 s20, 0x88fffff
	v_add3_u32 v3, v5, v3, s20
	s_mov_b64 s[12:13], exec
	v_lshrrev_b32_e32 v3, 21, v3
                                        ; implicit-def: $vgpr5
	s_andn2_saveexec_b64 s[14:15], s[14:15]
	s_cbranch_execnz .LBB331_3003
.LBB331_2674:
	s_or_b64 exec, exec, s[14:15]
	v_mov_b32_e32 v6, 0
	s_and_saveexec_b64 s[14:15], s[12:13]
.LBB331_2675:
	v_mov_b32_e32 v6, v3
.LBB331_2676:
	s_or_b64 exec, exec, s[14:15]
.LBB331_2677:
	s_or_b64 exec, exec, s[10:11]
	s_mov_b64 s[10:11], 0
	global_store_byte v[0:1], v6, off
.LBB331_2678:
	s_and_b64 vcc, exec, s[10:11]
	s_cbranch_vccz .LBB331_2688
; %bb.2679:
	v_cndmask_b32_e64 v3, 0, 1.0, s[4:5]
	s_mov_b32 s10, 0x43f00000
	v_cmp_gt_u32_e32 vcc, s10, v3
                                        ; implicit-def: $vgpr5
	s_and_saveexec_b64 s[10:11], vcc
	s_xor_b64 s[10:11], exec, s[10:11]
	s_cbranch_execz .LBB331_2685
; %bb.2680:
	s_mov_b32 s12, 0x3c7fffff
	v_cmp_lt_u32_e32 vcc, s12, v3
                                        ; implicit-def: $vgpr5
	s_and_saveexec_b64 s[12:13], vcc
	s_xor_b64 s[12:13], exec, s[12:13]
; %bb.2681:
	v_bfe_u32 v5, v3, 20, 1
	s_mov_b32 s14, 0x407ffff
	v_add3_u32 v3, v3, v5, s14
	v_lshrrev_b32_e32 v5, 20, v3
	v_and_b32_e32 v3, 0xff00000, v3
	s_mov_b32 s14, 0x7f00000
	v_mov_b32_e32 v6, 0x7e
	v_cmp_ne_u32_e32 vcc, s14, v3
	v_cndmask_b32_e32 v5, v6, v5, vcc
                                        ; implicit-def: $vgpr3
; %bb.2682:
	s_andn2_saveexec_b64 s[12:13], s[12:13]
; %bb.2683:
	v_add_f32_e32 v5, 0x46800000, v3
; %bb.2684:
	s_or_b64 exec, exec, s[12:13]
                                        ; implicit-def: $vgpr3
.LBB331_2685:
	s_andn2_saveexec_b64 s[10:11], s[10:11]
; %bb.2686:
	s_mov_b32 s12, 0x7f800000
	v_mov_b32_e32 v5, 0x7e
	v_mov_b32_e32 v6, 0x7f
	v_cmp_lt_u32_e32 vcc, s12, v3
	v_cndmask_b32_e32 v5, v5, v6, vcc
; %bb.2687:
	s_or_b64 exec, exec, s[10:11]
	global_store_byte v[0:1], v5, off
.LBB331_2688:
	s_mov_b64 s[10:11], 0
.LBB331_2689:
	s_andn2_b64 vcc, exec, s[10:11]
	s_cbranch_vccnz .LBB331_2699
; %bb.2690:
	v_cndmask_b32_e64 v3, 0, 1.0, s[4:5]
	s_mov_b32 s10, 0x47800000
	v_cmp_gt_u32_e32 vcc, s10, v3
                                        ; implicit-def: $vgpr5
	s_and_saveexec_b64 s[10:11], vcc
	s_xor_b64 s[10:11], exec, s[10:11]
	s_cbranch_execz .LBB331_2696
; %bb.2691:
	s_mov_b32 s12, 0x387fffff
	v_cmp_lt_u32_e32 vcc, s12, v3
                                        ; implicit-def: $vgpr5
	s_and_saveexec_b64 s[12:13], vcc
	s_xor_b64 s[12:13], exec, s[12:13]
; %bb.2692:
	v_bfe_u32 v5, v3, 21, 1
	s_mov_b32 s14, 0x80fffff
	v_add3_u32 v3, v3, v5, s14
	v_lshrrev_b32_e32 v5, 21, v3
                                        ; implicit-def: $vgpr3
; %bb.2693:
	s_andn2_saveexec_b64 s[12:13], s[12:13]
; %bb.2694:
	v_add_f32_e32 v5, 0x43000000, v3
; %bb.2695:
	s_or_b64 exec, exec, s[12:13]
                                        ; implicit-def: $vgpr3
.LBB331_2696:
	s_andn2_saveexec_b64 s[10:11], s[10:11]
; %bb.2697:
	s_mov_b32 s12, 0x7f800000
	v_mov_b32_e32 v5, 0x7c
	v_mov_b32_e32 v6, 0x7f
	v_cmp_lt_u32_e32 vcc, s12, v3
	v_cndmask_b32_e32 v5, v5, v6, vcc
; %bb.2698:
	s_or_b64 exec, exec, s[10:11]
	global_store_byte v[0:1], v5, off
.LBB331_2699:
	s_mov_b64 s[10:11], 0
	s_mov_b64 s[12:13], -1
.LBB331_2700:
	s_andn2_b64 vcc, exec, s[10:11]
	s_mov_b64 s[10:11], 0
	s_cbranch_vccnz .LBB331_2707
; %bb.2701:
	s_cmp_gt_i32 s23, 14
	s_mov_b64 s[14:15], -1
	s_cbranch_scc0 .LBB331_2705
; %bb.2702:
	s_cmp_eq_u32 s23, 15
	s_mov_b64 s[0:1], -1
	s_cbranch_scc0 .LBB331_2704
; %bb.2703:
	v_cndmask_b32_e64 v3, 0, 1.0, s[4:5]
	v_bfe_u32 v5, v3, 16, 1
	s_movk_i32 s0, 0x7fff
	v_add3_u32 v3, v3, v5, s0
	global_store_short_d16_hi v[0:1], v3, off
	s_mov_b64 s[0:1], 0
	s_mov_b64 s[12:13], -1
.LBB331_2704:
	s_mov_b64 s[14:15], 0
.LBB331_2705:
	s_and_b64 vcc, exec, s[14:15]
	s_cbranch_vccz .LBB331_2707
; %bb.2706:
	s_cmp_lg_u32 s23, 11
	s_mov_b64 s[10:11], -1
	s_cselect_b64 s[0:1], -1, 0
.LBB331_2707:
	s_and_b64 vcc, exec, s[0:1]
	s_cbranch_vccnz .LBB331_3001
; %bb.2708:
	s_andn2_b64 vcc, exec, s[10:11]
	s_cbranch_vccnz .LBB331_2710
.LBB331_2709:
	v_cndmask_b32_e64 v3, 0, 1, s[4:5]
	s_mov_b64 s[12:13], -1
	global_store_byte v[0:1], v3, off
.LBB331_2710:
	s_mov_b64 s[0:1], 0
	s_branch .LBB331_2712
.LBB331_2711:
	s_mov_b64 s[0:1], -1
	s_mov_b64 s[12:13], 0
.LBB331_2712:
	s_and_b64 vcc, exec, s[0:1]
	s_cbranch_vccz .LBB331_2751
; %bb.2713:
	s_and_b32 s10, 0xffff, s24
	s_cmp_lt_i32 s10, 5
	s_mov_b64 s[0:1], -1
	s_cbranch_scc1 .LBB331_2734
; %bb.2714:
	s_cmp_lt_i32 s10, 8
	s_cbranch_scc1 .LBB331_2724
; %bb.2715:
	s_cmp_lt_i32 s10, 9
	s_cbranch_scc1 .LBB331_2721
; %bb.2716:
	s_cmp_gt_i32 s10, 9
	s_cbranch_scc0 .LBB331_2718
; %bb.2717:
	v_cndmask_b32_e64 v3, 0, 1, s[4:5]
	s_waitcnt vmcnt(0)
	v_cvt_f64_u32_e32 v[11:12], v3
	v_mov_b32_e32 v13, 0
	v_mov_b32_e32 v14, v13
	s_mov_b64 s[0:1], 0
	global_store_dwordx4 v[0:1], v[11:14], off
.LBB331_2718:
	s_andn2_b64 vcc, exec, s[0:1]
	s_cbranch_vccnz .LBB331_2720
; %bb.2719:
	v_cndmask_b32_e64 v5, 0, 1.0, s[4:5]
	v_mov_b32_e32 v6, 0
	global_store_dwordx2 v[0:1], v[5:6], off
.LBB331_2720:
	s_mov_b64 s[0:1], 0
.LBB331_2721:
	s_andn2_b64 vcc, exec, s[0:1]
	s_cbranch_vccnz .LBB331_2723
; %bb.2722:
	v_cndmask_b32_e64 v3, 0, 1.0, s[4:5]
	v_cvt_f16_f32_e32 v3, v3
	global_store_dword v[0:1], v3, off
.LBB331_2723:
	s_mov_b64 s[0:1], 0
.LBB331_2724:
	s_andn2_b64 vcc, exec, s[0:1]
	s_cbranch_vccnz .LBB331_2733
; %bb.2725:
	s_cmp_lt_i32 s10, 6
	s_mov_b64 s[0:1], -1
	s_cbranch_scc1 .LBB331_2731
; %bb.2726:
	s_cmp_gt_i32 s10, 6
	s_cbranch_scc0 .LBB331_2728
; %bb.2727:
	v_cndmask_b32_e64 v3, 0, 1, s[4:5]
	v_cvt_f64_u32_e32 v[5:6], v3
	s_mov_b64 s[0:1], 0
	global_store_dwordx2 v[0:1], v[5:6], off
.LBB331_2728:
	s_andn2_b64 vcc, exec, s[0:1]
	s_cbranch_vccnz .LBB331_2730
; %bb.2729:
	v_cndmask_b32_e64 v3, 0, 1.0, s[4:5]
	global_store_dword v[0:1], v3, off
.LBB331_2730:
	s_mov_b64 s[0:1], 0
.LBB331_2731:
	s_andn2_b64 vcc, exec, s[0:1]
	s_cbranch_vccnz .LBB331_2733
; %bb.2732:
	v_cndmask_b32_e64 v3, 0, 1.0, s[4:5]
	v_cvt_f16_f32_e32 v3, v3
	global_store_short v[0:1], v3, off
.LBB331_2733:
	s_mov_b64 s[0:1], 0
.LBB331_2734:
	s_andn2_b64 vcc, exec, s[0:1]
	s_cbranch_vccnz .LBB331_2750
; %bb.2735:
	s_cmp_lt_i32 s10, 2
	s_mov_b64 s[0:1], -1
	s_cbranch_scc1 .LBB331_2745
; %bb.2736:
	s_cmp_lt_i32 s10, 3
	s_cbranch_scc1 .LBB331_2742
; %bb.2737:
	s_cmp_gt_i32 s10, 3
	s_cbranch_scc0 .LBB331_2739
; %bb.2738:
	s_mov_b32 s0, 0
	v_cndmask_b32_e64 v5, 0, 1, s[4:5]
	v_mov_b32_e32 v6, s0
	global_store_dwordx2 v[0:1], v[5:6], off
	s_mov_b64 s[0:1], 0
.LBB331_2739:
	s_andn2_b64 vcc, exec, s[0:1]
	s_cbranch_vccnz .LBB331_2741
; %bb.2740:
	v_cndmask_b32_e64 v3, 0, 1, s[4:5]
	global_store_dword v[0:1], v3, off
.LBB331_2741:
	s_mov_b64 s[0:1], 0
.LBB331_2742:
	s_andn2_b64 vcc, exec, s[0:1]
	s_cbranch_vccnz .LBB331_2744
; %bb.2743:
	v_cndmask_b32_e64 v3, 0, 1, s[4:5]
	global_store_short v[0:1], v3, off
.LBB331_2744:
	s_mov_b64 s[0:1], 0
.LBB331_2745:
	s_andn2_b64 vcc, exec, s[0:1]
	s_cbranch_vccnz .LBB331_2750
; %bb.2746:
	s_mov_b64 s[0:1], -1
	s_cmp_gt_i32 s10, 0
	v_cndmask_b32_e64 v3, 0, 1, s[4:5]
	s_cbranch_scc0 .LBB331_2748
; %bb.2747:
	global_store_byte v[0:1], v3, off
	s_mov_b64 s[0:1], 0
.LBB331_2748:
	s_andn2_b64 vcc, exec, s[0:1]
	s_cbranch_vccnz .LBB331_2750
; %bb.2749:
	global_store_byte v[0:1], v3, off
.LBB331_2750:
	s_mov_b64 s[12:13], -1
.LBB331_2751:
	s_andn2_b64 vcc, exec, s[12:13]
	s_cbranch_vccnz .LBB331_2947
; %bb.2752:
	v_cmp_ne_u16_e32 vcc, v4, v9
	v_add_u32_e32 v2, s22, v2
	s_xor_b64 s[4:5], s[2:3], vcc
	v_ashrrev_i32_e32 v1, 31, v2
	v_mov_b32_e32 v3, s9
	v_add_co_u32_e32 v0, vcc, s8, v2
	s_cmp_lt_i32 s24, 11
	v_addc_co_u32_e32 v1, vcc, v3, v1, vcc
	s_cbranch_scc1 .LBB331_2830
; %bb.2753:
	s_and_b32 s23, 0xffff, s24
	s_mov_b64 s[14:15], -1
	s_mov_b64 s[10:11], 0
	s_cmp_gt_i32 s23, 25
	s_mov_b64 s[12:13], 0
	s_mov_b64 s[0:1], 0
	s_cbranch_scc0 .LBB331_2786
; %bb.2754:
	s_cmp_gt_i32 s23, 28
	s_cbranch_scc0 .LBB331_2769
; %bb.2755:
	s_cmp_gt_i32 s23, 43
	;; [unrolled: 3-line block ×3, first 2 shown]
	s_cbranch_scc0 .LBB331_2759
; %bb.2757:
	s_mov_b64 s[0:1], -1
	s_mov_b64 s[14:15], 0
	s_cmp_eq_u32 s23, 46
	s_cbranch_scc0 .LBB331_2759
; %bb.2758:
	v_cndmask_b32_e64 v3, 0, 1.0, s[4:5]
	v_bfe_u32 v4, v3, 16, 1
	s_movk_i32 s0, 0x7fff
	v_add3_u32 v3, v3, v4, s0
	v_lshrrev_b32_e32 v3, 16, v3
	global_store_dword v[0:1], v3, off
	s_mov_b64 s[0:1], 0
	s_mov_b64 s[12:13], -1
.LBB331_2759:
	s_and_b64 vcc, exec, s[14:15]
	s_cbranch_vccz .LBB331_2764
; %bb.2760:
	s_cmp_eq_u32 s23, 44
	s_mov_b64 s[0:1], -1
	s_cbranch_scc0 .LBB331_2764
; %bb.2761:
	v_cndmask_b32_e64 v4, 0, 1.0, s[4:5]
	v_lshrrev_b32_e32 v3, 23, v4
	s_movk_i32 s0, 0xff
	v_cmp_ne_u32_e32 vcc, s0, v3
	v_mov_b32_e32 v5, 0xff
	s_and_saveexec_b64 s[12:13], vcc
; %bb.2762:
	s_mov_b32 s0, 0x3fffff
	v_and_b32_e32 v5, 0x400000, v4
	v_and_or_b32 v4, v4, s0, v3
	v_cmp_ne_u32_e32 vcc, 0, v5
	v_cmp_ne_u32_e64 s[0:1], 0, v4
	s_and_b64 s[0:1], vcc, s[0:1]
	v_cndmask_b32_e64 v4, 0, 1, s[0:1]
	v_add_u32_e32 v5, v3, v4
; %bb.2763:
	s_or_b64 exec, exec, s[12:13]
	s_mov_b64 s[0:1], 0
	s_mov_b64 s[12:13], -1
	global_store_byte v[0:1], v5, off
.LBB331_2764:
	s_mov_b64 s[14:15], 0
.LBB331_2765:
	s_and_b64 vcc, exec, s[14:15]
	s_cbranch_vccz .LBB331_2768
; %bb.2766:
	s_cmp_eq_u32 s23, 29
	s_mov_b64 s[0:1], -1
	s_cbranch_scc0 .LBB331_2768
; %bb.2767:
	s_mov_b32 s0, 0
	v_cndmask_b32_e64 v3, 0, 1, s[4:5]
	v_mov_b32_e32 v4, s0
	global_store_dwordx2 v[0:1], v[3:4], off
	s_mov_b64 s[0:1], 0
	s_mov_b64 s[12:13], -1
.LBB331_2768:
	s_mov_b64 s[14:15], 0
.LBB331_2769:
	s_and_b64 vcc, exec, s[14:15]
	s_cbranch_vccz .LBB331_2785
; %bb.2770:
	s_cmp_lt_i32 s23, 27
	s_mov_b64 s[12:13], -1
	s_cbranch_scc1 .LBB331_2776
; %bb.2771:
	s_cmp_gt_i32 s23, 27
	s_cbranch_scc0 .LBB331_2773
; %bb.2772:
	v_cndmask_b32_e64 v3, 0, 1, s[4:5]
	s_mov_b64 s[12:13], 0
	global_store_dword v[0:1], v3, off
.LBB331_2773:
	s_andn2_b64 vcc, exec, s[12:13]
	s_cbranch_vccnz .LBB331_2775
; %bb.2774:
	v_cndmask_b32_e64 v3, 0, 1, s[4:5]
	global_store_short v[0:1], v3, off
.LBB331_2775:
	s_mov_b64 s[12:13], 0
.LBB331_2776:
	s_andn2_b64 vcc, exec, s[12:13]
	s_cbranch_vccnz .LBB331_2784
; %bb.2777:
	v_cndmask_b32_e64 v4, 0, 1.0, s[4:5]
	s_mov_b32 s12, 0x43800000
	v_cmp_gt_u32_e32 vcc, s12, v4
	v_mov_b32_e32 v5, 0x80
	s_and_saveexec_b64 s[12:13], vcc
	s_cbranch_execz .LBB331_2783
; %bb.2778:
	s_mov_b32 s14, 0x3bffffff
	v_cmp_lt_u32_e32 vcc, s14, v4
	s_mov_b64 s[14:15], 0
                                        ; implicit-def: $vgpr3
	s_and_saveexec_b64 s[20:21], vcc
	s_xor_b64 s[20:21], exec, s[20:21]
	s_cbranch_execz .LBB331_3004
; %bb.2779:
	v_bfe_u32 v3, v4, 20, 1
	s_mov_b32 s25, 0x487ffff
	v_add3_u32 v3, v4, v3, s25
	s_mov_b64 s[14:15], exec
	v_lshrrev_b32_e32 v3, 20, v3
                                        ; implicit-def: $vgpr4
	s_andn2_saveexec_b64 s[20:21], s[20:21]
	s_cbranch_execnz .LBB331_3005
.LBB331_2780:
	s_or_b64 exec, exec, s[20:21]
	v_mov_b32_e32 v5, 0
	s_and_saveexec_b64 s[20:21], s[14:15]
.LBB331_2781:
	v_mov_b32_e32 v5, v3
.LBB331_2782:
	s_or_b64 exec, exec, s[20:21]
.LBB331_2783:
	s_or_b64 exec, exec, s[12:13]
	global_store_byte v[0:1], v5, off
.LBB331_2784:
	s_mov_b64 s[12:13], -1
.LBB331_2785:
	s_mov_b64 s[14:15], 0
.LBB331_2786:
	s_and_b64 vcc, exec, s[14:15]
	s_cbranch_vccz .LBB331_2826
; %bb.2787:
	s_cmp_gt_i32 s23, 22
	s_mov_b64 s[10:11], -1
	s_cbranch_scc0 .LBB331_2819
; %bb.2788:
	s_cmp_lt_i32 s23, 24
	s_cbranch_scc1 .LBB331_2808
; %bb.2789:
	s_cmp_gt_i32 s23, 24
	s_cbranch_scc0 .LBB331_2797
; %bb.2790:
	v_cndmask_b32_e64 v4, 0, 1.0, s[4:5]
	s_mov_b32 s10, 0x47800000
	v_cmp_gt_u32_e32 vcc, s10, v4
	v_mov_b32_e32 v5, 0x80
	s_and_saveexec_b64 s[10:11], vcc
	s_cbranch_execz .LBB331_2796
; %bb.2791:
	s_mov_b32 s12, 0x37ffffff
	v_cmp_lt_u32_e32 vcc, s12, v4
	s_mov_b64 s[12:13], 0
                                        ; implicit-def: $vgpr3
	s_and_saveexec_b64 s[14:15], vcc
	s_xor_b64 s[14:15], exec, s[14:15]
	s_cbranch_execz .LBB331_3007
; %bb.2792:
	v_bfe_u32 v3, v4, 21, 1
	s_mov_b32 s20, 0x88fffff
	v_add3_u32 v3, v4, v3, s20
	s_mov_b64 s[12:13], exec
	v_lshrrev_b32_e32 v3, 21, v3
                                        ; implicit-def: $vgpr4
	s_andn2_saveexec_b64 s[14:15], s[14:15]
	s_cbranch_execnz .LBB331_3008
.LBB331_2793:
	s_or_b64 exec, exec, s[14:15]
	v_mov_b32_e32 v5, 0
	s_and_saveexec_b64 s[14:15], s[12:13]
.LBB331_2794:
	v_mov_b32_e32 v5, v3
.LBB331_2795:
	s_or_b64 exec, exec, s[14:15]
.LBB331_2796:
	s_or_b64 exec, exec, s[10:11]
	s_mov_b64 s[10:11], 0
	global_store_byte v[0:1], v5, off
.LBB331_2797:
	s_and_b64 vcc, exec, s[10:11]
	s_cbranch_vccz .LBB331_2807
; %bb.2798:
	v_cndmask_b32_e64 v3, 0, 1.0, s[4:5]
	s_mov_b32 s10, 0x43f00000
	v_cmp_gt_u32_e32 vcc, s10, v3
                                        ; implicit-def: $vgpr4
	s_and_saveexec_b64 s[10:11], vcc
	s_xor_b64 s[10:11], exec, s[10:11]
	s_cbranch_execz .LBB331_2804
; %bb.2799:
	s_mov_b32 s12, 0x3c7fffff
	v_cmp_lt_u32_e32 vcc, s12, v3
                                        ; implicit-def: $vgpr4
	s_and_saveexec_b64 s[12:13], vcc
	s_xor_b64 s[12:13], exec, s[12:13]
; %bb.2800:
	v_bfe_u32 v4, v3, 20, 1
	s_mov_b32 s14, 0x407ffff
	v_add3_u32 v3, v3, v4, s14
	v_lshrrev_b32_e32 v4, 20, v3
	v_and_b32_e32 v3, 0xff00000, v3
	s_mov_b32 s14, 0x7f00000
	v_mov_b32_e32 v5, 0x7e
	v_cmp_ne_u32_e32 vcc, s14, v3
	v_cndmask_b32_e32 v4, v5, v4, vcc
                                        ; implicit-def: $vgpr3
; %bb.2801:
	s_andn2_saveexec_b64 s[12:13], s[12:13]
; %bb.2802:
	v_add_f32_e32 v4, 0x46800000, v3
; %bb.2803:
	s_or_b64 exec, exec, s[12:13]
                                        ; implicit-def: $vgpr3
.LBB331_2804:
	s_andn2_saveexec_b64 s[10:11], s[10:11]
; %bb.2805:
	s_mov_b32 s12, 0x7f800000
	v_mov_b32_e32 v4, 0x7e
	v_mov_b32_e32 v5, 0x7f
	v_cmp_lt_u32_e32 vcc, s12, v3
	v_cndmask_b32_e32 v4, v4, v5, vcc
; %bb.2806:
	s_or_b64 exec, exec, s[10:11]
	global_store_byte v[0:1], v4, off
.LBB331_2807:
	s_mov_b64 s[10:11], 0
.LBB331_2808:
	s_andn2_b64 vcc, exec, s[10:11]
	s_cbranch_vccnz .LBB331_2818
; %bb.2809:
	v_cndmask_b32_e64 v3, 0, 1.0, s[4:5]
	s_mov_b32 s10, 0x47800000
	v_cmp_gt_u32_e32 vcc, s10, v3
                                        ; implicit-def: $vgpr4
	s_and_saveexec_b64 s[10:11], vcc
	s_xor_b64 s[10:11], exec, s[10:11]
	s_cbranch_execz .LBB331_2815
; %bb.2810:
	s_mov_b32 s12, 0x387fffff
	v_cmp_lt_u32_e32 vcc, s12, v3
                                        ; implicit-def: $vgpr4
	s_and_saveexec_b64 s[12:13], vcc
	s_xor_b64 s[12:13], exec, s[12:13]
; %bb.2811:
	v_bfe_u32 v4, v3, 21, 1
	s_mov_b32 s14, 0x80fffff
	v_add3_u32 v3, v3, v4, s14
	v_lshrrev_b32_e32 v4, 21, v3
                                        ; implicit-def: $vgpr3
; %bb.2812:
	s_andn2_saveexec_b64 s[12:13], s[12:13]
; %bb.2813:
	v_add_f32_e32 v4, 0x43000000, v3
; %bb.2814:
	s_or_b64 exec, exec, s[12:13]
                                        ; implicit-def: $vgpr3
.LBB331_2815:
	s_andn2_saveexec_b64 s[10:11], s[10:11]
; %bb.2816:
	s_mov_b32 s12, 0x7f800000
	v_mov_b32_e32 v4, 0x7c
	v_mov_b32_e32 v5, 0x7f
	v_cmp_lt_u32_e32 vcc, s12, v3
	v_cndmask_b32_e32 v4, v4, v5, vcc
; %bb.2817:
	s_or_b64 exec, exec, s[10:11]
	global_store_byte v[0:1], v4, off
.LBB331_2818:
	s_mov_b64 s[10:11], 0
	s_mov_b64 s[12:13], -1
.LBB331_2819:
	s_andn2_b64 vcc, exec, s[10:11]
	s_mov_b64 s[10:11], 0
	s_cbranch_vccnz .LBB331_2826
; %bb.2820:
	s_cmp_gt_i32 s23, 14
	s_mov_b64 s[14:15], -1
	s_cbranch_scc0 .LBB331_2824
; %bb.2821:
	s_cmp_eq_u32 s23, 15
	s_mov_b64 s[0:1], -1
	s_cbranch_scc0 .LBB331_2823
; %bb.2822:
	v_cndmask_b32_e64 v3, 0, 1.0, s[4:5]
	v_bfe_u32 v4, v3, 16, 1
	s_movk_i32 s0, 0x7fff
	v_add3_u32 v3, v3, v4, s0
	global_store_short_d16_hi v[0:1], v3, off
	s_mov_b64 s[0:1], 0
	s_mov_b64 s[12:13], -1
.LBB331_2823:
	s_mov_b64 s[14:15], 0
.LBB331_2824:
	s_and_b64 vcc, exec, s[14:15]
	s_cbranch_vccz .LBB331_2826
; %bb.2825:
	s_cmp_lg_u32 s23, 11
	s_mov_b64 s[10:11], -1
	s_cselect_b64 s[0:1], -1, 0
.LBB331_2826:
	s_and_b64 vcc, exec, s[0:1]
	s_cbranch_vccnz .LBB331_3006
; %bb.2827:
	s_andn2_b64 vcc, exec, s[10:11]
	s_cbranch_vccnz .LBB331_2829
.LBB331_2828:
	v_cndmask_b32_e64 v3, 0, 1, s[4:5]
	s_mov_b64 s[12:13], -1
	global_store_byte v[0:1], v3, off
.LBB331_2829:
	s_mov_b64 s[0:1], 0
	s_branch .LBB331_2831
.LBB331_2830:
	s_mov_b64 s[0:1], -1
	s_mov_b64 s[12:13], 0
.LBB331_2831:
	s_and_b64 vcc, exec, s[0:1]
	s_cbranch_vccz .LBB331_2870
; %bb.2832:
	s_and_b32 s10, 0xffff, s24
	s_cmp_lt_i32 s10, 5
	s_mov_b64 s[0:1], -1
	s_cbranch_scc1 .LBB331_2853
; %bb.2833:
	s_cmp_lt_i32 s10, 8
	s_cbranch_scc1 .LBB331_2843
; %bb.2834:
	s_cmp_lt_i32 s10, 9
	s_cbranch_scc1 .LBB331_2840
; %bb.2835:
	s_cmp_gt_i32 s10, 9
	s_cbranch_scc0 .LBB331_2837
; %bb.2836:
	v_cndmask_b32_e64 v3, 0, 1, s[4:5]
	v_cvt_f64_u32_e32 v[3:4], v3
	v_mov_b32_e32 v5, 0
	v_mov_b32_e32 v6, v5
	s_mov_b64 s[0:1], 0
	global_store_dwordx4 v[0:1], v[3:6], off
.LBB331_2837:
	s_andn2_b64 vcc, exec, s[0:1]
	s_cbranch_vccnz .LBB331_2839
; %bb.2838:
	v_cndmask_b32_e64 v3, 0, 1.0, s[4:5]
	v_mov_b32_e32 v4, 0
	global_store_dwordx2 v[0:1], v[3:4], off
.LBB331_2839:
	s_mov_b64 s[0:1], 0
.LBB331_2840:
	s_andn2_b64 vcc, exec, s[0:1]
	s_cbranch_vccnz .LBB331_2842
; %bb.2841:
	v_cndmask_b32_e64 v3, 0, 1.0, s[4:5]
	v_cvt_f16_f32_e32 v3, v3
	global_store_dword v[0:1], v3, off
.LBB331_2842:
	s_mov_b64 s[0:1], 0
.LBB331_2843:
	s_andn2_b64 vcc, exec, s[0:1]
	s_cbranch_vccnz .LBB331_2852
; %bb.2844:
	s_cmp_lt_i32 s10, 6
	s_mov_b64 s[0:1], -1
	s_cbranch_scc1 .LBB331_2850
; %bb.2845:
	s_cmp_gt_i32 s10, 6
	s_cbranch_scc0 .LBB331_2847
; %bb.2846:
	v_cndmask_b32_e64 v3, 0, 1, s[4:5]
	v_cvt_f64_u32_e32 v[3:4], v3
	s_mov_b64 s[0:1], 0
	global_store_dwordx2 v[0:1], v[3:4], off
.LBB331_2847:
	s_andn2_b64 vcc, exec, s[0:1]
	s_cbranch_vccnz .LBB331_2849
; %bb.2848:
	v_cndmask_b32_e64 v3, 0, 1.0, s[4:5]
	global_store_dword v[0:1], v3, off
.LBB331_2849:
	s_mov_b64 s[0:1], 0
.LBB331_2850:
	s_andn2_b64 vcc, exec, s[0:1]
	s_cbranch_vccnz .LBB331_2852
; %bb.2851:
	v_cndmask_b32_e64 v3, 0, 1.0, s[4:5]
	v_cvt_f16_f32_e32 v3, v3
	global_store_short v[0:1], v3, off
.LBB331_2852:
	s_mov_b64 s[0:1], 0
.LBB331_2853:
	s_andn2_b64 vcc, exec, s[0:1]
	s_cbranch_vccnz .LBB331_2869
; %bb.2854:
	s_cmp_lt_i32 s10, 2
	s_mov_b64 s[0:1], -1
	s_cbranch_scc1 .LBB331_2864
; %bb.2855:
	s_cmp_lt_i32 s10, 3
	s_cbranch_scc1 .LBB331_2861
; %bb.2856:
	s_cmp_gt_i32 s10, 3
	s_cbranch_scc0 .LBB331_2858
; %bb.2857:
	s_mov_b32 s0, 0
	v_cndmask_b32_e64 v3, 0, 1, s[4:5]
	v_mov_b32_e32 v4, s0
	global_store_dwordx2 v[0:1], v[3:4], off
	s_mov_b64 s[0:1], 0
.LBB331_2858:
	s_andn2_b64 vcc, exec, s[0:1]
	s_cbranch_vccnz .LBB331_2860
; %bb.2859:
	v_cndmask_b32_e64 v3, 0, 1, s[4:5]
	global_store_dword v[0:1], v3, off
.LBB331_2860:
	s_mov_b64 s[0:1], 0
.LBB331_2861:
	s_andn2_b64 vcc, exec, s[0:1]
	s_cbranch_vccnz .LBB331_2863
; %bb.2862:
	v_cndmask_b32_e64 v3, 0, 1, s[4:5]
	global_store_short v[0:1], v3, off
.LBB331_2863:
	s_mov_b64 s[0:1], 0
.LBB331_2864:
	s_andn2_b64 vcc, exec, s[0:1]
	s_cbranch_vccnz .LBB331_2869
; %bb.2865:
	s_mov_b64 s[0:1], -1
	s_cmp_gt_i32 s10, 0
	v_cndmask_b32_e64 v3, 0, 1, s[4:5]
	s_cbranch_scc0 .LBB331_2867
; %bb.2866:
	global_store_byte v[0:1], v3, off
	s_mov_b64 s[0:1], 0
.LBB331_2867:
	s_andn2_b64 vcc, exec, s[0:1]
	s_cbranch_vccnz .LBB331_2869
; %bb.2868:
	global_store_byte v[0:1], v3, off
.LBB331_2869:
	s_mov_b64 s[12:13], -1
.LBB331_2870:
	s_andn2_b64 vcc, exec, s[12:13]
	s_cbranch_vccnz .LBB331_2947
; %bb.2871:
	s_waitcnt vmcnt(0)
	v_cmp_ne_u16_e32 vcc, v7, v10
	v_add_u32_e32 v0, s22, v2
	s_xor_b64 s[20:21], s[2:3], vcc
	v_ashrrev_i32_e32 v1, 31, v0
	v_mov_b32_e32 v2, s9
	v_add_co_u32_e32 v0, vcc, s8, v0
	s_cmp_lt_i32 s24, 11
	v_addc_co_u32_e32 v1, vcc, v2, v1, vcc
	s_cbranch_scc1 .LBB331_2992
; %bb.2872:
	s_and_b32 s12, 0xffff, s24
	s_mov_b64 s[4:5], -1
	s_mov_b64 s[2:3], 0
	s_cmp_gt_i32 s12, 25
	s_mov_b64 s[0:1], 0
	s_cbranch_scc0 .LBB331_2905
; %bb.2873:
	s_cmp_gt_i32 s12, 28
	s_cbranch_scc0 .LBB331_2889
; %bb.2874:
	s_cmp_gt_i32 s12, 43
	;; [unrolled: 3-line block ×3, first 2 shown]
	s_cbranch_scc0 .LBB331_2879
; %bb.2876:
	s_cmp_eq_u32 s12, 46
	s_mov_b64 s[0:1], -1
	s_cbranch_scc0 .LBB331_2878
; %bb.2877:
	v_cndmask_b32_e64 v2, 0, 1.0, s[20:21]
	v_bfe_u32 v3, v2, 16, 1
	s_movk_i32 s0, 0x7fff
	v_add3_u32 v2, v2, v3, s0
	v_lshrrev_b32_e32 v2, 16, v2
	global_store_dword v[0:1], v2, off
	s_mov_b64 s[0:1], 0
.LBB331_2878:
	s_mov_b64 s[4:5], 0
.LBB331_2879:
	s_and_b64 vcc, exec, s[4:5]
	s_cbranch_vccz .LBB331_2884
; %bb.2880:
	s_cmp_eq_u32 s12, 44
	s_mov_b64 s[0:1], -1
	s_cbranch_scc0 .LBB331_2884
; %bb.2881:
	v_cndmask_b32_e64 v3, 0, 1.0, s[20:21]
	v_lshrrev_b32_e32 v2, 23, v3
	s_movk_i32 s0, 0xff
	v_cmp_ne_u32_e32 vcc, s0, v2
	v_mov_b32_e32 v4, 0xff
	s_and_saveexec_b64 s[4:5], vcc
; %bb.2882:
	s_mov_b32 s0, 0x3fffff
	v_and_b32_e32 v4, 0x400000, v3
	v_and_or_b32 v3, v3, s0, v2
	v_cmp_ne_u32_e32 vcc, 0, v4
	v_cmp_ne_u32_e64 s[0:1], 0, v3
	s_and_b64 s[0:1], vcc, s[0:1]
	v_cndmask_b32_e64 v3, 0, 1, s[0:1]
	v_add_u32_e32 v4, v2, v3
; %bb.2883:
	s_or_b64 exec, exec, s[4:5]
	s_mov_b64 s[0:1], 0
	global_store_byte v[0:1], v4, off
.LBB331_2884:
	s_mov_b64 s[4:5], 0
.LBB331_2885:
	s_and_b64 vcc, exec, s[4:5]
	s_cbranch_vccz .LBB331_2888
; %bb.2886:
	s_cmp_eq_u32 s12, 29
	s_mov_b64 s[0:1], -1
	s_cbranch_scc0 .LBB331_2888
; %bb.2887:
	s_mov_b32 s0, 0
	v_cndmask_b32_e64 v2, 0, 1, s[20:21]
	v_mov_b32_e32 v3, s0
	global_store_dwordx2 v[0:1], v[2:3], off
	s_mov_b64 s[0:1], 0
.LBB331_2888:
	s_mov_b64 s[4:5], 0
.LBB331_2889:
	s_and_b64 vcc, exec, s[4:5]
	s_cbranch_vccz .LBB331_2904
; %bb.2890:
	s_cmp_lt_i32 s12, 27
	s_mov_b64 s[4:5], -1
	s_cbranch_scc1 .LBB331_2896
; %bb.2891:
	s_cmp_gt_i32 s12, 27
	v_cndmask_b32_e64 v2, 0, 1, s[20:21]
	s_cbranch_scc0 .LBB331_2893
; %bb.2892:
	global_store_dword v[0:1], v2, off
	s_mov_b64 s[4:5], 0
.LBB331_2893:
	s_andn2_b64 vcc, exec, s[4:5]
	s_cbranch_vccnz .LBB331_2895
; %bb.2894:
	global_store_short v[0:1], v2, off
.LBB331_2895:
	s_mov_b64 s[4:5], 0
.LBB331_2896:
	s_andn2_b64 vcc, exec, s[4:5]
	s_cbranch_vccnz .LBB331_2904
; %bb.2897:
	v_cndmask_b32_e64 v3, 0, 1.0, s[20:21]
	s_mov_b32 s4, 0x43800000
	v_cmp_gt_u32_e32 vcc, s4, v3
	v_mov_b32_e32 v4, 0x80
	s_and_saveexec_b64 s[4:5], vcc
	s_cbranch_execz .LBB331_2903
; %bb.2898:
	s_mov_b32 s8, 0x3bffffff
	v_cmp_lt_u32_e32 vcc, s8, v3
	s_mov_b64 s[8:9], 0
                                        ; implicit-def: $vgpr2
	s_and_saveexec_b64 s[10:11], vcc
	s_xor_b64 s[10:11], exec, s[10:11]
	s_cbranch_execz .LBB331_3009
; %bb.2899:
	v_bfe_u32 v2, v3, 20, 1
	s_mov_b32 s13, 0x487ffff
	v_add3_u32 v2, v3, v2, s13
	s_mov_b64 s[8:9], exec
	v_lshrrev_b32_e32 v2, 20, v2
                                        ; implicit-def: $vgpr3
	s_andn2_saveexec_b64 s[10:11], s[10:11]
	s_cbranch_execnz .LBB331_3010
.LBB331_2900:
	s_or_b64 exec, exec, s[10:11]
	v_mov_b32_e32 v4, 0
	s_and_saveexec_b64 s[10:11], s[8:9]
.LBB331_2901:
	v_mov_b32_e32 v4, v2
.LBB331_2902:
	s_or_b64 exec, exec, s[10:11]
.LBB331_2903:
	s_or_b64 exec, exec, s[4:5]
	global_store_byte v[0:1], v4, off
.LBB331_2904:
	s_mov_b64 s[4:5], 0
.LBB331_2905:
	s_and_b64 vcc, exec, s[4:5]
	s_cbranch_vccz .LBB331_2945
; %bb.2906:
	s_cmp_gt_i32 s12, 22
	s_mov_b64 s[2:3], -1
	s_cbranch_scc0 .LBB331_2938
; %bb.2907:
	s_cmp_lt_i32 s12, 24
	s_cbranch_scc1 .LBB331_2927
; %bb.2908:
	s_cmp_gt_i32 s12, 24
	s_cbranch_scc0 .LBB331_2916
; %bb.2909:
	v_cndmask_b32_e64 v3, 0, 1.0, s[20:21]
	s_mov_b32 s2, 0x47800000
	v_cmp_gt_u32_e32 vcc, s2, v3
	v_mov_b32_e32 v4, 0x80
	s_and_saveexec_b64 s[2:3], vcc
	s_cbranch_execz .LBB331_2915
; %bb.2910:
	s_mov_b32 s4, 0x37ffffff
	v_cmp_lt_u32_e32 vcc, s4, v3
	s_mov_b64 s[4:5], 0
                                        ; implicit-def: $vgpr2
	s_and_saveexec_b64 s[8:9], vcc
	s_xor_b64 s[8:9], exec, s[8:9]
	s_cbranch_execz .LBB331_3012
; %bb.2911:
	v_bfe_u32 v2, v3, 21, 1
	s_mov_b32 s10, 0x88fffff
	v_add3_u32 v2, v3, v2, s10
	s_mov_b64 s[4:5], exec
	v_lshrrev_b32_e32 v2, 21, v2
                                        ; implicit-def: $vgpr3
	s_andn2_saveexec_b64 s[8:9], s[8:9]
	s_cbranch_execnz .LBB331_3013
.LBB331_2912:
	s_or_b64 exec, exec, s[8:9]
	v_mov_b32_e32 v4, 0
	s_and_saveexec_b64 s[8:9], s[4:5]
.LBB331_2913:
	v_mov_b32_e32 v4, v2
.LBB331_2914:
	s_or_b64 exec, exec, s[8:9]
.LBB331_2915:
	s_or_b64 exec, exec, s[2:3]
	s_mov_b64 s[2:3], 0
	global_store_byte v[0:1], v4, off
.LBB331_2916:
	s_and_b64 vcc, exec, s[2:3]
	s_cbranch_vccz .LBB331_2926
; %bb.2917:
	v_cndmask_b32_e64 v2, 0, 1.0, s[20:21]
	s_mov_b32 s2, 0x43f00000
	v_cmp_gt_u32_e32 vcc, s2, v2
                                        ; implicit-def: $vgpr3
	s_and_saveexec_b64 s[2:3], vcc
	s_xor_b64 s[2:3], exec, s[2:3]
	s_cbranch_execz .LBB331_2923
; %bb.2918:
	s_mov_b32 s4, 0x3c7fffff
	v_cmp_lt_u32_e32 vcc, s4, v2
                                        ; implicit-def: $vgpr3
	s_and_saveexec_b64 s[4:5], vcc
	s_xor_b64 s[4:5], exec, s[4:5]
; %bb.2919:
	v_bfe_u32 v3, v2, 20, 1
	s_mov_b32 s8, 0x407ffff
	v_add3_u32 v2, v2, v3, s8
	v_lshrrev_b32_e32 v3, 20, v2
	v_and_b32_e32 v2, 0xff00000, v2
	s_mov_b32 s8, 0x7f00000
	v_mov_b32_e32 v4, 0x7e
	v_cmp_ne_u32_e32 vcc, s8, v2
	v_cndmask_b32_e32 v3, v4, v3, vcc
                                        ; implicit-def: $vgpr2
; %bb.2920:
	s_andn2_saveexec_b64 s[4:5], s[4:5]
; %bb.2921:
	v_add_f32_e32 v3, 0x46800000, v2
; %bb.2922:
	s_or_b64 exec, exec, s[4:5]
                                        ; implicit-def: $vgpr2
.LBB331_2923:
	s_andn2_saveexec_b64 s[2:3], s[2:3]
; %bb.2924:
	s_mov_b32 s4, 0x7f800000
	v_mov_b32_e32 v3, 0x7e
	v_mov_b32_e32 v4, 0x7f
	v_cmp_lt_u32_e32 vcc, s4, v2
	v_cndmask_b32_e32 v3, v3, v4, vcc
; %bb.2925:
	s_or_b64 exec, exec, s[2:3]
	global_store_byte v[0:1], v3, off
.LBB331_2926:
	s_mov_b64 s[2:3], 0
.LBB331_2927:
	s_andn2_b64 vcc, exec, s[2:3]
	s_cbranch_vccnz .LBB331_2937
; %bb.2928:
	v_cndmask_b32_e64 v2, 0, 1.0, s[20:21]
	s_mov_b32 s2, 0x47800000
	v_cmp_gt_u32_e32 vcc, s2, v2
                                        ; implicit-def: $vgpr3
	s_and_saveexec_b64 s[2:3], vcc
	s_xor_b64 s[2:3], exec, s[2:3]
	s_cbranch_execz .LBB331_2934
; %bb.2929:
	s_mov_b32 s4, 0x387fffff
	v_cmp_lt_u32_e32 vcc, s4, v2
                                        ; implicit-def: $vgpr3
	s_and_saveexec_b64 s[4:5], vcc
	s_xor_b64 s[4:5], exec, s[4:5]
; %bb.2930:
	v_bfe_u32 v3, v2, 21, 1
	s_mov_b32 s8, 0x80fffff
	v_add3_u32 v2, v2, v3, s8
	v_lshrrev_b32_e32 v3, 21, v2
                                        ; implicit-def: $vgpr2
; %bb.2931:
	s_andn2_saveexec_b64 s[4:5], s[4:5]
; %bb.2932:
	v_add_f32_e32 v3, 0x43000000, v2
; %bb.2933:
	s_or_b64 exec, exec, s[4:5]
                                        ; implicit-def: $vgpr2
.LBB331_2934:
	s_andn2_saveexec_b64 s[2:3], s[2:3]
; %bb.2935:
	s_mov_b32 s4, 0x7f800000
	v_mov_b32_e32 v3, 0x7c
	v_mov_b32_e32 v4, 0x7f
	v_cmp_lt_u32_e32 vcc, s4, v2
	v_cndmask_b32_e32 v3, v3, v4, vcc
; %bb.2936:
	s_or_b64 exec, exec, s[2:3]
	global_store_byte v[0:1], v3, off
.LBB331_2937:
	s_mov_b64 s[2:3], 0
.LBB331_2938:
	s_andn2_b64 vcc, exec, s[2:3]
	s_mov_b64 s[2:3], 0
	s_cbranch_vccnz .LBB331_2945
; %bb.2939:
	s_cmp_gt_i32 s12, 14
	s_mov_b64 s[4:5], -1
	s_cbranch_scc0 .LBB331_2943
; %bb.2940:
	s_cmp_eq_u32 s12, 15
	s_mov_b64 s[0:1], -1
	s_cbranch_scc0 .LBB331_2942
; %bb.2941:
	v_cndmask_b32_e64 v2, 0, 1.0, s[20:21]
	v_bfe_u32 v3, v2, 16, 1
	s_movk_i32 s0, 0x7fff
	v_add3_u32 v2, v2, v3, s0
	global_store_short_d16_hi v[0:1], v2, off
	s_mov_b64 s[0:1], 0
.LBB331_2942:
	s_mov_b64 s[4:5], 0
.LBB331_2943:
	s_and_b64 vcc, exec, s[4:5]
	s_cbranch_vccz .LBB331_2945
; %bb.2944:
	s_cmp_lg_u32 s12, 11
	s_mov_b64 s[2:3], -1
	s_cselect_b64 s[0:1], -1, 0
.LBB331_2945:
	s_and_b64 vcc, exec, s[0:1]
	s_cbranch_vccnz .LBB331_3011
.LBB331_2946:
	s_mov_b64 s[0:1], 0
	s_branch .LBB331_2948
.LBB331_2947:
	s_mov_b64 s[0:1], 0
	s_mov_b64 s[2:3], 0
                                        ; implicit-def: $sgpr20_sgpr21
                                        ; implicit-def: $sgpr24
                                        ; implicit-def: $vgpr0_vgpr1
.LBB331_2948:
	s_and_b64 s[4:5], s[2:3], exec
	s_andn2_b64 s[2:3], s[16:17], exec
	s_and_b64 s[8:9], s[18:19], exec
	s_and_b64 s[0:1], s[0:1], exec
	s_or_b64 s[16:17], s[2:3], s[8:9]
.LBB331_2949:
	s_or_b64 exec, exec, s[6:7]
	s_and_saveexec_b64 s[2:3], s[16:17]
	s_cbranch_execz .LBB331_2952
; %bb.2950:
	; divergent unreachable
	s_or_b64 exec, exec, s[2:3]
	s_and_saveexec_b64 s[2:3], s[4:5]
	s_xor_b64 s[2:3], exec, s[2:3]
	s_cbranch_execnz .LBB331_2953
.LBB331_2951:
	s_or_b64 exec, exec, s[2:3]
	s_and_saveexec_b64 s[2:3], s[0:1]
	s_cbranch_execnz .LBB331_2954
	s_branch .LBB331_2991
.LBB331_2952:
	s_or_b64 exec, exec, s[2:3]
	s_and_saveexec_b64 s[2:3], s[4:5]
	s_xor_b64 s[2:3], exec, s[2:3]
	s_cbranch_execz .LBB331_2951
.LBB331_2953:
	s_waitcnt vmcnt(0)
	v_cndmask_b32_e64 v2, 0, 1, s[20:21]
	global_store_byte v[0:1], v2, off
	s_or_b64 exec, exec, s[2:3]
	s_and_saveexec_b64 s[2:3], s[0:1]
	s_cbranch_execz .LBB331_2991
.LBB331_2954:
	s_sext_i32_i16 s2, s24
	s_cmp_lt_i32 s2, 5
	s_mov_b64 s[0:1], -1
	s_cbranch_scc1 .LBB331_2975
; %bb.2955:
	s_cmp_lt_i32 s2, 8
	s_cbranch_scc1 .LBB331_2965
; %bb.2956:
	s_cmp_lt_i32 s2, 9
	s_cbranch_scc1 .LBB331_2962
; %bb.2957:
	s_cmp_gt_i32 s2, 9
	s_cbranch_scc0 .LBB331_2959
; %bb.2958:
	s_waitcnt vmcnt(0)
	v_cndmask_b32_e64 v2, 0, 1, s[20:21]
	v_cvt_f64_u32_e32 v[2:3], v2
	v_mov_b32_e32 v4, 0
	v_mov_b32_e32 v5, v4
	s_mov_b64 s[0:1], 0
	global_store_dwordx4 v[0:1], v[2:5], off
.LBB331_2959:
	s_andn2_b64 vcc, exec, s[0:1]
	s_cbranch_vccnz .LBB331_2961
; %bb.2960:
	s_waitcnt vmcnt(0)
	v_cndmask_b32_e64 v2, 0, 1.0, s[20:21]
	v_mov_b32_e32 v3, 0
	global_store_dwordx2 v[0:1], v[2:3], off
.LBB331_2961:
	s_mov_b64 s[0:1], 0
.LBB331_2962:
	s_andn2_b64 vcc, exec, s[0:1]
	s_cbranch_vccnz .LBB331_2964
; %bb.2963:
	s_waitcnt vmcnt(0)
	v_cndmask_b32_e64 v2, 0, 1.0, s[20:21]
	v_cvt_f16_f32_e32 v2, v2
	global_store_dword v[0:1], v2, off
.LBB331_2964:
	s_mov_b64 s[0:1], 0
.LBB331_2965:
	s_andn2_b64 vcc, exec, s[0:1]
	s_cbranch_vccnz .LBB331_2974
; %bb.2966:
	s_sext_i32_i16 s2, s24
	s_cmp_lt_i32 s2, 6
	s_mov_b64 s[0:1], -1
	s_cbranch_scc1 .LBB331_2972
; %bb.2967:
	s_cmp_gt_i32 s2, 6
	s_cbranch_scc0 .LBB331_2969
; %bb.2968:
	s_waitcnt vmcnt(0)
	v_cndmask_b32_e64 v2, 0, 1, s[20:21]
	v_cvt_f64_u32_e32 v[2:3], v2
	s_mov_b64 s[0:1], 0
	global_store_dwordx2 v[0:1], v[2:3], off
.LBB331_2969:
	s_andn2_b64 vcc, exec, s[0:1]
	s_cbranch_vccnz .LBB331_2971
; %bb.2970:
	s_waitcnt vmcnt(0)
	v_cndmask_b32_e64 v2, 0, 1.0, s[20:21]
	global_store_dword v[0:1], v2, off
.LBB331_2971:
	s_mov_b64 s[0:1], 0
.LBB331_2972:
	s_andn2_b64 vcc, exec, s[0:1]
	s_cbranch_vccnz .LBB331_2974
; %bb.2973:
	s_waitcnt vmcnt(0)
	v_cndmask_b32_e64 v2, 0, 1.0, s[20:21]
	v_cvt_f16_f32_e32 v2, v2
	global_store_short v[0:1], v2, off
.LBB331_2974:
	s_mov_b64 s[0:1], 0
.LBB331_2975:
	s_andn2_b64 vcc, exec, s[0:1]
	s_cbranch_vccnz .LBB331_2991
; %bb.2976:
	s_sext_i32_i16 s2, s24
	s_cmp_lt_i32 s2, 2
	s_mov_b64 s[0:1], -1
	s_cbranch_scc1 .LBB331_2986
; %bb.2977:
	s_cmp_lt_i32 s2, 3
	s_cbranch_scc1 .LBB331_2983
; %bb.2978:
	s_cmp_gt_i32 s2, 3
	s_cbranch_scc0 .LBB331_2980
; %bb.2979:
	s_mov_b32 s0, 0
	s_waitcnt vmcnt(0)
	v_cndmask_b32_e64 v2, 0, 1, s[20:21]
	v_mov_b32_e32 v3, s0
	global_store_dwordx2 v[0:1], v[2:3], off
	s_mov_b64 s[0:1], 0
.LBB331_2980:
	s_andn2_b64 vcc, exec, s[0:1]
	s_cbranch_vccnz .LBB331_2982
; %bb.2981:
	s_waitcnt vmcnt(0)
	v_cndmask_b32_e64 v2, 0, 1, s[20:21]
	global_store_dword v[0:1], v2, off
.LBB331_2982:
	s_mov_b64 s[0:1], 0
.LBB331_2983:
	s_andn2_b64 vcc, exec, s[0:1]
	s_cbranch_vccnz .LBB331_2985
; %bb.2984:
	s_waitcnt vmcnt(0)
	v_cndmask_b32_e64 v2, 0, 1, s[20:21]
	global_store_short v[0:1], v2, off
.LBB331_2985:
	s_mov_b64 s[0:1], 0
.LBB331_2986:
	s_andn2_b64 vcc, exec, s[0:1]
	s_cbranch_vccnz .LBB331_2991
; %bb.2987:
	s_sext_i32_i16 s2, s24
	s_mov_b64 s[0:1], -1
	s_cmp_gt_i32 s2, 0
	s_waitcnt vmcnt(0)
	v_cndmask_b32_e64 v2, 0, 1, s[20:21]
	s_cbranch_scc0 .LBB331_2989
; %bb.2988:
	global_store_byte v[0:1], v2, off
	s_mov_b64 s[0:1], 0
.LBB331_2989:
	s_andn2_b64 vcc, exec, s[0:1]
	s_cbranch_vccnz .LBB331_2991
; %bb.2990:
	global_store_byte v[0:1], v2, off
	s_endpgm
.LBB331_2991:
	s_endpgm
.LBB331_2992:
	s_mov_b64 s[2:3], 0
	s_mov_b64 s[0:1], -1
	s_branch .LBB331_2948
.LBB331_2993:
	s_trap 2
	s_or_b64 s[18:19], s[18:19], exec
	s_cbranch_execz .LBB331_2462
	s_branch .LBB331_2463
.LBB331_2994:
	s_andn2_saveexec_b64 s[22:23], s[22:23]
	s_cbranch_execz .LBB331_2542
.LBB331_2995:
	v_add_f32_e32 v0, 0x46000000, v8
	v_and_b32_e32 v0, 0xff, v0
	v_cmp_ne_u32_e32 vcc, 0, v0
	s_andn2_b64 s[20:21], s[20:21], exec
	s_and_b64 s[26:27], vcc, exec
	s_or_b64 s[20:21], s[20:21], s[26:27]
	s_or_b64 exec, exec, s[22:23]
	v_mov_b32_e32 v11, 0
	s_and_saveexec_b64 s[22:23], s[20:21]
	s_cbranch_execnz .LBB331_2543
	s_branch .LBB331_2544
.LBB331_2996:
	s_trap 2
	s_or_b64 s[18:19], s[18:19], exec
	s_cbranch_execz .LBB331_2590
	s_branch .LBB331_2591
.LBB331_2997:
	s_andn2_saveexec_b64 s[20:21], s[20:21]
	s_cbranch_execz .LBB331_2555
.LBB331_2998:
	v_add_f32_e32 v0, 0x42800000, v8
	v_and_b32_e32 v0, 0xff, v0
	v_cmp_ne_u32_e32 vcc, 0, v0
	s_andn2_b64 s[14:15], s[14:15], exec
	s_and_b64 s[22:23], vcc, exec
	s_or_b64 s[14:15], s[14:15], s[22:23]
	s_or_b64 exec, exec, s[20:21]
	v_mov_b32_e32 v11, 0
	s_and_saveexec_b64 s[20:21], s[14:15]
	s_cbranch_execnz .LBB331_2556
	s_branch .LBB331_2557
.LBB331_2999:
	s_andn2_saveexec_b64 s[20:21], s[20:21]
	s_cbranch_execz .LBB331_2661
.LBB331_3000:
	v_add_f32_e32 v3, 0x46000000, v5
	v_and_b32_e32 v3, 0xff, v3
	v_cmp_ne_u32_e32 vcc, 0, v3
	s_andn2_b64 s[14:15], s[14:15], exec
	s_and_b64 s[26:27], vcc, exec
	s_or_b64 s[14:15], s[14:15], s[26:27]
	s_or_b64 exec, exec, s[20:21]
	v_mov_b32_e32 v6, 0
	s_and_saveexec_b64 s[20:21], s[14:15]
	s_cbranch_execnz .LBB331_2662
	s_branch .LBB331_2663
.LBB331_3001:
	s_trap 2
	s_or_b64 s[18:19], s[18:19], exec
	s_cbranch_execz .LBB331_2709
	s_branch .LBB331_2710
.LBB331_3002:
	s_andn2_saveexec_b64 s[14:15], s[14:15]
	s_cbranch_execz .LBB331_2674
.LBB331_3003:
	v_add_f32_e32 v3, 0x42800000, v5
	v_and_b32_e32 v3, 0xff, v3
	v_cmp_ne_u32_e32 vcc, 0, v3
	s_andn2_b64 s[12:13], s[12:13], exec
	s_and_b64 s[20:21], vcc, exec
	s_or_b64 s[12:13], s[12:13], s[20:21]
	s_or_b64 exec, exec, s[14:15]
	v_mov_b32_e32 v6, 0
	s_and_saveexec_b64 s[14:15], s[12:13]
	s_cbranch_execnz .LBB331_2675
	s_branch .LBB331_2676
.LBB331_3004:
	s_andn2_saveexec_b64 s[20:21], s[20:21]
	s_cbranch_execz .LBB331_2780
.LBB331_3005:
	v_add_f32_e32 v3, 0x46000000, v4
	v_and_b32_e32 v3, 0xff, v3
	v_cmp_ne_u32_e32 vcc, 0, v3
	s_andn2_b64 s[14:15], s[14:15], exec
	s_and_b64 s[26:27], vcc, exec
	s_or_b64 s[14:15], s[14:15], s[26:27]
	s_or_b64 exec, exec, s[20:21]
	v_mov_b32_e32 v5, 0
	s_and_saveexec_b64 s[20:21], s[14:15]
	s_cbranch_execnz .LBB331_2781
	s_branch .LBB331_2782
.LBB331_3006:
	s_trap 2
	s_or_b64 s[18:19], s[18:19], exec
	s_cbranch_execz .LBB331_2828
	s_branch .LBB331_2829
.LBB331_3007:
	s_andn2_saveexec_b64 s[14:15], s[14:15]
	s_cbranch_execz .LBB331_2793
.LBB331_3008:
	v_add_f32_e32 v3, 0x42800000, v4
	v_and_b32_e32 v3, 0xff, v3
	v_cmp_ne_u32_e32 vcc, 0, v3
	s_andn2_b64 s[12:13], s[12:13], exec
	s_and_b64 s[20:21], vcc, exec
	s_or_b64 s[12:13], s[12:13], s[20:21]
	s_or_b64 exec, exec, s[14:15]
	v_mov_b32_e32 v5, 0
	s_and_saveexec_b64 s[14:15], s[12:13]
	s_cbranch_execnz .LBB331_2794
	s_branch .LBB331_2795
.LBB331_3009:
	s_andn2_saveexec_b64 s[10:11], s[10:11]
	s_cbranch_execz .LBB331_2900
.LBB331_3010:
	v_add_f32_e32 v2, 0x46000000, v3
	v_and_b32_e32 v2, 0xff, v2
	v_cmp_ne_u32_e32 vcc, 0, v2
	s_andn2_b64 s[8:9], s[8:9], exec
	s_and_b64 s[14:15], vcc, exec
	s_or_b64 s[8:9], s[8:9], s[14:15]
	s_or_b64 exec, exec, s[10:11]
	v_mov_b32_e32 v4, 0
	s_and_saveexec_b64 s[10:11], s[8:9]
	s_cbranch_execnz .LBB331_2901
	s_branch .LBB331_2902
.LBB331_3011:
	s_mov_b64 s[2:3], 0
	s_or_b64 s[18:19], s[18:19], exec
	s_trap 2
	s_branch .LBB331_2946
.LBB331_3012:
	s_andn2_saveexec_b64 s[8:9], s[8:9]
	s_cbranch_execz .LBB331_2912
.LBB331_3013:
	v_add_f32_e32 v2, 0x42800000, v3
	v_and_b32_e32 v2, 0xff, v2
	v_cmp_ne_u32_e32 vcc, 0, v2
	s_andn2_b64 s[4:5], s[4:5], exec
	s_and_b64 s[10:11], vcc, exec
	s_or_b64 s[4:5], s[4:5], s[10:11]
	s_or_b64 exec, exec, s[8:9]
	v_mov_b32_e32 v4, 0
	s_and_saveexec_b64 s[8:9], s[4:5]
	s_cbranch_execnz .LBB331_2913
	s_branch .LBB331_2914
	.section	.rodata,"a",@progbits
	.p2align	6, 0x0
	.amdhsa_kernel _ZN2at6native32elementwise_kernel_manual_unrollILi128ELi4EZNS0_15gpu_kernel_implINS0_13BinaryFunctorIttbNS0_12_GLOBAL__N_116CompareEqFunctorItEEEEEEvRNS_18TensorIteratorBaseERKT_EUlibE_EEviT1_
		.amdhsa_group_segment_fixed_size 0
		.amdhsa_private_segment_fixed_size 0
		.amdhsa_kernarg_size 56
		.amdhsa_user_sgpr_count 6
		.amdhsa_user_sgpr_private_segment_buffer 1
		.amdhsa_user_sgpr_dispatch_ptr 0
		.amdhsa_user_sgpr_queue_ptr 0
		.amdhsa_user_sgpr_kernarg_segment_ptr 1
		.amdhsa_user_sgpr_dispatch_id 0
		.amdhsa_user_sgpr_flat_scratch_init 0
		.amdhsa_user_sgpr_private_segment_size 0
		.amdhsa_uses_dynamic_stack 0
		.amdhsa_system_sgpr_private_segment_wavefront_offset 0
		.amdhsa_system_sgpr_workgroup_id_x 1
		.amdhsa_system_sgpr_workgroup_id_y 0
		.amdhsa_system_sgpr_workgroup_id_z 0
		.amdhsa_system_sgpr_workgroup_info 0
		.amdhsa_system_vgpr_workitem_id 0
		.amdhsa_next_free_vgpr 16
		.amdhsa_next_free_sgpr 59
		.amdhsa_reserve_vcc 1
		.amdhsa_reserve_flat_scratch 0
		.amdhsa_float_round_mode_32 0
		.amdhsa_float_round_mode_16_64 0
		.amdhsa_float_denorm_mode_32 3
		.amdhsa_float_denorm_mode_16_64 3
		.amdhsa_dx10_clamp 1
		.amdhsa_ieee_mode 1
		.amdhsa_fp16_overflow 0
		.amdhsa_exception_fp_ieee_invalid_op 0
		.amdhsa_exception_fp_denorm_src 0
		.amdhsa_exception_fp_ieee_div_zero 0
		.amdhsa_exception_fp_ieee_overflow 0
		.amdhsa_exception_fp_ieee_underflow 0
		.amdhsa_exception_fp_ieee_inexact 0
		.amdhsa_exception_int_div_zero 0
	.end_amdhsa_kernel
	.section	.text._ZN2at6native32elementwise_kernel_manual_unrollILi128ELi4EZNS0_15gpu_kernel_implINS0_13BinaryFunctorIttbNS0_12_GLOBAL__N_116CompareEqFunctorItEEEEEEvRNS_18TensorIteratorBaseERKT_EUlibE_EEviT1_,"axG",@progbits,_ZN2at6native32elementwise_kernel_manual_unrollILi128ELi4EZNS0_15gpu_kernel_implINS0_13BinaryFunctorIttbNS0_12_GLOBAL__N_116CompareEqFunctorItEEEEEEvRNS_18TensorIteratorBaseERKT_EUlibE_EEviT1_,comdat
.Lfunc_end331:
	.size	_ZN2at6native32elementwise_kernel_manual_unrollILi128ELi4EZNS0_15gpu_kernel_implINS0_13BinaryFunctorIttbNS0_12_GLOBAL__N_116CompareEqFunctorItEEEEEEvRNS_18TensorIteratorBaseERKT_EUlibE_EEviT1_, .Lfunc_end331-_ZN2at6native32elementwise_kernel_manual_unrollILi128ELi4EZNS0_15gpu_kernel_implINS0_13BinaryFunctorIttbNS0_12_GLOBAL__N_116CompareEqFunctorItEEEEEEvRNS_18TensorIteratorBaseERKT_EUlibE_EEviT1_
                                        ; -- End function
	.set _ZN2at6native32elementwise_kernel_manual_unrollILi128ELi4EZNS0_15gpu_kernel_implINS0_13BinaryFunctorIttbNS0_12_GLOBAL__N_116CompareEqFunctorItEEEEEEvRNS_18TensorIteratorBaseERKT_EUlibE_EEviT1_.num_vgpr, 16
	.set _ZN2at6native32elementwise_kernel_manual_unrollILi128ELi4EZNS0_15gpu_kernel_implINS0_13BinaryFunctorIttbNS0_12_GLOBAL__N_116CompareEqFunctorItEEEEEEvRNS_18TensorIteratorBaseERKT_EUlibE_EEviT1_.num_agpr, 0
	.set _ZN2at6native32elementwise_kernel_manual_unrollILi128ELi4EZNS0_15gpu_kernel_implINS0_13BinaryFunctorIttbNS0_12_GLOBAL__N_116CompareEqFunctorItEEEEEEvRNS_18TensorIteratorBaseERKT_EUlibE_EEviT1_.numbered_sgpr, 59
	.set _ZN2at6native32elementwise_kernel_manual_unrollILi128ELi4EZNS0_15gpu_kernel_implINS0_13BinaryFunctorIttbNS0_12_GLOBAL__N_116CompareEqFunctorItEEEEEEvRNS_18TensorIteratorBaseERKT_EUlibE_EEviT1_.num_named_barrier, 0
	.set _ZN2at6native32elementwise_kernel_manual_unrollILi128ELi4EZNS0_15gpu_kernel_implINS0_13BinaryFunctorIttbNS0_12_GLOBAL__N_116CompareEqFunctorItEEEEEEvRNS_18TensorIteratorBaseERKT_EUlibE_EEviT1_.private_seg_size, 0
	.set _ZN2at6native32elementwise_kernel_manual_unrollILi128ELi4EZNS0_15gpu_kernel_implINS0_13BinaryFunctorIttbNS0_12_GLOBAL__N_116CompareEqFunctorItEEEEEEvRNS_18TensorIteratorBaseERKT_EUlibE_EEviT1_.uses_vcc, 1
	.set _ZN2at6native32elementwise_kernel_manual_unrollILi128ELi4EZNS0_15gpu_kernel_implINS0_13BinaryFunctorIttbNS0_12_GLOBAL__N_116CompareEqFunctorItEEEEEEvRNS_18TensorIteratorBaseERKT_EUlibE_EEviT1_.uses_flat_scratch, 0
	.set _ZN2at6native32elementwise_kernel_manual_unrollILi128ELi4EZNS0_15gpu_kernel_implINS0_13BinaryFunctorIttbNS0_12_GLOBAL__N_116CompareEqFunctorItEEEEEEvRNS_18TensorIteratorBaseERKT_EUlibE_EEviT1_.has_dyn_sized_stack, 0
	.set _ZN2at6native32elementwise_kernel_manual_unrollILi128ELi4EZNS0_15gpu_kernel_implINS0_13BinaryFunctorIttbNS0_12_GLOBAL__N_116CompareEqFunctorItEEEEEEvRNS_18TensorIteratorBaseERKT_EUlibE_EEviT1_.has_recursion, 0
	.set _ZN2at6native32elementwise_kernel_manual_unrollILi128ELi4EZNS0_15gpu_kernel_implINS0_13BinaryFunctorIttbNS0_12_GLOBAL__N_116CompareEqFunctorItEEEEEEvRNS_18TensorIteratorBaseERKT_EUlibE_EEviT1_.has_indirect_call, 0
	.section	.AMDGPU.csdata,"",@progbits
; Kernel info:
; codeLenInByte = 43532
; TotalNumSgprs: 63
; NumVgprs: 16
; ScratchSize: 0
; MemoryBound: 1
; FloatMode: 240
; IeeeMode: 1
; LDSByteSize: 0 bytes/workgroup (compile time only)
; SGPRBlocks: 7
; VGPRBlocks: 3
; NumSGPRsForWavesPerEU: 63
; NumVGPRsForWavesPerEU: 16
; Occupancy: 10
; WaveLimiterHint : 0
; COMPUTE_PGM_RSRC2:SCRATCH_EN: 0
; COMPUTE_PGM_RSRC2:USER_SGPR: 6
; COMPUTE_PGM_RSRC2:TRAP_HANDLER: 0
; COMPUTE_PGM_RSRC2:TGID_X_EN: 1
; COMPUTE_PGM_RSRC2:TGID_Y_EN: 0
; COMPUTE_PGM_RSRC2:TGID_Z_EN: 0
; COMPUTE_PGM_RSRC2:TIDIG_COMP_CNT: 0
	.section	.text._ZN2at6native32elementwise_kernel_manual_unrollILi128ELi4EZNS0_15gpu_kernel_implINS0_13BinaryFunctorIttbNS0_12_GLOBAL__N_116CompareEqFunctorItEEEEEEvRNS_18TensorIteratorBaseERKT_EUlibE0_EEviT1_,"axG",@progbits,_ZN2at6native32elementwise_kernel_manual_unrollILi128ELi4EZNS0_15gpu_kernel_implINS0_13BinaryFunctorIttbNS0_12_GLOBAL__N_116CompareEqFunctorItEEEEEEvRNS_18TensorIteratorBaseERKT_EUlibE0_EEviT1_,comdat
	.globl	_ZN2at6native32elementwise_kernel_manual_unrollILi128ELi4EZNS0_15gpu_kernel_implINS0_13BinaryFunctorIttbNS0_12_GLOBAL__N_116CompareEqFunctorItEEEEEEvRNS_18TensorIteratorBaseERKT_EUlibE0_EEviT1_ ; -- Begin function _ZN2at6native32elementwise_kernel_manual_unrollILi128ELi4EZNS0_15gpu_kernel_implINS0_13BinaryFunctorIttbNS0_12_GLOBAL__N_116CompareEqFunctorItEEEEEEvRNS_18TensorIteratorBaseERKT_EUlibE0_EEviT1_
	.p2align	8
	.type	_ZN2at6native32elementwise_kernel_manual_unrollILi128ELi4EZNS0_15gpu_kernel_implINS0_13BinaryFunctorIttbNS0_12_GLOBAL__N_116CompareEqFunctorItEEEEEEvRNS_18TensorIteratorBaseERKT_EUlibE0_EEviT1_,@function
_ZN2at6native32elementwise_kernel_manual_unrollILi128ELi4EZNS0_15gpu_kernel_implINS0_13BinaryFunctorIttbNS0_12_GLOBAL__N_116CompareEqFunctorItEEEEEEvRNS_18TensorIteratorBaseERKT_EUlibE0_EEviT1_: ; @_ZN2at6native32elementwise_kernel_manual_unrollILi128ELi4EZNS0_15gpu_kernel_implINS0_13BinaryFunctorIttbNS0_12_GLOBAL__N_116CompareEqFunctorItEEEEEEvRNS_18TensorIteratorBaseERKT_EUlibE0_EEviT1_
; %bb.0:
	s_load_dword s70, s[4:5], 0x0
	s_load_dword s33, s[4:5], 0x8
	s_add_u32 s2, s4, 8
	s_addc_u32 s3, s5, 0
	v_lshl_or_b32 v10, s6, 9, v0
	v_or_b32_e32 v21, 0x180, v10
	s_waitcnt lgkmcnt(0)
	s_add_i32 s72, s33, -1
	s_cmp_gt_u32 s72, 1
	v_cmp_le_i32_e32 vcc, s70, v21
	s_cselect_b64 s[24:25], -1, 0
	s_mov_b64 s[6:7], 0
	s_mov_b64 s[12:13], 0
	s_and_saveexec_b64 s[0:1], vcc
	s_xor_b64 s[26:27], exec, s[0:1]
	s_cbranch_execz .LBB332_1557
; %bb.1:
	s_cmp_lg_u32 s33, 0
	s_load_dwordx4 s[16:19], s[2:3], 0x4
	s_load_dwordx2 s[34:35], s[2:3], 0x14
	s_load_dwordx8 s[8:15], s[2:3], 0x188
	s_load_dwordx4 s[20:23], s[2:3], 0xc4
	s_load_dwordx2 s[30:31], s[2:3], 0xd4
	s_cselect_b64 s[38:39], -1, 0
	s_min_u32 s75, s72, 15
	s_cmp_gt_u32 s33, 1
	s_cselect_b64 s[36:37], -1, 0
	s_waitcnt lgkmcnt(0)
	s_lshr_b32 s74, s15, 8
	s_lshr_b32 s73, s15, 16
	s_cmp_eq_u32 s14, 0
	s_cselect_b64 s[28:29], -1, 0
	v_cmp_gt_i32_e32 vcc, s70, v10
	s_mov_b64 s[0:1], -1
	s_mov_b64 s[50:51], 0
	s_mov_b64 s[44:45], 0
	;; [unrolled: 1-line block ×4, first 2 shown]
	s_and_saveexec_b64 s[46:47], vcc
	s_cbranch_execz .LBB332_386
; %bb.2:
	s_andn2_b64 vcc, exec, s[24:25]
	s_cbranch_vccnz .LBB332_8
; %bb.3:
	s_andn2_b64 vcc, exec, s[38:39]
	s_cbranch_vccnz .LBB332_9
; %bb.4:
	s_add_i32 s0, s75, 1
	s_and_b32 s14, s0, 30
	s_add_u32 s0, s2, 0xffffffe8
	s_addc_u32 s1, s3, -1
	v_mov_b32_e32 v3, 0
	v_mov_b32_e32 v5, 0
	;; [unrolled: 1-line block ×4, first 2 shown]
.LBB332_5:                              ; =>This Inner Loop Header: Depth=1
	s_load_dwordx4 s[40:43], s[0:1], 0x1c
	s_load_dwordx2 s[44:45], s[0:1], 0x2c
	s_load_dwordx2 s[48:49], s[0:1], 0xec
	s_load_dwordx4 s[52:55], s[0:1], 0xdc
	s_add_u32 s0, s0, 24
	s_waitcnt lgkmcnt(0)
	v_mul_hi_u32 v2, s41, v1
	s_addc_u32 s1, s1, 0
	s_add_i32 s14, s14, -2
	s_cmp_lg_u32 s14, 0
	v_add_u32_e32 v2, v1, v2
	v_lshrrev_b32_e32 v2, s42, v2
	v_mul_lo_u32 v4, v2, s40
	v_mul_hi_u32 v6, s44, v2
	v_sub_u32_e32 v4, v1, v4
	v_add_u32_e32 v1, v2, v6
	v_lshrrev_b32_e32 v1, s45, v1
	v_mul_lo_u32 v8, v1, s43
	v_mul_lo_u32 v6, v4, s52
	;; [unrolled: 1-line block ×4, first 2 shown]
	v_sub_u32_e32 v2, v2, v8
	v_mul_lo_u32 v8, v2, s55
	v_mul_lo_u32 v9, v2, s48
	;; [unrolled: 1-line block ×3, first 2 shown]
	v_add3_u32 v0, v6, v0, v8
	v_add3_u32 v5, v7, v5, v9
	;; [unrolled: 1-line block ×3, first 2 shown]
	s_cbranch_scc1 .LBB332_5
; %bb.6:
	s_bitcmp1_b32 s75, 0
	s_cselect_b64 s[40:41], -1, 0
	s_and_b64 vcc, exec, s[40:41]
	s_cbranch_vccnz .LBB332_10
; %bb.7:
	s_load_dwordx2 s[40:41], s[0:1], 0x1c
	s_load_dword s14, s[0:1], 0x24
	s_load_dwordx2 s[42:43], s[0:1], 0xdc
	s_waitcnt lgkmcnt(0)
	v_mul_hi_u32 v2, s41, v1
	v_add_u32_e32 v2, v1, v2
	v_lshrrev_b32_e32 v2, s14, v2
	v_mul_lo_u32 v2, v2, s40
	s_load_dword s14, s[0:1], 0xe4
	v_sub_u32_e32 v2, v1, v2
	v_mad_u64_u32 v[0:1], s[0:1], v2, s42, v[0:1]
	v_mad_u64_u32 v[5:6], s[0:1], v2, s43, v[5:6]
	s_waitcnt lgkmcnt(0)
	v_mad_u64_u32 v[3:4], s[0:1], v2, s14, v[3:4]
	s_cbranch_execz .LBB332_11
	s_branch .LBB332_13
.LBB332_8:
                                        ; implicit-def: $vgpr0
                                        ; implicit-def: $vgpr5
                                        ; implicit-def: $vgpr3
	s_andn2_b64 vcc, exec, s[0:1]
	s_cbranch_vccz .LBB332_11
	s_branch .LBB332_13
.LBB332_9:
	v_mov_b32_e32 v0, 0
	v_mov_b32_e32 v5, 0
	;; [unrolled: 1-line block ×3, first 2 shown]
.LBB332_10:
	s_cbranch_execnz .LBB332_13
.LBB332_11:
	v_mul_hi_u32 v0, s17, v10
	s_andn2_b64 vcc, exec, s[36:37]
	v_add_u32_e32 v0, v10, v0
	v_lshrrev_b32_e32 v1, s18, v0
	v_mul_lo_u32 v0, v1, s16
	v_sub_u32_e32 v2, v10, v0
	v_mul_lo_u32 v0, v2, s20
	v_mul_lo_u32 v5, v2, s21
	v_mul_lo_u32 v3, v2, s22
	s_cbranch_vccnz .LBB332_13
; %bb.12:
	v_mul_hi_u32 v2, s34, v1
	v_add_u32_e32 v2, v1, v2
	v_lshrrev_b32_e32 v2, s35, v2
	v_mul_lo_u32 v2, v2, s19
	v_sub_u32_e32 v2, v1, v2
	v_mad_u64_u32 v[0:1], s[0:1], v2, s23, v[0:1]
	v_mad_u64_u32 v[5:6], s[0:1], v2, s30, v[5:6]
	;; [unrolled: 1-line block ×3, first 2 shown]
.LBB332_13:
	v_mov_b32_e32 v1, s11
	s_and_b32 s14, s74, 0xff
	v_add_co_u32_e32 v4, vcc, s10, v5
	s_cmp_lt_i32 s14, 11
	v_addc_co_u32_e32 v5, vcc, 0, v1, vcc
	s_cbranch_scc1 .LBB332_20
; %bb.14:
	s_and_b32 s42, 0xffff, s14
	s_cmp_gt_i32 s42, 25
	s_cbranch_scc0 .LBB332_29
; %bb.15:
	s_cmp_gt_i32 s42, 28
	s_cbranch_scc0 .LBB332_39
; %bb.16:
	;; [unrolled: 3-line block ×4, first 2 shown]
	s_cmp_eq_u32 s42, 46
	s_mov_b64 s[40:41], 0
	s_cbranch_scc0 .LBB332_48
; %bb.19:
	global_load_dword v1, v[4:5], off
	s_mov_b64 s[0:1], -1
	s_mov_b64 s[44:45], 0
	s_waitcnt vmcnt(0)
	v_lshlrev_b32_e32 v1, 16, v1
	v_cvt_u32_f32_e32 v1, v1
	s_branch .LBB332_50
.LBB332_20:
	s_mov_b64 s[44:45], 0
                                        ; implicit-def: $vgpr1
	s_mov_b64 s[0:1], 0
	s_cbranch_execnz .LBB332_112
.LBB332_21:
	s_andn2_b64 vcc, exec, s[0:1]
	s_cbranch_vccnz .LBB332_159
.LBB332_22:
	v_mov_b32_e32 v4, s13
	s_and_b32 s14, s73, 0xff
	s_waitcnt vmcnt(0)
	v_add_co_u32_e32 v2, vcc, s12, v3
	s_cmp_lt_i32 s14, 11
	v_addc_co_u32_e32 v3, vcc, 0, v4, vcc
	s_cbranch_scc1 .LBB332_30
; %bb.23:
	s_and_b32 s48, 0xffff, s14
	s_cmp_gt_i32 s48, 25
	s_cbranch_scc0 .LBB332_40
; %bb.24:
	s_cmp_gt_i32 s48, 28
	s_cbranch_scc0 .LBB332_43
; %bb.25:
	;; [unrolled: 3-line block ×4, first 2 shown]
	s_cmp_eq_u32 s48, 46
	s_mov_b64 s[40:41], 0
	s_cbranch_scc0 .LBB332_160
; %bb.28:
	global_load_dword v4, v[2:3], off
	s_mov_b64 s[0:1], -1
	s_mov_b64 s[42:43], 0
	s_waitcnt vmcnt(0)
	v_lshlrev_b32_e32 v4, 16, v4
	v_cvt_u32_f32_e32 v4, v4
	s_branch .LBB332_162
.LBB332_29:
	s_mov_b64 s[44:45], 0
	s_mov_b64 s[0:1], 0
                                        ; implicit-def: $vgpr1
	s_cbranch_execnz .LBB332_79
	s_branch .LBB332_111
.LBB332_30:
	s_mov_b64 s[42:43], 0
                                        ; implicit-def: $vgpr4
	s_mov_b64 s[0:1], 0
	s_cbranch_execnz .LBB332_335
.LBB332_31:
	s_andn2_b64 vcc, exec, s[0:1]
	s_cbranch_vccnz .LBB332_383
.LBB332_32:
	s_waitcnt vmcnt(0)
	v_cmp_ne_u16_e32 vcc, v1, v4
	s_xor_b64 s[40:41], s[28:29], vcc
	v_mov_b32_e32 v1, s9
	s_and_b32 s14, s15, 0xff
	v_add_co_u32_e32 v0, vcc, s8, v0
	s_cmp_lt_i32 s14, 11
	v_addc_co_u32_e32 v1, vcc, 0, v1, vcc
	s_cbranch_scc1 .LBB332_41
; %bb.33:
	s_and_b32 s56, 0xffff, s14
	s_cmp_gt_i32 s56, 25
	s_cbranch_scc0 .LBB332_44
; %bb.34:
	s_cmp_gt_i32 s56, 28
	s_cbranch_scc0 .LBB332_47
; %bb.35:
	;; [unrolled: 3-line block ×4, first 2 shown]
	s_mov_b64 s[52:53], 0
	s_mov_b64 s[0:1], -1
	s_cmp_eq_u32 s56, 46
	s_mov_b64 s[48:49], 0
	s_cbranch_scc0 .LBB332_166
; %bb.38:
	v_cndmask_b32_e64 v2, 0, 1.0, s[40:41]
	v_bfe_u32 v3, v2, 16, 1
	s_movk_i32 s0, 0x7fff
	v_add3_u32 v2, v2, v3, s0
	v_lshrrev_b32_e32 v2, 16, v2
	global_store_dword v[0:1], v2, off
	s_mov_b64 s[48:49], -1
	s_mov_b64 s[0:1], 0
	s_branch .LBB332_166
.LBB332_39:
	s_mov_b64 s[40:41], -1
	s_mov_b64 s[44:45], 0
	s_mov_b64 s[0:1], 0
                                        ; implicit-def: $vgpr1
	s_branch .LBB332_62
.LBB332_40:
	s_mov_b64 s[40:41], -1
	s_mov_b64 s[42:43], 0
	s_mov_b64 s[0:1], 0
                                        ; implicit-def: $vgpr4
	s_branch .LBB332_301
.LBB332_41:
	s_mov_b64 s[52:53], -1
	s_mov_b64 s[0:1], 0
	s_mov_b64 s[48:49], 0
	s_branch .LBB332_235
.LBB332_42:
	s_mov_b64 s[40:41], -1
	s_mov_b64 s[44:45], 0
	s_mov_b64 s[0:1], 0
                                        ; implicit-def: $vgpr1
	s_branch .LBB332_57
.LBB332_43:
	s_mov_b64 s[40:41], -1
	s_mov_b64 s[42:43], 0
	s_mov_b64 s[0:1], 0
                                        ; implicit-def: $vgpr4
	s_branch .LBB332_284
.LBB332_44:
	s_mov_b64 s[52:53], -1
	s_mov_b64 s[0:1], 0
	s_mov_b64 s[48:49], 0
	s_branch .LBB332_193
.LBB332_45:
	s_mov_b64 s[40:41], -1
	s_mov_b64 s[44:45], 0
	s_branch .LBB332_49
.LBB332_46:
	s_mov_b64 s[40:41], -1
	s_mov_b64 s[42:43], 0
	s_mov_b64 s[0:1], 0
                                        ; implicit-def: $vgpr4
	s_branch .LBB332_279
.LBB332_47:
	s_mov_b64 s[52:53], -1
	s_mov_b64 s[0:1], 0
	s_mov_b64 s[48:49], 0
	s_branch .LBB332_176
.LBB332_48:
	s_mov_b64 s[44:45], -1
.LBB332_49:
	s_mov_b64 s[0:1], 0
                                        ; implicit-def: $vgpr1
.LBB332_50:
	s_and_b64 vcc, exec, s[40:41]
	s_cbranch_vccz .LBB332_56
; %bb.51:
	s_cmp_eq_u32 s42, 44
	s_cbranch_scc0 .LBB332_55
; %bb.52:
	global_load_ubyte v1, v[4:5], off
	s_mov_b64 s[0:1], -1
	s_mov_b64 s[44:45], 0
	s_waitcnt vmcnt(0)
	v_lshlrev_b32_e32 v2, 23, v1
	v_cvt_u32_f32_e32 v2, v2
	v_cmp_ne_u32_e32 vcc, 0, v1
	v_cndmask_b32_e32 v1, 0, v2, vcc
	s_branch .LBB332_56
.LBB332_53:
	s_mov_b64 s[40:41], -1
	s_mov_b64 s[42:43], 0
	s_branch .LBB332_161
.LBB332_54:
	s_mov_b64 s[52:53], -1
	s_mov_b64 s[0:1], 0
	s_mov_b64 s[48:49], 0
	s_branch .LBB332_172
.LBB332_55:
	s_mov_b64 s[44:45], -1
                                        ; implicit-def: $vgpr1
.LBB332_56:
	s_mov_b64 s[40:41], 0
.LBB332_57:
	s_and_b64 vcc, exec, s[40:41]
	s_cbranch_vccz .LBB332_61
; %bb.58:
	s_cmp_eq_u32 s42, 29
	s_cbranch_scc0 .LBB332_60
; %bb.59:
	global_load_dwordx2 v[1:2], v[4:5], off
	s_mov_b64 s[0:1], -1
	s_mov_b64 s[44:45], 0
	s_branch .LBB332_61
.LBB332_60:
	s_mov_b64 s[44:45], -1
                                        ; implicit-def: $vgpr1
.LBB332_61:
	s_mov_b64 s[40:41], 0
.LBB332_62:
	s_and_b64 vcc, exec, s[40:41]
	s_cbranch_vccz .LBB332_78
; %bb.63:
	s_cmp_lt_i32 s42, 27
	s_cbranch_scc1 .LBB332_66
; %bb.64:
	s_cmp_gt_i32 s42, 27
	s_cbranch_scc0 .LBB332_67
; %bb.65:
	global_load_dword v1, v[4:5], off
	s_mov_b64 s[0:1], 0
	s_branch .LBB332_68
.LBB332_66:
	s_mov_b64 s[0:1], -1
                                        ; implicit-def: $vgpr1
	s_branch .LBB332_71
.LBB332_67:
	s_mov_b64 s[0:1], -1
                                        ; implicit-def: $vgpr1
.LBB332_68:
	s_andn2_b64 vcc, exec, s[0:1]
	s_cbranch_vccnz .LBB332_70
; %bb.69:
	global_load_ushort v1, v[4:5], off
.LBB332_70:
	s_mov_b64 s[0:1], 0
.LBB332_71:
	s_andn2_b64 vcc, exec, s[0:1]
	s_cbranch_vccnz .LBB332_77
; %bb.72:
	global_load_ubyte v2, v[4:5], off
	s_movk_i32 s0, 0x7f
	s_mov_b64 s[40:41], 0
	s_waitcnt vmcnt(0)
	v_cmp_lt_i16_e32 vcc, s0, v2
	s_and_saveexec_b64 s[0:1], vcc
	s_xor_b64 s[0:1], exec, s[0:1]
	s_cbranch_execz .LBB332_88
; %bb.73:
	s_movk_i32 s40, 0x80
	v_cmp_ne_u16_e32 vcc, s40, v2
	s_and_b64 s[40:41], vcc, exec
	s_andn2_saveexec_b64 s[0:1], s[0:1]
	s_cbranch_execnz .LBB332_89
.LBB332_74:
	s_or_b64 exec, exec, s[0:1]
	v_mov_b32_e32 v1, 0
	s_and_saveexec_b64 s[0:1], s[40:41]
	s_cbranch_execz .LBB332_76
.LBB332_75:
	v_lshlrev_b32_e32 v1, 24, v2
	v_and_b32_e32 v2, 0xffff, v2
	v_and_b32_e32 v6, 7, v2
	v_ffbh_u32_e32 v8, v6
	v_min_u32_e32 v8, 32, v8
	v_subrev_u32_e32 v9, 28, v8
	v_bfe_u32 v7, v2, 3, 4
	v_lshlrev_b32_e32 v2, v9, v2
	v_sub_u32_e32 v8, 29, v8
	v_and_b32_e32 v2, 7, v2
	v_cmp_eq_u32_e32 vcc, 0, v7
	v_cndmask_b32_e32 v7, v7, v8, vcc
	v_cndmask_b32_e32 v2, v6, v2, vcc
	v_mov_b32_e32 v6, 0x3b800000
	v_lshlrev_b32_e32 v2, 20, v2
	v_and_b32_e32 v1, 0x80000000, v1
	v_lshl_add_u32 v6, v7, 23, v6
	v_or3_b32 v1, v1, v6, v2
	v_cvt_u32_f32_e32 v1, v1
.LBB332_76:
	s_or_b64 exec, exec, s[0:1]
.LBB332_77:
	s_mov_b64 s[0:1], -1
.LBB332_78:
	s_branch .LBB332_111
.LBB332_79:
	s_cmp_gt_i32 s42, 22
	s_cbranch_scc0 .LBB332_87
; %bb.80:
	s_cmp_lt_i32 s42, 24
	s_cbranch_scc1 .LBB332_90
; %bb.81:
	s_cmp_gt_i32 s42, 24
	s_cbranch_scc0 .LBB332_91
; %bb.82:
	global_load_ubyte v2, v[4:5], off
	s_movk_i32 s0, 0x7f
	s_mov_b64 s[40:41], 0
	s_waitcnt vmcnt(0)
	v_cmp_lt_i16_e32 vcc, s0, v2
	s_and_saveexec_b64 s[0:1], vcc
	s_xor_b64 s[0:1], exec, s[0:1]
	s_cbranch_execz .LBB332_103
; %bb.83:
	s_movk_i32 s40, 0x80
	v_cmp_ne_u16_e32 vcc, s40, v2
	s_and_b64 s[40:41], vcc, exec
	s_andn2_saveexec_b64 s[0:1], s[0:1]
	s_cbranch_execnz .LBB332_104
.LBB332_84:
	s_or_b64 exec, exec, s[0:1]
	v_mov_b32_e32 v1, 0
	s_and_saveexec_b64 s[0:1], s[40:41]
	s_cbranch_execz .LBB332_86
.LBB332_85:
	v_lshlrev_b32_e32 v1, 24, v2
	v_and_b32_e32 v2, 0xffff, v2
	v_and_b32_e32 v6, 3, v2
	v_ffbh_u32_e32 v8, v6
	v_min_u32_e32 v8, 32, v8
	v_subrev_u32_e32 v9, 29, v8
	v_bfe_u32 v7, v2, 2, 5
	v_lshlrev_b32_e32 v2, v9, v2
	v_sub_u32_e32 v8, 30, v8
	v_and_b32_e32 v2, 3, v2
	v_cmp_eq_u32_e32 vcc, 0, v7
	v_cndmask_b32_e32 v7, v7, v8, vcc
	v_cndmask_b32_e32 v2, v6, v2, vcc
	v_mov_b32_e32 v6, 0x37800000
	v_lshlrev_b32_e32 v2, 21, v2
	v_and_b32_e32 v1, 0x80000000, v1
	v_lshl_add_u32 v6, v7, 23, v6
	v_or3_b32 v1, v1, v6, v2
	v_cvt_u32_f32_e32 v1, v1
.LBB332_86:
	s_or_b64 exec, exec, s[0:1]
	s_mov_b64 s[0:1], 0
	s_branch .LBB332_92
.LBB332_87:
	s_mov_b64 s[40:41], -1
                                        ; implicit-def: $vgpr1
	s_branch .LBB332_98
.LBB332_88:
	s_andn2_saveexec_b64 s[0:1], s[0:1]
	s_cbranch_execz .LBB332_74
.LBB332_89:
	v_cmp_ne_u16_e32 vcc, 0, v2
	s_andn2_b64 s[40:41], s[40:41], exec
	s_and_b64 s[48:49], vcc, exec
	s_or_b64 s[40:41], s[40:41], s[48:49]
	s_or_b64 exec, exec, s[0:1]
	v_mov_b32_e32 v1, 0
	s_and_saveexec_b64 s[0:1], s[40:41]
	s_cbranch_execnz .LBB332_75
	s_branch .LBB332_76
.LBB332_90:
	s_mov_b64 s[0:1], -1
                                        ; implicit-def: $vgpr1
	s_branch .LBB332_95
.LBB332_91:
	s_mov_b64 s[0:1], -1
                                        ; implicit-def: $vgpr1
.LBB332_92:
	s_and_b64 vcc, exec, s[0:1]
	s_cbranch_vccz .LBB332_94
; %bb.93:
	global_load_ubyte v1, v[4:5], off
	s_mov_b32 s0, 0x7f800000
	s_waitcnt vmcnt(0)
	v_lshlrev_b32_e32 v1, 24, v1
	v_and_b32_e32 v2, 0x7f000000, v1
	v_ffbh_u32_e32 v6, v2
	v_min_u32_e32 v6, 32, v6
	v_sub_u32_e64 v6, v6, 4 clamp
	v_lshlrev_b32_e32 v8, v6, v2
	v_lshlrev_b32_e32 v6, 23, v6
	v_lshrrev_b32_e32 v8, 4, v8
	v_add_u32_e32 v7, 0x1000000, v2
	v_sub_u32_e32 v6, v8, v6
	v_ashrrev_i32_e32 v7, 8, v7
	v_add_u32_e32 v6, 0x3c000000, v6
	v_and_or_b32 v6, v7, s0, v6
	v_cmp_ne_u32_e32 vcc, 0, v2
	v_cndmask_b32_e32 v2, 0, v6, vcc
	s_brev_b32 s0, 1
	v_and_or_b32 v1, v1, s0, v2
	v_cvt_u32_f32_e32 v1, v1
.LBB332_94:
	s_mov_b64 s[0:1], 0
.LBB332_95:
	s_andn2_b64 vcc, exec, s[0:1]
	s_cbranch_vccnz .LBB332_97
; %bb.96:
	global_load_ubyte v1, v[4:5], off
	s_movk_i32 s0, 0x7f00
	s_brev_b32 s1, 16
	s_waitcnt vmcnt(0)
	v_lshlrev_b16_e32 v2, 8, v1
	v_lshlrev_b32_e32 v1, 25, v1
	v_lshrrev_b32_e32 v6, 4, v1
	v_and_or_b32 v7, v2, s0, 0.5
	v_or_b32_e32 v6, 0x70000000, v6
	v_add_f32_e32 v7, -0.5, v7
	v_mul_f32_e32 v6, 0x7800000, v6
	v_cmp_gt_u32_e32 vcc, s1, v1
	v_bfe_i32 v2, v2, 0, 16
	v_cndmask_b32_e32 v1, v6, v7, vcc
	s_brev_b32 s0, 1
	v_and_or_b32 v1, v2, s0, v1
	v_cvt_u32_f32_e32 v1, v1
.LBB332_97:
	s_mov_b64 s[40:41], 0
	s_mov_b64 s[0:1], -1
.LBB332_98:
	s_andn2_b64 vcc, exec, s[40:41]
	s_cbranch_vccnz .LBB332_111
; %bb.99:
	s_cmp_gt_i32 s42, 14
	s_cbranch_scc0 .LBB332_102
; %bb.100:
	s_cmp_eq_u32 s42, 15
	s_cbranch_scc0 .LBB332_105
; %bb.101:
	global_load_ushort v1, v[4:5], off
	s_mov_b64 s[0:1], -1
	s_mov_b64 s[44:45], 0
	s_waitcnt vmcnt(0)
	v_lshlrev_b32_e32 v1, 16, v1
	v_cvt_u32_f32_e32 v1, v1
	s_branch .LBB332_106
.LBB332_102:
	s_mov_b64 s[40:41], -1
                                        ; implicit-def: $vgpr1
	s_branch .LBB332_107
.LBB332_103:
	s_andn2_saveexec_b64 s[0:1], s[0:1]
	s_cbranch_execz .LBB332_84
.LBB332_104:
	v_cmp_ne_u16_e32 vcc, 0, v2
	s_andn2_b64 s[40:41], s[40:41], exec
	s_and_b64 s[48:49], vcc, exec
	s_or_b64 s[40:41], s[40:41], s[48:49]
	s_or_b64 exec, exec, s[0:1]
	v_mov_b32_e32 v1, 0
	s_and_saveexec_b64 s[0:1], s[40:41]
	s_cbranch_execnz .LBB332_85
	s_branch .LBB332_86
.LBB332_105:
	s_mov_b64 s[44:45], -1
                                        ; implicit-def: $vgpr1
.LBB332_106:
	s_mov_b64 s[40:41], 0
.LBB332_107:
	s_and_b64 vcc, exec, s[40:41]
	s_cbranch_vccz .LBB332_111
; %bb.108:
	s_cmp_eq_u32 s42, 11
	s_cbranch_scc0 .LBB332_110
; %bb.109:
	global_load_ubyte v1, v[4:5], off
	s_mov_b64 s[0:1], -1
	s_mov_b64 s[44:45], 0
	s_waitcnt vmcnt(0)
	v_cmp_ne_u16_e32 vcc, 0, v1
	v_cndmask_b32_e64 v1, 0, 1, vcc
	s_branch .LBB332_111
.LBB332_110:
	s_mov_b64 s[44:45], -1
                                        ; implicit-def: $vgpr1
.LBB332_111:
	s_branch .LBB332_21
.LBB332_112:
	s_and_b32 s14, 0xffff, s14
	s_cmp_lt_i32 s14, 5
	s_cbranch_scc1 .LBB332_117
; %bb.113:
	s_cmp_lt_i32 s14, 8
	s_cbranch_scc1 .LBB332_118
; %bb.114:
	;; [unrolled: 3-line block ×3, first 2 shown]
	s_cmp_gt_i32 s14, 9
	s_cbranch_scc0 .LBB332_120
; %bb.116:
	global_load_dwordx2 v[1:2], v[4:5], off
	s_mov_b64 s[0:1], 0
	s_waitcnt vmcnt(0)
	v_cvt_u32_f64_e32 v1, v[1:2]
	s_branch .LBB332_121
.LBB332_117:
                                        ; implicit-def: $vgpr1
	s_branch .LBB332_139
.LBB332_118:
	s_mov_b64 s[0:1], -1
                                        ; implicit-def: $vgpr1
	s_branch .LBB332_127
.LBB332_119:
	s_mov_b64 s[0:1], -1
                                        ; implicit-def: $vgpr1
	s_branch .LBB332_124
.LBB332_120:
	s_mov_b64 s[0:1], -1
                                        ; implicit-def: $vgpr1
.LBB332_121:
	s_andn2_b64 vcc, exec, s[0:1]
	s_cbranch_vccnz .LBB332_123
; %bb.122:
	global_load_dword v1, v[4:5], off
	s_waitcnt vmcnt(0)
	v_cvt_u32_f32_e32 v1, v1
.LBB332_123:
	s_mov_b64 s[0:1], 0
.LBB332_124:
	s_andn2_b64 vcc, exec, s[0:1]
	s_cbranch_vccnz .LBB332_126
; %bb.125:
	global_load_dword v1, v[4:5], off
	s_waitcnt vmcnt(0)
	v_cvt_u16_f16_e32 v1, v1
.LBB332_126:
	s_mov_b64 s[0:1], 0
.LBB332_127:
	s_andn2_b64 vcc, exec, s[0:1]
	s_cbranch_vccnz .LBB332_138
; %bb.128:
	s_cmp_lt_i32 s14, 6
	s_cbranch_scc1 .LBB332_131
; %bb.129:
	s_cmp_gt_i32 s14, 6
	s_cbranch_scc0 .LBB332_132
; %bb.130:
	global_load_dwordx2 v[1:2], v[4:5], off
	s_mov_b64 s[0:1], 0
	s_waitcnt vmcnt(0)
	v_cvt_u32_f64_e32 v1, v[1:2]
	s_branch .LBB332_133
.LBB332_131:
	s_mov_b64 s[0:1], -1
                                        ; implicit-def: $vgpr1
	s_branch .LBB332_136
.LBB332_132:
	s_mov_b64 s[0:1], -1
                                        ; implicit-def: $vgpr1
.LBB332_133:
	s_andn2_b64 vcc, exec, s[0:1]
	s_cbranch_vccnz .LBB332_135
; %bb.134:
	global_load_dword v1, v[4:5], off
	s_waitcnt vmcnt(0)
	v_cvt_u32_f32_e32 v1, v1
.LBB332_135:
	s_mov_b64 s[0:1], 0
.LBB332_136:
	s_andn2_b64 vcc, exec, s[0:1]
	s_cbranch_vccnz .LBB332_138
; %bb.137:
	global_load_ushort v1, v[4:5], off
	s_waitcnt vmcnt(0)
	v_cvt_u16_f16_e32 v1, v1
.LBB332_138:
	s_cbranch_execnz .LBB332_158
.LBB332_139:
	s_cmp_lt_i32 s14, 2
	s_cbranch_scc1 .LBB332_143
; %bb.140:
	s_cmp_lt_i32 s14, 3
	s_cbranch_scc1 .LBB332_144
; %bb.141:
	s_cmp_gt_i32 s14, 3
	s_cbranch_scc0 .LBB332_145
; %bb.142:
	global_load_dwordx2 v[1:2], v[4:5], off
	s_mov_b64 s[0:1], 0
	s_branch .LBB332_146
.LBB332_143:
	s_mov_b64 s[0:1], -1
                                        ; implicit-def: $vgpr1
	s_branch .LBB332_152
.LBB332_144:
	s_mov_b64 s[0:1], -1
                                        ; implicit-def: $vgpr1
	s_branch .LBB332_149
.LBB332_145:
	s_mov_b64 s[0:1], -1
                                        ; implicit-def: $vgpr1
.LBB332_146:
	s_andn2_b64 vcc, exec, s[0:1]
	s_cbranch_vccnz .LBB332_148
; %bb.147:
	global_load_dword v1, v[4:5], off
.LBB332_148:
	s_mov_b64 s[0:1], 0
.LBB332_149:
	s_andn2_b64 vcc, exec, s[0:1]
	s_cbranch_vccnz .LBB332_151
; %bb.150:
	global_load_ushort v1, v[4:5], off
.LBB332_151:
	s_mov_b64 s[0:1], 0
.LBB332_152:
	s_andn2_b64 vcc, exec, s[0:1]
	s_cbranch_vccnz .LBB332_158
; %bb.153:
	s_cmp_gt_i32 s14, 0
	s_cbranch_scc0 .LBB332_155
; %bb.154:
	global_load_sbyte v1, v[4:5], off
	s_mov_b64 s[0:1], 0
	s_branch .LBB332_156
.LBB332_155:
	s_mov_b64 s[0:1], -1
                                        ; implicit-def: $vgpr1
.LBB332_156:
	s_andn2_b64 vcc, exec, s[0:1]
	s_cbranch_vccnz .LBB332_158
; %bb.157:
	global_load_ubyte v1, v[4:5], off
.LBB332_158:
	s_branch .LBB332_22
.LBB332_159:
	s_mov_b64 s[0:1], 0
	s_mov_b64 s[42:43], 0
	s_branch .LBB332_384
.LBB332_160:
	s_mov_b64 s[42:43], -1
.LBB332_161:
	s_mov_b64 s[0:1], 0
                                        ; implicit-def: $vgpr4
.LBB332_162:
	s_and_b64 vcc, exec, s[40:41]
	s_cbranch_vccz .LBB332_278
; %bb.163:
	s_cmp_eq_u32 s48, 44
	s_cbranch_scc0 .LBB332_277
; %bb.164:
	global_load_ubyte v4, v[2:3], off
	s_mov_b64 s[0:1], -1
	s_mov_b64 s[42:43], 0
	s_waitcnt vmcnt(0)
	v_lshlrev_b32_e32 v5, 23, v4
	v_cvt_u32_f32_e32 v5, v5
	v_cmp_ne_u32_e32 vcc, 0, v4
	v_cndmask_b32_e32 v4, 0, v5, vcc
	s_branch .LBB332_278
.LBB332_165:
	s_mov_b64 s[52:53], -1
	s_mov_b64 s[0:1], 0
	s_mov_b64 s[48:49], 0
.LBB332_166:
	s_and_b64 vcc, exec, s[52:53]
	s_cbranch_vccz .LBB332_171
; %bb.167:
	s_cmp_eq_u32 s56, 44
	s_mov_b64 s[0:1], -1
	s_cbranch_scc0 .LBB332_171
; %bb.168:
	v_cndmask_b32_e64 v3, 0, 1.0, s[40:41]
	v_lshrrev_b32_e32 v2, 23, v3
	s_movk_i32 s0, 0xff
	v_cmp_ne_u32_e32 vcc, s0, v2
	v_mov_b32_e32 v4, 0xff
	s_and_saveexec_b64 s[48:49], vcc
; %bb.169:
	s_mov_b32 s0, 0x3fffff
	v_and_b32_e32 v4, 0x400000, v3
	v_and_or_b32 v3, v3, s0, v2
	v_cmp_ne_u32_e32 vcc, 0, v4
	v_cmp_ne_u32_e64 s[0:1], 0, v3
	s_and_b64 s[0:1], vcc, s[0:1]
	v_cndmask_b32_e64 v3, 0, 1, s[0:1]
	v_add_u32_e32 v4, v2, v3
; %bb.170:
	s_or_b64 exec, exec, s[48:49]
	s_mov_b64 s[48:49], -1
	s_mov_b64 s[0:1], 0
	global_store_byte v[0:1], v4, off
.LBB332_171:
	s_mov_b64 s[52:53], 0
.LBB332_172:
	s_and_b64 vcc, exec, s[52:53]
	s_cbranch_vccz .LBB332_175
; %bb.173:
	s_cmp_eq_u32 s56, 29
	s_mov_b64 s[0:1], -1
	s_cbranch_scc0 .LBB332_175
; %bb.174:
	s_mov_b32 s0, 0
	v_cndmask_b32_e64 v2, 0, 1, s[40:41]
	v_mov_b32_e32 v3, s0
	global_store_dwordx2 v[0:1], v[2:3], off
	s_mov_b64 s[48:49], -1
	s_mov_b64 s[0:1], 0
.LBB332_175:
	s_mov_b64 s[52:53], 0
.LBB332_176:
	s_and_b64 vcc, exec, s[52:53]
	s_cbranch_vccz .LBB332_192
; %bb.177:
	s_cmp_lt_i32 s56, 27
	s_mov_b64 s[48:49], -1
	s_cbranch_scc1 .LBB332_183
; %bb.178:
	s_cmp_gt_i32 s56, 27
	s_cbranch_scc0 .LBB332_180
; %bb.179:
	v_cndmask_b32_e64 v2, 0, 1, s[40:41]
	s_mov_b64 s[48:49], 0
	global_store_dword v[0:1], v2, off
.LBB332_180:
	s_andn2_b64 vcc, exec, s[48:49]
	s_cbranch_vccnz .LBB332_182
; %bb.181:
	v_cndmask_b32_e64 v2, 0, 1, s[40:41]
	global_store_short v[0:1], v2, off
.LBB332_182:
	s_mov_b64 s[48:49], 0
.LBB332_183:
	s_andn2_b64 vcc, exec, s[48:49]
	s_cbranch_vccnz .LBB332_191
; %bb.184:
	v_cndmask_b32_e64 v3, 0, 1.0, s[40:41]
	s_mov_b32 s48, 0x43800000
	v_cmp_gt_u32_e32 vcc, s48, v3
	v_mov_b32_e32 v4, 0x80
	s_and_saveexec_b64 s[48:49], vcc
	s_cbranch_execz .LBB332_190
; %bb.185:
	s_mov_b32 s52, 0x3bffffff
	v_cmp_lt_u32_e32 vcc, s52, v3
	s_mov_b64 s[52:53], 0
                                        ; implicit-def: $vgpr2
	s_and_saveexec_b64 s[54:55], vcc
	s_xor_b64 s[54:55], exec, s[54:55]
	s_cbranch_execz .LBB332_426
; %bb.186:
	v_bfe_u32 v2, v3, 20, 1
	s_mov_b32 s57, 0x487ffff
	v_add3_u32 v2, v3, v2, s57
	s_mov_b64 s[52:53], exec
	v_lshrrev_b32_e32 v2, 20, v2
                                        ; implicit-def: $vgpr3
	s_andn2_saveexec_b64 s[54:55], s[54:55]
	s_cbranch_execnz .LBB332_427
.LBB332_187:
	s_or_b64 exec, exec, s[54:55]
	v_mov_b32_e32 v4, 0
	s_and_saveexec_b64 s[54:55], s[52:53]
.LBB332_188:
	v_mov_b32_e32 v4, v2
.LBB332_189:
	s_or_b64 exec, exec, s[54:55]
.LBB332_190:
	s_or_b64 exec, exec, s[48:49]
	global_store_byte v[0:1], v4, off
.LBB332_191:
	s_mov_b64 s[48:49], -1
.LBB332_192:
	s_mov_b64 s[52:53], 0
.LBB332_193:
	s_and_b64 vcc, exec, s[52:53]
	s_cbranch_vccz .LBB332_234
; %bb.194:
	s_cmp_gt_i32 s56, 22
	s_mov_b64 s[52:53], -1
	s_cbranch_scc0 .LBB332_226
; %bb.195:
	s_cmp_lt_i32 s56, 24
	s_mov_b64 s[48:49], -1
	s_cbranch_scc1 .LBB332_215
; %bb.196:
	s_cmp_gt_i32 s56, 24
	s_cbranch_scc0 .LBB332_204
; %bb.197:
	v_cndmask_b32_e64 v3, 0, 1.0, s[40:41]
	s_mov_b32 s48, 0x47800000
	v_cmp_gt_u32_e32 vcc, s48, v3
	v_mov_b32_e32 v4, 0x80
	s_and_saveexec_b64 s[48:49], vcc
	s_cbranch_execz .LBB332_203
; %bb.198:
	s_mov_b32 s52, 0x37ffffff
	v_cmp_lt_u32_e32 vcc, s52, v3
	s_mov_b64 s[52:53], 0
                                        ; implicit-def: $vgpr2
	s_and_saveexec_b64 s[54:55], vcc
	s_xor_b64 s[54:55], exec, s[54:55]
	s_cbranch_execz .LBB332_541
; %bb.199:
	v_bfe_u32 v2, v3, 21, 1
	s_mov_b32 s57, 0x88fffff
	v_add3_u32 v2, v3, v2, s57
	s_mov_b64 s[52:53], exec
	v_lshrrev_b32_e32 v2, 21, v2
                                        ; implicit-def: $vgpr3
	s_andn2_saveexec_b64 s[54:55], s[54:55]
	s_cbranch_execnz .LBB332_542
.LBB332_200:
	s_or_b64 exec, exec, s[54:55]
	v_mov_b32_e32 v4, 0
	s_and_saveexec_b64 s[54:55], s[52:53]
.LBB332_201:
	v_mov_b32_e32 v4, v2
.LBB332_202:
	s_or_b64 exec, exec, s[54:55]
.LBB332_203:
	s_or_b64 exec, exec, s[48:49]
	s_mov_b64 s[48:49], 0
	global_store_byte v[0:1], v4, off
.LBB332_204:
	s_and_b64 vcc, exec, s[48:49]
	s_cbranch_vccz .LBB332_214
; %bb.205:
	v_cndmask_b32_e64 v2, 0, 1.0, s[40:41]
	s_mov_b32 s48, 0x43f00000
	v_cmp_gt_u32_e32 vcc, s48, v2
                                        ; implicit-def: $vgpr3
	s_and_saveexec_b64 s[48:49], vcc
	s_xor_b64 s[48:49], exec, s[48:49]
	s_cbranch_execz .LBB332_211
; %bb.206:
	s_mov_b32 s52, 0x3c7fffff
	v_cmp_lt_u32_e32 vcc, s52, v2
                                        ; implicit-def: $vgpr3
	s_and_saveexec_b64 s[52:53], vcc
	s_xor_b64 s[52:53], exec, s[52:53]
; %bb.207:
	v_bfe_u32 v3, v2, 20, 1
	s_mov_b32 s54, 0x407ffff
	v_add3_u32 v2, v2, v3, s54
	v_lshrrev_b32_e32 v3, 20, v2
	v_and_b32_e32 v2, 0xff00000, v2
	s_mov_b32 s54, 0x7f00000
	v_mov_b32_e32 v4, 0x7e
	v_cmp_ne_u32_e32 vcc, s54, v2
	v_cndmask_b32_e32 v3, v4, v3, vcc
                                        ; implicit-def: $vgpr2
; %bb.208:
	s_andn2_saveexec_b64 s[52:53], s[52:53]
; %bb.209:
	v_add_f32_e32 v3, 0x46800000, v2
; %bb.210:
	s_or_b64 exec, exec, s[52:53]
                                        ; implicit-def: $vgpr2
.LBB332_211:
	s_andn2_saveexec_b64 s[48:49], s[48:49]
; %bb.212:
	s_mov_b32 s52, 0x7f800000
	v_mov_b32_e32 v3, 0x7e
	v_mov_b32_e32 v4, 0x7f
	v_cmp_lt_u32_e32 vcc, s52, v2
	v_cndmask_b32_e32 v3, v3, v4, vcc
; %bb.213:
	s_or_b64 exec, exec, s[48:49]
	global_store_byte v[0:1], v3, off
.LBB332_214:
	s_mov_b64 s[48:49], 0
.LBB332_215:
	s_andn2_b64 vcc, exec, s[48:49]
	s_cbranch_vccnz .LBB332_225
; %bb.216:
	v_cndmask_b32_e64 v2, 0, 1.0, s[40:41]
	s_mov_b32 s48, 0x47800000
	v_cmp_gt_u32_e32 vcc, s48, v2
                                        ; implicit-def: $vgpr3
	s_and_saveexec_b64 s[48:49], vcc
	s_xor_b64 s[48:49], exec, s[48:49]
	s_cbranch_execz .LBB332_222
; %bb.217:
	s_mov_b32 s52, 0x387fffff
	v_cmp_lt_u32_e32 vcc, s52, v2
                                        ; implicit-def: $vgpr3
	s_and_saveexec_b64 s[52:53], vcc
	s_xor_b64 s[52:53], exec, s[52:53]
; %bb.218:
	v_bfe_u32 v3, v2, 21, 1
	s_mov_b32 s54, 0x80fffff
	v_add3_u32 v2, v2, v3, s54
	v_lshrrev_b32_e32 v3, 21, v2
                                        ; implicit-def: $vgpr2
; %bb.219:
	s_andn2_saveexec_b64 s[52:53], s[52:53]
; %bb.220:
	v_add_f32_e32 v3, 0x43000000, v2
; %bb.221:
	s_or_b64 exec, exec, s[52:53]
                                        ; implicit-def: $vgpr2
.LBB332_222:
	s_andn2_saveexec_b64 s[48:49], s[48:49]
; %bb.223:
	s_mov_b32 s52, 0x7f800000
	v_mov_b32_e32 v3, 0x7c
	v_mov_b32_e32 v4, 0x7f
	v_cmp_lt_u32_e32 vcc, s52, v2
	v_cndmask_b32_e32 v3, v3, v4, vcc
; %bb.224:
	s_or_b64 exec, exec, s[48:49]
	global_store_byte v[0:1], v3, off
.LBB332_225:
	s_mov_b64 s[52:53], 0
	s_mov_b64 s[48:49], -1
.LBB332_226:
	s_andn2_b64 vcc, exec, s[52:53]
	s_cbranch_vccnz .LBB332_234
; %bb.227:
	s_cmp_gt_i32 s56, 14
	s_mov_b64 s[52:53], -1
	s_cbranch_scc0 .LBB332_231
; %bb.228:
	s_cmp_eq_u32 s56, 15
	s_mov_b64 s[0:1], -1
	s_cbranch_scc0 .LBB332_230
; %bb.229:
	v_cndmask_b32_e64 v2, 0, 1.0, s[40:41]
	v_bfe_u32 v3, v2, 16, 1
	s_movk_i32 s0, 0x7fff
	v_add3_u32 v2, v2, v3, s0
	global_store_short_d16_hi v[0:1], v2, off
	s_mov_b64 s[48:49], -1
	s_mov_b64 s[0:1], 0
.LBB332_230:
	s_mov_b64 s[52:53], 0
.LBB332_231:
	s_and_b64 vcc, exec, s[52:53]
	s_cbranch_vccz .LBB332_234
; %bb.232:
	s_cmp_eq_u32 s56, 11
	s_mov_b64 s[0:1], -1
	s_cbranch_scc0 .LBB332_234
; %bb.233:
	v_cndmask_b32_e64 v2, 0, 1, s[40:41]
	s_mov_b64 s[48:49], -1
	s_mov_b64 s[0:1], 0
	global_store_byte v[0:1], v2, off
.LBB332_234:
	s_mov_b64 s[52:53], 0
.LBB332_235:
	s_and_b64 vcc, exec, s[52:53]
	s_cbranch_vccz .LBB332_274
; %bb.236:
	s_and_b32 s14, 0xffff, s14
	s_cmp_lt_i32 s14, 5
	s_mov_b64 s[48:49], -1
	s_cbranch_scc1 .LBB332_257
; %bb.237:
	s_cmp_lt_i32 s14, 8
	s_cbranch_scc1 .LBB332_247
; %bb.238:
	s_cmp_lt_i32 s14, 9
	s_cbranch_scc1 .LBB332_244
; %bb.239:
	s_cmp_gt_i32 s14, 9
	s_cbranch_scc0 .LBB332_241
; %bb.240:
	v_cndmask_b32_e64 v2, 0, 1, s[40:41]
	v_cvt_f64_u32_e32 v[2:3], v2
	v_mov_b32_e32 v4, 0
	v_mov_b32_e32 v5, v4
	s_mov_b64 s[48:49], 0
	global_store_dwordx4 v[0:1], v[2:5], off
.LBB332_241:
	s_andn2_b64 vcc, exec, s[48:49]
	s_cbranch_vccnz .LBB332_243
; %bb.242:
	v_cndmask_b32_e64 v2, 0, 1.0, s[40:41]
	v_mov_b32_e32 v3, 0
	global_store_dwordx2 v[0:1], v[2:3], off
.LBB332_243:
	s_mov_b64 s[48:49], 0
.LBB332_244:
	s_andn2_b64 vcc, exec, s[48:49]
	s_cbranch_vccnz .LBB332_246
; %bb.245:
	v_cndmask_b32_e64 v2, 0, 1.0, s[40:41]
	v_cvt_f16_f32_e32 v2, v2
	global_store_dword v[0:1], v2, off
.LBB332_246:
	s_mov_b64 s[48:49], 0
.LBB332_247:
	s_andn2_b64 vcc, exec, s[48:49]
	s_cbranch_vccnz .LBB332_256
; %bb.248:
	s_cmp_lt_i32 s14, 6
	s_mov_b64 s[48:49], -1
	s_cbranch_scc1 .LBB332_254
; %bb.249:
	s_cmp_gt_i32 s14, 6
	s_cbranch_scc0 .LBB332_251
; %bb.250:
	v_cndmask_b32_e64 v2, 0, 1, s[40:41]
	v_cvt_f64_u32_e32 v[2:3], v2
	s_mov_b64 s[48:49], 0
	global_store_dwordx2 v[0:1], v[2:3], off
.LBB332_251:
	s_andn2_b64 vcc, exec, s[48:49]
	s_cbranch_vccnz .LBB332_253
; %bb.252:
	v_cndmask_b32_e64 v2, 0, 1.0, s[40:41]
	global_store_dword v[0:1], v2, off
.LBB332_253:
	s_mov_b64 s[48:49], 0
.LBB332_254:
	s_andn2_b64 vcc, exec, s[48:49]
	s_cbranch_vccnz .LBB332_256
; %bb.255:
	v_cndmask_b32_e64 v2, 0, 1.0, s[40:41]
	v_cvt_f16_f32_e32 v2, v2
	global_store_short v[0:1], v2, off
.LBB332_256:
	s_mov_b64 s[48:49], 0
.LBB332_257:
	s_andn2_b64 vcc, exec, s[48:49]
	s_cbranch_vccnz .LBB332_273
; %bb.258:
	s_cmp_lt_i32 s14, 2
	s_mov_b64 s[48:49], -1
	s_cbranch_scc1 .LBB332_268
; %bb.259:
	s_cmp_lt_i32 s14, 3
	s_cbranch_scc1 .LBB332_265
; %bb.260:
	s_cmp_gt_i32 s14, 3
	s_cbranch_scc0 .LBB332_262
; %bb.261:
	s_mov_b32 s48, 0
	v_cndmask_b32_e64 v2, 0, 1, s[40:41]
	v_mov_b32_e32 v3, s48
	global_store_dwordx2 v[0:1], v[2:3], off
	s_mov_b64 s[48:49], 0
.LBB332_262:
	s_andn2_b64 vcc, exec, s[48:49]
	s_cbranch_vccnz .LBB332_264
; %bb.263:
	v_cndmask_b32_e64 v2, 0, 1, s[40:41]
	global_store_dword v[0:1], v2, off
.LBB332_264:
	s_mov_b64 s[48:49], 0
.LBB332_265:
	s_andn2_b64 vcc, exec, s[48:49]
	s_cbranch_vccnz .LBB332_267
; %bb.266:
	v_cndmask_b32_e64 v2, 0, 1, s[40:41]
	global_store_short v[0:1], v2, off
.LBB332_267:
	s_mov_b64 s[48:49], 0
.LBB332_268:
	s_andn2_b64 vcc, exec, s[48:49]
	s_cbranch_vccnz .LBB332_273
; %bb.269:
	s_cmp_gt_i32 s14, 0
	s_mov_b64 s[48:49], -1
	s_cbranch_scc0 .LBB332_271
; %bb.270:
	v_cndmask_b32_e64 v2, 0, 1, s[40:41]
	global_store_byte v[0:1], v2, off
	s_mov_b64 s[48:49], 0
.LBB332_271:
	s_andn2_b64 vcc, exec, s[48:49]
	s_cbranch_vccnz .LBB332_273
; %bb.272:
	v_cndmask_b32_e64 v2, 0, 1, s[40:41]
	global_store_byte v[0:1], v2, off
.LBB332_273:
	s_mov_b64 s[48:49], -1
.LBB332_274:
	s_andn2_b64 vcc, exec, s[48:49]
	s_cbranch_vccnz .LBB332_276
; %bb.275:
	v_add_u32_e32 v10, 0x80, v10
	s_mov_b64 s[48:49], -1
	s_branch .LBB332_385
.LBB332_276:
	s_mov_b64 s[48:49], 0
                                        ; implicit-def: $vgpr10
	s_branch .LBB332_385
.LBB332_277:
	s_mov_b64 s[42:43], -1
                                        ; implicit-def: $vgpr4
.LBB332_278:
	s_mov_b64 s[40:41], 0
.LBB332_279:
	s_and_b64 vcc, exec, s[40:41]
	s_cbranch_vccz .LBB332_283
; %bb.280:
	s_cmp_eq_u32 s48, 29
	s_cbranch_scc0 .LBB332_282
; %bb.281:
	global_load_dwordx2 v[4:5], v[2:3], off
	s_mov_b64 s[0:1], -1
	s_mov_b64 s[42:43], 0
	s_branch .LBB332_283
.LBB332_282:
	s_mov_b64 s[42:43], -1
                                        ; implicit-def: $vgpr4
.LBB332_283:
	s_mov_b64 s[40:41], 0
.LBB332_284:
	s_and_b64 vcc, exec, s[40:41]
	s_cbranch_vccz .LBB332_300
; %bb.285:
	s_cmp_lt_i32 s48, 27
	s_cbranch_scc1 .LBB332_288
; %bb.286:
	s_cmp_gt_i32 s48, 27
	s_cbranch_scc0 .LBB332_289
; %bb.287:
	global_load_dword v4, v[2:3], off
	s_mov_b64 s[0:1], 0
	s_branch .LBB332_290
.LBB332_288:
	s_mov_b64 s[0:1], -1
                                        ; implicit-def: $vgpr4
	s_branch .LBB332_293
.LBB332_289:
	s_mov_b64 s[0:1], -1
                                        ; implicit-def: $vgpr4
.LBB332_290:
	s_andn2_b64 vcc, exec, s[0:1]
	s_cbranch_vccnz .LBB332_292
; %bb.291:
	global_load_ushort v4, v[2:3], off
.LBB332_292:
	s_mov_b64 s[0:1], 0
.LBB332_293:
	s_andn2_b64 vcc, exec, s[0:1]
	s_cbranch_vccnz .LBB332_299
; %bb.294:
	global_load_ubyte v5, v[2:3], off
	s_movk_i32 s0, 0x7f
	s_mov_b64 s[40:41], 0
	s_waitcnt vmcnt(0)
	v_cmp_lt_i16_e32 vcc, s0, v5
	s_and_saveexec_b64 s[0:1], vcc
	s_xor_b64 s[0:1], exec, s[0:1]
	s_cbranch_execz .LBB332_311
; %bb.295:
	s_movk_i32 s40, 0x80
	v_cmp_ne_u16_e32 vcc, s40, v5
	s_and_b64 s[40:41], vcc, exec
	s_andn2_saveexec_b64 s[0:1], s[0:1]
	s_cbranch_execnz .LBB332_312
.LBB332_296:
	s_or_b64 exec, exec, s[0:1]
	v_mov_b32_e32 v4, 0
	s_and_saveexec_b64 s[0:1], s[40:41]
	s_cbranch_execz .LBB332_298
.LBB332_297:
	v_lshlrev_b32_e32 v4, 24, v5
	v_and_b32_e32 v5, 0xffff, v5
	v_and_b32_e32 v6, 7, v5
	v_ffbh_u32_e32 v8, v6
	v_min_u32_e32 v8, 32, v8
	v_subrev_u32_e32 v9, 28, v8
	v_bfe_u32 v7, v5, 3, 4
	v_lshlrev_b32_e32 v5, v9, v5
	v_sub_u32_e32 v8, 29, v8
	v_and_b32_e32 v5, 7, v5
	v_cmp_eq_u32_e32 vcc, 0, v7
	v_cndmask_b32_e32 v7, v7, v8, vcc
	v_cndmask_b32_e32 v5, v6, v5, vcc
	v_mov_b32_e32 v6, 0x3b800000
	v_lshlrev_b32_e32 v5, 20, v5
	v_and_b32_e32 v4, 0x80000000, v4
	v_lshl_add_u32 v6, v7, 23, v6
	v_or3_b32 v4, v4, v6, v5
	v_cvt_u32_f32_e32 v4, v4
.LBB332_298:
	s_or_b64 exec, exec, s[0:1]
.LBB332_299:
	s_mov_b64 s[0:1], -1
.LBB332_300:
	s_mov_b64 s[40:41], 0
.LBB332_301:
	s_and_b64 vcc, exec, s[40:41]
	s_cbranch_vccz .LBB332_334
; %bb.302:
	s_cmp_gt_i32 s48, 22
	s_cbranch_scc0 .LBB332_310
; %bb.303:
	s_cmp_lt_i32 s48, 24
	s_cbranch_scc1 .LBB332_313
; %bb.304:
	s_cmp_gt_i32 s48, 24
	s_cbranch_scc0 .LBB332_314
; %bb.305:
	global_load_ubyte v5, v[2:3], off
	s_movk_i32 s0, 0x7f
	s_mov_b64 s[40:41], 0
	s_waitcnt vmcnt(0)
	v_cmp_lt_i16_e32 vcc, s0, v5
	s_and_saveexec_b64 s[0:1], vcc
	s_xor_b64 s[0:1], exec, s[0:1]
	s_cbranch_execz .LBB332_326
; %bb.306:
	s_movk_i32 s40, 0x80
	v_cmp_ne_u16_e32 vcc, s40, v5
	s_and_b64 s[40:41], vcc, exec
	s_andn2_saveexec_b64 s[0:1], s[0:1]
	s_cbranch_execnz .LBB332_327
.LBB332_307:
	s_or_b64 exec, exec, s[0:1]
	v_mov_b32_e32 v4, 0
	s_and_saveexec_b64 s[0:1], s[40:41]
	s_cbranch_execz .LBB332_309
.LBB332_308:
	v_lshlrev_b32_e32 v4, 24, v5
	v_and_b32_e32 v5, 0xffff, v5
	v_and_b32_e32 v6, 3, v5
	v_ffbh_u32_e32 v8, v6
	v_min_u32_e32 v8, 32, v8
	v_subrev_u32_e32 v9, 29, v8
	v_bfe_u32 v7, v5, 2, 5
	v_lshlrev_b32_e32 v5, v9, v5
	v_sub_u32_e32 v8, 30, v8
	v_and_b32_e32 v5, 3, v5
	v_cmp_eq_u32_e32 vcc, 0, v7
	v_cndmask_b32_e32 v7, v7, v8, vcc
	v_cndmask_b32_e32 v5, v6, v5, vcc
	v_mov_b32_e32 v6, 0x37800000
	v_lshlrev_b32_e32 v5, 21, v5
	v_and_b32_e32 v4, 0x80000000, v4
	v_lshl_add_u32 v6, v7, 23, v6
	v_or3_b32 v4, v4, v6, v5
	v_cvt_u32_f32_e32 v4, v4
.LBB332_309:
	s_or_b64 exec, exec, s[0:1]
	s_mov_b64 s[0:1], 0
	s_branch .LBB332_315
.LBB332_310:
	s_mov_b64 s[40:41], -1
                                        ; implicit-def: $vgpr4
	s_branch .LBB332_321
.LBB332_311:
	s_andn2_saveexec_b64 s[0:1], s[0:1]
	s_cbranch_execz .LBB332_296
.LBB332_312:
	v_cmp_ne_u16_e32 vcc, 0, v5
	s_andn2_b64 s[40:41], s[40:41], exec
	s_and_b64 s[52:53], vcc, exec
	s_or_b64 s[40:41], s[40:41], s[52:53]
	s_or_b64 exec, exec, s[0:1]
	v_mov_b32_e32 v4, 0
	s_and_saveexec_b64 s[0:1], s[40:41]
	s_cbranch_execnz .LBB332_297
	s_branch .LBB332_298
.LBB332_313:
	s_mov_b64 s[0:1], -1
                                        ; implicit-def: $vgpr4
	s_branch .LBB332_318
.LBB332_314:
	s_mov_b64 s[0:1], -1
                                        ; implicit-def: $vgpr4
.LBB332_315:
	s_and_b64 vcc, exec, s[0:1]
	s_cbranch_vccz .LBB332_317
; %bb.316:
	global_load_ubyte v4, v[2:3], off
	s_mov_b32 s0, 0x7f800000
	s_waitcnt vmcnt(0)
	v_lshlrev_b32_e32 v4, 24, v4
	v_and_b32_e32 v5, 0x7f000000, v4
	v_ffbh_u32_e32 v6, v5
	v_min_u32_e32 v6, 32, v6
	v_sub_u32_e64 v6, v6, 4 clamp
	v_lshlrev_b32_e32 v8, v6, v5
	v_lshlrev_b32_e32 v6, 23, v6
	v_lshrrev_b32_e32 v8, 4, v8
	v_add_u32_e32 v7, 0x1000000, v5
	v_sub_u32_e32 v6, v8, v6
	v_ashrrev_i32_e32 v7, 8, v7
	v_add_u32_e32 v6, 0x3c000000, v6
	v_and_or_b32 v6, v7, s0, v6
	v_cmp_ne_u32_e32 vcc, 0, v5
	v_cndmask_b32_e32 v5, 0, v6, vcc
	s_brev_b32 s0, 1
	v_and_or_b32 v4, v4, s0, v5
	v_cvt_u32_f32_e32 v4, v4
.LBB332_317:
	s_mov_b64 s[0:1], 0
.LBB332_318:
	s_andn2_b64 vcc, exec, s[0:1]
	s_cbranch_vccnz .LBB332_320
; %bb.319:
	global_load_ubyte v4, v[2:3], off
	s_movk_i32 s0, 0x7f00
	s_brev_b32 s1, 16
	s_waitcnt vmcnt(0)
	v_lshlrev_b16_e32 v5, 8, v4
	v_lshlrev_b32_e32 v4, 25, v4
	v_lshrrev_b32_e32 v6, 4, v4
	v_and_or_b32 v7, v5, s0, 0.5
	v_or_b32_e32 v6, 0x70000000, v6
	v_add_f32_e32 v7, -0.5, v7
	v_mul_f32_e32 v6, 0x7800000, v6
	v_cmp_gt_u32_e32 vcc, s1, v4
	v_bfe_i32 v5, v5, 0, 16
	v_cndmask_b32_e32 v4, v6, v7, vcc
	s_brev_b32 s0, 1
	v_and_or_b32 v4, v5, s0, v4
	v_cvt_u32_f32_e32 v4, v4
.LBB332_320:
	s_mov_b64 s[40:41], 0
	s_mov_b64 s[0:1], -1
.LBB332_321:
	s_andn2_b64 vcc, exec, s[40:41]
	s_cbranch_vccnz .LBB332_334
; %bb.322:
	s_cmp_gt_i32 s48, 14
	s_cbranch_scc0 .LBB332_325
; %bb.323:
	s_cmp_eq_u32 s48, 15
	s_cbranch_scc0 .LBB332_328
; %bb.324:
	global_load_ushort v4, v[2:3], off
	s_mov_b64 s[0:1], -1
	s_mov_b64 s[42:43], 0
	s_waitcnt vmcnt(0)
	v_lshlrev_b32_e32 v4, 16, v4
	v_cvt_u32_f32_e32 v4, v4
	s_branch .LBB332_329
.LBB332_325:
	s_mov_b64 s[40:41], -1
                                        ; implicit-def: $vgpr4
	s_branch .LBB332_330
.LBB332_326:
	s_andn2_saveexec_b64 s[0:1], s[0:1]
	s_cbranch_execz .LBB332_307
.LBB332_327:
	v_cmp_ne_u16_e32 vcc, 0, v5
	s_andn2_b64 s[40:41], s[40:41], exec
	s_and_b64 s[52:53], vcc, exec
	s_or_b64 s[40:41], s[40:41], s[52:53]
	s_or_b64 exec, exec, s[0:1]
	v_mov_b32_e32 v4, 0
	s_and_saveexec_b64 s[0:1], s[40:41]
	s_cbranch_execnz .LBB332_308
	s_branch .LBB332_309
.LBB332_328:
	s_mov_b64 s[42:43], -1
                                        ; implicit-def: $vgpr4
.LBB332_329:
	s_mov_b64 s[40:41], 0
.LBB332_330:
	s_and_b64 vcc, exec, s[40:41]
	s_cbranch_vccz .LBB332_334
; %bb.331:
	s_cmp_eq_u32 s48, 11
	s_cbranch_scc0 .LBB332_333
; %bb.332:
	global_load_ubyte v4, v[2:3], off
	s_mov_b64 s[0:1], -1
	s_mov_b64 s[42:43], 0
	s_waitcnt vmcnt(0)
	v_cmp_ne_u16_e32 vcc, 0, v4
	v_cndmask_b32_e64 v4, 0, 1, vcc
	s_branch .LBB332_334
.LBB332_333:
	s_mov_b64 s[42:43], -1
                                        ; implicit-def: $vgpr4
.LBB332_334:
	s_branch .LBB332_31
.LBB332_335:
	s_and_b32 s14, 0xffff, s14
	s_cmp_lt_i32 s14, 5
	s_cbranch_scc1 .LBB332_340
; %bb.336:
	s_cmp_lt_i32 s14, 8
	s_cbranch_scc1 .LBB332_341
; %bb.337:
	;; [unrolled: 3-line block ×3, first 2 shown]
	s_cmp_gt_i32 s14, 9
	s_cbranch_scc0 .LBB332_343
; %bb.339:
	global_load_dwordx2 v[4:5], v[2:3], off
	s_mov_b64 s[0:1], 0
	s_waitcnt vmcnt(0)
	v_cvt_u32_f64_e32 v4, v[4:5]
	s_branch .LBB332_344
.LBB332_340:
	s_mov_b64 s[0:1], -1
                                        ; implicit-def: $vgpr4
	s_branch .LBB332_362
.LBB332_341:
	s_mov_b64 s[0:1], -1
                                        ; implicit-def: $vgpr4
	s_branch .LBB332_350
.LBB332_342:
	s_mov_b64 s[0:1], -1
                                        ; implicit-def: $vgpr4
	s_branch .LBB332_347
.LBB332_343:
	s_mov_b64 s[0:1], -1
                                        ; implicit-def: $vgpr4
.LBB332_344:
	s_andn2_b64 vcc, exec, s[0:1]
	s_cbranch_vccnz .LBB332_346
; %bb.345:
	global_load_dword v4, v[2:3], off
	s_waitcnt vmcnt(0)
	v_cvt_u32_f32_e32 v4, v4
.LBB332_346:
	s_mov_b64 s[0:1], 0
.LBB332_347:
	s_andn2_b64 vcc, exec, s[0:1]
	s_cbranch_vccnz .LBB332_349
; %bb.348:
	global_load_dword v4, v[2:3], off
	s_waitcnt vmcnt(0)
	v_cvt_u16_f16_e32 v4, v4
.LBB332_349:
	s_mov_b64 s[0:1], 0
.LBB332_350:
	s_andn2_b64 vcc, exec, s[0:1]
	s_cbranch_vccnz .LBB332_361
; %bb.351:
	s_cmp_lt_i32 s14, 6
	s_cbranch_scc1 .LBB332_354
; %bb.352:
	s_cmp_gt_i32 s14, 6
	s_cbranch_scc0 .LBB332_355
; %bb.353:
	global_load_dwordx2 v[4:5], v[2:3], off
	s_mov_b64 s[0:1], 0
	s_waitcnt vmcnt(0)
	v_cvt_u32_f64_e32 v4, v[4:5]
	s_branch .LBB332_356
.LBB332_354:
	s_mov_b64 s[0:1], -1
                                        ; implicit-def: $vgpr4
	s_branch .LBB332_359
.LBB332_355:
	s_mov_b64 s[0:1], -1
                                        ; implicit-def: $vgpr4
.LBB332_356:
	s_andn2_b64 vcc, exec, s[0:1]
	s_cbranch_vccnz .LBB332_358
; %bb.357:
	global_load_dword v4, v[2:3], off
	s_waitcnt vmcnt(0)
	v_cvt_u32_f32_e32 v4, v4
.LBB332_358:
	s_mov_b64 s[0:1], 0
.LBB332_359:
	s_andn2_b64 vcc, exec, s[0:1]
	s_cbranch_vccnz .LBB332_361
; %bb.360:
	global_load_ushort v4, v[2:3], off
	s_waitcnt vmcnt(0)
	v_cvt_u16_f16_e32 v4, v4
.LBB332_361:
	s_mov_b64 s[0:1], 0
.LBB332_362:
	s_andn2_b64 vcc, exec, s[0:1]
	s_cbranch_vccnz .LBB332_382
; %bb.363:
	s_cmp_lt_i32 s14, 2
	s_cbranch_scc1 .LBB332_367
; %bb.364:
	s_cmp_lt_i32 s14, 3
	s_cbranch_scc1 .LBB332_368
; %bb.365:
	s_cmp_gt_i32 s14, 3
	s_cbranch_scc0 .LBB332_369
; %bb.366:
	global_load_dwordx2 v[4:5], v[2:3], off
	s_mov_b64 s[0:1], 0
	s_branch .LBB332_370
.LBB332_367:
	s_mov_b64 s[0:1], -1
                                        ; implicit-def: $vgpr4
	s_branch .LBB332_376
.LBB332_368:
	s_mov_b64 s[0:1], -1
                                        ; implicit-def: $vgpr4
	s_branch .LBB332_373
.LBB332_369:
	s_mov_b64 s[0:1], -1
                                        ; implicit-def: $vgpr4
.LBB332_370:
	s_andn2_b64 vcc, exec, s[0:1]
	s_cbranch_vccnz .LBB332_372
; %bb.371:
	global_load_dword v4, v[2:3], off
.LBB332_372:
	s_mov_b64 s[0:1], 0
.LBB332_373:
	s_andn2_b64 vcc, exec, s[0:1]
	s_cbranch_vccnz .LBB332_375
; %bb.374:
	global_load_ushort v4, v[2:3], off
.LBB332_375:
	s_mov_b64 s[0:1], 0
.LBB332_376:
	s_andn2_b64 vcc, exec, s[0:1]
	s_cbranch_vccnz .LBB332_382
; %bb.377:
	s_cmp_gt_i32 s14, 0
	s_cbranch_scc0 .LBB332_379
; %bb.378:
	global_load_sbyte v4, v[2:3], off
	s_mov_b64 s[0:1], 0
	s_branch .LBB332_380
.LBB332_379:
	s_mov_b64 s[0:1], -1
                                        ; implicit-def: $vgpr4
.LBB332_380:
	s_andn2_b64 vcc, exec, s[0:1]
	s_cbranch_vccnz .LBB332_382
; %bb.381:
	global_load_ubyte v4, v[2:3], off
.LBB332_382:
	s_branch .LBB332_32
.LBB332_383:
	s_mov_b64 s[0:1], 0
.LBB332_384:
                                        ; implicit-def: $vgpr10
	s_mov_b64 s[48:49], 0
.LBB332_385:
	s_and_b64 s[40:41], s[0:1], exec
	s_and_b64 s[42:43], s[42:43], exec
	;; [unrolled: 1-line block ×3, first 2 shown]
	s_orn2_b64 s[0:1], s[48:49], exec
.LBB332_386:
	s_or_b64 exec, exec, s[46:47]
	s_mov_b64 s[54:55], 0
	s_mov_b64 s[52:53], 0
                                        ; implicit-def: $sgpr14
                                        ; implicit-def: $vgpr4_vgpr5
                                        ; implicit-def: $vgpr0
                                        ; implicit-def: $vgpr3
                                        ; implicit-def: $vgpr1
	s_and_saveexec_b64 s[46:47], s[0:1]
	s_cbranch_execz .LBB332_394
; %bb.387:
	v_cmp_gt_i32_e32 vcc, s70, v10
	s_mov_b64 s[0:1], -1
	s_mov_b64 s[48:49], s[44:45]
	s_mov_b64 s[50:51], s[42:43]
	;; [unrolled: 1-line block ×3, first 2 shown]
	s_and_saveexec_b64 s[54:55], vcc
	s_cbranch_execz .LBB332_779
; %bb.388:
	s_andn2_b64 vcc, exec, s[24:25]
	s_cbranch_vccnz .LBB332_397
; %bb.389:
	s_andn2_b64 vcc, exec, s[38:39]
	s_cbranch_vccnz .LBB332_398
; %bb.390:
	s_add_i32 s0, s75, 1
	s_and_b32 s14, s0, 30
	s_add_u32 s0, s2, 0xffffffe8
	s_addc_u32 s1, s3, -1
	v_mov_b32_e32 v3, 0
	s_waitcnt vmcnt(0)
	v_mov_b32_e32 v5, 0
	v_mov_b32_e32 v0, 0
	;; [unrolled: 1-line block ×3, first 2 shown]
.LBB332_391:                            ; =>This Inner Loop Header: Depth=1
	s_load_dwordx4 s[48:51], s[0:1], 0x1c
	s_load_dwordx2 s[52:53], s[0:1], 0x2c
	s_load_dwordx2 s[60:61], s[0:1], 0xec
	s_load_dwordx4 s[56:59], s[0:1], 0xdc
	s_add_u32 s0, s0, 24
	s_waitcnt lgkmcnt(0)
	v_mul_hi_u32 v2, s49, v1
	s_addc_u32 s1, s1, 0
	s_add_i32 s14, s14, -2
	s_cmp_eq_u32 s14, 0
	v_add_u32_e32 v2, v1, v2
	v_lshrrev_b32_e32 v2, s50, v2
	v_mul_lo_u32 v4, v2, s48
	v_mul_hi_u32 v6, s52, v2
	v_sub_u32_e32 v4, v1, v4
	v_add_u32_e32 v1, v2, v6
	v_lshrrev_b32_e32 v1, s53, v1
	v_mul_lo_u32 v8, v1, s51
	v_mul_lo_u32 v6, v4, s56
	;; [unrolled: 1-line block ×4, first 2 shown]
	v_sub_u32_e32 v2, v2, v8
	v_mul_lo_u32 v8, v2, s59
	v_mul_lo_u32 v9, v2, s60
	;; [unrolled: 1-line block ×3, first 2 shown]
	v_add3_u32 v0, v6, v0, v8
	v_add3_u32 v5, v7, v5, v9
	;; [unrolled: 1-line block ×3, first 2 shown]
	s_cbranch_scc0 .LBB332_391
; %bb.392:
	s_bitcmp1_b32 s75, 0
	s_cselect_b64 s[48:49], -1, 0
	s_and_b64 vcc, exec, s[48:49]
	s_cbranch_vccnz .LBB332_399
; %bb.393:
	s_load_dwordx2 s[48:49], s[0:1], 0x1c
	s_load_dword s14, s[0:1], 0x24
	s_load_dwordx2 s[50:51], s[0:1], 0xdc
	s_waitcnt lgkmcnt(0)
	v_mul_hi_u32 v2, s49, v1
	v_add_u32_e32 v2, v1, v2
	v_lshrrev_b32_e32 v2, s14, v2
	v_mul_lo_u32 v2, v2, s48
	s_load_dword s14, s[0:1], 0xe4
	v_sub_u32_e32 v2, v1, v2
	v_mad_u64_u32 v[0:1], s[0:1], v2, s50, v[0:1]
	v_mad_u64_u32 v[5:6], s[0:1], v2, s51, v[5:6]
	s_waitcnt lgkmcnt(0)
	v_mad_u64_u32 v[3:4], s[0:1], v2, s14, v[3:4]
	s_branch .LBB332_399
.LBB332_394:
	s_or_b64 exec, exec, s[46:47]
	s_mov_b64 s[10:11], 0
	s_and_saveexec_b64 s[0:1], s[44:45]
	s_cbranch_execnz .LBB332_1265
.LBB332_395:
	s_or_b64 exec, exec, s[0:1]
	s_and_saveexec_b64 s[0:1], s[50:51]
	s_xor_b64 s[0:1], exec, s[0:1]
	s_cbranch_execz .LBB332_1266
.LBB332_396:
	s_waitcnt vmcnt(0)
	global_load_ubyte v1, v[4:5], off
	s_or_b64 s[52:53], s[52:53], exec
	s_waitcnt vmcnt(0)
	v_cmp_ne_u16_e32 vcc, 0, v1
	v_cndmask_b32_e64 v1, 0, 1, vcc
	s_or_b64 exec, exec, s[0:1]
	s_and_saveexec_b64 s[0:1], s[54:55]
	s_cbranch_execz .LBB332_1312
	s_branch .LBB332_1267
.LBB332_397:
                                        ; implicit-def: $vgpr0
                                        ; implicit-def: $vgpr5
                                        ; implicit-def: $vgpr3
	s_andn2_b64 vcc, exec, s[0:1]
	s_cbranch_vccz .LBB332_400
	s_branch .LBB332_402
.LBB332_398:
	v_mov_b32_e32 v0, 0
	s_waitcnt vmcnt(0)
	v_mov_b32_e32 v5, 0
	v_mov_b32_e32 v3, 0
.LBB332_399:
	s_cbranch_execnz .LBB332_402
.LBB332_400:
	v_mul_hi_u32 v0, s17, v10
	s_andn2_b64 vcc, exec, s[36:37]
	v_add_u32_e32 v0, v10, v0
	s_waitcnt vmcnt(0)
	v_lshrrev_b32_e32 v1, s18, v0
	v_mul_lo_u32 v0, v1, s16
	v_sub_u32_e32 v2, v10, v0
	v_mul_lo_u32 v0, v2, s20
	v_mul_lo_u32 v5, v2, s21
	v_mul_lo_u32 v3, v2, s22
	s_cbranch_vccnz .LBB332_402
; %bb.401:
	v_mul_hi_u32 v2, s34, v1
	v_add_u32_e32 v2, v1, v2
	v_lshrrev_b32_e32 v2, s35, v2
	v_mul_lo_u32 v2, v2, s19
	v_sub_u32_e32 v2, v1, v2
	v_mad_u64_u32 v[0:1], s[0:1], v2, s23, v[0:1]
	v_mad_u64_u32 v[5:6], s[0:1], v2, s30, v[5:6]
	;; [unrolled: 1-line block ×3, first 2 shown]
.LBB332_402:
	s_waitcnt vmcnt(0)
	v_mov_b32_e32 v1, s11
	s_and_b32 s14, s74, 0xff
	v_add_co_u32_e32 v4, vcc, s10, v5
	s_cmp_lt_i32 s14, 11
	v_addc_co_u32_e32 v5, vcc, 0, v1, vcc
	s_cbranch_scc1 .LBB332_409
; %bb.403:
	s_and_b32 s52, 0xffff, s14
	s_cmp_gt_i32 s52, 25
	s_cbranch_scc0 .LBB332_418
; %bb.404:
	s_cmp_gt_i32 s52, 28
	s_cbranch_scc0 .LBB332_420
; %bb.405:
	;; [unrolled: 3-line block ×4, first 2 shown]
	s_cmp_eq_u32 s52, 46
	s_mov_b64 s[50:51], 0
	s_cbranch_scc0 .LBB332_428
; %bb.408:
	global_load_dword v1, v[4:5], off
	s_mov_b64 s[0:1], -1
	s_mov_b64 s[48:49], 0
	s_waitcnt vmcnt(0)
	v_lshlrev_b32_e32 v1, 16, v1
	v_cvt_u32_f32_e32 v1, v1
	s_branch .LBB332_429
.LBB332_409:
	s_mov_b64 s[0:1], 0
                                        ; implicit-def: $vgpr1
	s_mov_b64 s[48:49], s[44:45]
	s_cbranch_execnz .LBB332_491
.LBB332_410:
	s_andn2_b64 vcc, exec, s[0:1]
	s_cbranch_vccnz .LBB332_539
.LBB332_411:
	v_mov_b32_e32 v4, s13
	s_and_b32 s14, s73, 0xff
	s_waitcnt vmcnt(0)
	v_add_co_u32_e32 v2, vcc, s12, v3
	s_cmp_lt_i32 s14, 11
	v_addc_co_u32_e32 v3, vcc, 0, v4, vcc
	s_cbranch_scc1 .LBB332_419
; %bb.412:
	s_and_b32 s56, 0xffff, s14
	s_cmp_gt_i32 s56, 25
	s_cbranch_scc0 .LBB332_421
; %bb.413:
	s_cmp_gt_i32 s56, 28
	s_cbranch_scc0 .LBB332_423
; %bb.414:
	s_cmp_gt_i32 s56, 43
	s_cbranch_scc0 .LBB332_425
; %bb.415:
	s_cmp_gt_i32 s56, 45
	s_cbranch_scc0 .LBB332_432
; %bb.416:
	s_cmp_eq_u32 s56, 46
	s_mov_b64 s[52:53], 0
	s_cbranch_scc0 .LBB332_543
; %bb.417:
	global_load_dword v4, v[2:3], off
	s_mov_b64 s[0:1], -1
	s_mov_b64 s[50:51], 0
	s_waitcnt vmcnt(0)
	v_lshlrev_b32_e32 v4, 16, v4
	v_cvt_u32_f32_e32 v4, v4
	s_branch .LBB332_544
.LBB332_418:
	s_mov_b64 s[50:51], -1
	s_mov_b64 s[0:1], 0
	s_mov_b64 s[48:49], s[44:45]
                                        ; implicit-def: $vgpr1
	s_branch .LBB332_457
.LBB332_419:
	s_mov_b64 s[52:53], -1
	s_mov_b64 s[0:1], 0
                                        ; implicit-def: $vgpr4
	s_mov_b64 s[50:51], s[42:43]
	s_branch .LBB332_605
.LBB332_420:
	s_mov_b64 s[50:51], -1
	s_mov_b64 s[0:1], 0
	s_mov_b64 s[48:49], s[44:45]
                                        ; implicit-def: $vgpr1
	s_branch .LBB332_440
.LBB332_421:
	s_mov_b64 s[52:53], -1
	s_mov_b64 s[0:1], 0
	s_mov_b64 s[50:51], s[42:43]
                                        ; implicit-def: $vgpr4
	s_branch .LBB332_571
.LBB332_422:
	s_mov_b64 s[50:51], -1
	s_mov_b64 s[0:1], 0
	s_mov_b64 s[48:49], s[44:45]
                                        ; implicit-def: $vgpr1
	s_branch .LBB332_435
.LBB332_423:
	s_mov_b64 s[52:53], -1
	s_mov_b64 s[0:1], 0
	s_mov_b64 s[50:51], s[42:43]
                                        ; implicit-def: $vgpr4
	s_branch .LBB332_554
.LBB332_424:
	s_mov_b64 s[50:51], -1
	s_mov_b64 s[0:1], 0
	s_mov_b64 s[48:49], s[44:45]
                                        ; implicit-def: $vgpr1
	s_branch .LBB332_429
.LBB332_425:
	s_mov_b64 s[52:53], -1
	s_mov_b64 s[0:1], 0
	s_mov_b64 s[50:51], s[42:43]
                                        ; implicit-def: $vgpr4
	s_branch .LBB332_549
.LBB332_426:
	s_andn2_saveexec_b64 s[54:55], s[54:55]
	s_cbranch_execz .LBB332_187
.LBB332_427:
	v_add_f32_e32 v2, 0x46000000, v3
	v_and_b32_e32 v2, 0xff, v2
	v_cmp_ne_u32_e32 vcc, 0, v2
	s_andn2_b64 s[52:53], s[52:53], exec
	s_and_b64 s[58:59], vcc, exec
	s_or_b64 s[52:53], s[52:53], s[58:59]
	s_or_b64 exec, exec, s[54:55]
	v_mov_b32_e32 v4, 0
	s_and_saveexec_b64 s[54:55], s[52:53]
	s_cbranch_execnz .LBB332_188
	s_branch .LBB332_189
.LBB332_428:
	s_mov_b64 s[48:49], -1
                                        ; implicit-def: $vgpr1
	s_mov_b64 s[0:1], 0
.LBB332_429:
	s_and_b64 vcc, exec, s[50:51]
	s_cbranch_vccz .LBB332_434
; %bb.430:
	s_cmp_eq_u32 s52, 44
	s_cbranch_scc0 .LBB332_433
; %bb.431:
	global_load_ubyte v1, v[4:5], off
	s_mov_b64 s[0:1], -1
	s_mov_b64 s[48:49], 0
	s_waitcnt vmcnt(0)
	v_lshlrev_b32_e32 v2, 23, v1
	v_cvt_u32_f32_e32 v2, v2
	v_cmp_ne_u32_e32 vcc, 0, v1
	v_cndmask_b32_e32 v1, 0, v2, vcc
	s_branch .LBB332_434
.LBB332_432:
	s_mov_b64 s[52:53], -1
	s_mov_b64 s[0:1], 0
	s_mov_b64 s[50:51], s[42:43]
                                        ; implicit-def: $vgpr4
	s_branch .LBB332_544
.LBB332_433:
	s_mov_b64 s[48:49], -1
                                        ; implicit-def: $vgpr1
.LBB332_434:
	s_mov_b64 s[50:51], 0
.LBB332_435:
	s_and_b64 vcc, exec, s[50:51]
	s_cbranch_vccz .LBB332_439
; %bb.436:
	s_cmp_eq_u32 s52, 29
	s_cbranch_scc0 .LBB332_438
; %bb.437:
	global_load_dwordx2 v[1:2], v[4:5], off
	s_mov_b64 s[0:1], -1
	s_mov_b64 s[48:49], 0
	s_branch .LBB332_439
.LBB332_438:
	s_mov_b64 s[48:49], -1
                                        ; implicit-def: $vgpr1
.LBB332_439:
	s_mov_b64 s[50:51], 0
.LBB332_440:
	s_and_b64 vcc, exec, s[50:51]
	s_cbranch_vccz .LBB332_456
; %bb.441:
	s_cmp_lt_i32 s52, 27
	s_cbranch_scc1 .LBB332_444
; %bb.442:
	s_cmp_gt_i32 s52, 27
	s_cbranch_scc0 .LBB332_445
; %bb.443:
	global_load_dword v1, v[4:5], off
	s_mov_b64 s[0:1], 0
	s_branch .LBB332_446
.LBB332_444:
	s_mov_b64 s[0:1], -1
                                        ; implicit-def: $vgpr1
	s_branch .LBB332_449
.LBB332_445:
	s_mov_b64 s[0:1], -1
                                        ; implicit-def: $vgpr1
.LBB332_446:
	s_andn2_b64 vcc, exec, s[0:1]
	s_cbranch_vccnz .LBB332_448
; %bb.447:
	global_load_ushort v1, v[4:5], off
.LBB332_448:
	s_mov_b64 s[0:1], 0
.LBB332_449:
	s_andn2_b64 vcc, exec, s[0:1]
	s_cbranch_vccnz .LBB332_455
; %bb.450:
	global_load_ubyte v2, v[4:5], off
	s_movk_i32 s0, 0x7f
	s_mov_b64 s[50:51], 0
	s_waitcnt vmcnt(0)
	v_cmp_lt_i16_e32 vcc, s0, v2
	s_and_saveexec_b64 s[0:1], vcc
	s_xor_b64 s[0:1], exec, s[0:1]
	s_cbranch_execz .LBB332_467
; %bb.451:
	s_movk_i32 s50, 0x80
	v_cmp_ne_u16_e32 vcc, s50, v2
	s_and_b64 s[50:51], vcc, exec
	s_andn2_saveexec_b64 s[0:1], s[0:1]
	s_cbranch_execnz .LBB332_468
.LBB332_452:
	s_or_b64 exec, exec, s[0:1]
	v_mov_b32_e32 v1, 0
	s_and_saveexec_b64 s[0:1], s[50:51]
	s_cbranch_execz .LBB332_454
.LBB332_453:
	v_lshlrev_b32_e32 v1, 24, v2
	v_and_b32_e32 v2, 0xffff, v2
	v_and_b32_e32 v6, 7, v2
	v_ffbh_u32_e32 v8, v6
	v_min_u32_e32 v8, 32, v8
	v_subrev_u32_e32 v9, 28, v8
	v_bfe_u32 v7, v2, 3, 4
	v_lshlrev_b32_e32 v2, v9, v2
	v_sub_u32_e32 v8, 29, v8
	v_and_b32_e32 v2, 7, v2
	v_cmp_eq_u32_e32 vcc, 0, v7
	v_cndmask_b32_e32 v7, v7, v8, vcc
	v_cndmask_b32_e32 v2, v6, v2, vcc
	v_mov_b32_e32 v6, 0x3b800000
	v_lshlrev_b32_e32 v2, 20, v2
	v_and_b32_e32 v1, 0x80000000, v1
	v_lshl_add_u32 v6, v7, 23, v6
	v_or3_b32 v1, v1, v6, v2
	v_cvt_u32_f32_e32 v1, v1
.LBB332_454:
	s_or_b64 exec, exec, s[0:1]
.LBB332_455:
	s_mov_b64 s[0:1], -1
.LBB332_456:
	s_mov_b64 s[50:51], 0
.LBB332_457:
	s_and_b64 vcc, exec, s[50:51]
	s_cbranch_vccz .LBB332_490
; %bb.458:
	s_cmp_gt_i32 s52, 22
	s_cbranch_scc0 .LBB332_466
; %bb.459:
	s_cmp_lt_i32 s52, 24
	s_cbranch_scc1 .LBB332_469
; %bb.460:
	s_cmp_gt_i32 s52, 24
	s_cbranch_scc0 .LBB332_470
; %bb.461:
	global_load_ubyte v2, v[4:5], off
	s_movk_i32 s0, 0x7f
	s_mov_b64 s[50:51], 0
	s_waitcnt vmcnt(0)
	v_cmp_lt_i16_e32 vcc, s0, v2
	s_and_saveexec_b64 s[0:1], vcc
	s_xor_b64 s[0:1], exec, s[0:1]
	s_cbranch_execz .LBB332_482
; %bb.462:
	s_movk_i32 s50, 0x80
	v_cmp_ne_u16_e32 vcc, s50, v2
	s_and_b64 s[50:51], vcc, exec
	s_andn2_saveexec_b64 s[0:1], s[0:1]
	s_cbranch_execnz .LBB332_483
.LBB332_463:
	s_or_b64 exec, exec, s[0:1]
	v_mov_b32_e32 v1, 0
	s_and_saveexec_b64 s[0:1], s[50:51]
	s_cbranch_execz .LBB332_465
.LBB332_464:
	v_lshlrev_b32_e32 v1, 24, v2
	v_and_b32_e32 v2, 0xffff, v2
	v_and_b32_e32 v6, 3, v2
	v_ffbh_u32_e32 v8, v6
	v_min_u32_e32 v8, 32, v8
	v_subrev_u32_e32 v9, 29, v8
	v_bfe_u32 v7, v2, 2, 5
	v_lshlrev_b32_e32 v2, v9, v2
	v_sub_u32_e32 v8, 30, v8
	v_and_b32_e32 v2, 3, v2
	v_cmp_eq_u32_e32 vcc, 0, v7
	v_cndmask_b32_e32 v7, v7, v8, vcc
	v_cndmask_b32_e32 v2, v6, v2, vcc
	v_mov_b32_e32 v6, 0x37800000
	v_lshlrev_b32_e32 v2, 21, v2
	v_and_b32_e32 v1, 0x80000000, v1
	v_lshl_add_u32 v6, v7, 23, v6
	v_or3_b32 v1, v1, v6, v2
	v_cvt_u32_f32_e32 v1, v1
.LBB332_465:
	s_or_b64 exec, exec, s[0:1]
	s_mov_b64 s[0:1], 0
	s_branch .LBB332_471
.LBB332_466:
	s_mov_b64 s[50:51], -1
                                        ; implicit-def: $vgpr1
	s_branch .LBB332_477
.LBB332_467:
	s_andn2_saveexec_b64 s[0:1], s[0:1]
	s_cbranch_execz .LBB332_452
.LBB332_468:
	v_cmp_ne_u16_e32 vcc, 0, v2
	s_andn2_b64 s[50:51], s[50:51], exec
	s_and_b64 s[56:57], vcc, exec
	s_or_b64 s[50:51], s[50:51], s[56:57]
	s_or_b64 exec, exec, s[0:1]
	v_mov_b32_e32 v1, 0
	s_and_saveexec_b64 s[0:1], s[50:51]
	s_cbranch_execnz .LBB332_453
	s_branch .LBB332_454
.LBB332_469:
	s_mov_b64 s[0:1], -1
                                        ; implicit-def: $vgpr1
	s_branch .LBB332_474
.LBB332_470:
	s_mov_b64 s[0:1], -1
                                        ; implicit-def: $vgpr1
.LBB332_471:
	s_and_b64 vcc, exec, s[0:1]
	s_cbranch_vccz .LBB332_473
; %bb.472:
	global_load_ubyte v1, v[4:5], off
	s_mov_b32 s0, 0x7f800000
	s_waitcnt vmcnt(0)
	v_lshlrev_b32_e32 v1, 24, v1
	v_and_b32_e32 v2, 0x7f000000, v1
	v_ffbh_u32_e32 v6, v2
	v_min_u32_e32 v6, 32, v6
	v_sub_u32_e64 v6, v6, 4 clamp
	v_lshlrev_b32_e32 v8, v6, v2
	v_lshlrev_b32_e32 v6, 23, v6
	v_lshrrev_b32_e32 v8, 4, v8
	v_add_u32_e32 v7, 0x1000000, v2
	v_sub_u32_e32 v6, v8, v6
	v_ashrrev_i32_e32 v7, 8, v7
	v_add_u32_e32 v6, 0x3c000000, v6
	v_and_or_b32 v6, v7, s0, v6
	v_cmp_ne_u32_e32 vcc, 0, v2
	v_cndmask_b32_e32 v2, 0, v6, vcc
	s_brev_b32 s0, 1
	v_and_or_b32 v1, v1, s0, v2
	v_cvt_u32_f32_e32 v1, v1
.LBB332_473:
	s_mov_b64 s[0:1], 0
.LBB332_474:
	s_andn2_b64 vcc, exec, s[0:1]
	s_cbranch_vccnz .LBB332_476
; %bb.475:
	global_load_ubyte v1, v[4:5], off
	s_movk_i32 s0, 0x7f00
	s_brev_b32 s1, 16
	s_waitcnt vmcnt(0)
	v_lshlrev_b16_e32 v2, 8, v1
	v_lshlrev_b32_e32 v1, 25, v1
	v_lshrrev_b32_e32 v6, 4, v1
	v_and_or_b32 v7, v2, s0, 0.5
	v_or_b32_e32 v6, 0x70000000, v6
	v_add_f32_e32 v7, -0.5, v7
	v_mul_f32_e32 v6, 0x7800000, v6
	v_cmp_gt_u32_e32 vcc, s1, v1
	v_bfe_i32 v2, v2, 0, 16
	v_cndmask_b32_e32 v1, v6, v7, vcc
	s_brev_b32 s0, 1
	v_and_or_b32 v1, v2, s0, v1
	v_cvt_u32_f32_e32 v1, v1
.LBB332_476:
	s_mov_b64 s[50:51], 0
	s_mov_b64 s[0:1], -1
.LBB332_477:
	s_andn2_b64 vcc, exec, s[50:51]
	s_cbranch_vccnz .LBB332_490
; %bb.478:
	s_cmp_gt_i32 s52, 14
	s_cbranch_scc0 .LBB332_481
; %bb.479:
	s_cmp_eq_u32 s52, 15
	s_cbranch_scc0 .LBB332_484
; %bb.480:
	global_load_ushort v1, v[4:5], off
	s_mov_b64 s[0:1], -1
	s_mov_b64 s[48:49], 0
	s_waitcnt vmcnt(0)
	v_lshlrev_b32_e32 v1, 16, v1
	v_cvt_u32_f32_e32 v1, v1
	s_branch .LBB332_485
.LBB332_481:
	s_mov_b64 s[50:51], -1
                                        ; implicit-def: $vgpr1
	s_branch .LBB332_486
.LBB332_482:
	s_andn2_saveexec_b64 s[0:1], s[0:1]
	s_cbranch_execz .LBB332_463
.LBB332_483:
	v_cmp_ne_u16_e32 vcc, 0, v2
	s_andn2_b64 s[50:51], s[50:51], exec
	s_and_b64 s[56:57], vcc, exec
	s_or_b64 s[50:51], s[50:51], s[56:57]
	s_or_b64 exec, exec, s[0:1]
	v_mov_b32_e32 v1, 0
	s_and_saveexec_b64 s[0:1], s[50:51]
	s_cbranch_execnz .LBB332_464
	s_branch .LBB332_465
.LBB332_484:
	s_mov_b64 s[48:49], -1
                                        ; implicit-def: $vgpr1
.LBB332_485:
	s_mov_b64 s[50:51], 0
.LBB332_486:
	s_and_b64 vcc, exec, s[50:51]
	s_cbranch_vccz .LBB332_490
; %bb.487:
	s_cmp_eq_u32 s52, 11
	s_cbranch_scc0 .LBB332_489
; %bb.488:
	global_load_ubyte v1, v[4:5], off
	s_mov_b64 s[0:1], -1
	s_mov_b64 s[48:49], 0
	s_waitcnt vmcnt(0)
	v_cmp_ne_u16_e32 vcc, 0, v1
	v_cndmask_b32_e64 v1, 0, 1, vcc
	s_branch .LBB332_490
.LBB332_489:
	s_mov_b64 s[48:49], -1
                                        ; implicit-def: $vgpr1
.LBB332_490:
	s_branch .LBB332_410
.LBB332_491:
	s_and_b32 s14, 0xffff, s14
	s_cmp_lt_i32 s14, 5
	s_cbranch_scc1 .LBB332_496
; %bb.492:
	s_cmp_lt_i32 s14, 8
	s_cbranch_scc1 .LBB332_497
; %bb.493:
	;; [unrolled: 3-line block ×3, first 2 shown]
	s_cmp_gt_i32 s14, 9
	s_cbranch_scc0 .LBB332_499
; %bb.495:
	global_load_dwordx2 v[1:2], v[4:5], off
	s_mov_b64 s[0:1], 0
	s_waitcnt vmcnt(0)
	v_cvt_u32_f64_e32 v1, v[1:2]
	s_branch .LBB332_500
.LBB332_496:
	s_mov_b64 s[0:1], -1
                                        ; implicit-def: $vgpr1
	s_branch .LBB332_518
.LBB332_497:
	s_mov_b64 s[0:1], -1
                                        ; implicit-def: $vgpr1
	s_branch .LBB332_506
.LBB332_498:
	s_mov_b64 s[0:1], -1
                                        ; implicit-def: $vgpr1
	s_branch .LBB332_503
.LBB332_499:
	s_mov_b64 s[0:1], -1
                                        ; implicit-def: $vgpr1
.LBB332_500:
	s_andn2_b64 vcc, exec, s[0:1]
	s_cbranch_vccnz .LBB332_502
; %bb.501:
	global_load_dword v1, v[4:5], off
	s_waitcnt vmcnt(0)
	v_cvt_u32_f32_e32 v1, v1
.LBB332_502:
	s_mov_b64 s[0:1], 0
.LBB332_503:
	s_andn2_b64 vcc, exec, s[0:1]
	s_cbranch_vccnz .LBB332_505
; %bb.504:
	global_load_dword v1, v[4:5], off
	s_waitcnt vmcnt(0)
	v_cvt_u16_f16_e32 v1, v1
.LBB332_505:
	s_mov_b64 s[0:1], 0
.LBB332_506:
	s_andn2_b64 vcc, exec, s[0:1]
	s_cbranch_vccnz .LBB332_517
; %bb.507:
	s_cmp_lt_i32 s14, 6
	s_cbranch_scc1 .LBB332_510
; %bb.508:
	s_cmp_gt_i32 s14, 6
	s_cbranch_scc0 .LBB332_511
; %bb.509:
	global_load_dwordx2 v[1:2], v[4:5], off
	s_mov_b64 s[0:1], 0
	s_waitcnt vmcnt(0)
	v_cvt_u32_f64_e32 v1, v[1:2]
	s_branch .LBB332_512
.LBB332_510:
	s_mov_b64 s[0:1], -1
                                        ; implicit-def: $vgpr1
	s_branch .LBB332_515
.LBB332_511:
	s_mov_b64 s[0:1], -1
                                        ; implicit-def: $vgpr1
.LBB332_512:
	s_andn2_b64 vcc, exec, s[0:1]
	s_cbranch_vccnz .LBB332_514
; %bb.513:
	global_load_dword v1, v[4:5], off
	s_waitcnt vmcnt(0)
	v_cvt_u32_f32_e32 v1, v1
.LBB332_514:
	s_mov_b64 s[0:1], 0
.LBB332_515:
	s_andn2_b64 vcc, exec, s[0:1]
	s_cbranch_vccnz .LBB332_517
; %bb.516:
	global_load_ushort v1, v[4:5], off
	s_waitcnt vmcnt(0)
	v_cvt_u16_f16_e32 v1, v1
.LBB332_517:
	s_mov_b64 s[0:1], 0
.LBB332_518:
	s_andn2_b64 vcc, exec, s[0:1]
	s_cbranch_vccnz .LBB332_538
; %bb.519:
	s_cmp_lt_i32 s14, 2
	s_cbranch_scc1 .LBB332_523
; %bb.520:
	s_cmp_lt_i32 s14, 3
	s_cbranch_scc1 .LBB332_524
; %bb.521:
	s_cmp_gt_i32 s14, 3
	s_cbranch_scc0 .LBB332_525
; %bb.522:
	global_load_dwordx2 v[1:2], v[4:5], off
	s_mov_b64 s[0:1], 0
	s_branch .LBB332_526
.LBB332_523:
	s_mov_b64 s[0:1], -1
                                        ; implicit-def: $vgpr1
	s_branch .LBB332_532
.LBB332_524:
	s_mov_b64 s[0:1], -1
                                        ; implicit-def: $vgpr1
	s_branch .LBB332_529
.LBB332_525:
	s_mov_b64 s[0:1], -1
                                        ; implicit-def: $vgpr1
.LBB332_526:
	s_andn2_b64 vcc, exec, s[0:1]
	s_cbranch_vccnz .LBB332_528
; %bb.527:
	global_load_dword v1, v[4:5], off
.LBB332_528:
	s_mov_b64 s[0:1], 0
.LBB332_529:
	s_andn2_b64 vcc, exec, s[0:1]
	s_cbranch_vccnz .LBB332_531
; %bb.530:
	global_load_ushort v1, v[4:5], off
.LBB332_531:
	s_mov_b64 s[0:1], 0
.LBB332_532:
	s_andn2_b64 vcc, exec, s[0:1]
	s_cbranch_vccnz .LBB332_538
; %bb.533:
	s_cmp_gt_i32 s14, 0
	s_cbranch_scc0 .LBB332_535
; %bb.534:
	global_load_sbyte v1, v[4:5], off
	s_mov_b64 s[0:1], 0
	s_branch .LBB332_536
.LBB332_535:
	s_mov_b64 s[0:1], -1
                                        ; implicit-def: $vgpr1
.LBB332_536:
	s_andn2_b64 vcc, exec, s[0:1]
	s_cbranch_vccnz .LBB332_538
; %bb.537:
	global_load_ubyte v1, v[4:5], off
.LBB332_538:
	s_branch .LBB332_411
.LBB332_539:
	s_mov_b64 s[56:57], 0
	s_mov_b64 s[0:1], s[40:41]
	;; [unrolled: 1-line block ×3, first 2 shown]
.LBB332_540:
                                        ; implicit-def: $vgpr10
	s_branch .LBB332_778
.LBB332_541:
	s_andn2_saveexec_b64 s[54:55], s[54:55]
	s_cbranch_execz .LBB332_200
.LBB332_542:
	v_add_f32_e32 v2, 0x42800000, v3
	v_and_b32_e32 v2, 0xff, v2
	v_cmp_ne_u32_e32 vcc, 0, v2
	s_andn2_b64 s[52:53], s[52:53], exec
	s_and_b64 s[58:59], vcc, exec
	s_or_b64 s[52:53], s[52:53], s[58:59]
	s_or_b64 exec, exec, s[54:55]
	v_mov_b32_e32 v4, 0
	s_and_saveexec_b64 s[54:55], s[52:53]
	s_cbranch_execnz .LBB332_201
	s_branch .LBB332_202
.LBB332_543:
	s_mov_b64 s[50:51], -1
                                        ; implicit-def: $vgpr4
	s_mov_b64 s[0:1], 0
.LBB332_544:
	s_and_b64 vcc, exec, s[52:53]
	s_cbranch_vccz .LBB332_548
; %bb.545:
	s_cmp_eq_u32 s56, 44
	s_cbranch_scc0 .LBB332_547
; %bb.546:
	global_load_ubyte v4, v[2:3], off
	s_mov_b64 s[0:1], -1
	s_mov_b64 s[50:51], 0
	s_waitcnt vmcnt(0)
	v_lshlrev_b32_e32 v5, 23, v4
	v_cvt_u32_f32_e32 v5, v5
	v_cmp_ne_u32_e32 vcc, 0, v4
	v_cndmask_b32_e32 v4, 0, v5, vcc
	s_branch .LBB332_548
.LBB332_547:
	s_mov_b64 s[50:51], -1
                                        ; implicit-def: $vgpr4
.LBB332_548:
	s_mov_b64 s[52:53], 0
.LBB332_549:
	s_and_b64 vcc, exec, s[52:53]
	s_cbranch_vccz .LBB332_553
; %bb.550:
	s_cmp_eq_u32 s56, 29
	s_cbranch_scc0 .LBB332_552
; %bb.551:
	global_load_dwordx2 v[4:5], v[2:3], off
	s_mov_b64 s[0:1], -1
	s_mov_b64 s[50:51], 0
	s_branch .LBB332_553
.LBB332_552:
	s_mov_b64 s[50:51], -1
                                        ; implicit-def: $vgpr4
.LBB332_553:
	s_mov_b64 s[52:53], 0
.LBB332_554:
	s_and_b64 vcc, exec, s[52:53]
	s_cbranch_vccz .LBB332_570
; %bb.555:
	s_cmp_lt_i32 s56, 27
	s_cbranch_scc1 .LBB332_558
; %bb.556:
	s_cmp_gt_i32 s56, 27
	s_cbranch_scc0 .LBB332_559
; %bb.557:
	global_load_dword v4, v[2:3], off
	s_mov_b64 s[0:1], 0
	s_branch .LBB332_560
.LBB332_558:
	s_mov_b64 s[0:1], -1
                                        ; implicit-def: $vgpr4
	s_branch .LBB332_563
.LBB332_559:
	s_mov_b64 s[0:1], -1
                                        ; implicit-def: $vgpr4
.LBB332_560:
	s_andn2_b64 vcc, exec, s[0:1]
	s_cbranch_vccnz .LBB332_562
; %bb.561:
	global_load_ushort v4, v[2:3], off
.LBB332_562:
	s_mov_b64 s[0:1], 0
.LBB332_563:
	s_andn2_b64 vcc, exec, s[0:1]
	s_cbranch_vccnz .LBB332_569
; %bb.564:
	global_load_ubyte v5, v[2:3], off
	s_movk_i32 s0, 0x7f
	s_mov_b64 s[52:53], 0
	s_waitcnt vmcnt(0)
	v_cmp_lt_i16_e32 vcc, s0, v5
	s_and_saveexec_b64 s[0:1], vcc
	s_xor_b64 s[0:1], exec, s[0:1]
	s_cbranch_execz .LBB332_581
; %bb.565:
	s_movk_i32 s52, 0x80
	v_cmp_ne_u16_e32 vcc, s52, v5
	s_and_b64 s[52:53], vcc, exec
	s_andn2_saveexec_b64 s[0:1], s[0:1]
	s_cbranch_execnz .LBB332_582
.LBB332_566:
	s_or_b64 exec, exec, s[0:1]
	v_mov_b32_e32 v4, 0
	s_and_saveexec_b64 s[0:1], s[52:53]
	s_cbranch_execz .LBB332_568
.LBB332_567:
	v_lshlrev_b32_e32 v4, 24, v5
	v_and_b32_e32 v5, 0xffff, v5
	v_and_b32_e32 v6, 7, v5
	v_ffbh_u32_e32 v8, v6
	v_min_u32_e32 v8, 32, v8
	v_subrev_u32_e32 v9, 28, v8
	v_bfe_u32 v7, v5, 3, 4
	v_lshlrev_b32_e32 v5, v9, v5
	v_sub_u32_e32 v8, 29, v8
	v_and_b32_e32 v5, 7, v5
	v_cmp_eq_u32_e32 vcc, 0, v7
	v_cndmask_b32_e32 v7, v7, v8, vcc
	v_cndmask_b32_e32 v5, v6, v5, vcc
	v_mov_b32_e32 v6, 0x3b800000
	v_lshlrev_b32_e32 v5, 20, v5
	v_and_b32_e32 v4, 0x80000000, v4
	v_lshl_add_u32 v6, v7, 23, v6
	v_or3_b32 v4, v4, v6, v5
	v_cvt_u32_f32_e32 v4, v4
.LBB332_568:
	s_or_b64 exec, exec, s[0:1]
.LBB332_569:
	s_mov_b64 s[0:1], -1
.LBB332_570:
	s_mov_b64 s[52:53], 0
.LBB332_571:
	s_and_b64 vcc, exec, s[52:53]
	s_cbranch_vccz .LBB332_604
; %bb.572:
	s_cmp_gt_i32 s56, 22
	s_cbranch_scc0 .LBB332_580
; %bb.573:
	s_cmp_lt_i32 s56, 24
	s_cbranch_scc1 .LBB332_583
; %bb.574:
	s_cmp_gt_i32 s56, 24
	s_cbranch_scc0 .LBB332_584
; %bb.575:
	global_load_ubyte v5, v[2:3], off
	s_movk_i32 s0, 0x7f
	s_mov_b64 s[52:53], 0
	s_waitcnt vmcnt(0)
	v_cmp_lt_i16_e32 vcc, s0, v5
	s_and_saveexec_b64 s[0:1], vcc
	s_xor_b64 s[0:1], exec, s[0:1]
	s_cbranch_execz .LBB332_596
; %bb.576:
	s_movk_i32 s52, 0x80
	v_cmp_ne_u16_e32 vcc, s52, v5
	s_and_b64 s[52:53], vcc, exec
	s_andn2_saveexec_b64 s[0:1], s[0:1]
	s_cbranch_execnz .LBB332_597
.LBB332_577:
	s_or_b64 exec, exec, s[0:1]
	v_mov_b32_e32 v4, 0
	s_and_saveexec_b64 s[0:1], s[52:53]
	s_cbranch_execz .LBB332_579
.LBB332_578:
	v_lshlrev_b32_e32 v4, 24, v5
	v_and_b32_e32 v5, 0xffff, v5
	v_and_b32_e32 v6, 3, v5
	v_ffbh_u32_e32 v8, v6
	v_min_u32_e32 v8, 32, v8
	v_subrev_u32_e32 v9, 29, v8
	v_bfe_u32 v7, v5, 2, 5
	v_lshlrev_b32_e32 v5, v9, v5
	v_sub_u32_e32 v8, 30, v8
	v_and_b32_e32 v5, 3, v5
	v_cmp_eq_u32_e32 vcc, 0, v7
	v_cndmask_b32_e32 v7, v7, v8, vcc
	v_cndmask_b32_e32 v5, v6, v5, vcc
	v_mov_b32_e32 v6, 0x37800000
	v_lshlrev_b32_e32 v5, 21, v5
	v_and_b32_e32 v4, 0x80000000, v4
	v_lshl_add_u32 v6, v7, 23, v6
	v_or3_b32 v4, v4, v6, v5
	v_cvt_u32_f32_e32 v4, v4
.LBB332_579:
	s_or_b64 exec, exec, s[0:1]
	s_mov_b64 s[0:1], 0
	s_branch .LBB332_585
.LBB332_580:
	s_mov_b64 s[52:53], -1
                                        ; implicit-def: $vgpr4
	s_branch .LBB332_591
.LBB332_581:
	s_andn2_saveexec_b64 s[0:1], s[0:1]
	s_cbranch_execz .LBB332_566
.LBB332_582:
	v_cmp_ne_u16_e32 vcc, 0, v5
	s_andn2_b64 s[52:53], s[52:53], exec
	s_and_b64 s[58:59], vcc, exec
	s_or_b64 s[52:53], s[52:53], s[58:59]
	s_or_b64 exec, exec, s[0:1]
	v_mov_b32_e32 v4, 0
	s_and_saveexec_b64 s[0:1], s[52:53]
	s_cbranch_execnz .LBB332_567
	s_branch .LBB332_568
.LBB332_583:
	s_mov_b64 s[0:1], -1
                                        ; implicit-def: $vgpr4
	s_branch .LBB332_588
.LBB332_584:
	s_mov_b64 s[0:1], -1
                                        ; implicit-def: $vgpr4
.LBB332_585:
	s_and_b64 vcc, exec, s[0:1]
	s_cbranch_vccz .LBB332_587
; %bb.586:
	global_load_ubyte v4, v[2:3], off
	s_mov_b32 s0, 0x7f800000
	s_waitcnt vmcnt(0)
	v_lshlrev_b32_e32 v4, 24, v4
	v_and_b32_e32 v5, 0x7f000000, v4
	v_ffbh_u32_e32 v6, v5
	v_min_u32_e32 v6, 32, v6
	v_sub_u32_e64 v6, v6, 4 clamp
	v_lshlrev_b32_e32 v8, v6, v5
	v_lshlrev_b32_e32 v6, 23, v6
	v_lshrrev_b32_e32 v8, 4, v8
	v_add_u32_e32 v7, 0x1000000, v5
	v_sub_u32_e32 v6, v8, v6
	v_ashrrev_i32_e32 v7, 8, v7
	v_add_u32_e32 v6, 0x3c000000, v6
	v_and_or_b32 v6, v7, s0, v6
	v_cmp_ne_u32_e32 vcc, 0, v5
	v_cndmask_b32_e32 v5, 0, v6, vcc
	s_brev_b32 s0, 1
	v_and_or_b32 v4, v4, s0, v5
	v_cvt_u32_f32_e32 v4, v4
.LBB332_587:
	s_mov_b64 s[0:1], 0
.LBB332_588:
	s_andn2_b64 vcc, exec, s[0:1]
	s_cbranch_vccnz .LBB332_590
; %bb.589:
	global_load_ubyte v4, v[2:3], off
	s_movk_i32 s0, 0x7f00
	s_brev_b32 s1, 16
	s_waitcnt vmcnt(0)
	v_lshlrev_b16_e32 v5, 8, v4
	v_lshlrev_b32_e32 v4, 25, v4
	v_lshrrev_b32_e32 v6, 4, v4
	v_and_or_b32 v7, v5, s0, 0.5
	v_or_b32_e32 v6, 0x70000000, v6
	v_add_f32_e32 v7, -0.5, v7
	v_mul_f32_e32 v6, 0x7800000, v6
	v_cmp_gt_u32_e32 vcc, s1, v4
	v_bfe_i32 v5, v5, 0, 16
	v_cndmask_b32_e32 v4, v6, v7, vcc
	s_brev_b32 s0, 1
	v_and_or_b32 v4, v5, s0, v4
	v_cvt_u32_f32_e32 v4, v4
.LBB332_590:
	s_mov_b64 s[52:53], 0
	s_mov_b64 s[0:1], -1
.LBB332_591:
	s_andn2_b64 vcc, exec, s[52:53]
	s_cbranch_vccnz .LBB332_604
; %bb.592:
	s_cmp_gt_i32 s56, 14
	s_cbranch_scc0 .LBB332_595
; %bb.593:
	s_cmp_eq_u32 s56, 15
	s_cbranch_scc0 .LBB332_598
; %bb.594:
	global_load_ushort v4, v[2:3], off
	s_mov_b64 s[0:1], -1
	s_mov_b64 s[50:51], 0
	s_waitcnt vmcnt(0)
	v_lshlrev_b32_e32 v4, 16, v4
	v_cvt_u32_f32_e32 v4, v4
	s_branch .LBB332_599
.LBB332_595:
	s_mov_b64 s[52:53], -1
                                        ; implicit-def: $vgpr4
	s_branch .LBB332_600
.LBB332_596:
	s_andn2_saveexec_b64 s[0:1], s[0:1]
	s_cbranch_execz .LBB332_577
.LBB332_597:
	v_cmp_ne_u16_e32 vcc, 0, v5
	s_andn2_b64 s[52:53], s[52:53], exec
	s_and_b64 s[58:59], vcc, exec
	s_or_b64 s[52:53], s[52:53], s[58:59]
	s_or_b64 exec, exec, s[0:1]
	v_mov_b32_e32 v4, 0
	s_and_saveexec_b64 s[0:1], s[52:53]
	s_cbranch_execnz .LBB332_578
	s_branch .LBB332_579
.LBB332_598:
	s_mov_b64 s[50:51], -1
                                        ; implicit-def: $vgpr4
.LBB332_599:
	s_mov_b64 s[52:53], 0
.LBB332_600:
	s_and_b64 vcc, exec, s[52:53]
	s_cbranch_vccz .LBB332_604
; %bb.601:
	s_cmp_eq_u32 s56, 11
	s_cbranch_scc0 .LBB332_603
; %bb.602:
	global_load_ubyte v4, v[2:3], off
	s_mov_b64 s[0:1], -1
	s_mov_b64 s[50:51], 0
	s_waitcnt vmcnt(0)
	v_cmp_ne_u16_e32 vcc, 0, v4
	v_cndmask_b32_e64 v4, 0, 1, vcc
	s_branch .LBB332_604
.LBB332_603:
	s_mov_b64 s[50:51], -1
                                        ; implicit-def: $vgpr4
.LBB332_604:
	s_mov_b64 s[52:53], 0
.LBB332_605:
	s_and_b64 vcc, exec, s[52:53]
	s_cbranch_vccz .LBB332_654
; %bb.606:
	s_and_b32 s14, 0xffff, s14
	s_cmp_lt_i32 s14, 5
	s_cbranch_scc1 .LBB332_611
; %bb.607:
	s_cmp_lt_i32 s14, 8
	s_cbranch_scc1 .LBB332_612
; %bb.608:
	;; [unrolled: 3-line block ×3, first 2 shown]
	s_cmp_gt_i32 s14, 9
	s_cbranch_scc0 .LBB332_614
; %bb.610:
	global_load_dwordx2 v[4:5], v[2:3], off
	s_mov_b64 s[0:1], 0
	s_waitcnt vmcnt(0)
	v_cvt_u32_f64_e32 v4, v[4:5]
	s_branch .LBB332_615
.LBB332_611:
	s_mov_b64 s[0:1], -1
                                        ; implicit-def: $vgpr4
	s_branch .LBB332_633
.LBB332_612:
	s_mov_b64 s[0:1], -1
                                        ; implicit-def: $vgpr4
	s_branch .LBB332_621
.LBB332_613:
	s_mov_b64 s[0:1], -1
                                        ; implicit-def: $vgpr4
	s_branch .LBB332_618
.LBB332_614:
	s_mov_b64 s[0:1], -1
                                        ; implicit-def: $vgpr4
.LBB332_615:
	s_andn2_b64 vcc, exec, s[0:1]
	s_cbranch_vccnz .LBB332_617
; %bb.616:
	global_load_dword v4, v[2:3], off
	s_waitcnt vmcnt(0)
	v_cvt_u32_f32_e32 v4, v4
.LBB332_617:
	s_mov_b64 s[0:1], 0
.LBB332_618:
	s_andn2_b64 vcc, exec, s[0:1]
	s_cbranch_vccnz .LBB332_620
; %bb.619:
	global_load_dword v4, v[2:3], off
	s_waitcnt vmcnt(0)
	v_cvt_u16_f16_e32 v4, v4
.LBB332_620:
	s_mov_b64 s[0:1], 0
.LBB332_621:
	s_andn2_b64 vcc, exec, s[0:1]
	s_cbranch_vccnz .LBB332_632
; %bb.622:
	s_cmp_lt_i32 s14, 6
	s_cbranch_scc1 .LBB332_625
; %bb.623:
	s_cmp_gt_i32 s14, 6
	s_cbranch_scc0 .LBB332_626
; %bb.624:
	global_load_dwordx2 v[4:5], v[2:3], off
	s_mov_b64 s[0:1], 0
	s_waitcnt vmcnt(0)
	v_cvt_u32_f64_e32 v4, v[4:5]
	s_branch .LBB332_627
.LBB332_625:
	s_mov_b64 s[0:1], -1
                                        ; implicit-def: $vgpr4
	s_branch .LBB332_630
.LBB332_626:
	s_mov_b64 s[0:1], -1
                                        ; implicit-def: $vgpr4
.LBB332_627:
	s_andn2_b64 vcc, exec, s[0:1]
	s_cbranch_vccnz .LBB332_629
; %bb.628:
	global_load_dword v4, v[2:3], off
	s_waitcnt vmcnt(0)
	v_cvt_u32_f32_e32 v4, v4
.LBB332_629:
	s_mov_b64 s[0:1], 0
.LBB332_630:
	s_andn2_b64 vcc, exec, s[0:1]
	s_cbranch_vccnz .LBB332_632
; %bb.631:
	global_load_ushort v4, v[2:3], off
	s_waitcnt vmcnt(0)
	v_cvt_u16_f16_e32 v4, v4
.LBB332_632:
	s_mov_b64 s[0:1], 0
.LBB332_633:
	s_andn2_b64 vcc, exec, s[0:1]
	s_cbranch_vccnz .LBB332_653
; %bb.634:
	s_cmp_lt_i32 s14, 2
	s_cbranch_scc1 .LBB332_638
; %bb.635:
	s_cmp_lt_i32 s14, 3
	s_cbranch_scc1 .LBB332_639
; %bb.636:
	s_cmp_gt_i32 s14, 3
	s_cbranch_scc0 .LBB332_640
; %bb.637:
	global_load_dwordx2 v[4:5], v[2:3], off
	s_mov_b64 s[0:1], 0
	s_branch .LBB332_641
.LBB332_638:
	s_mov_b64 s[0:1], -1
                                        ; implicit-def: $vgpr4
	s_branch .LBB332_647
.LBB332_639:
	s_mov_b64 s[0:1], -1
                                        ; implicit-def: $vgpr4
	s_branch .LBB332_644
.LBB332_640:
	s_mov_b64 s[0:1], -1
                                        ; implicit-def: $vgpr4
.LBB332_641:
	s_andn2_b64 vcc, exec, s[0:1]
	s_cbranch_vccnz .LBB332_643
; %bb.642:
	global_load_dword v4, v[2:3], off
.LBB332_643:
	s_mov_b64 s[0:1], 0
.LBB332_644:
	s_andn2_b64 vcc, exec, s[0:1]
	s_cbranch_vccnz .LBB332_646
; %bb.645:
	global_load_ushort v4, v[2:3], off
.LBB332_646:
	s_mov_b64 s[0:1], 0
.LBB332_647:
	s_andn2_b64 vcc, exec, s[0:1]
	s_cbranch_vccnz .LBB332_653
; %bb.648:
	s_cmp_gt_i32 s14, 0
	s_cbranch_scc0 .LBB332_650
; %bb.649:
	global_load_sbyte v4, v[2:3], off
	s_mov_b64 s[0:1], 0
	s_branch .LBB332_651
.LBB332_650:
	s_mov_b64 s[0:1], -1
                                        ; implicit-def: $vgpr4
.LBB332_651:
	s_andn2_b64 vcc, exec, s[0:1]
	s_cbranch_vccnz .LBB332_653
; %bb.652:
	global_load_ubyte v4, v[2:3], off
.LBB332_653:
	s_mov_b64 s[0:1], -1
.LBB332_654:
	s_andn2_b64 vcc, exec, s[0:1]
	s_cbranch_vccnz .LBB332_662
; %bb.655:
	s_waitcnt vmcnt(0)
	v_cmp_ne_u16_e32 vcc, v1, v4
	s_xor_b64 s[52:53], s[28:29], vcc
	v_mov_b32_e32 v1, s9
	s_and_b32 s14, s15, 0xff
	v_add_co_u32_e32 v0, vcc, s8, v0
	s_cmp_lt_i32 s14, 11
	v_addc_co_u32_e32 v1, vcc, 0, v1, vcc
	s_cbranch_scc1 .LBB332_663
; %bb.656:
	s_and_b32 s62, 0xffff, s14
	s_cmp_gt_i32 s62, 25
	s_cbranch_scc0 .LBB332_664
; %bb.657:
	s_cmp_gt_i32 s62, 28
	s_cbranch_scc0 .LBB332_665
; %bb.658:
	;; [unrolled: 3-line block ×4, first 2 shown]
	s_mov_b64 s[58:59], 0
	s_mov_b64 s[0:1], -1
	s_cmp_eq_u32 s62, 46
	s_mov_b64 s[56:57], 0
	s_cbranch_scc0 .LBB332_668
; %bb.661:
	v_cndmask_b32_e64 v2, 0, 1.0, s[52:53]
	v_bfe_u32 v3, v2, 16, 1
	s_movk_i32 s0, 0x7fff
	v_add3_u32 v2, v2, v3, s0
	v_lshrrev_b32_e32 v2, 16, v2
	global_store_dword v[0:1], v2, off
	s_mov_b64 s[56:57], -1
	s_mov_b64 s[0:1], 0
	s_branch .LBB332_668
.LBB332_662:
	s_mov_b64 s[56:57], 0
                                        ; implicit-def: $vgpr10
	s_mov_b64 s[0:1], s[40:41]
	s_branch .LBB332_778
.LBB332_663:
	s_mov_b64 s[58:59], -1
	s_mov_b64 s[56:57], 0
	s_mov_b64 s[0:1], s[40:41]
	s_branch .LBB332_737
.LBB332_664:
	s_mov_b64 s[58:59], -1
	s_mov_b64 s[56:57], 0
	s_mov_b64 s[0:1], s[40:41]
	s_branch .LBB332_695
.LBB332_665:
	s_mov_b64 s[58:59], -1
	s_mov_b64 s[56:57], 0
	s_mov_b64 s[0:1], s[40:41]
	s_branch .LBB332_678
.LBB332_666:
	s_mov_b64 s[58:59], -1
	s_mov_b64 s[56:57], 0
	s_mov_b64 s[0:1], s[40:41]
	s_branch .LBB332_674
.LBB332_667:
	s_mov_b64 s[58:59], -1
	s_mov_b64 s[56:57], 0
	s_mov_b64 s[0:1], s[40:41]
.LBB332_668:
	s_and_b64 vcc, exec, s[58:59]
	s_cbranch_vccz .LBB332_673
; %bb.669:
	s_cmp_eq_u32 s62, 44
	s_mov_b64 s[0:1], -1
	s_cbranch_scc0 .LBB332_673
; %bb.670:
	v_cndmask_b32_e64 v3, 0, 1.0, s[52:53]
	v_lshrrev_b32_e32 v2, 23, v3
	s_movk_i32 s0, 0xff
	v_cmp_ne_u32_e32 vcc, s0, v2
	v_mov_b32_e32 v4, 0xff
	s_and_saveexec_b64 s[56:57], vcc
; %bb.671:
	s_mov_b32 s0, 0x3fffff
	v_and_b32_e32 v4, 0x400000, v3
	v_and_or_b32 v3, v3, s0, v2
	v_cmp_ne_u32_e32 vcc, 0, v4
	v_cmp_ne_u32_e64 s[0:1], 0, v3
	s_and_b64 s[0:1], vcc, s[0:1]
	v_cndmask_b32_e64 v3, 0, 1, s[0:1]
	v_add_u32_e32 v4, v2, v3
; %bb.672:
	s_or_b64 exec, exec, s[56:57]
	s_mov_b64 s[56:57], -1
	s_mov_b64 s[0:1], 0
	global_store_byte v[0:1], v4, off
.LBB332_673:
	s_mov_b64 s[58:59], 0
.LBB332_674:
	s_and_b64 vcc, exec, s[58:59]
	s_cbranch_vccz .LBB332_677
; %bb.675:
	s_cmp_eq_u32 s62, 29
	s_mov_b64 s[0:1], -1
	s_cbranch_scc0 .LBB332_677
; %bb.676:
	s_mov_b32 s0, 0
	v_cndmask_b32_e64 v2, 0, 1, s[52:53]
	v_mov_b32_e32 v3, s0
	global_store_dwordx2 v[0:1], v[2:3], off
	s_mov_b64 s[56:57], -1
	s_mov_b64 s[0:1], 0
.LBB332_677:
	s_mov_b64 s[58:59], 0
.LBB332_678:
	s_and_b64 vcc, exec, s[58:59]
	s_cbranch_vccz .LBB332_694
; %bb.679:
	s_cmp_lt_i32 s62, 27
	s_mov_b64 s[56:57], -1
	s_cbranch_scc1 .LBB332_685
; %bb.680:
	s_cmp_gt_i32 s62, 27
	s_cbranch_scc0 .LBB332_682
; %bb.681:
	v_cndmask_b32_e64 v2, 0, 1, s[52:53]
	s_mov_b64 s[56:57], 0
	global_store_dword v[0:1], v2, off
.LBB332_682:
	s_andn2_b64 vcc, exec, s[56:57]
	s_cbranch_vccnz .LBB332_684
; %bb.683:
	v_cndmask_b32_e64 v2, 0, 1, s[52:53]
	global_store_short v[0:1], v2, off
.LBB332_684:
	s_mov_b64 s[56:57], 0
.LBB332_685:
	s_andn2_b64 vcc, exec, s[56:57]
	s_cbranch_vccnz .LBB332_693
; %bb.686:
	v_cndmask_b32_e64 v3, 0, 1.0, s[52:53]
	s_mov_b32 s56, 0x43800000
	v_cmp_gt_u32_e32 vcc, s56, v3
	v_mov_b32_e32 v4, 0x80
	s_and_saveexec_b64 s[56:57], vcc
	s_cbranch_execz .LBB332_692
; %bb.687:
	s_mov_b32 s58, 0x3bffffff
	v_cmp_lt_u32_e32 vcc, s58, v3
	s_mov_b64 s[58:59], 0
                                        ; implicit-def: $vgpr2
	s_and_saveexec_b64 s[60:61], vcc
	s_xor_b64 s[60:61], exec, s[60:61]
	s_cbranch_execz .LBB332_806
; %bb.688:
	v_bfe_u32 v2, v3, 20, 1
	s_mov_b32 s63, 0x487ffff
	v_add3_u32 v2, v3, v2, s63
	s_mov_b64 s[58:59], exec
	v_lshrrev_b32_e32 v2, 20, v2
                                        ; implicit-def: $vgpr3
	s_andn2_saveexec_b64 s[60:61], s[60:61]
	s_cbranch_execnz .LBB332_807
.LBB332_689:
	s_or_b64 exec, exec, s[60:61]
	v_mov_b32_e32 v4, 0
	s_and_saveexec_b64 s[60:61], s[58:59]
.LBB332_690:
	v_mov_b32_e32 v4, v2
.LBB332_691:
	s_or_b64 exec, exec, s[60:61]
.LBB332_692:
	s_or_b64 exec, exec, s[56:57]
	global_store_byte v[0:1], v4, off
.LBB332_693:
	s_mov_b64 s[56:57], -1
.LBB332_694:
	s_mov_b64 s[58:59], 0
.LBB332_695:
	s_and_b64 vcc, exec, s[58:59]
	s_cbranch_vccz .LBB332_736
; %bb.696:
	s_cmp_gt_i32 s62, 22
	s_mov_b64 s[58:59], -1
	s_cbranch_scc0 .LBB332_728
; %bb.697:
	s_cmp_lt_i32 s62, 24
	s_mov_b64 s[56:57], -1
	s_cbranch_scc1 .LBB332_717
; %bb.698:
	s_cmp_gt_i32 s62, 24
	s_cbranch_scc0 .LBB332_706
; %bb.699:
	v_cndmask_b32_e64 v3, 0, 1.0, s[52:53]
	s_mov_b32 s56, 0x47800000
	v_cmp_gt_u32_e32 vcc, s56, v3
	v_mov_b32_e32 v4, 0x80
	s_and_saveexec_b64 s[56:57], vcc
	s_cbranch_execz .LBB332_705
; %bb.700:
	s_mov_b32 s58, 0x37ffffff
	v_cmp_lt_u32_e32 vcc, s58, v3
	s_mov_b64 s[58:59], 0
                                        ; implicit-def: $vgpr2
	s_and_saveexec_b64 s[60:61], vcc
	s_xor_b64 s[60:61], exec, s[60:61]
	s_cbranch_execz .LBB332_934
; %bb.701:
	v_bfe_u32 v2, v3, 21, 1
	s_mov_b32 s63, 0x88fffff
	v_add3_u32 v2, v3, v2, s63
	s_mov_b64 s[58:59], exec
	v_lshrrev_b32_e32 v2, 21, v2
                                        ; implicit-def: $vgpr3
	s_andn2_saveexec_b64 s[60:61], s[60:61]
	s_cbranch_execnz .LBB332_935
.LBB332_702:
	s_or_b64 exec, exec, s[60:61]
	v_mov_b32_e32 v4, 0
	s_and_saveexec_b64 s[60:61], s[58:59]
.LBB332_703:
	v_mov_b32_e32 v4, v2
.LBB332_704:
	s_or_b64 exec, exec, s[60:61]
.LBB332_705:
	s_or_b64 exec, exec, s[56:57]
	s_mov_b64 s[56:57], 0
	global_store_byte v[0:1], v4, off
.LBB332_706:
	s_and_b64 vcc, exec, s[56:57]
	s_cbranch_vccz .LBB332_716
; %bb.707:
	v_cndmask_b32_e64 v2, 0, 1.0, s[52:53]
	s_mov_b32 s56, 0x43f00000
	v_cmp_gt_u32_e32 vcc, s56, v2
                                        ; implicit-def: $vgpr3
	s_and_saveexec_b64 s[56:57], vcc
	s_xor_b64 s[56:57], exec, s[56:57]
	s_cbranch_execz .LBB332_713
; %bb.708:
	s_mov_b32 s58, 0x3c7fffff
	v_cmp_lt_u32_e32 vcc, s58, v2
                                        ; implicit-def: $vgpr3
	s_and_saveexec_b64 s[58:59], vcc
	s_xor_b64 s[58:59], exec, s[58:59]
; %bb.709:
	v_bfe_u32 v3, v2, 20, 1
	s_mov_b32 s60, 0x407ffff
	v_add3_u32 v2, v2, v3, s60
	v_lshrrev_b32_e32 v3, 20, v2
	v_and_b32_e32 v2, 0xff00000, v2
	s_mov_b32 s60, 0x7f00000
	v_mov_b32_e32 v4, 0x7e
	v_cmp_ne_u32_e32 vcc, s60, v2
	v_cndmask_b32_e32 v3, v4, v3, vcc
                                        ; implicit-def: $vgpr2
; %bb.710:
	s_andn2_saveexec_b64 s[58:59], s[58:59]
; %bb.711:
	v_add_f32_e32 v3, 0x46800000, v2
; %bb.712:
	s_or_b64 exec, exec, s[58:59]
                                        ; implicit-def: $vgpr2
.LBB332_713:
	s_andn2_saveexec_b64 s[56:57], s[56:57]
; %bb.714:
	s_mov_b32 s58, 0x7f800000
	v_mov_b32_e32 v3, 0x7e
	v_mov_b32_e32 v4, 0x7f
	v_cmp_lt_u32_e32 vcc, s58, v2
	v_cndmask_b32_e32 v3, v3, v4, vcc
; %bb.715:
	s_or_b64 exec, exec, s[56:57]
	global_store_byte v[0:1], v3, off
.LBB332_716:
	s_mov_b64 s[56:57], 0
.LBB332_717:
	s_andn2_b64 vcc, exec, s[56:57]
	s_cbranch_vccnz .LBB332_727
; %bb.718:
	v_cndmask_b32_e64 v2, 0, 1.0, s[52:53]
	s_mov_b32 s56, 0x47800000
	v_cmp_gt_u32_e32 vcc, s56, v2
                                        ; implicit-def: $vgpr3
	s_and_saveexec_b64 s[56:57], vcc
	s_xor_b64 s[56:57], exec, s[56:57]
	s_cbranch_execz .LBB332_724
; %bb.719:
	s_mov_b32 s58, 0x387fffff
	v_cmp_lt_u32_e32 vcc, s58, v2
                                        ; implicit-def: $vgpr3
	s_and_saveexec_b64 s[58:59], vcc
	s_xor_b64 s[58:59], exec, s[58:59]
; %bb.720:
	v_bfe_u32 v3, v2, 21, 1
	s_mov_b32 s60, 0x80fffff
	v_add3_u32 v2, v2, v3, s60
	v_lshrrev_b32_e32 v3, 21, v2
                                        ; implicit-def: $vgpr2
; %bb.721:
	s_andn2_saveexec_b64 s[58:59], s[58:59]
; %bb.722:
	v_add_f32_e32 v3, 0x43000000, v2
; %bb.723:
	s_or_b64 exec, exec, s[58:59]
                                        ; implicit-def: $vgpr2
.LBB332_724:
	s_andn2_saveexec_b64 s[56:57], s[56:57]
; %bb.725:
	s_mov_b32 s58, 0x7f800000
	v_mov_b32_e32 v3, 0x7c
	v_mov_b32_e32 v4, 0x7f
	v_cmp_lt_u32_e32 vcc, s58, v2
	v_cndmask_b32_e32 v3, v3, v4, vcc
; %bb.726:
	s_or_b64 exec, exec, s[56:57]
	global_store_byte v[0:1], v3, off
.LBB332_727:
	s_mov_b64 s[58:59], 0
	s_mov_b64 s[56:57], -1
.LBB332_728:
	s_andn2_b64 vcc, exec, s[58:59]
	s_cbranch_vccnz .LBB332_736
; %bb.729:
	s_cmp_gt_i32 s62, 14
	s_mov_b64 s[58:59], -1
	s_cbranch_scc0 .LBB332_733
; %bb.730:
	s_cmp_eq_u32 s62, 15
	s_mov_b64 s[0:1], -1
	s_cbranch_scc0 .LBB332_732
; %bb.731:
	v_cndmask_b32_e64 v2, 0, 1.0, s[52:53]
	v_bfe_u32 v3, v2, 16, 1
	s_movk_i32 s0, 0x7fff
	v_add3_u32 v2, v2, v3, s0
	global_store_short_d16_hi v[0:1], v2, off
	s_mov_b64 s[56:57], -1
	s_mov_b64 s[0:1], 0
.LBB332_732:
	s_mov_b64 s[58:59], 0
.LBB332_733:
	s_and_b64 vcc, exec, s[58:59]
	s_cbranch_vccz .LBB332_736
; %bb.734:
	s_cmp_eq_u32 s62, 11
	s_mov_b64 s[0:1], -1
	s_cbranch_scc0 .LBB332_736
; %bb.735:
	v_cndmask_b32_e64 v2, 0, 1, s[52:53]
	s_mov_b64 s[56:57], -1
	s_mov_b64 s[0:1], 0
	global_store_byte v[0:1], v2, off
.LBB332_736:
	s_mov_b64 s[58:59], 0
.LBB332_737:
	s_and_b64 vcc, exec, s[58:59]
	s_cbranch_vccz .LBB332_776
; %bb.738:
	s_and_b32 s14, 0xffff, s14
	s_cmp_lt_i32 s14, 5
	s_mov_b64 s[56:57], -1
	s_cbranch_scc1 .LBB332_759
; %bb.739:
	s_cmp_lt_i32 s14, 8
	s_cbranch_scc1 .LBB332_749
; %bb.740:
	s_cmp_lt_i32 s14, 9
	s_cbranch_scc1 .LBB332_746
; %bb.741:
	s_cmp_gt_i32 s14, 9
	s_cbranch_scc0 .LBB332_743
; %bb.742:
	v_cndmask_b32_e64 v2, 0, 1, s[52:53]
	v_cvt_f64_u32_e32 v[2:3], v2
	v_mov_b32_e32 v4, 0
	v_mov_b32_e32 v5, v4
	s_mov_b64 s[56:57], 0
	global_store_dwordx4 v[0:1], v[2:5], off
.LBB332_743:
	s_andn2_b64 vcc, exec, s[56:57]
	s_cbranch_vccnz .LBB332_745
; %bb.744:
	v_cndmask_b32_e64 v2, 0, 1.0, s[52:53]
	v_mov_b32_e32 v3, 0
	global_store_dwordx2 v[0:1], v[2:3], off
.LBB332_745:
	s_mov_b64 s[56:57], 0
.LBB332_746:
	s_andn2_b64 vcc, exec, s[56:57]
	s_cbranch_vccnz .LBB332_748
; %bb.747:
	v_cndmask_b32_e64 v2, 0, 1.0, s[52:53]
	v_cvt_f16_f32_e32 v2, v2
	global_store_dword v[0:1], v2, off
.LBB332_748:
	s_mov_b64 s[56:57], 0
.LBB332_749:
	s_andn2_b64 vcc, exec, s[56:57]
	s_cbranch_vccnz .LBB332_758
; %bb.750:
	s_cmp_lt_i32 s14, 6
	s_mov_b64 s[56:57], -1
	s_cbranch_scc1 .LBB332_756
; %bb.751:
	s_cmp_gt_i32 s14, 6
	s_cbranch_scc0 .LBB332_753
; %bb.752:
	v_cndmask_b32_e64 v2, 0, 1, s[52:53]
	v_cvt_f64_u32_e32 v[2:3], v2
	s_mov_b64 s[56:57], 0
	global_store_dwordx2 v[0:1], v[2:3], off
.LBB332_753:
	s_andn2_b64 vcc, exec, s[56:57]
	s_cbranch_vccnz .LBB332_755
; %bb.754:
	v_cndmask_b32_e64 v2, 0, 1.0, s[52:53]
	global_store_dword v[0:1], v2, off
.LBB332_755:
	s_mov_b64 s[56:57], 0
.LBB332_756:
	s_andn2_b64 vcc, exec, s[56:57]
	s_cbranch_vccnz .LBB332_758
; %bb.757:
	v_cndmask_b32_e64 v2, 0, 1.0, s[52:53]
	v_cvt_f16_f32_e32 v2, v2
	global_store_short v[0:1], v2, off
.LBB332_758:
	s_mov_b64 s[56:57], 0
.LBB332_759:
	s_andn2_b64 vcc, exec, s[56:57]
	s_cbranch_vccnz .LBB332_775
; %bb.760:
	s_cmp_lt_i32 s14, 2
	s_mov_b64 s[56:57], -1
	s_cbranch_scc1 .LBB332_770
; %bb.761:
	s_cmp_lt_i32 s14, 3
	s_cbranch_scc1 .LBB332_767
; %bb.762:
	s_cmp_gt_i32 s14, 3
	s_cbranch_scc0 .LBB332_764
; %bb.763:
	s_mov_b32 s56, 0
	v_cndmask_b32_e64 v2, 0, 1, s[52:53]
	v_mov_b32_e32 v3, s56
	s_mov_b64 s[56:57], 0
	global_store_dwordx2 v[0:1], v[2:3], off
.LBB332_764:
	s_andn2_b64 vcc, exec, s[56:57]
	s_cbranch_vccnz .LBB332_766
; %bb.765:
	v_cndmask_b32_e64 v2, 0, 1, s[52:53]
	global_store_dword v[0:1], v2, off
.LBB332_766:
	s_mov_b64 s[56:57], 0
.LBB332_767:
	s_andn2_b64 vcc, exec, s[56:57]
	s_cbranch_vccnz .LBB332_769
; %bb.768:
	v_cndmask_b32_e64 v2, 0, 1, s[52:53]
	global_store_short v[0:1], v2, off
.LBB332_769:
	s_mov_b64 s[56:57], 0
.LBB332_770:
	s_andn2_b64 vcc, exec, s[56:57]
	s_cbranch_vccnz .LBB332_775
; %bb.771:
	s_mov_b64 s[56:57], -1
	s_cmp_gt_i32 s14, 0
	v_cndmask_b32_e64 v2, 0, 1, s[52:53]
	s_cbranch_scc0 .LBB332_773
; %bb.772:
	s_mov_b64 s[56:57], 0
	global_store_byte v[0:1], v2, off
.LBB332_773:
	s_andn2_b64 vcc, exec, s[56:57]
	s_cbranch_vccnz .LBB332_775
; %bb.774:
	global_store_byte v[0:1], v2, off
.LBB332_775:
	s_mov_b64 s[56:57], -1
.LBB332_776:
	s_andn2_b64 vcc, exec, s[56:57]
	s_cbranch_vccnz .LBB332_788
; %bb.777:
	v_add_u32_e32 v10, 0x80, v10
	s_mov_b64 s[56:57], -1
.LBB332_778:
	s_andn2_b64 s[52:53], s[40:41], exec
	s_and_b64 s[0:1], s[0:1], exec
	s_or_b64 s[52:53], s[52:53], s[0:1]
	s_andn2_b64 s[0:1], s[42:43], exec
	s_and_b64 s[50:51], s[50:51], exec
	s_or_b64 s[50:51], s[0:1], s[50:51]
	;; [unrolled: 3-line block ×3, first 2 shown]
	s_orn2_b64 s[0:1], s[56:57], exec
.LBB332_779:
	s_or_b64 exec, exec, s[54:55]
	s_mov_b64 s[56:57], 0
	s_mov_b64 s[58:59], 0
	;; [unrolled: 1-line block ×3, first 2 shown]
                                        ; implicit-def: $sgpr14
                                        ; implicit-def: $vgpr4_vgpr5
                                        ; implicit-def: $vgpr0
                                        ; implicit-def: $vgpr3
                                        ; implicit-def: $vgpr1
	s_and_saveexec_b64 s[54:55], s[0:1]
	s_cbranch_execz .LBB332_1264
; %bb.780:
	v_cmp_gt_i32_e32 vcc, s70, v10
	s_mov_b64 s[68:69], -1
	s_mov_b64 s[0:1], s[48:49]
	s_mov_b64 s[60:61], s[50:51]
	;; [unrolled: 1-line block ×3, first 2 shown]
	s_and_saveexec_b64 s[56:57], vcc
	s_cbranch_execz .LBB332_1172
; %bb.781:
	s_andn2_b64 vcc, exec, s[24:25]
	s_cbranch_vccnz .LBB332_787
; %bb.782:
	s_andn2_b64 vcc, exec, s[38:39]
	s_cbranch_vccnz .LBB332_789
; %bb.783:
	s_add_i32 s0, s75, 1
	s_and_b32 s14, s0, 30
	s_add_u32 s0, s2, 0xffffffe8
	s_addc_u32 s1, s3, -1
	v_mov_b32_e32 v3, 0
	s_waitcnt vmcnt(0)
	v_mov_b32_e32 v5, 0
	v_mov_b32_e32 v0, 0
	;; [unrolled: 1-line block ×3, first 2 shown]
.LBB332_784:                            ; =>This Inner Loop Header: Depth=1
	s_load_dwordx4 s[60:63], s[0:1], 0x1c
	s_load_dwordx2 s[58:59], s[0:1], 0x2c
	s_load_dwordx2 s[68:69], s[0:1], 0xec
	s_load_dwordx4 s[64:67], s[0:1], 0xdc
	s_add_u32 s0, s0, 24
	s_waitcnt lgkmcnt(0)
	v_mul_hi_u32 v2, s61, v1
	s_addc_u32 s1, s1, 0
	s_add_i32 s14, s14, -2
	s_cmp_eq_u32 s14, 0
	v_add_u32_e32 v2, v1, v2
	v_lshrrev_b32_e32 v2, s62, v2
	v_mul_lo_u32 v4, v2, s60
	v_mul_hi_u32 v6, s58, v2
	v_sub_u32_e32 v4, v1, v4
	v_add_u32_e32 v1, v2, v6
	v_lshrrev_b32_e32 v1, s59, v1
	v_mul_lo_u32 v8, v1, s63
	v_mul_lo_u32 v6, v4, s64
	;; [unrolled: 1-line block ×4, first 2 shown]
	v_sub_u32_e32 v2, v2, v8
	v_mul_lo_u32 v8, v2, s67
	v_mul_lo_u32 v9, v2, s68
	;; [unrolled: 1-line block ×3, first 2 shown]
	v_add3_u32 v0, v6, v0, v8
	v_add3_u32 v5, v7, v5, v9
	;; [unrolled: 1-line block ×3, first 2 shown]
	s_cbranch_scc0 .LBB332_784
; %bb.785:
	s_bitcmp1_b32 s75, 0
	s_cselect_b64 s[58:59], -1, 0
	s_and_b64 vcc, exec, s[58:59]
	s_cbranch_vccnz .LBB332_790
; %bb.786:
	s_load_dwordx2 s[58:59], s[0:1], 0x1c
	s_load_dword s14, s[0:1], 0x24
	s_load_dwordx2 s[60:61], s[0:1], 0xdc
	s_waitcnt lgkmcnt(0)
	v_mul_hi_u32 v2, s59, v1
	v_add_u32_e32 v2, v1, v2
	v_lshrrev_b32_e32 v2, s14, v2
	v_mul_lo_u32 v2, v2, s58
	s_load_dword s14, s[0:1], 0xe4
	v_sub_u32_e32 v2, v1, v2
	v_mad_u64_u32 v[0:1], s[0:1], v2, s60, v[0:1]
	v_mad_u64_u32 v[5:6], s[0:1], v2, s61, v[5:6]
	s_waitcnt lgkmcnt(0)
	v_mad_u64_u32 v[3:4], s[0:1], v2, s14, v[3:4]
	s_branch .LBB332_790
.LBB332_787:
	s_mov_b64 s[0:1], -1
                                        ; implicit-def: $vgpr0
                                        ; implicit-def: $vgpr5
                                        ; implicit-def: $vgpr3
	s_branch .LBB332_791
.LBB332_788:
	s_mov_b64 s[56:57], 0
	s_branch .LBB332_540
.LBB332_789:
	v_mov_b32_e32 v0, 0
	s_waitcnt vmcnt(0)
	v_mov_b32_e32 v5, 0
	v_mov_b32_e32 v3, 0
.LBB332_790:
	s_mov_b64 s[0:1], 0
.LBB332_791:
	s_andn2_b64 vcc, exec, s[0:1]
	s_cbranch_vccnz .LBB332_794
; %bb.792:
	v_mul_hi_u32 v0, s17, v10
	s_andn2_b64 vcc, exec, s[36:37]
	v_add_u32_e32 v0, v10, v0
	s_waitcnt vmcnt(0)
	v_lshrrev_b32_e32 v1, s18, v0
	v_mul_lo_u32 v0, v1, s16
	v_sub_u32_e32 v2, v10, v0
	v_mul_lo_u32 v0, v2, s20
	v_mul_lo_u32 v5, v2, s21
	;; [unrolled: 1-line block ×3, first 2 shown]
	s_cbranch_vccnz .LBB332_794
; %bb.793:
	v_mul_hi_u32 v2, s34, v1
	v_add_u32_e32 v2, v1, v2
	v_lshrrev_b32_e32 v2, s35, v2
	v_mul_lo_u32 v2, v2, s19
	v_sub_u32_e32 v2, v1, v2
	v_mad_u64_u32 v[0:1], s[0:1], v2, s23, v[0:1]
	v_mad_u64_u32 v[5:6], s[0:1], v2, s30, v[5:6]
	;; [unrolled: 1-line block ×3, first 2 shown]
.LBB332_794:
	s_waitcnt vmcnt(0)
	v_mov_b32_e32 v1, s11
	s_and_b32 s14, s74, 0xff
	v_add_co_u32_e32 v4, vcc, s10, v5
	s_cmp_lt_i32 s14, 11
	v_addc_co_u32_e32 v5, vcc, 0, v1, vcc
	s_cbranch_scc1 .LBB332_801
; %bb.795:
	s_and_b32 s62, 0xffff, s14
	s_cmp_gt_i32 s62, 25
	s_cbranch_scc0 .LBB332_802
; %bb.796:
	s_cmp_gt_i32 s62, 28
	s_cbranch_scc0 .LBB332_803
; %bb.797:
	;; [unrolled: 3-line block ×4, first 2 shown]
	s_cmp_eq_u32 s62, 46
	s_mov_b64 s[60:61], 0
	s_cbranch_scc0 .LBB332_808
; %bb.800:
	global_load_dword v1, v[4:5], off
	s_mov_b64 s[0:1], -1
	s_mov_b64 s[58:59], 0
	s_waitcnt vmcnt(0)
	v_lshlrev_b32_e32 v1, 16, v1
	v_cvt_u32_f32_e32 v1, v1
	s_branch .LBB332_809
.LBB332_801:
	s_mov_b64 s[60:61], -1
	s_mov_b64 s[0:1], 0
                                        ; implicit-def: $vgpr1
	s_mov_b64 s[58:59], s[48:49]
	s_branch .LBB332_870
.LBB332_802:
	s_mov_b64 s[60:61], -1
	s_mov_b64 s[0:1], 0
	s_mov_b64 s[58:59], s[48:49]
                                        ; implicit-def: $vgpr1
	s_branch .LBB332_836
.LBB332_803:
	s_mov_b64 s[60:61], -1
	s_mov_b64 s[0:1], 0
	s_mov_b64 s[58:59], s[48:49]
                                        ; implicit-def: $vgpr1
	s_branch .LBB332_819
.LBB332_804:
	s_mov_b64 s[60:61], -1
	s_mov_b64 s[0:1], 0
	s_mov_b64 s[58:59], s[48:49]
                                        ; implicit-def: $vgpr1
	s_branch .LBB332_814
.LBB332_805:
	s_mov_b64 s[60:61], -1
	s_mov_b64 s[0:1], 0
	s_mov_b64 s[58:59], s[48:49]
                                        ; implicit-def: $vgpr1
	s_branch .LBB332_809
.LBB332_806:
	s_andn2_saveexec_b64 s[60:61], s[60:61]
	s_cbranch_execz .LBB332_689
.LBB332_807:
	v_add_f32_e32 v2, 0x46000000, v3
	v_and_b32_e32 v2, 0xff, v2
	v_cmp_ne_u32_e32 vcc, 0, v2
	s_andn2_b64 s[58:59], s[58:59], exec
	s_and_b64 s[64:65], vcc, exec
	s_or_b64 s[58:59], s[58:59], s[64:65]
	s_or_b64 exec, exec, s[60:61]
	v_mov_b32_e32 v4, 0
	s_and_saveexec_b64 s[60:61], s[58:59]
	s_cbranch_execnz .LBB332_690
	s_branch .LBB332_691
.LBB332_808:
	s_mov_b64 s[58:59], -1
                                        ; implicit-def: $vgpr1
	s_mov_b64 s[0:1], 0
.LBB332_809:
	s_and_b64 vcc, exec, s[60:61]
	s_cbranch_vccz .LBB332_813
; %bb.810:
	s_cmp_eq_u32 s62, 44
	s_cbranch_scc0 .LBB332_812
; %bb.811:
	global_load_ubyte v1, v[4:5], off
	s_mov_b64 s[0:1], -1
	s_mov_b64 s[58:59], 0
	s_waitcnt vmcnt(0)
	v_lshlrev_b32_e32 v2, 23, v1
	v_cvt_u32_f32_e32 v2, v2
	v_cmp_ne_u32_e32 vcc, 0, v1
	v_cndmask_b32_e32 v1, 0, v2, vcc
	s_branch .LBB332_813
.LBB332_812:
	s_mov_b64 s[58:59], -1
                                        ; implicit-def: $vgpr1
.LBB332_813:
	s_mov_b64 s[60:61], 0
.LBB332_814:
	s_and_b64 vcc, exec, s[60:61]
	s_cbranch_vccz .LBB332_818
; %bb.815:
	s_cmp_eq_u32 s62, 29
	s_cbranch_scc0 .LBB332_817
; %bb.816:
	global_load_dwordx2 v[1:2], v[4:5], off
	s_mov_b64 s[0:1], -1
	s_mov_b64 s[58:59], 0
	s_branch .LBB332_818
.LBB332_817:
	s_mov_b64 s[58:59], -1
                                        ; implicit-def: $vgpr1
.LBB332_818:
	s_mov_b64 s[60:61], 0
.LBB332_819:
	s_and_b64 vcc, exec, s[60:61]
	s_cbranch_vccz .LBB332_835
; %bb.820:
	s_cmp_lt_i32 s62, 27
	s_cbranch_scc1 .LBB332_823
; %bb.821:
	s_cmp_gt_i32 s62, 27
	s_cbranch_scc0 .LBB332_824
; %bb.822:
	global_load_dword v1, v[4:5], off
	s_mov_b64 s[0:1], 0
	s_branch .LBB332_825
.LBB332_823:
	s_mov_b64 s[0:1], -1
                                        ; implicit-def: $vgpr1
	s_branch .LBB332_828
.LBB332_824:
	s_mov_b64 s[0:1], -1
                                        ; implicit-def: $vgpr1
.LBB332_825:
	s_andn2_b64 vcc, exec, s[0:1]
	s_cbranch_vccnz .LBB332_827
; %bb.826:
	global_load_ushort v1, v[4:5], off
.LBB332_827:
	s_mov_b64 s[0:1], 0
.LBB332_828:
	s_andn2_b64 vcc, exec, s[0:1]
	s_cbranch_vccnz .LBB332_834
; %bb.829:
	global_load_ubyte v2, v[4:5], off
	s_movk_i32 s0, 0x7f
	s_mov_b64 s[60:61], 0
	s_waitcnt vmcnt(0)
	v_cmp_lt_i16_e32 vcc, s0, v2
	s_and_saveexec_b64 s[0:1], vcc
	s_xor_b64 s[0:1], exec, s[0:1]
	s_cbranch_execz .LBB332_846
; %bb.830:
	s_movk_i32 s60, 0x80
	v_cmp_ne_u16_e32 vcc, s60, v2
	s_and_b64 s[60:61], vcc, exec
	s_andn2_saveexec_b64 s[0:1], s[0:1]
	s_cbranch_execnz .LBB332_847
.LBB332_831:
	s_or_b64 exec, exec, s[0:1]
	v_mov_b32_e32 v1, 0
	s_and_saveexec_b64 s[0:1], s[60:61]
	s_cbranch_execz .LBB332_833
.LBB332_832:
	v_lshlrev_b32_e32 v1, 24, v2
	v_and_b32_e32 v2, 0xffff, v2
	v_and_b32_e32 v6, 7, v2
	v_ffbh_u32_e32 v8, v6
	v_min_u32_e32 v8, 32, v8
	v_subrev_u32_e32 v9, 28, v8
	v_bfe_u32 v7, v2, 3, 4
	v_lshlrev_b32_e32 v2, v9, v2
	v_sub_u32_e32 v8, 29, v8
	v_and_b32_e32 v2, 7, v2
	v_cmp_eq_u32_e32 vcc, 0, v7
	v_cndmask_b32_e32 v7, v7, v8, vcc
	v_cndmask_b32_e32 v2, v6, v2, vcc
	v_mov_b32_e32 v6, 0x3b800000
	v_lshlrev_b32_e32 v2, 20, v2
	v_and_b32_e32 v1, 0x80000000, v1
	v_lshl_add_u32 v6, v7, 23, v6
	v_or3_b32 v1, v1, v6, v2
	v_cvt_u32_f32_e32 v1, v1
.LBB332_833:
	s_or_b64 exec, exec, s[0:1]
.LBB332_834:
	s_mov_b64 s[0:1], -1
.LBB332_835:
	s_mov_b64 s[60:61], 0
.LBB332_836:
	s_and_b64 vcc, exec, s[60:61]
	s_cbranch_vccz .LBB332_869
; %bb.837:
	s_cmp_gt_i32 s62, 22
	s_cbranch_scc0 .LBB332_845
; %bb.838:
	s_cmp_lt_i32 s62, 24
	s_cbranch_scc1 .LBB332_848
; %bb.839:
	s_cmp_gt_i32 s62, 24
	s_cbranch_scc0 .LBB332_849
; %bb.840:
	global_load_ubyte v2, v[4:5], off
	s_movk_i32 s0, 0x7f
	s_mov_b64 s[60:61], 0
	s_waitcnt vmcnt(0)
	v_cmp_lt_i16_e32 vcc, s0, v2
	s_and_saveexec_b64 s[0:1], vcc
	s_xor_b64 s[0:1], exec, s[0:1]
	s_cbranch_execz .LBB332_861
; %bb.841:
	s_movk_i32 s60, 0x80
	v_cmp_ne_u16_e32 vcc, s60, v2
	s_and_b64 s[60:61], vcc, exec
	s_andn2_saveexec_b64 s[0:1], s[0:1]
	s_cbranch_execnz .LBB332_862
.LBB332_842:
	s_or_b64 exec, exec, s[0:1]
	v_mov_b32_e32 v1, 0
	s_and_saveexec_b64 s[0:1], s[60:61]
	s_cbranch_execz .LBB332_844
.LBB332_843:
	v_lshlrev_b32_e32 v1, 24, v2
	v_and_b32_e32 v2, 0xffff, v2
	v_and_b32_e32 v6, 3, v2
	v_ffbh_u32_e32 v8, v6
	v_min_u32_e32 v8, 32, v8
	v_subrev_u32_e32 v9, 29, v8
	v_bfe_u32 v7, v2, 2, 5
	v_lshlrev_b32_e32 v2, v9, v2
	v_sub_u32_e32 v8, 30, v8
	v_and_b32_e32 v2, 3, v2
	v_cmp_eq_u32_e32 vcc, 0, v7
	v_cndmask_b32_e32 v7, v7, v8, vcc
	v_cndmask_b32_e32 v2, v6, v2, vcc
	v_mov_b32_e32 v6, 0x37800000
	v_lshlrev_b32_e32 v2, 21, v2
	v_and_b32_e32 v1, 0x80000000, v1
	v_lshl_add_u32 v6, v7, 23, v6
	v_or3_b32 v1, v1, v6, v2
	v_cvt_u32_f32_e32 v1, v1
.LBB332_844:
	s_or_b64 exec, exec, s[0:1]
	s_mov_b64 s[0:1], 0
	s_branch .LBB332_850
.LBB332_845:
	s_mov_b64 s[60:61], -1
                                        ; implicit-def: $vgpr1
	s_branch .LBB332_856
.LBB332_846:
	s_andn2_saveexec_b64 s[0:1], s[0:1]
	s_cbranch_execz .LBB332_831
.LBB332_847:
	v_cmp_ne_u16_e32 vcc, 0, v2
	s_andn2_b64 s[60:61], s[60:61], exec
	s_and_b64 s[64:65], vcc, exec
	s_or_b64 s[60:61], s[60:61], s[64:65]
	s_or_b64 exec, exec, s[0:1]
	v_mov_b32_e32 v1, 0
	s_and_saveexec_b64 s[0:1], s[60:61]
	s_cbranch_execnz .LBB332_832
	s_branch .LBB332_833
.LBB332_848:
	s_mov_b64 s[0:1], -1
                                        ; implicit-def: $vgpr1
	s_branch .LBB332_853
.LBB332_849:
	s_mov_b64 s[0:1], -1
                                        ; implicit-def: $vgpr1
.LBB332_850:
	s_and_b64 vcc, exec, s[0:1]
	s_cbranch_vccz .LBB332_852
; %bb.851:
	global_load_ubyte v1, v[4:5], off
	s_mov_b32 s0, 0x7f800000
	s_waitcnt vmcnt(0)
	v_lshlrev_b32_e32 v1, 24, v1
	v_and_b32_e32 v2, 0x7f000000, v1
	v_ffbh_u32_e32 v6, v2
	v_min_u32_e32 v6, 32, v6
	v_sub_u32_e64 v6, v6, 4 clamp
	v_lshlrev_b32_e32 v8, v6, v2
	v_lshlrev_b32_e32 v6, 23, v6
	v_lshrrev_b32_e32 v8, 4, v8
	v_add_u32_e32 v7, 0x1000000, v2
	v_sub_u32_e32 v6, v8, v6
	v_ashrrev_i32_e32 v7, 8, v7
	v_add_u32_e32 v6, 0x3c000000, v6
	v_and_or_b32 v6, v7, s0, v6
	v_cmp_ne_u32_e32 vcc, 0, v2
	v_cndmask_b32_e32 v2, 0, v6, vcc
	s_brev_b32 s0, 1
	v_and_or_b32 v1, v1, s0, v2
	v_cvt_u32_f32_e32 v1, v1
.LBB332_852:
	s_mov_b64 s[0:1], 0
.LBB332_853:
	s_andn2_b64 vcc, exec, s[0:1]
	s_cbranch_vccnz .LBB332_855
; %bb.854:
	global_load_ubyte v1, v[4:5], off
	s_movk_i32 s0, 0x7f00
	s_brev_b32 s1, 16
	s_waitcnt vmcnt(0)
	v_lshlrev_b16_e32 v2, 8, v1
	v_lshlrev_b32_e32 v1, 25, v1
	v_lshrrev_b32_e32 v6, 4, v1
	v_and_or_b32 v7, v2, s0, 0.5
	v_or_b32_e32 v6, 0x70000000, v6
	v_add_f32_e32 v7, -0.5, v7
	v_mul_f32_e32 v6, 0x7800000, v6
	v_cmp_gt_u32_e32 vcc, s1, v1
	v_bfe_i32 v2, v2, 0, 16
	v_cndmask_b32_e32 v1, v6, v7, vcc
	s_brev_b32 s0, 1
	v_and_or_b32 v1, v2, s0, v1
	v_cvt_u32_f32_e32 v1, v1
.LBB332_855:
	s_mov_b64 s[60:61], 0
	s_mov_b64 s[0:1], -1
.LBB332_856:
	s_andn2_b64 vcc, exec, s[60:61]
	s_cbranch_vccnz .LBB332_869
; %bb.857:
	s_cmp_gt_i32 s62, 14
	s_cbranch_scc0 .LBB332_860
; %bb.858:
	s_cmp_eq_u32 s62, 15
	s_cbranch_scc0 .LBB332_863
; %bb.859:
	global_load_ushort v1, v[4:5], off
	s_mov_b64 s[0:1], -1
	s_mov_b64 s[58:59], 0
	s_waitcnt vmcnt(0)
	v_lshlrev_b32_e32 v1, 16, v1
	v_cvt_u32_f32_e32 v1, v1
	s_branch .LBB332_864
.LBB332_860:
	s_mov_b64 s[60:61], -1
                                        ; implicit-def: $vgpr1
	s_branch .LBB332_865
.LBB332_861:
	s_andn2_saveexec_b64 s[0:1], s[0:1]
	s_cbranch_execz .LBB332_842
.LBB332_862:
	v_cmp_ne_u16_e32 vcc, 0, v2
	s_andn2_b64 s[60:61], s[60:61], exec
	s_and_b64 s[64:65], vcc, exec
	s_or_b64 s[60:61], s[60:61], s[64:65]
	s_or_b64 exec, exec, s[0:1]
	v_mov_b32_e32 v1, 0
	s_and_saveexec_b64 s[0:1], s[60:61]
	s_cbranch_execnz .LBB332_843
	s_branch .LBB332_844
.LBB332_863:
	s_mov_b64 s[58:59], -1
                                        ; implicit-def: $vgpr1
.LBB332_864:
	s_mov_b64 s[60:61], 0
.LBB332_865:
	s_and_b64 vcc, exec, s[60:61]
	s_cbranch_vccz .LBB332_869
; %bb.866:
	s_cmp_eq_u32 s62, 11
	s_cbranch_scc0 .LBB332_868
; %bb.867:
	global_load_ubyte v1, v[4:5], off
	s_mov_b64 s[0:1], -1
	s_mov_b64 s[58:59], 0
	s_waitcnt vmcnt(0)
	v_cmp_ne_u16_e32 vcc, 0, v1
	v_cndmask_b32_e64 v1, 0, 1, vcc
	s_branch .LBB332_869
.LBB332_868:
	s_mov_b64 s[58:59], -1
                                        ; implicit-def: $vgpr1
.LBB332_869:
	s_mov_b64 s[60:61], 0
.LBB332_870:
	s_and_b64 vcc, exec, s[60:61]
	s_cbranch_vccz .LBB332_919
; %bb.871:
	s_and_b32 s14, 0xffff, s14
	s_cmp_lt_i32 s14, 5
	s_cbranch_scc1 .LBB332_876
; %bb.872:
	s_cmp_lt_i32 s14, 8
	s_cbranch_scc1 .LBB332_877
; %bb.873:
	;; [unrolled: 3-line block ×3, first 2 shown]
	s_cmp_gt_i32 s14, 9
	s_cbranch_scc0 .LBB332_879
; %bb.875:
	global_load_dwordx2 v[1:2], v[4:5], off
	s_mov_b64 s[0:1], 0
	s_waitcnt vmcnt(0)
	v_cvt_u32_f64_e32 v1, v[1:2]
	s_branch .LBB332_880
.LBB332_876:
	s_mov_b64 s[0:1], -1
                                        ; implicit-def: $vgpr1
	s_branch .LBB332_898
.LBB332_877:
	s_mov_b64 s[0:1], -1
                                        ; implicit-def: $vgpr1
	s_branch .LBB332_886
.LBB332_878:
	s_mov_b64 s[0:1], -1
                                        ; implicit-def: $vgpr1
	s_branch .LBB332_883
.LBB332_879:
	s_mov_b64 s[0:1], -1
                                        ; implicit-def: $vgpr1
.LBB332_880:
	s_andn2_b64 vcc, exec, s[0:1]
	s_cbranch_vccnz .LBB332_882
; %bb.881:
	global_load_dword v1, v[4:5], off
	s_waitcnt vmcnt(0)
	v_cvt_u32_f32_e32 v1, v1
.LBB332_882:
	s_mov_b64 s[0:1], 0
.LBB332_883:
	s_andn2_b64 vcc, exec, s[0:1]
	s_cbranch_vccnz .LBB332_885
; %bb.884:
	global_load_dword v1, v[4:5], off
	s_waitcnt vmcnt(0)
	v_cvt_u16_f16_e32 v1, v1
.LBB332_885:
	s_mov_b64 s[0:1], 0
.LBB332_886:
	s_andn2_b64 vcc, exec, s[0:1]
	s_cbranch_vccnz .LBB332_897
; %bb.887:
	s_cmp_lt_i32 s14, 6
	s_cbranch_scc1 .LBB332_890
; %bb.888:
	s_cmp_gt_i32 s14, 6
	s_cbranch_scc0 .LBB332_891
; %bb.889:
	global_load_dwordx2 v[1:2], v[4:5], off
	s_mov_b64 s[0:1], 0
	s_waitcnt vmcnt(0)
	v_cvt_u32_f64_e32 v1, v[1:2]
	s_branch .LBB332_892
.LBB332_890:
	s_mov_b64 s[0:1], -1
                                        ; implicit-def: $vgpr1
	s_branch .LBB332_895
.LBB332_891:
	s_mov_b64 s[0:1], -1
                                        ; implicit-def: $vgpr1
.LBB332_892:
	s_andn2_b64 vcc, exec, s[0:1]
	s_cbranch_vccnz .LBB332_894
; %bb.893:
	global_load_dword v1, v[4:5], off
	s_waitcnt vmcnt(0)
	v_cvt_u32_f32_e32 v1, v1
.LBB332_894:
	s_mov_b64 s[0:1], 0
.LBB332_895:
	s_andn2_b64 vcc, exec, s[0:1]
	s_cbranch_vccnz .LBB332_897
; %bb.896:
	global_load_ushort v1, v[4:5], off
	s_waitcnt vmcnt(0)
	v_cvt_u16_f16_e32 v1, v1
.LBB332_897:
	s_mov_b64 s[0:1], 0
.LBB332_898:
	s_andn2_b64 vcc, exec, s[0:1]
	s_cbranch_vccnz .LBB332_918
; %bb.899:
	s_cmp_lt_i32 s14, 2
	s_cbranch_scc1 .LBB332_903
; %bb.900:
	s_cmp_lt_i32 s14, 3
	s_cbranch_scc1 .LBB332_904
; %bb.901:
	s_cmp_gt_i32 s14, 3
	s_cbranch_scc0 .LBB332_905
; %bb.902:
	global_load_dwordx2 v[1:2], v[4:5], off
	s_mov_b64 s[0:1], 0
	s_branch .LBB332_906
.LBB332_903:
	s_mov_b64 s[0:1], -1
                                        ; implicit-def: $vgpr1
	s_branch .LBB332_912
.LBB332_904:
	s_mov_b64 s[0:1], -1
                                        ; implicit-def: $vgpr1
	s_branch .LBB332_909
.LBB332_905:
	s_mov_b64 s[0:1], -1
                                        ; implicit-def: $vgpr1
.LBB332_906:
	s_andn2_b64 vcc, exec, s[0:1]
	s_cbranch_vccnz .LBB332_908
; %bb.907:
	global_load_dword v1, v[4:5], off
.LBB332_908:
	s_mov_b64 s[0:1], 0
.LBB332_909:
	s_andn2_b64 vcc, exec, s[0:1]
	s_cbranch_vccnz .LBB332_911
; %bb.910:
	global_load_ushort v1, v[4:5], off
.LBB332_911:
	s_mov_b64 s[0:1], 0
.LBB332_912:
	s_andn2_b64 vcc, exec, s[0:1]
	s_cbranch_vccnz .LBB332_918
; %bb.913:
	s_cmp_gt_i32 s14, 0
	s_cbranch_scc0 .LBB332_915
; %bb.914:
	global_load_sbyte v1, v[4:5], off
	s_mov_b64 s[0:1], 0
	s_branch .LBB332_916
.LBB332_915:
	s_mov_b64 s[0:1], -1
                                        ; implicit-def: $vgpr1
.LBB332_916:
	s_andn2_b64 vcc, exec, s[0:1]
	s_cbranch_vccnz .LBB332_918
; %bb.917:
	global_load_ubyte v1, v[4:5], off
.LBB332_918:
	s_mov_b64 s[0:1], -1
.LBB332_919:
	s_andn2_b64 vcc, exec, s[0:1]
	s_cbranch_vccnz .LBB332_927
; %bb.920:
	v_mov_b32_e32 v4, s13
	s_and_b32 s14, s73, 0xff
	s_waitcnt vmcnt(0)
	v_add_co_u32_e32 v2, vcc, s12, v3
	s_cmp_lt_i32 s14, 11
	v_addc_co_u32_e32 v3, vcc, 0, v4, vcc
	s_cbranch_scc1 .LBB332_929
; %bb.921:
	s_and_b32 s64, 0xffff, s14
	s_cmp_gt_i32 s64, 25
	s_cbranch_scc0 .LBB332_930
; %bb.922:
	s_cmp_gt_i32 s64, 28
	s_cbranch_scc0 .LBB332_931
; %bb.923:
	;; [unrolled: 3-line block ×4, first 2 shown]
	s_cmp_eq_u32 s64, 46
	s_mov_b64 s[62:63], 0
	s_cbranch_scc0 .LBB332_936
; %bb.926:
	global_load_dword v4, v[2:3], off
	s_mov_b64 s[0:1], -1
	s_mov_b64 s[60:61], 0
	s_waitcnt vmcnt(0)
	v_lshlrev_b32_e32 v4, 16, v4
	v_cvt_u32_f32_e32 v4, v4
	s_branch .LBB332_937
.LBB332_927:
	s_mov_b64 s[64:65], 0
	s_mov_b64 s[0:1], s[52:53]
	;; [unrolled: 1-line block ×3, first 2 shown]
.LBB332_928:
                                        ; implicit-def: $vgpr10
	s_branch .LBB332_1171
.LBB332_929:
	s_mov_b64 s[62:63], -1
	s_mov_b64 s[0:1], 0
                                        ; implicit-def: $vgpr4
	s_mov_b64 s[60:61], s[50:51]
	s_branch .LBB332_998
.LBB332_930:
	s_mov_b64 s[62:63], -1
	s_mov_b64 s[0:1], 0
	s_mov_b64 s[60:61], s[50:51]
                                        ; implicit-def: $vgpr4
	s_branch .LBB332_964
.LBB332_931:
	s_mov_b64 s[62:63], -1
	s_mov_b64 s[0:1], 0
	s_mov_b64 s[60:61], s[50:51]
                                        ; implicit-def: $vgpr4
	s_branch .LBB332_947
.LBB332_932:
	s_mov_b64 s[62:63], -1
	s_mov_b64 s[0:1], 0
	s_mov_b64 s[60:61], s[50:51]
                                        ; implicit-def: $vgpr4
	s_branch .LBB332_942
.LBB332_933:
	s_mov_b64 s[62:63], -1
	s_mov_b64 s[0:1], 0
	s_mov_b64 s[60:61], s[50:51]
                                        ; implicit-def: $vgpr4
	s_branch .LBB332_937
.LBB332_934:
	s_andn2_saveexec_b64 s[60:61], s[60:61]
	s_cbranch_execz .LBB332_702
.LBB332_935:
	v_add_f32_e32 v2, 0x42800000, v3
	v_and_b32_e32 v2, 0xff, v2
	v_cmp_ne_u32_e32 vcc, 0, v2
	s_andn2_b64 s[58:59], s[58:59], exec
	s_and_b64 s[64:65], vcc, exec
	s_or_b64 s[58:59], s[58:59], s[64:65]
	s_or_b64 exec, exec, s[60:61]
	v_mov_b32_e32 v4, 0
	s_and_saveexec_b64 s[60:61], s[58:59]
	s_cbranch_execnz .LBB332_703
	s_branch .LBB332_704
.LBB332_936:
	s_mov_b64 s[60:61], -1
                                        ; implicit-def: $vgpr4
	s_mov_b64 s[0:1], 0
.LBB332_937:
	s_and_b64 vcc, exec, s[62:63]
	s_cbranch_vccz .LBB332_941
; %bb.938:
	s_cmp_eq_u32 s64, 44
	s_cbranch_scc0 .LBB332_940
; %bb.939:
	global_load_ubyte v4, v[2:3], off
	s_mov_b64 s[0:1], -1
	s_mov_b64 s[60:61], 0
	s_waitcnt vmcnt(0)
	v_lshlrev_b32_e32 v5, 23, v4
	v_cvt_u32_f32_e32 v5, v5
	v_cmp_ne_u32_e32 vcc, 0, v4
	v_cndmask_b32_e32 v4, 0, v5, vcc
	s_branch .LBB332_941
.LBB332_940:
	s_mov_b64 s[60:61], -1
                                        ; implicit-def: $vgpr4
.LBB332_941:
	s_mov_b64 s[62:63], 0
.LBB332_942:
	s_and_b64 vcc, exec, s[62:63]
	s_cbranch_vccz .LBB332_946
; %bb.943:
	s_cmp_eq_u32 s64, 29
	s_cbranch_scc0 .LBB332_945
; %bb.944:
	global_load_dwordx2 v[4:5], v[2:3], off
	s_mov_b64 s[0:1], -1
	s_mov_b64 s[60:61], 0
	s_branch .LBB332_946
.LBB332_945:
	s_mov_b64 s[60:61], -1
                                        ; implicit-def: $vgpr4
.LBB332_946:
	s_mov_b64 s[62:63], 0
.LBB332_947:
	s_and_b64 vcc, exec, s[62:63]
	s_cbranch_vccz .LBB332_963
; %bb.948:
	s_cmp_lt_i32 s64, 27
	s_cbranch_scc1 .LBB332_951
; %bb.949:
	s_cmp_gt_i32 s64, 27
	s_cbranch_scc0 .LBB332_952
; %bb.950:
	global_load_dword v4, v[2:3], off
	s_mov_b64 s[0:1], 0
	s_branch .LBB332_953
.LBB332_951:
	s_mov_b64 s[0:1], -1
                                        ; implicit-def: $vgpr4
	s_branch .LBB332_956
.LBB332_952:
	s_mov_b64 s[0:1], -1
                                        ; implicit-def: $vgpr4
.LBB332_953:
	s_andn2_b64 vcc, exec, s[0:1]
	s_cbranch_vccnz .LBB332_955
; %bb.954:
	global_load_ushort v4, v[2:3], off
.LBB332_955:
	s_mov_b64 s[0:1], 0
.LBB332_956:
	s_andn2_b64 vcc, exec, s[0:1]
	s_cbranch_vccnz .LBB332_962
; %bb.957:
	global_load_ubyte v5, v[2:3], off
	s_movk_i32 s0, 0x7f
	s_mov_b64 s[62:63], 0
	s_waitcnt vmcnt(0)
	v_cmp_lt_i16_e32 vcc, s0, v5
	s_and_saveexec_b64 s[0:1], vcc
	s_xor_b64 s[0:1], exec, s[0:1]
	s_cbranch_execz .LBB332_974
; %bb.958:
	s_movk_i32 s62, 0x80
	v_cmp_ne_u16_e32 vcc, s62, v5
	s_and_b64 s[62:63], vcc, exec
	s_andn2_saveexec_b64 s[0:1], s[0:1]
	s_cbranch_execnz .LBB332_975
.LBB332_959:
	s_or_b64 exec, exec, s[0:1]
	v_mov_b32_e32 v4, 0
	s_and_saveexec_b64 s[0:1], s[62:63]
	s_cbranch_execz .LBB332_961
.LBB332_960:
	v_lshlrev_b32_e32 v4, 24, v5
	v_and_b32_e32 v5, 0xffff, v5
	v_and_b32_e32 v6, 7, v5
	v_ffbh_u32_e32 v8, v6
	v_min_u32_e32 v8, 32, v8
	v_subrev_u32_e32 v9, 28, v8
	v_bfe_u32 v7, v5, 3, 4
	v_lshlrev_b32_e32 v5, v9, v5
	v_sub_u32_e32 v8, 29, v8
	v_and_b32_e32 v5, 7, v5
	v_cmp_eq_u32_e32 vcc, 0, v7
	v_cndmask_b32_e32 v7, v7, v8, vcc
	v_cndmask_b32_e32 v5, v6, v5, vcc
	v_mov_b32_e32 v6, 0x3b800000
	v_lshlrev_b32_e32 v5, 20, v5
	v_and_b32_e32 v4, 0x80000000, v4
	v_lshl_add_u32 v6, v7, 23, v6
	v_or3_b32 v4, v4, v6, v5
	v_cvt_u32_f32_e32 v4, v4
.LBB332_961:
	s_or_b64 exec, exec, s[0:1]
.LBB332_962:
	s_mov_b64 s[0:1], -1
.LBB332_963:
	s_mov_b64 s[62:63], 0
.LBB332_964:
	s_and_b64 vcc, exec, s[62:63]
	s_cbranch_vccz .LBB332_997
; %bb.965:
	s_cmp_gt_i32 s64, 22
	s_cbranch_scc0 .LBB332_973
; %bb.966:
	s_cmp_lt_i32 s64, 24
	s_cbranch_scc1 .LBB332_976
; %bb.967:
	s_cmp_gt_i32 s64, 24
	s_cbranch_scc0 .LBB332_977
; %bb.968:
	global_load_ubyte v5, v[2:3], off
	s_movk_i32 s0, 0x7f
	s_mov_b64 s[62:63], 0
	s_waitcnt vmcnt(0)
	v_cmp_lt_i16_e32 vcc, s0, v5
	s_and_saveexec_b64 s[0:1], vcc
	s_xor_b64 s[0:1], exec, s[0:1]
	s_cbranch_execz .LBB332_989
; %bb.969:
	s_movk_i32 s62, 0x80
	v_cmp_ne_u16_e32 vcc, s62, v5
	s_and_b64 s[62:63], vcc, exec
	s_andn2_saveexec_b64 s[0:1], s[0:1]
	s_cbranch_execnz .LBB332_990
.LBB332_970:
	s_or_b64 exec, exec, s[0:1]
	v_mov_b32_e32 v4, 0
	s_and_saveexec_b64 s[0:1], s[62:63]
	s_cbranch_execz .LBB332_972
.LBB332_971:
	v_lshlrev_b32_e32 v4, 24, v5
	v_and_b32_e32 v5, 0xffff, v5
	v_and_b32_e32 v6, 3, v5
	v_ffbh_u32_e32 v8, v6
	v_min_u32_e32 v8, 32, v8
	v_subrev_u32_e32 v9, 29, v8
	v_bfe_u32 v7, v5, 2, 5
	v_lshlrev_b32_e32 v5, v9, v5
	v_sub_u32_e32 v8, 30, v8
	v_and_b32_e32 v5, 3, v5
	v_cmp_eq_u32_e32 vcc, 0, v7
	v_cndmask_b32_e32 v7, v7, v8, vcc
	v_cndmask_b32_e32 v5, v6, v5, vcc
	v_mov_b32_e32 v6, 0x37800000
	v_lshlrev_b32_e32 v5, 21, v5
	v_and_b32_e32 v4, 0x80000000, v4
	v_lshl_add_u32 v6, v7, 23, v6
	v_or3_b32 v4, v4, v6, v5
	v_cvt_u32_f32_e32 v4, v4
.LBB332_972:
	s_or_b64 exec, exec, s[0:1]
	s_mov_b64 s[0:1], 0
	s_branch .LBB332_978
.LBB332_973:
	s_mov_b64 s[62:63], -1
                                        ; implicit-def: $vgpr4
	s_branch .LBB332_984
.LBB332_974:
	s_andn2_saveexec_b64 s[0:1], s[0:1]
	s_cbranch_execz .LBB332_959
.LBB332_975:
	v_cmp_ne_u16_e32 vcc, 0, v5
	s_andn2_b64 s[62:63], s[62:63], exec
	s_and_b64 s[66:67], vcc, exec
	s_or_b64 s[62:63], s[62:63], s[66:67]
	s_or_b64 exec, exec, s[0:1]
	v_mov_b32_e32 v4, 0
	s_and_saveexec_b64 s[0:1], s[62:63]
	s_cbranch_execnz .LBB332_960
	s_branch .LBB332_961
.LBB332_976:
	s_mov_b64 s[0:1], -1
                                        ; implicit-def: $vgpr4
	s_branch .LBB332_981
.LBB332_977:
	s_mov_b64 s[0:1], -1
                                        ; implicit-def: $vgpr4
.LBB332_978:
	s_and_b64 vcc, exec, s[0:1]
	s_cbranch_vccz .LBB332_980
; %bb.979:
	global_load_ubyte v4, v[2:3], off
	s_mov_b32 s0, 0x7f800000
	s_waitcnt vmcnt(0)
	v_lshlrev_b32_e32 v4, 24, v4
	v_and_b32_e32 v5, 0x7f000000, v4
	v_ffbh_u32_e32 v6, v5
	v_min_u32_e32 v6, 32, v6
	v_sub_u32_e64 v6, v6, 4 clamp
	v_lshlrev_b32_e32 v8, v6, v5
	v_lshlrev_b32_e32 v6, 23, v6
	v_lshrrev_b32_e32 v8, 4, v8
	v_add_u32_e32 v7, 0x1000000, v5
	v_sub_u32_e32 v6, v8, v6
	v_ashrrev_i32_e32 v7, 8, v7
	v_add_u32_e32 v6, 0x3c000000, v6
	v_and_or_b32 v6, v7, s0, v6
	v_cmp_ne_u32_e32 vcc, 0, v5
	v_cndmask_b32_e32 v5, 0, v6, vcc
	s_brev_b32 s0, 1
	v_and_or_b32 v4, v4, s0, v5
	v_cvt_u32_f32_e32 v4, v4
.LBB332_980:
	s_mov_b64 s[0:1], 0
.LBB332_981:
	s_andn2_b64 vcc, exec, s[0:1]
	s_cbranch_vccnz .LBB332_983
; %bb.982:
	global_load_ubyte v4, v[2:3], off
	s_movk_i32 s0, 0x7f00
	s_brev_b32 s1, 16
	s_waitcnt vmcnt(0)
	v_lshlrev_b16_e32 v5, 8, v4
	v_lshlrev_b32_e32 v4, 25, v4
	v_lshrrev_b32_e32 v6, 4, v4
	v_and_or_b32 v7, v5, s0, 0.5
	v_or_b32_e32 v6, 0x70000000, v6
	v_add_f32_e32 v7, -0.5, v7
	v_mul_f32_e32 v6, 0x7800000, v6
	v_cmp_gt_u32_e32 vcc, s1, v4
	v_bfe_i32 v5, v5, 0, 16
	v_cndmask_b32_e32 v4, v6, v7, vcc
	s_brev_b32 s0, 1
	v_and_or_b32 v4, v5, s0, v4
	v_cvt_u32_f32_e32 v4, v4
.LBB332_983:
	s_mov_b64 s[62:63], 0
	s_mov_b64 s[0:1], -1
.LBB332_984:
	s_andn2_b64 vcc, exec, s[62:63]
	s_cbranch_vccnz .LBB332_997
; %bb.985:
	s_cmp_gt_i32 s64, 14
	s_cbranch_scc0 .LBB332_988
; %bb.986:
	s_cmp_eq_u32 s64, 15
	s_cbranch_scc0 .LBB332_991
; %bb.987:
	global_load_ushort v4, v[2:3], off
	s_mov_b64 s[0:1], -1
	s_mov_b64 s[60:61], 0
	s_waitcnt vmcnt(0)
	v_lshlrev_b32_e32 v4, 16, v4
	v_cvt_u32_f32_e32 v4, v4
	s_branch .LBB332_992
.LBB332_988:
	s_mov_b64 s[62:63], -1
                                        ; implicit-def: $vgpr4
	s_branch .LBB332_993
.LBB332_989:
	s_andn2_saveexec_b64 s[0:1], s[0:1]
	s_cbranch_execz .LBB332_970
.LBB332_990:
	v_cmp_ne_u16_e32 vcc, 0, v5
	s_andn2_b64 s[62:63], s[62:63], exec
	s_and_b64 s[66:67], vcc, exec
	s_or_b64 s[62:63], s[62:63], s[66:67]
	s_or_b64 exec, exec, s[0:1]
	v_mov_b32_e32 v4, 0
	s_and_saveexec_b64 s[0:1], s[62:63]
	s_cbranch_execnz .LBB332_971
	s_branch .LBB332_972
.LBB332_991:
	s_mov_b64 s[60:61], -1
                                        ; implicit-def: $vgpr4
.LBB332_992:
	s_mov_b64 s[62:63], 0
.LBB332_993:
	s_and_b64 vcc, exec, s[62:63]
	s_cbranch_vccz .LBB332_997
; %bb.994:
	s_cmp_eq_u32 s64, 11
	s_cbranch_scc0 .LBB332_996
; %bb.995:
	global_load_ubyte v4, v[2:3], off
	s_mov_b64 s[0:1], -1
	s_mov_b64 s[60:61], 0
	s_waitcnt vmcnt(0)
	v_cmp_ne_u16_e32 vcc, 0, v4
	v_cndmask_b32_e64 v4, 0, 1, vcc
	s_branch .LBB332_997
.LBB332_996:
	s_mov_b64 s[60:61], -1
                                        ; implicit-def: $vgpr4
.LBB332_997:
	s_mov_b64 s[62:63], 0
.LBB332_998:
	s_and_b64 vcc, exec, s[62:63]
	s_cbranch_vccz .LBB332_1047
; %bb.999:
	s_and_b32 s14, 0xffff, s14
	s_cmp_lt_i32 s14, 5
	s_cbranch_scc1 .LBB332_1004
; %bb.1000:
	s_cmp_lt_i32 s14, 8
	s_cbranch_scc1 .LBB332_1005
; %bb.1001:
	s_cmp_lt_i32 s14, 9
	s_cbranch_scc1 .LBB332_1006
; %bb.1002:
	s_cmp_gt_i32 s14, 9
	s_cbranch_scc0 .LBB332_1007
; %bb.1003:
	global_load_dwordx2 v[4:5], v[2:3], off
	s_mov_b64 s[0:1], 0
	s_waitcnt vmcnt(0)
	v_cvt_u32_f64_e32 v4, v[4:5]
	s_branch .LBB332_1008
.LBB332_1004:
	s_mov_b64 s[0:1], -1
                                        ; implicit-def: $vgpr4
	s_branch .LBB332_1026
.LBB332_1005:
	s_mov_b64 s[0:1], -1
                                        ; implicit-def: $vgpr4
	s_branch .LBB332_1014
.LBB332_1006:
	s_mov_b64 s[0:1], -1
                                        ; implicit-def: $vgpr4
	s_branch .LBB332_1011
.LBB332_1007:
	s_mov_b64 s[0:1], -1
                                        ; implicit-def: $vgpr4
.LBB332_1008:
	s_andn2_b64 vcc, exec, s[0:1]
	s_cbranch_vccnz .LBB332_1010
; %bb.1009:
	global_load_dword v4, v[2:3], off
	s_waitcnt vmcnt(0)
	v_cvt_u32_f32_e32 v4, v4
.LBB332_1010:
	s_mov_b64 s[0:1], 0
.LBB332_1011:
	s_andn2_b64 vcc, exec, s[0:1]
	s_cbranch_vccnz .LBB332_1013
; %bb.1012:
	global_load_dword v4, v[2:3], off
	s_waitcnt vmcnt(0)
	v_cvt_u16_f16_e32 v4, v4
.LBB332_1013:
	s_mov_b64 s[0:1], 0
.LBB332_1014:
	s_andn2_b64 vcc, exec, s[0:1]
	s_cbranch_vccnz .LBB332_1025
; %bb.1015:
	s_cmp_lt_i32 s14, 6
	s_cbranch_scc1 .LBB332_1018
; %bb.1016:
	s_cmp_gt_i32 s14, 6
	s_cbranch_scc0 .LBB332_1019
; %bb.1017:
	global_load_dwordx2 v[4:5], v[2:3], off
	s_mov_b64 s[0:1], 0
	s_waitcnt vmcnt(0)
	v_cvt_u32_f64_e32 v4, v[4:5]
	s_branch .LBB332_1020
.LBB332_1018:
	s_mov_b64 s[0:1], -1
                                        ; implicit-def: $vgpr4
	s_branch .LBB332_1023
.LBB332_1019:
	s_mov_b64 s[0:1], -1
                                        ; implicit-def: $vgpr4
.LBB332_1020:
	s_andn2_b64 vcc, exec, s[0:1]
	s_cbranch_vccnz .LBB332_1022
; %bb.1021:
	global_load_dword v4, v[2:3], off
	s_waitcnt vmcnt(0)
	v_cvt_u32_f32_e32 v4, v4
.LBB332_1022:
	s_mov_b64 s[0:1], 0
.LBB332_1023:
	s_andn2_b64 vcc, exec, s[0:1]
	s_cbranch_vccnz .LBB332_1025
; %bb.1024:
	global_load_ushort v4, v[2:3], off
	s_waitcnt vmcnt(0)
	v_cvt_u16_f16_e32 v4, v4
.LBB332_1025:
	s_mov_b64 s[0:1], 0
.LBB332_1026:
	s_andn2_b64 vcc, exec, s[0:1]
	s_cbranch_vccnz .LBB332_1046
; %bb.1027:
	s_cmp_lt_i32 s14, 2
	s_cbranch_scc1 .LBB332_1031
; %bb.1028:
	s_cmp_lt_i32 s14, 3
	s_cbranch_scc1 .LBB332_1032
; %bb.1029:
	s_cmp_gt_i32 s14, 3
	s_cbranch_scc0 .LBB332_1033
; %bb.1030:
	global_load_dwordx2 v[4:5], v[2:3], off
	s_mov_b64 s[0:1], 0
	s_branch .LBB332_1034
.LBB332_1031:
	s_mov_b64 s[0:1], -1
                                        ; implicit-def: $vgpr4
	s_branch .LBB332_1040
.LBB332_1032:
	s_mov_b64 s[0:1], -1
                                        ; implicit-def: $vgpr4
	s_branch .LBB332_1037
.LBB332_1033:
	s_mov_b64 s[0:1], -1
                                        ; implicit-def: $vgpr4
.LBB332_1034:
	s_andn2_b64 vcc, exec, s[0:1]
	s_cbranch_vccnz .LBB332_1036
; %bb.1035:
	global_load_dword v4, v[2:3], off
.LBB332_1036:
	s_mov_b64 s[0:1], 0
.LBB332_1037:
	s_andn2_b64 vcc, exec, s[0:1]
	s_cbranch_vccnz .LBB332_1039
; %bb.1038:
	global_load_ushort v4, v[2:3], off
.LBB332_1039:
	s_mov_b64 s[0:1], 0
.LBB332_1040:
	s_andn2_b64 vcc, exec, s[0:1]
	s_cbranch_vccnz .LBB332_1046
; %bb.1041:
	s_cmp_gt_i32 s14, 0
	s_cbranch_scc0 .LBB332_1043
; %bb.1042:
	global_load_sbyte v4, v[2:3], off
	s_mov_b64 s[0:1], 0
	s_branch .LBB332_1044
.LBB332_1043:
	s_mov_b64 s[0:1], -1
                                        ; implicit-def: $vgpr4
.LBB332_1044:
	s_andn2_b64 vcc, exec, s[0:1]
	s_cbranch_vccnz .LBB332_1046
; %bb.1045:
	global_load_ubyte v4, v[2:3], off
.LBB332_1046:
	s_mov_b64 s[0:1], -1
.LBB332_1047:
	s_andn2_b64 vcc, exec, s[0:1]
	s_cbranch_vccnz .LBB332_1055
; %bb.1048:
	s_waitcnt vmcnt(0)
	v_cmp_ne_u16_e32 vcc, v1, v4
	s_xor_b64 s[62:63], s[28:29], vcc
	v_mov_b32_e32 v1, s9
	s_and_b32 s14, s15, 0xff
	v_add_co_u32_e32 v0, vcc, s8, v0
	s_cmp_lt_i32 s14, 11
	v_addc_co_u32_e32 v1, vcc, 0, v1, vcc
	s_cbranch_scc1 .LBB332_1056
; %bb.1049:
	s_and_b32 s71, 0xffff, s14
	s_cmp_gt_i32 s71, 25
	s_cbranch_scc0 .LBB332_1057
; %bb.1050:
	s_cmp_gt_i32 s71, 28
	s_cbranch_scc0 .LBB332_1058
; %bb.1051:
	;; [unrolled: 3-line block ×4, first 2 shown]
	s_mov_b64 s[66:67], 0
	s_mov_b64 s[0:1], -1
	s_cmp_eq_u32 s71, 46
	s_mov_b64 s[64:65], 0
	s_cbranch_scc0 .LBB332_1061
; %bb.1054:
	v_cndmask_b32_e64 v2, 0, 1.0, s[62:63]
	v_bfe_u32 v3, v2, 16, 1
	s_movk_i32 s0, 0x7fff
	v_add3_u32 v2, v2, v3, s0
	v_lshrrev_b32_e32 v2, 16, v2
	global_store_dword v[0:1], v2, off
	s_mov_b64 s[64:65], -1
	s_mov_b64 s[0:1], 0
	s_branch .LBB332_1061
.LBB332_1055:
	s_mov_b64 s[64:65], 0
                                        ; implicit-def: $vgpr10
	s_mov_b64 s[0:1], s[52:53]
	s_branch .LBB332_1171
.LBB332_1056:
	s_mov_b64 s[66:67], -1
	s_mov_b64 s[64:65], 0
	s_mov_b64 s[0:1], s[52:53]
	s_branch .LBB332_1130
.LBB332_1057:
	s_mov_b64 s[66:67], -1
	s_mov_b64 s[64:65], 0
	s_mov_b64 s[0:1], s[52:53]
	s_branch .LBB332_1088
.LBB332_1058:
	s_mov_b64 s[66:67], -1
	s_mov_b64 s[64:65], 0
	s_mov_b64 s[0:1], s[52:53]
	s_branch .LBB332_1071
.LBB332_1059:
	s_mov_b64 s[66:67], -1
	s_mov_b64 s[64:65], 0
	s_mov_b64 s[0:1], s[52:53]
	s_branch .LBB332_1067
.LBB332_1060:
	s_mov_b64 s[66:67], -1
	s_mov_b64 s[64:65], 0
	s_mov_b64 s[0:1], s[52:53]
.LBB332_1061:
	s_and_b64 vcc, exec, s[66:67]
	s_cbranch_vccz .LBB332_1066
; %bb.1062:
	s_cmp_eq_u32 s71, 44
	s_mov_b64 s[0:1], -1
	s_cbranch_scc0 .LBB332_1066
; %bb.1063:
	v_cndmask_b32_e64 v3, 0, 1.0, s[62:63]
	v_lshrrev_b32_e32 v2, 23, v3
	s_movk_i32 s0, 0xff
	v_cmp_ne_u32_e32 vcc, s0, v2
	v_mov_b32_e32 v4, 0xff
	s_and_saveexec_b64 s[64:65], vcc
; %bb.1064:
	s_mov_b32 s0, 0x3fffff
	v_and_b32_e32 v4, 0x400000, v3
	v_and_or_b32 v3, v3, s0, v2
	v_cmp_ne_u32_e32 vcc, 0, v4
	v_cmp_ne_u32_e64 s[0:1], 0, v3
	s_and_b64 s[0:1], vcc, s[0:1]
	v_cndmask_b32_e64 v3, 0, 1, s[0:1]
	v_add_u32_e32 v4, v2, v3
; %bb.1065:
	s_or_b64 exec, exec, s[64:65]
	s_mov_b64 s[64:65], -1
	s_mov_b64 s[0:1], 0
	global_store_byte v[0:1], v4, off
.LBB332_1066:
	s_mov_b64 s[66:67], 0
.LBB332_1067:
	s_and_b64 vcc, exec, s[66:67]
	s_cbranch_vccz .LBB332_1070
; %bb.1068:
	s_cmp_eq_u32 s71, 29
	s_mov_b64 s[0:1], -1
	s_cbranch_scc0 .LBB332_1070
; %bb.1069:
	s_mov_b32 s0, 0
	v_cndmask_b32_e64 v2, 0, 1, s[62:63]
	v_mov_b32_e32 v3, s0
	global_store_dwordx2 v[0:1], v[2:3], off
	s_mov_b64 s[64:65], -1
	s_mov_b64 s[0:1], 0
.LBB332_1070:
	s_mov_b64 s[66:67], 0
.LBB332_1071:
	s_and_b64 vcc, exec, s[66:67]
	s_cbranch_vccz .LBB332_1087
; %bb.1072:
	s_cmp_lt_i32 s71, 27
	s_mov_b64 s[64:65], -1
	s_cbranch_scc1 .LBB332_1078
; %bb.1073:
	s_cmp_gt_i32 s71, 27
	s_cbranch_scc0 .LBB332_1075
; %bb.1074:
	v_cndmask_b32_e64 v2, 0, 1, s[62:63]
	s_mov_b64 s[64:65], 0
	global_store_dword v[0:1], v2, off
.LBB332_1075:
	s_andn2_b64 vcc, exec, s[64:65]
	s_cbranch_vccnz .LBB332_1077
; %bb.1076:
	v_cndmask_b32_e64 v2, 0, 1, s[62:63]
	global_store_short v[0:1], v2, off
.LBB332_1077:
	s_mov_b64 s[64:65], 0
.LBB332_1078:
	s_andn2_b64 vcc, exec, s[64:65]
	s_cbranch_vccnz .LBB332_1086
; %bb.1079:
	v_cndmask_b32_e64 v3, 0, 1.0, s[62:63]
	s_mov_b32 s64, 0x43800000
	v_cmp_gt_u32_e32 vcc, s64, v3
	v_mov_b32_e32 v4, 0x80
	s_and_saveexec_b64 s[64:65], vcc
	s_cbranch_execz .LBB332_1085
; %bb.1080:
	s_mov_b32 s66, 0x3bffffff
	v_cmp_lt_u32_e32 vcc, s66, v3
	s_mov_b64 s[66:67], 0
                                        ; implicit-def: $vgpr2
	s_and_saveexec_b64 s[68:69], vcc
	s_xor_b64 s[68:69], exec, s[68:69]
	s_cbranch_execz .LBB332_1199
; %bb.1081:
	v_bfe_u32 v2, v3, 20, 1
	s_mov_b32 s76, 0x487ffff
	v_add3_u32 v2, v3, v2, s76
	s_mov_b64 s[66:67], exec
	v_lshrrev_b32_e32 v2, 20, v2
                                        ; implicit-def: $vgpr3
	s_andn2_saveexec_b64 s[68:69], s[68:69]
	s_cbranch_execnz .LBB332_1200
.LBB332_1082:
	s_or_b64 exec, exec, s[68:69]
	v_mov_b32_e32 v4, 0
	s_and_saveexec_b64 s[68:69], s[66:67]
.LBB332_1083:
	v_mov_b32_e32 v4, v2
.LBB332_1084:
	s_or_b64 exec, exec, s[68:69]
.LBB332_1085:
	s_or_b64 exec, exec, s[64:65]
	global_store_byte v[0:1], v4, off
.LBB332_1086:
	s_mov_b64 s[64:65], -1
.LBB332_1087:
	s_mov_b64 s[66:67], 0
.LBB332_1088:
	s_and_b64 vcc, exec, s[66:67]
	s_cbranch_vccz .LBB332_1129
; %bb.1089:
	s_cmp_gt_i32 s71, 22
	s_mov_b64 s[66:67], -1
	s_cbranch_scc0 .LBB332_1121
; %bb.1090:
	s_cmp_lt_i32 s71, 24
	s_mov_b64 s[64:65], -1
	s_cbranch_scc1 .LBB332_1110
; %bb.1091:
	s_cmp_gt_i32 s71, 24
	s_cbranch_scc0 .LBB332_1099
; %bb.1092:
	v_cndmask_b32_e64 v3, 0, 1.0, s[62:63]
	s_mov_b32 s64, 0x47800000
	v_cmp_gt_u32_e32 vcc, s64, v3
	v_mov_b32_e32 v4, 0x80
	s_and_saveexec_b64 s[64:65], vcc
	s_cbranch_execz .LBB332_1098
; %bb.1093:
	s_mov_b32 s66, 0x37ffffff
	v_cmp_lt_u32_e32 vcc, s66, v3
	s_mov_b64 s[66:67], 0
                                        ; implicit-def: $vgpr2
	s_and_saveexec_b64 s[68:69], vcc
	s_xor_b64 s[68:69], exec, s[68:69]
	s_cbranch_execz .LBB332_2236
; %bb.1094:
	v_bfe_u32 v2, v3, 21, 1
	s_mov_b32 s76, 0x88fffff
	v_add3_u32 v2, v3, v2, s76
	s_mov_b64 s[66:67], exec
	v_lshrrev_b32_e32 v2, 21, v2
                                        ; implicit-def: $vgpr3
	s_andn2_saveexec_b64 s[68:69], s[68:69]
	s_cbranch_execnz .LBB332_2237
.LBB332_1095:
	s_or_b64 exec, exec, s[68:69]
	v_mov_b32_e32 v4, 0
	s_and_saveexec_b64 s[68:69], s[66:67]
.LBB332_1096:
	v_mov_b32_e32 v4, v2
.LBB332_1097:
	s_or_b64 exec, exec, s[68:69]
.LBB332_1098:
	s_or_b64 exec, exec, s[64:65]
	s_mov_b64 s[64:65], 0
	global_store_byte v[0:1], v4, off
.LBB332_1099:
	s_and_b64 vcc, exec, s[64:65]
	s_cbranch_vccz .LBB332_1109
; %bb.1100:
	v_cndmask_b32_e64 v2, 0, 1.0, s[62:63]
	s_mov_b32 s64, 0x43f00000
	v_cmp_gt_u32_e32 vcc, s64, v2
                                        ; implicit-def: $vgpr3
	s_and_saveexec_b64 s[64:65], vcc
	s_xor_b64 s[64:65], exec, s[64:65]
	s_cbranch_execz .LBB332_1106
; %bb.1101:
	s_mov_b32 s66, 0x3c7fffff
	v_cmp_lt_u32_e32 vcc, s66, v2
                                        ; implicit-def: $vgpr3
	s_and_saveexec_b64 s[66:67], vcc
	s_xor_b64 s[66:67], exec, s[66:67]
; %bb.1102:
	v_bfe_u32 v3, v2, 20, 1
	s_mov_b32 s68, 0x407ffff
	v_add3_u32 v2, v2, v3, s68
	v_lshrrev_b32_e32 v3, 20, v2
	v_and_b32_e32 v2, 0xff00000, v2
	s_mov_b32 s68, 0x7f00000
	v_mov_b32_e32 v4, 0x7e
	v_cmp_ne_u32_e32 vcc, s68, v2
	v_cndmask_b32_e32 v3, v4, v3, vcc
                                        ; implicit-def: $vgpr2
; %bb.1103:
	s_andn2_saveexec_b64 s[66:67], s[66:67]
; %bb.1104:
	v_add_f32_e32 v3, 0x46800000, v2
; %bb.1105:
	s_or_b64 exec, exec, s[66:67]
                                        ; implicit-def: $vgpr2
.LBB332_1106:
	s_andn2_saveexec_b64 s[64:65], s[64:65]
; %bb.1107:
	s_mov_b32 s66, 0x7f800000
	v_mov_b32_e32 v3, 0x7e
	v_mov_b32_e32 v4, 0x7f
	v_cmp_lt_u32_e32 vcc, s66, v2
	v_cndmask_b32_e32 v3, v3, v4, vcc
; %bb.1108:
	s_or_b64 exec, exec, s[64:65]
	global_store_byte v[0:1], v3, off
.LBB332_1109:
	s_mov_b64 s[64:65], 0
.LBB332_1110:
	s_andn2_b64 vcc, exec, s[64:65]
	s_cbranch_vccnz .LBB332_1120
; %bb.1111:
	v_cndmask_b32_e64 v2, 0, 1.0, s[62:63]
	s_mov_b32 s64, 0x47800000
	v_cmp_gt_u32_e32 vcc, s64, v2
                                        ; implicit-def: $vgpr3
	s_and_saveexec_b64 s[64:65], vcc
	s_xor_b64 s[64:65], exec, s[64:65]
	s_cbranch_execz .LBB332_1117
; %bb.1112:
	s_mov_b32 s66, 0x387fffff
	v_cmp_lt_u32_e32 vcc, s66, v2
                                        ; implicit-def: $vgpr3
	s_and_saveexec_b64 s[66:67], vcc
	s_xor_b64 s[66:67], exec, s[66:67]
; %bb.1113:
	v_bfe_u32 v3, v2, 21, 1
	s_mov_b32 s68, 0x80fffff
	v_add3_u32 v2, v2, v3, s68
	v_lshrrev_b32_e32 v3, 21, v2
                                        ; implicit-def: $vgpr2
; %bb.1114:
	s_andn2_saveexec_b64 s[66:67], s[66:67]
; %bb.1115:
	v_add_f32_e32 v3, 0x43000000, v2
; %bb.1116:
	s_or_b64 exec, exec, s[66:67]
                                        ; implicit-def: $vgpr2
.LBB332_1117:
	s_andn2_saveexec_b64 s[64:65], s[64:65]
; %bb.1118:
	s_mov_b32 s66, 0x7f800000
	v_mov_b32_e32 v3, 0x7c
	v_mov_b32_e32 v4, 0x7f
	v_cmp_lt_u32_e32 vcc, s66, v2
	v_cndmask_b32_e32 v3, v3, v4, vcc
; %bb.1119:
	s_or_b64 exec, exec, s[64:65]
	global_store_byte v[0:1], v3, off
.LBB332_1120:
	s_mov_b64 s[66:67], 0
	s_mov_b64 s[64:65], -1
.LBB332_1121:
	s_andn2_b64 vcc, exec, s[66:67]
	s_cbranch_vccnz .LBB332_1129
; %bb.1122:
	s_cmp_gt_i32 s71, 14
	s_mov_b64 s[66:67], -1
	s_cbranch_scc0 .LBB332_1126
; %bb.1123:
	s_cmp_eq_u32 s71, 15
	s_mov_b64 s[0:1], -1
	s_cbranch_scc0 .LBB332_1125
; %bb.1124:
	v_cndmask_b32_e64 v2, 0, 1.0, s[62:63]
	v_bfe_u32 v3, v2, 16, 1
	s_movk_i32 s0, 0x7fff
	v_add3_u32 v2, v2, v3, s0
	global_store_short_d16_hi v[0:1], v2, off
	s_mov_b64 s[64:65], -1
	s_mov_b64 s[0:1], 0
.LBB332_1125:
	s_mov_b64 s[66:67], 0
.LBB332_1126:
	s_and_b64 vcc, exec, s[66:67]
	s_cbranch_vccz .LBB332_1129
; %bb.1127:
	s_cmp_eq_u32 s71, 11
	s_mov_b64 s[0:1], -1
	s_cbranch_scc0 .LBB332_1129
; %bb.1128:
	v_cndmask_b32_e64 v2, 0, 1, s[62:63]
	s_mov_b64 s[64:65], -1
	s_mov_b64 s[0:1], 0
	global_store_byte v[0:1], v2, off
.LBB332_1129:
	s_mov_b64 s[66:67], 0
.LBB332_1130:
	s_and_b64 vcc, exec, s[66:67]
	s_cbranch_vccz .LBB332_1169
; %bb.1131:
	s_and_b32 s14, 0xffff, s14
	s_cmp_lt_i32 s14, 5
	s_mov_b64 s[64:65], -1
	s_cbranch_scc1 .LBB332_1152
; %bb.1132:
	s_cmp_lt_i32 s14, 8
	s_cbranch_scc1 .LBB332_1142
; %bb.1133:
	s_cmp_lt_i32 s14, 9
	s_cbranch_scc1 .LBB332_1139
; %bb.1134:
	s_cmp_gt_i32 s14, 9
	s_cbranch_scc0 .LBB332_1136
; %bb.1135:
	v_cndmask_b32_e64 v2, 0, 1, s[62:63]
	v_cvt_f64_u32_e32 v[2:3], v2
	v_mov_b32_e32 v4, 0
	v_mov_b32_e32 v5, v4
	s_mov_b64 s[64:65], 0
	global_store_dwordx4 v[0:1], v[2:5], off
.LBB332_1136:
	s_andn2_b64 vcc, exec, s[64:65]
	s_cbranch_vccnz .LBB332_1138
; %bb.1137:
	v_cndmask_b32_e64 v2, 0, 1.0, s[62:63]
	v_mov_b32_e32 v3, 0
	global_store_dwordx2 v[0:1], v[2:3], off
.LBB332_1138:
	s_mov_b64 s[64:65], 0
.LBB332_1139:
	s_andn2_b64 vcc, exec, s[64:65]
	s_cbranch_vccnz .LBB332_1141
; %bb.1140:
	v_cndmask_b32_e64 v2, 0, 1.0, s[62:63]
	v_cvt_f16_f32_e32 v2, v2
	global_store_dword v[0:1], v2, off
.LBB332_1141:
	s_mov_b64 s[64:65], 0
.LBB332_1142:
	s_andn2_b64 vcc, exec, s[64:65]
	s_cbranch_vccnz .LBB332_1151
; %bb.1143:
	s_cmp_lt_i32 s14, 6
	s_mov_b64 s[64:65], -1
	s_cbranch_scc1 .LBB332_1149
; %bb.1144:
	s_cmp_gt_i32 s14, 6
	s_cbranch_scc0 .LBB332_1146
; %bb.1145:
	v_cndmask_b32_e64 v2, 0, 1, s[62:63]
	v_cvt_f64_u32_e32 v[2:3], v2
	s_mov_b64 s[64:65], 0
	global_store_dwordx2 v[0:1], v[2:3], off
.LBB332_1146:
	s_andn2_b64 vcc, exec, s[64:65]
	s_cbranch_vccnz .LBB332_1148
; %bb.1147:
	v_cndmask_b32_e64 v2, 0, 1.0, s[62:63]
	global_store_dword v[0:1], v2, off
.LBB332_1148:
	s_mov_b64 s[64:65], 0
.LBB332_1149:
	s_andn2_b64 vcc, exec, s[64:65]
	s_cbranch_vccnz .LBB332_1151
; %bb.1150:
	v_cndmask_b32_e64 v2, 0, 1.0, s[62:63]
	v_cvt_f16_f32_e32 v2, v2
	global_store_short v[0:1], v2, off
.LBB332_1151:
	s_mov_b64 s[64:65], 0
.LBB332_1152:
	s_andn2_b64 vcc, exec, s[64:65]
	s_cbranch_vccnz .LBB332_1168
; %bb.1153:
	s_cmp_lt_i32 s14, 2
	s_mov_b64 s[64:65], -1
	s_cbranch_scc1 .LBB332_1163
; %bb.1154:
	s_cmp_lt_i32 s14, 3
	s_cbranch_scc1 .LBB332_1160
; %bb.1155:
	s_cmp_gt_i32 s14, 3
	s_cbranch_scc0 .LBB332_1157
; %bb.1156:
	s_mov_b32 s64, 0
	v_cndmask_b32_e64 v2, 0, 1, s[62:63]
	v_mov_b32_e32 v3, s64
	s_mov_b64 s[64:65], 0
	global_store_dwordx2 v[0:1], v[2:3], off
.LBB332_1157:
	s_andn2_b64 vcc, exec, s[64:65]
	s_cbranch_vccnz .LBB332_1159
; %bb.1158:
	v_cndmask_b32_e64 v2, 0, 1, s[62:63]
	global_store_dword v[0:1], v2, off
.LBB332_1159:
	s_mov_b64 s[64:65], 0
.LBB332_1160:
	s_andn2_b64 vcc, exec, s[64:65]
	s_cbranch_vccnz .LBB332_1162
; %bb.1161:
	v_cndmask_b32_e64 v2, 0, 1, s[62:63]
	global_store_short v[0:1], v2, off
.LBB332_1162:
	s_mov_b64 s[64:65], 0
.LBB332_1163:
	s_andn2_b64 vcc, exec, s[64:65]
	s_cbranch_vccnz .LBB332_1168
; %bb.1164:
	s_mov_b64 s[64:65], -1
	s_cmp_gt_i32 s14, 0
	v_cndmask_b32_e64 v2, 0, 1, s[62:63]
	s_cbranch_scc0 .LBB332_1166
; %bb.1165:
	s_mov_b64 s[64:65], 0
	global_store_byte v[0:1], v2, off
.LBB332_1166:
	s_andn2_b64 vcc, exec, s[64:65]
	s_cbranch_vccnz .LBB332_1168
; %bb.1167:
	global_store_byte v[0:1], v2, off
.LBB332_1168:
	s_mov_b64 s[64:65], -1
.LBB332_1169:
	s_andn2_b64 vcc, exec, s[64:65]
	s_cbranch_vccnz .LBB332_1181
; %bb.1170:
	v_add_u32_e32 v10, 0x80, v10
	s_mov_b64 s[64:65], -1
.LBB332_1171:
	s_andn2_b64 s[62:63], s[52:53], exec
	s_and_b64 s[0:1], s[0:1], exec
	s_or_b64 s[62:63], s[62:63], s[0:1]
	s_andn2_b64 s[0:1], s[50:51], exec
	s_and_b64 s[60:61], s[60:61], exec
	s_or_b64 s[60:61], s[0:1], s[60:61]
	;; [unrolled: 3-line block ×3, first 2 shown]
	s_orn2_b64 s[68:69], s[64:65], exec
.LBB332_1172:
	s_or_b64 exec, exec, s[56:57]
	s_mov_b64 s[64:65], 0
	s_mov_b64 s[58:59], 0
	;; [unrolled: 1-line block ×3, first 2 shown]
                                        ; implicit-def: $sgpr14
                                        ; implicit-def: $vgpr4_vgpr5
                                        ; implicit-def: $vgpr0
                                        ; implicit-def: $vgpr3
                                        ; implicit-def: $vgpr1
	s_and_saveexec_b64 s[56:57], s[68:69]
	s_cbranch_execz .LBB332_1263
; %bb.1173:
	v_cmp_gt_i32_e32 vcc, s70, v10
	s_mov_b64 s[68:69], s[0:1]
	s_mov_b64 s[70:71], 0
                                        ; implicit-def: $sgpr14
                                        ; implicit-def: $vgpr4_vgpr5
                                        ; implicit-def: $vgpr0
                                        ; implicit-def: $vgpr3
                                        ; implicit-def: $vgpr1
	s_and_saveexec_b64 s[58:59], vcc
	s_cbranch_execz .LBB332_1262
; %bb.1174:
	s_andn2_b64 vcc, exec, s[24:25]
	s_cbranch_vccnz .LBB332_1180
; %bb.1175:
	s_andn2_b64 vcc, exec, s[38:39]
	s_cbranch_vccnz .LBB332_1182
; %bb.1176:
	s_add_i32 s14, s75, 1
	s_and_b32 s14, s14, 30
	s_add_u32 s38, s2, 0xffffffe8
	s_addc_u32 s39, s3, -1
	v_mov_b32_e32 v3, 0
	s_waitcnt vmcnt(0)
	v_mov_b32_e32 v5, 0
	v_mov_b32_e32 v0, 0
	;; [unrolled: 1-line block ×3, first 2 shown]
.LBB332_1177:                           ; =>This Inner Loop Header: Depth=1
	s_load_dwordx4 s[64:67], s[38:39], 0x1c
	s_load_dwordx2 s[76:77], s[38:39], 0x2c
	s_load_dwordx2 s[78:79], s[38:39], 0xec
	s_load_dwordx4 s[68:71], s[38:39], 0xdc
	s_add_u32 s38, s38, 24
	s_waitcnt lgkmcnt(0)
	v_mul_hi_u32 v2, s65, v1
	s_addc_u32 s39, s39, 0
	s_add_i32 s14, s14, -2
	s_cmp_eq_u32 s14, 0
	v_add_u32_e32 v2, v1, v2
	v_lshrrev_b32_e32 v2, s66, v2
	v_mul_lo_u32 v4, v2, s64
	v_mul_hi_u32 v6, s76, v2
	v_sub_u32_e32 v4, v1, v4
	v_add_u32_e32 v1, v2, v6
	v_lshrrev_b32_e32 v1, s77, v1
	v_mul_lo_u32 v8, v1, s67
	v_mul_lo_u32 v6, v4, s68
	;; [unrolled: 1-line block ×4, first 2 shown]
	v_sub_u32_e32 v2, v2, v8
	v_mul_lo_u32 v8, v2, s71
	v_mul_lo_u32 v9, v2, s78
	;; [unrolled: 1-line block ×3, first 2 shown]
	v_add3_u32 v0, v6, v0, v8
	v_add3_u32 v5, v7, v5, v9
	;; [unrolled: 1-line block ×3, first 2 shown]
	s_cbranch_scc0 .LBB332_1177
; %bb.1178:
	s_bitcmp1_b32 s75, 0
	s_cselect_b64 s[64:65], -1, 0
	s_and_b64 vcc, exec, s[64:65]
	s_cbranch_vccnz .LBB332_1183
; %bb.1179:
	s_load_dwordx2 s[64:65], s[38:39], 0x1c
	s_load_dword s14, s[38:39], 0x24
	s_load_dwordx2 s[66:67], s[38:39], 0xdc
	s_waitcnt lgkmcnt(0)
	v_mul_hi_u32 v2, s65, v1
	v_add_u32_e32 v2, v1, v2
	v_lshrrev_b32_e32 v2, s14, v2
	v_mul_lo_u32 v2, v2, s64
	s_load_dword s14, s[38:39], 0xe4
	v_sub_u32_e32 v2, v1, v2
	v_mad_u64_u32 v[0:1], s[38:39], v2, s66, v[0:1]
	v_mad_u64_u32 v[5:6], s[38:39], v2, s67, v[5:6]
	s_waitcnt lgkmcnt(0)
	v_mad_u64_u32 v[3:4], s[38:39], v2, s14, v[3:4]
	s_branch .LBB332_1183
.LBB332_1180:
	s_mov_b64 s[38:39], -1
                                        ; implicit-def: $vgpr0
                                        ; implicit-def: $vgpr5
                                        ; implicit-def: $vgpr3
	s_branch .LBB332_1184
.LBB332_1181:
	s_mov_b64 s[64:65], 0
	s_branch .LBB332_928
.LBB332_1182:
	v_mov_b32_e32 v0, 0
	s_waitcnt vmcnt(0)
	v_mov_b32_e32 v5, 0
	v_mov_b32_e32 v3, 0
.LBB332_1183:
	s_mov_b64 s[38:39], 0
.LBB332_1184:
	s_andn2_b64 vcc, exec, s[38:39]
	s_cbranch_vccnz .LBB332_1187
; %bb.1185:
	v_mul_hi_u32 v0, s17, v10
	s_andn2_b64 vcc, exec, s[36:37]
	v_add_u32_e32 v0, v10, v0
	s_waitcnt vmcnt(0)
	v_lshrrev_b32_e32 v1, s18, v0
	v_mul_lo_u32 v0, v1, s16
	v_sub_u32_e32 v2, v10, v0
	v_mul_lo_u32 v0, v2, s20
	v_mul_lo_u32 v5, v2, s21
	;; [unrolled: 1-line block ×3, first 2 shown]
	s_cbranch_vccnz .LBB332_1187
; %bb.1186:
	v_mul_hi_u32 v2, s34, v1
	v_add_u32_e32 v2, v1, v2
	v_lshrrev_b32_e32 v2, s35, v2
	v_mul_lo_u32 v2, v2, s19
	v_sub_u32_e32 v2, v1, v2
	v_mad_u64_u32 v[0:1], s[16:17], v2, s23, v[0:1]
	v_mad_u64_u32 v[5:6], s[16:17], v2, s30, v[5:6]
	;; [unrolled: 1-line block ×3, first 2 shown]
.LBB332_1187:
	s_waitcnt vmcnt(0)
	v_mov_b32_e32 v1, s11
	s_and_b32 s14, s74, 0xff
	v_add_co_u32_e32 v4, vcc, s10, v5
	s_cmp_lt_i32 s14, 11
	v_addc_co_u32_e32 v5, vcc, 0, v1, vcc
	s_cbranch_scc1 .LBB332_1194
; %bb.1188:
	s_and_b32 s22, 0xffff, s14
	s_cmp_gt_i32 s22, 25
	s_mov_b64 s[16:17], 0
	s_cbranch_scc0 .LBB332_1195
; %bb.1189:
	s_cmp_gt_i32 s22, 28
	s_cbranch_scc0 .LBB332_1196
; %bb.1190:
	s_cmp_gt_i32 s22, 43
	;; [unrolled: 3-line block ×3, first 2 shown]
	s_cbranch_scc0 .LBB332_1198
; %bb.1192:
	s_cmp_eq_u32 s22, 46
	s_mov_b64 s[20:21], 0
	s_cbranch_scc0 .LBB332_1201
; %bb.1193:
	global_load_dword v1, v[4:5], off
	s_mov_b64 s[10:11], 0
	s_mov_b64 s[18:19], -1
	s_waitcnt vmcnt(0)
	v_lshlrev_b32_e32 v1, 16, v1
	v_cvt_u32_f32_e32 v1, v1
	s_branch .LBB332_1202
.LBB332_1194:
	s_mov_b64 s[20:21], -1
	s_mov_b64 s[18:19], 0
	s_mov_b64 s[16:17], 0
	;; [unrolled: 1-line block ×3, first 2 shown]
                                        ; implicit-def: $vgpr1
	s_branch .LBB332_1261
.LBB332_1195:
	s_mov_b64 s[20:21], -1
	s_mov_b64 s[18:19], 0
	s_mov_b64 s[10:11], s[0:1]
                                        ; implicit-def: $vgpr1
	s_branch .LBB332_1229
.LBB332_1196:
	s_mov_b64 s[20:21], -1
	s_mov_b64 s[18:19], 0
	s_mov_b64 s[10:11], s[0:1]
                                        ; implicit-def: $vgpr1
	s_branch .LBB332_1212
.LBB332_1197:
	s_mov_b64 s[20:21], -1
	s_mov_b64 s[18:19], 0
	s_mov_b64 s[10:11], s[0:1]
                                        ; implicit-def: $vgpr1
	s_branch .LBB332_1207
.LBB332_1198:
	s_mov_b64 s[20:21], -1
	s_mov_b64 s[18:19], 0
	s_mov_b64 s[10:11], s[0:1]
                                        ; implicit-def: $vgpr1
	s_branch .LBB332_1202
.LBB332_1199:
	s_andn2_saveexec_b64 s[68:69], s[68:69]
	s_cbranch_execz .LBB332_1082
.LBB332_1200:
	v_add_f32_e32 v2, 0x46000000, v3
	v_and_b32_e32 v2, 0xff, v2
	v_cmp_ne_u32_e32 vcc, 0, v2
	s_andn2_b64 s[66:67], s[66:67], exec
	s_and_b64 s[76:77], vcc, exec
	s_or_b64 s[66:67], s[66:67], s[76:77]
	s_or_b64 exec, exec, s[68:69]
	v_mov_b32_e32 v4, 0
	s_and_saveexec_b64 s[68:69], s[66:67]
	s_cbranch_execnz .LBB332_1083
	s_branch .LBB332_1084
.LBB332_1201:
	s_mov_b64 s[10:11], -1
                                        ; implicit-def: $vgpr1
	s_mov_b64 s[18:19], 0
.LBB332_1202:
	s_and_b64 vcc, exec, s[20:21]
	s_cbranch_vccz .LBB332_1206
; %bb.1203:
	s_cmp_eq_u32 s22, 44
	s_cbranch_scc0 .LBB332_1205
; %bb.1204:
	global_load_ubyte v1, v[4:5], off
	s_mov_b64 s[10:11], 0
	s_mov_b64 s[18:19], -1
	s_waitcnt vmcnt(0)
	v_lshlrev_b32_e32 v2, 23, v1
	v_cvt_u32_f32_e32 v2, v2
	v_cmp_ne_u32_e32 vcc, 0, v1
	v_cndmask_b32_e32 v1, 0, v2, vcc
	s_branch .LBB332_1206
.LBB332_1205:
	s_mov_b64 s[10:11], -1
                                        ; implicit-def: $vgpr1
.LBB332_1206:
	s_mov_b64 s[20:21], 0
.LBB332_1207:
	s_and_b64 vcc, exec, s[20:21]
	s_cbranch_vccz .LBB332_1211
; %bb.1208:
	s_cmp_eq_u32 s22, 29
	s_cbranch_scc0 .LBB332_1210
; %bb.1209:
	global_load_dwordx2 v[1:2], v[4:5], off
	s_mov_b64 s[10:11], 0
	s_mov_b64 s[18:19], -1
	s_branch .LBB332_1211
.LBB332_1210:
	s_mov_b64 s[10:11], -1
                                        ; implicit-def: $vgpr1
.LBB332_1211:
	s_mov_b64 s[20:21], 0
.LBB332_1212:
	s_and_b64 vcc, exec, s[20:21]
	s_cbranch_vccz .LBB332_1228
; %bb.1213:
	s_cmp_lt_i32 s22, 27
	s_cbranch_scc1 .LBB332_1216
; %bb.1214:
	s_cmp_gt_i32 s22, 27
	s_cbranch_scc0 .LBB332_1217
; %bb.1215:
	global_load_dword v1, v[4:5], off
	s_mov_b64 s[18:19], 0
	s_branch .LBB332_1218
.LBB332_1216:
	s_mov_b64 s[18:19], -1
                                        ; implicit-def: $vgpr1
	s_branch .LBB332_1221
.LBB332_1217:
	s_mov_b64 s[18:19], -1
                                        ; implicit-def: $vgpr1
.LBB332_1218:
	s_andn2_b64 vcc, exec, s[18:19]
	s_cbranch_vccnz .LBB332_1220
; %bb.1219:
	global_load_ushort v1, v[4:5], off
.LBB332_1220:
	s_mov_b64 s[18:19], 0
.LBB332_1221:
	s_andn2_b64 vcc, exec, s[18:19]
	s_cbranch_vccnz .LBB332_1227
; %bb.1222:
	global_load_ubyte v2, v[4:5], off
	s_movk_i32 s18, 0x7f
	s_mov_b64 s[20:21], 0
	s_waitcnt vmcnt(0)
	v_cmp_lt_i16_e32 vcc, s18, v2
	s_and_saveexec_b64 s[18:19], vcc
	s_xor_b64 s[18:19], exec, s[18:19]
	s_cbranch_execz .LBB332_1239
; %bb.1223:
	s_movk_i32 s20, 0x80
	v_cmp_ne_u16_e32 vcc, s20, v2
	s_and_b64 s[20:21], vcc, exec
	s_andn2_saveexec_b64 s[18:19], s[18:19]
	s_cbranch_execnz .LBB332_1240
.LBB332_1224:
	s_or_b64 exec, exec, s[18:19]
	v_mov_b32_e32 v1, 0
	s_and_saveexec_b64 s[18:19], s[20:21]
	s_cbranch_execz .LBB332_1226
.LBB332_1225:
	v_lshlrev_b32_e32 v1, 24, v2
	v_and_b32_e32 v2, 0xffff, v2
	v_and_b32_e32 v6, 7, v2
	v_ffbh_u32_e32 v8, v6
	v_min_u32_e32 v8, 32, v8
	v_subrev_u32_e32 v9, 28, v8
	v_bfe_u32 v7, v2, 3, 4
	v_lshlrev_b32_e32 v2, v9, v2
	v_sub_u32_e32 v8, 29, v8
	v_and_b32_e32 v2, 7, v2
	v_cmp_eq_u32_e32 vcc, 0, v7
	v_cndmask_b32_e32 v7, v7, v8, vcc
	v_cndmask_b32_e32 v2, v6, v2, vcc
	v_mov_b32_e32 v6, 0x3b800000
	v_lshlrev_b32_e32 v2, 20, v2
	v_and_b32_e32 v1, 0x80000000, v1
	v_lshl_add_u32 v6, v7, 23, v6
	v_or3_b32 v1, v1, v6, v2
	v_cvt_u32_f32_e32 v1, v1
.LBB332_1226:
	s_or_b64 exec, exec, s[18:19]
.LBB332_1227:
	s_mov_b64 s[18:19], -1
.LBB332_1228:
	s_mov_b64 s[20:21], 0
.LBB332_1229:
	s_and_b64 vcc, exec, s[20:21]
	s_cbranch_vccz .LBB332_1260
; %bb.1230:
	s_cmp_gt_i32 s22, 22
	s_cbranch_scc0 .LBB332_1238
; %bb.1231:
	s_cmp_lt_i32 s22, 24
	s_cbranch_scc1 .LBB332_1241
; %bb.1232:
	s_cmp_gt_i32 s22, 24
	s_cbranch_scc0 .LBB332_1242
; %bb.1233:
	global_load_ubyte v2, v[4:5], off
	s_movk_i32 s16, 0x7f
	s_mov_b64 s[18:19], 0
	s_waitcnt vmcnt(0)
	v_cmp_lt_i16_e32 vcc, s16, v2
	s_and_saveexec_b64 s[16:17], vcc
	s_xor_b64 s[16:17], exec, s[16:17]
	s_cbranch_execz .LBB332_1254
; %bb.1234:
	s_movk_i32 s18, 0x80
	v_cmp_ne_u16_e32 vcc, s18, v2
	s_and_b64 s[18:19], vcc, exec
	s_andn2_saveexec_b64 s[16:17], s[16:17]
	s_cbranch_execnz .LBB332_1255
.LBB332_1235:
	s_or_b64 exec, exec, s[16:17]
	v_mov_b32_e32 v1, 0
	s_and_saveexec_b64 s[16:17], s[18:19]
	s_cbranch_execz .LBB332_1237
.LBB332_1236:
	v_lshlrev_b32_e32 v1, 24, v2
	v_and_b32_e32 v2, 0xffff, v2
	v_and_b32_e32 v6, 3, v2
	v_ffbh_u32_e32 v8, v6
	v_min_u32_e32 v8, 32, v8
	v_subrev_u32_e32 v9, 29, v8
	v_bfe_u32 v7, v2, 2, 5
	v_lshlrev_b32_e32 v2, v9, v2
	v_sub_u32_e32 v8, 30, v8
	v_and_b32_e32 v2, 3, v2
	v_cmp_eq_u32_e32 vcc, 0, v7
	v_cndmask_b32_e32 v7, v7, v8, vcc
	v_cndmask_b32_e32 v2, v6, v2, vcc
	v_mov_b32_e32 v6, 0x37800000
	v_lshlrev_b32_e32 v2, 21, v2
	v_and_b32_e32 v1, 0x80000000, v1
	v_lshl_add_u32 v6, v7, 23, v6
	v_or3_b32 v1, v1, v6, v2
	v_cvt_u32_f32_e32 v1, v1
.LBB332_1237:
	s_or_b64 exec, exec, s[16:17]
	s_mov_b64 s[16:17], 0
	s_branch .LBB332_1243
.LBB332_1238:
	s_mov_b64 s[16:17], -1
                                        ; implicit-def: $vgpr1
	s_branch .LBB332_1249
.LBB332_1239:
	s_andn2_saveexec_b64 s[18:19], s[18:19]
	s_cbranch_execz .LBB332_1224
.LBB332_1240:
	v_cmp_ne_u16_e32 vcc, 0, v2
	s_andn2_b64 s[20:21], s[20:21], exec
	s_and_b64 s[30:31], vcc, exec
	s_or_b64 s[20:21], s[20:21], s[30:31]
	s_or_b64 exec, exec, s[18:19]
	v_mov_b32_e32 v1, 0
	s_and_saveexec_b64 s[18:19], s[20:21]
	s_cbranch_execnz .LBB332_1225
	s_branch .LBB332_1226
.LBB332_1241:
	s_mov_b64 s[16:17], -1
                                        ; implicit-def: $vgpr1
	s_branch .LBB332_1246
.LBB332_1242:
	s_mov_b64 s[16:17], -1
                                        ; implicit-def: $vgpr1
.LBB332_1243:
	s_and_b64 vcc, exec, s[16:17]
	s_cbranch_vccz .LBB332_1245
; %bb.1244:
	global_load_ubyte v1, v[4:5], off
	s_mov_b32 s16, 0x7f800000
	s_waitcnt vmcnt(0)
	v_lshlrev_b32_e32 v1, 24, v1
	v_and_b32_e32 v2, 0x7f000000, v1
	v_ffbh_u32_e32 v6, v2
	v_min_u32_e32 v6, 32, v6
	v_sub_u32_e64 v6, v6, 4 clamp
	v_lshlrev_b32_e32 v8, v6, v2
	v_lshlrev_b32_e32 v6, 23, v6
	v_lshrrev_b32_e32 v8, 4, v8
	v_add_u32_e32 v7, 0x1000000, v2
	v_sub_u32_e32 v6, v8, v6
	v_ashrrev_i32_e32 v7, 8, v7
	v_add_u32_e32 v6, 0x3c000000, v6
	v_and_or_b32 v6, v7, s16, v6
	v_cmp_ne_u32_e32 vcc, 0, v2
	v_cndmask_b32_e32 v2, 0, v6, vcc
	s_brev_b32 s16, 1
	v_and_or_b32 v1, v1, s16, v2
	v_cvt_u32_f32_e32 v1, v1
.LBB332_1245:
	s_mov_b64 s[16:17], 0
.LBB332_1246:
	s_andn2_b64 vcc, exec, s[16:17]
	s_cbranch_vccnz .LBB332_1248
; %bb.1247:
	global_load_ubyte v1, v[4:5], off
	s_movk_i32 s16, 0x7f00
	s_brev_b32 s17, 16
	s_waitcnt vmcnt(0)
	v_lshlrev_b16_e32 v2, 8, v1
	v_lshlrev_b32_e32 v1, 25, v1
	v_lshrrev_b32_e32 v6, 4, v1
	v_and_or_b32 v7, v2, s16, 0.5
	v_or_b32_e32 v6, 0x70000000, v6
	v_add_f32_e32 v7, -0.5, v7
	v_mul_f32_e32 v6, 0x7800000, v6
	v_cmp_gt_u32_e32 vcc, s17, v1
	v_bfe_i32 v2, v2, 0, 16
	v_cndmask_b32_e32 v1, v6, v7, vcc
	s_brev_b32 s16, 1
	v_and_or_b32 v1, v2, s16, v1
	v_cvt_u32_f32_e32 v1, v1
.LBB332_1248:
	s_mov_b64 s[16:17], 0
	s_mov_b64 s[18:19], -1
.LBB332_1249:
	s_andn2_b64 vcc, exec, s[16:17]
	s_mov_b64 s[16:17], 0
	s_cbranch_vccnz .LBB332_1260
; %bb.1250:
	s_cmp_gt_i32 s22, 14
	s_cbranch_scc0 .LBB332_1253
; %bb.1251:
	s_cmp_eq_u32 s22, 15
	s_cbranch_scc0 .LBB332_1256
; %bb.1252:
	global_load_ushort v1, v[4:5], off
	s_mov_b64 s[10:11], 0
	s_mov_b64 s[18:19], -1
	s_waitcnt vmcnt(0)
	v_lshlrev_b32_e32 v1, 16, v1
	v_cvt_u32_f32_e32 v1, v1
	s_branch .LBB332_1257
.LBB332_1253:
	s_mov_b64 s[20:21], -1
                                        ; implicit-def: $vgpr1
	s_branch .LBB332_1258
.LBB332_1254:
	s_andn2_saveexec_b64 s[16:17], s[16:17]
	s_cbranch_execz .LBB332_1235
.LBB332_1255:
	v_cmp_ne_u16_e32 vcc, 0, v2
	s_andn2_b64 s[18:19], s[18:19], exec
	s_and_b64 s[20:21], vcc, exec
	s_or_b64 s[18:19], s[18:19], s[20:21]
	s_or_b64 exec, exec, s[16:17]
	v_mov_b32_e32 v1, 0
	s_and_saveexec_b64 s[16:17], s[18:19]
	s_cbranch_execnz .LBB332_1236
	s_branch .LBB332_1237
.LBB332_1256:
	s_mov_b64 s[10:11], -1
                                        ; implicit-def: $vgpr1
.LBB332_1257:
	s_mov_b64 s[20:21], 0
.LBB332_1258:
	s_and_b64 vcc, exec, s[20:21]
	s_cbranch_vccz .LBB332_1260
; %bb.1259:
	s_cmp_lg_u32 s22, 11
	s_cselect_b64 s[20:21], -1, 0
	s_andn2_b64 s[10:11], s[10:11], exec
	s_and_b64 s[20:21], s[20:21], exec
	s_mov_b64 s[16:17], -1
	s_or_b64 s[10:11], s[10:11], s[20:21]
.LBB332_1260:
	s_mov_b64 s[20:21], 0
.LBB332_1261:
	s_and_b64 s[64:65], s[16:17], exec
	s_andn2_b64 s[16:17], s[0:1], exec
	s_and_b64 s[10:11], s[10:11], exec
	s_and_b64 s[66:67], s[18:19], exec
	;; [unrolled: 1-line block ×3, first 2 shown]
	s_or_b64 s[68:69], s[16:17], s[10:11]
.LBB332_1262:
	s_or_b64 exec, exec, s[58:59]
	s_andn2_b64 s[0:1], s[0:1], exec
	s_and_b64 s[10:11], s[68:69], exec
	s_and_b64 s[66:67], s[66:67], exec
	;; [unrolled: 1-line block ×4, first 2 shown]
	s_or_b64 s[0:1], s[0:1], s[10:11]
.LBB332_1263:
	s_or_b64 exec, exec, s[56:57]
	s_andn2_b64 s[10:11], s[52:53], exec
	s_and_b64 s[16:17], s[62:63], exec
	s_or_b64 s[52:53], s[10:11], s[16:17]
	s_andn2_b64 s[10:11], s[50:51], exec
	s_and_b64 s[16:17], s[60:61], exec
	s_or_b64 s[50:51], s[10:11], s[16:17]
	s_andn2_b64 s[10:11], s[48:49], exec
	s_and_b64 s[0:1], s[0:1], exec
	s_and_b64 s[60:61], s[66:67], exec
	;; [unrolled: 1-line block ×4, first 2 shown]
	s_or_b64 s[48:49], s[10:11], s[0:1]
.LBB332_1264:
	s_or_b64 exec, exec, s[54:55]
	s_andn2_b64 s[0:1], s[40:41], exec
	s_and_b64 s[10:11], s[52:53], exec
	s_or_b64 s[40:41], s[0:1], s[10:11]
	s_andn2_b64 s[0:1], s[42:43], exec
	s_and_b64 s[10:11], s[50:51], exec
	s_or_b64 s[42:43], s[0:1], s[10:11]
	s_andn2_b64 s[0:1], s[44:45], exec
	s_and_b64 s[10:11], s[48:49], exec
	s_and_b64 s[52:53], s[60:61], exec
	;; [unrolled: 1-line block ×4, first 2 shown]
	s_or_b64 s[44:45], s[0:1], s[10:11]
	s_or_b64 exec, exec, s[46:47]
	s_mov_b64 s[10:11], 0
	s_and_saveexec_b64 s[0:1], s[44:45]
	s_cbranch_execz .LBB332_395
.LBB332_1265:
	s_mov_b64 s[10:11], exec
	s_andn2_b64 s[50:51], s[50:51], exec
	s_trap 2
	s_or_b64 exec, exec, s[0:1]
	s_and_saveexec_b64 s[0:1], s[50:51]
	s_xor_b64 s[0:1], exec, s[0:1]
	s_cbranch_execnz .LBB332_396
.LBB332_1266:
	s_or_b64 exec, exec, s[0:1]
	s_and_saveexec_b64 s[0:1], s[54:55]
	s_cbranch_execz .LBB332_1312
.LBB332_1267:
	s_sext_i32_i16 s16, s14
	s_cmp_lt_i32 s16, 5
	s_cbranch_scc1 .LBB332_1272
; %bb.1268:
	s_cmp_lt_i32 s16, 8
	s_cbranch_scc1 .LBB332_1273
; %bb.1269:
	;; [unrolled: 3-line block ×3, first 2 shown]
	s_cmp_gt_i32 s16, 9
	s_cbranch_scc0 .LBB332_1275
; %bb.1271:
	s_waitcnt vmcnt(0)
	global_load_dwordx2 v[1:2], v[4:5], off
	s_mov_b64 s[16:17], 0
	s_waitcnt vmcnt(0)
	v_cvt_u32_f64_e32 v1, v[1:2]
	s_branch .LBB332_1276
.LBB332_1272:
                                        ; implicit-def: $vgpr1
	s_branch .LBB332_1293
.LBB332_1273:
                                        ; implicit-def: $vgpr1
	s_branch .LBB332_1282
.LBB332_1274:
	s_mov_b64 s[16:17], -1
                                        ; implicit-def: $vgpr1
	s_branch .LBB332_1279
.LBB332_1275:
	s_mov_b64 s[16:17], -1
                                        ; implicit-def: $vgpr1
.LBB332_1276:
	s_andn2_b64 vcc, exec, s[16:17]
	s_cbranch_vccnz .LBB332_1278
; %bb.1277:
	s_waitcnt vmcnt(0)
	global_load_dword v1, v[4:5], off
	s_waitcnt vmcnt(0)
	v_cvt_u32_f32_e32 v1, v1
.LBB332_1278:
	s_mov_b64 s[16:17], 0
.LBB332_1279:
	s_andn2_b64 vcc, exec, s[16:17]
	s_cbranch_vccnz .LBB332_1281
; %bb.1280:
	s_waitcnt vmcnt(0)
	global_load_dword v1, v[4:5], off
	s_waitcnt vmcnt(0)
	v_cvt_u16_f16_e32 v1, v1
.LBB332_1281:
	s_cbranch_execnz .LBB332_1292
.LBB332_1282:
	s_sext_i32_i16 s16, s14
	s_cmp_lt_i32 s16, 6
	s_cbranch_scc1 .LBB332_1285
; %bb.1283:
	s_cmp_gt_i32 s16, 6
	s_cbranch_scc0 .LBB332_1286
; %bb.1284:
	s_waitcnt vmcnt(0)
	global_load_dwordx2 v[1:2], v[4:5], off
	s_mov_b64 s[16:17], 0
	s_waitcnt vmcnt(0)
	v_cvt_u32_f64_e32 v1, v[1:2]
	s_branch .LBB332_1287
.LBB332_1285:
	s_mov_b64 s[16:17], -1
                                        ; implicit-def: $vgpr1
	s_branch .LBB332_1290
.LBB332_1286:
	s_mov_b64 s[16:17], -1
                                        ; implicit-def: $vgpr1
.LBB332_1287:
	s_andn2_b64 vcc, exec, s[16:17]
	s_cbranch_vccnz .LBB332_1289
; %bb.1288:
	s_waitcnt vmcnt(0)
	global_load_dword v1, v[4:5], off
	s_waitcnt vmcnt(0)
	v_cvt_u32_f32_e32 v1, v1
.LBB332_1289:
	s_mov_b64 s[16:17], 0
.LBB332_1290:
	s_andn2_b64 vcc, exec, s[16:17]
	s_cbranch_vccnz .LBB332_1292
; %bb.1291:
	s_waitcnt vmcnt(0)
	global_load_ushort v1, v[4:5], off
	s_waitcnt vmcnt(0)
	v_cvt_u16_f16_e32 v1, v1
.LBB332_1292:
	s_cbranch_execnz .LBB332_1311
.LBB332_1293:
	s_sext_i32_i16 s16, s14
	s_cmp_lt_i32 s16, 2
	s_cbranch_scc1 .LBB332_1297
; %bb.1294:
	s_cmp_lt_i32 s16, 3
	s_cbranch_scc1 .LBB332_1298
; %bb.1295:
	s_cmp_gt_i32 s16, 3
	s_cbranch_scc0 .LBB332_1299
; %bb.1296:
	s_waitcnt vmcnt(0)
	global_load_dwordx2 v[1:2], v[4:5], off
	s_mov_b64 s[16:17], 0
	s_branch .LBB332_1300
.LBB332_1297:
                                        ; implicit-def: $vgpr1
	s_branch .LBB332_1306
.LBB332_1298:
	s_mov_b64 s[16:17], -1
                                        ; implicit-def: $vgpr1
	s_branch .LBB332_1303
.LBB332_1299:
	s_mov_b64 s[16:17], -1
                                        ; implicit-def: $vgpr1
.LBB332_1300:
	s_andn2_b64 vcc, exec, s[16:17]
	s_cbranch_vccnz .LBB332_1302
; %bb.1301:
	s_waitcnt vmcnt(0)
	global_load_dword v1, v[4:5], off
.LBB332_1302:
	s_mov_b64 s[16:17], 0
.LBB332_1303:
	s_andn2_b64 vcc, exec, s[16:17]
	s_cbranch_vccnz .LBB332_1305
; %bb.1304:
	s_waitcnt vmcnt(0)
	global_load_ushort v1, v[4:5], off
.LBB332_1305:
	s_cbranch_execnz .LBB332_1311
.LBB332_1306:
	s_sext_i32_i16 s14, s14
	s_cmp_gt_i32 s14, 0
	s_cbranch_scc0 .LBB332_1308
; %bb.1307:
	s_waitcnt vmcnt(0)
	global_load_sbyte v1, v[4:5], off
	s_mov_b64 s[16:17], 0
	s_branch .LBB332_1309
.LBB332_1308:
	s_mov_b64 s[16:17], -1
                                        ; implicit-def: $vgpr1
.LBB332_1309:
	s_andn2_b64 vcc, exec, s[16:17]
	s_cbranch_vccnz .LBB332_1311
; %bb.1310:
	s_waitcnt vmcnt(0)
	global_load_ubyte v1, v[4:5], off
.LBB332_1311:
	s_or_b64 s[52:53], s[52:53], exec
.LBB332_1312:
	s_or_b64 exec, exec, s[0:1]
	s_mov_b64 s[16:17], 0
	s_mov_b64 s[20:21], 0
	;; [unrolled: 1-line block ×3, first 2 shown]
                                        ; implicit-def: $sgpr14
                                        ; implicit-def: $vgpr4_vgpr5
                                        ; implicit-def: $vgpr6
	s_and_saveexec_b64 s[0:1], s[52:53]
	s_cbranch_execz .LBB332_1320
; %bb.1313:
	s_waitcnt vmcnt(0)
	v_mov_b32_e32 v2, s13
	s_and_b32 s14, s73, 0xff
	v_add_co_u32_e32 v4, vcc, s12, v3
	s_cmp_lt_i32 s14, 11
	v_addc_co_u32_e32 v5, vcc, 0, v2, vcc
	s_cbranch_scc1 .LBB332_1323
; %bb.1314:
	s_and_b32 s22, 0xffff, s14
	s_cmp_gt_i32 s22, 25
	s_cbranch_scc0 .LBB332_1324
; %bb.1315:
	s_cmp_gt_i32 s22, 28
	s_cbranch_scc0 .LBB332_1325
; %bb.1316:
	;; [unrolled: 3-line block ×4, first 2 shown]
	s_cmp_eq_u32 s22, 46
	s_cbranch_scc0 .LBB332_1328
; %bb.1319:
	global_load_dword v2, v[4:5], off
	s_mov_b64 s[12:13], 0
	s_mov_b64 s[18:19], -1
	s_waitcnt vmcnt(0)
	v_lshlrev_b32_e32 v2, 16, v2
	v_cvt_u32_f32_e32 v6, v2
	s_branch .LBB332_1330
.LBB332_1320:
	s_or_b64 exec, exec, s[0:1]
	s_and_saveexec_b64 s[0:1], s[42:43]
	s_cbranch_execnz .LBB332_1389
.LBB332_1321:
	s_or_b64 exec, exec, s[0:1]
	s_and_saveexec_b64 s[0:1], s[16:17]
	s_xor_b64 s[0:1], exec, s[0:1]
	s_cbranch_execz .LBB332_1390
.LBB332_1322:
	s_waitcnt vmcnt(0)
	global_load_ubyte v2, v[4:5], off
	s_or_b64 s[18:19], s[18:19], exec
	s_waitcnt vmcnt(0)
	v_cmp_ne_u16_e32 vcc, 0, v2
	v_cndmask_b32_e64 v6, 0, 1, vcc
	s_or_b64 exec, exec, s[0:1]
	s_and_saveexec_b64 s[0:1], s[20:21]
	s_cbranch_execz .LBB332_1436
	s_branch .LBB332_1391
.LBB332_1323:
	s_mov_b64 s[20:21], -1
                                        ; implicit-def: $vgpr6
	s_mov_b64 s[12:13], s[42:43]
	s_branch .LBB332_1388
.LBB332_1324:
	s_mov_b64 s[12:13], s[42:43]
                                        ; implicit-def: $vgpr6
	s_cbranch_execnz .LBB332_1357
	s_branch .LBB332_1387
.LBB332_1325:
	s_mov_b64 s[20:21], -1
	s_mov_b64 s[12:13], s[42:43]
                                        ; implicit-def: $vgpr6
	s_branch .LBB332_1340
.LBB332_1326:
	s_mov_b64 s[20:21], -1
	s_mov_b64 s[12:13], s[42:43]
                                        ; implicit-def: $vgpr6
	s_branch .LBB332_1335
.LBB332_1327:
	s_mov_b64 s[20:21], -1
	s_mov_b64 s[12:13], s[42:43]
	s_branch .LBB332_1329
.LBB332_1328:
	s_mov_b64 s[12:13], -1
.LBB332_1329:
                                        ; implicit-def: $vgpr6
.LBB332_1330:
	s_and_b64 vcc, exec, s[20:21]
	s_cbranch_vccz .LBB332_1334
; %bb.1331:
	s_cmp_eq_u32 s22, 44
	s_cbranch_scc0 .LBB332_1333
; %bb.1332:
	global_load_ubyte v2, v[4:5], off
	s_mov_b64 s[12:13], 0
	s_mov_b64 s[18:19], -1
	s_waitcnt vmcnt(0)
	v_lshlrev_b32_e32 v3, 23, v2
	v_cvt_u32_f32_e32 v3, v3
	v_cmp_ne_u32_e32 vcc, 0, v2
	v_cndmask_b32_e32 v6, 0, v3, vcc
	s_branch .LBB332_1334
.LBB332_1333:
	s_mov_b64 s[12:13], -1
                                        ; implicit-def: $vgpr6
.LBB332_1334:
	s_mov_b64 s[20:21], 0
.LBB332_1335:
	s_and_b64 vcc, exec, s[20:21]
	s_cbranch_vccz .LBB332_1339
; %bb.1336:
	s_cmp_eq_u32 s22, 29
	s_cbranch_scc0 .LBB332_1338
; %bb.1337:
	global_load_dwordx2 v[6:7], v[4:5], off
	s_mov_b64 s[12:13], 0
	s_mov_b64 s[18:19], -1
	s_branch .LBB332_1339
.LBB332_1338:
	s_mov_b64 s[12:13], -1
                                        ; implicit-def: $vgpr6
.LBB332_1339:
	s_mov_b64 s[20:21], 0
.LBB332_1340:
	s_and_b64 vcc, exec, s[20:21]
	s_cbranch_vccz .LBB332_1356
; %bb.1341:
	s_cmp_lt_i32 s22, 27
	s_cbranch_scc1 .LBB332_1344
; %bb.1342:
	s_cmp_gt_i32 s22, 27
	s_cbranch_scc0 .LBB332_1345
; %bb.1343:
	global_load_dword v6, v[4:5], off
	s_mov_b64 s[18:19], 0
	s_branch .LBB332_1346
.LBB332_1344:
	s_mov_b64 s[18:19], -1
                                        ; implicit-def: $vgpr6
	s_branch .LBB332_1349
.LBB332_1345:
	s_mov_b64 s[18:19], -1
                                        ; implicit-def: $vgpr6
.LBB332_1346:
	s_andn2_b64 vcc, exec, s[18:19]
	s_cbranch_vccnz .LBB332_1348
; %bb.1347:
	global_load_ushort v6, v[4:5], off
.LBB332_1348:
	s_mov_b64 s[18:19], 0
.LBB332_1349:
	s_andn2_b64 vcc, exec, s[18:19]
	s_cbranch_vccnz .LBB332_1355
; %bb.1350:
	global_load_ubyte v2, v[4:5], off
	s_movk_i32 s18, 0x7f
	s_mov_b64 s[20:21], 0
	s_waitcnt vmcnt(0)
	v_cmp_lt_i16_e32 vcc, s18, v2
	s_and_saveexec_b64 s[18:19], vcc
	s_xor_b64 s[18:19], exec, s[18:19]
	s_cbranch_execz .LBB332_1366
; %bb.1351:
	s_movk_i32 s20, 0x80
	v_cmp_ne_u16_e32 vcc, s20, v2
	s_and_b64 s[20:21], vcc, exec
	s_andn2_saveexec_b64 s[18:19], s[18:19]
	s_cbranch_execnz .LBB332_1367
.LBB332_1352:
	s_or_b64 exec, exec, s[18:19]
	v_mov_b32_e32 v6, 0
	s_and_saveexec_b64 s[18:19], s[20:21]
	s_cbranch_execz .LBB332_1354
.LBB332_1353:
	v_lshlrev_b32_e32 v3, 24, v2
	v_and_b32_e32 v2, 0xffff, v2
	v_and_b32_e32 v6, 7, v2
	v_ffbh_u32_e32 v8, v6
	v_min_u32_e32 v8, 32, v8
	v_subrev_u32_e32 v9, 28, v8
	v_bfe_u32 v7, v2, 3, 4
	v_lshlrev_b32_e32 v2, v9, v2
	v_sub_u32_e32 v8, 29, v8
	v_and_b32_e32 v2, 7, v2
	v_cmp_eq_u32_e32 vcc, 0, v7
	v_cndmask_b32_e32 v7, v7, v8, vcc
	v_cndmask_b32_e32 v2, v6, v2, vcc
	v_mov_b32_e32 v6, 0x3b800000
	v_lshlrev_b32_e32 v2, 20, v2
	v_and_b32_e32 v3, 0x80000000, v3
	v_lshl_add_u32 v6, v7, 23, v6
	v_or3_b32 v2, v3, v6, v2
	v_cvt_u32_f32_e32 v6, v2
.LBB332_1354:
	s_or_b64 exec, exec, s[18:19]
.LBB332_1355:
	s_mov_b64 s[18:19], -1
.LBB332_1356:
	s_branch .LBB332_1387
.LBB332_1357:
	s_cmp_gt_i32 s22, 22
	s_cbranch_scc0 .LBB332_1365
; %bb.1358:
	s_cmp_lt_i32 s22, 24
	s_cbranch_scc1 .LBB332_1368
; %bb.1359:
	s_cmp_gt_i32 s22, 24
	s_cbranch_scc0 .LBB332_1369
; %bb.1360:
	global_load_ubyte v2, v[4:5], off
	s_movk_i32 s16, 0x7f
	s_mov_b64 s[18:19], 0
	s_waitcnt vmcnt(0)
	v_cmp_lt_i16_e32 vcc, s16, v2
	s_and_saveexec_b64 s[16:17], vcc
	s_xor_b64 s[16:17], exec, s[16:17]
	s_cbranch_execz .LBB332_1381
; %bb.1361:
	s_movk_i32 s18, 0x80
	v_cmp_ne_u16_e32 vcc, s18, v2
	s_and_b64 s[18:19], vcc, exec
	s_andn2_saveexec_b64 s[16:17], s[16:17]
	s_cbranch_execnz .LBB332_1382
.LBB332_1362:
	s_or_b64 exec, exec, s[16:17]
	v_mov_b32_e32 v6, 0
	s_and_saveexec_b64 s[16:17], s[18:19]
	s_cbranch_execz .LBB332_1364
.LBB332_1363:
	v_lshlrev_b32_e32 v3, 24, v2
	v_and_b32_e32 v2, 0xffff, v2
	v_and_b32_e32 v6, 3, v2
	v_ffbh_u32_e32 v8, v6
	v_min_u32_e32 v8, 32, v8
	v_subrev_u32_e32 v9, 29, v8
	v_bfe_u32 v7, v2, 2, 5
	v_lshlrev_b32_e32 v2, v9, v2
	v_sub_u32_e32 v8, 30, v8
	v_and_b32_e32 v2, 3, v2
	v_cmp_eq_u32_e32 vcc, 0, v7
	v_cndmask_b32_e32 v7, v7, v8, vcc
	v_cndmask_b32_e32 v2, v6, v2, vcc
	v_mov_b32_e32 v6, 0x37800000
	v_lshlrev_b32_e32 v2, 21, v2
	v_and_b32_e32 v3, 0x80000000, v3
	v_lshl_add_u32 v6, v7, 23, v6
	v_or3_b32 v2, v3, v6, v2
	v_cvt_u32_f32_e32 v6, v2
.LBB332_1364:
	s_or_b64 exec, exec, s[16:17]
	s_mov_b64 s[16:17], 0
	s_branch .LBB332_1370
.LBB332_1365:
	s_mov_b64 s[16:17], -1
                                        ; implicit-def: $vgpr6
	s_branch .LBB332_1376
.LBB332_1366:
	s_andn2_saveexec_b64 s[18:19], s[18:19]
	s_cbranch_execz .LBB332_1352
.LBB332_1367:
	v_cmp_ne_u16_e32 vcc, 0, v2
	s_andn2_b64 s[20:21], s[20:21], exec
	s_and_b64 s[30:31], vcc, exec
	s_or_b64 s[20:21], s[20:21], s[30:31]
	s_or_b64 exec, exec, s[18:19]
	v_mov_b32_e32 v6, 0
	s_and_saveexec_b64 s[18:19], s[20:21]
	s_cbranch_execnz .LBB332_1353
	s_branch .LBB332_1354
.LBB332_1368:
	s_mov_b64 s[16:17], -1
                                        ; implicit-def: $vgpr6
	s_branch .LBB332_1373
.LBB332_1369:
	s_mov_b64 s[16:17], -1
                                        ; implicit-def: $vgpr6
.LBB332_1370:
	s_and_b64 vcc, exec, s[16:17]
	s_cbranch_vccz .LBB332_1372
; %bb.1371:
	global_load_ubyte v2, v[4:5], off
	s_mov_b32 s16, 0x7f800000
	s_waitcnt vmcnt(0)
	v_lshlrev_b32_e32 v2, 24, v2
	v_and_b32_e32 v3, 0x7f000000, v2
	v_ffbh_u32_e32 v6, v3
	v_min_u32_e32 v6, 32, v6
	v_sub_u32_e64 v6, v6, 4 clamp
	v_lshlrev_b32_e32 v8, v6, v3
	v_lshlrev_b32_e32 v6, 23, v6
	v_lshrrev_b32_e32 v8, 4, v8
	v_add_u32_e32 v7, 0x1000000, v3
	v_sub_u32_e32 v6, v8, v6
	v_ashrrev_i32_e32 v7, 8, v7
	v_add_u32_e32 v6, 0x3c000000, v6
	v_and_or_b32 v6, v7, s16, v6
	v_cmp_ne_u32_e32 vcc, 0, v3
	v_cndmask_b32_e32 v3, 0, v6, vcc
	s_brev_b32 s16, 1
	v_and_or_b32 v2, v2, s16, v3
	v_cvt_u32_f32_e32 v6, v2
.LBB332_1372:
	s_mov_b64 s[16:17], 0
.LBB332_1373:
	s_andn2_b64 vcc, exec, s[16:17]
	s_cbranch_vccnz .LBB332_1375
; %bb.1374:
	global_load_ubyte v2, v[4:5], off
	s_movk_i32 s16, 0x7f00
	s_brev_b32 s17, 16
	s_waitcnt vmcnt(0)
	v_lshlrev_b16_e32 v3, 8, v2
	v_lshlrev_b32_e32 v2, 25, v2
	v_lshrrev_b32_e32 v6, 4, v2
	v_and_or_b32 v7, v3, s16, 0.5
	v_or_b32_e32 v6, 0x70000000, v6
	v_add_f32_e32 v7, -0.5, v7
	v_mul_f32_e32 v6, 0x7800000, v6
	v_cmp_gt_u32_e32 vcc, s17, v2
	v_bfe_i32 v3, v3, 0, 16
	v_cndmask_b32_e32 v2, v6, v7, vcc
	s_brev_b32 s16, 1
	v_and_or_b32 v2, v3, s16, v2
	v_cvt_u32_f32_e32 v6, v2
.LBB332_1375:
	s_mov_b64 s[16:17], 0
	s_mov_b64 s[18:19], -1
.LBB332_1376:
	s_andn2_b64 vcc, exec, s[16:17]
	s_mov_b64 s[16:17], 0
	s_cbranch_vccnz .LBB332_1387
; %bb.1377:
	s_cmp_gt_i32 s22, 14
	s_cbranch_scc0 .LBB332_1380
; %bb.1378:
	s_cmp_eq_u32 s22, 15
	s_cbranch_scc0 .LBB332_1383
; %bb.1379:
	global_load_ushort v2, v[4:5], off
	s_mov_b64 s[12:13], 0
	s_mov_b64 s[18:19], -1
	s_waitcnt vmcnt(0)
	v_lshlrev_b32_e32 v2, 16, v2
	v_cvt_u32_f32_e32 v6, v2
	s_branch .LBB332_1384
.LBB332_1380:
	s_mov_b64 s[20:21], -1
                                        ; implicit-def: $vgpr6
	s_branch .LBB332_1385
.LBB332_1381:
	s_andn2_saveexec_b64 s[16:17], s[16:17]
	s_cbranch_execz .LBB332_1362
.LBB332_1382:
	v_cmp_ne_u16_e32 vcc, 0, v2
	s_andn2_b64 s[18:19], s[18:19], exec
	s_and_b64 s[20:21], vcc, exec
	s_or_b64 s[18:19], s[18:19], s[20:21]
	s_or_b64 exec, exec, s[16:17]
	v_mov_b32_e32 v6, 0
	s_and_saveexec_b64 s[16:17], s[18:19]
	s_cbranch_execnz .LBB332_1363
	s_branch .LBB332_1364
.LBB332_1383:
	s_mov_b64 s[12:13], -1
                                        ; implicit-def: $vgpr6
.LBB332_1384:
	s_mov_b64 s[20:21], 0
.LBB332_1385:
	s_and_b64 vcc, exec, s[20:21]
	s_cbranch_vccz .LBB332_1387
; %bb.1386:
	s_cmp_lg_u32 s22, 11
	s_cselect_b64 s[20:21], -1, 0
	s_andn2_b64 s[12:13], s[12:13], exec
	s_and_b64 s[20:21], s[20:21], exec
	s_mov_b64 s[16:17], -1
	s_or_b64 s[12:13], s[12:13], s[20:21]
.LBB332_1387:
	s_mov_b64 s[20:21], 0
.LBB332_1388:
	s_andn2_b64 s[22:23], s[42:43], exec
	s_and_b64 s[12:13], s[12:13], exec
	s_and_b64 s[18:19], s[18:19], exec
	;; [unrolled: 1-line block ×4, first 2 shown]
	s_or_b64 s[42:43], s[22:23], s[12:13]
	s_or_b64 exec, exec, s[0:1]
	s_and_saveexec_b64 s[0:1], s[42:43]
	s_cbranch_execz .LBB332_1321
.LBB332_1389:
	s_or_b64 s[10:11], s[10:11], exec
	s_andn2_b64 s[16:17], s[16:17], exec
	s_trap 2
	s_or_b64 exec, exec, s[0:1]
	s_and_saveexec_b64 s[0:1], s[16:17]
	s_xor_b64 s[0:1], exec, s[0:1]
	s_cbranch_execnz .LBB332_1322
.LBB332_1390:
	s_or_b64 exec, exec, s[0:1]
	s_and_saveexec_b64 s[0:1], s[20:21]
	s_cbranch_execz .LBB332_1436
.LBB332_1391:
	s_sext_i32_i16 s12, s14
	s_cmp_lt_i32 s12, 5
	s_cbranch_scc1 .LBB332_1396
; %bb.1392:
	s_cmp_lt_i32 s12, 8
	s_cbranch_scc1 .LBB332_1397
; %bb.1393:
	;; [unrolled: 3-line block ×3, first 2 shown]
	s_cmp_gt_i32 s12, 9
	s_cbranch_scc0 .LBB332_1399
; %bb.1395:
	s_waitcnt vmcnt(0)
	global_load_dwordx2 v[2:3], v[4:5], off
	s_mov_b64 s[12:13], 0
	s_waitcnt vmcnt(0)
	v_cvt_u32_f64_e32 v6, v[2:3]
	s_branch .LBB332_1400
.LBB332_1396:
                                        ; implicit-def: $vgpr6
	s_branch .LBB332_1417
.LBB332_1397:
                                        ; implicit-def: $vgpr6
	s_branch .LBB332_1406
.LBB332_1398:
	s_mov_b64 s[12:13], -1
                                        ; implicit-def: $vgpr6
	s_branch .LBB332_1403
.LBB332_1399:
	s_mov_b64 s[12:13], -1
                                        ; implicit-def: $vgpr6
.LBB332_1400:
	s_andn2_b64 vcc, exec, s[12:13]
	s_cbranch_vccnz .LBB332_1402
; %bb.1401:
	s_waitcnt vmcnt(0)
	global_load_dword v2, v[4:5], off
	s_waitcnt vmcnt(0)
	v_cvt_u32_f32_e32 v6, v2
.LBB332_1402:
	s_mov_b64 s[12:13], 0
.LBB332_1403:
	s_andn2_b64 vcc, exec, s[12:13]
	s_cbranch_vccnz .LBB332_1405
; %bb.1404:
	s_waitcnt vmcnt(0)
	global_load_dword v2, v[4:5], off
	s_waitcnt vmcnt(0)
	v_cvt_u16_f16_e32 v6, v2
.LBB332_1405:
	s_cbranch_execnz .LBB332_1416
.LBB332_1406:
	s_sext_i32_i16 s12, s14
	s_cmp_lt_i32 s12, 6
	s_cbranch_scc1 .LBB332_1409
; %bb.1407:
	s_cmp_gt_i32 s12, 6
	s_cbranch_scc0 .LBB332_1410
; %bb.1408:
	s_waitcnt vmcnt(0)
	global_load_dwordx2 v[2:3], v[4:5], off
	s_mov_b64 s[12:13], 0
	s_waitcnt vmcnt(0)
	v_cvt_u32_f64_e32 v6, v[2:3]
	s_branch .LBB332_1411
.LBB332_1409:
	s_mov_b64 s[12:13], -1
                                        ; implicit-def: $vgpr6
	s_branch .LBB332_1414
.LBB332_1410:
	s_mov_b64 s[12:13], -1
                                        ; implicit-def: $vgpr6
.LBB332_1411:
	s_andn2_b64 vcc, exec, s[12:13]
	s_cbranch_vccnz .LBB332_1413
; %bb.1412:
	s_waitcnt vmcnt(0)
	global_load_dword v2, v[4:5], off
	s_waitcnt vmcnt(0)
	v_cvt_u32_f32_e32 v6, v2
.LBB332_1413:
	s_mov_b64 s[12:13], 0
.LBB332_1414:
	s_andn2_b64 vcc, exec, s[12:13]
	s_cbranch_vccnz .LBB332_1416
; %bb.1415:
	s_waitcnt vmcnt(0)
	global_load_ushort v2, v[4:5], off
	s_waitcnt vmcnt(0)
	v_cvt_u16_f16_e32 v6, v2
.LBB332_1416:
	s_cbranch_execnz .LBB332_1435
.LBB332_1417:
	s_sext_i32_i16 s12, s14
	s_cmp_lt_i32 s12, 2
	s_cbranch_scc1 .LBB332_1421
; %bb.1418:
	s_cmp_lt_i32 s12, 3
	s_cbranch_scc1 .LBB332_1422
; %bb.1419:
	s_cmp_gt_i32 s12, 3
	s_cbranch_scc0 .LBB332_1423
; %bb.1420:
	s_waitcnt vmcnt(0)
	global_load_dwordx2 v[6:7], v[4:5], off
	s_mov_b64 s[12:13], 0
	s_branch .LBB332_1424
.LBB332_1421:
                                        ; implicit-def: $vgpr6
	s_branch .LBB332_1430
.LBB332_1422:
	s_mov_b64 s[12:13], -1
                                        ; implicit-def: $vgpr6
	s_branch .LBB332_1427
.LBB332_1423:
	s_mov_b64 s[12:13], -1
                                        ; implicit-def: $vgpr6
.LBB332_1424:
	s_andn2_b64 vcc, exec, s[12:13]
	s_cbranch_vccnz .LBB332_1426
; %bb.1425:
	s_waitcnt vmcnt(0)
	global_load_dword v6, v[4:5], off
.LBB332_1426:
	s_mov_b64 s[12:13], 0
.LBB332_1427:
	s_andn2_b64 vcc, exec, s[12:13]
	s_cbranch_vccnz .LBB332_1429
; %bb.1428:
	s_waitcnt vmcnt(0)
	global_load_ushort v6, v[4:5], off
.LBB332_1429:
	s_cbranch_execnz .LBB332_1435
.LBB332_1430:
	s_sext_i32_i16 s12, s14
	s_cmp_gt_i32 s12, 0
	s_cbranch_scc0 .LBB332_1432
; %bb.1431:
	s_waitcnt vmcnt(0)
	global_load_sbyte v6, v[4:5], off
	s_mov_b64 s[12:13], 0
	s_branch .LBB332_1433
.LBB332_1432:
	s_mov_b64 s[12:13], -1
                                        ; implicit-def: $vgpr6
.LBB332_1433:
	s_andn2_b64 vcc, exec, s[12:13]
	s_cbranch_vccnz .LBB332_1435
; %bb.1434:
	s_waitcnt vmcnt(0)
	global_load_ubyte v6, v[4:5], off
.LBB332_1435:
	s_or_b64 s[18:19], s[18:19], exec
.LBB332_1436:
	s_or_b64 exec, exec, s[0:1]
	s_mov_b64 s[22:23], 0
	s_mov_b64 s[20:21], 0
                                        ; implicit-def: $sgpr12_sgpr13
                                        ; implicit-def: $sgpr30
                                        ; implicit-def: $vgpr2_vgpr3
	s_and_saveexec_b64 s[16:17], s[18:19]
	s_cbranch_execz .LBB332_1511
; %bb.1437:
	s_waitcnt vmcnt(0)
	v_cmp_ne_u16_e32 vcc, v1, v6
	s_xor_b64 s[12:13], s[28:29], vcc
	v_mov_b32_e32 v1, s9
	s_and_b32 s30, s15, 0xff
	v_add_co_u32_e32 v2, vcc, s8, v0
	s_cmp_lt_i32 s30, 11
	v_addc_co_u32_e32 v3, vcc, 0, v1, vcc
	s_cbranch_scc1 .LBB332_1514
; %bb.1438:
	s_and_b32 s22, 0xffff, s30
	s_mov_b64 s[14:15], -1
	s_cmp_gt_i32 s22, 25
	s_mov_b64 s[0:1], s[40:41]
	s_cbranch_scc0 .LBB332_1471
; %bb.1439:
	s_mov_b64 s[8:9], -1
	s_cmp_gt_i32 s22, 28
	s_mov_b64 s[0:1], s[40:41]
	s_cbranch_scc0 .LBB332_1455
; %bb.1440:
	s_cmp_gt_i32 s22, 43
	s_mov_b64 s[0:1], s[40:41]
	s_cbranch_scc0 .LBB332_1451
; %bb.1441:
	;; [unrolled: 4-line block ×3, first 2 shown]
	s_cmp_eq_u32 s22, 46
	s_mov_b64 s[0:1], -1
	s_cbranch_scc0 .LBB332_1444
; %bb.1443:
	v_cndmask_b32_e64 v0, 0, 1.0, s[12:13]
	v_bfe_u32 v1, v0, 16, 1
	s_movk_i32 s0, 0x7fff
	v_add3_u32 v0, v0, v1, s0
	v_lshrrev_b32_e32 v0, 16, v0
	global_store_dword v[2:3], v0, off
	s_mov_b64 s[0:1], 0
.LBB332_1444:
	s_mov_b64 s[8:9], 0
.LBB332_1445:
	s_and_b64 vcc, exec, s[8:9]
	s_cbranch_vccz .LBB332_1450
; %bb.1446:
	s_cmp_eq_u32 s22, 44
	s_mov_b64 s[0:1], -1
	s_cbranch_scc0 .LBB332_1450
; %bb.1447:
	v_cndmask_b32_e64 v1, 0, 1.0, s[12:13]
	v_lshrrev_b32_e32 v0, 23, v1
	s_movk_i32 s0, 0xff
	v_cmp_ne_u32_e32 vcc, s0, v0
	v_mov_b32_e32 v4, 0xff
	s_and_saveexec_b64 s[8:9], vcc
; %bb.1448:
	s_mov_b32 s0, 0x3fffff
	v_and_b32_e32 v4, 0x400000, v1
	v_and_or_b32 v1, v1, s0, v0
	v_cmp_ne_u32_e32 vcc, 0, v4
	v_cmp_ne_u32_e64 s[0:1], 0, v1
	s_and_b64 s[0:1], vcc, s[0:1]
	v_cndmask_b32_e64 v1, 0, 1, s[0:1]
	v_add_u32_e32 v4, v0, v1
; %bb.1449:
	s_or_b64 exec, exec, s[8:9]
	s_mov_b64 s[0:1], 0
	global_store_byte v[2:3], v4, off
.LBB332_1450:
	s_mov_b64 s[8:9], 0
.LBB332_1451:
	s_and_b64 vcc, exec, s[8:9]
	s_cbranch_vccz .LBB332_1454
; %bb.1452:
	s_cmp_eq_u32 s22, 29
	s_mov_b64 s[0:1], -1
	s_cbranch_scc0 .LBB332_1454
; %bb.1453:
	s_mov_b32 s0, 0
	v_cndmask_b32_e64 v0, 0, 1, s[12:13]
	v_mov_b32_e32 v1, s0
	global_store_dwordx2 v[2:3], v[0:1], off
	s_mov_b64 s[0:1], 0
.LBB332_1454:
	s_mov_b64 s[8:9], 0
.LBB332_1455:
	s_and_b64 vcc, exec, s[8:9]
	s_cbranch_vccz .LBB332_1470
; %bb.1456:
	s_cmp_lt_i32 s22, 27
	s_mov_b64 s[8:9], -1
	s_cbranch_scc1 .LBB332_1462
; %bb.1457:
	s_cmp_gt_i32 s22, 27
	s_cbranch_scc0 .LBB332_1459
; %bb.1458:
	v_cndmask_b32_e64 v0, 0, 1, s[12:13]
	s_mov_b64 s[8:9], 0
	global_store_dword v[2:3], v0, off
.LBB332_1459:
	s_andn2_b64 vcc, exec, s[8:9]
	s_cbranch_vccnz .LBB332_1461
; %bb.1460:
	v_cndmask_b32_e64 v0, 0, 1, s[12:13]
	global_store_short v[2:3], v0, off
.LBB332_1461:
	s_mov_b64 s[8:9], 0
.LBB332_1462:
	s_andn2_b64 vcc, exec, s[8:9]
	s_cbranch_vccnz .LBB332_1470
; %bb.1463:
	v_cndmask_b32_e64 v1, 0, 1.0, s[12:13]
	s_mov_b32 s8, 0x43800000
	v_cmp_gt_u32_e32 vcc, s8, v1
	v_mov_b32_e32 v4, 0x80
	s_and_saveexec_b64 s[8:9], vcc
	s_cbranch_execz .LBB332_1469
; %bb.1464:
	s_mov_b32 s14, 0x3bffffff
	v_cmp_lt_u32_e32 vcc, s14, v1
	s_mov_b64 s[14:15], 0
                                        ; implicit-def: $vgpr0
	s_and_saveexec_b64 s[18:19], vcc
	s_xor_b64 s[18:19], exec, s[18:19]
	s_cbranch_execz .LBB332_1615
; %bb.1465:
	v_bfe_u32 v0, v1, 20, 1
	s_mov_b32 s20, 0x487ffff
	v_add3_u32 v0, v1, v0, s20
	s_mov_b64 s[14:15], exec
	v_lshrrev_b32_e32 v0, 20, v0
                                        ; implicit-def: $vgpr1
	s_andn2_saveexec_b64 s[18:19], s[18:19]
	s_cbranch_execnz .LBB332_1616
.LBB332_1466:
	s_or_b64 exec, exec, s[18:19]
	v_mov_b32_e32 v4, 0
	s_and_saveexec_b64 s[18:19], s[14:15]
.LBB332_1467:
	v_mov_b32_e32 v4, v0
.LBB332_1468:
	s_or_b64 exec, exec, s[18:19]
.LBB332_1469:
	s_or_b64 exec, exec, s[8:9]
	global_store_byte v[2:3], v4, off
.LBB332_1470:
	s_mov_b64 s[14:15], 0
.LBB332_1471:
	s_mov_b64 s[8:9], 0
	s_and_b64 vcc, exec, s[14:15]
	s_cbranch_vccz .LBB332_1515
; %bb.1472:
	s_cmp_gt_i32 s22, 22
	s_mov_b64 s[14:15], -1
	s_cbranch_scc0 .LBB332_1504
; %bb.1473:
	s_cmp_lt_i32 s22, 24
	s_cbranch_scc1 .LBB332_1493
; %bb.1474:
	s_cmp_gt_i32 s22, 24
	s_cbranch_scc0 .LBB332_1482
; %bb.1475:
	v_cndmask_b32_e64 v1, 0, 1.0, s[12:13]
	s_mov_b32 s14, 0x47800000
	v_cmp_gt_u32_e32 vcc, s14, v1
	v_mov_b32_e32 v4, 0x80
	s_and_saveexec_b64 s[14:15], vcc
	s_cbranch_execz .LBB332_1481
; %bb.1476:
	s_mov_b32 s18, 0x37ffffff
	v_cmp_lt_u32_e32 vcc, s18, v1
	s_mov_b64 s[18:19], 0
                                        ; implicit-def: $vgpr0
	s_and_saveexec_b64 s[20:21], vcc
	s_xor_b64 s[20:21], exec, s[20:21]
	s_cbranch_execz .LBB332_1735
; %bb.1477:
	v_bfe_u32 v0, v1, 21, 1
	s_mov_b32 s23, 0x88fffff
	v_add3_u32 v0, v1, v0, s23
	s_mov_b64 s[18:19], exec
	v_lshrrev_b32_e32 v0, 21, v0
                                        ; implicit-def: $vgpr1
	s_andn2_saveexec_b64 s[20:21], s[20:21]
	s_cbranch_execnz .LBB332_1736
.LBB332_1478:
	s_or_b64 exec, exec, s[20:21]
	v_mov_b32_e32 v4, 0
	s_and_saveexec_b64 s[20:21], s[18:19]
.LBB332_1479:
	v_mov_b32_e32 v4, v0
.LBB332_1480:
	s_or_b64 exec, exec, s[20:21]
.LBB332_1481:
	s_or_b64 exec, exec, s[14:15]
	s_mov_b64 s[14:15], 0
	global_store_byte v[2:3], v4, off
.LBB332_1482:
	s_and_b64 vcc, exec, s[14:15]
	s_cbranch_vccz .LBB332_1492
; %bb.1483:
	v_cndmask_b32_e64 v0, 0, 1.0, s[12:13]
	s_mov_b32 s14, 0x43f00000
	v_cmp_gt_u32_e32 vcc, s14, v0
                                        ; implicit-def: $vgpr1
	s_and_saveexec_b64 s[14:15], vcc
	s_xor_b64 s[14:15], exec, s[14:15]
	s_cbranch_execz .LBB332_1489
; %bb.1484:
	s_mov_b32 s18, 0x3c7fffff
	v_cmp_lt_u32_e32 vcc, s18, v0
                                        ; implicit-def: $vgpr1
	s_and_saveexec_b64 s[18:19], vcc
	s_xor_b64 s[18:19], exec, s[18:19]
; %bb.1485:
	v_bfe_u32 v1, v0, 20, 1
	s_mov_b32 s20, 0x407ffff
	v_add3_u32 v0, v0, v1, s20
	v_lshrrev_b32_e32 v1, 20, v0
	v_and_b32_e32 v0, 0xff00000, v0
	s_mov_b32 s20, 0x7f00000
	v_mov_b32_e32 v4, 0x7e
	v_cmp_ne_u32_e32 vcc, s20, v0
	v_cndmask_b32_e32 v1, v4, v1, vcc
                                        ; implicit-def: $vgpr0
; %bb.1486:
	s_andn2_saveexec_b64 s[18:19], s[18:19]
; %bb.1487:
	v_add_f32_e32 v1, 0x46800000, v0
; %bb.1488:
	s_or_b64 exec, exec, s[18:19]
                                        ; implicit-def: $vgpr0
.LBB332_1489:
	s_andn2_saveexec_b64 s[14:15], s[14:15]
; %bb.1490:
	s_mov_b32 s18, 0x7f800000
	v_mov_b32_e32 v1, 0x7e
	v_mov_b32_e32 v4, 0x7f
	v_cmp_lt_u32_e32 vcc, s18, v0
	v_cndmask_b32_e32 v1, v1, v4, vcc
; %bb.1491:
	s_or_b64 exec, exec, s[14:15]
	global_store_byte v[2:3], v1, off
.LBB332_1492:
	s_mov_b64 s[14:15], 0
.LBB332_1493:
	s_andn2_b64 vcc, exec, s[14:15]
	s_cbranch_vccnz .LBB332_1503
; %bb.1494:
	v_cndmask_b32_e64 v0, 0, 1.0, s[12:13]
	s_mov_b32 s14, 0x47800000
	v_cmp_gt_u32_e32 vcc, s14, v0
                                        ; implicit-def: $vgpr1
	s_and_saveexec_b64 s[14:15], vcc
	s_xor_b64 s[14:15], exec, s[14:15]
	s_cbranch_execz .LBB332_1500
; %bb.1495:
	s_mov_b32 s18, 0x387fffff
	v_cmp_lt_u32_e32 vcc, s18, v0
                                        ; implicit-def: $vgpr1
	s_and_saveexec_b64 s[18:19], vcc
	s_xor_b64 s[18:19], exec, s[18:19]
; %bb.1496:
	v_bfe_u32 v1, v0, 21, 1
	s_mov_b32 s20, 0x80fffff
	v_add3_u32 v0, v0, v1, s20
	v_lshrrev_b32_e32 v1, 21, v0
                                        ; implicit-def: $vgpr0
; %bb.1497:
	s_andn2_saveexec_b64 s[18:19], s[18:19]
; %bb.1498:
	v_add_f32_e32 v1, 0x43000000, v0
; %bb.1499:
	s_or_b64 exec, exec, s[18:19]
                                        ; implicit-def: $vgpr0
.LBB332_1500:
	s_andn2_saveexec_b64 s[14:15], s[14:15]
; %bb.1501:
	s_mov_b32 s18, 0x7f800000
	v_mov_b32_e32 v1, 0x7c
	v_mov_b32_e32 v4, 0x7f
	v_cmp_lt_u32_e32 vcc, s18, v0
	v_cndmask_b32_e32 v1, v1, v4, vcc
; %bb.1502:
	s_or_b64 exec, exec, s[14:15]
	global_store_byte v[2:3], v1, off
.LBB332_1503:
	s_mov_b64 s[14:15], 0
.LBB332_1504:
	s_andn2_b64 vcc, exec, s[14:15]
	s_mov_b64 s[14:15], 0
	s_cbranch_vccnz .LBB332_1516
; %bb.1505:
	s_cmp_gt_i32 s22, 14
	s_mov_b64 s[18:19], -1
	s_cbranch_scc0 .LBB332_1509
; %bb.1506:
	s_cmp_eq_u32 s22, 15
	s_mov_b64 s[0:1], -1
	s_cbranch_scc0 .LBB332_1508
; %bb.1507:
	v_cndmask_b32_e64 v0, 0, 1.0, s[12:13]
	v_bfe_u32 v1, v0, 16, 1
	s_movk_i32 s0, 0x7fff
	v_add3_u32 v0, v0, v1, s0
	global_store_short_d16_hi v[2:3], v0, off
	s_mov_b64 s[0:1], 0
.LBB332_1508:
	s_mov_b64 s[18:19], 0
.LBB332_1509:
	s_and_b64 vcc, exec, s[18:19]
	s_cbranch_vccz .LBB332_1516
; %bb.1510:
	s_cmp_lg_u32 s22, 11
	s_cselect_b64 s[18:19], -1, 0
	s_andn2_b64 s[0:1], s[0:1], exec
	s_and_b64 s[18:19], s[18:19], exec
	s_mov_b64 s[14:15], -1
	s_or_b64 s[0:1], s[0:1], s[18:19]
	s_branch .LBB332_1516
.LBB332_1511:
	s_or_b64 exec, exec, s[16:17]
	s_and_saveexec_b64 s[0:1], s[40:41]
	s_cbranch_execnz .LBB332_1517
.LBB332_1512:
	s_or_b64 exec, exec, s[0:1]
	s_and_saveexec_b64 s[0:1], s[22:23]
	s_xor_b64 s[0:1], exec, s[0:1]
	s_cbranch_execz .LBB332_1518
.LBB332_1513:
	v_cndmask_b32_e64 v0, 0, 1, s[12:13]
	s_waitcnt vmcnt(0)
	global_store_byte v[2:3], v0, off
	s_or_b64 exec, exec, s[0:1]
	s_and_saveexec_b64 s[0:1], s[20:21]
	s_xor_b64 s[0:1], exec, s[0:1]
	s_cbranch_execz .LBB332_1556
	s_branch .LBB332_1519
.LBB332_1514:
	s_mov_b64 s[14:15], 0
	s_mov_b64 s[8:9], -1
	s_mov_b64 s[0:1], s[40:41]
	s_branch .LBB332_1516
.LBB332_1515:
	s_mov_b64 s[14:15], 0
.LBB332_1516:
	s_and_b64 s[20:21], s[8:9], exec
	s_andn2_b64 s[8:9], s[40:41], exec
	s_and_b64 s[0:1], s[0:1], exec
	s_and_b64 s[22:23], s[14:15], exec
	s_or_b64 s[40:41], s[8:9], s[0:1]
	s_or_b64 exec, exec, s[16:17]
	s_and_saveexec_b64 s[0:1], s[40:41]
	s_cbranch_execz .LBB332_1512
.LBB332_1517:
	s_or_b64 s[10:11], s[10:11], exec
	s_andn2_b64 s[22:23], s[22:23], exec
	s_trap 2
	s_or_b64 exec, exec, s[0:1]
	s_and_saveexec_b64 s[0:1], s[22:23]
	s_xor_b64 s[0:1], exec, s[0:1]
	s_cbranch_execnz .LBB332_1513
.LBB332_1518:
	s_or_b64 exec, exec, s[0:1]
	s_and_saveexec_b64 s[0:1], s[20:21]
	s_xor_b64 s[0:1], exec, s[0:1]
	s_cbranch_execz .LBB332_1556
.LBB332_1519:
	s_sext_i32_i16 s14, s30
	s_cmp_lt_i32 s14, 5
	s_mov_b64 s[8:9], -1
	s_cbranch_scc1 .LBB332_1540
; %bb.1520:
	s_cmp_lt_i32 s14, 8
	s_cbranch_scc1 .LBB332_1530
; %bb.1521:
	s_cmp_lt_i32 s14, 9
	s_cbranch_scc1 .LBB332_1527
; %bb.1522:
	s_cmp_gt_i32 s14, 9
	s_cbranch_scc0 .LBB332_1524
; %bb.1523:
	v_cndmask_b32_e64 v0, 0, 1, s[12:13]
	s_waitcnt vmcnt(0)
	v_cvt_f64_u32_e32 v[4:5], v0
	v_mov_b32_e32 v6, 0
	v_mov_b32_e32 v7, v6
	s_mov_b64 s[8:9], 0
	global_store_dwordx4 v[2:3], v[4:7], off
.LBB332_1524:
	s_andn2_b64 vcc, exec, s[8:9]
	s_cbranch_vccnz .LBB332_1526
; %bb.1525:
	v_cndmask_b32_e64 v0, 0, 1.0, s[12:13]
	s_waitcnt vmcnt(0)
	v_mov_b32_e32 v1, 0
	global_store_dwordx2 v[2:3], v[0:1], off
.LBB332_1526:
	s_mov_b64 s[8:9], 0
.LBB332_1527:
	s_andn2_b64 vcc, exec, s[8:9]
	s_cbranch_vccnz .LBB332_1529
; %bb.1528:
	v_cndmask_b32_e64 v0, 0, 1.0, s[12:13]
	v_cvt_f16_f32_e32 v0, v0
	s_waitcnt vmcnt(0)
	global_store_dword v[2:3], v0, off
.LBB332_1529:
	s_mov_b64 s[8:9], 0
.LBB332_1530:
	s_andn2_b64 vcc, exec, s[8:9]
	s_cbranch_vccnz .LBB332_1539
; %bb.1531:
	s_sext_i32_i16 s14, s30
	s_cmp_lt_i32 s14, 6
	s_mov_b64 s[8:9], -1
	s_cbranch_scc1 .LBB332_1537
; %bb.1532:
	s_cmp_gt_i32 s14, 6
	s_cbranch_scc0 .LBB332_1534
; %bb.1533:
	v_cndmask_b32_e64 v0, 0, 1, s[12:13]
	s_waitcnt vmcnt(0)
	v_cvt_f64_u32_e32 v[0:1], v0
	s_mov_b64 s[8:9], 0
	global_store_dwordx2 v[2:3], v[0:1], off
.LBB332_1534:
	s_andn2_b64 vcc, exec, s[8:9]
	s_cbranch_vccnz .LBB332_1536
; %bb.1535:
	v_cndmask_b32_e64 v0, 0, 1.0, s[12:13]
	s_waitcnt vmcnt(0)
	global_store_dword v[2:3], v0, off
.LBB332_1536:
	s_mov_b64 s[8:9], 0
.LBB332_1537:
	s_andn2_b64 vcc, exec, s[8:9]
	s_cbranch_vccnz .LBB332_1539
; %bb.1538:
	v_cndmask_b32_e64 v0, 0, 1.0, s[12:13]
	v_cvt_f16_f32_e32 v0, v0
	s_waitcnt vmcnt(0)
	global_store_short v[2:3], v0, off
.LBB332_1539:
	s_mov_b64 s[8:9], 0
.LBB332_1540:
	s_andn2_b64 vcc, exec, s[8:9]
	s_cbranch_vccnz .LBB332_1556
; %bb.1541:
	s_sext_i32_i16 s14, s30
	s_cmp_lt_i32 s14, 2
	s_mov_b64 s[8:9], -1
	s_cbranch_scc1 .LBB332_1551
; %bb.1542:
	s_cmp_lt_i32 s14, 3
	s_cbranch_scc1 .LBB332_1548
; %bb.1543:
	s_cmp_gt_i32 s14, 3
	s_cbranch_scc0 .LBB332_1545
; %bb.1544:
	s_mov_b32 s8, 0
	v_cndmask_b32_e64 v0, 0, 1, s[12:13]
	s_waitcnt vmcnt(0)
	v_mov_b32_e32 v1, s8
	s_mov_b64 s[8:9], 0
	global_store_dwordx2 v[2:3], v[0:1], off
.LBB332_1545:
	s_andn2_b64 vcc, exec, s[8:9]
	s_cbranch_vccnz .LBB332_1547
; %bb.1546:
	v_cndmask_b32_e64 v0, 0, 1, s[12:13]
	s_waitcnt vmcnt(0)
	global_store_dword v[2:3], v0, off
.LBB332_1547:
	s_mov_b64 s[8:9], 0
.LBB332_1548:
	s_andn2_b64 vcc, exec, s[8:9]
	s_cbranch_vccnz .LBB332_1550
; %bb.1549:
	v_cndmask_b32_e64 v0, 0, 1, s[12:13]
	s_waitcnt vmcnt(0)
	global_store_short v[2:3], v0, off
.LBB332_1550:
	s_mov_b64 s[8:9], 0
.LBB332_1551:
	s_andn2_b64 vcc, exec, s[8:9]
	s_cbranch_vccnz .LBB332_1556
; %bb.1552:
	s_sext_i32_i16 s14, s30
	s_mov_b64 s[8:9], -1
	s_cmp_gt_i32 s14, 0
	v_cndmask_b32_e64 v0, 0, 1, s[12:13]
	s_cbranch_scc0 .LBB332_1554
; %bb.1553:
	s_mov_b64 s[8:9], 0
	s_waitcnt vmcnt(0)
	global_store_byte v[2:3], v0, off
.LBB332_1554:
	s_andn2_b64 vcc, exec, s[8:9]
	s_cbranch_vccnz .LBB332_1556
; %bb.1555:
	s_waitcnt vmcnt(0)
	global_store_byte v[2:3], v0, off
.LBB332_1556:
	s_or_b64 exec, exec, s[0:1]
	s_and_b64 s[12:13], s[10:11], exec
                                        ; implicit-def: $vgpr21
                                        ; implicit-def: $vgpr10
.LBB332_1557:
	s_or_saveexec_b64 s[14:15], s[26:27]
	s_mov_b64 s[0:1], 0
                                        ; implicit-def: $sgpr10_sgpr11
                                        ; implicit-def: $vgpr0_vgpr1
                                        ; implicit-def: $sgpr22
	s_xor_b64 exec, exec, s[14:15]
	s_cbranch_execz .LBB332_3038
; %bb.1558:
	v_cndmask_b32_e64 v0, 0, 1, s[24:25]
	v_cmp_ne_u32_e64 s[0:1], 1, v0
	s_andn2_b64 vcc, exec, s[24:25]
	s_cbranch_vccnz .LBB332_1564
; %bb.1559:
	s_cmp_lg_u32 s33, 0
	s_cbranch_scc0 .LBB332_1565
; %bb.1560:
	s_min_u32 s8, s72, 15
	s_add_i32 s6, s8, 1
	s_and_b32 s9, s6, 30
	s_add_u32 s6, s2, 0xffffffe8
	s_addc_u32 s7, s3, -1
	v_mov_b32_e32 v13, 0
	v_mov_b32_e32 v8, 0
	s_waitcnt vmcnt(0)
	v_mov_b32_e32 v6, 0
	v_mov_b32_e32 v0, v10
.LBB332_1561:                           ; =>This Inner Loop Header: Depth=1
	s_load_dwordx4 s[16:19], s[6:7], 0x1c
	s_load_dwordx2 s[10:11], s[6:7], 0x2c
	s_load_dwordx2 s[24:25], s[6:7], 0xec
	s_load_dwordx4 s[20:23], s[6:7], 0xdc
	s_add_u32 s6, s6, 24
	s_waitcnt lgkmcnt(0)
	v_mul_hi_u32 v1, s17, v0
	s_addc_u32 s7, s7, 0
	s_add_i32 s9, s9, -2
	s_cmp_lg_u32 s9, 0
	v_add_u32_e32 v1, v0, v1
	v_lshrrev_b32_e32 v1, s18, v1
	v_mul_lo_u32 v2, v1, s16
	v_mul_hi_u32 v3, s10, v1
	v_sub_u32_e32 v2, v0, v2
	v_add_u32_e32 v0, v1, v3
	v_lshrrev_b32_e32 v0, s11, v0
	v_mul_lo_u32 v5, v0, s19
	v_mul_lo_u32 v3, v2, s20
	;; [unrolled: 1-line block ×4, first 2 shown]
	v_sub_u32_e32 v1, v1, v5
	v_mul_lo_u32 v5, v1, s23
	v_mul_lo_u32 v7, v1, s24
	;; [unrolled: 1-line block ×3, first 2 shown]
	v_add3_u32 v6, v3, v6, v5
	v_add3_u32 v8, v4, v8, v7
	;; [unrolled: 1-line block ×3, first 2 shown]
	s_cbranch_scc1 .LBB332_1561
; %bb.1562:
	s_bitcmp1_b32 s8, 0
	s_cselect_b64 s[8:9], -1, 0
	s_and_b64 vcc, exec, s[8:9]
	s_cbranch_vccnz .LBB332_1566
; %bb.1563:
	s_load_dwordx2 s[8:9], s[6:7], 0x1c
	s_load_dword s16, s[6:7], 0x24
	s_load_dwordx2 s[10:11], s[6:7], 0xdc
	s_waitcnt lgkmcnt(0)
	v_mul_hi_u32 v1, s9, v0
	v_add_u32_e32 v1, v0, v1
	v_lshrrev_b32_e32 v1, s16, v1
	v_mul_lo_u32 v1, v1, s8
	s_load_dword s8, s[6:7], 0xe4
	v_sub_u32_e32 v0, v0, v1
	v_mad_u64_u32 v[6:7], s[6:7], v0, s10, v[6:7]
	v_mad_u64_u32 v[8:9], s[6:7], v0, s11, v[8:9]
	s_waitcnt lgkmcnt(0)
	v_mad_u64_u32 v[13:14], s[6:7], v0, s8, v[13:14]
	s_cbranch_execz .LBB332_1567
	s_branch .LBB332_1569
.LBB332_1564:
                                        ; implicit-def: $vgpr6
                                        ; implicit-def: $vgpr8
                                        ; implicit-def: $vgpr13
	s_branch .LBB332_1567
.LBB332_1565:
	s_waitcnt vmcnt(0)
	v_mov_b32_e32 v6, 0
	v_mov_b32_e32 v8, 0
	;; [unrolled: 1-line block ×3, first 2 shown]
.LBB332_1566:
	s_cbranch_execnz .LBB332_1569
.LBB332_1567:
	s_load_dwordx4 s[8:11], s[2:3], 0x4
	s_load_dwordx4 s[16:19], s[2:3], 0xc4
	s_cmp_lt_u32 s33, 2
	s_waitcnt lgkmcnt(0)
	v_mul_hi_u32 v0, s9, v10
	v_add_u32_e32 v0, v10, v0
	v_lshrrev_b32_e32 v0, s10, v0
	s_waitcnt vmcnt(0)
	v_mul_lo_u32 v1, v0, s8
	v_sub_u32_e32 v1, v10, v1
	v_mul_lo_u32 v6, v1, s16
	v_mul_lo_u32 v8, v1, s17
	;; [unrolled: 1-line block ×3, first 2 shown]
	s_cbranch_scc1 .LBB332_1569
; %bb.1568:
	s_load_dwordx4 s[8:11], s[2:3], 0x10
	s_load_dwordx4 s[16:19], s[2:3], 0xd0
	s_waitcnt lgkmcnt(0)
	v_mul_hi_u32 v1, s9, v0
	v_add_u32_e32 v1, v0, v1
	v_lshrrev_b32_e32 v1, s10, v1
	v_mul_lo_u32 v1, v1, s8
	v_sub_u32_e32 v0, v0, v1
	v_mad_u64_u32 v[6:7], s[6:7], v0, s16, v[6:7]
	v_mad_u64_u32 v[8:9], s[6:7], v0, s17, v[8:9]
	;; [unrolled: 1-line block ×3, first 2 shown]
.LBB332_1569:
	s_and_b64 vcc, exec, s[0:1]
	v_add_u32_e32 v0, 0x80, v10
	s_cbranch_vccnz .LBB332_1575
; %bb.1570:
	s_cmp_lg_u32 s33, 0
	s_cbranch_scc0 .LBB332_1576
; %bb.1571:
	s_min_u32 s8, s72, 15
	s_add_i32 s6, s8, 1
	s_and_b32 s9, s6, 30
	s_add_u32 s6, s2, 0xffffffe8
	s_addc_u32 s7, s3, -1
	v_mov_b32_e32 v18, 0
	v_mov_b32_e32 v11, 0
	s_waitcnt vmcnt(0)
	v_mov_b32_e32 v4, 0
	v_mov_b32_e32 v1, v0
.LBB332_1572:                           ; =>This Inner Loop Header: Depth=1
	s_load_dwordx4 s[16:19], s[6:7], 0x1c
	s_load_dwordx2 s[10:11], s[6:7], 0x2c
	s_load_dwordx2 s[24:25], s[6:7], 0xec
	s_load_dwordx4 s[20:23], s[6:7], 0xdc
	s_add_u32 s6, s6, 24
	s_waitcnt lgkmcnt(0)
	v_mul_hi_u32 v2, s17, v1
	s_addc_u32 s7, s7, 0
	s_add_i32 s9, s9, -2
	s_cmp_lg_u32 s9, 0
	v_add_u32_e32 v2, v1, v2
	v_lshrrev_b32_e32 v2, s18, v2
	v_mul_lo_u32 v3, v2, s16
	v_mul_hi_u32 v5, s10, v2
	v_sub_u32_e32 v3, v1, v3
	v_add_u32_e32 v1, v2, v5
	v_lshrrev_b32_e32 v1, s11, v1
	v_mul_lo_u32 v9, v1, s19
	v_mul_lo_u32 v5, v3, s20
	;; [unrolled: 1-line block ×4, first 2 shown]
	v_sub_u32_e32 v2, v2, v9
	v_mul_lo_u32 v9, v2, s23
	v_mul_lo_u32 v12, v2, s24
	v_mul_lo_u32 v2, v2, s25
	v_add3_u32 v4, v5, v4, v9
	v_add3_u32 v11, v7, v11, v12
	;; [unrolled: 1-line block ×3, first 2 shown]
	s_cbranch_scc1 .LBB332_1572
; %bb.1573:
	s_bitcmp1_b32 s8, 0
	s_cselect_b64 s[8:9], -1, 0
	s_and_b64 vcc, exec, s[8:9]
	s_cbranch_vccnz .LBB332_1577
; %bb.1574:
	s_load_dwordx2 s[8:9], s[6:7], 0x1c
	s_load_dword s16, s[6:7], 0x24
	s_load_dwordx2 s[10:11], s[6:7], 0xdc
	s_waitcnt lgkmcnt(0)
	v_mul_hi_u32 v2, s9, v1
	v_add_u32_e32 v2, v1, v2
	v_lshrrev_b32_e32 v2, s16, v2
	v_mul_lo_u32 v2, v2, s8
	s_load_dword s8, s[6:7], 0xe4
	v_sub_u32_e32 v1, v1, v2
	v_mad_u64_u32 v[4:5], s[6:7], v1, s10, v[4:5]
	v_mad_u64_u32 v[11:12], s[6:7], v1, s11, v[11:12]
	s_waitcnt lgkmcnt(0)
	v_mad_u64_u32 v[18:19], s[6:7], v1, s8, v[18:19]
	s_cbranch_execz .LBB332_1578
	s_branch .LBB332_1580
.LBB332_1575:
                                        ; implicit-def: $vgpr4
                                        ; implicit-def: $vgpr11
                                        ; implicit-def: $vgpr18
	s_branch .LBB332_1578
.LBB332_1576:
	s_waitcnt vmcnt(0)
	v_mov_b32_e32 v4, 0
	v_mov_b32_e32 v11, 0
	;; [unrolled: 1-line block ×3, first 2 shown]
.LBB332_1577:
	s_cbranch_execnz .LBB332_1580
.LBB332_1578:
	s_load_dwordx4 s[8:11], s[2:3], 0x4
	s_load_dwordx4 s[16:19], s[2:3], 0xc4
	s_cmp_lt_u32 s33, 2
	s_waitcnt vmcnt(0) lgkmcnt(0)
	v_mul_hi_u32 v1, s9, v0
	v_add_u32_e32 v1, v0, v1
	v_lshrrev_b32_e32 v1, s10, v1
	v_mul_lo_u32 v2, v1, s8
	v_sub_u32_e32 v0, v0, v2
	v_mul_lo_u32 v4, v0, s16
	v_mul_lo_u32 v11, v0, s17
	v_mul_lo_u32 v18, v0, s18
	s_cbranch_scc1 .LBB332_1580
; %bb.1579:
	s_load_dwordx4 s[8:11], s[2:3], 0x10
	s_load_dwordx4 s[16:19], s[2:3], 0xd0
	s_waitcnt lgkmcnt(0)
	v_mul_hi_u32 v0, s9, v1
	v_add_u32_e32 v0, v1, v0
	v_lshrrev_b32_e32 v0, s10, v0
	v_mul_lo_u32 v0, v0, s8
	v_sub_u32_e32 v0, v1, v0
	v_mad_u64_u32 v[4:5], s[6:7], v0, s16, v[4:5]
	v_mad_u64_u32 v[11:12], s[6:7], v0, s17, v[11:12]
	;; [unrolled: 1-line block ×3, first 2 shown]
.LBB332_1580:
	s_and_b64 vcc, exec, s[0:1]
	v_add_u32_e32 v0, 0x100, v10
	s_cbranch_vccnz .LBB332_1586
; %bb.1581:
	s_cmp_lg_u32 s33, 0
	s_cbranch_scc0 .LBB332_1587
; %bb.1582:
	s_min_u32 s8, s72, 15
	s_add_i32 s6, s8, 1
	s_and_b32 s9, s6, 30
	s_add_u32 s6, s2, 0xffffffe8
	s_addc_u32 s7, s3, -1
	v_mov_b32_e32 v19, 0
	v_mov_b32_e32 v16, 0
	s_waitcnt vmcnt(0)
	v_mov_b32_e32 v2, 0
	v_mov_b32_e32 v1, v0
.LBB332_1583:                           ; =>This Inner Loop Header: Depth=1
	s_load_dwordx4 s[16:19], s[6:7], 0x1c
	s_load_dwordx2 s[10:11], s[6:7], 0x2c
	s_load_dwordx2 s[24:25], s[6:7], 0xec
	s_load_dwordx4 s[20:23], s[6:7], 0xdc
	s_add_u32 s6, s6, 24
	s_waitcnt lgkmcnt(0)
	v_mul_hi_u32 v3, s17, v1
	s_addc_u32 s7, s7, 0
	s_add_i32 s9, s9, -2
	s_cmp_lg_u32 s9, 0
	v_add_u32_e32 v3, v1, v3
	v_lshrrev_b32_e32 v3, s18, v3
	v_mul_lo_u32 v5, v3, s16
	v_mul_hi_u32 v7, s10, v3
	v_sub_u32_e32 v5, v1, v5
	v_add_u32_e32 v1, v3, v7
	v_lshrrev_b32_e32 v1, s11, v1
	v_mul_lo_u32 v10, v1, s19
	v_mul_lo_u32 v7, v5, s20
	;; [unrolled: 1-line block ×4, first 2 shown]
	v_sub_u32_e32 v3, v3, v10
	v_mul_lo_u32 v10, v3, s23
	v_mul_lo_u32 v12, v3, s24
	;; [unrolled: 1-line block ×3, first 2 shown]
	v_add3_u32 v2, v7, v2, v10
	v_add3_u32 v16, v9, v16, v12
	;; [unrolled: 1-line block ×3, first 2 shown]
	s_cbranch_scc1 .LBB332_1583
; %bb.1584:
	s_bitcmp1_b32 s8, 0
	s_cselect_b64 s[8:9], -1, 0
	s_and_b64 vcc, exec, s[8:9]
	s_cbranch_vccnz .LBB332_1588
; %bb.1585:
	s_load_dwordx2 s[8:9], s[6:7], 0x1c
	s_load_dword s16, s[6:7], 0x24
	s_load_dwordx2 s[10:11], s[6:7], 0xdc
	s_waitcnt lgkmcnt(0)
	v_mul_hi_u32 v3, s9, v1
	v_add_u32_e32 v3, v1, v3
	v_lshrrev_b32_e32 v3, s16, v3
	v_mul_lo_u32 v3, v3, s8
	s_load_dword s8, s[6:7], 0xe4
	v_sub_u32_e32 v1, v1, v3
	v_mad_u64_u32 v[2:3], s[6:7], v1, s10, v[2:3]
	v_mad_u64_u32 v[16:17], s[6:7], v1, s11, v[16:17]
	s_waitcnt lgkmcnt(0)
	v_mad_u64_u32 v[19:20], s[6:7], v1, s8, v[19:20]
	s_cbranch_execz .LBB332_1589
	s_branch .LBB332_1591
.LBB332_1586:
                                        ; implicit-def: $vgpr2
                                        ; implicit-def: $vgpr16
                                        ; implicit-def: $vgpr19
	s_branch .LBB332_1589
.LBB332_1587:
	s_waitcnt vmcnt(0)
	v_mov_b32_e32 v2, 0
	v_mov_b32_e32 v16, 0
	;; [unrolled: 1-line block ×3, first 2 shown]
.LBB332_1588:
	s_cbranch_execnz .LBB332_1591
.LBB332_1589:
	s_load_dwordx4 s[8:11], s[2:3], 0x4
	s_load_dwordx4 s[16:19], s[2:3], 0xc4
	s_cmp_lt_u32 s33, 2
	s_waitcnt vmcnt(0) lgkmcnt(0)
	v_mul_hi_u32 v1, s9, v0
	v_add_u32_e32 v1, v0, v1
	v_lshrrev_b32_e32 v1, s10, v1
	v_mul_lo_u32 v2, v1, s8
	v_sub_u32_e32 v0, v0, v2
	v_mul_lo_u32 v2, v0, s16
	v_mul_lo_u32 v16, v0, s17
	;; [unrolled: 1-line block ×3, first 2 shown]
	s_cbranch_scc1 .LBB332_1591
; %bb.1590:
	s_load_dwordx4 s[8:11], s[2:3], 0x10
	s_load_dwordx4 s[16:19], s[2:3], 0xd0
	s_waitcnt lgkmcnt(0)
	v_mul_hi_u32 v0, s9, v1
	v_add_u32_e32 v0, v1, v0
	v_lshrrev_b32_e32 v0, s10, v0
	v_mul_lo_u32 v0, v0, s8
	v_sub_u32_e32 v0, v1, v0
	v_mad_u64_u32 v[2:3], s[6:7], v0, s16, v[2:3]
	v_mad_u64_u32 v[16:17], s[6:7], v0, s17, v[16:17]
	;; [unrolled: 1-line block ×3, first 2 shown]
.LBB332_1591:
	s_and_b64 vcc, exec, s[0:1]
	s_cbranch_vccnz .LBB332_1597
; %bb.1592:
	s_cmp_lg_u32 s33, 0
	s_cbranch_scc0 .LBB332_1598
; %bb.1593:
	s_min_u32 s6, s72, 15
	s_add_i32 s0, s6, 1
	s_and_b32 s7, s0, 30
	s_add_u32 s0, s2, 0xffffffe8
	s_addc_u32 s1, s3, -1
	v_mov_b32_e32 v9, 0
	v_mov_b32_e32 v14, 0
	;; [unrolled: 1-line block ×3, first 2 shown]
	s_waitcnt vmcnt(0)
	v_mov_b32_e32 v1, v21
.LBB332_1594:                           ; =>This Inner Loop Header: Depth=1
	s_load_dwordx4 s[8:11], s[0:1], 0x1c
	s_load_dwordx2 s[20:21], s[0:1], 0x2c
	s_load_dwordx2 s[22:23], s[0:1], 0xec
	s_load_dwordx4 s[16:19], s[0:1], 0xdc
	s_add_u32 s0, s0, 24
	s_waitcnt lgkmcnt(0)
	v_mul_hi_u32 v3, s9, v1
	s_addc_u32 s1, s1, 0
	s_add_i32 s7, s7, -2
	s_cmp_lg_u32 s7, 0
	v_add_u32_e32 v3, v1, v3
	v_lshrrev_b32_e32 v3, s10, v3
	v_mul_lo_u32 v5, v3, s8
	v_mul_hi_u32 v7, s20, v3
	v_sub_u32_e32 v5, v1, v5
	v_add_u32_e32 v1, v3, v7
	v_lshrrev_b32_e32 v1, s21, v1
	v_mul_lo_u32 v12, v1, s11
	v_mul_lo_u32 v7, v5, s16
	;; [unrolled: 1-line block ×4, first 2 shown]
	v_sub_u32_e32 v3, v3, v12
	v_mul_lo_u32 v12, v3, s19
	v_mul_lo_u32 v15, v3, s22
	;; [unrolled: 1-line block ×3, first 2 shown]
	v_add3_u32 v0, v7, v0, v12
	v_add3_u32 v14, v10, v14, v15
	;; [unrolled: 1-line block ×3, first 2 shown]
	s_cbranch_scc1 .LBB332_1594
; %bb.1595:
	s_bitcmp1_b32 s6, 0
	s_cselect_b64 s[6:7], -1, 0
	s_and_b64 vcc, exec, s[6:7]
	s_cbranch_vccnz .LBB332_1599
; %bb.1596:
	s_load_dwordx2 s[6:7], s[0:1], 0x1c
	s_load_dword s10, s[0:1], 0x24
	s_load_dwordx2 s[8:9], s[0:1], 0xdc
	s_waitcnt lgkmcnt(0)
	v_mul_hi_u32 v3, s7, v1
	v_add_u32_e32 v3, v1, v3
	v_lshrrev_b32_e32 v3, s10, v3
	v_mul_lo_u32 v3, v3, s6
	s_load_dword s6, s[0:1], 0xe4
	v_sub_u32_e32 v3, v1, v3
	v_mad_u64_u32 v[0:1], s[0:1], v3, s8, v[0:1]
	v_mad_u64_u32 v[14:15], s[0:1], v3, s9, v[14:15]
	s_waitcnt lgkmcnt(0)
	v_mad_u64_u32 v[9:10], s[0:1], v3, s6, v[9:10]
	s_cbranch_execz .LBB332_1600
	s_branch .LBB332_1602
.LBB332_1597:
                                        ; implicit-def: $vgpr0
                                        ; implicit-def: $vgpr14
                                        ; implicit-def: $vgpr9
	s_branch .LBB332_1600
.LBB332_1598:
	v_mov_b32_e32 v0, 0
	v_mov_b32_e32 v14, 0
	;; [unrolled: 1-line block ×3, first 2 shown]
.LBB332_1599:
	s_cbranch_execnz .LBB332_1602
.LBB332_1600:
	s_load_dwordx4 s[8:11], s[2:3], 0x4
	s_load_dwordx4 s[16:19], s[2:3], 0xc4
	s_cmp_lt_u32 s33, 2
	s_waitcnt lgkmcnt(0)
	v_mul_hi_u32 v0, s9, v21
	v_add_u32_e32 v0, v21, v0
	s_waitcnt vmcnt(0)
	v_lshrrev_b32_e32 v1, s10, v0
	v_mul_lo_u32 v0, v1, s8
	v_sub_u32_e32 v3, v21, v0
	v_mul_lo_u32 v0, v3, s16
	v_mul_lo_u32 v14, v3, s17
	;; [unrolled: 1-line block ×3, first 2 shown]
	s_cbranch_scc1 .LBB332_1602
; %bb.1601:
	s_load_dwordx4 s[8:11], s[2:3], 0x10
	s_load_dwordx4 s[16:19], s[2:3], 0xd0
	s_waitcnt lgkmcnt(0)
	v_mul_hi_u32 v3, s9, v1
	v_add_u32_e32 v3, v1, v3
	v_lshrrev_b32_e32 v3, s10, v3
	v_mul_lo_u32 v3, v3, s8
	v_sub_u32_e32 v3, v1, v3
	v_mad_u64_u32 v[0:1], s[0:1], v3, s16, v[0:1]
	v_mad_u64_u32 v[14:15], s[0:1], v3, s17, v[14:15]
	;; [unrolled: 1-line block ×3, first 2 shown]
.LBB332_1602:
	s_load_dwordx4 s[8:11], s[2:3], 0x188
	s_load_dword s23, s[4:5], 0x1ac
	s_waitcnt vmcnt(0) lgkmcnt(0)
	v_mov_b32_e32 v1, s11
	s_bfe_u32 s18, s23, 0x80008
	v_add_co_u32_e32 v20, vcc, s10, v8
	s_cmp_lt_i32 s18, 11
	v_addc_co_u32_e32 v21, vcc, 0, v1, vcc
	s_cbranch_scc1 .LBB332_1609
; %bb.1603:
	s_and_b32 s19, 0xffff, s18
	s_cmp_gt_i32 s19, 25
	s_mov_b64 s[6:7], 0
	s_cbranch_scc0 .LBB332_1611
; %bb.1604:
	s_cmp_gt_i32 s19, 28
	s_cbranch_scc0 .LBB332_1612
; %bb.1605:
	s_cmp_gt_i32 s19, 43
	;; [unrolled: 3-line block ×3, first 2 shown]
	s_cbranch_scc0 .LBB332_1614
; %bb.1607:
	s_cmp_eq_u32 s19, 46
	s_mov_b64 s[4:5], 0
	s_cbranch_scc0 .LBB332_1617
; %bb.1608:
	global_load_dword v1, v[20:21], off
	s_mov_b64 s[0:1], 0
	s_mov_b64 s[16:17], -1
	s_waitcnt vmcnt(0)
	v_lshlrev_b32_e32 v1, 16, v1
	v_cvt_u32_f32_e32 v7, v1
	s_branch .LBB332_1618
.LBB332_1609:
	s_mov_b64 s[16:17], 0
                                        ; implicit-def: $vgpr7
	s_mov_b64 s[4:5], s[12:13]
	s_cbranch_execnz .LBB332_1676
.LBB332_1610:
	s_andn2_b64 vcc, exec, s[16:17]
	s_cbranch_vccz .LBB332_1721
	s_branch .LBB332_3036
.LBB332_1611:
	s_mov_b64 s[16:17], 0
	s_mov_b64 s[0:1], 0
                                        ; implicit-def: $vgpr7
	s_cbranch_execnz .LBB332_1643
	s_branch .LBB332_1672
.LBB332_1612:
	s_mov_b64 s[16:17], 0
	s_mov_b64 s[0:1], 0
                                        ; implicit-def: $vgpr7
	s_cbranch_execz .LBB332_1642
	s_branch .LBB332_1627
.LBB332_1613:
	s_mov_b64 s[16:17], 0
	s_mov_b64 s[0:1], 0
                                        ; implicit-def: $vgpr7
	s_cbranch_execnz .LBB332_1623
	s_branch .LBB332_1626
.LBB332_1614:
	s_mov_b64 s[4:5], -1
	s_mov_b64 s[16:17], 0
	s_mov_b64 s[0:1], 0
                                        ; implicit-def: $vgpr7
	s_branch .LBB332_1618
.LBB332_1615:
	s_andn2_saveexec_b64 s[18:19], s[18:19]
	s_cbranch_execz .LBB332_1466
.LBB332_1616:
	v_add_f32_e32 v0, 0x46000000, v1
	v_and_b32_e32 v0, 0xff, v0
	v_cmp_ne_u32_e32 vcc, 0, v0
	s_andn2_b64 s[14:15], s[14:15], exec
	s_and_b64 s[20:21], vcc, exec
	s_or_b64 s[14:15], s[14:15], s[20:21]
	s_or_b64 exec, exec, s[18:19]
	v_mov_b32_e32 v4, 0
	s_and_saveexec_b64 s[18:19], s[14:15]
	s_cbranch_execnz .LBB332_1467
	s_branch .LBB332_1468
.LBB332_1617:
	s_mov_b64 s[0:1], -1
                                        ; implicit-def: $vgpr7
	s_mov_b64 s[16:17], 0
.LBB332_1618:
	s_and_b64 vcc, exec, s[4:5]
	s_cbranch_vccz .LBB332_1621
; %bb.1619:
	s_cmp_eq_u32 s19, 44
	s_cbranch_scc0 .LBB332_1622
; %bb.1620:
	global_load_ubyte v1, v[20:21], off
	s_mov_b64 s[0:1], 0
	s_mov_b64 s[16:17], -1
	s_waitcnt vmcnt(0)
	v_lshlrev_b32_e32 v3, 23, v1
	v_cvt_u32_f32_e32 v3, v3
	v_cmp_ne_u32_e32 vcc, 0, v1
	v_cndmask_b32_e32 v7, 0, v3, vcc
.LBB332_1621:
	s_branch .LBB332_1626
.LBB332_1622:
	s_mov_b64 s[0:1], -1
                                        ; implicit-def: $vgpr7
	s_branch .LBB332_1626
.LBB332_1623:
	s_cmp_eq_u32 s19, 29
	s_cbranch_scc0 .LBB332_1625
; %bb.1624:
	global_load_dwordx2 v[7:8], v[20:21], off
	s_mov_b64 s[0:1], 0
	s_mov_b64 s[16:17], -1
	s_branch .LBB332_1626
.LBB332_1625:
	s_mov_b64 s[0:1], -1
                                        ; implicit-def: $vgpr7
.LBB332_1626:
	s_branch .LBB332_1642
.LBB332_1627:
	s_cmp_lt_i32 s19, 27
	s_cbranch_scc1 .LBB332_1630
; %bb.1628:
	s_cmp_gt_i32 s19, 27
	s_cbranch_scc0 .LBB332_1631
; %bb.1629:
	global_load_dword v7, v[20:21], off
	s_mov_b64 s[4:5], 0
	s_branch .LBB332_1632
.LBB332_1630:
	s_mov_b64 s[4:5], -1
                                        ; implicit-def: $vgpr7
	s_branch .LBB332_1635
.LBB332_1631:
	s_mov_b64 s[4:5], -1
                                        ; implicit-def: $vgpr7
.LBB332_1632:
	s_andn2_b64 vcc, exec, s[4:5]
	s_cbranch_vccnz .LBB332_1634
; %bb.1633:
	global_load_ushort v7, v[20:21], off
.LBB332_1634:
	s_mov_b64 s[4:5], 0
.LBB332_1635:
	s_andn2_b64 vcc, exec, s[4:5]
	s_cbranch_vccnz .LBB332_1641
; %bb.1636:
	global_load_ubyte v1, v[20:21], off
	s_movk_i32 s4, 0x7f
	s_mov_b64 s[16:17], 0
	s_waitcnt vmcnt(0)
	v_cmp_lt_i16_e32 vcc, s4, v1
	s_and_saveexec_b64 s[4:5], vcc
	s_xor_b64 s[4:5], exec, s[4:5]
	s_cbranch_execz .LBB332_1652
; %bb.1637:
	s_movk_i32 s16, 0x80
	v_cmp_ne_u16_e32 vcc, s16, v1
	s_and_b64 s[16:17], vcc, exec
	s_andn2_saveexec_b64 s[4:5], s[4:5]
	s_cbranch_execnz .LBB332_1653
.LBB332_1638:
	s_or_b64 exec, exec, s[4:5]
	v_mov_b32_e32 v7, 0
	s_and_saveexec_b64 s[4:5], s[16:17]
	s_cbranch_execz .LBB332_1640
.LBB332_1639:
	v_lshlrev_b32_e32 v3, 24, v1
	v_and_b32_e32 v1, 0xffff, v1
	v_and_b32_e32 v5, 7, v1
	v_ffbh_u32_e32 v8, v5
	v_min_u32_e32 v8, 32, v8
	v_subrev_u32_e32 v10, 28, v8
	v_bfe_u32 v7, v1, 3, 4
	v_lshlrev_b32_e32 v1, v10, v1
	v_sub_u32_e32 v8, 29, v8
	v_and_b32_e32 v1, 7, v1
	v_cmp_eq_u32_e32 vcc, 0, v7
	v_cndmask_b32_e32 v7, v7, v8, vcc
	v_cndmask_b32_e32 v1, v5, v1, vcc
	v_mov_b32_e32 v5, 0x3b800000
	v_lshlrev_b32_e32 v1, 20, v1
	v_and_b32_e32 v3, 0x80000000, v3
	v_lshl_add_u32 v5, v7, 23, v5
	v_or3_b32 v1, v3, v5, v1
	v_cvt_u32_f32_e32 v7, v1
.LBB332_1640:
	s_or_b64 exec, exec, s[4:5]
.LBB332_1641:
	s_mov_b64 s[16:17], -1
.LBB332_1642:
	s_branch .LBB332_1672
.LBB332_1643:
	s_cmp_gt_i32 s19, 22
	s_cbranch_scc0 .LBB332_1651
; %bb.1644:
	s_cmp_lt_i32 s19, 24
	s_cbranch_scc1 .LBB332_1654
; %bb.1645:
	s_cmp_gt_i32 s19, 24
	s_cbranch_scc0 .LBB332_1655
; %bb.1646:
	global_load_ubyte v1, v[20:21], off
	s_movk_i32 s4, 0x7f
	s_waitcnt vmcnt(0)
	v_cmp_lt_i16_e32 vcc, s4, v1
	s_and_saveexec_b64 s[4:5], vcc
	s_xor_b64 s[4:5], exec, s[4:5]
	s_cbranch_execz .LBB332_1666
; %bb.1647:
	s_movk_i32 s6, 0x80
	v_cmp_ne_u16_e32 vcc, s6, v1
	s_and_b64 s[6:7], vcc, exec
	s_andn2_saveexec_b64 s[4:5], s[4:5]
	s_cbranch_execnz .LBB332_1667
.LBB332_1648:
	s_or_b64 exec, exec, s[4:5]
	v_mov_b32_e32 v7, 0
	s_and_saveexec_b64 s[4:5], s[6:7]
	s_cbranch_execz .LBB332_1650
.LBB332_1649:
	v_lshlrev_b32_e32 v3, 24, v1
	v_and_b32_e32 v1, 0xffff, v1
	v_and_b32_e32 v5, 3, v1
	v_ffbh_u32_e32 v8, v5
	v_min_u32_e32 v8, 32, v8
	v_subrev_u32_e32 v10, 29, v8
	v_bfe_u32 v7, v1, 2, 5
	v_lshlrev_b32_e32 v1, v10, v1
	v_sub_u32_e32 v8, 30, v8
	v_and_b32_e32 v1, 3, v1
	v_cmp_eq_u32_e32 vcc, 0, v7
	v_cndmask_b32_e32 v7, v7, v8, vcc
	v_cndmask_b32_e32 v1, v5, v1, vcc
	v_mov_b32_e32 v5, 0x37800000
	v_lshlrev_b32_e32 v1, 21, v1
	v_and_b32_e32 v3, 0x80000000, v3
	v_lshl_add_u32 v5, v7, 23, v5
	v_or3_b32 v1, v3, v5, v1
	v_cvt_u32_f32_e32 v7, v1
.LBB332_1650:
	s_or_b64 exec, exec, s[4:5]
	s_mov_b64 s[4:5], 0
	s_branch .LBB332_1656
.LBB332_1651:
                                        ; implicit-def: $vgpr7
	s_mov_b64 s[6:7], 0
	s_branch .LBB332_1662
.LBB332_1652:
	s_andn2_saveexec_b64 s[4:5], s[4:5]
	s_cbranch_execz .LBB332_1638
.LBB332_1653:
	v_cmp_ne_u16_e32 vcc, 0, v1
	s_andn2_b64 s[16:17], s[16:17], exec
	s_and_b64 s[20:21], vcc, exec
	s_or_b64 s[16:17], s[16:17], s[20:21]
	s_or_b64 exec, exec, s[4:5]
	v_mov_b32_e32 v7, 0
	s_and_saveexec_b64 s[4:5], s[16:17]
	s_cbranch_execnz .LBB332_1639
	s_branch .LBB332_1640
.LBB332_1654:
	s_mov_b64 s[4:5], -1
                                        ; implicit-def: $vgpr7
	s_branch .LBB332_1659
.LBB332_1655:
	s_mov_b64 s[4:5], -1
                                        ; implicit-def: $vgpr7
.LBB332_1656:
	s_and_b64 vcc, exec, s[4:5]
	s_cbranch_vccz .LBB332_1658
; %bb.1657:
	global_load_ubyte v1, v[20:21], off
	s_mov_b32 s4, 0x7f800000
	s_waitcnt vmcnt(0)
	v_lshlrev_b32_e32 v1, 24, v1
	v_and_b32_e32 v3, 0x7f000000, v1
	v_ffbh_u32_e32 v5, v3
	v_min_u32_e32 v5, 32, v5
	v_sub_u32_e64 v5, v5, 4 clamp
	v_lshlrev_b32_e32 v8, v5, v3
	v_lshlrev_b32_e32 v5, 23, v5
	v_lshrrev_b32_e32 v8, 4, v8
	v_add_u32_e32 v7, 0x1000000, v3
	v_sub_u32_e32 v5, v8, v5
	v_ashrrev_i32_e32 v7, 8, v7
	v_add_u32_e32 v5, 0x3c000000, v5
	v_and_or_b32 v5, v7, s4, v5
	v_cmp_ne_u32_e32 vcc, 0, v3
	v_cndmask_b32_e32 v3, 0, v5, vcc
	s_brev_b32 s4, 1
	v_and_or_b32 v1, v1, s4, v3
	v_cvt_u32_f32_e32 v7, v1
.LBB332_1658:
	s_mov_b64 s[4:5], 0
.LBB332_1659:
	s_andn2_b64 vcc, exec, s[4:5]
	s_cbranch_vccnz .LBB332_1661
; %bb.1660:
	global_load_ubyte v1, v[20:21], off
	s_movk_i32 s4, 0x7f00
	s_brev_b32 s5, 16
	s_waitcnt vmcnt(0)
	v_lshlrev_b16_e32 v3, 8, v1
	v_lshlrev_b32_e32 v1, 25, v1
	v_lshrrev_b32_e32 v5, 4, v1
	v_and_or_b32 v7, v3, s4, 0.5
	v_or_b32_e32 v5, 0x70000000, v5
	v_add_f32_e32 v7, -0.5, v7
	v_mul_f32_e32 v5, 0x7800000, v5
	v_cmp_gt_u32_e32 vcc, s5, v1
	v_bfe_i32 v3, v3, 0, 16
	v_cndmask_b32_e32 v1, v5, v7, vcc
	s_brev_b32 s4, 1
	v_and_or_b32 v1, v3, s4, v1
	v_cvt_u32_f32_e32 v7, v1
.LBB332_1661:
	s_mov_b64 s[16:17], -1
	s_mov_b64 s[6:7], 0
	s_cbranch_execnz .LBB332_1672
.LBB332_1662:
	s_cmp_gt_i32 s19, 14
	s_cbranch_scc0 .LBB332_1665
; %bb.1663:
	s_cmp_eq_u32 s19, 15
	s_cbranch_scc0 .LBB332_1668
; %bb.1664:
	global_load_ushort v1, v[20:21], off
	s_mov_b64 s[0:1], 0
	s_mov_b64 s[16:17], -1
	s_waitcnt vmcnt(0)
	v_lshlrev_b32_e32 v1, 16, v1
	v_cvt_u32_f32_e32 v7, v1
	s_branch .LBB332_1669
.LBB332_1665:
	s_mov_b64 s[4:5], -1
                                        ; implicit-def: $vgpr7
	s_branch .LBB332_1670
.LBB332_1666:
	s_andn2_saveexec_b64 s[4:5], s[4:5]
	s_cbranch_execz .LBB332_1648
.LBB332_1667:
	v_cmp_ne_u16_e32 vcc, 0, v1
	s_andn2_b64 s[6:7], s[6:7], exec
	s_and_b64 s[16:17], vcc, exec
	s_or_b64 s[6:7], s[6:7], s[16:17]
	s_or_b64 exec, exec, s[4:5]
	v_mov_b32_e32 v7, 0
	s_and_saveexec_b64 s[4:5], s[6:7]
	s_cbranch_execnz .LBB332_1649
	s_branch .LBB332_1650
.LBB332_1668:
	s_mov_b64 s[0:1], -1
                                        ; implicit-def: $vgpr7
.LBB332_1669:
	s_mov_b64 s[4:5], 0
.LBB332_1670:
	s_and_b64 vcc, exec, s[4:5]
	s_cbranch_vccz .LBB332_1672
; %bb.1671:
	s_cmp_lg_u32 s19, 11
	s_mov_b64 s[6:7], -1
	s_cselect_b64 s[0:1], -1, 0
.LBB332_1672:
	s_and_b64 vcc, exec, s[0:1]
	s_mov_b64 s[4:5], s[12:13]
	s_cbranch_vccnz .LBB332_1733
; %bb.1673:
	s_andn2_b64 vcc, exec, s[6:7]
	s_cbranch_vccnz .LBB332_1675
.LBB332_1674:
	global_load_ubyte v1, v[20:21], off
	s_mov_b64 s[16:17], -1
	s_waitcnt vmcnt(0)
	v_cmp_ne_u16_e32 vcc, 0, v1
	v_cndmask_b32_e64 v7, 0, 1, vcc
.LBB332_1675:
	s_branch .LBB332_1610
.LBB332_1676:
	s_and_b32 s6, 0xffff, s18
	s_cmp_lt_i32 s6, 5
	s_cbranch_scc1 .LBB332_1681
; %bb.1677:
	s_cmp_lt_i32 s6, 8
	s_cbranch_scc1 .LBB332_1682
; %bb.1678:
	;; [unrolled: 3-line block ×3, first 2 shown]
	s_cmp_gt_i32 s6, 9
	s_cbranch_scc0 .LBB332_1684
; %bb.1680:
	global_load_dwordx2 v[7:8], v[20:21], off
	s_mov_b64 s[0:1], 0
	s_waitcnt vmcnt(0)
	v_cvt_u32_f64_e32 v7, v[7:8]
	s_branch .LBB332_1685
.LBB332_1681:
                                        ; implicit-def: $vgpr7
	s_branch .LBB332_1702
.LBB332_1682:
                                        ; implicit-def: $vgpr7
	s_branch .LBB332_1691
.LBB332_1683:
	s_mov_b64 s[0:1], -1
                                        ; implicit-def: $vgpr7
	s_branch .LBB332_1688
.LBB332_1684:
	s_mov_b64 s[0:1], -1
                                        ; implicit-def: $vgpr7
.LBB332_1685:
	s_andn2_b64 vcc, exec, s[0:1]
	s_cbranch_vccnz .LBB332_1687
; %bb.1686:
	global_load_dword v1, v[20:21], off
	s_waitcnt vmcnt(0)
	v_cvt_u32_f32_e32 v7, v1
.LBB332_1687:
	s_mov_b64 s[0:1], 0
.LBB332_1688:
	s_andn2_b64 vcc, exec, s[0:1]
	s_cbranch_vccnz .LBB332_1690
; %bb.1689:
	global_load_dword v1, v[20:21], off
	s_waitcnt vmcnt(0)
	v_cvt_u16_f16_e32 v7, v1
.LBB332_1690:
	s_cbranch_execnz .LBB332_1701
.LBB332_1691:
	s_cmp_lt_i32 s6, 6
	s_cbranch_scc1 .LBB332_1694
; %bb.1692:
	s_cmp_gt_i32 s6, 6
	s_cbranch_scc0 .LBB332_1695
; %bb.1693:
	global_load_dwordx2 v[7:8], v[20:21], off
	s_mov_b64 s[0:1], 0
	s_waitcnt vmcnt(0)
	v_cvt_u32_f64_e32 v7, v[7:8]
	s_branch .LBB332_1696
.LBB332_1694:
	s_mov_b64 s[0:1], -1
                                        ; implicit-def: $vgpr7
	s_branch .LBB332_1699
.LBB332_1695:
	s_mov_b64 s[0:1], -1
                                        ; implicit-def: $vgpr7
.LBB332_1696:
	s_andn2_b64 vcc, exec, s[0:1]
	s_cbranch_vccnz .LBB332_1698
; %bb.1697:
	global_load_dword v1, v[20:21], off
	s_waitcnt vmcnt(0)
	v_cvt_u32_f32_e32 v7, v1
.LBB332_1698:
	s_mov_b64 s[0:1], 0
.LBB332_1699:
	s_andn2_b64 vcc, exec, s[0:1]
	s_cbranch_vccnz .LBB332_1701
; %bb.1700:
	global_load_ushort v1, v[20:21], off
	s_waitcnt vmcnt(0)
	v_cvt_u16_f16_e32 v7, v1
.LBB332_1701:
	s_cbranch_execnz .LBB332_1720
.LBB332_1702:
	s_cmp_lt_i32 s6, 2
	s_cbranch_scc1 .LBB332_1706
; %bb.1703:
	s_cmp_lt_i32 s6, 3
	s_cbranch_scc1 .LBB332_1707
; %bb.1704:
	s_cmp_gt_i32 s6, 3
	s_cbranch_scc0 .LBB332_1708
; %bb.1705:
	global_load_dwordx2 v[7:8], v[20:21], off
	s_mov_b64 s[0:1], 0
	s_branch .LBB332_1709
.LBB332_1706:
                                        ; implicit-def: $vgpr7
	s_branch .LBB332_1715
.LBB332_1707:
	s_mov_b64 s[0:1], -1
                                        ; implicit-def: $vgpr7
	s_branch .LBB332_1712
.LBB332_1708:
	s_mov_b64 s[0:1], -1
                                        ; implicit-def: $vgpr7
.LBB332_1709:
	s_andn2_b64 vcc, exec, s[0:1]
	s_cbranch_vccnz .LBB332_1711
; %bb.1710:
	global_load_dword v7, v[20:21], off
.LBB332_1711:
	s_mov_b64 s[0:1], 0
.LBB332_1712:
	s_andn2_b64 vcc, exec, s[0:1]
	s_cbranch_vccnz .LBB332_1714
; %bb.1713:
	global_load_ushort v7, v[20:21], off
.LBB332_1714:
	s_cbranch_execnz .LBB332_1720
.LBB332_1715:
	s_cmp_gt_i32 s6, 0
	s_cbranch_scc0 .LBB332_1717
; %bb.1716:
	global_load_sbyte v7, v[20:21], off
	s_mov_b64 s[0:1], 0
	s_branch .LBB332_1718
.LBB332_1717:
	s_mov_b64 s[0:1], -1
                                        ; implicit-def: $vgpr7
.LBB332_1718:
	s_andn2_b64 vcc, exec, s[0:1]
	s_cbranch_vccnz .LBB332_1720
; %bb.1719:
	global_load_ubyte v7, v[20:21], off
.LBB332_1720:
.LBB332_1721:
	s_load_dwordx2 s[0:1], s[2:3], 0x198
	s_bfe_u32 s22, s23, 0x80010
	s_cmp_lt_i32 s22, 11
	s_waitcnt lgkmcnt(0)
	v_mov_b32_e32 v1, s1
	v_add_co_u32_e32 v20, vcc, s0, v13
	v_addc_co_u32_e32 v21, vcc, 0, v1, vcc
	s_cbranch_scc1 .LBB332_1728
; %bb.1722:
	s_and_b32 s24, 0xffff, s22
	s_cmp_gt_i32 s24, 25
	s_mov_b64 s[16:17], 0
	s_cbranch_scc0 .LBB332_1730
; %bb.1723:
	s_cmp_gt_i32 s24, 28
	s_cbranch_scc0 .LBB332_1731
; %bb.1724:
	s_cmp_gt_i32 s24, 43
	s_cbranch_scc0 .LBB332_1732
; %bb.1725:
	s_cmp_gt_i32 s24, 45
	s_cbranch_scc0 .LBB332_1734
; %bb.1726:
	s_cmp_eq_u32 s24, 46
	s_mov_b64 s[20:21], 0
	s_cbranch_scc0 .LBB332_1737
; %bb.1727:
	global_load_dword v1, v[20:21], off
	s_mov_b64 s[6:7], 0
	s_mov_b64 s[18:19], -1
	s_waitcnt vmcnt(0)
	v_lshlrev_b32_e32 v1, 16, v1
	v_cvt_u32_f32_e32 v12, v1
	s_branch .LBB332_1738
.LBB332_1728:
	s_mov_b64 s[18:19], 0
                                        ; implicit-def: $vgpr12
	s_cbranch_execnz .LBB332_1799
.LBB332_1729:
	s_andn2_b64 vcc, exec, s[18:19]
	s_cbranch_vccnz .LBB332_3036
	s_branch .LBB332_1846
.LBB332_1730:
	s_mov_b64 s[18:19], 0
	s_mov_b64 s[6:7], 0
                                        ; implicit-def: $vgpr12
	s_cbranch_execnz .LBB332_1765
	s_branch .LBB332_1795
.LBB332_1731:
	s_mov_b64 s[20:21], -1
	s_mov_b64 s[18:19], 0
	s_mov_b64 s[6:7], 0
                                        ; implicit-def: $vgpr12
	s_branch .LBB332_1748
.LBB332_1732:
	s_mov_b64 s[20:21], -1
	s_mov_b64 s[18:19], 0
	s_mov_b64 s[6:7], 0
                                        ; implicit-def: $vgpr12
	s_branch .LBB332_1743
.LBB332_1733:
	s_or_b64 s[4:5], s[12:13], exec
	s_trap 2
	s_cbranch_execz .LBB332_1674
	s_branch .LBB332_1675
.LBB332_1734:
	s_mov_b64 s[20:21], -1
	s_mov_b64 s[18:19], 0
	s_mov_b64 s[6:7], 0
                                        ; implicit-def: $vgpr12
	s_branch .LBB332_1738
.LBB332_1735:
	s_andn2_saveexec_b64 s[20:21], s[20:21]
	s_cbranch_execz .LBB332_1478
.LBB332_1736:
	v_add_f32_e32 v0, 0x42800000, v1
	v_and_b32_e32 v0, 0xff, v0
	v_cmp_ne_u32_e32 vcc, 0, v0
	s_andn2_b64 s[18:19], s[18:19], exec
	s_and_b64 s[28:29], vcc, exec
	s_or_b64 s[18:19], s[18:19], s[28:29]
	s_or_b64 exec, exec, s[20:21]
	v_mov_b32_e32 v4, 0
	s_and_saveexec_b64 s[20:21], s[18:19]
	s_cbranch_execnz .LBB332_1479
	s_branch .LBB332_1480
.LBB332_1737:
	s_mov_b64 s[6:7], -1
                                        ; implicit-def: $vgpr12
	s_mov_b64 s[18:19], 0
.LBB332_1738:
	s_and_b64 vcc, exec, s[20:21]
	s_cbranch_vccz .LBB332_1742
; %bb.1739:
	s_cmp_eq_u32 s24, 44
	s_cbranch_scc0 .LBB332_1741
; %bb.1740:
	global_load_ubyte v1, v[20:21], off
	s_mov_b64 s[6:7], 0
	s_mov_b64 s[18:19], -1
	s_waitcnt vmcnt(0)
	v_lshlrev_b32_e32 v3, 23, v1
	v_cvt_u32_f32_e32 v3, v3
	v_cmp_ne_u32_e32 vcc, 0, v1
	v_cndmask_b32_e32 v12, 0, v3, vcc
	s_branch .LBB332_1742
.LBB332_1741:
	s_mov_b64 s[6:7], -1
                                        ; implicit-def: $vgpr12
.LBB332_1742:
	s_mov_b64 s[20:21], 0
.LBB332_1743:
	s_and_b64 vcc, exec, s[20:21]
	s_cbranch_vccz .LBB332_1747
; %bb.1744:
	s_cmp_eq_u32 s24, 29
	s_cbranch_scc0 .LBB332_1746
; %bb.1745:
	global_load_dwordx2 v[12:13], v[20:21], off
	s_mov_b64 s[6:7], 0
	s_mov_b64 s[18:19], -1
	s_branch .LBB332_1747
.LBB332_1746:
	s_mov_b64 s[6:7], -1
                                        ; implicit-def: $vgpr12
.LBB332_1747:
	s_mov_b64 s[20:21], 0
.LBB332_1748:
	s_and_b64 vcc, exec, s[20:21]
	s_cbranch_vccz .LBB332_1764
; %bb.1749:
	s_cmp_lt_i32 s24, 27
	s_cbranch_scc1 .LBB332_1752
; %bb.1750:
	s_cmp_gt_i32 s24, 27
	s_cbranch_scc0 .LBB332_1753
; %bb.1751:
	global_load_dword v12, v[20:21], off
	s_mov_b64 s[18:19], 0
	s_branch .LBB332_1754
.LBB332_1752:
	s_mov_b64 s[18:19], -1
                                        ; implicit-def: $vgpr12
	s_branch .LBB332_1757
.LBB332_1753:
	s_mov_b64 s[18:19], -1
                                        ; implicit-def: $vgpr12
.LBB332_1754:
	s_andn2_b64 vcc, exec, s[18:19]
	s_cbranch_vccnz .LBB332_1756
; %bb.1755:
	global_load_ushort v12, v[20:21], off
.LBB332_1756:
	s_mov_b64 s[18:19], 0
.LBB332_1757:
	s_andn2_b64 vcc, exec, s[18:19]
	s_cbranch_vccnz .LBB332_1763
; %bb.1758:
	global_load_ubyte v1, v[20:21], off
	s_movk_i32 s18, 0x7f
	s_mov_b64 s[20:21], 0
	s_waitcnt vmcnt(0)
	v_cmp_lt_i16_e32 vcc, s18, v1
	s_and_saveexec_b64 s[18:19], vcc
	s_xor_b64 s[18:19], exec, s[18:19]
	s_cbranch_execz .LBB332_1774
; %bb.1759:
	s_movk_i32 s20, 0x80
	v_cmp_ne_u16_e32 vcc, s20, v1
	s_and_b64 s[20:21], vcc, exec
	s_andn2_saveexec_b64 s[18:19], s[18:19]
	s_cbranch_execnz .LBB332_1775
.LBB332_1760:
	s_or_b64 exec, exec, s[18:19]
	v_mov_b32_e32 v12, 0
	s_and_saveexec_b64 s[18:19], s[20:21]
	s_cbranch_execz .LBB332_1762
.LBB332_1761:
	v_lshlrev_b32_e32 v3, 24, v1
	v_and_b32_e32 v1, 0xffff, v1
	v_and_b32_e32 v5, 7, v1
	v_ffbh_u32_e32 v10, v5
	v_min_u32_e32 v10, 32, v10
	v_subrev_u32_e32 v12, 28, v10
	v_bfe_u32 v8, v1, 3, 4
	v_lshlrev_b32_e32 v1, v12, v1
	v_sub_u32_e32 v10, 29, v10
	v_and_b32_e32 v1, 7, v1
	v_cmp_eq_u32_e32 vcc, 0, v8
	v_cndmask_b32_e32 v8, v8, v10, vcc
	v_cndmask_b32_e32 v1, v5, v1, vcc
	v_mov_b32_e32 v5, 0x3b800000
	v_lshlrev_b32_e32 v1, 20, v1
	v_and_b32_e32 v3, 0x80000000, v3
	v_lshl_add_u32 v5, v8, 23, v5
	v_or3_b32 v1, v3, v5, v1
	v_cvt_u32_f32_e32 v12, v1
.LBB332_1762:
	s_or_b64 exec, exec, s[18:19]
.LBB332_1763:
	s_mov_b64 s[18:19], -1
.LBB332_1764:
	s_branch .LBB332_1795
.LBB332_1765:
	s_cmp_gt_i32 s24, 22
	s_cbranch_scc0 .LBB332_1773
; %bb.1766:
	s_cmp_lt_i32 s24, 24
	s_cbranch_scc1 .LBB332_1776
; %bb.1767:
	s_cmp_gt_i32 s24, 24
	s_cbranch_scc0 .LBB332_1777
; %bb.1768:
	global_load_ubyte v1, v[20:21], off
	s_movk_i32 s16, 0x7f
	s_mov_b64 s[18:19], 0
	s_waitcnt vmcnt(0)
	v_cmp_lt_i16_e32 vcc, s16, v1
	s_and_saveexec_b64 s[16:17], vcc
	s_xor_b64 s[16:17], exec, s[16:17]
	s_cbranch_execz .LBB332_1789
; %bb.1769:
	s_movk_i32 s18, 0x80
	v_cmp_ne_u16_e32 vcc, s18, v1
	s_and_b64 s[18:19], vcc, exec
	s_andn2_saveexec_b64 s[16:17], s[16:17]
	s_cbranch_execnz .LBB332_1790
.LBB332_1770:
	s_or_b64 exec, exec, s[16:17]
	v_mov_b32_e32 v12, 0
	s_and_saveexec_b64 s[16:17], s[18:19]
	s_cbranch_execz .LBB332_1772
.LBB332_1771:
	v_lshlrev_b32_e32 v3, 24, v1
	v_and_b32_e32 v1, 0xffff, v1
	v_and_b32_e32 v5, 3, v1
	v_ffbh_u32_e32 v10, v5
	v_min_u32_e32 v10, 32, v10
	v_subrev_u32_e32 v12, 29, v10
	v_bfe_u32 v8, v1, 2, 5
	v_lshlrev_b32_e32 v1, v12, v1
	v_sub_u32_e32 v10, 30, v10
	v_and_b32_e32 v1, 3, v1
	v_cmp_eq_u32_e32 vcc, 0, v8
	v_cndmask_b32_e32 v8, v8, v10, vcc
	v_cndmask_b32_e32 v1, v5, v1, vcc
	v_mov_b32_e32 v5, 0x37800000
	v_lshlrev_b32_e32 v1, 21, v1
	v_and_b32_e32 v3, 0x80000000, v3
	v_lshl_add_u32 v5, v8, 23, v5
	v_or3_b32 v1, v3, v5, v1
	v_cvt_u32_f32_e32 v12, v1
.LBB332_1772:
	s_or_b64 exec, exec, s[16:17]
	s_mov_b64 s[16:17], 0
	s_branch .LBB332_1778
.LBB332_1773:
	s_mov_b64 s[16:17], -1
                                        ; implicit-def: $vgpr12
	s_branch .LBB332_1784
.LBB332_1774:
	s_andn2_saveexec_b64 s[18:19], s[18:19]
	s_cbranch_execz .LBB332_1760
.LBB332_1775:
	v_cmp_ne_u16_e32 vcc, 0, v1
	s_andn2_b64 s[20:21], s[20:21], exec
	s_and_b64 s[26:27], vcc, exec
	s_or_b64 s[20:21], s[20:21], s[26:27]
	s_or_b64 exec, exec, s[18:19]
	v_mov_b32_e32 v12, 0
	s_and_saveexec_b64 s[18:19], s[20:21]
	s_cbranch_execnz .LBB332_1761
	s_branch .LBB332_1762
.LBB332_1776:
	s_mov_b64 s[16:17], -1
                                        ; implicit-def: $vgpr12
	s_branch .LBB332_1781
.LBB332_1777:
	s_mov_b64 s[16:17], -1
                                        ; implicit-def: $vgpr12
.LBB332_1778:
	s_and_b64 vcc, exec, s[16:17]
	s_cbranch_vccz .LBB332_1780
; %bb.1779:
	global_load_ubyte v1, v[20:21], off
	s_mov_b32 s16, 0x7f800000
	s_waitcnt vmcnt(0)
	v_lshlrev_b32_e32 v1, 24, v1
	v_and_b32_e32 v3, 0x7f000000, v1
	v_ffbh_u32_e32 v5, v3
	v_min_u32_e32 v5, 32, v5
	v_sub_u32_e64 v5, v5, 4 clamp
	v_lshlrev_b32_e32 v10, v5, v3
	v_lshlrev_b32_e32 v5, 23, v5
	v_lshrrev_b32_e32 v10, 4, v10
	v_add_u32_e32 v8, 0x1000000, v3
	v_sub_u32_e32 v5, v10, v5
	v_ashrrev_i32_e32 v8, 8, v8
	v_add_u32_e32 v5, 0x3c000000, v5
	v_and_or_b32 v5, v8, s16, v5
	v_cmp_ne_u32_e32 vcc, 0, v3
	v_cndmask_b32_e32 v3, 0, v5, vcc
	s_brev_b32 s16, 1
	v_and_or_b32 v1, v1, s16, v3
	v_cvt_u32_f32_e32 v12, v1
.LBB332_1780:
	s_mov_b64 s[16:17], 0
.LBB332_1781:
	s_andn2_b64 vcc, exec, s[16:17]
	s_cbranch_vccnz .LBB332_1783
; %bb.1782:
	global_load_ubyte v1, v[20:21], off
	s_movk_i32 s16, 0x7f00
	s_brev_b32 s17, 16
	s_waitcnt vmcnt(0)
	v_lshlrev_b16_e32 v3, 8, v1
	v_lshlrev_b32_e32 v1, 25, v1
	v_lshrrev_b32_e32 v5, 4, v1
	v_and_or_b32 v8, v3, s16, 0.5
	v_or_b32_e32 v5, 0x70000000, v5
	v_add_f32_e32 v8, -0.5, v8
	v_mul_f32_e32 v5, 0x7800000, v5
	v_cmp_gt_u32_e32 vcc, s17, v1
	v_bfe_i32 v3, v3, 0, 16
	v_cndmask_b32_e32 v1, v5, v8, vcc
	s_brev_b32 s16, 1
	v_and_or_b32 v1, v3, s16, v1
	v_cvt_u32_f32_e32 v12, v1
.LBB332_1783:
	s_mov_b64 s[16:17], 0
	s_mov_b64 s[18:19], -1
.LBB332_1784:
	s_andn2_b64 vcc, exec, s[16:17]
	s_mov_b64 s[16:17], 0
	s_cbranch_vccnz .LBB332_1795
; %bb.1785:
	s_cmp_gt_i32 s24, 14
	s_cbranch_scc0 .LBB332_1788
; %bb.1786:
	s_cmp_eq_u32 s24, 15
	s_cbranch_scc0 .LBB332_1791
; %bb.1787:
	global_load_ushort v1, v[20:21], off
	s_mov_b64 s[6:7], 0
	s_mov_b64 s[18:19], -1
	s_waitcnt vmcnt(0)
	v_lshlrev_b32_e32 v1, 16, v1
	v_cvt_u32_f32_e32 v12, v1
	s_branch .LBB332_1792
.LBB332_1788:
	s_mov_b64 s[20:21], -1
                                        ; implicit-def: $vgpr12
	s_branch .LBB332_1793
.LBB332_1789:
	s_andn2_saveexec_b64 s[16:17], s[16:17]
	s_cbranch_execz .LBB332_1770
.LBB332_1790:
	v_cmp_ne_u16_e32 vcc, 0, v1
	s_andn2_b64 s[18:19], s[18:19], exec
	s_and_b64 s[20:21], vcc, exec
	s_or_b64 s[18:19], s[18:19], s[20:21]
	s_or_b64 exec, exec, s[16:17]
	v_mov_b32_e32 v12, 0
	s_and_saveexec_b64 s[16:17], s[18:19]
	s_cbranch_execnz .LBB332_1771
	s_branch .LBB332_1772
.LBB332_1791:
	s_mov_b64 s[6:7], -1
                                        ; implicit-def: $vgpr12
.LBB332_1792:
	s_mov_b64 s[20:21], 0
.LBB332_1793:
	s_and_b64 vcc, exec, s[20:21]
	s_cbranch_vccz .LBB332_1795
; %bb.1794:
	s_cmp_lg_u32 s24, 11
	s_mov_b64 s[16:17], -1
	s_cselect_b64 s[6:7], -1, 0
.LBB332_1795:
	s_and_b64 vcc, exec, s[6:7]
	s_cbranch_vccnz .LBB332_1858
; %bb.1796:
	s_andn2_b64 vcc, exec, s[16:17]
	s_cbranch_vccnz .LBB332_1798
.LBB332_1797:
	global_load_ubyte v1, v[20:21], off
	s_mov_b64 s[18:19], -1
	s_waitcnt vmcnt(0)
	v_cmp_ne_u16_e32 vcc, 0, v1
	v_cndmask_b32_e64 v12, 0, 1, vcc
.LBB332_1798:
	s_branch .LBB332_1729
.LBB332_1799:
	s_and_b32 s16, 0xffff, s22
	s_cmp_lt_i32 s16, 5
	s_cbranch_scc1 .LBB332_1804
; %bb.1800:
	s_cmp_lt_i32 s16, 8
	s_cbranch_scc1 .LBB332_1805
; %bb.1801:
	;; [unrolled: 3-line block ×3, first 2 shown]
	s_cmp_gt_i32 s16, 9
	s_cbranch_scc0 .LBB332_1807
; %bb.1803:
	global_load_dwordx2 v[12:13], v[20:21], off
	s_mov_b64 s[6:7], 0
	s_waitcnt vmcnt(0)
	v_cvt_u32_f64_e32 v12, v[12:13]
	s_branch .LBB332_1808
.LBB332_1804:
                                        ; implicit-def: $vgpr12
	s_branch .LBB332_1826
.LBB332_1805:
	s_mov_b64 s[6:7], -1
                                        ; implicit-def: $vgpr12
	s_branch .LBB332_1814
.LBB332_1806:
	s_mov_b64 s[6:7], -1
                                        ; implicit-def: $vgpr12
	s_branch .LBB332_1811
.LBB332_1807:
	s_mov_b64 s[6:7], -1
                                        ; implicit-def: $vgpr12
.LBB332_1808:
	s_andn2_b64 vcc, exec, s[6:7]
	s_cbranch_vccnz .LBB332_1810
; %bb.1809:
	global_load_dword v1, v[20:21], off
	s_waitcnt vmcnt(0)
	v_cvt_u32_f32_e32 v12, v1
.LBB332_1810:
	s_mov_b64 s[6:7], 0
.LBB332_1811:
	s_andn2_b64 vcc, exec, s[6:7]
	s_cbranch_vccnz .LBB332_1813
; %bb.1812:
	global_load_dword v1, v[20:21], off
	s_waitcnt vmcnt(0)
	v_cvt_u16_f16_e32 v12, v1
.LBB332_1813:
	s_mov_b64 s[6:7], 0
.LBB332_1814:
	s_andn2_b64 vcc, exec, s[6:7]
	s_cbranch_vccnz .LBB332_1825
; %bb.1815:
	s_cmp_lt_i32 s16, 6
	s_cbranch_scc1 .LBB332_1818
; %bb.1816:
	s_cmp_gt_i32 s16, 6
	s_cbranch_scc0 .LBB332_1819
; %bb.1817:
	global_load_dwordx2 v[12:13], v[20:21], off
	s_mov_b64 s[6:7], 0
	s_waitcnt vmcnt(0)
	v_cvt_u32_f64_e32 v12, v[12:13]
	s_branch .LBB332_1820
.LBB332_1818:
	s_mov_b64 s[6:7], -1
                                        ; implicit-def: $vgpr12
	s_branch .LBB332_1823
.LBB332_1819:
	s_mov_b64 s[6:7], -1
                                        ; implicit-def: $vgpr12
.LBB332_1820:
	s_andn2_b64 vcc, exec, s[6:7]
	s_cbranch_vccnz .LBB332_1822
; %bb.1821:
	global_load_dword v1, v[20:21], off
	s_waitcnt vmcnt(0)
	v_cvt_u32_f32_e32 v12, v1
.LBB332_1822:
	s_mov_b64 s[6:7], 0
.LBB332_1823:
	s_andn2_b64 vcc, exec, s[6:7]
	s_cbranch_vccnz .LBB332_1825
; %bb.1824:
	global_load_ushort v1, v[20:21], off
	s_waitcnt vmcnt(0)
	v_cvt_u16_f16_e32 v12, v1
.LBB332_1825:
	s_cbranch_execnz .LBB332_1845
.LBB332_1826:
	s_cmp_lt_i32 s16, 2
	s_cbranch_scc1 .LBB332_1830
; %bb.1827:
	s_cmp_lt_i32 s16, 3
	s_cbranch_scc1 .LBB332_1831
; %bb.1828:
	s_cmp_gt_i32 s16, 3
	s_cbranch_scc0 .LBB332_1832
; %bb.1829:
	global_load_dwordx2 v[12:13], v[20:21], off
	s_mov_b64 s[6:7], 0
	s_branch .LBB332_1833
.LBB332_1830:
	s_mov_b64 s[6:7], -1
                                        ; implicit-def: $vgpr12
	s_branch .LBB332_1839
.LBB332_1831:
	s_mov_b64 s[6:7], -1
                                        ; implicit-def: $vgpr12
	s_branch .LBB332_1836
.LBB332_1832:
	s_mov_b64 s[6:7], -1
                                        ; implicit-def: $vgpr12
.LBB332_1833:
	s_andn2_b64 vcc, exec, s[6:7]
	s_cbranch_vccnz .LBB332_1835
; %bb.1834:
	global_load_dword v12, v[20:21], off
.LBB332_1835:
	s_mov_b64 s[6:7], 0
.LBB332_1836:
	s_andn2_b64 vcc, exec, s[6:7]
	s_cbranch_vccnz .LBB332_1838
; %bb.1837:
	global_load_ushort v12, v[20:21], off
.LBB332_1838:
	s_mov_b64 s[6:7], 0
.LBB332_1839:
	s_andn2_b64 vcc, exec, s[6:7]
	s_cbranch_vccnz .LBB332_1845
; %bb.1840:
	s_cmp_gt_i32 s16, 0
	s_cbranch_scc0 .LBB332_1842
; %bb.1841:
	global_load_sbyte v12, v[20:21], off
	s_mov_b64 s[6:7], 0
	s_branch .LBB332_1843
.LBB332_1842:
	s_mov_b64 s[6:7], -1
                                        ; implicit-def: $vgpr12
.LBB332_1843:
	s_andn2_b64 vcc, exec, s[6:7]
	s_cbranch_vccnz .LBB332_1845
; %bb.1844:
	global_load_ubyte v12, v[20:21], off
.LBB332_1845:
.LBB332_1846:
	s_lshr_b32 s6, s23, 8
	v_mov_b32_e32 v1, s11
	s_and_b32 s22, s6, 0xff
	v_add_co_u32_e32 v20, vcc, s10, v11
	s_cmp_lt_i32 s22, 11
	v_addc_co_u32_e32 v21, vcc, 0, v1, vcc
	s_cbranch_scc1 .LBB332_1853
; %bb.1847:
	s_and_b32 s24, 0xffff, s22
	s_cmp_gt_i32 s24, 25
	s_mov_b64 s[16:17], 0
	s_cbranch_scc0 .LBB332_1855
; %bb.1848:
	s_cmp_gt_i32 s24, 28
	s_cbranch_scc0 .LBB332_1856
; %bb.1849:
	s_cmp_gt_i32 s24, 43
	;; [unrolled: 3-line block ×3, first 2 shown]
	s_cbranch_scc0 .LBB332_1859
; %bb.1851:
	s_cmp_eq_u32 s24, 46
	s_mov_b64 s[20:21], 0
	s_cbranch_scc0 .LBB332_1860
; %bb.1852:
	global_load_dword v1, v[20:21], off
	s_mov_b64 s[6:7], 0
	s_mov_b64 s[18:19], -1
	s_waitcnt vmcnt(0)
	v_lshlrev_b32_e32 v1, 16, v1
	v_cvt_u32_f32_e32 v10, v1
	s_branch .LBB332_1861
.LBB332_1853:
	s_mov_b64 s[18:19], 0
                                        ; implicit-def: $vgpr10
	s_cbranch_execnz .LBB332_1923
.LBB332_1854:
	s_andn2_b64 vcc, exec, s[18:19]
	s_cbranch_vccnz .LBB332_3036
	s_branch .LBB332_1971
.LBB332_1855:
	s_mov_b64 s[20:21], -1
	s_mov_b64 s[18:19], 0
	s_mov_b64 s[6:7], 0
                                        ; implicit-def: $vgpr10
	s_branch .LBB332_1888
.LBB332_1856:
	s_mov_b64 s[20:21], -1
	s_mov_b64 s[18:19], 0
	s_mov_b64 s[6:7], 0
                                        ; implicit-def: $vgpr10
	s_branch .LBB332_1871
.LBB332_1857:
	s_mov_b64 s[20:21], -1
	s_mov_b64 s[18:19], 0
	s_mov_b64 s[6:7], 0
                                        ; implicit-def: $vgpr10
	s_branch .LBB332_1866
.LBB332_1858:
	s_trap 2
	s_or_b64 s[4:5], s[4:5], exec
	s_cbranch_execz .LBB332_1797
	s_branch .LBB332_1798
.LBB332_1859:
	s_mov_b64 s[20:21], -1
	s_mov_b64 s[18:19], 0
	s_mov_b64 s[6:7], 0
                                        ; implicit-def: $vgpr10
	s_branch .LBB332_1861
.LBB332_1860:
	s_mov_b64 s[6:7], -1
                                        ; implicit-def: $vgpr10
	s_mov_b64 s[18:19], 0
.LBB332_1861:
	s_and_b64 vcc, exec, s[20:21]
	s_cbranch_vccz .LBB332_1865
; %bb.1862:
	s_cmp_eq_u32 s24, 44
	s_cbranch_scc0 .LBB332_1864
; %bb.1863:
	global_load_ubyte v1, v[20:21], off
	s_mov_b64 s[6:7], 0
	s_mov_b64 s[18:19], -1
	s_waitcnt vmcnt(0)
	v_lshlrev_b32_e32 v3, 23, v1
	v_cvt_u32_f32_e32 v3, v3
	v_cmp_ne_u32_e32 vcc, 0, v1
	v_cndmask_b32_e32 v10, 0, v3, vcc
	s_branch .LBB332_1865
.LBB332_1864:
	s_mov_b64 s[6:7], -1
                                        ; implicit-def: $vgpr10
.LBB332_1865:
	s_mov_b64 s[20:21], 0
.LBB332_1866:
	s_and_b64 vcc, exec, s[20:21]
	s_cbranch_vccz .LBB332_1870
; %bb.1867:
	s_cmp_eq_u32 s24, 29
	s_cbranch_scc0 .LBB332_1869
; %bb.1868:
	global_load_dwordx2 v[10:11], v[20:21], off
	s_mov_b64 s[6:7], 0
	s_mov_b64 s[18:19], -1
	s_branch .LBB332_1870
.LBB332_1869:
	s_mov_b64 s[6:7], -1
                                        ; implicit-def: $vgpr10
.LBB332_1870:
	s_mov_b64 s[20:21], 0
.LBB332_1871:
	s_and_b64 vcc, exec, s[20:21]
	s_cbranch_vccz .LBB332_1887
; %bb.1872:
	s_cmp_lt_i32 s24, 27
	s_cbranch_scc1 .LBB332_1875
; %bb.1873:
	s_cmp_gt_i32 s24, 27
	s_cbranch_scc0 .LBB332_1876
; %bb.1874:
	global_load_dword v10, v[20:21], off
	s_mov_b64 s[18:19], 0
	s_branch .LBB332_1877
.LBB332_1875:
	s_mov_b64 s[18:19], -1
                                        ; implicit-def: $vgpr10
	s_branch .LBB332_1880
.LBB332_1876:
	s_mov_b64 s[18:19], -1
                                        ; implicit-def: $vgpr10
.LBB332_1877:
	s_andn2_b64 vcc, exec, s[18:19]
	s_cbranch_vccnz .LBB332_1879
; %bb.1878:
	global_load_ushort v10, v[20:21], off
.LBB332_1879:
	s_mov_b64 s[18:19], 0
.LBB332_1880:
	s_andn2_b64 vcc, exec, s[18:19]
	s_cbranch_vccnz .LBB332_1886
; %bb.1881:
	global_load_ubyte v1, v[20:21], off
	s_movk_i32 s18, 0x7f
	s_mov_b64 s[20:21], 0
	s_waitcnt vmcnt(0)
	v_cmp_lt_i16_e32 vcc, s18, v1
	s_and_saveexec_b64 s[18:19], vcc
	s_xor_b64 s[18:19], exec, s[18:19]
	s_cbranch_execz .LBB332_1898
; %bb.1882:
	s_movk_i32 s20, 0x80
	v_cmp_ne_u16_e32 vcc, s20, v1
	s_and_b64 s[20:21], vcc, exec
	s_andn2_saveexec_b64 s[18:19], s[18:19]
	s_cbranch_execnz .LBB332_1899
.LBB332_1883:
	s_or_b64 exec, exec, s[18:19]
	v_mov_b32_e32 v10, 0
	s_and_saveexec_b64 s[18:19], s[20:21]
	s_cbranch_execz .LBB332_1885
.LBB332_1884:
	v_lshlrev_b32_e32 v3, 24, v1
	v_and_b32_e32 v1, 0xffff, v1
	v_and_b32_e32 v5, 7, v1
	v_ffbh_u32_e32 v10, v5
	v_min_u32_e32 v10, 32, v10
	v_subrev_u32_e32 v11, 28, v10
	v_bfe_u32 v8, v1, 3, 4
	v_lshlrev_b32_e32 v1, v11, v1
	v_sub_u32_e32 v10, 29, v10
	v_and_b32_e32 v1, 7, v1
	v_cmp_eq_u32_e32 vcc, 0, v8
	v_cndmask_b32_e32 v8, v8, v10, vcc
	v_cndmask_b32_e32 v1, v5, v1, vcc
	v_mov_b32_e32 v5, 0x3b800000
	v_lshlrev_b32_e32 v1, 20, v1
	v_and_b32_e32 v3, 0x80000000, v3
	v_lshl_add_u32 v5, v8, 23, v5
	v_or3_b32 v1, v3, v5, v1
	v_cvt_u32_f32_e32 v10, v1
.LBB332_1885:
	s_or_b64 exec, exec, s[18:19]
.LBB332_1886:
	s_mov_b64 s[18:19], -1
.LBB332_1887:
	s_mov_b64 s[20:21], 0
.LBB332_1888:
	s_and_b64 vcc, exec, s[20:21]
	s_cbranch_vccz .LBB332_1919
; %bb.1889:
	s_cmp_gt_i32 s24, 22
	s_cbranch_scc0 .LBB332_1897
; %bb.1890:
	s_cmp_lt_i32 s24, 24
	s_cbranch_scc1 .LBB332_1900
; %bb.1891:
	s_cmp_gt_i32 s24, 24
	s_cbranch_scc0 .LBB332_1901
; %bb.1892:
	global_load_ubyte v1, v[20:21], off
	s_movk_i32 s16, 0x7f
	s_mov_b64 s[18:19], 0
	s_waitcnt vmcnt(0)
	v_cmp_lt_i16_e32 vcc, s16, v1
	s_and_saveexec_b64 s[16:17], vcc
	s_xor_b64 s[16:17], exec, s[16:17]
	s_cbranch_execz .LBB332_1913
; %bb.1893:
	s_movk_i32 s18, 0x80
	v_cmp_ne_u16_e32 vcc, s18, v1
	s_and_b64 s[18:19], vcc, exec
	s_andn2_saveexec_b64 s[16:17], s[16:17]
	s_cbranch_execnz .LBB332_1914
.LBB332_1894:
	s_or_b64 exec, exec, s[16:17]
	v_mov_b32_e32 v10, 0
	s_and_saveexec_b64 s[16:17], s[18:19]
	s_cbranch_execz .LBB332_1896
.LBB332_1895:
	v_lshlrev_b32_e32 v3, 24, v1
	v_and_b32_e32 v1, 0xffff, v1
	v_and_b32_e32 v5, 3, v1
	v_ffbh_u32_e32 v10, v5
	v_min_u32_e32 v10, 32, v10
	v_subrev_u32_e32 v11, 29, v10
	v_bfe_u32 v8, v1, 2, 5
	v_lshlrev_b32_e32 v1, v11, v1
	v_sub_u32_e32 v10, 30, v10
	v_and_b32_e32 v1, 3, v1
	v_cmp_eq_u32_e32 vcc, 0, v8
	v_cndmask_b32_e32 v8, v8, v10, vcc
	v_cndmask_b32_e32 v1, v5, v1, vcc
	v_mov_b32_e32 v5, 0x37800000
	v_lshlrev_b32_e32 v1, 21, v1
	v_and_b32_e32 v3, 0x80000000, v3
	v_lshl_add_u32 v5, v8, 23, v5
	v_or3_b32 v1, v3, v5, v1
	v_cvt_u32_f32_e32 v10, v1
.LBB332_1896:
	s_or_b64 exec, exec, s[16:17]
	s_mov_b64 s[16:17], 0
	s_branch .LBB332_1902
.LBB332_1897:
	s_mov_b64 s[16:17], -1
                                        ; implicit-def: $vgpr10
	s_branch .LBB332_1908
.LBB332_1898:
	s_andn2_saveexec_b64 s[18:19], s[18:19]
	s_cbranch_execz .LBB332_1883
.LBB332_1899:
	v_cmp_ne_u16_e32 vcc, 0, v1
	s_andn2_b64 s[20:21], s[20:21], exec
	s_and_b64 s[26:27], vcc, exec
	s_or_b64 s[20:21], s[20:21], s[26:27]
	s_or_b64 exec, exec, s[18:19]
	v_mov_b32_e32 v10, 0
	s_and_saveexec_b64 s[18:19], s[20:21]
	s_cbranch_execnz .LBB332_1884
	s_branch .LBB332_1885
.LBB332_1900:
	s_mov_b64 s[16:17], -1
                                        ; implicit-def: $vgpr10
	s_branch .LBB332_1905
.LBB332_1901:
	s_mov_b64 s[16:17], -1
                                        ; implicit-def: $vgpr10
.LBB332_1902:
	s_and_b64 vcc, exec, s[16:17]
	s_cbranch_vccz .LBB332_1904
; %bb.1903:
	global_load_ubyte v1, v[20:21], off
	s_mov_b32 s16, 0x7f800000
	s_waitcnt vmcnt(0)
	v_lshlrev_b32_e32 v1, 24, v1
	v_and_b32_e32 v3, 0x7f000000, v1
	v_ffbh_u32_e32 v5, v3
	v_min_u32_e32 v5, 32, v5
	v_sub_u32_e64 v5, v5, 4 clamp
	v_lshlrev_b32_e32 v10, v5, v3
	v_lshlrev_b32_e32 v5, 23, v5
	v_lshrrev_b32_e32 v10, 4, v10
	v_add_u32_e32 v8, 0x1000000, v3
	v_sub_u32_e32 v5, v10, v5
	v_ashrrev_i32_e32 v8, 8, v8
	v_add_u32_e32 v5, 0x3c000000, v5
	v_and_or_b32 v5, v8, s16, v5
	v_cmp_ne_u32_e32 vcc, 0, v3
	v_cndmask_b32_e32 v3, 0, v5, vcc
	s_brev_b32 s16, 1
	v_and_or_b32 v1, v1, s16, v3
	v_cvt_u32_f32_e32 v10, v1
.LBB332_1904:
	s_mov_b64 s[16:17], 0
.LBB332_1905:
	s_andn2_b64 vcc, exec, s[16:17]
	s_cbranch_vccnz .LBB332_1907
; %bb.1906:
	global_load_ubyte v1, v[20:21], off
	s_movk_i32 s16, 0x7f00
	s_brev_b32 s17, 16
	s_waitcnt vmcnt(0)
	v_lshlrev_b16_e32 v3, 8, v1
	v_lshlrev_b32_e32 v1, 25, v1
	v_lshrrev_b32_e32 v5, 4, v1
	v_and_or_b32 v8, v3, s16, 0.5
	v_or_b32_e32 v5, 0x70000000, v5
	v_add_f32_e32 v8, -0.5, v8
	v_mul_f32_e32 v5, 0x7800000, v5
	v_cmp_gt_u32_e32 vcc, s17, v1
	v_bfe_i32 v3, v3, 0, 16
	v_cndmask_b32_e32 v1, v5, v8, vcc
	s_brev_b32 s16, 1
	v_and_or_b32 v1, v3, s16, v1
	v_cvt_u32_f32_e32 v10, v1
.LBB332_1907:
	s_mov_b64 s[16:17], 0
	s_mov_b64 s[18:19], -1
.LBB332_1908:
	s_andn2_b64 vcc, exec, s[16:17]
	s_mov_b64 s[16:17], 0
	s_cbranch_vccnz .LBB332_1919
; %bb.1909:
	s_cmp_gt_i32 s24, 14
	s_cbranch_scc0 .LBB332_1912
; %bb.1910:
	s_cmp_eq_u32 s24, 15
	s_cbranch_scc0 .LBB332_1915
; %bb.1911:
	global_load_ushort v1, v[20:21], off
	s_mov_b64 s[6:7], 0
	s_mov_b64 s[18:19], -1
	s_waitcnt vmcnt(0)
	v_lshlrev_b32_e32 v1, 16, v1
	v_cvt_u32_f32_e32 v10, v1
	s_branch .LBB332_1916
.LBB332_1912:
	s_mov_b64 s[20:21], -1
                                        ; implicit-def: $vgpr10
	s_branch .LBB332_1917
.LBB332_1913:
	s_andn2_saveexec_b64 s[16:17], s[16:17]
	s_cbranch_execz .LBB332_1894
.LBB332_1914:
	v_cmp_ne_u16_e32 vcc, 0, v1
	s_andn2_b64 s[18:19], s[18:19], exec
	s_and_b64 s[20:21], vcc, exec
	s_or_b64 s[18:19], s[18:19], s[20:21]
	s_or_b64 exec, exec, s[16:17]
	v_mov_b32_e32 v10, 0
	s_and_saveexec_b64 s[16:17], s[18:19]
	s_cbranch_execnz .LBB332_1895
	s_branch .LBB332_1896
.LBB332_1915:
	s_mov_b64 s[6:7], -1
                                        ; implicit-def: $vgpr10
.LBB332_1916:
	s_mov_b64 s[20:21], 0
.LBB332_1917:
	s_and_b64 vcc, exec, s[20:21]
	s_cbranch_vccz .LBB332_1919
; %bb.1918:
	s_cmp_lg_u32 s24, 11
	s_mov_b64 s[16:17], -1
	s_cselect_b64 s[6:7], -1, 0
.LBB332_1919:
	s_and_b64 vcc, exec, s[6:7]
	s_cbranch_vccnz .LBB332_1982
; %bb.1920:
	s_andn2_b64 vcc, exec, s[16:17]
	s_cbranch_vccnz .LBB332_1922
.LBB332_1921:
	global_load_ubyte v1, v[20:21], off
	s_mov_b64 s[18:19], -1
	s_waitcnt vmcnt(0)
	v_cmp_ne_u16_e32 vcc, 0, v1
	v_cndmask_b32_e64 v10, 0, 1, vcc
.LBB332_1922:
	s_branch .LBB332_1854
.LBB332_1923:
	s_and_b32 s16, 0xffff, s22
	s_cmp_lt_i32 s16, 5
	s_cbranch_scc1 .LBB332_1928
; %bb.1924:
	s_cmp_lt_i32 s16, 8
	s_cbranch_scc1 .LBB332_1929
; %bb.1925:
	;; [unrolled: 3-line block ×3, first 2 shown]
	s_cmp_gt_i32 s16, 9
	s_cbranch_scc0 .LBB332_1931
; %bb.1927:
	global_load_dwordx2 v[10:11], v[20:21], off
	s_mov_b64 s[6:7], 0
	s_waitcnt vmcnt(0)
	v_cvt_u32_f64_e32 v10, v[10:11]
	s_branch .LBB332_1932
.LBB332_1928:
	s_mov_b64 s[6:7], -1
                                        ; implicit-def: $vgpr10
	s_branch .LBB332_1950
.LBB332_1929:
	s_mov_b64 s[6:7], -1
                                        ; implicit-def: $vgpr10
	s_branch .LBB332_1938
.LBB332_1930:
	s_mov_b64 s[6:7], -1
                                        ; implicit-def: $vgpr10
	s_branch .LBB332_1935
.LBB332_1931:
	s_mov_b64 s[6:7], -1
                                        ; implicit-def: $vgpr10
.LBB332_1932:
	s_andn2_b64 vcc, exec, s[6:7]
	s_cbranch_vccnz .LBB332_1934
; %bb.1933:
	global_load_dword v1, v[20:21], off
	s_waitcnt vmcnt(0)
	v_cvt_u32_f32_e32 v10, v1
.LBB332_1934:
	s_mov_b64 s[6:7], 0
.LBB332_1935:
	s_andn2_b64 vcc, exec, s[6:7]
	s_cbranch_vccnz .LBB332_1937
; %bb.1936:
	global_load_dword v1, v[20:21], off
	s_waitcnt vmcnt(0)
	v_cvt_u16_f16_e32 v10, v1
.LBB332_1937:
	s_mov_b64 s[6:7], 0
.LBB332_1938:
	s_andn2_b64 vcc, exec, s[6:7]
	s_cbranch_vccnz .LBB332_1949
; %bb.1939:
	s_cmp_lt_i32 s16, 6
	s_cbranch_scc1 .LBB332_1942
; %bb.1940:
	s_cmp_gt_i32 s16, 6
	s_cbranch_scc0 .LBB332_1943
; %bb.1941:
	global_load_dwordx2 v[10:11], v[20:21], off
	s_mov_b64 s[6:7], 0
	s_waitcnt vmcnt(0)
	v_cvt_u32_f64_e32 v10, v[10:11]
	s_branch .LBB332_1944
.LBB332_1942:
	s_mov_b64 s[6:7], -1
                                        ; implicit-def: $vgpr10
	s_branch .LBB332_1947
.LBB332_1943:
	s_mov_b64 s[6:7], -1
                                        ; implicit-def: $vgpr10
.LBB332_1944:
	s_andn2_b64 vcc, exec, s[6:7]
	s_cbranch_vccnz .LBB332_1946
; %bb.1945:
	global_load_dword v1, v[20:21], off
	s_waitcnt vmcnt(0)
	v_cvt_u32_f32_e32 v10, v1
.LBB332_1946:
	s_mov_b64 s[6:7], 0
.LBB332_1947:
	s_andn2_b64 vcc, exec, s[6:7]
	s_cbranch_vccnz .LBB332_1949
; %bb.1948:
	global_load_ushort v1, v[20:21], off
	s_waitcnt vmcnt(0)
	v_cvt_u16_f16_e32 v10, v1
.LBB332_1949:
	s_mov_b64 s[6:7], 0
.LBB332_1950:
	s_andn2_b64 vcc, exec, s[6:7]
	s_cbranch_vccnz .LBB332_1970
; %bb.1951:
	s_cmp_lt_i32 s16, 2
	s_cbranch_scc1 .LBB332_1955
; %bb.1952:
	s_cmp_lt_i32 s16, 3
	s_cbranch_scc1 .LBB332_1956
; %bb.1953:
	s_cmp_gt_i32 s16, 3
	s_cbranch_scc0 .LBB332_1957
; %bb.1954:
	global_load_dwordx2 v[10:11], v[20:21], off
	s_mov_b64 s[6:7], 0
	s_branch .LBB332_1958
.LBB332_1955:
	s_mov_b64 s[6:7], -1
                                        ; implicit-def: $vgpr10
	s_branch .LBB332_1964
.LBB332_1956:
	s_mov_b64 s[6:7], -1
                                        ; implicit-def: $vgpr10
	s_branch .LBB332_1961
.LBB332_1957:
	s_mov_b64 s[6:7], -1
                                        ; implicit-def: $vgpr10
.LBB332_1958:
	s_andn2_b64 vcc, exec, s[6:7]
	s_cbranch_vccnz .LBB332_1960
; %bb.1959:
	global_load_dword v10, v[20:21], off
.LBB332_1960:
	s_mov_b64 s[6:7], 0
.LBB332_1961:
	s_andn2_b64 vcc, exec, s[6:7]
	s_cbranch_vccnz .LBB332_1963
; %bb.1962:
	global_load_ushort v10, v[20:21], off
.LBB332_1963:
	s_mov_b64 s[6:7], 0
.LBB332_1964:
	s_andn2_b64 vcc, exec, s[6:7]
	s_cbranch_vccnz .LBB332_1970
; %bb.1965:
	s_cmp_gt_i32 s16, 0
	s_cbranch_scc0 .LBB332_1967
; %bb.1966:
	global_load_sbyte v10, v[20:21], off
	s_mov_b64 s[6:7], 0
	s_branch .LBB332_1968
.LBB332_1967:
	s_mov_b64 s[6:7], -1
                                        ; implicit-def: $vgpr10
.LBB332_1968:
	s_andn2_b64 vcc, exec, s[6:7]
	s_cbranch_vccnz .LBB332_1970
; %bb.1969:
	global_load_ubyte v10, v[20:21], off
.LBB332_1970:
.LBB332_1971:
	s_lshr_b32 s6, s23, 16
	v_mov_b32_e32 v1, s1
	s_and_b32 s23, s6, 0xff
	v_add_co_u32_e32 v20, vcc, s0, v18
	s_cmp_lt_i32 s23, 11
	v_addc_co_u32_e32 v21, vcc, 0, v1, vcc
	s_cbranch_scc1 .LBB332_1978
; %bb.1972:
	s_and_b32 s24, 0xffff, s23
	s_cmp_gt_i32 s24, 25
	s_mov_b64 s[16:17], 0
	s_cbranch_scc0 .LBB332_1979
; %bb.1973:
	s_cmp_gt_i32 s24, 28
	s_cbranch_scc0 .LBB332_1980
; %bb.1974:
	s_cmp_gt_i32 s24, 43
	;; [unrolled: 3-line block ×3, first 2 shown]
	s_cbranch_scc0 .LBB332_1983
; %bb.1976:
	s_cmp_eq_u32 s24, 46
	s_mov_b64 s[20:21], 0
	s_cbranch_scc0 .LBB332_1984
; %bb.1977:
	global_load_dword v1, v[20:21], off
	s_mov_b64 s[6:7], 0
	s_mov_b64 s[18:19], -1
	s_waitcnt vmcnt(0)
	v_lshlrev_b32_e32 v1, 16, v1
	v_cvt_u32_f32_e32 v17, v1
	s_branch .LBB332_1985
.LBB332_1978:
	s_mov_b64 s[6:7], -1
	s_mov_b64 s[18:19], 0
                                        ; implicit-def: $vgpr17
	s_branch .LBB332_2047
.LBB332_1979:
	s_mov_b64 s[20:21], -1
	s_mov_b64 s[18:19], 0
	s_mov_b64 s[6:7], 0
                                        ; implicit-def: $vgpr17
	s_branch .LBB332_2012
.LBB332_1980:
	s_mov_b64 s[20:21], -1
	s_mov_b64 s[18:19], 0
	s_mov_b64 s[6:7], 0
                                        ; implicit-def: $vgpr17
	s_branch .LBB332_1995
.LBB332_1981:
	s_mov_b64 s[20:21], -1
	s_mov_b64 s[18:19], 0
	s_mov_b64 s[6:7], 0
                                        ; implicit-def: $vgpr17
	s_branch .LBB332_1990
.LBB332_1982:
	s_trap 2
	s_or_b64 s[4:5], s[4:5], exec
	s_cbranch_execz .LBB332_1921
	s_branch .LBB332_1922
.LBB332_1983:
	s_mov_b64 s[20:21], -1
	s_mov_b64 s[18:19], 0
	s_mov_b64 s[6:7], 0
                                        ; implicit-def: $vgpr17
	s_branch .LBB332_1985
.LBB332_1984:
	s_mov_b64 s[6:7], -1
                                        ; implicit-def: $vgpr17
	s_mov_b64 s[18:19], 0
.LBB332_1985:
	s_and_b64 vcc, exec, s[20:21]
	s_cbranch_vccz .LBB332_1989
; %bb.1986:
	s_cmp_eq_u32 s24, 44
	s_cbranch_scc0 .LBB332_1988
; %bb.1987:
	global_load_ubyte v1, v[20:21], off
	s_mov_b64 s[6:7], 0
	s_mov_b64 s[18:19], -1
	s_waitcnt vmcnt(0)
	v_lshlrev_b32_e32 v3, 23, v1
	v_cvt_u32_f32_e32 v3, v3
	v_cmp_ne_u32_e32 vcc, 0, v1
	v_cndmask_b32_e32 v17, 0, v3, vcc
	s_branch .LBB332_1989
.LBB332_1988:
	s_mov_b64 s[6:7], -1
                                        ; implicit-def: $vgpr17
.LBB332_1989:
	s_mov_b64 s[20:21], 0
.LBB332_1990:
	s_and_b64 vcc, exec, s[20:21]
	s_cbranch_vccz .LBB332_1994
; %bb.1991:
	s_cmp_eq_u32 s24, 29
	s_cbranch_scc0 .LBB332_1993
; %bb.1992:
	global_load_dwordx2 v[17:18], v[20:21], off
	s_mov_b64 s[6:7], 0
	s_mov_b64 s[18:19], -1
	s_branch .LBB332_1994
.LBB332_1993:
	s_mov_b64 s[6:7], -1
                                        ; implicit-def: $vgpr17
.LBB332_1994:
	s_mov_b64 s[20:21], 0
.LBB332_1995:
	s_and_b64 vcc, exec, s[20:21]
	s_cbranch_vccz .LBB332_2011
; %bb.1996:
	s_cmp_lt_i32 s24, 27
	s_cbranch_scc1 .LBB332_1999
; %bb.1997:
	s_cmp_gt_i32 s24, 27
	s_cbranch_scc0 .LBB332_2000
; %bb.1998:
	global_load_dword v17, v[20:21], off
	s_mov_b64 s[18:19], 0
	s_branch .LBB332_2001
.LBB332_1999:
	s_mov_b64 s[18:19], -1
                                        ; implicit-def: $vgpr17
	s_branch .LBB332_2004
.LBB332_2000:
	s_mov_b64 s[18:19], -1
                                        ; implicit-def: $vgpr17
.LBB332_2001:
	s_andn2_b64 vcc, exec, s[18:19]
	s_cbranch_vccnz .LBB332_2003
; %bb.2002:
	global_load_ushort v17, v[20:21], off
.LBB332_2003:
	s_mov_b64 s[18:19], 0
.LBB332_2004:
	s_andn2_b64 vcc, exec, s[18:19]
	s_cbranch_vccnz .LBB332_2010
; %bb.2005:
	global_load_ubyte v1, v[20:21], off
	s_movk_i32 s18, 0x7f
	s_mov_b64 s[20:21], 0
	s_waitcnt vmcnt(0)
	v_cmp_lt_i16_e32 vcc, s18, v1
	s_and_saveexec_b64 s[18:19], vcc
	s_xor_b64 s[18:19], exec, s[18:19]
	s_cbranch_execz .LBB332_2022
; %bb.2006:
	s_movk_i32 s20, 0x80
	v_cmp_ne_u16_e32 vcc, s20, v1
	s_and_b64 s[20:21], vcc, exec
	s_andn2_saveexec_b64 s[18:19], s[18:19]
	s_cbranch_execnz .LBB332_2023
.LBB332_2007:
	s_or_b64 exec, exec, s[18:19]
	v_mov_b32_e32 v17, 0
	s_and_saveexec_b64 s[18:19], s[20:21]
	s_cbranch_execz .LBB332_2009
.LBB332_2008:
	v_lshlrev_b32_e32 v3, 24, v1
	v_and_b32_e32 v1, 0xffff, v1
	v_and_b32_e32 v5, 7, v1
	v_ffbh_u32_e32 v11, v5
	v_min_u32_e32 v11, 32, v11
	v_subrev_u32_e32 v13, 28, v11
	v_bfe_u32 v8, v1, 3, 4
	v_lshlrev_b32_e32 v1, v13, v1
	v_sub_u32_e32 v11, 29, v11
	v_and_b32_e32 v1, 7, v1
	v_cmp_eq_u32_e32 vcc, 0, v8
	v_cndmask_b32_e32 v8, v8, v11, vcc
	v_cndmask_b32_e32 v1, v5, v1, vcc
	v_mov_b32_e32 v5, 0x3b800000
	v_lshlrev_b32_e32 v1, 20, v1
	v_and_b32_e32 v3, 0x80000000, v3
	v_lshl_add_u32 v5, v8, 23, v5
	v_or3_b32 v1, v3, v5, v1
	v_cvt_u32_f32_e32 v17, v1
.LBB332_2009:
	s_or_b64 exec, exec, s[18:19]
.LBB332_2010:
	s_mov_b64 s[18:19], -1
.LBB332_2011:
	s_mov_b64 s[20:21], 0
.LBB332_2012:
	s_and_b64 vcc, exec, s[20:21]
	s_cbranch_vccz .LBB332_2043
; %bb.2013:
	s_cmp_gt_i32 s24, 22
	s_cbranch_scc0 .LBB332_2021
; %bb.2014:
	s_cmp_lt_i32 s24, 24
	s_cbranch_scc1 .LBB332_2024
; %bb.2015:
	s_cmp_gt_i32 s24, 24
	s_cbranch_scc0 .LBB332_2025
; %bb.2016:
	global_load_ubyte v1, v[20:21], off
	s_movk_i32 s16, 0x7f
	s_mov_b64 s[18:19], 0
	s_waitcnt vmcnt(0)
	v_cmp_lt_i16_e32 vcc, s16, v1
	s_and_saveexec_b64 s[16:17], vcc
	s_xor_b64 s[16:17], exec, s[16:17]
	s_cbranch_execz .LBB332_2037
; %bb.2017:
	s_movk_i32 s18, 0x80
	v_cmp_ne_u16_e32 vcc, s18, v1
	s_and_b64 s[18:19], vcc, exec
	s_andn2_saveexec_b64 s[16:17], s[16:17]
	s_cbranch_execnz .LBB332_2038
.LBB332_2018:
	s_or_b64 exec, exec, s[16:17]
	v_mov_b32_e32 v17, 0
	s_and_saveexec_b64 s[16:17], s[18:19]
	s_cbranch_execz .LBB332_2020
.LBB332_2019:
	v_lshlrev_b32_e32 v3, 24, v1
	v_and_b32_e32 v1, 0xffff, v1
	v_and_b32_e32 v5, 3, v1
	v_ffbh_u32_e32 v11, v5
	v_min_u32_e32 v11, 32, v11
	v_subrev_u32_e32 v13, 29, v11
	v_bfe_u32 v8, v1, 2, 5
	v_lshlrev_b32_e32 v1, v13, v1
	v_sub_u32_e32 v11, 30, v11
	v_and_b32_e32 v1, 3, v1
	v_cmp_eq_u32_e32 vcc, 0, v8
	v_cndmask_b32_e32 v8, v8, v11, vcc
	v_cndmask_b32_e32 v1, v5, v1, vcc
	v_mov_b32_e32 v5, 0x37800000
	v_lshlrev_b32_e32 v1, 21, v1
	v_and_b32_e32 v3, 0x80000000, v3
	v_lshl_add_u32 v5, v8, 23, v5
	v_or3_b32 v1, v3, v5, v1
	v_cvt_u32_f32_e32 v17, v1
.LBB332_2020:
	s_or_b64 exec, exec, s[16:17]
	s_mov_b64 s[16:17], 0
	s_branch .LBB332_2026
.LBB332_2021:
	s_mov_b64 s[16:17], -1
                                        ; implicit-def: $vgpr17
	s_branch .LBB332_2032
.LBB332_2022:
	s_andn2_saveexec_b64 s[18:19], s[18:19]
	s_cbranch_execz .LBB332_2007
.LBB332_2023:
	v_cmp_ne_u16_e32 vcc, 0, v1
	s_andn2_b64 s[20:21], s[20:21], exec
	s_and_b64 s[26:27], vcc, exec
	s_or_b64 s[20:21], s[20:21], s[26:27]
	s_or_b64 exec, exec, s[18:19]
	v_mov_b32_e32 v17, 0
	s_and_saveexec_b64 s[18:19], s[20:21]
	s_cbranch_execnz .LBB332_2008
	s_branch .LBB332_2009
.LBB332_2024:
	s_mov_b64 s[16:17], -1
                                        ; implicit-def: $vgpr17
	s_branch .LBB332_2029
.LBB332_2025:
	s_mov_b64 s[16:17], -1
                                        ; implicit-def: $vgpr17
.LBB332_2026:
	s_and_b64 vcc, exec, s[16:17]
	s_cbranch_vccz .LBB332_2028
; %bb.2027:
	global_load_ubyte v1, v[20:21], off
	s_mov_b32 s16, 0x7f800000
	s_waitcnt vmcnt(0)
	v_lshlrev_b32_e32 v1, 24, v1
	v_and_b32_e32 v3, 0x7f000000, v1
	v_ffbh_u32_e32 v5, v3
	v_min_u32_e32 v5, 32, v5
	v_sub_u32_e64 v5, v5, 4 clamp
	v_lshlrev_b32_e32 v11, v5, v3
	v_lshlrev_b32_e32 v5, 23, v5
	v_lshrrev_b32_e32 v11, 4, v11
	v_add_u32_e32 v8, 0x1000000, v3
	v_sub_u32_e32 v5, v11, v5
	v_ashrrev_i32_e32 v8, 8, v8
	v_add_u32_e32 v5, 0x3c000000, v5
	v_and_or_b32 v5, v8, s16, v5
	v_cmp_ne_u32_e32 vcc, 0, v3
	v_cndmask_b32_e32 v3, 0, v5, vcc
	s_brev_b32 s16, 1
	v_and_or_b32 v1, v1, s16, v3
	v_cvt_u32_f32_e32 v17, v1
.LBB332_2028:
	s_mov_b64 s[16:17], 0
.LBB332_2029:
	s_andn2_b64 vcc, exec, s[16:17]
	s_cbranch_vccnz .LBB332_2031
; %bb.2030:
	global_load_ubyte v1, v[20:21], off
	s_movk_i32 s16, 0x7f00
	s_brev_b32 s17, 16
	s_waitcnt vmcnt(0)
	v_lshlrev_b16_e32 v3, 8, v1
	v_lshlrev_b32_e32 v1, 25, v1
	v_lshrrev_b32_e32 v5, 4, v1
	v_and_or_b32 v8, v3, s16, 0.5
	v_or_b32_e32 v5, 0x70000000, v5
	v_add_f32_e32 v8, -0.5, v8
	v_mul_f32_e32 v5, 0x7800000, v5
	v_cmp_gt_u32_e32 vcc, s17, v1
	v_bfe_i32 v3, v3, 0, 16
	v_cndmask_b32_e32 v1, v5, v8, vcc
	s_brev_b32 s16, 1
	v_and_or_b32 v1, v3, s16, v1
	v_cvt_u32_f32_e32 v17, v1
.LBB332_2031:
	s_mov_b64 s[16:17], 0
	s_mov_b64 s[18:19], -1
.LBB332_2032:
	s_andn2_b64 vcc, exec, s[16:17]
	s_mov_b64 s[16:17], 0
	s_cbranch_vccnz .LBB332_2043
; %bb.2033:
	s_cmp_gt_i32 s24, 14
	s_cbranch_scc0 .LBB332_2036
; %bb.2034:
	s_cmp_eq_u32 s24, 15
	s_cbranch_scc0 .LBB332_2039
; %bb.2035:
	global_load_ushort v1, v[20:21], off
	s_mov_b64 s[6:7], 0
	s_mov_b64 s[18:19], -1
	s_waitcnt vmcnt(0)
	v_lshlrev_b32_e32 v1, 16, v1
	v_cvt_u32_f32_e32 v17, v1
	s_branch .LBB332_2040
.LBB332_2036:
	s_mov_b64 s[20:21], -1
                                        ; implicit-def: $vgpr17
	s_branch .LBB332_2041
.LBB332_2037:
	s_andn2_saveexec_b64 s[16:17], s[16:17]
	s_cbranch_execz .LBB332_2018
.LBB332_2038:
	v_cmp_ne_u16_e32 vcc, 0, v1
	s_andn2_b64 s[18:19], s[18:19], exec
	s_and_b64 s[20:21], vcc, exec
	s_or_b64 s[18:19], s[18:19], s[20:21]
	s_or_b64 exec, exec, s[16:17]
	v_mov_b32_e32 v17, 0
	s_and_saveexec_b64 s[16:17], s[18:19]
	s_cbranch_execnz .LBB332_2019
	s_branch .LBB332_2020
.LBB332_2039:
	s_mov_b64 s[6:7], -1
                                        ; implicit-def: $vgpr17
.LBB332_2040:
	s_mov_b64 s[20:21], 0
.LBB332_2041:
	s_and_b64 vcc, exec, s[20:21]
	s_cbranch_vccz .LBB332_2043
; %bb.2042:
	s_cmp_lg_u32 s24, 11
	s_mov_b64 s[16:17], -1
	s_cselect_b64 s[6:7], -1, 0
.LBB332_2043:
	s_and_b64 vcc, exec, s[6:7]
	s_cbranch_vccnz .LBB332_2108
; %bb.2044:
	s_andn2_b64 vcc, exec, s[16:17]
	s_cbranch_vccnz .LBB332_2046
.LBB332_2045:
	global_load_ubyte v1, v[20:21], off
	s_mov_b64 s[18:19], -1
	s_waitcnt vmcnt(0)
	v_cmp_ne_u16_e32 vcc, 0, v1
	v_cndmask_b32_e64 v17, 0, 1, vcc
.LBB332_2046:
	s_mov_b64 s[6:7], 0
.LBB332_2047:
	s_and_b64 vcc, exec, s[6:7]
	s_cbranch_vccz .LBB332_2096
; %bb.2048:
	s_and_b32 s16, 0xffff, s23
	s_cmp_lt_i32 s16, 5
	s_cbranch_scc1 .LBB332_2053
; %bb.2049:
	s_cmp_lt_i32 s16, 8
	s_cbranch_scc1 .LBB332_2054
; %bb.2050:
	;; [unrolled: 3-line block ×3, first 2 shown]
	s_cmp_gt_i32 s16, 9
	s_cbranch_scc0 .LBB332_2056
; %bb.2052:
	global_load_dwordx2 v[17:18], v[20:21], off
	s_mov_b64 s[6:7], 0
	s_waitcnt vmcnt(0)
	v_cvt_u32_f64_e32 v17, v[17:18]
	s_branch .LBB332_2057
.LBB332_2053:
	s_mov_b64 s[6:7], -1
                                        ; implicit-def: $vgpr17
	s_branch .LBB332_2075
.LBB332_2054:
	s_mov_b64 s[6:7], -1
                                        ; implicit-def: $vgpr17
	s_branch .LBB332_2063
.LBB332_2055:
	s_mov_b64 s[6:7], -1
                                        ; implicit-def: $vgpr17
	s_branch .LBB332_2060
.LBB332_2056:
	s_mov_b64 s[6:7], -1
                                        ; implicit-def: $vgpr17
.LBB332_2057:
	s_andn2_b64 vcc, exec, s[6:7]
	s_cbranch_vccnz .LBB332_2059
; %bb.2058:
	global_load_dword v1, v[20:21], off
	s_waitcnt vmcnt(0)
	v_cvt_u32_f32_e32 v17, v1
.LBB332_2059:
	s_mov_b64 s[6:7], 0
.LBB332_2060:
	s_andn2_b64 vcc, exec, s[6:7]
	s_cbranch_vccnz .LBB332_2062
; %bb.2061:
	global_load_dword v1, v[20:21], off
	s_waitcnt vmcnt(0)
	v_cvt_u16_f16_e32 v17, v1
.LBB332_2062:
	s_mov_b64 s[6:7], 0
.LBB332_2063:
	s_andn2_b64 vcc, exec, s[6:7]
	s_cbranch_vccnz .LBB332_2074
; %bb.2064:
	s_cmp_lt_i32 s16, 6
	s_cbranch_scc1 .LBB332_2067
; %bb.2065:
	s_cmp_gt_i32 s16, 6
	s_cbranch_scc0 .LBB332_2068
; %bb.2066:
	global_load_dwordx2 v[17:18], v[20:21], off
	s_mov_b64 s[6:7], 0
	s_waitcnt vmcnt(0)
	v_cvt_u32_f64_e32 v17, v[17:18]
	s_branch .LBB332_2069
.LBB332_2067:
	s_mov_b64 s[6:7], -1
                                        ; implicit-def: $vgpr17
	s_branch .LBB332_2072
.LBB332_2068:
	s_mov_b64 s[6:7], -1
                                        ; implicit-def: $vgpr17
.LBB332_2069:
	s_andn2_b64 vcc, exec, s[6:7]
	s_cbranch_vccnz .LBB332_2071
; %bb.2070:
	global_load_dword v1, v[20:21], off
	s_waitcnt vmcnt(0)
	v_cvt_u32_f32_e32 v17, v1
.LBB332_2071:
	s_mov_b64 s[6:7], 0
.LBB332_2072:
	s_andn2_b64 vcc, exec, s[6:7]
	s_cbranch_vccnz .LBB332_2074
; %bb.2073:
	global_load_ushort v1, v[20:21], off
	s_waitcnt vmcnt(0)
	v_cvt_u16_f16_e32 v17, v1
.LBB332_2074:
	s_mov_b64 s[6:7], 0
.LBB332_2075:
	s_andn2_b64 vcc, exec, s[6:7]
	s_cbranch_vccnz .LBB332_2095
; %bb.2076:
	s_cmp_lt_i32 s16, 2
	s_cbranch_scc1 .LBB332_2080
; %bb.2077:
	s_cmp_lt_i32 s16, 3
	s_cbranch_scc1 .LBB332_2081
; %bb.2078:
	s_cmp_gt_i32 s16, 3
	s_cbranch_scc0 .LBB332_2082
; %bb.2079:
	global_load_dwordx2 v[17:18], v[20:21], off
	s_mov_b64 s[6:7], 0
	s_branch .LBB332_2083
.LBB332_2080:
	s_mov_b64 s[6:7], -1
                                        ; implicit-def: $vgpr17
	s_branch .LBB332_2089
.LBB332_2081:
	s_mov_b64 s[6:7], -1
                                        ; implicit-def: $vgpr17
	s_branch .LBB332_2086
.LBB332_2082:
	s_mov_b64 s[6:7], -1
                                        ; implicit-def: $vgpr17
.LBB332_2083:
	s_andn2_b64 vcc, exec, s[6:7]
	s_cbranch_vccnz .LBB332_2085
; %bb.2084:
	global_load_dword v17, v[20:21], off
.LBB332_2085:
	s_mov_b64 s[6:7], 0
.LBB332_2086:
	s_andn2_b64 vcc, exec, s[6:7]
	s_cbranch_vccnz .LBB332_2088
; %bb.2087:
	global_load_ushort v17, v[20:21], off
.LBB332_2088:
	s_mov_b64 s[6:7], 0
.LBB332_2089:
	s_andn2_b64 vcc, exec, s[6:7]
	s_cbranch_vccnz .LBB332_2095
; %bb.2090:
	s_cmp_gt_i32 s16, 0
	s_cbranch_scc0 .LBB332_2092
; %bb.2091:
	global_load_sbyte v17, v[20:21], off
	s_mov_b64 s[6:7], 0
	s_branch .LBB332_2093
.LBB332_2092:
	s_mov_b64 s[6:7], -1
                                        ; implicit-def: $vgpr17
.LBB332_2093:
	s_andn2_b64 vcc, exec, s[6:7]
	s_cbranch_vccnz .LBB332_2095
; %bb.2094:
	global_load_ubyte v17, v[20:21], off
.LBB332_2095:
	s_mov_b64 s[18:19], -1
.LBB332_2096:
	s_andn2_b64 vcc, exec, s[18:19]
	s_cbranch_vccnz .LBB332_3036
; %bb.2097:
	v_mov_b32_e32 v1, s11
	v_add_co_u32_e32 v20, vcc, s10, v16
	s_cmp_lt_i32 s22, 11
	v_addc_co_u32_e32 v21, vcc, 0, v1, vcc
	s_cbranch_scc1 .LBB332_2104
; %bb.2098:
	s_and_b32 s24, 0xffff, s22
	s_cmp_gt_i32 s24, 25
	s_mov_b64 s[16:17], 0
	s_cbranch_scc0 .LBB332_2105
; %bb.2099:
	s_cmp_gt_i32 s24, 28
	s_cbranch_scc0 .LBB332_2106
; %bb.2100:
	s_cmp_gt_i32 s24, 43
	;; [unrolled: 3-line block ×3, first 2 shown]
	s_cbranch_scc0 .LBB332_2109
; %bb.2102:
	s_cmp_eq_u32 s24, 46
	s_mov_b64 s[20:21], 0
	s_cbranch_scc0 .LBB332_2110
; %bb.2103:
	global_load_dword v1, v[20:21], off
	s_mov_b64 s[6:7], 0
	s_mov_b64 s[18:19], -1
	s_waitcnt vmcnt(0)
	v_lshlrev_b32_e32 v1, 16, v1
	v_cvt_u32_f32_e32 v15, v1
	s_branch .LBB332_2111
.LBB332_2104:
	s_mov_b64 s[6:7], -1
	s_mov_b64 s[18:19], 0
                                        ; implicit-def: $vgpr15
	s_branch .LBB332_2173
.LBB332_2105:
	s_mov_b64 s[20:21], -1
	s_mov_b64 s[18:19], 0
	s_mov_b64 s[6:7], 0
                                        ; implicit-def: $vgpr15
	s_branch .LBB332_2138
.LBB332_2106:
	s_mov_b64 s[20:21], -1
	s_mov_b64 s[18:19], 0
	s_mov_b64 s[6:7], 0
                                        ; implicit-def: $vgpr15
	s_branch .LBB332_2121
.LBB332_2107:
	s_mov_b64 s[20:21], -1
	s_mov_b64 s[18:19], 0
	s_mov_b64 s[6:7], 0
                                        ; implicit-def: $vgpr15
	s_branch .LBB332_2116
.LBB332_2108:
	s_trap 2
	s_or_b64 s[4:5], s[4:5], exec
	s_cbranch_execz .LBB332_2045
	s_branch .LBB332_2046
.LBB332_2109:
	s_mov_b64 s[20:21], -1
	s_mov_b64 s[18:19], 0
	s_mov_b64 s[6:7], 0
                                        ; implicit-def: $vgpr15
	s_branch .LBB332_2111
.LBB332_2110:
	s_mov_b64 s[6:7], -1
                                        ; implicit-def: $vgpr15
	s_mov_b64 s[18:19], 0
.LBB332_2111:
	s_and_b64 vcc, exec, s[20:21]
	s_cbranch_vccz .LBB332_2115
; %bb.2112:
	s_cmp_eq_u32 s24, 44
	s_cbranch_scc0 .LBB332_2114
; %bb.2113:
	global_load_ubyte v1, v[20:21], off
	s_mov_b64 s[6:7], 0
	s_mov_b64 s[18:19], -1
	s_waitcnt vmcnt(0)
	v_lshlrev_b32_e32 v3, 23, v1
	v_cvt_u32_f32_e32 v3, v3
	v_cmp_ne_u32_e32 vcc, 0, v1
	v_cndmask_b32_e32 v15, 0, v3, vcc
	s_branch .LBB332_2115
.LBB332_2114:
	s_mov_b64 s[6:7], -1
                                        ; implicit-def: $vgpr15
.LBB332_2115:
	s_mov_b64 s[20:21], 0
.LBB332_2116:
	s_and_b64 vcc, exec, s[20:21]
	s_cbranch_vccz .LBB332_2120
; %bb.2117:
	s_cmp_eq_u32 s24, 29
	s_cbranch_scc0 .LBB332_2119
; %bb.2118:
	global_load_dwordx2 v[15:16], v[20:21], off
	s_mov_b64 s[6:7], 0
	s_mov_b64 s[18:19], -1
	s_branch .LBB332_2120
.LBB332_2119:
	s_mov_b64 s[6:7], -1
                                        ; implicit-def: $vgpr15
.LBB332_2120:
	s_mov_b64 s[20:21], 0
.LBB332_2121:
	s_and_b64 vcc, exec, s[20:21]
	s_cbranch_vccz .LBB332_2137
; %bb.2122:
	s_cmp_lt_i32 s24, 27
	s_cbranch_scc1 .LBB332_2125
; %bb.2123:
	s_cmp_gt_i32 s24, 27
	s_cbranch_scc0 .LBB332_2126
; %bb.2124:
	global_load_dword v15, v[20:21], off
	s_mov_b64 s[18:19], 0
	s_branch .LBB332_2127
.LBB332_2125:
	s_mov_b64 s[18:19], -1
                                        ; implicit-def: $vgpr15
	s_branch .LBB332_2130
.LBB332_2126:
	s_mov_b64 s[18:19], -1
                                        ; implicit-def: $vgpr15
.LBB332_2127:
	s_andn2_b64 vcc, exec, s[18:19]
	s_cbranch_vccnz .LBB332_2129
; %bb.2128:
	global_load_ushort v15, v[20:21], off
.LBB332_2129:
	s_mov_b64 s[18:19], 0
.LBB332_2130:
	s_andn2_b64 vcc, exec, s[18:19]
	s_cbranch_vccnz .LBB332_2136
; %bb.2131:
	global_load_ubyte v1, v[20:21], off
	s_movk_i32 s18, 0x7f
	s_mov_b64 s[20:21], 0
	s_waitcnt vmcnt(0)
	v_cmp_lt_i16_e32 vcc, s18, v1
	s_and_saveexec_b64 s[18:19], vcc
	s_xor_b64 s[18:19], exec, s[18:19]
	s_cbranch_execz .LBB332_2148
; %bb.2132:
	s_movk_i32 s20, 0x80
	v_cmp_ne_u16_e32 vcc, s20, v1
	s_and_b64 s[20:21], vcc, exec
	s_andn2_saveexec_b64 s[18:19], s[18:19]
	s_cbranch_execnz .LBB332_2149
.LBB332_2133:
	s_or_b64 exec, exec, s[18:19]
	v_mov_b32_e32 v15, 0
	s_and_saveexec_b64 s[18:19], s[20:21]
	s_cbranch_execz .LBB332_2135
.LBB332_2134:
	v_lshlrev_b32_e32 v3, 24, v1
	v_and_b32_e32 v1, 0xffff, v1
	v_and_b32_e32 v5, 7, v1
	v_ffbh_u32_e32 v11, v5
	v_min_u32_e32 v11, 32, v11
	v_subrev_u32_e32 v13, 28, v11
	v_bfe_u32 v8, v1, 3, 4
	v_lshlrev_b32_e32 v1, v13, v1
	v_sub_u32_e32 v11, 29, v11
	v_and_b32_e32 v1, 7, v1
	v_cmp_eq_u32_e32 vcc, 0, v8
	v_cndmask_b32_e32 v8, v8, v11, vcc
	v_cndmask_b32_e32 v1, v5, v1, vcc
	v_mov_b32_e32 v5, 0x3b800000
	v_lshlrev_b32_e32 v1, 20, v1
	v_and_b32_e32 v3, 0x80000000, v3
	v_lshl_add_u32 v5, v8, 23, v5
	v_or3_b32 v1, v3, v5, v1
	v_cvt_u32_f32_e32 v15, v1
.LBB332_2135:
	s_or_b64 exec, exec, s[18:19]
.LBB332_2136:
	s_mov_b64 s[18:19], -1
.LBB332_2137:
	s_mov_b64 s[20:21], 0
.LBB332_2138:
	s_and_b64 vcc, exec, s[20:21]
	s_cbranch_vccz .LBB332_2169
; %bb.2139:
	s_cmp_gt_i32 s24, 22
	s_cbranch_scc0 .LBB332_2147
; %bb.2140:
	s_cmp_lt_i32 s24, 24
	s_cbranch_scc1 .LBB332_2150
; %bb.2141:
	s_cmp_gt_i32 s24, 24
	s_cbranch_scc0 .LBB332_2151
; %bb.2142:
	global_load_ubyte v1, v[20:21], off
	s_movk_i32 s16, 0x7f
	s_mov_b64 s[18:19], 0
	s_waitcnt vmcnt(0)
	v_cmp_lt_i16_e32 vcc, s16, v1
	s_and_saveexec_b64 s[16:17], vcc
	s_xor_b64 s[16:17], exec, s[16:17]
	s_cbranch_execz .LBB332_2163
; %bb.2143:
	s_movk_i32 s18, 0x80
	v_cmp_ne_u16_e32 vcc, s18, v1
	s_and_b64 s[18:19], vcc, exec
	s_andn2_saveexec_b64 s[16:17], s[16:17]
	s_cbranch_execnz .LBB332_2164
.LBB332_2144:
	s_or_b64 exec, exec, s[16:17]
	v_mov_b32_e32 v15, 0
	s_and_saveexec_b64 s[16:17], s[18:19]
	s_cbranch_execz .LBB332_2146
.LBB332_2145:
	v_lshlrev_b32_e32 v3, 24, v1
	v_and_b32_e32 v1, 0xffff, v1
	v_and_b32_e32 v5, 3, v1
	v_ffbh_u32_e32 v11, v5
	v_min_u32_e32 v11, 32, v11
	v_subrev_u32_e32 v13, 29, v11
	v_bfe_u32 v8, v1, 2, 5
	v_lshlrev_b32_e32 v1, v13, v1
	v_sub_u32_e32 v11, 30, v11
	v_and_b32_e32 v1, 3, v1
	v_cmp_eq_u32_e32 vcc, 0, v8
	v_cndmask_b32_e32 v8, v8, v11, vcc
	v_cndmask_b32_e32 v1, v5, v1, vcc
	v_mov_b32_e32 v5, 0x37800000
	v_lshlrev_b32_e32 v1, 21, v1
	v_and_b32_e32 v3, 0x80000000, v3
	v_lshl_add_u32 v5, v8, 23, v5
	v_or3_b32 v1, v3, v5, v1
	v_cvt_u32_f32_e32 v15, v1
.LBB332_2146:
	s_or_b64 exec, exec, s[16:17]
	s_mov_b64 s[16:17], 0
	s_branch .LBB332_2152
.LBB332_2147:
	s_mov_b64 s[16:17], -1
                                        ; implicit-def: $vgpr15
	s_branch .LBB332_2158
.LBB332_2148:
	s_andn2_saveexec_b64 s[18:19], s[18:19]
	s_cbranch_execz .LBB332_2133
.LBB332_2149:
	v_cmp_ne_u16_e32 vcc, 0, v1
	s_andn2_b64 s[20:21], s[20:21], exec
	s_and_b64 s[26:27], vcc, exec
	s_or_b64 s[20:21], s[20:21], s[26:27]
	s_or_b64 exec, exec, s[18:19]
	v_mov_b32_e32 v15, 0
	s_and_saveexec_b64 s[18:19], s[20:21]
	s_cbranch_execnz .LBB332_2134
	s_branch .LBB332_2135
.LBB332_2150:
	s_mov_b64 s[16:17], -1
                                        ; implicit-def: $vgpr15
	s_branch .LBB332_2155
.LBB332_2151:
	s_mov_b64 s[16:17], -1
                                        ; implicit-def: $vgpr15
.LBB332_2152:
	s_and_b64 vcc, exec, s[16:17]
	s_cbranch_vccz .LBB332_2154
; %bb.2153:
	global_load_ubyte v1, v[20:21], off
	s_mov_b32 s16, 0x7f800000
	s_waitcnt vmcnt(0)
	v_lshlrev_b32_e32 v1, 24, v1
	v_and_b32_e32 v3, 0x7f000000, v1
	v_ffbh_u32_e32 v5, v3
	v_min_u32_e32 v5, 32, v5
	v_sub_u32_e64 v5, v5, 4 clamp
	v_lshlrev_b32_e32 v11, v5, v3
	v_lshlrev_b32_e32 v5, 23, v5
	v_lshrrev_b32_e32 v11, 4, v11
	v_add_u32_e32 v8, 0x1000000, v3
	v_sub_u32_e32 v5, v11, v5
	v_ashrrev_i32_e32 v8, 8, v8
	v_add_u32_e32 v5, 0x3c000000, v5
	v_and_or_b32 v5, v8, s16, v5
	v_cmp_ne_u32_e32 vcc, 0, v3
	v_cndmask_b32_e32 v3, 0, v5, vcc
	s_brev_b32 s16, 1
	v_and_or_b32 v1, v1, s16, v3
	v_cvt_u32_f32_e32 v15, v1
.LBB332_2154:
	s_mov_b64 s[16:17], 0
.LBB332_2155:
	s_andn2_b64 vcc, exec, s[16:17]
	s_cbranch_vccnz .LBB332_2157
; %bb.2156:
	global_load_ubyte v1, v[20:21], off
	s_movk_i32 s16, 0x7f00
	s_brev_b32 s17, 16
	s_waitcnt vmcnt(0)
	v_lshlrev_b16_e32 v3, 8, v1
	v_lshlrev_b32_e32 v1, 25, v1
	v_lshrrev_b32_e32 v5, 4, v1
	v_and_or_b32 v8, v3, s16, 0.5
	v_or_b32_e32 v5, 0x70000000, v5
	v_add_f32_e32 v8, -0.5, v8
	v_mul_f32_e32 v5, 0x7800000, v5
	v_cmp_gt_u32_e32 vcc, s17, v1
	v_bfe_i32 v3, v3, 0, 16
	v_cndmask_b32_e32 v1, v5, v8, vcc
	s_brev_b32 s16, 1
	v_and_or_b32 v1, v3, s16, v1
	v_cvt_u32_f32_e32 v15, v1
.LBB332_2157:
	s_mov_b64 s[16:17], 0
	s_mov_b64 s[18:19], -1
.LBB332_2158:
	s_andn2_b64 vcc, exec, s[16:17]
	s_mov_b64 s[16:17], 0
	s_cbranch_vccnz .LBB332_2169
; %bb.2159:
	s_cmp_gt_i32 s24, 14
	s_cbranch_scc0 .LBB332_2162
; %bb.2160:
	s_cmp_eq_u32 s24, 15
	s_cbranch_scc0 .LBB332_2165
; %bb.2161:
	global_load_ushort v1, v[20:21], off
	s_mov_b64 s[6:7], 0
	s_mov_b64 s[18:19], -1
	s_waitcnt vmcnt(0)
	v_lshlrev_b32_e32 v1, 16, v1
	v_cvt_u32_f32_e32 v15, v1
	s_branch .LBB332_2166
.LBB332_2162:
	s_mov_b64 s[20:21], -1
                                        ; implicit-def: $vgpr15
	s_branch .LBB332_2167
.LBB332_2163:
	s_andn2_saveexec_b64 s[16:17], s[16:17]
	s_cbranch_execz .LBB332_2144
.LBB332_2164:
	v_cmp_ne_u16_e32 vcc, 0, v1
	s_andn2_b64 s[18:19], s[18:19], exec
	s_and_b64 s[20:21], vcc, exec
	s_or_b64 s[18:19], s[18:19], s[20:21]
	s_or_b64 exec, exec, s[16:17]
	v_mov_b32_e32 v15, 0
	s_and_saveexec_b64 s[16:17], s[18:19]
	s_cbranch_execnz .LBB332_2145
	s_branch .LBB332_2146
.LBB332_2165:
	s_mov_b64 s[6:7], -1
                                        ; implicit-def: $vgpr15
.LBB332_2166:
	s_mov_b64 s[20:21], 0
.LBB332_2167:
	s_and_b64 vcc, exec, s[20:21]
	s_cbranch_vccz .LBB332_2169
; %bb.2168:
	s_cmp_lg_u32 s24, 11
	s_mov_b64 s[16:17], -1
	s_cselect_b64 s[6:7], -1, 0
.LBB332_2169:
	s_and_b64 vcc, exec, s[6:7]
	s_cbranch_vccnz .LBB332_2234
; %bb.2170:
	s_andn2_b64 vcc, exec, s[16:17]
	s_cbranch_vccnz .LBB332_2172
.LBB332_2171:
	global_load_ubyte v1, v[20:21], off
	s_mov_b64 s[18:19], -1
	s_waitcnt vmcnt(0)
	v_cmp_ne_u16_e32 vcc, 0, v1
	v_cndmask_b32_e64 v15, 0, 1, vcc
.LBB332_2172:
	s_mov_b64 s[6:7], 0
.LBB332_2173:
	s_and_b64 vcc, exec, s[6:7]
	s_cbranch_vccz .LBB332_2222
; %bb.2174:
	s_and_b32 s16, 0xffff, s22
	s_cmp_lt_i32 s16, 5
	s_cbranch_scc1 .LBB332_2179
; %bb.2175:
	s_cmp_lt_i32 s16, 8
	s_cbranch_scc1 .LBB332_2180
; %bb.2176:
	s_cmp_lt_i32 s16, 9
	s_cbranch_scc1 .LBB332_2181
; %bb.2177:
	s_cmp_gt_i32 s16, 9
	s_cbranch_scc0 .LBB332_2182
; %bb.2178:
	global_load_dwordx2 v[15:16], v[20:21], off
	s_mov_b64 s[6:7], 0
	s_waitcnt vmcnt(0)
	v_cvt_u32_f64_e32 v15, v[15:16]
	s_branch .LBB332_2183
.LBB332_2179:
	s_mov_b64 s[6:7], -1
                                        ; implicit-def: $vgpr15
	s_branch .LBB332_2201
.LBB332_2180:
	s_mov_b64 s[6:7], -1
                                        ; implicit-def: $vgpr15
	s_branch .LBB332_2189
.LBB332_2181:
	s_mov_b64 s[6:7], -1
                                        ; implicit-def: $vgpr15
	s_branch .LBB332_2186
.LBB332_2182:
	s_mov_b64 s[6:7], -1
                                        ; implicit-def: $vgpr15
.LBB332_2183:
	s_andn2_b64 vcc, exec, s[6:7]
	s_cbranch_vccnz .LBB332_2185
; %bb.2184:
	global_load_dword v1, v[20:21], off
	s_waitcnt vmcnt(0)
	v_cvt_u32_f32_e32 v15, v1
.LBB332_2185:
	s_mov_b64 s[6:7], 0
.LBB332_2186:
	s_andn2_b64 vcc, exec, s[6:7]
	s_cbranch_vccnz .LBB332_2188
; %bb.2187:
	global_load_dword v1, v[20:21], off
	s_waitcnt vmcnt(0)
	v_cvt_u16_f16_e32 v15, v1
.LBB332_2188:
	s_mov_b64 s[6:7], 0
.LBB332_2189:
	s_andn2_b64 vcc, exec, s[6:7]
	s_cbranch_vccnz .LBB332_2200
; %bb.2190:
	s_cmp_lt_i32 s16, 6
	s_cbranch_scc1 .LBB332_2193
; %bb.2191:
	s_cmp_gt_i32 s16, 6
	s_cbranch_scc0 .LBB332_2194
; %bb.2192:
	global_load_dwordx2 v[15:16], v[20:21], off
	s_mov_b64 s[6:7], 0
	s_waitcnt vmcnt(0)
	v_cvt_u32_f64_e32 v15, v[15:16]
	s_branch .LBB332_2195
.LBB332_2193:
	s_mov_b64 s[6:7], -1
                                        ; implicit-def: $vgpr15
	s_branch .LBB332_2198
.LBB332_2194:
	s_mov_b64 s[6:7], -1
                                        ; implicit-def: $vgpr15
.LBB332_2195:
	s_andn2_b64 vcc, exec, s[6:7]
	s_cbranch_vccnz .LBB332_2197
; %bb.2196:
	global_load_dword v1, v[20:21], off
	s_waitcnt vmcnt(0)
	v_cvt_u32_f32_e32 v15, v1
.LBB332_2197:
	s_mov_b64 s[6:7], 0
.LBB332_2198:
	s_andn2_b64 vcc, exec, s[6:7]
	s_cbranch_vccnz .LBB332_2200
; %bb.2199:
	global_load_ushort v1, v[20:21], off
	s_waitcnt vmcnt(0)
	v_cvt_u16_f16_e32 v15, v1
.LBB332_2200:
	s_mov_b64 s[6:7], 0
.LBB332_2201:
	s_andn2_b64 vcc, exec, s[6:7]
	s_cbranch_vccnz .LBB332_2221
; %bb.2202:
	s_cmp_lt_i32 s16, 2
	s_cbranch_scc1 .LBB332_2206
; %bb.2203:
	s_cmp_lt_i32 s16, 3
	s_cbranch_scc1 .LBB332_2207
; %bb.2204:
	s_cmp_gt_i32 s16, 3
	s_cbranch_scc0 .LBB332_2208
; %bb.2205:
	global_load_dwordx2 v[15:16], v[20:21], off
	s_mov_b64 s[6:7], 0
	s_branch .LBB332_2209
.LBB332_2206:
	s_mov_b64 s[6:7], -1
                                        ; implicit-def: $vgpr15
	s_branch .LBB332_2215
.LBB332_2207:
	s_mov_b64 s[6:7], -1
                                        ; implicit-def: $vgpr15
	s_branch .LBB332_2212
.LBB332_2208:
	s_mov_b64 s[6:7], -1
                                        ; implicit-def: $vgpr15
.LBB332_2209:
	s_andn2_b64 vcc, exec, s[6:7]
	s_cbranch_vccnz .LBB332_2211
; %bb.2210:
	global_load_dword v15, v[20:21], off
.LBB332_2211:
	s_mov_b64 s[6:7], 0
.LBB332_2212:
	s_andn2_b64 vcc, exec, s[6:7]
	s_cbranch_vccnz .LBB332_2214
; %bb.2213:
	global_load_ushort v15, v[20:21], off
.LBB332_2214:
	s_mov_b64 s[6:7], 0
.LBB332_2215:
	s_andn2_b64 vcc, exec, s[6:7]
	s_cbranch_vccnz .LBB332_2221
; %bb.2216:
	s_cmp_gt_i32 s16, 0
	s_cbranch_scc0 .LBB332_2218
; %bb.2217:
	global_load_sbyte v15, v[20:21], off
	s_mov_b64 s[6:7], 0
	s_branch .LBB332_2219
.LBB332_2218:
	s_mov_b64 s[6:7], -1
                                        ; implicit-def: $vgpr15
.LBB332_2219:
	s_andn2_b64 vcc, exec, s[6:7]
	s_cbranch_vccnz .LBB332_2221
; %bb.2220:
	global_load_ubyte v15, v[20:21], off
.LBB332_2221:
	s_mov_b64 s[18:19], -1
.LBB332_2222:
	s_andn2_b64 vcc, exec, s[18:19]
	s_cbranch_vccnz .LBB332_3036
; %bb.2223:
	v_mov_b32_e32 v1, s1
	v_add_co_u32_e32 v20, vcc, s0, v19
	s_cmp_lt_i32 s23, 11
	v_addc_co_u32_e32 v21, vcc, 0, v1, vcc
	s_cbranch_scc1 .LBB332_2230
; %bb.2224:
	s_and_b32 s24, 0xffff, s23
	s_cmp_gt_i32 s24, 25
	s_mov_b64 s[16:17], 0
	s_cbranch_scc0 .LBB332_2231
; %bb.2225:
	s_cmp_gt_i32 s24, 28
	s_cbranch_scc0 .LBB332_2232
; %bb.2226:
	s_cmp_gt_i32 s24, 43
	;; [unrolled: 3-line block ×3, first 2 shown]
	s_cbranch_scc0 .LBB332_2235
; %bb.2228:
	s_cmp_eq_u32 s24, 46
	s_mov_b64 s[20:21], 0
	s_cbranch_scc0 .LBB332_2238
; %bb.2229:
	global_load_dword v1, v[20:21], off
	s_mov_b64 s[6:7], 0
	s_mov_b64 s[18:19], -1
	s_waitcnt vmcnt(0)
	v_lshlrev_b32_e32 v1, 16, v1
	v_cvt_u32_f32_e32 v18, v1
	s_branch .LBB332_2239
.LBB332_2230:
	s_mov_b64 s[6:7], -1
	s_mov_b64 s[18:19], 0
                                        ; implicit-def: $vgpr18
	s_branch .LBB332_2301
.LBB332_2231:
	s_mov_b64 s[20:21], -1
	s_mov_b64 s[18:19], 0
	s_mov_b64 s[6:7], 0
                                        ; implicit-def: $vgpr18
	s_branch .LBB332_2266
.LBB332_2232:
	s_mov_b64 s[20:21], -1
	s_mov_b64 s[18:19], 0
	s_mov_b64 s[6:7], 0
                                        ; implicit-def: $vgpr18
	s_branch .LBB332_2249
.LBB332_2233:
	s_mov_b64 s[20:21], -1
	s_mov_b64 s[18:19], 0
	s_mov_b64 s[6:7], 0
                                        ; implicit-def: $vgpr18
	s_branch .LBB332_2244
.LBB332_2234:
	s_trap 2
	s_or_b64 s[4:5], s[4:5], exec
	s_cbranch_execz .LBB332_2171
	s_branch .LBB332_2172
.LBB332_2235:
	s_mov_b64 s[20:21], -1
	s_mov_b64 s[18:19], 0
	s_mov_b64 s[6:7], 0
                                        ; implicit-def: $vgpr18
	s_branch .LBB332_2239
.LBB332_2236:
	s_andn2_saveexec_b64 s[68:69], s[68:69]
	s_cbranch_execz .LBB332_1095
.LBB332_2237:
	v_add_f32_e32 v2, 0x42800000, v3
	v_and_b32_e32 v2, 0xff, v2
	v_cmp_ne_u32_e32 vcc, 0, v2
	s_andn2_b64 s[66:67], s[66:67], exec
	s_and_b64 s[76:77], vcc, exec
	s_or_b64 s[66:67], s[66:67], s[76:77]
	s_or_b64 exec, exec, s[68:69]
	v_mov_b32_e32 v4, 0
	s_and_saveexec_b64 s[68:69], s[66:67]
	s_cbranch_execnz .LBB332_1096
	s_branch .LBB332_1097
.LBB332_2238:
	s_mov_b64 s[6:7], -1
                                        ; implicit-def: $vgpr18
	s_mov_b64 s[18:19], 0
.LBB332_2239:
	s_and_b64 vcc, exec, s[20:21]
	s_cbranch_vccz .LBB332_2243
; %bb.2240:
	s_cmp_eq_u32 s24, 44
	s_cbranch_scc0 .LBB332_2242
; %bb.2241:
	global_load_ubyte v1, v[20:21], off
	s_mov_b64 s[6:7], 0
	s_mov_b64 s[18:19], -1
	s_waitcnt vmcnt(0)
	v_lshlrev_b32_e32 v3, 23, v1
	v_cvt_u32_f32_e32 v3, v3
	v_cmp_ne_u32_e32 vcc, 0, v1
	v_cndmask_b32_e32 v18, 0, v3, vcc
	s_branch .LBB332_2243
.LBB332_2242:
	s_mov_b64 s[6:7], -1
                                        ; implicit-def: $vgpr18
.LBB332_2243:
	s_mov_b64 s[20:21], 0
.LBB332_2244:
	s_and_b64 vcc, exec, s[20:21]
	s_cbranch_vccz .LBB332_2248
; %bb.2245:
	s_cmp_eq_u32 s24, 29
	s_cbranch_scc0 .LBB332_2247
; %bb.2246:
	global_load_dwordx2 v[18:19], v[20:21], off
	s_mov_b64 s[6:7], 0
	s_mov_b64 s[18:19], -1
	s_branch .LBB332_2248
.LBB332_2247:
	s_mov_b64 s[6:7], -1
                                        ; implicit-def: $vgpr18
.LBB332_2248:
	s_mov_b64 s[20:21], 0
.LBB332_2249:
	s_and_b64 vcc, exec, s[20:21]
	s_cbranch_vccz .LBB332_2265
; %bb.2250:
	s_cmp_lt_i32 s24, 27
	s_cbranch_scc1 .LBB332_2253
; %bb.2251:
	s_cmp_gt_i32 s24, 27
	s_cbranch_scc0 .LBB332_2254
; %bb.2252:
	global_load_dword v18, v[20:21], off
	s_mov_b64 s[18:19], 0
	s_branch .LBB332_2255
.LBB332_2253:
	s_mov_b64 s[18:19], -1
                                        ; implicit-def: $vgpr18
	s_branch .LBB332_2258
.LBB332_2254:
	s_mov_b64 s[18:19], -1
                                        ; implicit-def: $vgpr18
.LBB332_2255:
	s_andn2_b64 vcc, exec, s[18:19]
	s_cbranch_vccnz .LBB332_2257
; %bb.2256:
	global_load_ushort v18, v[20:21], off
.LBB332_2257:
	s_mov_b64 s[18:19], 0
.LBB332_2258:
	s_andn2_b64 vcc, exec, s[18:19]
	s_cbranch_vccnz .LBB332_2264
; %bb.2259:
	global_load_ubyte v1, v[20:21], off
	s_movk_i32 s18, 0x7f
	s_mov_b64 s[20:21], 0
	s_waitcnt vmcnt(0)
	v_cmp_lt_i16_e32 vcc, s18, v1
	s_and_saveexec_b64 s[18:19], vcc
	s_xor_b64 s[18:19], exec, s[18:19]
	s_cbranch_execz .LBB332_2276
; %bb.2260:
	s_movk_i32 s20, 0x80
	v_cmp_ne_u16_e32 vcc, s20, v1
	s_and_b64 s[20:21], vcc, exec
	s_andn2_saveexec_b64 s[18:19], s[18:19]
	s_cbranch_execnz .LBB332_2277
.LBB332_2261:
	s_or_b64 exec, exec, s[18:19]
	v_mov_b32_e32 v18, 0
	s_and_saveexec_b64 s[18:19], s[20:21]
	s_cbranch_execz .LBB332_2263
.LBB332_2262:
	v_lshlrev_b32_e32 v3, 24, v1
	v_and_b32_e32 v1, 0xffff, v1
	v_and_b32_e32 v5, 7, v1
	v_ffbh_u32_e32 v11, v5
	v_min_u32_e32 v11, 32, v11
	v_subrev_u32_e32 v13, 28, v11
	v_bfe_u32 v8, v1, 3, 4
	v_lshlrev_b32_e32 v1, v13, v1
	v_sub_u32_e32 v11, 29, v11
	v_and_b32_e32 v1, 7, v1
	v_cmp_eq_u32_e32 vcc, 0, v8
	v_cndmask_b32_e32 v8, v8, v11, vcc
	v_cndmask_b32_e32 v1, v5, v1, vcc
	v_mov_b32_e32 v5, 0x3b800000
	v_lshlrev_b32_e32 v1, 20, v1
	v_and_b32_e32 v3, 0x80000000, v3
	v_lshl_add_u32 v5, v8, 23, v5
	v_or3_b32 v1, v3, v5, v1
	v_cvt_u32_f32_e32 v18, v1
.LBB332_2263:
	s_or_b64 exec, exec, s[18:19]
.LBB332_2264:
	s_mov_b64 s[18:19], -1
.LBB332_2265:
	s_mov_b64 s[20:21], 0
.LBB332_2266:
	s_and_b64 vcc, exec, s[20:21]
	s_cbranch_vccz .LBB332_2297
; %bb.2267:
	s_cmp_gt_i32 s24, 22
	s_cbranch_scc0 .LBB332_2275
; %bb.2268:
	s_cmp_lt_i32 s24, 24
	s_cbranch_scc1 .LBB332_2278
; %bb.2269:
	s_cmp_gt_i32 s24, 24
	s_cbranch_scc0 .LBB332_2279
; %bb.2270:
	global_load_ubyte v1, v[20:21], off
	s_movk_i32 s16, 0x7f
	s_mov_b64 s[18:19], 0
	s_waitcnt vmcnt(0)
	v_cmp_lt_i16_e32 vcc, s16, v1
	s_and_saveexec_b64 s[16:17], vcc
	s_xor_b64 s[16:17], exec, s[16:17]
	s_cbranch_execz .LBB332_2291
; %bb.2271:
	s_movk_i32 s18, 0x80
	v_cmp_ne_u16_e32 vcc, s18, v1
	s_and_b64 s[18:19], vcc, exec
	s_andn2_saveexec_b64 s[16:17], s[16:17]
	s_cbranch_execnz .LBB332_2292
.LBB332_2272:
	s_or_b64 exec, exec, s[16:17]
	v_mov_b32_e32 v18, 0
	s_and_saveexec_b64 s[16:17], s[18:19]
	s_cbranch_execz .LBB332_2274
.LBB332_2273:
	v_lshlrev_b32_e32 v3, 24, v1
	v_and_b32_e32 v1, 0xffff, v1
	v_and_b32_e32 v5, 3, v1
	v_ffbh_u32_e32 v11, v5
	v_min_u32_e32 v11, 32, v11
	v_subrev_u32_e32 v13, 29, v11
	v_bfe_u32 v8, v1, 2, 5
	v_lshlrev_b32_e32 v1, v13, v1
	v_sub_u32_e32 v11, 30, v11
	v_and_b32_e32 v1, 3, v1
	v_cmp_eq_u32_e32 vcc, 0, v8
	v_cndmask_b32_e32 v8, v8, v11, vcc
	v_cndmask_b32_e32 v1, v5, v1, vcc
	v_mov_b32_e32 v5, 0x37800000
	v_lshlrev_b32_e32 v1, 21, v1
	v_and_b32_e32 v3, 0x80000000, v3
	v_lshl_add_u32 v5, v8, 23, v5
	v_or3_b32 v1, v3, v5, v1
	v_cvt_u32_f32_e32 v18, v1
.LBB332_2274:
	s_or_b64 exec, exec, s[16:17]
	s_mov_b64 s[16:17], 0
	s_branch .LBB332_2280
.LBB332_2275:
	s_mov_b64 s[16:17], -1
                                        ; implicit-def: $vgpr18
	s_branch .LBB332_2286
.LBB332_2276:
	s_andn2_saveexec_b64 s[18:19], s[18:19]
	s_cbranch_execz .LBB332_2261
.LBB332_2277:
	v_cmp_ne_u16_e32 vcc, 0, v1
	s_andn2_b64 s[20:21], s[20:21], exec
	s_and_b64 s[26:27], vcc, exec
	s_or_b64 s[20:21], s[20:21], s[26:27]
	s_or_b64 exec, exec, s[18:19]
	v_mov_b32_e32 v18, 0
	s_and_saveexec_b64 s[18:19], s[20:21]
	s_cbranch_execnz .LBB332_2262
	s_branch .LBB332_2263
.LBB332_2278:
	s_mov_b64 s[16:17], -1
                                        ; implicit-def: $vgpr18
	s_branch .LBB332_2283
.LBB332_2279:
	s_mov_b64 s[16:17], -1
                                        ; implicit-def: $vgpr18
.LBB332_2280:
	s_and_b64 vcc, exec, s[16:17]
	s_cbranch_vccz .LBB332_2282
; %bb.2281:
	global_load_ubyte v1, v[20:21], off
	s_mov_b32 s16, 0x7f800000
	s_waitcnt vmcnt(0)
	v_lshlrev_b32_e32 v1, 24, v1
	v_and_b32_e32 v3, 0x7f000000, v1
	v_ffbh_u32_e32 v5, v3
	v_min_u32_e32 v5, 32, v5
	v_sub_u32_e64 v5, v5, 4 clamp
	v_lshlrev_b32_e32 v11, v5, v3
	v_lshlrev_b32_e32 v5, 23, v5
	v_lshrrev_b32_e32 v11, 4, v11
	v_add_u32_e32 v8, 0x1000000, v3
	v_sub_u32_e32 v5, v11, v5
	v_ashrrev_i32_e32 v8, 8, v8
	v_add_u32_e32 v5, 0x3c000000, v5
	v_and_or_b32 v5, v8, s16, v5
	v_cmp_ne_u32_e32 vcc, 0, v3
	v_cndmask_b32_e32 v3, 0, v5, vcc
	s_brev_b32 s16, 1
	v_and_or_b32 v1, v1, s16, v3
	v_cvt_u32_f32_e32 v18, v1
.LBB332_2282:
	s_mov_b64 s[16:17], 0
.LBB332_2283:
	s_andn2_b64 vcc, exec, s[16:17]
	s_cbranch_vccnz .LBB332_2285
; %bb.2284:
	global_load_ubyte v1, v[20:21], off
	s_movk_i32 s16, 0x7f00
	s_brev_b32 s17, 16
	s_waitcnt vmcnt(0)
	v_lshlrev_b16_e32 v3, 8, v1
	v_lshlrev_b32_e32 v1, 25, v1
	v_lshrrev_b32_e32 v5, 4, v1
	v_and_or_b32 v8, v3, s16, 0.5
	v_or_b32_e32 v5, 0x70000000, v5
	v_add_f32_e32 v8, -0.5, v8
	v_mul_f32_e32 v5, 0x7800000, v5
	v_cmp_gt_u32_e32 vcc, s17, v1
	v_bfe_i32 v3, v3, 0, 16
	v_cndmask_b32_e32 v1, v5, v8, vcc
	s_brev_b32 s16, 1
	v_and_or_b32 v1, v3, s16, v1
	v_cvt_u32_f32_e32 v18, v1
.LBB332_2285:
	s_mov_b64 s[16:17], 0
	s_mov_b64 s[18:19], -1
.LBB332_2286:
	s_andn2_b64 vcc, exec, s[16:17]
	s_mov_b64 s[16:17], 0
	s_cbranch_vccnz .LBB332_2297
; %bb.2287:
	s_cmp_gt_i32 s24, 14
	s_cbranch_scc0 .LBB332_2290
; %bb.2288:
	s_cmp_eq_u32 s24, 15
	s_cbranch_scc0 .LBB332_2293
; %bb.2289:
	global_load_ushort v1, v[20:21], off
	s_mov_b64 s[6:7], 0
	s_mov_b64 s[18:19], -1
	s_waitcnt vmcnt(0)
	v_lshlrev_b32_e32 v1, 16, v1
	v_cvt_u32_f32_e32 v18, v1
	s_branch .LBB332_2294
.LBB332_2290:
	s_mov_b64 s[20:21], -1
                                        ; implicit-def: $vgpr18
	s_branch .LBB332_2295
.LBB332_2291:
	s_andn2_saveexec_b64 s[16:17], s[16:17]
	s_cbranch_execz .LBB332_2272
.LBB332_2292:
	v_cmp_ne_u16_e32 vcc, 0, v1
	s_andn2_b64 s[18:19], s[18:19], exec
	s_and_b64 s[20:21], vcc, exec
	s_or_b64 s[18:19], s[18:19], s[20:21]
	s_or_b64 exec, exec, s[16:17]
	v_mov_b32_e32 v18, 0
	s_and_saveexec_b64 s[16:17], s[18:19]
	s_cbranch_execnz .LBB332_2273
	s_branch .LBB332_2274
.LBB332_2293:
	s_mov_b64 s[6:7], -1
                                        ; implicit-def: $vgpr18
.LBB332_2294:
	s_mov_b64 s[20:21], 0
.LBB332_2295:
	s_and_b64 vcc, exec, s[20:21]
	s_cbranch_vccz .LBB332_2297
; %bb.2296:
	s_cmp_lg_u32 s24, 11
	s_mov_b64 s[16:17], -1
	s_cselect_b64 s[6:7], -1, 0
.LBB332_2297:
	s_and_b64 vcc, exec, s[6:7]
	s_cbranch_vccnz .LBB332_2362
; %bb.2298:
	s_andn2_b64 vcc, exec, s[16:17]
	s_cbranch_vccnz .LBB332_2300
.LBB332_2299:
	global_load_ubyte v1, v[20:21], off
	s_mov_b64 s[18:19], -1
	s_waitcnt vmcnt(0)
	v_cmp_ne_u16_e32 vcc, 0, v1
	v_cndmask_b32_e64 v18, 0, 1, vcc
.LBB332_2300:
	s_mov_b64 s[6:7], 0
.LBB332_2301:
	s_and_b64 vcc, exec, s[6:7]
	s_cbranch_vccz .LBB332_2350
; %bb.2302:
	s_and_b32 s16, 0xffff, s23
	s_cmp_lt_i32 s16, 5
	s_cbranch_scc1 .LBB332_2307
; %bb.2303:
	s_cmp_lt_i32 s16, 8
	s_cbranch_scc1 .LBB332_2308
; %bb.2304:
	;; [unrolled: 3-line block ×3, first 2 shown]
	s_cmp_gt_i32 s16, 9
	s_cbranch_scc0 .LBB332_2310
; %bb.2306:
	global_load_dwordx2 v[18:19], v[20:21], off
	s_mov_b64 s[6:7], 0
	s_waitcnt vmcnt(0)
	v_cvt_u32_f64_e32 v18, v[18:19]
	s_branch .LBB332_2311
.LBB332_2307:
	s_mov_b64 s[6:7], -1
                                        ; implicit-def: $vgpr18
	s_branch .LBB332_2329
.LBB332_2308:
	s_mov_b64 s[6:7], -1
                                        ; implicit-def: $vgpr18
	s_branch .LBB332_2317
.LBB332_2309:
	s_mov_b64 s[6:7], -1
                                        ; implicit-def: $vgpr18
	s_branch .LBB332_2314
.LBB332_2310:
	s_mov_b64 s[6:7], -1
                                        ; implicit-def: $vgpr18
.LBB332_2311:
	s_andn2_b64 vcc, exec, s[6:7]
	s_cbranch_vccnz .LBB332_2313
; %bb.2312:
	global_load_dword v1, v[20:21], off
	s_waitcnt vmcnt(0)
	v_cvt_u32_f32_e32 v18, v1
.LBB332_2313:
	s_mov_b64 s[6:7], 0
.LBB332_2314:
	s_andn2_b64 vcc, exec, s[6:7]
	s_cbranch_vccnz .LBB332_2316
; %bb.2315:
	global_load_dword v1, v[20:21], off
	s_waitcnt vmcnt(0)
	v_cvt_u16_f16_e32 v18, v1
.LBB332_2316:
	s_mov_b64 s[6:7], 0
.LBB332_2317:
	s_andn2_b64 vcc, exec, s[6:7]
	s_cbranch_vccnz .LBB332_2328
; %bb.2318:
	s_cmp_lt_i32 s16, 6
	s_cbranch_scc1 .LBB332_2321
; %bb.2319:
	s_cmp_gt_i32 s16, 6
	s_cbranch_scc0 .LBB332_2322
; %bb.2320:
	global_load_dwordx2 v[18:19], v[20:21], off
	s_mov_b64 s[6:7], 0
	s_waitcnt vmcnt(0)
	v_cvt_u32_f64_e32 v18, v[18:19]
	s_branch .LBB332_2323
.LBB332_2321:
	s_mov_b64 s[6:7], -1
                                        ; implicit-def: $vgpr18
	s_branch .LBB332_2326
.LBB332_2322:
	s_mov_b64 s[6:7], -1
                                        ; implicit-def: $vgpr18
.LBB332_2323:
	s_andn2_b64 vcc, exec, s[6:7]
	s_cbranch_vccnz .LBB332_2325
; %bb.2324:
	global_load_dword v1, v[20:21], off
	s_waitcnt vmcnt(0)
	v_cvt_u32_f32_e32 v18, v1
.LBB332_2325:
	s_mov_b64 s[6:7], 0
.LBB332_2326:
	s_andn2_b64 vcc, exec, s[6:7]
	s_cbranch_vccnz .LBB332_2328
; %bb.2327:
	global_load_ushort v1, v[20:21], off
	s_waitcnt vmcnt(0)
	v_cvt_u16_f16_e32 v18, v1
.LBB332_2328:
	s_mov_b64 s[6:7], 0
.LBB332_2329:
	s_andn2_b64 vcc, exec, s[6:7]
	s_cbranch_vccnz .LBB332_2349
; %bb.2330:
	s_cmp_lt_i32 s16, 2
	s_cbranch_scc1 .LBB332_2334
; %bb.2331:
	s_cmp_lt_i32 s16, 3
	s_cbranch_scc1 .LBB332_2335
; %bb.2332:
	s_cmp_gt_i32 s16, 3
	s_cbranch_scc0 .LBB332_2336
; %bb.2333:
	global_load_dwordx2 v[18:19], v[20:21], off
	s_mov_b64 s[6:7], 0
	s_branch .LBB332_2337
.LBB332_2334:
	s_mov_b64 s[6:7], -1
                                        ; implicit-def: $vgpr18
	s_branch .LBB332_2343
.LBB332_2335:
	s_mov_b64 s[6:7], -1
                                        ; implicit-def: $vgpr18
	s_branch .LBB332_2340
.LBB332_2336:
	s_mov_b64 s[6:7], -1
                                        ; implicit-def: $vgpr18
.LBB332_2337:
	s_andn2_b64 vcc, exec, s[6:7]
	s_cbranch_vccnz .LBB332_2339
; %bb.2338:
	global_load_dword v18, v[20:21], off
.LBB332_2339:
	s_mov_b64 s[6:7], 0
.LBB332_2340:
	s_andn2_b64 vcc, exec, s[6:7]
	s_cbranch_vccnz .LBB332_2342
; %bb.2341:
	global_load_ushort v18, v[20:21], off
.LBB332_2342:
	s_mov_b64 s[6:7], 0
.LBB332_2343:
	s_andn2_b64 vcc, exec, s[6:7]
	s_cbranch_vccnz .LBB332_2349
; %bb.2344:
	s_cmp_gt_i32 s16, 0
	s_cbranch_scc0 .LBB332_2346
; %bb.2345:
	global_load_sbyte v18, v[20:21], off
	s_mov_b64 s[6:7], 0
	s_branch .LBB332_2347
.LBB332_2346:
	s_mov_b64 s[6:7], -1
                                        ; implicit-def: $vgpr18
.LBB332_2347:
	s_andn2_b64 vcc, exec, s[6:7]
	s_cbranch_vccnz .LBB332_2349
; %bb.2348:
	global_load_ubyte v18, v[20:21], off
.LBB332_2349:
	s_mov_b64 s[18:19], -1
.LBB332_2350:
	s_andn2_b64 vcc, exec, s[18:19]
	s_cbranch_vccnz .LBB332_3036
; %bb.2351:
	v_mov_b32_e32 v1, s11
	s_waitcnt vmcnt(0)
	v_add_co_u32_e32 v19, vcc, s10, v14
	s_cmp_lt_i32 s22, 11
	v_addc_co_u32_e32 v20, vcc, 0, v1, vcc
	s_cbranch_scc1 .LBB332_2358
; %bb.2352:
	s_and_b32 s20, 0xffff, s22
	s_cmp_gt_i32 s20, 25
	s_mov_b64 s[10:11], 0
	s_cbranch_scc0 .LBB332_2359
; %bb.2353:
	s_cmp_gt_i32 s20, 28
	s_cbranch_scc0 .LBB332_2360
; %bb.2354:
	s_cmp_gt_i32 s20, 43
	;; [unrolled: 3-line block ×3, first 2 shown]
	s_cbranch_scc0 .LBB332_2363
; %bb.2356:
	s_cmp_eq_u32 s20, 46
	s_mov_b64 s[18:19], 0
	s_cbranch_scc0 .LBB332_2364
; %bb.2357:
	global_load_dword v1, v[19:20], off
	s_mov_b64 s[6:7], 0
	s_mov_b64 s[16:17], -1
	s_waitcnt vmcnt(0)
	v_lshlrev_b32_e32 v1, 16, v1
	v_cvt_u32_f32_e32 v13, v1
	s_branch .LBB332_2365
.LBB332_2358:
	s_mov_b64 s[6:7], -1
	s_mov_b64 s[16:17], 0
                                        ; implicit-def: $vgpr13
	s_branch .LBB332_2427
.LBB332_2359:
	s_mov_b64 s[18:19], -1
	s_mov_b64 s[16:17], 0
	s_mov_b64 s[6:7], 0
                                        ; implicit-def: $vgpr13
	s_branch .LBB332_2392
.LBB332_2360:
	s_mov_b64 s[18:19], -1
	s_mov_b64 s[16:17], 0
	s_mov_b64 s[6:7], 0
                                        ; implicit-def: $vgpr13
	s_branch .LBB332_2375
.LBB332_2361:
	s_mov_b64 s[18:19], -1
	s_mov_b64 s[16:17], 0
	s_mov_b64 s[6:7], 0
                                        ; implicit-def: $vgpr13
	s_branch .LBB332_2370
.LBB332_2362:
	s_trap 2
	s_or_b64 s[4:5], s[4:5], exec
	s_cbranch_execz .LBB332_2299
	s_branch .LBB332_2300
.LBB332_2363:
	s_mov_b64 s[18:19], -1
	s_mov_b64 s[16:17], 0
	s_mov_b64 s[6:7], 0
                                        ; implicit-def: $vgpr13
	s_branch .LBB332_2365
.LBB332_2364:
	s_mov_b64 s[6:7], -1
                                        ; implicit-def: $vgpr13
	s_mov_b64 s[16:17], 0
.LBB332_2365:
	s_and_b64 vcc, exec, s[18:19]
	s_cbranch_vccz .LBB332_2369
; %bb.2366:
	s_cmp_eq_u32 s20, 44
	s_cbranch_scc0 .LBB332_2368
; %bb.2367:
	global_load_ubyte v1, v[19:20], off
	s_mov_b64 s[6:7], 0
	s_mov_b64 s[16:17], -1
	s_waitcnt vmcnt(0)
	v_lshlrev_b32_e32 v3, 23, v1
	v_cvt_u32_f32_e32 v3, v3
	v_cmp_ne_u32_e32 vcc, 0, v1
	v_cndmask_b32_e32 v13, 0, v3, vcc
	s_branch .LBB332_2369
.LBB332_2368:
	s_mov_b64 s[6:7], -1
                                        ; implicit-def: $vgpr13
.LBB332_2369:
	s_mov_b64 s[18:19], 0
.LBB332_2370:
	s_and_b64 vcc, exec, s[18:19]
	s_cbranch_vccz .LBB332_2374
; %bb.2371:
	s_cmp_eq_u32 s20, 29
	s_cbranch_scc0 .LBB332_2373
; %bb.2372:
	global_load_dwordx2 v[13:14], v[19:20], off
	s_mov_b64 s[6:7], 0
	s_mov_b64 s[16:17], -1
	s_branch .LBB332_2374
.LBB332_2373:
	s_mov_b64 s[6:7], -1
                                        ; implicit-def: $vgpr13
.LBB332_2374:
	s_mov_b64 s[18:19], 0
.LBB332_2375:
	s_and_b64 vcc, exec, s[18:19]
	s_cbranch_vccz .LBB332_2391
; %bb.2376:
	s_cmp_lt_i32 s20, 27
	s_cbranch_scc1 .LBB332_2379
; %bb.2377:
	s_cmp_gt_i32 s20, 27
	s_cbranch_scc0 .LBB332_2380
; %bb.2378:
	global_load_dword v13, v[19:20], off
	s_mov_b64 s[16:17], 0
	s_branch .LBB332_2381
.LBB332_2379:
	s_mov_b64 s[16:17], -1
                                        ; implicit-def: $vgpr13
	s_branch .LBB332_2384
.LBB332_2380:
	s_mov_b64 s[16:17], -1
                                        ; implicit-def: $vgpr13
.LBB332_2381:
	s_andn2_b64 vcc, exec, s[16:17]
	s_cbranch_vccnz .LBB332_2383
; %bb.2382:
	global_load_ushort v13, v[19:20], off
.LBB332_2383:
	s_mov_b64 s[16:17], 0
.LBB332_2384:
	s_andn2_b64 vcc, exec, s[16:17]
	s_cbranch_vccnz .LBB332_2390
; %bb.2385:
	global_load_ubyte v1, v[19:20], off
	s_movk_i32 s16, 0x7f
	s_mov_b64 s[18:19], 0
	s_waitcnt vmcnt(0)
	v_cmp_lt_i16_e32 vcc, s16, v1
	s_and_saveexec_b64 s[16:17], vcc
	s_xor_b64 s[16:17], exec, s[16:17]
	s_cbranch_execz .LBB332_2402
; %bb.2386:
	s_movk_i32 s18, 0x80
	v_cmp_ne_u16_e32 vcc, s18, v1
	s_and_b64 s[18:19], vcc, exec
	s_andn2_saveexec_b64 s[16:17], s[16:17]
	s_cbranch_execnz .LBB332_2403
.LBB332_2387:
	s_or_b64 exec, exec, s[16:17]
	v_mov_b32_e32 v13, 0
	s_and_saveexec_b64 s[16:17], s[18:19]
	s_cbranch_execz .LBB332_2389
.LBB332_2388:
	v_lshlrev_b32_e32 v3, 24, v1
	v_and_b32_e32 v1, 0xffff, v1
	v_and_b32_e32 v5, 7, v1
	v_ffbh_u32_e32 v11, v5
	v_min_u32_e32 v11, 32, v11
	v_subrev_u32_e32 v13, 28, v11
	v_bfe_u32 v8, v1, 3, 4
	v_lshlrev_b32_e32 v1, v13, v1
	v_sub_u32_e32 v11, 29, v11
	v_and_b32_e32 v1, 7, v1
	v_cmp_eq_u32_e32 vcc, 0, v8
	v_cndmask_b32_e32 v8, v8, v11, vcc
	v_cndmask_b32_e32 v1, v5, v1, vcc
	v_mov_b32_e32 v5, 0x3b800000
	v_lshlrev_b32_e32 v1, 20, v1
	v_and_b32_e32 v3, 0x80000000, v3
	v_lshl_add_u32 v5, v8, 23, v5
	v_or3_b32 v1, v3, v5, v1
	v_cvt_u32_f32_e32 v13, v1
.LBB332_2389:
	s_or_b64 exec, exec, s[16:17]
.LBB332_2390:
	s_mov_b64 s[16:17], -1
.LBB332_2391:
	s_mov_b64 s[18:19], 0
.LBB332_2392:
	s_and_b64 vcc, exec, s[18:19]
	s_cbranch_vccz .LBB332_2423
; %bb.2393:
	s_cmp_gt_i32 s20, 22
	s_cbranch_scc0 .LBB332_2401
; %bb.2394:
	s_cmp_lt_i32 s20, 24
	s_cbranch_scc1 .LBB332_2404
; %bb.2395:
	s_cmp_gt_i32 s20, 24
	s_cbranch_scc0 .LBB332_2405
; %bb.2396:
	global_load_ubyte v1, v[19:20], off
	s_movk_i32 s10, 0x7f
	s_mov_b64 s[16:17], 0
	s_waitcnt vmcnt(0)
	v_cmp_lt_i16_e32 vcc, s10, v1
	s_and_saveexec_b64 s[10:11], vcc
	s_xor_b64 s[10:11], exec, s[10:11]
	s_cbranch_execz .LBB332_2417
; %bb.2397:
	s_movk_i32 s16, 0x80
	v_cmp_ne_u16_e32 vcc, s16, v1
	s_and_b64 s[16:17], vcc, exec
	s_andn2_saveexec_b64 s[10:11], s[10:11]
	s_cbranch_execnz .LBB332_2418
.LBB332_2398:
	s_or_b64 exec, exec, s[10:11]
	v_mov_b32_e32 v13, 0
	s_and_saveexec_b64 s[10:11], s[16:17]
	s_cbranch_execz .LBB332_2400
.LBB332_2399:
	v_lshlrev_b32_e32 v3, 24, v1
	v_and_b32_e32 v1, 0xffff, v1
	v_and_b32_e32 v5, 3, v1
	v_ffbh_u32_e32 v11, v5
	v_min_u32_e32 v11, 32, v11
	v_subrev_u32_e32 v13, 29, v11
	v_bfe_u32 v8, v1, 2, 5
	v_lshlrev_b32_e32 v1, v13, v1
	v_sub_u32_e32 v11, 30, v11
	v_and_b32_e32 v1, 3, v1
	v_cmp_eq_u32_e32 vcc, 0, v8
	v_cndmask_b32_e32 v8, v8, v11, vcc
	v_cndmask_b32_e32 v1, v5, v1, vcc
	v_mov_b32_e32 v5, 0x37800000
	v_lshlrev_b32_e32 v1, 21, v1
	v_and_b32_e32 v3, 0x80000000, v3
	v_lshl_add_u32 v5, v8, 23, v5
	v_or3_b32 v1, v3, v5, v1
	v_cvt_u32_f32_e32 v13, v1
.LBB332_2400:
	s_or_b64 exec, exec, s[10:11]
	s_mov_b64 s[10:11], 0
	s_branch .LBB332_2406
.LBB332_2401:
	s_mov_b64 s[10:11], -1
                                        ; implicit-def: $vgpr13
	s_branch .LBB332_2412
.LBB332_2402:
	s_andn2_saveexec_b64 s[16:17], s[16:17]
	s_cbranch_execz .LBB332_2387
.LBB332_2403:
	v_cmp_ne_u16_e32 vcc, 0, v1
	s_andn2_b64 s[18:19], s[18:19], exec
	s_and_b64 s[24:25], vcc, exec
	s_or_b64 s[18:19], s[18:19], s[24:25]
	s_or_b64 exec, exec, s[16:17]
	v_mov_b32_e32 v13, 0
	s_and_saveexec_b64 s[16:17], s[18:19]
	s_cbranch_execnz .LBB332_2388
	s_branch .LBB332_2389
.LBB332_2404:
	s_mov_b64 s[10:11], -1
                                        ; implicit-def: $vgpr13
	s_branch .LBB332_2409
.LBB332_2405:
	s_mov_b64 s[10:11], -1
                                        ; implicit-def: $vgpr13
.LBB332_2406:
	s_and_b64 vcc, exec, s[10:11]
	s_cbranch_vccz .LBB332_2408
; %bb.2407:
	global_load_ubyte v1, v[19:20], off
	s_mov_b32 s10, 0x7f800000
	s_waitcnt vmcnt(0)
	v_lshlrev_b32_e32 v1, 24, v1
	v_and_b32_e32 v3, 0x7f000000, v1
	v_ffbh_u32_e32 v5, v3
	v_min_u32_e32 v5, 32, v5
	v_sub_u32_e64 v5, v5, 4 clamp
	v_lshlrev_b32_e32 v11, v5, v3
	v_lshlrev_b32_e32 v5, 23, v5
	v_lshrrev_b32_e32 v11, 4, v11
	v_add_u32_e32 v8, 0x1000000, v3
	v_sub_u32_e32 v5, v11, v5
	v_ashrrev_i32_e32 v8, 8, v8
	v_add_u32_e32 v5, 0x3c000000, v5
	v_and_or_b32 v5, v8, s10, v5
	v_cmp_ne_u32_e32 vcc, 0, v3
	v_cndmask_b32_e32 v3, 0, v5, vcc
	s_brev_b32 s10, 1
	v_and_or_b32 v1, v1, s10, v3
	v_cvt_u32_f32_e32 v13, v1
.LBB332_2408:
	s_mov_b64 s[10:11], 0
.LBB332_2409:
	s_andn2_b64 vcc, exec, s[10:11]
	s_cbranch_vccnz .LBB332_2411
; %bb.2410:
	global_load_ubyte v1, v[19:20], off
	s_movk_i32 s10, 0x7f00
	s_brev_b32 s11, 16
	s_waitcnt vmcnt(0)
	v_lshlrev_b16_e32 v3, 8, v1
	v_lshlrev_b32_e32 v1, 25, v1
	v_lshrrev_b32_e32 v5, 4, v1
	v_and_or_b32 v8, v3, s10, 0.5
	v_or_b32_e32 v5, 0x70000000, v5
	v_add_f32_e32 v8, -0.5, v8
	v_mul_f32_e32 v5, 0x7800000, v5
	v_cmp_gt_u32_e32 vcc, s11, v1
	v_bfe_i32 v3, v3, 0, 16
	v_cndmask_b32_e32 v1, v5, v8, vcc
	s_brev_b32 s10, 1
	v_and_or_b32 v1, v3, s10, v1
	v_cvt_u32_f32_e32 v13, v1
.LBB332_2411:
	s_mov_b64 s[10:11], 0
	s_mov_b64 s[16:17], -1
.LBB332_2412:
	s_andn2_b64 vcc, exec, s[10:11]
	s_mov_b64 s[10:11], 0
	s_cbranch_vccnz .LBB332_2423
; %bb.2413:
	s_cmp_gt_i32 s20, 14
	s_cbranch_scc0 .LBB332_2416
; %bb.2414:
	s_cmp_eq_u32 s20, 15
	s_cbranch_scc0 .LBB332_2419
; %bb.2415:
	global_load_ushort v1, v[19:20], off
	s_mov_b64 s[6:7], 0
	s_mov_b64 s[16:17], -1
	s_waitcnt vmcnt(0)
	v_lshlrev_b32_e32 v1, 16, v1
	v_cvt_u32_f32_e32 v13, v1
	s_branch .LBB332_2420
.LBB332_2416:
	s_mov_b64 s[18:19], -1
                                        ; implicit-def: $vgpr13
	s_branch .LBB332_2421
.LBB332_2417:
	s_andn2_saveexec_b64 s[10:11], s[10:11]
	s_cbranch_execz .LBB332_2398
.LBB332_2418:
	v_cmp_ne_u16_e32 vcc, 0, v1
	s_andn2_b64 s[16:17], s[16:17], exec
	s_and_b64 s[18:19], vcc, exec
	s_or_b64 s[16:17], s[16:17], s[18:19]
	s_or_b64 exec, exec, s[10:11]
	v_mov_b32_e32 v13, 0
	s_and_saveexec_b64 s[10:11], s[16:17]
	s_cbranch_execnz .LBB332_2399
	s_branch .LBB332_2400
.LBB332_2419:
	s_mov_b64 s[6:7], -1
                                        ; implicit-def: $vgpr13
.LBB332_2420:
	s_mov_b64 s[18:19], 0
.LBB332_2421:
	s_and_b64 vcc, exec, s[18:19]
	s_cbranch_vccz .LBB332_2423
; %bb.2422:
	s_cmp_lg_u32 s20, 11
	s_mov_b64 s[10:11], -1
	s_cselect_b64 s[6:7], -1, 0
.LBB332_2423:
	s_and_b64 vcc, exec, s[6:7]
	s_cbranch_vccnz .LBB332_2488
; %bb.2424:
	s_andn2_b64 vcc, exec, s[10:11]
	s_cbranch_vccnz .LBB332_2426
.LBB332_2425:
	global_load_ubyte v1, v[19:20], off
	s_mov_b64 s[16:17], -1
	s_waitcnt vmcnt(0)
	v_cmp_ne_u16_e32 vcc, 0, v1
	v_cndmask_b32_e64 v13, 0, 1, vcc
.LBB332_2426:
	s_mov_b64 s[6:7], 0
.LBB332_2427:
	s_and_b64 vcc, exec, s[6:7]
	s_cbranch_vccz .LBB332_2476
; %bb.2428:
	s_and_b32 s10, 0xffff, s22
	s_cmp_lt_i32 s10, 5
	s_cbranch_scc1 .LBB332_2433
; %bb.2429:
	s_cmp_lt_i32 s10, 8
	s_cbranch_scc1 .LBB332_2434
; %bb.2430:
	;; [unrolled: 3-line block ×3, first 2 shown]
	s_cmp_gt_i32 s10, 9
	s_cbranch_scc0 .LBB332_2436
; %bb.2432:
	global_load_dwordx2 v[13:14], v[19:20], off
	s_mov_b64 s[6:7], 0
	s_waitcnt vmcnt(0)
	v_cvt_u32_f64_e32 v13, v[13:14]
	s_branch .LBB332_2437
.LBB332_2433:
	s_mov_b64 s[6:7], -1
                                        ; implicit-def: $vgpr13
	s_branch .LBB332_2455
.LBB332_2434:
	s_mov_b64 s[6:7], -1
                                        ; implicit-def: $vgpr13
	s_branch .LBB332_2443
.LBB332_2435:
	s_mov_b64 s[6:7], -1
                                        ; implicit-def: $vgpr13
	s_branch .LBB332_2440
.LBB332_2436:
	s_mov_b64 s[6:7], -1
                                        ; implicit-def: $vgpr13
.LBB332_2437:
	s_andn2_b64 vcc, exec, s[6:7]
	s_cbranch_vccnz .LBB332_2439
; %bb.2438:
	global_load_dword v1, v[19:20], off
	s_waitcnt vmcnt(0)
	v_cvt_u32_f32_e32 v13, v1
.LBB332_2439:
	s_mov_b64 s[6:7], 0
.LBB332_2440:
	s_andn2_b64 vcc, exec, s[6:7]
	s_cbranch_vccnz .LBB332_2442
; %bb.2441:
	global_load_dword v1, v[19:20], off
	s_waitcnt vmcnt(0)
	v_cvt_u16_f16_e32 v13, v1
.LBB332_2442:
	s_mov_b64 s[6:7], 0
.LBB332_2443:
	s_andn2_b64 vcc, exec, s[6:7]
	s_cbranch_vccnz .LBB332_2454
; %bb.2444:
	s_cmp_lt_i32 s10, 6
	s_cbranch_scc1 .LBB332_2447
; %bb.2445:
	s_cmp_gt_i32 s10, 6
	s_cbranch_scc0 .LBB332_2448
; %bb.2446:
	global_load_dwordx2 v[13:14], v[19:20], off
	s_mov_b64 s[6:7], 0
	s_waitcnt vmcnt(0)
	v_cvt_u32_f64_e32 v13, v[13:14]
	s_branch .LBB332_2449
.LBB332_2447:
	s_mov_b64 s[6:7], -1
                                        ; implicit-def: $vgpr13
	s_branch .LBB332_2452
.LBB332_2448:
	s_mov_b64 s[6:7], -1
                                        ; implicit-def: $vgpr13
.LBB332_2449:
	s_andn2_b64 vcc, exec, s[6:7]
	s_cbranch_vccnz .LBB332_2451
; %bb.2450:
	global_load_dword v1, v[19:20], off
	s_waitcnt vmcnt(0)
	v_cvt_u32_f32_e32 v13, v1
.LBB332_2451:
	s_mov_b64 s[6:7], 0
.LBB332_2452:
	s_andn2_b64 vcc, exec, s[6:7]
	s_cbranch_vccnz .LBB332_2454
; %bb.2453:
	global_load_ushort v1, v[19:20], off
	s_waitcnt vmcnt(0)
	v_cvt_u16_f16_e32 v13, v1
.LBB332_2454:
	s_mov_b64 s[6:7], 0
.LBB332_2455:
	s_andn2_b64 vcc, exec, s[6:7]
	s_cbranch_vccnz .LBB332_2475
; %bb.2456:
	s_cmp_lt_i32 s10, 2
	s_cbranch_scc1 .LBB332_2460
; %bb.2457:
	s_cmp_lt_i32 s10, 3
	s_cbranch_scc1 .LBB332_2461
; %bb.2458:
	s_cmp_gt_i32 s10, 3
	s_cbranch_scc0 .LBB332_2462
; %bb.2459:
	global_load_dwordx2 v[13:14], v[19:20], off
	s_mov_b64 s[6:7], 0
	s_branch .LBB332_2463
.LBB332_2460:
	s_mov_b64 s[6:7], -1
                                        ; implicit-def: $vgpr13
	s_branch .LBB332_2469
.LBB332_2461:
	s_mov_b64 s[6:7], -1
                                        ; implicit-def: $vgpr13
	s_branch .LBB332_2466
.LBB332_2462:
	s_mov_b64 s[6:7], -1
                                        ; implicit-def: $vgpr13
.LBB332_2463:
	s_andn2_b64 vcc, exec, s[6:7]
	s_cbranch_vccnz .LBB332_2465
; %bb.2464:
	global_load_dword v13, v[19:20], off
.LBB332_2465:
	s_mov_b64 s[6:7], 0
.LBB332_2466:
	s_andn2_b64 vcc, exec, s[6:7]
	s_cbranch_vccnz .LBB332_2468
; %bb.2467:
	global_load_ushort v13, v[19:20], off
.LBB332_2468:
	s_mov_b64 s[6:7], 0
.LBB332_2469:
	s_andn2_b64 vcc, exec, s[6:7]
	s_cbranch_vccnz .LBB332_2475
; %bb.2470:
	s_cmp_gt_i32 s10, 0
	s_cbranch_scc0 .LBB332_2472
; %bb.2471:
	global_load_sbyte v13, v[19:20], off
	s_mov_b64 s[6:7], 0
	s_branch .LBB332_2473
.LBB332_2472:
	s_mov_b64 s[6:7], -1
                                        ; implicit-def: $vgpr13
.LBB332_2473:
	s_andn2_b64 vcc, exec, s[6:7]
	s_cbranch_vccnz .LBB332_2475
; %bb.2474:
	global_load_ubyte v13, v[19:20], off
.LBB332_2475:
	s_mov_b64 s[16:17], -1
.LBB332_2476:
	s_andn2_b64 vcc, exec, s[16:17]
	s_cbranch_vccnz .LBB332_3036
; %bb.2477:
	v_mov_b32_e32 v1, s1
	v_add_co_u32_e32 v19, vcc, s0, v9
	s_cmp_lt_i32 s23, 11
	v_addc_co_u32_e32 v20, vcc, 0, v1, vcc
	s_cbranch_scc1 .LBB332_2484
; %bb.2478:
	s_and_b32 s18, 0xffff, s23
	s_cmp_gt_i32 s18, 25
	s_mov_b64 s[6:7], 0
	s_cbranch_scc0 .LBB332_2485
; %bb.2479:
	s_cmp_gt_i32 s18, 28
	s_cbranch_scc0 .LBB332_2486
; %bb.2480:
	s_cmp_gt_i32 s18, 43
	s_cbranch_scc0 .LBB332_2487
; %bb.2481:
	s_cmp_gt_i32 s18, 45
	s_cbranch_scc0 .LBB332_2489
; %bb.2482:
	s_cmp_eq_u32 s18, 46
	s_mov_b64 s[16:17], 0
	s_cbranch_scc0 .LBB332_2490
; %bb.2483:
	global_load_dword v1, v[19:20], off
	s_mov_b64 s[0:1], 0
	s_mov_b64 s[10:11], -1
	s_waitcnt vmcnt(0)
	v_lshlrev_b32_e32 v1, 16, v1
	v_cvt_u32_f32_e32 v8, v1
	s_branch .LBB332_2491
.LBB332_2484:
	s_mov_b64 s[0:1], -1
	s_mov_b64 s[10:11], 0
                                        ; implicit-def: $vgpr8
	s_branch .LBB332_2553
.LBB332_2485:
	s_mov_b64 s[16:17], -1
	s_mov_b64 s[10:11], 0
	s_mov_b64 s[0:1], 0
                                        ; implicit-def: $vgpr8
	s_branch .LBB332_2518
.LBB332_2486:
	s_mov_b64 s[16:17], -1
	s_mov_b64 s[10:11], 0
	s_mov_b64 s[0:1], 0
                                        ; implicit-def: $vgpr8
	s_branch .LBB332_2501
.LBB332_2487:
	s_mov_b64 s[16:17], -1
	s_mov_b64 s[10:11], 0
	s_mov_b64 s[0:1], 0
                                        ; implicit-def: $vgpr8
	s_branch .LBB332_2496
.LBB332_2488:
	s_trap 2
	s_or_b64 s[4:5], s[4:5], exec
	s_cbranch_execz .LBB332_2425
	s_branch .LBB332_2426
.LBB332_2489:
	s_mov_b64 s[16:17], -1
	s_mov_b64 s[10:11], 0
	s_mov_b64 s[0:1], 0
                                        ; implicit-def: $vgpr8
	s_branch .LBB332_2491
.LBB332_2490:
	s_mov_b64 s[0:1], -1
                                        ; implicit-def: $vgpr8
	s_mov_b64 s[10:11], 0
.LBB332_2491:
	s_and_b64 vcc, exec, s[16:17]
	s_cbranch_vccz .LBB332_2495
; %bb.2492:
	s_cmp_eq_u32 s18, 44
	s_cbranch_scc0 .LBB332_2494
; %bb.2493:
	global_load_ubyte v1, v[19:20], off
	s_mov_b64 s[0:1], 0
	s_mov_b64 s[10:11], -1
	s_waitcnt vmcnt(0)
	v_lshlrev_b32_e32 v3, 23, v1
	v_cvt_u32_f32_e32 v3, v3
	v_cmp_ne_u32_e32 vcc, 0, v1
	v_cndmask_b32_e32 v8, 0, v3, vcc
	s_branch .LBB332_2495
.LBB332_2494:
	s_mov_b64 s[0:1], -1
                                        ; implicit-def: $vgpr8
.LBB332_2495:
	s_mov_b64 s[16:17], 0
.LBB332_2496:
	s_and_b64 vcc, exec, s[16:17]
	s_cbranch_vccz .LBB332_2500
; %bb.2497:
	s_cmp_eq_u32 s18, 29
	s_cbranch_scc0 .LBB332_2499
; %bb.2498:
	global_load_dwordx2 v[8:9], v[19:20], off
	s_mov_b64 s[0:1], 0
	s_mov_b64 s[10:11], -1
	s_branch .LBB332_2500
.LBB332_2499:
	s_mov_b64 s[0:1], -1
                                        ; implicit-def: $vgpr8
.LBB332_2500:
	s_mov_b64 s[16:17], 0
.LBB332_2501:
	s_and_b64 vcc, exec, s[16:17]
	s_cbranch_vccz .LBB332_2517
; %bb.2502:
	s_cmp_lt_i32 s18, 27
	s_cbranch_scc1 .LBB332_2505
; %bb.2503:
	s_cmp_gt_i32 s18, 27
	s_cbranch_scc0 .LBB332_2506
; %bb.2504:
	global_load_dword v8, v[19:20], off
	s_mov_b64 s[10:11], 0
	s_branch .LBB332_2507
.LBB332_2505:
	s_mov_b64 s[10:11], -1
                                        ; implicit-def: $vgpr8
	s_branch .LBB332_2510
.LBB332_2506:
	s_mov_b64 s[10:11], -1
                                        ; implicit-def: $vgpr8
.LBB332_2507:
	s_andn2_b64 vcc, exec, s[10:11]
	s_cbranch_vccnz .LBB332_2509
; %bb.2508:
	global_load_ushort v8, v[19:20], off
.LBB332_2509:
	s_mov_b64 s[10:11], 0
.LBB332_2510:
	s_andn2_b64 vcc, exec, s[10:11]
	s_cbranch_vccnz .LBB332_2516
; %bb.2511:
	global_load_ubyte v1, v[19:20], off
	s_movk_i32 s10, 0x7f
	s_mov_b64 s[16:17], 0
	s_waitcnt vmcnt(0)
	v_cmp_lt_i16_e32 vcc, s10, v1
	s_and_saveexec_b64 s[10:11], vcc
	s_xor_b64 s[10:11], exec, s[10:11]
	s_cbranch_execz .LBB332_2528
; %bb.2512:
	s_movk_i32 s16, 0x80
	v_cmp_ne_u16_e32 vcc, s16, v1
	s_and_b64 s[16:17], vcc, exec
	s_andn2_saveexec_b64 s[10:11], s[10:11]
	s_cbranch_execnz .LBB332_2529
.LBB332_2513:
	s_or_b64 exec, exec, s[10:11]
	v_mov_b32_e32 v8, 0
	s_and_saveexec_b64 s[10:11], s[16:17]
	s_cbranch_execz .LBB332_2515
.LBB332_2514:
	v_lshlrev_b32_e32 v3, 24, v1
	v_and_b32_e32 v1, 0xffff, v1
	v_and_b32_e32 v5, 7, v1
	v_ffbh_u32_e32 v9, v5
	v_min_u32_e32 v9, 32, v9
	v_subrev_u32_e32 v11, 28, v9
	v_bfe_u32 v8, v1, 3, 4
	v_lshlrev_b32_e32 v1, v11, v1
	v_sub_u32_e32 v9, 29, v9
	v_and_b32_e32 v1, 7, v1
	v_cmp_eq_u32_e32 vcc, 0, v8
	v_cndmask_b32_e32 v8, v8, v9, vcc
	v_cndmask_b32_e32 v1, v5, v1, vcc
	v_mov_b32_e32 v5, 0x3b800000
	v_lshlrev_b32_e32 v1, 20, v1
	v_and_b32_e32 v3, 0x80000000, v3
	v_lshl_add_u32 v5, v8, 23, v5
	v_or3_b32 v1, v3, v5, v1
	v_cvt_u32_f32_e32 v8, v1
.LBB332_2515:
	s_or_b64 exec, exec, s[10:11]
.LBB332_2516:
	s_mov_b64 s[10:11], -1
.LBB332_2517:
	s_mov_b64 s[16:17], 0
.LBB332_2518:
	s_and_b64 vcc, exec, s[16:17]
	s_cbranch_vccz .LBB332_2549
; %bb.2519:
	s_cmp_gt_i32 s18, 22
	s_cbranch_scc0 .LBB332_2527
; %bb.2520:
	s_cmp_lt_i32 s18, 24
	s_cbranch_scc1 .LBB332_2530
; %bb.2521:
	s_cmp_gt_i32 s18, 24
	s_cbranch_scc0 .LBB332_2531
; %bb.2522:
	global_load_ubyte v1, v[19:20], off
	s_movk_i32 s6, 0x7f
	s_mov_b64 s[10:11], 0
	s_waitcnt vmcnt(0)
	v_cmp_lt_i16_e32 vcc, s6, v1
	s_and_saveexec_b64 s[6:7], vcc
	s_xor_b64 s[6:7], exec, s[6:7]
	s_cbranch_execz .LBB332_2543
; %bb.2523:
	s_movk_i32 s10, 0x80
	v_cmp_ne_u16_e32 vcc, s10, v1
	s_and_b64 s[10:11], vcc, exec
	s_andn2_saveexec_b64 s[6:7], s[6:7]
	s_cbranch_execnz .LBB332_2544
.LBB332_2524:
	s_or_b64 exec, exec, s[6:7]
	v_mov_b32_e32 v8, 0
	s_and_saveexec_b64 s[6:7], s[10:11]
	s_cbranch_execz .LBB332_2526
.LBB332_2525:
	v_lshlrev_b32_e32 v3, 24, v1
	v_and_b32_e32 v1, 0xffff, v1
	v_and_b32_e32 v5, 3, v1
	v_ffbh_u32_e32 v9, v5
	v_min_u32_e32 v9, 32, v9
	v_subrev_u32_e32 v11, 29, v9
	v_bfe_u32 v8, v1, 2, 5
	v_lshlrev_b32_e32 v1, v11, v1
	v_sub_u32_e32 v9, 30, v9
	v_and_b32_e32 v1, 3, v1
	v_cmp_eq_u32_e32 vcc, 0, v8
	v_cndmask_b32_e32 v8, v8, v9, vcc
	v_cndmask_b32_e32 v1, v5, v1, vcc
	v_mov_b32_e32 v5, 0x37800000
	v_lshlrev_b32_e32 v1, 21, v1
	v_and_b32_e32 v3, 0x80000000, v3
	v_lshl_add_u32 v5, v8, 23, v5
	v_or3_b32 v1, v3, v5, v1
	v_cvt_u32_f32_e32 v8, v1
.LBB332_2526:
	s_or_b64 exec, exec, s[6:7]
	s_mov_b64 s[6:7], 0
	s_branch .LBB332_2532
.LBB332_2527:
	s_mov_b64 s[6:7], -1
                                        ; implicit-def: $vgpr8
	s_branch .LBB332_2538
.LBB332_2528:
	s_andn2_saveexec_b64 s[10:11], s[10:11]
	s_cbranch_execz .LBB332_2513
.LBB332_2529:
	v_cmp_ne_u16_e32 vcc, 0, v1
	s_andn2_b64 s[16:17], s[16:17], exec
	s_and_b64 s[20:21], vcc, exec
	s_or_b64 s[16:17], s[16:17], s[20:21]
	s_or_b64 exec, exec, s[10:11]
	v_mov_b32_e32 v8, 0
	s_and_saveexec_b64 s[10:11], s[16:17]
	s_cbranch_execnz .LBB332_2514
	s_branch .LBB332_2515
.LBB332_2530:
	s_mov_b64 s[6:7], -1
                                        ; implicit-def: $vgpr8
	s_branch .LBB332_2535
.LBB332_2531:
	s_mov_b64 s[6:7], -1
                                        ; implicit-def: $vgpr8
.LBB332_2532:
	s_and_b64 vcc, exec, s[6:7]
	s_cbranch_vccz .LBB332_2534
; %bb.2533:
	global_load_ubyte v1, v[19:20], off
	s_mov_b32 s6, 0x7f800000
	s_waitcnt vmcnt(0)
	v_lshlrev_b32_e32 v1, 24, v1
	v_and_b32_e32 v3, 0x7f000000, v1
	v_ffbh_u32_e32 v5, v3
	v_min_u32_e32 v5, 32, v5
	v_sub_u32_e64 v5, v5, 4 clamp
	v_lshlrev_b32_e32 v9, v5, v3
	v_lshlrev_b32_e32 v5, 23, v5
	v_lshrrev_b32_e32 v9, 4, v9
	v_add_u32_e32 v8, 0x1000000, v3
	v_sub_u32_e32 v5, v9, v5
	v_ashrrev_i32_e32 v8, 8, v8
	v_add_u32_e32 v5, 0x3c000000, v5
	v_and_or_b32 v5, v8, s6, v5
	v_cmp_ne_u32_e32 vcc, 0, v3
	v_cndmask_b32_e32 v3, 0, v5, vcc
	s_brev_b32 s6, 1
	v_and_or_b32 v1, v1, s6, v3
	v_cvt_u32_f32_e32 v8, v1
.LBB332_2534:
	s_mov_b64 s[6:7], 0
.LBB332_2535:
	s_andn2_b64 vcc, exec, s[6:7]
	s_cbranch_vccnz .LBB332_2537
; %bb.2536:
	global_load_ubyte v1, v[19:20], off
	s_movk_i32 s6, 0x7f00
	s_brev_b32 s7, 16
	s_waitcnt vmcnt(0)
	v_lshlrev_b16_e32 v3, 8, v1
	v_lshlrev_b32_e32 v1, 25, v1
	v_lshrrev_b32_e32 v5, 4, v1
	v_and_or_b32 v8, v3, s6, 0.5
	v_or_b32_e32 v5, 0x70000000, v5
	v_add_f32_e32 v8, -0.5, v8
	v_mul_f32_e32 v5, 0x7800000, v5
	v_cmp_gt_u32_e32 vcc, s7, v1
	v_bfe_i32 v3, v3, 0, 16
	v_cndmask_b32_e32 v1, v5, v8, vcc
	s_brev_b32 s6, 1
	v_and_or_b32 v1, v3, s6, v1
	v_cvt_u32_f32_e32 v8, v1
.LBB332_2537:
	s_mov_b64 s[6:7], 0
	s_mov_b64 s[10:11], -1
.LBB332_2538:
	s_andn2_b64 vcc, exec, s[6:7]
	s_mov_b64 s[6:7], 0
	s_cbranch_vccnz .LBB332_2549
; %bb.2539:
	s_cmp_gt_i32 s18, 14
	s_cbranch_scc0 .LBB332_2542
; %bb.2540:
	s_cmp_eq_u32 s18, 15
	s_cbranch_scc0 .LBB332_2545
; %bb.2541:
	global_load_ushort v1, v[19:20], off
	s_mov_b64 s[0:1], 0
	s_mov_b64 s[10:11], -1
	s_waitcnt vmcnt(0)
	v_lshlrev_b32_e32 v1, 16, v1
	v_cvt_u32_f32_e32 v8, v1
	s_branch .LBB332_2546
.LBB332_2542:
	s_mov_b64 s[16:17], -1
                                        ; implicit-def: $vgpr8
	s_branch .LBB332_2547
.LBB332_2543:
	s_andn2_saveexec_b64 s[6:7], s[6:7]
	s_cbranch_execz .LBB332_2524
.LBB332_2544:
	v_cmp_ne_u16_e32 vcc, 0, v1
	s_andn2_b64 s[10:11], s[10:11], exec
	s_and_b64 s[16:17], vcc, exec
	s_or_b64 s[10:11], s[10:11], s[16:17]
	s_or_b64 exec, exec, s[6:7]
	v_mov_b32_e32 v8, 0
	s_and_saveexec_b64 s[6:7], s[10:11]
	s_cbranch_execnz .LBB332_2525
	s_branch .LBB332_2526
.LBB332_2545:
	s_mov_b64 s[0:1], -1
                                        ; implicit-def: $vgpr8
.LBB332_2546:
	s_mov_b64 s[16:17], 0
.LBB332_2547:
	s_and_b64 vcc, exec, s[16:17]
	s_cbranch_vccz .LBB332_2549
; %bb.2548:
	s_cmp_lg_u32 s18, 11
	s_mov_b64 s[6:7], -1
	s_cselect_b64 s[0:1], -1, 0
.LBB332_2549:
	s_and_b64 vcc, exec, s[0:1]
	s_cbranch_vccnz .LBB332_3082
; %bb.2550:
	s_andn2_b64 vcc, exec, s[6:7]
	s_cbranch_vccnz .LBB332_2552
.LBB332_2551:
	global_load_ubyte v1, v[19:20], off
	s_mov_b64 s[10:11], -1
	s_waitcnt vmcnt(0)
	v_cmp_ne_u16_e32 vcc, 0, v1
	v_cndmask_b32_e64 v8, 0, 1, vcc
.LBB332_2552:
	s_mov_b64 s[0:1], 0
.LBB332_2553:
	s_and_b64 vcc, exec, s[0:1]
	s_cbranch_vccz .LBB332_2602
; %bb.2554:
	s_and_b32 s6, 0xffff, s23
	s_cmp_lt_i32 s6, 5
	s_cbranch_scc1 .LBB332_2559
; %bb.2555:
	s_cmp_lt_i32 s6, 8
	s_cbranch_scc1 .LBB332_2560
; %bb.2556:
	;; [unrolled: 3-line block ×3, first 2 shown]
	s_cmp_gt_i32 s6, 9
	s_cbranch_scc0 .LBB332_2562
; %bb.2558:
	global_load_dwordx2 v[8:9], v[19:20], off
	s_mov_b64 s[0:1], 0
	s_waitcnt vmcnt(0)
	v_cvt_u32_f64_e32 v8, v[8:9]
	s_branch .LBB332_2563
.LBB332_2559:
	s_mov_b64 s[0:1], -1
                                        ; implicit-def: $vgpr8
	s_branch .LBB332_2581
.LBB332_2560:
	s_mov_b64 s[0:1], -1
                                        ; implicit-def: $vgpr8
	s_branch .LBB332_2569
.LBB332_2561:
	s_mov_b64 s[0:1], -1
                                        ; implicit-def: $vgpr8
	s_branch .LBB332_2566
.LBB332_2562:
	s_mov_b64 s[0:1], -1
                                        ; implicit-def: $vgpr8
.LBB332_2563:
	s_andn2_b64 vcc, exec, s[0:1]
	s_cbranch_vccnz .LBB332_2565
; %bb.2564:
	global_load_dword v1, v[19:20], off
	s_waitcnt vmcnt(0)
	v_cvt_u32_f32_e32 v8, v1
.LBB332_2565:
	s_mov_b64 s[0:1], 0
.LBB332_2566:
	s_andn2_b64 vcc, exec, s[0:1]
	s_cbranch_vccnz .LBB332_2568
; %bb.2567:
	global_load_dword v1, v[19:20], off
	s_waitcnt vmcnt(0)
	v_cvt_u16_f16_e32 v8, v1
.LBB332_2568:
	s_mov_b64 s[0:1], 0
.LBB332_2569:
	s_andn2_b64 vcc, exec, s[0:1]
	s_cbranch_vccnz .LBB332_2580
; %bb.2570:
	s_cmp_lt_i32 s6, 6
	s_cbranch_scc1 .LBB332_2573
; %bb.2571:
	s_cmp_gt_i32 s6, 6
	s_cbranch_scc0 .LBB332_2574
; %bb.2572:
	global_load_dwordx2 v[8:9], v[19:20], off
	s_mov_b64 s[0:1], 0
	s_waitcnt vmcnt(0)
	v_cvt_u32_f64_e32 v8, v[8:9]
	s_branch .LBB332_2575
.LBB332_2573:
	s_mov_b64 s[0:1], -1
                                        ; implicit-def: $vgpr8
	s_branch .LBB332_2578
.LBB332_2574:
	s_mov_b64 s[0:1], -1
                                        ; implicit-def: $vgpr8
.LBB332_2575:
	s_andn2_b64 vcc, exec, s[0:1]
	s_cbranch_vccnz .LBB332_2577
; %bb.2576:
	global_load_dword v1, v[19:20], off
	s_waitcnt vmcnt(0)
	v_cvt_u32_f32_e32 v8, v1
.LBB332_2577:
	s_mov_b64 s[0:1], 0
.LBB332_2578:
	s_andn2_b64 vcc, exec, s[0:1]
	s_cbranch_vccnz .LBB332_2580
; %bb.2579:
	global_load_ushort v1, v[19:20], off
	s_waitcnt vmcnt(0)
	v_cvt_u16_f16_e32 v8, v1
.LBB332_2580:
	s_mov_b64 s[0:1], 0
.LBB332_2581:
	s_andn2_b64 vcc, exec, s[0:1]
	s_cbranch_vccnz .LBB332_2601
; %bb.2582:
	s_cmp_lt_i32 s6, 2
	s_cbranch_scc1 .LBB332_2586
; %bb.2583:
	s_cmp_lt_i32 s6, 3
	s_cbranch_scc1 .LBB332_2587
; %bb.2584:
	s_cmp_gt_i32 s6, 3
	s_cbranch_scc0 .LBB332_2588
; %bb.2585:
	global_load_dwordx2 v[8:9], v[19:20], off
	s_mov_b64 s[0:1], 0
	s_branch .LBB332_2589
.LBB332_2586:
	s_mov_b64 s[0:1], -1
                                        ; implicit-def: $vgpr8
	s_branch .LBB332_2595
.LBB332_2587:
	s_mov_b64 s[0:1], -1
                                        ; implicit-def: $vgpr8
	s_branch .LBB332_2592
.LBB332_2588:
	s_mov_b64 s[0:1], -1
                                        ; implicit-def: $vgpr8
.LBB332_2589:
	s_andn2_b64 vcc, exec, s[0:1]
	s_cbranch_vccnz .LBB332_2591
; %bb.2590:
	global_load_dword v8, v[19:20], off
.LBB332_2591:
	s_mov_b64 s[0:1], 0
.LBB332_2592:
	s_andn2_b64 vcc, exec, s[0:1]
	s_cbranch_vccnz .LBB332_2594
; %bb.2593:
	global_load_ushort v8, v[19:20], off
.LBB332_2594:
	s_mov_b64 s[0:1], 0
.LBB332_2595:
	s_andn2_b64 vcc, exec, s[0:1]
	s_cbranch_vccnz .LBB332_2601
; %bb.2596:
	s_cmp_gt_i32 s6, 0
	s_cbranch_scc0 .LBB332_2598
; %bb.2597:
	global_load_sbyte v8, v[19:20], off
	s_mov_b64 s[0:1], 0
	s_branch .LBB332_2599
.LBB332_2598:
	s_mov_b64 s[0:1], -1
                                        ; implicit-def: $vgpr8
.LBB332_2599:
	s_andn2_b64 vcc, exec, s[0:1]
	s_cbranch_vccnz .LBB332_2601
; %bb.2600:
	global_load_ubyte v8, v[19:20], off
.LBB332_2601:
	s_mov_b64 s[10:11], -1
.LBB332_2602:
	s_andn2_b64 vcc, exec, s[10:11]
	s_cbranch_vccnz .LBB332_3036
; %bb.2603:
	s_load_dwordx2 s[0:1], s[2:3], 0x1a0
	v_cmp_ne_u16_e32 vcc, v7, v12
	v_mov_b32_e32 v1, s9
	s_waitcnt lgkmcnt(0)
	s_cmp_eq_u32 s0, 0
	s_cselect_b64 s[2:3], -1, 0
	s_and_b32 s22, s1, 0xff
	s_xor_b64 s[6:7], s[2:3], vcc
	v_add_co_u32_e32 v5, vcc, s8, v6
	s_cmp_lt_i32 s22, 11
	v_addc_co_u32_e32 v6, vcc, 0, v1, vcc
	s_cbranch_scc1 .LBB332_2681
; %bb.2604:
	s_and_b32 s23, 0xffff, s22
	s_mov_b64 s[18:19], -1
	s_mov_b64 s[10:11], 0
	s_cmp_gt_i32 s23, 25
	s_mov_b64 s[16:17], 0
	s_mov_b64 s[0:1], 0
	s_cbranch_scc0 .LBB332_2637
; %bb.2605:
	s_cmp_gt_i32 s23, 28
	s_cbranch_scc0 .LBB332_2620
; %bb.2606:
	s_cmp_gt_i32 s23, 43
	;; [unrolled: 3-line block ×3, first 2 shown]
	s_cbranch_scc0 .LBB332_2610
; %bb.2608:
	s_mov_b64 s[0:1], -1
	s_mov_b64 s[18:19], 0
	s_cmp_eq_u32 s23, 46
	s_cbranch_scc0 .LBB332_2610
; %bb.2609:
	v_cndmask_b32_e64 v1, 0, 1.0, s[6:7]
	v_bfe_u32 v3, v1, 16, 1
	s_movk_i32 s0, 0x7fff
	v_add3_u32 v1, v1, v3, s0
	v_lshrrev_b32_e32 v1, 16, v1
	global_store_dword v[5:6], v1, off
	s_mov_b64 s[0:1], 0
	s_mov_b64 s[16:17], -1
.LBB332_2610:
	s_and_b64 vcc, exec, s[18:19]
	s_cbranch_vccz .LBB332_2615
; %bb.2611:
	s_cmp_eq_u32 s23, 44
	s_mov_b64 s[0:1], -1
	s_cbranch_scc0 .LBB332_2615
; %bb.2612:
	v_cndmask_b32_e64 v3, 0, 1.0, s[6:7]
	v_lshrrev_b32_e32 v1, 23, v3
	s_movk_i32 s0, 0xff
	v_cmp_ne_u32_e32 vcc, s0, v1
	v_mov_b32_e32 v7, 0xff
	s_and_saveexec_b64 s[16:17], vcc
; %bb.2613:
	s_mov_b32 s0, 0x3fffff
	v_and_b32_e32 v7, 0x400000, v3
	v_and_or_b32 v3, v3, s0, v1
	v_cmp_ne_u32_e32 vcc, 0, v7
	v_cmp_ne_u32_e64 s[0:1], 0, v3
	s_and_b64 s[0:1], vcc, s[0:1]
	v_cndmask_b32_e64 v3, 0, 1, s[0:1]
	v_add_u32_e32 v7, v1, v3
; %bb.2614:
	s_or_b64 exec, exec, s[16:17]
	s_mov_b64 s[0:1], 0
	s_mov_b64 s[16:17], -1
	global_store_byte v[5:6], v7, off
.LBB332_2615:
	s_mov_b64 s[18:19], 0
.LBB332_2616:
	s_and_b64 vcc, exec, s[18:19]
	s_cbranch_vccz .LBB332_2619
; %bb.2617:
	s_cmp_eq_u32 s23, 29
	s_mov_b64 s[0:1], -1
	s_cbranch_scc0 .LBB332_2619
; %bb.2618:
	s_mov_b32 s0, 0
	v_cndmask_b32_e64 v11, 0, 1, s[6:7]
	v_mov_b32_e32 v12, s0
	global_store_dwordx2 v[5:6], v[11:12], off
	s_mov_b64 s[0:1], 0
	s_mov_b64 s[16:17], -1
.LBB332_2619:
	s_mov_b64 s[18:19], 0
.LBB332_2620:
	s_and_b64 vcc, exec, s[18:19]
	s_cbranch_vccz .LBB332_2636
; %bb.2621:
	s_cmp_lt_i32 s23, 27
	s_mov_b64 s[16:17], -1
	s_cbranch_scc1 .LBB332_2627
; %bb.2622:
	s_cmp_gt_i32 s23, 27
	s_cbranch_scc0 .LBB332_2624
; %bb.2623:
	v_cndmask_b32_e64 v1, 0, 1, s[6:7]
	s_mov_b64 s[16:17], 0
	global_store_dword v[5:6], v1, off
.LBB332_2624:
	s_andn2_b64 vcc, exec, s[16:17]
	s_cbranch_vccnz .LBB332_2626
; %bb.2625:
	v_cndmask_b32_e64 v1, 0, 1, s[6:7]
	global_store_short v[5:6], v1, off
.LBB332_2626:
	s_mov_b64 s[16:17], 0
.LBB332_2627:
	s_andn2_b64 vcc, exec, s[16:17]
	s_cbranch_vccnz .LBB332_2635
; %bb.2628:
	v_cndmask_b32_e64 v3, 0, 1.0, s[6:7]
	s_mov_b32 s16, 0x43800000
	v_cmp_gt_u32_e32 vcc, s16, v3
	v_mov_b32_e32 v7, 0x80
	s_and_saveexec_b64 s[16:17], vcc
	s_cbranch_execz .LBB332_2634
; %bb.2629:
	s_mov_b32 s18, 0x3bffffff
	v_cmp_lt_u32_e32 vcc, s18, v3
	s_mov_b64 s[18:19], 0
                                        ; implicit-def: $vgpr1
	s_and_saveexec_b64 s[20:21], vcc
	s_xor_b64 s[20:21], exec, s[20:21]
	s_cbranch_execz .LBB332_3083
; %bb.2630:
	v_bfe_u32 v1, v3, 20, 1
	s_mov_b32 s24, 0x487ffff
	v_add3_u32 v1, v3, v1, s24
	s_mov_b64 s[18:19], exec
	v_lshrrev_b32_e32 v1, 20, v1
                                        ; implicit-def: $vgpr3
	s_andn2_saveexec_b64 s[20:21], s[20:21]
	s_cbranch_execnz .LBB332_3084
.LBB332_2631:
	s_or_b64 exec, exec, s[20:21]
	v_mov_b32_e32 v7, 0
	s_and_saveexec_b64 s[20:21], s[18:19]
.LBB332_2632:
	v_mov_b32_e32 v7, v1
.LBB332_2633:
	s_or_b64 exec, exec, s[20:21]
.LBB332_2634:
	s_or_b64 exec, exec, s[16:17]
	global_store_byte v[5:6], v7, off
.LBB332_2635:
	s_mov_b64 s[16:17], -1
.LBB332_2636:
	s_mov_b64 s[18:19], 0
.LBB332_2637:
	s_and_b64 vcc, exec, s[18:19]
	s_cbranch_vccz .LBB332_2677
; %bb.2638:
	s_cmp_gt_i32 s23, 22
	s_mov_b64 s[10:11], -1
	s_cbranch_scc0 .LBB332_2670
; %bb.2639:
	s_cmp_lt_i32 s23, 24
	s_cbranch_scc1 .LBB332_2659
; %bb.2640:
	s_cmp_gt_i32 s23, 24
	s_cbranch_scc0 .LBB332_2648
; %bb.2641:
	v_cndmask_b32_e64 v3, 0, 1.0, s[6:7]
	s_mov_b32 s10, 0x47800000
	v_cmp_gt_u32_e32 vcc, s10, v3
	v_mov_b32_e32 v7, 0x80
	s_and_saveexec_b64 s[10:11], vcc
	s_cbranch_execz .LBB332_2647
; %bb.2642:
	s_mov_b32 s16, 0x37ffffff
	v_cmp_lt_u32_e32 vcc, s16, v3
	s_mov_b64 s[16:17], 0
                                        ; implicit-def: $vgpr1
	s_and_saveexec_b64 s[18:19], vcc
	s_xor_b64 s[18:19], exec, s[18:19]
	s_cbranch_execz .LBB332_3086
; %bb.2643:
	v_bfe_u32 v1, v3, 21, 1
	s_mov_b32 s20, 0x88fffff
	v_add3_u32 v1, v3, v1, s20
	s_mov_b64 s[16:17], exec
	v_lshrrev_b32_e32 v1, 21, v1
                                        ; implicit-def: $vgpr3
	s_andn2_saveexec_b64 s[18:19], s[18:19]
	s_cbranch_execnz .LBB332_3087
.LBB332_2644:
	s_or_b64 exec, exec, s[18:19]
	v_mov_b32_e32 v7, 0
	s_and_saveexec_b64 s[18:19], s[16:17]
.LBB332_2645:
	v_mov_b32_e32 v7, v1
.LBB332_2646:
	s_or_b64 exec, exec, s[18:19]
.LBB332_2647:
	s_or_b64 exec, exec, s[10:11]
	s_mov_b64 s[10:11], 0
	global_store_byte v[5:6], v7, off
.LBB332_2648:
	s_and_b64 vcc, exec, s[10:11]
	s_cbranch_vccz .LBB332_2658
; %bb.2649:
	v_cndmask_b32_e64 v1, 0, 1.0, s[6:7]
	s_mov_b32 s10, 0x43f00000
	v_cmp_gt_u32_e32 vcc, s10, v1
                                        ; implicit-def: $vgpr3
	s_and_saveexec_b64 s[10:11], vcc
	s_xor_b64 s[10:11], exec, s[10:11]
	s_cbranch_execz .LBB332_2655
; %bb.2650:
	s_mov_b32 s16, 0x3c7fffff
	v_cmp_lt_u32_e32 vcc, s16, v1
                                        ; implicit-def: $vgpr3
	s_and_saveexec_b64 s[16:17], vcc
	s_xor_b64 s[16:17], exec, s[16:17]
; %bb.2651:
	v_bfe_u32 v3, v1, 20, 1
	s_mov_b32 s18, 0x407ffff
	v_add3_u32 v1, v1, v3, s18
	v_lshrrev_b32_e32 v3, 20, v1
	v_and_b32_e32 v1, 0xff00000, v1
	s_mov_b32 s18, 0x7f00000
	v_mov_b32_e32 v7, 0x7e
	v_cmp_ne_u32_e32 vcc, s18, v1
	v_cndmask_b32_e32 v3, v7, v3, vcc
                                        ; implicit-def: $vgpr1
; %bb.2652:
	s_andn2_saveexec_b64 s[16:17], s[16:17]
; %bb.2653:
	v_add_f32_e32 v3, 0x46800000, v1
; %bb.2654:
	s_or_b64 exec, exec, s[16:17]
                                        ; implicit-def: $vgpr1
.LBB332_2655:
	s_andn2_saveexec_b64 s[10:11], s[10:11]
; %bb.2656:
	s_mov_b32 s16, 0x7f800000
	v_mov_b32_e32 v3, 0x7e
	v_mov_b32_e32 v7, 0x7f
	v_cmp_lt_u32_e32 vcc, s16, v1
	v_cndmask_b32_e32 v3, v3, v7, vcc
; %bb.2657:
	s_or_b64 exec, exec, s[10:11]
	global_store_byte v[5:6], v3, off
.LBB332_2658:
	s_mov_b64 s[10:11], 0
.LBB332_2659:
	s_andn2_b64 vcc, exec, s[10:11]
	s_cbranch_vccnz .LBB332_2669
; %bb.2660:
	v_cndmask_b32_e64 v1, 0, 1.0, s[6:7]
	s_mov_b32 s10, 0x47800000
	v_cmp_gt_u32_e32 vcc, s10, v1
                                        ; implicit-def: $vgpr3
	s_and_saveexec_b64 s[10:11], vcc
	s_xor_b64 s[10:11], exec, s[10:11]
	s_cbranch_execz .LBB332_2666
; %bb.2661:
	s_mov_b32 s16, 0x387fffff
	v_cmp_lt_u32_e32 vcc, s16, v1
                                        ; implicit-def: $vgpr3
	s_and_saveexec_b64 s[16:17], vcc
	s_xor_b64 s[16:17], exec, s[16:17]
; %bb.2662:
	v_bfe_u32 v3, v1, 21, 1
	s_mov_b32 s18, 0x80fffff
	v_add3_u32 v1, v1, v3, s18
	v_lshrrev_b32_e32 v3, 21, v1
                                        ; implicit-def: $vgpr1
; %bb.2663:
	s_andn2_saveexec_b64 s[16:17], s[16:17]
; %bb.2664:
	v_add_f32_e32 v3, 0x43000000, v1
; %bb.2665:
	s_or_b64 exec, exec, s[16:17]
                                        ; implicit-def: $vgpr1
.LBB332_2666:
	s_andn2_saveexec_b64 s[10:11], s[10:11]
; %bb.2667:
	s_mov_b32 s16, 0x7f800000
	v_mov_b32_e32 v3, 0x7c
	v_mov_b32_e32 v7, 0x7f
	v_cmp_lt_u32_e32 vcc, s16, v1
	v_cndmask_b32_e32 v3, v3, v7, vcc
; %bb.2668:
	s_or_b64 exec, exec, s[10:11]
	global_store_byte v[5:6], v3, off
.LBB332_2669:
	s_mov_b64 s[10:11], 0
	s_mov_b64 s[16:17], -1
.LBB332_2670:
	s_andn2_b64 vcc, exec, s[10:11]
	s_mov_b64 s[10:11], 0
	s_cbranch_vccnz .LBB332_2677
; %bb.2671:
	s_cmp_gt_i32 s23, 14
	s_mov_b64 s[18:19], -1
	s_cbranch_scc0 .LBB332_2675
; %bb.2672:
	s_cmp_eq_u32 s23, 15
	s_mov_b64 s[0:1], -1
	s_cbranch_scc0 .LBB332_2674
; %bb.2673:
	v_cndmask_b32_e64 v1, 0, 1.0, s[6:7]
	v_bfe_u32 v3, v1, 16, 1
	s_movk_i32 s0, 0x7fff
	v_add3_u32 v1, v1, v3, s0
	global_store_short_d16_hi v[5:6], v1, off
	s_mov_b64 s[0:1], 0
	s_mov_b64 s[16:17], -1
.LBB332_2674:
	s_mov_b64 s[18:19], 0
.LBB332_2675:
	s_and_b64 vcc, exec, s[18:19]
	s_cbranch_vccz .LBB332_2677
; %bb.2676:
	s_cmp_lg_u32 s23, 11
	s_mov_b64 s[10:11], -1
	s_cselect_b64 s[0:1], -1, 0
.LBB332_2677:
	s_and_b64 vcc, exec, s[0:1]
	s_cbranch_vccnz .LBB332_3085
; %bb.2678:
	s_andn2_b64 vcc, exec, s[10:11]
	s_cbranch_vccnz .LBB332_2680
.LBB332_2679:
	v_cndmask_b32_e64 v1, 0, 1, s[6:7]
	s_mov_b64 s[16:17], -1
	global_store_byte v[5:6], v1, off
.LBB332_2680:
	s_mov_b64 s[0:1], 0
	s_branch .LBB332_2682
.LBB332_2681:
	s_mov_b64 s[0:1], -1
	s_mov_b64 s[16:17], 0
.LBB332_2682:
	s_and_b64 vcc, exec, s[0:1]
	s_cbranch_vccz .LBB332_2721
; %bb.2683:
	s_and_b32 s10, 0xffff, s22
	s_cmp_lt_i32 s10, 5
	s_mov_b64 s[0:1], -1
	s_cbranch_scc1 .LBB332_2704
; %bb.2684:
	s_cmp_lt_i32 s10, 8
	s_cbranch_scc1 .LBB332_2694
; %bb.2685:
	s_cmp_lt_i32 s10, 9
	s_cbranch_scc1 .LBB332_2691
; %bb.2686:
	s_cmp_gt_i32 s10, 9
	s_cbranch_scc0 .LBB332_2688
; %bb.2687:
	v_cndmask_b32_e64 v1, 0, 1, s[6:7]
	v_cvt_f64_u32_e32 v[19:20], v1
	v_mov_b32_e32 v21, 0
	v_mov_b32_e32 v22, v21
	s_mov_b64 s[0:1], 0
	global_store_dwordx4 v[5:6], v[19:22], off
.LBB332_2688:
	s_andn2_b64 vcc, exec, s[0:1]
	s_cbranch_vccnz .LBB332_2690
; %bb.2689:
	v_cndmask_b32_e64 v11, 0, 1.0, s[6:7]
	v_mov_b32_e32 v12, 0
	global_store_dwordx2 v[5:6], v[11:12], off
.LBB332_2690:
	s_mov_b64 s[0:1], 0
.LBB332_2691:
	s_andn2_b64 vcc, exec, s[0:1]
	s_cbranch_vccnz .LBB332_2693
; %bb.2692:
	v_cndmask_b32_e64 v1, 0, 1.0, s[6:7]
	v_cvt_f16_f32_e32 v1, v1
	global_store_dword v[5:6], v1, off
.LBB332_2693:
	s_mov_b64 s[0:1], 0
.LBB332_2694:
	s_andn2_b64 vcc, exec, s[0:1]
	s_cbranch_vccnz .LBB332_2703
; %bb.2695:
	s_cmp_lt_i32 s10, 6
	s_mov_b64 s[0:1], -1
	s_cbranch_scc1 .LBB332_2701
; %bb.2696:
	s_cmp_gt_i32 s10, 6
	s_cbranch_scc0 .LBB332_2698
; %bb.2697:
	v_cndmask_b32_e64 v1, 0, 1, s[6:7]
	v_cvt_f64_u32_e32 v[11:12], v1
	s_mov_b64 s[0:1], 0
	global_store_dwordx2 v[5:6], v[11:12], off
.LBB332_2698:
	s_andn2_b64 vcc, exec, s[0:1]
	s_cbranch_vccnz .LBB332_2700
; %bb.2699:
	v_cndmask_b32_e64 v1, 0, 1.0, s[6:7]
	global_store_dword v[5:6], v1, off
.LBB332_2700:
	s_mov_b64 s[0:1], 0
.LBB332_2701:
	s_andn2_b64 vcc, exec, s[0:1]
	s_cbranch_vccnz .LBB332_2703
; %bb.2702:
	v_cndmask_b32_e64 v1, 0, 1.0, s[6:7]
	v_cvt_f16_f32_e32 v1, v1
	global_store_short v[5:6], v1, off
.LBB332_2703:
	s_mov_b64 s[0:1], 0
.LBB332_2704:
	s_andn2_b64 vcc, exec, s[0:1]
	s_cbranch_vccnz .LBB332_2720
; %bb.2705:
	s_cmp_lt_i32 s10, 2
	s_mov_b64 s[0:1], -1
	s_cbranch_scc1 .LBB332_2715
; %bb.2706:
	s_cmp_lt_i32 s10, 3
	s_cbranch_scc1 .LBB332_2712
; %bb.2707:
	s_cmp_gt_i32 s10, 3
	s_cbranch_scc0 .LBB332_2709
; %bb.2708:
	s_mov_b32 s0, 0
	v_cndmask_b32_e64 v11, 0, 1, s[6:7]
	v_mov_b32_e32 v12, s0
	global_store_dwordx2 v[5:6], v[11:12], off
	s_mov_b64 s[0:1], 0
.LBB332_2709:
	s_andn2_b64 vcc, exec, s[0:1]
	s_cbranch_vccnz .LBB332_2711
; %bb.2710:
	v_cndmask_b32_e64 v1, 0, 1, s[6:7]
	global_store_dword v[5:6], v1, off
.LBB332_2711:
	s_mov_b64 s[0:1], 0
.LBB332_2712:
	s_andn2_b64 vcc, exec, s[0:1]
	s_cbranch_vccnz .LBB332_2714
; %bb.2713:
	v_cndmask_b32_e64 v1, 0, 1, s[6:7]
	global_store_short v[5:6], v1, off
.LBB332_2714:
	s_mov_b64 s[0:1], 0
.LBB332_2715:
	s_andn2_b64 vcc, exec, s[0:1]
	s_cbranch_vccnz .LBB332_2720
; %bb.2716:
	s_mov_b64 s[0:1], -1
	s_cmp_gt_i32 s10, 0
	v_cndmask_b32_e64 v1, 0, 1, s[6:7]
	s_cbranch_scc0 .LBB332_2718
; %bb.2717:
	global_store_byte v[5:6], v1, off
	s_mov_b64 s[0:1], 0
.LBB332_2718:
	s_andn2_b64 vcc, exec, s[0:1]
	s_cbranch_vccnz .LBB332_2720
; %bb.2719:
	global_store_byte v[5:6], v1, off
.LBB332_2720:
	s_mov_b64 s[16:17], -1
.LBB332_2721:
	s_andn2_b64 vcc, exec, s[16:17]
	s_cbranch_vccnz .LBB332_3036
; %bb.2722:
	v_cmp_ne_u16_e32 vcc, v10, v17
	s_xor_b64 s[6:7], s[2:3], vcc
	v_mov_b32_e32 v1, s9
	s_and_b32 s23, 0xffff, s22
	v_add_co_u32_e32 v3, vcc, s8, v4
	s_cmp_lt_i32 s23, 11
	v_addc_co_u32_e32 v4, vcc, 0, v1, vcc
	s_cbranch_scc1 .LBB332_2800
; %bb.2723:
	s_mov_b64 s[18:19], -1
	s_mov_b64 s[10:11], 0
	s_cmp_gt_i32 s23, 25
	s_mov_b64 s[16:17], 0
	s_mov_b64 s[0:1], 0
	s_cbranch_scc0 .LBB332_2756
; %bb.2724:
	s_cmp_gt_i32 s23, 28
	s_cbranch_scc0 .LBB332_2739
; %bb.2725:
	s_cmp_gt_i32 s23, 43
	;; [unrolled: 3-line block ×3, first 2 shown]
	s_cbranch_scc0 .LBB332_2729
; %bb.2727:
	s_mov_b64 s[0:1], -1
	s_mov_b64 s[18:19], 0
	s_cmp_eq_u32 s23, 46
	s_cbranch_scc0 .LBB332_2729
; %bb.2728:
	v_cndmask_b32_e64 v1, 0, 1.0, s[6:7]
	v_bfe_u32 v5, v1, 16, 1
	s_movk_i32 s0, 0x7fff
	v_add3_u32 v1, v1, v5, s0
	v_lshrrev_b32_e32 v1, 16, v1
	global_store_dword v[3:4], v1, off
	s_mov_b64 s[0:1], 0
	s_mov_b64 s[16:17], -1
.LBB332_2729:
	s_and_b64 vcc, exec, s[18:19]
	s_cbranch_vccz .LBB332_2734
; %bb.2730:
	s_cmp_eq_u32 s23, 44
	s_mov_b64 s[0:1], -1
	s_cbranch_scc0 .LBB332_2734
; %bb.2731:
	v_cndmask_b32_e64 v5, 0, 1.0, s[6:7]
	v_lshrrev_b32_e32 v1, 23, v5
	s_movk_i32 s0, 0xff
	v_cmp_ne_u32_e32 vcc, s0, v1
	v_mov_b32_e32 v6, 0xff
	s_and_saveexec_b64 s[16:17], vcc
; %bb.2732:
	s_mov_b32 s0, 0x3fffff
	v_and_b32_e32 v6, 0x400000, v5
	v_and_or_b32 v5, v5, s0, v1
	v_cmp_ne_u32_e32 vcc, 0, v6
	v_cmp_ne_u32_e64 s[0:1], 0, v5
	s_and_b64 s[0:1], vcc, s[0:1]
	v_cndmask_b32_e64 v5, 0, 1, s[0:1]
	v_add_u32_e32 v6, v1, v5
; %bb.2733:
	s_or_b64 exec, exec, s[16:17]
	s_mov_b64 s[0:1], 0
	s_mov_b64 s[16:17], -1
	global_store_byte v[3:4], v6, off
.LBB332_2734:
	s_mov_b64 s[18:19], 0
.LBB332_2735:
	s_and_b64 vcc, exec, s[18:19]
	s_cbranch_vccz .LBB332_2738
; %bb.2736:
	s_cmp_eq_u32 s23, 29
	s_mov_b64 s[0:1], -1
	s_cbranch_scc0 .LBB332_2738
; %bb.2737:
	s_mov_b32 s0, 0
	v_cndmask_b32_e64 v5, 0, 1, s[6:7]
	v_mov_b32_e32 v6, s0
	global_store_dwordx2 v[3:4], v[5:6], off
	s_mov_b64 s[0:1], 0
	s_mov_b64 s[16:17], -1
.LBB332_2738:
	s_mov_b64 s[18:19], 0
.LBB332_2739:
	s_and_b64 vcc, exec, s[18:19]
	s_cbranch_vccz .LBB332_2755
; %bb.2740:
	s_cmp_lt_i32 s23, 27
	s_mov_b64 s[16:17], -1
	s_cbranch_scc1 .LBB332_2746
; %bb.2741:
	s_cmp_gt_i32 s23, 27
	s_cbranch_scc0 .LBB332_2743
; %bb.2742:
	v_cndmask_b32_e64 v1, 0, 1, s[6:7]
	s_mov_b64 s[16:17], 0
	global_store_dword v[3:4], v1, off
.LBB332_2743:
	s_andn2_b64 vcc, exec, s[16:17]
	s_cbranch_vccnz .LBB332_2745
; %bb.2744:
	v_cndmask_b32_e64 v1, 0, 1, s[6:7]
	global_store_short v[3:4], v1, off
.LBB332_2745:
	s_mov_b64 s[16:17], 0
.LBB332_2746:
	s_andn2_b64 vcc, exec, s[16:17]
	s_cbranch_vccnz .LBB332_2754
; %bb.2747:
	v_cndmask_b32_e64 v5, 0, 1.0, s[6:7]
	s_mov_b32 s16, 0x43800000
	v_cmp_gt_u32_e32 vcc, s16, v5
	v_mov_b32_e32 v6, 0x80
	s_and_saveexec_b64 s[16:17], vcc
	s_cbranch_execz .LBB332_2753
; %bb.2748:
	s_mov_b32 s18, 0x3bffffff
	v_cmp_lt_u32_e32 vcc, s18, v5
	s_mov_b64 s[18:19], 0
                                        ; implicit-def: $vgpr1
	s_and_saveexec_b64 s[20:21], vcc
	s_xor_b64 s[20:21], exec, s[20:21]
	s_cbranch_execz .LBB332_3088
; %bb.2749:
	v_bfe_u32 v1, v5, 20, 1
	s_mov_b32 s24, 0x487ffff
	v_add3_u32 v1, v5, v1, s24
	s_mov_b64 s[18:19], exec
	v_lshrrev_b32_e32 v1, 20, v1
                                        ; implicit-def: $vgpr5
	s_andn2_saveexec_b64 s[20:21], s[20:21]
	s_cbranch_execnz .LBB332_3089
.LBB332_2750:
	s_or_b64 exec, exec, s[20:21]
	v_mov_b32_e32 v6, 0
	s_and_saveexec_b64 s[20:21], s[18:19]
.LBB332_2751:
	v_mov_b32_e32 v6, v1
.LBB332_2752:
	s_or_b64 exec, exec, s[20:21]
.LBB332_2753:
	s_or_b64 exec, exec, s[16:17]
	global_store_byte v[3:4], v6, off
.LBB332_2754:
	s_mov_b64 s[16:17], -1
.LBB332_2755:
	s_mov_b64 s[18:19], 0
.LBB332_2756:
	s_and_b64 vcc, exec, s[18:19]
	s_cbranch_vccz .LBB332_2796
; %bb.2757:
	s_cmp_gt_i32 s23, 22
	s_mov_b64 s[10:11], -1
	s_cbranch_scc0 .LBB332_2789
; %bb.2758:
	s_cmp_lt_i32 s23, 24
	s_cbranch_scc1 .LBB332_2778
; %bb.2759:
	s_cmp_gt_i32 s23, 24
	s_cbranch_scc0 .LBB332_2767
; %bb.2760:
	v_cndmask_b32_e64 v5, 0, 1.0, s[6:7]
	s_mov_b32 s10, 0x47800000
	v_cmp_gt_u32_e32 vcc, s10, v5
	v_mov_b32_e32 v6, 0x80
	s_and_saveexec_b64 s[10:11], vcc
	s_cbranch_execz .LBB332_2766
; %bb.2761:
	s_mov_b32 s16, 0x37ffffff
	v_cmp_lt_u32_e32 vcc, s16, v5
	s_mov_b64 s[16:17], 0
                                        ; implicit-def: $vgpr1
	s_and_saveexec_b64 s[18:19], vcc
	s_xor_b64 s[18:19], exec, s[18:19]
	s_cbranch_execz .LBB332_3091
; %bb.2762:
	v_bfe_u32 v1, v5, 21, 1
	s_mov_b32 s20, 0x88fffff
	v_add3_u32 v1, v5, v1, s20
	s_mov_b64 s[16:17], exec
	v_lshrrev_b32_e32 v1, 21, v1
                                        ; implicit-def: $vgpr5
	s_andn2_saveexec_b64 s[18:19], s[18:19]
	s_cbranch_execnz .LBB332_3092
.LBB332_2763:
	s_or_b64 exec, exec, s[18:19]
	v_mov_b32_e32 v6, 0
	s_and_saveexec_b64 s[18:19], s[16:17]
.LBB332_2764:
	v_mov_b32_e32 v6, v1
.LBB332_2765:
	s_or_b64 exec, exec, s[18:19]
.LBB332_2766:
	s_or_b64 exec, exec, s[10:11]
	s_mov_b64 s[10:11], 0
	global_store_byte v[3:4], v6, off
.LBB332_2767:
	s_and_b64 vcc, exec, s[10:11]
	s_cbranch_vccz .LBB332_2777
; %bb.2768:
	v_cndmask_b32_e64 v1, 0, 1.0, s[6:7]
	s_mov_b32 s10, 0x43f00000
	v_cmp_gt_u32_e32 vcc, s10, v1
                                        ; implicit-def: $vgpr5
	s_and_saveexec_b64 s[10:11], vcc
	s_xor_b64 s[10:11], exec, s[10:11]
	s_cbranch_execz .LBB332_2774
; %bb.2769:
	s_mov_b32 s16, 0x3c7fffff
	v_cmp_lt_u32_e32 vcc, s16, v1
                                        ; implicit-def: $vgpr5
	s_and_saveexec_b64 s[16:17], vcc
	s_xor_b64 s[16:17], exec, s[16:17]
; %bb.2770:
	v_bfe_u32 v5, v1, 20, 1
	s_mov_b32 s18, 0x407ffff
	v_add3_u32 v1, v1, v5, s18
	v_lshrrev_b32_e32 v5, 20, v1
	v_and_b32_e32 v1, 0xff00000, v1
	s_mov_b32 s18, 0x7f00000
	v_mov_b32_e32 v6, 0x7e
	v_cmp_ne_u32_e32 vcc, s18, v1
	v_cndmask_b32_e32 v5, v6, v5, vcc
                                        ; implicit-def: $vgpr1
; %bb.2771:
	s_andn2_saveexec_b64 s[16:17], s[16:17]
; %bb.2772:
	v_add_f32_e32 v5, 0x46800000, v1
; %bb.2773:
	s_or_b64 exec, exec, s[16:17]
                                        ; implicit-def: $vgpr1
.LBB332_2774:
	s_andn2_saveexec_b64 s[10:11], s[10:11]
; %bb.2775:
	s_mov_b32 s16, 0x7f800000
	v_mov_b32_e32 v5, 0x7e
	v_mov_b32_e32 v6, 0x7f
	v_cmp_lt_u32_e32 vcc, s16, v1
	v_cndmask_b32_e32 v5, v5, v6, vcc
; %bb.2776:
	s_or_b64 exec, exec, s[10:11]
	global_store_byte v[3:4], v5, off
.LBB332_2777:
	s_mov_b64 s[10:11], 0
.LBB332_2778:
	s_andn2_b64 vcc, exec, s[10:11]
	s_cbranch_vccnz .LBB332_2788
; %bb.2779:
	v_cndmask_b32_e64 v1, 0, 1.0, s[6:7]
	s_mov_b32 s10, 0x47800000
	v_cmp_gt_u32_e32 vcc, s10, v1
                                        ; implicit-def: $vgpr5
	s_and_saveexec_b64 s[10:11], vcc
	s_xor_b64 s[10:11], exec, s[10:11]
	s_cbranch_execz .LBB332_2785
; %bb.2780:
	s_mov_b32 s16, 0x387fffff
	v_cmp_lt_u32_e32 vcc, s16, v1
                                        ; implicit-def: $vgpr5
	s_and_saveexec_b64 s[16:17], vcc
	s_xor_b64 s[16:17], exec, s[16:17]
; %bb.2781:
	v_bfe_u32 v5, v1, 21, 1
	s_mov_b32 s18, 0x80fffff
	v_add3_u32 v1, v1, v5, s18
	v_lshrrev_b32_e32 v5, 21, v1
                                        ; implicit-def: $vgpr1
; %bb.2782:
	s_andn2_saveexec_b64 s[16:17], s[16:17]
; %bb.2783:
	v_add_f32_e32 v5, 0x43000000, v1
; %bb.2784:
	s_or_b64 exec, exec, s[16:17]
                                        ; implicit-def: $vgpr1
.LBB332_2785:
	s_andn2_saveexec_b64 s[10:11], s[10:11]
; %bb.2786:
	s_mov_b32 s16, 0x7f800000
	v_mov_b32_e32 v5, 0x7c
	v_mov_b32_e32 v6, 0x7f
	v_cmp_lt_u32_e32 vcc, s16, v1
	v_cndmask_b32_e32 v5, v5, v6, vcc
; %bb.2787:
	s_or_b64 exec, exec, s[10:11]
	global_store_byte v[3:4], v5, off
.LBB332_2788:
	s_mov_b64 s[10:11], 0
	s_mov_b64 s[16:17], -1
.LBB332_2789:
	s_andn2_b64 vcc, exec, s[10:11]
	s_mov_b64 s[10:11], 0
	s_cbranch_vccnz .LBB332_2796
; %bb.2790:
	s_cmp_gt_i32 s23, 14
	s_mov_b64 s[18:19], -1
	s_cbranch_scc0 .LBB332_2794
; %bb.2791:
	s_cmp_eq_u32 s23, 15
	s_mov_b64 s[0:1], -1
	s_cbranch_scc0 .LBB332_2793
; %bb.2792:
	v_cndmask_b32_e64 v1, 0, 1.0, s[6:7]
	v_bfe_u32 v5, v1, 16, 1
	s_movk_i32 s0, 0x7fff
	v_add3_u32 v1, v1, v5, s0
	global_store_short_d16_hi v[3:4], v1, off
	s_mov_b64 s[0:1], 0
	s_mov_b64 s[16:17], -1
.LBB332_2793:
	s_mov_b64 s[18:19], 0
.LBB332_2794:
	s_and_b64 vcc, exec, s[18:19]
	s_cbranch_vccz .LBB332_2796
; %bb.2795:
	s_cmp_lg_u32 s23, 11
	s_mov_b64 s[10:11], -1
	s_cselect_b64 s[0:1], -1, 0
.LBB332_2796:
	s_and_b64 vcc, exec, s[0:1]
	s_cbranch_vccnz .LBB332_3090
; %bb.2797:
	s_andn2_b64 vcc, exec, s[10:11]
	s_cbranch_vccnz .LBB332_2799
.LBB332_2798:
	v_cndmask_b32_e64 v1, 0, 1, s[6:7]
	s_mov_b64 s[16:17], -1
	global_store_byte v[3:4], v1, off
.LBB332_2799:
	s_mov_b64 s[0:1], 0
	s_branch .LBB332_2801
.LBB332_2800:
	s_mov_b64 s[0:1], -1
	s_mov_b64 s[16:17], 0
.LBB332_2801:
	s_and_b64 vcc, exec, s[0:1]
	s_cbranch_vccz .LBB332_2840
; %bb.2802:
	s_cmp_lt_i32 s23, 5
	s_mov_b64 s[0:1], -1
	s_cbranch_scc1 .LBB332_2823
; %bb.2803:
	s_cmp_lt_i32 s23, 8
	s_cbranch_scc1 .LBB332_2813
; %bb.2804:
	s_cmp_lt_i32 s23, 9
	s_cbranch_scc1 .LBB332_2810
; %bb.2805:
	s_cmp_gt_i32 s23, 9
	s_cbranch_scc0 .LBB332_2807
; %bb.2806:
	v_cndmask_b32_e64 v1, 0, 1, s[6:7]
	s_waitcnt vmcnt(0)
	v_cvt_f64_u32_e32 v[9:10], v1
	v_mov_b32_e32 v11, 0
	v_mov_b32_e32 v12, v11
	s_mov_b64 s[0:1], 0
	global_store_dwordx4 v[3:4], v[9:12], off
.LBB332_2807:
	s_andn2_b64 vcc, exec, s[0:1]
	s_cbranch_vccnz .LBB332_2809
; %bb.2808:
	v_cndmask_b32_e64 v5, 0, 1.0, s[6:7]
	v_mov_b32_e32 v6, 0
	global_store_dwordx2 v[3:4], v[5:6], off
.LBB332_2809:
	s_mov_b64 s[0:1], 0
.LBB332_2810:
	s_andn2_b64 vcc, exec, s[0:1]
	s_cbranch_vccnz .LBB332_2812
; %bb.2811:
	v_cndmask_b32_e64 v1, 0, 1.0, s[6:7]
	v_cvt_f16_f32_e32 v1, v1
	global_store_dword v[3:4], v1, off
.LBB332_2812:
	s_mov_b64 s[0:1], 0
.LBB332_2813:
	s_andn2_b64 vcc, exec, s[0:1]
	s_cbranch_vccnz .LBB332_2822
; %bb.2814:
	s_cmp_lt_i32 s23, 6
	s_mov_b64 s[0:1], -1
	s_cbranch_scc1 .LBB332_2820
; %bb.2815:
	s_cmp_gt_i32 s23, 6
	s_cbranch_scc0 .LBB332_2817
; %bb.2816:
	v_cndmask_b32_e64 v1, 0, 1, s[6:7]
	v_cvt_f64_u32_e32 v[5:6], v1
	s_mov_b64 s[0:1], 0
	global_store_dwordx2 v[3:4], v[5:6], off
.LBB332_2817:
	s_andn2_b64 vcc, exec, s[0:1]
	s_cbranch_vccnz .LBB332_2819
; %bb.2818:
	v_cndmask_b32_e64 v1, 0, 1.0, s[6:7]
	global_store_dword v[3:4], v1, off
.LBB332_2819:
	s_mov_b64 s[0:1], 0
.LBB332_2820:
	s_andn2_b64 vcc, exec, s[0:1]
	s_cbranch_vccnz .LBB332_2822
; %bb.2821:
	v_cndmask_b32_e64 v1, 0, 1.0, s[6:7]
	v_cvt_f16_f32_e32 v1, v1
	global_store_short v[3:4], v1, off
.LBB332_2822:
	s_mov_b64 s[0:1], 0
.LBB332_2823:
	s_andn2_b64 vcc, exec, s[0:1]
	s_cbranch_vccnz .LBB332_2839
; %bb.2824:
	s_cmp_lt_i32 s23, 2
	s_mov_b64 s[0:1], -1
	s_cbranch_scc1 .LBB332_2834
; %bb.2825:
	s_cmp_lt_i32 s23, 3
	s_cbranch_scc1 .LBB332_2831
; %bb.2826:
	s_cmp_gt_i32 s23, 3
	s_cbranch_scc0 .LBB332_2828
; %bb.2827:
	s_mov_b32 s0, 0
	v_cndmask_b32_e64 v5, 0, 1, s[6:7]
	v_mov_b32_e32 v6, s0
	global_store_dwordx2 v[3:4], v[5:6], off
	s_mov_b64 s[0:1], 0
.LBB332_2828:
	s_andn2_b64 vcc, exec, s[0:1]
	s_cbranch_vccnz .LBB332_2830
; %bb.2829:
	v_cndmask_b32_e64 v1, 0, 1, s[6:7]
	global_store_dword v[3:4], v1, off
.LBB332_2830:
	s_mov_b64 s[0:1], 0
.LBB332_2831:
	s_andn2_b64 vcc, exec, s[0:1]
	s_cbranch_vccnz .LBB332_2833
; %bb.2832:
	v_cndmask_b32_e64 v1, 0, 1, s[6:7]
	global_store_short v[3:4], v1, off
.LBB332_2833:
	s_mov_b64 s[0:1], 0
.LBB332_2834:
	s_andn2_b64 vcc, exec, s[0:1]
	s_cbranch_vccnz .LBB332_2839
; %bb.2835:
	s_mov_b64 s[0:1], -1
	s_cmp_gt_i32 s23, 0
	v_cndmask_b32_e64 v1, 0, 1, s[6:7]
	s_cbranch_scc0 .LBB332_2837
; %bb.2836:
	global_store_byte v[3:4], v1, off
	s_mov_b64 s[0:1], 0
.LBB332_2837:
	s_andn2_b64 vcc, exec, s[0:1]
	s_cbranch_vccnz .LBB332_2839
; %bb.2838:
	global_store_byte v[3:4], v1, off
.LBB332_2839:
	s_mov_b64 s[16:17], -1
.LBB332_2840:
	s_andn2_b64 vcc, exec, s[16:17]
	s_cbranch_vccnz .LBB332_3036
; %bb.2841:
	v_cmp_ne_u16_e32 vcc, v15, v18
	s_xor_b64 s[6:7], s[2:3], vcc
	v_mov_b32_e32 v3, s9
	v_add_co_u32_e32 v1, vcc, s8, v2
	s_cmp_lt_i32 s23, 11
	v_addc_co_u32_e32 v2, vcc, 0, v3, vcc
	s_cbranch_scc1 .LBB332_2919
; %bb.2842:
	s_mov_b64 s[18:19], -1
	s_mov_b64 s[10:11], 0
	s_cmp_gt_i32 s23, 25
	s_mov_b64 s[16:17], 0
	s_mov_b64 s[0:1], 0
	s_cbranch_scc0 .LBB332_2875
; %bb.2843:
	s_cmp_gt_i32 s23, 28
	s_cbranch_scc0 .LBB332_2858
; %bb.2844:
	s_cmp_gt_i32 s23, 43
	;; [unrolled: 3-line block ×3, first 2 shown]
	s_cbranch_scc0 .LBB332_2848
; %bb.2846:
	s_mov_b64 s[0:1], -1
	s_mov_b64 s[18:19], 0
	s_cmp_eq_u32 s23, 46
	s_cbranch_scc0 .LBB332_2848
; %bb.2847:
	v_cndmask_b32_e64 v3, 0, 1.0, s[6:7]
	v_bfe_u32 v4, v3, 16, 1
	s_movk_i32 s0, 0x7fff
	v_add3_u32 v3, v3, v4, s0
	v_lshrrev_b32_e32 v3, 16, v3
	global_store_dword v[1:2], v3, off
	s_mov_b64 s[0:1], 0
	s_mov_b64 s[16:17], -1
.LBB332_2848:
	s_and_b64 vcc, exec, s[18:19]
	s_cbranch_vccz .LBB332_2853
; %bb.2849:
	s_cmp_eq_u32 s23, 44
	s_mov_b64 s[0:1], -1
	s_cbranch_scc0 .LBB332_2853
; %bb.2850:
	v_cndmask_b32_e64 v4, 0, 1.0, s[6:7]
	v_lshrrev_b32_e32 v3, 23, v4
	s_movk_i32 s0, 0xff
	v_cmp_ne_u32_e32 vcc, s0, v3
	v_mov_b32_e32 v5, 0xff
	s_and_saveexec_b64 s[16:17], vcc
; %bb.2851:
	s_mov_b32 s0, 0x3fffff
	v_and_b32_e32 v5, 0x400000, v4
	v_and_or_b32 v4, v4, s0, v3
	v_cmp_ne_u32_e32 vcc, 0, v5
	v_cmp_ne_u32_e64 s[0:1], 0, v4
	s_and_b64 s[0:1], vcc, s[0:1]
	v_cndmask_b32_e64 v4, 0, 1, s[0:1]
	v_add_u32_e32 v5, v3, v4
; %bb.2852:
	s_or_b64 exec, exec, s[16:17]
	s_mov_b64 s[0:1], 0
	s_mov_b64 s[16:17], -1
	global_store_byte v[1:2], v5, off
.LBB332_2853:
	s_mov_b64 s[18:19], 0
.LBB332_2854:
	s_and_b64 vcc, exec, s[18:19]
	s_cbranch_vccz .LBB332_2857
; %bb.2855:
	s_cmp_eq_u32 s23, 29
	s_mov_b64 s[0:1], -1
	s_cbranch_scc0 .LBB332_2857
; %bb.2856:
	s_mov_b32 s0, 0
	v_cndmask_b32_e64 v3, 0, 1, s[6:7]
	v_mov_b32_e32 v4, s0
	global_store_dwordx2 v[1:2], v[3:4], off
	s_mov_b64 s[0:1], 0
	s_mov_b64 s[16:17], -1
.LBB332_2857:
	s_mov_b64 s[18:19], 0
.LBB332_2858:
	s_and_b64 vcc, exec, s[18:19]
	s_cbranch_vccz .LBB332_2874
; %bb.2859:
	s_cmp_lt_i32 s23, 27
	s_mov_b64 s[16:17], -1
	s_cbranch_scc1 .LBB332_2865
; %bb.2860:
	s_cmp_gt_i32 s23, 27
	s_cbranch_scc0 .LBB332_2862
; %bb.2861:
	v_cndmask_b32_e64 v3, 0, 1, s[6:7]
	s_mov_b64 s[16:17], 0
	global_store_dword v[1:2], v3, off
.LBB332_2862:
	s_andn2_b64 vcc, exec, s[16:17]
	s_cbranch_vccnz .LBB332_2864
; %bb.2863:
	v_cndmask_b32_e64 v3, 0, 1, s[6:7]
	global_store_short v[1:2], v3, off
.LBB332_2864:
	s_mov_b64 s[16:17], 0
.LBB332_2865:
	s_andn2_b64 vcc, exec, s[16:17]
	s_cbranch_vccnz .LBB332_2873
; %bb.2866:
	v_cndmask_b32_e64 v4, 0, 1.0, s[6:7]
	s_mov_b32 s16, 0x43800000
	v_cmp_gt_u32_e32 vcc, s16, v4
	v_mov_b32_e32 v5, 0x80
	s_and_saveexec_b64 s[16:17], vcc
	s_cbranch_execz .LBB332_2872
; %bb.2867:
	s_mov_b32 s18, 0x3bffffff
	v_cmp_lt_u32_e32 vcc, s18, v4
	s_mov_b64 s[18:19], 0
                                        ; implicit-def: $vgpr3
	s_and_saveexec_b64 s[20:21], vcc
	s_xor_b64 s[20:21], exec, s[20:21]
	s_cbranch_execz .LBB332_3093
; %bb.2868:
	v_bfe_u32 v3, v4, 20, 1
	s_mov_b32 s24, 0x487ffff
	v_add3_u32 v3, v4, v3, s24
	s_mov_b64 s[18:19], exec
	v_lshrrev_b32_e32 v3, 20, v3
                                        ; implicit-def: $vgpr4
	s_andn2_saveexec_b64 s[20:21], s[20:21]
	s_cbranch_execnz .LBB332_3094
.LBB332_2869:
	s_or_b64 exec, exec, s[20:21]
	v_mov_b32_e32 v5, 0
	s_and_saveexec_b64 s[20:21], s[18:19]
.LBB332_2870:
	v_mov_b32_e32 v5, v3
.LBB332_2871:
	s_or_b64 exec, exec, s[20:21]
.LBB332_2872:
	s_or_b64 exec, exec, s[16:17]
	global_store_byte v[1:2], v5, off
.LBB332_2873:
	s_mov_b64 s[16:17], -1
.LBB332_2874:
	s_mov_b64 s[18:19], 0
.LBB332_2875:
	s_and_b64 vcc, exec, s[18:19]
	s_cbranch_vccz .LBB332_2915
; %bb.2876:
	s_cmp_gt_i32 s23, 22
	s_mov_b64 s[10:11], -1
	s_cbranch_scc0 .LBB332_2908
; %bb.2877:
	s_cmp_lt_i32 s23, 24
	s_cbranch_scc1 .LBB332_2897
; %bb.2878:
	s_cmp_gt_i32 s23, 24
	s_cbranch_scc0 .LBB332_2886
; %bb.2879:
	v_cndmask_b32_e64 v4, 0, 1.0, s[6:7]
	s_mov_b32 s10, 0x47800000
	v_cmp_gt_u32_e32 vcc, s10, v4
	v_mov_b32_e32 v5, 0x80
	s_and_saveexec_b64 s[10:11], vcc
	s_cbranch_execz .LBB332_2885
; %bb.2880:
	s_mov_b32 s16, 0x37ffffff
	v_cmp_lt_u32_e32 vcc, s16, v4
	s_mov_b64 s[16:17], 0
                                        ; implicit-def: $vgpr3
	s_and_saveexec_b64 s[18:19], vcc
	s_xor_b64 s[18:19], exec, s[18:19]
	s_cbranch_execz .LBB332_3096
; %bb.2881:
	v_bfe_u32 v3, v4, 21, 1
	s_mov_b32 s20, 0x88fffff
	v_add3_u32 v3, v4, v3, s20
	s_mov_b64 s[16:17], exec
	v_lshrrev_b32_e32 v3, 21, v3
                                        ; implicit-def: $vgpr4
	s_andn2_saveexec_b64 s[18:19], s[18:19]
	s_cbranch_execnz .LBB332_3097
.LBB332_2882:
	s_or_b64 exec, exec, s[18:19]
	v_mov_b32_e32 v5, 0
	s_and_saveexec_b64 s[18:19], s[16:17]
.LBB332_2883:
	v_mov_b32_e32 v5, v3
.LBB332_2884:
	s_or_b64 exec, exec, s[18:19]
.LBB332_2885:
	s_or_b64 exec, exec, s[10:11]
	s_mov_b64 s[10:11], 0
	global_store_byte v[1:2], v5, off
.LBB332_2886:
	s_and_b64 vcc, exec, s[10:11]
	s_cbranch_vccz .LBB332_2896
; %bb.2887:
	v_cndmask_b32_e64 v3, 0, 1.0, s[6:7]
	s_mov_b32 s10, 0x43f00000
	v_cmp_gt_u32_e32 vcc, s10, v3
                                        ; implicit-def: $vgpr4
	s_and_saveexec_b64 s[10:11], vcc
	s_xor_b64 s[10:11], exec, s[10:11]
	s_cbranch_execz .LBB332_2893
; %bb.2888:
	s_mov_b32 s16, 0x3c7fffff
	v_cmp_lt_u32_e32 vcc, s16, v3
                                        ; implicit-def: $vgpr4
	s_and_saveexec_b64 s[16:17], vcc
	s_xor_b64 s[16:17], exec, s[16:17]
; %bb.2889:
	v_bfe_u32 v4, v3, 20, 1
	s_mov_b32 s18, 0x407ffff
	v_add3_u32 v3, v3, v4, s18
	v_lshrrev_b32_e32 v4, 20, v3
	v_and_b32_e32 v3, 0xff00000, v3
	s_mov_b32 s18, 0x7f00000
	v_mov_b32_e32 v5, 0x7e
	v_cmp_ne_u32_e32 vcc, s18, v3
	v_cndmask_b32_e32 v4, v5, v4, vcc
                                        ; implicit-def: $vgpr3
; %bb.2890:
	s_andn2_saveexec_b64 s[16:17], s[16:17]
; %bb.2891:
	v_add_f32_e32 v4, 0x46800000, v3
; %bb.2892:
	s_or_b64 exec, exec, s[16:17]
                                        ; implicit-def: $vgpr3
.LBB332_2893:
	s_andn2_saveexec_b64 s[10:11], s[10:11]
; %bb.2894:
	s_mov_b32 s16, 0x7f800000
	v_mov_b32_e32 v4, 0x7e
	v_mov_b32_e32 v5, 0x7f
	v_cmp_lt_u32_e32 vcc, s16, v3
	v_cndmask_b32_e32 v4, v4, v5, vcc
; %bb.2895:
	s_or_b64 exec, exec, s[10:11]
	global_store_byte v[1:2], v4, off
.LBB332_2896:
	s_mov_b64 s[10:11], 0
.LBB332_2897:
	s_andn2_b64 vcc, exec, s[10:11]
	s_cbranch_vccnz .LBB332_2907
; %bb.2898:
	v_cndmask_b32_e64 v3, 0, 1.0, s[6:7]
	s_mov_b32 s10, 0x47800000
	v_cmp_gt_u32_e32 vcc, s10, v3
                                        ; implicit-def: $vgpr4
	s_and_saveexec_b64 s[10:11], vcc
	s_xor_b64 s[10:11], exec, s[10:11]
	s_cbranch_execz .LBB332_2904
; %bb.2899:
	s_mov_b32 s16, 0x387fffff
	v_cmp_lt_u32_e32 vcc, s16, v3
                                        ; implicit-def: $vgpr4
	s_and_saveexec_b64 s[16:17], vcc
	s_xor_b64 s[16:17], exec, s[16:17]
; %bb.2900:
	v_bfe_u32 v4, v3, 21, 1
	s_mov_b32 s18, 0x80fffff
	v_add3_u32 v3, v3, v4, s18
	v_lshrrev_b32_e32 v4, 21, v3
                                        ; implicit-def: $vgpr3
; %bb.2901:
	s_andn2_saveexec_b64 s[16:17], s[16:17]
; %bb.2902:
	v_add_f32_e32 v4, 0x43000000, v3
; %bb.2903:
	s_or_b64 exec, exec, s[16:17]
                                        ; implicit-def: $vgpr3
.LBB332_2904:
	s_andn2_saveexec_b64 s[10:11], s[10:11]
; %bb.2905:
	s_mov_b32 s16, 0x7f800000
	v_mov_b32_e32 v4, 0x7c
	v_mov_b32_e32 v5, 0x7f
	v_cmp_lt_u32_e32 vcc, s16, v3
	v_cndmask_b32_e32 v4, v4, v5, vcc
; %bb.2906:
	s_or_b64 exec, exec, s[10:11]
	global_store_byte v[1:2], v4, off
.LBB332_2907:
	s_mov_b64 s[10:11], 0
	s_mov_b64 s[16:17], -1
.LBB332_2908:
	s_andn2_b64 vcc, exec, s[10:11]
	s_mov_b64 s[10:11], 0
	s_cbranch_vccnz .LBB332_2915
; %bb.2909:
	s_cmp_gt_i32 s23, 14
	s_mov_b64 s[18:19], -1
	s_cbranch_scc0 .LBB332_2913
; %bb.2910:
	s_cmp_eq_u32 s23, 15
	s_mov_b64 s[0:1], -1
	s_cbranch_scc0 .LBB332_2912
; %bb.2911:
	v_cndmask_b32_e64 v3, 0, 1.0, s[6:7]
	v_bfe_u32 v4, v3, 16, 1
	s_movk_i32 s0, 0x7fff
	v_add3_u32 v3, v3, v4, s0
	global_store_short_d16_hi v[1:2], v3, off
	s_mov_b64 s[0:1], 0
	s_mov_b64 s[16:17], -1
.LBB332_2912:
	s_mov_b64 s[18:19], 0
.LBB332_2913:
	s_and_b64 vcc, exec, s[18:19]
	s_cbranch_vccz .LBB332_2915
; %bb.2914:
	s_cmp_lg_u32 s23, 11
	s_mov_b64 s[10:11], -1
	s_cselect_b64 s[0:1], -1, 0
.LBB332_2915:
	s_and_b64 vcc, exec, s[0:1]
	s_cbranch_vccnz .LBB332_3095
; %bb.2916:
	s_andn2_b64 vcc, exec, s[10:11]
	s_cbranch_vccnz .LBB332_2918
.LBB332_2917:
	v_cndmask_b32_e64 v3, 0, 1, s[6:7]
	s_mov_b64 s[16:17], -1
	global_store_byte v[1:2], v3, off
.LBB332_2918:
	s_mov_b64 s[0:1], 0
	s_branch .LBB332_2920
.LBB332_2919:
	s_mov_b64 s[0:1], -1
	s_mov_b64 s[16:17], 0
.LBB332_2920:
	s_and_b64 vcc, exec, s[0:1]
	s_cbranch_vccz .LBB332_2959
; %bb.2921:
	s_cmp_lt_i32 s23, 5
	s_mov_b64 s[0:1], -1
	s_cbranch_scc1 .LBB332_2942
; %bb.2922:
	s_cmp_lt_i32 s23, 8
	s_cbranch_scc1 .LBB332_2932
; %bb.2923:
	s_cmp_lt_i32 s23, 9
	s_cbranch_scc1 .LBB332_2929
; %bb.2924:
	s_cmp_gt_i32 s23, 9
	s_cbranch_scc0 .LBB332_2926
; %bb.2925:
	v_cndmask_b32_e64 v3, 0, 1, s[6:7]
	v_cvt_f64_u32_e32 v[3:4], v3
	v_mov_b32_e32 v5, 0
	v_mov_b32_e32 v6, v5
	s_mov_b64 s[0:1], 0
	global_store_dwordx4 v[1:2], v[3:6], off
.LBB332_2926:
	s_andn2_b64 vcc, exec, s[0:1]
	s_cbranch_vccnz .LBB332_2928
; %bb.2927:
	v_cndmask_b32_e64 v3, 0, 1.0, s[6:7]
	v_mov_b32_e32 v4, 0
	global_store_dwordx2 v[1:2], v[3:4], off
.LBB332_2928:
	s_mov_b64 s[0:1], 0
.LBB332_2929:
	s_andn2_b64 vcc, exec, s[0:1]
	s_cbranch_vccnz .LBB332_2931
; %bb.2930:
	v_cndmask_b32_e64 v3, 0, 1.0, s[6:7]
	v_cvt_f16_f32_e32 v3, v3
	global_store_dword v[1:2], v3, off
.LBB332_2931:
	s_mov_b64 s[0:1], 0
.LBB332_2932:
	s_andn2_b64 vcc, exec, s[0:1]
	s_cbranch_vccnz .LBB332_2941
; %bb.2933:
	s_cmp_lt_i32 s23, 6
	s_mov_b64 s[0:1], -1
	s_cbranch_scc1 .LBB332_2939
; %bb.2934:
	s_cmp_gt_i32 s23, 6
	s_cbranch_scc0 .LBB332_2936
; %bb.2935:
	v_cndmask_b32_e64 v3, 0, 1, s[6:7]
	v_cvt_f64_u32_e32 v[3:4], v3
	s_mov_b64 s[0:1], 0
	global_store_dwordx2 v[1:2], v[3:4], off
.LBB332_2936:
	s_andn2_b64 vcc, exec, s[0:1]
	s_cbranch_vccnz .LBB332_2938
; %bb.2937:
	v_cndmask_b32_e64 v3, 0, 1.0, s[6:7]
	global_store_dword v[1:2], v3, off
.LBB332_2938:
	s_mov_b64 s[0:1], 0
.LBB332_2939:
	s_andn2_b64 vcc, exec, s[0:1]
	s_cbranch_vccnz .LBB332_2941
; %bb.2940:
	v_cndmask_b32_e64 v3, 0, 1.0, s[6:7]
	v_cvt_f16_f32_e32 v3, v3
	global_store_short v[1:2], v3, off
.LBB332_2941:
	s_mov_b64 s[0:1], 0
.LBB332_2942:
	s_andn2_b64 vcc, exec, s[0:1]
	s_cbranch_vccnz .LBB332_2958
; %bb.2943:
	s_cmp_lt_i32 s23, 2
	s_mov_b64 s[0:1], -1
	s_cbranch_scc1 .LBB332_2953
; %bb.2944:
	s_cmp_lt_i32 s23, 3
	s_cbranch_scc1 .LBB332_2950
; %bb.2945:
	s_cmp_gt_i32 s23, 3
	s_cbranch_scc0 .LBB332_2947
; %bb.2946:
	s_mov_b32 s0, 0
	v_cndmask_b32_e64 v3, 0, 1, s[6:7]
	v_mov_b32_e32 v4, s0
	global_store_dwordx2 v[1:2], v[3:4], off
	s_mov_b64 s[0:1], 0
.LBB332_2947:
	s_andn2_b64 vcc, exec, s[0:1]
	s_cbranch_vccnz .LBB332_2949
; %bb.2948:
	v_cndmask_b32_e64 v3, 0, 1, s[6:7]
	global_store_dword v[1:2], v3, off
.LBB332_2949:
	s_mov_b64 s[0:1], 0
.LBB332_2950:
	s_andn2_b64 vcc, exec, s[0:1]
	s_cbranch_vccnz .LBB332_2952
; %bb.2951:
	v_cndmask_b32_e64 v3, 0, 1, s[6:7]
	global_store_short v[1:2], v3, off
.LBB332_2952:
	s_mov_b64 s[0:1], 0
.LBB332_2953:
	s_andn2_b64 vcc, exec, s[0:1]
	s_cbranch_vccnz .LBB332_2958
; %bb.2954:
	s_cmp_gt_i32 s23, 0
	s_mov_b64 s[0:1], -1
	s_cbranch_scc0 .LBB332_2956
; %bb.2955:
	v_cndmask_b32_e64 v3, 0, 1, s[6:7]
	global_store_byte v[1:2], v3, off
	s_mov_b64 s[0:1], 0
.LBB332_2956:
	s_andn2_b64 vcc, exec, s[0:1]
	s_cbranch_vccnz .LBB332_2958
; %bb.2957:
	v_cndmask_b32_e64 v3, 0, 1, s[6:7]
	global_store_byte v[1:2], v3, off
.LBB332_2958:
	s_mov_b64 s[16:17], -1
.LBB332_2959:
	s_andn2_b64 vcc, exec, s[16:17]
	s_cbranch_vccnz .LBB332_3036
; %bb.2960:
	s_waitcnt vmcnt(0)
	v_cmp_ne_u16_e32 vcc, v13, v8
	s_xor_b64 s[10:11], s[2:3], vcc
	v_mov_b32_e32 v1, s9
	v_add_co_u32_e32 v0, vcc, s8, v0
	s_cmp_lt_i32 s23, 11
	v_addc_co_u32_e32 v1, vcc, 0, v1, vcc
	s_cbranch_scc1 .LBB332_3081
; %bb.2961:
	s_mov_b64 s[6:7], -1
	s_mov_b64 s[2:3], 0
	s_cmp_gt_i32 s23, 25
	s_mov_b64 s[0:1], 0
	s_cbranch_scc0 .LBB332_2994
; %bb.2962:
	s_cmp_gt_i32 s23, 28
	s_cbranch_scc0 .LBB332_2978
; %bb.2963:
	s_cmp_gt_i32 s23, 43
	;; [unrolled: 3-line block ×3, first 2 shown]
	s_cbranch_scc0 .LBB332_2968
; %bb.2965:
	s_cmp_eq_u32 s23, 46
	s_mov_b64 s[0:1], -1
	s_cbranch_scc0 .LBB332_2967
; %bb.2966:
	v_cndmask_b32_e64 v2, 0, 1.0, s[10:11]
	v_bfe_u32 v3, v2, 16, 1
	s_movk_i32 s0, 0x7fff
	v_add3_u32 v2, v2, v3, s0
	v_lshrrev_b32_e32 v2, 16, v2
	global_store_dword v[0:1], v2, off
	s_mov_b64 s[0:1], 0
.LBB332_2967:
	s_mov_b64 s[6:7], 0
.LBB332_2968:
	s_and_b64 vcc, exec, s[6:7]
	s_cbranch_vccz .LBB332_2973
; %bb.2969:
	s_cmp_eq_u32 s23, 44
	s_mov_b64 s[0:1], -1
	s_cbranch_scc0 .LBB332_2973
; %bb.2970:
	v_cndmask_b32_e64 v3, 0, 1.0, s[10:11]
	v_lshrrev_b32_e32 v2, 23, v3
	s_movk_i32 s0, 0xff
	v_cmp_ne_u32_e32 vcc, s0, v2
	v_mov_b32_e32 v4, 0xff
	s_and_saveexec_b64 s[6:7], vcc
; %bb.2971:
	s_mov_b32 s0, 0x3fffff
	v_and_b32_e32 v4, 0x400000, v3
	v_and_or_b32 v3, v3, s0, v2
	v_cmp_ne_u32_e32 vcc, 0, v4
	v_cmp_ne_u32_e64 s[0:1], 0, v3
	s_and_b64 s[0:1], vcc, s[0:1]
	v_cndmask_b32_e64 v3, 0, 1, s[0:1]
	v_add_u32_e32 v4, v2, v3
; %bb.2972:
	s_or_b64 exec, exec, s[6:7]
	s_mov_b64 s[0:1], 0
	global_store_byte v[0:1], v4, off
.LBB332_2973:
	s_mov_b64 s[6:7], 0
.LBB332_2974:
	s_and_b64 vcc, exec, s[6:7]
	s_cbranch_vccz .LBB332_2977
; %bb.2975:
	s_cmp_eq_u32 s23, 29
	s_mov_b64 s[0:1], -1
	s_cbranch_scc0 .LBB332_2977
; %bb.2976:
	s_mov_b32 s0, 0
	v_cndmask_b32_e64 v2, 0, 1, s[10:11]
	v_mov_b32_e32 v3, s0
	global_store_dwordx2 v[0:1], v[2:3], off
	s_mov_b64 s[0:1], 0
.LBB332_2977:
	s_mov_b64 s[6:7], 0
.LBB332_2978:
	s_and_b64 vcc, exec, s[6:7]
	s_cbranch_vccz .LBB332_2993
; %bb.2979:
	s_cmp_lt_i32 s23, 27
	s_mov_b64 s[6:7], -1
	s_cbranch_scc1 .LBB332_2985
; %bb.2980:
	s_cmp_gt_i32 s23, 27
	v_cndmask_b32_e64 v2, 0, 1, s[10:11]
	s_cbranch_scc0 .LBB332_2982
; %bb.2981:
	global_store_dword v[0:1], v2, off
	s_mov_b64 s[6:7], 0
.LBB332_2982:
	s_andn2_b64 vcc, exec, s[6:7]
	s_cbranch_vccnz .LBB332_2984
; %bb.2983:
	global_store_short v[0:1], v2, off
.LBB332_2984:
	s_mov_b64 s[6:7], 0
.LBB332_2985:
	s_andn2_b64 vcc, exec, s[6:7]
	s_cbranch_vccnz .LBB332_2993
; %bb.2986:
	v_cndmask_b32_e64 v3, 0, 1.0, s[10:11]
	s_mov_b32 s6, 0x43800000
	v_cmp_gt_u32_e32 vcc, s6, v3
	v_mov_b32_e32 v4, 0x80
	s_and_saveexec_b64 s[6:7], vcc
	s_cbranch_execz .LBB332_2992
; %bb.2987:
	s_mov_b32 s8, 0x3bffffff
	v_cmp_lt_u32_e32 vcc, s8, v3
	s_mov_b64 s[8:9], 0
                                        ; implicit-def: $vgpr2
	s_and_saveexec_b64 s[16:17], vcc
	s_xor_b64 s[16:17], exec, s[16:17]
	s_cbranch_execz .LBB332_3098
; %bb.2988:
	v_bfe_u32 v2, v3, 20, 1
	s_mov_b32 s18, 0x487ffff
	v_add3_u32 v2, v3, v2, s18
	s_mov_b64 s[8:9], exec
	v_lshrrev_b32_e32 v2, 20, v2
                                        ; implicit-def: $vgpr3
	s_andn2_saveexec_b64 s[16:17], s[16:17]
	s_cbranch_execnz .LBB332_3099
.LBB332_2989:
	s_or_b64 exec, exec, s[16:17]
	v_mov_b32_e32 v4, 0
	s_and_saveexec_b64 s[16:17], s[8:9]
.LBB332_2990:
	v_mov_b32_e32 v4, v2
.LBB332_2991:
	s_or_b64 exec, exec, s[16:17]
.LBB332_2992:
	s_or_b64 exec, exec, s[6:7]
	global_store_byte v[0:1], v4, off
.LBB332_2993:
	s_mov_b64 s[6:7], 0
.LBB332_2994:
	s_and_b64 vcc, exec, s[6:7]
	s_cbranch_vccz .LBB332_3034
; %bb.2995:
	s_cmp_gt_i32 s23, 22
	s_mov_b64 s[2:3], -1
	s_cbranch_scc0 .LBB332_3027
; %bb.2996:
	s_cmp_lt_i32 s23, 24
	s_cbranch_scc1 .LBB332_3016
; %bb.2997:
	s_cmp_gt_i32 s23, 24
	s_cbranch_scc0 .LBB332_3005
; %bb.2998:
	v_cndmask_b32_e64 v3, 0, 1.0, s[10:11]
	s_mov_b32 s2, 0x47800000
	v_cmp_gt_u32_e32 vcc, s2, v3
	v_mov_b32_e32 v4, 0x80
	s_and_saveexec_b64 s[2:3], vcc
	s_cbranch_execz .LBB332_3004
; %bb.2999:
	s_mov_b32 s6, 0x37ffffff
	v_cmp_lt_u32_e32 vcc, s6, v3
	s_mov_b64 s[6:7], 0
                                        ; implicit-def: $vgpr2
	s_and_saveexec_b64 s[8:9], vcc
	s_xor_b64 s[8:9], exec, s[8:9]
	s_cbranch_execz .LBB332_3101
; %bb.3000:
	v_bfe_u32 v2, v3, 21, 1
	s_mov_b32 s16, 0x88fffff
	v_add3_u32 v2, v3, v2, s16
	s_mov_b64 s[6:7], exec
	v_lshrrev_b32_e32 v2, 21, v2
                                        ; implicit-def: $vgpr3
	s_andn2_saveexec_b64 s[8:9], s[8:9]
	s_cbranch_execnz .LBB332_3102
.LBB332_3001:
	s_or_b64 exec, exec, s[8:9]
	v_mov_b32_e32 v4, 0
	s_and_saveexec_b64 s[8:9], s[6:7]
.LBB332_3002:
	v_mov_b32_e32 v4, v2
.LBB332_3003:
	s_or_b64 exec, exec, s[8:9]
.LBB332_3004:
	s_or_b64 exec, exec, s[2:3]
	s_mov_b64 s[2:3], 0
	global_store_byte v[0:1], v4, off
.LBB332_3005:
	s_and_b64 vcc, exec, s[2:3]
	s_cbranch_vccz .LBB332_3015
; %bb.3006:
	v_cndmask_b32_e64 v2, 0, 1.0, s[10:11]
	s_mov_b32 s2, 0x43f00000
	v_cmp_gt_u32_e32 vcc, s2, v2
                                        ; implicit-def: $vgpr3
	s_and_saveexec_b64 s[2:3], vcc
	s_xor_b64 s[2:3], exec, s[2:3]
	s_cbranch_execz .LBB332_3012
; %bb.3007:
	s_mov_b32 s6, 0x3c7fffff
	v_cmp_lt_u32_e32 vcc, s6, v2
                                        ; implicit-def: $vgpr3
	s_and_saveexec_b64 s[6:7], vcc
	s_xor_b64 s[6:7], exec, s[6:7]
; %bb.3008:
	v_bfe_u32 v3, v2, 20, 1
	s_mov_b32 s8, 0x407ffff
	v_add3_u32 v2, v2, v3, s8
	v_lshrrev_b32_e32 v3, 20, v2
	v_and_b32_e32 v2, 0xff00000, v2
	s_mov_b32 s8, 0x7f00000
	v_mov_b32_e32 v4, 0x7e
	v_cmp_ne_u32_e32 vcc, s8, v2
	v_cndmask_b32_e32 v3, v4, v3, vcc
                                        ; implicit-def: $vgpr2
; %bb.3009:
	s_andn2_saveexec_b64 s[6:7], s[6:7]
; %bb.3010:
	v_add_f32_e32 v3, 0x46800000, v2
; %bb.3011:
	s_or_b64 exec, exec, s[6:7]
                                        ; implicit-def: $vgpr2
.LBB332_3012:
	s_andn2_saveexec_b64 s[2:3], s[2:3]
; %bb.3013:
	s_mov_b32 s6, 0x7f800000
	v_mov_b32_e32 v3, 0x7e
	v_mov_b32_e32 v4, 0x7f
	v_cmp_lt_u32_e32 vcc, s6, v2
	v_cndmask_b32_e32 v3, v3, v4, vcc
; %bb.3014:
	s_or_b64 exec, exec, s[2:3]
	global_store_byte v[0:1], v3, off
.LBB332_3015:
	s_mov_b64 s[2:3], 0
.LBB332_3016:
	s_andn2_b64 vcc, exec, s[2:3]
	s_cbranch_vccnz .LBB332_3026
; %bb.3017:
	v_cndmask_b32_e64 v2, 0, 1.0, s[10:11]
	s_mov_b32 s2, 0x47800000
	v_cmp_gt_u32_e32 vcc, s2, v2
                                        ; implicit-def: $vgpr3
	s_and_saveexec_b64 s[2:3], vcc
	s_xor_b64 s[2:3], exec, s[2:3]
	s_cbranch_execz .LBB332_3023
; %bb.3018:
	s_mov_b32 s6, 0x387fffff
	v_cmp_lt_u32_e32 vcc, s6, v2
                                        ; implicit-def: $vgpr3
	s_and_saveexec_b64 s[6:7], vcc
	s_xor_b64 s[6:7], exec, s[6:7]
; %bb.3019:
	v_bfe_u32 v3, v2, 21, 1
	s_mov_b32 s8, 0x80fffff
	v_add3_u32 v2, v2, v3, s8
	v_lshrrev_b32_e32 v3, 21, v2
                                        ; implicit-def: $vgpr2
; %bb.3020:
	s_andn2_saveexec_b64 s[6:7], s[6:7]
; %bb.3021:
	v_add_f32_e32 v3, 0x43000000, v2
; %bb.3022:
	s_or_b64 exec, exec, s[6:7]
                                        ; implicit-def: $vgpr2
.LBB332_3023:
	s_andn2_saveexec_b64 s[2:3], s[2:3]
; %bb.3024:
	s_mov_b32 s6, 0x7f800000
	v_mov_b32_e32 v3, 0x7c
	v_mov_b32_e32 v4, 0x7f
	v_cmp_lt_u32_e32 vcc, s6, v2
	v_cndmask_b32_e32 v3, v3, v4, vcc
; %bb.3025:
	s_or_b64 exec, exec, s[2:3]
	global_store_byte v[0:1], v3, off
.LBB332_3026:
	s_mov_b64 s[2:3], 0
.LBB332_3027:
	s_andn2_b64 vcc, exec, s[2:3]
	s_mov_b64 s[2:3], 0
	s_cbranch_vccnz .LBB332_3034
; %bb.3028:
	s_cmp_gt_i32 s23, 14
	s_mov_b64 s[6:7], -1
	s_cbranch_scc0 .LBB332_3032
; %bb.3029:
	s_cmp_eq_u32 s23, 15
	s_mov_b64 s[0:1], -1
	s_cbranch_scc0 .LBB332_3031
; %bb.3030:
	v_cndmask_b32_e64 v2, 0, 1.0, s[10:11]
	v_bfe_u32 v3, v2, 16, 1
	s_movk_i32 s0, 0x7fff
	v_add3_u32 v2, v2, v3, s0
	global_store_short_d16_hi v[0:1], v2, off
	s_mov_b64 s[0:1], 0
.LBB332_3031:
	s_mov_b64 s[6:7], 0
.LBB332_3032:
	s_and_b64 vcc, exec, s[6:7]
	s_cbranch_vccz .LBB332_3034
; %bb.3033:
	s_cmp_lg_u32 s23, 11
	s_mov_b64 s[2:3], -1
	s_cselect_b64 s[0:1], -1, 0
.LBB332_3034:
	s_and_b64 vcc, exec, s[0:1]
	s_cbranch_vccnz .LBB332_3100
.LBB332_3035:
	s_mov_b64 s[0:1], 0
	s_branch .LBB332_3037
.LBB332_3036:
	s_mov_b64 s[0:1], 0
	s_mov_b64 s[2:3], 0
                                        ; implicit-def: $sgpr10_sgpr11
                                        ; implicit-def: $vgpr0_vgpr1
                                        ; implicit-def: $sgpr22
.LBB332_3037:
	s_and_b64 s[6:7], s[2:3], exec
	s_andn2_b64 s[2:3], s[12:13], exec
	s_and_b64 s[4:5], s[4:5], exec
	s_and_b64 s[0:1], s[0:1], exec
	s_or_b64 s[12:13], s[2:3], s[4:5]
.LBB332_3038:
	s_or_b64 exec, exec, s[14:15]
	s_and_saveexec_b64 s[2:3], s[12:13]
	s_cbranch_execz .LBB332_3041
; %bb.3039:
	; divergent unreachable
	s_or_b64 exec, exec, s[2:3]
	s_and_saveexec_b64 s[2:3], s[6:7]
	s_xor_b64 s[2:3], exec, s[2:3]
	s_cbranch_execnz .LBB332_3042
.LBB332_3040:
	s_or_b64 exec, exec, s[2:3]
	s_and_saveexec_b64 s[2:3], s[0:1]
	s_cbranch_execnz .LBB332_3043
	s_branch .LBB332_3080
.LBB332_3041:
	s_or_b64 exec, exec, s[2:3]
	s_and_saveexec_b64 s[2:3], s[6:7]
	s_xor_b64 s[2:3], exec, s[2:3]
	s_cbranch_execz .LBB332_3040
.LBB332_3042:
	s_waitcnt vmcnt(0)
	v_cndmask_b32_e64 v2, 0, 1, s[10:11]
	global_store_byte v[0:1], v2, off
	s_or_b64 exec, exec, s[2:3]
	s_and_saveexec_b64 s[2:3], s[0:1]
	s_cbranch_execz .LBB332_3080
.LBB332_3043:
	s_sext_i32_i16 s2, s22
	s_cmp_lt_i32 s2, 5
	s_mov_b64 s[0:1], -1
	s_cbranch_scc1 .LBB332_3064
; %bb.3044:
	s_cmp_lt_i32 s2, 8
	s_cbranch_scc1 .LBB332_3054
; %bb.3045:
	s_cmp_lt_i32 s2, 9
	s_cbranch_scc1 .LBB332_3051
; %bb.3046:
	s_cmp_gt_i32 s2, 9
	s_cbranch_scc0 .LBB332_3048
; %bb.3047:
	s_waitcnt vmcnt(0)
	v_cndmask_b32_e64 v2, 0, 1, s[10:11]
	v_cvt_f64_u32_e32 v[2:3], v2
	v_mov_b32_e32 v4, 0
	v_mov_b32_e32 v5, v4
	s_mov_b64 s[0:1], 0
	global_store_dwordx4 v[0:1], v[2:5], off
.LBB332_3048:
	s_andn2_b64 vcc, exec, s[0:1]
	s_cbranch_vccnz .LBB332_3050
; %bb.3049:
	s_waitcnt vmcnt(0)
	v_cndmask_b32_e64 v2, 0, 1.0, s[10:11]
	v_mov_b32_e32 v3, 0
	global_store_dwordx2 v[0:1], v[2:3], off
.LBB332_3050:
	s_mov_b64 s[0:1], 0
.LBB332_3051:
	s_andn2_b64 vcc, exec, s[0:1]
	s_cbranch_vccnz .LBB332_3053
; %bb.3052:
	s_waitcnt vmcnt(0)
	v_cndmask_b32_e64 v2, 0, 1.0, s[10:11]
	v_cvt_f16_f32_e32 v2, v2
	global_store_dword v[0:1], v2, off
.LBB332_3053:
	s_mov_b64 s[0:1], 0
.LBB332_3054:
	s_andn2_b64 vcc, exec, s[0:1]
	s_cbranch_vccnz .LBB332_3063
; %bb.3055:
	s_sext_i32_i16 s2, s22
	s_cmp_lt_i32 s2, 6
	s_mov_b64 s[0:1], -1
	s_cbranch_scc1 .LBB332_3061
; %bb.3056:
	s_cmp_gt_i32 s2, 6
	s_cbranch_scc0 .LBB332_3058
; %bb.3057:
	s_waitcnt vmcnt(0)
	v_cndmask_b32_e64 v2, 0, 1, s[10:11]
	v_cvt_f64_u32_e32 v[2:3], v2
	s_mov_b64 s[0:1], 0
	global_store_dwordx2 v[0:1], v[2:3], off
.LBB332_3058:
	s_andn2_b64 vcc, exec, s[0:1]
	s_cbranch_vccnz .LBB332_3060
; %bb.3059:
	s_waitcnt vmcnt(0)
	v_cndmask_b32_e64 v2, 0, 1.0, s[10:11]
	global_store_dword v[0:1], v2, off
.LBB332_3060:
	s_mov_b64 s[0:1], 0
.LBB332_3061:
	s_andn2_b64 vcc, exec, s[0:1]
	s_cbranch_vccnz .LBB332_3063
; %bb.3062:
	s_waitcnt vmcnt(0)
	v_cndmask_b32_e64 v2, 0, 1.0, s[10:11]
	v_cvt_f16_f32_e32 v2, v2
	global_store_short v[0:1], v2, off
.LBB332_3063:
	s_mov_b64 s[0:1], 0
.LBB332_3064:
	s_andn2_b64 vcc, exec, s[0:1]
	s_cbranch_vccnz .LBB332_3080
; %bb.3065:
	s_sext_i32_i16 s2, s22
	s_cmp_lt_i32 s2, 2
	s_mov_b64 s[0:1], -1
	s_cbranch_scc1 .LBB332_3075
; %bb.3066:
	s_cmp_lt_i32 s2, 3
	s_cbranch_scc1 .LBB332_3072
; %bb.3067:
	s_cmp_gt_i32 s2, 3
	s_cbranch_scc0 .LBB332_3069
; %bb.3068:
	s_mov_b32 s0, 0
	s_waitcnt vmcnt(0)
	v_cndmask_b32_e64 v2, 0, 1, s[10:11]
	v_mov_b32_e32 v3, s0
	global_store_dwordx2 v[0:1], v[2:3], off
	s_mov_b64 s[0:1], 0
.LBB332_3069:
	s_andn2_b64 vcc, exec, s[0:1]
	s_cbranch_vccnz .LBB332_3071
; %bb.3070:
	s_waitcnt vmcnt(0)
	v_cndmask_b32_e64 v2, 0, 1, s[10:11]
	global_store_dword v[0:1], v2, off
.LBB332_3071:
	s_mov_b64 s[0:1], 0
.LBB332_3072:
	s_andn2_b64 vcc, exec, s[0:1]
	s_cbranch_vccnz .LBB332_3074
; %bb.3073:
	s_waitcnt vmcnt(0)
	v_cndmask_b32_e64 v2, 0, 1, s[10:11]
	global_store_short v[0:1], v2, off
.LBB332_3074:
	s_mov_b64 s[0:1], 0
.LBB332_3075:
	s_andn2_b64 vcc, exec, s[0:1]
	s_cbranch_vccnz .LBB332_3080
; %bb.3076:
	s_sext_i32_i16 s0, s22
	s_cmp_gt_i32 s0, 0
	s_mov_b64 s[0:1], -1
	s_cbranch_scc0 .LBB332_3078
; %bb.3077:
	s_waitcnt vmcnt(0)
	v_cndmask_b32_e64 v2, 0, 1, s[10:11]
	global_store_byte v[0:1], v2, off
	s_mov_b64 s[0:1], 0
.LBB332_3078:
	s_andn2_b64 vcc, exec, s[0:1]
	s_cbranch_vccnz .LBB332_3080
; %bb.3079:
	s_waitcnt vmcnt(0)
	v_cndmask_b32_e64 v2, 0, 1, s[10:11]
	global_store_byte v[0:1], v2, off
	s_endpgm
.LBB332_3080:
	s_endpgm
.LBB332_3081:
	s_mov_b64 s[2:3], 0
	s_mov_b64 s[0:1], -1
	s_branch .LBB332_3037
.LBB332_3082:
	s_trap 2
	s_or_b64 s[4:5], s[4:5], exec
	s_cbranch_execz .LBB332_2551
	s_branch .LBB332_2552
.LBB332_3083:
	s_andn2_saveexec_b64 s[20:21], s[20:21]
	s_cbranch_execz .LBB332_2631
.LBB332_3084:
	v_add_f32_e32 v1, 0x46000000, v3
	v_and_b32_e32 v1, 0xff, v1
	v_cmp_ne_u32_e32 vcc, 0, v1
	s_andn2_b64 s[18:19], s[18:19], exec
	s_and_b64 s[24:25], vcc, exec
	s_or_b64 s[18:19], s[18:19], s[24:25]
	s_or_b64 exec, exec, s[20:21]
	v_mov_b32_e32 v7, 0
	s_and_saveexec_b64 s[20:21], s[18:19]
	s_cbranch_execnz .LBB332_2632
	s_branch .LBB332_2633
.LBB332_3085:
	s_trap 2
	s_or_b64 s[4:5], s[4:5], exec
	s_cbranch_execz .LBB332_2679
	s_branch .LBB332_2680
.LBB332_3086:
	s_andn2_saveexec_b64 s[18:19], s[18:19]
	s_cbranch_execz .LBB332_2644
.LBB332_3087:
	v_add_f32_e32 v1, 0x42800000, v3
	v_and_b32_e32 v1, 0xff, v1
	v_cmp_ne_u32_e32 vcc, 0, v1
	s_andn2_b64 s[16:17], s[16:17], exec
	s_and_b64 s[20:21], vcc, exec
	s_or_b64 s[16:17], s[16:17], s[20:21]
	s_or_b64 exec, exec, s[18:19]
	v_mov_b32_e32 v7, 0
	s_and_saveexec_b64 s[18:19], s[16:17]
	s_cbranch_execnz .LBB332_2645
	s_branch .LBB332_2646
.LBB332_3088:
	s_andn2_saveexec_b64 s[20:21], s[20:21]
	s_cbranch_execz .LBB332_2750
.LBB332_3089:
	v_add_f32_e32 v1, 0x46000000, v5
	v_and_b32_e32 v1, 0xff, v1
	v_cmp_ne_u32_e32 vcc, 0, v1
	s_andn2_b64 s[18:19], s[18:19], exec
	s_and_b64 s[24:25], vcc, exec
	s_or_b64 s[18:19], s[18:19], s[24:25]
	s_or_b64 exec, exec, s[20:21]
	v_mov_b32_e32 v6, 0
	s_and_saveexec_b64 s[20:21], s[18:19]
	s_cbranch_execnz .LBB332_2751
	s_branch .LBB332_2752
.LBB332_3090:
	s_trap 2
	s_or_b64 s[4:5], s[4:5], exec
	s_cbranch_execz .LBB332_2798
	s_branch .LBB332_2799
.LBB332_3091:
	s_andn2_saveexec_b64 s[18:19], s[18:19]
	s_cbranch_execz .LBB332_2763
.LBB332_3092:
	v_add_f32_e32 v1, 0x42800000, v5
	v_and_b32_e32 v1, 0xff, v1
	v_cmp_ne_u32_e32 vcc, 0, v1
	s_andn2_b64 s[16:17], s[16:17], exec
	s_and_b64 s[20:21], vcc, exec
	s_or_b64 s[16:17], s[16:17], s[20:21]
	s_or_b64 exec, exec, s[18:19]
	v_mov_b32_e32 v6, 0
	s_and_saveexec_b64 s[18:19], s[16:17]
	s_cbranch_execnz .LBB332_2764
	s_branch .LBB332_2765
.LBB332_3093:
	s_andn2_saveexec_b64 s[20:21], s[20:21]
	s_cbranch_execz .LBB332_2869
.LBB332_3094:
	v_add_f32_e32 v3, 0x46000000, v4
	v_and_b32_e32 v3, 0xff, v3
	v_cmp_ne_u32_e32 vcc, 0, v3
	s_andn2_b64 s[18:19], s[18:19], exec
	s_and_b64 s[24:25], vcc, exec
	s_or_b64 s[18:19], s[18:19], s[24:25]
	s_or_b64 exec, exec, s[20:21]
	v_mov_b32_e32 v5, 0
	s_and_saveexec_b64 s[20:21], s[18:19]
	s_cbranch_execnz .LBB332_2870
	s_branch .LBB332_2871
.LBB332_3095:
	s_trap 2
	s_or_b64 s[4:5], s[4:5], exec
	s_cbranch_execz .LBB332_2917
	s_branch .LBB332_2918
.LBB332_3096:
	s_andn2_saveexec_b64 s[18:19], s[18:19]
	s_cbranch_execz .LBB332_2882
.LBB332_3097:
	v_add_f32_e32 v3, 0x42800000, v4
	v_and_b32_e32 v3, 0xff, v3
	v_cmp_ne_u32_e32 vcc, 0, v3
	s_andn2_b64 s[16:17], s[16:17], exec
	s_and_b64 s[20:21], vcc, exec
	s_or_b64 s[16:17], s[16:17], s[20:21]
	s_or_b64 exec, exec, s[18:19]
	v_mov_b32_e32 v5, 0
	s_and_saveexec_b64 s[18:19], s[16:17]
	s_cbranch_execnz .LBB332_2883
	s_branch .LBB332_2884
.LBB332_3098:
	s_andn2_saveexec_b64 s[16:17], s[16:17]
	s_cbranch_execz .LBB332_2989
.LBB332_3099:
	v_add_f32_e32 v2, 0x46000000, v3
	v_and_b32_e32 v2, 0xff, v2
	v_cmp_ne_u32_e32 vcc, 0, v2
	s_andn2_b64 s[8:9], s[8:9], exec
	s_and_b64 s[18:19], vcc, exec
	s_or_b64 s[8:9], s[8:9], s[18:19]
	s_or_b64 exec, exec, s[16:17]
	v_mov_b32_e32 v4, 0
	s_and_saveexec_b64 s[16:17], s[8:9]
	s_cbranch_execnz .LBB332_2990
	s_branch .LBB332_2991
.LBB332_3100:
	s_mov_b64 s[2:3], 0
	s_or_b64 s[4:5], s[4:5], exec
	s_trap 2
	s_branch .LBB332_3035
.LBB332_3101:
	s_andn2_saveexec_b64 s[8:9], s[8:9]
	s_cbranch_execz .LBB332_3001
.LBB332_3102:
	v_add_f32_e32 v2, 0x42800000, v3
	v_and_b32_e32 v2, 0xff, v2
	v_cmp_ne_u32_e32 vcc, 0, v2
	s_andn2_b64 s[6:7], s[6:7], exec
	s_and_b64 s[16:17], vcc, exec
	s_or_b64 s[6:7], s[6:7], s[16:17]
	s_or_b64 exec, exec, s[8:9]
	v_mov_b32_e32 v4, 0
	s_and_saveexec_b64 s[8:9], s[6:7]
	s_cbranch_execnz .LBB332_3002
	s_branch .LBB332_3003
	.section	.rodata,"a",@progbits
	.p2align	6, 0x0
	.amdhsa_kernel _ZN2at6native32elementwise_kernel_manual_unrollILi128ELi4EZNS0_15gpu_kernel_implINS0_13BinaryFunctorIttbNS0_12_GLOBAL__N_116CompareEqFunctorItEEEEEEvRNS_18TensorIteratorBaseERKT_EUlibE0_EEviT1_
		.amdhsa_group_segment_fixed_size 0
		.amdhsa_private_segment_fixed_size 0
		.amdhsa_kernarg_size 432
		.amdhsa_user_sgpr_count 6
		.amdhsa_user_sgpr_private_segment_buffer 1
		.amdhsa_user_sgpr_dispatch_ptr 0
		.amdhsa_user_sgpr_queue_ptr 0
		.amdhsa_user_sgpr_kernarg_segment_ptr 1
		.amdhsa_user_sgpr_dispatch_id 0
		.amdhsa_user_sgpr_flat_scratch_init 0
		.amdhsa_user_sgpr_private_segment_size 0
		.amdhsa_uses_dynamic_stack 0
		.amdhsa_system_sgpr_private_segment_wavefront_offset 0
		.amdhsa_system_sgpr_workgroup_id_x 1
		.amdhsa_system_sgpr_workgroup_id_y 0
		.amdhsa_system_sgpr_workgroup_id_z 0
		.amdhsa_system_sgpr_workgroup_info 0
		.amdhsa_system_vgpr_workitem_id 0
		.amdhsa_next_free_vgpr 23
		.amdhsa_next_free_sgpr 80
		.amdhsa_reserve_vcc 1
		.amdhsa_reserve_flat_scratch 0
		.amdhsa_float_round_mode_32 0
		.amdhsa_float_round_mode_16_64 0
		.amdhsa_float_denorm_mode_32 3
		.amdhsa_float_denorm_mode_16_64 3
		.amdhsa_dx10_clamp 1
		.amdhsa_ieee_mode 1
		.amdhsa_fp16_overflow 0
		.amdhsa_exception_fp_ieee_invalid_op 0
		.amdhsa_exception_fp_denorm_src 0
		.amdhsa_exception_fp_ieee_div_zero 0
		.amdhsa_exception_fp_ieee_overflow 0
		.amdhsa_exception_fp_ieee_underflow 0
		.amdhsa_exception_fp_ieee_inexact 0
		.amdhsa_exception_int_div_zero 0
	.end_amdhsa_kernel
	.section	.text._ZN2at6native32elementwise_kernel_manual_unrollILi128ELi4EZNS0_15gpu_kernel_implINS0_13BinaryFunctorIttbNS0_12_GLOBAL__N_116CompareEqFunctorItEEEEEEvRNS_18TensorIteratorBaseERKT_EUlibE0_EEviT1_,"axG",@progbits,_ZN2at6native32elementwise_kernel_manual_unrollILi128ELi4EZNS0_15gpu_kernel_implINS0_13BinaryFunctorIttbNS0_12_GLOBAL__N_116CompareEqFunctorItEEEEEEvRNS_18TensorIteratorBaseERKT_EUlibE0_EEviT1_,comdat
.Lfunc_end332:
	.size	_ZN2at6native32elementwise_kernel_manual_unrollILi128ELi4EZNS0_15gpu_kernel_implINS0_13BinaryFunctorIttbNS0_12_GLOBAL__N_116CompareEqFunctorItEEEEEEvRNS_18TensorIteratorBaseERKT_EUlibE0_EEviT1_, .Lfunc_end332-_ZN2at6native32elementwise_kernel_manual_unrollILi128ELi4EZNS0_15gpu_kernel_implINS0_13BinaryFunctorIttbNS0_12_GLOBAL__N_116CompareEqFunctorItEEEEEEvRNS_18TensorIteratorBaseERKT_EUlibE0_EEviT1_
                                        ; -- End function
	.set _ZN2at6native32elementwise_kernel_manual_unrollILi128ELi4EZNS0_15gpu_kernel_implINS0_13BinaryFunctorIttbNS0_12_GLOBAL__N_116CompareEqFunctorItEEEEEEvRNS_18TensorIteratorBaseERKT_EUlibE0_EEviT1_.num_vgpr, 23
	.set _ZN2at6native32elementwise_kernel_manual_unrollILi128ELi4EZNS0_15gpu_kernel_implINS0_13BinaryFunctorIttbNS0_12_GLOBAL__N_116CompareEqFunctorItEEEEEEvRNS_18TensorIteratorBaseERKT_EUlibE0_EEviT1_.num_agpr, 0
	.set _ZN2at6native32elementwise_kernel_manual_unrollILi128ELi4EZNS0_15gpu_kernel_implINS0_13BinaryFunctorIttbNS0_12_GLOBAL__N_116CompareEqFunctorItEEEEEEvRNS_18TensorIteratorBaseERKT_EUlibE0_EEviT1_.numbered_sgpr, 80
	.set _ZN2at6native32elementwise_kernel_manual_unrollILi128ELi4EZNS0_15gpu_kernel_implINS0_13BinaryFunctorIttbNS0_12_GLOBAL__N_116CompareEqFunctorItEEEEEEvRNS_18TensorIteratorBaseERKT_EUlibE0_EEviT1_.num_named_barrier, 0
	.set _ZN2at6native32elementwise_kernel_manual_unrollILi128ELi4EZNS0_15gpu_kernel_implINS0_13BinaryFunctorIttbNS0_12_GLOBAL__N_116CompareEqFunctorItEEEEEEvRNS_18TensorIteratorBaseERKT_EUlibE0_EEviT1_.private_seg_size, 0
	.set _ZN2at6native32elementwise_kernel_manual_unrollILi128ELi4EZNS0_15gpu_kernel_implINS0_13BinaryFunctorIttbNS0_12_GLOBAL__N_116CompareEqFunctorItEEEEEEvRNS_18TensorIteratorBaseERKT_EUlibE0_EEviT1_.uses_vcc, 1
	.set _ZN2at6native32elementwise_kernel_manual_unrollILi128ELi4EZNS0_15gpu_kernel_implINS0_13BinaryFunctorIttbNS0_12_GLOBAL__N_116CompareEqFunctorItEEEEEEvRNS_18TensorIteratorBaseERKT_EUlibE0_EEviT1_.uses_flat_scratch, 0
	.set _ZN2at6native32elementwise_kernel_manual_unrollILi128ELi4EZNS0_15gpu_kernel_implINS0_13BinaryFunctorIttbNS0_12_GLOBAL__N_116CompareEqFunctorItEEEEEEvRNS_18TensorIteratorBaseERKT_EUlibE0_EEviT1_.has_dyn_sized_stack, 0
	.set _ZN2at6native32elementwise_kernel_manual_unrollILi128ELi4EZNS0_15gpu_kernel_implINS0_13BinaryFunctorIttbNS0_12_GLOBAL__N_116CompareEqFunctorItEEEEEEvRNS_18TensorIteratorBaseERKT_EUlibE0_EEviT1_.has_recursion, 0
	.set _ZN2at6native32elementwise_kernel_manual_unrollILi128ELi4EZNS0_15gpu_kernel_implINS0_13BinaryFunctorIttbNS0_12_GLOBAL__N_116CompareEqFunctorItEEEEEEvRNS_18TensorIteratorBaseERKT_EUlibE0_EEviT1_.has_indirect_call, 0
	.section	.AMDGPU.csdata,"",@progbits
; Kernel info:
; codeLenInByte = 47588
; TotalNumSgprs: 84
; NumVgprs: 23
; ScratchSize: 0
; MemoryBound: 1
; FloatMode: 240
; IeeeMode: 1
; LDSByteSize: 0 bytes/workgroup (compile time only)
; SGPRBlocks: 10
; VGPRBlocks: 5
; NumSGPRsForWavesPerEU: 84
; NumVGPRsForWavesPerEU: 23
; Occupancy: 9
; WaveLimiterHint : 1
; COMPUTE_PGM_RSRC2:SCRATCH_EN: 0
; COMPUTE_PGM_RSRC2:USER_SGPR: 6
; COMPUTE_PGM_RSRC2:TRAP_HANDLER: 0
; COMPUTE_PGM_RSRC2:TGID_X_EN: 1
; COMPUTE_PGM_RSRC2:TGID_Y_EN: 0
; COMPUTE_PGM_RSRC2:TGID_Z_EN: 0
; COMPUTE_PGM_RSRC2:TIDIG_COMP_CNT: 0
	.section	.text._ZN2at6native29vectorized_elementwise_kernelILi16ENS0_13AUnaryFunctorIttbNS0_12_GLOBAL__N_116CompareEqFunctorItEEEESt5arrayIPcLm2EEEEviT0_T1_,"axG",@progbits,_ZN2at6native29vectorized_elementwise_kernelILi16ENS0_13AUnaryFunctorIttbNS0_12_GLOBAL__N_116CompareEqFunctorItEEEESt5arrayIPcLm2EEEEviT0_T1_,comdat
	.globl	_ZN2at6native29vectorized_elementwise_kernelILi16ENS0_13AUnaryFunctorIttbNS0_12_GLOBAL__N_116CompareEqFunctorItEEEESt5arrayIPcLm2EEEEviT0_T1_ ; -- Begin function _ZN2at6native29vectorized_elementwise_kernelILi16ENS0_13AUnaryFunctorIttbNS0_12_GLOBAL__N_116CompareEqFunctorItEEEESt5arrayIPcLm2EEEEviT0_T1_
	.p2align	8
	.type	_ZN2at6native29vectorized_elementwise_kernelILi16ENS0_13AUnaryFunctorIttbNS0_12_GLOBAL__N_116CompareEqFunctorItEEEESt5arrayIPcLm2EEEEviT0_T1_,@function
_ZN2at6native29vectorized_elementwise_kernelILi16ENS0_13AUnaryFunctorIttbNS0_12_GLOBAL__N_116CompareEqFunctorItEEEESt5arrayIPcLm2EEEEviT0_T1_: ; @_ZN2at6native29vectorized_elementwise_kernelILi16ENS0_13AUnaryFunctorIttbNS0_12_GLOBAL__N_116CompareEqFunctorItEEEESt5arrayIPcLm2EEEEviT0_T1_
; %bb.0:
	s_load_dwordx8 s[16:23], s[4:5], 0x0
	s_lshl_b32 s14, s6, 12
	s_mov_b64 s[0:1], -1
	s_waitcnt lgkmcnt(0)
	s_sub_i32 s16, s16, s14
	s_cmpk_gt_i32 s16, 0xfff
	s_cbranch_scc0 .LBB333_2
; %bb.1:
	s_ashr_i32 s15, s14, 31
	s_lshl_b64 s[0:1], s[14:15], 1
	s_add_u32 s0, s22, s0
	s_addc_u32 s1, s23, s1
	v_lshlrev_b32_e32 v9, 5, v0
	global_load_dwordx4 v[1:4], v9, s[0:1]
	global_load_dwordx4 v[5:8], v9, s[0:1] offset:16
	s_cmp_eq_u32 s17, 0
	s_cselect_b64 s[24:25], -1, 0
	v_lshlrev_b32_e32 v9, 4, v0
	s_waitcnt vmcnt(1)
	v_cmp_ne_u16_e64 s[0:1], s18, v2
	v_cmp_ne_u16_sdwa s[28:29], v2, s18 src0_sel:WORD_1 src1_sel:DWORD
	s_xor_b64 s[0:1], s[24:25], s[0:1]
	v_cmp_ne_u16_e64 s[2:3], s18, v3
	v_cmp_ne_u16_sdwa s[30:31], v3, s18 src0_sel:WORD_1 src1_sel:DWORD
	v_cndmask_b32_e64 v3, 0, 1, s[0:1]
	s_xor_b64 s[0:1], s[24:25], s[28:29]
	v_cmp_ne_u16_e64 s[4:5], s18, v4
	v_cmp_ne_u16_sdwa s[34:35], v4, s18 src0_sel:WORD_1 src1_sel:DWORD
	v_cndmask_b32_e64 v4, 0, 1, s[0:1]
	s_xor_b64 s[0:1], s[24:25], s[2:3]
	s_waitcnt vmcnt(0)
	v_cmp_ne_u16_e64 s[6:7], s18, v5
	v_cmp_ne_u16_sdwa s[36:37], v5, s18 src0_sel:WORD_1 src1_sel:DWORD
	v_cndmask_b32_e64 v5, 0, 1, s[0:1]
	s_xor_b64 s[0:1], s[24:25], s[30:31]
	v_cmp_ne_u16_e64 s[8:9], s18, v6
	v_cmp_ne_u16_sdwa s[38:39], v6, s18 src0_sel:WORD_1 src1_sel:DWORD
	v_cndmask_b32_e64 v6, 0, 1, s[0:1]
	s_xor_b64 s[0:1], s[24:25], s[4:5]
	;; [unrolled: 4-line block ×4, first 2 shown]
	v_cndmask_b32_e64 v10, 0, 1, s[0:1]
	s_xor_b64 s[0:1], s[24:25], s[36:37]
	v_cndmask_b32_e64 v11, 0, 1, s[0:1]
	s_xor_b64 s[0:1], s[24:25], s[8:9]
	v_cndmask_b32_e64 v12, 0, 1, s[0:1]
	s_xor_b64 s[0:1], s[24:25], s[38:39]
	v_cndmask_b32_e64 v13, 0, 1, s[0:1]
	s_xor_b64 s[0:1], s[24:25], s[10:11]
	v_cndmask_b32_e64 v14, 0, 1, s[0:1]
	s_xor_b64 s[0:1], s[24:25], s[40:41]
	v_cmp_ne_u16_sdwa s[26:27], v1, s18 src0_sel:WORD_1 src1_sel:DWORD
	v_cndmask_b32_e64 v15, 0, 1, s[0:1]
	s_xor_b64 s[0:1], s[24:25], s[12:13]
	v_cmp_ne_u16_e32 vcc, s18, v1
	s_xor_b64 s[26:27], s[24:25], s[26:27]
	v_cndmask_b32_e64 v16, 0, 1, s[0:1]
	s_xor_b64 s[0:1], s[24:25], s[42:43]
	s_xor_b64 s[44:45], s[24:25], vcc
	v_cndmask_b32_e64 v2, 0, 1, s[26:27]
	v_cndmask_b32_e64 v17, 0, 1, s[0:1]
	;; [unrolled: 1-line block ×3, first 2 shown]
	v_lshlrev_b16_e32 v15, 8, v15
	v_lshlrev_b16_e32 v17, 8, v17
	;; [unrolled: 1-line block ×8, first 2 shown]
	s_add_u32 s0, s20, s14
	v_or_b32_e32 v14, v14, v15
	v_or_b32_sdwa v15, v16, v17 dst_sel:WORD_1 dst_unused:UNUSED_PAD src0_sel:DWORD src1_sel:DWORD
	v_or_b32_e32 v10, v10, v11
	v_or_b32_sdwa v11, v12, v13 dst_sel:WORD_1 dst_unused:UNUSED_PAD src0_sel:DWORD src1_sel:DWORD
	;; [unrolled: 2-line block ×4, first 2 shown]
	s_addc_u32 s1, s21, s15
	v_or_b32_sdwa v4, v14, v15 dst_sel:DWORD dst_unused:UNUSED_PAD src0_sel:WORD_0 src1_sel:DWORD
	v_or_b32_sdwa v3, v10, v11 dst_sel:DWORD dst_unused:UNUSED_PAD src0_sel:WORD_0 src1_sel:DWORD
	;; [unrolled: 1-line block ×4, first 2 shown]
	global_store_dwordx4 v9, v[1:4], s[0:1]
	s_mov_b64 s[0:1], 0
.LBB333_2:
	s_andn2_b64 vcc, exec, s[0:1]
	s_cbranch_vccnz .LBB333_52
; %bb.3:
	v_cmp_gt_i32_e32 vcc, s16, v0
	v_mov_b32_e32 v3, 0
	v_or_b32_e32 v1, s14, v0
	v_mov_b32_e32 v2, 0
	v_mov_b32_e32 v4, v0
	s_and_saveexec_b64 s[2:3], vcc
	s_cbranch_execz .LBB333_5
; %bb.4:
	v_mov_b32_e32 v2, 0
	v_lshlrev_b64 v[4:5], 1, v[1:2]
	v_mov_b32_e32 v2, s23
	v_add_co_u32_e64 v4, s[0:1], s22, v4
	v_addc_co_u32_e64 v5, s[0:1], v2, v5, s[0:1]
	global_load_ushort v2, v[4:5], off
	v_or_b32_e32 v4, 0x100, v0
.LBB333_5:
	s_or_b64 exec, exec, s[2:3]
	v_cmp_gt_i32_e64 s[0:1], s16, v4
	s_and_saveexec_b64 s[2:3], s[0:1]
	s_cbranch_execz .LBB333_7
; %bb.6:
	v_add_u32_e32 v5, s14, v4
	v_mov_b32_e32 v6, 0
	v_lshlrev_b64 v[5:6], 1, v[5:6]
	v_mov_b32_e32 v3, s23
	v_add_co_u32_e64 v5, s[0:1], s22, v5
	v_addc_co_u32_e64 v6, s[0:1], v3, v6, s[0:1]
	global_load_ushort v3, v[5:6], off
	v_add_u32_e32 v4, 0x100, v4
.LBB333_7:
	s_or_b64 exec, exec, s[2:3]
	v_cmp_gt_i32_e64 s[0:1], s16, v4
	v_mov_b32_e32 v5, 0
	v_mov_b32_e32 v6, 0
	s_and_saveexec_b64 s[2:3], s[0:1]
	s_cbranch_execz .LBB333_9
; %bb.8:
	v_add_u32_e32 v6, s14, v4
	v_mov_b32_e32 v7, 0
	v_lshlrev_b64 v[6:7], 1, v[6:7]
	v_mov_b32_e32 v8, s23
	v_add_co_u32_e64 v6, s[0:1], s22, v6
	v_addc_co_u32_e64 v7, s[0:1], v8, v7, s[0:1]
	global_load_ushort v6, v[6:7], off
	v_add_u32_e32 v4, 0x100, v4
.LBB333_9:
	s_or_b64 exec, exec, s[2:3]
	v_cmp_gt_i32_e64 s[0:1], s16, v4
	s_and_saveexec_b64 s[2:3], s[0:1]
	s_cbranch_execz .LBB333_11
; %bb.10:
	v_add_u32_e32 v7, s14, v4
	v_mov_b32_e32 v8, 0
	v_lshlrev_b64 v[7:8], 1, v[7:8]
	v_mov_b32_e32 v5, s23
	v_add_co_u32_e64 v7, s[0:1], s22, v7
	v_addc_co_u32_e64 v8, s[0:1], v5, v8, s[0:1]
	global_load_ushort v5, v[7:8], off
	v_add_u32_e32 v4, 0x100, v4
.LBB333_11:
	s_or_b64 exec, exec, s[2:3]
	v_cmp_gt_i32_e64 s[0:1], s16, v4
	v_mov_b32_e32 v7, 0
	v_mov_b32_e32 v8, 0
	s_and_saveexec_b64 s[2:3], s[0:1]
	s_cbranch_execz .LBB333_13
; %bb.12:
	v_add_u32_e32 v8, s14, v4
	v_mov_b32_e32 v9, 0
	v_lshlrev_b64 v[8:9], 1, v[8:9]
	v_mov_b32_e32 v10, s23
	v_add_co_u32_e64 v8, s[0:1], s22, v8
	v_addc_co_u32_e64 v9, s[0:1], v10, v9, s[0:1]
	global_load_ushort v8, v[8:9], off
	v_add_u32_e32 v4, 0x100, v4
.LBB333_13:
	;; [unrolled: 30-line block ×7, first 2 shown]
	s_or_b64 exec, exec, s[2:3]
	v_cmp_gt_i32_e64 s[0:1], s16, v4
	s_and_saveexec_b64 s[2:3], s[0:1]
	s_cbranch_execz .LBB333_35
; %bb.34:
	v_add_u32_e32 v19, s14, v4
	v_mov_b32_e32 v20, 0
	v_lshlrev_b64 v[19:20], 1, v[19:20]
	v_mov_b32_e32 v4, s23
	v_add_co_u32_e64 v19, s[0:1], s22, v19
	v_addc_co_u32_e64 v20, s[0:1], v4, v20, s[0:1]
	global_load_ushort v17, v[19:20], off
.LBB333_35:
	s_or_b64 exec, exec, s[2:3]
	s_cmp_eq_u32 s17, 0
	s_cselect_b64 s[2:3], -1, 0
	s_waitcnt vmcnt(0)
	v_cmp_ne_u16_e64 s[0:1], s18, v2
	s_xor_b64 s[0:1], s[2:3], s[0:1]
	v_cndmask_b32_e64 v2, 0, 1, s[0:1]
	v_cmp_ne_u16_e64 s[0:1], s18, v3
	s_xor_b64 s[0:1], s[2:3], s[0:1]
	v_cndmask_b32_e64 v3, 0, 1, s[0:1]
	v_cndmask_b32_e32 v2, 0, v2, vcc
	v_lshlrev_b16_e32 v3, 8, v3
	v_or_b32_e32 v19, 0x100, v0
	v_or_b32_e32 v3, v2, v3
	v_and_b32_e32 v3, 0xffff, v3
	v_cmp_gt_i32_e64 s[0:1], s16, v19
	v_cndmask_b32_e64 v2, v2, v3, s[0:1]
	v_cmp_ne_u16_e64 s[0:1], s18, v6
	s_xor_b64 s[0:1], s[2:3], s[0:1]
	v_or_b32_e32 v3, 0x200, v0
	v_cndmask_b32_e64 v4, 0, 1, s[0:1]
	v_lshl_or_b32 v4, v4, 16, v2
	v_cmp_gt_i32_e64 s[0:1], s16, v3
	v_cndmask_b32_e64 v2, v2, v4, s[0:1]
	v_cmp_ne_u16_e64 s[0:1], s18, v5
	s_xor_b64 s[0:1], s[2:3], s[0:1]
	s_movk_i32 s5, 0xff
	v_cndmask_b32_e64 v5, 0, 1, s[0:1]
	v_and_b32_sdwa v3, v2, s5 dst_sel:DWORD dst_unused:UNUSED_PAD src0_sel:WORD_1 src1_sel:DWORD
	v_lshlrev_b16_e32 v5, 8, v5
	s_mov_b32 s4, 0xffff
	v_or_b32_e32 v4, 0x300, v0
	v_or_b32_sdwa v3, v3, v5 dst_sel:WORD_1 dst_unused:UNUSED_PAD src0_sel:DWORD src1_sel:DWORD
	v_and_or_b32 v3, v2, s4, v3
	v_cmp_gt_i32_e64 s[0:1], s16, v4
	v_cndmask_b32_e64 v5, v2, v3, s[0:1]
	v_cmp_ne_u16_e64 s[0:1], s18, v8
	s_xor_b64 s[0:1], s[2:3], s[0:1]
	v_cndmask_b32_e64 v2, 0, 1, s[0:1]
	v_or_b32_e32 v3, 0x400, v0
	v_and_b32_e32 v2, 0xffff, v2
	v_cmp_gt_i32_e64 s[0:1], s16, v3
	v_cndmask_b32_e64 v2, 0, v2, s[0:1]
	v_cmp_ne_u16_e64 s[0:1], s18, v7
	s_xor_b64 s[0:1], s[2:3], s[0:1]
	v_cndmask_b32_e64 v4, 0, 1, s[0:1]
	v_lshlrev_b16_e32 v4, 8, v4
	v_or_b32_e32 v3, 0x500, v0
	v_or_b32_sdwa v4, v2, v4 dst_sel:DWORD dst_unused:UNUSED_PAD src0_sel:BYTE_0 src1_sel:DWORD
	v_and_b32_e32 v4, 0xffff, v4
	v_cmp_gt_i32_e64 s[0:1], s16, v3
	v_cndmask_b32_e64 v2, v2, v4, s[0:1]
	v_cmp_ne_u16_e64 s[0:1], s18, v10
	s_movk_i32 s6, 0xff00
	s_xor_b64 s[0:1], s[2:3], s[0:1]
	v_and_b32_sdwa v3, v2, s6 dst_sel:DWORD dst_unused:UNUSED_PAD src0_sel:WORD_1 src1_sel:DWORD
	v_cndmask_b32_e64 v4, 0, 1, s[0:1]
	v_or_b32_sdwa v3, v4, v3 dst_sel:WORD_1 dst_unused:UNUSED_PAD src0_sel:DWORD src1_sel:DWORD
	v_or_b32_e32 v4, 0x600, v0
	v_and_or_b32 v3, v2, s4, v3
	v_cmp_gt_i32_e64 s[0:1], s16, v4
	v_cndmask_b32_e64 v2, v2, v3, s[0:1]
	v_cmp_ne_u16_e64 s[0:1], s18, v9
	s_xor_b64 s[0:1], s[2:3], s[0:1]
	v_cndmask_b32_e64 v6, 0, 1, s[0:1]
	v_and_b32_sdwa v3, v2, s5 dst_sel:DWORD dst_unused:UNUSED_PAD src0_sel:WORD_1 src1_sel:DWORD
	v_lshlrev_b16_e32 v6, 8, v6
	v_or_b32_e32 v4, 0x700, v0
	v_or_b32_sdwa v3, v3, v6 dst_sel:WORD_1 dst_unused:UNUSED_PAD src0_sel:DWORD src1_sel:DWORD
	v_and_or_b32 v3, v2, s4, v3
	v_cmp_gt_i32_e64 s[0:1], s16, v4
	v_cndmask_b32_e64 v4, v2, v3, s[0:1]
	v_cmp_ne_u16_e64 s[0:1], s18, v12
	v_or_b32_e32 v2, 0x800, v0
	s_xor_b64 s[0:1], s[2:3], s[0:1]
	v_cndmask_b32_e64 v3, 0, 1, s[0:1]
	v_cmp_gt_i32_e64 s[0:1], s16, v2
	v_cndmask_b32_e64 v2, 0, v3, s[0:1]
	v_cmp_ne_u16_e64 s[0:1], s18, v11
	s_xor_b64 s[0:1], s[2:3], s[0:1]
	v_cndmask_b32_e64 v6, 0, 1, s[0:1]
	v_lshlrev_b16_e32 v6, 8, v6
	v_or_b32_e32 v3, 0x900, v0
	v_or_b32_e32 v6, v2, v6
	v_and_b32_e32 v6, 0xffff, v6
	v_cmp_gt_i32_e64 s[0:1], s16, v3
	v_cndmask_b32_e64 v2, v2, v6, s[0:1]
	v_cmp_ne_u16_e64 s[0:1], s18, v14
	s_xor_b64 s[0:1], s[2:3], s[0:1]
	v_cndmask_b32_e64 v6, 0, 1, s[0:1]
	v_or_b32_e32 v3, 0xa00, v0
	v_lshlrev_b32_e32 v6, 16, v6
	s_movk_i32 s0, 0x1ff
	v_and_or_b32 v6, v2, s0, v6
	v_cmp_gt_i32_e64 s[0:1], s16, v3
	v_cndmask_b32_e64 v2, v2, v6, s[0:1]
	v_cmp_ne_u16_e64 s[0:1], s18, v13
	s_xor_b64 s[0:1], s[2:3], s[0:1]
	v_cndmask_b32_e64 v7, 0, 1, s[0:1]
	v_and_b32_sdwa v3, v2, s5 dst_sel:DWORD dst_unused:UNUSED_PAD src0_sel:WORD_1 src1_sel:DWORD
	v_lshlrev_b16_e32 v7, 8, v7
	v_or_b32_e32 v6, 0xb00, v0
	v_or_b32_sdwa v3, v3, v7 dst_sel:WORD_1 dst_unused:UNUSED_PAD src0_sel:DWORD src1_sel:DWORD
	v_and_or_b32 v3, v2, s4, v3
	v_cmp_gt_i32_e64 s[0:1], s16, v6
	v_cndmask_b32_e64 v3, v2, v3, s[0:1]
	v_cmp_ne_u16_e64 s[0:1], s18, v16
	v_or_b32_e32 v2, 0xc00, v0
	s_xor_b64 s[0:1], s[2:3], s[0:1]
	v_cndmask_b32_e64 v6, 0, 1, s[0:1]
	v_cmp_gt_i32_e64 s[0:1], s16, v2
	v_cndmask_b32_e64 v2, 0, v6, s[0:1]
	v_cmp_ne_u16_e64 s[0:1], s18, v15
	s_xor_b64 s[0:1], s[2:3], s[0:1]
	v_cndmask_b32_e64 v7, 0, 1, s[0:1]
	v_lshlrev_b16_e32 v7, 8, v7
	v_or_b32_e32 v6, 0xd00, v0
	v_or_b32_sdwa v7, v2, v7 dst_sel:DWORD dst_unused:UNUSED_PAD src0_sel:BYTE_0 src1_sel:DWORD
	v_and_b32_e32 v7, 0xffff, v7
	v_cmp_gt_i32_e64 s[0:1], s16, v6
	v_cndmask_b32_e64 v2, v2, v7, s[0:1]
	v_cmp_ne_u16_e64 s[0:1], s18, v18
	s_xor_b64 s[0:1], s[2:3], s[0:1]
	v_and_b32_sdwa v6, v2, s6 dst_sel:DWORD dst_unused:UNUSED_PAD src0_sel:WORD_1 src1_sel:DWORD
	v_cndmask_b32_e64 v7, 0, 1, s[0:1]
	v_or_b32_sdwa v6, v7, v6 dst_sel:WORD_1 dst_unused:UNUSED_PAD src0_sel:DWORD src1_sel:DWORD
	v_or_b32_e32 v7, 0xe00, v0
	v_and_or_b32 v6, v2, s4, v6
	v_cmp_gt_i32_e64 s[0:1], s16, v7
	v_cndmask_b32_e64 v2, v2, v6, s[0:1]
	v_cmp_ne_u16_e64 s[0:1], s18, v17
	s_xor_b64 s[0:1], s[2:3], s[0:1]
	v_cndmask_b32_e64 v8, 0, 1, s[0:1]
	v_and_b32_sdwa v6, v2, s5 dst_sel:DWORD dst_unused:UNUSED_PAD src0_sel:WORD_1 src1_sel:DWORD
	v_lshlrev_b16_e32 v8, 8, v8
	v_or_b32_e32 v7, 0xf00, v0
	v_or_b32_sdwa v6, v6, v8 dst_sel:WORD_1 dst_unused:UNUSED_PAD src0_sel:DWORD src1_sel:DWORD
	v_and_or_b32 v6, v2, s4, v6
	v_cmp_gt_i32_e64 s[0:1], s16, v7
	v_cndmask_b32_e64 v2, v2, v6, s[0:1]
	s_and_saveexec_b64 s[0:1], vcc
	s_cbranch_execnz .LBB333_53
; %bb.36:
	s_or_b64 exec, exec, s[0:1]
	v_cmp_gt_i32_e32 vcc, s16, v0
	s_and_saveexec_b64 s[0:1], vcc
	s_cbranch_execnz .LBB333_54
.LBB333_37:
	s_or_b64 exec, exec, s[0:1]
	v_cmp_gt_i32_e32 vcc, s16, v0
	s_and_saveexec_b64 s[0:1], vcc
	s_cbranch_execnz .LBB333_55
.LBB333_38:
	s_or_b64 exec, exec, s[0:1]
	v_cmp_gt_i32_e32 vcc, s16, v0
	s_and_saveexec_b64 s[0:1], vcc
	s_cbranch_execnz .LBB333_56
.LBB333_39:
	s_or_b64 exec, exec, s[0:1]
	v_cmp_gt_i32_e32 vcc, s16, v0
	s_and_saveexec_b64 s[0:1], vcc
	s_cbranch_execnz .LBB333_57
.LBB333_40:
	s_or_b64 exec, exec, s[0:1]
	v_cmp_gt_i32_e32 vcc, s16, v0
	s_and_saveexec_b64 s[0:1], vcc
	s_cbranch_execnz .LBB333_58
.LBB333_41:
	s_or_b64 exec, exec, s[0:1]
	v_cmp_gt_i32_e32 vcc, s16, v0
	s_and_saveexec_b64 s[0:1], vcc
	s_cbranch_execnz .LBB333_59
.LBB333_42:
	s_or_b64 exec, exec, s[0:1]
	v_cmp_gt_i32_e32 vcc, s16, v0
	s_and_saveexec_b64 s[0:1], vcc
	s_cbranch_execnz .LBB333_60
.LBB333_43:
	s_or_b64 exec, exec, s[0:1]
	v_cmp_gt_i32_e32 vcc, s16, v0
	s_and_saveexec_b64 s[0:1], vcc
	s_cbranch_execnz .LBB333_61
.LBB333_44:
	s_or_b64 exec, exec, s[0:1]
	v_cmp_gt_i32_e32 vcc, s16, v0
	s_and_saveexec_b64 s[0:1], vcc
	s_cbranch_execnz .LBB333_62
.LBB333_45:
	s_or_b64 exec, exec, s[0:1]
	v_cmp_gt_i32_e32 vcc, s16, v0
	s_and_saveexec_b64 s[0:1], vcc
	s_cbranch_execnz .LBB333_63
.LBB333_46:
	s_or_b64 exec, exec, s[0:1]
	v_cmp_gt_i32_e32 vcc, s16, v0
	s_and_saveexec_b64 s[0:1], vcc
	s_cbranch_execnz .LBB333_64
.LBB333_47:
	s_or_b64 exec, exec, s[0:1]
	v_cmp_gt_i32_e32 vcc, s16, v0
	s_and_saveexec_b64 s[0:1], vcc
	s_cbranch_execnz .LBB333_65
.LBB333_48:
	s_or_b64 exec, exec, s[0:1]
	v_cmp_gt_i32_e32 vcc, s16, v0
	s_and_saveexec_b64 s[0:1], vcc
	s_cbranch_execnz .LBB333_66
.LBB333_49:
	s_or_b64 exec, exec, s[0:1]
	v_cmp_gt_i32_e32 vcc, s16, v0
	s_and_saveexec_b64 s[0:1], vcc
	s_cbranch_execnz .LBB333_67
.LBB333_50:
	s_or_b64 exec, exec, s[0:1]
	v_cmp_gt_i32_e32 vcc, s16, v0
	s_and_saveexec_b64 s[0:1], vcc
	s_cbranch_execz .LBB333_52
.LBB333_51:
	v_lshrrev_b32_e32 v1, 24, v2
	v_add_u32_e32 v0, s14, v0
	global_store_byte v0, v1, s[20:21]
.LBB333_52:
	s_endpgm
.LBB333_53:
	v_mov_b32_e32 v0, v19
	global_store_byte v1, v5, s[20:21]
	s_or_b64 exec, exec, s[0:1]
	v_cmp_gt_i32_e32 vcc, s16, v0
	s_and_saveexec_b64 s[0:1], vcc
	s_cbranch_execz .LBB333_37
.LBB333_54:
	v_lshrrev_b32_e32 v1, 8, v5
	v_add_u32_e32 v6, s14, v0
	v_add_u32_e32 v0, 0x100, v0
	global_store_byte v6, v1, s[20:21]
	s_or_b64 exec, exec, s[0:1]
	v_cmp_gt_i32_e32 vcc, s16, v0
	s_and_saveexec_b64 s[0:1], vcc
	s_cbranch_execz .LBB333_38
.LBB333_55:
	v_add_u32_e32 v1, s14, v0
	v_add_u32_e32 v0, 0x100, v0
	global_store_byte_d16_hi v1, v5, s[20:21]
	s_or_b64 exec, exec, s[0:1]
	v_cmp_gt_i32_e32 vcc, s16, v0
	s_and_saveexec_b64 s[0:1], vcc
	s_cbranch_execz .LBB333_39
.LBB333_56:
	v_lshrrev_b32_e32 v1, 24, v5
	v_add_u32_e32 v5, s14, v0
	v_add_u32_e32 v0, 0x100, v0
	global_store_byte v5, v1, s[20:21]
	s_or_b64 exec, exec, s[0:1]
	v_cmp_gt_i32_e32 vcc, s16, v0
	s_and_saveexec_b64 s[0:1], vcc
	s_cbranch_execz .LBB333_40
.LBB333_57:
	v_add_u32_e32 v1, s14, v0
	v_add_u32_e32 v0, 0x100, v0
	global_store_byte v1, v4, s[20:21]
	s_or_b64 exec, exec, s[0:1]
	v_cmp_gt_i32_e32 vcc, s16, v0
	s_and_saveexec_b64 s[0:1], vcc
	s_cbranch_execz .LBB333_41
.LBB333_58:
	v_lshrrev_b32_e32 v1, 8, v4
	v_add_u32_e32 v5, s14, v0
	v_add_u32_e32 v0, 0x100, v0
	global_store_byte v5, v1, s[20:21]
	s_or_b64 exec, exec, s[0:1]
	v_cmp_gt_i32_e32 vcc, s16, v0
	s_and_saveexec_b64 s[0:1], vcc
	s_cbranch_execz .LBB333_42
.LBB333_59:
	v_add_u32_e32 v1, s14, v0
	v_add_u32_e32 v0, 0x100, v0
	global_store_byte_d16_hi v1, v4, s[20:21]
	s_or_b64 exec, exec, s[0:1]
	v_cmp_gt_i32_e32 vcc, s16, v0
	s_and_saveexec_b64 s[0:1], vcc
	s_cbranch_execz .LBB333_43
.LBB333_60:
	v_lshrrev_b32_e32 v1, 24, v4
	v_add_u32_e32 v4, s14, v0
	v_add_u32_e32 v0, 0x100, v0
	global_store_byte v4, v1, s[20:21]
	s_or_b64 exec, exec, s[0:1]
	v_cmp_gt_i32_e32 vcc, s16, v0
	s_and_saveexec_b64 s[0:1], vcc
	s_cbranch_execz .LBB333_44
.LBB333_61:
	v_add_u32_e32 v1, s14, v0
	v_add_u32_e32 v0, 0x100, v0
	global_store_byte v1, v3, s[20:21]
	s_or_b64 exec, exec, s[0:1]
	v_cmp_gt_i32_e32 vcc, s16, v0
	s_and_saveexec_b64 s[0:1], vcc
	s_cbranch_execz .LBB333_45
.LBB333_62:
	v_lshrrev_b32_e32 v1, 8, v3
	v_add_u32_e32 v4, s14, v0
	v_add_u32_e32 v0, 0x100, v0
	global_store_byte v4, v1, s[20:21]
	s_or_b64 exec, exec, s[0:1]
	v_cmp_gt_i32_e32 vcc, s16, v0
	s_and_saveexec_b64 s[0:1], vcc
	s_cbranch_execz .LBB333_46
.LBB333_63:
	v_add_u32_e32 v1, s14, v0
	v_add_u32_e32 v0, 0x100, v0
	global_store_byte_d16_hi v1, v3, s[20:21]
	s_or_b64 exec, exec, s[0:1]
	v_cmp_gt_i32_e32 vcc, s16, v0
	s_and_saveexec_b64 s[0:1], vcc
	s_cbranch_execz .LBB333_47
.LBB333_64:
	v_lshrrev_b32_e32 v1, 24, v3
	v_add_u32_e32 v3, s14, v0
	v_add_u32_e32 v0, 0x100, v0
	global_store_byte v3, v1, s[20:21]
	s_or_b64 exec, exec, s[0:1]
	v_cmp_gt_i32_e32 vcc, s16, v0
	s_and_saveexec_b64 s[0:1], vcc
	s_cbranch_execz .LBB333_48
.LBB333_65:
	v_add_u32_e32 v1, s14, v0
	v_add_u32_e32 v0, 0x100, v0
	global_store_byte v1, v2, s[20:21]
	s_or_b64 exec, exec, s[0:1]
	v_cmp_gt_i32_e32 vcc, s16, v0
	s_and_saveexec_b64 s[0:1], vcc
	s_cbranch_execz .LBB333_49
.LBB333_66:
	v_lshrrev_b32_e32 v1, 8, v2
	v_add_u32_e32 v3, s14, v0
	v_add_u32_e32 v0, 0x100, v0
	global_store_byte v3, v1, s[20:21]
	s_or_b64 exec, exec, s[0:1]
	v_cmp_gt_i32_e32 vcc, s16, v0
	s_and_saveexec_b64 s[0:1], vcc
	s_cbranch_execz .LBB333_50
.LBB333_67:
	v_add_u32_e32 v1, s14, v0
	v_add_u32_e32 v0, 0x100, v0
	global_store_byte_d16_hi v1, v2, s[20:21]
	s_or_b64 exec, exec, s[0:1]
	v_cmp_gt_i32_e32 vcc, s16, v0
	s_and_saveexec_b64 s[0:1], vcc
	s_cbranch_execnz .LBB333_51
	s_branch .LBB333_52
	.section	.rodata,"a",@progbits
	.p2align	6, 0x0
	.amdhsa_kernel _ZN2at6native29vectorized_elementwise_kernelILi16ENS0_13AUnaryFunctorIttbNS0_12_GLOBAL__N_116CompareEqFunctorItEEEESt5arrayIPcLm2EEEEviT0_T1_
		.amdhsa_group_segment_fixed_size 0
		.amdhsa_private_segment_fixed_size 0
		.amdhsa_kernarg_size 32
		.amdhsa_user_sgpr_count 6
		.amdhsa_user_sgpr_private_segment_buffer 1
		.amdhsa_user_sgpr_dispatch_ptr 0
		.amdhsa_user_sgpr_queue_ptr 0
		.amdhsa_user_sgpr_kernarg_segment_ptr 1
		.amdhsa_user_sgpr_dispatch_id 0
		.amdhsa_user_sgpr_flat_scratch_init 0
		.amdhsa_user_sgpr_private_segment_size 0
		.amdhsa_uses_dynamic_stack 0
		.amdhsa_system_sgpr_private_segment_wavefront_offset 0
		.amdhsa_system_sgpr_workgroup_id_x 1
		.amdhsa_system_sgpr_workgroup_id_y 0
		.amdhsa_system_sgpr_workgroup_id_z 0
		.amdhsa_system_sgpr_workgroup_info 0
		.amdhsa_system_vgpr_workitem_id 0
		.amdhsa_next_free_vgpr 21
		.amdhsa_next_free_sgpr 46
		.amdhsa_reserve_vcc 1
		.amdhsa_reserve_flat_scratch 0
		.amdhsa_float_round_mode_32 0
		.amdhsa_float_round_mode_16_64 0
		.amdhsa_float_denorm_mode_32 3
		.amdhsa_float_denorm_mode_16_64 3
		.amdhsa_dx10_clamp 1
		.amdhsa_ieee_mode 1
		.amdhsa_fp16_overflow 0
		.amdhsa_exception_fp_ieee_invalid_op 0
		.amdhsa_exception_fp_denorm_src 0
		.amdhsa_exception_fp_ieee_div_zero 0
		.amdhsa_exception_fp_ieee_overflow 0
		.amdhsa_exception_fp_ieee_underflow 0
		.amdhsa_exception_fp_ieee_inexact 0
		.amdhsa_exception_int_div_zero 0
	.end_amdhsa_kernel
	.section	.text._ZN2at6native29vectorized_elementwise_kernelILi16ENS0_13AUnaryFunctorIttbNS0_12_GLOBAL__N_116CompareEqFunctorItEEEESt5arrayIPcLm2EEEEviT0_T1_,"axG",@progbits,_ZN2at6native29vectorized_elementwise_kernelILi16ENS0_13AUnaryFunctorIttbNS0_12_GLOBAL__N_116CompareEqFunctorItEEEESt5arrayIPcLm2EEEEviT0_T1_,comdat
.Lfunc_end333:
	.size	_ZN2at6native29vectorized_elementwise_kernelILi16ENS0_13AUnaryFunctorIttbNS0_12_GLOBAL__N_116CompareEqFunctorItEEEESt5arrayIPcLm2EEEEviT0_T1_, .Lfunc_end333-_ZN2at6native29vectorized_elementwise_kernelILi16ENS0_13AUnaryFunctorIttbNS0_12_GLOBAL__N_116CompareEqFunctorItEEEESt5arrayIPcLm2EEEEviT0_T1_
                                        ; -- End function
	.set _ZN2at6native29vectorized_elementwise_kernelILi16ENS0_13AUnaryFunctorIttbNS0_12_GLOBAL__N_116CompareEqFunctorItEEEESt5arrayIPcLm2EEEEviT0_T1_.num_vgpr, 21
	.set _ZN2at6native29vectorized_elementwise_kernelILi16ENS0_13AUnaryFunctorIttbNS0_12_GLOBAL__N_116CompareEqFunctorItEEEESt5arrayIPcLm2EEEEviT0_T1_.num_agpr, 0
	.set _ZN2at6native29vectorized_elementwise_kernelILi16ENS0_13AUnaryFunctorIttbNS0_12_GLOBAL__N_116CompareEqFunctorItEEEESt5arrayIPcLm2EEEEviT0_T1_.numbered_sgpr, 46
	.set _ZN2at6native29vectorized_elementwise_kernelILi16ENS0_13AUnaryFunctorIttbNS0_12_GLOBAL__N_116CompareEqFunctorItEEEESt5arrayIPcLm2EEEEviT0_T1_.num_named_barrier, 0
	.set _ZN2at6native29vectorized_elementwise_kernelILi16ENS0_13AUnaryFunctorIttbNS0_12_GLOBAL__N_116CompareEqFunctorItEEEESt5arrayIPcLm2EEEEviT0_T1_.private_seg_size, 0
	.set _ZN2at6native29vectorized_elementwise_kernelILi16ENS0_13AUnaryFunctorIttbNS0_12_GLOBAL__N_116CompareEqFunctorItEEEESt5arrayIPcLm2EEEEviT0_T1_.uses_vcc, 1
	.set _ZN2at6native29vectorized_elementwise_kernelILi16ENS0_13AUnaryFunctorIttbNS0_12_GLOBAL__N_116CompareEqFunctorItEEEESt5arrayIPcLm2EEEEviT0_T1_.uses_flat_scratch, 0
	.set _ZN2at6native29vectorized_elementwise_kernelILi16ENS0_13AUnaryFunctorIttbNS0_12_GLOBAL__N_116CompareEqFunctorItEEEESt5arrayIPcLm2EEEEviT0_T1_.has_dyn_sized_stack, 0
	.set _ZN2at6native29vectorized_elementwise_kernelILi16ENS0_13AUnaryFunctorIttbNS0_12_GLOBAL__N_116CompareEqFunctorItEEEESt5arrayIPcLm2EEEEviT0_T1_.has_recursion, 0
	.set _ZN2at6native29vectorized_elementwise_kernelILi16ENS0_13AUnaryFunctorIttbNS0_12_GLOBAL__N_116CompareEqFunctorItEEEESt5arrayIPcLm2EEEEviT0_T1_.has_indirect_call, 0
	.section	.AMDGPU.csdata,"",@progbits
; Kernel info:
; codeLenInByte = 3560
; TotalNumSgprs: 50
; NumVgprs: 21
; ScratchSize: 0
; MemoryBound: 0
; FloatMode: 240
; IeeeMode: 1
; LDSByteSize: 0 bytes/workgroup (compile time only)
; SGPRBlocks: 6
; VGPRBlocks: 5
; NumSGPRsForWavesPerEU: 50
; NumVGPRsForWavesPerEU: 21
; Occupancy: 10
; WaveLimiterHint : 0
; COMPUTE_PGM_RSRC2:SCRATCH_EN: 0
; COMPUTE_PGM_RSRC2:USER_SGPR: 6
; COMPUTE_PGM_RSRC2:TRAP_HANDLER: 0
; COMPUTE_PGM_RSRC2:TGID_X_EN: 1
; COMPUTE_PGM_RSRC2:TGID_Y_EN: 0
; COMPUTE_PGM_RSRC2:TGID_Z_EN: 0
; COMPUTE_PGM_RSRC2:TIDIG_COMP_CNT: 0
	.section	.text._ZN2at6native29vectorized_elementwise_kernelILi8ENS0_13AUnaryFunctorIttbNS0_12_GLOBAL__N_116CompareEqFunctorItEEEESt5arrayIPcLm2EEEEviT0_T1_,"axG",@progbits,_ZN2at6native29vectorized_elementwise_kernelILi8ENS0_13AUnaryFunctorIttbNS0_12_GLOBAL__N_116CompareEqFunctorItEEEESt5arrayIPcLm2EEEEviT0_T1_,comdat
	.globl	_ZN2at6native29vectorized_elementwise_kernelILi8ENS0_13AUnaryFunctorIttbNS0_12_GLOBAL__N_116CompareEqFunctorItEEEESt5arrayIPcLm2EEEEviT0_T1_ ; -- Begin function _ZN2at6native29vectorized_elementwise_kernelILi8ENS0_13AUnaryFunctorIttbNS0_12_GLOBAL__N_116CompareEqFunctorItEEEESt5arrayIPcLm2EEEEviT0_T1_
	.p2align	8
	.type	_ZN2at6native29vectorized_elementwise_kernelILi8ENS0_13AUnaryFunctorIttbNS0_12_GLOBAL__N_116CompareEqFunctorItEEEESt5arrayIPcLm2EEEEviT0_T1_,@function
_ZN2at6native29vectorized_elementwise_kernelILi8ENS0_13AUnaryFunctorIttbNS0_12_GLOBAL__N_116CompareEqFunctorItEEEESt5arrayIPcLm2EEEEviT0_T1_: ; @_ZN2at6native29vectorized_elementwise_kernelILi8ENS0_13AUnaryFunctorIttbNS0_12_GLOBAL__N_116CompareEqFunctorItEEEESt5arrayIPcLm2EEEEviT0_T1_
; %bb.0:
	s_load_dwordx8 s[8:15], s[4:5], 0x0
	s_lshl_b32 s6, s6, 12
	s_mov_b64 s[0:1], -1
	s_waitcnt lgkmcnt(0)
	s_sub_i32 s8, s8, s6
	s_cmpk_gt_i32 s8, 0xfff
	s_cbranch_scc0 .LBB334_2
; %bb.1:
	s_ashr_i32 s7, s6, 31
	s_lshl_b64 s[0:1], s[6:7], 1
	s_add_u32 s0, s14, s0
	s_addc_u32 s1, s15, s1
	v_lshlrev_b32_e32 v5, 4, v0
	global_load_dwordx4 v[1:4], v5, s[0:1]
	v_mov_b32_e32 v6, s1
	v_add_co_u32_e32 v5, vcc, s0, v5
	v_addc_co_u32_e32 v6, vcc, 0, v6, vcc
	v_add_co_u32_e32 v5, vcc, 0x1000, v5
	v_addc_co_u32_e32 v6, vcc, 0, v6, vcc
	global_load_dwordx4 v[5:8], v[5:6], off
	s_cmp_eq_u32 s9, 0
	s_cselect_b64 s[16:17], -1, 0
	v_lshlrev_b32_e32 v9, 3, v0
	s_waitcnt vmcnt(1)
	v_cmp_ne_u16_e64 s[0:1], s10, v2
	v_cmp_ne_u16_sdwa s[20:21], v2, s10 src0_sel:WORD_1 src1_sel:DWORD
	s_xor_b64 s[0:1], s[16:17], s[0:1]
	v_cmp_ne_u16_e64 s[2:3], s10, v3
	v_cmp_ne_u16_sdwa s[22:23], v3, s10 src0_sel:WORD_1 src1_sel:DWORD
	v_cndmask_b32_e64 v3, 0, 1, s[0:1]
	s_xor_b64 s[0:1], s[16:17], s[20:21]
	v_cmp_ne_u16_e64 s[4:5], s10, v4
	v_cmp_ne_u16_sdwa s[24:25], v4, s10 src0_sel:WORD_1 src1_sel:DWORD
	v_cndmask_b32_e64 v4, 0, 1, s[0:1]
	s_xor_b64 s[0:1], s[16:17], s[2:3]
	v_cndmask_b32_e64 v10, 0, 1, s[0:1]
	s_xor_b64 s[0:1], s[16:17], s[22:23]
	;; [unrolled: 2-line block ×4, first 2 shown]
	v_cndmask_b32_e64 v13, 0, 1, s[0:1]
	s_waitcnt vmcnt(0)
	v_cmp_ne_u16_e64 s[0:1], s10, v6
	v_cmp_ne_u16_sdwa s[18:19], v1, s10 src0_sel:WORD_1 src1_sel:DWORD
	v_cmp_ne_u16_sdwa s[20:21], v6, s10 src0_sel:WORD_1 src1_sel:DWORD
	s_xor_b64 s[0:1], s[16:17], s[0:1]
	v_cmp_ne_u16_e32 vcc, s10, v1
	s_xor_b64 s[18:19], s[16:17], s[18:19]
	v_lshlrev_b16_e32 v11, 8, v11
	v_cmp_ne_u16_e64 s[2:3], s10, v7
	v_cmp_ne_u16_e64 s[4:5], s10, v8
	v_cmp_ne_u16_sdwa s[24:25], v8, s10 src0_sel:WORD_1 src1_sel:DWORD
	v_cndmask_b32_e64 v8, 0, 1, s[0:1]
	s_xor_b64 s[0:1], s[16:17], s[20:21]
	s_xor_b64 s[26:27], s[16:17], vcc
	v_cndmask_b32_e64 v2, 0, 1, s[18:19]
	v_cmp_ne_u16_e32 vcc, s10, v5
	v_cmp_ne_u16_sdwa s[18:19], v5, s10 src0_sel:WORD_1 src1_sel:DWORD
	v_cmp_ne_u16_sdwa s[22:23], v7, s10 src0_sel:WORD_1 src1_sel:DWORD
	v_or_b32_e32 v5, v10, v11
	v_cndmask_b32_e64 v10, 0, 1, s[0:1]
	s_xor_b64 s[0:1], s[16:17], s[2:3]
	v_lshlrev_b16_e32 v13, 8, v13
	v_cndmask_b32_e64 v11, 0, 1, s[0:1]
	s_xor_b64 s[0:1], s[16:17], s[22:23]
	v_or_b32_sdwa v6, v12, v13 dst_sel:WORD_1 dst_unused:UNUSED_PAD src0_sel:DWORD src1_sel:DWORD
	v_cndmask_b32_e64 v12, 0, 1, s[0:1]
	s_xor_b64 s[0:1], s[16:17], s[4:5]
	v_cndmask_b32_e64 v1, 0, 1, s[26:27]
	v_lshlrev_b16_e32 v2, 8, v2
	v_lshlrev_b16_e32 v4, 8, v4
	s_xor_b64 s[18:19], s[16:17], s[18:19]
	v_cndmask_b32_e64 v13, 0, 1, s[0:1]
	s_xor_b64 s[0:1], s[16:17], s[24:25]
	v_or_b32_e32 v1, v1, v2
	v_or_b32_sdwa v3, v3, v4 dst_sel:WORD_1 dst_unused:UNUSED_PAD src0_sel:DWORD src1_sel:DWORD
	s_xor_b64 s[26:27], s[16:17], vcc
	v_cndmask_b32_e64 v7, 0, 1, s[18:19]
	v_cndmask_b32_e64 v14, 0, 1, s[0:1]
	;; [unrolled: 1-line block ×3, first 2 shown]
	v_or_b32_sdwa v2, v5, v6 dst_sel:DWORD dst_unused:UNUSED_PAD src0_sel:WORD_0 src1_sel:DWORD
	v_or_b32_sdwa v1, v1, v3 dst_sel:DWORD dst_unused:UNUSED_PAD src0_sel:WORD_0 src1_sel:DWORD
	v_lshlrev_b16_e32 v3, 8, v12
	v_lshlrev_b16_e32 v5, 8, v14
	v_lshlrev_b16_e32 v6, 8, v7
	v_lshlrev_b16_e32 v7, 8, v10
	s_add_u32 s0, s12, s6
	v_or_b32_e32 v3, v11, v3
	v_or_b32_sdwa v5, v13, v5 dst_sel:WORD_1 dst_unused:UNUSED_PAD src0_sel:DWORD src1_sel:DWORD
	v_or_b32_e32 v6, v4, v6
	v_or_b32_sdwa v7, v8, v7 dst_sel:WORD_1 dst_unused:UNUSED_PAD src0_sel:DWORD src1_sel:DWORD
	s_addc_u32 s1, s13, s7
	v_or_b32_sdwa v4, v3, v5 dst_sel:DWORD dst_unused:UNUSED_PAD src0_sel:WORD_0 src1_sel:DWORD
	v_or_b32_sdwa v3, v6, v7 dst_sel:DWORD dst_unused:UNUSED_PAD src0_sel:WORD_0 src1_sel:DWORD
	global_store_dwordx2 v9, v[1:2], s[0:1]
	global_store_dwordx2 v9, v[3:4], s[0:1] offset:2048
	s_mov_b64 s[0:1], 0
.LBB334_2:
	s_andn2_b64 vcc, exec, s[0:1]
	s_cbranch_vccnz .LBB334_52
; %bb.3:
	v_cmp_gt_i32_e32 vcc, s8, v0
	v_mov_b32_e32 v3, 0
	v_or_b32_e32 v1, s6, v0
	v_mov_b32_e32 v2, 0
	v_mov_b32_e32 v4, v0
	s_and_saveexec_b64 s[2:3], vcc
	s_cbranch_execz .LBB334_5
; %bb.4:
	v_mov_b32_e32 v2, 0
	v_lshlrev_b64 v[4:5], 1, v[1:2]
	v_mov_b32_e32 v2, s15
	v_add_co_u32_e64 v4, s[0:1], s14, v4
	v_addc_co_u32_e64 v5, s[0:1], v2, v5, s[0:1]
	global_load_ushort v2, v[4:5], off
	v_or_b32_e32 v4, 0x100, v0
.LBB334_5:
	s_or_b64 exec, exec, s[2:3]
	v_cmp_gt_i32_e64 s[0:1], s8, v4
	s_and_saveexec_b64 s[2:3], s[0:1]
	s_cbranch_execz .LBB334_7
; %bb.6:
	v_add_u32_e32 v5, s6, v4
	v_mov_b32_e32 v6, 0
	v_lshlrev_b64 v[5:6], 1, v[5:6]
	v_mov_b32_e32 v3, s15
	v_add_co_u32_e64 v5, s[0:1], s14, v5
	v_addc_co_u32_e64 v6, s[0:1], v3, v6, s[0:1]
	global_load_ushort v3, v[5:6], off
	v_add_u32_e32 v4, 0x100, v4
.LBB334_7:
	s_or_b64 exec, exec, s[2:3]
	v_cmp_gt_i32_e64 s[0:1], s8, v4
	v_mov_b32_e32 v5, 0
	v_mov_b32_e32 v6, 0
	s_and_saveexec_b64 s[2:3], s[0:1]
	s_cbranch_execz .LBB334_9
; %bb.8:
	v_add_u32_e32 v6, s6, v4
	v_mov_b32_e32 v7, 0
	v_lshlrev_b64 v[6:7], 1, v[6:7]
	v_mov_b32_e32 v8, s15
	v_add_co_u32_e64 v6, s[0:1], s14, v6
	v_addc_co_u32_e64 v7, s[0:1], v8, v7, s[0:1]
	global_load_ushort v6, v[6:7], off
	v_add_u32_e32 v4, 0x100, v4
.LBB334_9:
	s_or_b64 exec, exec, s[2:3]
	v_cmp_gt_i32_e64 s[0:1], s8, v4
	s_and_saveexec_b64 s[2:3], s[0:1]
	s_cbranch_execz .LBB334_11
; %bb.10:
	v_add_u32_e32 v7, s6, v4
	v_mov_b32_e32 v8, 0
	v_lshlrev_b64 v[7:8], 1, v[7:8]
	v_mov_b32_e32 v5, s15
	v_add_co_u32_e64 v7, s[0:1], s14, v7
	v_addc_co_u32_e64 v8, s[0:1], v5, v8, s[0:1]
	global_load_ushort v5, v[7:8], off
	v_add_u32_e32 v4, 0x100, v4
.LBB334_11:
	s_or_b64 exec, exec, s[2:3]
	v_cmp_gt_i32_e64 s[0:1], s8, v4
	v_mov_b32_e32 v7, 0
	v_mov_b32_e32 v8, 0
	s_and_saveexec_b64 s[2:3], s[0:1]
	s_cbranch_execz .LBB334_13
; %bb.12:
	v_add_u32_e32 v8, s6, v4
	v_mov_b32_e32 v9, 0
	v_lshlrev_b64 v[8:9], 1, v[8:9]
	v_mov_b32_e32 v10, s15
	v_add_co_u32_e64 v8, s[0:1], s14, v8
	v_addc_co_u32_e64 v9, s[0:1], v10, v9, s[0:1]
	global_load_ushort v8, v[8:9], off
	v_add_u32_e32 v4, 0x100, v4
.LBB334_13:
	;; [unrolled: 30-line block ×7, first 2 shown]
	s_or_b64 exec, exec, s[2:3]
	v_cmp_gt_i32_e64 s[0:1], s8, v4
	s_and_saveexec_b64 s[2:3], s[0:1]
	s_cbranch_execz .LBB334_35
; %bb.34:
	v_add_u32_e32 v19, s6, v4
	v_mov_b32_e32 v20, 0
	v_lshlrev_b64 v[19:20], 1, v[19:20]
	v_mov_b32_e32 v4, s15
	v_add_co_u32_e64 v19, s[0:1], s14, v19
	v_addc_co_u32_e64 v20, s[0:1], v4, v20, s[0:1]
	global_load_ushort v17, v[19:20], off
.LBB334_35:
	s_or_b64 exec, exec, s[2:3]
	s_cmp_eq_u32 s9, 0
	s_cselect_b64 s[2:3], -1, 0
	s_waitcnt vmcnt(0)
	v_cmp_ne_u16_e64 s[0:1], s10, v2
	s_xor_b64 s[0:1], s[2:3], s[0:1]
	v_cndmask_b32_e64 v2, 0, 1, s[0:1]
	v_cmp_ne_u16_e64 s[0:1], s10, v3
	s_xor_b64 s[0:1], s[2:3], s[0:1]
	v_cndmask_b32_e64 v3, 0, 1, s[0:1]
	v_cndmask_b32_e32 v2, 0, v2, vcc
	v_lshlrev_b16_e32 v3, 8, v3
	v_or_b32_e32 v19, 0x100, v0
	v_or_b32_e32 v3, v2, v3
	v_and_b32_e32 v3, 0xffff, v3
	v_cmp_gt_i32_e64 s[0:1], s8, v19
	v_cndmask_b32_e64 v2, v2, v3, s[0:1]
	v_cmp_ne_u16_e64 s[0:1], s10, v6
	s_xor_b64 s[0:1], s[2:3], s[0:1]
	v_or_b32_e32 v3, 0x200, v0
	v_cndmask_b32_e64 v4, 0, 1, s[0:1]
	v_lshl_or_b32 v4, v4, 16, v2
	v_cmp_gt_i32_e64 s[0:1], s8, v3
	v_cndmask_b32_e64 v2, v2, v4, s[0:1]
	v_cmp_ne_u16_e64 s[0:1], s10, v5
	s_xor_b64 s[0:1], s[2:3], s[0:1]
	s_movk_i32 s5, 0xff
	v_cndmask_b32_e64 v5, 0, 1, s[0:1]
	v_and_b32_sdwa v3, v2, s5 dst_sel:DWORD dst_unused:UNUSED_PAD src0_sel:WORD_1 src1_sel:DWORD
	v_lshlrev_b16_e32 v5, 8, v5
	s_mov_b32 s4, 0xffff
	v_or_b32_e32 v4, 0x300, v0
	v_or_b32_sdwa v3, v3, v5 dst_sel:WORD_1 dst_unused:UNUSED_PAD src0_sel:DWORD src1_sel:DWORD
	v_and_or_b32 v3, v2, s4, v3
	v_cmp_gt_i32_e64 s[0:1], s8, v4
	v_cndmask_b32_e64 v5, v2, v3, s[0:1]
	v_cmp_ne_u16_e64 s[0:1], s10, v8
	s_xor_b64 s[0:1], s[2:3], s[0:1]
	v_cndmask_b32_e64 v2, 0, 1, s[0:1]
	v_or_b32_e32 v3, 0x400, v0
	v_and_b32_e32 v2, 0xffff, v2
	v_cmp_gt_i32_e64 s[0:1], s8, v3
	v_cndmask_b32_e64 v2, 0, v2, s[0:1]
	v_cmp_ne_u16_e64 s[0:1], s10, v7
	s_xor_b64 s[0:1], s[2:3], s[0:1]
	v_cndmask_b32_e64 v4, 0, 1, s[0:1]
	v_lshlrev_b16_e32 v4, 8, v4
	v_or_b32_e32 v3, 0x500, v0
	v_or_b32_sdwa v4, v2, v4 dst_sel:DWORD dst_unused:UNUSED_PAD src0_sel:BYTE_0 src1_sel:DWORD
	v_and_b32_e32 v4, 0xffff, v4
	v_cmp_gt_i32_e64 s[0:1], s8, v3
	v_cndmask_b32_e64 v2, v2, v4, s[0:1]
	v_cmp_ne_u16_e64 s[0:1], s10, v10
	s_movk_i32 s7, 0xff00
	s_xor_b64 s[0:1], s[2:3], s[0:1]
	v_and_b32_sdwa v3, v2, s7 dst_sel:DWORD dst_unused:UNUSED_PAD src0_sel:WORD_1 src1_sel:DWORD
	v_cndmask_b32_e64 v4, 0, 1, s[0:1]
	v_or_b32_sdwa v3, v4, v3 dst_sel:WORD_1 dst_unused:UNUSED_PAD src0_sel:DWORD src1_sel:DWORD
	v_or_b32_e32 v4, 0x600, v0
	v_and_or_b32 v3, v2, s4, v3
	v_cmp_gt_i32_e64 s[0:1], s8, v4
	v_cndmask_b32_e64 v2, v2, v3, s[0:1]
	v_cmp_ne_u16_e64 s[0:1], s10, v9
	s_xor_b64 s[0:1], s[2:3], s[0:1]
	v_cndmask_b32_e64 v6, 0, 1, s[0:1]
	v_and_b32_sdwa v3, v2, s5 dst_sel:DWORD dst_unused:UNUSED_PAD src0_sel:WORD_1 src1_sel:DWORD
	v_lshlrev_b16_e32 v6, 8, v6
	v_or_b32_e32 v4, 0x700, v0
	v_or_b32_sdwa v3, v3, v6 dst_sel:WORD_1 dst_unused:UNUSED_PAD src0_sel:DWORD src1_sel:DWORD
	v_and_or_b32 v3, v2, s4, v3
	v_cmp_gt_i32_e64 s[0:1], s8, v4
	v_cndmask_b32_e64 v4, v2, v3, s[0:1]
	v_cmp_ne_u16_e64 s[0:1], s10, v12
	v_or_b32_e32 v2, 0x800, v0
	s_xor_b64 s[0:1], s[2:3], s[0:1]
	v_cndmask_b32_e64 v3, 0, 1, s[0:1]
	v_cmp_gt_i32_e64 s[0:1], s8, v2
	v_cndmask_b32_e64 v2, 0, v3, s[0:1]
	v_cmp_ne_u16_e64 s[0:1], s10, v11
	s_xor_b64 s[0:1], s[2:3], s[0:1]
	v_cndmask_b32_e64 v6, 0, 1, s[0:1]
	v_lshlrev_b16_e32 v6, 8, v6
	v_or_b32_e32 v3, 0x900, v0
	v_or_b32_e32 v6, v2, v6
	v_and_b32_e32 v6, 0xffff, v6
	v_cmp_gt_i32_e64 s[0:1], s8, v3
	v_cndmask_b32_e64 v2, v2, v6, s[0:1]
	v_cmp_ne_u16_e64 s[0:1], s10, v14
	s_xor_b64 s[0:1], s[2:3], s[0:1]
	v_cndmask_b32_e64 v6, 0, 1, s[0:1]
	v_or_b32_e32 v3, 0xa00, v0
	v_lshlrev_b32_e32 v6, 16, v6
	s_movk_i32 s0, 0x1ff
	v_and_or_b32 v6, v2, s0, v6
	v_cmp_gt_i32_e64 s[0:1], s8, v3
	v_cndmask_b32_e64 v2, v2, v6, s[0:1]
	v_cmp_ne_u16_e64 s[0:1], s10, v13
	s_xor_b64 s[0:1], s[2:3], s[0:1]
	v_cndmask_b32_e64 v7, 0, 1, s[0:1]
	v_and_b32_sdwa v3, v2, s5 dst_sel:DWORD dst_unused:UNUSED_PAD src0_sel:WORD_1 src1_sel:DWORD
	v_lshlrev_b16_e32 v7, 8, v7
	v_or_b32_e32 v6, 0xb00, v0
	v_or_b32_sdwa v3, v3, v7 dst_sel:WORD_1 dst_unused:UNUSED_PAD src0_sel:DWORD src1_sel:DWORD
	v_and_or_b32 v3, v2, s4, v3
	v_cmp_gt_i32_e64 s[0:1], s8, v6
	v_cndmask_b32_e64 v3, v2, v3, s[0:1]
	v_cmp_ne_u16_e64 s[0:1], s10, v16
	v_or_b32_e32 v2, 0xc00, v0
	s_xor_b64 s[0:1], s[2:3], s[0:1]
	v_cndmask_b32_e64 v6, 0, 1, s[0:1]
	v_cmp_gt_i32_e64 s[0:1], s8, v2
	v_cndmask_b32_e64 v2, 0, v6, s[0:1]
	v_cmp_ne_u16_e64 s[0:1], s10, v15
	s_xor_b64 s[0:1], s[2:3], s[0:1]
	v_cndmask_b32_e64 v7, 0, 1, s[0:1]
	v_lshlrev_b16_e32 v7, 8, v7
	v_or_b32_e32 v6, 0xd00, v0
	v_or_b32_sdwa v7, v2, v7 dst_sel:DWORD dst_unused:UNUSED_PAD src0_sel:BYTE_0 src1_sel:DWORD
	v_and_b32_e32 v7, 0xffff, v7
	v_cmp_gt_i32_e64 s[0:1], s8, v6
	v_cndmask_b32_e64 v2, v2, v7, s[0:1]
	v_cmp_ne_u16_e64 s[0:1], s10, v18
	s_xor_b64 s[0:1], s[2:3], s[0:1]
	v_and_b32_sdwa v6, v2, s7 dst_sel:DWORD dst_unused:UNUSED_PAD src0_sel:WORD_1 src1_sel:DWORD
	v_cndmask_b32_e64 v7, 0, 1, s[0:1]
	v_or_b32_sdwa v6, v7, v6 dst_sel:WORD_1 dst_unused:UNUSED_PAD src0_sel:DWORD src1_sel:DWORD
	v_or_b32_e32 v7, 0xe00, v0
	v_and_or_b32 v6, v2, s4, v6
	v_cmp_gt_i32_e64 s[0:1], s8, v7
	v_cndmask_b32_e64 v2, v2, v6, s[0:1]
	v_cmp_ne_u16_e64 s[0:1], s10, v17
	s_xor_b64 s[0:1], s[2:3], s[0:1]
	v_cndmask_b32_e64 v8, 0, 1, s[0:1]
	v_and_b32_sdwa v6, v2, s5 dst_sel:DWORD dst_unused:UNUSED_PAD src0_sel:WORD_1 src1_sel:DWORD
	v_lshlrev_b16_e32 v8, 8, v8
	v_or_b32_e32 v7, 0xf00, v0
	v_or_b32_sdwa v6, v6, v8 dst_sel:WORD_1 dst_unused:UNUSED_PAD src0_sel:DWORD src1_sel:DWORD
	v_and_or_b32 v6, v2, s4, v6
	v_cmp_gt_i32_e64 s[0:1], s8, v7
	v_cndmask_b32_e64 v2, v2, v6, s[0:1]
	s_and_saveexec_b64 s[0:1], vcc
	s_cbranch_execnz .LBB334_53
; %bb.36:
	s_or_b64 exec, exec, s[0:1]
	v_cmp_gt_i32_e32 vcc, s8, v0
	s_and_saveexec_b64 s[0:1], vcc
	s_cbranch_execnz .LBB334_54
.LBB334_37:
	s_or_b64 exec, exec, s[0:1]
	v_cmp_gt_i32_e32 vcc, s8, v0
	s_and_saveexec_b64 s[0:1], vcc
	s_cbranch_execnz .LBB334_55
.LBB334_38:
	s_or_b64 exec, exec, s[0:1]
	v_cmp_gt_i32_e32 vcc, s8, v0
	s_and_saveexec_b64 s[0:1], vcc
	s_cbranch_execnz .LBB334_56
.LBB334_39:
	s_or_b64 exec, exec, s[0:1]
	v_cmp_gt_i32_e32 vcc, s8, v0
	s_and_saveexec_b64 s[0:1], vcc
	s_cbranch_execnz .LBB334_57
.LBB334_40:
	s_or_b64 exec, exec, s[0:1]
	v_cmp_gt_i32_e32 vcc, s8, v0
	s_and_saveexec_b64 s[0:1], vcc
	s_cbranch_execnz .LBB334_58
.LBB334_41:
	s_or_b64 exec, exec, s[0:1]
	v_cmp_gt_i32_e32 vcc, s8, v0
	s_and_saveexec_b64 s[0:1], vcc
	s_cbranch_execnz .LBB334_59
.LBB334_42:
	s_or_b64 exec, exec, s[0:1]
	v_cmp_gt_i32_e32 vcc, s8, v0
	s_and_saveexec_b64 s[0:1], vcc
	s_cbranch_execnz .LBB334_60
.LBB334_43:
	s_or_b64 exec, exec, s[0:1]
	v_cmp_gt_i32_e32 vcc, s8, v0
	s_and_saveexec_b64 s[0:1], vcc
	s_cbranch_execnz .LBB334_61
.LBB334_44:
	s_or_b64 exec, exec, s[0:1]
	v_cmp_gt_i32_e32 vcc, s8, v0
	s_and_saveexec_b64 s[0:1], vcc
	s_cbranch_execnz .LBB334_62
.LBB334_45:
	s_or_b64 exec, exec, s[0:1]
	v_cmp_gt_i32_e32 vcc, s8, v0
	s_and_saveexec_b64 s[0:1], vcc
	s_cbranch_execnz .LBB334_63
.LBB334_46:
	s_or_b64 exec, exec, s[0:1]
	v_cmp_gt_i32_e32 vcc, s8, v0
	s_and_saveexec_b64 s[0:1], vcc
	s_cbranch_execnz .LBB334_64
.LBB334_47:
	s_or_b64 exec, exec, s[0:1]
	v_cmp_gt_i32_e32 vcc, s8, v0
	s_and_saveexec_b64 s[0:1], vcc
	s_cbranch_execnz .LBB334_65
.LBB334_48:
	s_or_b64 exec, exec, s[0:1]
	v_cmp_gt_i32_e32 vcc, s8, v0
	s_and_saveexec_b64 s[0:1], vcc
	s_cbranch_execnz .LBB334_66
.LBB334_49:
	s_or_b64 exec, exec, s[0:1]
	v_cmp_gt_i32_e32 vcc, s8, v0
	s_and_saveexec_b64 s[0:1], vcc
	s_cbranch_execnz .LBB334_67
.LBB334_50:
	s_or_b64 exec, exec, s[0:1]
	v_cmp_gt_i32_e32 vcc, s8, v0
	s_and_saveexec_b64 s[0:1], vcc
	s_cbranch_execz .LBB334_52
.LBB334_51:
	v_lshrrev_b32_e32 v1, 24, v2
	v_add_u32_e32 v0, s6, v0
	global_store_byte v0, v1, s[12:13]
.LBB334_52:
	s_endpgm
.LBB334_53:
	v_mov_b32_e32 v0, v19
	global_store_byte v1, v5, s[12:13]
	s_or_b64 exec, exec, s[0:1]
	v_cmp_gt_i32_e32 vcc, s8, v0
	s_and_saveexec_b64 s[0:1], vcc
	s_cbranch_execz .LBB334_37
.LBB334_54:
	v_lshrrev_b32_e32 v1, 8, v5
	v_add_u32_e32 v6, s6, v0
	v_add_u32_e32 v0, 0x100, v0
	global_store_byte v6, v1, s[12:13]
	s_or_b64 exec, exec, s[0:1]
	v_cmp_gt_i32_e32 vcc, s8, v0
	s_and_saveexec_b64 s[0:1], vcc
	s_cbranch_execz .LBB334_38
.LBB334_55:
	v_add_u32_e32 v1, s6, v0
	v_add_u32_e32 v0, 0x100, v0
	global_store_byte_d16_hi v1, v5, s[12:13]
	s_or_b64 exec, exec, s[0:1]
	v_cmp_gt_i32_e32 vcc, s8, v0
	s_and_saveexec_b64 s[0:1], vcc
	s_cbranch_execz .LBB334_39
.LBB334_56:
	v_lshrrev_b32_e32 v1, 24, v5
	v_add_u32_e32 v5, s6, v0
	v_add_u32_e32 v0, 0x100, v0
	global_store_byte v5, v1, s[12:13]
	s_or_b64 exec, exec, s[0:1]
	v_cmp_gt_i32_e32 vcc, s8, v0
	s_and_saveexec_b64 s[0:1], vcc
	s_cbranch_execz .LBB334_40
.LBB334_57:
	v_add_u32_e32 v1, s6, v0
	v_add_u32_e32 v0, 0x100, v0
	global_store_byte v1, v4, s[12:13]
	s_or_b64 exec, exec, s[0:1]
	v_cmp_gt_i32_e32 vcc, s8, v0
	s_and_saveexec_b64 s[0:1], vcc
	s_cbranch_execz .LBB334_41
.LBB334_58:
	v_lshrrev_b32_e32 v1, 8, v4
	v_add_u32_e32 v5, s6, v0
	v_add_u32_e32 v0, 0x100, v0
	global_store_byte v5, v1, s[12:13]
	s_or_b64 exec, exec, s[0:1]
	v_cmp_gt_i32_e32 vcc, s8, v0
	s_and_saveexec_b64 s[0:1], vcc
	s_cbranch_execz .LBB334_42
.LBB334_59:
	v_add_u32_e32 v1, s6, v0
	v_add_u32_e32 v0, 0x100, v0
	global_store_byte_d16_hi v1, v4, s[12:13]
	s_or_b64 exec, exec, s[0:1]
	v_cmp_gt_i32_e32 vcc, s8, v0
	s_and_saveexec_b64 s[0:1], vcc
	s_cbranch_execz .LBB334_43
.LBB334_60:
	v_lshrrev_b32_e32 v1, 24, v4
	v_add_u32_e32 v4, s6, v0
	v_add_u32_e32 v0, 0x100, v0
	global_store_byte v4, v1, s[12:13]
	s_or_b64 exec, exec, s[0:1]
	v_cmp_gt_i32_e32 vcc, s8, v0
	s_and_saveexec_b64 s[0:1], vcc
	s_cbranch_execz .LBB334_44
.LBB334_61:
	v_add_u32_e32 v1, s6, v0
	v_add_u32_e32 v0, 0x100, v0
	global_store_byte v1, v3, s[12:13]
	s_or_b64 exec, exec, s[0:1]
	v_cmp_gt_i32_e32 vcc, s8, v0
	s_and_saveexec_b64 s[0:1], vcc
	s_cbranch_execz .LBB334_45
.LBB334_62:
	v_lshrrev_b32_e32 v1, 8, v3
	v_add_u32_e32 v4, s6, v0
	v_add_u32_e32 v0, 0x100, v0
	global_store_byte v4, v1, s[12:13]
	s_or_b64 exec, exec, s[0:1]
	v_cmp_gt_i32_e32 vcc, s8, v0
	s_and_saveexec_b64 s[0:1], vcc
	s_cbranch_execz .LBB334_46
.LBB334_63:
	v_add_u32_e32 v1, s6, v0
	v_add_u32_e32 v0, 0x100, v0
	global_store_byte_d16_hi v1, v3, s[12:13]
	s_or_b64 exec, exec, s[0:1]
	v_cmp_gt_i32_e32 vcc, s8, v0
	s_and_saveexec_b64 s[0:1], vcc
	s_cbranch_execz .LBB334_47
.LBB334_64:
	v_lshrrev_b32_e32 v1, 24, v3
	v_add_u32_e32 v3, s6, v0
	v_add_u32_e32 v0, 0x100, v0
	global_store_byte v3, v1, s[12:13]
	s_or_b64 exec, exec, s[0:1]
	v_cmp_gt_i32_e32 vcc, s8, v0
	s_and_saveexec_b64 s[0:1], vcc
	s_cbranch_execz .LBB334_48
.LBB334_65:
	v_add_u32_e32 v1, s6, v0
	v_add_u32_e32 v0, 0x100, v0
	global_store_byte v1, v2, s[12:13]
	s_or_b64 exec, exec, s[0:1]
	v_cmp_gt_i32_e32 vcc, s8, v0
	s_and_saveexec_b64 s[0:1], vcc
	s_cbranch_execz .LBB334_49
.LBB334_66:
	v_lshrrev_b32_e32 v1, 8, v2
	v_add_u32_e32 v3, s6, v0
	v_add_u32_e32 v0, 0x100, v0
	global_store_byte v3, v1, s[12:13]
	s_or_b64 exec, exec, s[0:1]
	v_cmp_gt_i32_e32 vcc, s8, v0
	s_and_saveexec_b64 s[0:1], vcc
	s_cbranch_execz .LBB334_50
.LBB334_67:
	v_add_u32_e32 v1, s6, v0
	v_add_u32_e32 v0, 0x100, v0
	global_store_byte_d16_hi v1, v2, s[12:13]
	s_or_b64 exec, exec, s[0:1]
	v_cmp_gt_i32_e32 vcc, s8, v0
	s_and_saveexec_b64 s[0:1], vcc
	s_cbranch_execnz .LBB334_51
	s_branch .LBB334_52
	.section	.rodata,"a",@progbits
	.p2align	6, 0x0
	.amdhsa_kernel _ZN2at6native29vectorized_elementwise_kernelILi8ENS0_13AUnaryFunctorIttbNS0_12_GLOBAL__N_116CompareEqFunctorItEEEESt5arrayIPcLm2EEEEviT0_T1_
		.amdhsa_group_segment_fixed_size 0
		.amdhsa_private_segment_fixed_size 0
		.amdhsa_kernarg_size 32
		.amdhsa_user_sgpr_count 6
		.amdhsa_user_sgpr_private_segment_buffer 1
		.amdhsa_user_sgpr_dispatch_ptr 0
		.amdhsa_user_sgpr_queue_ptr 0
		.amdhsa_user_sgpr_kernarg_segment_ptr 1
		.amdhsa_user_sgpr_dispatch_id 0
		.amdhsa_user_sgpr_flat_scratch_init 0
		.amdhsa_user_sgpr_private_segment_size 0
		.amdhsa_uses_dynamic_stack 0
		.amdhsa_system_sgpr_private_segment_wavefront_offset 0
		.amdhsa_system_sgpr_workgroup_id_x 1
		.amdhsa_system_sgpr_workgroup_id_y 0
		.amdhsa_system_sgpr_workgroup_id_z 0
		.amdhsa_system_sgpr_workgroup_info 0
		.amdhsa_system_vgpr_workitem_id 0
		.amdhsa_next_free_vgpr 21
		.amdhsa_next_free_sgpr 28
		.amdhsa_reserve_vcc 1
		.amdhsa_reserve_flat_scratch 0
		.amdhsa_float_round_mode_32 0
		.amdhsa_float_round_mode_16_64 0
		.amdhsa_float_denorm_mode_32 3
		.amdhsa_float_denorm_mode_16_64 3
		.amdhsa_dx10_clamp 1
		.amdhsa_ieee_mode 1
		.amdhsa_fp16_overflow 0
		.amdhsa_exception_fp_ieee_invalid_op 0
		.amdhsa_exception_fp_denorm_src 0
		.amdhsa_exception_fp_ieee_div_zero 0
		.amdhsa_exception_fp_ieee_overflow 0
		.amdhsa_exception_fp_ieee_underflow 0
		.amdhsa_exception_fp_ieee_inexact 0
		.amdhsa_exception_int_div_zero 0
	.end_amdhsa_kernel
	.section	.text._ZN2at6native29vectorized_elementwise_kernelILi8ENS0_13AUnaryFunctorIttbNS0_12_GLOBAL__N_116CompareEqFunctorItEEEESt5arrayIPcLm2EEEEviT0_T1_,"axG",@progbits,_ZN2at6native29vectorized_elementwise_kernelILi8ENS0_13AUnaryFunctorIttbNS0_12_GLOBAL__N_116CompareEqFunctorItEEEESt5arrayIPcLm2EEEEviT0_T1_,comdat
.Lfunc_end334:
	.size	_ZN2at6native29vectorized_elementwise_kernelILi8ENS0_13AUnaryFunctorIttbNS0_12_GLOBAL__N_116CompareEqFunctorItEEEESt5arrayIPcLm2EEEEviT0_T1_, .Lfunc_end334-_ZN2at6native29vectorized_elementwise_kernelILi8ENS0_13AUnaryFunctorIttbNS0_12_GLOBAL__N_116CompareEqFunctorItEEEESt5arrayIPcLm2EEEEviT0_T1_
                                        ; -- End function
	.set _ZN2at6native29vectorized_elementwise_kernelILi8ENS0_13AUnaryFunctorIttbNS0_12_GLOBAL__N_116CompareEqFunctorItEEEESt5arrayIPcLm2EEEEviT0_T1_.num_vgpr, 21
	.set _ZN2at6native29vectorized_elementwise_kernelILi8ENS0_13AUnaryFunctorIttbNS0_12_GLOBAL__N_116CompareEqFunctorItEEEESt5arrayIPcLm2EEEEviT0_T1_.num_agpr, 0
	.set _ZN2at6native29vectorized_elementwise_kernelILi8ENS0_13AUnaryFunctorIttbNS0_12_GLOBAL__N_116CompareEqFunctorItEEEESt5arrayIPcLm2EEEEviT0_T1_.numbered_sgpr, 28
	.set _ZN2at6native29vectorized_elementwise_kernelILi8ENS0_13AUnaryFunctorIttbNS0_12_GLOBAL__N_116CompareEqFunctorItEEEESt5arrayIPcLm2EEEEviT0_T1_.num_named_barrier, 0
	.set _ZN2at6native29vectorized_elementwise_kernelILi8ENS0_13AUnaryFunctorIttbNS0_12_GLOBAL__N_116CompareEqFunctorItEEEESt5arrayIPcLm2EEEEviT0_T1_.private_seg_size, 0
	.set _ZN2at6native29vectorized_elementwise_kernelILi8ENS0_13AUnaryFunctorIttbNS0_12_GLOBAL__N_116CompareEqFunctorItEEEESt5arrayIPcLm2EEEEviT0_T1_.uses_vcc, 1
	.set _ZN2at6native29vectorized_elementwise_kernelILi8ENS0_13AUnaryFunctorIttbNS0_12_GLOBAL__N_116CompareEqFunctorItEEEESt5arrayIPcLm2EEEEviT0_T1_.uses_flat_scratch, 0
	.set _ZN2at6native29vectorized_elementwise_kernelILi8ENS0_13AUnaryFunctorIttbNS0_12_GLOBAL__N_116CompareEqFunctorItEEEESt5arrayIPcLm2EEEEviT0_T1_.has_dyn_sized_stack, 0
	.set _ZN2at6native29vectorized_elementwise_kernelILi8ENS0_13AUnaryFunctorIttbNS0_12_GLOBAL__N_116CompareEqFunctorItEEEESt5arrayIPcLm2EEEEviT0_T1_.has_recursion, 0
	.set _ZN2at6native29vectorized_elementwise_kernelILi8ENS0_13AUnaryFunctorIttbNS0_12_GLOBAL__N_116CompareEqFunctorItEEEESt5arrayIPcLm2EEEEviT0_T1_.has_indirect_call, 0
	.section	.AMDGPU.csdata,"",@progbits
; Kernel info:
; codeLenInByte = 3588
; TotalNumSgprs: 32
; NumVgprs: 21
; ScratchSize: 0
; MemoryBound: 0
; FloatMode: 240
; IeeeMode: 1
; LDSByteSize: 0 bytes/workgroup (compile time only)
; SGPRBlocks: 3
; VGPRBlocks: 5
; NumSGPRsForWavesPerEU: 32
; NumVGPRsForWavesPerEU: 21
; Occupancy: 10
; WaveLimiterHint : 1
; COMPUTE_PGM_RSRC2:SCRATCH_EN: 0
; COMPUTE_PGM_RSRC2:USER_SGPR: 6
; COMPUTE_PGM_RSRC2:TRAP_HANDLER: 0
; COMPUTE_PGM_RSRC2:TGID_X_EN: 1
; COMPUTE_PGM_RSRC2:TGID_Y_EN: 0
; COMPUTE_PGM_RSRC2:TGID_Z_EN: 0
; COMPUTE_PGM_RSRC2:TIDIG_COMP_CNT: 0
	.section	.text._ZN2at6native29vectorized_elementwise_kernelILi4ENS0_13AUnaryFunctorIttbNS0_12_GLOBAL__N_116CompareEqFunctorItEEEESt5arrayIPcLm2EEEEviT0_T1_,"axG",@progbits,_ZN2at6native29vectorized_elementwise_kernelILi4ENS0_13AUnaryFunctorIttbNS0_12_GLOBAL__N_116CompareEqFunctorItEEEESt5arrayIPcLm2EEEEviT0_T1_,comdat
	.globl	_ZN2at6native29vectorized_elementwise_kernelILi4ENS0_13AUnaryFunctorIttbNS0_12_GLOBAL__N_116CompareEqFunctorItEEEESt5arrayIPcLm2EEEEviT0_T1_ ; -- Begin function _ZN2at6native29vectorized_elementwise_kernelILi4ENS0_13AUnaryFunctorIttbNS0_12_GLOBAL__N_116CompareEqFunctorItEEEESt5arrayIPcLm2EEEEviT0_T1_
	.p2align	8
	.type	_ZN2at6native29vectorized_elementwise_kernelILi4ENS0_13AUnaryFunctorIttbNS0_12_GLOBAL__N_116CompareEqFunctorItEEEESt5arrayIPcLm2EEEEviT0_T1_,@function
_ZN2at6native29vectorized_elementwise_kernelILi4ENS0_13AUnaryFunctorIttbNS0_12_GLOBAL__N_116CompareEqFunctorItEEEESt5arrayIPcLm2EEEEviT0_T1_: ; @_ZN2at6native29vectorized_elementwise_kernelILi4ENS0_13AUnaryFunctorIttbNS0_12_GLOBAL__N_116CompareEqFunctorItEEEESt5arrayIPcLm2EEEEviT0_T1_
; %bb.0:
	s_load_dwordx8 s[8:15], s[4:5], 0x0
	s_lshl_b32 s6, s6, 12
	s_mov_b64 s[0:1], -1
	s_waitcnt lgkmcnt(0)
	s_sub_i32 s8, s8, s6
	s_cmpk_gt_i32 s8, 0xfff
	s_cbranch_scc0 .LBB335_2
; %bb.1:
	s_ashr_i32 s7, s6, 31
	s_lshl_b64 s[0:1], s[6:7], 1
	s_add_u32 s0, s14, s0
	s_addc_u32 s1, s15, s1
	v_lshlrev_b32_e32 v5, 3, v0
	global_load_dwordx2 v[1:2], v5, s[0:1]
	global_load_dwordx2 v[3:4], v5, s[0:1] offset:2048
	v_mov_b32_e32 v6, s1
	v_add_co_u32_e32 v5, vcc, s0, v5
	v_addc_co_u32_e32 v6, vcc, 0, v6, vcc
	v_add_co_u32_e32 v5, vcc, 0x1000, v5
	v_addc_co_u32_e32 v6, vcc, 0, v6, vcc
	global_load_dwordx2 v[7:8], v[5:6], off
	global_load_dwordx2 v[9:10], v[5:6], off offset:2048
	s_cmp_eq_u32 s9, 0
	s_cselect_b64 s[16:17], -1, 0
	v_lshlrev_b32_e32 v5, 2, v0
	s_waitcnt vmcnt(3)
	v_cmp_ne_u16_e64 s[0:1], s10, v2
	v_cmp_ne_u16_sdwa s[20:21], v2, s10 src0_sel:WORD_1 src1_sel:DWORD
	s_xor_b64 s[0:1], s[16:17], s[0:1]
	s_waitcnt vmcnt(2)
	v_cmp_ne_u16_e64 s[2:3], s10, v3
	v_cmp_ne_u16_sdwa s[22:23], v3, s10 src0_sel:WORD_1 src1_sel:DWORD
	v_cndmask_b32_e64 v3, 0, 1, s[0:1]
	s_xor_b64 s[0:1], s[16:17], s[20:21]
	v_cmp_ne_u16_e64 s[4:5], s10, v4
	v_cmp_ne_u16_sdwa s[24:25], v4, s10 src0_sel:WORD_1 src1_sel:DWORD
	v_cndmask_b32_e64 v4, 0, 1, s[0:1]
	s_xor_b64 s[0:1], s[16:17], s[2:3]
	v_cndmask_b32_e64 v6, 0, 1, s[0:1]
	s_xor_b64 s[0:1], s[16:17], s[22:23]
	;; [unrolled: 2-line block ×4, first 2 shown]
	v_cndmask_b32_e64 v13, 0, 1, s[0:1]
	s_waitcnt vmcnt(1)
	v_cmp_ne_u16_e64 s[0:1], s10, v8
	v_cmp_ne_u16_sdwa s[20:21], v8, s10 src0_sel:WORD_1 src1_sel:DWORD
	s_xor_b64 s[0:1], s[16:17], s[0:1]
	s_waitcnt vmcnt(0)
	v_cmp_ne_u16_e64 s[2:3], s10, v9
	v_cndmask_b32_e64 v8, 0, 1, s[0:1]
	s_xor_b64 s[0:1], s[16:17], s[20:21]
	v_cmp_ne_u16_sdwa s[18:19], v1, s10 src0_sel:WORD_1 src1_sel:DWORD
	v_cmp_ne_u16_sdwa s[22:23], v9, s10 src0_sel:WORD_1 src1_sel:DWORD
	v_cndmask_b32_e64 v9, 0, 1, s[0:1]
	s_xor_b64 s[0:1], s[16:17], s[2:3]
	v_cmp_ne_u16_e32 vcc, s10, v1
	s_xor_b64 s[18:19], s[16:17], s[18:19]
	v_lshlrev_b16_e32 v11, 8, v11
	v_cmp_ne_u16_e64 s[4:5], s10, v10
	v_cmp_ne_u16_sdwa s[24:25], v10, s10 src0_sel:WORD_1 src1_sel:DWORD
	v_cndmask_b32_e64 v10, 0, 1, s[0:1]
	s_xor_b64 s[0:1], s[16:17], s[22:23]
	s_xor_b64 s[26:27], s[16:17], vcc
	v_cndmask_b32_e64 v2, 0, 1, s[18:19]
	v_lshlrev_b16_e32 v13, 8, v13
	v_cmp_ne_u16_sdwa s[18:19], v7, s10 src0_sel:WORD_1 src1_sel:DWORD
	v_or_b32_e32 v6, v6, v11
	v_cndmask_b32_e64 v11, 0, 1, s[0:1]
	s_xor_b64 s[0:1], s[16:17], s[4:5]
	v_cndmask_b32_e64 v1, 0, 1, s[26:27]
	v_lshlrev_b16_e32 v2, 8, v2
	v_lshlrev_b16_e32 v4, 8, v4
	v_cmp_ne_u16_e32 vcc, s10, v7
	v_or_b32_sdwa v7, v12, v13 dst_sel:WORD_1 dst_unused:UNUSED_PAD src0_sel:DWORD src1_sel:DWORD
	s_xor_b64 s[18:19], s[16:17], s[18:19]
	v_cndmask_b32_e64 v12, 0, 1, s[0:1]
	s_xor_b64 s[0:1], s[16:17], s[24:25]
	v_or_b32_e32 v1, v1, v2
	v_or_b32_sdwa v2, v3, v4 dst_sel:WORD_1 dst_unused:UNUSED_PAD src0_sel:DWORD src1_sel:DWORD
	s_xor_b64 s[26:27], s[16:17], vcc
	v_cndmask_b32_e64 v4, 0, 1, s[18:19]
	v_cndmask_b32_e64 v13, 0, 1, s[0:1]
	;; [unrolled: 1-line block ×3, first 2 shown]
	v_or_b32_sdwa v6, v6, v7 dst_sel:DWORD dst_unused:UNUSED_PAD src0_sel:WORD_0 src1_sel:DWORD
	v_or_b32_sdwa v1, v1, v2 dst_sel:DWORD dst_unused:UNUSED_PAD src0_sel:WORD_0 src1_sel:DWORD
	v_lshlrev_b16_e32 v2, 8, v11
	v_lshlrev_b16_e32 v7, 8, v13
	;; [unrolled: 1-line block ×4, first 2 shown]
	s_add_u32 s0, s12, s6
	v_or_b32_e32 v2, v10, v2
	v_or_b32_sdwa v7, v12, v7 dst_sel:WORD_1 dst_unused:UNUSED_PAD src0_sel:DWORD src1_sel:DWORD
	v_or_b32_e32 v3, v3, v4
	v_or_b32_sdwa v4, v8, v9 dst_sel:WORD_1 dst_unused:UNUSED_PAD src0_sel:DWORD src1_sel:DWORD
	s_addc_u32 s1, s13, s7
	v_or_b32_sdwa v2, v2, v7 dst_sel:DWORD dst_unused:UNUSED_PAD src0_sel:WORD_0 src1_sel:DWORD
	v_or_b32_sdwa v3, v3, v4 dst_sel:DWORD dst_unused:UNUSED_PAD src0_sel:WORD_0 src1_sel:DWORD
	global_store_dword v5, v1, s[0:1]
	global_store_dword v5, v6, s[0:1] offset:1024
	global_store_dword v5, v3, s[0:1] offset:2048
	;; [unrolled: 1-line block ×3, first 2 shown]
	s_mov_b64 s[0:1], 0
.LBB335_2:
	s_andn2_b64 vcc, exec, s[0:1]
	s_cbranch_vccnz .LBB335_52
; %bb.3:
	v_cmp_gt_i32_e32 vcc, s8, v0
	v_mov_b32_e32 v3, 0
	v_or_b32_e32 v1, s6, v0
	v_mov_b32_e32 v2, 0
	v_mov_b32_e32 v4, v0
	s_and_saveexec_b64 s[2:3], vcc
	s_cbranch_execz .LBB335_5
; %bb.4:
	v_mov_b32_e32 v2, 0
	v_lshlrev_b64 v[4:5], 1, v[1:2]
	v_mov_b32_e32 v2, s15
	v_add_co_u32_e64 v4, s[0:1], s14, v4
	v_addc_co_u32_e64 v5, s[0:1], v2, v5, s[0:1]
	global_load_ushort v2, v[4:5], off
	v_or_b32_e32 v4, 0x100, v0
.LBB335_5:
	s_or_b64 exec, exec, s[2:3]
	v_cmp_gt_i32_e64 s[0:1], s8, v4
	s_and_saveexec_b64 s[2:3], s[0:1]
	s_cbranch_execz .LBB335_7
; %bb.6:
	v_add_u32_e32 v5, s6, v4
	v_mov_b32_e32 v6, 0
	v_lshlrev_b64 v[5:6], 1, v[5:6]
	v_mov_b32_e32 v3, s15
	v_add_co_u32_e64 v5, s[0:1], s14, v5
	v_addc_co_u32_e64 v6, s[0:1], v3, v6, s[0:1]
	global_load_ushort v3, v[5:6], off
	v_add_u32_e32 v4, 0x100, v4
.LBB335_7:
	s_or_b64 exec, exec, s[2:3]
	v_cmp_gt_i32_e64 s[0:1], s8, v4
	v_mov_b32_e32 v5, 0
	v_mov_b32_e32 v6, 0
	s_and_saveexec_b64 s[2:3], s[0:1]
	s_cbranch_execz .LBB335_9
; %bb.8:
	v_add_u32_e32 v6, s6, v4
	v_mov_b32_e32 v7, 0
	v_lshlrev_b64 v[6:7], 1, v[6:7]
	v_mov_b32_e32 v8, s15
	v_add_co_u32_e64 v6, s[0:1], s14, v6
	v_addc_co_u32_e64 v7, s[0:1], v8, v7, s[0:1]
	global_load_ushort v6, v[6:7], off
	v_add_u32_e32 v4, 0x100, v4
.LBB335_9:
	s_or_b64 exec, exec, s[2:3]
	v_cmp_gt_i32_e64 s[0:1], s8, v4
	s_and_saveexec_b64 s[2:3], s[0:1]
	s_cbranch_execz .LBB335_11
; %bb.10:
	v_add_u32_e32 v7, s6, v4
	v_mov_b32_e32 v8, 0
	v_lshlrev_b64 v[7:8], 1, v[7:8]
	v_mov_b32_e32 v5, s15
	v_add_co_u32_e64 v7, s[0:1], s14, v7
	v_addc_co_u32_e64 v8, s[0:1], v5, v8, s[0:1]
	global_load_ushort v5, v[7:8], off
	v_add_u32_e32 v4, 0x100, v4
.LBB335_11:
	s_or_b64 exec, exec, s[2:3]
	v_cmp_gt_i32_e64 s[0:1], s8, v4
	v_mov_b32_e32 v7, 0
	v_mov_b32_e32 v8, 0
	s_and_saveexec_b64 s[2:3], s[0:1]
	s_cbranch_execz .LBB335_13
; %bb.12:
	v_add_u32_e32 v8, s6, v4
	v_mov_b32_e32 v9, 0
	v_lshlrev_b64 v[8:9], 1, v[8:9]
	v_mov_b32_e32 v10, s15
	v_add_co_u32_e64 v8, s[0:1], s14, v8
	v_addc_co_u32_e64 v9, s[0:1], v10, v9, s[0:1]
	global_load_ushort v8, v[8:9], off
	v_add_u32_e32 v4, 0x100, v4
.LBB335_13:
	;; [unrolled: 30-line block ×7, first 2 shown]
	s_or_b64 exec, exec, s[2:3]
	v_cmp_gt_i32_e64 s[0:1], s8, v4
	s_and_saveexec_b64 s[2:3], s[0:1]
	s_cbranch_execz .LBB335_35
; %bb.34:
	v_add_u32_e32 v19, s6, v4
	v_mov_b32_e32 v20, 0
	v_lshlrev_b64 v[19:20], 1, v[19:20]
	v_mov_b32_e32 v4, s15
	v_add_co_u32_e64 v19, s[0:1], s14, v19
	v_addc_co_u32_e64 v20, s[0:1], v4, v20, s[0:1]
	global_load_ushort v17, v[19:20], off
.LBB335_35:
	s_or_b64 exec, exec, s[2:3]
	s_cmp_eq_u32 s9, 0
	s_cselect_b64 s[2:3], -1, 0
	s_waitcnt vmcnt(0)
	v_cmp_ne_u16_e64 s[0:1], s10, v2
	s_xor_b64 s[0:1], s[2:3], s[0:1]
	v_cndmask_b32_e64 v2, 0, 1, s[0:1]
	v_cmp_ne_u16_e64 s[0:1], s10, v3
	s_xor_b64 s[0:1], s[2:3], s[0:1]
	v_cndmask_b32_e64 v3, 0, 1, s[0:1]
	v_cndmask_b32_e32 v2, 0, v2, vcc
	v_lshlrev_b16_e32 v3, 8, v3
	v_or_b32_e32 v19, 0x100, v0
	v_or_b32_e32 v3, v2, v3
	v_and_b32_e32 v3, 0xffff, v3
	v_cmp_gt_i32_e64 s[0:1], s8, v19
	v_cndmask_b32_e64 v2, v2, v3, s[0:1]
	v_cmp_ne_u16_e64 s[0:1], s10, v6
	s_xor_b64 s[0:1], s[2:3], s[0:1]
	v_or_b32_e32 v3, 0x200, v0
	v_cndmask_b32_e64 v4, 0, 1, s[0:1]
	v_lshl_or_b32 v4, v4, 16, v2
	v_cmp_gt_i32_e64 s[0:1], s8, v3
	v_cndmask_b32_e64 v2, v2, v4, s[0:1]
	v_cmp_ne_u16_e64 s[0:1], s10, v5
	s_xor_b64 s[0:1], s[2:3], s[0:1]
	s_movk_i32 s5, 0xff
	v_cndmask_b32_e64 v5, 0, 1, s[0:1]
	v_and_b32_sdwa v3, v2, s5 dst_sel:DWORD dst_unused:UNUSED_PAD src0_sel:WORD_1 src1_sel:DWORD
	v_lshlrev_b16_e32 v5, 8, v5
	s_mov_b32 s4, 0xffff
	v_or_b32_e32 v4, 0x300, v0
	v_or_b32_sdwa v3, v3, v5 dst_sel:WORD_1 dst_unused:UNUSED_PAD src0_sel:DWORD src1_sel:DWORD
	v_and_or_b32 v3, v2, s4, v3
	v_cmp_gt_i32_e64 s[0:1], s8, v4
	v_cndmask_b32_e64 v5, v2, v3, s[0:1]
	v_cmp_ne_u16_e64 s[0:1], s10, v8
	s_xor_b64 s[0:1], s[2:3], s[0:1]
	v_cndmask_b32_e64 v2, 0, 1, s[0:1]
	v_or_b32_e32 v3, 0x400, v0
	v_and_b32_e32 v2, 0xffff, v2
	v_cmp_gt_i32_e64 s[0:1], s8, v3
	v_cndmask_b32_e64 v2, 0, v2, s[0:1]
	v_cmp_ne_u16_e64 s[0:1], s10, v7
	s_xor_b64 s[0:1], s[2:3], s[0:1]
	v_cndmask_b32_e64 v4, 0, 1, s[0:1]
	v_lshlrev_b16_e32 v4, 8, v4
	v_or_b32_e32 v3, 0x500, v0
	v_or_b32_sdwa v4, v2, v4 dst_sel:DWORD dst_unused:UNUSED_PAD src0_sel:BYTE_0 src1_sel:DWORD
	v_and_b32_e32 v4, 0xffff, v4
	v_cmp_gt_i32_e64 s[0:1], s8, v3
	v_cndmask_b32_e64 v2, v2, v4, s[0:1]
	v_cmp_ne_u16_e64 s[0:1], s10, v10
	s_movk_i32 s7, 0xff00
	s_xor_b64 s[0:1], s[2:3], s[0:1]
	v_and_b32_sdwa v3, v2, s7 dst_sel:DWORD dst_unused:UNUSED_PAD src0_sel:WORD_1 src1_sel:DWORD
	v_cndmask_b32_e64 v4, 0, 1, s[0:1]
	v_or_b32_sdwa v3, v4, v3 dst_sel:WORD_1 dst_unused:UNUSED_PAD src0_sel:DWORD src1_sel:DWORD
	v_or_b32_e32 v4, 0x600, v0
	v_and_or_b32 v3, v2, s4, v3
	v_cmp_gt_i32_e64 s[0:1], s8, v4
	v_cndmask_b32_e64 v2, v2, v3, s[0:1]
	v_cmp_ne_u16_e64 s[0:1], s10, v9
	s_xor_b64 s[0:1], s[2:3], s[0:1]
	v_cndmask_b32_e64 v6, 0, 1, s[0:1]
	v_and_b32_sdwa v3, v2, s5 dst_sel:DWORD dst_unused:UNUSED_PAD src0_sel:WORD_1 src1_sel:DWORD
	v_lshlrev_b16_e32 v6, 8, v6
	v_or_b32_e32 v4, 0x700, v0
	v_or_b32_sdwa v3, v3, v6 dst_sel:WORD_1 dst_unused:UNUSED_PAD src0_sel:DWORD src1_sel:DWORD
	v_and_or_b32 v3, v2, s4, v3
	v_cmp_gt_i32_e64 s[0:1], s8, v4
	v_cndmask_b32_e64 v4, v2, v3, s[0:1]
	v_cmp_ne_u16_e64 s[0:1], s10, v12
	v_or_b32_e32 v2, 0x800, v0
	s_xor_b64 s[0:1], s[2:3], s[0:1]
	v_cndmask_b32_e64 v3, 0, 1, s[0:1]
	v_cmp_gt_i32_e64 s[0:1], s8, v2
	v_cndmask_b32_e64 v2, 0, v3, s[0:1]
	v_cmp_ne_u16_e64 s[0:1], s10, v11
	s_xor_b64 s[0:1], s[2:3], s[0:1]
	v_cndmask_b32_e64 v6, 0, 1, s[0:1]
	v_lshlrev_b16_e32 v6, 8, v6
	v_or_b32_e32 v3, 0x900, v0
	v_or_b32_e32 v6, v2, v6
	v_and_b32_e32 v6, 0xffff, v6
	v_cmp_gt_i32_e64 s[0:1], s8, v3
	v_cndmask_b32_e64 v2, v2, v6, s[0:1]
	v_cmp_ne_u16_e64 s[0:1], s10, v14
	s_xor_b64 s[0:1], s[2:3], s[0:1]
	v_cndmask_b32_e64 v6, 0, 1, s[0:1]
	v_or_b32_e32 v3, 0xa00, v0
	v_lshlrev_b32_e32 v6, 16, v6
	s_movk_i32 s0, 0x1ff
	v_and_or_b32 v6, v2, s0, v6
	v_cmp_gt_i32_e64 s[0:1], s8, v3
	v_cndmask_b32_e64 v2, v2, v6, s[0:1]
	v_cmp_ne_u16_e64 s[0:1], s10, v13
	s_xor_b64 s[0:1], s[2:3], s[0:1]
	v_cndmask_b32_e64 v7, 0, 1, s[0:1]
	v_and_b32_sdwa v3, v2, s5 dst_sel:DWORD dst_unused:UNUSED_PAD src0_sel:WORD_1 src1_sel:DWORD
	v_lshlrev_b16_e32 v7, 8, v7
	v_or_b32_e32 v6, 0xb00, v0
	v_or_b32_sdwa v3, v3, v7 dst_sel:WORD_1 dst_unused:UNUSED_PAD src0_sel:DWORD src1_sel:DWORD
	v_and_or_b32 v3, v2, s4, v3
	v_cmp_gt_i32_e64 s[0:1], s8, v6
	v_cndmask_b32_e64 v3, v2, v3, s[0:1]
	v_cmp_ne_u16_e64 s[0:1], s10, v16
	v_or_b32_e32 v2, 0xc00, v0
	s_xor_b64 s[0:1], s[2:3], s[0:1]
	v_cndmask_b32_e64 v6, 0, 1, s[0:1]
	v_cmp_gt_i32_e64 s[0:1], s8, v2
	v_cndmask_b32_e64 v2, 0, v6, s[0:1]
	v_cmp_ne_u16_e64 s[0:1], s10, v15
	s_xor_b64 s[0:1], s[2:3], s[0:1]
	v_cndmask_b32_e64 v7, 0, 1, s[0:1]
	v_lshlrev_b16_e32 v7, 8, v7
	v_or_b32_e32 v6, 0xd00, v0
	v_or_b32_sdwa v7, v2, v7 dst_sel:DWORD dst_unused:UNUSED_PAD src0_sel:BYTE_0 src1_sel:DWORD
	v_and_b32_e32 v7, 0xffff, v7
	v_cmp_gt_i32_e64 s[0:1], s8, v6
	v_cndmask_b32_e64 v2, v2, v7, s[0:1]
	v_cmp_ne_u16_e64 s[0:1], s10, v18
	s_xor_b64 s[0:1], s[2:3], s[0:1]
	v_and_b32_sdwa v6, v2, s7 dst_sel:DWORD dst_unused:UNUSED_PAD src0_sel:WORD_1 src1_sel:DWORD
	v_cndmask_b32_e64 v7, 0, 1, s[0:1]
	v_or_b32_sdwa v6, v7, v6 dst_sel:WORD_1 dst_unused:UNUSED_PAD src0_sel:DWORD src1_sel:DWORD
	v_or_b32_e32 v7, 0xe00, v0
	v_and_or_b32 v6, v2, s4, v6
	v_cmp_gt_i32_e64 s[0:1], s8, v7
	v_cndmask_b32_e64 v2, v2, v6, s[0:1]
	v_cmp_ne_u16_e64 s[0:1], s10, v17
	s_xor_b64 s[0:1], s[2:3], s[0:1]
	v_cndmask_b32_e64 v8, 0, 1, s[0:1]
	v_and_b32_sdwa v6, v2, s5 dst_sel:DWORD dst_unused:UNUSED_PAD src0_sel:WORD_1 src1_sel:DWORD
	v_lshlrev_b16_e32 v8, 8, v8
	v_or_b32_e32 v7, 0xf00, v0
	v_or_b32_sdwa v6, v6, v8 dst_sel:WORD_1 dst_unused:UNUSED_PAD src0_sel:DWORD src1_sel:DWORD
	v_and_or_b32 v6, v2, s4, v6
	v_cmp_gt_i32_e64 s[0:1], s8, v7
	v_cndmask_b32_e64 v2, v2, v6, s[0:1]
	s_and_saveexec_b64 s[0:1], vcc
	s_cbranch_execnz .LBB335_53
; %bb.36:
	s_or_b64 exec, exec, s[0:1]
	v_cmp_gt_i32_e32 vcc, s8, v0
	s_and_saveexec_b64 s[0:1], vcc
	s_cbranch_execnz .LBB335_54
.LBB335_37:
	s_or_b64 exec, exec, s[0:1]
	v_cmp_gt_i32_e32 vcc, s8, v0
	s_and_saveexec_b64 s[0:1], vcc
	s_cbranch_execnz .LBB335_55
.LBB335_38:
	s_or_b64 exec, exec, s[0:1]
	v_cmp_gt_i32_e32 vcc, s8, v0
	s_and_saveexec_b64 s[0:1], vcc
	s_cbranch_execnz .LBB335_56
.LBB335_39:
	s_or_b64 exec, exec, s[0:1]
	v_cmp_gt_i32_e32 vcc, s8, v0
	s_and_saveexec_b64 s[0:1], vcc
	s_cbranch_execnz .LBB335_57
.LBB335_40:
	s_or_b64 exec, exec, s[0:1]
	v_cmp_gt_i32_e32 vcc, s8, v0
	s_and_saveexec_b64 s[0:1], vcc
	s_cbranch_execnz .LBB335_58
.LBB335_41:
	s_or_b64 exec, exec, s[0:1]
	v_cmp_gt_i32_e32 vcc, s8, v0
	s_and_saveexec_b64 s[0:1], vcc
	s_cbranch_execnz .LBB335_59
.LBB335_42:
	s_or_b64 exec, exec, s[0:1]
	v_cmp_gt_i32_e32 vcc, s8, v0
	s_and_saveexec_b64 s[0:1], vcc
	s_cbranch_execnz .LBB335_60
.LBB335_43:
	s_or_b64 exec, exec, s[0:1]
	v_cmp_gt_i32_e32 vcc, s8, v0
	s_and_saveexec_b64 s[0:1], vcc
	s_cbranch_execnz .LBB335_61
.LBB335_44:
	s_or_b64 exec, exec, s[0:1]
	v_cmp_gt_i32_e32 vcc, s8, v0
	s_and_saveexec_b64 s[0:1], vcc
	s_cbranch_execnz .LBB335_62
.LBB335_45:
	s_or_b64 exec, exec, s[0:1]
	v_cmp_gt_i32_e32 vcc, s8, v0
	s_and_saveexec_b64 s[0:1], vcc
	s_cbranch_execnz .LBB335_63
.LBB335_46:
	s_or_b64 exec, exec, s[0:1]
	v_cmp_gt_i32_e32 vcc, s8, v0
	s_and_saveexec_b64 s[0:1], vcc
	s_cbranch_execnz .LBB335_64
.LBB335_47:
	s_or_b64 exec, exec, s[0:1]
	v_cmp_gt_i32_e32 vcc, s8, v0
	s_and_saveexec_b64 s[0:1], vcc
	s_cbranch_execnz .LBB335_65
.LBB335_48:
	s_or_b64 exec, exec, s[0:1]
	v_cmp_gt_i32_e32 vcc, s8, v0
	s_and_saveexec_b64 s[0:1], vcc
	s_cbranch_execnz .LBB335_66
.LBB335_49:
	s_or_b64 exec, exec, s[0:1]
	v_cmp_gt_i32_e32 vcc, s8, v0
	s_and_saveexec_b64 s[0:1], vcc
	s_cbranch_execnz .LBB335_67
.LBB335_50:
	s_or_b64 exec, exec, s[0:1]
	v_cmp_gt_i32_e32 vcc, s8, v0
	s_and_saveexec_b64 s[0:1], vcc
	s_cbranch_execz .LBB335_52
.LBB335_51:
	v_lshrrev_b32_e32 v1, 24, v2
	v_add_u32_e32 v0, s6, v0
	global_store_byte v0, v1, s[12:13]
.LBB335_52:
	s_endpgm
.LBB335_53:
	v_mov_b32_e32 v0, v19
	global_store_byte v1, v5, s[12:13]
	s_or_b64 exec, exec, s[0:1]
	v_cmp_gt_i32_e32 vcc, s8, v0
	s_and_saveexec_b64 s[0:1], vcc
	s_cbranch_execz .LBB335_37
.LBB335_54:
	v_lshrrev_b32_e32 v1, 8, v5
	v_add_u32_e32 v6, s6, v0
	v_add_u32_e32 v0, 0x100, v0
	global_store_byte v6, v1, s[12:13]
	s_or_b64 exec, exec, s[0:1]
	v_cmp_gt_i32_e32 vcc, s8, v0
	s_and_saveexec_b64 s[0:1], vcc
	s_cbranch_execz .LBB335_38
.LBB335_55:
	v_add_u32_e32 v1, s6, v0
	v_add_u32_e32 v0, 0x100, v0
	global_store_byte_d16_hi v1, v5, s[12:13]
	s_or_b64 exec, exec, s[0:1]
	v_cmp_gt_i32_e32 vcc, s8, v0
	s_and_saveexec_b64 s[0:1], vcc
	s_cbranch_execz .LBB335_39
.LBB335_56:
	v_lshrrev_b32_e32 v1, 24, v5
	v_add_u32_e32 v5, s6, v0
	v_add_u32_e32 v0, 0x100, v0
	global_store_byte v5, v1, s[12:13]
	s_or_b64 exec, exec, s[0:1]
	v_cmp_gt_i32_e32 vcc, s8, v0
	s_and_saveexec_b64 s[0:1], vcc
	s_cbranch_execz .LBB335_40
.LBB335_57:
	v_add_u32_e32 v1, s6, v0
	v_add_u32_e32 v0, 0x100, v0
	global_store_byte v1, v4, s[12:13]
	s_or_b64 exec, exec, s[0:1]
	v_cmp_gt_i32_e32 vcc, s8, v0
	s_and_saveexec_b64 s[0:1], vcc
	s_cbranch_execz .LBB335_41
.LBB335_58:
	v_lshrrev_b32_e32 v1, 8, v4
	v_add_u32_e32 v5, s6, v0
	v_add_u32_e32 v0, 0x100, v0
	global_store_byte v5, v1, s[12:13]
	s_or_b64 exec, exec, s[0:1]
	v_cmp_gt_i32_e32 vcc, s8, v0
	s_and_saveexec_b64 s[0:1], vcc
	s_cbranch_execz .LBB335_42
.LBB335_59:
	v_add_u32_e32 v1, s6, v0
	v_add_u32_e32 v0, 0x100, v0
	global_store_byte_d16_hi v1, v4, s[12:13]
	s_or_b64 exec, exec, s[0:1]
	v_cmp_gt_i32_e32 vcc, s8, v0
	s_and_saveexec_b64 s[0:1], vcc
	s_cbranch_execz .LBB335_43
.LBB335_60:
	v_lshrrev_b32_e32 v1, 24, v4
	v_add_u32_e32 v4, s6, v0
	v_add_u32_e32 v0, 0x100, v0
	global_store_byte v4, v1, s[12:13]
	s_or_b64 exec, exec, s[0:1]
	v_cmp_gt_i32_e32 vcc, s8, v0
	s_and_saveexec_b64 s[0:1], vcc
	s_cbranch_execz .LBB335_44
.LBB335_61:
	v_add_u32_e32 v1, s6, v0
	v_add_u32_e32 v0, 0x100, v0
	global_store_byte v1, v3, s[12:13]
	s_or_b64 exec, exec, s[0:1]
	v_cmp_gt_i32_e32 vcc, s8, v0
	s_and_saveexec_b64 s[0:1], vcc
	s_cbranch_execz .LBB335_45
.LBB335_62:
	v_lshrrev_b32_e32 v1, 8, v3
	v_add_u32_e32 v4, s6, v0
	v_add_u32_e32 v0, 0x100, v0
	global_store_byte v4, v1, s[12:13]
	s_or_b64 exec, exec, s[0:1]
	v_cmp_gt_i32_e32 vcc, s8, v0
	s_and_saveexec_b64 s[0:1], vcc
	s_cbranch_execz .LBB335_46
.LBB335_63:
	v_add_u32_e32 v1, s6, v0
	v_add_u32_e32 v0, 0x100, v0
	global_store_byte_d16_hi v1, v3, s[12:13]
	s_or_b64 exec, exec, s[0:1]
	v_cmp_gt_i32_e32 vcc, s8, v0
	s_and_saveexec_b64 s[0:1], vcc
	s_cbranch_execz .LBB335_47
.LBB335_64:
	v_lshrrev_b32_e32 v1, 24, v3
	v_add_u32_e32 v3, s6, v0
	v_add_u32_e32 v0, 0x100, v0
	global_store_byte v3, v1, s[12:13]
	s_or_b64 exec, exec, s[0:1]
	v_cmp_gt_i32_e32 vcc, s8, v0
	s_and_saveexec_b64 s[0:1], vcc
	s_cbranch_execz .LBB335_48
.LBB335_65:
	v_add_u32_e32 v1, s6, v0
	v_add_u32_e32 v0, 0x100, v0
	global_store_byte v1, v2, s[12:13]
	s_or_b64 exec, exec, s[0:1]
	v_cmp_gt_i32_e32 vcc, s8, v0
	s_and_saveexec_b64 s[0:1], vcc
	s_cbranch_execz .LBB335_49
.LBB335_66:
	v_lshrrev_b32_e32 v1, 8, v2
	v_add_u32_e32 v3, s6, v0
	v_add_u32_e32 v0, 0x100, v0
	global_store_byte v3, v1, s[12:13]
	s_or_b64 exec, exec, s[0:1]
	v_cmp_gt_i32_e32 vcc, s8, v0
	s_and_saveexec_b64 s[0:1], vcc
	s_cbranch_execz .LBB335_50
.LBB335_67:
	v_add_u32_e32 v1, s6, v0
	v_add_u32_e32 v0, 0x100, v0
	global_store_byte_d16_hi v1, v2, s[12:13]
	s_or_b64 exec, exec, s[0:1]
	v_cmp_gt_i32_e32 vcc, s8, v0
	s_and_saveexec_b64 s[0:1], vcc
	s_cbranch_execnz .LBB335_51
	s_branch .LBB335_52
	.section	.rodata,"a",@progbits
	.p2align	6, 0x0
	.amdhsa_kernel _ZN2at6native29vectorized_elementwise_kernelILi4ENS0_13AUnaryFunctorIttbNS0_12_GLOBAL__N_116CompareEqFunctorItEEEESt5arrayIPcLm2EEEEviT0_T1_
		.amdhsa_group_segment_fixed_size 0
		.amdhsa_private_segment_fixed_size 0
		.amdhsa_kernarg_size 32
		.amdhsa_user_sgpr_count 6
		.amdhsa_user_sgpr_private_segment_buffer 1
		.amdhsa_user_sgpr_dispatch_ptr 0
		.amdhsa_user_sgpr_queue_ptr 0
		.amdhsa_user_sgpr_kernarg_segment_ptr 1
		.amdhsa_user_sgpr_dispatch_id 0
		.amdhsa_user_sgpr_flat_scratch_init 0
		.amdhsa_user_sgpr_private_segment_size 0
		.amdhsa_uses_dynamic_stack 0
		.amdhsa_system_sgpr_private_segment_wavefront_offset 0
		.amdhsa_system_sgpr_workgroup_id_x 1
		.amdhsa_system_sgpr_workgroup_id_y 0
		.amdhsa_system_sgpr_workgroup_id_z 0
		.amdhsa_system_sgpr_workgroup_info 0
		.amdhsa_system_vgpr_workitem_id 0
		.amdhsa_next_free_vgpr 21
		.amdhsa_next_free_sgpr 28
		.amdhsa_reserve_vcc 1
		.amdhsa_reserve_flat_scratch 0
		.amdhsa_float_round_mode_32 0
		.amdhsa_float_round_mode_16_64 0
		.amdhsa_float_denorm_mode_32 3
		.amdhsa_float_denorm_mode_16_64 3
		.amdhsa_dx10_clamp 1
		.amdhsa_ieee_mode 1
		.amdhsa_fp16_overflow 0
		.amdhsa_exception_fp_ieee_invalid_op 0
		.amdhsa_exception_fp_denorm_src 0
		.amdhsa_exception_fp_ieee_div_zero 0
		.amdhsa_exception_fp_ieee_overflow 0
		.amdhsa_exception_fp_ieee_underflow 0
		.amdhsa_exception_fp_ieee_inexact 0
		.amdhsa_exception_int_div_zero 0
	.end_amdhsa_kernel
	.section	.text._ZN2at6native29vectorized_elementwise_kernelILi4ENS0_13AUnaryFunctorIttbNS0_12_GLOBAL__N_116CompareEqFunctorItEEEESt5arrayIPcLm2EEEEviT0_T1_,"axG",@progbits,_ZN2at6native29vectorized_elementwise_kernelILi4ENS0_13AUnaryFunctorIttbNS0_12_GLOBAL__N_116CompareEqFunctorItEEEESt5arrayIPcLm2EEEEviT0_T1_,comdat
.Lfunc_end335:
	.size	_ZN2at6native29vectorized_elementwise_kernelILi4ENS0_13AUnaryFunctorIttbNS0_12_GLOBAL__N_116CompareEqFunctorItEEEESt5arrayIPcLm2EEEEviT0_T1_, .Lfunc_end335-_ZN2at6native29vectorized_elementwise_kernelILi4ENS0_13AUnaryFunctorIttbNS0_12_GLOBAL__N_116CompareEqFunctorItEEEESt5arrayIPcLm2EEEEviT0_T1_
                                        ; -- End function
	.set _ZN2at6native29vectorized_elementwise_kernelILi4ENS0_13AUnaryFunctorIttbNS0_12_GLOBAL__N_116CompareEqFunctorItEEEESt5arrayIPcLm2EEEEviT0_T1_.num_vgpr, 21
	.set _ZN2at6native29vectorized_elementwise_kernelILi4ENS0_13AUnaryFunctorIttbNS0_12_GLOBAL__N_116CompareEqFunctorItEEEESt5arrayIPcLm2EEEEviT0_T1_.num_agpr, 0
	.set _ZN2at6native29vectorized_elementwise_kernelILi4ENS0_13AUnaryFunctorIttbNS0_12_GLOBAL__N_116CompareEqFunctorItEEEESt5arrayIPcLm2EEEEviT0_T1_.numbered_sgpr, 28
	.set _ZN2at6native29vectorized_elementwise_kernelILi4ENS0_13AUnaryFunctorIttbNS0_12_GLOBAL__N_116CompareEqFunctorItEEEESt5arrayIPcLm2EEEEviT0_T1_.num_named_barrier, 0
	.set _ZN2at6native29vectorized_elementwise_kernelILi4ENS0_13AUnaryFunctorIttbNS0_12_GLOBAL__N_116CompareEqFunctorItEEEESt5arrayIPcLm2EEEEviT0_T1_.private_seg_size, 0
	.set _ZN2at6native29vectorized_elementwise_kernelILi4ENS0_13AUnaryFunctorIttbNS0_12_GLOBAL__N_116CompareEqFunctorItEEEESt5arrayIPcLm2EEEEviT0_T1_.uses_vcc, 1
	.set _ZN2at6native29vectorized_elementwise_kernelILi4ENS0_13AUnaryFunctorIttbNS0_12_GLOBAL__N_116CompareEqFunctorItEEEESt5arrayIPcLm2EEEEviT0_T1_.uses_flat_scratch, 0
	.set _ZN2at6native29vectorized_elementwise_kernelILi4ENS0_13AUnaryFunctorIttbNS0_12_GLOBAL__N_116CompareEqFunctorItEEEESt5arrayIPcLm2EEEEviT0_T1_.has_dyn_sized_stack, 0
	.set _ZN2at6native29vectorized_elementwise_kernelILi4ENS0_13AUnaryFunctorIttbNS0_12_GLOBAL__N_116CompareEqFunctorItEEEESt5arrayIPcLm2EEEEviT0_T1_.has_recursion, 0
	.set _ZN2at6native29vectorized_elementwise_kernelILi4ENS0_13AUnaryFunctorIttbNS0_12_GLOBAL__N_116CompareEqFunctorItEEEESt5arrayIPcLm2EEEEviT0_T1_.has_indirect_call, 0
	.section	.AMDGPU.csdata,"",@progbits
; Kernel info:
; codeLenInByte = 3628
; TotalNumSgprs: 32
; NumVgprs: 21
; ScratchSize: 0
; MemoryBound: 0
; FloatMode: 240
; IeeeMode: 1
; LDSByteSize: 0 bytes/workgroup (compile time only)
; SGPRBlocks: 3
; VGPRBlocks: 5
; NumSGPRsForWavesPerEU: 32
; NumVGPRsForWavesPerEU: 21
; Occupancy: 10
; WaveLimiterHint : 1
; COMPUTE_PGM_RSRC2:SCRATCH_EN: 0
; COMPUTE_PGM_RSRC2:USER_SGPR: 6
; COMPUTE_PGM_RSRC2:TRAP_HANDLER: 0
; COMPUTE_PGM_RSRC2:TGID_X_EN: 1
; COMPUTE_PGM_RSRC2:TGID_Y_EN: 0
; COMPUTE_PGM_RSRC2:TGID_Z_EN: 0
; COMPUTE_PGM_RSRC2:TIDIG_COMP_CNT: 0
	.section	.text._ZN2at6native29vectorized_elementwise_kernelILi2ENS0_13AUnaryFunctorIttbNS0_12_GLOBAL__N_116CompareEqFunctorItEEEESt5arrayIPcLm2EEEEviT0_T1_,"axG",@progbits,_ZN2at6native29vectorized_elementwise_kernelILi2ENS0_13AUnaryFunctorIttbNS0_12_GLOBAL__N_116CompareEqFunctorItEEEESt5arrayIPcLm2EEEEviT0_T1_,comdat
	.globl	_ZN2at6native29vectorized_elementwise_kernelILi2ENS0_13AUnaryFunctorIttbNS0_12_GLOBAL__N_116CompareEqFunctorItEEEESt5arrayIPcLm2EEEEviT0_T1_ ; -- Begin function _ZN2at6native29vectorized_elementwise_kernelILi2ENS0_13AUnaryFunctorIttbNS0_12_GLOBAL__N_116CompareEqFunctorItEEEESt5arrayIPcLm2EEEEviT0_T1_
	.p2align	8
	.type	_ZN2at6native29vectorized_elementwise_kernelILi2ENS0_13AUnaryFunctorIttbNS0_12_GLOBAL__N_116CompareEqFunctorItEEEESt5arrayIPcLm2EEEEviT0_T1_,@function
_ZN2at6native29vectorized_elementwise_kernelILi2ENS0_13AUnaryFunctorIttbNS0_12_GLOBAL__N_116CompareEqFunctorItEEEESt5arrayIPcLm2EEEEviT0_T1_: ; @_ZN2at6native29vectorized_elementwise_kernelILi2ENS0_13AUnaryFunctorIttbNS0_12_GLOBAL__N_116CompareEqFunctorItEEEESt5arrayIPcLm2EEEEviT0_T1_
; %bb.0:
	s_load_dwordx8 s[8:15], s[4:5], 0x0
	s_lshl_b32 s6, s6, 12
	s_mov_b64 s[0:1], -1
	s_waitcnt lgkmcnt(0)
	s_sub_i32 s8, s8, s6
	s_cmpk_gt_i32 s8, 0xfff
	s_cbranch_scc0 .LBB336_2
; %bb.1:
	s_ashr_i32 s7, s6, 31
	s_lshl_b64 s[0:1], s[6:7], 1
	s_add_u32 s0, s14, s0
	s_addc_u32 s1, s15, s1
	v_lshlrev_b32_e32 v1, 2, v0
	global_load_dword v3, v1, s[0:1]
	global_load_dword v4, v1, s[0:1] offset:1024
	global_load_dword v5, v1, s[0:1] offset:2048
	;; [unrolled: 1-line block ×3, first 2 shown]
	v_mov_b32_e32 v2, s1
	v_add_co_u32_e32 v1, vcc, s0, v1
	v_addc_co_u32_e32 v2, vcc, 0, v2, vcc
	v_add_co_u32_e32 v1, vcc, 0x1000, v1
	v_addc_co_u32_e32 v2, vcc, 0, v2, vcc
	global_load_dword v7, v[1:2], off
	global_load_dword v8, v[1:2], off offset:1024
	global_load_dword v9, v[1:2], off offset:2048
	global_load_dword v10, v[1:2], off offset:3072
	s_cmp_eq_u32 s9, 0
	s_cselect_b64 s[16:17], -1, 0
	s_waitcnt vmcnt(7)
	v_cmp_ne_u16_e32 vcc, s10, v3
	s_waitcnt vmcnt(6)
	v_cmp_ne_u16_e64 s[0:1], s10, v4
	v_cmp_ne_u16_sdwa s[20:21], v4, s10 src0_sel:WORD_1 src1_sel:DWORD
	s_xor_b64 s[0:1], s[16:17], s[0:1]
	v_cmp_ne_u16_sdwa s[18:19], v3, s10 src0_sel:WORD_1 src1_sel:DWORD
	s_waitcnt vmcnt(5)
	v_cmp_ne_u16_e64 s[2:3], s10, v5
	v_cndmask_b32_e64 v3, 0, 1, s[0:1]
	s_xor_b64 s[0:1], s[16:17], s[20:21]
	v_cmp_ne_u16_sdwa s[22:23], v5, s10 src0_sel:WORD_1 src1_sel:DWORD
	v_cndmask_b32_e64 v4, 0, 1, s[0:1]
	s_xor_b64 s[0:1], s[16:17], s[2:3]
	s_waitcnt vmcnt(4)
	v_cmp_ne_u16_e64 s[4:5], s10, v6
	v_cndmask_b32_e64 v5, 0, 1, s[0:1]
	s_xor_b64 s[0:1], s[16:17], s[22:23]
	v_cmp_ne_u16_sdwa s[24:25], v6, s10 src0_sel:WORD_1 src1_sel:DWORD
	v_cndmask_b32_e64 v6, 0, 1, s[0:1]
	s_xor_b64 s[0:1], s[16:17], s[4:5]
	v_cndmask_b32_e64 v11, 0, 1, s[0:1]
	s_xor_b64 s[0:1], s[16:17], s[24:25]
	v_cndmask_b32_e64 v12, 0, 1, s[0:1]
	s_waitcnt vmcnt(2)
	v_cmp_ne_u16_e64 s[0:1], s10, v8
	v_lshlrev_b16_e32 v6, 8, v6
	v_cmp_ne_u16_sdwa s[20:21], v8, s10 src0_sel:WORD_1 src1_sel:DWORD
	s_xor_b64 s[0:1], s[16:17], s[0:1]
	s_waitcnt vmcnt(1)
	v_cmp_ne_u16_e64 s[2:3], s10, v9
	v_or_b32_e32 v5, v5, v6
	v_cndmask_b32_e64 v6, 0, 1, s[0:1]
	s_xor_b64 s[0:1], s[16:17], s[20:21]
	s_xor_b64 s[18:19], s[16:17], s[18:19]
	v_cmp_ne_u16_sdwa s[22:23], v9, s10 src0_sel:WORD_1 src1_sel:DWORD
	v_cndmask_b32_e64 v8, 0, 1, s[0:1]
	s_xor_b64 s[0:1], s[16:17], s[2:3]
	v_cndmask_b32_e64 v2, 0, 1, s[18:19]
	v_cmp_ne_u16_sdwa s[18:19], v7, s10 src0_sel:WORD_1 src1_sel:DWORD
	s_waitcnt vmcnt(0)
	v_cmp_ne_u16_e64 s[4:5], s10, v10
	v_cndmask_b32_e64 v9, 0, 1, s[0:1]
	s_xor_b64 s[0:1], s[16:17], s[22:23]
	s_xor_b64 s[26:27], s[16:17], vcc
	v_lshlrev_b16_e32 v12, 8, v12
	v_lshlrev_b16_e32 v4, 8, v4
	v_cmp_ne_u16_e32 vcc, s10, v7
	v_cmp_ne_u16_sdwa s[24:25], v10, s10 src0_sel:WORD_1 src1_sel:DWORD
	s_xor_b64 s[18:19], s[16:17], s[18:19]
	v_cndmask_b32_e64 v10, 0, 1, s[0:1]
	s_xor_b64 s[0:1], s[16:17], s[4:5]
	v_cndmask_b32_e64 v1, 0, 1, s[26:27]
	v_lshlrev_b16_e32 v2, 8, v2
	v_or_b32_e32 v7, v11, v12
	v_or_b32_e32 v3, v3, v4
	s_xor_b64 s[26:27], s[16:17], vcc
	v_cndmask_b32_e64 v4, 0, 1, s[18:19]
	v_cndmask_b32_e64 v11, 0, 1, s[0:1]
	s_xor_b64 s[0:1], s[16:17], s[24:25]
	v_or_b32_e32 v1, v1, v2
	v_cndmask_b32_e64 v2, 0, 1, s[26:27]
	v_cndmask_b32_e64 v12, 0, 1, s[0:1]
	v_lshlrev_b16_e32 v4, 8, v4
	s_add_u32 s0, s12, s6
	v_lshlrev_b16_e32 v12, 8, v12
	v_lshlrev_b16_e32 v10, 8, v10
	;; [unrolled: 1-line block ×3, first 2 shown]
	v_or_b32_e32 v2, v2, v4
	s_addc_u32 s1, s13, s7
	v_lshlrev_b32_e32 v4, 1, v0
	v_or_b32_e32 v11, v11, v12
	v_or_b32_e32 v9, v9, v10
	;; [unrolled: 1-line block ×3, first 2 shown]
	global_store_short v4, v1, s[0:1]
	global_store_short v4, v3, s[0:1] offset:512
	global_store_short v4, v5, s[0:1] offset:1024
	;; [unrolled: 1-line block ×7, first 2 shown]
	s_mov_b64 s[0:1], 0
.LBB336_2:
	s_andn2_b64 vcc, exec, s[0:1]
	s_cbranch_vccnz .LBB336_52
; %bb.3:
	v_cmp_gt_i32_e32 vcc, s8, v0
	v_mov_b32_e32 v3, 0
	v_or_b32_e32 v1, s6, v0
	v_mov_b32_e32 v2, 0
	v_mov_b32_e32 v4, v0
	s_and_saveexec_b64 s[2:3], vcc
	s_cbranch_execz .LBB336_5
; %bb.4:
	v_mov_b32_e32 v2, 0
	v_lshlrev_b64 v[4:5], 1, v[1:2]
	v_mov_b32_e32 v2, s15
	v_add_co_u32_e64 v4, s[0:1], s14, v4
	v_addc_co_u32_e64 v5, s[0:1], v2, v5, s[0:1]
	global_load_ushort v2, v[4:5], off
	v_or_b32_e32 v4, 0x100, v0
.LBB336_5:
	s_or_b64 exec, exec, s[2:3]
	v_cmp_gt_i32_e64 s[0:1], s8, v4
	s_and_saveexec_b64 s[2:3], s[0:1]
	s_cbranch_execz .LBB336_7
; %bb.6:
	v_add_u32_e32 v5, s6, v4
	v_mov_b32_e32 v6, 0
	v_lshlrev_b64 v[5:6], 1, v[5:6]
	v_mov_b32_e32 v3, s15
	v_add_co_u32_e64 v5, s[0:1], s14, v5
	v_addc_co_u32_e64 v6, s[0:1], v3, v6, s[0:1]
	global_load_ushort v3, v[5:6], off
	v_add_u32_e32 v4, 0x100, v4
.LBB336_7:
	s_or_b64 exec, exec, s[2:3]
	v_cmp_gt_i32_e64 s[0:1], s8, v4
	v_mov_b32_e32 v5, 0
	v_mov_b32_e32 v6, 0
	s_and_saveexec_b64 s[2:3], s[0:1]
	s_cbranch_execz .LBB336_9
; %bb.8:
	v_add_u32_e32 v6, s6, v4
	v_mov_b32_e32 v7, 0
	v_lshlrev_b64 v[6:7], 1, v[6:7]
	v_mov_b32_e32 v8, s15
	v_add_co_u32_e64 v6, s[0:1], s14, v6
	v_addc_co_u32_e64 v7, s[0:1], v8, v7, s[0:1]
	global_load_ushort v6, v[6:7], off
	v_add_u32_e32 v4, 0x100, v4
.LBB336_9:
	s_or_b64 exec, exec, s[2:3]
	v_cmp_gt_i32_e64 s[0:1], s8, v4
	s_and_saveexec_b64 s[2:3], s[0:1]
	s_cbranch_execz .LBB336_11
; %bb.10:
	v_add_u32_e32 v7, s6, v4
	v_mov_b32_e32 v8, 0
	v_lshlrev_b64 v[7:8], 1, v[7:8]
	v_mov_b32_e32 v5, s15
	v_add_co_u32_e64 v7, s[0:1], s14, v7
	v_addc_co_u32_e64 v8, s[0:1], v5, v8, s[0:1]
	global_load_ushort v5, v[7:8], off
	v_add_u32_e32 v4, 0x100, v4
.LBB336_11:
	s_or_b64 exec, exec, s[2:3]
	v_cmp_gt_i32_e64 s[0:1], s8, v4
	v_mov_b32_e32 v7, 0
	v_mov_b32_e32 v8, 0
	s_and_saveexec_b64 s[2:3], s[0:1]
	s_cbranch_execz .LBB336_13
; %bb.12:
	v_add_u32_e32 v8, s6, v4
	v_mov_b32_e32 v9, 0
	v_lshlrev_b64 v[8:9], 1, v[8:9]
	v_mov_b32_e32 v10, s15
	v_add_co_u32_e64 v8, s[0:1], s14, v8
	v_addc_co_u32_e64 v9, s[0:1], v10, v9, s[0:1]
	global_load_ushort v8, v[8:9], off
	v_add_u32_e32 v4, 0x100, v4
.LBB336_13:
	s_or_b64 exec, exec, s[2:3]
	v_cmp_gt_i32_e64 s[0:1], s8, v4
	s_and_saveexec_b64 s[2:3], s[0:1]
	s_cbranch_execz .LBB336_15
; %bb.14:
	v_add_u32_e32 v9, s6, v4
	v_mov_b32_e32 v10, 0
	v_lshlrev_b64 v[9:10], 1, v[9:10]
	v_mov_b32_e32 v7, s15
	v_add_co_u32_e64 v9, s[0:1], s14, v9
	v_addc_co_u32_e64 v10, s[0:1], v7, v10, s[0:1]
	global_load_ushort v7, v[9:10], off
	v_add_u32_e32 v4, 0x100, v4
.LBB336_15:
	s_or_b64 exec, exec, s[2:3]
	v_cmp_gt_i32_e64 s[0:1], s8, v4
	v_mov_b32_e32 v9, 0
	v_mov_b32_e32 v10, 0
	s_and_saveexec_b64 s[2:3], s[0:1]
	s_cbranch_execz .LBB336_17
; %bb.16:
	v_add_u32_e32 v10, s6, v4
	v_mov_b32_e32 v11, 0
	v_lshlrev_b64 v[10:11], 1, v[10:11]
	v_mov_b32_e32 v12, s15
	v_add_co_u32_e64 v10, s[0:1], s14, v10
	v_addc_co_u32_e64 v11, s[0:1], v12, v11, s[0:1]
	global_load_ushort v10, v[10:11], off
	v_add_u32_e32 v4, 0x100, v4
.LBB336_17:
	s_or_b64 exec, exec, s[2:3]
	v_cmp_gt_i32_e64 s[0:1], s8, v4
	s_and_saveexec_b64 s[2:3], s[0:1]
	s_cbranch_execz .LBB336_19
; %bb.18:
	v_add_u32_e32 v11, s6, v4
	v_mov_b32_e32 v12, 0
	v_lshlrev_b64 v[11:12], 1, v[11:12]
	v_mov_b32_e32 v9, s15
	v_add_co_u32_e64 v11, s[0:1], s14, v11
	v_addc_co_u32_e64 v12, s[0:1], v9, v12, s[0:1]
	global_load_ushort v9, v[11:12], off
	v_add_u32_e32 v4, 0x100, v4
.LBB336_19:
	s_or_b64 exec, exec, s[2:3]
	v_cmp_gt_i32_e64 s[0:1], s8, v4
	v_mov_b32_e32 v11, 0
	v_mov_b32_e32 v12, 0
	s_and_saveexec_b64 s[2:3], s[0:1]
	s_cbranch_execz .LBB336_21
; %bb.20:
	v_add_u32_e32 v12, s6, v4
	v_mov_b32_e32 v13, 0
	v_lshlrev_b64 v[12:13], 1, v[12:13]
	v_mov_b32_e32 v14, s15
	v_add_co_u32_e64 v12, s[0:1], s14, v12
	v_addc_co_u32_e64 v13, s[0:1], v14, v13, s[0:1]
	global_load_ushort v12, v[12:13], off
	v_add_u32_e32 v4, 0x100, v4
.LBB336_21:
	s_or_b64 exec, exec, s[2:3]
	v_cmp_gt_i32_e64 s[0:1], s8, v4
	s_and_saveexec_b64 s[2:3], s[0:1]
	s_cbranch_execz .LBB336_23
; %bb.22:
	v_add_u32_e32 v13, s6, v4
	v_mov_b32_e32 v14, 0
	v_lshlrev_b64 v[13:14], 1, v[13:14]
	v_mov_b32_e32 v11, s15
	v_add_co_u32_e64 v13, s[0:1], s14, v13
	v_addc_co_u32_e64 v14, s[0:1], v11, v14, s[0:1]
	global_load_ushort v11, v[13:14], off
	v_add_u32_e32 v4, 0x100, v4
.LBB336_23:
	s_or_b64 exec, exec, s[2:3]
	v_cmp_gt_i32_e64 s[0:1], s8, v4
	v_mov_b32_e32 v13, 0
	v_mov_b32_e32 v14, 0
	s_and_saveexec_b64 s[2:3], s[0:1]
	s_cbranch_execz .LBB336_25
; %bb.24:
	v_add_u32_e32 v14, s6, v4
	v_mov_b32_e32 v15, 0
	v_lshlrev_b64 v[14:15], 1, v[14:15]
	v_mov_b32_e32 v16, s15
	v_add_co_u32_e64 v14, s[0:1], s14, v14
	v_addc_co_u32_e64 v15, s[0:1], v16, v15, s[0:1]
	global_load_ushort v14, v[14:15], off
	v_add_u32_e32 v4, 0x100, v4
.LBB336_25:
	s_or_b64 exec, exec, s[2:3]
	v_cmp_gt_i32_e64 s[0:1], s8, v4
	s_and_saveexec_b64 s[2:3], s[0:1]
	s_cbranch_execz .LBB336_27
; %bb.26:
	v_add_u32_e32 v15, s6, v4
	v_mov_b32_e32 v16, 0
	v_lshlrev_b64 v[15:16], 1, v[15:16]
	v_mov_b32_e32 v13, s15
	v_add_co_u32_e64 v15, s[0:1], s14, v15
	v_addc_co_u32_e64 v16, s[0:1], v13, v16, s[0:1]
	global_load_ushort v13, v[15:16], off
	v_add_u32_e32 v4, 0x100, v4
.LBB336_27:
	s_or_b64 exec, exec, s[2:3]
	v_cmp_gt_i32_e64 s[0:1], s8, v4
	v_mov_b32_e32 v15, 0
	v_mov_b32_e32 v16, 0
	s_and_saveexec_b64 s[2:3], s[0:1]
	s_cbranch_execz .LBB336_29
; %bb.28:
	v_add_u32_e32 v16, s6, v4
	v_mov_b32_e32 v17, 0
	v_lshlrev_b64 v[16:17], 1, v[16:17]
	v_mov_b32_e32 v18, s15
	v_add_co_u32_e64 v16, s[0:1], s14, v16
	v_addc_co_u32_e64 v17, s[0:1], v18, v17, s[0:1]
	global_load_ushort v16, v[16:17], off
	v_add_u32_e32 v4, 0x100, v4
.LBB336_29:
	s_or_b64 exec, exec, s[2:3]
	v_cmp_gt_i32_e64 s[0:1], s8, v4
	s_and_saveexec_b64 s[2:3], s[0:1]
	s_cbranch_execz .LBB336_31
; %bb.30:
	v_add_u32_e32 v17, s6, v4
	v_mov_b32_e32 v18, 0
	v_lshlrev_b64 v[17:18], 1, v[17:18]
	v_mov_b32_e32 v15, s15
	v_add_co_u32_e64 v17, s[0:1], s14, v17
	v_addc_co_u32_e64 v18, s[0:1], v15, v18, s[0:1]
	global_load_ushort v15, v[17:18], off
	v_add_u32_e32 v4, 0x100, v4
.LBB336_31:
	s_or_b64 exec, exec, s[2:3]
	v_cmp_gt_i32_e64 s[0:1], s8, v4
	v_mov_b32_e32 v17, 0
	v_mov_b32_e32 v18, 0
	s_and_saveexec_b64 s[2:3], s[0:1]
	s_cbranch_execz .LBB336_33
; %bb.32:
	v_add_u32_e32 v18, s6, v4
	v_mov_b32_e32 v19, 0
	v_lshlrev_b64 v[18:19], 1, v[18:19]
	v_mov_b32_e32 v20, s15
	v_add_co_u32_e64 v18, s[0:1], s14, v18
	v_addc_co_u32_e64 v19, s[0:1], v20, v19, s[0:1]
	global_load_ushort v18, v[18:19], off
	v_add_u32_e32 v4, 0x100, v4
.LBB336_33:
	s_or_b64 exec, exec, s[2:3]
	v_cmp_gt_i32_e64 s[0:1], s8, v4
	s_and_saveexec_b64 s[2:3], s[0:1]
	s_cbranch_execz .LBB336_35
; %bb.34:
	v_add_u32_e32 v19, s6, v4
	v_mov_b32_e32 v20, 0
	v_lshlrev_b64 v[19:20], 1, v[19:20]
	v_mov_b32_e32 v4, s15
	v_add_co_u32_e64 v19, s[0:1], s14, v19
	v_addc_co_u32_e64 v20, s[0:1], v4, v20, s[0:1]
	global_load_ushort v17, v[19:20], off
.LBB336_35:
	s_or_b64 exec, exec, s[2:3]
	s_cmp_eq_u32 s9, 0
	s_cselect_b64 s[2:3], -1, 0
	s_waitcnt vmcnt(0)
	v_cmp_ne_u16_e64 s[0:1], s10, v2
	s_xor_b64 s[0:1], s[2:3], s[0:1]
	v_cndmask_b32_e64 v2, 0, 1, s[0:1]
	v_cmp_ne_u16_e64 s[0:1], s10, v3
	s_xor_b64 s[0:1], s[2:3], s[0:1]
	v_cndmask_b32_e64 v3, 0, 1, s[0:1]
	v_cndmask_b32_e32 v2, 0, v2, vcc
	v_lshlrev_b16_e32 v3, 8, v3
	v_or_b32_e32 v19, 0x100, v0
	v_or_b32_e32 v3, v2, v3
	v_and_b32_e32 v3, 0xffff, v3
	v_cmp_gt_i32_e64 s[0:1], s8, v19
	v_cndmask_b32_e64 v2, v2, v3, s[0:1]
	v_cmp_ne_u16_e64 s[0:1], s10, v6
	s_xor_b64 s[0:1], s[2:3], s[0:1]
	v_or_b32_e32 v3, 0x200, v0
	v_cndmask_b32_e64 v4, 0, 1, s[0:1]
	v_lshl_or_b32 v4, v4, 16, v2
	v_cmp_gt_i32_e64 s[0:1], s8, v3
	v_cndmask_b32_e64 v2, v2, v4, s[0:1]
	v_cmp_ne_u16_e64 s[0:1], s10, v5
	s_xor_b64 s[0:1], s[2:3], s[0:1]
	s_movk_i32 s5, 0xff
	v_cndmask_b32_e64 v5, 0, 1, s[0:1]
	v_and_b32_sdwa v3, v2, s5 dst_sel:DWORD dst_unused:UNUSED_PAD src0_sel:WORD_1 src1_sel:DWORD
	v_lshlrev_b16_e32 v5, 8, v5
	s_mov_b32 s4, 0xffff
	v_or_b32_e32 v4, 0x300, v0
	v_or_b32_sdwa v3, v3, v5 dst_sel:WORD_1 dst_unused:UNUSED_PAD src0_sel:DWORD src1_sel:DWORD
	v_and_or_b32 v3, v2, s4, v3
	v_cmp_gt_i32_e64 s[0:1], s8, v4
	v_cndmask_b32_e64 v5, v2, v3, s[0:1]
	v_cmp_ne_u16_e64 s[0:1], s10, v8
	s_xor_b64 s[0:1], s[2:3], s[0:1]
	v_cndmask_b32_e64 v2, 0, 1, s[0:1]
	v_or_b32_e32 v3, 0x400, v0
	v_and_b32_e32 v2, 0xffff, v2
	v_cmp_gt_i32_e64 s[0:1], s8, v3
	v_cndmask_b32_e64 v2, 0, v2, s[0:1]
	v_cmp_ne_u16_e64 s[0:1], s10, v7
	s_xor_b64 s[0:1], s[2:3], s[0:1]
	v_cndmask_b32_e64 v4, 0, 1, s[0:1]
	v_lshlrev_b16_e32 v4, 8, v4
	v_or_b32_e32 v3, 0x500, v0
	v_or_b32_sdwa v4, v2, v4 dst_sel:DWORD dst_unused:UNUSED_PAD src0_sel:BYTE_0 src1_sel:DWORD
	v_and_b32_e32 v4, 0xffff, v4
	v_cmp_gt_i32_e64 s[0:1], s8, v3
	v_cndmask_b32_e64 v2, v2, v4, s[0:1]
	v_cmp_ne_u16_e64 s[0:1], s10, v10
	s_movk_i32 s7, 0xff00
	s_xor_b64 s[0:1], s[2:3], s[0:1]
	v_and_b32_sdwa v3, v2, s7 dst_sel:DWORD dst_unused:UNUSED_PAD src0_sel:WORD_1 src1_sel:DWORD
	v_cndmask_b32_e64 v4, 0, 1, s[0:1]
	v_or_b32_sdwa v3, v4, v3 dst_sel:WORD_1 dst_unused:UNUSED_PAD src0_sel:DWORD src1_sel:DWORD
	v_or_b32_e32 v4, 0x600, v0
	v_and_or_b32 v3, v2, s4, v3
	v_cmp_gt_i32_e64 s[0:1], s8, v4
	v_cndmask_b32_e64 v2, v2, v3, s[0:1]
	v_cmp_ne_u16_e64 s[0:1], s10, v9
	s_xor_b64 s[0:1], s[2:3], s[0:1]
	v_cndmask_b32_e64 v6, 0, 1, s[0:1]
	v_and_b32_sdwa v3, v2, s5 dst_sel:DWORD dst_unused:UNUSED_PAD src0_sel:WORD_1 src1_sel:DWORD
	v_lshlrev_b16_e32 v6, 8, v6
	v_or_b32_e32 v4, 0x700, v0
	v_or_b32_sdwa v3, v3, v6 dst_sel:WORD_1 dst_unused:UNUSED_PAD src0_sel:DWORD src1_sel:DWORD
	v_and_or_b32 v3, v2, s4, v3
	v_cmp_gt_i32_e64 s[0:1], s8, v4
	v_cndmask_b32_e64 v4, v2, v3, s[0:1]
	v_cmp_ne_u16_e64 s[0:1], s10, v12
	v_or_b32_e32 v2, 0x800, v0
	s_xor_b64 s[0:1], s[2:3], s[0:1]
	v_cndmask_b32_e64 v3, 0, 1, s[0:1]
	v_cmp_gt_i32_e64 s[0:1], s8, v2
	v_cndmask_b32_e64 v2, 0, v3, s[0:1]
	v_cmp_ne_u16_e64 s[0:1], s10, v11
	s_xor_b64 s[0:1], s[2:3], s[0:1]
	v_cndmask_b32_e64 v6, 0, 1, s[0:1]
	v_lshlrev_b16_e32 v6, 8, v6
	v_or_b32_e32 v3, 0x900, v0
	v_or_b32_e32 v6, v2, v6
	v_and_b32_e32 v6, 0xffff, v6
	v_cmp_gt_i32_e64 s[0:1], s8, v3
	v_cndmask_b32_e64 v2, v2, v6, s[0:1]
	v_cmp_ne_u16_e64 s[0:1], s10, v14
	s_xor_b64 s[0:1], s[2:3], s[0:1]
	v_cndmask_b32_e64 v6, 0, 1, s[0:1]
	v_or_b32_e32 v3, 0xa00, v0
	v_lshlrev_b32_e32 v6, 16, v6
	s_movk_i32 s0, 0x1ff
	v_and_or_b32 v6, v2, s0, v6
	v_cmp_gt_i32_e64 s[0:1], s8, v3
	v_cndmask_b32_e64 v2, v2, v6, s[0:1]
	v_cmp_ne_u16_e64 s[0:1], s10, v13
	s_xor_b64 s[0:1], s[2:3], s[0:1]
	v_cndmask_b32_e64 v7, 0, 1, s[0:1]
	v_and_b32_sdwa v3, v2, s5 dst_sel:DWORD dst_unused:UNUSED_PAD src0_sel:WORD_1 src1_sel:DWORD
	v_lshlrev_b16_e32 v7, 8, v7
	v_or_b32_e32 v6, 0xb00, v0
	v_or_b32_sdwa v3, v3, v7 dst_sel:WORD_1 dst_unused:UNUSED_PAD src0_sel:DWORD src1_sel:DWORD
	v_and_or_b32 v3, v2, s4, v3
	v_cmp_gt_i32_e64 s[0:1], s8, v6
	v_cndmask_b32_e64 v3, v2, v3, s[0:1]
	v_cmp_ne_u16_e64 s[0:1], s10, v16
	v_or_b32_e32 v2, 0xc00, v0
	s_xor_b64 s[0:1], s[2:3], s[0:1]
	v_cndmask_b32_e64 v6, 0, 1, s[0:1]
	v_cmp_gt_i32_e64 s[0:1], s8, v2
	v_cndmask_b32_e64 v2, 0, v6, s[0:1]
	v_cmp_ne_u16_e64 s[0:1], s10, v15
	s_xor_b64 s[0:1], s[2:3], s[0:1]
	v_cndmask_b32_e64 v7, 0, 1, s[0:1]
	v_lshlrev_b16_e32 v7, 8, v7
	v_or_b32_e32 v6, 0xd00, v0
	v_or_b32_sdwa v7, v2, v7 dst_sel:DWORD dst_unused:UNUSED_PAD src0_sel:BYTE_0 src1_sel:DWORD
	v_and_b32_e32 v7, 0xffff, v7
	v_cmp_gt_i32_e64 s[0:1], s8, v6
	v_cndmask_b32_e64 v2, v2, v7, s[0:1]
	v_cmp_ne_u16_e64 s[0:1], s10, v18
	s_xor_b64 s[0:1], s[2:3], s[0:1]
	v_and_b32_sdwa v6, v2, s7 dst_sel:DWORD dst_unused:UNUSED_PAD src0_sel:WORD_1 src1_sel:DWORD
	v_cndmask_b32_e64 v7, 0, 1, s[0:1]
	v_or_b32_sdwa v6, v7, v6 dst_sel:WORD_1 dst_unused:UNUSED_PAD src0_sel:DWORD src1_sel:DWORD
	v_or_b32_e32 v7, 0xe00, v0
	v_and_or_b32 v6, v2, s4, v6
	v_cmp_gt_i32_e64 s[0:1], s8, v7
	v_cndmask_b32_e64 v2, v2, v6, s[0:1]
	v_cmp_ne_u16_e64 s[0:1], s10, v17
	s_xor_b64 s[0:1], s[2:3], s[0:1]
	v_cndmask_b32_e64 v8, 0, 1, s[0:1]
	v_and_b32_sdwa v6, v2, s5 dst_sel:DWORD dst_unused:UNUSED_PAD src0_sel:WORD_1 src1_sel:DWORD
	v_lshlrev_b16_e32 v8, 8, v8
	v_or_b32_e32 v7, 0xf00, v0
	v_or_b32_sdwa v6, v6, v8 dst_sel:WORD_1 dst_unused:UNUSED_PAD src0_sel:DWORD src1_sel:DWORD
	v_and_or_b32 v6, v2, s4, v6
	v_cmp_gt_i32_e64 s[0:1], s8, v7
	v_cndmask_b32_e64 v2, v2, v6, s[0:1]
	s_and_saveexec_b64 s[0:1], vcc
	s_cbranch_execnz .LBB336_53
; %bb.36:
	s_or_b64 exec, exec, s[0:1]
	v_cmp_gt_i32_e32 vcc, s8, v0
	s_and_saveexec_b64 s[0:1], vcc
	s_cbranch_execnz .LBB336_54
.LBB336_37:
	s_or_b64 exec, exec, s[0:1]
	v_cmp_gt_i32_e32 vcc, s8, v0
	s_and_saveexec_b64 s[0:1], vcc
	s_cbranch_execnz .LBB336_55
.LBB336_38:
	s_or_b64 exec, exec, s[0:1]
	v_cmp_gt_i32_e32 vcc, s8, v0
	s_and_saveexec_b64 s[0:1], vcc
	s_cbranch_execnz .LBB336_56
.LBB336_39:
	s_or_b64 exec, exec, s[0:1]
	v_cmp_gt_i32_e32 vcc, s8, v0
	s_and_saveexec_b64 s[0:1], vcc
	s_cbranch_execnz .LBB336_57
.LBB336_40:
	s_or_b64 exec, exec, s[0:1]
	v_cmp_gt_i32_e32 vcc, s8, v0
	s_and_saveexec_b64 s[0:1], vcc
	s_cbranch_execnz .LBB336_58
.LBB336_41:
	s_or_b64 exec, exec, s[0:1]
	v_cmp_gt_i32_e32 vcc, s8, v0
	s_and_saveexec_b64 s[0:1], vcc
	s_cbranch_execnz .LBB336_59
.LBB336_42:
	s_or_b64 exec, exec, s[0:1]
	v_cmp_gt_i32_e32 vcc, s8, v0
	s_and_saveexec_b64 s[0:1], vcc
	s_cbranch_execnz .LBB336_60
.LBB336_43:
	s_or_b64 exec, exec, s[0:1]
	v_cmp_gt_i32_e32 vcc, s8, v0
	s_and_saveexec_b64 s[0:1], vcc
	s_cbranch_execnz .LBB336_61
.LBB336_44:
	s_or_b64 exec, exec, s[0:1]
	v_cmp_gt_i32_e32 vcc, s8, v0
	s_and_saveexec_b64 s[0:1], vcc
	s_cbranch_execnz .LBB336_62
.LBB336_45:
	s_or_b64 exec, exec, s[0:1]
	v_cmp_gt_i32_e32 vcc, s8, v0
	s_and_saveexec_b64 s[0:1], vcc
	s_cbranch_execnz .LBB336_63
.LBB336_46:
	s_or_b64 exec, exec, s[0:1]
	v_cmp_gt_i32_e32 vcc, s8, v0
	s_and_saveexec_b64 s[0:1], vcc
	s_cbranch_execnz .LBB336_64
.LBB336_47:
	s_or_b64 exec, exec, s[0:1]
	v_cmp_gt_i32_e32 vcc, s8, v0
	s_and_saveexec_b64 s[0:1], vcc
	s_cbranch_execnz .LBB336_65
.LBB336_48:
	s_or_b64 exec, exec, s[0:1]
	v_cmp_gt_i32_e32 vcc, s8, v0
	s_and_saveexec_b64 s[0:1], vcc
	s_cbranch_execnz .LBB336_66
.LBB336_49:
	s_or_b64 exec, exec, s[0:1]
	v_cmp_gt_i32_e32 vcc, s8, v0
	s_and_saveexec_b64 s[0:1], vcc
	s_cbranch_execnz .LBB336_67
.LBB336_50:
	s_or_b64 exec, exec, s[0:1]
	v_cmp_gt_i32_e32 vcc, s8, v0
	s_and_saveexec_b64 s[0:1], vcc
	s_cbranch_execz .LBB336_52
.LBB336_51:
	v_lshrrev_b32_e32 v1, 24, v2
	v_add_u32_e32 v0, s6, v0
	global_store_byte v0, v1, s[12:13]
.LBB336_52:
	s_endpgm
.LBB336_53:
	v_mov_b32_e32 v0, v19
	global_store_byte v1, v5, s[12:13]
	s_or_b64 exec, exec, s[0:1]
	v_cmp_gt_i32_e32 vcc, s8, v0
	s_and_saveexec_b64 s[0:1], vcc
	s_cbranch_execz .LBB336_37
.LBB336_54:
	v_lshrrev_b32_e32 v1, 8, v5
	v_add_u32_e32 v6, s6, v0
	v_add_u32_e32 v0, 0x100, v0
	global_store_byte v6, v1, s[12:13]
	s_or_b64 exec, exec, s[0:1]
	v_cmp_gt_i32_e32 vcc, s8, v0
	s_and_saveexec_b64 s[0:1], vcc
	s_cbranch_execz .LBB336_38
.LBB336_55:
	v_add_u32_e32 v1, s6, v0
	v_add_u32_e32 v0, 0x100, v0
	global_store_byte_d16_hi v1, v5, s[12:13]
	s_or_b64 exec, exec, s[0:1]
	v_cmp_gt_i32_e32 vcc, s8, v0
	s_and_saveexec_b64 s[0:1], vcc
	s_cbranch_execz .LBB336_39
.LBB336_56:
	v_lshrrev_b32_e32 v1, 24, v5
	v_add_u32_e32 v5, s6, v0
	v_add_u32_e32 v0, 0x100, v0
	global_store_byte v5, v1, s[12:13]
	s_or_b64 exec, exec, s[0:1]
	v_cmp_gt_i32_e32 vcc, s8, v0
	s_and_saveexec_b64 s[0:1], vcc
	s_cbranch_execz .LBB336_40
.LBB336_57:
	v_add_u32_e32 v1, s6, v0
	v_add_u32_e32 v0, 0x100, v0
	global_store_byte v1, v4, s[12:13]
	s_or_b64 exec, exec, s[0:1]
	v_cmp_gt_i32_e32 vcc, s8, v0
	s_and_saveexec_b64 s[0:1], vcc
	s_cbranch_execz .LBB336_41
.LBB336_58:
	v_lshrrev_b32_e32 v1, 8, v4
	v_add_u32_e32 v5, s6, v0
	v_add_u32_e32 v0, 0x100, v0
	global_store_byte v5, v1, s[12:13]
	s_or_b64 exec, exec, s[0:1]
	v_cmp_gt_i32_e32 vcc, s8, v0
	s_and_saveexec_b64 s[0:1], vcc
	s_cbranch_execz .LBB336_42
.LBB336_59:
	v_add_u32_e32 v1, s6, v0
	v_add_u32_e32 v0, 0x100, v0
	global_store_byte_d16_hi v1, v4, s[12:13]
	s_or_b64 exec, exec, s[0:1]
	v_cmp_gt_i32_e32 vcc, s8, v0
	s_and_saveexec_b64 s[0:1], vcc
	s_cbranch_execz .LBB336_43
.LBB336_60:
	v_lshrrev_b32_e32 v1, 24, v4
	v_add_u32_e32 v4, s6, v0
	v_add_u32_e32 v0, 0x100, v0
	global_store_byte v4, v1, s[12:13]
	s_or_b64 exec, exec, s[0:1]
	v_cmp_gt_i32_e32 vcc, s8, v0
	s_and_saveexec_b64 s[0:1], vcc
	s_cbranch_execz .LBB336_44
.LBB336_61:
	v_add_u32_e32 v1, s6, v0
	v_add_u32_e32 v0, 0x100, v0
	global_store_byte v1, v3, s[12:13]
	s_or_b64 exec, exec, s[0:1]
	v_cmp_gt_i32_e32 vcc, s8, v0
	s_and_saveexec_b64 s[0:1], vcc
	s_cbranch_execz .LBB336_45
.LBB336_62:
	v_lshrrev_b32_e32 v1, 8, v3
	v_add_u32_e32 v4, s6, v0
	v_add_u32_e32 v0, 0x100, v0
	global_store_byte v4, v1, s[12:13]
	s_or_b64 exec, exec, s[0:1]
	v_cmp_gt_i32_e32 vcc, s8, v0
	s_and_saveexec_b64 s[0:1], vcc
	s_cbranch_execz .LBB336_46
.LBB336_63:
	v_add_u32_e32 v1, s6, v0
	v_add_u32_e32 v0, 0x100, v0
	global_store_byte_d16_hi v1, v3, s[12:13]
	s_or_b64 exec, exec, s[0:1]
	v_cmp_gt_i32_e32 vcc, s8, v0
	s_and_saveexec_b64 s[0:1], vcc
	s_cbranch_execz .LBB336_47
.LBB336_64:
	v_lshrrev_b32_e32 v1, 24, v3
	v_add_u32_e32 v3, s6, v0
	v_add_u32_e32 v0, 0x100, v0
	global_store_byte v3, v1, s[12:13]
	s_or_b64 exec, exec, s[0:1]
	v_cmp_gt_i32_e32 vcc, s8, v0
	s_and_saveexec_b64 s[0:1], vcc
	s_cbranch_execz .LBB336_48
.LBB336_65:
	v_add_u32_e32 v1, s6, v0
	v_add_u32_e32 v0, 0x100, v0
	global_store_byte v1, v2, s[12:13]
	s_or_b64 exec, exec, s[0:1]
	v_cmp_gt_i32_e32 vcc, s8, v0
	s_and_saveexec_b64 s[0:1], vcc
	s_cbranch_execz .LBB336_49
.LBB336_66:
	v_lshrrev_b32_e32 v1, 8, v2
	v_add_u32_e32 v3, s6, v0
	v_add_u32_e32 v0, 0x100, v0
	global_store_byte v3, v1, s[12:13]
	s_or_b64 exec, exec, s[0:1]
	v_cmp_gt_i32_e32 vcc, s8, v0
	s_and_saveexec_b64 s[0:1], vcc
	s_cbranch_execz .LBB336_50
.LBB336_67:
	v_add_u32_e32 v1, s6, v0
	v_add_u32_e32 v0, 0x100, v0
	global_store_byte_d16_hi v1, v2, s[12:13]
	s_or_b64 exec, exec, s[0:1]
	v_cmp_gt_i32_e32 vcc, s8, v0
	s_and_saveexec_b64 s[0:1], vcc
	s_cbranch_execnz .LBB336_51
	s_branch .LBB336_52
	.section	.rodata,"a",@progbits
	.p2align	6, 0x0
	.amdhsa_kernel _ZN2at6native29vectorized_elementwise_kernelILi2ENS0_13AUnaryFunctorIttbNS0_12_GLOBAL__N_116CompareEqFunctorItEEEESt5arrayIPcLm2EEEEviT0_T1_
		.amdhsa_group_segment_fixed_size 0
		.amdhsa_private_segment_fixed_size 0
		.amdhsa_kernarg_size 32
		.amdhsa_user_sgpr_count 6
		.amdhsa_user_sgpr_private_segment_buffer 1
		.amdhsa_user_sgpr_dispatch_ptr 0
		.amdhsa_user_sgpr_queue_ptr 0
		.amdhsa_user_sgpr_kernarg_segment_ptr 1
		.amdhsa_user_sgpr_dispatch_id 0
		.amdhsa_user_sgpr_flat_scratch_init 0
		.amdhsa_user_sgpr_private_segment_size 0
		.amdhsa_uses_dynamic_stack 0
		.amdhsa_system_sgpr_private_segment_wavefront_offset 0
		.amdhsa_system_sgpr_workgroup_id_x 1
		.amdhsa_system_sgpr_workgroup_id_y 0
		.amdhsa_system_sgpr_workgroup_id_z 0
		.amdhsa_system_sgpr_workgroup_info 0
		.amdhsa_system_vgpr_workitem_id 0
		.amdhsa_next_free_vgpr 21
		.amdhsa_next_free_sgpr 28
		.amdhsa_reserve_vcc 1
		.amdhsa_reserve_flat_scratch 0
		.amdhsa_float_round_mode_32 0
		.amdhsa_float_round_mode_16_64 0
		.amdhsa_float_denorm_mode_32 3
		.amdhsa_float_denorm_mode_16_64 3
		.amdhsa_dx10_clamp 1
		.amdhsa_ieee_mode 1
		.amdhsa_fp16_overflow 0
		.amdhsa_exception_fp_ieee_invalid_op 0
		.amdhsa_exception_fp_denorm_src 0
		.amdhsa_exception_fp_ieee_div_zero 0
		.amdhsa_exception_fp_ieee_overflow 0
		.amdhsa_exception_fp_ieee_underflow 0
		.amdhsa_exception_fp_ieee_inexact 0
		.amdhsa_exception_int_div_zero 0
	.end_amdhsa_kernel
	.section	.text._ZN2at6native29vectorized_elementwise_kernelILi2ENS0_13AUnaryFunctorIttbNS0_12_GLOBAL__N_116CompareEqFunctorItEEEESt5arrayIPcLm2EEEEviT0_T1_,"axG",@progbits,_ZN2at6native29vectorized_elementwise_kernelILi2ENS0_13AUnaryFunctorIttbNS0_12_GLOBAL__N_116CompareEqFunctorItEEEESt5arrayIPcLm2EEEEviT0_T1_,comdat
.Lfunc_end336:
	.size	_ZN2at6native29vectorized_elementwise_kernelILi2ENS0_13AUnaryFunctorIttbNS0_12_GLOBAL__N_116CompareEqFunctorItEEEESt5arrayIPcLm2EEEEviT0_T1_, .Lfunc_end336-_ZN2at6native29vectorized_elementwise_kernelILi2ENS0_13AUnaryFunctorIttbNS0_12_GLOBAL__N_116CompareEqFunctorItEEEESt5arrayIPcLm2EEEEviT0_T1_
                                        ; -- End function
	.set _ZN2at6native29vectorized_elementwise_kernelILi2ENS0_13AUnaryFunctorIttbNS0_12_GLOBAL__N_116CompareEqFunctorItEEEESt5arrayIPcLm2EEEEviT0_T1_.num_vgpr, 21
	.set _ZN2at6native29vectorized_elementwise_kernelILi2ENS0_13AUnaryFunctorIttbNS0_12_GLOBAL__N_116CompareEqFunctorItEEEESt5arrayIPcLm2EEEEviT0_T1_.num_agpr, 0
	.set _ZN2at6native29vectorized_elementwise_kernelILi2ENS0_13AUnaryFunctorIttbNS0_12_GLOBAL__N_116CompareEqFunctorItEEEESt5arrayIPcLm2EEEEviT0_T1_.numbered_sgpr, 28
	.set _ZN2at6native29vectorized_elementwise_kernelILi2ENS0_13AUnaryFunctorIttbNS0_12_GLOBAL__N_116CompareEqFunctorItEEEESt5arrayIPcLm2EEEEviT0_T1_.num_named_barrier, 0
	.set _ZN2at6native29vectorized_elementwise_kernelILi2ENS0_13AUnaryFunctorIttbNS0_12_GLOBAL__N_116CompareEqFunctorItEEEESt5arrayIPcLm2EEEEviT0_T1_.private_seg_size, 0
	.set _ZN2at6native29vectorized_elementwise_kernelILi2ENS0_13AUnaryFunctorIttbNS0_12_GLOBAL__N_116CompareEqFunctorItEEEESt5arrayIPcLm2EEEEviT0_T1_.uses_vcc, 1
	.set _ZN2at6native29vectorized_elementwise_kernelILi2ENS0_13AUnaryFunctorIttbNS0_12_GLOBAL__N_116CompareEqFunctorItEEEESt5arrayIPcLm2EEEEviT0_T1_.uses_flat_scratch, 0
	.set _ZN2at6native29vectorized_elementwise_kernelILi2ENS0_13AUnaryFunctorIttbNS0_12_GLOBAL__N_116CompareEqFunctorItEEEESt5arrayIPcLm2EEEEviT0_T1_.has_dyn_sized_stack, 0
	.set _ZN2at6native29vectorized_elementwise_kernelILi2ENS0_13AUnaryFunctorIttbNS0_12_GLOBAL__N_116CompareEqFunctorItEEEESt5arrayIPcLm2EEEEviT0_T1_.has_recursion, 0
	.set _ZN2at6native29vectorized_elementwise_kernelILi2ENS0_13AUnaryFunctorIttbNS0_12_GLOBAL__N_116CompareEqFunctorItEEEESt5arrayIPcLm2EEEEviT0_T1_.has_indirect_call, 0
	.section	.AMDGPU.csdata,"",@progbits
; Kernel info:
; codeLenInByte = 3656
; TotalNumSgprs: 32
; NumVgprs: 21
; ScratchSize: 0
; MemoryBound: 0
; FloatMode: 240
; IeeeMode: 1
; LDSByteSize: 0 bytes/workgroup (compile time only)
; SGPRBlocks: 3
; VGPRBlocks: 5
; NumSGPRsForWavesPerEU: 32
; NumVGPRsForWavesPerEU: 21
; Occupancy: 10
; WaveLimiterHint : 1
; COMPUTE_PGM_RSRC2:SCRATCH_EN: 0
; COMPUTE_PGM_RSRC2:USER_SGPR: 6
; COMPUTE_PGM_RSRC2:TRAP_HANDLER: 0
; COMPUTE_PGM_RSRC2:TGID_X_EN: 1
; COMPUTE_PGM_RSRC2:TGID_Y_EN: 0
; COMPUTE_PGM_RSRC2:TGID_Z_EN: 0
; COMPUTE_PGM_RSRC2:TIDIG_COMP_CNT: 0
	.section	.text._ZN2at6native27unrolled_elementwise_kernelINS0_13AUnaryFunctorIttbNS0_12_GLOBAL__N_116CompareEqFunctorItEEEESt5arrayIPcLm2EELi4E23TrivialOffsetCalculatorILi1EjESB_NS0_6memory15LoadWithoutCastENSC_16StoreWithoutCastEEEviT_T0_T2_T3_T4_T5_,"axG",@progbits,_ZN2at6native27unrolled_elementwise_kernelINS0_13AUnaryFunctorIttbNS0_12_GLOBAL__N_116CompareEqFunctorItEEEESt5arrayIPcLm2EELi4E23TrivialOffsetCalculatorILi1EjESB_NS0_6memory15LoadWithoutCastENSC_16StoreWithoutCastEEEviT_T0_T2_T3_T4_T5_,comdat
	.globl	_ZN2at6native27unrolled_elementwise_kernelINS0_13AUnaryFunctorIttbNS0_12_GLOBAL__N_116CompareEqFunctorItEEEESt5arrayIPcLm2EELi4E23TrivialOffsetCalculatorILi1EjESB_NS0_6memory15LoadWithoutCastENSC_16StoreWithoutCastEEEviT_T0_T2_T3_T4_T5_ ; -- Begin function _ZN2at6native27unrolled_elementwise_kernelINS0_13AUnaryFunctorIttbNS0_12_GLOBAL__N_116CompareEqFunctorItEEEESt5arrayIPcLm2EELi4E23TrivialOffsetCalculatorILi1EjESB_NS0_6memory15LoadWithoutCastENSC_16StoreWithoutCastEEEviT_T0_T2_T3_T4_T5_
	.p2align	8
	.type	_ZN2at6native27unrolled_elementwise_kernelINS0_13AUnaryFunctorIttbNS0_12_GLOBAL__N_116CompareEqFunctorItEEEESt5arrayIPcLm2EELi4E23TrivialOffsetCalculatorILi1EjESB_NS0_6memory15LoadWithoutCastENSC_16StoreWithoutCastEEEviT_T0_T2_T3_T4_T5_,@function
_ZN2at6native27unrolled_elementwise_kernelINS0_13AUnaryFunctorIttbNS0_12_GLOBAL__N_116CompareEqFunctorItEEEESt5arrayIPcLm2EELi4E23TrivialOffsetCalculatorILi1EjESB_NS0_6memory15LoadWithoutCastENSC_16StoreWithoutCastEEEviT_T0_T2_T3_T4_T5_: ; @_ZN2at6native27unrolled_elementwise_kernelINS0_13AUnaryFunctorIttbNS0_12_GLOBAL__N_116CompareEqFunctorItEEEESt5arrayIPcLm2EELi4E23TrivialOffsetCalculatorILi1EjESB_NS0_6memory15LoadWithoutCastENSC_16StoreWithoutCastEEEviT_T0_T2_T3_T4_T5_
; %bb.0:
	s_load_dwordx8 s[8:15], s[4:5], 0x0
	s_lshl_b32 s4, s6, 10
	v_mov_b32_e32 v3, 0
	v_or_b32_e32 v1, s4, v0
	v_mov_b32_e32 v2, 0
	s_waitcnt lgkmcnt(0)
	s_sub_i32 s5, s8, s4
	v_cmp_gt_i32_e32 vcc, s5, v0
	v_mov_b32_e32 v4, v0
	s_and_saveexec_b64 s[2:3], vcc
	s_cbranch_execz .LBB337_2
; %bb.1:
	v_mov_b32_e32 v2, 0
	v_lshlrev_b64 v[4:5], 1, v[1:2]
	v_mov_b32_e32 v2, s15
	v_add_co_u32_e64 v4, s[0:1], s14, v4
	v_addc_co_u32_e64 v5, s[0:1], v2, v5, s[0:1]
	global_load_ushort v2, v[4:5], off
	v_or_b32_e32 v4, 0x100, v0
.LBB337_2:
	s_or_b64 exec, exec, s[2:3]
	v_cmp_gt_i32_e64 s[0:1], s5, v4
	s_and_saveexec_b64 s[2:3], s[0:1]
	s_cbranch_execz .LBB337_4
; %bb.3:
	v_add_u32_e32 v5, s4, v4
	v_mov_b32_e32 v6, 0
	v_lshlrev_b64 v[5:6], 1, v[5:6]
	v_mov_b32_e32 v3, s15
	v_add_co_u32_e64 v5, s[0:1], s14, v5
	v_addc_co_u32_e64 v6, s[0:1], v3, v6, s[0:1]
	global_load_ushort v3, v[5:6], off
	v_add_u32_e32 v4, 0x100, v4
.LBB337_4:
	s_or_b64 exec, exec, s[2:3]
	v_cmp_gt_i32_e64 s[0:1], s5, v4
	v_mov_b32_e32 v5, 0
	v_mov_b32_e32 v6, 0
	s_and_saveexec_b64 s[2:3], s[0:1]
	s_cbranch_execz .LBB337_6
; %bb.5:
	v_add_u32_e32 v6, s4, v4
	v_mov_b32_e32 v7, 0
	v_lshlrev_b64 v[6:7], 1, v[6:7]
	v_mov_b32_e32 v8, s15
	v_add_co_u32_e64 v6, s[0:1], s14, v6
	v_addc_co_u32_e64 v7, s[0:1], v8, v7, s[0:1]
	global_load_ushort v6, v[6:7], off
	v_add_u32_e32 v4, 0x100, v4
.LBB337_6:
	s_or_b64 exec, exec, s[2:3]
	v_cmp_gt_i32_e64 s[0:1], s5, v4
	s_and_saveexec_b64 s[2:3], s[0:1]
	s_cbranch_execz .LBB337_8
; %bb.7:
	v_add_u32_e32 v4, s4, v4
	v_mov_b32_e32 v5, 0
	v_lshlrev_b64 v[4:5], 1, v[4:5]
	v_mov_b32_e32 v7, s15
	v_add_co_u32_e64 v4, s[0:1], s14, v4
	v_addc_co_u32_e64 v5, s[0:1], v7, v5, s[0:1]
	global_load_ushort v5, v[4:5], off
.LBB337_8:
	s_or_b64 exec, exec, s[2:3]
	s_cmp_eq_u32 s9, 0
	s_cselect_b64 s[2:3], -1, 0
	s_waitcnt vmcnt(0)
	v_cmp_ne_u16_e64 s[0:1], s10, v2
	s_xor_b64 s[0:1], s[2:3], s[0:1]
	v_cndmask_b32_e64 v2, 0, 1, s[0:1]
	v_cmp_ne_u16_e64 s[0:1], s10, v3
	s_xor_b64 s[0:1], s[2:3], s[0:1]
	v_cndmask_b32_e64 v3, 0, 1, s[0:1]
	v_cndmask_b32_e32 v2, 0, v2, vcc
	v_lshlrev_b16_e32 v3, 8, v3
	v_or_b32_e32 v4, 0x100, v0
	v_or_b32_e32 v3, v2, v3
	v_and_b32_e32 v3, 0xffff, v3
	v_cmp_gt_i32_e64 s[0:1], s5, v4
	v_cndmask_b32_e64 v2, v2, v3, s[0:1]
	v_cmp_ne_u16_e64 s[0:1], s10, v6
	s_xor_b64 s[0:1], s[2:3], s[0:1]
	v_cndmask_b32_e64 v6, 0, 1, s[0:1]
	v_or_b32_e32 v3, 0x200, v0
	v_lshlrev_b32_e32 v6, 16, v6
	v_or_b32_e32 v6, v2, v6
	v_cmp_gt_i32_e64 s[0:1], s5, v3
	v_cndmask_b32_e64 v2, v2, v6, s[0:1]
	s_movk_i32 s0, 0xff
	v_and_b32_sdwa v3, v2, s0 dst_sel:DWORD dst_unused:UNUSED_PAD src0_sel:WORD_1 src1_sel:DWORD
	v_cmp_ne_u16_e64 s[0:1], s10, v5
	s_xor_b64 s[0:1], s[2:3], s[0:1]
	v_cndmask_b32_e64 v5, 0, 1, s[0:1]
	v_lshlrev_b16_e32 v5, 8, v5
	s_mov_b32 s6, 0xffff
	v_or_b32_e32 v6, 0x300, v0
	v_or_b32_sdwa v3, v3, v5 dst_sel:WORD_1 dst_unused:UNUSED_PAD src0_sel:DWORD src1_sel:DWORD
	v_and_or_b32 v3, v2, s6, v3
	v_cmp_gt_i32_e64 s[0:1], s5, v6
	v_cndmask_b32_e64 v2, v2, v3, s[0:1]
	s_and_saveexec_b64 s[0:1], vcc
	s_cbranch_execnz .LBB337_13
; %bb.9:
	s_or_b64 exec, exec, s[0:1]
	v_cmp_gt_i32_e32 vcc, s5, v0
	s_and_saveexec_b64 s[0:1], vcc
	s_cbranch_execnz .LBB337_14
.LBB337_10:
	s_or_b64 exec, exec, s[0:1]
	v_cmp_gt_i32_e32 vcc, s5, v0
	s_and_saveexec_b64 s[0:1], vcc
	s_cbranch_execnz .LBB337_15
.LBB337_11:
	s_or_b64 exec, exec, s[0:1]
	v_cmp_gt_i32_e32 vcc, s5, v0
	s_and_saveexec_b64 s[0:1], vcc
	s_cbranch_execnz .LBB337_16
.LBB337_12:
	s_endpgm
.LBB337_13:
	v_mov_b32_e32 v0, v4
	global_store_byte v1, v2, s[12:13]
	s_or_b64 exec, exec, s[0:1]
	v_cmp_gt_i32_e32 vcc, s5, v0
	s_and_saveexec_b64 s[0:1], vcc
	s_cbranch_execz .LBB337_10
.LBB337_14:
	v_add_u32_e32 v1, 0x100, v0
	v_add_u32_e32 v0, s4, v0
	v_lshrrev_b32_e32 v3, 8, v2
	global_store_byte v0, v3, s[12:13]
	v_mov_b32_e32 v0, v1
	s_or_b64 exec, exec, s[0:1]
	v_cmp_gt_i32_e32 vcc, s5, v0
	s_and_saveexec_b64 s[0:1], vcc
	s_cbranch_execz .LBB337_11
.LBB337_15:
	v_add_u32_e32 v1, 0x100, v0
	v_add_u32_e32 v0, s4, v0
	global_store_byte_d16_hi v0, v2, s[12:13]
	v_mov_b32_e32 v0, v1
	s_or_b64 exec, exec, s[0:1]
	v_cmp_gt_i32_e32 vcc, s5, v0
	s_and_saveexec_b64 s[0:1], vcc
	s_cbranch_execz .LBB337_12
.LBB337_16:
	v_add_u32_e32 v0, s4, v0
	v_lshrrev_b32_e32 v1, 24, v2
	global_store_byte v0, v1, s[12:13]
	s_endpgm
	.section	.rodata,"a",@progbits
	.p2align	6, 0x0
	.amdhsa_kernel _ZN2at6native27unrolled_elementwise_kernelINS0_13AUnaryFunctorIttbNS0_12_GLOBAL__N_116CompareEqFunctorItEEEESt5arrayIPcLm2EELi4E23TrivialOffsetCalculatorILi1EjESB_NS0_6memory15LoadWithoutCastENSC_16StoreWithoutCastEEEviT_T0_T2_T3_T4_T5_
		.amdhsa_group_segment_fixed_size 0
		.amdhsa_private_segment_fixed_size 0
		.amdhsa_kernarg_size 36
		.amdhsa_user_sgpr_count 6
		.amdhsa_user_sgpr_private_segment_buffer 1
		.amdhsa_user_sgpr_dispatch_ptr 0
		.amdhsa_user_sgpr_queue_ptr 0
		.amdhsa_user_sgpr_kernarg_segment_ptr 1
		.amdhsa_user_sgpr_dispatch_id 0
		.amdhsa_user_sgpr_flat_scratch_init 0
		.amdhsa_user_sgpr_private_segment_size 0
		.amdhsa_uses_dynamic_stack 0
		.amdhsa_system_sgpr_private_segment_wavefront_offset 0
		.amdhsa_system_sgpr_workgroup_id_x 1
		.amdhsa_system_sgpr_workgroup_id_y 0
		.amdhsa_system_sgpr_workgroup_id_z 0
		.amdhsa_system_sgpr_workgroup_info 0
		.amdhsa_system_vgpr_workitem_id 0
		.amdhsa_next_free_vgpr 9
		.amdhsa_next_free_sgpr 16
		.amdhsa_reserve_vcc 1
		.amdhsa_reserve_flat_scratch 0
		.amdhsa_float_round_mode_32 0
		.amdhsa_float_round_mode_16_64 0
		.amdhsa_float_denorm_mode_32 3
		.amdhsa_float_denorm_mode_16_64 3
		.amdhsa_dx10_clamp 1
		.amdhsa_ieee_mode 1
		.amdhsa_fp16_overflow 0
		.amdhsa_exception_fp_ieee_invalid_op 0
		.amdhsa_exception_fp_denorm_src 0
		.amdhsa_exception_fp_ieee_div_zero 0
		.amdhsa_exception_fp_ieee_overflow 0
		.amdhsa_exception_fp_ieee_underflow 0
		.amdhsa_exception_fp_ieee_inexact 0
		.amdhsa_exception_int_div_zero 0
	.end_amdhsa_kernel
	.section	.text._ZN2at6native27unrolled_elementwise_kernelINS0_13AUnaryFunctorIttbNS0_12_GLOBAL__N_116CompareEqFunctorItEEEESt5arrayIPcLm2EELi4E23TrivialOffsetCalculatorILi1EjESB_NS0_6memory15LoadWithoutCastENSC_16StoreWithoutCastEEEviT_T0_T2_T3_T4_T5_,"axG",@progbits,_ZN2at6native27unrolled_elementwise_kernelINS0_13AUnaryFunctorIttbNS0_12_GLOBAL__N_116CompareEqFunctorItEEEESt5arrayIPcLm2EELi4E23TrivialOffsetCalculatorILi1EjESB_NS0_6memory15LoadWithoutCastENSC_16StoreWithoutCastEEEviT_T0_T2_T3_T4_T5_,comdat
.Lfunc_end337:
	.size	_ZN2at6native27unrolled_elementwise_kernelINS0_13AUnaryFunctorIttbNS0_12_GLOBAL__N_116CompareEqFunctorItEEEESt5arrayIPcLm2EELi4E23TrivialOffsetCalculatorILi1EjESB_NS0_6memory15LoadWithoutCastENSC_16StoreWithoutCastEEEviT_T0_T2_T3_T4_T5_, .Lfunc_end337-_ZN2at6native27unrolled_elementwise_kernelINS0_13AUnaryFunctorIttbNS0_12_GLOBAL__N_116CompareEqFunctorItEEEESt5arrayIPcLm2EELi4E23TrivialOffsetCalculatorILi1EjESB_NS0_6memory15LoadWithoutCastENSC_16StoreWithoutCastEEEviT_T0_T2_T3_T4_T5_
                                        ; -- End function
	.set _ZN2at6native27unrolled_elementwise_kernelINS0_13AUnaryFunctorIttbNS0_12_GLOBAL__N_116CompareEqFunctorItEEEESt5arrayIPcLm2EELi4E23TrivialOffsetCalculatorILi1EjESB_NS0_6memory15LoadWithoutCastENSC_16StoreWithoutCastEEEviT_T0_T2_T3_T4_T5_.num_vgpr, 9
	.set _ZN2at6native27unrolled_elementwise_kernelINS0_13AUnaryFunctorIttbNS0_12_GLOBAL__N_116CompareEqFunctorItEEEESt5arrayIPcLm2EELi4E23TrivialOffsetCalculatorILi1EjESB_NS0_6memory15LoadWithoutCastENSC_16StoreWithoutCastEEEviT_T0_T2_T3_T4_T5_.num_agpr, 0
	.set _ZN2at6native27unrolled_elementwise_kernelINS0_13AUnaryFunctorIttbNS0_12_GLOBAL__N_116CompareEqFunctorItEEEESt5arrayIPcLm2EELi4E23TrivialOffsetCalculatorILi1EjESB_NS0_6memory15LoadWithoutCastENSC_16StoreWithoutCastEEEviT_T0_T2_T3_T4_T5_.numbered_sgpr, 16
	.set _ZN2at6native27unrolled_elementwise_kernelINS0_13AUnaryFunctorIttbNS0_12_GLOBAL__N_116CompareEqFunctorItEEEESt5arrayIPcLm2EELi4E23TrivialOffsetCalculatorILi1EjESB_NS0_6memory15LoadWithoutCastENSC_16StoreWithoutCastEEEviT_T0_T2_T3_T4_T5_.num_named_barrier, 0
	.set _ZN2at6native27unrolled_elementwise_kernelINS0_13AUnaryFunctorIttbNS0_12_GLOBAL__N_116CompareEqFunctorItEEEESt5arrayIPcLm2EELi4E23TrivialOffsetCalculatorILi1EjESB_NS0_6memory15LoadWithoutCastENSC_16StoreWithoutCastEEEviT_T0_T2_T3_T4_T5_.private_seg_size, 0
	.set _ZN2at6native27unrolled_elementwise_kernelINS0_13AUnaryFunctorIttbNS0_12_GLOBAL__N_116CompareEqFunctorItEEEESt5arrayIPcLm2EELi4E23TrivialOffsetCalculatorILi1EjESB_NS0_6memory15LoadWithoutCastENSC_16StoreWithoutCastEEEviT_T0_T2_T3_T4_T5_.uses_vcc, 1
	.set _ZN2at6native27unrolled_elementwise_kernelINS0_13AUnaryFunctorIttbNS0_12_GLOBAL__N_116CompareEqFunctorItEEEESt5arrayIPcLm2EELi4E23TrivialOffsetCalculatorILi1EjESB_NS0_6memory15LoadWithoutCastENSC_16StoreWithoutCastEEEviT_T0_T2_T3_T4_T5_.uses_flat_scratch, 0
	.set _ZN2at6native27unrolled_elementwise_kernelINS0_13AUnaryFunctorIttbNS0_12_GLOBAL__N_116CompareEqFunctorItEEEESt5arrayIPcLm2EELi4E23TrivialOffsetCalculatorILi1EjESB_NS0_6memory15LoadWithoutCastENSC_16StoreWithoutCastEEEviT_T0_T2_T3_T4_T5_.has_dyn_sized_stack, 0
	.set _ZN2at6native27unrolled_elementwise_kernelINS0_13AUnaryFunctorIttbNS0_12_GLOBAL__N_116CompareEqFunctorItEEEESt5arrayIPcLm2EELi4E23TrivialOffsetCalculatorILi1EjESB_NS0_6memory15LoadWithoutCastENSC_16StoreWithoutCastEEEviT_T0_T2_T3_T4_T5_.has_recursion, 0
	.set _ZN2at6native27unrolled_elementwise_kernelINS0_13AUnaryFunctorIttbNS0_12_GLOBAL__N_116CompareEqFunctorItEEEESt5arrayIPcLm2EELi4E23TrivialOffsetCalculatorILi1EjESB_NS0_6memory15LoadWithoutCastENSC_16StoreWithoutCastEEEviT_T0_T2_T3_T4_T5_.has_indirect_call, 0
	.section	.AMDGPU.csdata,"",@progbits
; Kernel info:
; codeLenInByte = 740
; TotalNumSgprs: 20
; NumVgprs: 9
; ScratchSize: 0
; MemoryBound: 0
; FloatMode: 240
; IeeeMode: 1
; LDSByteSize: 0 bytes/workgroup (compile time only)
; SGPRBlocks: 2
; VGPRBlocks: 2
; NumSGPRsForWavesPerEU: 20
; NumVGPRsForWavesPerEU: 9
; Occupancy: 10
; WaveLimiterHint : 0
; COMPUTE_PGM_RSRC2:SCRATCH_EN: 0
; COMPUTE_PGM_RSRC2:USER_SGPR: 6
; COMPUTE_PGM_RSRC2:TRAP_HANDLER: 0
; COMPUTE_PGM_RSRC2:TGID_X_EN: 1
; COMPUTE_PGM_RSRC2:TGID_Y_EN: 0
; COMPUTE_PGM_RSRC2:TGID_Z_EN: 0
; COMPUTE_PGM_RSRC2:TIDIG_COMP_CNT: 0
	.section	.text._ZN2at6native32elementwise_kernel_manual_unrollILi128ELi8EZNS0_22gpu_kernel_impl_nocastINS0_13AUnaryFunctorIttbNS0_12_GLOBAL__N_116CompareEqFunctorItEEEEEEvRNS_18TensorIteratorBaseERKT_EUlibE_EEviT1_,"axG",@progbits,_ZN2at6native32elementwise_kernel_manual_unrollILi128ELi8EZNS0_22gpu_kernel_impl_nocastINS0_13AUnaryFunctorIttbNS0_12_GLOBAL__N_116CompareEqFunctorItEEEEEEvRNS_18TensorIteratorBaseERKT_EUlibE_EEviT1_,comdat
	.globl	_ZN2at6native32elementwise_kernel_manual_unrollILi128ELi8EZNS0_22gpu_kernel_impl_nocastINS0_13AUnaryFunctorIttbNS0_12_GLOBAL__N_116CompareEqFunctorItEEEEEEvRNS_18TensorIteratorBaseERKT_EUlibE_EEviT1_ ; -- Begin function _ZN2at6native32elementwise_kernel_manual_unrollILi128ELi8EZNS0_22gpu_kernel_impl_nocastINS0_13AUnaryFunctorIttbNS0_12_GLOBAL__N_116CompareEqFunctorItEEEEEEvRNS_18TensorIteratorBaseERKT_EUlibE_EEviT1_
	.p2align	8
	.type	_ZN2at6native32elementwise_kernel_manual_unrollILi128ELi8EZNS0_22gpu_kernel_impl_nocastINS0_13AUnaryFunctorIttbNS0_12_GLOBAL__N_116CompareEqFunctorItEEEEEEvRNS_18TensorIteratorBaseERKT_EUlibE_EEviT1_,@function
_ZN2at6native32elementwise_kernel_manual_unrollILi128ELi8EZNS0_22gpu_kernel_impl_nocastINS0_13AUnaryFunctorIttbNS0_12_GLOBAL__N_116CompareEqFunctorItEEEEEEvRNS_18TensorIteratorBaseERKT_EUlibE_EEviT1_: ; @_ZN2at6native32elementwise_kernel_manual_unrollILi128ELi8EZNS0_22gpu_kernel_impl_nocastINS0_13AUnaryFunctorIttbNS0_12_GLOBAL__N_116CompareEqFunctorItEEEEEEvRNS_18TensorIteratorBaseERKT_EUlibE_EEviT1_
; %bb.0:
	s_load_dword s59, s[4:5], 0x0
	s_load_dword s33, s[4:5], 0x8
	s_add_u32 s34, s4, 8
	s_addc_u32 s35, s5, 0
	v_lshl_or_b32 v19, s6, 10, v0
	v_or_b32_e32 v25, 0x380, v19
	s_waitcnt lgkmcnt(0)
	s_add_i32 s58, s33, -1
	s_cmp_gt_u32 s58, 1
	v_cmp_le_i32_e32 vcc, s59, v25
	s_cselect_b64 s[36:37], -1, 0
	s_and_saveexec_b64 s[0:1], vcc
	s_xor_b64 s[38:39], exec, s[0:1]
	s_cbranch_execz .LBB338_7
; %bb.1:
	s_load_dwordx4 s[20:23], s[34:35], 0x4
	s_load_dwordx2 s[44:45], s[34:35], 0x14
	s_load_dwordx2 s[40:41], s[34:35], 0x158
	s_cmp_lg_u32 s33, 0
	s_cselect_b64 s[50:51], -1, 0
	s_add_u32 s48, s34, 0xc4
	s_load_dwordx4 s[24:27], s[34:35], 0xc4
	s_load_dwordx4 s[16:19], s[34:35], 0x148
	s_addc_u32 s49, s35, 0
	s_min_u32 s60, s58, 15
	s_cmp_gt_u32 s33, 1
	s_cselect_b64 s[46:47], -1, 0
	s_waitcnt lgkmcnt(0)
	s_cmp_eq_u32 s40, 0
	s_cselect_b64 s[42:43], -1, 0
	v_cmp_gt_i32_e32 vcc, s59, v19
	s_and_saveexec_b64 s[52:53], vcc
	s_cbranch_execz .LBB338_14
; %bb.2:
	s_andn2_b64 vcc, exec, s[36:37]
	s_cbranch_vccnz .LBB338_21
; %bb.3:
	s_andn2_b64 vcc, exec, s[50:51]
	s_cbranch_vccnz .LBB338_129
; %bb.4:
	s_add_i32 s61, s60, 1
	s_cmp_eq_u32 s58, 2
	s_cbranch_scc1 .LBB338_131
; %bb.5:
	s_and_b32 s40, s61, 28
	v_mov_b32_e32 v2, 0
	s_mov_b32 s62, 0
	s_mov_b64 s[54:55], s[34:35]
	s_mov_b64 s[56:57], s[48:49]
	v_mov_b32_e32 v0, 0
	v_mov_b32_e32 v1, v19
.LBB338_6:                              ; =>This Inner Loop Header: Depth=1
	s_load_dwordx8 s[8:15], s[54:55], 0x4
	s_load_dwordx4 s[28:31], s[54:55], 0x24
	s_load_dwordx8 s[0:7], s[56:57], 0x0
	s_add_u32 s54, s54, 48
	s_addc_u32 s55, s55, 0
	s_waitcnt lgkmcnt(0)
	v_mul_hi_u32 v3, s9, v1
	s_add_i32 s62, s62, 4
	s_add_u32 s56, s56, 32
	s_addc_u32 s57, s57, 0
	v_add_u32_e32 v3, v1, v3
	v_lshrrev_b32_e32 v3, s10, v3
	v_mul_lo_u32 v4, v3, s8
	v_mul_hi_u32 v5, s12, v3
	s_cmp_lg_u32 s40, s62
	v_sub_u32_e32 v1, v1, v4
	v_add_u32_e32 v4, v3, v5
	v_mul_lo_u32 v5, v1, s0
	v_mul_lo_u32 v6, v1, s1
	v_lshrrev_b32_e32 v1, s13, v4
	v_mul_lo_u32 v4, v1, s11
	v_mul_hi_u32 v7, s15, v1
	v_sub_u32_e32 v3, v3, v4
	v_add_u32_e32 v4, v1, v7
	v_lshrrev_b32_e32 v4, s28, v4
	v_mul_hi_u32 v8, s30, v4
	v_mul_lo_u32 v9, v4, s14
	v_mul_lo_u32 v7, v3, s2
	;; [unrolled: 1-line block ×3, first 2 shown]
	v_sub_u32_e32 v9, v1, v9
	v_add_u32_e32 v1, v4, v8
	v_lshrrev_b32_e32 v1, s31, v1
	v_mul_lo_u32 v8, v1, s29
	v_mul_lo_u32 v10, v9, s4
	v_mul_lo_u32 v9, v9, s5
	v_add3_u32 v0, v5, v0, v7
	v_sub_u32_e32 v4, v4, v8
	v_mul_lo_u32 v8, v4, s6
	v_mul_lo_u32 v4, v4, s7
	v_add3_u32 v2, v6, v2, v3
	v_add3_u32 v0, v10, v0, v8
	;; [unrolled: 1-line block ×3, first 2 shown]
	s_cbranch_scc1 .LBB338_6
	s_branch .LBB338_132
.LBB338_7:
	s_andn2_saveexec_b64 s[0:1], s[38:39]
	s_cbranch_execz .LBB338_221
.LBB338_8:
	v_cndmask_b32_e64 v0, 0, 1, s[36:37]
	v_cmp_ne_u32_e64 s[0:1], 1, v0
	s_andn2_b64 vcc, exec, s[36:37]
	s_cbranch_vccnz .LBB338_20
; %bb.9:
	s_cmp_lg_u32 s33, 0
	s_mov_b32 s26, 0
	s_cbranch_scc0 .LBB338_23
; %bb.10:
	s_min_u32 s27, s58, 15
	s_add_i32 s27, s27, 1
	s_cmp_eq_u32 s58, 2
	s_cbranch_scc1 .LBB338_24
; %bb.11:
	s_and_b32 s26, s27, 28
	s_add_u32 s2, s34, 0xc4
	s_addc_u32 s3, s35, 0
	v_mov_b32_e32 v2, 0
	s_mov_b32 s28, 0
	s_mov_b64 s[24:25], s[34:35]
	v_mov_b32_e32 v0, 0
	v_mov_b32_e32 v1, v19
.LBB338_12:                             ; =>This Inner Loop Header: Depth=1
	s_load_dwordx8 s[12:19], s[24:25], 0x4
	s_load_dwordx4 s[20:23], s[24:25], 0x24
	s_load_dwordx8 s[4:11], s[2:3], 0x0
	s_add_u32 s24, s24, 48
	s_addc_u32 s25, s25, 0
	s_waitcnt lgkmcnt(0)
	v_mul_hi_u32 v3, s13, v1
	s_add_i32 s28, s28, 4
	s_add_u32 s2, s2, 32
	s_addc_u32 s3, s3, 0
	v_add_u32_e32 v3, v1, v3
	v_lshrrev_b32_e32 v3, s14, v3
	v_mul_lo_u32 v4, v3, s12
	v_mul_hi_u32 v5, s16, v3
	s_cmp_lg_u32 s26, s28
	v_sub_u32_e32 v1, v1, v4
	v_add_u32_e32 v4, v3, v5
	v_mul_lo_u32 v5, v1, s4
	v_mul_lo_u32 v6, v1, s5
	v_lshrrev_b32_e32 v1, s17, v4
	v_mul_lo_u32 v4, v1, s15
	v_mul_hi_u32 v7, s19, v1
	v_sub_u32_e32 v3, v3, v4
	v_add_u32_e32 v4, v1, v7
	v_lshrrev_b32_e32 v4, s20, v4
	v_mul_hi_u32 v8, s22, v4
	v_mul_lo_u32 v9, v4, s18
	v_mul_lo_u32 v7, v3, s6
	;; [unrolled: 1-line block ×3, first 2 shown]
	v_sub_u32_e32 v9, v1, v9
	v_add_u32_e32 v1, v4, v8
	v_lshrrev_b32_e32 v1, s23, v1
	v_mul_lo_u32 v8, v1, s21
	v_mul_lo_u32 v10, v9, s8
	;; [unrolled: 1-line block ×3, first 2 shown]
	v_add3_u32 v0, v5, v0, v7
	v_sub_u32_e32 v4, v4, v8
	v_mul_lo_u32 v8, v4, s10
	v_mul_lo_u32 v4, v4, s11
	v_add3_u32 v2, v6, v2, v3
	v_add3_u32 v0, v10, v0, v8
	;; [unrolled: 1-line block ×3, first 2 shown]
	s_cbranch_scc1 .LBB338_12
; %bb.13:
	s_and_b32 s6, s27, 3
	s_cmp_eq_u32 s6, 0
	s_cbranch_scc0 .LBB338_25
	s_branch .LBB338_27
.LBB338_14:
	s_or_b64 exec, exec, s[52:53]
	v_cmp_gt_i32_e32 vcc, s59, v19
	s_and_saveexec_b64 s[52:53], vcc
	s_cbranch_execz .LBB338_139
.LBB338_15:
	s_andn2_b64 vcc, exec, s[36:37]
	s_cbranch_vccnz .LBB338_22
; %bb.16:
	s_andn2_b64 vcc, exec, s[50:51]
	s_cbranch_vccnz .LBB338_130
; %bb.17:
	s_add_i32 s61, s60, 1
	s_cmp_eq_u32 s58, 2
	s_cbranch_scc1 .LBB338_147
; %bb.18:
	s_and_b32 s40, s61, 28
	v_mov_b32_e32 v2, 0
	s_mov_b32 s62, 0
	s_mov_b64 s[54:55], s[34:35]
	s_mov_b64 s[56:57], s[48:49]
	v_mov_b32_e32 v0, 0
	v_mov_b32_e32 v1, v19
.LBB338_19:                             ; =>This Inner Loop Header: Depth=1
	s_load_dwordx8 s[8:15], s[54:55], 0x4
	s_load_dwordx4 s[28:31], s[54:55], 0x24
	s_load_dwordx8 s[0:7], s[56:57], 0x0
	s_add_u32 s54, s54, 48
	s_addc_u32 s55, s55, 0
	s_waitcnt lgkmcnt(0)
	v_mul_hi_u32 v3, s9, v1
	s_add_i32 s62, s62, 4
	s_add_u32 s56, s56, 32
	s_addc_u32 s57, s57, 0
	v_add_u32_e32 v3, v1, v3
	v_lshrrev_b32_e32 v3, s10, v3
	v_mul_lo_u32 v4, v3, s8
	v_mul_hi_u32 v5, s12, v3
	s_cmp_eq_u32 s40, s62
	v_sub_u32_e32 v1, v1, v4
	v_add_u32_e32 v4, v3, v5
	v_mul_lo_u32 v5, v1, s0
	v_mul_lo_u32 v6, v1, s1
	v_lshrrev_b32_e32 v1, s13, v4
	v_mul_lo_u32 v4, v1, s11
	v_mul_hi_u32 v7, s15, v1
	v_sub_u32_e32 v3, v3, v4
	v_add_u32_e32 v4, v1, v7
	v_lshrrev_b32_e32 v4, s28, v4
	v_mul_hi_u32 v8, s30, v4
	v_mul_lo_u32 v9, v4, s14
	v_mul_lo_u32 v7, v3, s2
	;; [unrolled: 1-line block ×3, first 2 shown]
	v_sub_u32_e32 v9, v1, v9
	v_add_u32_e32 v1, v4, v8
	v_lshrrev_b32_e32 v1, s31, v1
	v_mul_lo_u32 v8, v1, s29
	v_mul_lo_u32 v10, v9, s4
	;; [unrolled: 1-line block ×3, first 2 shown]
	v_add3_u32 v0, v5, v0, v7
	v_sub_u32_e32 v4, v4, v8
	v_mul_lo_u32 v8, v4, s6
	v_mul_lo_u32 v4, v4, s7
	v_add3_u32 v2, v6, v2, v3
	v_add3_u32 v0, v10, v0, v8
	;; [unrolled: 1-line block ×3, first 2 shown]
	s_cbranch_scc0 .LBB338_19
	s_branch .LBB338_148
.LBB338_20:
                                        ; implicit-def: $vgpr0
                                        ; implicit-def: $vgpr2
	s_branch .LBB338_28
.LBB338_21:
                                        ; implicit-def: $vgpr0
                                        ; implicit-def: $vgpr2
	s_branch .LBB338_136
.LBB338_22:
                                        ; implicit-def: $vgpr0
                                        ; implicit-def: $vgpr2
	s_branch .LBB338_152
.LBB338_23:
	v_mov_b32_e32 v0, 0
	v_mov_b32_e32 v2, 0
	s_branch .LBB338_27
.LBB338_24:
	v_mov_b32_e32 v0, 0
	v_mov_b32_e32 v2, 0
	;; [unrolled: 1-line block ×3, first 2 shown]
	s_and_b32 s6, s27, 3
	s_cmp_eq_u32 s6, 0
	s_cbranch_scc1 .LBB338_27
.LBB338_25:
	s_lshl_b32 s2, s26, 3
	s_add_u32 s2, s34, s2
	s_addc_u32 s3, s35, 0
	s_add_u32 s2, s2, 0xc4
	s_addc_u32 s3, s3, 0
	s_mul_i32 s4, s26, 12
	s_add_u32 s4, s34, s4
	s_addc_u32 s5, s35, 0
.LBB338_26:                             ; =>This Inner Loop Header: Depth=1
	s_load_dwordx2 s[8:9], s[4:5], 0x4
	s_load_dword s7, s[4:5], 0xc
	s_load_dwordx2 s[10:11], s[2:3], 0x0
	s_add_u32 s4, s4, 12
	s_addc_u32 s5, s5, 0
	s_waitcnt lgkmcnt(0)
	v_mul_hi_u32 v4, s9, v1
	s_add_u32 s2, s2, 8
	s_addc_u32 s3, s3, 0
	s_add_i32 s6, s6, -1
	v_add_u32_e32 v4, v1, v4
	v_lshrrev_b32_e32 v4, s7, v4
	v_mul_lo_u32 v5, v4, s8
	s_cmp_lg_u32 s6, 0
	v_sub_u32_e32 v5, v1, v5
	v_mad_u64_u32 v[0:1], s[8:9], v5, s10, v[0:1]
	v_mad_u64_u32 v[2:3], s[8:9], v5, s11, v[2:3]
	v_mov_b32_e32 v1, v4
	s_cbranch_scc1 .LBB338_26
.LBB338_27:
	s_cbranch_execnz .LBB338_30
.LBB338_28:
	s_load_dwordx4 s[4:7], s[34:35], 0x4
	s_load_dwordx2 s[2:3], s[34:35], 0xc4
	s_cmp_lt_u32 s33, 2
	s_waitcnt lgkmcnt(0)
	v_mul_hi_u32 v0, s5, v19
	v_add_u32_e32 v0, v19, v0
	v_lshrrev_b32_e32 v1, s6, v0
	v_mul_lo_u32 v0, v1, s4
	v_sub_u32_e32 v2, v19, v0
	v_mul_lo_u32 v0, v2, s2
	v_mul_lo_u32 v2, v2, s3
	s_cbranch_scc1 .LBB338_30
; %bb.29:
	s_load_dwordx4 s[4:7], s[34:35], 0x10
	s_load_dwordx2 s[2:3], s[34:35], 0xcc
	s_waitcnt lgkmcnt(0)
	v_mul_hi_u32 v3, s5, v1
	v_add_u32_e32 v3, v1, v3
	v_lshrrev_b32_e32 v3, s6, v3
	v_mul_lo_u32 v3, v3, s4
	v_sub_u32_e32 v3, v1, v3
	v_mad_u64_u32 v[0:1], s[4:5], v3, s2, v[0:1]
	v_mad_u64_u32 v[2:3], s[2:3], v3, s3, v[2:3]
.LBB338_30:
	s_and_b64 vcc, exec, s[0:1]
	v_add_u32_e32 v1, 0x80, v19
	s_cbranch_vccnz .LBB338_36
; %bb.31:
	s_cmp_lg_u32 s33, 0
	s_mov_b32 s26, 0
	s_cbranch_scc0 .LBB338_37
; %bb.32:
	s_min_u32 s27, s58, 15
	s_add_i32 s27, s27, 1
	s_cmp_eq_u32 s58, 2
	s_cbranch_scc1 .LBB338_38
; %bb.33:
	s_and_b32 s26, s27, 28
	s_add_u32 s2, s34, 0xc4
	s_addc_u32 s3, s35, 0
	v_mov_b32_e32 v5, 0
	s_mov_b32 s28, 0
	s_mov_b64 s[24:25], s[34:35]
	v_mov_b32_e32 v3, 0
	v_mov_b32_e32 v4, v1
.LBB338_34:                             ; =>This Inner Loop Header: Depth=1
	s_load_dwordx8 s[12:19], s[24:25], 0x4
	s_load_dwordx4 s[20:23], s[24:25], 0x24
	s_load_dwordx8 s[4:11], s[2:3], 0x0
	s_add_u32 s24, s24, 48
	s_addc_u32 s25, s25, 0
	s_waitcnt lgkmcnt(0)
	v_mul_hi_u32 v6, s13, v4
	s_add_i32 s28, s28, 4
	s_add_u32 s2, s2, 32
	s_addc_u32 s3, s3, 0
	v_add_u32_e32 v6, v4, v6
	v_lshrrev_b32_e32 v6, s14, v6
	v_mul_lo_u32 v7, v6, s12
	v_mul_hi_u32 v8, s16, v6
	s_cmp_lg_u32 s26, s28
	v_sub_u32_e32 v4, v4, v7
	v_add_u32_e32 v7, v6, v8
	v_mul_lo_u32 v8, v4, s4
	v_mul_lo_u32 v9, v4, s5
	v_lshrrev_b32_e32 v4, s17, v7
	v_mul_lo_u32 v7, v4, s15
	v_mul_hi_u32 v10, s19, v4
	v_sub_u32_e32 v6, v6, v7
	v_add_u32_e32 v7, v4, v10
	v_lshrrev_b32_e32 v7, s20, v7
	v_mul_hi_u32 v11, s22, v7
	v_mul_lo_u32 v12, v7, s18
	v_mul_lo_u32 v10, v6, s6
	;; [unrolled: 1-line block ×3, first 2 shown]
	v_sub_u32_e32 v12, v4, v12
	v_add_u32_e32 v4, v7, v11
	v_lshrrev_b32_e32 v4, s23, v4
	v_mul_lo_u32 v11, v4, s21
	v_mul_lo_u32 v13, v12, s8
	;; [unrolled: 1-line block ×3, first 2 shown]
	v_add3_u32 v3, v8, v3, v10
	v_sub_u32_e32 v7, v7, v11
	v_mul_lo_u32 v11, v7, s10
	v_mul_lo_u32 v7, v7, s11
	v_add3_u32 v5, v9, v5, v6
	v_add3_u32 v3, v13, v3, v11
	v_add3_u32 v5, v12, v5, v7
	s_cbranch_scc1 .LBB338_34
; %bb.35:
	s_and_b32 s6, s27, 3
	s_cmp_eq_u32 s6, 0
	s_cbranch_scc0 .LBB338_39
	s_branch .LBB338_41
.LBB338_36:
                                        ; implicit-def: $vgpr3
                                        ; implicit-def: $vgpr5
	s_branch .LBB338_42
.LBB338_37:
	v_mov_b32_e32 v3, 0
	v_mov_b32_e32 v5, 0
	s_branch .LBB338_41
.LBB338_38:
	v_mov_b32_e32 v3, 0
	v_mov_b32_e32 v5, 0
	;; [unrolled: 1-line block ×3, first 2 shown]
	s_and_b32 s6, s27, 3
	s_cmp_eq_u32 s6, 0
	s_cbranch_scc1 .LBB338_41
.LBB338_39:
	s_lshl_b32 s2, s26, 3
	s_add_u32 s2, s34, s2
	s_addc_u32 s3, s35, 0
	s_add_u32 s2, s2, 0xc4
	s_addc_u32 s3, s3, 0
	s_mul_i32 s4, s26, 12
	s_add_u32 s4, s34, s4
	s_addc_u32 s5, s35, 0
.LBB338_40:                             ; =>This Inner Loop Header: Depth=1
	s_load_dwordx2 s[8:9], s[4:5], 0x4
	s_load_dword s7, s[4:5], 0xc
	s_load_dwordx2 s[10:11], s[2:3], 0x0
	s_add_u32 s4, s4, 12
	s_addc_u32 s5, s5, 0
	s_waitcnt lgkmcnt(0)
	v_mul_hi_u32 v7, s9, v4
	s_add_u32 s2, s2, 8
	s_addc_u32 s3, s3, 0
	s_add_i32 s6, s6, -1
	v_add_u32_e32 v7, v4, v7
	v_lshrrev_b32_e32 v7, s7, v7
	v_mul_lo_u32 v8, v7, s8
	s_cmp_lg_u32 s6, 0
	v_sub_u32_e32 v8, v4, v8
	v_mad_u64_u32 v[3:4], s[8:9], v8, s10, v[3:4]
	v_mad_u64_u32 v[5:6], s[8:9], v8, s11, v[5:6]
	v_mov_b32_e32 v4, v7
	s_cbranch_scc1 .LBB338_40
.LBB338_41:
	s_cbranch_execnz .LBB338_44
.LBB338_42:
	s_load_dwordx4 s[4:7], s[34:35], 0x4
	s_load_dwordx2 s[2:3], s[34:35], 0xc4
	s_cmp_lt_u32 s33, 2
	s_waitcnt lgkmcnt(0)
	v_mul_hi_u32 v3, s5, v1
	v_add_u32_e32 v3, v1, v3
	v_lshrrev_b32_e32 v4, s6, v3
	v_mul_lo_u32 v3, v4, s4
	v_sub_u32_e32 v1, v1, v3
	v_mul_lo_u32 v3, v1, s2
	v_mul_lo_u32 v5, v1, s3
	s_cbranch_scc1 .LBB338_44
; %bb.43:
	s_load_dwordx4 s[4:7], s[34:35], 0x10
	s_load_dwordx2 s[2:3], s[34:35], 0xcc
	s_waitcnt lgkmcnt(0)
	v_mul_hi_u32 v1, s5, v4
	v_add_u32_e32 v1, v4, v1
	v_lshrrev_b32_e32 v1, s6, v1
	v_mul_lo_u32 v1, v1, s4
	v_sub_u32_e32 v1, v4, v1
	v_mad_u64_u32 v[3:4], s[4:5], v1, s2, v[3:4]
	v_mad_u64_u32 v[5:6], s[2:3], v1, s3, v[5:6]
.LBB338_44:
	s_and_b64 vcc, exec, s[0:1]
	v_add_u32_e32 v1, 0x100, v19
	s_cbranch_vccnz .LBB338_50
; %bb.45:
	s_cmp_lg_u32 s33, 0
	s_mov_b32 s26, 0
	s_cbranch_scc0 .LBB338_51
; %bb.46:
	s_min_u32 s27, s58, 15
	s_add_i32 s27, s27, 1
	s_cmp_eq_u32 s58, 2
	s_cbranch_scc1 .LBB338_52
; %bb.47:
	s_and_b32 s26, s27, 28
	s_add_u32 s2, s34, 0xc4
	s_addc_u32 s3, s35, 0
	v_mov_b32_e32 v8, 0
	s_mov_b32 s28, 0
	s_mov_b64 s[24:25], s[34:35]
	v_mov_b32_e32 v6, 0
	v_mov_b32_e32 v4, v1
.LBB338_48:                             ; =>This Inner Loop Header: Depth=1
	s_load_dwordx8 s[12:19], s[24:25], 0x4
	s_load_dwordx4 s[20:23], s[24:25], 0x24
	s_load_dwordx8 s[4:11], s[2:3], 0x0
	s_add_u32 s24, s24, 48
	s_addc_u32 s25, s25, 0
	s_waitcnt lgkmcnt(0)
	v_mul_hi_u32 v7, s13, v4
	s_add_i32 s28, s28, 4
	s_add_u32 s2, s2, 32
	s_addc_u32 s3, s3, 0
	v_add_u32_e32 v7, v4, v7
	v_lshrrev_b32_e32 v7, s14, v7
	v_mul_lo_u32 v9, v7, s12
	v_mul_hi_u32 v10, s16, v7
	s_cmp_lg_u32 s26, s28
	v_sub_u32_e32 v4, v4, v9
	v_add_u32_e32 v9, v7, v10
	v_mul_lo_u32 v10, v4, s4
	v_mul_lo_u32 v11, v4, s5
	v_lshrrev_b32_e32 v4, s17, v9
	v_mul_lo_u32 v9, v4, s15
	v_mul_hi_u32 v12, s19, v4
	v_sub_u32_e32 v7, v7, v9
	v_add_u32_e32 v9, v4, v12
	v_lshrrev_b32_e32 v9, s20, v9
	v_mul_hi_u32 v13, s22, v9
	v_mul_lo_u32 v14, v9, s18
	v_mul_lo_u32 v12, v7, s6
	;; [unrolled: 1-line block ×3, first 2 shown]
	v_sub_u32_e32 v14, v4, v14
	v_add_u32_e32 v4, v9, v13
	v_lshrrev_b32_e32 v4, s23, v4
	v_mul_lo_u32 v13, v4, s21
	v_mul_lo_u32 v15, v14, s8
	;; [unrolled: 1-line block ×3, first 2 shown]
	v_add3_u32 v6, v10, v6, v12
	v_sub_u32_e32 v9, v9, v13
	v_mul_lo_u32 v13, v9, s10
	v_mul_lo_u32 v9, v9, s11
	v_add3_u32 v7, v11, v8, v7
	v_add3_u32 v6, v15, v6, v13
	;; [unrolled: 1-line block ×3, first 2 shown]
	s_cbranch_scc1 .LBB338_48
; %bb.49:
	s_and_b32 s6, s27, 3
	s_cmp_eq_u32 s6, 0
	s_cbranch_scc0 .LBB338_53
	s_branch .LBB338_55
.LBB338_50:
                                        ; implicit-def: $vgpr6
                                        ; implicit-def: $vgpr8
	s_branch .LBB338_56
.LBB338_51:
	v_mov_b32_e32 v6, 0
	v_mov_b32_e32 v8, 0
	s_branch .LBB338_55
.LBB338_52:
	v_mov_b32_e32 v6, 0
	v_mov_b32_e32 v8, 0
	;; [unrolled: 1-line block ×3, first 2 shown]
	s_and_b32 s6, s27, 3
	s_cmp_eq_u32 s6, 0
	s_cbranch_scc1 .LBB338_55
.LBB338_53:
	s_lshl_b32 s2, s26, 3
	s_add_u32 s2, s34, s2
	s_addc_u32 s3, s35, 0
	s_add_u32 s2, s2, 0xc4
	s_addc_u32 s3, s3, 0
	s_mul_i32 s4, s26, 12
	s_add_u32 s4, s34, s4
	s_addc_u32 s5, s35, 0
.LBB338_54:                             ; =>This Inner Loop Header: Depth=1
	s_load_dwordx2 s[8:9], s[4:5], 0x4
	s_load_dword s7, s[4:5], 0xc
	s_load_dwordx2 s[10:11], s[2:3], 0x0
	s_add_u32 s4, s4, 12
	s_addc_u32 s5, s5, 0
	s_waitcnt lgkmcnt(0)
	v_mul_hi_u32 v7, s9, v4
	s_add_u32 s2, s2, 8
	s_addc_u32 s3, s3, 0
	s_add_i32 s6, s6, -1
	v_add_u32_e32 v7, v4, v7
	v_lshrrev_b32_e32 v10, s7, v7
	v_mul_lo_u32 v7, v10, s8
	s_cmp_lg_u32 s6, 0
	v_sub_u32_e32 v4, v4, v7
	v_mad_u64_u32 v[6:7], s[8:9], v4, s10, v[6:7]
	v_mad_u64_u32 v[8:9], s[8:9], v4, s11, v[8:9]
	v_mov_b32_e32 v4, v10
	s_cbranch_scc1 .LBB338_54
.LBB338_55:
	s_cbranch_execnz .LBB338_58
.LBB338_56:
	s_load_dwordx4 s[4:7], s[34:35], 0x4
	s_load_dwordx2 s[2:3], s[34:35], 0xc4
	s_cmp_lt_u32 s33, 2
	s_waitcnt lgkmcnt(0)
	v_mul_hi_u32 v4, s5, v1
	v_add_u32_e32 v4, v1, v4
	v_lshrrev_b32_e32 v4, s6, v4
	v_mul_lo_u32 v6, v4, s4
	v_sub_u32_e32 v1, v1, v6
	v_mul_lo_u32 v6, v1, s2
	v_mul_lo_u32 v8, v1, s3
	s_cbranch_scc1 .LBB338_58
; %bb.57:
	s_load_dwordx4 s[4:7], s[34:35], 0x10
	s_load_dwordx2 s[2:3], s[34:35], 0xcc
	s_waitcnt lgkmcnt(0)
	v_mul_hi_u32 v1, s5, v4
	v_add_u32_e32 v1, v4, v1
	v_lshrrev_b32_e32 v1, s6, v1
	v_mul_lo_u32 v1, v1, s4
	v_sub_u32_e32 v1, v4, v1
	v_mad_u64_u32 v[6:7], s[4:5], v1, s2, v[6:7]
	v_mad_u64_u32 v[8:9], s[2:3], v1, s3, v[8:9]
.LBB338_58:
	s_and_b64 vcc, exec, s[0:1]
	v_add_u32_e32 v1, 0x180, v19
	s_cbranch_vccnz .LBB338_64
; %bb.59:
	s_cmp_lg_u32 s33, 0
	s_mov_b32 s26, 0
	s_cbranch_scc0 .LBB338_65
; %bb.60:
	s_min_u32 s27, s58, 15
	s_add_i32 s27, s27, 1
	s_cmp_eq_u32 s58, 2
	s_cbranch_scc1 .LBB338_66
; %bb.61:
	s_and_b32 s26, s27, 28
	s_add_u32 s2, s34, 0xc4
	s_addc_u32 s3, s35, 0
	v_mov_b32_e32 v11, 0
	s_mov_b32 s28, 0
	s_mov_b64 s[24:25], s[34:35]
	v_mov_b32_e32 v9, 0
	v_mov_b32_e32 v4, v1
.LBB338_62:                             ; =>This Inner Loop Header: Depth=1
	s_load_dwordx8 s[12:19], s[24:25], 0x4
	s_load_dwordx4 s[20:23], s[24:25], 0x24
	s_load_dwordx8 s[4:11], s[2:3], 0x0
	s_add_u32 s24, s24, 48
	s_addc_u32 s25, s25, 0
	s_waitcnt lgkmcnt(0)
	v_mul_hi_u32 v7, s13, v4
	s_add_i32 s28, s28, 4
	s_add_u32 s2, s2, 32
	s_addc_u32 s3, s3, 0
	v_add_u32_e32 v7, v4, v7
	v_lshrrev_b32_e32 v7, s14, v7
	v_mul_lo_u32 v10, v7, s12
	v_mul_hi_u32 v12, s16, v7
	s_cmp_lg_u32 s26, s28
	v_sub_u32_e32 v4, v4, v10
	v_add_u32_e32 v10, v7, v12
	v_mul_lo_u32 v12, v4, s4
	v_mul_lo_u32 v13, v4, s5
	v_lshrrev_b32_e32 v4, s17, v10
	v_mul_lo_u32 v10, v4, s15
	v_mul_hi_u32 v14, s19, v4
	v_sub_u32_e32 v7, v7, v10
	v_add_u32_e32 v10, v4, v14
	v_lshrrev_b32_e32 v10, s20, v10
	v_mul_hi_u32 v15, s22, v10
	v_mul_lo_u32 v16, v10, s18
	v_mul_lo_u32 v14, v7, s6
	;; [unrolled: 1-line block ×3, first 2 shown]
	v_sub_u32_e32 v16, v4, v16
	v_add_u32_e32 v4, v10, v15
	v_lshrrev_b32_e32 v4, s23, v4
	v_mul_lo_u32 v15, v4, s21
	v_mul_lo_u32 v17, v16, s8
	v_mul_lo_u32 v16, v16, s9
	v_add3_u32 v9, v12, v9, v14
	v_sub_u32_e32 v10, v10, v15
	v_mul_lo_u32 v15, v10, s10
	v_mul_lo_u32 v10, v10, s11
	v_add3_u32 v7, v13, v11, v7
	v_add3_u32 v9, v17, v9, v15
	;; [unrolled: 1-line block ×3, first 2 shown]
	s_cbranch_scc1 .LBB338_62
; %bb.63:
	s_and_b32 s6, s27, 3
	s_cmp_eq_u32 s6, 0
	s_cbranch_scc0 .LBB338_67
	s_branch .LBB338_69
.LBB338_64:
                                        ; implicit-def: $vgpr9
                                        ; implicit-def: $vgpr11
	s_branch .LBB338_70
.LBB338_65:
	v_mov_b32_e32 v9, 0
	v_mov_b32_e32 v11, 0
	s_branch .LBB338_69
.LBB338_66:
	v_mov_b32_e32 v9, 0
	v_mov_b32_e32 v11, 0
	v_mov_b32_e32 v4, v1
	s_and_b32 s6, s27, 3
	s_cmp_eq_u32 s6, 0
	s_cbranch_scc1 .LBB338_69
.LBB338_67:
	s_lshl_b32 s2, s26, 3
	s_add_u32 s2, s34, s2
	s_addc_u32 s3, s35, 0
	s_add_u32 s2, s2, 0xc4
	s_addc_u32 s3, s3, 0
	s_mul_i32 s4, s26, 12
	s_add_u32 s4, s34, s4
	s_addc_u32 s5, s35, 0
.LBB338_68:                             ; =>This Inner Loop Header: Depth=1
	s_load_dwordx2 s[8:9], s[4:5], 0x4
	s_load_dword s7, s[4:5], 0xc
	s_load_dwordx2 s[10:11], s[2:3], 0x0
	s_add_u32 s4, s4, 12
	s_addc_u32 s5, s5, 0
	s_waitcnt lgkmcnt(0)
	v_mul_hi_u32 v7, s9, v4
	s_add_u32 s2, s2, 8
	s_addc_u32 s3, s3, 0
	s_add_i32 s6, s6, -1
	v_add_u32_e32 v7, v4, v7
	v_lshrrev_b32_e32 v7, s7, v7
	v_mul_lo_u32 v10, v7, s8
	s_cmp_lg_u32 s6, 0
	v_sub_u32_e32 v4, v4, v10
	v_mad_u64_u32 v[9:10], s[8:9], v4, s10, v[9:10]
	v_mad_u64_u32 v[11:12], s[8:9], v4, s11, v[11:12]
	v_mov_b32_e32 v4, v7
	s_cbranch_scc1 .LBB338_68
.LBB338_69:
	s_cbranch_execnz .LBB338_72
.LBB338_70:
	s_load_dwordx4 s[4:7], s[34:35], 0x4
	s_load_dwordx2 s[2:3], s[34:35], 0xc4
	s_cmp_lt_u32 s33, 2
	s_waitcnt lgkmcnt(0)
	v_mul_hi_u32 v4, s5, v1
	v_add_u32_e32 v4, v1, v4
	v_lshrrev_b32_e32 v4, s6, v4
	v_mul_lo_u32 v7, v4, s4
	v_sub_u32_e32 v1, v1, v7
	v_mul_lo_u32 v9, v1, s2
	v_mul_lo_u32 v11, v1, s3
	s_cbranch_scc1 .LBB338_72
; %bb.71:
	s_load_dwordx4 s[4:7], s[34:35], 0x10
	s_load_dwordx2 s[2:3], s[34:35], 0xcc
	s_waitcnt lgkmcnt(0)
	v_mul_hi_u32 v1, s5, v4
	v_add_u32_e32 v1, v4, v1
	v_lshrrev_b32_e32 v1, s6, v1
	v_mul_lo_u32 v1, v1, s4
	v_sub_u32_e32 v1, v4, v1
	v_mad_u64_u32 v[9:10], s[4:5], v1, s2, v[9:10]
	v_mad_u64_u32 v[11:12], s[2:3], v1, s3, v[11:12]
.LBB338_72:
	s_and_b64 vcc, exec, s[0:1]
	v_add_u32_e32 v1, 0x200, v19
	s_cbranch_vccnz .LBB338_78
; %bb.73:
	s_cmp_lg_u32 s33, 0
	s_mov_b32 s26, 0
	s_cbranch_scc0 .LBB338_79
; %bb.74:
	s_min_u32 s27, s58, 15
	s_add_i32 s27, s27, 1
	s_cmp_eq_u32 s58, 2
	s_cbranch_scc1 .LBB338_80
; %bb.75:
	s_and_b32 s26, s27, 28
	s_add_u32 s2, s34, 0xc4
	s_addc_u32 s3, s35, 0
	v_mov_b32_e32 v14, 0
	s_mov_b32 s28, 0
	s_mov_b64 s[24:25], s[34:35]
	v_mov_b32_e32 v12, 0
	v_mov_b32_e32 v4, v1
.LBB338_76:                             ; =>This Inner Loop Header: Depth=1
	s_load_dwordx8 s[12:19], s[24:25], 0x4
	s_load_dwordx4 s[20:23], s[24:25], 0x24
	s_load_dwordx8 s[4:11], s[2:3], 0x0
	s_add_u32 s24, s24, 48
	s_addc_u32 s25, s25, 0
	s_waitcnt lgkmcnt(0)
	v_mul_hi_u32 v7, s13, v4
	s_add_i32 s28, s28, 4
	s_add_u32 s2, s2, 32
	s_addc_u32 s3, s3, 0
	v_add_u32_e32 v7, v4, v7
	v_lshrrev_b32_e32 v7, s14, v7
	v_mul_lo_u32 v10, v7, s12
	v_mul_hi_u32 v13, s16, v7
	s_cmp_lg_u32 s26, s28
	v_sub_u32_e32 v4, v4, v10
	v_add_u32_e32 v10, v7, v13
	v_mul_lo_u32 v13, v4, s4
	v_mul_lo_u32 v15, v4, s5
	v_lshrrev_b32_e32 v4, s17, v10
	v_mul_lo_u32 v10, v4, s15
	v_mul_hi_u32 v16, s19, v4
	v_sub_u32_e32 v7, v7, v10
	v_add_u32_e32 v10, v4, v16
	v_lshrrev_b32_e32 v10, s20, v10
	v_mul_hi_u32 v17, s22, v10
	v_mul_lo_u32 v18, v10, s18
	v_mul_lo_u32 v16, v7, s6
	;; [unrolled: 1-line block ×3, first 2 shown]
	v_sub_u32_e32 v18, v4, v18
	v_add_u32_e32 v4, v10, v17
	v_lshrrev_b32_e32 v4, s23, v4
	v_mul_lo_u32 v17, v4, s21
	v_mul_lo_u32 v20, v18, s8
	;; [unrolled: 1-line block ×3, first 2 shown]
	v_add3_u32 v12, v13, v12, v16
	v_sub_u32_e32 v10, v10, v17
	v_mul_lo_u32 v17, v10, s10
	v_mul_lo_u32 v10, v10, s11
	v_add3_u32 v7, v15, v14, v7
	v_add3_u32 v12, v20, v12, v17
	;; [unrolled: 1-line block ×3, first 2 shown]
	s_cbranch_scc1 .LBB338_76
; %bb.77:
	s_and_b32 s6, s27, 3
	s_cmp_eq_u32 s6, 0
	s_cbranch_scc0 .LBB338_81
	s_branch .LBB338_83
.LBB338_78:
                                        ; implicit-def: $vgpr12
                                        ; implicit-def: $vgpr14
	s_branch .LBB338_84
.LBB338_79:
	v_mov_b32_e32 v12, 0
	v_mov_b32_e32 v14, 0
	s_branch .LBB338_83
.LBB338_80:
	v_mov_b32_e32 v12, 0
	v_mov_b32_e32 v14, 0
	v_mov_b32_e32 v4, v1
	s_and_b32 s6, s27, 3
	s_cmp_eq_u32 s6, 0
	s_cbranch_scc1 .LBB338_83
.LBB338_81:
	s_lshl_b32 s2, s26, 3
	s_add_u32 s2, s34, s2
	s_addc_u32 s3, s35, 0
	s_add_u32 s2, s2, 0xc4
	s_addc_u32 s3, s3, 0
	s_mul_i32 s4, s26, 12
	s_add_u32 s4, s34, s4
	s_addc_u32 s5, s35, 0
.LBB338_82:                             ; =>This Inner Loop Header: Depth=1
	s_load_dwordx2 s[8:9], s[4:5], 0x4
	s_load_dword s7, s[4:5], 0xc
	s_load_dwordx2 s[10:11], s[2:3], 0x0
	s_add_u32 s4, s4, 12
	s_addc_u32 s5, s5, 0
	s_waitcnt lgkmcnt(0)
	v_mul_hi_u32 v7, s9, v4
	s_add_u32 s2, s2, 8
	s_addc_u32 s3, s3, 0
	s_add_i32 s6, s6, -1
	v_add_u32_e32 v7, v4, v7
	v_lshrrev_b32_e32 v7, s7, v7
	v_mul_lo_u32 v10, v7, s8
	s_cmp_lg_u32 s6, 0
	v_sub_u32_e32 v4, v4, v10
	v_mad_u64_u32 v[12:13], s[8:9], v4, s10, v[12:13]
	v_mad_u64_u32 v[14:15], s[8:9], v4, s11, v[14:15]
	v_mov_b32_e32 v4, v7
	s_cbranch_scc1 .LBB338_82
.LBB338_83:
	s_cbranch_execnz .LBB338_86
.LBB338_84:
	s_load_dwordx4 s[4:7], s[34:35], 0x4
	s_load_dwordx2 s[2:3], s[34:35], 0xc4
	s_cmp_lt_u32 s33, 2
	s_waitcnt lgkmcnt(0)
	v_mul_hi_u32 v4, s5, v1
	v_add_u32_e32 v4, v1, v4
	v_lshrrev_b32_e32 v4, s6, v4
	v_mul_lo_u32 v7, v4, s4
	v_sub_u32_e32 v1, v1, v7
	v_mul_lo_u32 v12, v1, s2
	v_mul_lo_u32 v14, v1, s3
	s_cbranch_scc1 .LBB338_86
; %bb.85:
	s_load_dwordx4 s[4:7], s[34:35], 0x10
	s_load_dwordx2 s[2:3], s[34:35], 0xcc
	s_waitcnt lgkmcnt(0)
	v_mul_hi_u32 v1, s5, v4
	v_add_u32_e32 v1, v4, v1
	v_lshrrev_b32_e32 v1, s6, v1
	v_mul_lo_u32 v1, v1, s4
	v_sub_u32_e32 v1, v4, v1
	v_mad_u64_u32 v[12:13], s[4:5], v1, s2, v[12:13]
	v_mad_u64_u32 v[14:15], s[2:3], v1, s3, v[14:15]
.LBB338_86:
	s_and_b64 vcc, exec, s[0:1]
	v_add_u32_e32 v1, 0x280, v19
	s_cbranch_vccnz .LBB338_92
; %bb.87:
	s_cmp_lg_u32 s33, 0
	s_mov_b32 s26, 0
	s_cbranch_scc0 .LBB338_93
; %bb.88:
	s_min_u32 s27, s58, 15
	s_add_i32 s27, s27, 1
	s_cmp_eq_u32 s58, 2
	s_cbranch_scc1 .LBB338_94
; %bb.89:
	s_and_b32 s26, s27, 28
	s_add_u32 s2, s34, 0xc4
	s_addc_u32 s3, s35, 0
	v_mov_b32_e32 v17, 0
	s_mov_b32 s28, 0
	s_mov_b64 s[24:25], s[34:35]
	v_mov_b32_e32 v15, 0
	v_mov_b32_e32 v4, v1
.LBB338_90:                             ; =>This Inner Loop Header: Depth=1
	s_load_dwordx8 s[12:19], s[24:25], 0x4
	s_load_dwordx4 s[20:23], s[24:25], 0x24
	s_load_dwordx8 s[4:11], s[2:3], 0x0
	s_add_u32 s24, s24, 48
	s_addc_u32 s25, s25, 0
	s_waitcnt lgkmcnt(0)
	v_mul_hi_u32 v7, s13, v4
	s_add_i32 s28, s28, 4
	s_add_u32 s2, s2, 32
	s_addc_u32 s3, s3, 0
	v_add_u32_e32 v7, v4, v7
	v_lshrrev_b32_e32 v7, s14, v7
	v_mul_lo_u32 v10, v7, s12
	v_mul_hi_u32 v13, s16, v7
	s_cmp_lg_u32 s26, s28
	v_sub_u32_e32 v4, v4, v10
	v_add_u32_e32 v10, v7, v13
	v_mul_lo_u32 v13, v4, s4
	v_mul_lo_u32 v16, v4, s5
	v_lshrrev_b32_e32 v4, s17, v10
	v_mul_lo_u32 v10, v4, s15
	v_mul_hi_u32 v18, s19, v4
	v_sub_u32_e32 v7, v7, v10
	v_add_u32_e32 v10, v4, v18
	v_lshrrev_b32_e32 v10, s20, v10
	v_mul_hi_u32 v20, s22, v10
	v_mul_lo_u32 v21, v10, s18
	v_mul_lo_u32 v18, v7, s6
	v_mul_lo_u32 v7, v7, s7
	v_sub_u32_e32 v21, v4, v21
	v_add_u32_e32 v4, v10, v20
	v_lshrrev_b32_e32 v4, s23, v4
	v_mul_lo_u32 v20, v4, s21
	v_mul_lo_u32 v22, v21, s8
	;; [unrolled: 1-line block ×3, first 2 shown]
	v_add3_u32 v13, v13, v15, v18
	v_sub_u32_e32 v10, v10, v20
	v_mul_lo_u32 v20, v10, s10
	v_mul_lo_u32 v10, v10, s11
	v_add3_u32 v7, v16, v17, v7
	v_add3_u32 v15, v22, v13, v20
	;; [unrolled: 1-line block ×3, first 2 shown]
	s_cbranch_scc1 .LBB338_90
; %bb.91:
	s_and_b32 s6, s27, 3
	s_cmp_eq_u32 s6, 0
	s_cbranch_scc0 .LBB338_95
	s_branch .LBB338_97
.LBB338_92:
                                        ; implicit-def: $vgpr15
                                        ; implicit-def: $vgpr17
	s_branch .LBB338_98
.LBB338_93:
	v_mov_b32_e32 v15, 0
	v_mov_b32_e32 v17, 0
	s_branch .LBB338_97
.LBB338_94:
	v_mov_b32_e32 v15, 0
	v_mov_b32_e32 v17, 0
	v_mov_b32_e32 v4, v1
	s_and_b32 s6, s27, 3
	s_cmp_eq_u32 s6, 0
	s_cbranch_scc1 .LBB338_97
.LBB338_95:
	s_lshl_b32 s2, s26, 3
	s_add_u32 s2, s34, s2
	s_addc_u32 s3, s35, 0
	s_add_u32 s2, s2, 0xc4
	s_addc_u32 s3, s3, 0
	s_mul_i32 s4, s26, 12
	s_add_u32 s4, s34, s4
	s_addc_u32 s5, s35, 0
.LBB338_96:                             ; =>This Inner Loop Header: Depth=1
	s_load_dwordx2 s[8:9], s[4:5], 0x4
	s_load_dword s7, s[4:5], 0xc
	s_load_dwordx2 s[10:11], s[2:3], 0x0
	s_add_u32 s4, s4, 12
	s_addc_u32 s5, s5, 0
	s_waitcnt lgkmcnt(0)
	v_mul_hi_u32 v7, s9, v4
	s_add_u32 s2, s2, 8
	s_addc_u32 s3, s3, 0
	s_add_i32 s6, s6, -1
	v_add_u32_e32 v7, v4, v7
	v_lshrrev_b32_e32 v7, s7, v7
	v_mul_lo_u32 v10, v7, s8
	s_cmp_lg_u32 s6, 0
	v_sub_u32_e32 v4, v4, v10
	v_mad_u64_u32 v[15:16], s[8:9], v4, s10, v[15:16]
	v_mad_u64_u32 v[17:18], s[8:9], v4, s11, v[17:18]
	v_mov_b32_e32 v4, v7
	s_cbranch_scc1 .LBB338_96
.LBB338_97:
	s_cbranch_execnz .LBB338_100
.LBB338_98:
	s_load_dwordx4 s[4:7], s[34:35], 0x4
	s_load_dwordx2 s[2:3], s[34:35], 0xc4
	s_cmp_lt_u32 s33, 2
	s_waitcnt lgkmcnt(0)
	v_mul_hi_u32 v4, s5, v1
	v_add_u32_e32 v4, v1, v4
	v_lshrrev_b32_e32 v4, s6, v4
	v_mul_lo_u32 v7, v4, s4
	v_sub_u32_e32 v1, v1, v7
	v_mul_lo_u32 v15, v1, s2
	v_mul_lo_u32 v17, v1, s3
	s_cbranch_scc1 .LBB338_100
; %bb.99:
	s_load_dwordx4 s[4:7], s[34:35], 0x10
	s_load_dwordx2 s[2:3], s[34:35], 0xcc
	s_waitcnt lgkmcnt(0)
	v_mul_hi_u32 v1, s5, v4
	v_add_u32_e32 v1, v4, v1
	v_lshrrev_b32_e32 v1, s6, v1
	v_mul_lo_u32 v1, v1, s4
	v_sub_u32_e32 v1, v4, v1
	v_mad_u64_u32 v[15:16], s[4:5], v1, s2, v[15:16]
	v_mad_u64_u32 v[17:18], s[2:3], v1, s3, v[17:18]
.LBB338_100:
	s_and_b64 vcc, exec, s[0:1]
	v_add_u32_e32 v1, 0x300, v19
	s_cbranch_vccnz .LBB338_106
; %bb.101:
	s_cmp_lg_u32 s33, 0
	s_mov_b32 s26, 0
	s_cbranch_scc0 .LBB338_107
; %bb.102:
	s_min_u32 s27, s58, 15
	s_add_i32 s27, s27, 1
	s_cmp_eq_u32 s58, 2
	s_cbranch_scc1 .LBB338_108
; %bb.103:
	s_and_b32 s26, s27, 28
	s_add_u32 s2, s34, 0xc4
	s_addc_u32 s3, s35, 0
	v_mov_b32_e32 v20, 0
	s_mov_b32 s28, 0
	s_mov_b64 s[24:25], s[34:35]
	v_mov_b32_e32 v18, 0
	v_mov_b32_e32 v4, v1
.LBB338_104:                            ; =>This Inner Loop Header: Depth=1
	s_load_dwordx8 s[12:19], s[24:25], 0x4
	s_load_dwordx4 s[20:23], s[24:25], 0x24
	s_load_dwordx8 s[4:11], s[2:3], 0x0
	s_add_u32 s24, s24, 48
	s_addc_u32 s25, s25, 0
	s_waitcnt lgkmcnt(0)
	v_mul_hi_u32 v7, s13, v4
	s_add_i32 s28, s28, 4
	s_add_u32 s2, s2, 32
	s_addc_u32 s3, s3, 0
	v_add_u32_e32 v7, v4, v7
	v_lshrrev_b32_e32 v7, s14, v7
	v_mul_lo_u32 v10, v7, s12
	v_mul_hi_u32 v13, s16, v7
	s_cmp_lg_u32 s26, s28
	v_sub_u32_e32 v4, v4, v10
	v_add_u32_e32 v10, v7, v13
	v_mul_lo_u32 v13, v4, s4
	v_mul_lo_u32 v16, v4, s5
	v_lshrrev_b32_e32 v4, s17, v10
	v_mul_lo_u32 v10, v4, s15
	v_mul_hi_u32 v19, s19, v4
	v_sub_u32_e32 v7, v7, v10
	v_add_u32_e32 v10, v4, v19
	v_lshrrev_b32_e32 v10, s20, v10
	v_mul_hi_u32 v21, s22, v10
	v_mul_lo_u32 v22, v10, s18
	v_mul_lo_u32 v19, v7, s6
	;; [unrolled: 1-line block ×3, first 2 shown]
	v_sub_u32_e32 v22, v4, v22
	v_add_u32_e32 v4, v10, v21
	v_lshrrev_b32_e32 v4, s23, v4
	v_mul_lo_u32 v21, v4, s21
	v_mul_lo_u32 v23, v22, s8
	;; [unrolled: 1-line block ×3, first 2 shown]
	v_add3_u32 v13, v13, v18, v19
	v_sub_u32_e32 v10, v10, v21
	v_mul_lo_u32 v21, v10, s10
	v_mul_lo_u32 v10, v10, s11
	v_add3_u32 v7, v16, v20, v7
	v_add3_u32 v18, v23, v13, v21
	;; [unrolled: 1-line block ×3, first 2 shown]
	s_cbranch_scc1 .LBB338_104
; %bb.105:
	s_and_b32 s6, s27, 3
	s_cmp_eq_u32 s6, 0
	s_cbranch_scc0 .LBB338_109
	s_branch .LBB338_111
.LBB338_106:
                                        ; implicit-def: $vgpr18
                                        ; implicit-def: $vgpr20
	s_branch .LBB338_112
.LBB338_107:
	v_mov_b32_e32 v18, 0
	v_mov_b32_e32 v20, 0
	s_branch .LBB338_111
.LBB338_108:
	v_mov_b32_e32 v18, 0
	v_mov_b32_e32 v20, 0
	;; [unrolled: 1-line block ×3, first 2 shown]
	s_and_b32 s6, s27, 3
	s_cmp_eq_u32 s6, 0
	s_cbranch_scc1 .LBB338_111
.LBB338_109:
	s_lshl_b32 s2, s26, 3
	s_add_u32 s2, s34, s2
	s_addc_u32 s3, s35, 0
	s_add_u32 s2, s2, 0xc4
	s_addc_u32 s3, s3, 0
	s_mul_i32 s4, s26, 12
	s_add_u32 s4, s34, s4
	s_addc_u32 s5, s35, 0
.LBB338_110:                            ; =>This Inner Loop Header: Depth=1
	s_load_dwordx2 s[8:9], s[4:5], 0x4
	s_load_dword s7, s[4:5], 0xc
	s_load_dwordx2 s[10:11], s[2:3], 0x0
	s_add_u32 s4, s4, 12
	s_addc_u32 s5, s5, 0
	s_waitcnt lgkmcnt(0)
	v_mul_hi_u32 v7, s9, v4
	s_add_u32 s2, s2, 8
	s_addc_u32 s3, s3, 0
	s_add_i32 s6, s6, -1
	v_add_u32_e32 v7, v4, v7
	v_lshrrev_b32_e32 v7, s7, v7
	v_mul_lo_u32 v10, v7, s8
	s_cmp_lg_u32 s6, 0
	v_sub_u32_e32 v4, v4, v10
	v_mad_u64_u32 v[18:19], s[8:9], v4, s10, v[18:19]
	v_mad_u64_u32 v[20:21], s[8:9], v4, s11, v[20:21]
	v_mov_b32_e32 v4, v7
	s_cbranch_scc1 .LBB338_110
.LBB338_111:
	s_cbranch_execnz .LBB338_114
.LBB338_112:
	s_load_dwordx4 s[4:7], s[34:35], 0x4
	s_load_dwordx2 s[2:3], s[34:35], 0xc4
	s_cmp_lt_u32 s33, 2
	s_waitcnt lgkmcnt(0)
	v_mul_hi_u32 v4, s5, v1
	v_add_u32_e32 v4, v1, v4
	v_lshrrev_b32_e32 v4, s6, v4
	v_mul_lo_u32 v7, v4, s4
	v_sub_u32_e32 v1, v1, v7
	v_mul_lo_u32 v18, v1, s2
	v_mul_lo_u32 v20, v1, s3
	s_cbranch_scc1 .LBB338_114
; %bb.113:
	s_load_dwordx4 s[4:7], s[34:35], 0x10
	s_load_dwordx2 s[2:3], s[34:35], 0xcc
	s_waitcnt lgkmcnt(0)
	v_mul_hi_u32 v1, s5, v4
	v_add_u32_e32 v1, v4, v1
	v_lshrrev_b32_e32 v1, s6, v1
	v_mul_lo_u32 v1, v1, s4
	v_sub_u32_e32 v1, v4, v1
	v_mad_u64_u32 v[18:19], s[4:5], v1, s2, v[18:19]
	v_mad_u64_u32 v[20:21], s[2:3], v1, s3, v[20:21]
.LBB338_114:
	s_and_b64 vcc, exec, s[0:1]
	s_cbranch_vccnz .LBB338_120
; %bb.115:
	s_cmp_lg_u32 s33, 0
	s_mov_b32 s24, 0
	s_cbranch_scc0 .LBB338_121
; %bb.116:
	s_min_u32 s25, s58, 15
	s_add_i32 s25, s25, 1
	s_cmp_eq_u32 s58, 2
	s_cbranch_scc1 .LBB338_122
; %bb.117:
	s_and_b32 s24, s25, 28
	s_add_u32 s20, s34, 0xc4
	s_addc_u32 s21, s35, 0
	v_mov_b32_e32 v23, 0
	s_mov_b32 s26, 0
	s_mov_b64 s[22:23], s[34:35]
	v_mov_b32_e32 v21, 0
	v_mov_b32_e32 v1, v25
.LBB338_118:                            ; =>This Inner Loop Header: Depth=1
	s_load_dwordx8 s[8:15], s[22:23], 0x4
	s_load_dwordx4 s[16:19], s[22:23], 0x24
	s_load_dwordx8 s[0:7], s[20:21], 0x0
	s_add_u32 s22, s22, 48
	s_addc_u32 s23, s23, 0
	s_waitcnt lgkmcnt(0)
	v_mul_hi_u32 v4, s9, v1
	s_add_i32 s26, s26, 4
	s_add_u32 s20, s20, 32
	s_addc_u32 s21, s21, 0
	v_add_u32_e32 v4, v1, v4
	v_lshrrev_b32_e32 v4, s10, v4
	v_mul_lo_u32 v7, v4, s8
	v_mul_hi_u32 v10, s12, v4
	s_cmp_lg_u32 s24, s26
	v_sub_u32_e32 v1, v1, v7
	v_add_u32_e32 v7, v4, v10
	v_mul_lo_u32 v10, v1, s0
	v_mul_lo_u32 v13, v1, s1
	v_lshrrev_b32_e32 v1, s13, v7
	v_mul_lo_u32 v7, v1, s11
	v_mul_hi_u32 v16, s15, v1
	v_sub_u32_e32 v4, v4, v7
	v_add_u32_e32 v7, v1, v16
	v_lshrrev_b32_e32 v7, s16, v7
	v_mul_hi_u32 v19, s18, v7
	v_mul_lo_u32 v22, v7, s14
	v_mul_lo_u32 v16, v4, s2
	;; [unrolled: 1-line block ×3, first 2 shown]
	v_sub_u32_e32 v22, v1, v22
	v_add_u32_e32 v1, v7, v19
	v_lshrrev_b32_e32 v1, s19, v1
	v_mul_lo_u32 v19, v1, s17
	v_mul_lo_u32 v24, v22, s4
	v_mul_lo_u32 v22, v22, s5
	v_add3_u32 v10, v10, v21, v16
	v_sub_u32_e32 v7, v7, v19
	v_mul_lo_u32 v19, v7, s6
	v_mul_lo_u32 v7, v7, s7
	v_add3_u32 v4, v13, v23, v4
	v_add3_u32 v21, v24, v10, v19
	;; [unrolled: 1-line block ×3, first 2 shown]
	s_cbranch_scc1 .LBB338_118
; %bb.119:
	s_and_b32 s4, s25, 3
	s_cmp_eq_u32 s4, 0
	s_cbranch_scc0 .LBB338_123
	s_branch .LBB338_125
.LBB338_120:
                                        ; implicit-def: $vgpr21
                                        ; implicit-def: $vgpr23
	s_branch .LBB338_126
.LBB338_121:
	v_mov_b32_e32 v21, 0
	v_mov_b32_e32 v23, 0
	s_branch .LBB338_125
.LBB338_122:
	v_mov_b32_e32 v21, 0
	v_mov_b32_e32 v23, 0
	v_mov_b32_e32 v1, v25
	s_and_b32 s4, s25, 3
	s_cmp_eq_u32 s4, 0
	s_cbranch_scc1 .LBB338_125
.LBB338_123:
	s_lshl_b32 s0, s24, 3
	s_add_u32 s0, s34, s0
	s_addc_u32 s1, s35, 0
	s_add_u32 s0, s0, 0xc4
	s_addc_u32 s1, s1, 0
	s_mul_i32 s2, s24, 12
	s_add_u32 s2, s34, s2
	s_addc_u32 s3, s35, 0
.LBB338_124:                            ; =>This Inner Loop Header: Depth=1
	s_load_dwordx2 s[6:7], s[2:3], 0x4
	s_load_dword s5, s[2:3], 0xc
	s_load_dwordx2 s[8:9], s[0:1], 0x0
	s_add_u32 s2, s2, 12
	s_addc_u32 s3, s3, 0
	s_waitcnt lgkmcnt(0)
	v_mul_hi_u32 v4, s7, v1
	s_add_u32 s0, s0, 8
	s_addc_u32 s1, s1, 0
	s_add_i32 s4, s4, -1
	v_add_u32_e32 v4, v1, v4
	v_lshrrev_b32_e32 v4, s5, v4
	v_mul_lo_u32 v7, v4, s6
	s_cmp_lg_u32 s4, 0
	v_sub_u32_e32 v1, v1, v7
	v_mad_u64_u32 v[21:22], s[6:7], v1, s8, v[21:22]
	v_mad_u64_u32 v[23:24], s[6:7], v1, s9, v[23:24]
	v_mov_b32_e32 v1, v4
	s_cbranch_scc1 .LBB338_124
.LBB338_125:
	s_cbranch_execnz .LBB338_128
.LBB338_126:
	s_load_dwordx4 s[0:3], s[34:35], 0x4
	s_load_dwordx2 s[4:5], s[34:35], 0xc4
	s_cmp_lt_u32 s33, 2
	s_waitcnt lgkmcnt(0)
	v_mul_hi_u32 v1, s1, v25
	v_add_u32_e32 v1, v25, v1
	v_lshrrev_b32_e32 v1, s2, v1
	v_mul_lo_u32 v4, v1, s0
	v_sub_u32_e32 v4, v25, v4
	v_mul_lo_u32 v21, v4, s4
	v_mul_lo_u32 v23, v4, s5
	s_cbranch_scc1 .LBB338_128
; %bb.127:
	s_load_dwordx4 s[0:3], s[34:35], 0x10
	s_load_dwordx2 s[4:5], s[34:35], 0xcc
	s_waitcnt lgkmcnt(0)
	v_mul_hi_u32 v4, s1, v1
	v_add_u32_e32 v4, v1, v4
	v_lshrrev_b32_e32 v4, s2, v4
	v_mul_lo_u32 v4, v4, s0
	v_sub_u32_e32 v1, v1, v4
	v_mad_u64_u32 v[21:22], s[0:1], v1, s4, v[21:22]
	v_mad_u64_u32 v[23:24], s[0:1], v1, s5, v[23:24]
.LBB338_128:
	s_load_dwordx4 s[16:19], s[34:35], 0x148
	s_load_dwordx2 s[12:13], s[34:35], 0x158
	s_waitcnt lgkmcnt(0)
	global_load_ushort v1, v2, s[18:19]
	global_load_ushort v4, v5, s[18:19]
	;; [unrolled: 1-line block ×8, first 2 shown]
	s_cmp_eq_u32 s12, 0
	s_cselect_b64 s[14:15], -1, 0
	s_waitcnt vmcnt(7)
	v_cmp_ne_u16_e32 vcc, s13, v1
	s_waitcnt vmcnt(6)
	v_cmp_ne_u16_e64 s[0:1], s13, v4
	s_waitcnt vmcnt(5)
	v_cmp_ne_u16_e64 s[2:3], s13, v7
	s_xor_b64 s[0:1], s[14:15], s[0:1]
	s_waitcnt vmcnt(4)
	v_cmp_ne_u16_e64 s[4:5], s13, v10
	v_cndmask_b32_e64 v2, 0, 1, s[0:1]
	s_xor_b64 s[0:1], s[14:15], s[2:3]
	s_waitcnt vmcnt(3)
	v_cmp_ne_u16_e64 s[6:7], s13, v13
	v_cndmask_b32_e64 v4, 0, 1, s[0:1]
	;; [unrolled: 4-line block ×4, first 2 shown]
	s_xor_b64 s[0:1], s[14:15], s[8:9]
	s_waitcnt vmcnt(0)
	v_cmp_ne_u16_e64 s[12:13], s13, v22
	s_xor_b64 s[18:19], s[14:15], vcc
	v_cndmask_b32_e64 v8, 0, 1, s[0:1]
	s_xor_b64 s[0:1], s[14:15], s[10:11]
	v_cndmask_b32_e64 v1, 0, 1, s[18:19]
	v_cndmask_b32_e64 v10, 0, 1, s[0:1]
	s_xor_b64 s[0:1], s[14:15], s[12:13]
	v_cndmask_b32_e64 v11, 0, 1, s[0:1]
	global_store_byte v0, v1, s[16:17]
	global_store_byte v3, v2, s[16:17]
	;; [unrolled: 1-line block ×8, first 2 shown]
	s_endpgm
.LBB338_129:
	v_mov_b32_e32 v0, 0
	v_mov_b32_e32 v2, 0
	s_branch .LBB338_135
.LBB338_130:
	v_mov_b32_e32 v0, 0
	v_mov_b32_e32 v2, 0
	s_branch .LBB338_151
.LBB338_131:
	s_mov_b32 s40, 0
	v_mov_b32_e32 v0, 0
	v_mov_b32_e32 v2, 0
	;; [unrolled: 1-line block ×3, first 2 shown]
.LBB338_132:
	s_and_b32 s4, s61, 3
	s_cmp_eq_u32 s4, 0
	s_cbranch_scc1 .LBB338_135
; %bb.133:
	s_lshl_b32 s0, s40, 3
	s_add_u32 s0, s34, s0
	s_addc_u32 s1, s35, 0
	s_add_u32 s0, s0, 0xc4
	s_addc_u32 s1, s1, 0
	s_mul_i32 s2, s40, 12
	s_add_u32 s2, s34, s2
	s_addc_u32 s3, s35, 0
.LBB338_134:                            ; =>This Inner Loop Header: Depth=1
	s_load_dwordx2 s[6:7], s[2:3], 0x4
	s_load_dword s5, s[2:3], 0xc
	s_load_dwordx2 s[8:9], s[0:1], 0x0
	s_add_u32 s2, s2, 12
	s_addc_u32 s3, s3, 0
	s_waitcnt lgkmcnt(0)
	v_mul_hi_u32 v3, s7, v1
	s_add_u32 s0, s0, 8
	s_addc_u32 s1, s1, 0
	s_add_i32 s4, s4, -1
	v_add_u32_e32 v3, v1, v3
	v_lshrrev_b32_e32 v4, s5, v3
	v_mul_lo_u32 v3, v4, s6
	s_cmp_lg_u32 s4, 0
	v_sub_u32_e32 v3, v1, v3
	v_mad_u64_u32 v[0:1], s[6:7], v3, s8, v[0:1]
	v_mad_u64_u32 v[2:3], s[6:7], v3, s9, v[2:3]
	v_mov_b32_e32 v1, v4
	s_cbranch_scc1 .LBB338_134
.LBB338_135:
	s_cbranch_execnz .LBB338_138
.LBB338_136:
	v_mul_hi_u32 v0, s21, v19
	s_andn2_b64 vcc, exec, s[46:47]
	v_add_u32_e32 v0, v19, v0
	v_lshrrev_b32_e32 v1, s22, v0
	v_mul_lo_u32 v0, v1, s20
	v_sub_u32_e32 v2, v19, v0
	v_mul_lo_u32 v0, v2, s24
	v_mul_lo_u32 v2, v2, s25
	s_cbranch_vccnz .LBB338_138
; %bb.137:
	v_mul_hi_u32 v3, s44, v1
	v_add_u32_e32 v3, v1, v3
	v_lshrrev_b32_e32 v3, s45, v3
	v_mul_lo_u32 v3, v3, s23
	v_sub_u32_e32 v3, v1, v3
	v_mad_u64_u32 v[0:1], s[0:1], v3, s26, v[0:1]
	v_mad_u64_u32 v[2:3], s[0:1], v3, s27, v[2:3]
.LBB338_138:
	global_load_ushort v1, v2, s[18:19]
	v_add_u32_e32 v19, 0x80, v19
	s_waitcnt vmcnt(0)
	v_cmp_ne_u16_e32 vcc, s41, v1
	s_xor_b64 s[0:1], s[42:43], vcc
	v_cndmask_b32_e64 v1, 0, 1, s[0:1]
	global_store_byte v0, v1, s[16:17]
	s_or_b64 exec, exec, s[52:53]
	v_cmp_gt_i32_e32 vcc, s59, v19
	s_and_saveexec_b64 s[52:53], vcc
	s_cbranch_execnz .LBB338_15
.LBB338_139:
	s_or_b64 exec, exec, s[52:53]
	v_cmp_gt_i32_e32 vcc, s59, v19
	s_and_saveexec_b64 s[52:53], vcc
	s_cbranch_execz .LBB338_155
.LBB338_140:
	s_andn2_b64 vcc, exec, s[36:37]
	s_cbranch_vccnz .LBB338_145
; %bb.141:
	s_andn2_b64 vcc, exec, s[50:51]
	s_cbranch_vccnz .LBB338_146
; %bb.142:
	s_add_i32 s61, s60, 1
	s_cmp_eq_u32 s58, 2
	s_cbranch_scc1 .LBB338_163
; %bb.143:
	s_and_b32 s40, s61, 28
	v_mov_b32_e32 v2, 0
	s_mov_b32 s62, 0
	s_mov_b64 s[54:55], s[34:35]
	s_mov_b64 s[56:57], s[48:49]
	v_mov_b32_e32 v0, 0
	v_mov_b32_e32 v1, v19
.LBB338_144:                            ; =>This Inner Loop Header: Depth=1
	s_load_dwordx8 s[8:15], s[54:55], 0x4
	s_load_dwordx4 s[28:31], s[54:55], 0x24
	s_load_dwordx8 s[0:7], s[56:57], 0x0
	s_add_u32 s54, s54, 48
	s_addc_u32 s55, s55, 0
	s_waitcnt lgkmcnt(0)
	v_mul_hi_u32 v3, s9, v1
	s_add_i32 s62, s62, 4
	s_add_u32 s56, s56, 32
	s_addc_u32 s57, s57, 0
	v_add_u32_e32 v3, v1, v3
	v_lshrrev_b32_e32 v3, s10, v3
	v_mul_lo_u32 v4, v3, s8
	v_mul_hi_u32 v5, s12, v3
	s_cmp_eq_u32 s40, s62
	v_sub_u32_e32 v1, v1, v4
	v_add_u32_e32 v4, v3, v5
	v_mul_lo_u32 v5, v1, s0
	v_mul_lo_u32 v6, v1, s1
	v_lshrrev_b32_e32 v1, s13, v4
	v_mul_lo_u32 v4, v1, s11
	v_mul_hi_u32 v7, s15, v1
	v_sub_u32_e32 v3, v3, v4
	v_add_u32_e32 v4, v1, v7
	v_lshrrev_b32_e32 v4, s28, v4
	v_mul_hi_u32 v8, s30, v4
	v_mul_lo_u32 v9, v4, s14
	v_mul_lo_u32 v7, v3, s2
	;; [unrolled: 1-line block ×3, first 2 shown]
	v_sub_u32_e32 v9, v1, v9
	v_add_u32_e32 v1, v4, v8
	v_lshrrev_b32_e32 v1, s31, v1
	v_mul_lo_u32 v8, v1, s29
	v_mul_lo_u32 v10, v9, s4
	;; [unrolled: 1-line block ×3, first 2 shown]
	v_add3_u32 v0, v5, v0, v7
	v_sub_u32_e32 v4, v4, v8
	v_mul_lo_u32 v8, v4, s6
	v_mul_lo_u32 v4, v4, s7
	v_add3_u32 v2, v6, v2, v3
	v_add3_u32 v0, v10, v0, v8
	;; [unrolled: 1-line block ×3, first 2 shown]
	s_cbranch_scc0 .LBB338_144
	s_branch .LBB338_164
.LBB338_145:
                                        ; implicit-def: $vgpr0
                                        ; implicit-def: $vgpr2
	s_branch .LBB338_168
.LBB338_146:
	v_mov_b32_e32 v0, 0
	v_mov_b32_e32 v2, 0
	s_branch .LBB338_167
.LBB338_147:
	s_mov_b32 s40, 0
	v_mov_b32_e32 v0, 0
	v_mov_b32_e32 v2, 0
	;; [unrolled: 1-line block ×3, first 2 shown]
.LBB338_148:
	s_and_b32 s4, s61, 3
	s_cmp_eq_u32 s4, 0
	s_cbranch_scc1 .LBB338_151
; %bb.149:
	s_lshl_b32 s0, s40, 3
	s_add_u32 s0, s34, s0
	s_addc_u32 s1, s35, 0
	s_add_u32 s0, s0, 0xc4
	s_addc_u32 s1, s1, 0
	s_mul_i32 s2, s40, 12
	s_add_u32 s2, s34, s2
	s_addc_u32 s3, s35, 0
.LBB338_150:                            ; =>This Inner Loop Header: Depth=1
	s_load_dwordx2 s[6:7], s[2:3], 0x4
	s_load_dword s5, s[2:3], 0xc
	s_load_dwordx2 s[8:9], s[0:1], 0x0
	s_add_u32 s2, s2, 12
	s_addc_u32 s3, s3, 0
	s_waitcnt lgkmcnt(0)
	v_mul_hi_u32 v3, s7, v1
	s_add_u32 s0, s0, 8
	s_addc_u32 s1, s1, 0
	s_add_i32 s4, s4, -1
	v_add_u32_e32 v3, v1, v3
	v_lshrrev_b32_e32 v4, s5, v3
	v_mul_lo_u32 v3, v4, s6
	s_cmp_lg_u32 s4, 0
	v_sub_u32_e32 v3, v1, v3
	v_mad_u64_u32 v[0:1], s[6:7], v3, s8, v[0:1]
	v_mad_u64_u32 v[2:3], s[6:7], v3, s9, v[2:3]
	v_mov_b32_e32 v1, v4
	s_cbranch_scc1 .LBB338_150
.LBB338_151:
	s_cbranch_execnz .LBB338_154
.LBB338_152:
	v_mul_hi_u32 v0, s21, v19
	s_andn2_b64 vcc, exec, s[46:47]
	v_add_u32_e32 v0, v19, v0
	v_lshrrev_b32_e32 v1, s22, v0
	v_mul_lo_u32 v0, v1, s20
	v_sub_u32_e32 v2, v19, v0
	v_mul_lo_u32 v0, v2, s24
	v_mul_lo_u32 v2, v2, s25
	s_cbranch_vccnz .LBB338_154
; %bb.153:
	v_mul_hi_u32 v3, s44, v1
	v_add_u32_e32 v3, v1, v3
	v_lshrrev_b32_e32 v3, s45, v3
	v_mul_lo_u32 v3, v3, s23
	v_sub_u32_e32 v3, v1, v3
	v_mad_u64_u32 v[0:1], s[0:1], v3, s26, v[0:1]
	v_mad_u64_u32 v[2:3], s[0:1], v3, s27, v[2:3]
.LBB338_154:
	global_load_ushort v1, v2, s[18:19]
	v_add_u32_e32 v19, 0x80, v19
	s_waitcnt vmcnt(0)
	v_cmp_ne_u16_e32 vcc, s41, v1
	s_xor_b64 s[0:1], s[42:43], vcc
	v_cndmask_b32_e64 v1, 0, 1, s[0:1]
	global_store_byte v0, v1, s[16:17]
	s_or_b64 exec, exec, s[52:53]
	v_cmp_gt_i32_e32 vcc, s59, v19
	s_and_saveexec_b64 s[52:53], vcc
	s_cbranch_execnz .LBB338_140
.LBB338_155:
	s_or_b64 exec, exec, s[52:53]
	v_cmp_gt_i32_e32 vcc, s59, v19
	s_and_saveexec_b64 s[52:53], vcc
	s_cbranch_execz .LBB338_171
.LBB338_156:
	s_andn2_b64 vcc, exec, s[36:37]
	s_cbranch_vccnz .LBB338_161
; %bb.157:
	s_andn2_b64 vcc, exec, s[50:51]
	s_cbranch_vccnz .LBB338_162
; %bb.158:
	s_add_i32 s61, s60, 1
	s_cmp_eq_u32 s58, 2
	s_cbranch_scc1 .LBB338_179
; %bb.159:
	s_and_b32 s40, s61, 28
	v_mov_b32_e32 v2, 0
	s_mov_b32 s62, 0
	s_mov_b64 s[54:55], s[34:35]
	s_mov_b64 s[56:57], s[48:49]
	v_mov_b32_e32 v0, 0
	v_mov_b32_e32 v1, v19
.LBB338_160:                            ; =>This Inner Loop Header: Depth=1
	s_load_dwordx8 s[8:15], s[54:55], 0x4
	s_load_dwordx4 s[28:31], s[54:55], 0x24
	s_load_dwordx8 s[0:7], s[56:57], 0x0
	s_add_u32 s54, s54, 48
	s_addc_u32 s55, s55, 0
	s_waitcnt lgkmcnt(0)
	v_mul_hi_u32 v3, s9, v1
	s_add_i32 s62, s62, 4
	s_add_u32 s56, s56, 32
	s_addc_u32 s57, s57, 0
	v_add_u32_e32 v3, v1, v3
	v_lshrrev_b32_e32 v3, s10, v3
	v_mul_lo_u32 v4, v3, s8
	v_mul_hi_u32 v5, s12, v3
	s_cmp_eq_u32 s40, s62
	v_sub_u32_e32 v1, v1, v4
	v_add_u32_e32 v4, v3, v5
	v_mul_lo_u32 v5, v1, s0
	v_mul_lo_u32 v6, v1, s1
	v_lshrrev_b32_e32 v1, s13, v4
	v_mul_lo_u32 v4, v1, s11
	v_mul_hi_u32 v7, s15, v1
	v_sub_u32_e32 v3, v3, v4
	v_add_u32_e32 v4, v1, v7
	v_lshrrev_b32_e32 v4, s28, v4
	v_mul_hi_u32 v8, s30, v4
	v_mul_lo_u32 v9, v4, s14
	v_mul_lo_u32 v7, v3, s2
	;; [unrolled: 1-line block ×3, first 2 shown]
	v_sub_u32_e32 v9, v1, v9
	v_add_u32_e32 v1, v4, v8
	v_lshrrev_b32_e32 v1, s31, v1
	v_mul_lo_u32 v8, v1, s29
	v_mul_lo_u32 v10, v9, s4
	v_mul_lo_u32 v9, v9, s5
	v_add3_u32 v0, v5, v0, v7
	v_sub_u32_e32 v4, v4, v8
	v_mul_lo_u32 v8, v4, s6
	v_mul_lo_u32 v4, v4, s7
	v_add3_u32 v2, v6, v2, v3
	v_add3_u32 v0, v10, v0, v8
	;; [unrolled: 1-line block ×3, first 2 shown]
	s_cbranch_scc0 .LBB338_160
	s_branch .LBB338_180
.LBB338_161:
                                        ; implicit-def: $vgpr0
                                        ; implicit-def: $vgpr2
	s_branch .LBB338_184
.LBB338_162:
	v_mov_b32_e32 v0, 0
	v_mov_b32_e32 v2, 0
	s_branch .LBB338_183
.LBB338_163:
	s_mov_b32 s40, 0
	v_mov_b32_e32 v0, 0
	v_mov_b32_e32 v2, 0
	;; [unrolled: 1-line block ×3, first 2 shown]
.LBB338_164:
	s_and_b32 s4, s61, 3
	s_cmp_eq_u32 s4, 0
	s_cbranch_scc1 .LBB338_167
; %bb.165:
	s_lshl_b32 s0, s40, 3
	s_add_u32 s0, s34, s0
	s_addc_u32 s1, s35, 0
	s_add_u32 s0, s0, 0xc4
	s_addc_u32 s1, s1, 0
	s_mul_i32 s2, s40, 12
	s_add_u32 s2, s34, s2
	s_addc_u32 s3, s35, 0
.LBB338_166:                            ; =>This Inner Loop Header: Depth=1
	s_load_dwordx2 s[6:7], s[2:3], 0x4
	s_load_dword s5, s[2:3], 0xc
	s_load_dwordx2 s[8:9], s[0:1], 0x0
	s_add_u32 s2, s2, 12
	s_addc_u32 s3, s3, 0
	s_waitcnt lgkmcnt(0)
	v_mul_hi_u32 v3, s7, v1
	s_add_u32 s0, s0, 8
	s_addc_u32 s1, s1, 0
	s_add_i32 s4, s4, -1
	v_add_u32_e32 v3, v1, v3
	v_lshrrev_b32_e32 v4, s5, v3
	v_mul_lo_u32 v3, v4, s6
	s_cmp_lg_u32 s4, 0
	v_sub_u32_e32 v3, v1, v3
	v_mad_u64_u32 v[0:1], s[6:7], v3, s8, v[0:1]
	v_mad_u64_u32 v[2:3], s[6:7], v3, s9, v[2:3]
	v_mov_b32_e32 v1, v4
	s_cbranch_scc1 .LBB338_166
.LBB338_167:
	s_cbranch_execnz .LBB338_170
.LBB338_168:
	v_mul_hi_u32 v0, s21, v19
	s_andn2_b64 vcc, exec, s[46:47]
	v_add_u32_e32 v0, v19, v0
	v_lshrrev_b32_e32 v1, s22, v0
	v_mul_lo_u32 v0, v1, s20
	v_sub_u32_e32 v2, v19, v0
	v_mul_lo_u32 v0, v2, s24
	v_mul_lo_u32 v2, v2, s25
	s_cbranch_vccnz .LBB338_170
; %bb.169:
	v_mul_hi_u32 v3, s44, v1
	v_add_u32_e32 v3, v1, v3
	v_lshrrev_b32_e32 v3, s45, v3
	v_mul_lo_u32 v3, v3, s23
	v_sub_u32_e32 v3, v1, v3
	v_mad_u64_u32 v[0:1], s[0:1], v3, s26, v[0:1]
	v_mad_u64_u32 v[2:3], s[0:1], v3, s27, v[2:3]
.LBB338_170:
	global_load_ushort v1, v2, s[18:19]
	v_add_u32_e32 v19, 0x80, v19
	s_waitcnt vmcnt(0)
	v_cmp_ne_u16_e32 vcc, s41, v1
	s_xor_b64 s[0:1], s[42:43], vcc
	v_cndmask_b32_e64 v1, 0, 1, s[0:1]
	global_store_byte v0, v1, s[16:17]
	s_or_b64 exec, exec, s[52:53]
	v_cmp_gt_i32_e32 vcc, s59, v19
	s_and_saveexec_b64 s[52:53], vcc
	s_cbranch_execnz .LBB338_156
.LBB338_171:
	s_or_b64 exec, exec, s[52:53]
	v_cmp_gt_i32_e32 vcc, s59, v19
	s_and_saveexec_b64 s[52:53], vcc
	s_cbranch_execz .LBB338_187
.LBB338_172:
	s_andn2_b64 vcc, exec, s[36:37]
	s_cbranch_vccnz .LBB338_177
; %bb.173:
	s_andn2_b64 vcc, exec, s[50:51]
	s_cbranch_vccnz .LBB338_178
; %bb.174:
	s_add_i32 s61, s60, 1
	s_cmp_eq_u32 s58, 2
	s_cbranch_scc1 .LBB338_195
; %bb.175:
	s_and_b32 s40, s61, 28
	v_mov_b32_e32 v2, 0
	s_mov_b32 s62, 0
	s_mov_b64 s[54:55], s[34:35]
	s_mov_b64 s[56:57], s[48:49]
	v_mov_b32_e32 v0, 0
	v_mov_b32_e32 v1, v19
.LBB338_176:                            ; =>This Inner Loop Header: Depth=1
	s_load_dwordx8 s[8:15], s[54:55], 0x4
	s_load_dwordx4 s[28:31], s[54:55], 0x24
	s_load_dwordx8 s[0:7], s[56:57], 0x0
	s_add_u32 s54, s54, 48
	s_addc_u32 s55, s55, 0
	s_waitcnt lgkmcnt(0)
	v_mul_hi_u32 v3, s9, v1
	s_add_i32 s62, s62, 4
	s_add_u32 s56, s56, 32
	s_addc_u32 s57, s57, 0
	v_add_u32_e32 v3, v1, v3
	v_lshrrev_b32_e32 v3, s10, v3
	v_mul_lo_u32 v4, v3, s8
	v_mul_hi_u32 v5, s12, v3
	s_cmp_eq_u32 s40, s62
	v_sub_u32_e32 v1, v1, v4
	v_add_u32_e32 v4, v3, v5
	v_mul_lo_u32 v5, v1, s0
	v_mul_lo_u32 v6, v1, s1
	v_lshrrev_b32_e32 v1, s13, v4
	v_mul_lo_u32 v4, v1, s11
	v_mul_hi_u32 v7, s15, v1
	v_sub_u32_e32 v3, v3, v4
	v_add_u32_e32 v4, v1, v7
	v_lshrrev_b32_e32 v4, s28, v4
	v_mul_hi_u32 v8, s30, v4
	v_mul_lo_u32 v9, v4, s14
	v_mul_lo_u32 v7, v3, s2
	;; [unrolled: 1-line block ×3, first 2 shown]
	v_sub_u32_e32 v9, v1, v9
	v_add_u32_e32 v1, v4, v8
	v_lshrrev_b32_e32 v1, s31, v1
	v_mul_lo_u32 v8, v1, s29
	v_mul_lo_u32 v10, v9, s4
	;; [unrolled: 1-line block ×3, first 2 shown]
	v_add3_u32 v0, v5, v0, v7
	v_sub_u32_e32 v4, v4, v8
	v_mul_lo_u32 v8, v4, s6
	v_mul_lo_u32 v4, v4, s7
	v_add3_u32 v2, v6, v2, v3
	v_add3_u32 v0, v10, v0, v8
	;; [unrolled: 1-line block ×3, first 2 shown]
	s_cbranch_scc0 .LBB338_176
	s_branch .LBB338_196
.LBB338_177:
                                        ; implicit-def: $vgpr0
                                        ; implicit-def: $vgpr2
	s_branch .LBB338_200
.LBB338_178:
	v_mov_b32_e32 v0, 0
	v_mov_b32_e32 v2, 0
	s_branch .LBB338_199
.LBB338_179:
	s_mov_b32 s40, 0
	v_mov_b32_e32 v0, 0
	v_mov_b32_e32 v2, 0
	;; [unrolled: 1-line block ×3, first 2 shown]
.LBB338_180:
	s_and_b32 s4, s61, 3
	s_cmp_eq_u32 s4, 0
	s_cbranch_scc1 .LBB338_183
; %bb.181:
	s_lshl_b32 s0, s40, 3
	s_add_u32 s0, s34, s0
	s_addc_u32 s1, s35, 0
	s_add_u32 s0, s0, 0xc4
	s_addc_u32 s1, s1, 0
	s_mul_i32 s2, s40, 12
	s_add_u32 s2, s34, s2
	s_addc_u32 s3, s35, 0
.LBB338_182:                            ; =>This Inner Loop Header: Depth=1
	s_load_dwordx2 s[6:7], s[2:3], 0x4
	s_load_dword s5, s[2:3], 0xc
	s_load_dwordx2 s[8:9], s[0:1], 0x0
	s_add_u32 s2, s2, 12
	s_addc_u32 s3, s3, 0
	s_waitcnt lgkmcnt(0)
	v_mul_hi_u32 v3, s7, v1
	s_add_u32 s0, s0, 8
	s_addc_u32 s1, s1, 0
	s_add_i32 s4, s4, -1
	v_add_u32_e32 v3, v1, v3
	v_lshrrev_b32_e32 v4, s5, v3
	v_mul_lo_u32 v3, v4, s6
	s_cmp_lg_u32 s4, 0
	v_sub_u32_e32 v3, v1, v3
	v_mad_u64_u32 v[0:1], s[6:7], v3, s8, v[0:1]
	v_mad_u64_u32 v[2:3], s[6:7], v3, s9, v[2:3]
	v_mov_b32_e32 v1, v4
	s_cbranch_scc1 .LBB338_182
.LBB338_183:
	s_cbranch_execnz .LBB338_186
.LBB338_184:
	v_mul_hi_u32 v0, s21, v19
	s_andn2_b64 vcc, exec, s[46:47]
	v_add_u32_e32 v0, v19, v0
	v_lshrrev_b32_e32 v1, s22, v0
	v_mul_lo_u32 v0, v1, s20
	v_sub_u32_e32 v2, v19, v0
	v_mul_lo_u32 v0, v2, s24
	v_mul_lo_u32 v2, v2, s25
	s_cbranch_vccnz .LBB338_186
; %bb.185:
	v_mul_hi_u32 v3, s44, v1
	v_add_u32_e32 v3, v1, v3
	v_lshrrev_b32_e32 v3, s45, v3
	v_mul_lo_u32 v3, v3, s23
	v_sub_u32_e32 v3, v1, v3
	v_mad_u64_u32 v[0:1], s[0:1], v3, s26, v[0:1]
	v_mad_u64_u32 v[2:3], s[0:1], v3, s27, v[2:3]
.LBB338_186:
	global_load_ushort v1, v2, s[18:19]
	v_add_u32_e32 v19, 0x80, v19
	s_waitcnt vmcnt(0)
	v_cmp_ne_u16_e32 vcc, s41, v1
	s_xor_b64 s[0:1], s[42:43], vcc
	v_cndmask_b32_e64 v1, 0, 1, s[0:1]
	global_store_byte v0, v1, s[16:17]
	s_or_b64 exec, exec, s[52:53]
	v_cmp_gt_i32_e32 vcc, s59, v19
	s_and_saveexec_b64 s[52:53], vcc
	s_cbranch_execnz .LBB338_172
.LBB338_187:
	s_or_b64 exec, exec, s[52:53]
	v_cmp_gt_i32_e32 vcc, s59, v19
	s_and_saveexec_b64 s[52:53], vcc
	s_cbranch_execz .LBB338_203
.LBB338_188:
	s_andn2_b64 vcc, exec, s[36:37]
	s_cbranch_vccnz .LBB338_193
; %bb.189:
	s_andn2_b64 vcc, exec, s[50:51]
	s_cbranch_vccnz .LBB338_194
; %bb.190:
	s_add_i32 s61, s60, 1
	s_cmp_eq_u32 s58, 2
	s_cbranch_scc1 .LBB338_211
; %bb.191:
	s_and_b32 s40, s61, 28
	v_mov_b32_e32 v2, 0
	s_mov_b32 s62, 0
	s_mov_b64 s[54:55], s[34:35]
	s_mov_b64 s[56:57], s[48:49]
	v_mov_b32_e32 v0, 0
	v_mov_b32_e32 v1, v19
.LBB338_192:                            ; =>This Inner Loop Header: Depth=1
	s_load_dwordx8 s[8:15], s[54:55], 0x4
	s_load_dwordx4 s[28:31], s[54:55], 0x24
	s_load_dwordx8 s[0:7], s[56:57], 0x0
	s_add_u32 s54, s54, 48
	s_addc_u32 s55, s55, 0
	s_waitcnt lgkmcnt(0)
	v_mul_hi_u32 v3, s9, v1
	s_add_i32 s62, s62, 4
	s_add_u32 s56, s56, 32
	s_addc_u32 s57, s57, 0
	v_add_u32_e32 v3, v1, v3
	v_lshrrev_b32_e32 v3, s10, v3
	v_mul_lo_u32 v4, v3, s8
	v_mul_hi_u32 v5, s12, v3
	s_cmp_eq_u32 s40, s62
	v_sub_u32_e32 v1, v1, v4
	v_add_u32_e32 v4, v3, v5
	v_mul_lo_u32 v5, v1, s0
	v_mul_lo_u32 v6, v1, s1
	v_lshrrev_b32_e32 v1, s13, v4
	v_mul_lo_u32 v4, v1, s11
	v_mul_hi_u32 v7, s15, v1
	v_sub_u32_e32 v3, v3, v4
	v_add_u32_e32 v4, v1, v7
	v_lshrrev_b32_e32 v4, s28, v4
	v_mul_hi_u32 v8, s30, v4
	v_mul_lo_u32 v9, v4, s14
	v_mul_lo_u32 v7, v3, s2
	;; [unrolled: 1-line block ×3, first 2 shown]
	v_sub_u32_e32 v9, v1, v9
	v_add_u32_e32 v1, v4, v8
	v_lshrrev_b32_e32 v1, s31, v1
	v_mul_lo_u32 v8, v1, s29
	v_mul_lo_u32 v10, v9, s4
	;; [unrolled: 1-line block ×3, first 2 shown]
	v_add3_u32 v0, v5, v0, v7
	v_sub_u32_e32 v4, v4, v8
	v_mul_lo_u32 v8, v4, s6
	v_mul_lo_u32 v4, v4, s7
	v_add3_u32 v2, v6, v2, v3
	v_add3_u32 v0, v10, v0, v8
	;; [unrolled: 1-line block ×3, first 2 shown]
	s_cbranch_scc0 .LBB338_192
	s_branch .LBB338_212
.LBB338_193:
                                        ; implicit-def: $vgpr0
                                        ; implicit-def: $vgpr2
	s_branch .LBB338_216
.LBB338_194:
	v_mov_b32_e32 v0, 0
	v_mov_b32_e32 v2, 0
	s_branch .LBB338_215
.LBB338_195:
	s_mov_b32 s40, 0
	v_mov_b32_e32 v0, 0
	v_mov_b32_e32 v2, 0
	v_mov_b32_e32 v1, v19
.LBB338_196:
	s_and_b32 s4, s61, 3
	s_cmp_eq_u32 s4, 0
	s_cbranch_scc1 .LBB338_199
; %bb.197:
	s_lshl_b32 s0, s40, 3
	s_add_u32 s0, s34, s0
	s_addc_u32 s1, s35, 0
	s_add_u32 s0, s0, 0xc4
	s_addc_u32 s1, s1, 0
	s_mul_i32 s2, s40, 12
	s_add_u32 s2, s34, s2
	s_addc_u32 s3, s35, 0
.LBB338_198:                            ; =>This Inner Loop Header: Depth=1
	s_load_dwordx2 s[6:7], s[2:3], 0x4
	s_load_dword s5, s[2:3], 0xc
	s_load_dwordx2 s[8:9], s[0:1], 0x0
	s_add_u32 s2, s2, 12
	s_addc_u32 s3, s3, 0
	s_waitcnt lgkmcnt(0)
	v_mul_hi_u32 v3, s7, v1
	s_add_u32 s0, s0, 8
	s_addc_u32 s1, s1, 0
	s_add_i32 s4, s4, -1
	v_add_u32_e32 v3, v1, v3
	v_lshrrev_b32_e32 v4, s5, v3
	v_mul_lo_u32 v3, v4, s6
	s_cmp_lg_u32 s4, 0
	v_sub_u32_e32 v3, v1, v3
	v_mad_u64_u32 v[0:1], s[6:7], v3, s8, v[0:1]
	v_mad_u64_u32 v[2:3], s[6:7], v3, s9, v[2:3]
	v_mov_b32_e32 v1, v4
	s_cbranch_scc1 .LBB338_198
.LBB338_199:
	s_cbranch_execnz .LBB338_202
.LBB338_200:
	v_mul_hi_u32 v0, s21, v19
	s_andn2_b64 vcc, exec, s[46:47]
	v_add_u32_e32 v0, v19, v0
	v_lshrrev_b32_e32 v1, s22, v0
	v_mul_lo_u32 v0, v1, s20
	v_sub_u32_e32 v2, v19, v0
	v_mul_lo_u32 v0, v2, s24
	v_mul_lo_u32 v2, v2, s25
	s_cbranch_vccnz .LBB338_202
; %bb.201:
	v_mul_hi_u32 v3, s44, v1
	v_add_u32_e32 v3, v1, v3
	v_lshrrev_b32_e32 v3, s45, v3
	v_mul_lo_u32 v3, v3, s23
	v_sub_u32_e32 v3, v1, v3
	v_mad_u64_u32 v[0:1], s[0:1], v3, s26, v[0:1]
	v_mad_u64_u32 v[2:3], s[0:1], v3, s27, v[2:3]
.LBB338_202:
	global_load_ushort v1, v2, s[18:19]
	v_add_u32_e32 v19, 0x80, v19
	s_waitcnt vmcnt(0)
	v_cmp_ne_u16_e32 vcc, s41, v1
	s_xor_b64 s[0:1], s[42:43], vcc
	v_cndmask_b32_e64 v1, 0, 1, s[0:1]
	global_store_byte v0, v1, s[16:17]
	s_or_b64 exec, exec, s[52:53]
	v_cmp_gt_i32_e32 vcc, s59, v19
	s_and_saveexec_b64 s[52:53], vcc
	s_cbranch_execnz .LBB338_188
.LBB338_203:
	s_or_b64 exec, exec, s[52:53]
	v_cmp_gt_i32_e32 vcc, s59, v19
	s_and_saveexec_b64 s[52:53], vcc
	s_cbranch_execz .LBB338_219
.LBB338_204:
	s_andn2_b64 vcc, exec, s[36:37]
	s_cbranch_vccnz .LBB338_209
; %bb.205:
	s_andn2_b64 vcc, exec, s[50:51]
	s_cbranch_vccnz .LBB338_210
; %bb.206:
	s_add_i32 s61, s60, 1
	s_cmp_eq_u32 s58, 2
	s_cbranch_scc1 .LBB338_222
; %bb.207:
	s_and_b32 s40, s61, 28
	v_mov_b32_e32 v2, 0
	s_mov_b32 s62, 0
	s_mov_b64 s[54:55], s[34:35]
	s_mov_b64 s[56:57], s[48:49]
	v_mov_b32_e32 v0, 0
	v_mov_b32_e32 v1, v19
.LBB338_208:                            ; =>This Inner Loop Header: Depth=1
	s_load_dwordx8 s[8:15], s[54:55], 0x4
	s_load_dwordx4 s[28:31], s[54:55], 0x24
	s_load_dwordx8 s[0:7], s[56:57], 0x0
	s_add_u32 s54, s54, 48
	s_addc_u32 s55, s55, 0
	s_waitcnt lgkmcnt(0)
	v_mul_hi_u32 v3, s9, v1
	s_add_i32 s62, s62, 4
	s_add_u32 s56, s56, 32
	s_addc_u32 s57, s57, 0
	v_add_u32_e32 v3, v1, v3
	v_lshrrev_b32_e32 v3, s10, v3
	v_mul_lo_u32 v4, v3, s8
	v_mul_hi_u32 v5, s12, v3
	s_cmp_eq_u32 s40, s62
	v_sub_u32_e32 v1, v1, v4
	v_add_u32_e32 v4, v3, v5
	v_mul_lo_u32 v5, v1, s0
	v_mul_lo_u32 v6, v1, s1
	v_lshrrev_b32_e32 v1, s13, v4
	v_mul_lo_u32 v4, v1, s11
	v_mul_hi_u32 v7, s15, v1
	v_sub_u32_e32 v3, v3, v4
	v_add_u32_e32 v4, v1, v7
	v_lshrrev_b32_e32 v4, s28, v4
	v_mul_hi_u32 v8, s30, v4
	v_mul_lo_u32 v9, v4, s14
	v_mul_lo_u32 v7, v3, s2
	;; [unrolled: 1-line block ×3, first 2 shown]
	v_sub_u32_e32 v9, v1, v9
	v_add_u32_e32 v1, v4, v8
	v_lshrrev_b32_e32 v1, s31, v1
	v_mul_lo_u32 v8, v1, s29
	v_mul_lo_u32 v10, v9, s4
	;; [unrolled: 1-line block ×3, first 2 shown]
	v_add3_u32 v0, v5, v0, v7
	v_sub_u32_e32 v4, v4, v8
	v_mul_lo_u32 v8, v4, s6
	v_mul_lo_u32 v4, v4, s7
	v_add3_u32 v2, v6, v2, v3
	v_add3_u32 v0, v10, v0, v8
	;; [unrolled: 1-line block ×3, first 2 shown]
	s_cbranch_scc0 .LBB338_208
	s_branch .LBB338_223
.LBB338_209:
                                        ; implicit-def: $vgpr0
                                        ; implicit-def: $vgpr2
	s_branch .LBB338_227
.LBB338_210:
	v_mov_b32_e32 v0, 0
	v_mov_b32_e32 v2, 0
	s_branch .LBB338_226
.LBB338_211:
	s_mov_b32 s40, 0
	v_mov_b32_e32 v0, 0
	v_mov_b32_e32 v2, 0
	;; [unrolled: 1-line block ×3, first 2 shown]
.LBB338_212:
	s_and_b32 s4, s61, 3
	s_cmp_eq_u32 s4, 0
	s_cbranch_scc1 .LBB338_215
; %bb.213:
	s_lshl_b32 s0, s40, 3
	s_add_u32 s0, s34, s0
	s_addc_u32 s1, s35, 0
	s_add_u32 s0, s0, 0xc4
	s_addc_u32 s1, s1, 0
	s_mul_i32 s2, s40, 12
	s_add_u32 s2, s34, s2
	s_addc_u32 s3, s35, 0
.LBB338_214:                            ; =>This Inner Loop Header: Depth=1
	s_load_dwordx2 s[6:7], s[2:3], 0x4
	s_load_dword s5, s[2:3], 0xc
	s_load_dwordx2 s[8:9], s[0:1], 0x0
	s_add_u32 s2, s2, 12
	s_addc_u32 s3, s3, 0
	s_waitcnt lgkmcnt(0)
	v_mul_hi_u32 v3, s7, v1
	s_add_u32 s0, s0, 8
	s_addc_u32 s1, s1, 0
	s_add_i32 s4, s4, -1
	v_add_u32_e32 v3, v1, v3
	v_lshrrev_b32_e32 v4, s5, v3
	v_mul_lo_u32 v3, v4, s6
	s_cmp_lg_u32 s4, 0
	v_sub_u32_e32 v3, v1, v3
	v_mad_u64_u32 v[0:1], s[6:7], v3, s8, v[0:1]
	v_mad_u64_u32 v[2:3], s[6:7], v3, s9, v[2:3]
	v_mov_b32_e32 v1, v4
	s_cbranch_scc1 .LBB338_214
.LBB338_215:
	s_cbranch_execnz .LBB338_218
.LBB338_216:
	v_mul_hi_u32 v0, s21, v19
	s_andn2_b64 vcc, exec, s[46:47]
	v_add_u32_e32 v0, v19, v0
	v_lshrrev_b32_e32 v1, s22, v0
	v_mul_lo_u32 v0, v1, s20
	v_sub_u32_e32 v2, v19, v0
	v_mul_lo_u32 v0, v2, s24
	v_mul_lo_u32 v2, v2, s25
	s_cbranch_vccnz .LBB338_218
; %bb.217:
	v_mul_hi_u32 v3, s44, v1
	v_add_u32_e32 v3, v1, v3
	v_lshrrev_b32_e32 v3, s45, v3
	v_mul_lo_u32 v3, v3, s23
	v_sub_u32_e32 v3, v1, v3
	v_mad_u64_u32 v[0:1], s[0:1], v3, s26, v[0:1]
	v_mad_u64_u32 v[2:3], s[0:1], v3, s27, v[2:3]
.LBB338_218:
	global_load_ushort v1, v2, s[18:19]
	v_add_u32_e32 v19, 0x80, v19
	s_waitcnt vmcnt(0)
	v_cmp_ne_u16_e32 vcc, s41, v1
	s_xor_b64 s[0:1], s[42:43], vcc
	v_cndmask_b32_e64 v1, 0, 1, s[0:1]
	global_store_byte v0, v1, s[16:17]
	s_or_b64 exec, exec, s[52:53]
	v_cmp_gt_i32_e32 vcc, s59, v19
	s_and_saveexec_b64 s[52:53], vcc
	s_cbranch_execnz .LBB338_204
.LBB338_219:
	s_or_b64 exec, exec, s[52:53]
	v_cmp_gt_i32_e32 vcc, s59, v19
	s_and_saveexec_b64 s[52:53], vcc
	s_cbranch_execnz .LBB338_230
.LBB338_220:
	s_or_b64 exec, exec, s[52:53]
                                        ; implicit-def: $vgpr25
                                        ; implicit-def: $vgpr19
	s_andn2_saveexec_b64 s[0:1], s[38:39]
	s_cbranch_execnz .LBB338_8
.LBB338_221:
	s_endpgm
.LBB338_222:
	s_mov_b32 s40, 0
	v_mov_b32_e32 v0, 0
	v_mov_b32_e32 v2, 0
	;; [unrolled: 1-line block ×3, first 2 shown]
.LBB338_223:
	s_and_b32 s4, s61, 3
	s_cmp_eq_u32 s4, 0
	s_cbranch_scc1 .LBB338_226
; %bb.224:
	s_lshl_b32 s0, s40, 3
	s_add_u32 s0, s34, s0
	s_addc_u32 s1, s35, 0
	s_add_u32 s0, s0, 0xc4
	s_addc_u32 s1, s1, 0
	s_mul_i32 s2, s40, 12
	s_add_u32 s2, s34, s2
	s_addc_u32 s3, s35, 0
.LBB338_225:                            ; =>This Inner Loop Header: Depth=1
	s_load_dwordx2 s[6:7], s[2:3], 0x4
	s_load_dword s5, s[2:3], 0xc
	s_load_dwordx2 s[8:9], s[0:1], 0x0
	s_add_u32 s2, s2, 12
	s_addc_u32 s3, s3, 0
	s_waitcnt lgkmcnt(0)
	v_mul_hi_u32 v3, s7, v1
	s_add_u32 s0, s0, 8
	s_addc_u32 s1, s1, 0
	s_add_i32 s4, s4, -1
	v_add_u32_e32 v3, v1, v3
	v_lshrrev_b32_e32 v4, s5, v3
	v_mul_lo_u32 v3, v4, s6
	s_cmp_lg_u32 s4, 0
	v_sub_u32_e32 v3, v1, v3
	v_mad_u64_u32 v[0:1], s[6:7], v3, s8, v[0:1]
	v_mad_u64_u32 v[2:3], s[6:7], v3, s9, v[2:3]
	v_mov_b32_e32 v1, v4
	s_cbranch_scc1 .LBB338_225
.LBB338_226:
	s_cbranch_execnz .LBB338_229
.LBB338_227:
	v_mul_hi_u32 v0, s21, v19
	s_andn2_b64 vcc, exec, s[46:47]
	v_add_u32_e32 v0, v19, v0
	v_lshrrev_b32_e32 v1, s22, v0
	v_mul_lo_u32 v0, v1, s20
	v_sub_u32_e32 v2, v19, v0
	v_mul_lo_u32 v0, v2, s24
	v_mul_lo_u32 v2, v2, s25
	s_cbranch_vccnz .LBB338_229
; %bb.228:
	v_mul_hi_u32 v3, s44, v1
	v_add_u32_e32 v3, v1, v3
	v_lshrrev_b32_e32 v3, s45, v3
	v_mul_lo_u32 v3, v3, s23
	v_sub_u32_e32 v3, v1, v3
	v_mad_u64_u32 v[0:1], s[0:1], v3, s26, v[0:1]
	v_mad_u64_u32 v[2:3], s[0:1], v3, s27, v[2:3]
.LBB338_229:
	global_load_ushort v1, v2, s[18:19]
	v_add_u32_e32 v19, 0x80, v19
	s_waitcnt vmcnt(0)
	v_cmp_ne_u16_e32 vcc, s41, v1
	s_xor_b64 s[0:1], s[42:43], vcc
	v_cndmask_b32_e64 v1, 0, 1, s[0:1]
	global_store_byte v0, v1, s[16:17]
	s_or_b64 exec, exec, s[52:53]
	v_cmp_gt_i32_e32 vcc, s59, v19
	s_and_saveexec_b64 s[52:53], vcc
	s_cbranch_execz .LBB338_220
.LBB338_230:
	s_andn2_b64 vcc, exec, s[36:37]
	s_cbranch_vccnz .LBB338_235
; %bb.231:
	s_andn2_b64 vcc, exec, s[50:51]
	s_cbranch_vccnz .LBB338_236
; %bb.232:
	s_add_i32 s60, s60, 1
	s_cmp_eq_u32 s58, 2
	s_cbranch_scc1 .LBB338_237
; %bb.233:
	s_and_b32 s40, s60, 28
	v_mov_b32_e32 v2, 0
	s_mov_b32 s54, 0
	s_mov_b64 s[50:51], s[34:35]
	v_mov_b32_e32 v0, 0
	v_mov_b32_e32 v1, v19
.LBB338_234:                            ; =>This Inner Loop Header: Depth=1
	s_load_dwordx8 s[8:15], s[50:51], 0x4
	s_load_dwordx4 s[28:31], s[50:51], 0x24
	s_load_dwordx8 s[0:7], s[48:49], 0x0
	s_add_u32 s50, s50, 48
	s_addc_u32 s51, s51, 0
	s_waitcnt lgkmcnt(0)
	v_mul_hi_u32 v3, s9, v1
	s_add_i32 s54, s54, 4
	s_add_u32 s48, s48, 32
	s_addc_u32 s49, s49, 0
	v_add_u32_e32 v3, v1, v3
	v_lshrrev_b32_e32 v3, s10, v3
	v_mul_lo_u32 v4, v3, s8
	v_mul_hi_u32 v5, s12, v3
	s_cmp_eq_u32 s40, s54
	v_sub_u32_e32 v1, v1, v4
	v_add_u32_e32 v4, v3, v5
	v_mul_lo_u32 v5, v1, s0
	v_mul_lo_u32 v6, v1, s1
	v_lshrrev_b32_e32 v1, s13, v4
	v_mul_lo_u32 v4, v1, s11
	v_mul_hi_u32 v7, s15, v1
	v_sub_u32_e32 v3, v3, v4
	v_add_u32_e32 v4, v1, v7
	v_lshrrev_b32_e32 v4, s28, v4
	v_mul_hi_u32 v8, s30, v4
	v_mul_lo_u32 v9, v4, s14
	v_mul_lo_u32 v7, v3, s2
	;; [unrolled: 1-line block ×3, first 2 shown]
	v_sub_u32_e32 v9, v1, v9
	v_add_u32_e32 v1, v4, v8
	v_lshrrev_b32_e32 v1, s31, v1
	v_mul_lo_u32 v8, v1, s29
	v_mul_lo_u32 v10, v9, s4
	v_mul_lo_u32 v9, v9, s5
	v_add3_u32 v0, v5, v0, v7
	v_sub_u32_e32 v4, v4, v8
	v_mul_lo_u32 v8, v4, s6
	v_mul_lo_u32 v4, v4, s7
	v_add3_u32 v2, v6, v2, v3
	v_add3_u32 v0, v10, v0, v8
	;; [unrolled: 1-line block ×3, first 2 shown]
	s_cbranch_scc0 .LBB338_234
	s_branch .LBB338_238
.LBB338_235:
                                        ; implicit-def: $vgpr0
                                        ; implicit-def: $vgpr2
	s_branch .LBB338_242
.LBB338_236:
	v_mov_b32_e32 v0, 0
	v_mov_b32_e32 v2, 0
	s_branch .LBB338_241
.LBB338_237:
	s_mov_b32 s40, 0
	v_mov_b32_e32 v0, 0
	v_mov_b32_e32 v2, 0
	;; [unrolled: 1-line block ×3, first 2 shown]
.LBB338_238:
	s_and_b32 s4, s60, 3
	s_cmp_eq_u32 s4, 0
	s_cbranch_scc1 .LBB338_241
; %bb.239:
	s_lshl_b32 s0, s40, 3
	s_add_u32 s0, s34, s0
	s_addc_u32 s1, s35, 0
	s_add_u32 s0, s0, 0xc4
	s_addc_u32 s1, s1, 0
	s_mul_i32 s2, s40, 12
	s_add_u32 s2, s34, s2
	s_addc_u32 s3, s35, 0
.LBB338_240:                            ; =>This Inner Loop Header: Depth=1
	s_load_dwordx2 s[6:7], s[2:3], 0x4
	s_load_dword s5, s[2:3], 0xc
	s_load_dwordx2 s[8:9], s[0:1], 0x0
	s_add_u32 s2, s2, 12
	s_addc_u32 s3, s3, 0
	s_waitcnt lgkmcnt(0)
	v_mul_hi_u32 v3, s7, v1
	s_add_u32 s0, s0, 8
	s_addc_u32 s1, s1, 0
	s_add_i32 s4, s4, -1
	v_add_u32_e32 v3, v1, v3
	v_lshrrev_b32_e32 v4, s5, v3
	v_mul_lo_u32 v3, v4, s6
	s_cmp_lg_u32 s4, 0
	v_sub_u32_e32 v3, v1, v3
	v_mad_u64_u32 v[0:1], s[6:7], v3, s8, v[0:1]
	v_mad_u64_u32 v[2:3], s[6:7], v3, s9, v[2:3]
	v_mov_b32_e32 v1, v4
	s_cbranch_scc1 .LBB338_240
.LBB338_241:
	s_cbranch_execnz .LBB338_244
.LBB338_242:
	v_mul_hi_u32 v0, s21, v19
	s_andn2_b64 vcc, exec, s[46:47]
	v_add_u32_e32 v0, v19, v0
	v_lshrrev_b32_e32 v1, s22, v0
	v_mul_lo_u32 v0, v1, s20
	v_sub_u32_e32 v2, v19, v0
	v_mul_lo_u32 v0, v2, s24
	v_mul_lo_u32 v2, v2, s25
	s_cbranch_vccnz .LBB338_244
; %bb.243:
	v_mul_hi_u32 v3, s44, v1
	v_add_u32_e32 v3, v1, v3
	v_lshrrev_b32_e32 v3, s45, v3
	v_mul_lo_u32 v3, v3, s23
	v_sub_u32_e32 v3, v1, v3
	v_mad_u64_u32 v[0:1], s[0:1], v3, s26, v[0:1]
	v_mad_u64_u32 v[2:3], s[0:1], v3, s27, v[2:3]
.LBB338_244:
	global_load_ushort v1, v2, s[18:19]
	s_waitcnt vmcnt(0)
	v_cmp_ne_u16_e32 vcc, s41, v1
	s_xor_b64 s[0:1], s[42:43], vcc
	v_cndmask_b32_e64 v1, 0, 1, s[0:1]
	global_store_byte v0, v1, s[16:17]
	s_or_b64 exec, exec, s[52:53]
                                        ; implicit-def: $vgpr25
                                        ; implicit-def: $vgpr19
	s_andn2_saveexec_b64 s[0:1], s[38:39]
	s_cbranch_execz .LBB338_221
	s_branch .LBB338_8
	.section	.rodata,"a",@progbits
	.p2align	6, 0x0
	.amdhsa_kernel _ZN2at6native32elementwise_kernel_manual_unrollILi128ELi8EZNS0_22gpu_kernel_impl_nocastINS0_13AUnaryFunctorIttbNS0_12_GLOBAL__N_116CompareEqFunctorItEEEEEEvRNS_18TensorIteratorBaseERKT_EUlibE_EEviT1_
		.amdhsa_group_segment_fixed_size 0
		.amdhsa_private_segment_fixed_size 0
		.amdhsa_kernarg_size 360
		.amdhsa_user_sgpr_count 6
		.amdhsa_user_sgpr_private_segment_buffer 1
		.amdhsa_user_sgpr_dispatch_ptr 0
		.amdhsa_user_sgpr_queue_ptr 0
		.amdhsa_user_sgpr_kernarg_segment_ptr 1
		.amdhsa_user_sgpr_dispatch_id 0
		.amdhsa_user_sgpr_flat_scratch_init 0
		.amdhsa_user_sgpr_private_segment_size 0
		.amdhsa_uses_dynamic_stack 0
		.amdhsa_system_sgpr_private_segment_wavefront_offset 0
		.amdhsa_system_sgpr_workgroup_id_x 1
		.amdhsa_system_sgpr_workgroup_id_y 0
		.amdhsa_system_sgpr_workgroup_id_z 0
		.amdhsa_system_sgpr_workgroup_info 0
		.amdhsa_system_vgpr_workitem_id 0
		.amdhsa_next_free_vgpr 26
		.amdhsa_next_free_sgpr 63
		.amdhsa_reserve_vcc 1
		.amdhsa_reserve_flat_scratch 0
		.amdhsa_float_round_mode_32 0
		.amdhsa_float_round_mode_16_64 0
		.amdhsa_float_denorm_mode_32 3
		.amdhsa_float_denorm_mode_16_64 3
		.amdhsa_dx10_clamp 1
		.amdhsa_ieee_mode 1
		.amdhsa_fp16_overflow 0
		.amdhsa_exception_fp_ieee_invalid_op 0
		.amdhsa_exception_fp_denorm_src 0
		.amdhsa_exception_fp_ieee_div_zero 0
		.amdhsa_exception_fp_ieee_overflow 0
		.amdhsa_exception_fp_ieee_underflow 0
		.amdhsa_exception_fp_ieee_inexact 0
		.amdhsa_exception_int_div_zero 0
	.end_amdhsa_kernel
	.section	.text._ZN2at6native32elementwise_kernel_manual_unrollILi128ELi8EZNS0_22gpu_kernel_impl_nocastINS0_13AUnaryFunctorIttbNS0_12_GLOBAL__N_116CompareEqFunctorItEEEEEEvRNS_18TensorIteratorBaseERKT_EUlibE_EEviT1_,"axG",@progbits,_ZN2at6native32elementwise_kernel_manual_unrollILi128ELi8EZNS0_22gpu_kernel_impl_nocastINS0_13AUnaryFunctorIttbNS0_12_GLOBAL__N_116CompareEqFunctorItEEEEEEvRNS_18TensorIteratorBaseERKT_EUlibE_EEviT1_,comdat
.Lfunc_end338:
	.size	_ZN2at6native32elementwise_kernel_manual_unrollILi128ELi8EZNS0_22gpu_kernel_impl_nocastINS0_13AUnaryFunctorIttbNS0_12_GLOBAL__N_116CompareEqFunctorItEEEEEEvRNS_18TensorIteratorBaseERKT_EUlibE_EEviT1_, .Lfunc_end338-_ZN2at6native32elementwise_kernel_manual_unrollILi128ELi8EZNS0_22gpu_kernel_impl_nocastINS0_13AUnaryFunctorIttbNS0_12_GLOBAL__N_116CompareEqFunctorItEEEEEEvRNS_18TensorIteratorBaseERKT_EUlibE_EEviT1_
                                        ; -- End function
	.set _ZN2at6native32elementwise_kernel_manual_unrollILi128ELi8EZNS0_22gpu_kernel_impl_nocastINS0_13AUnaryFunctorIttbNS0_12_GLOBAL__N_116CompareEqFunctorItEEEEEEvRNS_18TensorIteratorBaseERKT_EUlibE_EEviT1_.num_vgpr, 26
	.set _ZN2at6native32elementwise_kernel_manual_unrollILi128ELi8EZNS0_22gpu_kernel_impl_nocastINS0_13AUnaryFunctorIttbNS0_12_GLOBAL__N_116CompareEqFunctorItEEEEEEvRNS_18TensorIteratorBaseERKT_EUlibE_EEviT1_.num_agpr, 0
	.set _ZN2at6native32elementwise_kernel_manual_unrollILi128ELi8EZNS0_22gpu_kernel_impl_nocastINS0_13AUnaryFunctorIttbNS0_12_GLOBAL__N_116CompareEqFunctorItEEEEEEvRNS_18TensorIteratorBaseERKT_EUlibE_EEviT1_.numbered_sgpr, 63
	.set _ZN2at6native32elementwise_kernel_manual_unrollILi128ELi8EZNS0_22gpu_kernel_impl_nocastINS0_13AUnaryFunctorIttbNS0_12_GLOBAL__N_116CompareEqFunctorItEEEEEEvRNS_18TensorIteratorBaseERKT_EUlibE_EEviT1_.num_named_barrier, 0
	.set _ZN2at6native32elementwise_kernel_manual_unrollILi128ELi8EZNS0_22gpu_kernel_impl_nocastINS0_13AUnaryFunctorIttbNS0_12_GLOBAL__N_116CompareEqFunctorItEEEEEEvRNS_18TensorIteratorBaseERKT_EUlibE_EEviT1_.private_seg_size, 0
	.set _ZN2at6native32elementwise_kernel_manual_unrollILi128ELi8EZNS0_22gpu_kernel_impl_nocastINS0_13AUnaryFunctorIttbNS0_12_GLOBAL__N_116CompareEqFunctorItEEEEEEvRNS_18TensorIteratorBaseERKT_EUlibE_EEviT1_.uses_vcc, 1
	.set _ZN2at6native32elementwise_kernel_manual_unrollILi128ELi8EZNS0_22gpu_kernel_impl_nocastINS0_13AUnaryFunctorIttbNS0_12_GLOBAL__N_116CompareEqFunctorItEEEEEEvRNS_18TensorIteratorBaseERKT_EUlibE_EEviT1_.uses_flat_scratch, 0
	.set _ZN2at6native32elementwise_kernel_manual_unrollILi128ELi8EZNS0_22gpu_kernel_impl_nocastINS0_13AUnaryFunctorIttbNS0_12_GLOBAL__N_116CompareEqFunctorItEEEEEEvRNS_18TensorIteratorBaseERKT_EUlibE_EEviT1_.has_dyn_sized_stack, 0
	.set _ZN2at6native32elementwise_kernel_manual_unrollILi128ELi8EZNS0_22gpu_kernel_impl_nocastINS0_13AUnaryFunctorIttbNS0_12_GLOBAL__N_116CompareEqFunctorItEEEEEEvRNS_18TensorIteratorBaseERKT_EUlibE_EEviT1_.has_recursion, 0
	.set _ZN2at6native32elementwise_kernel_manual_unrollILi128ELi8EZNS0_22gpu_kernel_impl_nocastINS0_13AUnaryFunctorIttbNS0_12_GLOBAL__N_116CompareEqFunctorItEEEEEEvRNS_18TensorIteratorBaseERKT_EUlibE_EEviT1_.has_indirect_call, 0
	.section	.AMDGPU.csdata,"",@progbits
; Kernel info:
; codeLenInByte = 11424
; TotalNumSgprs: 67
; NumVgprs: 26
; ScratchSize: 0
; MemoryBound: 0
; FloatMode: 240
; IeeeMode: 1
; LDSByteSize: 0 bytes/workgroup (compile time only)
; SGPRBlocks: 8
; VGPRBlocks: 6
; NumSGPRsForWavesPerEU: 67
; NumVGPRsForWavesPerEU: 26
; Occupancy: 9
; WaveLimiterHint : 1
; COMPUTE_PGM_RSRC2:SCRATCH_EN: 0
; COMPUTE_PGM_RSRC2:USER_SGPR: 6
; COMPUTE_PGM_RSRC2:TRAP_HANDLER: 0
; COMPUTE_PGM_RSRC2:TGID_X_EN: 1
; COMPUTE_PGM_RSRC2:TGID_Y_EN: 0
; COMPUTE_PGM_RSRC2:TGID_Z_EN: 0
; COMPUTE_PGM_RSRC2:TIDIG_COMP_CNT: 0
	.section	.text._ZN2at6native32elementwise_kernel_manual_unrollILi128ELi4EZNS0_15gpu_kernel_implINS0_13AUnaryFunctorIttbNS0_12_GLOBAL__N_116CompareEqFunctorItEEEEEEvRNS_18TensorIteratorBaseERKT_EUlibE_EEviT1_,"axG",@progbits,_ZN2at6native32elementwise_kernel_manual_unrollILi128ELi4EZNS0_15gpu_kernel_implINS0_13AUnaryFunctorIttbNS0_12_GLOBAL__N_116CompareEqFunctorItEEEEEEvRNS_18TensorIteratorBaseERKT_EUlibE_EEviT1_,comdat
	.globl	_ZN2at6native32elementwise_kernel_manual_unrollILi128ELi4EZNS0_15gpu_kernel_implINS0_13AUnaryFunctorIttbNS0_12_GLOBAL__N_116CompareEqFunctorItEEEEEEvRNS_18TensorIteratorBaseERKT_EUlibE_EEviT1_ ; -- Begin function _ZN2at6native32elementwise_kernel_manual_unrollILi128ELi4EZNS0_15gpu_kernel_implINS0_13AUnaryFunctorIttbNS0_12_GLOBAL__N_116CompareEqFunctorItEEEEEEvRNS_18TensorIteratorBaseERKT_EUlibE_EEviT1_
	.p2align	8
	.type	_ZN2at6native32elementwise_kernel_manual_unrollILi128ELi4EZNS0_15gpu_kernel_implINS0_13AUnaryFunctorIttbNS0_12_GLOBAL__N_116CompareEqFunctorItEEEEEEvRNS_18TensorIteratorBaseERKT_EUlibE_EEviT1_,@function
_ZN2at6native32elementwise_kernel_manual_unrollILi128ELi4EZNS0_15gpu_kernel_implINS0_13AUnaryFunctorIttbNS0_12_GLOBAL__N_116CompareEqFunctorItEEEEEEvRNS_18TensorIteratorBaseERKT_EUlibE_EEviT1_: ; @_ZN2at6native32elementwise_kernel_manual_unrollILi128ELi4EZNS0_15gpu_kernel_implINS0_13AUnaryFunctorIttbNS0_12_GLOBAL__N_116CompareEqFunctorItEEEEEEvRNS_18TensorIteratorBaseERKT_EUlibE_EEviT1_
; %bb.0:
	s_load_dwordx2 s[2:3], s[4:5], 0x24
	s_load_dword s33, s[4:5], 0x0
	s_load_dwordx8 s[8:15], s[4:5], 0x8
	v_lshl_or_b32 v9, s6, 9, v0
	v_or_b32_e32 v0, 0x180, v9
	s_waitcnt lgkmcnt(0)
	s_bfe_u32 s15, s3, 0x80008
	v_cmp_le_i32_e32 vcc, s33, v0
	s_mov_b64 s[4:5], 0
	s_mov_b64 s[16:17], 0
	s_and_saveexec_b64 s[0:1], vcc
	s_xor_b64 s[6:7], exec, s[0:1]
	s_cbranch_execz .LBB339_1011
; %bb.1:
	s_cmp_eq_u32 s14, 0
	s_cselect_b64 s[16:17], -1, 0
	v_cmp_gt_i32_e32 vcc, s33, v9
	s_mov_b64 s[24:25], -1
	s_mov_b64 s[26:27], 0
	s_mov_b64 s[20:21], 0
	;; [unrolled: 1-line block ×3, first 2 shown]
	s_and_saveexec_b64 s[22:23], vcc
	s_cbranch_execz .LBB339_248
; %bb.2:
	v_mul_lo_u32 v0, v9, s13
	v_mov_b32_e32 v1, s11
	s_and_b32 s24, 0xffff, s15
	s_cmp_lt_i32 s24, 11
	v_ashrrev_i32_e32 v2, 31, v0
	v_add_co_u32_e32 v0, vcc, s10, v0
	v_addc_co_u32_e32 v1, vcc, v1, v2, vcc
	s_cbranch_scc1 .LBB339_9
; %bb.3:
	s_cmp_gt_i32 s24, 25
	s_cbranch_scc0 .LBB339_18
; %bb.4:
	s_cmp_gt_i32 s24, 28
	s_cbranch_scc0 .LBB339_22
	;; [unrolled: 3-line block ×4, first 2 shown]
; %bb.7:
	s_cmp_eq_u32 s24, 46
	s_cbranch_scc0 .LBB339_28
; %bb.8:
	global_load_dword v2, v[0:1], off
	s_mov_b64 s[0:1], -1
	s_waitcnt vmcnt(0)
	v_lshlrev_b32_e32 v2, 16, v2
	v_cvt_u32_f32_e32 v2, v2
	s_branch .LBB339_30
.LBB339_9:
                                        ; implicit-def: $vgpr2
	s_mov_b64 s[0:1], 0
	s_cbranch_execnz .LBB339_199
.LBB339_10:
	s_andn2_b64 vcc, exec, s[0:1]
	s_cbranch_vccnz .LBB339_246
.LBB339_11:
	v_mul_lo_u32 v0, v9, s12
	s_waitcnt vmcnt(0)
	v_cmp_ne_u16_e32 vcc, s2, v2
	v_mov_b32_e32 v1, s9
	s_xor_b64 s[18:19], s[16:17], vcc
	v_ashrrev_i32_e32 v2, 31, v0
	s_and_b32 s34, s3, 0xff
	v_add_co_u32_e32 v0, vcc, s8, v0
	s_cmp_lt_i32 s34, 11
	v_addc_co_u32_e32 v1, vcc, v1, v2, vcc
	s_cbranch_scc1 .LBB339_19
; %bb.12:
	s_and_b32 s35, 0xffff, s34
	s_cmp_gt_i32 s35, 25
	s_cbranch_scc0 .LBB339_23
; %bb.13:
	s_cmp_gt_i32 s35, 28
	s_cbranch_scc0 .LBB339_25
; %bb.14:
	;; [unrolled: 3-line block ×4, first 2 shown]
	s_mov_b64 s[28:29], 0
	s_mov_b64 s[0:1], -1
	s_cmp_eq_u32 s35, 46
	s_mov_b64 s[24:25], 0
	s_cbranch_scc0 .LBB339_34
; %bb.17:
	v_cndmask_b32_e64 v2, 0, 1.0, s[18:19]
	v_bfe_u32 v3, v2, 16, 1
	s_movk_i32 s0, 0x7fff
	v_add3_u32 v2, v2, v3, s0
	v_lshrrev_b32_e32 v2, 16, v2
	global_store_dword v[0:1], v2, off
	s_mov_b64 s[24:25], -1
	s_mov_b64 s[0:1], 0
	s_branch .LBB339_34
.LBB339_18:
	s_mov_b64 s[0:1], 0
                                        ; implicit-def: $vgpr2
	s_cbranch_execnz .LBB339_166
	s_branch .LBB339_198
.LBB339_19:
	s_mov_b64 s[0:1], 0
	s_mov_b64 s[24:25], 0
	s_cbranch_execnz .LBB339_103
.LBB339_20:
	s_andn2_b64 vcc, exec, s[24:25]
	s_cbranch_vccnz .LBB339_141
.LBB339_21:
	v_add_u32_e32 v9, 0x80, v9
	s_mov_b64 s[24:25], -1
	s_branch .LBB339_247
.LBB339_22:
	s_mov_b64 s[18:19], -1
	s_mov_b64 s[0:1], 0
                                        ; implicit-def: $vgpr2
	s_branch .LBB339_149
.LBB339_23:
	s_mov_b64 s[28:29], -1
	s_mov_b64 s[0:1], 0
	s_mov_b64 s[24:25], 0
	s_branch .LBB339_61
.LBB339_24:
	s_mov_b64 s[18:19], -1
	s_mov_b64 s[0:1], 0
                                        ; implicit-def: $vgpr2
	s_branch .LBB339_144
.LBB339_25:
	s_mov_b64 s[28:29], -1
	s_mov_b64 s[0:1], 0
	s_mov_b64 s[24:25], 0
	s_branch .LBB339_44
.LBB339_26:
	s_mov_b64 s[18:19], -1
	s_branch .LBB339_29
.LBB339_27:
	s_mov_b64 s[28:29], -1
	s_mov_b64 s[0:1], 0
	s_mov_b64 s[24:25], 0
	s_branch .LBB339_40
.LBB339_28:
	s_mov_b64 s[20:21], -1
.LBB339_29:
	s_mov_b64 s[0:1], 0
                                        ; implicit-def: $vgpr2
.LBB339_30:
	s_and_b64 vcc, exec, s[18:19]
	s_cbranch_vccz .LBB339_143
; %bb.31:
	s_cmp_eq_u32 s24, 44
	s_cbranch_scc0 .LBB339_142
; %bb.32:
	global_load_ubyte v2, v[0:1], off
	s_mov_b64 s[0:1], -1
	s_mov_b64 s[20:21], 0
	s_waitcnt vmcnt(0)
	v_lshlrev_b32_e32 v3, 23, v2
	v_cvt_u32_f32_e32 v3, v3
	v_cmp_ne_u32_e32 vcc, 0, v2
	v_cndmask_b32_e32 v2, 0, v3, vcc
	s_branch .LBB339_143
.LBB339_33:
	s_mov_b64 s[28:29], -1
	s_mov_b64 s[0:1], 0
	s_mov_b64 s[24:25], 0
.LBB339_34:
	s_and_b64 vcc, exec, s[28:29]
	s_cbranch_vccz .LBB339_39
; %bb.35:
	s_cmp_eq_u32 s35, 44
	s_mov_b64 s[0:1], -1
	s_cbranch_scc0 .LBB339_39
; %bb.36:
	v_cndmask_b32_e64 v3, 0, 1.0, s[18:19]
	v_lshrrev_b32_e32 v2, 23, v3
	s_movk_i32 s0, 0xff
	v_cmp_ne_u32_e32 vcc, s0, v2
	v_mov_b32_e32 v4, 0xff
	s_and_saveexec_b64 s[24:25], vcc
; %bb.37:
	s_mov_b32 s0, 0x3fffff
	v_and_b32_e32 v4, 0x400000, v3
	v_and_or_b32 v3, v3, s0, v2
	v_cmp_ne_u32_e32 vcc, 0, v4
	v_cmp_ne_u32_e64 s[0:1], 0, v3
	s_and_b64 s[0:1], vcc, s[0:1]
	v_cndmask_b32_e64 v3, 0, 1, s[0:1]
	v_add_u32_e32 v4, v2, v3
; %bb.38:
	s_or_b64 exec, exec, s[24:25]
	s_mov_b64 s[24:25], -1
	s_mov_b64 s[0:1], 0
	global_store_byte v[0:1], v4, off
.LBB339_39:
	s_mov_b64 s[28:29], 0
.LBB339_40:
	s_and_b64 vcc, exec, s[28:29]
	s_cbranch_vccz .LBB339_43
; %bb.41:
	s_cmp_eq_u32 s35, 29
	s_mov_b64 s[0:1], -1
	s_cbranch_scc0 .LBB339_43
; %bb.42:
	s_mov_b32 s0, 0
	v_cndmask_b32_e64 v2, 0, 1, s[18:19]
	v_mov_b32_e32 v3, s0
	global_store_dwordx2 v[0:1], v[2:3], off
	s_mov_b64 s[24:25], -1
	s_mov_b64 s[0:1], 0
.LBB339_43:
	s_mov_b64 s[28:29], 0
.LBB339_44:
	s_and_b64 vcc, exec, s[28:29]
	s_cbranch_vccz .LBB339_60
; %bb.45:
	s_cmp_lt_i32 s35, 27
	s_mov_b64 s[24:25], -1
	s_cbranch_scc1 .LBB339_51
; %bb.46:
	s_cmp_gt_i32 s35, 27
	s_cbranch_scc0 .LBB339_48
; %bb.47:
	v_cndmask_b32_e64 v2, 0, 1, s[18:19]
	s_mov_b64 s[24:25], 0
	global_store_dword v[0:1], v2, off
.LBB339_48:
	s_andn2_b64 vcc, exec, s[24:25]
	s_cbranch_vccnz .LBB339_50
; %bb.49:
	v_cndmask_b32_e64 v2, 0, 1, s[18:19]
	global_store_short v[0:1], v2, off
.LBB339_50:
	s_mov_b64 s[24:25], 0
.LBB339_51:
	s_andn2_b64 vcc, exec, s[24:25]
	s_cbranch_vccnz .LBB339_59
; %bb.52:
	v_cndmask_b32_e64 v3, 0, 1.0, s[18:19]
	s_mov_b32 s24, 0x43800000
	v_cmp_gt_u32_e32 vcc, s24, v3
	v_mov_b32_e32 v4, 0x80
	s_and_saveexec_b64 s[24:25], vcc
	s_cbranch_execz .LBB339_58
; %bb.53:
	s_mov_b32 s28, 0x3bffffff
	v_cmp_lt_u32_e32 vcc, s28, v3
	s_mov_b64 s[28:29], 0
                                        ; implicit-def: $vgpr2
	s_and_saveexec_b64 s[30:31], vcc
	s_xor_b64 s[30:31], exec, s[30:31]
	s_cbranch_execz .LBB339_275
; %bb.54:
	v_bfe_u32 v2, v3, 20, 1
	s_mov_b32 s36, 0x487ffff
	v_add3_u32 v2, v3, v2, s36
	s_mov_b64 s[28:29], exec
	v_lshrrev_b32_e32 v2, 20, v2
                                        ; implicit-def: $vgpr3
	s_andn2_saveexec_b64 s[30:31], s[30:31]
	s_cbranch_execnz .LBB339_276
.LBB339_55:
	s_or_b64 exec, exec, s[30:31]
	v_mov_b32_e32 v4, 0
	s_and_saveexec_b64 s[30:31], s[28:29]
.LBB339_56:
	v_mov_b32_e32 v4, v2
.LBB339_57:
	s_or_b64 exec, exec, s[30:31]
.LBB339_58:
	s_or_b64 exec, exec, s[24:25]
	global_store_byte v[0:1], v4, off
.LBB339_59:
	s_mov_b64 s[24:25], -1
.LBB339_60:
	s_mov_b64 s[28:29], 0
.LBB339_61:
	s_and_b64 vcc, exec, s[28:29]
	s_cbranch_vccz .LBB339_102
; %bb.62:
	s_cmp_gt_i32 s35, 22
	s_mov_b64 s[28:29], -1
	s_cbranch_scc0 .LBB339_94
; %bb.63:
	s_cmp_lt_i32 s35, 24
	s_mov_b64 s[24:25], -1
	s_cbranch_scc1 .LBB339_83
; %bb.64:
	s_cmp_gt_i32 s35, 24
	s_cbranch_scc0 .LBB339_72
; %bb.65:
	v_cndmask_b32_e64 v3, 0, 1.0, s[18:19]
	s_mov_b32 s24, 0x47800000
	v_cmp_gt_u32_e32 vcc, s24, v3
	v_mov_b32_e32 v4, 0x80
	s_and_saveexec_b64 s[24:25], vcc
	s_cbranch_execz .LBB339_71
; %bb.66:
	s_mov_b32 s28, 0x37ffffff
	v_cmp_lt_u32_e32 vcc, s28, v3
	s_mov_b64 s[28:29], 0
                                        ; implicit-def: $vgpr2
	s_and_saveexec_b64 s[30:31], vcc
	s_xor_b64 s[30:31], exec, s[30:31]
	s_cbranch_execz .LBB339_279
; %bb.67:
	v_bfe_u32 v2, v3, 21, 1
	s_mov_b32 s36, 0x88fffff
	v_add3_u32 v2, v3, v2, s36
	s_mov_b64 s[28:29], exec
	v_lshrrev_b32_e32 v2, 21, v2
                                        ; implicit-def: $vgpr3
	s_andn2_saveexec_b64 s[30:31], s[30:31]
	s_cbranch_execnz .LBB339_280
.LBB339_68:
	s_or_b64 exec, exec, s[30:31]
	v_mov_b32_e32 v4, 0
	s_and_saveexec_b64 s[30:31], s[28:29]
.LBB339_69:
	v_mov_b32_e32 v4, v2
.LBB339_70:
	s_or_b64 exec, exec, s[30:31]
.LBB339_71:
	s_or_b64 exec, exec, s[24:25]
	s_mov_b64 s[24:25], 0
	global_store_byte v[0:1], v4, off
.LBB339_72:
	s_and_b64 vcc, exec, s[24:25]
	s_cbranch_vccz .LBB339_82
; %bb.73:
	v_cndmask_b32_e64 v2, 0, 1.0, s[18:19]
	s_mov_b32 s24, 0x43f00000
	v_cmp_gt_u32_e32 vcc, s24, v2
                                        ; implicit-def: $vgpr3
	s_and_saveexec_b64 s[24:25], vcc
	s_xor_b64 s[24:25], exec, s[24:25]
	s_cbranch_execz .LBB339_79
; %bb.74:
	s_mov_b32 s28, 0x3c7fffff
	v_cmp_lt_u32_e32 vcc, s28, v2
                                        ; implicit-def: $vgpr3
	s_and_saveexec_b64 s[28:29], vcc
	s_xor_b64 s[28:29], exec, s[28:29]
; %bb.75:
	v_bfe_u32 v3, v2, 20, 1
	s_mov_b32 s30, 0x407ffff
	v_add3_u32 v2, v2, v3, s30
	v_lshrrev_b32_e32 v3, 20, v2
	v_and_b32_e32 v2, 0xff00000, v2
	s_mov_b32 s30, 0x7f00000
	v_mov_b32_e32 v4, 0x7e
	v_cmp_ne_u32_e32 vcc, s30, v2
	v_cndmask_b32_e32 v3, v4, v3, vcc
                                        ; implicit-def: $vgpr2
; %bb.76:
	s_andn2_saveexec_b64 s[28:29], s[28:29]
; %bb.77:
	v_add_f32_e32 v3, 0x46800000, v2
; %bb.78:
	s_or_b64 exec, exec, s[28:29]
                                        ; implicit-def: $vgpr2
.LBB339_79:
	s_andn2_saveexec_b64 s[24:25], s[24:25]
; %bb.80:
	s_mov_b32 s28, 0x7f800000
	v_mov_b32_e32 v3, 0x7e
	v_mov_b32_e32 v4, 0x7f
	v_cmp_lt_u32_e32 vcc, s28, v2
	v_cndmask_b32_e32 v3, v3, v4, vcc
; %bb.81:
	s_or_b64 exec, exec, s[24:25]
	global_store_byte v[0:1], v3, off
.LBB339_82:
	s_mov_b64 s[24:25], 0
.LBB339_83:
	s_andn2_b64 vcc, exec, s[24:25]
	s_cbranch_vccnz .LBB339_93
; %bb.84:
	v_cndmask_b32_e64 v2, 0, 1.0, s[18:19]
	s_mov_b32 s24, 0x47800000
	v_cmp_gt_u32_e32 vcc, s24, v2
                                        ; implicit-def: $vgpr3
	s_and_saveexec_b64 s[24:25], vcc
	s_xor_b64 s[24:25], exec, s[24:25]
	s_cbranch_execz .LBB339_90
; %bb.85:
	s_mov_b32 s28, 0x387fffff
	v_cmp_lt_u32_e32 vcc, s28, v2
                                        ; implicit-def: $vgpr3
	s_and_saveexec_b64 s[28:29], vcc
	s_xor_b64 s[28:29], exec, s[28:29]
; %bb.86:
	v_bfe_u32 v3, v2, 21, 1
	s_mov_b32 s30, 0x80fffff
	v_add3_u32 v2, v2, v3, s30
	v_lshrrev_b32_e32 v3, 21, v2
                                        ; implicit-def: $vgpr2
; %bb.87:
	s_andn2_saveexec_b64 s[28:29], s[28:29]
; %bb.88:
	v_add_f32_e32 v3, 0x43000000, v2
; %bb.89:
	s_or_b64 exec, exec, s[28:29]
                                        ; implicit-def: $vgpr2
.LBB339_90:
	s_andn2_saveexec_b64 s[24:25], s[24:25]
; %bb.91:
	s_mov_b32 s28, 0x7f800000
	v_mov_b32_e32 v3, 0x7c
	v_mov_b32_e32 v4, 0x7f
	v_cmp_lt_u32_e32 vcc, s28, v2
	v_cndmask_b32_e32 v3, v3, v4, vcc
; %bb.92:
	s_or_b64 exec, exec, s[24:25]
	global_store_byte v[0:1], v3, off
.LBB339_93:
	s_mov_b64 s[28:29], 0
	s_mov_b64 s[24:25], -1
.LBB339_94:
	s_andn2_b64 vcc, exec, s[28:29]
	s_cbranch_vccnz .LBB339_102
; %bb.95:
	s_cmp_gt_i32 s35, 14
	s_mov_b64 s[28:29], -1
	s_cbranch_scc0 .LBB339_99
; %bb.96:
	s_cmp_eq_u32 s35, 15
	s_mov_b64 s[0:1], -1
	s_cbranch_scc0 .LBB339_98
; %bb.97:
	v_cndmask_b32_e64 v2, 0, 1.0, s[18:19]
	v_bfe_u32 v3, v2, 16, 1
	s_movk_i32 s0, 0x7fff
	v_add3_u32 v2, v2, v3, s0
	global_store_short_d16_hi v[0:1], v2, off
	s_mov_b64 s[24:25], -1
	s_mov_b64 s[0:1], 0
.LBB339_98:
	s_mov_b64 s[28:29], 0
.LBB339_99:
	s_and_b64 vcc, exec, s[28:29]
	s_cbranch_vccz .LBB339_102
; %bb.100:
	s_cmp_eq_u32 s35, 11
	s_mov_b64 s[0:1], -1
	s_cbranch_scc0 .LBB339_102
; %bb.101:
	v_cndmask_b32_e64 v2, 0, 1, s[18:19]
	s_mov_b64 s[24:25], -1
	s_mov_b64 s[0:1], 0
	global_store_byte v[0:1], v2, off
.LBB339_102:
	s_branch .LBB339_20
.LBB339_103:
	s_and_b32 s28, 0xffff, s34
	s_cmp_lt_i32 s28, 5
	s_mov_b64 s[24:25], -1
	s_cbranch_scc1 .LBB339_124
; %bb.104:
	s_cmp_lt_i32 s28, 8
	s_cbranch_scc1 .LBB339_114
; %bb.105:
	s_cmp_lt_i32 s28, 9
	s_cbranch_scc1 .LBB339_111
; %bb.106:
	s_cmp_gt_i32 s28, 9
	s_cbranch_scc0 .LBB339_108
; %bb.107:
	v_cndmask_b32_e64 v2, 0, 1, s[18:19]
	v_cvt_f64_u32_e32 v[2:3], v2
	v_mov_b32_e32 v4, 0
	v_mov_b32_e32 v5, v4
	s_mov_b64 s[24:25], 0
	global_store_dwordx4 v[0:1], v[2:5], off
.LBB339_108:
	s_andn2_b64 vcc, exec, s[24:25]
	s_cbranch_vccnz .LBB339_110
; %bb.109:
	v_cndmask_b32_e64 v2, 0, 1.0, s[18:19]
	v_mov_b32_e32 v3, 0
	global_store_dwordx2 v[0:1], v[2:3], off
.LBB339_110:
	s_mov_b64 s[24:25], 0
.LBB339_111:
	s_andn2_b64 vcc, exec, s[24:25]
	s_cbranch_vccnz .LBB339_113
; %bb.112:
	v_cndmask_b32_e64 v2, 0, 1.0, s[18:19]
	v_cvt_f16_f32_e32 v2, v2
	global_store_dword v[0:1], v2, off
.LBB339_113:
	s_mov_b64 s[24:25], 0
.LBB339_114:
	s_andn2_b64 vcc, exec, s[24:25]
	s_cbranch_vccnz .LBB339_123
; %bb.115:
	s_cmp_lt_i32 s28, 6
	s_mov_b64 s[24:25], -1
	s_cbranch_scc1 .LBB339_121
; %bb.116:
	s_cmp_gt_i32 s28, 6
	s_cbranch_scc0 .LBB339_118
; %bb.117:
	v_cndmask_b32_e64 v2, 0, 1, s[18:19]
	v_cvt_f64_u32_e32 v[2:3], v2
	s_mov_b64 s[24:25], 0
	global_store_dwordx2 v[0:1], v[2:3], off
.LBB339_118:
	s_andn2_b64 vcc, exec, s[24:25]
	s_cbranch_vccnz .LBB339_120
; %bb.119:
	v_cndmask_b32_e64 v2, 0, 1.0, s[18:19]
	global_store_dword v[0:1], v2, off
.LBB339_120:
	s_mov_b64 s[24:25], 0
.LBB339_121:
	s_andn2_b64 vcc, exec, s[24:25]
	s_cbranch_vccnz .LBB339_123
; %bb.122:
	v_cndmask_b32_e64 v2, 0, 1.0, s[18:19]
	v_cvt_f16_f32_e32 v2, v2
	global_store_short v[0:1], v2, off
.LBB339_123:
	s_mov_b64 s[24:25], 0
.LBB339_124:
	s_andn2_b64 vcc, exec, s[24:25]
	s_cbranch_vccnz .LBB339_140
; %bb.125:
	s_cmp_lt_i32 s28, 2
	s_mov_b64 s[24:25], -1
	s_cbranch_scc1 .LBB339_135
; %bb.126:
	s_cmp_lt_i32 s28, 3
	s_cbranch_scc1 .LBB339_132
; %bb.127:
	s_cmp_gt_i32 s28, 3
	s_cbranch_scc0 .LBB339_129
; %bb.128:
	s_mov_b32 s24, 0
	v_cndmask_b32_e64 v2, 0, 1, s[18:19]
	v_mov_b32_e32 v3, s24
	global_store_dwordx2 v[0:1], v[2:3], off
	s_mov_b64 s[24:25], 0
.LBB339_129:
	s_andn2_b64 vcc, exec, s[24:25]
	s_cbranch_vccnz .LBB339_131
; %bb.130:
	v_cndmask_b32_e64 v2, 0, 1, s[18:19]
	global_store_dword v[0:1], v2, off
.LBB339_131:
	s_mov_b64 s[24:25], 0
.LBB339_132:
	s_andn2_b64 vcc, exec, s[24:25]
	s_cbranch_vccnz .LBB339_134
; %bb.133:
	v_cndmask_b32_e64 v2, 0, 1, s[18:19]
	global_store_short v[0:1], v2, off
.LBB339_134:
	s_mov_b64 s[24:25], 0
.LBB339_135:
	s_andn2_b64 vcc, exec, s[24:25]
	s_cbranch_vccnz .LBB339_140
; %bb.136:
	s_mov_b64 s[24:25], -1
	s_cmp_gt_i32 s28, 0
	v_cndmask_b32_e64 v2, 0, 1, s[18:19]
	s_cbranch_scc0 .LBB339_138
; %bb.137:
	global_store_byte v[0:1], v2, off
	s_mov_b64 s[24:25], 0
.LBB339_138:
	s_andn2_b64 vcc, exec, s[24:25]
	s_cbranch_vccnz .LBB339_140
; %bb.139:
	global_store_byte v[0:1], v2, off
.LBB339_140:
	s_branch .LBB339_21
.LBB339_141:
	s_mov_b64 s[24:25], 0
                                        ; implicit-def: $vgpr9
	s_branch .LBB339_247
.LBB339_142:
	s_mov_b64 s[20:21], -1
                                        ; implicit-def: $vgpr2
.LBB339_143:
	s_mov_b64 s[18:19], 0
.LBB339_144:
	s_and_b64 vcc, exec, s[18:19]
	s_cbranch_vccz .LBB339_148
; %bb.145:
	s_cmp_eq_u32 s24, 29
	s_cbranch_scc0 .LBB339_147
; %bb.146:
	global_load_dwordx2 v[2:3], v[0:1], off
	s_mov_b64 s[0:1], -1
	s_mov_b64 s[20:21], 0
	s_branch .LBB339_148
.LBB339_147:
	s_mov_b64 s[20:21], -1
                                        ; implicit-def: $vgpr2
.LBB339_148:
	s_mov_b64 s[18:19], 0
.LBB339_149:
	s_and_b64 vcc, exec, s[18:19]
	s_cbranch_vccz .LBB339_165
; %bb.150:
	s_cmp_lt_i32 s24, 27
	s_cbranch_scc1 .LBB339_153
; %bb.151:
	s_cmp_gt_i32 s24, 27
	s_cbranch_scc0 .LBB339_154
; %bb.152:
	global_load_dword v2, v[0:1], off
	s_mov_b64 s[0:1], 0
	s_branch .LBB339_155
.LBB339_153:
	s_mov_b64 s[0:1], -1
                                        ; implicit-def: $vgpr2
	s_branch .LBB339_158
.LBB339_154:
	s_mov_b64 s[0:1], -1
                                        ; implicit-def: $vgpr2
.LBB339_155:
	s_andn2_b64 vcc, exec, s[0:1]
	s_cbranch_vccnz .LBB339_157
; %bb.156:
	global_load_ushort v2, v[0:1], off
.LBB339_157:
	s_mov_b64 s[0:1], 0
.LBB339_158:
	s_andn2_b64 vcc, exec, s[0:1]
	s_cbranch_vccnz .LBB339_164
; %bb.159:
	global_load_ubyte v3, v[0:1], off
	s_movk_i32 s0, 0x7f
	s_mov_b64 s[18:19], 0
	s_waitcnt vmcnt(0)
	v_cmp_lt_i16_e32 vcc, s0, v3
	s_and_saveexec_b64 s[0:1], vcc
	s_xor_b64 s[0:1], exec, s[0:1]
	s_cbranch_execz .LBB339_175
; %bb.160:
	s_movk_i32 s18, 0x80
	v_cmp_ne_u16_e32 vcc, s18, v3
	s_and_b64 s[18:19], vcc, exec
	s_andn2_saveexec_b64 s[0:1], s[0:1]
	s_cbranch_execnz .LBB339_176
.LBB339_161:
	s_or_b64 exec, exec, s[0:1]
	v_mov_b32_e32 v2, 0
	s_and_saveexec_b64 s[0:1], s[18:19]
	s_cbranch_execz .LBB339_163
.LBB339_162:
	v_lshlrev_b32_e32 v2, 24, v3
	v_and_b32_e32 v3, 0xffff, v3
	v_and_b32_e32 v4, 7, v3
	v_ffbh_u32_e32 v6, v4
	v_min_u32_e32 v6, 32, v6
	v_subrev_u32_e32 v7, 28, v6
	v_bfe_u32 v5, v3, 3, 4
	v_lshlrev_b32_e32 v3, v7, v3
	v_sub_u32_e32 v6, 29, v6
	v_and_b32_e32 v3, 7, v3
	v_cmp_eq_u32_e32 vcc, 0, v5
	v_cndmask_b32_e32 v5, v5, v6, vcc
	v_cndmask_b32_e32 v3, v4, v3, vcc
	v_mov_b32_e32 v4, 0x3b800000
	v_lshlrev_b32_e32 v3, 20, v3
	v_and_b32_e32 v2, 0x80000000, v2
	v_lshl_add_u32 v4, v5, 23, v4
	v_or3_b32 v2, v2, v4, v3
	v_cvt_u32_f32_e32 v2, v2
.LBB339_163:
	s_or_b64 exec, exec, s[0:1]
.LBB339_164:
	s_mov_b64 s[0:1], -1
.LBB339_165:
	s_branch .LBB339_198
.LBB339_166:
	s_cmp_gt_i32 s24, 22
	s_cbranch_scc0 .LBB339_174
; %bb.167:
	s_cmp_lt_i32 s24, 24
	s_cbranch_scc1 .LBB339_177
; %bb.168:
	s_cmp_gt_i32 s24, 24
	s_cbranch_scc0 .LBB339_178
; %bb.169:
	global_load_ubyte v3, v[0:1], off
	s_movk_i32 s0, 0x7f
	s_mov_b64 s[18:19], 0
	s_waitcnt vmcnt(0)
	v_cmp_lt_i16_e32 vcc, s0, v3
	s_and_saveexec_b64 s[0:1], vcc
	s_xor_b64 s[0:1], exec, s[0:1]
	s_cbranch_execz .LBB339_190
; %bb.170:
	s_movk_i32 s18, 0x80
	v_cmp_ne_u16_e32 vcc, s18, v3
	s_and_b64 s[18:19], vcc, exec
	s_andn2_saveexec_b64 s[0:1], s[0:1]
	s_cbranch_execnz .LBB339_191
.LBB339_171:
	s_or_b64 exec, exec, s[0:1]
	v_mov_b32_e32 v2, 0
	s_and_saveexec_b64 s[0:1], s[18:19]
	s_cbranch_execz .LBB339_173
.LBB339_172:
	v_lshlrev_b32_e32 v2, 24, v3
	v_and_b32_e32 v3, 0xffff, v3
	v_and_b32_e32 v4, 3, v3
	v_ffbh_u32_e32 v6, v4
	v_min_u32_e32 v6, 32, v6
	v_subrev_u32_e32 v7, 29, v6
	v_bfe_u32 v5, v3, 2, 5
	v_lshlrev_b32_e32 v3, v7, v3
	v_sub_u32_e32 v6, 30, v6
	v_and_b32_e32 v3, 3, v3
	v_cmp_eq_u32_e32 vcc, 0, v5
	v_cndmask_b32_e32 v5, v5, v6, vcc
	v_cndmask_b32_e32 v3, v4, v3, vcc
	v_mov_b32_e32 v4, 0x37800000
	v_lshlrev_b32_e32 v3, 21, v3
	v_and_b32_e32 v2, 0x80000000, v2
	v_lshl_add_u32 v4, v5, 23, v4
	v_or3_b32 v2, v2, v4, v3
	v_cvt_u32_f32_e32 v2, v2
.LBB339_173:
	s_or_b64 exec, exec, s[0:1]
	s_mov_b64 s[0:1], 0
	s_branch .LBB339_179
.LBB339_174:
	s_mov_b64 s[18:19], -1
                                        ; implicit-def: $vgpr2
	s_branch .LBB339_185
.LBB339_175:
	s_andn2_saveexec_b64 s[0:1], s[0:1]
	s_cbranch_execz .LBB339_161
.LBB339_176:
	v_cmp_ne_u16_e32 vcc, 0, v3
	s_andn2_b64 s[18:19], s[18:19], exec
	s_and_b64 s[28:29], vcc, exec
	s_or_b64 s[18:19], s[18:19], s[28:29]
	s_or_b64 exec, exec, s[0:1]
	v_mov_b32_e32 v2, 0
	s_and_saveexec_b64 s[0:1], s[18:19]
	s_cbranch_execnz .LBB339_162
	s_branch .LBB339_163
.LBB339_177:
	s_mov_b64 s[0:1], -1
                                        ; implicit-def: $vgpr2
	s_branch .LBB339_182
.LBB339_178:
	s_mov_b64 s[0:1], -1
                                        ; implicit-def: $vgpr2
.LBB339_179:
	s_and_b64 vcc, exec, s[0:1]
	s_cbranch_vccz .LBB339_181
; %bb.180:
	global_load_ubyte v2, v[0:1], off
	s_mov_b32 s0, 0x7f800000
	s_waitcnt vmcnt(0)
	v_lshlrev_b32_e32 v2, 24, v2
	v_and_b32_e32 v3, 0x7f000000, v2
	v_ffbh_u32_e32 v4, v3
	v_min_u32_e32 v4, 32, v4
	v_sub_u32_e64 v4, v4, 4 clamp
	v_lshlrev_b32_e32 v6, v4, v3
	v_lshlrev_b32_e32 v4, 23, v4
	v_lshrrev_b32_e32 v6, 4, v6
	v_add_u32_e32 v5, 0x1000000, v3
	v_sub_u32_e32 v4, v6, v4
	v_ashrrev_i32_e32 v5, 8, v5
	v_add_u32_e32 v4, 0x3c000000, v4
	v_and_or_b32 v4, v5, s0, v4
	v_cmp_ne_u32_e32 vcc, 0, v3
	v_cndmask_b32_e32 v3, 0, v4, vcc
	s_brev_b32 s0, 1
	v_and_or_b32 v2, v2, s0, v3
	v_cvt_u32_f32_e32 v2, v2
.LBB339_181:
	s_mov_b64 s[0:1], 0
.LBB339_182:
	s_andn2_b64 vcc, exec, s[0:1]
	s_cbranch_vccnz .LBB339_184
; %bb.183:
	global_load_ubyte v2, v[0:1], off
	s_movk_i32 s0, 0x7f00
	s_brev_b32 s1, 16
	s_waitcnt vmcnt(0)
	v_lshlrev_b16_e32 v3, 8, v2
	v_lshlrev_b32_e32 v2, 25, v2
	v_lshrrev_b32_e32 v4, 4, v2
	v_and_or_b32 v5, v3, s0, 0.5
	v_or_b32_e32 v4, 0x70000000, v4
	v_add_f32_e32 v5, -0.5, v5
	v_mul_f32_e32 v4, 0x7800000, v4
	v_cmp_gt_u32_e32 vcc, s1, v2
	v_bfe_i32 v3, v3, 0, 16
	v_cndmask_b32_e32 v2, v4, v5, vcc
	s_brev_b32 s0, 1
	v_and_or_b32 v2, v3, s0, v2
	v_cvt_u32_f32_e32 v2, v2
.LBB339_184:
	s_mov_b64 s[18:19], 0
	s_mov_b64 s[0:1], -1
.LBB339_185:
	s_andn2_b64 vcc, exec, s[18:19]
	s_cbranch_vccnz .LBB339_198
; %bb.186:
	s_cmp_gt_i32 s24, 14
	s_cbranch_scc0 .LBB339_189
; %bb.187:
	s_cmp_eq_u32 s24, 15
	s_cbranch_scc0 .LBB339_192
; %bb.188:
	global_load_ushort v2, v[0:1], off
	s_mov_b64 s[0:1], -1
	s_mov_b64 s[20:21], 0
	s_waitcnt vmcnt(0)
	v_lshlrev_b32_e32 v2, 16, v2
	v_cvt_u32_f32_e32 v2, v2
	s_branch .LBB339_193
.LBB339_189:
	s_mov_b64 s[18:19], -1
                                        ; implicit-def: $vgpr2
	s_branch .LBB339_194
.LBB339_190:
	s_andn2_saveexec_b64 s[0:1], s[0:1]
	s_cbranch_execz .LBB339_171
.LBB339_191:
	v_cmp_ne_u16_e32 vcc, 0, v3
	s_andn2_b64 s[18:19], s[18:19], exec
	s_and_b64 s[28:29], vcc, exec
	s_or_b64 s[18:19], s[18:19], s[28:29]
	s_or_b64 exec, exec, s[0:1]
	v_mov_b32_e32 v2, 0
	s_and_saveexec_b64 s[0:1], s[18:19]
	s_cbranch_execnz .LBB339_172
	s_branch .LBB339_173
.LBB339_192:
	s_mov_b64 s[20:21], -1
                                        ; implicit-def: $vgpr2
.LBB339_193:
	s_mov_b64 s[18:19], 0
.LBB339_194:
	s_and_b64 vcc, exec, s[18:19]
	s_cbranch_vccz .LBB339_198
; %bb.195:
	s_cmp_eq_u32 s24, 11
	s_cbranch_scc0 .LBB339_197
; %bb.196:
	global_load_ubyte v2, v[0:1], off
	s_mov_b64 s[0:1], -1
	s_mov_b64 s[20:21], 0
	s_waitcnt vmcnt(0)
	v_cmp_ne_u16_e32 vcc, 0, v2
	v_cndmask_b32_e64 v2, 0, 1, vcc
	s_branch .LBB339_198
.LBB339_197:
	s_mov_b64 s[20:21], -1
                                        ; implicit-def: $vgpr2
.LBB339_198:
	s_branch .LBB339_10
.LBB339_199:
	s_cmp_lt_i32 s24, 5
	s_cbranch_scc1 .LBB339_204
; %bb.200:
	s_cmp_lt_i32 s24, 8
	s_cbranch_scc1 .LBB339_205
; %bb.201:
	s_cmp_lt_i32 s24, 9
	s_cbranch_scc1 .LBB339_206
; %bb.202:
	s_cmp_gt_i32 s24, 9
	s_cbranch_scc0 .LBB339_207
; %bb.203:
	global_load_dwordx2 v[2:3], v[0:1], off
	s_mov_b64 s[0:1], 0
	s_waitcnt vmcnt(0)
	v_cvt_u32_f64_e32 v2, v[2:3]
	s_branch .LBB339_208
.LBB339_204:
                                        ; implicit-def: $vgpr2
	s_branch .LBB339_226
.LBB339_205:
	s_mov_b64 s[0:1], -1
                                        ; implicit-def: $vgpr2
	s_branch .LBB339_214
.LBB339_206:
	s_mov_b64 s[0:1], -1
                                        ; implicit-def: $vgpr2
	s_branch .LBB339_211
.LBB339_207:
	s_mov_b64 s[0:1], -1
                                        ; implicit-def: $vgpr2
.LBB339_208:
	s_andn2_b64 vcc, exec, s[0:1]
	s_cbranch_vccnz .LBB339_210
; %bb.209:
	global_load_dword v2, v[0:1], off
	s_waitcnt vmcnt(0)
	v_cvt_u32_f32_e32 v2, v2
.LBB339_210:
	s_mov_b64 s[0:1], 0
.LBB339_211:
	s_andn2_b64 vcc, exec, s[0:1]
	s_cbranch_vccnz .LBB339_213
; %bb.212:
	global_load_dword v2, v[0:1], off
	s_waitcnt vmcnt(0)
	v_cvt_u16_f16_e32 v2, v2
.LBB339_213:
	s_mov_b64 s[0:1], 0
.LBB339_214:
	s_andn2_b64 vcc, exec, s[0:1]
	s_cbranch_vccnz .LBB339_225
; %bb.215:
	s_cmp_lt_i32 s24, 6
	s_cbranch_scc1 .LBB339_218
; %bb.216:
	s_cmp_gt_i32 s24, 6
	s_cbranch_scc0 .LBB339_219
; %bb.217:
	global_load_dwordx2 v[2:3], v[0:1], off
	s_mov_b64 s[0:1], 0
	s_waitcnt vmcnt(0)
	v_cvt_u32_f64_e32 v2, v[2:3]
	s_branch .LBB339_220
.LBB339_218:
	s_mov_b64 s[0:1], -1
                                        ; implicit-def: $vgpr2
	s_branch .LBB339_223
.LBB339_219:
	s_mov_b64 s[0:1], -1
                                        ; implicit-def: $vgpr2
.LBB339_220:
	s_andn2_b64 vcc, exec, s[0:1]
	s_cbranch_vccnz .LBB339_222
; %bb.221:
	global_load_dword v2, v[0:1], off
	s_waitcnt vmcnt(0)
	v_cvt_u32_f32_e32 v2, v2
.LBB339_222:
	s_mov_b64 s[0:1], 0
.LBB339_223:
	s_andn2_b64 vcc, exec, s[0:1]
	s_cbranch_vccnz .LBB339_225
; %bb.224:
	global_load_ushort v2, v[0:1], off
	s_waitcnt vmcnt(0)
	v_cvt_u16_f16_e32 v2, v2
.LBB339_225:
	s_cbranch_execnz .LBB339_245
.LBB339_226:
	s_cmp_lt_i32 s24, 2
	s_cbranch_scc1 .LBB339_230
; %bb.227:
	s_cmp_lt_i32 s24, 3
	s_cbranch_scc1 .LBB339_231
; %bb.228:
	s_cmp_gt_i32 s24, 3
	s_cbranch_scc0 .LBB339_232
; %bb.229:
	global_load_dwordx2 v[2:3], v[0:1], off
	s_mov_b64 s[0:1], 0
	s_branch .LBB339_233
.LBB339_230:
	s_mov_b64 s[0:1], -1
                                        ; implicit-def: $vgpr2
	s_branch .LBB339_239
.LBB339_231:
	s_mov_b64 s[0:1], -1
                                        ; implicit-def: $vgpr2
	s_branch .LBB339_236
.LBB339_232:
	s_mov_b64 s[0:1], -1
                                        ; implicit-def: $vgpr2
.LBB339_233:
	s_andn2_b64 vcc, exec, s[0:1]
	s_cbranch_vccnz .LBB339_235
; %bb.234:
	global_load_dword v2, v[0:1], off
.LBB339_235:
	s_mov_b64 s[0:1], 0
.LBB339_236:
	s_andn2_b64 vcc, exec, s[0:1]
	s_cbranch_vccnz .LBB339_238
; %bb.237:
	global_load_ushort v2, v[0:1], off
.LBB339_238:
	s_mov_b64 s[0:1], 0
.LBB339_239:
	s_andn2_b64 vcc, exec, s[0:1]
	s_cbranch_vccnz .LBB339_245
; %bb.240:
	s_cmp_gt_i32 s24, 0
	s_cbranch_scc0 .LBB339_242
; %bb.241:
	global_load_sbyte v2, v[0:1], off
	s_mov_b64 s[0:1], 0
	s_branch .LBB339_243
.LBB339_242:
	s_mov_b64 s[0:1], -1
                                        ; implicit-def: $vgpr2
.LBB339_243:
	s_andn2_b64 vcc, exec, s[0:1]
	s_cbranch_vccnz .LBB339_245
; %bb.244:
	global_load_ubyte v2, v[0:1], off
.LBB339_245:
	s_branch .LBB339_11
.LBB339_246:
	s_mov_b64 s[0:1], 0
                                        ; implicit-def: $vgpr9
	s_mov_b64 s[24:25], 0
.LBB339_247:
	s_and_b64 s[18:19], s[0:1], exec
	s_and_b64 s[20:21], s[20:21], exec
	s_orn2_b64 s[24:25], s[24:25], exec
.LBB339_248:
	s_or_b64 exec, exec, s[22:23]
	s_mov_b64 s[28:29], 0
	s_mov_b64 s[0:1], 0
                                        ; implicit-def: $vgpr0_vgpr1
                                        ; implicit-def: $vgpr2
	s_and_saveexec_b64 s[22:23], s[24:25]
	s_cbranch_execz .LBB339_257
; %bb.249:
	v_cmp_gt_i32_e32 vcc, s33, v9
	s_mov_b64 s[0:1], -1
	s_mov_b64 s[24:25], s[20:21]
	s_mov_b64 s[26:27], s[18:19]
	s_and_saveexec_b64 s[28:29], vcc
	s_cbranch_execz .LBB339_505
; %bb.250:
	v_mul_lo_u32 v0, v9, s13
	v_mov_b32_e32 v1, s11
	s_and_b32 s30, 0xffff, s15
	s_cmp_lt_i32 s30, 11
	s_waitcnt vmcnt(0)
	v_ashrrev_i32_e32 v2, 31, v0
	v_add_co_u32_e32 v0, vcc, s10, v0
	v_addc_co_u32_e32 v1, vcc, v1, v2, vcc
	s_cbranch_scc1 .LBB339_260
; %bb.251:
	s_cmp_gt_i32 s30, 25
	s_cbranch_scc0 .LBB339_269
; %bb.252:
	s_cmp_gt_i32 s30, 28
	s_cbranch_scc0 .LBB339_271
	;; [unrolled: 3-line block ×4, first 2 shown]
; %bb.255:
	s_cmp_eq_u32 s30, 46
	s_mov_b64 s[26:27], 0
	s_cbranch_scc0 .LBB339_281
; %bb.256:
	global_load_dword v2, v[0:1], off
	s_mov_b64 s[24:25], 0
	s_waitcnt vmcnt(0)
	v_lshlrev_b32_e32 v2, 16, v2
	v_cvt_u32_f32_e32 v2, v2
	s_branch .LBB339_282
.LBB339_257:
	s_or_b64 exec, exec, s[22:23]
	s_mov_b64 s[22:23], 0
	s_and_saveexec_b64 s[24:25], s[20:21]
	s_cbranch_execnz .LBB339_843
.LBB339_258:
	s_or_b64 exec, exec, s[24:25]
	s_and_saveexec_b64 s[20:21], s[26:27]
	s_xor_b64 s[20:21], exec, s[20:21]
	s_cbranch_execz .LBB339_844
.LBB339_259:
	global_load_ubyte v2, v[0:1], off
	s_or_b64 s[0:1], s[0:1], exec
	s_waitcnt vmcnt(0)
	v_cmp_ne_u16_e32 vcc, 0, v2
	v_cndmask_b32_e64 v2, 0, 1, vcc
	s_or_b64 exec, exec, s[20:21]
	s_and_saveexec_b64 s[20:21], s[28:29]
	s_cbranch_execz .LBB339_890
	s_branch .LBB339_845
.LBB339_260:
	s_mov_b64 s[0:1], 0
                                        ; implicit-def: $vgpr2
	s_mov_b64 s[24:25], s[20:21]
	s_cbranch_execnz .LBB339_455
.LBB339_261:
	s_andn2_b64 vcc, exec, s[0:1]
	s_cbranch_vccnz .LBB339_503
.LBB339_262:
	v_mul_lo_u32 v0, v9, s12
	s_waitcnt vmcnt(0)
	v_cmp_ne_u16_e32 vcc, s2, v2
	v_mov_b32_e32 v1, s9
	s_xor_b64 s[26:27], s[16:17], vcc
	v_ashrrev_i32_e32 v2, 31, v0
	s_and_b32 s38, s3, 0xff
	v_add_co_u32_e32 v0, vcc, s8, v0
	s_cmp_lt_i32 s38, 11
	v_addc_co_u32_e32 v1, vcc, v1, v2, vcc
	s_cbranch_scc1 .LBB339_270
; %bb.263:
	s_and_b32 s39, 0xffff, s38
	s_cmp_gt_i32 s39, 25
	s_cbranch_scc0 .LBB339_272
; %bb.264:
	s_cmp_gt_i32 s39, 28
	s_cbranch_scc0 .LBB339_274
; %bb.265:
	;; [unrolled: 3-line block ×4, first 2 shown]
	s_mov_b64 s[34:35], 0
	s_mov_b64 s[0:1], -1
	s_cmp_eq_u32 s39, 46
	s_mov_b64 s[30:31], 0
	s_cbranch_scc0 .LBB339_286
; %bb.268:
	v_cndmask_b32_e64 v2, 0, 1.0, s[26:27]
	v_bfe_u32 v3, v2, 16, 1
	s_movk_i32 s0, 0x7fff
	v_add3_u32 v2, v2, v3, s0
	v_lshrrev_b32_e32 v2, 16, v2
	global_store_dword v[0:1], v2, off
	s_mov_b64 s[30:31], -1
	s_mov_b64 s[0:1], 0
	s_branch .LBB339_286
.LBB339_269:
	s_mov_b64 s[26:27], -1
	s_mov_b64 s[0:1], 0
	s_mov_b64 s[24:25], s[20:21]
                                        ; implicit-def: $vgpr2
	s_branch .LBB339_421
.LBB339_270:
	s_mov_b64 s[34:35], -1
	s_mov_b64 s[30:31], 0
	s_mov_b64 s[0:1], s[18:19]
	s_branch .LBB339_355
.LBB339_271:
	s_mov_b64 s[26:27], -1
	s_mov_b64 s[0:1], 0
	s_mov_b64 s[24:25], s[20:21]
                                        ; implicit-def: $vgpr2
	s_branch .LBB339_404
.LBB339_272:
	s_mov_b64 s[34:35], -1
	s_mov_b64 s[30:31], 0
	s_mov_b64 s[0:1], s[18:19]
	s_branch .LBB339_313
.LBB339_273:
	s_mov_b64 s[26:27], -1
	s_mov_b64 s[0:1], 0
	s_mov_b64 s[24:25], s[20:21]
                                        ; implicit-def: $vgpr2
	s_branch .LBB339_399
.LBB339_274:
	s_mov_b64 s[34:35], -1
	s_mov_b64 s[30:31], 0
	s_mov_b64 s[0:1], s[18:19]
	s_branch .LBB339_296
.LBB339_275:
	s_andn2_saveexec_b64 s[30:31], s[30:31]
	s_cbranch_execz .LBB339_55
.LBB339_276:
	v_add_f32_e32 v2, 0x46000000, v3
	v_and_b32_e32 v2, 0xff, v2
	v_cmp_ne_u32_e32 vcc, 0, v2
	s_andn2_b64 s[28:29], s[28:29], exec
	s_and_b64 s[36:37], vcc, exec
	s_or_b64 s[28:29], s[28:29], s[36:37]
	s_or_b64 exec, exec, s[30:31]
	v_mov_b32_e32 v4, 0
	s_and_saveexec_b64 s[30:31], s[28:29]
	s_cbranch_execnz .LBB339_56
	s_branch .LBB339_57
.LBB339_277:
	s_mov_b64 s[26:27], -1
	s_mov_b64 s[0:1], 0
	s_mov_b64 s[24:25], s[20:21]
                                        ; implicit-def: $vgpr2
	s_branch .LBB339_282
.LBB339_278:
	s_mov_b64 s[34:35], -1
	s_mov_b64 s[30:31], 0
	s_mov_b64 s[0:1], s[18:19]
	s_branch .LBB339_292
.LBB339_279:
	s_andn2_saveexec_b64 s[30:31], s[30:31]
	s_cbranch_execz .LBB339_68
.LBB339_280:
	v_add_f32_e32 v2, 0x42800000, v3
	v_and_b32_e32 v2, 0xff, v2
	v_cmp_ne_u32_e32 vcc, 0, v2
	s_andn2_b64 s[28:29], s[28:29], exec
	s_and_b64 s[36:37], vcc, exec
	s_or_b64 s[28:29], s[28:29], s[36:37]
	s_or_b64 exec, exec, s[30:31]
	v_mov_b32_e32 v4, 0
	s_and_saveexec_b64 s[30:31], s[28:29]
	s_cbranch_execnz .LBB339_69
	s_branch .LBB339_70
.LBB339_281:
	s_mov_b64 s[24:25], -1
                                        ; implicit-def: $vgpr2
	s_mov_b64 s[0:1], 0
.LBB339_282:
	s_and_b64 vcc, exec, s[26:27]
	s_cbranch_vccz .LBB339_398
; %bb.283:
	s_cmp_eq_u32 s30, 44
	s_cbranch_scc0 .LBB339_397
; %bb.284:
	global_load_ubyte v2, v[0:1], off
	s_mov_b64 s[0:1], -1
	s_mov_b64 s[24:25], 0
	s_waitcnt vmcnt(0)
	v_lshlrev_b32_e32 v3, 23, v2
	v_cvt_u32_f32_e32 v3, v3
	v_cmp_ne_u32_e32 vcc, 0, v2
	v_cndmask_b32_e32 v2, 0, v3, vcc
	s_branch .LBB339_398
.LBB339_285:
	s_mov_b64 s[34:35], -1
	s_mov_b64 s[30:31], 0
	s_mov_b64 s[0:1], s[18:19]
.LBB339_286:
	s_and_b64 vcc, exec, s[34:35]
	s_cbranch_vccz .LBB339_291
; %bb.287:
	s_cmp_eq_u32 s39, 44
	s_mov_b64 s[0:1], -1
	s_cbranch_scc0 .LBB339_291
; %bb.288:
	v_cndmask_b32_e64 v3, 0, 1.0, s[26:27]
	v_lshrrev_b32_e32 v2, 23, v3
	s_movk_i32 s0, 0xff
	v_cmp_ne_u32_e32 vcc, s0, v2
	v_mov_b32_e32 v4, 0xff
	s_and_saveexec_b64 s[30:31], vcc
; %bb.289:
	s_mov_b32 s0, 0x3fffff
	v_and_b32_e32 v4, 0x400000, v3
	v_and_or_b32 v3, v3, s0, v2
	v_cmp_ne_u32_e32 vcc, 0, v4
	v_cmp_ne_u32_e64 s[0:1], 0, v3
	s_and_b64 s[0:1], vcc, s[0:1]
	v_cndmask_b32_e64 v3, 0, 1, s[0:1]
	v_add_u32_e32 v4, v2, v3
; %bb.290:
	s_or_b64 exec, exec, s[30:31]
	s_mov_b64 s[30:31], -1
	s_mov_b64 s[0:1], 0
	global_store_byte v[0:1], v4, off
.LBB339_291:
	s_mov_b64 s[34:35], 0
.LBB339_292:
	s_and_b64 vcc, exec, s[34:35]
	s_cbranch_vccz .LBB339_295
; %bb.293:
	s_cmp_eq_u32 s39, 29
	s_mov_b64 s[0:1], -1
	s_cbranch_scc0 .LBB339_295
; %bb.294:
	s_mov_b32 s0, 0
	v_cndmask_b32_e64 v2, 0, 1, s[26:27]
	v_mov_b32_e32 v3, s0
	global_store_dwordx2 v[0:1], v[2:3], off
	s_mov_b64 s[30:31], -1
	s_mov_b64 s[0:1], 0
.LBB339_295:
	s_mov_b64 s[34:35], 0
.LBB339_296:
	s_and_b64 vcc, exec, s[34:35]
	s_cbranch_vccz .LBB339_312
; %bb.297:
	s_cmp_lt_i32 s39, 27
	s_mov_b64 s[30:31], -1
	s_cbranch_scc1 .LBB339_303
; %bb.298:
	s_cmp_gt_i32 s39, 27
	s_cbranch_scc0 .LBB339_300
; %bb.299:
	v_cndmask_b32_e64 v2, 0, 1, s[26:27]
	s_mov_b64 s[30:31], 0
	global_store_dword v[0:1], v2, off
.LBB339_300:
	s_andn2_b64 vcc, exec, s[30:31]
	s_cbranch_vccnz .LBB339_302
; %bb.301:
	v_cndmask_b32_e64 v2, 0, 1, s[26:27]
	global_store_short v[0:1], v2, off
.LBB339_302:
	s_mov_b64 s[30:31], 0
.LBB339_303:
	s_andn2_b64 vcc, exec, s[30:31]
	s_cbranch_vccnz .LBB339_311
; %bb.304:
	v_cndmask_b32_e64 v3, 0, 1.0, s[26:27]
	s_mov_b32 s30, 0x43800000
	v_cmp_gt_u32_e32 vcc, s30, v3
	v_mov_b32_e32 v4, 0x80
	s_and_saveexec_b64 s[30:31], vcc
	s_cbranch_execz .LBB339_310
; %bb.305:
	s_mov_b32 s34, 0x3bffffff
	v_cmp_lt_u32_e32 vcc, s34, v3
	s_mov_b64 s[34:35], 0
                                        ; implicit-def: $vgpr2
	s_and_saveexec_b64 s[36:37], vcc
	s_xor_b64 s[36:37], exec, s[36:37]
	s_cbranch_execz .LBB339_518
; %bb.306:
	v_bfe_u32 v2, v3, 20, 1
	s_mov_b32 s40, 0x487ffff
	v_add3_u32 v2, v3, v2, s40
	s_mov_b64 s[34:35], exec
	v_lshrrev_b32_e32 v2, 20, v2
                                        ; implicit-def: $vgpr3
	s_andn2_saveexec_b64 s[36:37], s[36:37]
	s_cbranch_execnz .LBB339_519
.LBB339_307:
	s_or_b64 exec, exec, s[36:37]
	v_mov_b32_e32 v4, 0
	s_and_saveexec_b64 s[36:37], s[34:35]
.LBB339_308:
	v_mov_b32_e32 v4, v2
.LBB339_309:
	s_or_b64 exec, exec, s[36:37]
.LBB339_310:
	s_or_b64 exec, exec, s[30:31]
	global_store_byte v[0:1], v4, off
.LBB339_311:
	s_mov_b64 s[30:31], -1
.LBB339_312:
	s_mov_b64 s[34:35], 0
.LBB339_313:
	s_and_b64 vcc, exec, s[34:35]
	s_cbranch_vccz .LBB339_354
; %bb.314:
	s_cmp_gt_i32 s39, 22
	s_mov_b64 s[34:35], -1
	s_cbranch_scc0 .LBB339_346
; %bb.315:
	s_cmp_lt_i32 s39, 24
	s_mov_b64 s[30:31], -1
	s_cbranch_scc1 .LBB339_335
; %bb.316:
	s_cmp_gt_i32 s39, 24
	s_cbranch_scc0 .LBB339_324
; %bb.317:
	v_cndmask_b32_e64 v3, 0, 1.0, s[26:27]
	s_mov_b32 s30, 0x47800000
	v_cmp_gt_u32_e32 vcc, s30, v3
	v_mov_b32_e32 v4, 0x80
	s_and_saveexec_b64 s[30:31], vcc
	s_cbranch_execz .LBB339_323
; %bb.318:
	s_mov_b32 s34, 0x37ffffff
	v_cmp_lt_u32_e32 vcc, s34, v3
	s_mov_b64 s[34:35], 0
                                        ; implicit-def: $vgpr2
	s_and_saveexec_b64 s[36:37], vcc
	s_xor_b64 s[36:37], exec, s[36:37]
	s_cbranch_execz .LBB339_521
; %bb.319:
	v_bfe_u32 v2, v3, 21, 1
	s_mov_b32 s40, 0x88fffff
	v_add3_u32 v2, v3, v2, s40
	s_mov_b64 s[34:35], exec
	v_lshrrev_b32_e32 v2, 21, v2
                                        ; implicit-def: $vgpr3
	s_andn2_saveexec_b64 s[36:37], s[36:37]
	s_cbranch_execnz .LBB339_522
.LBB339_320:
	s_or_b64 exec, exec, s[36:37]
	v_mov_b32_e32 v4, 0
	s_and_saveexec_b64 s[36:37], s[34:35]
.LBB339_321:
	v_mov_b32_e32 v4, v2
.LBB339_322:
	s_or_b64 exec, exec, s[36:37]
.LBB339_323:
	s_or_b64 exec, exec, s[30:31]
	s_mov_b64 s[30:31], 0
	global_store_byte v[0:1], v4, off
.LBB339_324:
	s_and_b64 vcc, exec, s[30:31]
	s_cbranch_vccz .LBB339_334
; %bb.325:
	v_cndmask_b32_e64 v2, 0, 1.0, s[26:27]
	s_mov_b32 s30, 0x43f00000
	v_cmp_gt_u32_e32 vcc, s30, v2
                                        ; implicit-def: $vgpr3
	s_and_saveexec_b64 s[30:31], vcc
	s_xor_b64 s[30:31], exec, s[30:31]
	s_cbranch_execz .LBB339_331
; %bb.326:
	s_mov_b32 s34, 0x3c7fffff
	v_cmp_lt_u32_e32 vcc, s34, v2
                                        ; implicit-def: $vgpr3
	s_and_saveexec_b64 s[34:35], vcc
	s_xor_b64 s[34:35], exec, s[34:35]
; %bb.327:
	v_bfe_u32 v3, v2, 20, 1
	s_mov_b32 s36, 0x407ffff
	v_add3_u32 v2, v2, v3, s36
	v_lshrrev_b32_e32 v3, 20, v2
	v_and_b32_e32 v2, 0xff00000, v2
	s_mov_b32 s36, 0x7f00000
	v_mov_b32_e32 v4, 0x7e
	v_cmp_ne_u32_e32 vcc, s36, v2
	v_cndmask_b32_e32 v3, v4, v3, vcc
                                        ; implicit-def: $vgpr2
; %bb.328:
	s_andn2_saveexec_b64 s[34:35], s[34:35]
; %bb.329:
	v_add_f32_e32 v3, 0x46800000, v2
; %bb.330:
	s_or_b64 exec, exec, s[34:35]
                                        ; implicit-def: $vgpr2
.LBB339_331:
	s_andn2_saveexec_b64 s[30:31], s[30:31]
; %bb.332:
	s_mov_b32 s34, 0x7f800000
	v_mov_b32_e32 v3, 0x7e
	v_mov_b32_e32 v4, 0x7f
	v_cmp_lt_u32_e32 vcc, s34, v2
	v_cndmask_b32_e32 v3, v3, v4, vcc
; %bb.333:
	s_or_b64 exec, exec, s[30:31]
	global_store_byte v[0:1], v3, off
.LBB339_334:
	s_mov_b64 s[30:31], 0
.LBB339_335:
	s_andn2_b64 vcc, exec, s[30:31]
	s_cbranch_vccnz .LBB339_345
; %bb.336:
	v_cndmask_b32_e64 v2, 0, 1.0, s[26:27]
	s_mov_b32 s30, 0x47800000
	v_cmp_gt_u32_e32 vcc, s30, v2
                                        ; implicit-def: $vgpr3
	s_and_saveexec_b64 s[30:31], vcc
	s_xor_b64 s[30:31], exec, s[30:31]
	s_cbranch_execz .LBB339_342
; %bb.337:
	s_mov_b32 s34, 0x387fffff
	v_cmp_lt_u32_e32 vcc, s34, v2
                                        ; implicit-def: $vgpr3
	s_and_saveexec_b64 s[34:35], vcc
	s_xor_b64 s[34:35], exec, s[34:35]
; %bb.338:
	v_bfe_u32 v3, v2, 21, 1
	s_mov_b32 s36, 0x80fffff
	v_add3_u32 v2, v2, v3, s36
	v_lshrrev_b32_e32 v3, 21, v2
                                        ; implicit-def: $vgpr2
; %bb.339:
	s_andn2_saveexec_b64 s[34:35], s[34:35]
; %bb.340:
	v_add_f32_e32 v3, 0x43000000, v2
; %bb.341:
	s_or_b64 exec, exec, s[34:35]
                                        ; implicit-def: $vgpr2
.LBB339_342:
	s_andn2_saveexec_b64 s[30:31], s[30:31]
; %bb.343:
	s_mov_b32 s34, 0x7f800000
	v_mov_b32_e32 v3, 0x7c
	v_mov_b32_e32 v4, 0x7f
	v_cmp_lt_u32_e32 vcc, s34, v2
	v_cndmask_b32_e32 v3, v3, v4, vcc
; %bb.344:
	s_or_b64 exec, exec, s[30:31]
	global_store_byte v[0:1], v3, off
.LBB339_345:
	s_mov_b64 s[34:35], 0
	s_mov_b64 s[30:31], -1
.LBB339_346:
	s_andn2_b64 vcc, exec, s[34:35]
	s_cbranch_vccnz .LBB339_354
; %bb.347:
	s_cmp_gt_i32 s39, 14
	s_mov_b64 s[34:35], -1
	s_cbranch_scc0 .LBB339_351
; %bb.348:
	s_cmp_eq_u32 s39, 15
	s_mov_b64 s[0:1], -1
	s_cbranch_scc0 .LBB339_350
; %bb.349:
	v_cndmask_b32_e64 v2, 0, 1.0, s[26:27]
	v_bfe_u32 v3, v2, 16, 1
	s_movk_i32 s0, 0x7fff
	v_add3_u32 v2, v2, v3, s0
	global_store_short_d16_hi v[0:1], v2, off
	s_mov_b64 s[30:31], -1
	s_mov_b64 s[0:1], 0
.LBB339_350:
	s_mov_b64 s[34:35], 0
.LBB339_351:
	s_and_b64 vcc, exec, s[34:35]
	s_cbranch_vccz .LBB339_354
; %bb.352:
	s_cmp_eq_u32 s39, 11
	s_mov_b64 s[0:1], -1
	s_cbranch_scc0 .LBB339_354
; %bb.353:
	v_cndmask_b32_e64 v2, 0, 1, s[26:27]
	s_mov_b64 s[30:31], -1
	s_mov_b64 s[0:1], 0
	global_store_byte v[0:1], v2, off
.LBB339_354:
	s_mov_b64 s[34:35], 0
.LBB339_355:
	s_and_b64 vcc, exec, s[34:35]
	s_cbranch_vccz .LBB339_394
; %bb.356:
	s_and_b32 s34, 0xffff, s38
	s_cmp_lt_i32 s34, 5
	s_mov_b64 s[30:31], -1
	s_cbranch_scc1 .LBB339_377
; %bb.357:
	s_cmp_lt_i32 s34, 8
	s_cbranch_scc1 .LBB339_367
; %bb.358:
	s_cmp_lt_i32 s34, 9
	s_cbranch_scc1 .LBB339_364
; %bb.359:
	s_cmp_gt_i32 s34, 9
	s_cbranch_scc0 .LBB339_361
; %bb.360:
	v_cndmask_b32_e64 v2, 0, 1, s[26:27]
	v_cvt_f64_u32_e32 v[2:3], v2
	v_mov_b32_e32 v4, 0
	v_mov_b32_e32 v5, v4
	s_mov_b64 s[30:31], 0
	global_store_dwordx4 v[0:1], v[2:5], off
.LBB339_361:
	s_andn2_b64 vcc, exec, s[30:31]
	s_cbranch_vccnz .LBB339_363
; %bb.362:
	v_cndmask_b32_e64 v2, 0, 1.0, s[26:27]
	v_mov_b32_e32 v3, 0
	global_store_dwordx2 v[0:1], v[2:3], off
.LBB339_363:
	s_mov_b64 s[30:31], 0
.LBB339_364:
	s_andn2_b64 vcc, exec, s[30:31]
	s_cbranch_vccnz .LBB339_366
; %bb.365:
	v_cndmask_b32_e64 v2, 0, 1.0, s[26:27]
	v_cvt_f16_f32_e32 v2, v2
	global_store_dword v[0:1], v2, off
.LBB339_366:
	s_mov_b64 s[30:31], 0
.LBB339_367:
	s_andn2_b64 vcc, exec, s[30:31]
	s_cbranch_vccnz .LBB339_376
; %bb.368:
	s_cmp_lt_i32 s34, 6
	s_mov_b64 s[30:31], -1
	s_cbranch_scc1 .LBB339_374
; %bb.369:
	s_cmp_gt_i32 s34, 6
	s_cbranch_scc0 .LBB339_371
; %bb.370:
	v_cndmask_b32_e64 v2, 0, 1, s[26:27]
	v_cvt_f64_u32_e32 v[2:3], v2
	s_mov_b64 s[30:31], 0
	global_store_dwordx2 v[0:1], v[2:3], off
.LBB339_371:
	s_andn2_b64 vcc, exec, s[30:31]
	s_cbranch_vccnz .LBB339_373
; %bb.372:
	v_cndmask_b32_e64 v2, 0, 1.0, s[26:27]
	global_store_dword v[0:1], v2, off
.LBB339_373:
	s_mov_b64 s[30:31], 0
.LBB339_374:
	s_andn2_b64 vcc, exec, s[30:31]
	s_cbranch_vccnz .LBB339_376
; %bb.375:
	v_cndmask_b32_e64 v2, 0, 1.0, s[26:27]
	v_cvt_f16_f32_e32 v2, v2
	global_store_short v[0:1], v2, off
.LBB339_376:
	s_mov_b64 s[30:31], 0
.LBB339_377:
	s_andn2_b64 vcc, exec, s[30:31]
	s_cbranch_vccnz .LBB339_393
; %bb.378:
	s_cmp_lt_i32 s34, 2
	s_mov_b64 s[30:31], -1
	s_cbranch_scc1 .LBB339_388
; %bb.379:
	s_cmp_lt_i32 s34, 3
	s_cbranch_scc1 .LBB339_385
; %bb.380:
	s_cmp_gt_i32 s34, 3
	s_cbranch_scc0 .LBB339_382
; %bb.381:
	s_mov_b32 s30, 0
	v_cndmask_b32_e64 v2, 0, 1, s[26:27]
	v_mov_b32_e32 v3, s30
	s_mov_b64 s[30:31], 0
	global_store_dwordx2 v[0:1], v[2:3], off
.LBB339_382:
	s_andn2_b64 vcc, exec, s[30:31]
	s_cbranch_vccnz .LBB339_384
; %bb.383:
	v_cndmask_b32_e64 v2, 0, 1, s[26:27]
	global_store_dword v[0:1], v2, off
.LBB339_384:
	s_mov_b64 s[30:31], 0
.LBB339_385:
	s_andn2_b64 vcc, exec, s[30:31]
	s_cbranch_vccnz .LBB339_387
; %bb.386:
	v_cndmask_b32_e64 v2, 0, 1, s[26:27]
	global_store_short v[0:1], v2, off
.LBB339_387:
	s_mov_b64 s[30:31], 0
.LBB339_388:
	s_andn2_b64 vcc, exec, s[30:31]
	s_cbranch_vccnz .LBB339_393
; %bb.389:
	s_mov_b64 s[30:31], -1
	s_cmp_gt_i32 s34, 0
	v_cndmask_b32_e64 v2, 0, 1, s[26:27]
	s_cbranch_scc0 .LBB339_391
; %bb.390:
	s_mov_b64 s[30:31], 0
	global_store_byte v[0:1], v2, off
.LBB339_391:
	s_andn2_b64 vcc, exec, s[30:31]
	s_cbranch_vccnz .LBB339_393
; %bb.392:
	global_store_byte v[0:1], v2, off
.LBB339_393:
	s_mov_b64 s[30:31], -1
.LBB339_394:
	s_andn2_b64 vcc, exec, s[30:31]
	s_cbranch_vccnz .LBB339_396
; %bb.395:
	v_add_u32_e32 v9, 0x80, v9
	s_mov_b64 s[30:31], -1
	s_branch .LBB339_504
.LBB339_396:
	s_mov_b64 s[30:31], 0
                                        ; implicit-def: $vgpr9
	s_branch .LBB339_504
.LBB339_397:
	s_mov_b64 s[24:25], -1
                                        ; implicit-def: $vgpr2
.LBB339_398:
	s_mov_b64 s[26:27], 0
.LBB339_399:
	s_and_b64 vcc, exec, s[26:27]
	s_cbranch_vccz .LBB339_403
; %bb.400:
	s_cmp_eq_u32 s30, 29
	s_cbranch_scc0 .LBB339_402
; %bb.401:
	global_load_dwordx2 v[2:3], v[0:1], off
	s_mov_b64 s[0:1], -1
	s_mov_b64 s[24:25], 0
	s_branch .LBB339_403
.LBB339_402:
	s_mov_b64 s[24:25], -1
                                        ; implicit-def: $vgpr2
.LBB339_403:
	s_mov_b64 s[26:27], 0
.LBB339_404:
	s_and_b64 vcc, exec, s[26:27]
	s_cbranch_vccz .LBB339_420
; %bb.405:
	s_cmp_lt_i32 s30, 27
	s_cbranch_scc1 .LBB339_408
; %bb.406:
	s_cmp_gt_i32 s30, 27
	s_cbranch_scc0 .LBB339_409
; %bb.407:
	global_load_dword v2, v[0:1], off
	s_mov_b64 s[0:1], 0
	s_branch .LBB339_410
.LBB339_408:
	s_mov_b64 s[0:1], -1
                                        ; implicit-def: $vgpr2
	s_branch .LBB339_413
.LBB339_409:
	s_mov_b64 s[0:1], -1
                                        ; implicit-def: $vgpr2
.LBB339_410:
	s_andn2_b64 vcc, exec, s[0:1]
	s_cbranch_vccnz .LBB339_412
; %bb.411:
	global_load_ushort v2, v[0:1], off
.LBB339_412:
	s_mov_b64 s[0:1], 0
.LBB339_413:
	s_andn2_b64 vcc, exec, s[0:1]
	s_cbranch_vccnz .LBB339_419
; %bb.414:
	global_load_ubyte v3, v[0:1], off
	s_movk_i32 s0, 0x7f
	s_mov_b64 s[26:27], 0
	s_waitcnt vmcnt(0)
	v_cmp_lt_i16_e32 vcc, s0, v3
	s_and_saveexec_b64 s[0:1], vcc
	s_xor_b64 s[0:1], exec, s[0:1]
	s_cbranch_execz .LBB339_431
; %bb.415:
	s_movk_i32 s26, 0x80
	v_cmp_ne_u16_e32 vcc, s26, v3
	s_and_b64 s[26:27], vcc, exec
	s_andn2_saveexec_b64 s[0:1], s[0:1]
	s_cbranch_execnz .LBB339_432
.LBB339_416:
	s_or_b64 exec, exec, s[0:1]
	v_mov_b32_e32 v2, 0
	s_and_saveexec_b64 s[0:1], s[26:27]
	s_cbranch_execz .LBB339_418
.LBB339_417:
	v_lshlrev_b32_e32 v2, 24, v3
	v_and_b32_e32 v3, 0xffff, v3
	v_and_b32_e32 v4, 7, v3
	v_ffbh_u32_e32 v6, v4
	v_min_u32_e32 v6, 32, v6
	v_subrev_u32_e32 v7, 28, v6
	v_bfe_u32 v5, v3, 3, 4
	v_lshlrev_b32_e32 v3, v7, v3
	v_sub_u32_e32 v6, 29, v6
	v_and_b32_e32 v3, 7, v3
	v_cmp_eq_u32_e32 vcc, 0, v5
	v_cndmask_b32_e32 v5, v5, v6, vcc
	v_cndmask_b32_e32 v3, v4, v3, vcc
	v_mov_b32_e32 v4, 0x3b800000
	v_lshlrev_b32_e32 v3, 20, v3
	v_and_b32_e32 v2, 0x80000000, v2
	v_lshl_add_u32 v4, v5, 23, v4
	v_or3_b32 v2, v2, v4, v3
	v_cvt_u32_f32_e32 v2, v2
.LBB339_418:
	s_or_b64 exec, exec, s[0:1]
.LBB339_419:
	s_mov_b64 s[0:1], -1
.LBB339_420:
	s_mov_b64 s[26:27], 0
.LBB339_421:
	s_and_b64 vcc, exec, s[26:27]
	s_cbranch_vccz .LBB339_454
; %bb.422:
	s_cmp_gt_i32 s30, 22
	s_cbranch_scc0 .LBB339_430
; %bb.423:
	s_cmp_lt_i32 s30, 24
	s_cbranch_scc1 .LBB339_433
; %bb.424:
	s_cmp_gt_i32 s30, 24
	s_cbranch_scc0 .LBB339_434
; %bb.425:
	global_load_ubyte v3, v[0:1], off
	s_movk_i32 s0, 0x7f
	s_mov_b64 s[26:27], 0
	s_waitcnt vmcnt(0)
	v_cmp_lt_i16_e32 vcc, s0, v3
	s_and_saveexec_b64 s[0:1], vcc
	s_xor_b64 s[0:1], exec, s[0:1]
	s_cbranch_execz .LBB339_446
; %bb.426:
	s_movk_i32 s26, 0x80
	v_cmp_ne_u16_e32 vcc, s26, v3
	s_and_b64 s[26:27], vcc, exec
	s_andn2_saveexec_b64 s[0:1], s[0:1]
	s_cbranch_execnz .LBB339_447
.LBB339_427:
	s_or_b64 exec, exec, s[0:1]
	v_mov_b32_e32 v2, 0
	s_and_saveexec_b64 s[0:1], s[26:27]
	s_cbranch_execz .LBB339_429
.LBB339_428:
	v_lshlrev_b32_e32 v2, 24, v3
	v_and_b32_e32 v3, 0xffff, v3
	v_and_b32_e32 v4, 3, v3
	v_ffbh_u32_e32 v6, v4
	v_min_u32_e32 v6, 32, v6
	v_subrev_u32_e32 v7, 29, v6
	v_bfe_u32 v5, v3, 2, 5
	v_lshlrev_b32_e32 v3, v7, v3
	v_sub_u32_e32 v6, 30, v6
	v_and_b32_e32 v3, 3, v3
	v_cmp_eq_u32_e32 vcc, 0, v5
	v_cndmask_b32_e32 v5, v5, v6, vcc
	v_cndmask_b32_e32 v3, v4, v3, vcc
	v_mov_b32_e32 v4, 0x37800000
	v_lshlrev_b32_e32 v3, 21, v3
	v_and_b32_e32 v2, 0x80000000, v2
	v_lshl_add_u32 v4, v5, 23, v4
	v_or3_b32 v2, v2, v4, v3
	v_cvt_u32_f32_e32 v2, v2
.LBB339_429:
	s_or_b64 exec, exec, s[0:1]
	s_mov_b64 s[0:1], 0
	s_branch .LBB339_435
.LBB339_430:
	s_mov_b64 s[26:27], -1
                                        ; implicit-def: $vgpr2
	s_branch .LBB339_441
.LBB339_431:
	s_andn2_saveexec_b64 s[0:1], s[0:1]
	s_cbranch_execz .LBB339_416
.LBB339_432:
	v_cmp_ne_u16_e32 vcc, 0, v3
	s_andn2_b64 s[26:27], s[26:27], exec
	s_and_b64 s[34:35], vcc, exec
	s_or_b64 s[26:27], s[26:27], s[34:35]
	s_or_b64 exec, exec, s[0:1]
	v_mov_b32_e32 v2, 0
	s_and_saveexec_b64 s[0:1], s[26:27]
	s_cbranch_execnz .LBB339_417
	s_branch .LBB339_418
.LBB339_433:
	s_mov_b64 s[0:1], -1
                                        ; implicit-def: $vgpr2
	s_branch .LBB339_438
.LBB339_434:
	s_mov_b64 s[0:1], -1
                                        ; implicit-def: $vgpr2
.LBB339_435:
	s_and_b64 vcc, exec, s[0:1]
	s_cbranch_vccz .LBB339_437
; %bb.436:
	global_load_ubyte v2, v[0:1], off
	s_mov_b32 s0, 0x7f800000
	s_waitcnt vmcnt(0)
	v_lshlrev_b32_e32 v2, 24, v2
	v_and_b32_e32 v3, 0x7f000000, v2
	v_ffbh_u32_e32 v4, v3
	v_min_u32_e32 v4, 32, v4
	v_sub_u32_e64 v4, v4, 4 clamp
	v_lshlrev_b32_e32 v6, v4, v3
	v_lshlrev_b32_e32 v4, 23, v4
	v_lshrrev_b32_e32 v6, 4, v6
	v_add_u32_e32 v5, 0x1000000, v3
	v_sub_u32_e32 v4, v6, v4
	v_ashrrev_i32_e32 v5, 8, v5
	v_add_u32_e32 v4, 0x3c000000, v4
	v_and_or_b32 v4, v5, s0, v4
	v_cmp_ne_u32_e32 vcc, 0, v3
	v_cndmask_b32_e32 v3, 0, v4, vcc
	s_brev_b32 s0, 1
	v_and_or_b32 v2, v2, s0, v3
	v_cvt_u32_f32_e32 v2, v2
.LBB339_437:
	s_mov_b64 s[0:1], 0
.LBB339_438:
	s_andn2_b64 vcc, exec, s[0:1]
	s_cbranch_vccnz .LBB339_440
; %bb.439:
	global_load_ubyte v2, v[0:1], off
	s_movk_i32 s0, 0x7f00
	s_brev_b32 s1, 16
	s_waitcnt vmcnt(0)
	v_lshlrev_b16_e32 v3, 8, v2
	v_lshlrev_b32_e32 v2, 25, v2
	v_lshrrev_b32_e32 v4, 4, v2
	v_and_or_b32 v5, v3, s0, 0.5
	v_or_b32_e32 v4, 0x70000000, v4
	v_add_f32_e32 v5, -0.5, v5
	v_mul_f32_e32 v4, 0x7800000, v4
	v_cmp_gt_u32_e32 vcc, s1, v2
	v_bfe_i32 v3, v3, 0, 16
	v_cndmask_b32_e32 v2, v4, v5, vcc
	s_brev_b32 s0, 1
	v_and_or_b32 v2, v3, s0, v2
	v_cvt_u32_f32_e32 v2, v2
.LBB339_440:
	s_mov_b64 s[26:27], 0
	s_mov_b64 s[0:1], -1
.LBB339_441:
	s_andn2_b64 vcc, exec, s[26:27]
	s_cbranch_vccnz .LBB339_454
; %bb.442:
	s_cmp_gt_i32 s30, 14
	s_cbranch_scc0 .LBB339_445
; %bb.443:
	s_cmp_eq_u32 s30, 15
	s_cbranch_scc0 .LBB339_448
; %bb.444:
	global_load_ushort v2, v[0:1], off
	s_mov_b64 s[0:1], -1
	s_mov_b64 s[24:25], 0
	s_waitcnt vmcnt(0)
	v_lshlrev_b32_e32 v2, 16, v2
	v_cvt_u32_f32_e32 v2, v2
	s_branch .LBB339_449
.LBB339_445:
	s_mov_b64 s[26:27], -1
                                        ; implicit-def: $vgpr2
	s_branch .LBB339_450
.LBB339_446:
	s_andn2_saveexec_b64 s[0:1], s[0:1]
	s_cbranch_execz .LBB339_427
.LBB339_447:
	v_cmp_ne_u16_e32 vcc, 0, v3
	s_andn2_b64 s[26:27], s[26:27], exec
	s_and_b64 s[34:35], vcc, exec
	s_or_b64 s[26:27], s[26:27], s[34:35]
	s_or_b64 exec, exec, s[0:1]
	v_mov_b32_e32 v2, 0
	s_and_saveexec_b64 s[0:1], s[26:27]
	s_cbranch_execnz .LBB339_428
	s_branch .LBB339_429
.LBB339_448:
	s_mov_b64 s[24:25], -1
                                        ; implicit-def: $vgpr2
.LBB339_449:
	s_mov_b64 s[26:27], 0
.LBB339_450:
	s_and_b64 vcc, exec, s[26:27]
	s_cbranch_vccz .LBB339_454
; %bb.451:
	s_cmp_eq_u32 s30, 11
	s_cbranch_scc0 .LBB339_453
; %bb.452:
	global_load_ubyte v2, v[0:1], off
	s_mov_b64 s[0:1], -1
	s_mov_b64 s[24:25], 0
	s_waitcnt vmcnt(0)
	v_cmp_ne_u16_e32 vcc, 0, v2
	v_cndmask_b32_e64 v2, 0, 1, vcc
	s_branch .LBB339_454
.LBB339_453:
	s_mov_b64 s[24:25], -1
                                        ; implicit-def: $vgpr2
.LBB339_454:
	s_branch .LBB339_261
.LBB339_455:
	s_cmp_lt_i32 s30, 5
	s_cbranch_scc1 .LBB339_460
; %bb.456:
	s_cmp_lt_i32 s30, 8
	s_cbranch_scc1 .LBB339_461
; %bb.457:
	;; [unrolled: 3-line block ×3, first 2 shown]
	s_cmp_gt_i32 s30, 9
	s_cbranch_scc0 .LBB339_463
; %bb.459:
	global_load_dwordx2 v[2:3], v[0:1], off
	s_mov_b64 s[0:1], 0
	s_waitcnt vmcnt(0)
	v_cvt_u32_f64_e32 v2, v[2:3]
	s_branch .LBB339_464
.LBB339_460:
	s_mov_b64 s[0:1], -1
                                        ; implicit-def: $vgpr2
	s_branch .LBB339_482
.LBB339_461:
	s_mov_b64 s[0:1], -1
                                        ; implicit-def: $vgpr2
	s_branch .LBB339_470
.LBB339_462:
	s_mov_b64 s[0:1], -1
                                        ; implicit-def: $vgpr2
	s_branch .LBB339_467
.LBB339_463:
	s_mov_b64 s[0:1], -1
                                        ; implicit-def: $vgpr2
.LBB339_464:
	s_andn2_b64 vcc, exec, s[0:1]
	s_cbranch_vccnz .LBB339_466
; %bb.465:
	global_load_dword v2, v[0:1], off
	s_waitcnt vmcnt(0)
	v_cvt_u32_f32_e32 v2, v2
.LBB339_466:
	s_mov_b64 s[0:1], 0
.LBB339_467:
	s_andn2_b64 vcc, exec, s[0:1]
	s_cbranch_vccnz .LBB339_469
; %bb.468:
	global_load_dword v2, v[0:1], off
	s_waitcnt vmcnt(0)
	v_cvt_u16_f16_e32 v2, v2
.LBB339_469:
	s_mov_b64 s[0:1], 0
.LBB339_470:
	s_andn2_b64 vcc, exec, s[0:1]
	s_cbranch_vccnz .LBB339_481
; %bb.471:
	s_cmp_lt_i32 s30, 6
	s_cbranch_scc1 .LBB339_474
; %bb.472:
	s_cmp_gt_i32 s30, 6
	s_cbranch_scc0 .LBB339_475
; %bb.473:
	global_load_dwordx2 v[2:3], v[0:1], off
	s_mov_b64 s[0:1], 0
	s_waitcnt vmcnt(0)
	v_cvt_u32_f64_e32 v2, v[2:3]
	s_branch .LBB339_476
.LBB339_474:
	s_mov_b64 s[0:1], -1
                                        ; implicit-def: $vgpr2
	s_branch .LBB339_479
.LBB339_475:
	s_mov_b64 s[0:1], -1
                                        ; implicit-def: $vgpr2
.LBB339_476:
	s_andn2_b64 vcc, exec, s[0:1]
	s_cbranch_vccnz .LBB339_478
; %bb.477:
	global_load_dword v2, v[0:1], off
	s_waitcnt vmcnt(0)
	v_cvt_u32_f32_e32 v2, v2
.LBB339_478:
	s_mov_b64 s[0:1], 0
.LBB339_479:
	s_andn2_b64 vcc, exec, s[0:1]
	s_cbranch_vccnz .LBB339_481
; %bb.480:
	global_load_ushort v2, v[0:1], off
	s_waitcnt vmcnt(0)
	v_cvt_u16_f16_e32 v2, v2
.LBB339_481:
	s_mov_b64 s[0:1], 0
.LBB339_482:
	s_andn2_b64 vcc, exec, s[0:1]
	s_cbranch_vccnz .LBB339_502
; %bb.483:
	s_cmp_lt_i32 s30, 2
	s_cbranch_scc1 .LBB339_487
; %bb.484:
	s_cmp_lt_i32 s30, 3
	s_cbranch_scc1 .LBB339_488
; %bb.485:
	s_cmp_gt_i32 s30, 3
	s_cbranch_scc0 .LBB339_489
; %bb.486:
	global_load_dwordx2 v[2:3], v[0:1], off
	s_mov_b64 s[0:1], 0
	s_branch .LBB339_490
.LBB339_487:
	s_mov_b64 s[0:1], -1
                                        ; implicit-def: $vgpr2
	s_branch .LBB339_496
.LBB339_488:
	s_mov_b64 s[0:1], -1
                                        ; implicit-def: $vgpr2
	s_branch .LBB339_493
.LBB339_489:
	s_mov_b64 s[0:1], -1
                                        ; implicit-def: $vgpr2
.LBB339_490:
	s_andn2_b64 vcc, exec, s[0:1]
	s_cbranch_vccnz .LBB339_492
; %bb.491:
	global_load_dword v2, v[0:1], off
.LBB339_492:
	s_mov_b64 s[0:1], 0
.LBB339_493:
	s_andn2_b64 vcc, exec, s[0:1]
	s_cbranch_vccnz .LBB339_495
; %bb.494:
	global_load_ushort v2, v[0:1], off
.LBB339_495:
	s_mov_b64 s[0:1], 0
.LBB339_496:
	s_andn2_b64 vcc, exec, s[0:1]
	s_cbranch_vccnz .LBB339_502
; %bb.497:
	s_cmp_gt_i32 s30, 0
	s_cbranch_scc0 .LBB339_499
; %bb.498:
	global_load_sbyte v2, v[0:1], off
	s_mov_b64 s[0:1], 0
	s_branch .LBB339_500
.LBB339_499:
	s_mov_b64 s[0:1], -1
                                        ; implicit-def: $vgpr2
.LBB339_500:
	s_andn2_b64 vcc, exec, s[0:1]
	s_cbranch_vccnz .LBB339_502
; %bb.501:
	global_load_ubyte v2, v[0:1], off
.LBB339_502:
	s_branch .LBB339_262
.LBB339_503:
	s_mov_b64 s[30:31], 0
                                        ; implicit-def: $vgpr9
	s_mov_b64 s[0:1], s[18:19]
.LBB339_504:
	s_andn2_b64 s[26:27], s[18:19], exec
	s_and_b64 s[0:1], s[0:1], exec
	s_or_b64 s[26:27], s[26:27], s[0:1]
	s_andn2_b64 s[0:1], s[20:21], exec
	s_and_b64 s[24:25], s[24:25], exec
	s_or_b64 s[24:25], s[0:1], s[24:25]
	s_orn2_b64 s[0:1], s[30:31], exec
.LBB339_505:
	s_or_b64 exec, exec, s[28:29]
	s_mov_b64 s[30:31], 0
	s_mov_b64 s[34:35], 0
	;; [unrolled: 1-line block ×3, first 2 shown]
                                        ; implicit-def: $vgpr0_vgpr1
                                        ; implicit-def: $vgpr2
	s_and_saveexec_b64 s[28:29], s[0:1]
	s_cbranch_execz .LBB339_842
; %bb.506:
	v_cmp_gt_i32_e32 vcc, s33, v9
	s_mov_b64 s[40:41], -1
	s_mov_b64 s[0:1], s[24:25]
	s_mov_b64 s[36:37], s[26:27]
	s_and_saveexec_b64 s[30:31], vcc
	s_cbranch_execz .LBB339_760
; %bb.507:
	v_mul_lo_u32 v0, v9, s13
	v_mov_b32_e32 v1, s11
	s_and_b32 s38, 0xffff, s15
	s_cmp_lt_i32 s38, 11
	s_waitcnt vmcnt(0)
	v_ashrrev_i32_e32 v2, 31, v0
	v_add_co_u32_e32 v0, vcc, s10, v0
	v_addc_co_u32_e32 v1, vcc, v1, v2, vcc
	s_cbranch_scc1 .LBB339_514
; %bb.508:
	s_cmp_gt_i32 s38, 25
	s_cbranch_scc0 .LBB339_515
; %bb.509:
	s_cmp_gt_i32 s38, 28
	s_cbranch_scc0 .LBB339_516
	;; [unrolled: 3-line block ×4, first 2 shown]
; %bb.512:
	s_cmp_eq_u32 s38, 46
	s_mov_b64 s[36:37], 0
	s_cbranch_scc0 .LBB339_523
; %bb.513:
	global_load_dword v2, v[0:1], off
	s_mov_b64 s[0:1], -1
	s_waitcnt vmcnt(0)
	v_lshlrev_b32_e32 v2, 16, v2
	v_cvt_u32_f32_e32 v2, v2
	s_branch .LBB339_524
.LBB339_514:
	s_mov_b64 s[36:37], -1
	s_mov_b64 s[0:1], 0
                                        ; implicit-def: $vgpr2
	s_mov_b64 s[34:35], s[24:25]
	s_branch .LBB339_585
.LBB339_515:
	s_mov_b64 s[36:37], -1
	s_mov_b64 s[0:1], 0
	s_mov_b64 s[34:35], s[24:25]
                                        ; implicit-def: $vgpr2
	s_branch .LBB339_551
.LBB339_516:
	s_mov_b64 s[36:37], -1
	s_mov_b64 s[0:1], 0
	s_mov_b64 s[34:35], s[24:25]
                                        ; implicit-def: $vgpr2
	s_branch .LBB339_534
.LBB339_517:
	s_mov_b64 s[36:37], -1
	s_mov_b64 s[0:1], 0
	s_mov_b64 s[34:35], s[24:25]
                                        ; implicit-def: $vgpr2
	s_branch .LBB339_529
.LBB339_518:
	s_andn2_saveexec_b64 s[36:37], s[36:37]
	s_cbranch_execz .LBB339_307
.LBB339_519:
	v_add_f32_e32 v2, 0x46000000, v3
	v_and_b32_e32 v2, 0xff, v2
	v_cmp_ne_u32_e32 vcc, 0, v2
	s_andn2_b64 s[34:35], s[34:35], exec
	s_and_b64 s[40:41], vcc, exec
	s_or_b64 s[34:35], s[34:35], s[40:41]
	s_or_b64 exec, exec, s[36:37]
	v_mov_b32_e32 v4, 0
	s_and_saveexec_b64 s[36:37], s[34:35]
	s_cbranch_execnz .LBB339_308
	s_branch .LBB339_309
.LBB339_520:
	s_mov_b64 s[36:37], -1
	s_mov_b64 s[0:1], 0
	s_mov_b64 s[34:35], s[24:25]
                                        ; implicit-def: $vgpr2
	s_branch .LBB339_524
.LBB339_521:
	s_andn2_saveexec_b64 s[36:37], s[36:37]
	s_cbranch_execz .LBB339_320
.LBB339_522:
	v_add_f32_e32 v2, 0x42800000, v3
	v_and_b32_e32 v2, 0xff, v2
	v_cmp_ne_u32_e32 vcc, 0, v2
	s_andn2_b64 s[34:35], s[34:35], exec
	s_and_b64 s[40:41], vcc, exec
	s_or_b64 s[34:35], s[34:35], s[40:41]
	s_or_b64 exec, exec, s[36:37]
	v_mov_b32_e32 v4, 0
	s_and_saveexec_b64 s[36:37], s[34:35]
	s_cbranch_execnz .LBB339_321
	s_branch .LBB339_322
.LBB339_523:
	s_mov_b64 s[34:35], -1
                                        ; implicit-def: $vgpr2
	s_mov_b64 s[0:1], 0
.LBB339_524:
	s_and_b64 vcc, exec, s[36:37]
	s_cbranch_vccz .LBB339_528
; %bb.525:
	s_cmp_eq_u32 s38, 44
	s_cbranch_scc0 .LBB339_527
; %bb.526:
	global_load_ubyte v2, v[0:1], off
	s_mov_b64 s[0:1], -1
	s_mov_b64 s[34:35], 0
	s_waitcnt vmcnt(0)
	v_lshlrev_b32_e32 v3, 23, v2
	v_cvt_u32_f32_e32 v3, v3
	v_cmp_ne_u32_e32 vcc, 0, v2
	v_cndmask_b32_e32 v2, 0, v3, vcc
	s_branch .LBB339_528
.LBB339_527:
	s_mov_b64 s[34:35], -1
                                        ; implicit-def: $vgpr2
.LBB339_528:
	s_mov_b64 s[36:37], 0
.LBB339_529:
	s_and_b64 vcc, exec, s[36:37]
	s_cbranch_vccz .LBB339_533
; %bb.530:
	s_cmp_eq_u32 s38, 29
	s_cbranch_scc0 .LBB339_532
; %bb.531:
	global_load_dwordx2 v[2:3], v[0:1], off
	s_mov_b64 s[0:1], -1
	s_mov_b64 s[34:35], 0
	s_branch .LBB339_533
.LBB339_532:
	s_mov_b64 s[34:35], -1
                                        ; implicit-def: $vgpr2
.LBB339_533:
	s_mov_b64 s[36:37], 0
.LBB339_534:
	s_and_b64 vcc, exec, s[36:37]
	s_cbranch_vccz .LBB339_550
; %bb.535:
	s_cmp_lt_i32 s38, 27
	s_cbranch_scc1 .LBB339_538
; %bb.536:
	s_cmp_gt_i32 s38, 27
	s_cbranch_scc0 .LBB339_539
; %bb.537:
	global_load_dword v2, v[0:1], off
	s_mov_b64 s[0:1], 0
	s_branch .LBB339_540
.LBB339_538:
	s_mov_b64 s[0:1], -1
                                        ; implicit-def: $vgpr2
	s_branch .LBB339_543
.LBB339_539:
	s_mov_b64 s[0:1], -1
                                        ; implicit-def: $vgpr2
.LBB339_540:
	s_andn2_b64 vcc, exec, s[0:1]
	s_cbranch_vccnz .LBB339_542
; %bb.541:
	global_load_ushort v2, v[0:1], off
.LBB339_542:
	s_mov_b64 s[0:1], 0
.LBB339_543:
	s_andn2_b64 vcc, exec, s[0:1]
	s_cbranch_vccnz .LBB339_549
; %bb.544:
	global_load_ubyte v3, v[0:1], off
	s_movk_i32 s0, 0x7f
	s_mov_b64 s[36:37], 0
	s_waitcnt vmcnt(0)
	v_cmp_lt_i16_e32 vcc, s0, v3
	s_and_saveexec_b64 s[0:1], vcc
	s_xor_b64 s[0:1], exec, s[0:1]
	s_cbranch_execz .LBB339_561
; %bb.545:
	s_movk_i32 s36, 0x80
	v_cmp_ne_u16_e32 vcc, s36, v3
	s_and_b64 s[36:37], vcc, exec
	s_andn2_saveexec_b64 s[0:1], s[0:1]
	s_cbranch_execnz .LBB339_562
.LBB339_546:
	s_or_b64 exec, exec, s[0:1]
	v_mov_b32_e32 v2, 0
	s_and_saveexec_b64 s[0:1], s[36:37]
	s_cbranch_execz .LBB339_548
.LBB339_547:
	v_lshlrev_b32_e32 v2, 24, v3
	v_and_b32_e32 v3, 0xffff, v3
	v_and_b32_e32 v4, 7, v3
	v_ffbh_u32_e32 v6, v4
	v_min_u32_e32 v6, 32, v6
	v_subrev_u32_e32 v7, 28, v6
	v_bfe_u32 v5, v3, 3, 4
	v_lshlrev_b32_e32 v3, v7, v3
	v_sub_u32_e32 v6, 29, v6
	v_and_b32_e32 v3, 7, v3
	v_cmp_eq_u32_e32 vcc, 0, v5
	v_cndmask_b32_e32 v5, v5, v6, vcc
	v_cndmask_b32_e32 v3, v4, v3, vcc
	v_mov_b32_e32 v4, 0x3b800000
	v_lshlrev_b32_e32 v3, 20, v3
	v_and_b32_e32 v2, 0x80000000, v2
	v_lshl_add_u32 v4, v5, 23, v4
	v_or3_b32 v2, v2, v4, v3
	v_cvt_u32_f32_e32 v2, v2
.LBB339_548:
	s_or_b64 exec, exec, s[0:1]
.LBB339_549:
	s_mov_b64 s[0:1], -1
.LBB339_550:
	s_mov_b64 s[36:37], 0
.LBB339_551:
	s_and_b64 vcc, exec, s[36:37]
	s_cbranch_vccz .LBB339_584
; %bb.552:
	s_cmp_gt_i32 s38, 22
	s_cbranch_scc0 .LBB339_560
; %bb.553:
	s_cmp_lt_i32 s38, 24
	s_cbranch_scc1 .LBB339_563
; %bb.554:
	s_cmp_gt_i32 s38, 24
	s_cbranch_scc0 .LBB339_564
; %bb.555:
	global_load_ubyte v3, v[0:1], off
	s_movk_i32 s0, 0x7f
	s_mov_b64 s[36:37], 0
	s_waitcnt vmcnt(0)
	v_cmp_lt_i16_e32 vcc, s0, v3
	s_and_saveexec_b64 s[0:1], vcc
	s_xor_b64 s[0:1], exec, s[0:1]
	s_cbranch_execz .LBB339_576
; %bb.556:
	s_movk_i32 s36, 0x80
	v_cmp_ne_u16_e32 vcc, s36, v3
	s_and_b64 s[36:37], vcc, exec
	s_andn2_saveexec_b64 s[0:1], s[0:1]
	s_cbranch_execnz .LBB339_577
.LBB339_557:
	s_or_b64 exec, exec, s[0:1]
	v_mov_b32_e32 v2, 0
	s_and_saveexec_b64 s[0:1], s[36:37]
	s_cbranch_execz .LBB339_559
.LBB339_558:
	v_lshlrev_b32_e32 v2, 24, v3
	v_and_b32_e32 v3, 0xffff, v3
	v_and_b32_e32 v4, 3, v3
	v_ffbh_u32_e32 v6, v4
	v_min_u32_e32 v6, 32, v6
	v_subrev_u32_e32 v7, 29, v6
	v_bfe_u32 v5, v3, 2, 5
	v_lshlrev_b32_e32 v3, v7, v3
	v_sub_u32_e32 v6, 30, v6
	v_and_b32_e32 v3, 3, v3
	v_cmp_eq_u32_e32 vcc, 0, v5
	v_cndmask_b32_e32 v5, v5, v6, vcc
	v_cndmask_b32_e32 v3, v4, v3, vcc
	v_mov_b32_e32 v4, 0x37800000
	v_lshlrev_b32_e32 v3, 21, v3
	v_and_b32_e32 v2, 0x80000000, v2
	v_lshl_add_u32 v4, v5, 23, v4
	v_or3_b32 v2, v2, v4, v3
	v_cvt_u32_f32_e32 v2, v2
.LBB339_559:
	s_or_b64 exec, exec, s[0:1]
	s_mov_b64 s[0:1], 0
	s_branch .LBB339_565
.LBB339_560:
	s_mov_b64 s[36:37], -1
                                        ; implicit-def: $vgpr2
	s_branch .LBB339_571
.LBB339_561:
	s_andn2_saveexec_b64 s[0:1], s[0:1]
	s_cbranch_execz .LBB339_546
.LBB339_562:
	v_cmp_ne_u16_e32 vcc, 0, v3
	s_andn2_b64 s[36:37], s[36:37], exec
	s_and_b64 s[40:41], vcc, exec
	s_or_b64 s[36:37], s[36:37], s[40:41]
	s_or_b64 exec, exec, s[0:1]
	v_mov_b32_e32 v2, 0
	s_and_saveexec_b64 s[0:1], s[36:37]
	s_cbranch_execnz .LBB339_547
	s_branch .LBB339_548
.LBB339_563:
	s_mov_b64 s[0:1], -1
                                        ; implicit-def: $vgpr2
	s_branch .LBB339_568
.LBB339_564:
	s_mov_b64 s[0:1], -1
                                        ; implicit-def: $vgpr2
.LBB339_565:
	s_and_b64 vcc, exec, s[0:1]
	s_cbranch_vccz .LBB339_567
; %bb.566:
	global_load_ubyte v2, v[0:1], off
	s_mov_b32 s0, 0x7f800000
	s_waitcnt vmcnt(0)
	v_lshlrev_b32_e32 v2, 24, v2
	v_and_b32_e32 v3, 0x7f000000, v2
	v_ffbh_u32_e32 v4, v3
	v_min_u32_e32 v4, 32, v4
	v_sub_u32_e64 v4, v4, 4 clamp
	v_lshlrev_b32_e32 v6, v4, v3
	v_lshlrev_b32_e32 v4, 23, v4
	v_lshrrev_b32_e32 v6, 4, v6
	v_add_u32_e32 v5, 0x1000000, v3
	v_sub_u32_e32 v4, v6, v4
	v_ashrrev_i32_e32 v5, 8, v5
	v_add_u32_e32 v4, 0x3c000000, v4
	v_and_or_b32 v4, v5, s0, v4
	v_cmp_ne_u32_e32 vcc, 0, v3
	v_cndmask_b32_e32 v3, 0, v4, vcc
	s_brev_b32 s0, 1
	v_and_or_b32 v2, v2, s0, v3
	v_cvt_u32_f32_e32 v2, v2
.LBB339_567:
	s_mov_b64 s[0:1], 0
.LBB339_568:
	s_andn2_b64 vcc, exec, s[0:1]
	s_cbranch_vccnz .LBB339_570
; %bb.569:
	global_load_ubyte v2, v[0:1], off
	s_movk_i32 s0, 0x7f00
	s_brev_b32 s1, 16
	s_waitcnt vmcnt(0)
	v_lshlrev_b16_e32 v3, 8, v2
	v_lshlrev_b32_e32 v2, 25, v2
	v_lshrrev_b32_e32 v4, 4, v2
	v_and_or_b32 v5, v3, s0, 0.5
	v_or_b32_e32 v4, 0x70000000, v4
	v_add_f32_e32 v5, -0.5, v5
	v_mul_f32_e32 v4, 0x7800000, v4
	v_cmp_gt_u32_e32 vcc, s1, v2
	v_bfe_i32 v3, v3, 0, 16
	v_cndmask_b32_e32 v2, v4, v5, vcc
	s_brev_b32 s0, 1
	v_and_or_b32 v2, v3, s0, v2
	v_cvt_u32_f32_e32 v2, v2
.LBB339_570:
	s_mov_b64 s[36:37], 0
	s_mov_b64 s[0:1], -1
.LBB339_571:
	s_andn2_b64 vcc, exec, s[36:37]
	s_cbranch_vccnz .LBB339_584
; %bb.572:
	s_cmp_gt_i32 s38, 14
	s_cbranch_scc0 .LBB339_575
; %bb.573:
	s_cmp_eq_u32 s38, 15
	s_cbranch_scc0 .LBB339_578
; %bb.574:
	global_load_ushort v2, v[0:1], off
	s_mov_b64 s[0:1], -1
	s_mov_b64 s[34:35], 0
	s_waitcnt vmcnt(0)
	v_lshlrev_b32_e32 v2, 16, v2
	v_cvt_u32_f32_e32 v2, v2
	s_branch .LBB339_579
.LBB339_575:
	s_mov_b64 s[36:37], -1
                                        ; implicit-def: $vgpr2
	s_branch .LBB339_580
.LBB339_576:
	s_andn2_saveexec_b64 s[0:1], s[0:1]
	s_cbranch_execz .LBB339_557
.LBB339_577:
	v_cmp_ne_u16_e32 vcc, 0, v3
	s_andn2_b64 s[36:37], s[36:37], exec
	s_and_b64 s[40:41], vcc, exec
	s_or_b64 s[36:37], s[36:37], s[40:41]
	s_or_b64 exec, exec, s[0:1]
	v_mov_b32_e32 v2, 0
	s_and_saveexec_b64 s[0:1], s[36:37]
	s_cbranch_execnz .LBB339_558
	s_branch .LBB339_559
.LBB339_578:
	s_mov_b64 s[34:35], -1
                                        ; implicit-def: $vgpr2
.LBB339_579:
	s_mov_b64 s[36:37], 0
.LBB339_580:
	s_and_b64 vcc, exec, s[36:37]
	s_cbranch_vccz .LBB339_584
; %bb.581:
	s_cmp_eq_u32 s38, 11
	s_cbranch_scc0 .LBB339_583
; %bb.582:
	global_load_ubyte v2, v[0:1], off
	s_mov_b64 s[0:1], -1
	s_mov_b64 s[34:35], 0
	s_waitcnt vmcnt(0)
	v_cmp_ne_u16_e32 vcc, 0, v2
	v_cndmask_b32_e64 v2, 0, 1, vcc
	s_branch .LBB339_584
.LBB339_583:
	s_mov_b64 s[34:35], -1
                                        ; implicit-def: $vgpr2
.LBB339_584:
	s_mov_b64 s[36:37], 0
.LBB339_585:
	s_and_b64 vcc, exec, s[36:37]
	s_cbranch_vccz .LBB339_634
; %bb.586:
	s_cmp_lt_i32 s38, 5
	s_cbranch_scc1 .LBB339_591
; %bb.587:
	s_cmp_lt_i32 s38, 8
	s_cbranch_scc1 .LBB339_592
	;; [unrolled: 3-line block ×3, first 2 shown]
; %bb.589:
	s_cmp_gt_i32 s38, 9
	s_cbranch_scc0 .LBB339_594
; %bb.590:
	global_load_dwordx2 v[2:3], v[0:1], off
	s_mov_b64 s[0:1], 0
	s_waitcnt vmcnt(0)
	v_cvt_u32_f64_e32 v2, v[2:3]
	s_branch .LBB339_595
.LBB339_591:
	s_mov_b64 s[0:1], -1
                                        ; implicit-def: $vgpr2
	s_branch .LBB339_613
.LBB339_592:
	s_mov_b64 s[0:1], -1
                                        ; implicit-def: $vgpr2
	s_branch .LBB339_601
.LBB339_593:
	s_mov_b64 s[0:1], -1
                                        ; implicit-def: $vgpr2
	s_branch .LBB339_598
.LBB339_594:
	s_mov_b64 s[0:1], -1
                                        ; implicit-def: $vgpr2
.LBB339_595:
	s_andn2_b64 vcc, exec, s[0:1]
	s_cbranch_vccnz .LBB339_597
; %bb.596:
	global_load_dword v2, v[0:1], off
	s_waitcnt vmcnt(0)
	v_cvt_u32_f32_e32 v2, v2
.LBB339_597:
	s_mov_b64 s[0:1], 0
.LBB339_598:
	s_andn2_b64 vcc, exec, s[0:1]
	s_cbranch_vccnz .LBB339_600
; %bb.599:
	global_load_dword v2, v[0:1], off
	s_waitcnt vmcnt(0)
	v_cvt_u16_f16_e32 v2, v2
.LBB339_600:
	s_mov_b64 s[0:1], 0
.LBB339_601:
	s_andn2_b64 vcc, exec, s[0:1]
	s_cbranch_vccnz .LBB339_612
; %bb.602:
	s_cmp_lt_i32 s38, 6
	s_cbranch_scc1 .LBB339_605
; %bb.603:
	s_cmp_gt_i32 s38, 6
	s_cbranch_scc0 .LBB339_606
; %bb.604:
	global_load_dwordx2 v[2:3], v[0:1], off
	s_mov_b64 s[0:1], 0
	s_waitcnt vmcnt(0)
	v_cvt_u32_f64_e32 v2, v[2:3]
	s_branch .LBB339_607
.LBB339_605:
	s_mov_b64 s[0:1], -1
                                        ; implicit-def: $vgpr2
	s_branch .LBB339_610
.LBB339_606:
	s_mov_b64 s[0:1], -1
                                        ; implicit-def: $vgpr2
.LBB339_607:
	s_andn2_b64 vcc, exec, s[0:1]
	s_cbranch_vccnz .LBB339_609
; %bb.608:
	global_load_dword v2, v[0:1], off
	s_waitcnt vmcnt(0)
	v_cvt_u32_f32_e32 v2, v2
.LBB339_609:
	s_mov_b64 s[0:1], 0
.LBB339_610:
	s_andn2_b64 vcc, exec, s[0:1]
	s_cbranch_vccnz .LBB339_612
; %bb.611:
	global_load_ushort v2, v[0:1], off
	s_waitcnt vmcnt(0)
	v_cvt_u16_f16_e32 v2, v2
.LBB339_612:
	s_mov_b64 s[0:1], 0
.LBB339_613:
	s_andn2_b64 vcc, exec, s[0:1]
	s_cbranch_vccnz .LBB339_633
; %bb.614:
	s_cmp_lt_i32 s38, 2
	s_cbranch_scc1 .LBB339_618
; %bb.615:
	s_cmp_lt_i32 s38, 3
	s_cbranch_scc1 .LBB339_619
; %bb.616:
	s_cmp_gt_i32 s38, 3
	s_cbranch_scc0 .LBB339_620
; %bb.617:
	global_load_dwordx2 v[2:3], v[0:1], off
	s_mov_b64 s[0:1], 0
	s_branch .LBB339_621
.LBB339_618:
	s_mov_b64 s[0:1], -1
                                        ; implicit-def: $vgpr2
	s_branch .LBB339_627
.LBB339_619:
	s_mov_b64 s[0:1], -1
                                        ; implicit-def: $vgpr2
	s_branch .LBB339_624
.LBB339_620:
	s_mov_b64 s[0:1], -1
                                        ; implicit-def: $vgpr2
.LBB339_621:
	s_andn2_b64 vcc, exec, s[0:1]
	s_cbranch_vccnz .LBB339_623
; %bb.622:
	global_load_dword v2, v[0:1], off
.LBB339_623:
	s_mov_b64 s[0:1], 0
.LBB339_624:
	s_andn2_b64 vcc, exec, s[0:1]
	s_cbranch_vccnz .LBB339_626
; %bb.625:
	global_load_ushort v2, v[0:1], off
.LBB339_626:
	s_mov_b64 s[0:1], 0
.LBB339_627:
	s_andn2_b64 vcc, exec, s[0:1]
	s_cbranch_vccnz .LBB339_633
; %bb.628:
	s_cmp_gt_i32 s38, 0
	s_cbranch_scc0 .LBB339_630
; %bb.629:
	global_load_sbyte v2, v[0:1], off
	s_mov_b64 s[0:1], 0
	s_branch .LBB339_631
.LBB339_630:
	s_mov_b64 s[0:1], -1
                                        ; implicit-def: $vgpr2
.LBB339_631:
	s_andn2_b64 vcc, exec, s[0:1]
	s_cbranch_vccnz .LBB339_633
; %bb.632:
	global_load_ubyte v2, v[0:1], off
.LBB339_633:
	s_mov_b64 s[0:1], -1
.LBB339_634:
	s_andn2_b64 vcc, exec, s[0:1]
	s_cbranch_vccnz .LBB339_642
; %bb.635:
	v_mul_lo_u32 v0, v9, s12
	s_waitcnt vmcnt(0)
	v_cmp_ne_u16_e32 vcc, s2, v2
	v_mov_b32_e32 v1, s9
	s_xor_b64 s[36:37], s[16:17], vcc
	v_ashrrev_i32_e32 v2, 31, v0
	s_and_b32 s44, s3, 0xff
	v_add_co_u32_e32 v0, vcc, s8, v0
	s_cmp_lt_i32 s44, 11
	v_addc_co_u32_e32 v1, vcc, v1, v2, vcc
	s_cbranch_scc1 .LBB339_643
; %bb.636:
	s_and_b32 s45, 0xffff, s44
	s_cmp_gt_i32 s45, 25
	s_cbranch_scc0 .LBB339_644
; %bb.637:
	s_cmp_gt_i32 s45, 28
	s_cbranch_scc0 .LBB339_645
; %bb.638:
	;; [unrolled: 3-line block ×4, first 2 shown]
	s_mov_b64 s[40:41], 0
	s_mov_b64 s[0:1], -1
	s_cmp_eq_u32 s45, 46
	s_mov_b64 s[38:39], 0
	s_cbranch_scc0 .LBB339_648
; %bb.641:
	v_cndmask_b32_e64 v2, 0, 1.0, s[36:37]
	v_bfe_u32 v3, v2, 16, 1
	s_movk_i32 s0, 0x7fff
	v_add3_u32 v2, v2, v3, s0
	v_lshrrev_b32_e32 v2, 16, v2
	global_store_dword v[0:1], v2, off
	s_mov_b64 s[38:39], -1
	s_mov_b64 s[0:1], 0
	s_branch .LBB339_648
.LBB339_642:
	s_mov_b64 s[38:39], 0
                                        ; implicit-def: $vgpr9
	s_mov_b64 s[0:1], s[26:27]
	s_branch .LBB339_759
.LBB339_643:
	s_mov_b64 s[40:41], -1
	s_mov_b64 s[38:39], 0
	s_mov_b64 s[0:1], s[26:27]
	s_branch .LBB339_717
.LBB339_644:
	s_mov_b64 s[40:41], -1
	s_mov_b64 s[38:39], 0
	s_mov_b64 s[0:1], s[26:27]
	s_branch .LBB339_675
.LBB339_645:
	s_mov_b64 s[40:41], -1
	s_mov_b64 s[38:39], 0
	s_mov_b64 s[0:1], s[26:27]
	s_branch .LBB339_658
.LBB339_646:
	s_mov_b64 s[40:41], -1
	s_mov_b64 s[38:39], 0
	s_mov_b64 s[0:1], s[26:27]
	s_branch .LBB339_654
.LBB339_647:
	s_mov_b64 s[40:41], -1
	s_mov_b64 s[38:39], 0
	s_mov_b64 s[0:1], s[26:27]
.LBB339_648:
	s_and_b64 vcc, exec, s[40:41]
	s_cbranch_vccz .LBB339_653
; %bb.649:
	s_cmp_eq_u32 s45, 44
	s_mov_b64 s[0:1], -1
	s_cbranch_scc0 .LBB339_653
; %bb.650:
	v_cndmask_b32_e64 v3, 0, 1.0, s[36:37]
	v_lshrrev_b32_e32 v2, 23, v3
	s_movk_i32 s0, 0xff
	v_cmp_ne_u32_e32 vcc, s0, v2
	v_mov_b32_e32 v4, 0xff
	s_and_saveexec_b64 s[38:39], vcc
; %bb.651:
	s_mov_b32 s0, 0x3fffff
	v_and_b32_e32 v4, 0x400000, v3
	v_and_or_b32 v3, v3, s0, v2
	v_cmp_ne_u32_e32 vcc, 0, v4
	v_cmp_ne_u32_e64 s[0:1], 0, v3
	s_and_b64 s[0:1], vcc, s[0:1]
	v_cndmask_b32_e64 v3, 0, 1, s[0:1]
	v_add_u32_e32 v4, v2, v3
; %bb.652:
	s_or_b64 exec, exec, s[38:39]
	s_mov_b64 s[38:39], -1
	s_mov_b64 s[0:1], 0
	global_store_byte v[0:1], v4, off
.LBB339_653:
	s_mov_b64 s[40:41], 0
.LBB339_654:
	s_and_b64 vcc, exec, s[40:41]
	s_cbranch_vccz .LBB339_657
; %bb.655:
	s_cmp_eq_u32 s45, 29
	s_mov_b64 s[0:1], -1
	s_cbranch_scc0 .LBB339_657
; %bb.656:
	s_mov_b32 s0, 0
	v_cndmask_b32_e64 v2, 0, 1, s[36:37]
	v_mov_b32_e32 v3, s0
	global_store_dwordx2 v[0:1], v[2:3], off
	s_mov_b64 s[38:39], -1
	s_mov_b64 s[0:1], 0
.LBB339_657:
	s_mov_b64 s[40:41], 0
.LBB339_658:
	s_and_b64 vcc, exec, s[40:41]
	s_cbranch_vccz .LBB339_674
; %bb.659:
	s_cmp_lt_i32 s45, 27
	s_mov_b64 s[38:39], -1
	s_cbranch_scc1 .LBB339_665
; %bb.660:
	s_cmp_gt_i32 s45, 27
	s_cbranch_scc0 .LBB339_662
; %bb.661:
	v_cndmask_b32_e64 v2, 0, 1, s[36:37]
	s_mov_b64 s[38:39], 0
	global_store_dword v[0:1], v2, off
.LBB339_662:
	s_andn2_b64 vcc, exec, s[38:39]
	s_cbranch_vccnz .LBB339_664
; %bb.663:
	v_cndmask_b32_e64 v2, 0, 1, s[36:37]
	global_store_short v[0:1], v2, off
.LBB339_664:
	s_mov_b64 s[38:39], 0
.LBB339_665:
	s_andn2_b64 vcc, exec, s[38:39]
	s_cbranch_vccnz .LBB339_673
; %bb.666:
	v_cndmask_b32_e64 v3, 0, 1.0, s[36:37]
	s_mov_b32 s38, 0x43800000
	v_cmp_gt_u32_e32 vcc, s38, v3
	v_mov_b32_e32 v4, 0x80
	s_and_saveexec_b64 s[38:39], vcc
	s_cbranch_execz .LBB339_672
; %bb.667:
	s_mov_b32 s40, 0x3bffffff
	v_cmp_lt_u32_e32 vcc, s40, v3
	s_mov_b64 s[40:41], 0
                                        ; implicit-def: $vgpr2
	s_and_saveexec_b64 s[42:43], vcc
	s_xor_b64 s[42:43], exec, s[42:43]
	s_cbranch_execz .LBB339_773
; %bb.668:
	v_bfe_u32 v2, v3, 20, 1
	s_mov_b32 s46, 0x487ffff
	v_add3_u32 v2, v3, v2, s46
	s_mov_b64 s[40:41], exec
	v_lshrrev_b32_e32 v2, 20, v2
                                        ; implicit-def: $vgpr3
	s_andn2_saveexec_b64 s[42:43], s[42:43]
	s_cbranch_execnz .LBB339_774
.LBB339_669:
	s_or_b64 exec, exec, s[42:43]
	v_mov_b32_e32 v4, 0
	s_and_saveexec_b64 s[42:43], s[40:41]
.LBB339_670:
	v_mov_b32_e32 v4, v2
.LBB339_671:
	s_or_b64 exec, exec, s[42:43]
.LBB339_672:
	s_or_b64 exec, exec, s[38:39]
	global_store_byte v[0:1], v4, off
.LBB339_673:
	s_mov_b64 s[38:39], -1
.LBB339_674:
	s_mov_b64 s[40:41], 0
.LBB339_675:
	s_and_b64 vcc, exec, s[40:41]
	s_cbranch_vccz .LBB339_716
; %bb.676:
	s_cmp_gt_i32 s45, 22
	s_mov_b64 s[40:41], -1
	s_cbranch_scc0 .LBB339_708
; %bb.677:
	s_cmp_lt_i32 s45, 24
	s_mov_b64 s[38:39], -1
	s_cbranch_scc1 .LBB339_697
; %bb.678:
	s_cmp_gt_i32 s45, 24
	s_cbranch_scc0 .LBB339_686
; %bb.679:
	v_cndmask_b32_e64 v3, 0, 1.0, s[36:37]
	s_mov_b32 s38, 0x47800000
	v_cmp_gt_u32_e32 vcc, s38, v3
	v_mov_b32_e32 v4, 0x80
	s_and_saveexec_b64 s[38:39], vcc
	s_cbranch_execz .LBB339_685
; %bb.680:
	s_mov_b32 s40, 0x37ffffff
	v_cmp_lt_u32_e32 vcc, s40, v3
	s_mov_b64 s[40:41], 0
                                        ; implicit-def: $vgpr2
	s_and_saveexec_b64 s[42:43], vcc
	s_xor_b64 s[42:43], exec, s[42:43]
	s_cbranch_execz .LBB339_776
; %bb.681:
	v_bfe_u32 v2, v3, 21, 1
	s_mov_b32 s46, 0x88fffff
	v_add3_u32 v2, v3, v2, s46
	s_mov_b64 s[40:41], exec
	v_lshrrev_b32_e32 v2, 21, v2
                                        ; implicit-def: $vgpr3
	s_andn2_saveexec_b64 s[42:43], s[42:43]
	s_cbranch_execnz .LBB339_777
.LBB339_682:
	s_or_b64 exec, exec, s[42:43]
	v_mov_b32_e32 v4, 0
	s_and_saveexec_b64 s[42:43], s[40:41]
.LBB339_683:
	v_mov_b32_e32 v4, v2
.LBB339_684:
	s_or_b64 exec, exec, s[42:43]
.LBB339_685:
	s_or_b64 exec, exec, s[38:39]
	s_mov_b64 s[38:39], 0
	global_store_byte v[0:1], v4, off
.LBB339_686:
	s_and_b64 vcc, exec, s[38:39]
	s_cbranch_vccz .LBB339_696
; %bb.687:
	v_cndmask_b32_e64 v2, 0, 1.0, s[36:37]
	s_mov_b32 s38, 0x43f00000
	v_cmp_gt_u32_e32 vcc, s38, v2
                                        ; implicit-def: $vgpr3
	s_and_saveexec_b64 s[38:39], vcc
	s_xor_b64 s[38:39], exec, s[38:39]
	s_cbranch_execz .LBB339_693
; %bb.688:
	s_mov_b32 s40, 0x3c7fffff
	v_cmp_lt_u32_e32 vcc, s40, v2
                                        ; implicit-def: $vgpr3
	s_and_saveexec_b64 s[40:41], vcc
	s_xor_b64 s[40:41], exec, s[40:41]
; %bb.689:
	v_bfe_u32 v3, v2, 20, 1
	s_mov_b32 s42, 0x407ffff
	v_add3_u32 v2, v2, v3, s42
	v_lshrrev_b32_e32 v3, 20, v2
	v_and_b32_e32 v2, 0xff00000, v2
	s_mov_b32 s42, 0x7f00000
	v_mov_b32_e32 v4, 0x7e
	v_cmp_ne_u32_e32 vcc, s42, v2
	v_cndmask_b32_e32 v3, v4, v3, vcc
                                        ; implicit-def: $vgpr2
; %bb.690:
	s_andn2_saveexec_b64 s[40:41], s[40:41]
; %bb.691:
	v_add_f32_e32 v3, 0x46800000, v2
; %bb.692:
	s_or_b64 exec, exec, s[40:41]
                                        ; implicit-def: $vgpr2
.LBB339_693:
	s_andn2_saveexec_b64 s[38:39], s[38:39]
; %bb.694:
	s_mov_b32 s40, 0x7f800000
	v_mov_b32_e32 v3, 0x7e
	v_mov_b32_e32 v4, 0x7f
	v_cmp_lt_u32_e32 vcc, s40, v2
	v_cndmask_b32_e32 v3, v3, v4, vcc
; %bb.695:
	s_or_b64 exec, exec, s[38:39]
	global_store_byte v[0:1], v3, off
.LBB339_696:
	s_mov_b64 s[38:39], 0
.LBB339_697:
	s_andn2_b64 vcc, exec, s[38:39]
	s_cbranch_vccnz .LBB339_707
; %bb.698:
	v_cndmask_b32_e64 v2, 0, 1.0, s[36:37]
	s_mov_b32 s38, 0x47800000
	v_cmp_gt_u32_e32 vcc, s38, v2
                                        ; implicit-def: $vgpr3
	s_and_saveexec_b64 s[38:39], vcc
	s_xor_b64 s[38:39], exec, s[38:39]
	s_cbranch_execz .LBB339_704
; %bb.699:
	s_mov_b32 s40, 0x387fffff
	v_cmp_lt_u32_e32 vcc, s40, v2
                                        ; implicit-def: $vgpr3
	s_and_saveexec_b64 s[40:41], vcc
	s_xor_b64 s[40:41], exec, s[40:41]
; %bb.700:
	v_bfe_u32 v3, v2, 21, 1
	s_mov_b32 s42, 0x80fffff
	v_add3_u32 v2, v2, v3, s42
	v_lshrrev_b32_e32 v3, 21, v2
                                        ; implicit-def: $vgpr2
; %bb.701:
	s_andn2_saveexec_b64 s[40:41], s[40:41]
; %bb.702:
	v_add_f32_e32 v3, 0x43000000, v2
; %bb.703:
	s_or_b64 exec, exec, s[40:41]
                                        ; implicit-def: $vgpr2
.LBB339_704:
	s_andn2_saveexec_b64 s[38:39], s[38:39]
; %bb.705:
	s_mov_b32 s40, 0x7f800000
	v_mov_b32_e32 v3, 0x7c
	v_mov_b32_e32 v4, 0x7f
	v_cmp_lt_u32_e32 vcc, s40, v2
	v_cndmask_b32_e32 v3, v3, v4, vcc
; %bb.706:
	s_or_b64 exec, exec, s[38:39]
	global_store_byte v[0:1], v3, off
.LBB339_707:
	s_mov_b64 s[40:41], 0
	s_mov_b64 s[38:39], -1
.LBB339_708:
	s_andn2_b64 vcc, exec, s[40:41]
	s_cbranch_vccnz .LBB339_716
; %bb.709:
	s_cmp_gt_i32 s45, 14
	s_mov_b64 s[40:41], -1
	s_cbranch_scc0 .LBB339_713
; %bb.710:
	s_cmp_eq_u32 s45, 15
	s_mov_b64 s[0:1], -1
	s_cbranch_scc0 .LBB339_712
; %bb.711:
	v_cndmask_b32_e64 v2, 0, 1.0, s[36:37]
	v_bfe_u32 v3, v2, 16, 1
	s_movk_i32 s0, 0x7fff
	v_add3_u32 v2, v2, v3, s0
	global_store_short_d16_hi v[0:1], v2, off
	s_mov_b64 s[38:39], -1
	s_mov_b64 s[0:1], 0
.LBB339_712:
	s_mov_b64 s[40:41], 0
.LBB339_713:
	s_and_b64 vcc, exec, s[40:41]
	s_cbranch_vccz .LBB339_716
; %bb.714:
	s_cmp_eq_u32 s45, 11
	s_mov_b64 s[0:1], -1
	s_cbranch_scc0 .LBB339_716
; %bb.715:
	v_cndmask_b32_e64 v2, 0, 1, s[36:37]
	s_mov_b64 s[38:39], -1
	s_mov_b64 s[0:1], 0
	global_store_byte v[0:1], v2, off
.LBB339_716:
	s_mov_b64 s[40:41], 0
.LBB339_717:
	s_and_b64 vcc, exec, s[40:41]
	s_cbranch_vccz .LBB339_756
; %bb.718:
	s_and_b32 s40, 0xffff, s44
	s_cmp_lt_i32 s40, 5
	s_mov_b64 s[38:39], -1
	s_cbranch_scc1 .LBB339_739
; %bb.719:
	s_cmp_lt_i32 s40, 8
	s_cbranch_scc1 .LBB339_729
; %bb.720:
	s_cmp_lt_i32 s40, 9
	s_cbranch_scc1 .LBB339_726
; %bb.721:
	s_cmp_gt_i32 s40, 9
	s_cbranch_scc0 .LBB339_723
; %bb.722:
	v_cndmask_b32_e64 v2, 0, 1, s[36:37]
	v_cvt_f64_u32_e32 v[2:3], v2
	v_mov_b32_e32 v4, 0
	v_mov_b32_e32 v5, v4
	s_mov_b64 s[38:39], 0
	global_store_dwordx4 v[0:1], v[2:5], off
.LBB339_723:
	s_andn2_b64 vcc, exec, s[38:39]
	s_cbranch_vccnz .LBB339_725
; %bb.724:
	v_cndmask_b32_e64 v2, 0, 1.0, s[36:37]
	v_mov_b32_e32 v3, 0
	global_store_dwordx2 v[0:1], v[2:3], off
.LBB339_725:
	s_mov_b64 s[38:39], 0
.LBB339_726:
	s_andn2_b64 vcc, exec, s[38:39]
	s_cbranch_vccnz .LBB339_728
; %bb.727:
	v_cndmask_b32_e64 v2, 0, 1.0, s[36:37]
	v_cvt_f16_f32_e32 v2, v2
	global_store_dword v[0:1], v2, off
.LBB339_728:
	s_mov_b64 s[38:39], 0
.LBB339_729:
	s_andn2_b64 vcc, exec, s[38:39]
	s_cbranch_vccnz .LBB339_738
; %bb.730:
	s_cmp_lt_i32 s40, 6
	s_mov_b64 s[38:39], -1
	s_cbranch_scc1 .LBB339_736
; %bb.731:
	s_cmp_gt_i32 s40, 6
	s_cbranch_scc0 .LBB339_733
; %bb.732:
	v_cndmask_b32_e64 v2, 0, 1, s[36:37]
	v_cvt_f64_u32_e32 v[2:3], v2
	s_mov_b64 s[38:39], 0
	global_store_dwordx2 v[0:1], v[2:3], off
.LBB339_733:
	s_andn2_b64 vcc, exec, s[38:39]
	s_cbranch_vccnz .LBB339_735
; %bb.734:
	v_cndmask_b32_e64 v2, 0, 1.0, s[36:37]
	global_store_dword v[0:1], v2, off
.LBB339_735:
	s_mov_b64 s[38:39], 0
.LBB339_736:
	s_andn2_b64 vcc, exec, s[38:39]
	s_cbranch_vccnz .LBB339_738
; %bb.737:
	v_cndmask_b32_e64 v2, 0, 1.0, s[36:37]
	v_cvt_f16_f32_e32 v2, v2
	global_store_short v[0:1], v2, off
.LBB339_738:
	s_mov_b64 s[38:39], 0
.LBB339_739:
	s_andn2_b64 vcc, exec, s[38:39]
	s_cbranch_vccnz .LBB339_755
; %bb.740:
	s_cmp_lt_i32 s40, 2
	s_mov_b64 s[38:39], -1
	s_cbranch_scc1 .LBB339_750
; %bb.741:
	s_cmp_lt_i32 s40, 3
	s_cbranch_scc1 .LBB339_747
; %bb.742:
	s_cmp_gt_i32 s40, 3
	s_cbranch_scc0 .LBB339_744
; %bb.743:
	s_mov_b32 s38, 0
	v_cndmask_b32_e64 v2, 0, 1, s[36:37]
	v_mov_b32_e32 v3, s38
	s_mov_b64 s[38:39], 0
	global_store_dwordx2 v[0:1], v[2:3], off
.LBB339_744:
	s_andn2_b64 vcc, exec, s[38:39]
	s_cbranch_vccnz .LBB339_746
; %bb.745:
	v_cndmask_b32_e64 v2, 0, 1, s[36:37]
	global_store_dword v[0:1], v2, off
.LBB339_746:
	s_mov_b64 s[38:39], 0
.LBB339_747:
	s_andn2_b64 vcc, exec, s[38:39]
	s_cbranch_vccnz .LBB339_749
; %bb.748:
	v_cndmask_b32_e64 v2, 0, 1, s[36:37]
	global_store_short v[0:1], v2, off
.LBB339_749:
	s_mov_b64 s[38:39], 0
.LBB339_750:
	s_andn2_b64 vcc, exec, s[38:39]
	s_cbranch_vccnz .LBB339_755
; %bb.751:
	s_mov_b64 s[38:39], -1
	s_cmp_gt_i32 s40, 0
	v_cndmask_b32_e64 v2, 0, 1, s[36:37]
	s_cbranch_scc0 .LBB339_753
; %bb.752:
	s_mov_b64 s[38:39], 0
	global_store_byte v[0:1], v2, off
.LBB339_753:
	s_andn2_b64 vcc, exec, s[38:39]
	s_cbranch_vccnz .LBB339_755
; %bb.754:
	global_store_byte v[0:1], v2, off
.LBB339_755:
	s_mov_b64 s[38:39], -1
.LBB339_756:
	s_andn2_b64 vcc, exec, s[38:39]
	s_cbranch_vccnz .LBB339_758
; %bb.757:
	v_add_u32_e32 v9, 0x80, v9
	s_mov_b64 s[38:39], -1
	s_branch .LBB339_759
.LBB339_758:
	s_mov_b64 s[38:39], 0
                                        ; implicit-def: $vgpr9
.LBB339_759:
	s_andn2_b64 s[36:37], s[26:27], exec
	s_and_b64 s[0:1], s[0:1], exec
	s_or_b64 s[36:37], s[36:37], s[0:1]
	s_andn2_b64 s[0:1], s[24:25], exec
	s_and_b64 s[34:35], s[34:35], exec
	s_or_b64 s[0:1], s[0:1], s[34:35]
	s_orn2_b64 s[40:41], s[38:39], exec
.LBB339_760:
	s_or_b64 exec, exec, s[30:31]
	s_mov_b64 s[38:39], 0
	s_mov_b64 s[34:35], 0
	s_mov_b64 s[42:43], 0
                                        ; implicit-def: $vgpr0_vgpr1
                                        ; implicit-def: $vgpr2
	s_and_saveexec_b64 s[30:31], s[40:41]
	s_cbranch_execz .LBB339_841
; %bb.761:
	v_cmp_gt_i32_e32 vcc, s33, v9
	s_mov_b64 s[40:41], 0
	s_mov_b64 s[44:45], s[0:1]
	;; [unrolled: 1-line block ×3, first 2 shown]
                                        ; implicit-def: $vgpr0_vgpr1
                                        ; implicit-def: $vgpr2
	s_and_saveexec_b64 s[34:35], vcc
	s_cbranch_execz .LBB339_840
; %bb.762:
	v_mul_lo_u32 v0, v9, s13
	v_mov_b32_e32 v1, s11
	s_and_b32 s33, 0xffff, s15
	s_cmp_lt_i32 s33, 11
	s_waitcnt vmcnt(0)
	v_ashrrev_i32_e32 v2, 31, v0
	v_add_co_u32_e32 v0, vcc, s10, v0
	v_addc_co_u32_e32 v1, vcc, v1, v2, vcc
	s_cbranch_scc1 .LBB339_769
; %bb.763:
	s_cmp_gt_i32 s33, 25
	s_cbranch_scc0 .LBB339_770
; %bb.764:
	s_cmp_gt_i32 s33, 28
	s_cbranch_scc0 .LBB339_771
	;; [unrolled: 3-line block ×4, first 2 shown]
; %bb.767:
	s_cmp_eq_u32 s33, 46
	s_mov_b64 s[44:45], 0
	s_cbranch_scc0 .LBB339_778
; %bb.768:
	global_load_dword v2, v[0:1], off
	s_mov_b64 s[42:43], -1
	s_waitcnt vmcnt(0)
	v_lshlrev_b32_e32 v2, 16, v2
	v_cvt_u32_f32_e32 v2, v2
	s_branch .LBB339_780
.LBB339_769:
	s_mov_b64 s[44:45], -1
                                        ; implicit-def: $vgpr2
	s_mov_b64 s[38:39], s[0:1]
	s_branch .LBB339_839
.LBB339_770:
	s_mov_b64 s[44:45], -1
	s_mov_b64 s[38:39], s[0:1]
                                        ; implicit-def: $vgpr2
	s_branch .LBB339_807
.LBB339_771:
	s_mov_b64 s[44:45], -1
	s_mov_b64 s[38:39], s[0:1]
                                        ; implicit-def: $vgpr2
	s_branch .LBB339_790
.LBB339_772:
	s_mov_b64 s[44:45], -1
	s_mov_b64 s[38:39], s[0:1]
                                        ; implicit-def: $vgpr2
	s_branch .LBB339_785
.LBB339_773:
	s_andn2_saveexec_b64 s[42:43], s[42:43]
	s_cbranch_execz .LBB339_669
.LBB339_774:
	v_add_f32_e32 v2, 0x46000000, v3
	v_and_b32_e32 v2, 0xff, v2
	v_cmp_ne_u32_e32 vcc, 0, v2
	s_andn2_b64 s[40:41], s[40:41], exec
	s_and_b64 s[46:47], vcc, exec
	s_or_b64 s[40:41], s[40:41], s[46:47]
	s_or_b64 exec, exec, s[42:43]
	v_mov_b32_e32 v4, 0
	s_and_saveexec_b64 s[42:43], s[40:41]
	s_cbranch_execnz .LBB339_670
	s_branch .LBB339_671
.LBB339_775:
	s_mov_b64 s[44:45], -1
	s_mov_b64 s[38:39], s[0:1]
	s_branch .LBB339_779
.LBB339_776:
	s_andn2_saveexec_b64 s[42:43], s[42:43]
	s_cbranch_execz .LBB339_682
.LBB339_777:
	v_add_f32_e32 v2, 0x42800000, v3
	v_and_b32_e32 v2, 0xff, v2
	v_cmp_ne_u32_e32 vcc, 0, v2
	s_andn2_b64 s[40:41], s[40:41], exec
	s_and_b64 s[46:47], vcc, exec
	s_or_b64 s[40:41], s[40:41], s[46:47]
	s_or_b64 exec, exec, s[42:43]
	v_mov_b32_e32 v4, 0
	s_and_saveexec_b64 s[42:43], s[40:41]
	s_cbranch_execnz .LBB339_683
	s_branch .LBB339_684
.LBB339_778:
	s_mov_b64 s[38:39], -1
.LBB339_779:
                                        ; implicit-def: $vgpr2
.LBB339_780:
	s_and_b64 vcc, exec, s[44:45]
	s_cbranch_vccz .LBB339_784
; %bb.781:
	s_cmp_eq_u32 s33, 44
	s_cbranch_scc0 .LBB339_783
; %bb.782:
	global_load_ubyte v2, v[0:1], off
	s_mov_b64 s[38:39], 0
	s_mov_b64 s[42:43], -1
	s_waitcnt vmcnt(0)
	v_lshlrev_b32_e32 v3, 23, v2
	v_cvt_u32_f32_e32 v3, v3
	v_cmp_ne_u32_e32 vcc, 0, v2
	v_cndmask_b32_e32 v2, 0, v3, vcc
	s_branch .LBB339_784
.LBB339_783:
	s_mov_b64 s[38:39], -1
                                        ; implicit-def: $vgpr2
.LBB339_784:
	s_mov_b64 s[44:45], 0
.LBB339_785:
	s_and_b64 vcc, exec, s[44:45]
	s_cbranch_vccz .LBB339_789
; %bb.786:
	s_cmp_eq_u32 s33, 29
	s_cbranch_scc0 .LBB339_788
; %bb.787:
	global_load_dwordx2 v[2:3], v[0:1], off
	s_mov_b64 s[38:39], 0
	s_mov_b64 s[42:43], -1
	s_branch .LBB339_789
.LBB339_788:
	s_mov_b64 s[38:39], -1
                                        ; implicit-def: $vgpr2
.LBB339_789:
	s_mov_b64 s[44:45], 0
.LBB339_790:
	s_and_b64 vcc, exec, s[44:45]
	s_cbranch_vccz .LBB339_806
; %bb.791:
	s_cmp_lt_i32 s33, 27
	s_cbranch_scc1 .LBB339_794
; %bb.792:
	s_cmp_gt_i32 s33, 27
	s_cbranch_scc0 .LBB339_795
; %bb.793:
	global_load_dword v2, v[0:1], off
	s_mov_b64 s[42:43], 0
	s_branch .LBB339_796
.LBB339_794:
	s_mov_b64 s[42:43], -1
                                        ; implicit-def: $vgpr2
	s_branch .LBB339_799
.LBB339_795:
	s_mov_b64 s[42:43], -1
                                        ; implicit-def: $vgpr2
.LBB339_796:
	s_andn2_b64 vcc, exec, s[42:43]
	s_cbranch_vccnz .LBB339_798
; %bb.797:
	global_load_ushort v2, v[0:1], off
.LBB339_798:
	s_mov_b64 s[42:43], 0
.LBB339_799:
	s_andn2_b64 vcc, exec, s[42:43]
	s_cbranch_vccnz .LBB339_805
; %bb.800:
	global_load_ubyte v3, v[0:1], off
	s_movk_i32 s42, 0x7f
	s_mov_b64 s[44:45], 0
	s_waitcnt vmcnt(0)
	v_cmp_lt_i16_e32 vcc, s42, v3
	s_and_saveexec_b64 s[42:43], vcc
	s_xor_b64 s[42:43], exec, s[42:43]
	s_cbranch_execz .LBB339_817
; %bb.801:
	s_movk_i32 s44, 0x80
	v_cmp_ne_u16_e32 vcc, s44, v3
	s_and_b64 s[44:45], vcc, exec
	s_andn2_saveexec_b64 s[42:43], s[42:43]
	s_cbranch_execnz .LBB339_818
.LBB339_802:
	s_or_b64 exec, exec, s[42:43]
	v_mov_b32_e32 v2, 0
	s_and_saveexec_b64 s[42:43], s[44:45]
	s_cbranch_execz .LBB339_804
.LBB339_803:
	v_lshlrev_b32_e32 v2, 24, v3
	v_and_b32_e32 v3, 0xffff, v3
	v_and_b32_e32 v4, 7, v3
	v_ffbh_u32_e32 v6, v4
	v_min_u32_e32 v6, 32, v6
	v_subrev_u32_e32 v7, 28, v6
	v_bfe_u32 v5, v3, 3, 4
	v_lshlrev_b32_e32 v3, v7, v3
	v_sub_u32_e32 v6, 29, v6
	v_and_b32_e32 v3, 7, v3
	v_cmp_eq_u32_e32 vcc, 0, v5
	v_cndmask_b32_e32 v5, v5, v6, vcc
	v_cndmask_b32_e32 v3, v4, v3, vcc
	v_mov_b32_e32 v4, 0x3b800000
	v_lshlrev_b32_e32 v3, 20, v3
	v_and_b32_e32 v2, 0x80000000, v2
	v_lshl_add_u32 v4, v5, 23, v4
	v_or3_b32 v2, v2, v4, v3
	v_cvt_u32_f32_e32 v2, v2
.LBB339_804:
	s_or_b64 exec, exec, s[42:43]
.LBB339_805:
	s_mov_b64 s[42:43], -1
.LBB339_806:
	s_mov_b64 s[44:45], 0
.LBB339_807:
	s_and_b64 vcc, exec, s[44:45]
	s_cbranch_vccz .LBB339_838
; %bb.808:
	s_cmp_gt_i32 s33, 22
	s_cbranch_scc0 .LBB339_816
; %bb.809:
	s_cmp_lt_i32 s33, 24
	s_cbranch_scc1 .LBB339_819
; %bb.810:
	s_cmp_gt_i32 s33, 24
	s_cbranch_scc0 .LBB339_820
; %bb.811:
	global_load_ubyte v3, v[0:1], off
	s_movk_i32 s40, 0x7f
	s_mov_b64 s[42:43], 0
	s_waitcnt vmcnt(0)
	v_cmp_lt_i16_e32 vcc, s40, v3
	s_and_saveexec_b64 s[40:41], vcc
	s_xor_b64 s[40:41], exec, s[40:41]
	s_cbranch_execz .LBB339_832
; %bb.812:
	s_movk_i32 s42, 0x80
	v_cmp_ne_u16_e32 vcc, s42, v3
	s_and_b64 s[42:43], vcc, exec
	s_andn2_saveexec_b64 s[40:41], s[40:41]
	s_cbranch_execnz .LBB339_833
.LBB339_813:
	s_or_b64 exec, exec, s[40:41]
	v_mov_b32_e32 v2, 0
	s_and_saveexec_b64 s[40:41], s[42:43]
	s_cbranch_execz .LBB339_815
.LBB339_814:
	v_lshlrev_b32_e32 v2, 24, v3
	v_and_b32_e32 v3, 0xffff, v3
	v_and_b32_e32 v4, 3, v3
	v_ffbh_u32_e32 v6, v4
	v_min_u32_e32 v6, 32, v6
	v_subrev_u32_e32 v7, 29, v6
	v_bfe_u32 v5, v3, 2, 5
	v_lshlrev_b32_e32 v3, v7, v3
	v_sub_u32_e32 v6, 30, v6
	v_and_b32_e32 v3, 3, v3
	v_cmp_eq_u32_e32 vcc, 0, v5
	v_cndmask_b32_e32 v5, v5, v6, vcc
	v_cndmask_b32_e32 v3, v4, v3, vcc
	v_mov_b32_e32 v4, 0x37800000
	v_lshlrev_b32_e32 v3, 21, v3
	v_and_b32_e32 v2, 0x80000000, v2
	v_lshl_add_u32 v4, v5, 23, v4
	v_or3_b32 v2, v2, v4, v3
	v_cvt_u32_f32_e32 v2, v2
.LBB339_815:
	s_or_b64 exec, exec, s[40:41]
	s_mov_b64 s[40:41], 0
	s_branch .LBB339_821
.LBB339_816:
	s_mov_b64 s[40:41], -1
                                        ; implicit-def: $vgpr2
	s_branch .LBB339_827
.LBB339_817:
	s_andn2_saveexec_b64 s[42:43], s[42:43]
	s_cbranch_execz .LBB339_802
.LBB339_818:
	v_cmp_ne_u16_e32 vcc, 0, v3
	s_andn2_b64 s[44:45], s[44:45], exec
	s_and_b64 s[46:47], vcc, exec
	s_or_b64 s[44:45], s[44:45], s[46:47]
	s_or_b64 exec, exec, s[42:43]
	v_mov_b32_e32 v2, 0
	s_and_saveexec_b64 s[42:43], s[44:45]
	s_cbranch_execnz .LBB339_803
	s_branch .LBB339_804
.LBB339_819:
	s_mov_b64 s[40:41], -1
                                        ; implicit-def: $vgpr2
	s_branch .LBB339_824
.LBB339_820:
	s_mov_b64 s[40:41], -1
                                        ; implicit-def: $vgpr2
.LBB339_821:
	s_and_b64 vcc, exec, s[40:41]
	s_cbranch_vccz .LBB339_823
; %bb.822:
	global_load_ubyte v2, v[0:1], off
	s_mov_b32 s40, 0x7f800000
	s_waitcnt vmcnt(0)
	v_lshlrev_b32_e32 v2, 24, v2
	v_and_b32_e32 v3, 0x7f000000, v2
	v_ffbh_u32_e32 v4, v3
	v_min_u32_e32 v4, 32, v4
	v_sub_u32_e64 v4, v4, 4 clamp
	v_lshlrev_b32_e32 v6, v4, v3
	v_lshlrev_b32_e32 v4, 23, v4
	v_lshrrev_b32_e32 v6, 4, v6
	v_add_u32_e32 v5, 0x1000000, v3
	v_sub_u32_e32 v4, v6, v4
	v_ashrrev_i32_e32 v5, 8, v5
	v_add_u32_e32 v4, 0x3c000000, v4
	v_and_or_b32 v4, v5, s40, v4
	v_cmp_ne_u32_e32 vcc, 0, v3
	v_cndmask_b32_e32 v3, 0, v4, vcc
	s_brev_b32 s40, 1
	v_and_or_b32 v2, v2, s40, v3
	v_cvt_u32_f32_e32 v2, v2
.LBB339_823:
	s_mov_b64 s[40:41], 0
.LBB339_824:
	s_andn2_b64 vcc, exec, s[40:41]
	s_cbranch_vccnz .LBB339_826
; %bb.825:
	global_load_ubyte v2, v[0:1], off
	s_movk_i32 s40, 0x7f00
	s_brev_b32 s41, 16
	s_waitcnt vmcnt(0)
	v_lshlrev_b16_e32 v3, 8, v2
	v_lshlrev_b32_e32 v2, 25, v2
	v_lshrrev_b32_e32 v4, 4, v2
	v_and_or_b32 v5, v3, s40, 0.5
	v_or_b32_e32 v4, 0x70000000, v4
	v_add_f32_e32 v5, -0.5, v5
	v_mul_f32_e32 v4, 0x7800000, v4
	v_cmp_gt_u32_e32 vcc, s41, v2
	v_bfe_i32 v3, v3, 0, 16
	v_cndmask_b32_e32 v2, v4, v5, vcc
	s_brev_b32 s40, 1
	v_and_or_b32 v2, v3, s40, v2
	v_cvt_u32_f32_e32 v2, v2
.LBB339_826:
	s_mov_b64 s[40:41], 0
	s_mov_b64 s[42:43], -1
.LBB339_827:
	s_andn2_b64 vcc, exec, s[40:41]
	s_mov_b64 s[40:41], 0
	s_cbranch_vccnz .LBB339_838
; %bb.828:
	s_cmp_gt_i32 s33, 14
	s_cbranch_scc0 .LBB339_831
; %bb.829:
	s_cmp_eq_u32 s33, 15
	s_cbranch_scc0 .LBB339_834
; %bb.830:
	global_load_ushort v2, v[0:1], off
	s_mov_b64 s[38:39], 0
	s_mov_b64 s[42:43], -1
	s_waitcnt vmcnt(0)
	v_lshlrev_b32_e32 v2, 16, v2
	v_cvt_u32_f32_e32 v2, v2
	s_branch .LBB339_835
.LBB339_831:
	s_mov_b64 s[44:45], -1
                                        ; implicit-def: $vgpr2
	s_branch .LBB339_836
.LBB339_832:
	s_andn2_saveexec_b64 s[40:41], s[40:41]
	s_cbranch_execz .LBB339_813
.LBB339_833:
	v_cmp_ne_u16_e32 vcc, 0, v3
	s_andn2_b64 s[42:43], s[42:43], exec
	s_and_b64 s[44:45], vcc, exec
	s_or_b64 s[42:43], s[42:43], s[44:45]
	s_or_b64 exec, exec, s[40:41]
	v_mov_b32_e32 v2, 0
	s_and_saveexec_b64 s[40:41], s[42:43]
	s_cbranch_execnz .LBB339_814
	s_branch .LBB339_815
.LBB339_834:
	s_mov_b64 s[38:39], -1
                                        ; implicit-def: $vgpr2
.LBB339_835:
	s_mov_b64 s[44:45], 0
.LBB339_836:
	s_and_b64 vcc, exec, s[44:45]
	s_cbranch_vccz .LBB339_838
; %bb.837:
	s_cmp_lg_u32 s33, 11
	s_cselect_b64 s[44:45], -1, 0
	s_andn2_b64 s[38:39], s[38:39], exec
	s_and_b64 s[44:45], s[44:45], exec
	s_mov_b64 s[40:41], -1
	s_or_b64 s[38:39], s[38:39], s[44:45]
.LBB339_838:
	s_mov_b64 s[44:45], 0
.LBB339_839:
	s_and_b64 s[46:47], s[44:45], exec
	s_andn2_b64 s[44:45], s[0:1], exec
	s_and_b64 s[38:39], s[38:39], exec
	s_and_b64 s[42:43], s[42:43], exec
	s_and_b64 s[40:41], s[40:41], exec
	s_or_b64 s[44:45], s[44:45], s[38:39]
.LBB339_840:
	s_or_b64 exec, exec, s[34:35]
	s_and_b64 s[38:39], s[40:41], exec
	s_andn2_b64 s[0:1], s[0:1], exec
	s_and_b64 s[40:41], s[44:45], exec
	s_and_b64 s[42:43], s[42:43], exec
	;; [unrolled: 1-line block ×3, first 2 shown]
	s_or_b64 s[0:1], s[0:1], s[40:41]
.LBB339_841:
	s_or_b64 exec, exec, s[30:31]
	s_andn2_b64 s[26:27], s[26:27], exec
	s_and_b64 s[30:31], s[36:37], exec
	s_andn2_b64 s[24:25], s[24:25], exec
	s_and_b64 s[0:1], s[0:1], exec
	s_or_b64 s[26:27], s[26:27], s[30:31]
	s_and_b64 s[36:37], s[42:43], exec
	s_and_b64 s[34:35], s[34:35], exec
	;; [unrolled: 1-line block ×3, first 2 shown]
	s_or_b64 s[24:25], s[24:25], s[0:1]
.LBB339_842:
	s_or_b64 exec, exec, s[28:29]
	s_andn2_b64 s[0:1], s[18:19], exec
	s_and_b64 s[18:19], s[26:27], exec
	s_andn2_b64 s[20:21], s[20:21], exec
	s_and_b64 s[24:25], s[24:25], exec
	s_or_b64 s[18:19], s[0:1], s[18:19]
	s_and_b64 s[0:1], s[36:37], exec
	s_and_b64 s[28:29], s[34:35], exec
	s_and_b64 s[26:27], s[30:31], exec
	s_or_b64 s[20:21], s[20:21], s[24:25]
	s_or_b64 exec, exec, s[22:23]
	s_mov_b64 s[22:23], 0
	s_and_saveexec_b64 s[24:25], s[20:21]
	s_cbranch_execz .LBB339_258
.LBB339_843:
	s_mov_b64 s[22:23], exec
	s_andn2_b64 s[26:27], s[26:27], exec
	s_trap 2
	s_or_b64 exec, exec, s[24:25]
	s_and_saveexec_b64 s[20:21], s[26:27]
	s_xor_b64 s[20:21], exec, s[20:21]
	s_cbranch_execnz .LBB339_259
.LBB339_844:
	s_or_b64 exec, exec, s[20:21]
	s_and_saveexec_b64 s[20:21], s[28:29]
	s_cbranch_execz .LBB339_890
.LBB339_845:
	s_sext_i32_i16 s24, s15
	s_cmp_lt_i32 s24, 5
	s_cbranch_scc1 .LBB339_850
; %bb.846:
	s_cmp_lt_i32 s24, 8
	s_cbranch_scc1 .LBB339_851
; %bb.847:
	;; [unrolled: 3-line block ×3, first 2 shown]
	s_cmp_gt_i32 s24, 9
	s_cbranch_scc0 .LBB339_853
; %bb.849:
	global_load_dwordx2 v[2:3], v[0:1], off
	s_mov_b64 s[24:25], 0
	s_waitcnt vmcnt(0)
	v_cvt_u32_f64_e32 v2, v[2:3]
	s_branch .LBB339_854
.LBB339_850:
                                        ; implicit-def: $vgpr2
	s_branch .LBB339_871
.LBB339_851:
                                        ; implicit-def: $vgpr2
	s_branch .LBB339_860
.LBB339_852:
	s_mov_b64 s[24:25], -1
                                        ; implicit-def: $vgpr2
	s_branch .LBB339_857
.LBB339_853:
	s_mov_b64 s[24:25], -1
                                        ; implicit-def: $vgpr2
.LBB339_854:
	s_andn2_b64 vcc, exec, s[24:25]
	s_cbranch_vccnz .LBB339_856
; %bb.855:
	global_load_dword v2, v[0:1], off
	s_waitcnt vmcnt(0)
	v_cvt_u32_f32_e32 v2, v2
.LBB339_856:
	s_mov_b64 s[24:25], 0
.LBB339_857:
	s_andn2_b64 vcc, exec, s[24:25]
	s_cbranch_vccnz .LBB339_859
; %bb.858:
	global_load_dword v2, v[0:1], off
	s_waitcnt vmcnt(0)
	v_cvt_u16_f16_e32 v2, v2
.LBB339_859:
	s_cbranch_execnz .LBB339_870
.LBB339_860:
	s_sext_i32_i16 s24, s15
	s_cmp_lt_i32 s24, 6
	s_cbranch_scc1 .LBB339_863
; %bb.861:
	s_cmp_gt_i32 s24, 6
	s_cbranch_scc0 .LBB339_864
; %bb.862:
	global_load_dwordx2 v[2:3], v[0:1], off
	s_mov_b64 s[24:25], 0
	s_waitcnt vmcnt(0)
	v_cvt_u32_f64_e32 v2, v[2:3]
	s_branch .LBB339_865
.LBB339_863:
	s_mov_b64 s[24:25], -1
                                        ; implicit-def: $vgpr2
	s_branch .LBB339_868
.LBB339_864:
	s_mov_b64 s[24:25], -1
                                        ; implicit-def: $vgpr2
.LBB339_865:
	s_andn2_b64 vcc, exec, s[24:25]
	s_cbranch_vccnz .LBB339_867
; %bb.866:
	global_load_dword v2, v[0:1], off
	s_waitcnt vmcnt(0)
	v_cvt_u32_f32_e32 v2, v2
.LBB339_867:
	s_mov_b64 s[24:25], 0
.LBB339_868:
	s_andn2_b64 vcc, exec, s[24:25]
	s_cbranch_vccnz .LBB339_870
; %bb.869:
	global_load_ushort v2, v[0:1], off
	s_waitcnt vmcnt(0)
	v_cvt_u16_f16_e32 v2, v2
.LBB339_870:
	s_cbranch_execnz .LBB339_889
.LBB339_871:
	s_sext_i32_i16 s24, s15
	s_cmp_lt_i32 s24, 2
	s_cbranch_scc1 .LBB339_875
; %bb.872:
	s_cmp_lt_i32 s24, 3
	s_cbranch_scc1 .LBB339_876
; %bb.873:
	s_cmp_gt_i32 s24, 3
	s_cbranch_scc0 .LBB339_877
; %bb.874:
	global_load_dwordx2 v[2:3], v[0:1], off
	s_mov_b64 s[24:25], 0
	s_branch .LBB339_878
.LBB339_875:
                                        ; implicit-def: $vgpr2
	s_branch .LBB339_884
.LBB339_876:
	s_mov_b64 s[24:25], -1
                                        ; implicit-def: $vgpr2
	s_branch .LBB339_881
.LBB339_877:
	s_mov_b64 s[24:25], -1
                                        ; implicit-def: $vgpr2
.LBB339_878:
	s_andn2_b64 vcc, exec, s[24:25]
	s_cbranch_vccnz .LBB339_880
; %bb.879:
	global_load_dword v2, v[0:1], off
.LBB339_880:
	s_mov_b64 s[24:25], 0
.LBB339_881:
	s_andn2_b64 vcc, exec, s[24:25]
	s_cbranch_vccnz .LBB339_883
; %bb.882:
	global_load_ushort v2, v[0:1], off
.LBB339_883:
	s_cbranch_execnz .LBB339_889
.LBB339_884:
	s_sext_i32_i16 s24, s15
	s_cmp_gt_i32 s24, 0
	s_cbranch_scc0 .LBB339_886
; %bb.885:
	global_load_sbyte v2, v[0:1], off
	s_mov_b64 s[24:25], 0
	s_branch .LBB339_887
.LBB339_886:
	s_mov_b64 s[24:25], -1
                                        ; implicit-def: $vgpr2
.LBB339_887:
	s_andn2_b64 vcc, exec, s[24:25]
	s_cbranch_vccnz .LBB339_889
; %bb.888:
	global_load_ubyte v2, v[0:1], off
.LBB339_889:
	s_or_b64 s[0:1], s[0:1], exec
.LBB339_890:
	s_or_b64 exec, exec, s[20:21]
	s_mov_b64 s[28:29], 0
	s_mov_b64 s[26:27], 0
                                        ; implicit-def: $sgpr20_sgpr21
                                        ; implicit-def: $sgpr33
                                        ; implicit-def: $vgpr0_vgpr1
	s_and_saveexec_b64 s[24:25], s[0:1]
	s_cbranch_execz .LBB339_965
; %bb.891:
	v_mul_lo_u32 v0, v9, s12
	s_waitcnt vmcnt(0)
	v_cmp_ne_u16_e32 vcc, s2, v2
	v_mov_b32_e32 v1, s9
	s_xor_b64 s[20:21], s[16:17], vcc
	v_ashrrev_i32_e32 v2, 31, v0
	s_and_b32 s33, s3, 0xff
	v_add_co_u32_e32 v0, vcc, s8, v0
	s_cmp_lt_i32 s33, 11
	v_addc_co_u32_e32 v1, vcc, v1, v2, vcc
	s_cbranch_scc1 .LBB339_968
; %bb.892:
	s_and_b32 s34, 0xffff, s33
	s_mov_b64 s[26:27], -1
	s_cmp_gt_i32 s34, 25
	s_mov_b64 s[0:1], s[18:19]
	s_cbranch_scc0 .LBB339_925
; %bb.893:
	s_mov_b64 s[16:17], -1
	s_cmp_gt_i32 s34, 28
	s_mov_b64 s[0:1], s[18:19]
	s_cbranch_scc0 .LBB339_909
; %bb.894:
	s_cmp_gt_i32 s34, 43
	s_mov_b64 s[0:1], s[18:19]
	s_cbranch_scc0 .LBB339_905
; %bb.895:
	;; [unrolled: 4-line block ×3, first 2 shown]
	s_cmp_eq_u32 s34, 46
	s_mov_b64 s[0:1], -1
	s_cbranch_scc0 .LBB339_898
; %bb.897:
	v_cndmask_b32_e64 v2, 0, 1.0, s[20:21]
	v_bfe_u32 v3, v2, 16, 1
	s_movk_i32 s0, 0x7fff
	v_add3_u32 v2, v2, v3, s0
	v_lshrrev_b32_e32 v2, 16, v2
	global_store_dword v[0:1], v2, off
	s_mov_b64 s[0:1], 0
.LBB339_898:
	s_mov_b64 s[16:17], 0
.LBB339_899:
	s_and_b64 vcc, exec, s[16:17]
	s_cbranch_vccz .LBB339_904
; %bb.900:
	s_cmp_eq_u32 s34, 44
	s_mov_b64 s[0:1], -1
	s_cbranch_scc0 .LBB339_904
; %bb.901:
	v_cndmask_b32_e64 v3, 0, 1.0, s[20:21]
	v_lshrrev_b32_e32 v2, 23, v3
	s_movk_i32 s0, 0xff
	v_cmp_ne_u32_e32 vcc, s0, v2
	v_mov_b32_e32 v4, 0xff
	s_and_saveexec_b64 s[16:17], vcc
; %bb.902:
	s_mov_b32 s0, 0x3fffff
	v_and_b32_e32 v4, 0x400000, v3
	v_and_or_b32 v3, v3, s0, v2
	v_cmp_ne_u32_e32 vcc, 0, v4
	v_cmp_ne_u32_e64 s[0:1], 0, v3
	s_and_b64 s[0:1], vcc, s[0:1]
	v_cndmask_b32_e64 v3, 0, 1, s[0:1]
	v_add_u32_e32 v4, v2, v3
; %bb.903:
	s_or_b64 exec, exec, s[16:17]
	s_mov_b64 s[0:1], 0
	global_store_byte v[0:1], v4, off
.LBB339_904:
	s_mov_b64 s[16:17], 0
.LBB339_905:
	s_and_b64 vcc, exec, s[16:17]
	s_cbranch_vccz .LBB339_908
; %bb.906:
	s_cmp_eq_u32 s34, 29
	s_mov_b64 s[0:1], -1
	s_cbranch_scc0 .LBB339_908
; %bb.907:
	s_mov_b32 s0, 0
	v_cndmask_b32_e64 v2, 0, 1, s[20:21]
	v_mov_b32_e32 v3, s0
	global_store_dwordx2 v[0:1], v[2:3], off
	s_mov_b64 s[0:1], 0
.LBB339_908:
	s_mov_b64 s[16:17], 0
.LBB339_909:
	s_and_b64 vcc, exec, s[16:17]
	s_cbranch_vccz .LBB339_924
; %bb.910:
	s_cmp_lt_i32 s34, 27
	s_mov_b64 s[16:17], -1
	s_cbranch_scc1 .LBB339_916
; %bb.911:
	s_cmp_gt_i32 s34, 27
	v_cndmask_b32_e64 v2, 0, 1, s[20:21]
	s_cbranch_scc0 .LBB339_913
; %bb.912:
	s_mov_b64 s[16:17], 0
	global_store_dword v[0:1], v2, off
.LBB339_913:
	s_andn2_b64 vcc, exec, s[16:17]
	s_cbranch_vccnz .LBB339_915
; %bb.914:
	global_store_short v[0:1], v2, off
.LBB339_915:
	s_mov_b64 s[16:17], 0
.LBB339_916:
	s_andn2_b64 vcc, exec, s[16:17]
	s_cbranch_vccnz .LBB339_924
; %bb.917:
	v_cndmask_b32_e64 v3, 0, 1.0, s[20:21]
	s_mov_b32 s16, 0x43800000
	v_cmp_gt_u32_e32 vcc, s16, v3
	v_mov_b32_e32 v4, 0x80
	s_and_saveexec_b64 s[16:17], vcc
	s_cbranch_execz .LBB339_923
; %bb.918:
	s_mov_b32 s26, 0x3bffffff
	v_cmp_lt_u32_e32 vcc, s26, v3
	s_mov_b64 s[26:27], 0
                                        ; implicit-def: $vgpr2
	s_and_saveexec_b64 s[28:29], vcc
	s_xor_b64 s[28:29], exec, s[28:29]
	s_cbranch_execz .LBB339_1025
; %bb.919:
	v_bfe_u32 v2, v3, 20, 1
	s_mov_b32 s30, 0x487ffff
	v_add3_u32 v2, v3, v2, s30
	s_mov_b64 s[26:27], exec
	v_lshrrev_b32_e32 v2, 20, v2
                                        ; implicit-def: $vgpr3
	s_andn2_saveexec_b64 s[28:29], s[28:29]
	s_cbranch_execnz .LBB339_1026
.LBB339_920:
	s_or_b64 exec, exec, s[28:29]
	v_mov_b32_e32 v4, 0
	s_and_saveexec_b64 s[28:29], s[26:27]
.LBB339_921:
	v_mov_b32_e32 v4, v2
.LBB339_922:
	s_or_b64 exec, exec, s[28:29]
.LBB339_923:
	s_or_b64 exec, exec, s[16:17]
	global_store_byte v[0:1], v4, off
.LBB339_924:
	s_mov_b64 s[26:27], 0
.LBB339_925:
	s_mov_b64 s[16:17], 0
	s_and_b64 vcc, exec, s[26:27]
	s_cbranch_vccz .LBB339_969
; %bb.926:
	s_cmp_gt_i32 s34, 22
	s_mov_b64 s[26:27], -1
	s_cbranch_scc0 .LBB339_958
; %bb.927:
	s_cmp_lt_i32 s34, 24
	s_cbranch_scc1 .LBB339_947
; %bb.928:
	s_cmp_gt_i32 s34, 24
	s_cbranch_scc0 .LBB339_936
; %bb.929:
	v_cndmask_b32_e64 v3, 0, 1.0, s[20:21]
	s_mov_b32 s26, 0x47800000
	v_cmp_gt_u32_e32 vcc, s26, v3
	v_mov_b32_e32 v4, 0x80
	s_and_saveexec_b64 s[26:27], vcc
	s_cbranch_execz .LBB339_935
; %bb.930:
	s_mov_b32 s28, 0x37ffffff
	v_cmp_lt_u32_e32 vcc, s28, v3
	s_mov_b64 s[28:29], 0
                                        ; implicit-def: $vgpr2
	s_and_saveexec_b64 s[30:31], vcc
	s_xor_b64 s[30:31], exec, s[30:31]
	s_cbranch_execz .LBB339_1145
; %bb.931:
	v_bfe_u32 v2, v3, 21, 1
	s_mov_b32 s35, 0x88fffff
	v_add3_u32 v2, v3, v2, s35
	s_mov_b64 s[28:29], exec
	v_lshrrev_b32_e32 v2, 21, v2
                                        ; implicit-def: $vgpr3
	s_andn2_saveexec_b64 s[30:31], s[30:31]
	s_cbranch_execnz .LBB339_1146
.LBB339_932:
	s_or_b64 exec, exec, s[30:31]
	v_mov_b32_e32 v4, 0
	s_and_saveexec_b64 s[30:31], s[28:29]
.LBB339_933:
	v_mov_b32_e32 v4, v2
.LBB339_934:
	s_or_b64 exec, exec, s[30:31]
.LBB339_935:
	s_or_b64 exec, exec, s[26:27]
	s_mov_b64 s[26:27], 0
	global_store_byte v[0:1], v4, off
.LBB339_936:
	s_and_b64 vcc, exec, s[26:27]
	s_cbranch_vccz .LBB339_946
; %bb.937:
	v_cndmask_b32_e64 v2, 0, 1.0, s[20:21]
	s_mov_b32 s26, 0x43f00000
	v_cmp_gt_u32_e32 vcc, s26, v2
                                        ; implicit-def: $vgpr3
	s_and_saveexec_b64 s[26:27], vcc
	s_xor_b64 s[26:27], exec, s[26:27]
	s_cbranch_execz .LBB339_943
; %bb.938:
	s_mov_b32 s28, 0x3c7fffff
	v_cmp_lt_u32_e32 vcc, s28, v2
                                        ; implicit-def: $vgpr3
	s_and_saveexec_b64 s[28:29], vcc
	s_xor_b64 s[28:29], exec, s[28:29]
; %bb.939:
	v_bfe_u32 v3, v2, 20, 1
	s_mov_b32 s30, 0x407ffff
	v_add3_u32 v2, v2, v3, s30
	v_lshrrev_b32_e32 v3, 20, v2
	v_and_b32_e32 v2, 0xff00000, v2
	s_mov_b32 s30, 0x7f00000
	v_mov_b32_e32 v4, 0x7e
	v_cmp_ne_u32_e32 vcc, s30, v2
	v_cndmask_b32_e32 v3, v4, v3, vcc
                                        ; implicit-def: $vgpr2
; %bb.940:
	s_andn2_saveexec_b64 s[28:29], s[28:29]
; %bb.941:
	v_add_f32_e32 v3, 0x46800000, v2
; %bb.942:
	s_or_b64 exec, exec, s[28:29]
                                        ; implicit-def: $vgpr2
.LBB339_943:
	s_andn2_saveexec_b64 s[26:27], s[26:27]
; %bb.944:
	s_mov_b32 s28, 0x7f800000
	v_mov_b32_e32 v3, 0x7e
	v_mov_b32_e32 v4, 0x7f
	v_cmp_lt_u32_e32 vcc, s28, v2
	v_cndmask_b32_e32 v3, v3, v4, vcc
; %bb.945:
	s_or_b64 exec, exec, s[26:27]
	global_store_byte v[0:1], v3, off
.LBB339_946:
	s_mov_b64 s[26:27], 0
.LBB339_947:
	s_andn2_b64 vcc, exec, s[26:27]
	s_cbranch_vccnz .LBB339_957
; %bb.948:
	v_cndmask_b32_e64 v2, 0, 1.0, s[20:21]
	s_mov_b32 s26, 0x47800000
	v_cmp_gt_u32_e32 vcc, s26, v2
                                        ; implicit-def: $vgpr3
	s_and_saveexec_b64 s[26:27], vcc
	s_xor_b64 s[26:27], exec, s[26:27]
	s_cbranch_execz .LBB339_954
; %bb.949:
	s_mov_b32 s28, 0x387fffff
	v_cmp_lt_u32_e32 vcc, s28, v2
                                        ; implicit-def: $vgpr3
	s_and_saveexec_b64 s[28:29], vcc
	s_xor_b64 s[28:29], exec, s[28:29]
; %bb.950:
	v_bfe_u32 v3, v2, 21, 1
	s_mov_b32 s30, 0x80fffff
	v_add3_u32 v2, v2, v3, s30
	v_lshrrev_b32_e32 v3, 21, v2
                                        ; implicit-def: $vgpr2
; %bb.951:
	s_andn2_saveexec_b64 s[28:29], s[28:29]
; %bb.952:
	v_add_f32_e32 v3, 0x43000000, v2
; %bb.953:
	s_or_b64 exec, exec, s[28:29]
                                        ; implicit-def: $vgpr2
.LBB339_954:
	s_andn2_saveexec_b64 s[26:27], s[26:27]
; %bb.955:
	s_mov_b32 s28, 0x7f800000
	v_mov_b32_e32 v3, 0x7c
	v_mov_b32_e32 v4, 0x7f
	v_cmp_lt_u32_e32 vcc, s28, v2
	v_cndmask_b32_e32 v3, v3, v4, vcc
; %bb.956:
	s_or_b64 exec, exec, s[26:27]
	global_store_byte v[0:1], v3, off
.LBB339_957:
	s_mov_b64 s[26:27], 0
.LBB339_958:
	s_andn2_b64 vcc, exec, s[26:27]
	s_mov_b64 s[28:29], 0
	s_cbranch_vccnz .LBB339_970
; %bb.959:
	s_cmp_gt_i32 s34, 14
	s_mov_b64 s[26:27], -1
	s_cbranch_scc0 .LBB339_963
; %bb.960:
	s_cmp_eq_u32 s34, 15
	s_mov_b64 s[0:1], -1
	s_cbranch_scc0 .LBB339_962
; %bb.961:
	v_cndmask_b32_e64 v2, 0, 1.0, s[20:21]
	v_bfe_u32 v3, v2, 16, 1
	s_movk_i32 s0, 0x7fff
	v_add3_u32 v2, v2, v3, s0
	global_store_short_d16_hi v[0:1], v2, off
	s_mov_b64 s[0:1], 0
.LBB339_962:
	s_mov_b64 s[26:27], 0
.LBB339_963:
	s_and_b64 vcc, exec, s[26:27]
	s_cbranch_vccz .LBB339_970
; %bb.964:
	s_cmp_lg_u32 s34, 11
	s_cselect_b64 s[26:27], -1, 0
	s_andn2_b64 s[0:1], s[0:1], exec
	s_and_b64 s[26:27], s[26:27], exec
	s_mov_b64 s[28:29], -1
	s_or_b64 s[0:1], s[0:1], s[26:27]
	s_branch .LBB339_970
.LBB339_965:
	s_or_b64 exec, exec, s[24:25]
	s_and_saveexec_b64 s[0:1], s[18:19]
	s_cbranch_execnz .LBB339_971
.LBB339_966:
	s_or_b64 exec, exec, s[0:1]
	s_and_saveexec_b64 s[0:1], s[28:29]
	s_xor_b64 s[0:1], exec, s[0:1]
	s_cbranch_execz .LBB339_972
.LBB339_967:
	s_waitcnt vmcnt(0)
	v_cndmask_b32_e64 v2, 0, 1, s[20:21]
	global_store_byte v[0:1], v2, off
	s_or_b64 exec, exec, s[0:1]
	s_and_saveexec_b64 s[0:1], s[26:27]
	s_xor_b64 s[0:1], exec, s[0:1]
	s_cbranch_execz .LBB339_1010
	s_branch .LBB339_973
.LBB339_968:
	s_mov_b64 s[16:17], -1
	s_mov_b64 s[0:1], s[18:19]
	s_branch .LBB339_970
.LBB339_969:
	s_mov_b64 s[28:29], 0
.LBB339_970:
	s_and_b64 s[26:27], s[16:17], exec
	s_andn2_b64 s[16:17], s[18:19], exec
	s_and_b64 s[0:1], s[0:1], exec
	s_and_b64 s[28:29], s[28:29], exec
	s_or_b64 s[18:19], s[16:17], s[0:1]
	s_or_b64 exec, exec, s[24:25]
	s_and_saveexec_b64 s[0:1], s[18:19]
	s_cbranch_execz .LBB339_966
.LBB339_971:
	s_or_b64 s[22:23], s[22:23], exec
	s_andn2_b64 s[28:29], s[28:29], exec
	s_trap 2
	s_or_b64 exec, exec, s[0:1]
	s_and_saveexec_b64 s[0:1], s[28:29]
	s_xor_b64 s[0:1], exec, s[0:1]
	s_cbranch_execnz .LBB339_967
.LBB339_972:
	s_or_b64 exec, exec, s[0:1]
	s_and_saveexec_b64 s[0:1], s[26:27]
	s_xor_b64 s[0:1], exec, s[0:1]
	s_cbranch_execz .LBB339_1010
.LBB339_973:
	s_sext_i32_i16 s18, s33
	s_cmp_lt_i32 s18, 5
	s_mov_b64 s[16:17], -1
	s_cbranch_scc1 .LBB339_994
; %bb.974:
	s_cmp_lt_i32 s18, 8
	s_cbranch_scc1 .LBB339_984
; %bb.975:
	s_cmp_lt_i32 s18, 9
	s_cbranch_scc1 .LBB339_981
; %bb.976:
	s_cmp_gt_i32 s18, 9
	s_cbranch_scc0 .LBB339_978
; %bb.977:
	s_waitcnt vmcnt(0)
	v_cndmask_b32_e64 v2, 0, 1, s[20:21]
	v_cvt_f64_u32_e32 v[2:3], v2
	v_mov_b32_e32 v4, 0
	v_mov_b32_e32 v5, v4
	s_mov_b64 s[16:17], 0
	global_store_dwordx4 v[0:1], v[2:5], off
.LBB339_978:
	s_andn2_b64 vcc, exec, s[16:17]
	s_cbranch_vccnz .LBB339_980
; %bb.979:
	s_waitcnt vmcnt(0)
	v_cndmask_b32_e64 v2, 0, 1.0, s[20:21]
	v_mov_b32_e32 v3, 0
	global_store_dwordx2 v[0:1], v[2:3], off
.LBB339_980:
	s_mov_b64 s[16:17], 0
.LBB339_981:
	s_andn2_b64 vcc, exec, s[16:17]
	s_cbranch_vccnz .LBB339_983
; %bb.982:
	s_waitcnt vmcnt(0)
	v_cndmask_b32_e64 v2, 0, 1.0, s[20:21]
	v_cvt_f16_f32_e32 v2, v2
	global_store_dword v[0:1], v2, off
.LBB339_983:
	s_mov_b64 s[16:17], 0
.LBB339_984:
	s_andn2_b64 vcc, exec, s[16:17]
	s_cbranch_vccnz .LBB339_993
; %bb.985:
	s_sext_i32_i16 s18, s33
	s_cmp_lt_i32 s18, 6
	s_mov_b64 s[16:17], -1
	s_cbranch_scc1 .LBB339_991
; %bb.986:
	s_cmp_gt_i32 s18, 6
	s_cbranch_scc0 .LBB339_988
; %bb.987:
	s_waitcnt vmcnt(0)
	v_cndmask_b32_e64 v2, 0, 1, s[20:21]
	v_cvt_f64_u32_e32 v[2:3], v2
	s_mov_b64 s[16:17], 0
	global_store_dwordx2 v[0:1], v[2:3], off
.LBB339_988:
	s_andn2_b64 vcc, exec, s[16:17]
	s_cbranch_vccnz .LBB339_990
; %bb.989:
	s_waitcnt vmcnt(0)
	v_cndmask_b32_e64 v2, 0, 1.0, s[20:21]
	global_store_dword v[0:1], v2, off
.LBB339_990:
	s_mov_b64 s[16:17], 0
.LBB339_991:
	s_andn2_b64 vcc, exec, s[16:17]
	s_cbranch_vccnz .LBB339_993
; %bb.992:
	s_waitcnt vmcnt(0)
	v_cndmask_b32_e64 v2, 0, 1.0, s[20:21]
	v_cvt_f16_f32_e32 v2, v2
	global_store_short v[0:1], v2, off
.LBB339_993:
	s_mov_b64 s[16:17], 0
.LBB339_994:
	s_andn2_b64 vcc, exec, s[16:17]
	s_cbranch_vccnz .LBB339_1010
; %bb.995:
	s_sext_i32_i16 s18, s33
	s_cmp_lt_i32 s18, 2
	s_mov_b64 s[16:17], -1
	s_cbranch_scc1 .LBB339_1005
; %bb.996:
	s_cmp_lt_i32 s18, 3
	s_cbranch_scc1 .LBB339_1002
; %bb.997:
	s_cmp_gt_i32 s18, 3
	s_cbranch_scc0 .LBB339_999
; %bb.998:
	s_mov_b32 s16, 0
	s_waitcnt vmcnt(0)
	v_cndmask_b32_e64 v2, 0, 1, s[20:21]
	v_mov_b32_e32 v3, s16
	s_mov_b64 s[16:17], 0
	global_store_dwordx2 v[0:1], v[2:3], off
.LBB339_999:
	s_andn2_b64 vcc, exec, s[16:17]
	s_cbranch_vccnz .LBB339_1001
; %bb.1000:
	s_waitcnt vmcnt(0)
	v_cndmask_b32_e64 v2, 0, 1, s[20:21]
	global_store_dword v[0:1], v2, off
.LBB339_1001:
	s_mov_b64 s[16:17], 0
.LBB339_1002:
	s_andn2_b64 vcc, exec, s[16:17]
	s_cbranch_vccnz .LBB339_1004
; %bb.1003:
	s_waitcnt vmcnt(0)
	v_cndmask_b32_e64 v2, 0, 1, s[20:21]
	global_store_short v[0:1], v2, off
.LBB339_1004:
	s_mov_b64 s[16:17], 0
.LBB339_1005:
	s_andn2_b64 vcc, exec, s[16:17]
	s_cbranch_vccnz .LBB339_1010
; %bb.1006:
	s_sext_i32_i16 s18, s33
	s_mov_b64 s[16:17], -1
	s_cmp_gt_i32 s18, 0
	s_waitcnt vmcnt(0)
	v_cndmask_b32_e64 v2, 0, 1, s[20:21]
	s_cbranch_scc0 .LBB339_1008
; %bb.1007:
	s_mov_b64 s[16:17], 0
	global_store_byte v[0:1], v2, off
.LBB339_1008:
	s_andn2_b64 vcc, exec, s[16:17]
	s_cbranch_vccnz .LBB339_1010
; %bb.1009:
	global_store_byte v[0:1], v2, off
.LBB339_1010:
	s_or_b64 exec, exec, s[0:1]
	s_and_b64 s[16:17], s[22:23], exec
                                        ; implicit-def: $vgpr9
.LBB339_1011:
	s_or_saveexec_b64 s[6:7], s[6:7]
	s_mov_b64 s[0:1], 0
                                        ; implicit-def: $sgpr20_sgpr21
                                        ; implicit-def: $sgpr26
                                        ; implicit-def: $vgpr0_vgpr1
	s_xor_b64 exec, exec, s[6:7]
	s_cbranch_execz .LBB339_1942
; %bb.1012:
	s_waitcnt vmcnt(0)
	v_mul_lo_u32 v2, s13, v9
	v_mov_b32_e32 v1, s11
	s_and_b32 s15, 0xffff, s15
	s_cmp_lt_i32 s15, 11
	v_ashrrev_i32_e32 v3, 31, v2
	v_add_co_u32_e32 v0, vcc, s10, v2
	v_addc_co_u32_e32 v1, vcc, v1, v3, vcc
	s_cbranch_scc1 .LBB339_1019
; %bb.1013:
	s_cmp_gt_i32 s15, 25
	s_cbranch_scc0 .LBB339_1021
; %bb.1014:
	s_cmp_gt_i32 s15, 28
	s_cbranch_scc0 .LBB339_1022
	;; [unrolled: 3-line block ×4, first 2 shown]
; %bb.1017:
	s_cmp_eq_u32 s15, 46
	s_mov_b64 s[18:19], 0
	s_cbranch_scc0 .LBB339_1027
; %bb.1018:
	global_load_dword v3, v[0:1], off
	s_mov_b64 s[20:21], -1
	s_waitcnt vmcnt(0)
	v_lshlrev_b32_e32 v3, 16, v3
	v_cvt_u32_f32_e32 v6, v3
	s_branch .LBB339_1028
.LBB339_1019:
	s_mov_b64 s[20:21], 0
                                        ; implicit-def: $vgpr6
	s_mov_b64 s[18:19], s[16:17]
	s_cbranch_execnz .LBB339_1086
.LBB339_1020:
	s_andn2_b64 vcc, exec, s[20:21]
	s_cbranch_vccz .LBB339_1131
	s_branch .LBB339_1940
.LBB339_1021:
	s_mov_b64 s[20:21], 0
                                        ; implicit-def: $vgpr6
	s_cbranch_execnz .LBB339_1053
	s_branch .LBB339_1082
.LBB339_1022:
	s_mov_b64 s[20:21], 0
                                        ; implicit-def: $vgpr6
	s_cbranch_execz .LBB339_1052
	s_branch .LBB339_1037
.LBB339_1023:
	s_mov_b64 s[20:21], 0
                                        ; implicit-def: $vgpr6
	s_cbranch_execnz .LBB339_1033
	s_branch .LBB339_1036
.LBB339_1024:
	s_mov_b64 s[18:19], -1
	s_mov_b64 s[20:21], 0
                                        ; implicit-def: $vgpr6
	s_branch .LBB339_1028
.LBB339_1025:
	s_andn2_saveexec_b64 s[28:29], s[28:29]
	s_cbranch_execz .LBB339_920
.LBB339_1026:
	v_add_f32_e32 v2, 0x46000000, v3
	v_and_b32_e32 v2, 0xff, v2
	v_cmp_ne_u32_e32 vcc, 0, v2
	s_andn2_b64 s[26:27], s[26:27], exec
	s_and_b64 s[30:31], vcc, exec
	s_or_b64 s[26:27], s[26:27], s[30:31]
	s_or_b64 exec, exec, s[28:29]
	v_mov_b32_e32 v4, 0
	s_and_saveexec_b64 s[28:29], s[26:27]
	s_cbranch_execnz .LBB339_921
	s_branch .LBB339_922
.LBB339_1027:
	s_mov_b64 s[0:1], -1
                                        ; implicit-def: $vgpr6
	s_mov_b64 s[20:21], 0
.LBB339_1028:
	s_and_b64 vcc, exec, s[18:19]
	s_cbranch_vccz .LBB339_1031
; %bb.1029:
	s_cmp_eq_u32 s15, 44
	s_cbranch_scc0 .LBB339_1032
; %bb.1030:
	global_load_ubyte v3, v[0:1], off
	s_mov_b64 s[0:1], 0
	s_mov_b64 s[20:21], -1
	s_waitcnt vmcnt(0)
	v_lshlrev_b32_e32 v4, 23, v3
	v_cvt_u32_f32_e32 v4, v4
	v_cmp_ne_u32_e32 vcc, 0, v3
	v_cndmask_b32_e32 v6, 0, v4, vcc
.LBB339_1031:
	s_branch .LBB339_1036
.LBB339_1032:
	s_mov_b64 s[0:1], -1
                                        ; implicit-def: $vgpr6
	s_branch .LBB339_1036
.LBB339_1033:
	s_cmp_eq_u32 s15, 29
	s_cbranch_scc0 .LBB339_1035
; %bb.1034:
	global_load_dwordx2 v[6:7], v[0:1], off
	s_mov_b64 s[0:1], 0
	s_mov_b64 s[20:21], -1
	s_branch .LBB339_1036
.LBB339_1035:
	s_mov_b64 s[0:1], -1
                                        ; implicit-def: $vgpr6
.LBB339_1036:
	s_branch .LBB339_1052
.LBB339_1037:
	s_cmp_lt_i32 s15, 27
	s_cbranch_scc1 .LBB339_1040
; %bb.1038:
	s_cmp_gt_i32 s15, 27
	s_cbranch_scc0 .LBB339_1041
; %bb.1039:
	global_load_dword v6, v[0:1], off
	s_mov_b64 s[18:19], 0
	s_branch .LBB339_1042
.LBB339_1040:
	s_mov_b64 s[18:19], -1
                                        ; implicit-def: $vgpr6
	s_branch .LBB339_1045
.LBB339_1041:
	s_mov_b64 s[18:19], -1
                                        ; implicit-def: $vgpr6
.LBB339_1042:
	s_andn2_b64 vcc, exec, s[18:19]
	s_cbranch_vccnz .LBB339_1044
; %bb.1043:
	global_load_ushort v6, v[0:1], off
.LBB339_1044:
	s_mov_b64 s[18:19], 0
.LBB339_1045:
	s_andn2_b64 vcc, exec, s[18:19]
	s_cbranch_vccnz .LBB339_1051
; %bb.1046:
	global_load_ubyte v3, v[0:1], off
	s_movk_i32 s18, 0x7f
	s_mov_b64 s[20:21], 0
	s_waitcnt vmcnt(0)
	v_cmp_lt_i16_e32 vcc, s18, v3
	s_and_saveexec_b64 s[18:19], vcc
	s_xor_b64 s[18:19], exec, s[18:19]
	s_cbranch_execz .LBB339_1062
; %bb.1047:
	s_movk_i32 s20, 0x80
	v_cmp_ne_u16_e32 vcc, s20, v3
	s_and_b64 s[20:21], vcc, exec
	s_andn2_saveexec_b64 s[18:19], s[18:19]
	s_cbranch_execnz .LBB339_1063
.LBB339_1048:
	s_or_b64 exec, exec, s[18:19]
	v_mov_b32_e32 v6, 0
	s_and_saveexec_b64 s[18:19], s[20:21]
	s_cbranch_execz .LBB339_1050
.LBB339_1049:
	v_lshlrev_b32_e32 v4, 24, v3
	v_and_b32_e32 v3, 0xffff, v3
	v_and_b32_e32 v5, 7, v3
	v_ffbh_u32_e32 v7, v5
	v_min_u32_e32 v7, 32, v7
	v_subrev_u32_e32 v8, 28, v7
	v_bfe_u32 v6, v3, 3, 4
	v_lshlrev_b32_e32 v3, v8, v3
	v_sub_u32_e32 v7, 29, v7
	v_and_b32_e32 v3, 7, v3
	v_cmp_eq_u32_e32 vcc, 0, v6
	v_cndmask_b32_e32 v6, v6, v7, vcc
	v_cndmask_b32_e32 v3, v5, v3, vcc
	v_mov_b32_e32 v5, 0x3b800000
	v_lshlrev_b32_e32 v3, 20, v3
	v_and_b32_e32 v4, 0x80000000, v4
	v_lshl_add_u32 v5, v6, 23, v5
	v_or3_b32 v3, v4, v5, v3
	v_cvt_u32_f32_e32 v6, v3
.LBB339_1050:
	s_or_b64 exec, exec, s[18:19]
.LBB339_1051:
	s_mov_b64 s[20:21], -1
.LBB339_1052:
	s_branch .LBB339_1082
.LBB339_1053:
	s_cmp_gt_i32 s15, 22
	s_cbranch_scc0 .LBB339_1061
; %bb.1054:
	s_cmp_lt_i32 s15, 24
	s_cbranch_scc1 .LBB339_1064
; %bb.1055:
	s_cmp_gt_i32 s15, 24
	s_cbranch_scc0 .LBB339_1065
; %bb.1056:
	global_load_ubyte v3, v[0:1], off
	s_movk_i32 s4, 0x7f
	s_mov_b64 s[18:19], 0
	s_waitcnt vmcnt(0)
	v_cmp_lt_i16_e32 vcc, s4, v3
	s_and_saveexec_b64 s[4:5], vcc
	s_xor_b64 s[4:5], exec, s[4:5]
	s_cbranch_execz .LBB339_1076
; %bb.1057:
	s_movk_i32 s18, 0x80
	v_cmp_ne_u16_e32 vcc, s18, v3
	s_and_b64 s[18:19], vcc, exec
	s_andn2_saveexec_b64 s[4:5], s[4:5]
	s_cbranch_execnz .LBB339_1077
.LBB339_1058:
	s_or_b64 exec, exec, s[4:5]
	v_mov_b32_e32 v6, 0
	s_and_saveexec_b64 s[4:5], s[18:19]
	s_cbranch_execz .LBB339_1060
.LBB339_1059:
	v_lshlrev_b32_e32 v4, 24, v3
	v_and_b32_e32 v3, 0xffff, v3
	v_and_b32_e32 v5, 3, v3
	v_ffbh_u32_e32 v7, v5
	v_min_u32_e32 v7, 32, v7
	v_subrev_u32_e32 v8, 29, v7
	v_bfe_u32 v6, v3, 2, 5
	v_lshlrev_b32_e32 v3, v8, v3
	v_sub_u32_e32 v7, 30, v7
	v_and_b32_e32 v3, 3, v3
	v_cmp_eq_u32_e32 vcc, 0, v6
	v_cndmask_b32_e32 v6, v6, v7, vcc
	v_cndmask_b32_e32 v3, v5, v3, vcc
	v_mov_b32_e32 v5, 0x37800000
	v_lshlrev_b32_e32 v3, 21, v3
	v_and_b32_e32 v4, 0x80000000, v4
	v_lshl_add_u32 v5, v6, 23, v5
	v_or3_b32 v3, v4, v5, v3
	v_cvt_u32_f32_e32 v6, v3
.LBB339_1060:
	s_or_b64 exec, exec, s[4:5]
	s_mov_b64 s[4:5], 0
	s_branch .LBB339_1066
.LBB339_1061:
                                        ; implicit-def: $vgpr6
	s_mov_b64 s[4:5], 0
	s_branch .LBB339_1072
.LBB339_1062:
	s_andn2_saveexec_b64 s[18:19], s[18:19]
	s_cbranch_execz .LBB339_1048
.LBB339_1063:
	v_cmp_ne_u16_e32 vcc, 0, v3
	s_andn2_b64 s[20:21], s[20:21], exec
	s_and_b64 s[22:23], vcc, exec
	s_or_b64 s[20:21], s[20:21], s[22:23]
	s_or_b64 exec, exec, s[18:19]
	v_mov_b32_e32 v6, 0
	s_and_saveexec_b64 s[18:19], s[20:21]
	s_cbranch_execnz .LBB339_1049
	s_branch .LBB339_1050
.LBB339_1064:
	s_mov_b64 s[4:5], -1
                                        ; implicit-def: $vgpr6
	s_branch .LBB339_1069
.LBB339_1065:
	s_mov_b64 s[4:5], -1
                                        ; implicit-def: $vgpr6
.LBB339_1066:
	s_and_b64 vcc, exec, s[4:5]
	s_cbranch_vccz .LBB339_1068
; %bb.1067:
	global_load_ubyte v3, v[0:1], off
	s_mov_b32 s4, 0x7f800000
	s_waitcnt vmcnt(0)
	v_lshlrev_b32_e32 v3, 24, v3
	v_and_b32_e32 v4, 0x7f000000, v3
	v_ffbh_u32_e32 v5, v4
	v_min_u32_e32 v5, 32, v5
	v_sub_u32_e64 v5, v5, 4 clamp
	v_lshlrev_b32_e32 v7, v5, v4
	v_lshlrev_b32_e32 v5, 23, v5
	v_lshrrev_b32_e32 v7, 4, v7
	v_add_u32_e32 v6, 0x1000000, v4
	v_sub_u32_e32 v5, v7, v5
	v_ashrrev_i32_e32 v6, 8, v6
	v_add_u32_e32 v5, 0x3c000000, v5
	v_and_or_b32 v5, v6, s4, v5
	v_cmp_ne_u32_e32 vcc, 0, v4
	v_cndmask_b32_e32 v4, 0, v5, vcc
	s_brev_b32 s4, 1
	v_and_or_b32 v3, v3, s4, v4
	v_cvt_u32_f32_e32 v6, v3
.LBB339_1068:
	s_mov_b64 s[4:5], 0
.LBB339_1069:
	s_andn2_b64 vcc, exec, s[4:5]
	s_cbranch_vccnz .LBB339_1071
; %bb.1070:
	global_load_ubyte v3, v[0:1], off
	s_movk_i32 s4, 0x7f00
	s_brev_b32 s5, 16
	s_waitcnt vmcnt(0)
	v_lshlrev_b16_e32 v4, 8, v3
	v_lshlrev_b32_e32 v3, 25, v3
	v_lshrrev_b32_e32 v5, 4, v3
	v_and_or_b32 v6, v4, s4, 0.5
	v_or_b32_e32 v5, 0x70000000, v5
	v_add_f32_e32 v6, -0.5, v6
	v_mul_f32_e32 v5, 0x7800000, v5
	v_cmp_gt_u32_e32 vcc, s5, v3
	v_bfe_i32 v4, v4, 0, 16
	v_cndmask_b32_e32 v3, v5, v6, vcc
	s_brev_b32 s4, 1
	v_and_or_b32 v3, v4, s4, v3
	v_cvt_u32_f32_e32 v6, v3
.LBB339_1071:
	s_mov_b64 s[20:21], -1
	s_mov_b64 s[4:5], 0
	s_cbranch_execnz .LBB339_1082
.LBB339_1072:
	s_cmp_gt_i32 s15, 14
	s_cbranch_scc0 .LBB339_1075
; %bb.1073:
	s_cmp_eq_u32 s15, 15
	s_cbranch_scc0 .LBB339_1078
; %bb.1074:
	global_load_ushort v3, v[0:1], off
	s_mov_b64 s[0:1], 0
	s_mov_b64 s[20:21], -1
	s_waitcnt vmcnt(0)
	v_lshlrev_b32_e32 v3, 16, v3
	v_cvt_u32_f32_e32 v6, v3
	s_branch .LBB339_1079
.LBB339_1075:
	s_mov_b64 s[18:19], -1
                                        ; implicit-def: $vgpr6
	s_branch .LBB339_1080
.LBB339_1076:
	s_andn2_saveexec_b64 s[4:5], s[4:5]
	s_cbranch_execz .LBB339_1058
.LBB339_1077:
	v_cmp_ne_u16_e32 vcc, 0, v3
	s_andn2_b64 s[18:19], s[18:19], exec
	s_and_b64 s[20:21], vcc, exec
	s_or_b64 s[18:19], s[18:19], s[20:21]
	s_or_b64 exec, exec, s[4:5]
	v_mov_b32_e32 v6, 0
	s_and_saveexec_b64 s[4:5], s[18:19]
	s_cbranch_execnz .LBB339_1059
	s_branch .LBB339_1060
.LBB339_1078:
	s_mov_b64 s[0:1], -1
                                        ; implicit-def: $vgpr6
.LBB339_1079:
	s_mov_b64 s[18:19], 0
.LBB339_1080:
	s_and_b64 vcc, exec, s[18:19]
	s_cbranch_vccz .LBB339_1082
; %bb.1081:
	s_cmp_lg_u32 s15, 11
	s_mov_b64 s[4:5], -1
	s_cselect_b64 s[0:1], -1, 0
.LBB339_1082:
	s_and_b64 vcc, exec, s[0:1]
	s_mov_b64 s[18:19], s[16:17]
	s_cbranch_vccnz .LBB339_1143
; %bb.1083:
	s_andn2_b64 vcc, exec, s[4:5]
	s_cbranch_vccnz .LBB339_1085
.LBB339_1084:
	global_load_ubyte v3, v[0:1], off
	s_mov_b64 s[20:21], -1
	s_waitcnt vmcnt(0)
	v_cmp_ne_u16_e32 vcc, 0, v3
	v_cndmask_b32_e64 v6, 0, 1, vcc
.LBB339_1085:
	s_branch .LBB339_1020
.LBB339_1086:
	s_cmp_lt_i32 s15, 5
	s_cbranch_scc1 .LBB339_1091
; %bb.1087:
	s_cmp_lt_i32 s15, 8
	s_cbranch_scc1 .LBB339_1092
; %bb.1088:
	;; [unrolled: 3-line block ×3, first 2 shown]
	s_cmp_gt_i32 s15, 9
	s_cbranch_scc0 .LBB339_1094
; %bb.1090:
	global_load_dwordx2 v[3:4], v[0:1], off
	s_mov_b64 s[0:1], 0
	s_waitcnt vmcnt(0)
	v_cvt_u32_f64_e32 v6, v[3:4]
	s_branch .LBB339_1095
.LBB339_1091:
                                        ; implicit-def: $vgpr6
	s_branch .LBB339_1112
.LBB339_1092:
                                        ; implicit-def: $vgpr6
	s_branch .LBB339_1101
.LBB339_1093:
	s_mov_b64 s[0:1], -1
                                        ; implicit-def: $vgpr6
	s_branch .LBB339_1098
.LBB339_1094:
	s_mov_b64 s[0:1], -1
                                        ; implicit-def: $vgpr6
.LBB339_1095:
	s_andn2_b64 vcc, exec, s[0:1]
	s_cbranch_vccnz .LBB339_1097
; %bb.1096:
	global_load_dword v3, v[0:1], off
	s_waitcnt vmcnt(0)
	v_cvt_u32_f32_e32 v6, v3
.LBB339_1097:
	s_mov_b64 s[0:1], 0
.LBB339_1098:
	s_andn2_b64 vcc, exec, s[0:1]
	s_cbranch_vccnz .LBB339_1100
; %bb.1099:
	global_load_dword v3, v[0:1], off
	s_waitcnt vmcnt(0)
	v_cvt_u16_f16_e32 v6, v3
.LBB339_1100:
	s_cbranch_execnz .LBB339_1111
.LBB339_1101:
	s_cmp_lt_i32 s15, 6
	s_cbranch_scc1 .LBB339_1104
; %bb.1102:
	s_cmp_gt_i32 s15, 6
	s_cbranch_scc0 .LBB339_1105
; %bb.1103:
	global_load_dwordx2 v[3:4], v[0:1], off
	s_mov_b64 s[0:1], 0
	s_waitcnt vmcnt(0)
	v_cvt_u32_f64_e32 v6, v[3:4]
	s_branch .LBB339_1106
.LBB339_1104:
	s_mov_b64 s[0:1], -1
                                        ; implicit-def: $vgpr6
	s_branch .LBB339_1109
.LBB339_1105:
	s_mov_b64 s[0:1], -1
                                        ; implicit-def: $vgpr6
.LBB339_1106:
	s_andn2_b64 vcc, exec, s[0:1]
	s_cbranch_vccnz .LBB339_1108
; %bb.1107:
	global_load_dword v3, v[0:1], off
	s_waitcnt vmcnt(0)
	v_cvt_u32_f32_e32 v6, v3
.LBB339_1108:
	s_mov_b64 s[0:1], 0
.LBB339_1109:
	s_andn2_b64 vcc, exec, s[0:1]
	s_cbranch_vccnz .LBB339_1111
; %bb.1110:
	global_load_ushort v3, v[0:1], off
	s_waitcnt vmcnt(0)
	v_cvt_u16_f16_e32 v6, v3
.LBB339_1111:
	s_cbranch_execnz .LBB339_1130
.LBB339_1112:
	s_cmp_lt_i32 s15, 2
	s_cbranch_scc1 .LBB339_1116
; %bb.1113:
	s_cmp_lt_i32 s15, 3
	s_cbranch_scc1 .LBB339_1117
; %bb.1114:
	s_cmp_gt_i32 s15, 3
	s_cbranch_scc0 .LBB339_1118
; %bb.1115:
	global_load_dwordx2 v[6:7], v[0:1], off
	s_mov_b64 s[0:1], 0
	s_branch .LBB339_1119
.LBB339_1116:
                                        ; implicit-def: $vgpr6
	s_branch .LBB339_1125
.LBB339_1117:
	s_mov_b64 s[0:1], -1
                                        ; implicit-def: $vgpr6
	s_branch .LBB339_1122
.LBB339_1118:
	s_mov_b64 s[0:1], -1
                                        ; implicit-def: $vgpr6
.LBB339_1119:
	s_andn2_b64 vcc, exec, s[0:1]
	s_cbranch_vccnz .LBB339_1121
; %bb.1120:
	global_load_dword v6, v[0:1], off
.LBB339_1121:
	s_mov_b64 s[0:1], 0
.LBB339_1122:
	s_andn2_b64 vcc, exec, s[0:1]
	s_cbranch_vccnz .LBB339_1124
; %bb.1123:
	global_load_ushort v6, v[0:1], off
.LBB339_1124:
	s_cbranch_execnz .LBB339_1130
.LBB339_1125:
	s_cmp_gt_i32 s15, 0
	s_cbranch_scc0 .LBB339_1127
; %bb.1126:
	global_load_sbyte v6, v[0:1], off
	s_mov_b64 s[0:1], 0
	s_branch .LBB339_1128
.LBB339_1127:
	s_mov_b64 s[0:1], -1
                                        ; implicit-def: $vgpr6
.LBB339_1128:
	s_andn2_b64 vcc, exec, s[0:1]
	s_cbranch_vccnz .LBB339_1130
; %bb.1129:
	global_load_ubyte v6, v[0:1], off
.LBB339_1130:
.LBB339_1131:
	s_lshl_b32 s13, s13, 7
	v_add_u32_e32 v2, s13, v2
	v_ashrrev_i32_e32 v1, 31, v2
	v_mov_b32_e32 v3, s11
	v_add_co_u32_e32 v0, vcc, s10, v2
	s_cmp_lt_i32 s15, 11
	v_addc_co_u32_e32 v1, vcc, v3, v1, vcc
	s_cbranch_scc1 .LBB339_1138
; %bb.1132:
	s_cmp_gt_i32 s15, 25
	s_mov_b64 s[4:5], 0
	s_cbranch_scc0 .LBB339_1140
; %bb.1133:
	s_cmp_gt_i32 s15, 28
	s_cbranch_scc0 .LBB339_1141
; %bb.1134:
	s_cmp_gt_i32 s15, 43
	;; [unrolled: 3-line block ×3, first 2 shown]
	s_cbranch_scc0 .LBB339_1144
; %bb.1136:
	s_cmp_eq_u32 s15, 46
	s_mov_b64 s[22:23], 0
	s_cbranch_scc0 .LBB339_1147
; %bb.1137:
	global_load_dword v3, v[0:1], off
	s_mov_b64 s[0:1], 0
	s_mov_b64 s[20:21], -1
	s_waitcnt vmcnt(0)
	v_lshlrev_b32_e32 v3, 16, v3
	v_cvt_u32_f32_e32 v4, v3
	s_branch .LBB339_1148
.LBB339_1138:
	s_mov_b64 s[20:21], 0
                                        ; implicit-def: $vgpr4
	s_cbranch_execnz .LBB339_1209
.LBB339_1139:
	s_andn2_b64 vcc, exec, s[20:21]
	s_cbranch_vccnz .LBB339_1940
	s_branch .LBB339_1256
.LBB339_1140:
	s_mov_b64 s[20:21], 0
	s_mov_b64 s[0:1], 0
                                        ; implicit-def: $vgpr4
	s_cbranch_execnz .LBB339_1175
	s_branch .LBB339_1205
.LBB339_1141:
	s_mov_b64 s[22:23], -1
	s_mov_b64 s[20:21], 0
	s_mov_b64 s[0:1], 0
                                        ; implicit-def: $vgpr4
	s_branch .LBB339_1158
.LBB339_1142:
	s_mov_b64 s[22:23], -1
	s_mov_b64 s[20:21], 0
	s_mov_b64 s[0:1], 0
                                        ; implicit-def: $vgpr4
	s_branch .LBB339_1153
.LBB339_1143:
	s_or_b64 s[18:19], s[16:17], exec
	s_trap 2
	s_cbranch_execz .LBB339_1084
	s_branch .LBB339_1085
.LBB339_1144:
	s_mov_b64 s[22:23], -1
	s_mov_b64 s[20:21], 0
	s_mov_b64 s[0:1], 0
                                        ; implicit-def: $vgpr4
	s_branch .LBB339_1148
.LBB339_1145:
	s_andn2_saveexec_b64 s[30:31], s[30:31]
	s_cbranch_execz .LBB339_932
.LBB339_1146:
	v_add_f32_e32 v2, 0x42800000, v3
	v_and_b32_e32 v2, 0xff, v2
	v_cmp_ne_u32_e32 vcc, 0, v2
	s_andn2_b64 s[28:29], s[28:29], exec
	s_and_b64 s[36:37], vcc, exec
	s_or_b64 s[28:29], s[28:29], s[36:37]
	s_or_b64 exec, exec, s[30:31]
	v_mov_b32_e32 v4, 0
	s_and_saveexec_b64 s[30:31], s[28:29]
	s_cbranch_execnz .LBB339_933
	s_branch .LBB339_934
.LBB339_1147:
	s_mov_b64 s[0:1], -1
                                        ; implicit-def: $vgpr4
	s_mov_b64 s[20:21], 0
.LBB339_1148:
	s_and_b64 vcc, exec, s[22:23]
	s_cbranch_vccz .LBB339_1152
; %bb.1149:
	s_cmp_eq_u32 s15, 44
	s_cbranch_scc0 .LBB339_1151
; %bb.1150:
	global_load_ubyte v3, v[0:1], off
	s_mov_b64 s[0:1], 0
	s_mov_b64 s[20:21], -1
	s_waitcnt vmcnt(0)
	v_lshlrev_b32_e32 v4, 23, v3
	v_cvt_u32_f32_e32 v4, v4
	v_cmp_ne_u32_e32 vcc, 0, v3
	v_cndmask_b32_e32 v4, 0, v4, vcc
	s_branch .LBB339_1152
.LBB339_1151:
	s_mov_b64 s[0:1], -1
                                        ; implicit-def: $vgpr4
.LBB339_1152:
	s_mov_b64 s[22:23], 0
.LBB339_1153:
	s_and_b64 vcc, exec, s[22:23]
	s_cbranch_vccz .LBB339_1157
; %bb.1154:
	s_cmp_eq_u32 s15, 29
	s_cbranch_scc0 .LBB339_1156
; %bb.1155:
	global_load_dwordx2 v[4:5], v[0:1], off
	s_mov_b64 s[0:1], 0
	s_mov_b64 s[20:21], -1
	s_branch .LBB339_1157
.LBB339_1156:
	s_mov_b64 s[0:1], -1
                                        ; implicit-def: $vgpr4
.LBB339_1157:
	s_mov_b64 s[22:23], 0
.LBB339_1158:
	s_and_b64 vcc, exec, s[22:23]
	s_cbranch_vccz .LBB339_1174
; %bb.1159:
	s_cmp_lt_i32 s15, 27
	s_cbranch_scc1 .LBB339_1162
; %bb.1160:
	s_cmp_gt_i32 s15, 27
	s_cbranch_scc0 .LBB339_1163
; %bb.1161:
	global_load_dword v4, v[0:1], off
	s_mov_b64 s[20:21], 0
	s_branch .LBB339_1164
.LBB339_1162:
	s_mov_b64 s[20:21], -1
                                        ; implicit-def: $vgpr4
	s_branch .LBB339_1167
.LBB339_1163:
	s_mov_b64 s[20:21], -1
                                        ; implicit-def: $vgpr4
.LBB339_1164:
	s_andn2_b64 vcc, exec, s[20:21]
	s_cbranch_vccnz .LBB339_1166
; %bb.1165:
	global_load_ushort v4, v[0:1], off
.LBB339_1166:
	s_mov_b64 s[20:21], 0
.LBB339_1167:
	s_andn2_b64 vcc, exec, s[20:21]
	s_cbranch_vccnz .LBB339_1173
; %bb.1168:
	global_load_ubyte v3, v[0:1], off
	s_movk_i32 s20, 0x7f
	s_mov_b64 s[22:23], 0
	s_waitcnt vmcnt(0)
	v_cmp_lt_i16_e32 vcc, s20, v3
	s_and_saveexec_b64 s[20:21], vcc
	s_xor_b64 s[20:21], exec, s[20:21]
	s_cbranch_execz .LBB339_1184
; %bb.1169:
	s_movk_i32 s22, 0x80
	v_cmp_ne_u16_e32 vcc, s22, v3
	s_and_b64 s[22:23], vcc, exec
	s_andn2_saveexec_b64 s[20:21], s[20:21]
	s_cbranch_execnz .LBB339_1185
.LBB339_1170:
	s_or_b64 exec, exec, s[20:21]
	v_mov_b32_e32 v4, 0
	s_and_saveexec_b64 s[20:21], s[22:23]
	s_cbranch_execz .LBB339_1172
.LBB339_1171:
	v_lshlrev_b32_e32 v4, 24, v3
	v_and_b32_e32 v3, 0xffff, v3
	v_and_b32_e32 v5, 7, v3
	v_ffbh_u32_e32 v8, v5
	v_min_u32_e32 v8, 32, v8
	v_subrev_u32_e32 v10, 28, v8
	v_bfe_u32 v7, v3, 3, 4
	v_lshlrev_b32_e32 v3, v10, v3
	v_sub_u32_e32 v8, 29, v8
	v_and_b32_e32 v3, 7, v3
	v_cmp_eq_u32_e32 vcc, 0, v7
	v_cndmask_b32_e32 v7, v7, v8, vcc
	v_cndmask_b32_e32 v3, v5, v3, vcc
	v_mov_b32_e32 v5, 0x3b800000
	v_lshlrev_b32_e32 v3, 20, v3
	v_and_b32_e32 v4, 0x80000000, v4
	v_lshl_add_u32 v5, v7, 23, v5
	v_or3_b32 v3, v4, v5, v3
	v_cvt_u32_f32_e32 v4, v3
.LBB339_1172:
	s_or_b64 exec, exec, s[20:21]
.LBB339_1173:
	s_mov_b64 s[20:21], -1
.LBB339_1174:
	s_branch .LBB339_1205
.LBB339_1175:
	s_cmp_gt_i32 s15, 22
	s_cbranch_scc0 .LBB339_1183
; %bb.1176:
	s_cmp_lt_i32 s15, 24
	s_cbranch_scc1 .LBB339_1186
; %bb.1177:
	s_cmp_gt_i32 s15, 24
	s_cbranch_scc0 .LBB339_1187
; %bb.1178:
	global_load_ubyte v3, v[0:1], off
	s_movk_i32 s4, 0x7f
	s_mov_b64 s[20:21], 0
	s_waitcnt vmcnt(0)
	v_cmp_lt_i16_e32 vcc, s4, v3
	s_and_saveexec_b64 s[4:5], vcc
	s_xor_b64 s[4:5], exec, s[4:5]
	s_cbranch_execz .LBB339_1199
; %bb.1179:
	s_movk_i32 s20, 0x80
	v_cmp_ne_u16_e32 vcc, s20, v3
	s_and_b64 s[20:21], vcc, exec
	s_andn2_saveexec_b64 s[4:5], s[4:5]
	s_cbranch_execnz .LBB339_1200
.LBB339_1180:
	s_or_b64 exec, exec, s[4:5]
	v_mov_b32_e32 v4, 0
	s_and_saveexec_b64 s[4:5], s[20:21]
	s_cbranch_execz .LBB339_1182
.LBB339_1181:
	v_lshlrev_b32_e32 v4, 24, v3
	v_and_b32_e32 v3, 0xffff, v3
	v_and_b32_e32 v5, 3, v3
	v_ffbh_u32_e32 v8, v5
	v_min_u32_e32 v8, 32, v8
	v_subrev_u32_e32 v10, 29, v8
	v_bfe_u32 v7, v3, 2, 5
	v_lshlrev_b32_e32 v3, v10, v3
	v_sub_u32_e32 v8, 30, v8
	v_and_b32_e32 v3, 3, v3
	v_cmp_eq_u32_e32 vcc, 0, v7
	v_cndmask_b32_e32 v7, v7, v8, vcc
	v_cndmask_b32_e32 v3, v5, v3, vcc
	v_mov_b32_e32 v5, 0x37800000
	v_lshlrev_b32_e32 v3, 21, v3
	v_and_b32_e32 v4, 0x80000000, v4
	v_lshl_add_u32 v5, v7, 23, v5
	v_or3_b32 v3, v4, v5, v3
	v_cvt_u32_f32_e32 v4, v3
.LBB339_1182:
	s_or_b64 exec, exec, s[4:5]
	s_mov_b64 s[4:5], 0
	s_branch .LBB339_1188
.LBB339_1183:
	s_mov_b64 s[4:5], -1
                                        ; implicit-def: $vgpr4
	s_branch .LBB339_1194
.LBB339_1184:
	s_andn2_saveexec_b64 s[20:21], s[20:21]
	s_cbranch_execz .LBB339_1170
.LBB339_1185:
	v_cmp_ne_u16_e32 vcc, 0, v3
	s_andn2_b64 s[22:23], s[22:23], exec
	s_and_b64 s[24:25], vcc, exec
	s_or_b64 s[22:23], s[22:23], s[24:25]
	s_or_b64 exec, exec, s[20:21]
	v_mov_b32_e32 v4, 0
	s_and_saveexec_b64 s[20:21], s[22:23]
	s_cbranch_execnz .LBB339_1171
	s_branch .LBB339_1172
.LBB339_1186:
	s_mov_b64 s[4:5], -1
                                        ; implicit-def: $vgpr4
	s_branch .LBB339_1191
.LBB339_1187:
	s_mov_b64 s[4:5], -1
                                        ; implicit-def: $vgpr4
.LBB339_1188:
	s_and_b64 vcc, exec, s[4:5]
	s_cbranch_vccz .LBB339_1190
; %bb.1189:
	global_load_ubyte v3, v[0:1], off
	s_mov_b32 s4, 0x7f800000
	s_waitcnt vmcnt(0)
	v_lshlrev_b32_e32 v3, 24, v3
	v_and_b32_e32 v4, 0x7f000000, v3
	v_ffbh_u32_e32 v5, v4
	v_min_u32_e32 v5, 32, v5
	v_sub_u32_e64 v5, v5, 4 clamp
	v_lshlrev_b32_e32 v8, v5, v4
	v_lshlrev_b32_e32 v5, 23, v5
	v_lshrrev_b32_e32 v8, 4, v8
	v_add_u32_e32 v7, 0x1000000, v4
	v_sub_u32_e32 v5, v8, v5
	v_ashrrev_i32_e32 v7, 8, v7
	v_add_u32_e32 v5, 0x3c000000, v5
	v_and_or_b32 v5, v7, s4, v5
	v_cmp_ne_u32_e32 vcc, 0, v4
	v_cndmask_b32_e32 v4, 0, v5, vcc
	s_brev_b32 s4, 1
	v_and_or_b32 v3, v3, s4, v4
	v_cvt_u32_f32_e32 v4, v3
.LBB339_1190:
	s_mov_b64 s[4:5], 0
.LBB339_1191:
	s_andn2_b64 vcc, exec, s[4:5]
	s_cbranch_vccnz .LBB339_1193
; %bb.1192:
	global_load_ubyte v3, v[0:1], off
	s_movk_i32 s4, 0x7f00
	s_brev_b32 s5, 16
	s_waitcnt vmcnt(0)
	v_lshlrev_b16_e32 v4, 8, v3
	v_lshlrev_b32_e32 v3, 25, v3
	v_lshrrev_b32_e32 v5, 4, v3
	v_and_or_b32 v7, v4, s4, 0.5
	v_or_b32_e32 v5, 0x70000000, v5
	v_add_f32_e32 v7, -0.5, v7
	v_mul_f32_e32 v5, 0x7800000, v5
	v_cmp_gt_u32_e32 vcc, s5, v3
	v_bfe_i32 v4, v4, 0, 16
	v_cndmask_b32_e32 v3, v5, v7, vcc
	s_brev_b32 s4, 1
	v_and_or_b32 v3, v4, s4, v3
	v_cvt_u32_f32_e32 v4, v3
.LBB339_1193:
	s_mov_b64 s[4:5], 0
	s_mov_b64 s[20:21], -1
.LBB339_1194:
	s_andn2_b64 vcc, exec, s[4:5]
	s_mov_b64 s[4:5], 0
	s_cbranch_vccnz .LBB339_1205
; %bb.1195:
	s_cmp_gt_i32 s15, 14
	s_cbranch_scc0 .LBB339_1198
; %bb.1196:
	s_cmp_eq_u32 s15, 15
	s_cbranch_scc0 .LBB339_1201
; %bb.1197:
	global_load_ushort v3, v[0:1], off
	s_mov_b64 s[0:1], 0
	s_mov_b64 s[20:21], -1
	s_waitcnt vmcnt(0)
	v_lshlrev_b32_e32 v3, 16, v3
	v_cvt_u32_f32_e32 v4, v3
	s_branch .LBB339_1202
.LBB339_1198:
	s_mov_b64 s[22:23], -1
                                        ; implicit-def: $vgpr4
	s_branch .LBB339_1203
.LBB339_1199:
	s_andn2_saveexec_b64 s[4:5], s[4:5]
	s_cbranch_execz .LBB339_1180
.LBB339_1200:
	v_cmp_ne_u16_e32 vcc, 0, v3
	s_andn2_b64 s[20:21], s[20:21], exec
	s_and_b64 s[22:23], vcc, exec
	s_or_b64 s[20:21], s[20:21], s[22:23]
	s_or_b64 exec, exec, s[4:5]
	v_mov_b32_e32 v4, 0
	s_and_saveexec_b64 s[4:5], s[20:21]
	s_cbranch_execnz .LBB339_1181
	s_branch .LBB339_1182
.LBB339_1201:
	s_mov_b64 s[0:1], -1
                                        ; implicit-def: $vgpr4
.LBB339_1202:
	s_mov_b64 s[22:23], 0
.LBB339_1203:
	s_and_b64 vcc, exec, s[22:23]
	s_cbranch_vccz .LBB339_1205
; %bb.1204:
	s_cmp_lg_u32 s15, 11
	s_mov_b64 s[4:5], -1
	s_cselect_b64 s[0:1], -1, 0
.LBB339_1205:
	s_and_b64 vcc, exec, s[0:1]
	s_cbranch_vccnz .LBB339_1268
; %bb.1206:
	s_andn2_b64 vcc, exec, s[4:5]
	s_cbranch_vccnz .LBB339_1208
.LBB339_1207:
	global_load_ubyte v3, v[0:1], off
	s_mov_b64 s[20:21], -1
	s_waitcnt vmcnt(0)
	v_cmp_ne_u16_e32 vcc, 0, v3
	v_cndmask_b32_e64 v4, 0, 1, vcc
.LBB339_1208:
	s_branch .LBB339_1139
.LBB339_1209:
	s_cmp_lt_i32 s15, 5
	s_cbranch_scc1 .LBB339_1214
; %bb.1210:
	s_cmp_lt_i32 s15, 8
	s_cbranch_scc1 .LBB339_1215
; %bb.1211:
	;; [unrolled: 3-line block ×3, first 2 shown]
	s_cmp_gt_i32 s15, 9
	s_cbranch_scc0 .LBB339_1217
; %bb.1213:
	global_load_dwordx2 v[3:4], v[0:1], off
	s_mov_b64 s[0:1], 0
	s_waitcnt vmcnt(0)
	v_cvt_u32_f64_e32 v4, v[3:4]
	s_branch .LBB339_1218
.LBB339_1214:
                                        ; implicit-def: $vgpr4
	s_branch .LBB339_1236
.LBB339_1215:
	s_mov_b64 s[0:1], -1
                                        ; implicit-def: $vgpr4
	s_branch .LBB339_1224
.LBB339_1216:
	s_mov_b64 s[0:1], -1
                                        ; implicit-def: $vgpr4
	s_branch .LBB339_1221
.LBB339_1217:
	s_mov_b64 s[0:1], -1
                                        ; implicit-def: $vgpr4
.LBB339_1218:
	s_andn2_b64 vcc, exec, s[0:1]
	s_cbranch_vccnz .LBB339_1220
; %bb.1219:
	global_load_dword v3, v[0:1], off
	s_waitcnt vmcnt(0)
	v_cvt_u32_f32_e32 v4, v3
.LBB339_1220:
	s_mov_b64 s[0:1], 0
.LBB339_1221:
	s_andn2_b64 vcc, exec, s[0:1]
	s_cbranch_vccnz .LBB339_1223
; %bb.1222:
	global_load_dword v3, v[0:1], off
	s_waitcnt vmcnt(0)
	v_cvt_u16_f16_e32 v4, v3
.LBB339_1223:
	s_mov_b64 s[0:1], 0
.LBB339_1224:
	s_andn2_b64 vcc, exec, s[0:1]
	s_cbranch_vccnz .LBB339_1235
; %bb.1225:
	s_cmp_lt_i32 s15, 6
	s_cbranch_scc1 .LBB339_1228
; %bb.1226:
	s_cmp_gt_i32 s15, 6
	s_cbranch_scc0 .LBB339_1229
; %bb.1227:
	global_load_dwordx2 v[3:4], v[0:1], off
	s_mov_b64 s[0:1], 0
	s_waitcnt vmcnt(0)
	v_cvt_u32_f64_e32 v4, v[3:4]
	s_branch .LBB339_1230
.LBB339_1228:
	s_mov_b64 s[0:1], -1
                                        ; implicit-def: $vgpr4
	s_branch .LBB339_1233
.LBB339_1229:
	s_mov_b64 s[0:1], -1
                                        ; implicit-def: $vgpr4
.LBB339_1230:
	s_andn2_b64 vcc, exec, s[0:1]
	s_cbranch_vccnz .LBB339_1232
; %bb.1231:
	global_load_dword v3, v[0:1], off
	s_waitcnt vmcnt(0)
	v_cvt_u32_f32_e32 v4, v3
.LBB339_1232:
	s_mov_b64 s[0:1], 0
.LBB339_1233:
	s_andn2_b64 vcc, exec, s[0:1]
	s_cbranch_vccnz .LBB339_1235
; %bb.1234:
	global_load_ushort v3, v[0:1], off
	s_waitcnt vmcnt(0)
	v_cvt_u16_f16_e32 v4, v3
.LBB339_1235:
	s_cbranch_execnz .LBB339_1255
.LBB339_1236:
	s_cmp_lt_i32 s15, 2
	s_cbranch_scc1 .LBB339_1240
; %bb.1237:
	s_cmp_lt_i32 s15, 3
	s_cbranch_scc1 .LBB339_1241
; %bb.1238:
	s_cmp_gt_i32 s15, 3
	s_cbranch_scc0 .LBB339_1242
; %bb.1239:
	global_load_dwordx2 v[4:5], v[0:1], off
	s_mov_b64 s[0:1], 0
	s_branch .LBB339_1243
.LBB339_1240:
	s_mov_b64 s[0:1], -1
                                        ; implicit-def: $vgpr4
	s_branch .LBB339_1249
.LBB339_1241:
	s_mov_b64 s[0:1], -1
                                        ; implicit-def: $vgpr4
	s_branch .LBB339_1246
.LBB339_1242:
	s_mov_b64 s[0:1], -1
                                        ; implicit-def: $vgpr4
.LBB339_1243:
	s_andn2_b64 vcc, exec, s[0:1]
	s_cbranch_vccnz .LBB339_1245
; %bb.1244:
	global_load_dword v4, v[0:1], off
.LBB339_1245:
	s_mov_b64 s[0:1], 0
.LBB339_1246:
	s_andn2_b64 vcc, exec, s[0:1]
	s_cbranch_vccnz .LBB339_1248
; %bb.1247:
	global_load_ushort v4, v[0:1], off
.LBB339_1248:
	s_mov_b64 s[0:1], 0
.LBB339_1249:
	s_andn2_b64 vcc, exec, s[0:1]
	s_cbranch_vccnz .LBB339_1255
; %bb.1250:
	s_cmp_gt_i32 s15, 0
	s_cbranch_scc0 .LBB339_1252
; %bb.1251:
	global_load_sbyte v4, v[0:1], off
	s_mov_b64 s[0:1], 0
	s_branch .LBB339_1253
.LBB339_1252:
	s_mov_b64 s[0:1], -1
                                        ; implicit-def: $vgpr4
.LBB339_1253:
	s_andn2_b64 vcc, exec, s[0:1]
	s_cbranch_vccnz .LBB339_1255
; %bb.1254:
	global_load_ubyte v4, v[0:1], off
.LBB339_1255:
.LBB339_1256:
	s_waitcnt vmcnt(0)
	v_add_u32_e32 v5, s13, v2
	v_ashrrev_i32_e32 v1, 31, v5
	v_mov_b32_e32 v2, s11
	v_add_co_u32_e32 v0, vcc, s10, v5
	s_cmp_lt_i32 s15, 11
	v_addc_co_u32_e32 v1, vcc, v2, v1, vcc
	s_cbranch_scc1 .LBB339_1263
; %bb.1257:
	s_cmp_gt_i32 s15, 25
	s_mov_b64 s[4:5], 0
	s_cbranch_scc0 .LBB339_1265
; %bb.1258:
	s_cmp_gt_i32 s15, 28
	s_cbranch_scc0 .LBB339_1266
; %bb.1259:
	s_cmp_gt_i32 s15, 43
	;; [unrolled: 3-line block ×3, first 2 shown]
	s_cbranch_scc0 .LBB339_1269
; %bb.1261:
	s_cmp_eq_u32 s15, 46
	s_mov_b64 s[22:23], 0
	s_cbranch_scc0 .LBB339_1270
; %bb.1262:
	global_load_dword v2, v[0:1], off
	s_mov_b64 s[0:1], 0
	s_mov_b64 s[20:21], -1
	s_waitcnt vmcnt(0)
	v_lshlrev_b32_e32 v2, 16, v2
	v_cvt_u32_f32_e32 v2, v2
	s_branch .LBB339_1271
.LBB339_1263:
	s_mov_b64 s[20:21], 0
                                        ; implicit-def: $vgpr2
	s_cbranch_execnz .LBB339_1333
.LBB339_1264:
	s_andn2_b64 vcc, exec, s[20:21]
	s_cbranch_vccnz .LBB339_1940
	s_branch .LBB339_1381
.LBB339_1265:
	s_mov_b64 s[22:23], -1
	s_mov_b64 s[20:21], 0
	s_mov_b64 s[0:1], 0
                                        ; implicit-def: $vgpr2
	s_branch .LBB339_1298
.LBB339_1266:
	s_mov_b64 s[22:23], -1
	s_mov_b64 s[20:21], 0
	s_mov_b64 s[0:1], 0
                                        ; implicit-def: $vgpr2
	s_branch .LBB339_1281
.LBB339_1267:
	s_mov_b64 s[22:23], -1
	s_mov_b64 s[20:21], 0
	s_mov_b64 s[0:1], 0
                                        ; implicit-def: $vgpr2
	s_branch .LBB339_1276
.LBB339_1268:
	s_trap 2
	s_or_b64 s[18:19], s[18:19], exec
	s_cbranch_execz .LBB339_1207
	s_branch .LBB339_1208
.LBB339_1269:
	s_mov_b64 s[22:23], -1
	s_mov_b64 s[20:21], 0
	s_mov_b64 s[0:1], 0
                                        ; implicit-def: $vgpr2
	s_branch .LBB339_1271
.LBB339_1270:
	s_mov_b64 s[0:1], -1
                                        ; implicit-def: $vgpr2
	s_mov_b64 s[20:21], 0
.LBB339_1271:
	s_and_b64 vcc, exec, s[22:23]
	s_cbranch_vccz .LBB339_1275
; %bb.1272:
	s_cmp_eq_u32 s15, 44
	s_cbranch_scc0 .LBB339_1274
; %bb.1273:
	global_load_ubyte v2, v[0:1], off
	s_mov_b64 s[0:1], 0
	s_mov_b64 s[20:21], -1
	s_waitcnt vmcnt(0)
	v_lshlrev_b32_e32 v3, 23, v2
	v_cvt_u32_f32_e32 v3, v3
	v_cmp_ne_u32_e32 vcc, 0, v2
	v_cndmask_b32_e32 v2, 0, v3, vcc
	s_branch .LBB339_1275
.LBB339_1274:
	s_mov_b64 s[0:1], -1
                                        ; implicit-def: $vgpr2
.LBB339_1275:
	s_mov_b64 s[22:23], 0
.LBB339_1276:
	s_and_b64 vcc, exec, s[22:23]
	s_cbranch_vccz .LBB339_1280
; %bb.1277:
	s_cmp_eq_u32 s15, 29
	s_cbranch_scc0 .LBB339_1279
; %bb.1278:
	global_load_dwordx2 v[2:3], v[0:1], off
	s_mov_b64 s[0:1], 0
	s_mov_b64 s[20:21], -1
	s_branch .LBB339_1280
.LBB339_1279:
	s_mov_b64 s[0:1], -1
                                        ; implicit-def: $vgpr2
.LBB339_1280:
	s_mov_b64 s[22:23], 0
.LBB339_1281:
	s_and_b64 vcc, exec, s[22:23]
	s_cbranch_vccz .LBB339_1297
; %bb.1282:
	s_cmp_lt_i32 s15, 27
	s_cbranch_scc1 .LBB339_1285
; %bb.1283:
	s_cmp_gt_i32 s15, 27
	s_cbranch_scc0 .LBB339_1286
; %bb.1284:
	global_load_dword v2, v[0:1], off
	s_mov_b64 s[20:21], 0
	s_branch .LBB339_1287
.LBB339_1285:
	s_mov_b64 s[20:21], -1
                                        ; implicit-def: $vgpr2
	s_branch .LBB339_1290
.LBB339_1286:
	s_mov_b64 s[20:21], -1
                                        ; implicit-def: $vgpr2
.LBB339_1287:
	s_andn2_b64 vcc, exec, s[20:21]
	s_cbranch_vccnz .LBB339_1289
; %bb.1288:
	global_load_ushort v2, v[0:1], off
.LBB339_1289:
	s_mov_b64 s[20:21], 0
.LBB339_1290:
	s_andn2_b64 vcc, exec, s[20:21]
	s_cbranch_vccnz .LBB339_1296
; %bb.1291:
	global_load_ubyte v3, v[0:1], off
	s_movk_i32 s20, 0x7f
	s_mov_b64 s[22:23], 0
	s_waitcnt vmcnt(0)
	v_cmp_lt_i16_e32 vcc, s20, v3
	s_and_saveexec_b64 s[20:21], vcc
	s_xor_b64 s[20:21], exec, s[20:21]
	s_cbranch_execz .LBB339_1308
; %bb.1292:
	s_movk_i32 s22, 0x80
	v_cmp_ne_u16_e32 vcc, s22, v3
	s_and_b64 s[22:23], vcc, exec
	s_andn2_saveexec_b64 s[20:21], s[20:21]
	s_cbranch_execnz .LBB339_1309
.LBB339_1293:
	s_or_b64 exec, exec, s[20:21]
	v_mov_b32_e32 v2, 0
	s_and_saveexec_b64 s[20:21], s[22:23]
	s_cbranch_execz .LBB339_1295
.LBB339_1294:
	v_lshlrev_b32_e32 v2, 24, v3
	v_and_b32_e32 v3, 0xffff, v3
	v_and_b32_e32 v7, 7, v3
	v_ffbh_u32_e32 v10, v7
	v_min_u32_e32 v10, 32, v10
	v_subrev_u32_e32 v11, 28, v10
	v_bfe_u32 v8, v3, 3, 4
	v_lshlrev_b32_e32 v3, v11, v3
	v_sub_u32_e32 v10, 29, v10
	v_and_b32_e32 v3, 7, v3
	v_cmp_eq_u32_e32 vcc, 0, v8
	v_cndmask_b32_e32 v8, v8, v10, vcc
	v_cndmask_b32_e32 v3, v7, v3, vcc
	v_mov_b32_e32 v7, 0x3b800000
	v_lshlrev_b32_e32 v3, 20, v3
	v_and_b32_e32 v2, 0x80000000, v2
	v_lshl_add_u32 v7, v8, 23, v7
	v_or3_b32 v2, v2, v7, v3
	v_cvt_u32_f32_e32 v2, v2
.LBB339_1295:
	s_or_b64 exec, exec, s[20:21]
.LBB339_1296:
	s_mov_b64 s[20:21], -1
.LBB339_1297:
	s_mov_b64 s[22:23], 0
.LBB339_1298:
	s_and_b64 vcc, exec, s[22:23]
	s_cbranch_vccz .LBB339_1329
; %bb.1299:
	s_cmp_gt_i32 s15, 22
	s_cbranch_scc0 .LBB339_1307
; %bb.1300:
	s_cmp_lt_i32 s15, 24
	s_cbranch_scc1 .LBB339_1310
; %bb.1301:
	s_cmp_gt_i32 s15, 24
	s_cbranch_scc0 .LBB339_1311
; %bb.1302:
	global_load_ubyte v3, v[0:1], off
	s_movk_i32 s4, 0x7f
	s_mov_b64 s[20:21], 0
	s_waitcnt vmcnt(0)
	v_cmp_lt_i16_e32 vcc, s4, v3
	s_and_saveexec_b64 s[4:5], vcc
	s_xor_b64 s[4:5], exec, s[4:5]
	s_cbranch_execz .LBB339_1323
; %bb.1303:
	s_movk_i32 s20, 0x80
	v_cmp_ne_u16_e32 vcc, s20, v3
	s_and_b64 s[20:21], vcc, exec
	s_andn2_saveexec_b64 s[4:5], s[4:5]
	s_cbranch_execnz .LBB339_1324
.LBB339_1304:
	s_or_b64 exec, exec, s[4:5]
	v_mov_b32_e32 v2, 0
	s_and_saveexec_b64 s[4:5], s[20:21]
	s_cbranch_execz .LBB339_1306
.LBB339_1305:
	v_lshlrev_b32_e32 v2, 24, v3
	v_and_b32_e32 v3, 0xffff, v3
	v_and_b32_e32 v7, 3, v3
	v_ffbh_u32_e32 v10, v7
	v_min_u32_e32 v10, 32, v10
	v_subrev_u32_e32 v11, 29, v10
	v_bfe_u32 v8, v3, 2, 5
	v_lshlrev_b32_e32 v3, v11, v3
	v_sub_u32_e32 v10, 30, v10
	v_and_b32_e32 v3, 3, v3
	v_cmp_eq_u32_e32 vcc, 0, v8
	v_cndmask_b32_e32 v8, v8, v10, vcc
	v_cndmask_b32_e32 v3, v7, v3, vcc
	v_mov_b32_e32 v7, 0x37800000
	v_lshlrev_b32_e32 v3, 21, v3
	v_and_b32_e32 v2, 0x80000000, v2
	v_lshl_add_u32 v7, v8, 23, v7
	v_or3_b32 v2, v2, v7, v3
	v_cvt_u32_f32_e32 v2, v2
.LBB339_1306:
	s_or_b64 exec, exec, s[4:5]
	s_mov_b64 s[4:5], 0
	s_branch .LBB339_1312
.LBB339_1307:
	s_mov_b64 s[4:5], -1
                                        ; implicit-def: $vgpr2
	s_branch .LBB339_1318
.LBB339_1308:
	s_andn2_saveexec_b64 s[20:21], s[20:21]
	s_cbranch_execz .LBB339_1293
.LBB339_1309:
	v_cmp_ne_u16_e32 vcc, 0, v3
	s_andn2_b64 s[22:23], s[22:23], exec
	s_and_b64 s[24:25], vcc, exec
	s_or_b64 s[22:23], s[22:23], s[24:25]
	s_or_b64 exec, exec, s[20:21]
	v_mov_b32_e32 v2, 0
	s_and_saveexec_b64 s[20:21], s[22:23]
	s_cbranch_execnz .LBB339_1294
	s_branch .LBB339_1295
.LBB339_1310:
	s_mov_b64 s[4:5], -1
                                        ; implicit-def: $vgpr2
	s_branch .LBB339_1315
.LBB339_1311:
	s_mov_b64 s[4:5], -1
                                        ; implicit-def: $vgpr2
.LBB339_1312:
	s_and_b64 vcc, exec, s[4:5]
	s_cbranch_vccz .LBB339_1314
; %bb.1313:
	global_load_ubyte v2, v[0:1], off
	s_mov_b32 s4, 0x7f800000
	s_waitcnt vmcnt(0)
	v_lshlrev_b32_e32 v2, 24, v2
	v_and_b32_e32 v3, 0x7f000000, v2
	v_ffbh_u32_e32 v7, v3
	v_min_u32_e32 v7, 32, v7
	v_sub_u32_e64 v7, v7, 4 clamp
	v_lshlrev_b32_e32 v10, v7, v3
	v_lshlrev_b32_e32 v7, 23, v7
	v_lshrrev_b32_e32 v10, 4, v10
	v_add_u32_e32 v8, 0x1000000, v3
	v_sub_u32_e32 v7, v10, v7
	v_ashrrev_i32_e32 v8, 8, v8
	v_add_u32_e32 v7, 0x3c000000, v7
	v_and_or_b32 v7, v8, s4, v7
	v_cmp_ne_u32_e32 vcc, 0, v3
	v_cndmask_b32_e32 v3, 0, v7, vcc
	s_brev_b32 s4, 1
	v_and_or_b32 v2, v2, s4, v3
	v_cvt_u32_f32_e32 v2, v2
.LBB339_1314:
	s_mov_b64 s[4:5], 0
.LBB339_1315:
	s_andn2_b64 vcc, exec, s[4:5]
	s_cbranch_vccnz .LBB339_1317
; %bb.1316:
	global_load_ubyte v2, v[0:1], off
	s_movk_i32 s4, 0x7f00
	s_brev_b32 s5, 16
	s_waitcnt vmcnt(0)
	v_lshlrev_b16_e32 v3, 8, v2
	v_lshlrev_b32_e32 v2, 25, v2
	v_lshrrev_b32_e32 v7, 4, v2
	v_and_or_b32 v8, v3, s4, 0.5
	v_or_b32_e32 v7, 0x70000000, v7
	v_add_f32_e32 v8, -0.5, v8
	v_mul_f32_e32 v7, 0x7800000, v7
	v_cmp_gt_u32_e32 vcc, s5, v2
	v_bfe_i32 v3, v3, 0, 16
	v_cndmask_b32_e32 v2, v7, v8, vcc
	s_brev_b32 s4, 1
	v_and_or_b32 v2, v3, s4, v2
	v_cvt_u32_f32_e32 v2, v2
.LBB339_1317:
	s_mov_b64 s[4:5], 0
	s_mov_b64 s[20:21], -1
.LBB339_1318:
	s_andn2_b64 vcc, exec, s[4:5]
	s_mov_b64 s[4:5], 0
	s_cbranch_vccnz .LBB339_1329
; %bb.1319:
	s_cmp_gt_i32 s15, 14
	s_cbranch_scc0 .LBB339_1322
; %bb.1320:
	s_cmp_eq_u32 s15, 15
	s_cbranch_scc0 .LBB339_1325
; %bb.1321:
	global_load_ushort v2, v[0:1], off
	s_mov_b64 s[0:1], 0
	s_mov_b64 s[20:21], -1
	s_waitcnt vmcnt(0)
	v_lshlrev_b32_e32 v2, 16, v2
	v_cvt_u32_f32_e32 v2, v2
	s_branch .LBB339_1326
.LBB339_1322:
	s_mov_b64 s[22:23], -1
                                        ; implicit-def: $vgpr2
	s_branch .LBB339_1327
.LBB339_1323:
	s_andn2_saveexec_b64 s[4:5], s[4:5]
	s_cbranch_execz .LBB339_1304
.LBB339_1324:
	v_cmp_ne_u16_e32 vcc, 0, v3
	s_andn2_b64 s[20:21], s[20:21], exec
	s_and_b64 s[22:23], vcc, exec
	s_or_b64 s[20:21], s[20:21], s[22:23]
	s_or_b64 exec, exec, s[4:5]
	v_mov_b32_e32 v2, 0
	s_and_saveexec_b64 s[4:5], s[20:21]
	s_cbranch_execnz .LBB339_1305
	s_branch .LBB339_1306
.LBB339_1325:
	s_mov_b64 s[0:1], -1
                                        ; implicit-def: $vgpr2
.LBB339_1326:
	s_mov_b64 s[22:23], 0
.LBB339_1327:
	s_and_b64 vcc, exec, s[22:23]
	s_cbranch_vccz .LBB339_1329
; %bb.1328:
	s_cmp_lg_u32 s15, 11
	s_mov_b64 s[4:5], -1
	s_cselect_b64 s[0:1], -1, 0
.LBB339_1329:
	s_and_b64 vcc, exec, s[0:1]
	s_cbranch_vccnz .LBB339_1392
; %bb.1330:
	s_andn2_b64 vcc, exec, s[4:5]
	s_cbranch_vccnz .LBB339_1332
.LBB339_1331:
	global_load_ubyte v2, v[0:1], off
	s_mov_b64 s[20:21], -1
	s_waitcnt vmcnt(0)
	v_cmp_ne_u16_e32 vcc, 0, v2
	v_cndmask_b32_e64 v2, 0, 1, vcc
.LBB339_1332:
	s_branch .LBB339_1264
.LBB339_1333:
	s_cmp_lt_i32 s15, 5
	s_cbranch_scc1 .LBB339_1338
; %bb.1334:
	s_cmp_lt_i32 s15, 8
	s_cbranch_scc1 .LBB339_1339
; %bb.1335:
	s_cmp_lt_i32 s15, 9
	s_cbranch_scc1 .LBB339_1340
; %bb.1336:
	s_cmp_gt_i32 s15, 9
	s_cbranch_scc0 .LBB339_1341
; %bb.1337:
	global_load_dwordx2 v[2:3], v[0:1], off
	s_mov_b64 s[0:1], 0
	s_waitcnt vmcnt(0)
	v_cvt_u32_f64_e32 v2, v[2:3]
	s_branch .LBB339_1342
.LBB339_1338:
	s_mov_b64 s[0:1], -1
                                        ; implicit-def: $vgpr2
	s_branch .LBB339_1360
.LBB339_1339:
	s_mov_b64 s[0:1], -1
                                        ; implicit-def: $vgpr2
	s_branch .LBB339_1348
.LBB339_1340:
	s_mov_b64 s[0:1], -1
                                        ; implicit-def: $vgpr2
	s_branch .LBB339_1345
.LBB339_1341:
	s_mov_b64 s[0:1], -1
                                        ; implicit-def: $vgpr2
.LBB339_1342:
	s_andn2_b64 vcc, exec, s[0:1]
	s_cbranch_vccnz .LBB339_1344
; %bb.1343:
	global_load_dword v2, v[0:1], off
	s_waitcnt vmcnt(0)
	v_cvt_u32_f32_e32 v2, v2
.LBB339_1344:
	s_mov_b64 s[0:1], 0
.LBB339_1345:
	s_andn2_b64 vcc, exec, s[0:1]
	s_cbranch_vccnz .LBB339_1347
; %bb.1346:
	global_load_dword v2, v[0:1], off
	s_waitcnt vmcnt(0)
	v_cvt_u16_f16_e32 v2, v2
.LBB339_1347:
	s_mov_b64 s[0:1], 0
.LBB339_1348:
	s_andn2_b64 vcc, exec, s[0:1]
	s_cbranch_vccnz .LBB339_1359
; %bb.1349:
	s_cmp_lt_i32 s15, 6
	s_cbranch_scc1 .LBB339_1352
; %bb.1350:
	s_cmp_gt_i32 s15, 6
	s_cbranch_scc0 .LBB339_1353
; %bb.1351:
	global_load_dwordx2 v[2:3], v[0:1], off
	s_mov_b64 s[0:1], 0
	s_waitcnt vmcnt(0)
	v_cvt_u32_f64_e32 v2, v[2:3]
	s_branch .LBB339_1354
.LBB339_1352:
	s_mov_b64 s[0:1], -1
                                        ; implicit-def: $vgpr2
	s_branch .LBB339_1357
.LBB339_1353:
	s_mov_b64 s[0:1], -1
                                        ; implicit-def: $vgpr2
.LBB339_1354:
	s_andn2_b64 vcc, exec, s[0:1]
	s_cbranch_vccnz .LBB339_1356
; %bb.1355:
	global_load_dword v2, v[0:1], off
	s_waitcnt vmcnt(0)
	v_cvt_u32_f32_e32 v2, v2
.LBB339_1356:
	s_mov_b64 s[0:1], 0
.LBB339_1357:
	s_andn2_b64 vcc, exec, s[0:1]
	s_cbranch_vccnz .LBB339_1359
; %bb.1358:
	global_load_ushort v2, v[0:1], off
	s_waitcnt vmcnt(0)
	v_cvt_u16_f16_e32 v2, v2
.LBB339_1359:
	s_mov_b64 s[0:1], 0
.LBB339_1360:
	s_andn2_b64 vcc, exec, s[0:1]
	s_cbranch_vccnz .LBB339_1380
; %bb.1361:
	s_cmp_lt_i32 s15, 2
	s_cbranch_scc1 .LBB339_1365
; %bb.1362:
	s_cmp_lt_i32 s15, 3
	s_cbranch_scc1 .LBB339_1366
; %bb.1363:
	s_cmp_gt_i32 s15, 3
	s_cbranch_scc0 .LBB339_1367
; %bb.1364:
	global_load_dwordx2 v[2:3], v[0:1], off
	s_mov_b64 s[0:1], 0
	s_branch .LBB339_1368
.LBB339_1365:
	s_mov_b64 s[0:1], -1
                                        ; implicit-def: $vgpr2
	s_branch .LBB339_1374
.LBB339_1366:
	s_mov_b64 s[0:1], -1
                                        ; implicit-def: $vgpr2
	s_branch .LBB339_1371
.LBB339_1367:
	s_mov_b64 s[0:1], -1
                                        ; implicit-def: $vgpr2
.LBB339_1368:
	s_andn2_b64 vcc, exec, s[0:1]
	s_cbranch_vccnz .LBB339_1370
; %bb.1369:
	global_load_dword v2, v[0:1], off
.LBB339_1370:
	s_mov_b64 s[0:1], 0
.LBB339_1371:
	s_andn2_b64 vcc, exec, s[0:1]
	s_cbranch_vccnz .LBB339_1373
; %bb.1372:
	global_load_ushort v2, v[0:1], off
.LBB339_1373:
	s_mov_b64 s[0:1], 0
.LBB339_1374:
	s_andn2_b64 vcc, exec, s[0:1]
	s_cbranch_vccnz .LBB339_1380
; %bb.1375:
	s_cmp_gt_i32 s15, 0
	s_cbranch_scc0 .LBB339_1377
; %bb.1376:
	global_load_sbyte v2, v[0:1], off
	s_mov_b64 s[0:1], 0
	s_branch .LBB339_1378
.LBB339_1377:
	s_mov_b64 s[0:1], -1
                                        ; implicit-def: $vgpr2
.LBB339_1378:
	s_andn2_b64 vcc, exec, s[0:1]
	s_cbranch_vccnz .LBB339_1380
; %bb.1379:
	global_load_ubyte v2, v[0:1], off
.LBB339_1380:
.LBB339_1381:
	v_add_u32_e32 v0, s13, v5
	v_ashrrev_i32_e32 v1, 31, v0
	s_waitcnt vmcnt(0)
	v_mov_b32_e32 v3, s11
	v_add_co_u32_e32 v7, vcc, s10, v0
	s_cmp_lt_i32 s15, 11
	v_addc_co_u32_e32 v8, vcc, v3, v1, vcc
	s_cbranch_scc1 .LBB339_1388
; %bb.1382:
	s_cmp_gt_i32 s15, 25
	s_mov_b64 s[4:5], 0
	s_cbranch_scc0 .LBB339_1389
; %bb.1383:
	s_cmp_gt_i32 s15, 28
	s_cbranch_scc0 .LBB339_1390
; %bb.1384:
	s_cmp_gt_i32 s15, 43
	;; [unrolled: 3-line block ×3, first 2 shown]
	s_cbranch_scc0 .LBB339_1393
; %bb.1386:
	s_cmp_eq_u32 s15, 46
	s_mov_b64 s[20:21], 0
	s_cbranch_scc0 .LBB339_1394
; %bb.1387:
	global_load_dword v0, v[7:8], off
	s_mov_b64 s[0:1], 0
	s_mov_b64 s[10:11], -1
	s_waitcnt vmcnt(0)
	v_lshlrev_b32_e32 v0, 16, v0
	v_cvt_u32_f32_e32 v0, v0
	s_branch .LBB339_1395
.LBB339_1388:
	s_mov_b64 s[0:1], -1
	s_mov_b64 s[10:11], 0
                                        ; implicit-def: $vgpr0
	s_branch .LBB339_1457
.LBB339_1389:
	s_mov_b64 s[20:21], -1
	s_mov_b64 s[10:11], 0
	s_mov_b64 s[0:1], 0
                                        ; implicit-def: $vgpr0
	s_branch .LBB339_1422
.LBB339_1390:
	s_mov_b64 s[20:21], -1
	s_mov_b64 s[10:11], 0
	s_mov_b64 s[0:1], 0
                                        ; implicit-def: $vgpr0
	s_branch .LBB339_1405
.LBB339_1391:
	s_mov_b64 s[20:21], -1
	s_mov_b64 s[10:11], 0
	s_mov_b64 s[0:1], 0
                                        ; implicit-def: $vgpr0
	s_branch .LBB339_1400
.LBB339_1392:
	s_trap 2
	s_or_b64 s[18:19], s[18:19], exec
	s_cbranch_execz .LBB339_1331
	s_branch .LBB339_1332
.LBB339_1393:
	s_mov_b64 s[20:21], -1
	s_mov_b64 s[10:11], 0
	s_mov_b64 s[0:1], 0
                                        ; implicit-def: $vgpr0
	s_branch .LBB339_1395
.LBB339_1394:
	s_mov_b64 s[0:1], -1
                                        ; implicit-def: $vgpr0
	s_mov_b64 s[10:11], 0
.LBB339_1395:
	s_and_b64 vcc, exec, s[20:21]
	s_cbranch_vccz .LBB339_1399
; %bb.1396:
	s_cmp_eq_u32 s15, 44
	s_cbranch_scc0 .LBB339_1398
; %bb.1397:
	global_load_ubyte v0, v[7:8], off
	s_mov_b64 s[0:1], 0
	s_mov_b64 s[10:11], -1
	s_waitcnt vmcnt(0)
	v_lshlrev_b32_e32 v1, 23, v0
	v_cvt_u32_f32_e32 v1, v1
	v_cmp_ne_u32_e32 vcc, 0, v0
	v_cndmask_b32_e32 v0, 0, v1, vcc
	s_branch .LBB339_1399
.LBB339_1398:
	s_mov_b64 s[0:1], -1
                                        ; implicit-def: $vgpr0
.LBB339_1399:
	s_mov_b64 s[20:21], 0
.LBB339_1400:
	s_and_b64 vcc, exec, s[20:21]
	s_cbranch_vccz .LBB339_1404
; %bb.1401:
	s_cmp_eq_u32 s15, 29
	s_cbranch_scc0 .LBB339_1403
; %bb.1402:
	global_load_dwordx2 v[0:1], v[7:8], off
	s_mov_b64 s[0:1], 0
	s_mov_b64 s[10:11], -1
	s_branch .LBB339_1404
.LBB339_1403:
	s_mov_b64 s[0:1], -1
                                        ; implicit-def: $vgpr0
.LBB339_1404:
	s_mov_b64 s[20:21], 0
.LBB339_1405:
	s_and_b64 vcc, exec, s[20:21]
	s_cbranch_vccz .LBB339_1421
; %bb.1406:
	s_cmp_lt_i32 s15, 27
	s_cbranch_scc1 .LBB339_1409
; %bb.1407:
	s_cmp_gt_i32 s15, 27
	s_cbranch_scc0 .LBB339_1410
; %bb.1408:
	global_load_dword v0, v[7:8], off
	s_mov_b64 s[10:11], 0
	s_branch .LBB339_1411
.LBB339_1409:
	s_mov_b64 s[10:11], -1
                                        ; implicit-def: $vgpr0
	s_branch .LBB339_1414
.LBB339_1410:
	s_mov_b64 s[10:11], -1
                                        ; implicit-def: $vgpr0
.LBB339_1411:
	s_andn2_b64 vcc, exec, s[10:11]
	s_cbranch_vccnz .LBB339_1413
; %bb.1412:
	global_load_ushort v0, v[7:8], off
.LBB339_1413:
	s_mov_b64 s[10:11], 0
.LBB339_1414:
	s_andn2_b64 vcc, exec, s[10:11]
	s_cbranch_vccnz .LBB339_1420
; %bb.1415:
	global_load_ubyte v1, v[7:8], off
	s_movk_i32 s10, 0x7f
	s_mov_b64 s[20:21], 0
	s_waitcnt vmcnt(0)
	v_cmp_lt_i16_e32 vcc, s10, v1
	s_and_saveexec_b64 s[10:11], vcc
	s_xor_b64 s[10:11], exec, s[10:11]
	s_cbranch_execz .LBB339_1432
; %bb.1416:
	s_movk_i32 s13, 0x80
	v_cmp_ne_u16_e32 vcc, s13, v1
	s_and_b64 s[20:21], vcc, exec
	s_andn2_saveexec_b64 s[10:11], s[10:11]
	s_cbranch_execnz .LBB339_1433
.LBB339_1417:
	s_or_b64 exec, exec, s[10:11]
	v_mov_b32_e32 v0, 0
	s_and_saveexec_b64 s[10:11], s[20:21]
	s_cbranch_execz .LBB339_1419
.LBB339_1418:
	v_lshlrev_b32_e32 v0, 24, v1
	v_and_b32_e32 v1, 0xffff, v1
	v_and_b32_e32 v3, 7, v1
	v_ffbh_u32_e32 v10, v3
	v_min_u32_e32 v10, 32, v10
	v_subrev_u32_e32 v11, 28, v10
	v_bfe_u32 v5, v1, 3, 4
	v_lshlrev_b32_e32 v1, v11, v1
	v_sub_u32_e32 v10, 29, v10
	v_and_b32_e32 v1, 7, v1
	v_cmp_eq_u32_e32 vcc, 0, v5
	v_cndmask_b32_e32 v5, v5, v10, vcc
	v_cndmask_b32_e32 v1, v3, v1, vcc
	v_mov_b32_e32 v3, 0x3b800000
	v_lshlrev_b32_e32 v1, 20, v1
	v_and_b32_e32 v0, 0x80000000, v0
	v_lshl_add_u32 v3, v5, 23, v3
	v_or3_b32 v0, v0, v3, v1
	v_cvt_u32_f32_e32 v0, v0
.LBB339_1419:
	s_or_b64 exec, exec, s[10:11]
.LBB339_1420:
	s_mov_b64 s[10:11], -1
.LBB339_1421:
	s_mov_b64 s[20:21], 0
.LBB339_1422:
	s_and_b64 vcc, exec, s[20:21]
	s_cbranch_vccz .LBB339_1453
; %bb.1423:
	s_cmp_gt_i32 s15, 22
	s_cbranch_scc0 .LBB339_1431
; %bb.1424:
	s_cmp_lt_i32 s15, 24
	s_cbranch_scc1 .LBB339_1434
; %bb.1425:
	s_cmp_gt_i32 s15, 24
	s_cbranch_scc0 .LBB339_1435
; %bb.1426:
	global_load_ubyte v1, v[7:8], off
	s_movk_i32 s4, 0x7f
	s_mov_b64 s[10:11], 0
	s_waitcnt vmcnt(0)
	v_cmp_lt_i16_e32 vcc, s4, v1
	s_and_saveexec_b64 s[4:5], vcc
	s_xor_b64 s[4:5], exec, s[4:5]
	s_cbranch_execz .LBB339_1447
; %bb.1427:
	s_movk_i32 s10, 0x80
	v_cmp_ne_u16_e32 vcc, s10, v1
	s_and_b64 s[10:11], vcc, exec
	s_andn2_saveexec_b64 s[4:5], s[4:5]
	s_cbranch_execnz .LBB339_1448
.LBB339_1428:
	s_or_b64 exec, exec, s[4:5]
	v_mov_b32_e32 v0, 0
	s_and_saveexec_b64 s[4:5], s[10:11]
	s_cbranch_execz .LBB339_1430
.LBB339_1429:
	v_lshlrev_b32_e32 v0, 24, v1
	v_and_b32_e32 v1, 0xffff, v1
	v_and_b32_e32 v3, 3, v1
	v_ffbh_u32_e32 v10, v3
	v_min_u32_e32 v10, 32, v10
	v_subrev_u32_e32 v11, 29, v10
	v_bfe_u32 v5, v1, 2, 5
	v_lshlrev_b32_e32 v1, v11, v1
	v_sub_u32_e32 v10, 30, v10
	v_and_b32_e32 v1, 3, v1
	v_cmp_eq_u32_e32 vcc, 0, v5
	v_cndmask_b32_e32 v5, v5, v10, vcc
	v_cndmask_b32_e32 v1, v3, v1, vcc
	v_mov_b32_e32 v3, 0x37800000
	v_lshlrev_b32_e32 v1, 21, v1
	v_and_b32_e32 v0, 0x80000000, v0
	v_lshl_add_u32 v3, v5, 23, v3
	v_or3_b32 v0, v0, v3, v1
	v_cvt_u32_f32_e32 v0, v0
.LBB339_1430:
	s_or_b64 exec, exec, s[4:5]
	s_mov_b64 s[4:5], 0
	s_branch .LBB339_1436
.LBB339_1431:
	s_mov_b64 s[4:5], -1
                                        ; implicit-def: $vgpr0
	s_branch .LBB339_1442
.LBB339_1432:
	s_andn2_saveexec_b64 s[10:11], s[10:11]
	s_cbranch_execz .LBB339_1417
.LBB339_1433:
	v_cmp_ne_u16_e32 vcc, 0, v1
	s_andn2_b64 s[20:21], s[20:21], exec
	s_and_b64 s[22:23], vcc, exec
	s_or_b64 s[20:21], s[20:21], s[22:23]
	s_or_b64 exec, exec, s[10:11]
	v_mov_b32_e32 v0, 0
	s_and_saveexec_b64 s[10:11], s[20:21]
	s_cbranch_execnz .LBB339_1418
	s_branch .LBB339_1419
.LBB339_1434:
	s_mov_b64 s[4:5], -1
                                        ; implicit-def: $vgpr0
	s_branch .LBB339_1439
.LBB339_1435:
	s_mov_b64 s[4:5], -1
                                        ; implicit-def: $vgpr0
.LBB339_1436:
	s_and_b64 vcc, exec, s[4:5]
	s_cbranch_vccz .LBB339_1438
; %bb.1437:
	global_load_ubyte v0, v[7:8], off
	s_mov_b32 s4, 0x7f800000
	s_waitcnt vmcnt(0)
	v_lshlrev_b32_e32 v0, 24, v0
	v_and_b32_e32 v1, 0x7f000000, v0
	v_ffbh_u32_e32 v3, v1
	v_min_u32_e32 v3, 32, v3
	v_sub_u32_e64 v3, v3, 4 clamp
	v_lshlrev_b32_e32 v10, v3, v1
	v_lshlrev_b32_e32 v3, 23, v3
	v_lshrrev_b32_e32 v10, 4, v10
	v_add_u32_e32 v5, 0x1000000, v1
	v_sub_u32_e32 v3, v10, v3
	v_ashrrev_i32_e32 v5, 8, v5
	v_add_u32_e32 v3, 0x3c000000, v3
	v_and_or_b32 v3, v5, s4, v3
	v_cmp_ne_u32_e32 vcc, 0, v1
	v_cndmask_b32_e32 v1, 0, v3, vcc
	s_brev_b32 s4, 1
	v_and_or_b32 v0, v0, s4, v1
	v_cvt_u32_f32_e32 v0, v0
.LBB339_1438:
	s_mov_b64 s[4:5], 0
.LBB339_1439:
	s_andn2_b64 vcc, exec, s[4:5]
	s_cbranch_vccnz .LBB339_1441
; %bb.1440:
	global_load_ubyte v0, v[7:8], off
	s_movk_i32 s4, 0x7f00
	s_brev_b32 s5, 16
	s_waitcnt vmcnt(0)
	v_lshlrev_b16_e32 v1, 8, v0
	v_lshlrev_b32_e32 v0, 25, v0
	v_lshrrev_b32_e32 v3, 4, v0
	v_and_or_b32 v5, v1, s4, 0.5
	v_or_b32_e32 v3, 0x70000000, v3
	v_add_f32_e32 v5, -0.5, v5
	v_mul_f32_e32 v3, 0x7800000, v3
	v_cmp_gt_u32_e32 vcc, s5, v0
	v_bfe_i32 v1, v1, 0, 16
	v_cndmask_b32_e32 v0, v3, v5, vcc
	s_brev_b32 s4, 1
	v_and_or_b32 v0, v1, s4, v0
	v_cvt_u32_f32_e32 v0, v0
.LBB339_1441:
	s_mov_b64 s[4:5], 0
	s_mov_b64 s[10:11], -1
.LBB339_1442:
	s_andn2_b64 vcc, exec, s[4:5]
	s_mov_b64 s[4:5], 0
	s_cbranch_vccnz .LBB339_1453
; %bb.1443:
	s_cmp_gt_i32 s15, 14
	s_cbranch_scc0 .LBB339_1446
; %bb.1444:
	s_cmp_eq_u32 s15, 15
	s_cbranch_scc0 .LBB339_1449
; %bb.1445:
	global_load_ushort v0, v[7:8], off
	s_mov_b64 s[0:1], 0
	s_mov_b64 s[10:11], -1
	s_waitcnt vmcnt(0)
	v_lshlrev_b32_e32 v0, 16, v0
	v_cvt_u32_f32_e32 v0, v0
	s_branch .LBB339_1450
.LBB339_1446:
	s_mov_b64 s[20:21], -1
                                        ; implicit-def: $vgpr0
	s_branch .LBB339_1451
.LBB339_1447:
	s_andn2_saveexec_b64 s[4:5], s[4:5]
	s_cbranch_execz .LBB339_1428
.LBB339_1448:
	v_cmp_ne_u16_e32 vcc, 0, v1
	s_andn2_b64 s[10:11], s[10:11], exec
	s_and_b64 s[20:21], vcc, exec
	s_or_b64 s[10:11], s[10:11], s[20:21]
	s_or_b64 exec, exec, s[4:5]
	v_mov_b32_e32 v0, 0
	s_and_saveexec_b64 s[4:5], s[10:11]
	s_cbranch_execnz .LBB339_1429
	s_branch .LBB339_1430
.LBB339_1449:
	s_mov_b64 s[0:1], -1
                                        ; implicit-def: $vgpr0
.LBB339_1450:
	s_mov_b64 s[20:21], 0
.LBB339_1451:
	s_and_b64 vcc, exec, s[20:21]
	s_cbranch_vccz .LBB339_1453
; %bb.1452:
	s_cmp_lg_u32 s15, 11
	s_mov_b64 s[4:5], -1
	s_cselect_b64 s[0:1], -1, 0
.LBB339_1453:
	s_and_b64 vcc, exec, s[0:1]
	s_cbranch_vccnz .LBB339_1986
; %bb.1454:
	s_andn2_b64 vcc, exec, s[4:5]
	s_cbranch_vccnz .LBB339_1456
.LBB339_1455:
	global_load_ubyte v0, v[7:8], off
	s_mov_b64 s[10:11], -1
	s_waitcnt vmcnt(0)
	v_cmp_ne_u16_e32 vcc, 0, v0
	v_cndmask_b32_e64 v0, 0, 1, vcc
.LBB339_1456:
	s_mov_b64 s[0:1], 0
.LBB339_1457:
	s_and_b64 vcc, exec, s[0:1]
	s_cbranch_vccz .LBB339_1506
; %bb.1458:
	s_cmp_lt_i32 s15, 5
	s_cbranch_scc1 .LBB339_1463
; %bb.1459:
	s_cmp_lt_i32 s15, 8
	s_cbranch_scc1 .LBB339_1464
	;; [unrolled: 3-line block ×3, first 2 shown]
; %bb.1461:
	s_cmp_gt_i32 s15, 9
	s_cbranch_scc0 .LBB339_1466
; %bb.1462:
	global_load_dwordx2 v[0:1], v[7:8], off
	s_mov_b64 s[0:1], 0
	s_waitcnt vmcnt(0)
	v_cvt_u32_f64_e32 v0, v[0:1]
	s_branch .LBB339_1467
.LBB339_1463:
	s_mov_b64 s[0:1], -1
                                        ; implicit-def: $vgpr0
	s_branch .LBB339_1485
.LBB339_1464:
	s_mov_b64 s[0:1], -1
                                        ; implicit-def: $vgpr0
	s_branch .LBB339_1473
.LBB339_1465:
	s_mov_b64 s[0:1], -1
                                        ; implicit-def: $vgpr0
	s_branch .LBB339_1470
.LBB339_1466:
	s_mov_b64 s[0:1], -1
                                        ; implicit-def: $vgpr0
.LBB339_1467:
	s_andn2_b64 vcc, exec, s[0:1]
	s_cbranch_vccnz .LBB339_1469
; %bb.1468:
	global_load_dword v0, v[7:8], off
	s_waitcnt vmcnt(0)
	v_cvt_u32_f32_e32 v0, v0
.LBB339_1469:
	s_mov_b64 s[0:1], 0
.LBB339_1470:
	s_andn2_b64 vcc, exec, s[0:1]
	s_cbranch_vccnz .LBB339_1472
; %bb.1471:
	global_load_dword v0, v[7:8], off
	s_waitcnt vmcnt(0)
	v_cvt_u16_f16_e32 v0, v0
.LBB339_1472:
	s_mov_b64 s[0:1], 0
.LBB339_1473:
	s_andn2_b64 vcc, exec, s[0:1]
	s_cbranch_vccnz .LBB339_1484
; %bb.1474:
	s_cmp_lt_i32 s15, 6
	s_cbranch_scc1 .LBB339_1477
; %bb.1475:
	s_cmp_gt_i32 s15, 6
	s_cbranch_scc0 .LBB339_1478
; %bb.1476:
	global_load_dwordx2 v[0:1], v[7:8], off
	s_mov_b64 s[0:1], 0
	s_waitcnt vmcnt(0)
	v_cvt_u32_f64_e32 v0, v[0:1]
	s_branch .LBB339_1479
.LBB339_1477:
	s_mov_b64 s[0:1], -1
                                        ; implicit-def: $vgpr0
	s_branch .LBB339_1482
.LBB339_1478:
	s_mov_b64 s[0:1], -1
                                        ; implicit-def: $vgpr0
.LBB339_1479:
	s_andn2_b64 vcc, exec, s[0:1]
	s_cbranch_vccnz .LBB339_1481
; %bb.1480:
	global_load_dword v0, v[7:8], off
	s_waitcnt vmcnt(0)
	v_cvt_u32_f32_e32 v0, v0
.LBB339_1481:
	s_mov_b64 s[0:1], 0
.LBB339_1482:
	s_andn2_b64 vcc, exec, s[0:1]
	s_cbranch_vccnz .LBB339_1484
; %bb.1483:
	global_load_ushort v0, v[7:8], off
	s_waitcnt vmcnt(0)
	v_cvt_u16_f16_e32 v0, v0
.LBB339_1484:
	s_mov_b64 s[0:1], 0
.LBB339_1485:
	s_andn2_b64 vcc, exec, s[0:1]
	s_cbranch_vccnz .LBB339_1505
; %bb.1486:
	s_cmp_lt_i32 s15, 2
	s_cbranch_scc1 .LBB339_1490
; %bb.1487:
	s_cmp_lt_i32 s15, 3
	s_cbranch_scc1 .LBB339_1491
; %bb.1488:
	s_cmp_gt_i32 s15, 3
	s_cbranch_scc0 .LBB339_1492
; %bb.1489:
	global_load_dwordx2 v[0:1], v[7:8], off
	s_mov_b64 s[0:1], 0
	s_branch .LBB339_1493
.LBB339_1490:
	s_mov_b64 s[0:1], -1
                                        ; implicit-def: $vgpr0
	s_branch .LBB339_1499
.LBB339_1491:
	s_mov_b64 s[0:1], -1
                                        ; implicit-def: $vgpr0
	s_branch .LBB339_1496
.LBB339_1492:
	s_mov_b64 s[0:1], -1
                                        ; implicit-def: $vgpr0
.LBB339_1493:
	s_andn2_b64 vcc, exec, s[0:1]
	s_cbranch_vccnz .LBB339_1495
; %bb.1494:
	global_load_dword v0, v[7:8], off
.LBB339_1495:
	s_mov_b64 s[0:1], 0
.LBB339_1496:
	s_andn2_b64 vcc, exec, s[0:1]
	s_cbranch_vccnz .LBB339_1498
; %bb.1497:
	global_load_ushort v0, v[7:8], off
.LBB339_1498:
	s_mov_b64 s[0:1], 0
.LBB339_1499:
	s_andn2_b64 vcc, exec, s[0:1]
	s_cbranch_vccnz .LBB339_1505
; %bb.1500:
	s_cmp_gt_i32 s15, 0
	s_cbranch_scc0 .LBB339_1502
; %bb.1501:
	global_load_sbyte v0, v[7:8], off
	s_mov_b64 s[0:1], 0
	s_branch .LBB339_1503
.LBB339_1502:
	s_mov_b64 s[0:1], -1
                                        ; implicit-def: $vgpr0
.LBB339_1503:
	s_andn2_b64 vcc, exec, s[0:1]
	s_cbranch_vccnz .LBB339_1505
; %bb.1504:
	global_load_ubyte v0, v[7:8], off
.LBB339_1505:
	s_mov_b64 s[10:11], -1
.LBB339_1506:
	s_andn2_b64 vcc, exec, s[10:11]
	s_cbranch_vccnz .LBB339_1940
; %bb.1507:
	s_waitcnt vmcnt(0)
	v_mul_lo_u32 v1, s12, v9
	s_cmp_eq_u32 s14, 0
	s_cselect_b64 s[4:5], -1, 0
	v_cmp_ne_u16_e32 vcc, s2, v6
	s_xor_b64 s[10:11], s[4:5], vcc
	v_ashrrev_i32_e32 v3, 31, v1
	v_mov_b32_e32 v6, s9
	s_and_b32 s26, s3, 0xff
	v_add_co_u32_e32 v5, vcc, s8, v1
	s_cmp_lt_i32 s26, 11
	v_addc_co_u32_e32 v6, vcc, v6, v3, vcc
	s_cbranch_scc1 .LBB339_1585
; %bb.1508:
	s_and_b32 s3, 0xffff, s26
	s_mov_b64 s[22:23], -1
	s_mov_b64 s[14:15], 0
	s_cmp_gt_i32 s3, 25
	s_mov_b64 s[20:21], 0
	s_mov_b64 s[0:1], 0
	s_cbranch_scc0 .LBB339_1541
; %bb.1509:
	s_cmp_gt_i32 s3, 28
	s_cbranch_scc0 .LBB339_1524
; %bb.1510:
	s_cmp_gt_i32 s3, 43
	;; [unrolled: 3-line block ×3, first 2 shown]
	s_cbranch_scc0 .LBB339_1514
; %bb.1512:
	s_mov_b64 s[0:1], -1
	s_mov_b64 s[22:23], 0
	s_cmp_eq_u32 s3, 46
	s_cbranch_scc0 .LBB339_1514
; %bb.1513:
	v_cndmask_b32_e64 v3, 0, 1.0, s[10:11]
	v_bfe_u32 v7, v3, 16, 1
	s_movk_i32 s0, 0x7fff
	v_add3_u32 v3, v3, v7, s0
	v_lshrrev_b32_e32 v3, 16, v3
	global_store_dword v[5:6], v3, off
	s_mov_b64 s[0:1], 0
	s_mov_b64 s[20:21], -1
.LBB339_1514:
	s_and_b64 vcc, exec, s[22:23]
	s_cbranch_vccz .LBB339_1519
; %bb.1515:
	s_cmp_eq_u32 s3, 44
	s_mov_b64 s[0:1], -1
	s_cbranch_scc0 .LBB339_1519
; %bb.1516:
	v_cndmask_b32_e64 v7, 0, 1.0, s[10:11]
	v_lshrrev_b32_e32 v3, 23, v7
	s_movk_i32 s0, 0xff
	v_cmp_ne_u32_e32 vcc, s0, v3
	v_mov_b32_e32 v8, 0xff
	s_and_saveexec_b64 s[20:21], vcc
; %bb.1517:
	s_mov_b32 s0, 0x3fffff
	v_and_b32_e32 v8, 0x400000, v7
	v_and_or_b32 v7, v7, s0, v3
	v_cmp_ne_u32_e32 vcc, 0, v8
	v_cmp_ne_u32_e64 s[0:1], 0, v7
	s_and_b64 s[0:1], vcc, s[0:1]
	v_cndmask_b32_e64 v7, 0, 1, s[0:1]
	v_add_u32_e32 v8, v3, v7
; %bb.1518:
	s_or_b64 exec, exec, s[20:21]
	s_mov_b64 s[0:1], 0
	s_mov_b64 s[20:21], -1
	global_store_byte v[5:6], v8, off
.LBB339_1519:
	s_mov_b64 s[22:23], 0
.LBB339_1520:
	s_and_b64 vcc, exec, s[22:23]
	s_cbranch_vccz .LBB339_1523
; %bb.1521:
	s_cmp_eq_u32 s3, 29
	s_mov_b64 s[0:1], -1
	s_cbranch_scc0 .LBB339_1523
; %bb.1522:
	s_mov_b32 s0, 0
	v_cndmask_b32_e64 v7, 0, 1, s[10:11]
	v_mov_b32_e32 v8, s0
	global_store_dwordx2 v[5:6], v[7:8], off
	s_mov_b64 s[0:1], 0
	s_mov_b64 s[20:21], -1
.LBB339_1523:
	s_mov_b64 s[22:23], 0
.LBB339_1524:
	s_and_b64 vcc, exec, s[22:23]
	s_cbranch_vccz .LBB339_1540
; %bb.1525:
	s_cmp_lt_i32 s3, 27
	s_mov_b64 s[20:21], -1
	s_cbranch_scc1 .LBB339_1531
; %bb.1526:
	s_cmp_gt_i32 s3, 27
	s_cbranch_scc0 .LBB339_1528
; %bb.1527:
	v_cndmask_b32_e64 v3, 0, 1, s[10:11]
	s_mov_b64 s[20:21], 0
	global_store_dword v[5:6], v3, off
.LBB339_1528:
	s_andn2_b64 vcc, exec, s[20:21]
	s_cbranch_vccnz .LBB339_1530
; %bb.1529:
	v_cndmask_b32_e64 v3, 0, 1, s[10:11]
	global_store_short v[5:6], v3, off
.LBB339_1530:
	s_mov_b64 s[20:21], 0
.LBB339_1531:
	s_andn2_b64 vcc, exec, s[20:21]
	s_cbranch_vccnz .LBB339_1539
; %bb.1532:
	v_cndmask_b32_e64 v7, 0, 1.0, s[10:11]
	s_mov_b32 s13, 0x43800000
	v_cmp_gt_u32_e32 vcc, s13, v7
	v_mov_b32_e32 v8, 0x80
	s_and_saveexec_b64 s[20:21], vcc
	s_cbranch_execz .LBB339_1538
; %bb.1533:
	s_mov_b32 s13, 0x3bffffff
	v_cmp_lt_u32_e32 vcc, s13, v7
	s_mov_b64 s[22:23], 0
                                        ; implicit-def: $vgpr3
	s_and_saveexec_b64 s[24:25], vcc
	s_xor_b64 s[24:25], exec, s[24:25]
	s_cbranch_execz .LBB339_1987
; %bb.1534:
	v_bfe_u32 v3, v7, 20, 1
	s_mov_b32 s13, 0x487ffff
	v_add3_u32 v3, v7, v3, s13
	s_mov_b64 s[22:23], exec
	v_lshrrev_b32_e32 v3, 20, v3
                                        ; implicit-def: $vgpr7
	s_andn2_saveexec_b64 s[24:25], s[24:25]
	s_cbranch_execnz .LBB339_1988
.LBB339_1535:
	s_or_b64 exec, exec, s[24:25]
	v_mov_b32_e32 v8, 0
	s_and_saveexec_b64 s[24:25], s[22:23]
.LBB339_1536:
	v_mov_b32_e32 v8, v3
.LBB339_1537:
	s_or_b64 exec, exec, s[24:25]
.LBB339_1538:
	s_or_b64 exec, exec, s[20:21]
	global_store_byte v[5:6], v8, off
.LBB339_1539:
	s_mov_b64 s[20:21], -1
.LBB339_1540:
	s_mov_b64 s[22:23], 0
.LBB339_1541:
	s_and_b64 vcc, exec, s[22:23]
	s_cbranch_vccz .LBB339_1581
; %bb.1542:
	s_cmp_gt_i32 s3, 22
	s_mov_b64 s[14:15], -1
	s_cbranch_scc0 .LBB339_1574
; %bb.1543:
	s_cmp_lt_i32 s3, 24
	s_cbranch_scc1 .LBB339_1563
; %bb.1544:
	s_cmp_gt_i32 s3, 24
	s_cbranch_scc0 .LBB339_1552
; %bb.1545:
	v_cndmask_b32_e64 v7, 0, 1.0, s[10:11]
	s_mov_b32 s13, 0x47800000
	v_cmp_gt_u32_e32 vcc, s13, v7
	v_mov_b32_e32 v8, 0x80
	s_and_saveexec_b64 s[14:15], vcc
	s_cbranch_execz .LBB339_1551
; %bb.1546:
	s_mov_b32 s13, 0x37ffffff
	v_cmp_lt_u32_e32 vcc, s13, v7
	s_mov_b64 s[20:21], 0
                                        ; implicit-def: $vgpr3
	s_and_saveexec_b64 s[22:23], vcc
	s_xor_b64 s[22:23], exec, s[22:23]
	s_cbranch_execz .LBB339_1990
; %bb.1547:
	v_bfe_u32 v3, v7, 21, 1
	s_mov_b32 s13, 0x88fffff
	v_add3_u32 v3, v7, v3, s13
	s_mov_b64 s[20:21], exec
	v_lshrrev_b32_e32 v3, 21, v3
                                        ; implicit-def: $vgpr7
	s_andn2_saveexec_b64 s[22:23], s[22:23]
	s_cbranch_execnz .LBB339_1991
.LBB339_1548:
	s_or_b64 exec, exec, s[22:23]
	v_mov_b32_e32 v8, 0
	s_and_saveexec_b64 s[22:23], s[20:21]
.LBB339_1549:
	v_mov_b32_e32 v8, v3
.LBB339_1550:
	s_or_b64 exec, exec, s[22:23]
.LBB339_1551:
	s_or_b64 exec, exec, s[14:15]
	s_mov_b64 s[14:15], 0
	global_store_byte v[5:6], v8, off
.LBB339_1552:
	s_and_b64 vcc, exec, s[14:15]
	s_cbranch_vccz .LBB339_1562
; %bb.1553:
	v_cndmask_b32_e64 v3, 0, 1.0, s[10:11]
	s_mov_b32 s13, 0x43f00000
	v_cmp_gt_u32_e32 vcc, s13, v3
                                        ; implicit-def: $vgpr7
	s_and_saveexec_b64 s[14:15], vcc
	s_xor_b64 s[14:15], exec, s[14:15]
	s_cbranch_execz .LBB339_1559
; %bb.1554:
	s_mov_b32 s13, 0x3c7fffff
	v_cmp_lt_u32_e32 vcc, s13, v3
                                        ; implicit-def: $vgpr7
	s_and_saveexec_b64 s[20:21], vcc
	s_xor_b64 s[20:21], exec, s[20:21]
; %bb.1555:
	v_bfe_u32 v7, v3, 20, 1
	s_mov_b32 s13, 0x407ffff
	v_add3_u32 v3, v3, v7, s13
	v_lshrrev_b32_e32 v7, 20, v3
	v_and_b32_e32 v3, 0xff00000, v3
	s_mov_b32 s13, 0x7f00000
	v_mov_b32_e32 v8, 0x7e
	v_cmp_ne_u32_e32 vcc, s13, v3
	v_cndmask_b32_e32 v7, v8, v7, vcc
                                        ; implicit-def: $vgpr3
; %bb.1556:
	s_andn2_saveexec_b64 s[20:21], s[20:21]
; %bb.1557:
	v_add_f32_e32 v7, 0x46800000, v3
; %bb.1558:
	s_or_b64 exec, exec, s[20:21]
                                        ; implicit-def: $vgpr3
.LBB339_1559:
	s_andn2_saveexec_b64 s[14:15], s[14:15]
; %bb.1560:
	s_mov_b32 s13, 0x7f800000
	v_mov_b32_e32 v7, 0x7e
	v_mov_b32_e32 v8, 0x7f
	v_cmp_lt_u32_e32 vcc, s13, v3
	v_cndmask_b32_e32 v7, v7, v8, vcc
; %bb.1561:
	s_or_b64 exec, exec, s[14:15]
	global_store_byte v[5:6], v7, off
.LBB339_1562:
	s_mov_b64 s[14:15], 0
.LBB339_1563:
	s_andn2_b64 vcc, exec, s[14:15]
	s_cbranch_vccnz .LBB339_1573
; %bb.1564:
	v_cndmask_b32_e64 v3, 0, 1.0, s[10:11]
	s_mov_b32 s13, 0x47800000
	v_cmp_gt_u32_e32 vcc, s13, v3
                                        ; implicit-def: $vgpr7
	s_and_saveexec_b64 s[14:15], vcc
	s_xor_b64 s[14:15], exec, s[14:15]
	s_cbranch_execz .LBB339_1570
; %bb.1565:
	s_mov_b32 s13, 0x387fffff
	v_cmp_lt_u32_e32 vcc, s13, v3
                                        ; implicit-def: $vgpr7
	s_and_saveexec_b64 s[20:21], vcc
	s_xor_b64 s[20:21], exec, s[20:21]
; %bb.1566:
	v_bfe_u32 v7, v3, 21, 1
	s_mov_b32 s13, 0x80fffff
	v_add3_u32 v3, v3, v7, s13
	v_lshrrev_b32_e32 v7, 21, v3
                                        ; implicit-def: $vgpr3
; %bb.1567:
	s_andn2_saveexec_b64 s[20:21], s[20:21]
; %bb.1568:
	v_add_f32_e32 v7, 0x43000000, v3
; %bb.1569:
	s_or_b64 exec, exec, s[20:21]
                                        ; implicit-def: $vgpr3
.LBB339_1570:
	s_andn2_saveexec_b64 s[14:15], s[14:15]
; %bb.1571:
	s_mov_b32 s13, 0x7f800000
	v_mov_b32_e32 v7, 0x7c
	v_mov_b32_e32 v8, 0x7f
	v_cmp_lt_u32_e32 vcc, s13, v3
	v_cndmask_b32_e32 v7, v7, v8, vcc
; %bb.1572:
	s_or_b64 exec, exec, s[14:15]
	global_store_byte v[5:6], v7, off
.LBB339_1573:
	s_mov_b64 s[14:15], 0
	s_mov_b64 s[20:21], -1
.LBB339_1574:
	s_andn2_b64 vcc, exec, s[14:15]
	s_mov_b64 s[14:15], 0
	s_cbranch_vccnz .LBB339_1581
; %bb.1575:
	s_cmp_gt_i32 s3, 14
	s_mov_b64 s[22:23], -1
	s_cbranch_scc0 .LBB339_1579
; %bb.1576:
	s_cmp_eq_u32 s3, 15
	s_mov_b64 s[0:1], -1
	s_cbranch_scc0 .LBB339_1578
; %bb.1577:
	v_cndmask_b32_e64 v3, 0, 1.0, s[10:11]
	v_bfe_u32 v7, v3, 16, 1
	s_movk_i32 s0, 0x7fff
	v_add3_u32 v3, v3, v7, s0
	global_store_short_d16_hi v[5:6], v3, off
	s_mov_b64 s[0:1], 0
	s_mov_b64 s[20:21], -1
.LBB339_1578:
	s_mov_b64 s[22:23], 0
.LBB339_1579:
	s_and_b64 vcc, exec, s[22:23]
	s_cbranch_vccz .LBB339_1581
; %bb.1580:
	s_cmp_lg_u32 s3, 11
	s_mov_b64 s[14:15], -1
	s_cselect_b64 s[0:1], -1, 0
.LBB339_1581:
	s_and_b64 vcc, exec, s[0:1]
	s_cbranch_vccnz .LBB339_1989
; %bb.1582:
	s_andn2_b64 vcc, exec, s[14:15]
	s_cbranch_vccnz .LBB339_1584
.LBB339_1583:
	v_cndmask_b32_e64 v3, 0, 1, s[10:11]
	s_mov_b64 s[20:21], -1
	global_store_byte v[5:6], v3, off
.LBB339_1584:
	s_mov_b64 s[0:1], 0
	s_branch .LBB339_1586
.LBB339_1585:
	s_mov_b64 s[0:1], -1
	s_mov_b64 s[20:21], 0
.LBB339_1586:
	s_and_b64 vcc, exec, s[0:1]
	s_cbranch_vccz .LBB339_1625
; %bb.1587:
	s_and_b32 s3, 0xffff, s26
	s_cmp_lt_i32 s3, 5
	s_mov_b64 s[0:1], -1
	s_cbranch_scc1 .LBB339_1608
; %bb.1588:
	s_cmp_lt_i32 s3, 8
	s_cbranch_scc1 .LBB339_1598
; %bb.1589:
	s_cmp_lt_i32 s3, 9
	s_cbranch_scc1 .LBB339_1595
; %bb.1590:
	s_cmp_gt_i32 s3, 9
	s_cbranch_scc0 .LBB339_1592
; %bb.1591:
	v_cndmask_b32_e64 v3, 0, 1, s[10:11]
	v_cvt_f64_u32_e32 v[7:8], v3
	v_mov_b32_e32 v9, 0
	v_mov_b32_e32 v10, v9
	s_mov_b64 s[0:1], 0
	global_store_dwordx4 v[5:6], v[7:10], off
.LBB339_1592:
	s_andn2_b64 vcc, exec, s[0:1]
	s_cbranch_vccnz .LBB339_1594
; %bb.1593:
	v_cndmask_b32_e64 v7, 0, 1.0, s[10:11]
	v_mov_b32_e32 v8, 0
	global_store_dwordx2 v[5:6], v[7:8], off
.LBB339_1594:
	s_mov_b64 s[0:1], 0
.LBB339_1595:
	s_andn2_b64 vcc, exec, s[0:1]
	s_cbranch_vccnz .LBB339_1597
; %bb.1596:
	v_cndmask_b32_e64 v3, 0, 1.0, s[10:11]
	v_cvt_f16_f32_e32 v3, v3
	global_store_dword v[5:6], v3, off
.LBB339_1597:
	s_mov_b64 s[0:1], 0
.LBB339_1598:
	s_andn2_b64 vcc, exec, s[0:1]
	s_cbranch_vccnz .LBB339_1607
; %bb.1599:
	s_cmp_lt_i32 s3, 6
	s_mov_b64 s[0:1], -1
	s_cbranch_scc1 .LBB339_1605
; %bb.1600:
	s_cmp_gt_i32 s3, 6
	s_cbranch_scc0 .LBB339_1602
; %bb.1601:
	v_cndmask_b32_e64 v3, 0, 1, s[10:11]
	v_cvt_f64_u32_e32 v[7:8], v3
	s_mov_b64 s[0:1], 0
	global_store_dwordx2 v[5:6], v[7:8], off
.LBB339_1602:
	s_andn2_b64 vcc, exec, s[0:1]
	s_cbranch_vccnz .LBB339_1604
; %bb.1603:
	v_cndmask_b32_e64 v3, 0, 1.0, s[10:11]
	global_store_dword v[5:6], v3, off
.LBB339_1604:
	s_mov_b64 s[0:1], 0
.LBB339_1605:
	s_andn2_b64 vcc, exec, s[0:1]
	s_cbranch_vccnz .LBB339_1607
; %bb.1606:
	v_cndmask_b32_e64 v3, 0, 1.0, s[10:11]
	v_cvt_f16_f32_e32 v3, v3
	global_store_short v[5:6], v3, off
.LBB339_1607:
	s_mov_b64 s[0:1], 0
.LBB339_1608:
	s_andn2_b64 vcc, exec, s[0:1]
	s_cbranch_vccnz .LBB339_1624
; %bb.1609:
	s_cmp_lt_i32 s3, 2
	s_mov_b64 s[0:1], -1
	s_cbranch_scc1 .LBB339_1619
; %bb.1610:
	s_cmp_lt_i32 s3, 3
	s_cbranch_scc1 .LBB339_1616
; %bb.1611:
	s_cmp_gt_i32 s3, 3
	s_cbranch_scc0 .LBB339_1613
; %bb.1612:
	s_mov_b32 s0, 0
	v_cndmask_b32_e64 v7, 0, 1, s[10:11]
	v_mov_b32_e32 v8, s0
	global_store_dwordx2 v[5:6], v[7:8], off
	s_mov_b64 s[0:1], 0
.LBB339_1613:
	s_andn2_b64 vcc, exec, s[0:1]
	s_cbranch_vccnz .LBB339_1615
; %bb.1614:
	v_cndmask_b32_e64 v3, 0, 1, s[10:11]
	global_store_dword v[5:6], v3, off
.LBB339_1615:
	s_mov_b64 s[0:1], 0
.LBB339_1616:
	s_andn2_b64 vcc, exec, s[0:1]
	s_cbranch_vccnz .LBB339_1618
; %bb.1617:
	v_cndmask_b32_e64 v3, 0, 1, s[10:11]
	global_store_short v[5:6], v3, off
.LBB339_1618:
	s_mov_b64 s[0:1], 0
.LBB339_1619:
	s_andn2_b64 vcc, exec, s[0:1]
	s_cbranch_vccnz .LBB339_1624
; %bb.1620:
	s_mov_b64 s[0:1], -1
	s_cmp_gt_i32 s3, 0
	v_cndmask_b32_e64 v3, 0, 1, s[10:11]
	s_cbranch_scc0 .LBB339_1622
; %bb.1621:
	global_store_byte v[5:6], v3, off
	s_mov_b64 s[0:1], 0
.LBB339_1622:
	s_andn2_b64 vcc, exec, s[0:1]
	s_cbranch_vccnz .LBB339_1624
; %bb.1623:
	global_store_byte v[5:6], v3, off
.LBB339_1624:
	s_mov_b64 s[20:21], -1
.LBB339_1625:
	s_andn2_b64 vcc, exec, s[20:21]
	s_cbranch_vccnz .LBB339_1940
; %bb.1626:
	s_lshl_b32 s3, s12, 7
	v_cmp_ne_u16_e32 vcc, s2, v4
	v_add_u32_e32 v1, s3, v1
	s_xor_b64 s[10:11], s[4:5], vcc
	v_ashrrev_i32_e32 v4, 31, v1
	v_mov_b32_e32 v5, s9
	v_add_co_u32_e32 v3, vcc, s8, v1
	s_cmp_lt_i32 s26, 11
	v_addc_co_u32_e32 v4, vcc, v5, v4, vcc
	s_cbranch_scc1 .LBB339_1704
; %bb.1627:
	s_and_b32 s24, 0xffff, s26
	s_mov_b64 s[20:21], -1
	s_mov_b64 s[12:13], 0
	s_cmp_gt_i32 s24, 25
	s_mov_b64 s[14:15], 0
	s_mov_b64 s[0:1], 0
	s_cbranch_scc0 .LBB339_1660
; %bb.1628:
	s_cmp_gt_i32 s24, 28
	s_cbranch_scc0 .LBB339_1643
; %bb.1629:
	s_cmp_gt_i32 s24, 43
	s_cbranch_scc0 .LBB339_1639
; %bb.1630:
	s_cmp_gt_i32 s24, 45
	s_cbranch_scc0 .LBB339_1633
; %bb.1631:
	s_mov_b64 s[0:1], -1
	s_mov_b64 s[20:21], 0
	s_cmp_eq_u32 s24, 46
	s_cbranch_scc0 .LBB339_1633
; %bb.1632:
	v_cndmask_b32_e64 v5, 0, 1.0, s[10:11]
	v_bfe_u32 v6, v5, 16, 1
	s_movk_i32 s0, 0x7fff
	v_add3_u32 v5, v5, v6, s0
	v_lshrrev_b32_e32 v5, 16, v5
	global_store_dword v[3:4], v5, off
	s_mov_b64 s[0:1], 0
	s_mov_b64 s[14:15], -1
.LBB339_1633:
	s_and_b64 vcc, exec, s[20:21]
	s_cbranch_vccz .LBB339_1638
; %bb.1634:
	s_cmp_eq_u32 s24, 44
	s_mov_b64 s[0:1], -1
	s_cbranch_scc0 .LBB339_1638
; %bb.1635:
	v_cndmask_b32_e64 v6, 0, 1.0, s[10:11]
	v_lshrrev_b32_e32 v5, 23, v6
	s_movk_i32 s0, 0xff
	v_cmp_ne_u32_e32 vcc, s0, v5
	v_mov_b32_e32 v7, 0xff
	s_and_saveexec_b64 s[14:15], vcc
; %bb.1636:
	s_mov_b32 s0, 0x3fffff
	v_and_b32_e32 v7, 0x400000, v6
	v_and_or_b32 v6, v6, s0, v5
	v_cmp_ne_u32_e32 vcc, 0, v7
	v_cmp_ne_u32_e64 s[0:1], 0, v6
	s_and_b64 s[0:1], vcc, s[0:1]
	v_cndmask_b32_e64 v6, 0, 1, s[0:1]
	v_add_u32_e32 v7, v5, v6
; %bb.1637:
	s_or_b64 exec, exec, s[14:15]
	s_mov_b64 s[0:1], 0
	s_mov_b64 s[14:15], -1
	global_store_byte v[3:4], v7, off
.LBB339_1638:
	s_mov_b64 s[20:21], 0
.LBB339_1639:
	s_and_b64 vcc, exec, s[20:21]
	s_cbranch_vccz .LBB339_1642
; %bb.1640:
	s_cmp_eq_u32 s24, 29
	s_mov_b64 s[0:1], -1
	s_cbranch_scc0 .LBB339_1642
; %bb.1641:
	s_mov_b32 s0, 0
	v_cndmask_b32_e64 v5, 0, 1, s[10:11]
	v_mov_b32_e32 v6, s0
	global_store_dwordx2 v[3:4], v[5:6], off
	s_mov_b64 s[0:1], 0
	s_mov_b64 s[14:15], -1
.LBB339_1642:
	s_mov_b64 s[20:21], 0
.LBB339_1643:
	s_and_b64 vcc, exec, s[20:21]
	s_cbranch_vccz .LBB339_1659
; %bb.1644:
	s_cmp_lt_i32 s24, 27
	s_mov_b64 s[14:15], -1
	s_cbranch_scc1 .LBB339_1650
; %bb.1645:
	s_cmp_gt_i32 s24, 27
	s_cbranch_scc0 .LBB339_1647
; %bb.1646:
	v_cndmask_b32_e64 v5, 0, 1, s[10:11]
	s_mov_b64 s[14:15], 0
	global_store_dword v[3:4], v5, off
.LBB339_1647:
	s_andn2_b64 vcc, exec, s[14:15]
	s_cbranch_vccnz .LBB339_1649
; %bb.1648:
	v_cndmask_b32_e64 v5, 0, 1, s[10:11]
	global_store_short v[3:4], v5, off
.LBB339_1649:
	s_mov_b64 s[14:15], 0
.LBB339_1650:
	s_andn2_b64 vcc, exec, s[14:15]
	s_cbranch_vccnz .LBB339_1658
; %bb.1651:
	v_cndmask_b32_e64 v6, 0, 1.0, s[10:11]
	s_mov_b32 s14, 0x43800000
	v_cmp_gt_u32_e32 vcc, s14, v6
	v_mov_b32_e32 v7, 0x80
	s_and_saveexec_b64 s[14:15], vcc
	s_cbranch_execz .LBB339_1657
; %bb.1652:
	s_mov_b32 s20, 0x3bffffff
	v_cmp_lt_u32_e32 vcc, s20, v6
	s_mov_b64 s[20:21], 0
                                        ; implicit-def: $vgpr5
	s_and_saveexec_b64 s[22:23], vcc
	s_xor_b64 s[22:23], exec, s[22:23]
	s_cbranch_execz .LBB339_1992
; %bb.1653:
	v_bfe_u32 v5, v6, 20, 1
	s_mov_b32 s25, 0x487ffff
	v_add3_u32 v5, v6, v5, s25
	s_mov_b64 s[20:21], exec
	v_lshrrev_b32_e32 v5, 20, v5
                                        ; implicit-def: $vgpr6
	s_andn2_saveexec_b64 s[22:23], s[22:23]
	s_cbranch_execnz .LBB339_1993
.LBB339_1654:
	s_or_b64 exec, exec, s[22:23]
	v_mov_b32_e32 v7, 0
	s_and_saveexec_b64 s[22:23], s[20:21]
.LBB339_1655:
	v_mov_b32_e32 v7, v5
.LBB339_1656:
	s_or_b64 exec, exec, s[22:23]
.LBB339_1657:
	s_or_b64 exec, exec, s[14:15]
	global_store_byte v[3:4], v7, off
.LBB339_1658:
	s_mov_b64 s[14:15], -1
.LBB339_1659:
	s_mov_b64 s[20:21], 0
.LBB339_1660:
	s_and_b64 vcc, exec, s[20:21]
	s_cbranch_vccz .LBB339_1700
; %bb.1661:
	s_cmp_gt_i32 s24, 22
	s_mov_b64 s[12:13], -1
	s_cbranch_scc0 .LBB339_1693
; %bb.1662:
	s_cmp_lt_i32 s24, 24
	s_cbranch_scc1 .LBB339_1682
; %bb.1663:
	s_cmp_gt_i32 s24, 24
	s_cbranch_scc0 .LBB339_1671
; %bb.1664:
	v_cndmask_b32_e64 v6, 0, 1.0, s[10:11]
	s_mov_b32 s12, 0x47800000
	v_cmp_gt_u32_e32 vcc, s12, v6
	v_mov_b32_e32 v7, 0x80
	s_and_saveexec_b64 s[12:13], vcc
	s_cbranch_execz .LBB339_1670
; %bb.1665:
	s_mov_b32 s14, 0x37ffffff
	v_cmp_lt_u32_e32 vcc, s14, v6
	s_mov_b64 s[14:15], 0
                                        ; implicit-def: $vgpr5
	s_and_saveexec_b64 s[20:21], vcc
	s_xor_b64 s[20:21], exec, s[20:21]
	s_cbranch_execz .LBB339_1995
; %bb.1666:
	v_bfe_u32 v5, v6, 21, 1
	s_mov_b32 s22, 0x88fffff
	v_add3_u32 v5, v6, v5, s22
	s_mov_b64 s[14:15], exec
	v_lshrrev_b32_e32 v5, 21, v5
                                        ; implicit-def: $vgpr6
	s_andn2_saveexec_b64 s[20:21], s[20:21]
	s_cbranch_execnz .LBB339_1996
.LBB339_1667:
	s_or_b64 exec, exec, s[20:21]
	v_mov_b32_e32 v7, 0
	s_and_saveexec_b64 s[20:21], s[14:15]
.LBB339_1668:
	v_mov_b32_e32 v7, v5
.LBB339_1669:
	s_or_b64 exec, exec, s[20:21]
.LBB339_1670:
	s_or_b64 exec, exec, s[12:13]
	s_mov_b64 s[12:13], 0
	global_store_byte v[3:4], v7, off
.LBB339_1671:
	s_and_b64 vcc, exec, s[12:13]
	s_cbranch_vccz .LBB339_1681
; %bb.1672:
	v_cndmask_b32_e64 v5, 0, 1.0, s[10:11]
	s_mov_b32 s12, 0x43f00000
	v_cmp_gt_u32_e32 vcc, s12, v5
                                        ; implicit-def: $vgpr6
	s_and_saveexec_b64 s[12:13], vcc
	s_xor_b64 s[12:13], exec, s[12:13]
	s_cbranch_execz .LBB339_1678
; %bb.1673:
	s_mov_b32 s14, 0x3c7fffff
	v_cmp_lt_u32_e32 vcc, s14, v5
                                        ; implicit-def: $vgpr6
	s_and_saveexec_b64 s[14:15], vcc
	s_xor_b64 s[14:15], exec, s[14:15]
; %bb.1674:
	v_bfe_u32 v6, v5, 20, 1
	s_mov_b32 s20, 0x407ffff
	v_add3_u32 v5, v5, v6, s20
	v_lshrrev_b32_e32 v6, 20, v5
	v_and_b32_e32 v5, 0xff00000, v5
	s_mov_b32 s20, 0x7f00000
	v_mov_b32_e32 v7, 0x7e
	v_cmp_ne_u32_e32 vcc, s20, v5
	v_cndmask_b32_e32 v6, v7, v6, vcc
                                        ; implicit-def: $vgpr5
; %bb.1675:
	s_andn2_saveexec_b64 s[14:15], s[14:15]
; %bb.1676:
	v_add_f32_e32 v6, 0x46800000, v5
; %bb.1677:
	s_or_b64 exec, exec, s[14:15]
                                        ; implicit-def: $vgpr5
.LBB339_1678:
	s_andn2_saveexec_b64 s[12:13], s[12:13]
; %bb.1679:
	s_mov_b32 s14, 0x7f800000
	v_mov_b32_e32 v6, 0x7e
	v_mov_b32_e32 v7, 0x7f
	v_cmp_lt_u32_e32 vcc, s14, v5
	v_cndmask_b32_e32 v6, v6, v7, vcc
; %bb.1680:
	s_or_b64 exec, exec, s[12:13]
	global_store_byte v[3:4], v6, off
.LBB339_1681:
	s_mov_b64 s[12:13], 0
.LBB339_1682:
	s_andn2_b64 vcc, exec, s[12:13]
	s_cbranch_vccnz .LBB339_1692
; %bb.1683:
	v_cndmask_b32_e64 v5, 0, 1.0, s[10:11]
	s_mov_b32 s12, 0x47800000
	v_cmp_gt_u32_e32 vcc, s12, v5
                                        ; implicit-def: $vgpr6
	s_and_saveexec_b64 s[12:13], vcc
	s_xor_b64 s[12:13], exec, s[12:13]
	s_cbranch_execz .LBB339_1689
; %bb.1684:
	s_mov_b32 s14, 0x387fffff
	v_cmp_lt_u32_e32 vcc, s14, v5
                                        ; implicit-def: $vgpr6
	s_and_saveexec_b64 s[14:15], vcc
	s_xor_b64 s[14:15], exec, s[14:15]
; %bb.1685:
	v_bfe_u32 v6, v5, 21, 1
	s_mov_b32 s20, 0x80fffff
	v_add3_u32 v5, v5, v6, s20
	v_lshrrev_b32_e32 v6, 21, v5
                                        ; implicit-def: $vgpr5
; %bb.1686:
	s_andn2_saveexec_b64 s[14:15], s[14:15]
; %bb.1687:
	v_add_f32_e32 v6, 0x43000000, v5
; %bb.1688:
	s_or_b64 exec, exec, s[14:15]
                                        ; implicit-def: $vgpr5
.LBB339_1689:
	s_andn2_saveexec_b64 s[12:13], s[12:13]
; %bb.1690:
	s_mov_b32 s14, 0x7f800000
	v_mov_b32_e32 v6, 0x7c
	v_mov_b32_e32 v7, 0x7f
	v_cmp_lt_u32_e32 vcc, s14, v5
	v_cndmask_b32_e32 v6, v6, v7, vcc
; %bb.1691:
	s_or_b64 exec, exec, s[12:13]
	global_store_byte v[3:4], v6, off
.LBB339_1692:
	s_mov_b64 s[12:13], 0
	s_mov_b64 s[14:15], -1
.LBB339_1693:
	s_andn2_b64 vcc, exec, s[12:13]
	s_mov_b64 s[12:13], 0
	s_cbranch_vccnz .LBB339_1700
; %bb.1694:
	s_cmp_gt_i32 s24, 14
	s_mov_b64 s[20:21], -1
	s_cbranch_scc0 .LBB339_1698
; %bb.1695:
	s_cmp_eq_u32 s24, 15
	s_mov_b64 s[0:1], -1
	s_cbranch_scc0 .LBB339_1697
; %bb.1696:
	v_cndmask_b32_e64 v5, 0, 1.0, s[10:11]
	v_bfe_u32 v6, v5, 16, 1
	s_movk_i32 s0, 0x7fff
	v_add3_u32 v5, v5, v6, s0
	global_store_short_d16_hi v[3:4], v5, off
	s_mov_b64 s[0:1], 0
	s_mov_b64 s[14:15], -1
.LBB339_1697:
	s_mov_b64 s[20:21], 0
.LBB339_1698:
	s_and_b64 vcc, exec, s[20:21]
	s_cbranch_vccz .LBB339_1700
; %bb.1699:
	s_cmp_lg_u32 s24, 11
	s_mov_b64 s[12:13], -1
	s_cselect_b64 s[0:1], -1, 0
.LBB339_1700:
	s_and_b64 vcc, exec, s[0:1]
	s_cbranch_vccnz .LBB339_1994
; %bb.1701:
	s_andn2_b64 vcc, exec, s[12:13]
	s_cbranch_vccnz .LBB339_1703
.LBB339_1702:
	v_cndmask_b32_e64 v5, 0, 1, s[10:11]
	s_mov_b64 s[14:15], -1
	global_store_byte v[3:4], v5, off
.LBB339_1703:
	s_mov_b64 s[0:1], 0
	s_branch .LBB339_1705
.LBB339_1704:
	s_mov_b64 s[0:1], -1
	s_mov_b64 s[14:15], 0
.LBB339_1705:
	s_and_b64 vcc, exec, s[0:1]
	s_cbranch_vccz .LBB339_1744
; %bb.1706:
	s_and_b32 s12, 0xffff, s26
	s_cmp_lt_i32 s12, 5
	s_mov_b64 s[0:1], -1
	s_cbranch_scc1 .LBB339_1727
; %bb.1707:
	s_cmp_lt_i32 s12, 8
	s_cbranch_scc1 .LBB339_1717
; %bb.1708:
	s_cmp_lt_i32 s12, 9
	s_cbranch_scc1 .LBB339_1714
; %bb.1709:
	s_cmp_gt_i32 s12, 9
	s_cbranch_scc0 .LBB339_1711
; %bb.1710:
	v_cndmask_b32_e64 v5, 0, 1, s[10:11]
	v_cvt_f64_u32_e32 v[5:6], v5
	v_mov_b32_e32 v7, 0
	v_mov_b32_e32 v8, v7
	s_mov_b64 s[0:1], 0
	global_store_dwordx4 v[3:4], v[5:8], off
.LBB339_1711:
	s_andn2_b64 vcc, exec, s[0:1]
	s_cbranch_vccnz .LBB339_1713
; %bb.1712:
	v_cndmask_b32_e64 v5, 0, 1.0, s[10:11]
	v_mov_b32_e32 v6, 0
	global_store_dwordx2 v[3:4], v[5:6], off
.LBB339_1713:
	s_mov_b64 s[0:1], 0
.LBB339_1714:
	s_andn2_b64 vcc, exec, s[0:1]
	s_cbranch_vccnz .LBB339_1716
; %bb.1715:
	v_cndmask_b32_e64 v5, 0, 1.0, s[10:11]
	v_cvt_f16_f32_e32 v5, v5
	global_store_dword v[3:4], v5, off
.LBB339_1716:
	s_mov_b64 s[0:1], 0
.LBB339_1717:
	s_andn2_b64 vcc, exec, s[0:1]
	s_cbranch_vccnz .LBB339_1726
; %bb.1718:
	s_cmp_lt_i32 s12, 6
	s_mov_b64 s[0:1], -1
	s_cbranch_scc1 .LBB339_1724
; %bb.1719:
	s_cmp_gt_i32 s12, 6
	s_cbranch_scc0 .LBB339_1721
; %bb.1720:
	v_cndmask_b32_e64 v5, 0, 1, s[10:11]
	v_cvt_f64_u32_e32 v[5:6], v5
	s_mov_b64 s[0:1], 0
	global_store_dwordx2 v[3:4], v[5:6], off
.LBB339_1721:
	s_andn2_b64 vcc, exec, s[0:1]
	s_cbranch_vccnz .LBB339_1723
; %bb.1722:
	v_cndmask_b32_e64 v5, 0, 1.0, s[10:11]
	global_store_dword v[3:4], v5, off
.LBB339_1723:
	s_mov_b64 s[0:1], 0
.LBB339_1724:
	s_andn2_b64 vcc, exec, s[0:1]
	s_cbranch_vccnz .LBB339_1726
; %bb.1725:
	v_cndmask_b32_e64 v5, 0, 1.0, s[10:11]
	v_cvt_f16_f32_e32 v5, v5
	global_store_short v[3:4], v5, off
.LBB339_1726:
	s_mov_b64 s[0:1], 0
.LBB339_1727:
	s_andn2_b64 vcc, exec, s[0:1]
	s_cbranch_vccnz .LBB339_1743
; %bb.1728:
	s_cmp_lt_i32 s12, 2
	s_mov_b64 s[0:1], -1
	s_cbranch_scc1 .LBB339_1738
; %bb.1729:
	s_cmp_lt_i32 s12, 3
	s_cbranch_scc1 .LBB339_1735
; %bb.1730:
	s_cmp_gt_i32 s12, 3
	s_cbranch_scc0 .LBB339_1732
; %bb.1731:
	s_mov_b32 s0, 0
	v_cndmask_b32_e64 v5, 0, 1, s[10:11]
	v_mov_b32_e32 v6, s0
	global_store_dwordx2 v[3:4], v[5:6], off
	s_mov_b64 s[0:1], 0
.LBB339_1732:
	s_andn2_b64 vcc, exec, s[0:1]
	s_cbranch_vccnz .LBB339_1734
; %bb.1733:
	v_cndmask_b32_e64 v5, 0, 1, s[10:11]
	global_store_dword v[3:4], v5, off
.LBB339_1734:
	s_mov_b64 s[0:1], 0
.LBB339_1735:
	s_andn2_b64 vcc, exec, s[0:1]
	s_cbranch_vccnz .LBB339_1737
; %bb.1736:
	v_cndmask_b32_e64 v5, 0, 1, s[10:11]
	global_store_short v[3:4], v5, off
.LBB339_1737:
	s_mov_b64 s[0:1], 0
.LBB339_1738:
	s_andn2_b64 vcc, exec, s[0:1]
	s_cbranch_vccnz .LBB339_1743
; %bb.1739:
	s_mov_b64 s[0:1], -1
	s_cmp_gt_i32 s12, 0
	v_cndmask_b32_e64 v5, 0, 1, s[10:11]
	s_cbranch_scc0 .LBB339_1741
; %bb.1740:
	global_store_byte v[3:4], v5, off
	s_mov_b64 s[0:1], 0
.LBB339_1741:
	s_andn2_b64 vcc, exec, s[0:1]
	s_cbranch_vccnz .LBB339_1743
; %bb.1742:
	global_store_byte v[3:4], v5, off
.LBB339_1743:
	s_mov_b64 s[14:15], -1
.LBB339_1744:
	s_andn2_b64 vcc, exec, s[14:15]
	s_cbranch_vccnz .LBB339_1940
; %bb.1745:
	v_cmp_ne_u16_e32 vcc, s2, v2
	v_add_u32_e32 v3, s3, v1
	s_xor_b64 s[10:11], s[4:5], vcc
	v_ashrrev_i32_e32 v2, 31, v3
	v_mov_b32_e32 v4, s9
	v_add_co_u32_e32 v1, vcc, s8, v3
	s_cmp_lt_i32 s26, 11
	v_addc_co_u32_e32 v2, vcc, v4, v2, vcc
	s_cbranch_scc1 .LBB339_1823
; %bb.1746:
	s_and_b32 s24, 0xffff, s26
	s_mov_b64 s[20:21], -1
	s_mov_b64 s[12:13], 0
	s_cmp_gt_i32 s24, 25
	s_mov_b64 s[14:15], 0
	s_mov_b64 s[0:1], 0
	s_cbranch_scc0 .LBB339_1779
; %bb.1747:
	s_cmp_gt_i32 s24, 28
	s_cbranch_scc0 .LBB339_1762
; %bb.1748:
	s_cmp_gt_i32 s24, 43
	;; [unrolled: 3-line block ×3, first 2 shown]
	s_cbranch_scc0 .LBB339_1752
; %bb.1750:
	s_mov_b64 s[0:1], -1
	s_mov_b64 s[20:21], 0
	s_cmp_eq_u32 s24, 46
	s_cbranch_scc0 .LBB339_1752
; %bb.1751:
	v_cndmask_b32_e64 v4, 0, 1.0, s[10:11]
	v_bfe_u32 v5, v4, 16, 1
	s_movk_i32 s0, 0x7fff
	v_add3_u32 v4, v4, v5, s0
	v_lshrrev_b32_e32 v4, 16, v4
	global_store_dword v[1:2], v4, off
	s_mov_b64 s[0:1], 0
	s_mov_b64 s[14:15], -1
.LBB339_1752:
	s_and_b64 vcc, exec, s[20:21]
	s_cbranch_vccz .LBB339_1757
; %bb.1753:
	s_cmp_eq_u32 s24, 44
	s_mov_b64 s[0:1], -1
	s_cbranch_scc0 .LBB339_1757
; %bb.1754:
	v_cndmask_b32_e64 v5, 0, 1.0, s[10:11]
	v_lshrrev_b32_e32 v4, 23, v5
	s_movk_i32 s0, 0xff
	v_cmp_ne_u32_e32 vcc, s0, v4
	v_mov_b32_e32 v6, 0xff
	s_and_saveexec_b64 s[14:15], vcc
; %bb.1755:
	s_mov_b32 s0, 0x3fffff
	v_and_b32_e32 v6, 0x400000, v5
	v_and_or_b32 v5, v5, s0, v4
	v_cmp_ne_u32_e32 vcc, 0, v6
	v_cmp_ne_u32_e64 s[0:1], 0, v5
	s_and_b64 s[0:1], vcc, s[0:1]
	v_cndmask_b32_e64 v5, 0, 1, s[0:1]
	v_add_u32_e32 v6, v4, v5
; %bb.1756:
	s_or_b64 exec, exec, s[14:15]
	s_mov_b64 s[0:1], 0
	s_mov_b64 s[14:15], -1
	global_store_byte v[1:2], v6, off
.LBB339_1757:
	s_mov_b64 s[20:21], 0
.LBB339_1758:
	s_and_b64 vcc, exec, s[20:21]
	s_cbranch_vccz .LBB339_1761
; %bb.1759:
	s_cmp_eq_u32 s24, 29
	s_mov_b64 s[0:1], -1
	s_cbranch_scc0 .LBB339_1761
; %bb.1760:
	s_mov_b32 s0, 0
	v_cndmask_b32_e64 v4, 0, 1, s[10:11]
	v_mov_b32_e32 v5, s0
	global_store_dwordx2 v[1:2], v[4:5], off
	s_mov_b64 s[0:1], 0
	s_mov_b64 s[14:15], -1
.LBB339_1761:
	s_mov_b64 s[20:21], 0
.LBB339_1762:
	s_and_b64 vcc, exec, s[20:21]
	s_cbranch_vccz .LBB339_1778
; %bb.1763:
	s_cmp_lt_i32 s24, 27
	s_mov_b64 s[14:15], -1
	s_cbranch_scc1 .LBB339_1769
; %bb.1764:
	s_cmp_gt_i32 s24, 27
	s_cbranch_scc0 .LBB339_1766
; %bb.1765:
	v_cndmask_b32_e64 v4, 0, 1, s[10:11]
	s_mov_b64 s[14:15], 0
	global_store_dword v[1:2], v4, off
.LBB339_1766:
	s_andn2_b64 vcc, exec, s[14:15]
	s_cbranch_vccnz .LBB339_1768
; %bb.1767:
	v_cndmask_b32_e64 v4, 0, 1, s[10:11]
	global_store_short v[1:2], v4, off
.LBB339_1768:
	s_mov_b64 s[14:15], 0
.LBB339_1769:
	s_andn2_b64 vcc, exec, s[14:15]
	s_cbranch_vccnz .LBB339_1777
; %bb.1770:
	v_cndmask_b32_e64 v5, 0, 1.0, s[10:11]
	s_mov_b32 s14, 0x43800000
	v_cmp_gt_u32_e32 vcc, s14, v5
	v_mov_b32_e32 v6, 0x80
	s_and_saveexec_b64 s[14:15], vcc
	s_cbranch_execz .LBB339_1776
; %bb.1771:
	s_mov_b32 s20, 0x3bffffff
	v_cmp_lt_u32_e32 vcc, s20, v5
	s_mov_b64 s[20:21], 0
                                        ; implicit-def: $vgpr4
	s_and_saveexec_b64 s[22:23], vcc
	s_xor_b64 s[22:23], exec, s[22:23]
	s_cbranch_execz .LBB339_1997
; %bb.1772:
	v_bfe_u32 v4, v5, 20, 1
	s_mov_b32 s25, 0x487ffff
	v_add3_u32 v4, v5, v4, s25
	s_mov_b64 s[20:21], exec
	v_lshrrev_b32_e32 v4, 20, v4
                                        ; implicit-def: $vgpr5
	s_andn2_saveexec_b64 s[22:23], s[22:23]
	s_cbranch_execnz .LBB339_1998
.LBB339_1773:
	s_or_b64 exec, exec, s[22:23]
	v_mov_b32_e32 v6, 0
	s_and_saveexec_b64 s[22:23], s[20:21]
.LBB339_1774:
	v_mov_b32_e32 v6, v4
.LBB339_1775:
	s_or_b64 exec, exec, s[22:23]
.LBB339_1776:
	s_or_b64 exec, exec, s[14:15]
	global_store_byte v[1:2], v6, off
.LBB339_1777:
	s_mov_b64 s[14:15], -1
.LBB339_1778:
	s_mov_b64 s[20:21], 0
.LBB339_1779:
	s_and_b64 vcc, exec, s[20:21]
	s_cbranch_vccz .LBB339_1819
; %bb.1780:
	s_cmp_gt_i32 s24, 22
	s_mov_b64 s[12:13], -1
	s_cbranch_scc0 .LBB339_1812
; %bb.1781:
	s_cmp_lt_i32 s24, 24
	s_cbranch_scc1 .LBB339_1801
; %bb.1782:
	s_cmp_gt_i32 s24, 24
	s_cbranch_scc0 .LBB339_1790
; %bb.1783:
	v_cndmask_b32_e64 v5, 0, 1.0, s[10:11]
	s_mov_b32 s12, 0x47800000
	v_cmp_gt_u32_e32 vcc, s12, v5
	v_mov_b32_e32 v6, 0x80
	s_and_saveexec_b64 s[12:13], vcc
	s_cbranch_execz .LBB339_1789
; %bb.1784:
	s_mov_b32 s14, 0x37ffffff
	v_cmp_lt_u32_e32 vcc, s14, v5
	s_mov_b64 s[14:15], 0
                                        ; implicit-def: $vgpr4
	s_and_saveexec_b64 s[20:21], vcc
	s_xor_b64 s[20:21], exec, s[20:21]
	s_cbranch_execz .LBB339_2000
; %bb.1785:
	v_bfe_u32 v4, v5, 21, 1
	s_mov_b32 s22, 0x88fffff
	v_add3_u32 v4, v5, v4, s22
	s_mov_b64 s[14:15], exec
	v_lshrrev_b32_e32 v4, 21, v4
                                        ; implicit-def: $vgpr5
	s_andn2_saveexec_b64 s[20:21], s[20:21]
	s_cbranch_execnz .LBB339_2001
.LBB339_1786:
	s_or_b64 exec, exec, s[20:21]
	v_mov_b32_e32 v6, 0
	s_and_saveexec_b64 s[20:21], s[14:15]
.LBB339_1787:
	v_mov_b32_e32 v6, v4
.LBB339_1788:
	s_or_b64 exec, exec, s[20:21]
.LBB339_1789:
	s_or_b64 exec, exec, s[12:13]
	s_mov_b64 s[12:13], 0
	global_store_byte v[1:2], v6, off
.LBB339_1790:
	s_and_b64 vcc, exec, s[12:13]
	s_cbranch_vccz .LBB339_1800
; %bb.1791:
	v_cndmask_b32_e64 v4, 0, 1.0, s[10:11]
	s_mov_b32 s12, 0x43f00000
	v_cmp_gt_u32_e32 vcc, s12, v4
                                        ; implicit-def: $vgpr5
	s_and_saveexec_b64 s[12:13], vcc
	s_xor_b64 s[12:13], exec, s[12:13]
	s_cbranch_execz .LBB339_1797
; %bb.1792:
	s_mov_b32 s14, 0x3c7fffff
	v_cmp_lt_u32_e32 vcc, s14, v4
                                        ; implicit-def: $vgpr5
	s_and_saveexec_b64 s[14:15], vcc
	s_xor_b64 s[14:15], exec, s[14:15]
; %bb.1793:
	v_bfe_u32 v5, v4, 20, 1
	s_mov_b32 s20, 0x407ffff
	v_add3_u32 v4, v4, v5, s20
	v_lshrrev_b32_e32 v5, 20, v4
	v_and_b32_e32 v4, 0xff00000, v4
	s_mov_b32 s20, 0x7f00000
	v_mov_b32_e32 v6, 0x7e
	v_cmp_ne_u32_e32 vcc, s20, v4
	v_cndmask_b32_e32 v5, v6, v5, vcc
                                        ; implicit-def: $vgpr4
; %bb.1794:
	s_andn2_saveexec_b64 s[14:15], s[14:15]
; %bb.1795:
	v_add_f32_e32 v5, 0x46800000, v4
; %bb.1796:
	s_or_b64 exec, exec, s[14:15]
                                        ; implicit-def: $vgpr4
.LBB339_1797:
	s_andn2_saveexec_b64 s[12:13], s[12:13]
; %bb.1798:
	s_mov_b32 s14, 0x7f800000
	v_mov_b32_e32 v5, 0x7e
	v_mov_b32_e32 v6, 0x7f
	v_cmp_lt_u32_e32 vcc, s14, v4
	v_cndmask_b32_e32 v5, v5, v6, vcc
; %bb.1799:
	s_or_b64 exec, exec, s[12:13]
	global_store_byte v[1:2], v5, off
.LBB339_1800:
	s_mov_b64 s[12:13], 0
.LBB339_1801:
	s_andn2_b64 vcc, exec, s[12:13]
	s_cbranch_vccnz .LBB339_1811
; %bb.1802:
	v_cndmask_b32_e64 v4, 0, 1.0, s[10:11]
	s_mov_b32 s12, 0x47800000
	v_cmp_gt_u32_e32 vcc, s12, v4
                                        ; implicit-def: $vgpr5
	s_and_saveexec_b64 s[12:13], vcc
	s_xor_b64 s[12:13], exec, s[12:13]
	s_cbranch_execz .LBB339_1808
; %bb.1803:
	s_mov_b32 s14, 0x387fffff
	v_cmp_lt_u32_e32 vcc, s14, v4
                                        ; implicit-def: $vgpr5
	s_and_saveexec_b64 s[14:15], vcc
	s_xor_b64 s[14:15], exec, s[14:15]
; %bb.1804:
	v_bfe_u32 v5, v4, 21, 1
	s_mov_b32 s20, 0x80fffff
	v_add3_u32 v4, v4, v5, s20
	v_lshrrev_b32_e32 v5, 21, v4
                                        ; implicit-def: $vgpr4
; %bb.1805:
	s_andn2_saveexec_b64 s[14:15], s[14:15]
; %bb.1806:
	v_add_f32_e32 v5, 0x43000000, v4
; %bb.1807:
	s_or_b64 exec, exec, s[14:15]
                                        ; implicit-def: $vgpr4
.LBB339_1808:
	s_andn2_saveexec_b64 s[12:13], s[12:13]
; %bb.1809:
	s_mov_b32 s14, 0x7f800000
	v_mov_b32_e32 v5, 0x7c
	v_mov_b32_e32 v6, 0x7f
	v_cmp_lt_u32_e32 vcc, s14, v4
	v_cndmask_b32_e32 v5, v5, v6, vcc
; %bb.1810:
	s_or_b64 exec, exec, s[12:13]
	global_store_byte v[1:2], v5, off
.LBB339_1811:
	s_mov_b64 s[12:13], 0
	s_mov_b64 s[14:15], -1
.LBB339_1812:
	s_andn2_b64 vcc, exec, s[12:13]
	s_mov_b64 s[12:13], 0
	s_cbranch_vccnz .LBB339_1819
; %bb.1813:
	s_cmp_gt_i32 s24, 14
	s_mov_b64 s[20:21], -1
	s_cbranch_scc0 .LBB339_1817
; %bb.1814:
	s_cmp_eq_u32 s24, 15
	s_mov_b64 s[0:1], -1
	s_cbranch_scc0 .LBB339_1816
; %bb.1815:
	v_cndmask_b32_e64 v4, 0, 1.0, s[10:11]
	v_bfe_u32 v5, v4, 16, 1
	s_movk_i32 s0, 0x7fff
	v_add3_u32 v4, v4, v5, s0
	global_store_short_d16_hi v[1:2], v4, off
	s_mov_b64 s[0:1], 0
	s_mov_b64 s[14:15], -1
.LBB339_1816:
	s_mov_b64 s[20:21], 0
.LBB339_1817:
	s_and_b64 vcc, exec, s[20:21]
	s_cbranch_vccz .LBB339_1819
; %bb.1818:
	s_cmp_lg_u32 s24, 11
	s_mov_b64 s[12:13], -1
	s_cselect_b64 s[0:1], -1, 0
.LBB339_1819:
	s_and_b64 vcc, exec, s[0:1]
	s_cbranch_vccnz .LBB339_1999
; %bb.1820:
	s_andn2_b64 vcc, exec, s[12:13]
	s_cbranch_vccnz .LBB339_1822
.LBB339_1821:
	v_cndmask_b32_e64 v4, 0, 1, s[10:11]
	s_mov_b64 s[14:15], -1
	global_store_byte v[1:2], v4, off
.LBB339_1822:
	s_mov_b64 s[0:1], 0
	s_branch .LBB339_1824
.LBB339_1823:
	s_mov_b64 s[0:1], -1
	s_mov_b64 s[14:15], 0
.LBB339_1824:
	s_and_b64 vcc, exec, s[0:1]
	s_cbranch_vccz .LBB339_1863
; %bb.1825:
	s_and_b32 s12, 0xffff, s26
	s_cmp_lt_i32 s12, 5
	s_mov_b64 s[0:1], -1
	s_cbranch_scc1 .LBB339_1846
; %bb.1826:
	s_cmp_lt_i32 s12, 8
	s_cbranch_scc1 .LBB339_1836
; %bb.1827:
	s_cmp_lt_i32 s12, 9
	s_cbranch_scc1 .LBB339_1833
; %bb.1828:
	s_cmp_gt_i32 s12, 9
	s_cbranch_scc0 .LBB339_1830
; %bb.1829:
	v_cndmask_b32_e64 v4, 0, 1, s[10:11]
	v_cvt_f64_u32_e32 v[4:5], v4
	v_mov_b32_e32 v6, 0
	v_mov_b32_e32 v7, v6
	s_mov_b64 s[0:1], 0
	global_store_dwordx4 v[1:2], v[4:7], off
.LBB339_1830:
	s_andn2_b64 vcc, exec, s[0:1]
	s_cbranch_vccnz .LBB339_1832
; %bb.1831:
	v_cndmask_b32_e64 v4, 0, 1.0, s[10:11]
	v_mov_b32_e32 v5, 0
	global_store_dwordx2 v[1:2], v[4:5], off
.LBB339_1832:
	s_mov_b64 s[0:1], 0
.LBB339_1833:
	s_andn2_b64 vcc, exec, s[0:1]
	s_cbranch_vccnz .LBB339_1835
; %bb.1834:
	v_cndmask_b32_e64 v4, 0, 1.0, s[10:11]
	v_cvt_f16_f32_e32 v4, v4
	global_store_dword v[1:2], v4, off
.LBB339_1835:
	s_mov_b64 s[0:1], 0
.LBB339_1836:
	s_andn2_b64 vcc, exec, s[0:1]
	s_cbranch_vccnz .LBB339_1845
; %bb.1837:
	s_cmp_lt_i32 s12, 6
	s_mov_b64 s[0:1], -1
	s_cbranch_scc1 .LBB339_1843
; %bb.1838:
	s_cmp_gt_i32 s12, 6
	s_cbranch_scc0 .LBB339_1840
; %bb.1839:
	v_cndmask_b32_e64 v4, 0, 1, s[10:11]
	v_cvt_f64_u32_e32 v[4:5], v4
	s_mov_b64 s[0:1], 0
	global_store_dwordx2 v[1:2], v[4:5], off
.LBB339_1840:
	s_andn2_b64 vcc, exec, s[0:1]
	s_cbranch_vccnz .LBB339_1842
; %bb.1841:
	v_cndmask_b32_e64 v4, 0, 1.0, s[10:11]
	global_store_dword v[1:2], v4, off
.LBB339_1842:
	s_mov_b64 s[0:1], 0
.LBB339_1843:
	s_andn2_b64 vcc, exec, s[0:1]
	s_cbranch_vccnz .LBB339_1845
; %bb.1844:
	v_cndmask_b32_e64 v4, 0, 1.0, s[10:11]
	v_cvt_f16_f32_e32 v4, v4
	global_store_short v[1:2], v4, off
.LBB339_1845:
	s_mov_b64 s[0:1], 0
.LBB339_1846:
	s_andn2_b64 vcc, exec, s[0:1]
	s_cbranch_vccnz .LBB339_1862
; %bb.1847:
	s_cmp_lt_i32 s12, 2
	s_mov_b64 s[0:1], -1
	s_cbranch_scc1 .LBB339_1857
; %bb.1848:
	s_cmp_lt_i32 s12, 3
	s_cbranch_scc1 .LBB339_1854
; %bb.1849:
	s_cmp_gt_i32 s12, 3
	s_cbranch_scc0 .LBB339_1851
; %bb.1850:
	s_mov_b32 s0, 0
	v_cndmask_b32_e64 v4, 0, 1, s[10:11]
	v_mov_b32_e32 v5, s0
	global_store_dwordx2 v[1:2], v[4:5], off
	s_mov_b64 s[0:1], 0
.LBB339_1851:
	s_andn2_b64 vcc, exec, s[0:1]
	s_cbranch_vccnz .LBB339_1853
; %bb.1852:
	v_cndmask_b32_e64 v4, 0, 1, s[10:11]
	global_store_dword v[1:2], v4, off
.LBB339_1853:
	s_mov_b64 s[0:1], 0
.LBB339_1854:
	s_andn2_b64 vcc, exec, s[0:1]
	s_cbranch_vccnz .LBB339_1856
; %bb.1855:
	v_cndmask_b32_e64 v4, 0, 1, s[10:11]
	global_store_short v[1:2], v4, off
.LBB339_1856:
	s_mov_b64 s[0:1], 0
.LBB339_1857:
	s_andn2_b64 vcc, exec, s[0:1]
	s_cbranch_vccnz .LBB339_1862
; %bb.1858:
	s_mov_b64 s[0:1], -1
	s_cmp_gt_i32 s12, 0
	v_cndmask_b32_e64 v4, 0, 1, s[10:11]
	s_cbranch_scc0 .LBB339_1860
; %bb.1859:
	global_store_byte v[1:2], v4, off
	s_mov_b64 s[0:1], 0
.LBB339_1860:
	s_andn2_b64 vcc, exec, s[0:1]
	s_cbranch_vccnz .LBB339_1862
; %bb.1861:
	global_store_byte v[1:2], v4, off
.LBB339_1862:
	s_mov_b64 s[14:15], -1
.LBB339_1863:
	s_andn2_b64 vcc, exec, s[14:15]
	s_cbranch_vccnz .LBB339_1940
; %bb.1864:
	v_cmp_ne_u16_e32 vcc, s2, v0
	v_add_u32_e32 v0, s3, v3
	s_xor_b64 s[20:21], s[4:5], vcc
	v_ashrrev_i32_e32 v1, 31, v0
	v_mov_b32_e32 v2, s9
	v_add_co_u32_e32 v0, vcc, s8, v0
	s_cmp_lt_i32 s26, 11
	v_addc_co_u32_e32 v1, vcc, v2, v1, vcc
	s_cbranch_scc1 .LBB339_1985
; %bb.1865:
	s_and_b32 s12, 0xffff, s26
	s_mov_b64 s[4:5], -1
	s_mov_b64 s[2:3], 0
	s_cmp_gt_i32 s12, 25
	s_mov_b64 s[0:1], 0
	s_cbranch_scc0 .LBB339_1898
; %bb.1866:
	s_cmp_gt_i32 s12, 28
	s_cbranch_scc0 .LBB339_1882
; %bb.1867:
	s_cmp_gt_i32 s12, 43
	;; [unrolled: 3-line block ×3, first 2 shown]
	s_cbranch_scc0 .LBB339_1872
; %bb.1869:
	s_cmp_eq_u32 s12, 46
	s_mov_b64 s[0:1], -1
	s_cbranch_scc0 .LBB339_1871
; %bb.1870:
	v_cndmask_b32_e64 v2, 0, 1.0, s[20:21]
	v_bfe_u32 v3, v2, 16, 1
	s_movk_i32 s0, 0x7fff
	v_add3_u32 v2, v2, v3, s0
	v_lshrrev_b32_e32 v2, 16, v2
	global_store_dword v[0:1], v2, off
	s_mov_b64 s[0:1], 0
.LBB339_1871:
	s_mov_b64 s[4:5], 0
.LBB339_1872:
	s_and_b64 vcc, exec, s[4:5]
	s_cbranch_vccz .LBB339_1877
; %bb.1873:
	s_cmp_eq_u32 s12, 44
	s_mov_b64 s[0:1], -1
	s_cbranch_scc0 .LBB339_1877
; %bb.1874:
	v_cndmask_b32_e64 v3, 0, 1.0, s[20:21]
	v_lshrrev_b32_e32 v2, 23, v3
	s_movk_i32 s0, 0xff
	v_cmp_ne_u32_e32 vcc, s0, v2
	v_mov_b32_e32 v4, 0xff
	s_and_saveexec_b64 s[4:5], vcc
; %bb.1875:
	s_mov_b32 s0, 0x3fffff
	v_and_b32_e32 v4, 0x400000, v3
	v_and_or_b32 v3, v3, s0, v2
	v_cmp_ne_u32_e32 vcc, 0, v4
	v_cmp_ne_u32_e64 s[0:1], 0, v3
	s_and_b64 s[0:1], vcc, s[0:1]
	v_cndmask_b32_e64 v3, 0, 1, s[0:1]
	v_add_u32_e32 v4, v2, v3
; %bb.1876:
	s_or_b64 exec, exec, s[4:5]
	s_mov_b64 s[0:1], 0
	global_store_byte v[0:1], v4, off
.LBB339_1877:
	s_mov_b64 s[4:5], 0
.LBB339_1878:
	s_and_b64 vcc, exec, s[4:5]
	s_cbranch_vccz .LBB339_1881
; %bb.1879:
	s_cmp_eq_u32 s12, 29
	s_mov_b64 s[0:1], -1
	s_cbranch_scc0 .LBB339_1881
; %bb.1880:
	s_mov_b32 s0, 0
	v_cndmask_b32_e64 v2, 0, 1, s[20:21]
	v_mov_b32_e32 v3, s0
	global_store_dwordx2 v[0:1], v[2:3], off
	s_mov_b64 s[0:1], 0
.LBB339_1881:
	s_mov_b64 s[4:5], 0
.LBB339_1882:
	s_and_b64 vcc, exec, s[4:5]
	s_cbranch_vccz .LBB339_1897
; %bb.1883:
	s_cmp_lt_i32 s12, 27
	s_mov_b64 s[4:5], -1
	s_cbranch_scc1 .LBB339_1889
; %bb.1884:
	s_cmp_gt_i32 s12, 27
	v_cndmask_b32_e64 v2, 0, 1, s[20:21]
	s_cbranch_scc0 .LBB339_1886
; %bb.1885:
	global_store_dword v[0:1], v2, off
	s_mov_b64 s[4:5], 0
.LBB339_1886:
	s_andn2_b64 vcc, exec, s[4:5]
	s_cbranch_vccnz .LBB339_1888
; %bb.1887:
	global_store_short v[0:1], v2, off
.LBB339_1888:
	s_mov_b64 s[4:5], 0
.LBB339_1889:
	s_andn2_b64 vcc, exec, s[4:5]
	s_cbranch_vccnz .LBB339_1897
; %bb.1890:
	v_cndmask_b32_e64 v3, 0, 1.0, s[20:21]
	s_mov_b32 s4, 0x43800000
	v_cmp_gt_u32_e32 vcc, s4, v3
	v_mov_b32_e32 v4, 0x80
	s_and_saveexec_b64 s[4:5], vcc
	s_cbranch_execz .LBB339_1896
; %bb.1891:
	s_mov_b32 s8, 0x3bffffff
	v_cmp_lt_u32_e32 vcc, s8, v3
	s_mov_b64 s[8:9], 0
                                        ; implicit-def: $vgpr2
	s_and_saveexec_b64 s[10:11], vcc
	s_xor_b64 s[10:11], exec, s[10:11]
	s_cbranch_execz .LBB339_2002
; %bb.1892:
	v_bfe_u32 v2, v3, 20, 1
	s_mov_b32 s13, 0x487ffff
	v_add3_u32 v2, v3, v2, s13
	s_mov_b64 s[8:9], exec
	v_lshrrev_b32_e32 v2, 20, v2
                                        ; implicit-def: $vgpr3
	s_andn2_saveexec_b64 s[10:11], s[10:11]
	s_cbranch_execnz .LBB339_2003
.LBB339_1893:
	s_or_b64 exec, exec, s[10:11]
	v_mov_b32_e32 v4, 0
	s_and_saveexec_b64 s[10:11], s[8:9]
.LBB339_1894:
	v_mov_b32_e32 v4, v2
.LBB339_1895:
	s_or_b64 exec, exec, s[10:11]
.LBB339_1896:
	s_or_b64 exec, exec, s[4:5]
	global_store_byte v[0:1], v4, off
.LBB339_1897:
	s_mov_b64 s[4:5], 0
.LBB339_1898:
	s_and_b64 vcc, exec, s[4:5]
	s_cbranch_vccz .LBB339_1938
; %bb.1899:
	s_cmp_gt_i32 s12, 22
	s_mov_b64 s[2:3], -1
	s_cbranch_scc0 .LBB339_1931
; %bb.1900:
	s_cmp_lt_i32 s12, 24
	s_cbranch_scc1 .LBB339_1920
; %bb.1901:
	s_cmp_gt_i32 s12, 24
	s_cbranch_scc0 .LBB339_1909
; %bb.1902:
	v_cndmask_b32_e64 v3, 0, 1.0, s[20:21]
	s_mov_b32 s2, 0x47800000
	v_cmp_gt_u32_e32 vcc, s2, v3
	v_mov_b32_e32 v4, 0x80
	s_and_saveexec_b64 s[2:3], vcc
	s_cbranch_execz .LBB339_1908
; %bb.1903:
	s_mov_b32 s4, 0x37ffffff
	v_cmp_lt_u32_e32 vcc, s4, v3
	s_mov_b64 s[4:5], 0
                                        ; implicit-def: $vgpr2
	s_and_saveexec_b64 s[8:9], vcc
	s_xor_b64 s[8:9], exec, s[8:9]
	s_cbranch_execz .LBB339_2005
; %bb.1904:
	v_bfe_u32 v2, v3, 21, 1
	s_mov_b32 s10, 0x88fffff
	v_add3_u32 v2, v3, v2, s10
	s_mov_b64 s[4:5], exec
	v_lshrrev_b32_e32 v2, 21, v2
                                        ; implicit-def: $vgpr3
	s_andn2_saveexec_b64 s[8:9], s[8:9]
	s_cbranch_execnz .LBB339_2006
.LBB339_1905:
	s_or_b64 exec, exec, s[8:9]
	v_mov_b32_e32 v4, 0
	s_and_saveexec_b64 s[8:9], s[4:5]
.LBB339_1906:
	v_mov_b32_e32 v4, v2
.LBB339_1907:
	s_or_b64 exec, exec, s[8:9]
.LBB339_1908:
	s_or_b64 exec, exec, s[2:3]
	s_mov_b64 s[2:3], 0
	global_store_byte v[0:1], v4, off
.LBB339_1909:
	s_and_b64 vcc, exec, s[2:3]
	s_cbranch_vccz .LBB339_1919
; %bb.1910:
	v_cndmask_b32_e64 v2, 0, 1.0, s[20:21]
	s_mov_b32 s2, 0x43f00000
	v_cmp_gt_u32_e32 vcc, s2, v2
                                        ; implicit-def: $vgpr3
	s_and_saveexec_b64 s[2:3], vcc
	s_xor_b64 s[2:3], exec, s[2:3]
	s_cbranch_execz .LBB339_1916
; %bb.1911:
	s_mov_b32 s4, 0x3c7fffff
	v_cmp_lt_u32_e32 vcc, s4, v2
                                        ; implicit-def: $vgpr3
	s_and_saveexec_b64 s[4:5], vcc
	s_xor_b64 s[4:5], exec, s[4:5]
; %bb.1912:
	v_bfe_u32 v3, v2, 20, 1
	s_mov_b32 s8, 0x407ffff
	v_add3_u32 v2, v2, v3, s8
	v_lshrrev_b32_e32 v3, 20, v2
	v_and_b32_e32 v2, 0xff00000, v2
	s_mov_b32 s8, 0x7f00000
	v_mov_b32_e32 v4, 0x7e
	v_cmp_ne_u32_e32 vcc, s8, v2
	v_cndmask_b32_e32 v3, v4, v3, vcc
                                        ; implicit-def: $vgpr2
; %bb.1913:
	s_andn2_saveexec_b64 s[4:5], s[4:5]
; %bb.1914:
	v_add_f32_e32 v3, 0x46800000, v2
; %bb.1915:
	s_or_b64 exec, exec, s[4:5]
                                        ; implicit-def: $vgpr2
.LBB339_1916:
	s_andn2_saveexec_b64 s[2:3], s[2:3]
; %bb.1917:
	s_mov_b32 s4, 0x7f800000
	v_mov_b32_e32 v3, 0x7e
	v_mov_b32_e32 v4, 0x7f
	v_cmp_lt_u32_e32 vcc, s4, v2
	v_cndmask_b32_e32 v3, v3, v4, vcc
; %bb.1918:
	s_or_b64 exec, exec, s[2:3]
	global_store_byte v[0:1], v3, off
.LBB339_1919:
	s_mov_b64 s[2:3], 0
.LBB339_1920:
	s_andn2_b64 vcc, exec, s[2:3]
	s_cbranch_vccnz .LBB339_1930
; %bb.1921:
	v_cndmask_b32_e64 v2, 0, 1.0, s[20:21]
	s_mov_b32 s2, 0x47800000
	v_cmp_gt_u32_e32 vcc, s2, v2
                                        ; implicit-def: $vgpr3
	s_and_saveexec_b64 s[2:3], vcc
	s_xor_b64 s[2:3], exec, s[2:3]
	s_cbranch_execz .LBB339_1927
; %bb.1922:
	s_mov_b32 s4, 0x387fffff
	v_cmp_lt_u32_e32 vcc, s4, v2
                                        ; implicit-def: $vgpr3
	s_and_saveexec_b64 s[4:5], vcc
	s_xor_b64 s[4:5], exec, s[4:5]
; %bb.1923:
	v_bfe_u32 v3, v2, 21, 1
	s_mov_b32 s8, 0x80fffff
	v_add3_u32 v2, v2, v3, s8
	v_lshrrev_b32_e32 v3, 21, v2
                                        ; implicit-def: $vgpr2
; %bb.1924:
	s_andn2_saveexec_b64 s[4:5], s[4:5]
; %bb.1925:
	v_add_f32_e32 v3, 0x43000000, v2
; %bb.1926:
	s_or_b64 exec, exec, s[4:5]
                                        ; implicit-def: $vgpr2
.LBB339_1927:
	s_andn2_saveexec_b64 s[2:3], s[2:3]
; %bb.1928:
	s_mov_b32 s4, 0x7f800000
	v_mov_b32_e32 v3, 0x7c
	v_mov_b32_e32 v4, 0x7f
	v_cmp_lt_u32_e32 vcc, s4, v2
	v_cndmask_b32_e32 v3, v3, v4, vcc
; %bb.1929:
	s_or_b64 exec, exec, s[2:3]
	global_store_byte v[0:1], v3, off
.LBB339_1930:
	s_mov_b64 s[2:3], 0
.LBB339_1931:
	s_andn2_b64 vcc, exec, s[2:3]
	s_mov_b64 s[2:3], 0
	s_cbranch_vccnz .LBB339_1938
; %bb.1932:
	s_cmp_gt_i32 s12, 14
	s_mov_b64 s[4:5], -1
	s_cbranch_scc0 .LBB339_1936
; %bb.1933:
	s_cmp_eq_u32 s12, 15
	s_mov_b64 s[0:1], -1
	s_cbranch_scc0 .LBB339_1935
; %bb.1934:
	v_cndmask_b32_e64 v2, 0, 1.0, s[20:21]
	v_bfe_u32 v3, v2, 16, 1
	s_movk_i32 s0, 0x7fff
	v_add3_u32 v2, v2, v3, s0
	global_store_short_d16_hi v[0:1], v2, off
	s_mov_b64 s[0:1], 0
.LBB339_1935:
	s_mov_b64 s[4:5], 0
.LBB339_1936:
	s_and_b64 vcc, exec, s[4:5]
	s_cbranch_vccz .LBB339_1938
; %bb.1937:
	s_cmp_lg_u32 s12, 11
	s_mov_b64 s[2:3], -1
	s_cselect_b64 s[0:1], -1, 0
.LBB339_1938:
	s_and_b64 vcc, exec, s[0:1]
	s_cbranch_vccnz .LBB339_2004
.LBB339_1939:
	s_mov_b64 s[0:1], 0
	s_branch .LBB339_1941
.LBB339_1940:
	s_mov_b64 s[0:1], 0
	s_mov_b64 s[2:3], 0
                                        ; implicit-def: $sgpr20_sgpr21
                                        ; implicit-def: $sgpr26
                                        ; implicit-def: $vgpr0_vgpr1
.LBB339_1941:
	s_and_b64 s[4:5], s[2:3], exec
	s_andn2_b64 s[2:3], s[16:17], exec
	s_and_b64 s[8:9], s[18:19], exec
	s_and_b64 s[0:1], s[0:1], exec
	s_or_b64 s[16:17], s[2:3], s[8:9]
.LBB339_1942:
	s_or_b64 exec, exec, s[6:7]
	s_and_saveexec_b64 s[2:3], s[16:17]
	s_cbranch_execz .LBB339_1945
; %bb.1943:
	; divergent unreachable
	s_or_b64 exec, exec, s[2:3]
	s_and_saveexec_b64 s[2:3], s[4:5]
	s_xor_b64 s[2:3], exec, s[2:3]
	s_cbranch_execnz .LBB339_1946
.LBB339_1944:
	s_or_b64 exec, exec, s[2:3]
	s_and_saveexec_b64 s[2:3], s[0:1]
	s_cbranch_execnz .LBB339_1947
	s_branch .LBB339_1984
.LBB339_1945:
	s_or_b64 exec, exec, s[2:3]
	s_and_saveexec_b64 s[2:3], s[4:5]
	s_xor_b64 s[2:3], exec, s[2:3]
	s_cbranch_execz .LBB339_1944
.LBB339_1946:
	s_waitcnt vmcnt(0)
	v_cndmask_b32_e64 v2, 0, 1, s[20:21]
	global_store_byte v[0:1], v2, off
	s_or_b64 exec, exec, s[2:3]
	s_and_saveexec_b64 s[2:3], s[0:1]
	s_cbranch_execz .LBB339_1984
.LBB339_1947:
	s_sext_i32_i16 s2, s26
	s_cmp_lt_i32 s2, 5
	s_mov_b64 s[0:1], -1
	s_cbranch_scc1 .LBB339_1968
; %bb.1948:
	s_cmp_lt_i32 s2, 8
	s_cbranch_scc1 .LBB339_1958
; %bb.1949:
	s_cmp_lt_i32 s2, 9
	s_cbranch_scc1 .LBB339_1955
; %bb.1950:
	s_cmp_gt_i32 s2, 9
	s_cbranch_scc0 .LBB339_1952
; %bb.1951:
	s_waitcnt vmcnt(0)
	v_cndmask_b32_e64 v2, 0, 1, s[20:21]
	v_cvt_f64_u32_e32 v[2:3], v2
	v_mov_b32_e32 v4, 0
	v_mov_b32_e32 v5, v4
	s_mov_b64 s[0:1], 0
	global_store_dwordx4 v[0:1], v[2:5], off
.LBB339_1952:
	s_andn2_b64 vcc, exec, s[0:1]
	s_cbranch_vccnz .LBB339_1954
; %bb.1953:
	s_waitcnt vmcnt(0)
	v_cndmask_b32_e64 v2, 0, 1.0, s[20:21]
	v_mov_b32_e32 v3, 0
	global_store_dwordx2 v[0:1], v[2:3], off
.LBB339_1954:
	s_mov_b64 s[0:1], 0
.LBB339_1955:
	s_andn2_b64 vcc, exec, s[0:1]
	s_cbranch_vccnz .LBB339_1957
; %bb.1956:
	s_waitcnt vmcnt(0)
	v_cndmask_b32_e64 v2, 0, 1.0, s[20:21]
	v_cvt_f16_f32_e32 v2, v2
	global_store_dword v[0:1], v2, off
.LBB339_1957:
	s_mov_b64 s[0:1], 0
.LBB339_1958:
	s_andn2_b64 vcc, exec, s[0:1]
	s_cbranch_vccnz .LBB339_1967
; %bb.1959:
	s_sext_i32_i16 s2, s26
	s_cmp_lt_i32 s2, 6
	s_mov_b64 s[0:1], -1
	s_cbranch_scc1 .LBB339_1965
; %bb.1960:
	s_cmp_gt_i32 s2, 6
	s_cbranch_scc0 .LBB339_1962
; %bb.1961:
	s_waitcnt vmcnt(0)
	v_cndmask_b32_e64 v2, 0, 1, s[20:21]
	v_cvt_f64_u32_e32 v[2:3], v2
	s_mov_b64 s[0:1], 0
	global_store_dwordx2 v[0:1], v[2:3], off
.LBB339_1962:
	s_andn2_b64 vcc, exec, s[0:1]
	s_cbranch_vccnz .LBB339_1964
; %bb.1963:
	s_waitcnt vmcnt(0)
	v_cndmask_b32_e64 v2, 0, 1.0, s[20:21]
	global_store_dword v[0:1], v2, off
.LBB339_1964:
	s_mov_b64 s[0:1], 0
.LBB339_1965:
	s_andn2_b64 vcc, exec, s[0:1]
	s_cbranch_vccnz .LBB339_1967
; %bb.1966:
	s_waitcnt vmcnt(0)
	v_cndmask_b32_e64 v2, 0, 1.0, s[20:21]
	v_cvt_f16_f32_e32 v2, v2
	global_store_short v[0:1], v2, off
.LBB339_1967:
	s_mov_b64 s[0:1], 0
.LBB339_1968:
	s_andn2_b64 vcc, exec, s[0:1]
	s_cbranch_vccnz .LBB339_1984
; %bb.1969:
	s_sext_i32_i16 s2, s26
	s_cmp_lt_i32 s2, 2
	s_mov_b64 s[0:1], -1
	s_cbranch_scc1 .LBB339_1979
; %bb.1970:
	s_cmp_lt_i32 s2, 3
	s_cbranch_scc1 .LBB339_1976
; %bb.1971:
	s_cmp_gt_i32 s2, 3
	s_cbranch_scc0 .LBB339_1973
; %bb.1972:
	s_mov_b32 s0, 0
	s_waitcnt vmcnt(0)
	v_cndmask_b32_e64 v2, 0, 1, s[20:21]
	v_mov_b32_e32 v3, s0
	global_store_dwordx2 v[0:1], v[2:3], off
	s_mov_b64 s[0:1], 0
.LBB339_1973:
	s_andn2_b64 vcc, exec, s[0:1]
	s_cbranch_vccnz .LBB339_1975
; %bb.1974:
	s_waitcnt vmcnt(0)
	v_cndmask_b32_e64 v2, 0, 1, s[20:21]
	global_store_dword v[0:1], v2, off
.LBB339_1975:
	s_mov_b64 s[0:1], 0
.LBB339_1976:
	s_andn2_b64 vcc, exec, s[0:1]
	s_cbranch_vccnz .LBB339_1978
; %bb.1977:
	s_waitcnt vmcnt(0)
	v_cndmask_b32_e64 v2, 0, 1, s[20:21]
	global_store_short v[0:1], v2, off
.LBB339_1978:
	s_mov_b64 s[0:1], 0
.LBB339_1979:
	s_andn2_b64 vcc, exec, s[0:1]
	s_cbranch_vccnz .LBB339_1984
; %bb.1980:
	s_sext_i32_i16 s2, s26
	s_mov_b64 s[0:1], -1
	s_cmp_gt_i32 s2, 0
	s_waitcnt vmcnt(0)
	v_cndmask_b32_e64 v2, 0, 1, s[20:21]
	s_cbranch_scc0 .LBB339_1982
; %bb.1981:
	global_store_byte v[0:1], v2, off
	s_mov_b64 s[0:1], 0
.LBB339_1982:
	s_andn2_b64 vcc, exec, s[0:1]
	s_cbranch_vccnz .LBB339_1984
; %bb.1983:
	global_store_byte v[0:1], v2, off
	s_endpgm
.LBB339_1984:
	s_endpgm
.LBB339_1985:
	s_mov_b64 s[2:3], 0
	s_mov_b64 s[0:1], -1
	s_branch .LBB339_1941
.LBB339_1986:
	s_trap 2
	s_or_b64 s[18:19], s[18:19], exec
	s_cbranch_execz .LBB339_1455
	s_branch .LBB339_1456
.LBB339_1987:
	s_andn2_saveexec_b64 s[24:25], s[24:25]
	s_cbranch_execz .LBB339_1535
.LBB339_1988:
	v_add_f32_e32 v3, 0x46000000, v7
	v_and_b32_e32 v3, 0xff, v3
	v_cmp_ne_u32_e32 vcc, 0, v3
	s_andn2_b64 s[22:23], s[22:23], exec
	s_and_b64 s[28:29], vcc, exec
	s_or_b64 s[22:23], s[22:23], s[28:29]
	s_or_b64 exec, exec, s[24:25]
	v_mov_b32_e32 v8, 0
	s_and_saveexec_b64 s[24:25], s[22:23]
	s_cbranch_execnz .LBB339_1536
	s_branch .LBB339_1537
.LBB339_1989:
	s_trap 2
	s_or_b64 s[18:19], s[18:19], exec
	s_cbranch_execz .LBB339_1583
	s_branch .LBB339_1584
.LBB339_1990:
	s_andn2_saveexec_b64 s[22:23], s[22:23]
	s_cbranch_execz .LBB339_1548
.LBB339_1991:
	v_add_f32_e32 v3, 0x42800000, v7
	v_and_b32_e32 v3, 0xff, v3
	v_cmp_ne_u32_e32 vcc, 0, v3
	s_andn2_b64 s[20:21], s[20:21], exec
	s_and_b64 s[24:25], vcc, exec
	s_or_b64 s[20:21], s[20:21], s[24:25]
	s_or_b64 exec, exec, s[22:23]
	v_mov_b32_e32 v8, 0
	s_and_saveexec_b64 s[22:23], s[20:21]
	s_cbranch_execnz .LBB339_1549
	s_branch .LBB339_1550
.LBB339_1992:
	s_andn2_saveexec_b64 s[22:23], s[22:23]
	s_cbranch_execz .LBB339_1654
.LBB339_1993:
	v_add_f32_e32 v5, 0x46000000, v6
	v_and_b32_e32 v5, 0xff, v5
	v_cmp_ne_u32_e32 vcc, 0, v5
	s_andn2_b64 s[20:21], s[20:21], exec
	s_and_b64 s[28:29], vcc, exec
	s_or_b64 s[20:21], s[20:21], s[28:29]
	s_or_b64 exec, exec, s[22:23]
	v_mov_b32_e32 v7, 0
	s_and_saveexec_b64 s[22:23], s[20:21]
	s_cbranch_execnz .LBB339_1655
	s_branch .LBB339_1656
.LBB339_1994:
	s_trap 2
	s_or_b64 s[18:19], s[18:19], exec
	s_cbranch_execz .LBB339_1702
	s_branch .LBB339_1703
.LBB339_1995:
	s_andn2_saveexec_b64 s[20:21], s[20:21]
	s_cbranch_execz .LBB339_1667
.LBB339_1996:
	v_add_f32_e32 v5, 0x42800000, v6
	v_and_b32_e32 v5, 0xff, v5
	v_cmp_ne_u32_e32 vcc, 0, v5
	s_andn2_b64 s[14:15], s[14:15], exec
	s_and_b64 s[22:23], vcc, exec
	s_or_b64 s[14:15], s[14:15], s[22:23]
	s_or_b64 exec, exec, s[20:21]
	v_mov_b32_e32 v7, 0
	s_and_saveexec_b64 s[20:21], s[14:15]
	s_cbranch_execnz .LBB339_1668
	s_branch .LBB339_1669
.LBB339_1997:
	s_andn2_saveexec_b64 s[22:23], s[22:23]
	s_cbranch_execz .LBB339_1773
.LBB339_1998:
	v_add_f32_e32 v4, 0x46000000, v5
	v_and_b32_e32 v4, 0xff, v4
	v_cmp_ne_u32_e32 vcc, 0, v4
	s_andn2_b64 s[20:21], s[20:21], exec
	s_and_b64 s[28:29], vcc, exec
	s_or_b64 s[20:21], s[20:21], s[28:29]
	s_or_b64 exec, exec, s[22:23]
	v_mov_b32_e32 v6, 0
	s_and_saveexec_b64 s[22:23], s[20:21]
	s_cbranch_execnz .LBB339_1774
	s_branch .LBB339_1775
.LBB339_1999:
	s_trap 2
	s_or_b64 s[18:19], s[18:19], exec
	s_cbranch_execz .LBB339_1821
	s_branch .LBB339_1822
.LBB339_2000:
	s_andn2_saveexec_b64 s[20:21], s[20:21]
	s_cbranch_execz .LBB339_1786
.LBB339_2001:
	v_add_f32_e32 v4, 0x42800000, v5
	v_and_b32_e32 v4, 0xff, v4
	v_cmp_ne_u32_e32 vcc, 0, v4
	s_andn2_b64 s[14:15], s[14:15], exec
	s_and_b64 s[22:23], vcc, exec
	s_or_b64 s[14:15], s[14:15], s[22:23]
	s_or_b64 exec, exec, s[20:21]
	v_mov_b32_e32 v6, 0
	s_and_saveexec_b64 s[20:21], s[14:15]
	s_cbranch_execnz .LBB339_1787
	s_branch .LBB339_1788
.LBB339_2002:
	s_andn2_saveexec_b64 s[10:11], s[10:11]
	s_cbranch_execz .LBB339_1893
.LBB339_2003:
	v_add_f32_e32 v2, 0x46000000, v3
	v_and_b32_e32 v2, 0xff, v2
	v_cmp_ne_u32_e32 vcc, 0, v2
	s_andn2_b64 s[8:9], s[8:9], exec
	s_and_b64 s[14:15], vcc, exec
	s_or_b64 s[8:9], s[8:9], s[14:15]
	s_or_b64 exec, exec, s[10:11]
	v_mov_b32_e32 v4, 0
	s_and_saveexec_b64 s[10:11], s[8:9]
	s_cbranch_execnz .LBB339_1894
	s_branch .LBB339_1895
.LBB339_2004:
	s_mov_b64 s[2:3], 0
	s_or_b64 s[18:19], s[18:19], exec
	s_trap 2
	s_branch .LBB339_1939
.LBB339_2005:
	s_andn2_saveexec_b64 s[8:9], s[8:9]
	s_cbranch_execz .LBB339_1905
.LBB339_2006:
	v_add_f32_e32 v2, 0x42800000, v3
	v_and_b32_e32 v2, 0xff, v2
	v_cmp_ne_u32_e32 vcc, 0, v2
	s_andn2_b64 s[4:5], s[4:5], exec
	s_and_b64 s[10:11], vcc, exec
	s_or_b64 s[4:5], s[4:5], s[10:11]
	s_or_b64 exec, exec, s[8:9]
	v_mov_b32_e32 v4, 0
	s_and_saveexec_b64 s[8:9], s[4:5]
	s_cbranch_execnz .LBB339_1906
	s_branch .LBB339_1907
	.section	.rodata,"a",@progbits
	.p2align	6, 0x0
	.amdhsa_kernel _ZN2at6native32elementwise_kernel_manual_unrollILi128ELi4EZNS0_15gpu_kernel_implINS0_13AUnaryFunctorIttbNS0_12_GLOBAL__N_116CompareEqFunctorItEEEEEEvRNS_18TensorIteratorBaseERKT_EUlibE_EEviT1_
		.amdhsa_group_segment_fixed_size 0
		.amdhsa_private_segment_fixed_size 0
		.amdhsa_kernarg_size 48
		.amdhsa_user_sgpr_count 6
		.amdhsa_user_sgpr_private_segment_buffer 1
		.amdhsa_user_sgpr_dispatch_ptr 0
		.amdhsa_user_sgpr_queue_ptr 0
		.amdhsa_user_sgpr_kernarg_segment_ptr 1
		.amdhsa_user_sgpr_dispatch_id 0
		.amdhsa_user_sgpr_flat_scratch_init 0
		.amdhsa_user_sgpr_private_segment_size 0
		.amdhsa_uses_dynamic_stack 0
		.amdhsa_system_sgpr_private_segment_wavefront_offset 0
		.amdhsa_system_sgpr_workgroup_id_x 1
		.amdhsa_system_sgpr_workgroup_id_y 0
		.amdhsa_system_sgpr_workgroup_id_z 0
		.amdhsa_system_sgpr_workgroup_info 0
		.amdhsa_system_vgpr_workitem_id 0
		.amdhsa_next_free_vgpr 12
		.amdhsa_next_free_sgpr 48
		.amdhsa_reserve_vcc 1
		.amdhsa_reserve_flat_scratch 0
		.amdhsa_float_round_mode_32 0
		.amdhsa_float_round_mode_16_64 0
		.amdhsa_float_denorm_mode_32 3
		.amdhsa_float_denorm_mode_16_64 3
		.amdhsa_dx10_clamp 1
		.amdhsa_ieee_mode 1
		.amdhsa_fp16_overflow 0
		.amdhsa_exception_fp_ieee_invalid_op 0
		.amdhsa_exception_fp_denorm_src 0
		.amdhsa_exception_fp_ieee_div_zero 0
		.amdhsa_exception_fp_ieee_overflow 0
		.amdhsa_exception_fp_ieee_underflow 0
		.amdhsa_exception_fp_ieee_inexact 0
		.amdhsa_exception_int_div_zero 0
	.end_amdhsa_kernel
	.section	.text._ZN2at6native32elementwise_kernel_manual_unrollILi128ELi4EZNS0_15gpu_kernel_implINS0_13AUnaryFunctorIttbNS0_12_GLOBAL__N_116CompareEqFunctorItEEEEEEvRNS_18TensorIteratorBaseERKT_EUlibE_EEviT1_,"axG",@progbits,_ZN2at6native32elementwise_kernel_manual_unrollILi128ELi4EZNS0_15gpu_kernel_implINS0_13AUnaryFunctorIttbNS0_12_GLOBAL__N_116CompareEqFunctorItEEEEEEvRNS_18TensorIteratorBaseERKT_EUlibE_EEviT1_,comdat
.Lfunc_end339:
	.size	_ZN2at6native32elementwise_kernel_manual_unrollILi128ELi4EZNS0_15gpu_kernel_implINS0_13AUnaryFunctorIttbNS0_12_GLOBAL__N_116CompareEqFunctorItEEEEEEvRNS_18TensorIteratorBaseERKT_EUlibE_EEviT1_, .Lfunc_end339-_ZN2at6native32elementwise_kernel_manual_unrollILi128ELi4EZNS0_15gpu_kernel_implINS0_13AUnaryFunctorIttbNS0_12_GLOBAL__N_116CompareEqFunctorItEEEEEEvRNS_18TensorIteratorBaseERKT_EUlibE_EEviT1_
                                        ; -- End function
	.set _ZN2at6native32elementwise_kernel_manual_unrollILi128ELi4EZNS0_15gpu_kernel_implINS0_13AUnaryFunctorIttbNS0_12_GLOBAL__N_116CompareEqFunctorItEEEEEEvRNS_18TensorIteratorBaseERKT_EUlibE_EEviT1_.num_vgpr, 12
	.set _ZN2at6native32elementwise_kernel_manual_unrollILi128ELi4EZNS0_15gpu_kernel_implINS0_13AUnaryFunctorIttbNS0_12_GLOBAL__N_116CompareEqFunctorItEEEEEEvRNS_18TensorIteratorBaseERKT_EUlibE_EEviT1_.num_agpr, 0
	.set _ZN2at6native32elementwise_kernel_manual_unrollILi128ELi4EZNS0_15gpu_kernel_implINS0_13AUnaryFunctorIttbNS0_12_GLOBAL__N_116CompareEqFunctorItEEEEEEvRNS_18TensorIteratorBaseERKT_EUlibE_EEviT1_.numbered_sgpr, 48
	.set _ZN2at6native32elementwise_kernel_manual_unrollILi128ELi4EZNS0_15gpu_kernel_implINS0_13AUnaryFunctorIttbNS0_12_GLOBAL__N_116CompareEqFunctorItEEEEEEvRNS_18TensorIteratorBaseERKT_EUlibE_EEviT1_.num_named_barrier, 0
	.set _ZN2at6native32elementwise_kernel_manual_unrollILi128ELi4EZNS0_15gpu_kernel_implINS0_13AUnaryFunctorIttbNS0_12_GLOBAL__N_116CompareEqFunctorItEEEEEEvRNS_18TensorIteratorBaseERKT_EUlibE_EEviT1_.private_seg_size, 0
	.set _ZN2at6native32elementwise_kernel_manual_unrollILi128ELi4EZNS0_15gpu_kernel_implINS0_13AUnaryFunctorIttbNS0_12_GLOBAL__N_116CompareEqFunctorItEEEEEEvRNS_18TensorIteratorBaseERKT_EUlibE_EEviT1_.uses_vcc, 1
	.set _ZN2at6native32elementwise_kernel_manual_unrollILi128ELi4EZNS0_15gpu_kernel_implINS0_13AUnaryFunctorIttbNS0_12_GLOBAL__N_116CompareEqFunctorItEEEEEEvRNS_18TensorIteratorBaseERKT_EUlibE_EEviT1_.uses_flat_scratch, 0
	.set _ZN2at6native32elementwise_kernel_manual_unrollILi128ELi4EZNS0_15gpu_kernel_implINS0_13AUnaryFunctorIttbNS0_12_GLOBAL__N_116CompareEqFunctorItEEEEEEvRNS_18TensorIteratorBaseERKT_EUlibE_EEviT1_.has_dyn_sized_stack, 0
	.set _ZN2at6native32elementwise_kernel_manual_unrollILi128ELi4EZNS0_15gpu_kernel_implINS0_13AUnaryFunctorIttbNS0_12_GLOBAL__N_116CompareEqFunctorItEEEEEEvRNS_18TensorIteratorBaseERKT_EUlibE_EEviT1_.has_recursion, 0
	.set _ZN2at6native32elementwise_kernel_manual_unrollILi128ELi4EZNS0_15gpu_kernel_implINS0_13AUnaryFunctorIttbNS0_12_GLOBAL__N_116CompareEqFunctorItEEEEEEvRNS_18TensorIteratorBaseERKT_EUlibE_EEviT1_.has_indirect_call, 0
	.section	.AMDGPU.csdata,"",@progbits
; Kernel info:
; codeLenInByte = 29184
; TotalNumSgprs: 52
; NumVgprs: 12
; ScratchSize: 0
; MemoryBound: 1
; FloatMode: 240
; IeeeMode: 1
; LDSByteSize: 0 bytes/workgroup (compile time only)
; SGPRBlocks: 6
; VGPRBlocks: 2
; NumSGPRsForWavesPerEU: 52
; NumVGPRsForWavesPerEU: 12
; Occupancy: 10
; WaveLimiterHint : 0
; COMPUTE_PGM_RSRC2:SCRATCH_EN: 0
; COMPUTE_PGM_RSRC2:USER_SGPR: 6
; COMPUTE_PGM_RSRC2:TRAP_HANDLER: 0
; COMPUTE_PGM_RSRC2:TGID_X_EN: 1
; COMPUTE_PGM_RSRC2:TGID_Y_EN: 0
; COMPUTE_PGM_RSRC2:TGID_Z_EN: 0
; COMPUTE_PGM_RSRC2:TIDIG_COMP_CNT: 0
	.section	.text._ZN2at6native32elementwise_kernel_manual_unrollILi128ELi4EZNS0_15gpu_kernel_implINS0_13AUnaryFunctorIttbNS0_12_GLOBAL__N_116CompareEqFunctorItEEEEEEvRNS_18TensorIteratorBaseERKT_EUlibE0_EEviT1_,"axG",@progbits,_ZN2at6native32elementwise_kernel_manual_unrollILi128ELi4EZNS0_15gpu_kernel_implINS0_13AUnaryFunctorIttbNS0_12_GLOBAL__N_116CompareEqFunctorItEEEEEEvRNS_18TensorIteratorBaseERKT_EUlibE0_EEviT1_,comdat
	.globl	_ZN2at6native32elementwise_kernel_manual_unrollILi128ELi4EZNS0_15gpu_kernel_implINS0_13AUnaryFunctorIttbNS0_12_GLOBAL__N_116CompareEqFunctorItEEEEEEvRNS_18TensorIteratorBaseERKT_EUlibE0_EEviT1_ ; -- Begin function _ZN2at6native32elementwise_kernel_manual_unrollILi128ELi4EZNS0_15gpu_kernel_implINS0_13AUnaryFunctorIttbNS0_12_GLOBAL__N_116CompareEqFunctorItEEEEEEvRNS_18TensorIteratorBaseERKT_EUlibE0_EEviT1_
	.p2align	8
	.type	_ZN2at6native32elementwise_kernel_manual_unrollILi128ELi4EZNS0_15gpu_kernel_implINS0_13AUnaryFunctorIttbNS0_12_GLOBAL__N_116CompareEqFunctorItEEEEEEvRNS_18TensorIteratorBaseERKT_EUlibE0_EEviT1_,@function
_ZN2at6native32elementwise_kernel_manual_unrollILi128ELi4EZNS0_15gpu_kernel_implINS0_13AUnaryFunctorIttbNS0_12_GLOBAL__N_116CompareEqFunctorItEEEEEEvRNS_18TensorIteratorBaseERKT_EUlibE0_EEviT1_: ; @_ZN2at6native32elementwise_kernel_manual_unrollILi128ELi4EZNS0_15gpu_kernel_implINS0_13AUnaryFunctorIttbNS0_12_GLOBAL__N_116CompareEqFunctorItEEEEEEvRNS_18TensorIteratorBaseERKT_EUlibE0_EEviT1_
; %bb.0:
	s_load_dword s74, s[4:5], 0x0
	s_load_dword s33, s[4:5], 0x8
	s_add_u32 s34, s4, 8
	s_addc_u32 s35, s5, 0
	v_lshl_or_b32 v8, s6, 9, v0
	v_or_b32_e32 v15, 0x180, v8
	s_waitcnt lgkmcnt(0)
	s_add_i32 s76, s33, -1
	s_cmp_gt_u32 s76, 1
	v_cmp_le_i32_e32 vcc, s74, v15
	s_cselect_b64 s[40:41], -1, 0
	s_mov_b64 s[6:7], 0
	s_mov_b64 s[28:29], 0
	s_and_saveexec_b64 s[0:1], vcc
	s_xor_b64 s[42:43], exec, s[0:1]
	s_cbranch_execz .LBB340_1070
; %bb.1:
	s_load_dwordx4 s[28:31], s[34:35], 0x4
	s_load_dwordx2 s[48:49], s[34:35], 0x14
	s_load_dwordx2 s[44:45], s[34:35], 0x158
	s_load_dword s77, s[34:35], 0x160
	s_cmp_lg_u32 s33, 0
	s_cselect_b64 s[54:55], -1, 0
	s_add_u32 s52, s34, 0xc4
	s_addc_u32 s53, s35, 0
	s_min_u32 s79, s76, 15
	s_load_dwordx4 s[36:39], s[34:35], 0xc4
	s_load_dwordx4 s[24:27], s[34:35], 0x148
	s_cmp_gt_u32 s33, 1
	s_cselect_b64 s[50:51], -1, 0
	s_waitcnt lgkmcnt(0)
	s_bfe_u32 s78, s77, 0x80008
	s_cmp_eq_u32 s44, 0
	s_cselect_b64 s[46:47], -1, 0
	v_cmp_gt_i32_e32 vcc, s74, v8
	s_mov_b64 s[2:3], -1
	s_mov_b64 s[64:65], 0
	s_mov_b64 s[58:59], 0
	;; [unrolled: 1-line block ×3, first 2 shown]
	s_and_saveexec_b64 s[60:61], vcc
	s_cbranch_execz .LBB340_262
; %bb.2:
	s_andn2_b64 vcc, exec, s[40:41]
	s_cbranch_vccnz .LBB340_7
; %bb.3:
	s_andn2_b64 vcc, exec, s[54:55]
	s_cbranch_vccnz .LBB340_8
; %bb.4:
	s_add_i32 s62, s79, 1
	s_cmp_eq_u32 s76, 2
	s_cbranch_scc1 .LBB340_9
; %bb.5:
	s_and_b32 s44, s62, 28
	v_mov_b32_e32 v2, 0
	s_mov_b32 s63, 0
	s_mov_b64 s[56:57], s[34:35]
	s_mov_b64 s[58:59], s[52:53]
	v_mov_b32_e32 v0, 0
	v_mov_b32_e32 v1, v8
.LBB340_6:                              ; =>This Inner Loop Header: Depth=1
	s_load_dwordx8 s[16:23], s[56:57], 0x4
	s_load_dwordx4 s[0:3], s[56:57], 0x24
	s_load_dwordx8 s[8:15], s[58:59], 0x0
	s_add_u32 s56, s56, 48
	s_addc_u32 s57, s57, 0
	s_waitcnt lgkmcnt(0)
	v_mul_hi_u32 v3, s17, v1
	s_add_i32 s63, s63, 4
	s_add_u32 s58, s58, 32
	s_addc_u32 s59, s59, 0
	v_add_u32_e32 v3, v1, v3
	v_lshrrev_b32_e32 v3, s18, v3
	v_mul_lo_u32 v4, v3, s16
	v_mul_hi_u32 v5, s20, v3
	s_cmp_lg_u32 s44, s63
	v_sub_u32_e32 v1, v1, v4
	v_add_u32_e32 v4, v3, v5
	v_mul_lo_u32 v5, v1, s8
	v_mul_lo_u32 v6, v1, s9
	v_lshrrev_b32_e32 v1, s21, v4
	v_mul_lo_u32 v4, v1, s19
	v_mul_hi_u32 v7, s23, v1
	v_sub_u32_e32 v3, v3, v4
	v_add_u32_e32 v4, v1, v7
	v_lshrrev_b32_e32 v4, s0, v4
	v_mul_hi_u32 v9, s2, v4
	v_mul_lo_u32 v10, v4, s22
	v_mul_lo_u32 v7, v3, s10
	;; [unrolled: 1-line block ×3, first 2 shown]
	v_sub_u32_e32 v10, v1, v10
	v_add_u32_e32 v1, v4, v9
	v_lshrrev_b32_e32 v1, s3, v1
	v_mul_lo_u32 v9, v1, s1
	v_mul_lo_u32 v11, v10, s12
	;; [unrolled: 1-line block ×3, first 2 shown]
	v_add3_u32 v0, v5, v0, v7
	v_sub_u32_e32 v4, v4, v9
	v_mul_lo_u32 v9, v4, s14
	v_mul_lo_u32 v4, v4, s15
	v_add3_u32 v2, v6, v2, v3
	v_add3_u32 v0, v11, v0, v9
	;; [unrolled: 1-line block ×3, first 2 shown]
	s_cbranch_scc1 .LBB340_6
	s_branch .LBB340_10
.LBB340_7:
                                        ; implicit-def: $vgpr0
                                        ; implicit-def: $vgpr2
	s_branch .LBB340_14
.LBB340_8:
	v_mov_b32_e32 v0, 0
	v_mov_b32_e32 v2, 0
	s_branch .LBB340_13
.LBB340_9:
	s_mov_b32 s44, 0
	v_mov_b32_e32 v0, 0
	v_mov_b32_e32 v2, 0
	;; [unrolled: 1-line block ×3, first 2 shown]
.LBB340_10:
	s_and_b32 s8, s62, 3
	s_cmp_eq_u32 s8, 0
	s_cbranch_scc1 .LBB340_13
; %bb.11:
	s_lshl_b32 s0, s44, 3
	s_add_u32 s0, s34, s0
	s_addc_u32 s1, s35, 0
	s_add_u32 s0, s0, 0xc4
	s_addc_u32 s1, s1, 0
	s_mul_i32 s2, s44, 12
	s_add_u32 s2, s34, s2
	s_addc_u32 s3, s35, 0
.LBB340_12:                             ; =>This Inner Loop Header: Depth=1
	s_load_dwordx2 s[10:11], s[2:3], 0x4
	s_load_dword s9, s[2:3], 0xc
	s_load_dwordx2 s[12:13], s[0:1], 0x0
	s_add_u32 s2, s2, 12
	s_addc_u32 s3, s3, 0
	s_waitcnt lgkmcnt(0)
	v_mul_hi_u32 v3, s11, v1
	s_add_u32 s0, s0, 8
	s_addc_u32 s1, s1, 0
	s_add_i32 s8, s8, -1
	v_add_u32_e32 v3, v1, v3
	v_lshrrev_b32_e32 v4, s9, v3
	v_mul_lo_u32 v3, v4, s10
	s_cmp_lg_u32 s8, 0
	v_sub_u32_e32 v3, v1, v3
	v_mad_u64_u32 v[0:1], s[10:11], v3, s12, v[0:1]
	v_mad_u64_u32 v[2:3], s[10:11], v3, s13, v[2:3]
	v_mov_b32_e32 v1, v4
	s_cbranch_scc1 .LBB340_12
.LBB340_13:
	s_cbranch_execnz .LBB340_16
.LBB340_14:
	v_mul_hi_u32 v0, s29, v8
	s_andn2_b64 vcc, exec, s[50:51]
	v_add_u32_e32 v0, v8, v0
	v_lshrrev_b32_e32 v1, s30, v0
	v_mul_lo_u32 v0, v1, s28
	v_sub_u32_e32 v2, v8, v0
	v_mul_lo_u32 v0, v2, s36
	v_mul_lo_u32 v2, v2, s37
	s_cbranch_vccnz .LBB340_16
; %bb.15:
	v_mul_hi_u32 v3, s48, v1
	v_add_u32_e32 v3, v1, v3
	v_lshrrev_b32_e32 v3, s49, v3
	v_mul_lo_u32 v3, v3, s31
	v_sub_u32_e32 v3, v1, v3
	v_mad_u64_u32 v[0:1], s[0:1], v3, s38, v[0:1]
	v_mad_u64_u32 v[2:3], s[0:1], v3, s39, v[2:3]
.LBB340_16:
	v_mov_b32_e32 v3, s27
	s_and_b32 s10, 0xffff, s78
	v_add_co_u32_e32 v1, vcc, s26, v2
	s_cmp_lt_i32 s10, 11
	v_addc_co_u32_e32 v2, vcc, 0, v3, vcc
	s_cbranch_scc1 .LBB340_23
; %bb.17:
	s_cmp_gt_i32 s10, 25
	s_cbranch_scc0 .LBB340_32
; %bb.18:
	s_cmp_gt_i32 s10, 28
	s_cbranch_scc0 .LBB340_35
	;; [unrolled: 3-line block ×4, first 2 shown]
; %bb.21:
	s_cmp_eq_u32 s10, 46
	s_mov_b64 s[8:9], 0
	s_cbranch_scc0 .LBB340_41
; %bb.22:
	global_load_dword v3, v[1:2], off
	s_mov_b64 s[0:1], -1
	s_mov_b64 s[2:3], 0
	s_waitcnt vmcnt(0)
	v_lshlrev_b32_e32 v3, 16, v3
	v_cvt_u32_f32_e32 v3, v3
	s_branch .LBB340_43
.LBB340_23:
	s_mov_b64 s[2:3], 0
                                        ; implicit-def: $vgpr3
	s_mov_b64 s[0:1], 0
	s_cbranch_execnz .LBB340_212
.LBB340_24:
	s_andn2_b64 vcc, exec, s[0:1]
	s_cbranch_vccnz .LBB340_259
.LBB340_25:
	s_waitcnt vmcnt(0)
	v_cmp_ne_u16_e32 vcc, s45, v3
	s_xor_b64 s[8:9], s[46:47], vcc
	v_mov_b32_e32 v1, s25
	s_and_b32 s16, s77, 0xff
	v_add_co_u32_e32 v0, vcc, s24, v0
	s_cmp_lt_i32 s16, 11
	v_addc_co_u32_e32 v1, vcc, 0, v1, vcc
	s_cbranch_scc1 .LBB340_33
; %bb.26:
	s_and_b32 s17, 0xffff, s16
	s_cmp_gt_i32 s17, 25
	s_cbranch_scc0 .LBB340_36
; %bb.27:
	s_cmp_gt_i32 s17, 28
	s_cbranch_scc0 .LBB340_38
; %bb.28:
	;; [unrolled: 3-line block ×4, first 2 shown]
	s_mov_b64 s[12:13], 0
	s_mov_b64 s[0:1], -1
	s_cmp_eq_u32 s17, 46
	s_mov_b64 s[10:11], 0
	s_cbranch_scc0 .LBB340_47
; %bb.31:
	v_cndmask_b32_e64 v2, 0, 1.0, s[8:9]
	v_bfe_u32 v3, v2, 16, 1
	s_movk_i32 s0, 0x7fff
	v_add3_u32 v2, v2, v3, s0
	v_lshrrev_b32_e32 v2, 16, v2
	global_store_dword v[0:1], v2, off
	s_mov_b64 s[10:11], -1
	s_mov_b64 s[0:1], 0
	s_branch .LBB340_47
.LBB340_32:
	s_mov_b64 s[2:3], 0
	s_mov_b64 s[0:1], 0
                                        ; implicit-def: $vgpr3
	s_cbranch_execnz .LBB340_179
	s_branch .LBB340_211
.LBB340_33:
	s_mov_b64 s[0:1], 0
	s_mov_b64 s[10:11], 0
	s_cbranch_execnz .LBB340_116
.LBB340_34:
	s_andn2_b64 vcc, exec, s[10:11]
	s_cbranch_vccnz .LBB340_260
	s_branch .LBB340_154
.LBB340_35:
	s_mov_b64 s[8:9], -1
	s_mov_b64 s[2:3], 0
	s_mov_b64 s[0:1], 0
                                        ; implicit-def: $vgpr3
	s_branch .LBB340_162
.LBB340_36:
	s_mov_b64 s[12:13], -1
	s_mov_b64 s[0:1], 0
	s_mov_b64 s[10:11], 0
	s_branch .LBB340_74
.LBB340_37:
	s_mov_b64 s[8:9], -1
	s_mov_b64 s[2:3], 0
	s_mov_b64 s[0:1], 0
                                        ; implicit-def: $vgpr3
	s_branch .LBB340_157
.LBB340_38:
	s_mov_b64 s[12:13], -1
	s_mov_b64 s[0:1], 0
	s_mov_b64 s[10:11], 0
	s_branch .LBB340_57
.LBB340_39:
	s_mov_b64 s[8:9], -1
	s_mov_b64 s[2:3], 0
	s_branch .LBB340_42
.LBB340_40:
	s_mov_b64 s[12:13], -1
	s_mov_b64 s[0:1], 0
	s_mov_b64 s[10:11], 0
	s_branch .LBB340_53
.LBB340_41:
	s_mov_b64 s[2:3], -1
.LBB340_42:
	s_mov_b64 s[0:1], 0
                                        ; implicit-def: $vgpr3
.LBB340_43:
	s_and_b64 vcc, exec, s[8:9]
	s_cbranch_vccz .LBB340_156
; %bb.44:
	s_cmp_eq_u32 s10, 44
	s_cbranch_scc0 .LBB340_155
; %bb.45:
	global_load_ubyte v3, v[1:2], off
	s_mov_b64 s[0:1], -1
	s_mov_b64 s[2:3], 0
	s_waitcnt vmcnt(0)
	v_lshlrev_b32_e32 v4, 23, v3
	v_cvt_u32_f32_e32 v4, v4
	v_cmp_ne_u32_e32 vcc, 0, v3
	v_cndmask_b32_e32 v3, 0, v4, vcc
	s_branch .LBB340_156
.LBB340_46:
	s_mov_b64 s[12:13], -1
	s_mov_b64 s[0:1], 0
	s_mov_b64 s[10:11], 0
.LBB340_47:
	s_and_b64 vcc, exec, s[12:13]
	s_cbranch_vccz .LBB340_52
; %bb.48:
	s_cmp_eq_u32 s17, 44
	s_mov_b64 s[0:1], -1
	s_cbranch_scc0 .LBB340_52
; %bb.49:
	v_cndmask_b32_e64 v3, 0, 1.0, s[8:9]
	v_lshrrev_b32_e32 v2, 23, v3
	s_movk_i32 s0, 0xff
	v_cmp_ne_u32_e32 vcc, s0, v2
	v_mov_b32_e32 v4, 0xff
	s_and_saveexec_b64 s[10:11], vcc
; %bb.50:
	s_mov_b32 s0, 0x3fffff
	v_and_b32_e32 v4, 0x400000, v3
	v_and_or_b32 v3, v3, s0, v2
	v_cmp_ne_u32_e32 vcc, 0, v4
	v_cmp_ne_u32_e64 s[0:1], 0, v3
	s_and_b64 s[0:1], vcc, s[0:1]
	v_cndmask_b32_e64 v3, 0, 1, s[0:1]
	v_add_u32_e32 v4, v2, v3
; %bb.51:
	s_or_b64 exec, exec, s[10:11]
	s_mov_b64 s[10:11], -1
	s_mov_b64 s[0:1], 0
	global_store_byte v[0:1], v4, off
.LBB340_52:
	s_mov_b64 s[12:13], 0
.LBB340_53:
	s_and_b64 vcc, exec, s[12:13]
	s_cbranch_vccz .LBB340_56
; %bb.54:
	s_cmp_eq_u32 s17, 29
	s_mov_b64 s[0:1], -1
	s_cbranch_scc0 .LBB340_56
; %bb.55:
	s_mov_b32 s0, 0
	v_cndmask_b32_e64 v2, 0, 1, s[8:9]
	v_mov_b32_e32 v3, s0
	global_store_dwordx2 v[0:1], v[2:3], off
	s_mov_b64 s[10:11], -1
	s_mov_b64 s[0:1], 0
.LBB340_56:
	s_mov_b64 s[12:13], 0
.LBB340_57:
	s_and_b64 vcc, exec, s[12:13]
	s_cbranch_vccz .LBB340_73
; %bb.58:
	s_cmp_lt_i32 s17, 27
	s_mov_b64 s[10:11], -1
	s_cbranch_scc1 .LBB340_64
; %bb.59:
	s_cmp_gt_i32 s17, 27
	s_cbranch_scc0 .LBB340_61
; %bb.60:
	v_cndmask_b32_e64 v2, 0, 1, s[8:9]
	s_mov_b64 s[10:11], 0
	global_store_dword v[0:1], v2, off
.LBB340_61:
	s_andn2_b64 vcc, exec, s[10:11]
	s_cbranch_vccnz .LBB340_63
; %bb.62:
	v_cndmask_b32_e64 v2, 0, 1, s[8:9]
	global_store_short v[0:1], v2, off
.LBB340_63:
	s_mov_b64 s[10:11], 0
.LBB340_64:
	s_andn2_b64 vcc, exec, s[10:11]
	s_cbranch_vccnz .LBB340_72
; %bb.65:
	v_cndmask_b32_e64 v3, 0, 1.0, s[8:9]
	s_mov_b32 s10, 0x43800000
	v_cmp_gt_u32_e32 vcc, s10, v3
	v_mov_b32_e32 v4, 0x80
	s_and_saveexec_b64 s[10:11], vcc
	s_cbranch_execz .LBB340_71
; %bb.66:
	s_mov_b32 s12, 0x3bffffff
	v_cmp_lt_u32_e32 vcc, s12, v3
	s_mov_b64 s[12:13], 0
                                        ; implicit-def: $vgpr2
	s_and_saveexec_b64 s[14:15], vcc
	s_xor_b64 s[14:15], exec, s[14:15]
	s_cbranch_execz .LBB340_303
; %bb.67:
	v_bfe_u32 v2, v3, 20, 1
	s_mov_b32 s18, 0x487ffff
	v_add3_u32 v2, v3, v2, s18
	s_mov_b64 s[12:13], exec
	v_lshrrev_b32_e32 v2, 20, v2
                                        ; implicit-def: $vgpr3
	s_andn2_saveexec_b64 s[14:15], s[14:15]
	s_cbranch_execnz .LBB340_304
.LBB340_68:
	s_or_b64 exec, exec, s[14:15]
	v_mov_b32_e32 v4, 0
	s_and_saveexec_b64 s[14:15], s[12:13]
.LBB340_69:
	v_mov_b32_e32 v4, v2
.LBB340_70:
	s_or_b64 exec, exec, s[14:15]
.LBB340_71:
	s_or_b64 exec, exec, s[10:11]
	global_store_byte v[0:1], v4, off
.LBB340_72:
	s_mov_b64 s[10:11], -1
.LBB340_73:
	s_mov_b64 s[12:13], 0
.LBB340_74:
	s_and_b64 vcc, exec, s[12:13]
	s_cbranch_vccz .LBB340_115
; %bb.75:
	s_cmp_gt_i32 s17, 22
	s_mov_b64 s[12:13], -1
	s_cbranch_scc0 .LBB340_107
; %bb.76:
	s_cmp_lt_i32 s17, 24
	s_mov_b64 s[10:11], -1
	s_cbranch_scc1 .LBB340_96
; %bb.77:
	s_cmp_gt_i32 s17, 24
	s_cbranch_scc0 .LBB340_85
; %bb.78:
	v_cndmask_b32_e64 v3, 0, 1.0, s[8:9]
	s_mov_b32 s10, 0x47800000
	v_cmp_gt_u32_e32 vcc, s10, v3
	v_mov_b32_e32 v4, 0x80
	s_and_saveexec_b64 s[10:11], vcc
	s_cbranch_execz .LBB340_84
; %bb.79:
	s_mov_b32 s12, 0x37ffffff
	v_cmp_lt_u32_e32 vcc, s12, v3
	s_mov_b64 s[12:13], 0
                                        ; implicit-def: $vgpr2
	s_and_saveexec_b64 s[14:15], vcc
	s_xor_b64 s[14:15], exec, s[14:15]
	s_cbranch_execz .LBB340_307
; %bb.80:
	v_bfe_u32 v2, v3, 21, 1
	s_mov_b32 s18, 0x88fffff
	v_add3_u32 v2, v3, v2, s18
	s_mov_b64 s[12:13], exec
	v_lshrrev_b32_e32 v2, 21, v2
                                        ; implicit-def: $vgpr3
	s_andn2_saveexec_b64 s[14:15], s[14:15]
	s_cbranch_execnz .LBB340_308
.LBB340_81:
	s_or_b64 exec, exec, s[14:15]
	v_mov_b32_e32 v4, 0
	s_and_saveexec_b64 s[14:15], s[12:13]
.LBB340_82:
	v_mov_b32_e32 v4, v2
.LBB340_83:
	s_or_b64 exec, exec, s[14:15]
.LBB340_84:
	s_or_b64 exec, exec, s[10:11]
	s_mov_b64 s[10:11], 0
	global_store_byte v[0:1], v4, off
.LBB340_85:
	s_and_b64 vcc, exec, s[10:11]
	s_cbranch_vccz .LBB340_95
; %bb.86:
	v_cndmask_b32_e64 v2, 0, 1.0, s[8:9]
	s_mov_b32 s10, 0x43f00000
	v_cmp_gt_u32_e32 vcc, s10, v2
                                        ; implicit-def: $vgpr3
	s_and_saveexec_b64 s[10:11], vcc
	s_xor_b64 s[10:11], exec, s[10:11]
	s_cbranch_execz .LBB340_92
; %bb.87:
	s_mov_b32 s12, 0x3c7fffff
	v_cmp_lt_u32_e32 vcc, s12, v2
                                        ; implicit-def: $vgpr3
	s_and_saveexec_b64 s[12:13], vcc
	s_xor_b64 s[12:13], exec, s[12:13]
; %bb.88:
	v_bfe_u32 v3, v2, 20, 1
	s_mov_b32 s14, 0x407ffff
	v_add3_u32 v2, v2, v3, s14
	v_lshrrev_b32_e32 v3, 20, v2
	v_and_b32_e32 v2, 0xff00000, v2
	s_mov_b32 s14, 0x7f00000
	v_mov_b32_e32 v4, 0x7e
	v_cmp_ne_u32_e32 vcc, s14, v2
	v_cndmask_b32_e32 v3, v4, v3, vcc
                                        ; implicit-def: $vgpr2
; %bb.89:
	s_andn2_saveexec_b64 s[12:13], s[12:13]
; %bb.90:
	v_add_f32_e32 v3, 0x46800000, v2
; %bb.91:
	s_or_b64 exec, exec, s[12:13]
                                        ; implicit-def: $vgpr2
.LBB340_92:
	s_andn2_saveexec_b64 s[10:11], s[10:11]
; %bb.93:
	s_mov_b32 s12, 0x7f800000
	v_mov_b32_e32 v3, 0x7e
	v_mov_b32_e32 v4, 0x7f
	v_cmp_lt_u32_e32 vcc, s12, v2
	v_cndmask_b32_e32 v3, v3, v4, vcc
; %bb.94:
	s_or_b64 exec, exec, s[10:11]
	global_store_byte v[0:1], v3, off
.LBB340_95:
	s_mov_b64 s[10:11], 0
.LBB340_96:
	s_andn2_b64 vcc, exec, s[10:11]
	s_cbranch_vccnz .LBB340_106
; %bb.97:
	v_cndmask_b32_e64 v2, 0, 1.0, s[8:9]
	s_mov_b32 s10, 0x47800000
	v_cmp_gt_u32_e32 vcc, s10, v2
                                        ; implicit-def: $vgpr3
	s_and_saveexec_b64 s[10:11], vcc
	s_xor_b64 s[10:11], exec, s[10:11]
	s_cbranch_execz .LBB340_103
; %bb.98:
	s_mov_b32 s12, 0x387fffff
	v_cmp_lt_u32_e32 vcc, s12, v2
                                        ; implicit-def: $vgpr3
	s_and_saveexec_b64 s[12:13], vcc
	s_xor_b64 s[12:13], exec, s[12:13]
; %bb.99:
	v_bfe_u32 v3, v2, 21, 1
	s_mov_b32 s14, 0x80fffff
	v_add3_u32 v2, v2, v3, s14
	v_lshrrev_b32_e32 v3, 21, v2
                                        ; implicit-def: $vgpr2
; %bb.100:
	s_andn2_saveexec_b64 s[12:13], s[12:13]
; %bb.101:
	v_add_f32_e32 v3, 0x43000000, v2
; %bb.102:
	s_or_b64 exec, exec, s[12:13]
                                        ; implicit-def: $vgpr2
.LBB340_103:
	s_andn2_saveexec_b64 s[10:11], s[10:11]
; %bb.104:
	s_mov_b32 s12, 0x7f800000
	v_mov_b32_e32 v3, 0x7c
	v_mov_b32_e32 v4, 0x7f
	v_cmp_lt_u32_e32 vcc, s12, v2
	v_cndmask_b32_e32 v3, v3, v4, vcc
; %bb.105:
	s_or_b64 exec, exec, s[10:11]
	global_store_byte v[0:1], v3, off
.LBB340_106:
	s_mov_b64 s[12:13], 0
	s_mov_b64 s[10:11], -1
.LBB340_107:
	s_andn2_b64 vcc, exec, s[12:13]
	s_cbranch_vccnz .LBB340_115
; %bb.108:
	s_cmp_gt_i32 s17, 14
	s_mov_b64 s[12:13], -1
	s_cbranch_scc0 .LBB340_112
; %bb.109:
	s_cmp_eq_u32 s17, 15
	s_mov_b64 s[0:1], -1
	s_cbranch_scc0 .LBB340_111
; %bb.110:
	v_cndmask_b32_e64 v2, 0, 1.0, s[8:9]
	v_bfe_u32 v3, v2, 16, 1
	s_movk_i32 s0, 0x7fff
	v_add3_u32 v2, v2, v3, s0
	global_store_short_d16_hi v[0:1], v2, off
	s_mov_b64 s[10:11], -1
	s_mov_b64 s[0:1], 0
.LBB340_111:
	s_mov_b64 s[12:13], 0
.LBB340_112:
	s_and_b64 vcc, exec, s[12:13]
	s_cbranch_vccz .LBB340_115
; %bb.113:
	s_cmp_eq_u32 s17, 11
	s_mov_b64 s[0:1], -1
	s_cbranch_scc0 .LBB340_115
; %bb.114:
	v_cndmask_b32_e64 v2, 0, 1, s[8:9]
	s_mov_b64 s[10:11], -1
	s_mov_b64 s[0:1], 0
	global_store_byte v[0:1], v2, off
.LBB340_115:
	s_branch .LBB340_34
.LBB340_116:
	s_and_b32 s12, 0xffff, s16
	s_cmp_lt_i32 s12, 5
	s_mov_b64 s[10:11], -1
	s_cbranch_scc1 .LBB340_137
; %bb.117:
	s_cmp_lt_i32 s12, 8
	s_cbranch_scc1 .LBB340_127
; %bb.118:
	s_cmp_lt_i32 s12, 9
	s_cbranch_scc1 .LBB340_124
; %bb.119:
	s_cmp_gt_i32 s12, 9
	s_cbranch_scc0 .LBB340_121
; %bb.120:
	v_cndmask_b32_e64 v2, 0, 1, s[8:9]
	v_cvt_f64_u32_e32 v[2:3], v2
	v_mov_b32_e32 v4, 0
	v_mov_b32_e32 v5, v4
	s_mov_b64 s[10:11], 0
	global_store_dwordx4 v[0:1], v[2:5], off
.LBB340_121:
	s_andn2_b64 vcc, exec, s[10:11]
	s_cbranch_vccnz .LBB340_123
; %bb.122:
	v_cndmask_b32_e64 v2, 0, 1.0, s[8:9]
	v_mov_b32_e32 v3, 0
	global_store_dwordx2 v[0:1], v[2:3], off
.LBB340_123:
	s_mov_b64 s[10:11], 0
.LBB340_124:
	s_andn2_b64 vcc, exec, s[10:11]
	s_cbranch_vccnz .LBB340_126
; %bb.125:
	v_cndmask_b32_e64 v2, 0, 1.0, s[8:9]
	v_cvt_f16_f32_e32 v2, v2
	global_store_dword v[0:1], v2, off
.LBB340_126:
	s_mov_b64 s[10:11], 0
.LBB340_127:
	s_andn2_b64 vcc, exec, s[10:11]
	s_cbranch_vccnz .LBB340_136
; %bb.128:
	s_cmp_lt_i32 s12, 6
	s_mov_b64 s[10:11], -1
	s_cbranch_scc1 .LBB340_134
; %bb.129:
	s_cmp_gt_i32 s12, 6
	s_cbranch_scc0 .LBB340_131
; %bb.130:
	v_cndmask_b32_e64 v2, 0, 1, s[8:9]
	v_cvt_f64_u32_e32 v[2:3], v2
	s_mov_b64 s[10:11], 0
	global_store_dwordx2 v[0:1], v[2:3], off
.LBB340_131:
	s_andn2_b64 vcc, exec, s[10:11]
	s_cbranch_vccnz .LBB340_133
; %bb.132:
	v_cndmask_b32_e64 v2, 0, 1.0, s[8:9]
	global_store_dword v[0:1], v2, off
.LBB340_133:
	s_mov_b64 s[10:11], 0
.LBB340_134:
	s_andn2_b64 vcc, exec, s[10:11]
	s_cbranch_vccnz .LBB340_136
; %bb.135:
	v_cndmask_b32_e64 v2, 0, 1.0, s[8:9]
	v_cvt_f16_f32_e32 v2, v2
	global_store_short v[0:1], v2, off
.LBB340_136:
	s_mov_b64 s[10:11], 0
.LBB340_137:
	s_andn2_b64 vcc, exec, s[10:11]
	s_cbranch_vccnz .LBB340_153
; %bb.138:
	s_cmp_lt_i32 s12, 2
	s_mov_b64 s[10:11], -1
	s_cbranch_scc1 .LBB340_148
; %bb.139:
	s_cmp_lt_i32 s12, 3
	s_cbranch_scc1 .LBB340_145
; %bb.140:
	s_cmp_gt_i32 s12, 3
	s_cbranch_scc0 .LBB340_142
; %bb.141:
	s_mov_b32 s10, 0
	v_cndmask_b32_e64 v2, 0, 1, s[8:9]
	v_mov_b32_e32 v3, s10
	global_store_dwordx2 v[0:1], v[2:3], off
	s_mov_b64 s[10:11], 0
.LBB340_142:
	s_andn2_b64 vcc, exec, s[10:11]
	s_cbranch_vccnz .LBB340_144
; %bb.143:
	v_cndmask_b32_e64 v2, 0, 1, s[8:9]
	global_store_dword v[0:1], v2, off
.LBB340_144:
	s_mov_b64 s[10:11], 0
.LBB340_145:
	s_andn2_b64 vcc, exec, s[10:11]
	s_cbranch_vccnz .LBB340_147
; %bb.146:
	v_cndmask_b32_e64 v2, 0, 1, s[8:9]
	global_store_short v[0:1], v2, off
.LBB340_147:
	s_mov_b64 s[10:11], 0
.LBB340_148:
	s_andn2_b64 vcc, exec, s[10:11]
	s_cbranch_vccnz .LBB340_153
; %bb.149:
	s_cmp_gt_i32 s12, 0
	s_mov_b64 s[10:11], -1
	s_cbranch_scc0 .LBB340_151
; %bb.150:
	v_cndmask_b32_e64 v2, 0, 1, s[8:9]
	global_store_byte v[0:1], v2, off
	s_mov_b64 s[10:11], 0
.LBB340_151:
	s_andn2_b64 vcc, exec, s[10:11]
	s_cbranch_vccnz .LBB340_153
; %bb.152:
	v_cndmask_b32_e64 v2, 0, 1, s[8:9]
	global_store_byte v[0:1], v2, off
.LBB340_153:
.LBB340_154:
	v_add_u32_e32 v8, 0x80, v8
	s_mov_b64 s[8:9], -1
	s_branch .LBB340_261
.LBB340_155:
	s_mov_b64 s[2:3], -1
                                        ; implicit-def: $vgpr3
.LBB340_156:
	s_mov_b64 s[8:9], 0
.LBB340_157:
	s_and_b64 vcc, exec, s[8:9]
	s_cbranch_vccz .LBB340_161
; %bb.158:
	s_cmp_eq_u32 s10, 29
	s_cbranch_scc0 .LBB340_160
; %bb.159:
	global_load_dwordx2 v[3:4], v[1:2], off
	s_mov_b64 s[0:1], -1
	s_mov_b64 s[2:3], 0
	s_branch .LBB340_161
.LBB340_160:
	s_mov_b64 s[2:3], -1
                                        ; implicit-def: $vgpr3
.LBB340_161:
	s_mov_b64 s[8:9], 0
.LBB340_162:
	s_and_b64 vcc, exec, s[8:9]
	s_cbranch_vccz .LBB340_178
; %bb.163:
	s_cmp_lt_i32 s10, 27
	s_cbranch_scc1 .LBB340_166
; %bb.164:
	s_cmp_gt_i32 s10, 27
	s_cbranch_scc0 .LBB340_167
; %bb.165:
	global_load_dword v3, v[1:2], off
	s_mov_b64 s[0:1], 0
	s_branch .LBB340_168
.LBB340_166:
	s_mov_b64 s[0:1], -1
                                        ; implicit-def: $vgpr3
	s_branch .LBB340_171
.LBB340_167:
	s_mov_b64 s[0:1], -1
                                        ; implicit-def: $vgpr3
.LBB340_168:
	s_andn2_b64 vcc, exec, s[0:1]
	s_cbranch_vccnz .LBB340_170
; %bb.169:
	global_load_ushort v3, v[1:2], off
.LBB340_170:
	s_mov_b64 s[0:1], 0
.LBB340_171:
	s_andn2_b64 vcc, exec, s[0:1]
	s_cbranch_vccnz .LBB340_177
; %bb.172:
	global_load_ubyte v4, v[1:2], off
	s_movk_i32 s0, 0x7f
	s_mov_b64 s[8:9], 0
	s_waitcnt vmcnt(0)
	v_cmp_lt_i16_e32 vcc, s0, v4
	s_and_saveexec_b64 s[0:1], vcc
	s_xor_b64 s[0:1], exec, s[0:1]
	s_cbranch_execz .LBB340_188
; %bb.173:
	s_movk_i32 s8, 0x80
	v_cmp_ne_u16_e32 vcc, s8, v4
	s_and_b64 s[8:9], vcc, exec
	s_andn2_saveexec_b64 s[0:1], s[0:1]
	s_cbranch_execnz .LBB340_189
.LBB340_174:
	s_or_b64 exec, exec, s[0:1]
	v_mov_b32_e32 v3, 0
	s_and_saveexec_b64 s[0:1], s[8:9]
	s_cbranch_execz .LBB340_176
.LBB340_175:
	v_lshlrev_b32_e32 v3, 24, v4
	v_and_b32_e32 v4, 0xffff, v4
	v_and_b32_e32 v5, 7, v4
	v_ffbh_u32_e32 v7, v5
	v_min_u32_e32 v7, 32, v7
	v_subrev_u32_e32 v9, 28, v7
	v_bfe_u32 v6, v4, 3, 4
	v_lshlrev_b32_e32 v4, v9, v4
	v_sub_u32_e32 v7, 29, v7
	v_and_b32_e32 v4, 7, v4
	v_cmp_eq_u32_e32 vcc, 0, v6
	v_cndmask_b32_e32 v6, v6, v7, vcc
	v_cndmask_b32_e32 v4, v5, v4, vcc
	v_mov_b32_e32 v5, 0x3b800000
	v_lshlrev_b32_e32 v4, 20, v4
	v_and_b32_e32 v3, 0x80000000, v3
	v_lshl_add_u32 v5, v6, 23, v5
	v_or3_b32 v3, v3, v5, v4
	v_cvt_u32_f32_e32 v3, v3
.LBB340_176:
	s_or_b64 exec, exec, s[0:1]
.LBB340_177:
	s_mov_b64 s[0:1], -1
.LBB340_178:
	s_branch .LBB340_211
.LBB340_179:
	s_cmp_gt_i32 s10, 22
	s_cbranch_scc0 .LBB340_187
; %bb.180:
	s_cmp_lt_i32 s10, 24
	s_cbranch_scc1 .LBB340_190
; %bb.181:
	s_cmp_gt_i32 s10, 24
	s_cbranch_scc0 .LBB340_191
; %bb.182:
	global_load_ubyte v4, v[1:2], off
	s_movk_i32 s0, 0x7f
	s_mov_b64 s[8:9], 0
	s_waitcnt vmcnt(0)
	v_cmp_lt_i16_e32 vcc, s0, v4
	s_and_saveexec_b64 s[0:1], vcc
	s_xor_b64 s[0:1], exec, s[0:1]
	s_cbranch_execz .LBB340_203
; %bb.183:
	s_movk_i32 s8, 0x80
	v_cmp_ne_u16_e32 vcc, s8, v4
	s_and_b64 s[8:9], vcc, exec
	s_andn2_saveexec_b64 s[0:1], s[0:1]
	s_cbranch_execnz .LBB340_204
.LBB340_184:
	s_or_b64 exec, exec, s[0:1]
	v_mov_b32_e32 v3, 0
	s_and_saveexec_b64 s[0:1], s[8:9]
	s_cbranch_execz .LBB340_186
.LBB340_185:
	v_lshlrev_b32_e32 v3, 24, v4
	v_and_b32_e32 v4, 0xffff, v4
	v_and_b32_e32 v5, 3, v4
	v_ffbh_u32_e32 v7, v5
	v_min_u32_e32 v7, 32, v7
	v_subrev_u32_e32 v9, 29, v7
	v_bfe_u32 v6, v4, 2, 5
	v_lshlrev_b32_e32 v4, v9, v4
	v_sub_u32_e32 v7, 30, v7
	v_and_b32_e32 v4, 3, v4
	v_cmp_eq_u32_e32 vcc, 0, v6
	v_cndmask_b32_e32 v6, v6, v7, vcc
	v_cndmask_b32_e32 v4, v5, v4, vcc
	v_mov_b32_e32 v5, 0x37800000
	v_lshlrev_b32_e32 v4, 21, v4
	v_and_b32_e32 v3, 0x80000000, v3
	v_lshl_add_u32 v5, v6, 23, v5
	v_or3_b32 v3, v3, v5, v4
	v_cvt_u32_f32_e32 v3, v3
.LBB340_186:
	s_or_b64 exec, exec, s[0:1]
	s_mov_b64 s[0:1], 0
	s_branch .LBB340_192
.LBB340_187:
	s_mov_b64 s[8:9], -1
                                        ; implicit-def: $vgpr3
	s_branch .LBB340_198
.LBB340_188:
	s_andn2_saveexec_b64 s[0:1], s[0:1]
	s_cbranch_execz .LBB340_174
.LBB340_189:
	v_cmp_ne_u16_e32 vcc, 0, v4
	s_andn2_b64 s[8:9], s[8:9], exec
	s_and_b64 s[12:13], vcc, exec
	s_or_b64 s[8:9], s[8:9], s[12:13]
	s_or_b64 exec, exec, s[0:1]
	v_mov_b32_e32 v3, 0
	s_and_saveexec_b64 s[0:1], s[8:9]
	s_cbranch_execnz .LBB340_175
	s_branch .LBB340_176
.LBB340_190:
	s_mov_b64 s[0:1], -1
                                        ; implicit-def: $vgpr3
	s_branch .LBB340_195
.LBB340_191:
	s_mov_b64 s[0:1], -1
                                        ; implicit-def: $vgpr3
.LBB340_192:
	s_and_b64 vcc, exec, s[0:1]
	s_cbranch_vccz .LBB340_194
; %bb.193:
	global_load_ubyte v3, v[1:2], off
	s_mov_b32 s0, 0x7f800000
	s_waitcnt vmcnt(0)
	v_lshlrev_b32_e32 v3, 24, v3
	v_and_b32_e32 v4, 0x7f000000, v3
	v_ffbh_u32_e32 v5, v4
	v_min_u32_e32 v5, 32, v5
	v_sub_u32_e64 v5, v5, 4 clamp
	v_lshlrev_b32_e32 v7, v5, v4
	v_lshlrev_b32_e32 v5, 23, v5
	v_lshrrev_b32_e32 v7, 4, v7
	v_add_u32_e32 v6, 0x1000000, v4
	v_sub_u32_e32 v5, v7, v5
	v_ashrrev_i32_e32 v6, 8, v6
	v_add_u32_e32 v5, 0x3c000000, v5
	v_and_or_b32 v5, v6, s0, v5
	v_cmp_ne_u32_e32 vcc, 0, v4
	v_cndmask_b32_e32 v4, 0, v5, vcc
	s_brev_b32 s0, 1
	v_and_or_b32 v3, v3, s0, v4
	v_cvt_u32_f32_e32 v3, v3
.LBB340_194:
	s_mov_b64 s[0:1], 0
.LBB340_195:
	s_andn2_b64 vcc, exec, s[0:1]
	s_cbranch_vccnz .LBB340_197
; %bb.196:
	global_load_ubyte v3, v[1:2], off
	s_movk_i32 s0, 0x7f00
	s_brev_b32 s1, 16
	s_waitcnt vmcnt(0)
	v_lshlrev_b16_e32 v4, 8, v3
	v_lshlrev_b32_e32 v3, 25, v3
	v_lshrrev_b32_e32 v5, 4, v3
	v_and_or_b32 v6, v4, s0, 0.5
	v_or_b32_e32 v5, 0x70000000, v5
	v_add_f32_e32 v6, -0.5, v6
	v_mul_f32_e32 v5, 0x7800000, v5
	v_cmp_gt_u32_e32 vcc, s1, v3
	v_bfe_i32 v4, v4, 0, 16
	v_cndmask_b32_e32 v3, v5, v6, vcc
	s_brev_b32 s0, 1
	v_and_or_b32 v3, v4, s0, v3
	v_cvt_u32_f32_e32 v3, v3
.LBB340_197:
	s_mov_b64 s[8:9], 0
	s_mov_b64 s[0:1], -1
.LBB340_198:
	s_andn2_b64 vcc, exec, s[8:9]
	s_cbranch_vccnz .LBB340_211
; %bb.199:
	s_cmp_gt_i32 s10, 14
	s_cbranch_scc0 .LBB340_202
; %bb.200:
	s_cmp_eq_u32 s10, 15
	s_cbranch_scc0 .LBB340_205
; %bb.201:
	global_load_ushort v3, v[1:2], off
	s_mov_b64 s[0:1], -1
	s_mov_b64 s[2:3], 0
	s_waitcnt vmcnt(0)
	v_lshlrev_b32_e32 v3, 16, v3
	v_cvt_u32_f32_e32 v3, v3
	s_branch .LBB340_206
.LBB340_202:
	s_mov_b64 s[8:9], -1
                                        ; implicit-def: $vgpr3
	s_branch .LBB340_207
.LBB340_203:
	s_andn2_saveexec_b64 s[0:1], s[0:1]
	s_cbranch_execz .LBB340_184
.LBB340_204:
	v_cmp_ne_u16_e32 vcc, 0, v4
	s_andn2_b64 s[8:9], s[8:9], exec
	s_and_b64 s[12:13], vcc, exec
	s_or_b64 s[8:9], s[8:9], s[12:13]
	s_or_b64 exec, exec, s[0:1]
	v_mov_b32_e32 v3, 0
	s_and_saveexec_b64 s[0:1], s[8:9]
	s_cbranch_execnz .LBB340_185
	s_branch .LBB340_186
.LBB340_205:
	s_mov_b64 s[2:3], -1
                                        ; implicit-def: $vgpr3
.LBB340_206:
	s_mov_b64 s[8:9], 0
.LBB340_207:
	s_and_b64 vcc, exec, s[8:9]
	s_cbranch_vccz .LBB340_211
; %bb.208:
	s_cmp_eq_u32 s10, 11
	s_cbranch_scc0 .LBB340_210
; %bb.209:
	global_load_ubyte v3, v[1:2], off
	s_mov_b64 s[0:1], -1
	s_mov_b64 s[2:3], 0
	s_waitcnt vmcnt(0)
	v_cmp_ne_u16_e32 vcc, 0, v3
	v_cndmask_b32_e64 v3, 0, 1, vcc
	s_branch .LBB340_211
.LBB340_210:
	s_mov_b64 s[2:3], -1
                                        ; implicit-def: $vgpr3
.LBB340_211:
	s_branch .LBB340_24
.LBB340_212:
	s_cmp_lt_i32 s10, 5
	s_cbranch_scc1 .LBB340_217
; %bb.213:
	s_cmp_lt_i32 s10, 8
	s_cbranch_scc1 .LBB340_218
; %bb.214:
	;; [unrolled: 3-line block ×3, first 2 shown]
	s_cmp_gt_i32 s10, 9
	s_cbranch_scc0 .LBB340_220
; %bb.216:
	global_load_dwordx2 v[3:4], v[1:2], off
	s_mov_b64 s[0:1], 0
	s_waitcnt vmcnt(0)
	v_cvt_u32_f64_e32 v3, v[3:4]
	s_branch .LBB340_221
.LBB340_217:
                                        ; implicit-def: $vgpr3
	s_branch .LBB340_239
.LBB340_218:
	s_mov_b64 s[0:1], -1
                                        ; implicit-def: $vgpr3
	s_branch .LBB340_227
.LBB340_219:
	s_mov_b64 s[0:1], -1
                                        ; implicit-def: $vgpr3
	s_branch .LBB340_224
.LBB340_220:
	s_mov_b64 s[0:1], -1
                                        ; implicit-def: $vgpr3
.LBB340_221:
	s_andn2_b64 vcc, exec, s[0:1]
	s_cbranch_vccnz .LBB340_223
; %bb.222:
	global_load_dword v3, v[1:2], off
	s_waitcnt vmcnt(0)
	v_cvt_u32_f32_e32 v3, v3
.LBB340_223:
	s_mov_b64 s[0:1], 0
.LBB340_224:
	s_andn2_b64 vcc, exec, s[0:1]
	s_cbranch_vccnz .LBB340_226
; %bb.225:
	global_load_dword v3, v[1:2], off
	s_waitcnt vmcnt(0)
	v_cvt_u16_f16_e32 v3, v3
.LBB340_226:
	s_mov_b64 s[0:1], 0
.LBB340_227:
	s_andn2_b64 vcc, exec, s[0:1]
	s_cbranch_vccnz .LBB340_238
; %bb.228:
	s_cmp_lt_i32 s10, 6
	s_cbranch_scc1 .LBB340_231
; %bb.229:
	s_cmp_gt_i32 s10, 6
	s_cbranch_scc0 .LBB340_232
; %bb.230:
	global_load_dwordx2 v[3:4], v[1:2], off
	s_mov_b64 s[0:1], 0
	s_waitcnt vmcnt(0)
	v_cvt_u32_f64_e32 v3, v[3:4]
	s_branch .LBB340_233
.LBB340_231:
	s_mov_b64 s[0:1], -1
                                        ; implicit-def: $vgpr3
	s_branch .LBB340_236
.LBB340_232:
	s_mov_b64 s[0:1], -1
                                        ; implicit-def: $vgpr3
.LBB340_233:
	s_andn2_b64 vcc, exec, s[0:1]
	s_cbranch_vccnz .LBB340_235
; %bb.234:
	global_load_dword v3, v[1:2], off
	s_waitcnt vmcnt(0)
	v_cvt_u32_f32_e32 v3, v3
.LBB340_235:
	s_mov_b64 s[0:1], 0
.LBB340_236:
	s_andn2_b64 vcc, exec, s[0:1]
	s_cbranch_vccnz .LBB340_238
; %bb.237:
	global_load_ushort v3, v[1:2], off
	s_waitcnt vmcnt(0)
	v_cvt_u16_f16_e32 v3, v3
.LBB340_238:
	s_cbranch_execnz .LBB340_258
.LBB340_239:
	s_cmp_lt_i32 s10, 2
	s_cbranch_scc1 .LBB340_243
; %bb.240:
	s_cmp_lt_i32 s10, 3
	s_cbranch_scc1 .LBB340_244
; %bb.241:
	s_cmp_gt_i32 s10, 3
	s_cbranch_scc0 .LBB340_245
; %bb.242:
	global_load_dwordx2 v[3:4], v[1:2], off
	s_mov_b64 s[0:1], 0
	s_branch .LBB340_246
.LBB340_243:
	s_mov_b64 s[0:1], -1
                                        ; implicit-def: $vgpr3
	s_branch .LBB340_252
.LBB340_244:
	s_mov_b64 s[0:1], -1
                                        ; implicit-def: $vgpr3
	s_branch .LBB340_249
.LBB340_245:
	s_mov_b64 s[0:1], -1
                                        ; implicit-def: $vgpr3
.LBB340_246:
	s_andn2_b64 vcc, exec, s[0:1]
	s_cbranch_vccnz .LBB340_248
; %bb.247:
	global_load_dword v3, v[1:2], off
.LBB340_248:
	s_mov_b64 s[0:1], 0
.LBB340_249:
	s_andn2_b64 vcc, exec, s[0:1]
	s_cbranch_vccnz .LBB340_251
; %bb.250:
	global_load_ushort v3, v[1:2], off
.LBB340_251:
	s_mov_b64 s[0:1], 0
.LBB340_252:
	s_andn2_b64 vcc, exec, s[0:1]
	s_cbranch_vccnz .LBB340_258
; %bb.253:
	s_cmp_gt_i32 s10, 0
	s_cbranch_scc0 .LBB340_255
; %bb.254:
	global_load_sbyte v3, v[1:2], off
	s_mov_b64 s[0:1], 0
	s_branch .LBB340_256
.LBB340_255:
	s_mov_b64 s[0:1], -1
                                        ; implicit-def: $vgpr3
.LBB340_256:
	s_andn2_b64 vcc, exec, s[0:1]
	s_cbranch_vccnz .LBB340_258
; %bb.257:
	global_load_ubyte v3, v[1:2], off
.LBB340_258:
	s_branch .LBB340_25
.LBB340_259:
	s_mov_b64 s[0:1], 0
.LBB340_260:
	s_mov_b64 s[8:9], 0
                                        ; implicit-def: $vgpr8
.LBB340_261:
	s_and_b64 s[56:57], s[0:1], exec
	s_and_b64 s[58:59], s[2:3], exec
	s_orn2_b64 s[2:3], s[8:9], exec
.LBB340_262:
	s_or_b64 exec, exec, s[60:61]
	s_mov_b64 s[10:11], 0
	s_mov_b64 s[0:1], 0
                                        ; implicit-def: $vgpr1_vgpr2
                                        ; implicit-def: $vgpr0
                                        ; implicit-def: $vgpr3
	s_and_saveexec_b64 s[60:61], s[2:3]
	s_cbranch_execz .LBB340_269
; %bb.263:
	v_cmp_gt_i32_e32 vcc, s74, v8
	s_mov_b64 s[0:1], -1
	s_mov_b64 s[62:63], s[58:59]
	s_mov_b64 s[64:65], s[56:57]
	s_and_saveexec_b64 s[66:67], vcc
	s_cbranch_execz .LBB340_534
; %bb.264:
	s_andn2_b64 vcc, exec, s[40:41]
	s_cbranch_vccnz .LBB340_272
; %bb.265:
	s_andn2_b64 vcc, exec, s[54:55]
	s_cbranch_vccnz .LBB340_273
; %bb.266:
	s_add_i32 s68, s79, 1
	s_cmp_eq_u32 s76, 2
	s_cbranch_scc1 .LBB340_274
; %bb.267:
	s_and_b32 s44, s68, 28
	v_mov_b32_e32 v2, 0
	s_mov_b32 s69, 0
	s_mov_b64 s[62:63], s[34:35]
	s_mov_b64 s[64:65], s[52:53]
	v_mov_b32_e32 v0, 0
	v_mov_b32_e32 v1, v8
.LBB340_268:                            ; =>This Inner Loop Header: Depth=1
	s_load_dwordx8 s[16:23], s[62:63], 0x4
	s_load_dwordx4 s[0:3], s[62:63], 0x24
	s_load_dwordx8 s[8:15], s[64:65], 0x0
	s_add_u32 s62, s62, 48
	s_addc_u32 s63, s63, 0
	s_waitcnt vmcnt(0) lgkmcnt(0)
	v_mul_hi_u32 v3, s17, v1
	s_add_i32 s69, s69, 4
	s_add_u32 s64, s64, 32
	s_addc_u32 s65, s65, 0
	v_add_u32_e32 v3, v1, v3
	v_lshrrev_b32_e32 v3, s18, v3
	v_mul_lo_u32 v4, v3, s16
	v_mul_hi_u32 v5, s20, v3
	s_cmp_eq_u32 s44, s69
	v_sub_u32_e32 v1, v1, v4
	v_add_u32_e32 v4, v3, v5
	v_mul_lo_u32 v5, v1, s8
	v_mul_lo_u32 v6, v1, s9
	v_lshrrev_b32_e32 v1, s21, v4
	v_mul_lo_u32 v4, v1, s19
	v_mul_hi_u32 v7, s23, v1
	v_sub_u32_e32 v3, v3, v4
	v_add_u32_e32 v4, v1, v7
	v_lshrrev_b32_e32 v4, s0, v4
	v_mul_hi_u32 v9, s2, v4
	v_mul_lo_u32 v10, v4, s22
	v_mul_lo_u32 v7, v3, s10
	;; [unrolled: 1-line block ×3, first 2 shown]
	v_sub_u32_e32 v10, v1, v10
	v_add_u32_e32 v1, v4, v9
	v_lshrrev_b32_e32 v1, s3, v1
	v_mul_lo_u32 v9, v1, s1
	v_mul_lo_u32 v11, v10, s12
	;; [unrolled: 1-line block ×3, first 2 shown]
	v_add3_u32 v0, v5, v0, v7
	v_sub_u32_e32 v4, v4, v9
	v_mul_lo_u32 v9, v4, s14
	v_mul_lo_u32 v4, v4, s15
	v_add3_u32 v2, v6, v2, v3
	v_add3_u32 v0, v11, v0, v9
	;; [unrolled: 1-line block ×3, first 2 shown]
	s_cbranch_scc0 .LBB340_268
	s_branch .LBB340_275
.LBB340_269:
	s_or_b64 exec, exec, s[60:61]
	s_mov_b64 s[2:3], 0
	s_and_saveexec_b64 s[8:9], s[58:59]
	s_cbranch_execnz .LBB340_902
.LBB340_270:
	s_or_b64 exec, exec, s[8:9]
	s_and_saveexec_b64 s[8:9], s[64:65]
	s_xor_b64 s[8:9], exec, s[8:9]
	s_cbranch_execz .LBB340_903
.LBB340_271:
	global_load_ubyte v3, v[1:2], off
	s_or_b64 s[0:1], s[0:1], exec
	s_waitcnt vmcnt(0)
	v_cmp_ne_u16_e32 vcc, 0, v3
	v_cndmask_b32_e64 v3, 0, 1, vcc
	s_or_b64 exec, exec, s[8:9]
	s_and_saveexec_b64 s[8:9], s[10:11]
	s_cbranch_execz .LBB340_949
	s_branch .LBB340_904
.LBB340_272:
                                        ; implicit-def: $vgpr0
                                        ; implicit-def: $vgpr2
	s_andn2_b64 vcc, exec, s[0:1]
	s_cbranch_vccz .LBB340_279
	s_branch .LBB340_281
.LBB340_273:
	v_mov_b32_e32 v0, 0
	v_mov_b32_e32 v2, 0
	s_branch .LBB340_278
.LBB340_274:
	s_mov_b32 s44, 0
	v_mov_b32_e32 v0, 0
	v_mov_b32_e32 v2, 0
	;; [unrolled: 1-line block ×3, first 2 shown]
.LBB340_275:
	s_and_b32 s8, s68, 3
	s_cmp_eq_u32 s8, 0
	s_cbranch_scc1 .LBB340_278
; %bb.276:
	s_lshl_b32 s0, s44, 3
	s_add_u32 s0, s34, s0
	s_addc_u32 s1, s35, 0
	s_add_u32 s0, s0, 0xc4
	s_addc_u32 s1, s1, 0
	s_mul_i32 s2, s44, 12
	s_add_u32 s2, s34, s2
	s_addc_u32 s3, s35, 0
.LBB340_277:                            ; =>This Inner Loop Header: Depth=1
	s_load_dwordx2 s[10:11], s[2:3], 0x4
	s_load_dword s9, s[2:3], 0xc
	s_load_dwordx2 s[12:13], s[0:1], 0x0
	s_add_u32 s2, s2, 12
	s_addc_u32 s3, s3, 0
	s_waitcnt vmcnt(0) lgkmcnt(0)
	v_mul_hi_u32 v3, s11, v1
	s_add_u32 s0, s0, 8
	s_addc_u32 s1, s1, 0
	s_add_i32 s8, s8, -1
	v_add_u32_e32 v3, v1, v3
	v_lshrrev_b32_e32 v4, s9, v3
	v_mul_lo_u32 v3, v4, s10
	s_cmp_lg_u32 s8, 0
	v_sub_u32_e32 v3, v1, v3
	v_mad_u64_u32 v[0:1], s[10:11], v3, s12, v[0:1]
	v_mad_u64_u32 v[2:3], s[10:11], v3, s13, v[2:3]
	v_mov_b32_e32 v1, v4
	s_cbranch_scc1 .LBB340_277
.LBB340_278:
	s_cbranch_execnz .LBB340_281
.LBB340_279:
	v_mul_hi_u32 v0, s29, v8
	s_andn2_b64 vcc, exec, s[50:51]
	v_add_u32_e32 v0, v8, v0
	v_lshrrev_b32_e32 v1, s30, v0
	v_mul_lo_u32 v0, v1, s28
	v_sub_u32_e32 v2, v8, v0
	v_mul_lo_u32 v0, v2, s36
	v_mul_lo_u32 v2, v2, s37
	s_cbranch_vccnz .LBB340_281
; %bb.280:
	s_waitcnt vmcnt(0)
	v_mul_hi_u32 v3, s48, v1
	v_add_u32_e32 v3, v1, v3
	v_lshrrev_b32_e32 v3, s49, v3
	v_mul_lo_u32 v3, v3, s31
	v_sub_u32_e32 v3, v1, v3
	v_mad_u64_u32 v[0:1], s[0:1], v3, s38, v[0:1]
	v_mad_u64_u32 v[2:3], s[0:1], v3, s39, v[2:3]
.LBB340_281:
	s_waitcnt vmcnt(0)
	v_mov_b32_e32 v3, s27
	s_and_b32 s10, 0xffff, s78
	v_add_co_u32_e32 v1, vcc, s26, v2
	s_cmp_lt_i32 s10, 11
	v_addc_co_u32_e32 v2, vcc, 0, v3, vcc
	s_cbranch_scc1 .LBB340_288
; %bb.282:
	s_cmp_gt_i32 s10, 25
	s_cbranch_scc0 .LBB340_297
; %bb.283:
	s_cmp_gt_i32 s10, 28
	s_cbranch_scc0 .LBB340_299
; %bb.284:
	s_cmp_gt_i32 s10, 43
	s_cbranch_scc0 .LBB340_301
; %bb.285:
	s_cmp_gt_i32 s10, 45
	s_cbranch_scc0 .LBB340_305
; %bb.286:
	s_cmp_eq_u32 s10, 46
	s_mov_b64 s[8:9], 0
	s_cbranch_scc0 .LBB340_309
; %bb.287:
	global_load_dword v3, v[1:2], off
	s_mov_b64 s[0:1], -1
	s_mov_b64 s[2:3], 0
	s_waitcnt vmcnt(0)
	v_lshlrev_b32_e32 v3, 16, v3
	v_cvt_u32_f32_e32 v3, v3
	s_branch .LBB340_310
.LBB340_288:
	s_mov_b64 s[0:1], 0
                                        ; implicit-def: $vgpr3
	s_mov_b64 s[2:3], s[58:59]
	s_cbranch_execnz .LBB340_483
.LBB340_289:
	s_andn2_b64 vcc, exec, s[0:1]
	s_cbranch_vccnz .LBB340_531
.LBB340_290:
	s_waitcnt vmcnt(0)
	v_cmp_ne_u16_e32 vcc, s45, v3
	s_xor_b64 s[8:9], s[46:47], vcc
	v_mov_b32_e32 v1, s25
	s_and_b32 s16, s77, 0xff
	v_add_co_u32_e32 v0, vcc, s24, v0
	s_cmp_lt_i32 s16, 11
	v_addc_co_u32_e32 v1, vcc, 0, v1, vcc
	s_cbranch_scc1 .LBB340_298
; %bb.291:
	s_and_b32 s17, 0xffff, s16
	s_cmp_gt_i32 s17, 25
	s_cbranch_scc0 .LBB340_300
; %bb.292:
	s_cmp_gt_i32 s17, 28
	s_cbranch_scc0 .LBB340_302
; %bb.293:
	;; [unrolled: 3-line block ×4, first 2 shown]
	s_mov_b64 s[12:13], 0
	s_mov_b64 s[0:1], -1
	s_cmp_eq_u32 s17, 46
	s_mov_b64 s[10:11], 0
	s_cbranch_scc0 .LBB340_314
; %bb.296:
	v_cndmask_b32_e64 v2, 0, 1.0, s[8:9]
	v_bfe_u32 v3, v2, 16, 1
	s_movk_i32 s0, 0x7fff
	v_add3_u32 v2, v2, v3, s0
	v_lshrrev_b32_e32 v2, 16, v2
	global_store_dword v[0:1], v2, off
	s_mov_b64 s[10:11], -1
	s_mov_b64 s[0:1], 0
	s_branch .LBB340_314
.LBB340_297:
	s_mov_b64 s[8:9], -1
	s_mov_b64 s[0:1], 0
	s_mov_b64 s[2:3], s[58:59]
                                        ; implicit-def: $vgpr3
	s_branch .LBB340_449
.LBB340_298:
	s_mov_b64 s[12:13], -1
	s_mov_b64 s[10:11], 0
	s_mov_b64 s[0:1], s[56:57]
	s_branch .LBB340_383
.LBB340_299:
	s_mov_b64 s[8:9], -1
	s_mov_b64 s[0:1], 0
	s_mov_b64 s[2:3], s[58:59]
                                        ; implicit-def: $vgpr3
	s_branch .LBB340_432
.LBB340_300:
	s_mov_b64 s[12:13], -1
	s_mov_b64 s[10:11], 0
	s_mov_b64 s[0:1], s[56:57]
	s_branch .LBB340_341
.LBB340_301:
	s_mov_b64 s[8:9], -1
	s_mov_b64 s[0:1], 0
	s_mov_b64 s[2:3], s[58:59]
                                        ; implicit-def: $vgpr3
	s_branch .LBB340_427
.LBB340_302:
	s_mov_b64 s[12:13], -1
	s_mov_b64 s[10:11], 0
	s_mov_b64 s[0:1], s[56:57]
	s_branch .LBB340_324
.LBB340_303:
	s_andn2_saveexec_b64 s[14:15], s[14:15]
	s_cbranch_execz .LBB340_68
.LBB340_304:
	v_add_f32_e32 v2, 0x46000000, v3
	v_and_b32_e32 v2, 0xff, v2
	v_cmp_ne_u32_e32 vcc, 0, v2
	s_andn2_b64 s[12:13], s[12:13], exec
	s_and_b64 s[18:19], vcc, exec
	s_or_b64 s[12:13], s[12:13], s[18:19]
	s_or_b64 exec, exec, s[14:15]
	v_mov_b32_e32 v4, 0
	s_and_saveexec_b64 s[14:15], s[12:13]
	s_cbranch_execnz .LBB340_69
	s_branch .LBB340_70
.LBB340_305:
	s_mov_b64 s[8:9], -1
	s_mov_b64 s[0:1], 0
	s_mov_b64 s[2:3], s[58:59]
                                        ; implicit-def: $vgpr3
	s_branch .LBB340_310
.LBB340_306:
	s_mov_b64 s[12:13], -1
	s_mov_b64 s[10:11], 0
	s_mov_b64 s[0:1], s[56:57]
	s_branch .LBB340_320
.LBB340_307:
	s_andn2_saveexec_b64 s[14:15], s[14:15]
	s_cbranch_execz .LBB340_81
.LBB340_308:
	v_add_f32_e32 v2, 0x42800000, v3
	v_and_b32_e32 v2, 0xff, v2
	v_cmp_ne_u32_e32 vcc, 0, v2
	s_andn2_b64 s[12:13], s[12:13], exec
	s_and_b64 s[18:19], vcc, exec
	s_or_b64 s[12:13], s[12:13], s[18:19]
	s_or_b64 exec, exec, s[14:15]
	v_mov_b32_e32 v4, 0
	s_and_saveexec_b64 s[14:15], s[12:13]
	s_cbranch_execnz .LBB340_82
	s_branch .LBB340_83
.LBB340_309:
	s_mov_b64 s[2:3], -1
                                        ; implicit-def: $vgpr3
	s_mov_b64 s[0:1], 0
.LBB340_310:
	s_and_b64 vcc, exec, s[8:9]
	s_cbranch_vccz .LBB340_426
; %bb.311:
	s_cmp_eq_u32 s10, 44
	s_cbranch_scc0 .LBB340_425
; %bb.312:
	global_load_ubyte v3, v[1:2], off
	s_mov_b64 s[0:1], -1
	s_mov_b64 s[2:3], 0
	s_waitcnt vmcnt(0)
	v_lshlrev_b32_e32 v4, 23, v3
	v_cvt_u32_f32_e32 v4, v4
	v_cmp_ne_u32_e32 vcc, 0, v3
	v_cndmask_b32_e32 v3, 0, v4, vcc
	s_branch .LBB340_426
.LBB340_313:
	s_mov_b64 s[12:13], -1
	s_mov_b64 s[10:11], 0
	s_mov_b64 s[0:1], s[56:57]
.LBB340_314:
	s_and_b64 vcc, exec, s[12:13]
	s_cbranch_vccz .LBB340_319
; %bb.315:
	s_cmp_eq_u32 s17, 44
	s_mov_b64 s[0:1], -1
	s_cbranch_scc0 .LBB340_319
; %bb.316:
	v_cndmask_b32_e64 v3, 0, 1.0, s[8:9]
	v_lshrrev_b32_e32 v2, 23, v3
	s_movk_i32 s0, 0xff
	v_cmp_ne_u32_e32 vcc, s0, v2
	v_mov_b32_e32 v4, 0xff
	s_and_saveexec_b64 s[10:11], vcc
; %bb.317:
	s_mov_b32 s0, 0x3fffff
	v_and_b32_e32 v4, 0x400000, v3
	v_and_or_b32 v3, v3, s0, v2
	v_cmp_ne_u32_e32 vcc, 0, v4
	v_cmp_ne_u32_e64 s[0:1], 0, v3
	s_and_b64 s[0:1], vcc, s[0:1]
	v_cndmask_b32_e64 v3, 0, 1, s[0:1]
	v_add_u32_e32 v4, v2, v3
; %bb.318:
	s_or_b64 exec, exec, s[10:11]
	s_mov_b64 s[10:11], -1
	s_mov_b64 s[0:1], 0
	global_store_byte v[0:1], v4, off
.LBB340_319:
	s_mov_b64 s[12:13], 0
.LBB340_320:
	s_and_b64 vcc, exec, s[12:13]
	s_cbranch_vccz .LBB340_323
; %bb.321:
	s_cmp_eq_u32 s17, 29
	s_mov_b64 s[0:1], -1
	s_cbranch_scc0 .LBB340_323
; %bb.322:
	s_mov_b32 s0, 0
	v_cndmask_b32_e64 v2, 0, 1, s[8:9]
	v_mov_b32_e32 v3, s0
	global_store_dwordx2 v[0:1], v[2:3], off
	s_mov_b64 s[10:11], -1
	s_mov_b64 s[0:1], 0
.LBB340_323:
	s_mov_b64 s[12:13], 0
.LBB340_324:
	s_and_b64 vcc, exec, s[12:13]
	s_cbranch_vccz .LBB340_340
; %bb.325:
	s_cmp_lt_i32 s17, 27
	s_mov_b64 s[10:11], -1
	s_cbranch_scc1 .LBB340_331
; %bb.326:
	s_cmp_gt_i32 s17, 27
	s_cbranch_scc0 .LBB340_328
; %bb.327:
	v_cndmask_b32_e64 v2, 0, 1, s[8:9]
	s_mov_b64 s[10:11], 0
	global_store_dword v[0:1], v2, off
.LBB340_328:
	s_andn2_b64 vcc, exec, s[10:11]
	s_cbranch_vccnz .LBB340_330
; %bb.329:
	v_cndmask_b32_e64 v2, 0, 1, s[8:9]
	global_store_short v[0:1], v2, off
.LBB340_330:
	s_mov_b64 s[10:11], 0
.LBB340_331:
	s_andn2_b64 vcc, exec, s[10:11]
	s_cbranch_vccnz .LBB340_339
; %bb.332:
	v_cndmask_b32_e64 v3, 0, 1.0, s[8:9]
	s_mov_b32 s10, 0x43800000
	v_cmp_gt_u32_e32 vcc, s10, v3
	v_mov_b32_e32 v4, 0x80
	s_and_saveexec_b64 s[10:11], vcc
	s_cbranch_execz .LBB340_338
; %bb.333:
	s_mov_b32 s12, 0x3bffffff
	v_cmp_lt_u32_e32 vcc, s12, v3
	s_mov_b64 s[12:13], 0
                                        ; implicit-def: $vgpr2
	s_and_saveexec_b64 s[14:15], vcc
	s_xor_b64 s[14:15], exec, s[14:15]
	s_cbranch_execz .LBB340_562
; %bb.334:
	v_bfe_u32 v2, v3, 20, 1
	s_mov_b32 s18, 0x487ffff
	v_add3_u32 v2, v3, v2, s18
	s_mov_b64 s[12:13], exec
	v_lshrrev_b32_e32 v2, 20, v2
                                        ; implicit-def: $vgpr3
	s_andn2_saveexec_b64 s[14:15], s[14:15]
	s_cbranch_execnz .LBB340_563
.LBB340_335:
	s_or_b64 exec, exec, s[14:15]
	v_mov_b32_e32 v4, 0
	s_and_saveexec_b64 s[14:15], s[12:13]
.LBB340_336:
	v_mov_b32_e32 v4, v2
.LBB340_337:
	s_or_b64 exec, exec, s[14:15]
.LBB340_338:
	s_or_b64 exec, exec, s[10:11]
	global_store_byte v[0:1], v4, off
.LBB340_339:
	s_mov_b64 s[10:11], -1
.LBB340_340:
	s_mov_b64 s[12:13], 0
.LBB340_341:
	s_and_b64 vcc, exec, s[12:13]
	s_cbranch_vccz .LBB340_382
; %bb.342:
	s_cmp_gt_i32 s17, 22
	s_mov_b64 s[12:13], -1
	s_cbranch_scc0 .LBB340_374
; %bb.343:
	s_cmp_lt_i32 s17, 24
	s_mov_b64 s[10:11], -1
	s_cbranch_scc1 .LBB340_363
; %bb.344:
	s_cmp_gt_i32 s17, 24
	s_cbranch_scc0 .LBB340_352
; %bb.345:
	v_cndmask_b32_e64 v3, 0, 1.0, s[8:9]
	s_mov_b32 s10, 0x47800000
	v_cmp_gt_u32_e32 vcc, s10, v3
	v_mov_b32_e32 v4, 0x80
	s_and_saveexec_b64 s[10:11], vcc
	s_cbranch_execz .LBB340_351
; %bb.346:
	s_mov_b32 s12, 0x37ffffff
	v_cmp_lt_u32_e32 vcc, s12, v3
	s_mov_b64 s[12:13], 0
                                        ; implicit-def: $vgpr2
	s_and_saveexec_b64 s[14:15], vcc
	s_xor_b64 s[14:15], exec, s[14:15]
	s_cbranch_execz .LBB340_565
; %bb.347:
	v_bfe_u32 v2, v3, 21, 1
	s_mov_b32 s18, 0x88fffff
	v_add3_u32 v2, v3, v2, s18
	s_mov_b64 s[12:13], exec
	v_lshrrev_b32_e32 v2, 21, v2
                                        ; implicit-def: $vgpr3
	s_andn2_saveexec_b64 s[14:15], s[14:15]
	s_cbranch_execnz .LBB340_566
.LBB340_348:
	s_or_b64 exec, exec, s[14:15]
	v_mov_b32_e32 v4, 0
	s_and_saveexec_b64 s[14:15], s[12:13]
.LBB340_349:
	v_mov_b32_e32 v4, v2
.LBB340_350:
	s_or_b64 exec, exec, s[14:15]
.LBB340_351:
	s_or_b64 exec, exec, s[10:11]
	s_mov_b64 s[10:11], 0
	global_store_byte v[0:1], v4, off
.LBB340_352:
	s_and_b64 vcc, exec, s[10:11]
	s_cbranch_vccz .LBB340_362
; %bb.353:
	v_cndmask_b32_e64 v2, 0, 1.0, s[8:9]
	s_mov_b32 s10, 0x43f00000
	v_cmp_gt_u32_e32 vcc, s10, v2
                                        ; implicit-def: $vgpr3
	s_and_saveexec_b64 s[10:11], vcc
	s_xor_b64 s[10:11], exec, s[10:11]
	s_cbranch_execz .LBB340_359
; %bb.354:
	s_mov_b32 s12, 0x3c7fffff
	v_cmp_lt_u32_e32 vcc, s12, v2
                                        ; implicit-def: $vgpr3
	s_and_saveexec_b64 s[12:13], vcc
	s_xor_b64 s[12:13], exec, s[12:13]
; %bb.355:
	v_bfe_u32 v3, v2, 20, 1
	s_mov_b32 s14, 0x407ffff
	v_add3_u32 v2, v2, v3, s14
	v_lshrrev_b32_e32 v3, 20, v2
	v_and_b32_e32 v2, 0xff00000, v2
	s_mov_b32 s14, 0x7f00000
	v_mov_b32_e32 v4, 0x7e
	v_cmp_ne_u32_e32 vcc, s14, v2
	v_cndmask_b32_e32 v3, v4, v3, vcc
                                        ; implicit-def: $vgpr2
; %bb.356:
	s_andn2_saveexec_b64 s[12:13], s[12:13]
; %bb.357:
	v_add_f32_e32 v3, 0x46800000, v2
; %bb.358:
	s_or_b64 exec, exec, s[12:13]
                                        ; implicit-def: $vgpr2
.LBB340_359:
	s_andn2_saveexec_b64 s[10:11], s[10:11]
; %bb.360:
	s_mov_b32 s12, 0x7f800000
	v_mov_b32_e32 v3, 0x7e
	v_mov_b32_e32 v4, 0x7f
	v_cmp_lt_u32_e32 vcc, s12, v2
	v_cndmask_b32_e32 v3, v3, v4, vcc
; %bb.361:
	s_or_b64 exec, exec, s[10:11]
	global_store_byte v[0:1], v3, off
.LBB340_362:
	s_mov_b64 s[10:11], 0
.LBB340_363:
	s_andn2_b64 vcc, exec, s[10:11]
	s_cbranch_vccnz .LBB340_373
; %bb.364:
	v_cndmask_b32_e64 v2, 0, 1.0, s[8:9]
	s_mov_b32 s10, 0x47800000
	v_cmp_gt_u32_e32 vcc, s10, v2
                                        ; implicit-def: $vgpr3
	s_and_saveexec_b64 s[10:11], vcc
	s_xor_b64 s[10:11], exec, s[10:11]
	s_cbranch_execz .LBB340_370
; %bb.365:
	s_mov_b32 s12, 0x387fffff
	v_cmp_lt_u32_e32 vcc, s12, v2
                                        ; implicit-def: $vgpr3
	s_and_saveexec_b64 s[12:13], vcc
	s_xor_b64 s[12:13], exec, s[12:13]
; %bb.366:
	v_bfe_u32 v3, v2, 21, 1
	s_mov_b32 s14, 0x80fffff
	v_add3_u32 v2, v2, v3, s14
	v_lshrrev_b32_e32 v3, 21, v2
                                        ; implicit-def: $vgpr2
; %bb.367:
	s_andn2_saveexec_b64 s[12:13], s[12:13]
; %bb.368:
	v_add_f32_e32 v3, 0x43000000, v2
; %bb.369:
	s_or_b64 exec, exec, s[12:13]
                                        ; implicit-def: $vgpr2
.LBB340_370:
	s_andn2_saveexec_b64 s[10:11], s[10:11]
; %bb.371:
	s_mov_b32 s12, 0x7f800000
	v_mov_b32_e32 v3, 0x7c
	v_mov_b32_e32 v4, 0x7f
	v_cmp_lt_u32_e32 vcc, s12, v2
	v_cndmask_b32_e32 v3, v3, v4, vcc
; %bb.372:
	s_or_b64 exec, exec, s[10:11]
	global_store_byte v[0:1], v3, off
.LBB340_373:
	s_mov_b64 s[12:13], 0
	s_mov_b64 s[10:11], -1
.LBB340_374:
	s_andn2_b64 vcc, exec, s[12:13]
	s_cbranch_vccnz .LBB340_382
; %bb.375:
	s_cmp_gt_i32 s17, 14
	s_mov_b64 s[12:13], -1
	s_cbranch_scc0 .LBB340_379
; %bb.376:
	s_cmp_eq_u32 s17, 15
	s_mov_b64 s[0:1], -1
	s_cbranch_scc0 .LBB340_378
; %bb.377:
	v_cndmask_b32_e64 v2, 0, 1.0, s[8:9]
	v_bfe_u32 v3, v2, 16, 1
	s_movk_i32 s0, 0x7fff
	v_add3_u32 v2, v2, v3, s0
	global_store_short_d16_hi v[0:1], v2, off
	s_mov_b64 s[10:11], -1
	s_mov_b64 s[0:1], 0
.LBB340_378:
	s_mov_b64 s[12:13], 0
.LBB340_379:
	s_and_b64 vcc, exec, s[12:13]
	s_cbranch_vccz .LBB340_382
; %bb.380:
	s_cmp_eq_u32 s17, 11
	s_mov_b64 s[0:1], -1
	s_cbranch_scc0 .LBB340_382
; %bb.381:
	v_cndmask_b32_e64 v2, 0, 1, s[8:9]
	s_mov_b64 s[10:11], -1
	s_mov_b64 s[0:1], 0
	global_store_byte v[0:1], v2, off
.LBB340_382:
	s_mov_b64 s[12:13], 0
.LBB340_383:
	s_and_b64 vcc, exec, s[12:13]
	s_cbranch_vccz .LBB340_422
; %bb.384:
	s_and_b32 s12, 0xffff, s16
	s_cmp_lt_i32 s12, 5
	s_mov_b64 s[10:11], -1
	s_cbranch_scc1 .LBB340_405
; %bb.385:
	s_cmp_lt_i32 s12, 8
	s_cbranch_scc1 .LBB340_395
; %bb.386:
	s_cmp_lt_i32 s12, 9
	s_cbranch_scc1 .LBB340_392
; %bb.387:
	s_cmp_gt_i32 s12, 9
	s_cbranch_scc0 .LBB340_389
; %bb.388:
	v_cndmask_b32_e64 v2, 0, 1, s[8:9]
	v_cvt_f64_u32_e32 v[2:3], v2
	v_mov_b32_e32 v4, 0
	v_mov_b32_e32 v5, v4
	s_mov_b64 s[10:11], 0
	global_store_dwordx4 v[0:1], v[2:5], off
.LBB340_389:
	s_andn2_b64 vcc, exec, s[10:11]
	s_cbranch_vccnz .LBB340_391
; %bb.390:
	v_cndmask_b32_e64 v2, 0, 1.0, s[8:9]
	v_mov_b32_e32 v3, 0
	global_store_dwordx2 v[0:1], v[2:3], off
.LBB340_391:
	s_mov_b64 s[10:11], 0
.LBB340_392:
	s_andn2_b64 vcc, exec, s[10:11]
	s_cbranch_vccnz .LBB340_394
; %bb.393:
	v_cndmask_b32_e64 v2, 0, 1.0, s[8:9]
	v_cvt_f16_f32_e32 v2, v2
	global_store_dword v[0:1], v2, off
.LBB340_394:
	s_mov_b64 s[10:11], 0
.LBB340_395:
	s_andn2_b64 vcc, exec, s[10:11]
	s_cbranch_vccnz .LBB340_404
; %bb.396:
	s_cmp_lt_i32 s12, 6
	s_mov_b64 s[10:11], -1
	s_cbranch_scc1 .LBB340_402
; %bb.397:
	s_cmp_gt_i32 s12, 6
	s_cbranch_scc0 .LBB340_399
; %bb.398:
	v_cndmask_b32_e64 v2, 0, 1, s[8:9]
	v_cvt_f64_u32_e32 v[2:3], v2
	s_mov_b64 s[10:11], 0
	global_store_dwordx2 v[0:1], v[2:3], off
.LBB340_399:
	s_andn2_b64 vcc, exec, s[10:11]
	s_cbranch_vccnz .LBB340_401
; %bb.400:
	v_cndmask_b32_e64 v2, 0, 1.0, s[8:9]
	global_store_dword v[0:1], v2, off
.LBB340_401:
	s_mov_b64 s[10:11], 0
.LBB340_402:
	s_andn2_b64 vcc, exec, s[10:11]
	s_cbranch_vccnz .LBB340_404
; %bb.403:
	v_cndmask_b32_e64 v2, 0, 1.0, s[8:9]
	v_cvt_f16_f32_e32 v2, v2
	global_store_short v[0:1], v2, off
.LBB340_404:
	s_mov_b64 s[10:11], 0
.LBB340_405:
	s_andn2_b64 vcc, exec, s[10:11]
	s_cbranch_vccnz .LBB340_421
; %bb.406:
	s_cmp_lt_i32 s12, 2
	s_mov_b64 s[10:11], -1
	s_cbranch_scc1 .LBB340_416
; %bb.407:
	s_cmp_lt_i32 s12, 3
	s_cbranch_scc1 .LBB340_413
; %bb.408:
	s_cmp_gt_i32 s12, 3
	s_cbranch_scc0 .LBB340_410
; %bb.409:
	s_mov_b32 s10, 0
	v_cndmask_b32_e64 v2, 0, 1, s[8:9]
	v_mov_b32_e32 v3, s10
	s_mov_b64 s[10:11], 0
	global_store_dwordx2 v[0:1], v[2:3], off
.LBB340_410:
	s_andn2_b64 vcc, exec, s[10:11]
	s_cbranch_vccnz .LBB340_412
; %bb.411:
	v_cndmask_b32_e64 v2, 0, 1, s[8:9]
	global_store_dword v[0:1], v2, off
.LBB340_412:
	s_mov_b64 s[10:11], 0
.LBB340_413:
	s_andn2_b64 vcc, exec, s[10:11]
	s_cbranch_vccnz .LBB340_415
; %bb.414:
	v_cndmask_b32_e64 v2, 0, 1, s[8:9]
	global_store_short v[0:1], v2, off
.LBB340_415:
	s_mov_b64 s[10:11], 0
.LBB340_416:
	s_andn2_b64 vcc, exec, s[10:11]
	s_cbranch_vccnz .LBB340_421
; %bb.417:
	s_mov_b64 s[10:11], -1
	s_cmp_gt_i32 s12, 0
	v_cndmask_b32_e64 v2, 0, 1, s[8:9]
	s_cbranch_scc0 .LBB340_419
; %bb.418:
	s_mov_b64 s[10:11], 0
	global_store_byte v[0:1], v2, off
.LBB340_419:
	s_andn2_b64 vcc, exec, s[10:11]
	s_cbranch_vccnz .LBB340_421
; %bb.420:
	global_store_byte v[0:1], v2, off
.LBB340_421:
	s_mov_b64 s[10:11], -1
.LBB340_422:
	s_andn2_b64 vcc, exec, s[10:11]
	s_cbranch_vccnz .LBB340_424
; %bb.423:
	v_add_u32_e32 v8, 0x80, v8
	s_mov_b64 s[8:9], -1
	s_branch .LBB340_533
.LBB340_424:
	s_mov_b64 s[8:9], 0
	s_branch .LBB340_532
.LBB340_425:
	s_mov_b64 s[2:3], -1
                                        ; implicit-def: $vgpr3
.LBB340_426:
	s_mov_b64 s[8:9], 0
.LBB340_427:
	s_and_b64 vcc, exec, s[8:9]
	s_cbranch_vccz .LBB340_431
; %bb.428:
	s_cmp_eq_u32 s10, 29
	s_cbranch_scc0 .LBB340_430
; %bb.429:
	global_load_dwordx2 v[3:4], v[1:2], off
	s_mov_b64 s[0:1], -1
	s_mov_b64 s[2:3], 0
	s_branch .LBB340_431
.LBB340_430:
	s_mov_b64 s[2:3], -1
                                        ; implicit-def: $vgpr3
.LBB340_431:
	s_mov_b64 s[8:9], 0
.LBB340_432:
	s_and_b64 vcc, exec, s[8:9]
	s_cbranch_vccz .LBB340_448
; %bb.433:
	s_cmp_lt_i32 s10, 27
	s_cbranch_scc1 .LBB340_436
; %bb.434:
	s_cmp_gt_i32 s10, 27
	s_cbranch_scc0 .LBB340_437
; %bb.435:
	global_load_dword v3, v[1:2], off
	s_mov_b64 s[0:1], 0
	s_branch .LBB340_438
.LBB340_436:
	s_mov_b64 s[0:1], -1
                                        ; implicit-def: $vgpr3
	s_branch .LBB340_441
.LBB340_437:
	s_mov_b64 s[0:1], -1
                                        ; implicit-def: $vgpr3
.LBB340_438:
	s_andn2_b64 vcc, exec, s[0:1]
	s_cbranch_vccnz .LBB340_440
; %bb.439:
	global_load_ushort v3, v[1:2], off
.LBB340_440:
	s_mov_b64 s[0:1], 0
.LBB340_441:
	s_andn2_b64 vcc, exec, s[0:1]
	s_cbranch_vccnz .LBB340_447
; %bb.442:
	global_load_ubyte v4, v[1:2], off
	s_movk_i32 s0, 0x7f
	s_mov_b64 s[8:9], 0
	s_waitcnt vmcnt(0)
	v_cmp_lt_i16_e32 vcc, s0, v4
	s_and_saveexec_b64 s[0:1], vcc
	s_xor_b64 s[0:1], exec, s[0:1]
	s_cbranch_execz .LBB340_459
; %bb.443:
	s_movk_i32 s8, 0x80
	v_cmp_ne_u16_e32 vcc, s8, v4
	s_and_b64 s[8:9], vcc, exec
	s_andn2_saveexec_b64 s[0:1], s[0:1]
	s_cbranch_execnz .LBB340_460
.LBB340_444:
	s_or_b64 exec, exec, s[0:1]
	v_mov_b32_e32 v3, 0
	s_and_saveexec_b64 s[0:1], s[8:9]
	s_cbranch_execz .LBB340_446
.LBB340_445:
	v_lshlrev_b32_e32 v3, 24, v4
	v_and_b32_e32 v4, 0xffff, v4
	v_and_b32_e32 v5, 7, v4
	v_ffbh_u32_e32 v7, v5
	v_min_u32_e32 v7, 32, v7
	v_subrev_u32_e32 v9, 28, v7
	v_bfe_u32 v6, v4, 3, 4
	v_lshlrev_b32_e32 v4, v9, v4
	v_sub_u32_e32 v7, 29, v7
	v_and_b32_e32 v4, 7, v4
	v_cmp_eq_u32_e32 vcc, 0, v6
	v_cndmask_b32_e32 v6, v6, v7, vcc
	v_cndmask_b32_e32 v4, v5, v4, vcc
	v_mov_b32_e32 v5, 0x3b800000
	v_lshlrev_b32_e32 v4, 20, v4
	v_and_b32_e32 v3, 0x80000000, v3
	v_lshl_add_u32 v5, v6, 23, v5
	v_or3_b32 v3, v3, v5, v4
	v_cvt_u32_f32_e32 v3, v3
.LBB340_446:
	s_or_b64 exec, exec, s[0:1]
.LBB340_447:
	s_mov_b64 s[0:1], -1
.LBB340_448:
	s_mov_b64 s[8:9], 0
.LBB340_449:
	s_and_b64 vcc, exec, s[8:9]
	s_cbranch_vccz .LBB340_482
; %bb.450:
	s_cmp_gt_i32 s10, 22
	s_cbranch_scc0 .LBB340_458
; %bb.451:
	s_cmp_lt_i32 s10, 24
	s_cbranch_scc1 .LBB340_461
; %bb.452:
	s_cmp_gt_i32 s10, 24
	s_cbranch_scc0 .LBB340_462
; %bb.453:
	global_load_ubyte v4, v[1:2], off
	s_movk_i32 s0, 0x7f
	s_mov_b64 s[8:9], 0
	s_waitcnt vmcnt(0)
	v_cmp_lt_i16_e32 vcc, s0, v4
	s_and_saveexec_b64 s[0:1], vcc
	s_xor_b64 s[0:1], exec, s[0:1]
	s_cbranch_execz .LBB340_474
; %bb.454:
	s_movk_i32 s8, 0x80
	v_cmp_ne_u16_e32 vcc, s8, v4
	s_and_b64 s[8:9], vcc, exec
	s_andn2_saveexec_b64 s[0:1], s[0:1]
	s_cbranch_execnz .LBB340_475
.LBB340_455:
	s_or_b64 exec, exec, s[0:1]
	v_mov_b32_e32 v3, 0
	s_and_saveexec_b64 s[0:1], s[8:9]
	s_cbranch_execz .LBB340_457
.LBB340_456:
	v_lshlrev_b32_e32 v3, 24, v4
	v_and_b32_e32 v4, 0xffff, v4
	v_and_b32_e32 v5, 3, v4
	v_ffbh_u32_e32 v7, v5
	v_min_u32_e32 v7, 32, v7
	v_subrev_u32_e32 v9, 29, v7
	v_bfe_u32 v6, v4, 2, 5
	v_lshlrev_b32_e32 v4, v9, v4
	v_sub_u32_e32 v7, 30, v7
	v_and_b32_e32 v4, 3, v4
	v_cmp_eq_u32_e32 vcc, 0, v6
	v_cndmask_b32_e32 v6, v6, v7, vcc
	v_cndmask_b32_e32 v4, v5, v4, vcc
	v_mov_b32_e32 v5, 0x37800000
	v_lshlrev_b32_e32 v4, 21, v4
	v_and_b32_e32 v3, 0x80000000, v3
	v_lshl_add_u32 v5, v6, 23, v5
	v_or3_b32 v3, v3, v5, v4
	v_cvt_u32_f32_e32 v3, v3
.LBB340_457:
	s_or_b64 exec, exec, s[0:1]
	s_mov_b64 s[0:1], 0
	s_branch .LBB340_463
.LBB340_458:
	s_mov_b64 s[8:9], -1
                                        ; implicit-def: $vgpr3
	s_branch .LBB340_469
.LBB340_459:
	s_andn2_saveexec_b64 s[0:1], s[0:1]
	s_cbranch_execz .LBB340_444
.LBB340_460:
	v_cmp_ne_u16_e32 vcc, 0, v4
	s_andn2_b64 s[8:9], s[8:9], exec
	s_and_b64 s[12:13], vcc, exec
	s_or_b64 s[8:9], s[8:9], s[12:13]
	s_or_b64 exec, exec, s[0:1]
	v_mov_b32_e32 v3, 0
	s_and_saveexec_b64 s[0:1], s[8:9]
	s_cbranch_execnz .LBB340_445
	s_branch .LBB340_446
.LBB340_461:
	s_mov_b64 s[0:1], -1
                                        ; implicit-def: $vgpr3
	s_branch .LBB340_466
.LBB340_462:
	s_mov_b64 s[0:1], -1
                                        ; implicit-def: $vgpr3
.LBB340_463:
	s_and_b64 vcc, exec, s[0:1]
	s_cbranch_vccz .LBB340_465
; %bb.464:
	global_load_ubyte v3, v[1:2], off
	s_mov_b32 s0, 0x7f800000
	s_waitcnt vmcnt(0)
	v_lshlrev_b32_e32 v3, 24, v3
	v_and_b32_e32 v4, 0x7f000000, v3
	v_ffbh_u32_e32 v5, v4
	v_min_u32_e32 v5, 32, v5
	v_sub_u32_e64 v5, v5, 4 clamp
	v_lshlrev_b32_e32 v7, v5, v4
	v_lshlrev_b32_e32 v5, 23, v5
	v_lshrrev_b32_e32 v7, 4, v7
	v_add_u32_e32 v6, 0x1000000, v4
	v_sub_u32_e32 v5, v7, v5
	v_ashrrev_i32_e32 v6, 8, v6
	v_add_u32_e32 v5, 0x3c000000, v5
	v_and_or_b32 v5, v6, s0, v5
	v_cmp_ne_u32_e32 vcc, 0, v4
	v_cndmask_b32_e32 v4, 0, v5, vcc
	s_brev_b32 s0, 1
	v_and_or_b32 v3, v3, s0, v4
	v_cvt_u32_f32_e32 v3, v3
.LBB340_465:
	s_mov_b64 s[0:1], 0
.LBB340_466:
	s_andn2_b64 vcc, exec, s[0:1]
	s_cbranch_vccnz .LBB340_468
; %bb.467:
	global_load_ubyte v3, v[1:2], off
	s_movk_i32 s0, 0x7f00
	s_brev_b32 s1, 16
	s_waitcnt vmcnt(0)
	v_lshlrev_b16_e32 v4, 8, v3
	v_lshlrev_b32_e32 v3, 25, v3
	v_lshrrev_b32_e32 v5, 4, v3
	v_and_or_b32 v6, v4, s0, 0.5
	v_or_b32_e32 v5, 0x70000000, v5
	v_add_f32_e32 v6, -0.5, v6
	v_mul_f32_e32 v5, 0x7800000, v5
	v_cmp_gt_u32_e32 vcc, s1, v3
	v_bfe_i32 v4, v4, 0, 16
	v_cndmask_b32_e32 v3, v5, v6, vcc
	s_brev_b32 s0, 1
	v_and_or_b32 v3, v4, s0, v3
	v_cvt_u32_f32_e32 v3, v3
.LBB340_468:
	s_mov_b64 s[8:9], 0
	s_mov_b64 s[0:1], -1
.LBB340_469:
	s_andn2_b64 vcc, exec, s[8:9]
	s_cbranch_vccnz .LBB340_482
; %bb.470:
	s_cmp_gt_i32 s10, 14
	s_cbranch_scc0 .LBB340_473
; %bb.471:
	s_cmp_eq_u32 s10, 15
	s_cbranch_scc0 .LBB340_476
; %bb.472:
	global_load_ushort v3, v[1:2], off
	s_mov_b64 s[0:1], -1
	s_mov_b64 s[2:3], 0
	s_waitcnt vmcnt(0)
	v_lshlrev_b32_e32 v3, 16, v3
	v_cvt_u32_f32_e32 v3, v3
	s_branch .LBB340_477
.LBB340_473:
	s_mov_b64 s[8:9], -1
                                        ; implicit-def: $vgpr3
	s_branch .LBB340_478
.LBB340_474:
	s_andn2_saveexec_b64 s[0:1], s[0:1]
	s_cbranch_execz .LBB340_455
.LBB340_475:
	v_cmp_ne_u16_e32 vcc, 0, v4
	s_andn2_b64 s[8:9], s[8:9], exec
	s_and_b64 s[12:13], vcc, exec
	s_or_b64 s[8:9], s[8:9], s[12:13]
	s_or_b64 exec, exec, s[0:1]
	v_mov_b32_e32 v3, 0
	s_and_saveexec_b64 s[0:1], s[8:9]
	s_cbranch_execnz .LBB340_456
	s_branch .LBB340_457
.LBB340_476:
	s_mov_b64 s[2:3], -1
                                        ; implicit-def: $vgpr3
.LBB340_477:
	s_mov_b64 s[8:9], 0
.LBB340_478:
	s_and_b64 vcc, exec, s[8:9]
	s_cbranch_vccz .LBB340_482
; %bb.479:
	s_cmp_eq_u32 s10, 11
	s_cbranch_scc0 .LBB340_481
; %bb.480:
	global_load_ubyte v3, v[1:2], off
	s_mov_b64 s[0:1], -1
	s_mov_b64 s[2:3], 0
	s_waitcnt vmcnt(0)
	v_cmp_ne_u16_e32 vcc, 0, v3
	v_cndmask_b32_e64 v3, 0, 1, vcc
	s_branch .LBB340_482
.LBB340_481:
	s_mov_b64 s[2:3], -1
                                        ; implicit-def: $vgpr3
.LBB340_482:
	s_branch .LBB340_289
.LBB340_483:
	s_cmp_lt_i32 s10, 5
	s_cbranch_scc1 .LBB340_488
; %bb.484:
	s_cmp_lt_i32 s10, 8
	s_cbranch_scc1 .LBB340_489
; %bb.485:
	;; [unrolled: 3-line block ×3, first 2 shown]
	s_cmp_gt_i32 s10, 9
	s_cbranch_scc0 .LBB340_491
; %bb.487:
	global_load_dwordx2 v[3:4], v[1:2], off
	s_mov_b64 s[0:1], 0
	s_waitcnt vmcnt(0)
	v_cvt_u32_f64_e32 v3, v[3:4]
	s_branch .LBB340_492
.LBB340_488:
	s_mov_b64 s[0:1], -1
                                        ; implicit-def: $vgpr3
	s_branch .LBB340_510
.LBB340_489:
	s_mov_b64 s[0:1], -1
                                        ; implicit-def: $vgpr3
	s_branch .LBB340_498
.LBB340_490:
	s_mov_b64 s[0:1], -1
                                        ; implicit-def: $vgpr3
	s_branch .LBB340_495
.LBB340_491:
	s_mov_b64 s[0:1], -1
                                        ; implicit-def: $vgpr3
.LBB340_492:
	s_andn2_b64 vcc, exec, s[0:1]
	s_cbranch_vccnz .LBB340_494
; %bb.493:
	global_load_dword v3, v[1:2], off
	s_waitcnt vmcnt(0)
	v_cvt_u32_f32_e32 v3, v3
.LBB340_494:
	s_mov_b64 s[0:1], 0
.LBB340_495:
	s_andn2_b64 vcc, exec, s[0:1]
	s_cbranch_vccnz .LBB340_497
; %bb.496:
	global_load_dword v3, v[1:2], off
	s_waitcnt vmcnt(0)
	v_cvt_u16_f16_e32 v3, v3
.LBB340_497:
	s_mov_b64 s[0:1], 0
.LBB340_498:
	s_andn2_b64 vcc, exec, s[0:1]
	s_cbranch_vccnz .LBB340_509
; %bb.499:
	s_cmp_lt_i32 s10, 6
	s_cbranch_scc1 .LBB340_502
; %bb.500:
	s_cmp_gt_i32 s10, 6
	s_cbranch_scc0 .LBB340_503
; %bb.501:
	global_load_dwordx2 v[3:4], v[1:2], off
	s_mov_b64 s[0:1], 0
	s_waitcnt vmcnt(0)
	v_cvt_u32_f64_e32 v3, v[3:4]
	s_branch .LBB340_504
.LBB340_502:
	s_mov_b64 s[0:1], -1
                                        ; implicit-def: $vgpr3
	s_branch .LBB340_507
.LBB340_503:
	s_mov_b64 s[0:1], -1
                                        ; implicit-def: $vgpr3
.LBB340_504:
	s_andn2_b64 vcc, exec, s[0:1]
	s_cbranch_vccnz .LBB340_506
; %bb.505:
	global_load_dword v3, v[1:2], off
	s_waitcnt vmcnt(0)
	v_cvt_u32_f32_e32 v3, v3
.LBB340_506:
	s_mov_b64 s[0:1], 0
.LBB340_507:
	s_andn2_b64 vcc, exec, s[0:1]
	s_cbranch_vccnz .LBB340_509
; %bb.508:
	global_load_ushort v3, v[1:2], off
	s_waitcnt vmcnt(0)
	v_cvt_u16_f16_e32 v3, v3
.LBB340_509:
	s_mov_b64 s[0:1], 0
.LBB340_510:
	s_andn2_b64 vcc, exec, s[0:1]
	s_cbranch_vccnz .LBB340_530
; %bb.511:
	s_cmp_lt_i32 s10, 2
	s_cbranch_scc1 .LBB340_515
; %bb.512:
	s_cmp_lt_i32 s10, 3
	s_cbranch_scc1 .LBB340_516
; %bb.513:
	s_cmp_gt_i32 s10, 3
	s_cbranch_scc0 .LBB340_517
; %bb.514:
	global_load_dwordx2 v[3:4], v[1:2], off
	s_mov_b64 s[0:1], 0
	s_branch .LBB340_518
.LBB340_515:
	s_mov_b64 s[0:1], -1
                                        ; implicit-def: $vgpr3
	s_branch .LBB340_524
.LBB340_516:
	s_mov_b64 s[0:1], -1
                                        ; implicit-def: $vgpr3
	s_branch .LBB340_521
.LBB340_517:
	s_mov_b64 s[0:1], -1
                                        ; implicit-def: $vgpr3
.LBB340_518:
	s_andn2_b64 vcc, exec, s[0:1]
	s_cbranch_vccnz .LBB340_520
; %bb.519:
	global_load_dword v3, v[1:2], off
.LBB340_520:
	s_mov_b64 s[0:1], 0
.LBB340_521:
	s_andn2_b64 vcc, exec, s[0:1]
	s_cbranch_vccnz .LBB340_523
; %bb.522:
	global_load_ushort v3, v[1:2], off
.LBB340_523:
	s_mov_b64 s[0:1], 0
.LBB340_524:
	s_andn2_b64 vcc, exec, s[0:1]
	s_cbranch_vccnz .LBB340_530
; %bb.525:
	s_cmp_gt_i32 s10, 0
	s_cbranch_scc0 .LBB340_527
; %bb.526:
	global_load_sbyte v3, v[1:2], off
	s_mov_b64 s[0:1], 0
	s_branch .LBB340_528
.LBB340_527:
	s_mov_b64 s[0:1], -1
                                        ; implicit-def: $vgpr3
.LBB340_528:
	s_andn2_b64 vcc, exec, s[0:1]
	s_cbranch_vccnz .LBB340_530
; %bb.529:
	global_load_ubyte v3, v[1:2], off
.LBB340_530:
	s_branch .LBB340_290
.LBB340_531:
	s_mov_b64 s[8:9], 0
	s_mov_b64 s[0:1], s[56:57]
.LBB340_532:
                                        ; implicit-def: $vgpr8
.LBB340_533:
	s_andn2_b64 s[10:11], s[56:57], exec
	s_and_b64 s[0:1], s[0:1], exec
	s_or_b64 s[64:65], s[10:11], s[0:1]
	s_andn2_b64 s[0:1], s[58:59], exec
	s_and_b64 s[2:3], s[2:3], exec
	s_or_b64 s[62:63], s[0:1], s[2:3]
	s_orn2_b64 s[0:1], s[8:9], exec
.LBB340_534:
	s_or_b64 exec, exec, s[66:67]
	s_mov_b64 s[2:3], 0
	s_mov_b64 s[8:9], 0
	;; [unrolled: 1-line block ×3, first 2 shown]
                                        ; implicit-def: $vgpr1_vgpr2
                                        ; implicit-def: $vgpr0
                                        ; implicit-def: $vgpr3
	s_and_saveexec_b64 s[66:67], s[0:1]
	s_cbranch_execz .LBB340_901
; %bb.535:
	v_cmp_gt_i32_e32 vcc, s74, v8
	s_mov_b64 s[2:3], -1
	s_mov_b64 s[70:71], s[62:63]
	s_mov_b64 s[72:73], s[64:65]
	s_and_saveexec_b64 s[68:69], vcc
	s_cbranch_execz .LBB340_805
; %bb.536:
	s_andn2_b64 vcc, exec, s[40:41]
	s_cbranch_vccnz .LBB340_541
; %bb.537:
	s_andn2_b64 vcc, exec, s[54:55]
	s_cbranch_vccnz .LBB340_542
; %bb.538:
	s_add_i32 s75, s79, 1
	s_cmp_eq_u32 s76, 2
	s_cbranch_scc1 .LBB340_543
; %bb.539:
	s_and_b32 s44, s75, 28
	v_mov_b32_e32 v2, 0
	s_mov_b32 s80, 0
	s_mov_b64 s[70:71], s[34:35]
	s_mov_b64 s[72:73], s[52:53]
	v_mov_b32_e32 v0, 0
	v_mov_b32_e32 v1, v8
.LBB340_540:                            ; =>This Inner Loop Header: Depth=1
	s_load_dwordx8 s[16:23], s[70:71], 0x4
	s_load_dwordx4 s[0:3], s[70:71], 0x24
	s_load_dwordx8 s[8:15], s[72:73], 0x0
	s_add_u32 s70, s70, 48
	s_addc_u32 s71, s71, 0
	s_waitcnt vmcnt(0) lgkmcnt(0)
	v_mul_hi_u32 v3, s17, v1
	s_add_i32 s80, s80, 4
	s_add_u32 s72, s72, 32
	s_addc_u32 s73, s73, 0
	v_add_u32_e32 v3, v1, v3
	v_lshrrev_b32_e32 v3, s18, v3
	v_mul_lo_u32 v4, v3, s16
	v_mul_hi_u32 v5, s20, v3
	s_cmp_eq_u32 s44, s80
	v_sub_u32_e32 v1, v1, v4
	v_add_u32_e32 v4, v3, v5
	v_mul_lo_u32 v5, v1, s8
	v_mul_lo_u32 v6, v1, s9
	v_lshrrev_b32_e32 v1, s21, v4
	v_mul_lo_u32 v4, v1, s19
	v_mul_hi_u32 v7, s23, v1
	v_sub_u32_e32 v3, v3, v4
	v_add_u32_e32 v4, v1, v7
	v_lshrrev_b32_e32 v4, s0, v4
	v_mul_hi_u32 v9, s2, v4
	v_mul_lo_u32 v10, v4, s22
	v_mul_lo_u32 v7, v3, s10
	;; [unrolled: 1-line block ×3, first 2 shown]
	v_sub_u32_e32 v10, v1, v10
	v_add_u32_e32 v1, v4, v9
	v_lshrrev_b32_e32 v1, s3, v1
	v_mul_lo_u32 v9, v1, s1
	v_mul_lo_u32 v11, v10, s12
	;; [unrolled: 1-line block ×3, first 2 shown]
	v_add3_u32 v0, v5, v0, v7
	v_sub_u32_e32 v4, v4, v9
	v_mul_lo_u32 v9, v4, s14
	v_mul_lo_u32 v4, v4, s15
	v_add3_u32 v2, v6, v2, v3
	v_add3_u32 v0, v11, v0, v9
	v_add3_u32 v2, v10, v2, v4
	s_cbranch_scc0 .LBB340_540
	s_branch .LBB340_544
.LBB340_541:
	s_mov_b64 s[0:1], -1
                                        ; implicit-def: $vgpr0
                                        ; implicit-def: $vgpr2
	s_branch .LBB340_548
.LBB340_542:
	v_mov_b32_e32 v0, 0
	v_mov_b32_e32 v2, 0
	s_branch .LBB340_547
.LBB340_543:
	s_mov_b32 s44, 0
	v_mov_b32_e32 v0, 0
	v_mov_b32_e32 v2, 0
	;; [unrolled: 1-line block ×3, first 2 shown]
.LBB340_544:
	s_and_b32 s8, s75, 3
	s_cmp_eq_u32 s8, 0
	s_cbranch_scc1 .LBB340_547
; %bb.545:
	s_lshl_b32 s0, s44, 3
	s_add_u32 s0, s34, s0
	s_addc_u32 s1, s35, 0
	s_add_u32 s0, s0, 0xc4
	s_addc_u32 s1, s1, 0
	s_mul_i32 s2, s44, 12
	s_add_u32 s2, s34, s2
	s_addc_u32 s3, s35, 0
.LBB340_546:                            ; =>This Inner Loop Header: Depth=1
	s_load_dwordx2 s[10:11], s[2:3], 0x4
	s_load_dword s9, s[2:3], 0xc
	s_load_dwordx2 s[12:13], s[0:1], 0x0
	s_add_u32 s2, s2, 12
	s_addc_u32 s3, s3, 0
	s_waitcnt vmcnt(0) lgkmcnt(0)
	v_mul_hi_u32 v3, s11, v1
	s_add_u32 s0, s0, 8
	s_addc_u32 s1, s1, 0
	s_add_i32 s8, s8, -1
	v_add_u32_e32 v3, v1, v3
	v_lshrrev_b32_e32 v4, s9, v3
	v_mul_lo_u32 v3, v4, s10
	s_cmp_lg_u32 s8, 0
	v_sub_u32_e32 v3, v1, v3
	v_mad_u64_u32 v[0:1], s[10:11], v3, s12, v[0:1]
	v_mad_u64_u32 v[2:3], s[10:11], v3, s13, v[2:3]
	v_mov_b32_e32 v1, v4
	s_cbranch_scc1 .LBB340_546
.LBB340_547:
	s_mov_b64 s[0:1], 0
.LBB340_548:
	s_andn2_b64 vcc, exec, s[0:1]
	s_cbranch_vccnz .LBB340_551
; %bb.549:
	v_mul_hi_u32 v0, s29, v8
	s_andn2_b64 vcc, exec, s[50:51]
	v_add_u32_e32 v0, v8, v0
	v_lshrrev_b32_e32 v1, s30, v0
	v_mul_lo_u32 v0, v1, s28
	v_sub_u32_e32 v2, v8, v0
	v_mul_lo_u32 v0, v2, s36
	v_mul_lo_u32 v2, v2, s37
	s_cbranch_vccnz .LBB340_551
; %bb.550:
	s_waitcnt vmcnt(0)
	v_mul_hi_u32 v3, s48, v1
	v_add_u32_e32 v3, v1, v3
	v_lshrrev_b32_e32 v3, s49, v3
	v_mul_lo_u32 v3, v3, s31
	v_sub_u32_e32 v3, v1, v3
	v_mad_u64_u32 v[0:1], s[0:1], v3, s38, v[0:1]
	v_mad_u64_u32 v[2:3], s[0:1], v3, s39, v[2:3]
.LBB340_551:
	s_waitcnt vmcnt(0)
	v_mov_b32_e32 v3, s27
	s_and_b32 s10, 0xffff, s78
	v_add_co_u32_e32 v1, vcc, s26, v2
	s_cmp_lt_i32 s10, 11
	v_addc_co_u32_e32 v2, vcc, 0, v3, vcc
	s_cbranch_scc1 .LBB340_558
; %bb.552:
	s_cmp_gt_i32 s10, 25
	s_cbranch_scc0 .LBB340_559
; %bb.553:
	s_cmp_gt_i32 s10, 28
	s_cbranch_scc0 .LBB340_560
; %bb.554:
	s_cmp_gt_i32 s10, 43
	s_cbranch_scc0 .LBB340_561
; %bb.555:
	s_cmp_gt_i32 s10, 45
	s_cbranch_scc0 .LBB340_564
; %bb.556:
	s_cmp_eq_u32 s10, 46
	s_mov_b64 s[8:9], 0
	s_cbranch_scc0 .LBB340_567
; %bb.557:
	global_load_dword v3, v[1:2], off
	s_mov_b64 s[0:1], -1
	s_mov_b64 s[2:3], 0
	s_waitcnt vmcnt(0)
	v_lshlrev_b32_e32 v3, 16, v3
	v_cvt_u32_f32_e32 v3, v3
	s_branch .LBB340_568
.LBB340_558:
	s_mov_b64 s[8:9], -1
	s_mov_b64 s[0:1], 0
                                        ; implicit-def: $vgpr3
	s_mov_b64 s[2:3], s[62:63]
	s_branch .LBB340_629
.LBB340_559:
	s_mov_b64 s[8:9], -1
	s_mov_b64 s[0:1], 0
	s_mov_b64 s[2:3], s[62:63]
                                        ; implicit-def: $vgpr3
	s_branch .LBB340_595
.LBB340_560:
	s_mov_b64 s[8:9], -1
	s_mov_b64 s[0:1], 0
	s_mov_b64 s[2:3], s[62:63]
                                        ; implicit-def: $vgpr3
	s_branch .LBB340_578
.LBB340_561:
	s_mov_b64 s[8:9], -1
	s_mov_b64 s[0:1], 0
	s_mov_b64 s[2:3], s[62:63]
                                        ; implicit-def: $vgpr3
	s_branch .LBB340_573
.LBB340_562:
	s_andn2_saveexec_b64 s[14:15], s[14:15]
	s_cbranch_execz .LBB340_335
.LBB340_563:
	v_add_f32_e32 v2, 0x46000000, v3
	v_and_b32_e32 v2, 0xff, v2
	v_cmp_ne_u32_e32 vcc, 0, v2
	s_andn2_b64 s[12:13], s[12:13], exec
	s_and_b64 s[18:19], vcc, exec
	s_or_b64 s[12:13], s[12:13], s[18:19]
	s_or_b64 exec, exec, s[14:15]
	v_mov_b32_e32 v4, 0
	s_and_saveexec_b64 s[14:15], s[12:13]
	s_cbranch_execnz .LBB340_336
	s_branch .LBB340_337
.LBB340_564:
	s_mov_b64 s[8:9], -1
	s_mov_b64 s[0:1], 0
	s_mov_b64 s[2:3], s[62:63]
                                        ; implicit-def: $vgpr3
	s_branch .LBB340_568
.LBB340_565:
	s_andn2_saveexec_b64 s[14:15], s[14:15]
	s_cbranch_execz .LBB340_348
.LBB340_566:
	v_add_f32_e32 v2, 0x42800000, v3
	v_and_b32_e32 v2, 0xff, v2
	v_cmp_ne_u32_e32 vcc, 0, v2
	s_andn2_b64 s[12:13], s[12:13], exec
	s_and_b64 s[18:19], vcc, exec
	s_or_b64 s[12:13], s[12:13], s[18:19]
	s_or_b64 exec, exec, s[14:15]
	v_mov_b32_e32 v4, 0
	s_and_saveexec_b64 s[14:15], s[12:13]
	s_cbranch_execnz .LBB340_349
	s_branch .LBB340_350
.LBB340_567:
	s_mov_b64 s[2:3], -1
                                        ; implicit-def: $vgpr3
	s_mov_b64 s[0:1], 0
.LBB340_568:
	s_and_b64 vcc, exec, s[8:9]
	s_cbranch_vccz .LBB340_572
; %bb.569:
	s_cmp_eq_u32 s10, 44
	s_cbranch_scc0 .LBB340_571
; %bb.570:
	global_load_ubyte v3, v[1:2], off
	s_mov_b64 s[0:1], -1
	s_mov_b64 s[2:3], 0
	s_waitcnt vmcnt(0)
	v_lshlrev_b32_e32 v4, 23, v3
	v_cvt_u32_f32_e32 v4, v4
	v_cmp_ne_u32_e32 vcc, 0, v3
	v_cndmask_b32_e32 v3, 0, v4, vcc
	s_branch .LBB340_572
.LBB340_571:
	s_mov_b64 s[2:3], -1
                                        ; implicit-def: $vgpr3
.LBB340_572:
	s_mov_b64 s[8:9], 0
.LBB340_573:
	s_and_b64 vcc, exec, s[8:9]
	s_cbranch_vccz .LBB340_577
; %bb.574:
	s_cmp_eq_u32 s10, 29
	s_cbranch_scc0 .LBB340_576
; %bb.575:
	global_load_dwordx2 v[3:4], v[1:2], off
	s_mov_b64 s[0:1], -1
	s_mov_b64 s[2:3], 0
	s_branch .LBB340_577
.LBB340_576:
	s_mov_b64 s[2:3], -1
                                        ; implicit-def: $vgpr3
.LBB340_577:
	s_mov_b64 s[8:9], 0
.LBB340_578:
	s_and_b64 vcc, exec, s[8:9]
	s_cbranch_vccz .LBB340_594
; %bb.579:
	s_cmp_lt_i32 s10, 27
	s_cbranch_scc1 .LBB340_582
; %bb.580:
	s_cmp_gt_i32 s10, 27
	s_cbranch_scc0 .LBB340_583
; %bb.581:
	global_load_dword v3, v[1:2], off
	s_mov_b64 s[0:1], 0
	s_branch .LBB340_584
.LBB340_582:
	s_mov_b64 s[0:1], -1
                                        ; implicit-def: $vgpr3
	s_branch .LBB340_587
.LBB340_583:
	s_mov_b64 s[0:1], -1
                                        ; implicit-def: $vgpr3
.LBB340_584:
	s_andn2_b64 vcc, exec, s[0:1]
	s_cbranch_vccnz .LBB340_586
; %bb.585:
	global_load_ushort v3, v[1:2], off
.LBB340_586:
	s_mov_b64 s[0:1], 0
.LBB340_587:
	s_andn2_b64 vcc, exec, s[0:1]
	s_cbranch_vccnz .LBB340_593
; %bb.588:
	global_load_ubyte v4, v[1:2], off
	s_movk_i32 s0, 0x7f
	s_mov_b64 s[8:9], 0
	s_waitcnt vmcnt(0)
	v_cmp_lt_i16_e32 vcc, s0, v4
	s_and_saveexec_b64 s[0:1], vcc
	s_xor_b64 s[0:1], exec, s[0:1]
	s_cbranch_execz .LBB340_605
; %bb.589:
	s_movk_i32 s8, 0x80
	v_cmp_ne_u16_e32 vcc, s8, v4
	s_and_b64 s[8:9], vcc, exec
	s_andn2_saveexec_b64 s[0:1], s[0:1]
	s_cbranch_execnz .LBB340_606
.LBB340_590:
	s_or_b64 exec, exec, s[0:1]
	v_mov_b32_e32 v3, 0
	s_and_saveexec_b64 s[0:1], s[8:9]
	s_cbranch_execz .LBB340_592
.LBB340_591:
	v_lshlrev_b32_e32 v3, 24, v4
	v_and_b32_e32 v4, 0xffff, v4
	v_and_b32_e32 v5, 7, v4
	v_ffbh_u32_e32 v7, v5
	v_min_u32_e32 v7, 32, v7
	v_subrev_u32_e32 v9, 28, v7
	v_bfe_u32 v6, v4, 3, 4
	v_lshlrev_b32_e32 v4, v9, v4
	v_sub_u32_e32 v7, 29, v7
	v_and_b32_e32 v4, 7, v4
	v_cmp_eq_u32_e32 vcc, 0, v6
	v_cndmask_b32_e32 v6, v6, v7, vcc
	v_cndmask_b32_e32 v4, v5, v4, vcc
	v_mov_b32_e32 v5, 0x3b800000
	v_lshlrev_b32_e32 v4, 20, v4
	v_and_b32_e32 v3, 0x80000000, v3
	v_lshl_add_u32 v5, v6, 23, v5
	v_or3_b32 v3, v3, v5, v4
	v_cvt_u32_f32_e32 v3, v3
.LBB340_592:
	s_or_b64 exec, exec, s[0:1]
.LBB340_593:
	s_mov_b64 s[0:1], -1
.LBB340_594:
	s_mov_b64 s[8:9], 0
.LBB340_595:
	s_and_b64 vcc, exec, s[8:9]
	s_cbranch_vccz .LBB340_628
; %bb.596:
	s_cmp_gt_i32 s10, 22
	s_cbranch_scc0 .LBB340_604
; %bb.597:
	s_cmp_lt_i32 s10, 24
	s_cbranch_scc1 .LBB340_607
; %bb.598:
	s_cmp_gt_i32 s10, 24
	s_cbranch_scc0 .LBB340_608
; %bb.599:
	global_load_ubyte v4, v[1:2], off
	s_movk_i32 s0, 0x7f
	s_mov_b64 s[8:9], 0
	s_waitcnt vmcnt(0)
	v_cmp_lt_i16_e32 vcc, s0, v4
	s_and_saveexec_b64 s[0:1], vcc
	s_xor_b64 s[0:1], exec, s[0:1]
	s_cbranch_execz .LBB340_620
; %bb.600:
	s_movk_i32 s8, 0x80
	v_cmp_ne_u16_e32 vcc, s8, v4
	s_and_b64 s[8:9], vcc, exec
	s_andn2_saveexec_b64 s[0:1], s[0:1]
	s_cbranch_execnz .LBB340_621
.LBB340_601:
	s_or_b64 exec, exec, s[0:1]
	v_mov_b32_e32 v3, 0
	s_and_saveexec_b64 s[0:1], s[8:9]
	s_cbranch_execz .LBB340_603
.LBB340_602:
	v_lshlrev_b32_e32 v3, 24, v4
	v_and_b32_e32 v4, 0xffff, v4
	v_and_b32_e32 v5, 3, v4
	v_ffbh_u32_e32 v7, v5
	v_min_u32_e32 v7, 32, v7
	v_subrev_u32_e32 v9, 29, v7
	v_bfe_u32 v6, v4, 2, 5
	v_lshlrev_b32_e32 v4, v9, v4
	v_sub_u32_e32 v7, 30, v7
	v_and_b32_e32 v4, 3, v4
	v_cmp_eq_u32_e32 vcc, 0, v6
	v_cndmask_b32_e32 v6, v6, v7, vcc
	v_cndmask_b32_e32 v4, v5, v4, vcc
	v_mov_b32_e32 v5, 0x37800000
	v_lshlrev_b32_e32 v4, 21, v4
	v_and_b32_e32 v3, 0x80000000, v3
	v_lshl_add_u32 v5, v6, 23, v5
	v_or3_b32 v3, v3, v5, v4
	v_cvt_u32_f32_e32 v3, v3
.LBB340_603:
	s_or_b64 exec, exec, s[0:1]
	s_mov_b64 s[0:1], 0
	s_branch .LBB340_609
.LBB340_604:
	s_mov_b64 s[8:9], -1
                                        ; implicit-def: $vgpr3
	s_branch .LBB340_615
.LBB340_605:
	s_andn2_saveexec_b64 s[0:1], s[0:1]
	s_cbranch_execz .LBB340_590
.LBB340_606:
	v_cmp_ne_u16_e32 vcc, 0, v4
	s_andn2_b64 s[8:9], s[8:9], exec
	s_and_b64 s[12:13], vcc, exec
	s_or_b64 s[8:9], s[8:9], s[12:13]
	s_or_b64 exec, exec, s[0:1]
	v_mov_b32_e32 v3, 0
	s_and_saveexec_b64 s[0:1], s[8:9]
	s_cbranch_execnz .LBB340_591
	s_branch .LBB340_592
.LBB340_607:
	s_mov_b64 s[0:1], -1
                                        ; implicit-def: $vgpr3
	s_branch .LBB340_612
.LBB340_608:
	s_mov_b64 s[0:1], -1
                                        ; implicit-def: $vgpr3
.LBB340_609:
	s_and_b64 vcc, exec, s[0:1]
	s_cbranch_vccz .LBB340_611
; %bb.610:
	global_load_ubyte v3, v[1:2], off
	s_mov_b32 s0, 0x7f800000
	s_waitcnt vmcnt(0)
	v_lshlrev_b32_e32 v3, 24, v3
	v_and_b32_e32 v4, 0x7f000000, v3
	v_ffbh_u32_e32 v5, v4
	v_min_u32_e32 v5, 32, v5
	v_sub_u32_e64 v5, v5, 4 clamp
	v_lshlrev_b32_e32 v7, v5, v4
	v_lshlrev_b32_e32 v5, 23, v5
	v_lshrrev_b32_e32 v7, 4, v7
	v_add_u32_e32 v6, 0x1000000, v4
	v_sub_u32_e32 v5, v7, v5
	v_ashrrev_i32_e32 v6, 8, v6
	v_add_u32_e32 v5, 0x3c000000, v5
	v_and_or_b32 v5, v6, s0, v5
	v_cmp_ne_u32_e32 vcc, 0, v4
	v_cndmask_b32_e32 v4, 0, v5, vcc
	s_brev_b32 s0, 1
	v_and_or_b32 v3, v3, s0, v4
	v_cvt_u32_f32_e32 v3, v3
.LBB340_611:
	s_mov_b64 s[0:1], 0
.LBB340_612:
	s_andn2_b64 vcc, exec, s[0:1]
	s_cbranch_vccnz .LBB340_614
; %bb.613:
	global_load_ubyte v3, v[1:2], off
	s_movk_i32 s0, 0x7f00
	s_brev_b32 s1, 16
	s_waitcnt vmcnt(0)
	v_lshlrev_b16_e32 v4, 8, v3
	v_lshlrev_b32_e32 v3, 25, v3
	v_lshrrev_b32_e32 v5, 4, v3
	v_and_or_b32 v6, v4, s0, 0.5
	v_or_b32_e32 v5, 0x70000000, v5
	v_add_f32_e32 v6, -0.5, v6
	v_mul_f32_e32 v5, 0x7800000, v5
	v_cmp_gt_u32_e32 vcc, s1, v3
	v_bfe_i32 v4, v4, 0, 16
	v_cndmask_b32_e32 v3, v5, v6, vcc
	s_brev_b32 s0, 1
	v_and_or_b32 v3, v4, s0, v3
	v_cvt_u32_f32_e32 v3, v3
.LBB340_614:
	s_mov_b64 s[8:9], 0
	s_mov_b64 s[0:1], -1
.LBB340_615:
	s_andn2_b64 vcc, exec, s[8:9]
	s_cbranch_vccnz .LBB340_628
; %bb.616:
	s_cmp_gt_i32 s10, 14
	s_cbranch_scc0 .LBB340_619
; %bb.617:
	s_cmp_eq_u32 s10, 15
	s_cbranch_scc0 .LBB340_622
; %bb.618:
	global_load_ushort v3, v[1:2], off
	s_mov_b64 s[0:1], -1
	s_mov_b64 s[2:3], 0
	s_waitcnt vmcnt(0)
	v_lshlrev_b32_e32 v3, 16, v3
	v_cvt_u32_f32_e32 v3, v3
	s_branch .LBB340_623
.LBB340_619:
	s_mov_b64 s[8:9], -1
                                        ; implicit-def: $vgpr3
	s_branch .LBB340_624
.LBB340_620:
	s_andn2_saveexec_b64 s[0:1], s[0:1]
	s_cbranch_execz .LBB340_601
.LBB340_621:
	v_cmp_ne_u16_e32 vcc, 0, v4
	s_andn2_b64 s[8:9], s[8:9], exec
	s_and_b64 s[12:13], vcc, exec
	s_or_b64 s[8:9], s[8:9], s[12:13]
	s_or_b64 exec, exec, s[0:1]
	v_mov_b32_e32 v3, 0
	s_and_saveexec_b64 s[0:1], s[8:9]
	s_cbranch_execnz .LBB340_602
	s_branch .LBB340_603
.LBB340_622:
	s_mov_b64 s[2:3], -1
                                        ; implicit-def: $vgpr3
.LBB340_623:
	s_mov_b64 s[8:9], 0
.LBB340_624:
	s_and_b64 vcc, exec, s[8:9]
	s_cbranch_vccz .LBB340_628
; %bb.625:
	s_cmp_eq_u32 s10, 11
	s_cbranch_scc0 .LBB340_627
; %bb.626:
	global_load_ubyte v3, v[1:2], off
	s_mov_b64 s[0:1], -1
	s_mov_b64 s[2:3], 0
	s_waitcnt vmcnt(0)
	v_cmp_ne_u16_e32 vcc, 0, v3
	v_cndmask_b32_e64 v3, 0, 1, vcc
	s_branch .LBB340_628
.LBB340_627:
	s_mov_b64 s[2:3], -1
                                        ; implicit-def: $vgpr3
.LBB340_628:
	s_mov_b64 s[8:9], 0
.LBB340_629:
	s_and_b64 vcc, exec, s[8:9]
	s_cbranch_vccz .LBB340_678
; %bb.630:
	s_cmp_lt_i32 s10, 5
	s_cbranch_scc1 .LBB340_635
; %bb.631:
	s_cmp_lt_i32 s10, 8
	s_cbranch_scc1 .LBB340_636
	;; [unrolled: 3-line block ×3, first 2 shown]
; %bb.633:
	s_cmp_gt_i32 s10, 9
	s_cbranch_scc0 .LBB340_638
; %bb.634:
	global_load_dwordx2 v[3:4], v[1:2], off
	s_mov_b64 s[0:1], 0
	s_waitcnt vmcnt(0)
	v_cvt_u32_f64_e32 v3, v[3:4]
	s_branch .LBB340_639
.LBB340_635:
	s_mov_b64 s[0:1], -1
                                        ; implicit-def: $vgpr3
	s_branch .LBB340_657
.LBB340_636:
	s_mov_b64 s[0:1], -1
                                        ; implicit-def: $vgpr3
	s_branch .LBB340_645
.LBB340_637:
	s_mov_b64 s[0:1], -1
                                        ; implicit-def: $vgpr3
	s_branch .LBB340_642
.LBB340_638:
	s_mov_b64 s[0:1], -1
                                        ; implicit-def: $vgpr3
.LBB340_639:
	s_andn2_b64 vcc, exec, s[0:1]
	s_cbranch_vccnz .LBB340_641
; %bb.640:
	global_load_dword v3, v[1:2], off
	s_waitcnt vmcnt(0)
	v_cvt_u32_f32_e32 v3, v3
.LBB340_641:
	s_mov_b64 s[0:1], 0
.LBB340_642:
	s_andn2_b64 vcc, exec, s[0:1]
	s_cbranch_vccnz .LBB340_644
; %bb.643:
	global_load_dword v3, v[1:2], off
	s_waitcnt vmcnt(0)
	v_cvt_u16_f16_e32 v3, v3
.LBB340_644:
	s_mov_b64 s[0:1], 0
.LBB340_645:
	s_andn2_b64 vcc, exec, s[0:1]
	s_cbranch_vccnz .LBB340_656
; %bb.646:
	s_cmp_lt_i32 s10, 6
	s_cbranch_scc1 .LBB340_649
; %bb.647:
	s_cmp_gt_i32 s10, 6
	s_cbranch_scc0 .LBB340_650
; %bb.648:
	global_load_dwordx2 v[3:4], v[1:2], off
	s_mov_b64 s[0:1], 0
	s_waitcnt vmcnt(0)
	v_cvt_u32_f64_e32 v3, v[3:4]
	s_branch .LBB340_651
.LBB340_649:
	s_mov_b64 s[0:1], -1
                                        ; implicit-def: $vgpr3
	s_branch .LBB340_654
.LBB340_650:
	s_mov_b64 s[0:1], -1
                                        ; implicit-def: $vgpr3
.LBB340_651:
	s_andn2_b64 vcc, exec, s[0:1]
	s_cbranch_vccnz .LBB340_653
; %bb.652:
	global_load_dword v3, v[1:2], off
	s_waitcnt vmcnt(0)
	v_cvt_u32_f32_e32 v3, v3
.LBB340_653:
	s_mov_b64 s[0:1], 0
.LBB340_654:
	s_andn2_b64 vcc, exec, s[0:1]
	s_cbranch_vccnz .LBB340_656
; %bb.655:
	global_load_ushort v3, v[1:2], off
	s_waitcnt vmcnt(0)
	v_cvt_u16_f16_e32 v3, v3
.LBB340_656:
	s_mov_b64 s[0:1], 0
.LBB340_657:
	s_andn2_b64 vcc, exec, s[0:1]
	s_cbranch_vccnz .LBB340_677
; %bb.658:
	s_cmp_lt_i32 s10, 2
	s_cbranch_scc1 .LBB340_662
; %bb.659:
	s_cmp_lt_i32 s10, 3
	s_cbranch_scc1 .LBB340_663
; %bb.660:
	s_cmp_gt_i32 s10, 3
	s_cbranch_scc0 .LBB340_664
; %bb.661:
	global_load_dwordx2 v[3:4], v[1:2], off
	s_mov_b64 s[0:1], 0
	s_branch .LBB340_665
.LBB340_662:
	s_mov_b64 s[0:1], -1
                                        ; implicit-def: $vgpr3
	s_branch .LBB340_671
.LBB340_663:
	s_mov_b64 s[0:1], -1
                                        ; implicit-def: $vgpr3
	s_branch .LBB340_668
.LBB340_664:
	s_mov_b64 s[0:1], -1
                                        ; implicit-def: $vgpr3
.LBB340_665:
	s_andn2_b64 vcc, exec, s[0:1]
	s_cbranch_vccnz .LBB340_667
; %bb.666:
	global_load_dword v3, v[1:2], off
.LBB340_667:
	s_mov_b64 s[0:1], 0
.LBB340_668:
	s_andn2_b64 vcc, exec, s[0:1]
	s_cbranch_vccnz .LBB340_670
; %bb.669:
	global_load_ushort v3, v[1:2], off
.LBB340_670:
	s_mov_b64 s[0:1], 0
.LBB340_671:
	s_andn2_b64 vcc, exec, s[0:1]
	s_cbranch_vccnz .LBB340_677
; %bb.672:
	s_cmp_gt_i32 s10, 0
	s_cbranch_scc0 .LBB340_674
; %bb.673:
	global_load_sbyte v3, v[1:2], off
	s_mov_b64 s[0:1], 0
	s_branch .LBB340_675
.LBB340_674:
	s_mov_b64 s[0:1], -1
                                        ; implicit-def: $vgpr3
.LBB340_675:
	s_andn2_b64 vcc, exec, s[0:1]
	s_cbranch_vccnz .LBB340_677
; %bb.676:
	global_load_ubyte v3, v[1:2], off
.LBB340_677:
	s_mov_b64 s[0:1], -1
.LBB340_678:
	s_andn2_b64 vcc, exec, s[0:1]
	s_cbranch_vccnz .LBB340_686
; %bb.679:
	s_waitcnt vmcnt(0)
	v_cmp_ne_u16_e32 vcc, s45, v3
	s_xor_b64 s[8:9], s[46:47], vcc
	v_mov_b32_e32 v1, s25
	s_and_b32 s16, s77, 0xff
	v_add_co_u32_e32 v0, vcc, s24, v0
	s_cmp_lt_i32 s16, 11
	v_addc_co_u32_e32 v1, vcc, 0, v1, vcc
	s_cbranch_scc1 .LBB340_687
; %bb.680:
	s_and_b32 s17, 0xffff, s16
	s_cmp_gt_i32 s17, 25
	s_cbranch_scc0 .LBB340_688
; %bb.681:
	s_cmp_gt_i32 s17, 28
	s_cbranch_scc0 .LBB340_689
; %bb.682:
	s_cmp_gt_i32 s17, 43
	s_cbranch_scc0 .LBB340_690
; %bb.683:
	s_cmp_gt_i32 s17, 45
	s_cbranch_scc0 .LBB340_691
; %bb.684:
	s_mov_b64 s[12:13], 0
	s_mov_b64 s[0:1], -1
	s_cmp_eq_u32 s17, 46
	s_mov_b64 s[10:11], 0
	s_cbranch_scc0 .LBB340_692
; %bb.685:
	v_cndmask_b32_e64 v2, 0, 1.0, s[8:9]
	v_bfe_u32 v3, v2, 16, 1
	s_movk_i32 s0, 0x7fff
	v_add3_u32 v2, v2, v3, s0
	v_lshrrev_b32_e32 v2, 16, v2
	global_store_dword v[0:1], v2, off
	s_mov_b64 s[10:11], -1
	s_mov_b64 s[0:1], 0
	s_branch .LBB340_692
.LBB340_686:
	s_mov_b64 s[8:9], 0
	s_mov_b64 s[0:1], s[64:65]
	s_branch .LBB340_803
.LBB340_687:
	s_mov_b64 s[12:13], -1
	s_mov_b64 s[10:11], 0
	s_mov_b64 s[0:1], s[64:65]
	s_branch .LBB340_761
.LBB340_688:
	s_mov_b64 s[12:13], -1
	s_mov_b64 s[10:11], 0
	s_mov_b64 s[0:1], s[64:65]
	s_branch .LBB340_719
.LBB340_689:
	s_mov_b64 s[12:13], -1
	s_mov_b64 s[10:11], 0
	s_mov_b64 s[0:1], s[64:65]
	s_branch .LBB340_702
.LBB340_690:
	s_mov_b64 s[12:13], -1
	s_mov_b64 s[10:11], 0
	s_mov_b64 s[0:1], s[64:65]
	s_branch .LBB340_698
.LBB340_691:
	s_mov_b64 s[12:13], -1
	s_mov_b64 s[10:11], 0
	s_mov_b64 s[0:1], s[64:65]
.LBB340_692:
	s_and_b64 vcc, exec, s[12:13]
	s_cbranch_vccz .LBB340_697
; %bb.693:
	s_cmp_eq_u32 s17, 44
	s_mov_b64 s[0:1], -1
	s_cbranch_scc0 .LBB340_697
; %bb.694:
	v_cndmask_b32_e64 v3, 0, 1.0, s[8:9]
	v_lshrrev_b32_e32 v2, 23, v3
	s_movk_i32 s0, 0xff
	v_cmp_ne_u32_e32 vcc, s0, v2
	v_mov_b32_e32 v4, 0xff
	s_and_saveexec_b64 s[10:11], vcc
; %bb.695:
	s_mov_b32 s0, 0x3fffff
	v_and_b32_e32 v4, 0x400000, v3
	v_and_or_b32 v3, v3, s0, v2
	v_cmp_ne_u32_e32 vcc, 0, v4
	v_cmp_ne_u32_e64 s[0:1], 0, v3
	s_and_b64 s[0:1], vcc, s[0:1]
	v_cndmask_b32_e64 v3, 0, 1, s[0:1]
	v_add_u32_e32 v4, v2, v3
; %bb.696:
	s_or_b64 exec, exec, s[10:11]
	s_mov_b64 s[10:11], -1
	s_mov_b64 s[0:1], 0
	global_store_byte v[0:1], v4, off
.LBB340_697:
	s_mov_b64 s[12:13], 0
.LBB340_698:
	s_and_b64 vcc, exec, s[12:13]
	s_cbranch_vccz .LBB340_701
; %bb.699:
	s_cmp_eq_u32 s17, 29
	s_mov_b64 s[0:1], -1
	s_cbranch_scc0 .LBB340_701
; %bb.700:
	s_mov_b32 s0, 0
	v_cndmask_b32_e64 v2, 0, 1, s[8:9]
	v_mov_b32_e32 v3, s0
	global_store_dwordx2 v[0:1], v[2:3], off
	s_mov_b64 s[10:11], -1
	s_mov_b64 s[0:1], 0
.LBB340_701:
	s_mov_b64 s[12:13], 0
.LBB340_702:
	s_and_b64 vcc, exec, s[12:13]
	s_cbranch_vccz .LBB340_718
; %bb.703:
	s_cmp_lt_i32 s17, 27
	s_mov_b64 s[10:11], -1
	s_cbranch_scc1 .LBB340_709
; %bb.704:
	s_cmp_gt_i32 s17, 27
	s_cbranch_scc0 .LBB340_706
; %bb.705:
	v_cndmask_b32_e64 v2, 0, 1, s[8:9]
	s_mov_b64 s[10:11], 0
	global_store_dword v[0:1], v2, off
.LBB340_706:
	s_andn2_b64 vcc, exec, s[10:11]
	s_cbranch_vccnz .LBB340_708
; %bb.707:
	v_cndmask_b32_e64 v2, 0, 1, s[8:9]
	global_store_short v[0:1], v2, off
.LBB340_708:
	s_mov_b64 s[10:11], 0
.LBB340_709:
	s_andn2_b64 vcc, exec, s[10:11]
	s_cbranch_vccnz .LBB340_717
; %bb.710:
	v_cndmask_b32_e64 v3, 0, 1.0, s[8:9]
	s_mov_b32 s10, 0x43800000
	v_cmp_gt_u32_e32 vcc, s10, v3
	v_mov_b32_e32 v4, 0x80
	s_and_saveexec_b64 s[10:11], vcc
	s_cbranch_execz .LBB340_716
; %bb.711:
	s_mov_b32 s12, 0x3bffffff
	v_cmp_lt_u32_e32 vcc, s12, v3
	s_mov_b64 s[12:13], 0
                                        ; implicit-def: $vgpr2
	s_and_saveexec_b64 s[14:15], vcc
	s_xor_b64 s[14:15], exec, s[14:15]
	s_cbranch_execz .LBB340_833
; %bb.712:
	v_bfe_u32 v2, v3, 20, 1
	s_mov_b32 s18, 0x487ffff
	v_add3_u32 v2, v3, v2, s18
	s_mov_b64 s[12:13], exec
	v_lshrrev_b32_e32 v2, 20, v2
                                        ; implicit-def: $vgpr3
	s_andn2_saveexec_b64 s[14:15], s[14:15]
	s_cbranch_execnz .LBB340_834
.LBB340_713:
	s_or_b64 exec, exec, s[14:15]
	v_mov_b32_e32 v4, 0
	s_and_saveexec_b64 s[14:15], s[12:13]
.LBB340_714:
	v_mov_b32_e32 v4, v2
.LBB340_715:
	s_or_b64 exec, exec, s[14:15]
.LBB340_716:
	s_or_b64 exec, exec, s[10:11]
	global_store_byte v[0:1], v4, off
.LBB340_717:
	s_mov_b64 s[10:11], -1
.LBB340_718:
	s_mov_b64 s[12:13], 0
.LBB340_719:
	s_and_b64 vcc, exec, s[12:13]
	s_cbranch_vccz .LBB340_760
; %bb.720:
	s_cmp_gt_i32 s17, 22
	s_mov_b64 s[12:13], -1
	s_cbranch_scc0 .LBB340_752
; %bb.721:
	s_cmp_lt_i32 s17, 24
	s_mov_b64 s[10:11], -1
	s_cbranch_scc1 .LBB340_741
; %bb.722:
	s_cmp_gt_i32 s17, 24
	s_cbranch_scc0 .LBB340_730
; %bb.723:
	v_cndmask_b32_e64 v3, 0, 1.0, s[8:9]
	s_mov_b32 s10, 0x47800000
	v_cmp_gt_u32_e32 vcc, s10, v3
	v_mov_b32_e32 v4, 0x80
	s_and_saveexec_b64 s[10:11], vcc
	s_cbranch_execz .LBB340_729
; %bb.724:
	s_mov_b32 s12, 0x37ffffff
	v_cmp_lt_u32_e32 vcc, s12, v3
	s_mov_b64 s[12:13], 0
                                        ; implicit-def: $vgpr2
	s_and_saveexec_b64 s[14:15], vcc
	s_xor_b64 s[14:15], exec, s[14:15]
	s_cbranch_execz .LBB340_836
; %bb.725:
	v_bfe_u32 v2, v3, 21, 1
	s_mov_b32 s18, 0x88fffff
	v_add3_u32 v2, v3, v2, s18
	s_mov_b64 s[12:13], exec
	v_lshrrev_b32_e32 v2, 21, v2
                                        ; implicit-def: $vgpr3
	s_andn2_saveexec_b64 s[14:15], s[14:15]
	s_cbranch_execnz .LBB340_837
.LBB340_726:
	s_or_b64 exec, exec, s[14:15]
	v_mov_b32_e32 v4, 0
	s_and_saveexec_b64 s[14:15], s[12:13]
.LBB340_727:
	v_mov_b32_e32 v4, v2
.LBB340_728:
	s_or_b64 exec, exec, s[14:15]
.LBB340_729:
	s_or_b64 exec, exec, s[10:11]
	s_mov_b64 s[10:11], 0
	global_store_byte v[0:1], v4, off
.LBB340_730:
	s_and_b64 vcc, exec, s[10:11]
	s_cbranch_vccz .LBB340_740
; %bb.731:
	v_cndmask_b32_e64 v2, 0, 1.0, s[8:9]
	s_mov_b32 s10, 0x43f00000
	v_cmp_gt_u32_e32 vcc, s10, v2
                                        ; implicit-def: $vgpr3
	s_and_saveexec_b64 s[10:11], vcc
	s_xor_b64 s[10:11], exec, s[10:11]
	s_cbranch_execz .LBB340_737
; %bb.732:
	s_mov_b32 s12, 0x3c7fffff
	v_cmp_lt_u32_e32 vcc, s12, v2
                                        ; implicit-def: $vgpr3
	s_and_saveexec_b64 s[12:13], vcc
	s_xor_b64 s[12:13], exec, s[12:13]
; %bb.733:
	v_bfe_u32 v3, v2, 20, 1
	s_mov_b32 s14, 0x407ffff
	v_add3_u32 v2, v2, v3, s14
	v_lshrrev_b32_e32 v3, 20, v2
	v_and_b32_e32 v2, 0xff00000, v2
	s_mov_b32 s14, 0x7f00000
	v_mov_b32_e32 v4, 0x7e
	v_cmp_ne_u32_e32 vcc, s14, v2
	v_cndmask_b32_e32 v3, v4, v3, vcc
                                        ; implicit-def: $vgpr2
; %bb.734:
	s_andn2_saveexec_b64 s[12:13], s[12:13]
; %bb.735:
	v_add_f32_e32 v3, 0x46800000, v2
; %bb.736:
	s_or_b64 exec, exec, s[12:13]
                                        ; implicit-def: $vgpr2
.LBB340_737:
	s_andn2_saveexec_b64 s[10:11], s[10:11]
; %bb.738:
	s_mov_b32 s12, 0x7f800000
	v_mov_b32_e32 v3, 0x7e
	v_mov_b32_e32 v4, 0x7f
	v_cmp_lt_u32_e32 vcc, s12, v2
	v_cndmask_b32_e32 v3, v3, v4, vcc
; %bb.739:
	s_or_b64 exec, exec, s[10:11]
	global_store_byte v[0:1], v3, off
.LBB340_740:
	s_mov_b64 s[10:11], 0
.LBB340_741:
	s_andn2_b64 vcc, exec, s[10:11]
	s_cbranch_vccnz .LBB340_751
; %bb.742:
	v_cndmask_b32_e64 v2, 0, 1.0, s[8:9]
	s_mov_b32 s10, 0x47800000
	v_cmp_gt_u32_e32 vcc, s10, v2
                                        ; implicit-def: $vgpr3
	s_and_saveexec_b64 s[10:11], vcc
	s_xor_b64 s[10:11], exec, s[10:11]
	s_cbranch_execz .LBB340_748
; %bb.743:
	s_mov_b32 s12, 0x387fffff
	v_cmp_lt_u32_e32 vcc, s12, v2
                                        ; implicit-def: $vgpr3
	s_and_saveexec_b64 s[12:13], vcc
	s_xor_b64 s[12:13], exec, s[12:13]
; %bb.744:
	v_bfe_u32 v3, v2, 21, 1
	s_mov_b32 s14, 0x80fffff
	v_add3_u32 v2, v2, v3, s14
	v_lshrrev_b32_e32 v3, 21, v2
                                        ; implicit-def: $vgpr2
; %bb.745:
	s_andn2_saveexec_b64 s[12:13], s[12:13]
; %bb.746:
	v_add_f32_e32 v3, 0x43000000, v2
; %bb.747:
	s_or_b64 exec, exec, s[12:13]
                                        ; implicit-def: $vgpr2
.LBB340_748:
	s_andn2_saveexec_b64 s[10:11], s[10:11]
; %bb.749:
	s_mov_b32 s12, 0x7f800000
	v_mov_b32_e32 v3, 0x7c
	v_mov_b32_e32 v4, 0x7f
	v_cmp_lt_u32_e32 vcc, s12, v2
	v_cndmask_b32_e32 v3, v3, v4, vcc
; %bb.750:
	s_or_b64 exec, exec, s[10:11]
	global_store_byte v[0:1], v3, off
.LBB340_751:
	s_mov_b64 s[12:13], 0
	s_mov_b64 s[10:11], -1
.LBB340_752:
	s_andn2_b64 vcc, exec, s[12:13]
	s_cbranch_vccnz .LBB340_760
; %bb.753:
	s_cmp_gt_i32 s17, 14
	s_mov_b64 s[12:13], -1
	s_cbranch_scc0 .LBB340_757
; %bb.754:
	s_cmp_eq_u32 s17, 15
	s_mov_b64 s[0:1], -1
	s_cbranch_scc0 .LBB340_756
; %bb.755:
	v_cndmask_b32_e64 v2, 0, 1.0, s[8:9]
	v_bfe_u32 v3, v2, 16, 1
	s_movk_i32 s0, 0x7fff
	v_add3_u32 v2, v2, v3, s0
	global_store_short_d16_hi v[0:1], v2, off
	s_mov_b64 s[10:11], -1
	s_mov_b64 s[0:1], 0
.LBB340_756:
	s_mov_b64 s[12:13], 0
.LBB340_757:
	s_and_b64 vcc, exec, s[12:13]
	s_cbranch_vccz .LBB340_760
; %bb.758:
	s_cmp_eq_u32 s17, 11
	s_mov_b64 s[0:1], -1
	s_cbranch_scc0 .LBB340_760
; %bb.759:
	v_cndmask_b32_e64 v2, 0, 1, s[8:9]
	s_mov_b64 s[10:11], -1
	s_mov_b64 s[0:1], 0
	global_store_byte v[0:1], v2, off
.LBB340_760:
	s_mov_b64 s[12:13], 0
.LBB340_761:
	s_and_b64 vcc, exec, s[12:13]
	s_cbranch_vccz .LBB340_800
; %bb.762:
	s_and_b32 s12, 0xffff, s16
	s_cmp_lt_i32 s12, 5
	s_mov_b64 s[10:11], -1
	s_cbranch_scc1 .LBB340_783
; %bb.763:
	s_cmp_lt_i32 s12, 8
	s_cbranch_scc1 .LBB340_773
; %bb.764:
	s_cmp_lt_i32 s12, 9
	s_cbranch_scc1 .LBB340_770
; %bb.765:
	s_cmp_gt_i32 s12, 9
	s_cbranch_scc0 .LBB340_767
; %bb.766:
	v_cndmask_b32_e64 v2, 0, 1, s[8:9]
	v_cvt_f64_u32_e32 v[2:3], v2
	v_mov_b32_e32 v4, 0
	v_mov_b32_e32 v5, v4
	s_mov_b64 s[10:11], 0
	global_store_dwordx4 v[0:1], v[2:5], off
.LBB340_767:
	s_andn2_b64 vcc, exec, s[10:11]
	s_cbranch_vccnz .LBB340_769
; %bb.768:
	v_cndmask_b32_e64 v2, 0, 1.0, s[8:9]
	v_mov_b32_e32 v3, 0
	global_store_dwordx2 v[0:1], v[2:3], off
.LBB340_769:
	s_mov_b64 s[10:11], 0
.LBB340_770:
	s_andn2_b64 vcc, exec, s[10:11]
	s_cbranch_vccnz .LBB340_772
; %bb.771:
	v_cndmask_b32_e64 v2, 0, 1.0, s[8:9]
	v_cvt_f16_f32_e32 v2, v2
	global_store_dword v[0:1], v2, off
.LBB340_772:
	s_mov_b64 s[10:11], 0
.LBB340_773:
	s_andn2_b64 vcc, exec, s[10:11]
	s_cbranch_vccnz .LBB340_782
; %bb.774:
	s_cmp_lt_i32 s12, 6
	s_mov_b64 s[10:11], -1
	s_cbranch_scc1 .LBB340_780
; %bb.775:
	s_cmp_gt_i32 s12, 6
	s_cbranch_scc0 .LBB340_777
; %bb.776:
	v_cndmask_b32_e64 v2, 0, 1, s[8:9]
	v_cvt_f64_u32_e32 v[2:3], v2
	s_mov_b64 s[10:11], 0
	global_store_dwordx2 v[0:1], v[2:3], off
.LBB340_777:
	s_andn2_b64 vcc, exec, s[10:11]
	s_cbranch_vccnz .LBB340_779
; %bb.778:
	v_cndmask_b32_e64 v2, 0, 1.0, s[8:9]
	global_store_dword v[0:1], v2, off
.LBB340_779:
	s_mov_b64 s[10:11], 0
.LBB340_780:
	s_andn2_b64 vcc, exec, s[10:11]
	s_cbranch_vccnz .LBB340_782
; %bb.781:
	v_cndmask_b32_e64 v2, 0, 1.0, s[8:9]
	v_cvt_f16_f32_e32 v2, v2
	global_store_short v[0:1], v2, off
.LBB340_782:
	s_mov_b64 s[10:11], 0
.LBB340_783:
	s_andn2_b64 vcc, exec, s[10:11]
	s_cbranch_vccnz .LBB340_799
; %bb.784:
	s_cmp_lt_i32 s12, 2
	s_mov_b64 s[10:11], -1
	s_cbranch_scc1 .LBB340_794
; %bb.785:
	s_cmp_lt_i32 s12, 3
	s_cbranch_scc1 .LBB340_791
; %bb.786:
	s_cmp_gt_i32 s12, 3
	s_cbranch_scc0 .LBB340_788
; %bb.787:
	s_mov_b32 s10, 0
	v_cndmask_b32_e64 v2, 0, 1, s[8:9]
	v_mov_b32_e32 v3, s10
	s_mov_b64 s[10:11], 0
	global_store_dwordx2 v[0:1], v[2:3], off
.LBB340_788:
	s_andn2_b64 vcc, exec, s[10:11]
	s_cbranch_vccnz .LBB340_790
; %bb.789:
	v_cndmask_b32_e64 v2, 0, 1, s[8:9]
	global_store_dword v[0:1], v2, off
.LBB340_790:
	s_mov_b64 s[10:11], 0
.LBB340_791:
	s_andn2_b64 vcc, exec, s[10:11]
	s_cbranch_vccnz .LBB340_793
; %bb.792:
	v_cndmask_b32_e64 v2, 0, 1, s[8:9]
	global_store_short v[0:1], v2, off
.LBB340_793:
	s_mov_b64 s[10:11], 0
.LBB340_794:
	s_andn2_b64 vcc, exec, s[10:11]
	s_cbranch_vccnz .LBB340_799
; %bb.795:
	s_mov_b64 s[10:11], -1
	s_cmp_gt_i32 s12, 0
	v_cndmask_b32_e64 v2, 0, 1, s[8:9]
	s_cbranch_scc0 .LBB340_797
; %bb.796:
	s_mov_b64 s[10:11], 0
	global_store_byte v[0:1], v2, off
.LBB340_797:
	s_andn2_b64 vcc, exec, s[10:11]
	s_cbranch_vccnz .LBB340_799
; %bb.798:
	global_store_byte v[0:1], v2, off
.LBB340_799:
	s_mov_b64 s[10:11], -1
.LBB340_800:
	s_andn2_b64 vcc, exec, s[10:11]
	s_cbranch_vccnz .LBB340_802
; %bb.801:
	v_add_u32_e32 v8, 0x80, v8
	s_mov_b64 s[8:9], -1
	s_branch .LBB340_804
.LBB340_802:
	s_mov_b64 s[8:9], 0
.LBB340_803:
                                        ; implicit-def: $vgpr8
.LBB340_804:
	s_andn2_b64 s[10:11], s[64:65], exec
	s_and_b64 s[0:1], s[0:1], exec
	s_or_b64 s[72:73], s[10:11], s[0:1]
	s_andn2_b64 s[0:1], s[62:63], exec
	s_and_b64 s[2:3], s[2:3], exec
	s_or_b64 s[70:71], s[0:1], s[2:3]
	s_orn2_b64 s[2:3], s[8:9], exec
.LBB340_805:
	s_or_b64 exec, exec, s[68:69]
	s_mov_b64 s[0:1], 0
	s_mov_b64 s[8:9], 0
	;; [unrolled: 1-line block ×3, first 2 shown]
                                        ; implicit-def: $vgpr1_vgpr2
                                        ; implicit-def: $vgpr0
                                        ; implicit-def: $vgpr3
	s_and_saveexec_b64 s[68:69], s[2:3]
	s_cbranch_execz .LBB340_900
; %bb.806:
	v_cmp_gt_i32_e32 vcc, s74, v8
	s_mov_b64 s[2:3], 0
	s_mov_b64 s[12:13], s[70:71]
                                        ; implicit-def: $vgpr1_vgpr2
                                        ; implicit-def: $vgpr0
                                        ; implicit-def: $vgpr3
	s_and_saveexec_b64 s[74:75], vcc
	s_cbranch_execz .LBB340_899
; %bb.807:
	s_andn2_b64 vcc, exec, s[40:41]
	s_cbranch_vccnz .LBB340_812
; %bb.808:
	s_andn2_b64 vcc, exec, s[54:55]
	s_cbranch_vccnz .LBB340_813
; %bb.809:
	s_add_i32 s79, s79, 1
	s_cmp_eq_u32 s76, 2
	s_cbranch_scc1 .LBB340_814
; %bb.810:
	s_and_b32 s44, s79, 28
	v_mov_b32_e32 v2, 0
	s_mov_b32 s80, 0
	s_mov_b64 s[54:55], s[34:35]
	v_mov_b32_e32 v0, 0
	v_mov_b32_e32 v1, v8
.LBB340_811:                            ; =>This Inner Loop Header: Depth=1
	s_load_dwordx8 s[16:23], s[54:55], 0x4
	s_load_dwordx4 s[0:3], s[54:55], 0x24
	s_load_dwordx8 s[8:15], s[52:53], 0x0
	s_add_u32 s54, s54, 48
	s_addc_u32 s55, s55, 0
	s_waitcnt vmcnt(0) lgkmcnt(0)
	v_mul_hi_u32 v3, s17, v1
	s_add_i32 s80, s80, 4
	s_add_u32 s52, s52, 32
	s_addc_u32 s53, s53, 0
	v_add_u32_e32 v3, v1, v3
	v_lshrrev_b32_e32 v3, s18, v3
	v_mul_lo_u32 v4, v3, s16
	v_mul_hi_u32 v5, s20, v3
	s_cmp_eq_u32 s44, s80
	v_sub_u32_e32 v1, v1, v4
	v_add_u32_e32 v4, v3, v5
	v_mul_lo_u32 v5, v1, s8
	v_mul_lo_u32 v6, v1, s9
	v_lshrrev_b32_e32 v1, s21, v4
	v_mul_lo_u32 v4, v1, s19
	v_mul_hi_u32 v7, s23, v1
	v_sub_u32_e32 v3, v3, v4
	v_add_u32_e32 v4, v1, v7
	v_lshrrev_b32_e32 v4, s0, v4
	v_mul_hi_u32 v9, s2, v4
	v_mul_lo_u32 v10, v4, s22
	v_mul_lo_u32 v7, v3, s10
	;; [unrolled: 1-line block ×3, first 2 shown]
	v_sub_u32_e32 v10, v1, v10
	v_add_u32_e32 v1, v4, v9
	v_lshrrev_b32_e32 v1, s3, v1
	v_mul_lo_u32 v9, v1, s1
	v_mul_lo_u32 v11, v10, s12
	;; [unrolled: 1-line block ×3, first 2 shown]
	v_add3_u32 v0, v5, v0, v7
	v_sub_u32_e32 v4, v4, v9
	v_mul_lo_u32 v9, v4, s14
	v_mul_lo_u32 v4, v4, s15
	v_add3_u32 v2, v6, v2, v3
	v_add3_u32 v0, v11, v0, v9
	;; [unrolled: 1-line block ×3, first 2 shown]
	s_cbranch_scc0 .LBB340_811
	s_branch .LBB340_815
.LBB340_812:
	s_mov_b64 s[0:1], -1
                                        ; implicit-def: $vgpr0
                                        ; implicit-def: $vgpr2
	s_branch .LBB340_819
.LBB340_813:
	v_mov_b32_e32 v0, 0
	v_mov_b32_e32 v2, 0
	s_branch .LBB340_818
.LBB340_814:
	s_mov_b32 s44, 0
	v_mov_b32_e32 v0, 0
	v_mov_b32_e32 v2, 0
	;; [unrolled: 1-line block ×3, first 2 shown]
.LBB340_815:
	s_and_b32 s8, s79, 3
	s_cmp_eq_u32 s8, 0
	s_cbranch_scc1 .LBB340_818
; %bb.816:
	s_lshl_b32 s0, s44, 3
	s_add_u32 s0, s34, s0
	s_addc_u32 s1, s35, 0
	s_add_u32 s0, s0, 0xc4
	s_addc_u32 s1, s1, 0
	s_mul_i32 s2, s44, 12
	s_add_u32 s2, s34, s2
	s_addc_u32 s3, s35, 0
.LBB340_817:                            ; =>This Inner Loop Header: Depth=1
	s_load_dwordx2 s[10:11], s[2:3], 0x4
	s_load_dword s9, s[2:3], 0xc
	s_load_dwordx2 s[12:13], s[0:1], 0x0
	s_add_u32 s2, s2, 12
	s_addc_u32 s3, s3, 0
	s_waitcnt vmcnt(0) lgkmcnt(0)
	v_mul_hi_u32 v3, s11, v1
	s_add_u32 s0, s0, 8
	s_addc_u32 s1, s1, 0
	s_add_i32 s8, s8, -1
	v_add_u32_e32 v3, v1, v3
	v_lshrrev_b32_e32 v4, s9, v3
	v_mul_lo_u32 v3, v4, s10
	s_cmp_lg_u32 s8, 0
	v_sub_u32_e32 v3, v1, v3
	v_mad_u64_u32 v[0:1], s[10:11], v3, s12, v[0:1]
	v_mad_u64_u32 v[2:3], s[10:11], v3, s13, v[2:3]
	v_mov_b32_e32 v1, v4
	s_cbranch_scc1 .LBB340_817
.LBB340_818:
	s_mov_b64 s[0:1], 0
.LBB340_819:
	s_andn2_b64 vcc, exec, s[0:1]
	s_cbranch_vccnz .LBB340_822
; %bb.820:
	v_mul_hi_u32 v0, s29, v8
	s_andn2_b64 vcc, exec, s[50:51]
	v_add_u32_e32 v0, v8, v0
	v_lshrrev_b32_e32 v1, s30, v0
	v_mul_lo_u32 v0, v1, s28
	v_sub_u32_e32 v2, v8, v0
	v_mul_lo_u32 v0, v2, s36
	v_mul_lo_u32 v2, v2, s37
	s_cbranch_vccnz .LBB340_822
; %bb.821:
	s_waitcnt vmcnt(0)
	v_mul_hi_u32 v3, s48, v1
	v_add_u32_e32 v3, v1, v3
	v_lshrrev_b32_e32 v3, s49, v3
	v_mul_lo_u32 v3, v3, s31
	v_sub_u32_e32 v3, v1, v3
	v_mad_u64_u32 v[0:1], s[0:1], v3, s38, v[0:1]
	v_mad_u64_u32 v[2:3], s[0:1], v3, s39, v[2:3]
.LBB340_822:
	s_waitcnt vmcnt(0)
	v_mov_b32_e32 v3, s27
	s_and_b32 s12, 0xffff, s78
	v_add_co_u32_e32 v1, vcc, s26, v2
	s_cmp_lt_i32 s12, 11
	v_addc_co_u32_e32 v2, vcc, 0, v3, vcc
	s_cbranch_scc1 .LBB340_829
; %bb.823:
	s_cmp_gt_i32 s12, 25
	s_mov_b64 s[2:3], 0
	s_cbranch_scc0 .LBB340_830
; %bb.824:
	s_cmp_gt_i32 s12, 28
	s_cbranch_scc0 .LBB340_831
; %bb.825:
	s_cmp_gt_i32 s12, 43
	;; [unrolled: 3-line block ×3, first 2 shown]
	s_cbranch_scc0 .LBB340_835
; %bb.827:
	s_cmp_eq_u32 s12, 46
	s_mov_b64 s[10:11], 0
	s_cbranch_scc0 .LBB340_838
; %bb.828:
	global_load_dword v3, v[1:2], off
	s_mov_b64 s[0:1], 0
	s_mov_b64 s[8:9], -1
	s_waitcnt vmcnt(0)
	v_lshlrev_b32_e32 v3, 16, v3
	v_cvt_u32_f32_e32 v3, v3
	s_branch .LBB340_839
.LBB340_829:
	s_mov_b64 s[12:13], -1
	s_mov_b64 s[8:9], 0
	s_mov_b64 s[2:3], 0
	;; [unrolled: 1-line block ×3, first 2 shown]
                                        ; implicit-def: $vgpr3
	s_branch .LBB340_898
.LBB340_830:
	s_mov_b64 s[10:11], -1
	s_mov_b64 s[8:9], 0
	s_mov_b64 s[0:1], s[70:71]
                                        ; implicit-def: $vgpr3
	s_branch .LBB340_866
.LBB340_831:
	s_mov_b64 s[10:11], -1
	s_mov_b64 s[8:9], 0
	s_mov_b64 s[0:1], s[70:71]
                                        ; implicit-def: $vgpr3
	s_branch .LBB340_849
.LBB340_832:
	s_mov_b64 s[10:11], -1
	s_mov_b64 s[8:9], 0
	s_mov_b64 s[0:1], s[70:71]
                                        ; implicit-def: $vgpr3
	s_branch .LBB340_844
.LBB340_833:
	s_andn2_saveexec_b64 s[14:15], s[14:15]
	s_cbranch_execz .LBB340_713
.LBB340_834:
	v_add_f32_e32 v2, 0x46000000, v3
	v_and_b32_e32 v2, 0xff, v2
	v_cmp_ne_u32_e32 vcc, 0, v2
	s_andn2_b64 s[12:13], s[12:13], exec
	s_and_b64 s[18:19], vcc, exec
	s_or_b64 s[12:13], s[12:13], s[18:19]
	s_or_b64 exec, exec, s[14:15]
	v_mov_b32_e32 v4, 0
	s_and_saveexec_b64 s[14:15], s[12:13]
	s_cbranch_execnz .LBB340_714
	s_branch .LBB340_715
.LBB340_835:
	s_mov_b64 s[10:11], -1
	s_mov_b64 s[8:9], 0
	s_mov_b64 s[0:1], s[70:71]
                                        ; implicit-def: $vgpr3
	s_branch .LBB340_839
.LBB340_836:
	s_andn2_saveexec_b64 s[14:15], s[14:15]
	s_cbranch_execz .LBB340_726
.LBB340_837:
	v_add_f32_e32 v2, 0x42800000, v3
	v_and_b32_e32 v2, 0xff, v2
	v_cmp_ne_u32_e32 vcc, 0, v2
	s_andn2_b64 s[12:13], s[12:13], exec
	s_and_b64 s[18:19], vcc, exec
	s_or_b64 s[12:13], s[12:13], s[18:19]
	s_or_b64 exec, exec, s[14:15]
	v_mov_b32_e32 v4, 0
	s_and_saveexec_b64 s[14:15], s[12:13]
	s_cbranch_execnz .LBB340_727
	s_branch .LBB340_728
.LBB340_838:
	s_mov_b64 s[0:1], -1
                                        ; implicit-def: $vgpr3
	s_mov_b64 s[8:9], 0
.LBB340_839:
	s_and_b64 vcc, exec, s[10:11]
	s_cbranch_vccz .LBB340_843
; %bb.840:
	s_cmp_eq_u32 s12, 44
	s_cbranch_scc0 .LBB340_842
; %bb.841:
	global_load_ubyte v3, v[1:2], off
	s_mov_b64 s[0:1], 0
	s_mov_b64 s[8:9], -1
	s_waitcnt vmcnt(0)
	v_lshlrev_b32_e32 v4, 23, v3
	v_cvt_u32_f32_e32 v4, v4
	v_cmp_ne_u32_e32 vcc, 0, v3
	v_cndmask_b32_e32 v3, 0, v4, vcc
	s_branch .LBB340_843
.LBB340_842:
	s_mov_b64 s[0:1], -1
                                        ; implicit-def: $vgpr3
.LBB340_843:
	s_mov_b64 s[10:11], 0
.LBB340_844:
	s_and_b64 vcc, exec, s[10:11]
	s_cbranch_vccz .LBB340_848
; %bb.845:
	s_cmp_eq_u32 s12, 29
	s_cbranch_scc0 .LBB340_847
; %bb.846:
	global_load_dwordx2 v[3:4], v[1:2], off
	s_mov_b64 s[0:1], 0
	s_mov_b64 s[8:9], -1
	s_branch .LBB340_848
.LBB340_847:
	s_mov_b64 s[0:1], -1
                                        ; implicit-def: $vgpr3
.LBB340_848:
	s_mov_b64 s[10:11], 0
.LBB340_849:
	s_and_b64 vcc, exec, s[10:11]
	s_cbranch_vccz .LBB340_865
; %bb.850:
	s_cmp_lt_i32 s12, 27
	s_cbranch_scc1 .LBB340_853
; %bb.851:
	s_cmp_gt_i32 s12, 27
	s_cbranch_scc0 .LBB340_854
; %bb.852:
	global_load_dword v3, v[1:2], off
	s_mov_b64 s[8:9], 0
	s_branch .LBB340_855
.LBB340_853:
	s_mov_b64 s[8:9], -1
                                        ; implicit-def: $vgpr3
	s_branch .LBB340_858
.LBB340_854:
	s_mov_b64 s[8:9], -1
                                        ; implicit-def: $vgpr3
.LBB340_855:
	s_andn2_b64 vcc, exec, s[8:9]
	s_cbranch_vccnz .LBB340_857
; %bb.856:
	global_load_ushort v3, v[1:2], off
.LBB340_857:
	s_mov_b64 s[8:9], 0
.LBB340_858:
	s_andn2_b64 vcc, exec, s[8:9]
	s_cbranch_vccnz .LBB340_864
; %bb.859:
	global_load_ubyte v4, v[1:2], off
	s_movk_i32 s8, 0x7f
	s_mov_b64 s[10:11], 0
	s_waitcnt vmcnt(0)
	v_cmp_lt_i16_e32 vcc, s8, v4
	s_and_saveexec_b64 s[8:9], vcc
	s_xor_b64 s[8:9], exec, s[8:9]
	s_cbranch_execz .LBB340_876
; %bb.860:
	s_movk_i32 s10, 0x80
	v_cmp_ne_u16_e32 vcc, s10, v4
	s_and_b64 s[10:11], vcc, exec
	s_andn2_saveexec_b64 s[8:9], s[8:9]
	s_cbranch_execnz .LBB340_877
.LBB340_861:
	s_or_b64 exec, exec, s[8:9]
	v_mov_b32_e32 v3, 0
	s_and_saveexec_b64 s[8:9], s[10:11]
	s_cbranch_execz .LBB340_863
.LBB340_862:
	v_lshlrev_b32_e32 v3, 24, v4
	v_and_b32_e32 v4, 0xffff, v4
	v_and_b32_e32 v5, 7, v4
	v_ffbh_u32_e32 v7, v5
	v_min_u32_e32 v7, 32, v7
	v_subrev_u32_e32 v8, 28, v7
	v_bfe_u32 v6, v4, 3, 4
	v_lshlrev_b32_e32 v4, v8, v4
	v_sub_u32_e32 v7, 29, v7
	v_and_b32_e32 v4, 7, v4
	v_cmp_eq_u32_e32 vcc, 0, v6
	v_cndmask_b32_e32 v6, v6, v7, vcc
	v_cndmask_b32_e32 v4, v5, v4, vcc
	v_mov_b32_e32 v5, 0x3b800000
	v_lshlrev_b32_e32 v4, 20, v4
	v_and_b32_e32 v3, 0x80000000, v3
	v_lshl_add_u32 v5, v6, 23, v5
	v_or3_b32 v3, v3, v5, v4
	v_cvt_u32_f32_e32 v3, v3
.LBB340_863:
	s_or_b64 exec, exec, s[8:9]
.LBB340_864:
	s_mov_b64 s[8:9], -1
.LBB340_865:
	s_mov_b64 s[10:11], 0
.LBB340_866:
	s_and_b64 vcc, exec, s[10:11]
	s_cbranch_vccz .LBB340_897
; %bb.867:
	s_cmp_gt_i32 s12, 22
	s_cbranch_scc0 .LBB340_875
; %bb.868:
	s_cmp_lt_i32 s12, 24
	s_cbranch_scc1 .LBB340_878
; %bb.869:
	s_cmp_gt_i32 s12, 24
	s_cbranch_scc0 .LBB340_879
; %bb.870:
	global_load_ubyte v4, v[1:2], off
	s_movk_i32 s2, 0x7f
	s_mov_b64 s[8:9], 0
	s_waitcnt vmcnt(0)
	v_cmp_lt_i16_e32 vcc, s2, v4
	s_and_saveexec_b64 s[2:3], vcc
	s_xor_b64 s[2:3], exec, s[2:3]
	s_cbranch_execz .LBB340_891
; %bb.871:
	s_movk_i32 s8, 0x80
	v_cmp_ne_u16_e32 vcc, s8, v4
	s_and_b64 s[8:9], vcc, exec
	s_andn2_saveexec_b64 s[2:3], s[2:3]
	s_cbranch_execnz .LBB340_892
.LBB340_872:
	s_or_b64 exec, exec, s[2:3]
	v_mov_b32_e32 v3, 0
	s_and_saveexec_b64 s[2:3], s[8:9]
	s_cbranch_execz .LBB340_874
.LBB340_873:
	v_lshlrev_b32_e32 v3, 24, v4
	v_and_b32_e32 v4, 0xffff, v4
	v_and_b32_e32 v5, 3, v4
	v_ffbh_u32_e32 v7, v5
	v_min_u32_e32 v7, 32, v7
	v_subrev_u32_e32 v8, 29, v7
	v_bfe_u32 v6, v4, 2, 5
	v_lshlrev_b32_e32 v4, v8, v4
	v_sub_u32_e32 v7, 30, v7
	v_and_b32_e32 v4, 3, v4
	v_cmp_eq_u32_e32 vcc, 0, v6
	v_cndmask_b32_e32 v6, v6, v7, vcc
	v_cndmask_b32_e32 v4, v5, v4, vcc
	v_mov_b32_e32 v5, 0x37800000
	v_lshlrev_b32_e32 v4, 21, v4
	v_and_b32_e32 v3, 0x80000000, v3
	v_lshl_add_u32 v5, v6, 23, v5
	v_or3_b32 v3, v3, v5, v4
	v_cvt_u32_f32_e32 v3, v3
.LBB340_874:
	s_or_b64 exec, exec, s[2:3]
	s_mov_b64 s[2:3], 0
	s_branch .LBB340_880
.LBB340_875:
	s_mov_b64 s[2:3], -1
                                        ; implicit-def: $vgpr3
	s_branch .LBB340_886
.LBB340_876:
	s_andn2_saveexec_b64 s[8:9], s[8:9]
	s_cbranch_execz .LBB340_861
.LBB340_877:
	v_cmp_ne_u16_e32 vcc, 0, v4
	s_andn2_b64 s[10:11], s[10:11], exec
	s_and_b64 s[14:15], vcc, exec
	s_or_b64 s[10:11], s[10:11], s[14:15]
	s_or_b64 exec, exec, s[8:9]
	v_mov_b32_e32 v3, 0
	s_and_saveexec_b64 s[8:9], s[10:11]
	s_cbranch_execnz .LBB340_862
	s_branch .LBB340_863
.LBB340_878:
	s_mov_b64 s[2:3], -1
                                        ; implicit-def: $vgpr3
	s_branch .LBB340_883
.LBB340_879:
	s_mov_b64 s[2:3], -1
                                        ; implicit-def: $vgpr3
.LBB340_880:
	s_and_b64 vcc, exec, s[2:3]
	s_cbranch_vccz .LBB340_882
; %bb.881:
	global_load_ubyte v3, v[1:2], off
	s_mov_b32 s2, 0x7f800000
	s_waitcnt vmcnt(0)
	v_lshlrev_b32_e32 v3, 24, v3
	v_and_b32_e32 v4, 0x7f000000, v3
	v_ffbh_u32_e32 v5, v4
	v_min_u32_e32 v5, 32, v5
	v_sub_u32_e64 v5, v5, 4 clamp
	v_lshlrev_b32_e32 v7, v5, v4
	v_lshlrev_b32_e32 v5, 23, v5
	v_lshrrev_b32_e32 v7, 4, v7
	v_add_u32_e32 v6, 0x1000000, v4
	v_sub_u32_e32 v5, v7, v5
	v_ashrrev_i32_e32 v6, 8, v6
	v_add_u32_e32 v5, 0x3c000000, v5
	v_and_or_b32 v5, v6, s2, v5
	v_cmp_ne_u32_e32 vcc, 0, v4
	v_cndmask_b32_e32 v4, 0, v5, vcc
	s_brev_b32 s2, 1
	v_and_or_b32 v3, v3, s2, v4
	v_cvt_u32_f32_e32 v3, v3
.LBB340_882:
	s_mov_b64 s[2:3], 0
.LBB340_883:
	s_andn2_b64 vcc, exec, s[2:3]
	s_cbranch_vccnz .LBB340_885
; %bb.884:
	global_load_ubyte v3, v[1:2], off
	s_movk_i32 s2, 0x7f00
	s_brev_b32 s3, 16
	s_waitcnt vmcnt(0)
	v_lshlrev_b16_e32 v4, 8, v3
	v_lshlrev_b32_e32 v3, 25, v3
	v_lshrrev_b32_e32 v5, 4, v3
	v_and_or_b32 v6, v4, s2, 0.5
	v_or_b32_e32 v5, 0x70000000, v5
	v_add_f32_e32 v6, -0.5, v6
	v_mul_f32_e32 v5, 0x7800000, v5
	v_cmp_gt_u32_e32 vcc, s3, v3
	v_bfe_i32 v4, v4, 0, 16
	v_cndmask_b32_e32 v3, v5, v6, vcc
	s_brev_b32 s2, 1
	v_and_or_b32 v3, v4, s2, v3
	v_cvt_u32_f32_e32 v3, v3
.LBB340_885:
	s_mov_b64 s[2:3], 0
	s_mov_b64 s[8:9], -1
.LBB340_886:
	s_andn2_b64 vcc, exec, s[2:3]
	s_mov_b64 s[2:3], 0
	s_cbranch_vccnz .LBB340_897
; %bb.887:
	s_cmp_gt_i32 s12, 14
	s_cbranch_scc0 .LBB340_890
; %bb.888:
	s_cmp_eq_u32 s12, 15
	s_cbranch_scc0 .LBB340_893
; %bb.889:
	global_load_ushort v3, v[1:2], off
	s_mov_b64 s[0:1], 0
	s_mov_b64 s[8:9], -1
	s_waitcnt vmcnt(0)
	v_lshlrev_b32_e32 v3, 16, v3
	v_cvt_u32_f32_e32 v3, v3
	s_branch .LBB340_894
.LBB340_890:
	s_mov_b64 s[10:11], -1
                                        ; implicit-def: $vgpr3
	s_branch .LBB340_895
.LBB340_891:
	s_andn2_saveexec_b64 s[2:3], s[2:3]
	s_cbranch_execz .LBB340_872
.LBB340_892:
	v_cmp_ne_u16_e32 vcc, 0, v4
	s_andn2_b64 s[8:9], s[8:9], exec
	s_and_b64 s[10:11], vcc, exec
	s_or_b64 s[8:9], s[8:9], s[10:11]
	s_or_b64 exec, exec, s[2:3]
	v_mov_b32_e32 v3, 0
	s_and_saveexec_b64 s[2:3], s[8:9]
	s_cbranch_execnz .LBB340_873
	s_branch .LBB340_874
.LBB340_893:
	s_mov_b64 s[0:1], -1
                                        ; implicit-def: $vgpr3
.LBB340_894:
	s_mov_b64 s[10:11], 0
.LBB340_895:
	s_and_b64 vcc, exec, s[10:11]
	s_cbranch_vccz .LBB340_897
; %bb.896:
	s_cmp_lg_u32 s12, 11
	s_cselect_b64 s[10:11], -1, 0
	s_andn2_b64 s[0:1], s[0:1], exec
	s_and_b64 s[10:11], s[10:11], exec
	s_mov_b64 s[2:3], -1
	s_or_b64 s[0:1], s[0:1], s[10:11]
.LBB340_897:
	s_mov_b64 s[12:13], 0
.LBB340_898:
	s_and_b64 s[10:11], s[8:9], exec
	s_and_b64 s[8:9], s[12:13], exec
	s_andn2_b64 s[12:13], s[70:71], exec
	s_and_b64 s[0:1], s[0:1], exec
	s_and_b64 s[2:3], s[2:3], exec
	s_or_b64 s[12:13], s[12:13], s[0:1]
.LBB340_899:
	s_or_b64 exec, exec, s[74:75]
	s_and_b64 s[0:1], s[2:3], exec
	s_andn2_b64 s[2:3], s[70:71], exec
	s_and_b64 s[12:13], s[12:13], exec
	s_and_b64 s[10:11], s[10:11], exec
	;; [unrolled: 1-line block ×3, first 2 shown]
	s_or_b64 s[70:71], s[2:3], s[12:13]
.LBB340_900:
	s_or_b64 exec, exec, s[68:69]
	s_andn2_b64 s[2:3], s[64:65], exec
	s_and_b64 s[12:13], s[72:73], exec
	s_or_b64 s[64:65], s[2:3], s[12:13]
	s_and_b64 s[2:3], s[0:1], exec
	s_andn2_b64 s[0:1], s[62:63], exec
	s_and_b64 s[12:13], s[70:71], exec
	s_and_b64 s[10:11], s[10:11], exec
	;; [unrolled: 1-line block ×3, first 2 shown]
	s_or_b64 s[62:63], s[0:1], s[12:13]
.LBB340_901:
	s_or_b64 exec, exec, s[66:67]
	s_andn2_b64 s[0:1], s[56:57], exec
	s_and_b64 s[12:13], s[64:65], exec
	s_or_b64 s[56:57], s[0:1], s[12:13]
	s_and_b64 s[0:1], s[10:11], exec
	s_and_b64 s[10:11], s[8:9], exec
	;; [unrolled: 1-line block ×3, first 2 shown]
	s_andn2_b64 s[2:3], s[58:59], exec
	s_and_b64 s[8:9], s[62:63], exec
	s_or_b64 s[58:59], s[2:3], s[8:9]
	s_or_b64 exec, exec, s[60:61]
	s_mov_b64 s[2:3], 0
	s_and_saveexec_b64 s[8:9], s[58:59]
	s_cbranch_execz .LBB340_270
.LBB340_902:
	s_mov_b64 s[2:3], exec
	s_andn2_b64 s[64:65], s[64:65], exec
	s_trap 2
	s_or_b64 exec, exec, s[8:9]
	s_and_saveexec_b64 s[8:9], s[64:65]
	s_xor_b64 s[8:9], exec, s[8:9]
	s_cbranch_execnz .LBB340_271
.LBB340_903:
	s_or_b64 exec, exec, s[8:9]
	s_and_saveexec_b64 s[8:9], s[10:11]
	s_cbranch_execz .LBB340_949
.LBB340_904:
	s_sext_i32_i16 s10, s78
	s_cmp_lt_i32 s10, 5
	s_cbranch_scc1 .LBB340_909
; %bb.905:
	s_cmp_lt_i32 s10, 8
	s_cbranch_scc1 .LBB340_910
; %bb.906:
	;; [unrolled: 3-line block ×3, first 2 shown]
	s_cmp_gt_i32 s10, 9
	s_cbranch_scc0 .LBB340_912
; %bb.908:
	global_load_dwordx2 v[3:4], v[1:2], off
	s_mov_b64 s[10:11], 0
	s_waitcnt vmcnt(0)
	v_cvt_u32_f64_e32 v3, v[3:4]
	s_branch .LBB340_913
.LBB340_909:
                                        ; implicit-def: $vgpr3
	s_branch .LBB340_930
.LBB340_910:
                                        ; implicit-def: $vgpr3
	s_branch .LBB340_919
.LBB340_911:
	s_mov_b64 s[10:11], -1
                                        ; implicit-def: $vgpr3
	s_branch .LBB340_916
.LBB340_912:
	s_mov_b64 s[10:11], -1
                                        ; implicit-def: $vgpr3
.LBB340_913:
	s_andn2_b64 vcc, exec, s[10:11]
	s_cbranch_vccnz .LBB340_915
; %bb.914:
	global_load_dword v3, v[1:2], off
	s_waitcnt vmcnt(0)
	v_cvt_u32_f32_e32 v3, v3
.LBB340_915:
	s_mov_b64 s[10:11], 0
.LBB340_916:
	s_andn2_b64 vcc, exec, s[10:11]
	s_cbranch_vccnz .LBB340_918
; %bb.917:
	global_load_dword v3, v[1:2], off
	s_waitcnt vmcnt(0)
	v_cvt_u16_f16_e32 v3, v3
.LBB340_918:
	s_cbranch_execnz .LBB340_929
.LBB340_919:
	s_sext_i32_i16 s10, s78
	s_cmp_lt_i32 s10, 6
	s_cbranch_scc1 .LBB340_922
; %bb.920:
	s_cmp_gt_i32 s10, 6
	s_cbranch_scc0 .LBB340_923
; %bb.921:
	global_load_dwordx2 v[3:4], v[1:2], off
	s_mov_b64 s[10:11], 0
	s_waitcnt vmcnt(0)
	v_cvt_u32_f64_e32 v3, v[3:4]
	s_branch .LBB340_924
.LBB340_922:
	s_mov_b64 s[10:11], -1
                                        ; implicit-def: $vgpr3
	s_branch .LBB340_927
.LBB340_923:
	s_mov_b64 s[10:11], -1
                                        ; implicit-def: $vgpr3
.LBB340_924:
	s_andn2_b64 vcc, exec, s[10:11]
	s_cbranch_vccnz .LBB340_926
; %bb.925:
	global_load_dword v3, v[1:2], off
	s_waitcnt vmcnt(0)
	v_cvt_u32_f32_e32 v3, v3
.LBB340_926:
	s_mov_b64 s[10:11], 0
.LBB340_927:
	s_andn2_b64 vcc, exec, s[10:11]
	s_cbranch_vccnz .LBB340_929
; %bb.928:
	global_load_ushort v3, v[1:2], off
	s_waitcnt vmcnt(0)
	v_cvt_u16_f16_e32 v3, v3
.LBB340_929:
	s_cbranch_execnz .LBB340_948
.LBB340_930:
	s_sext_i32_i16 s10, s78
	s_cmp_lt_i32 s10, 2
	s_cbranch_scc1 .LBB340_934
; %bb.931:
	s_cmp_lt_i32 s10, 3
	s_cbranch_scc1 .LBB340_935
; %bb.932:
	s_cmp_gt_i32 s10, 3
	s_cbranch_scc0 .LBB340_936
; %bb.933:
	global_load_dwordx2 v[3:4], v[1:2], off
	s_mov_b64 s[10:11], 0
	s_branch .LBB340_937
.LBB340_934:
                                        ; implicit-def: $vgpr3
	s_branch .LBB340_943
.LBB340_935:
	s_mov_b64 s[10:11], -1
                                        ; implicit-def: $vgpr3
	s_branch .LBB340_940
.LBB340_936:
	s_mov_b64 s[10:11], -1
                                        ; implicit-def: $vgpr3
.LBB340_937:
	s_andn2_b64 vcc, exec, s[10:11]
	s_cbranch_vccnz .LBB340_939
; %bb.938:
	global_load_dword v3, v[1:2], off
.LBB340_939:
	s_mov_b64 s[10:11], 0
.LBB340_940:
	s_andn2_b64 vcc, exec, s[10:11]
	s_cbranch_vccnz .LBB340_942
; %bb.941:
	global_load_ushort v3, v[1:2], off
.LBB340_942:
	s_cbranch_execnz .LBB340_948
.LBB340_943:
	s_sext_i32_i16 s10, s78
	s_cmp_gt_i32 s10, 0
	s_cbranch_scc0 .LBB340_945
; %bb.944:
	global_load_sbyte v3, v[1:2], off
	s_mov_b64 s[10:11], 0
	s_branch .LBB340_946
.LBB340_945:
	s_mov_b64 s[10:11], -1
                                        ; implicit-def: $vgpr3
.LBB340_946:
	s_andn2_b64 vcc, exec, s[10:11]
	s_cbranch_vccnz .LBB340_948
; %bb.947:
	global_load_ubyte v3, v[1:2], off
.LBB340_948:
	s_or_b64 s[0:1], s[0:1], exec
.LBB340_949:
	s_or_b64 exec, exec, s[8:9]
	s_mov_b64 s[14:15], 0
	s_mov_b64 s[12:13], 0
                                        ; implicit-def: $sgpr8_sgpr9
                                        ; implicit-def: $sgpr20
                                        ; implicit-def: $vgpr1_vgpr2
	s_and_saveexec_b64 s[10:11], s[0:1]
	s_cbranch_execz .LBB340_1024
; %bb.950:
	s_waitcnt vmcnt(0)
	v_cmp_ne_u16_e32 vcc, s45, v3
	s_xor_b64 s[8:9], s[46:47], vcc
	v_mov_b32_e32 v2, s25
	s_and_b32 s20, s77, 0xff
	v_add_co_u32_e32 v1, vcc, s24, v0
	s_cmp_lt_i32 s20, 11
	v_addc_co_u32_e32 v2, vcc, 0, v2, vcc
	s_cbranch_scc1 .LBB340_1027
; %bb.951:
	s_and_b32 s21, 0xffff, s20
	s_mov_b64 s[14:15], -1
	s_cmp_gt_i32 s21, 25
	s_mov_b64 s[0:1], s[56:57]
	s_cbranch_scc0 .LBB340_984
; %bb.952:
	s_mov_b64 s[12:13], -1
	s_cmp_gt_i32 s21, 28
	s_mov_b64 s[0:1], s[56:57]
	s_cbranch_scc0 .LBB340_968
; %bb.953:
	s_cmp_gt_i32 s21, 43
	s_mov_b64 s[0:1], s[56:57]
	s_cbranch_scc0 .LBB340_964
; %bb.954:
	;; [unrolled: 4-line block ×3, first 2 shown]
	s_cmp_eq_u32 s21, 46
	s_mov_b64 s[0:1], -1
	s_cbranch_scc0 .LBB340_957
; %bb.956:
	v_cndmask_b32_e64 v0, 0, 1.0, s[8:9]
	v_bfe_u32 v3, v0, 16, 1
	s_movk_i32 s0, 0x7fff
	v_add3_u32 v0, v0, v3, s0
	v_lshrrev_b32_e32 v0, 16, v0
	global_store_dword v[1:2], v0, off
	s_mov_b64 s[0:1], 0
.LBB340_957:
	s_mov_b64 s[12:13], 0
.LBB340_958:
	s_and_b64 vcc, exec, s[12:13]
	s_cbranch_vccz .LBB340_963
; %bb.959:
	s_cmp_eq_u32 s21, 44
	s_mov_b64 s[0:1], -1
	s_cbranch_scc0 .LBB340_963
; %bb.960:
	v_cndmask_b32_e64 v3, 0, 1.0, s[8:9]
	v_lshrrev_b32_e32 v0, 23, v3
	s_movk_i32 s0, 0xff
	v_cmp_ne_u32_e32 vcc, s0, v0
	v_mov_b32_e32 v4, 0xff
	s_and_saveexec_b64 s[12:13], vcc
; %bb.961:
	s_mov_b32 s0, 0x3fffff
	v_and_b32_e32 v4, 0x400000, v3
	v_and_or_b32 v3, v3, s0, v0
	v_cmp_ne_u32_e32 vcc, 0, v4
	v_cmp_ne_u32_e64 s[0:1], 0, v3
	s_and_b64 s[0:1], vcc, s[0:1]
	v_cndmask_b32_e64 v3, 0, 1, s[0:1]
	v_add_u32_e32 v4, v0, v3
; %bb.962:
	s_or_b64 exec, exec, s[12:13]
	s_mov_b64 s[0:1], 0
	global_store_byte v[1:2], v4, off
.LBB340_963:
	s_mov_b64 s[12:13], 0
.LBB340_964:
	s_and_b64 vcc, exec, s[12:13]
	s_cbranch_vccz .LBB340_967
; %bb.965:
	s_cmp_eq_u32 s21, 29
	s_mov_b64 s[0:1], -1
	s_cbranch_scc0 .LBB340_967
; %bb.966:
	s_mov_b32 s0, 0
	v_cndmask_b32_e64 v3, 0, 1, s[8:9]
	v_mov_b32_e32 v4, s0
	global_store_dwordx2 v[1:2], v[3:4], off
	s_mov_b64 s[0:1], 0
.LBB340_967:
	s_mov_b64 s[12:13], 0
.LBB340_968:
	s_and_b64 vcc, exec, s[12:13]
	s_cbranch_vccz .LBB340_983
; %bb.969:
	s_cmp_lt_i32 s21, 27
	s_mov_b64 s[12:13], -1
	s_cbranch_scc1 .LBB340_975
; %bb.970:
	s_cmp_gt_i32 s21, 27
	s_cbranch_scc0 .LBB340_972
; %bb.971:
	v_cndmask_b32_e64 v0, 0, 1, s[8:9]
	s_mov_b64 s[12:13], 0
	global_store_dword v[1:2], v0, off
.LBB340_972:
	s_andn2_b64 vcc, exec, s[12:13]
	s_cbranch_vccnz .LBB340_974
; %bb.973:
	v_cndmask_b32_e64 v0, 0, 1, s[8:9]
	global_store_short v[1:2], v0, off
.LBB340_974:
	s_mov_b64 s[12:13], 0
.LBB340_975:
	s_andn2_b64 vcc, exec, s[12:13]
	s_cbranch_vccnz .LBB340_983
; %bb.976:
	v_cndmask_b32_e64 v3, 0, 1.0, s[8:9]
	s_mov_b32 s12, 0x43800000
	v_cmp_gt_u32_e32 vcc, s12, v3
	v_mov_b32_e32 v4, 0x80
	s_and_saveexec_b64 s[12:13], vcc
	s_cbranch_execz .LBB340_982
; %bb.977:
	s_mov_b32 s14, 0x3bffffff
	v_cmp_lt_u32_e32 vcc, s14, v3
	s_mov_b64 s[14:15], 0
                                        ; implicit-def: $vgpr0
	s_and_saveexec_b64 s[16:17], vcc
	s_xor_b64 s[16:17], exec, s[16:17]
	s_cbranch_execz .LBB340_1140
; %bb.978:
	v_bfe_u32 v0, v3, 20, 1
	s_mov_b32 s18, 0x487ffff
	v_add3_u32 v0, v3, v0, s18
	s_mov_b64 s[14:15], exec
	v_lshrrev_b32_e32 v0, 20, v0
                                        ; implicit-def: $vgpr3
	s_andn2_saveexec_b64 s[16:17], s[16:17]
	s_cbranch_execnz .LBB340_1141
.LBB340_979:
	s_or_b64 exec, exec, s[16:17]
	v_mov_b32_e32 v4, 0
	s_and_saveexec_b64 s[16:17], s[14:15]
.LBB340_980:
	v_mov_b32_e32 v4, v0
.LBB340_981:
	s_or_b64 exec, exec, s[16:17]
.LBB340_982:
	s_or_b64 exec, exec, s[12:13]
	global_store_byte v[1:2], v4, off
.LBB340_983:
	s_mov_b64 s[14:15], 0
.LBB340_984:
	s_mov_b64 s[12:13], 0
	s_and_b64 vcc, exec, s[14:15]
	s_cbranch_vccz .LBB340_1028
; %bb.985:
	s_cmp_gt_i32 s21, 22
	s_mov_b64 s[14:15], -1
	s_cbranch_scc0 .LBB340_1017
; %bb.986:
	s_cmp_lt_i32 s21, 24
	s_cbranch_scc1 .LBB340_1006
; %bb.987:
	s_cmp_gt_i32 s21, 24
	s_cbranch_scc0 .LBB340_995
; %bb.988:
	v_cndmask_b32_e64 v3, 0, 1.0, s[8:9]
	s_mov_b32 s14, 0x47800000
	v_cmp_gt_u32_e32 vcc, s14, v3
	v_mov_b32_e32 v4, 0x80
	s_and_saveexec_b64 s[14:15], vcc
	s_cbranch_execz .LBB340_994
; %bb.989:
	s_mov_b32 s16, 0x37ffffff
	v_cmp_lt_u32_e32 vcc, s16, v3
	s_mov_b64 s[16:17], 0
                                        ; implicit-def: $vgpr0
	s_and_saveexec_b64 s[18:19], vcc
	s_xor_b64 s[18:19], exec, s[18:19]
	s_cbranch_execz .LBB340_1260
; %bb.990:
	v_bfe_u32 v0, v3, 21, 1
	s_mov_b32 s22, 0x88fffff
	v_add3_u32 v0, v3, v0, s22
	s_mov_b64 s[16:17], exec
	v_lshrrev_b32_e32 v0, 21, v0
                                        ; implicit-def: $vgpr3
	s_andn2_saveexec_b64 s[18:19], s[18:19]
	s_cbranch_execnz .LBB340_1261
.LBB340_991:
	s_or_b64 exec, exec, s[18:19]
	v_mov_b32_e32 v4, 0
	s_and_saveexec_b64 s[18:19], s[16:17]
.LBB340_992:
	v_mov_b32_e32 v4, v0
.LBB340_993:
	s_or_b64 exec, exec, s[18:19]
.LBB340_994:
	s_or_b64 exec, exec, s[14:15]
	s_mov_b64 s[14:15], 0
	global_store_byte v[1:2], v4, off
.LBB340_995:
	s_and_b64 vcc, exec, s[14:15]
	s_cbranch_vccz .LBB340_1005
; %bb.996:
	v_cndmask_b32_e64 v0, 0, 1.0, s[8:9]
	s_mov_b32 s14, 0x43f00000
	v_cmp_gt_u32_e32 vcc, s14, v0
                                        ; implicit-def: $vgpr3
	s_and_saveexec_b64 s[14:15], vcc
	s_xor_b64 s[14:15], exec, s[14:15]
	s_cbranch_execz .LBB340_1002
; %bb.997:
	s_mov_b32 s16, 0x3c7fffff
	v_cmp_lt_u32_e32 vcc, s16, v0
                                        ; implicit-def: $vgpr3
	s_and_saveexec_b64 s[16:17], vcc
	s_xor_b64 s[16:17], exec, s[16:17]
; %bb.998:
	v_bfe_u32 v3, v0, 20, 1
	s_mov_b32 s18, 0x407ffff
	v_add3_u32 v0, v0, v3, s18
	v_lshrrev_b32_e32 v3, 20, v0
	v_and_b32_e32 v0, 0xff00000, v0
	s_mov_b32 s18, 0x7f00000
	v_mov_b32_e32 v4, 0x7e
	v_cmp_ne_u32_e32 vcc, s18, v0
	v_cndmask_b32_e32 v3, v4, v3, vcc
                                        ; implicit-def: $vgpr0
; %bb.999:
	s_andn2_saveexec_b64 s[16:17], s[16:17]
; %bb.1000:
	v_add_f32_e32 v3, 0x46800000, v0
; %bb.1001:
	s_or_b64 exec, exec, s[16:17]
                                        ; implicit-def: $vgpr0
.LBB340_1002:
	s_andn2_saveexec_b64 s[14:15], s[14:15]
; %bb.1003:
	s_mov_b32 s16, 0x7f800000
	v_mov_b32_e32 v3, 0x7e
	v_mov_b32_e32 v4, 0x7f
	v_cmp_lt_u32_e32 vcc, s16, v0
	v_cndmask_b32_e32 v3, v3, v4, vcc
; %bb.1004:
	s_or_b64 exec, exec, s[14:15]
	global_store_byte v[1:2], v3, off
.LBB340_1005:
	s_mov_b64 s[14:15], 0
.LBB340_1006:
	s_andn2_b64 vcc, exec, s[14:15]
	s_cbranch_vccnz .LBB340_1016
; %bb.1007:
	v_cndmask_b32_e64 v0, 0, 1.0, s[8:9]
	s_mov_b32 s14, 0x47800000
	v_cmp_gt_u32_e32 vcc, s14, v0
                                        ; implicit-def: $vgpr3
	s_and_saveexec_b64 s[14:15], vcc
	s_xor_b64 s[14:15], exec, s[14:15]
	s_cbranch_execz .LBB340_1013
; %bb.1008:
	s_mov_b32 s16, 0x387fffff
	v_cmp_lt_u32_e32 vcc, s16, v0
                                        ; implicit-def: $vgpr3
	s_and_saveexec_b64 s[16:17], vcc
	s_xor_b64 s[16:17], exec, s[16:17]
; %bb.1009:
	v_bfe_u32 v3, v0, 21, 1
	s_mov_b32 s18, 0x80fffff
	v_add3_u32 v0, v0, v3, s18
	v_lshrrev_b32_e32 v3, 21, v0
                                        ; implicit-def: $vgpr0
; %bb.1010:
	s_andn2_saveexec_b64 s[16:17], s[16:17]
; %bb.1011:
	v_add_f32_e32 v3, 0x43000000, v0
; %bb.1012:
	s_or_b64 exec, exec, s[16:17]
                                        ; implicit-def: $vgpr0
.LBB340_1013:
	s_andn2_saveexec_b64 s[14:15], s[14:15]
; %bb.1014:
	s_mov_b32 s16, 0x7f800000
	v_mov_b32_e32 v3, 0x7c
	v_mov_b32_e32 v4, 0x7f
	v_cmp_lt_u32_e32 vcc, s16, v0
	v_cndmask_b32_e32 v3, v3, v4, vcc
; %bb.1015:
	s_or_b64 exec, exec, s[14:15]
	global_store_byte v[1:2], v3, off
.LBB340_1016:
	s_mov_b64 s[14:15], 0
.LBB340_1017:
	s_andn2_b64 vcc, exec, s[14:15]
	s_mov_b64 s[14:15], 0
	s_cbranch_vccnz .LBB340_1029
; %bb.1018:
	s_cmp_gt_i32 s21, 14
	s_mov_b64 s[16:17], -1
	s_cbranch_scc0 .LBB340_1022
; %bb.1019:
	s_cmp_eq_u32 s21, 15
	s_mov_b64 s[0:1], -1
	s_cbranch_scc0 .LBB340_1021
; %bb.1020:
	v_cndmask_b32_e64 v0, 0, 1.0, s[8:9]
	v_bfe_u32 v3, v0, 16, 1
	s_movk_i32 s0, 0x7fff
	v_add3_u32 v0, v0, v3, s0
	global_store_short_d16_hi v[1:2], v0, off
	s_mov_b64 s[0:1], 0
.LBB340_1021:
	s_mov_b64 s[16:17], 0
.LBB340_1022:
	s_and_b64 vcc, exec, s[16:17]
	s_cbranch_vccz .LBB340_1029
; %bb.1023:
	s_cmp_lg_u32 s21, 11
	s_cselect_b64 s[16:17], -1, 0
	s_andn2_b64 s[0:1], s[0:1], exec
	s_and_b64 s[16:17], s[16:17], exec
	s_mov_b64 s[14:15], -1
	s_or_b64 s[0:1], s[0:1], s[16:17]
	s_branch .LBB340_1029
.LBB340_1024:
	s_or_b64 exec, exec, s[10:11]
	s_and_saveexec_b64 s[0:1], s[56:57]
	s_cbranch_execnz .LBB340_1030
.LBB340_1025:
	s_or_b64 exec, exec, s[0:1]
	s_and_saveexec_b64 s[0:1], s[14:15]
	s_xor_b64 s[0:1], exec, s[0:1]
	s_cbranch_execz .LBB340_1031
.LBB340_1026:
	v_cndmask_b32_e64 v0, 0, 1, s[8:9]
	global_store_byte v[1:2], v0, off
	s_or_b64 exec, exec, s[0:1]
	s_and_saveexec_b64 s[0:1], s[12:13]
	s_xor_b64 s[0:1], exec, s[0:1]
	s_cbranch_execz .LBB340_1069
	s_branch .LBB340_1032
.LBB340_1027:
	s_mov_b64 s[12:13], -1
	s_mov_b64 s[0:1], s[56:57]
	s_branch .LBB340_1029
.LBB340_1028:
	s_mov_b64 s[14:15], 0
.LBB340_1029:
	s_andn2_b64 s[16:17], s[56:57], exec
	s_and_b64 s[0:1], s[0:1], exec
	s_and_b64 s[12:13], s[12:13], exec
	;; [unrolled: 1-line block ×3, first 2 shown]
	s_or_b64 s[56:57], s[16:17], s[0:1]
	s_or_b64 exec, exec, s[10:11]
	s_and_saveexec_b64 s[0:1], s[56:57]
	s_cbranch_execz .LBB340_1025
.LBB340_1030:
	s_or_b64 s[2:3], s[2:3], exec
	s_andn2_b64 s[14:15], s[14:15], exec
	s_trap 2
	s_or_b64 exec, exec, s[0:1]
	s_and_saveexec_b64 s[0:1], s[14:15]
	s_xor_b64 s[0:1], exec, s[0:1]
	s_cbranch_execnz .LBB340_1026
.LBB340_1031:
	s_or_b64 exec, exec, s[0:1]
	s_and_saveexec_b64 s[0:1], s[12:13]
	s_xor_b64 s[0:1], exec, s[0:1]
	s_cbranch_execz .LBB340_1069
.LBB340_1032:
	s_sext_i32_i16 s12, s20
	s_cmp_lt_i32 s12, 5
	s_mov_b64 s[10:11], -1
	s_cbranch_scc1 .LBB340_1053
; %bb.1033:
	s_cmp_lt_i32 s12, 8
	s_cbranch_scc1 .LBB340_1043
; %bb.1034:
	s_cmp_lt_i32 s12, 9
	s_cbranch_scc1 .LBB340_1040
; %bb.1035:
	s_cmp_gt_i32 s12, 9
	s_cbranch_scc0 .LBB340_1037
; %bb.1036:
	v_cndmask_b32_e64 v0, 0, 1, s[8:9]
	s_waitcnt vmcnt(0)
	v_cvt_f64_u32_e32 v[3:4], v0
	v_mov_b32_e32 v5, 0
	v_mov_b32_e32 v6, v5
	s_mov_b64 s[10:11], 0
	global_store_dwordx4 v[1:2], v[3:6], off
.LBB340_1037:
	s_andn2_b64 vcc, exec, s[10:11]
	s_cbranch_vccnz .LBB340_1039
; %bb.1038:
	s_waitcnt vmcnt(0)
	v_cndmask_b32_e64 v3, 0, 1.0, s[8:9]
	v_mov_b32_e32 v4, 0
	global_store_dwordx2 v[1:2], v[3:4], off
.LBB340_1039:
	s_mov_b64 s[10:11], 0
.LBB340_1040:
	s_andn2_b64 vcc, exec, s[10:11]
	s_cbranch_vccnz .LBB340_1042
; %bb.1041:
	v_cndmask_b32_e64 v0, 0, 1.0, s[8:9]
	v_cvt_f16_f32_e32 v0, v0
	global_store_dword v[1:2], v0, off
.LBB340_1042:
	s_mov_b64 s[10:11], 0
.LBB340_1043:
	s_andn2_b64 vcc, exec, s[10:11]
	s_cbranch_vccnz .LBB340_1052
; %bb.1044:
	s_sext_i32_i16 s12, s20
	s_cmp_lt_i32 s12, 6
	s_mov_b64 s[10:11], -1
	s_cbranch_scc1 .LBB340_1050
; %bb.1045:
	s_cmp_gt_i32 s12, 6
	s_cbranch_scc0 .LBB340_1047
; %bb.1046:
	v_cndmask_b32_e64 v0, 0, 1, s[8:9]
	s_waitcnt vmcnt(0)
	v_cvt_f64_u32_e32 v[3:4], v0
	s_mov_b64 s[10:11], 0
	global_store_dwordx2 v[1:2], v[3:4], off
.LBB340_1047:
	s_andn2_b64 vcc, exec, s[10:11]
	s_cbranch_vccnz .LBB340_1049
; %bb.1048:
	v_cndmask_b32_e64 v0, 0, 1.0, s[8:9]
	global_store_dword v[1:2], v0, off
.LBB340_1049:
	s_mov_b64 s[10:11], 0
.LBB340_1050:
	s_andn2_b64 vcc, exec, s[10:11]
	s_cbranch_vccnz .LBB340_1052
; %bb.1051:
	v_cndmask_b32_e64 v0, 0, 1.0, s[8:9]
	v_cvt_f16_f32_e32 v0, v0
	global_store_short v[1:2], v0, off
.LBB340_1052:
	s_mov_b64 s[10:11], 0
.LBB340_1053:
	s_andn2_b64 vcc, exec, s[10:11]
	s_cbranch_vccnz .LBB340_1069
; %bb.1054:
	s_sext_i32_i16 s12, s20
	s_cmp_lt_i32 s12, 2
	s_mov_b64 s[10:11], -1
	s_cbranch_scc1 .LBB340_1064
; %bb.1055:
	s_cmp_lt_i32 s12, 3
	s_cbranch_scc1 .LBB340_1061
; %bb.1056:
	s_cmp_gt_i32 s12, 3
	s_cbranch_scc0 .LBB340_1058
; %bb.1057:
	s_mov_b32 s10, 0
	s_waitcnt vmcnt(0)
	v_cndmask_b32_e64 v3, 0, 1, s[8:9]
	v_mov_b32_e32 v4, s10
	s_mov_b64 s[10:11], 0
	global_store_dwordx2 v[1:2], v[3:4], off
.LBB340_1058:
	s_andn2_b64 vcc, exec, s[10:11]
	s_cbranch_vccnz .LBB340_1060
; %bb.1059:
	v_cndmask_b32_e64 v0, 0, 1, s[8:9]
	global_store_dword v[1:2], v0, off
.LBB340_1060:
	s_mov_b64 s[10:11], 0
.LBB340_1061:
	s_andn2_b64 vcc, exec, s[10:11]
	s_cbranch_vccnz .LBB340_1063
; %bb.1062:
	v_cndmask_b32_e64 v0, 0, 1, s[8:9]
	global_store_short v[1:2], v0, off
.LBB340_1063:
	s_mov_b64 s[10:11], 0
.LBB340_1064:
	s_andn2_b64 vcc, exec, s[10:11]
	s_cbranch_vccnz .LBB340_1069
; %bb.1065:
	s_sext_i32_i16 s10, s20
	s_cmp_gt_i32 s10, 0
	s_mov_b64 s[10:11], -1
	s_cbranch_scc0 .LBB340_1067
; %bb.1066:
	v_cndmask_b32_e64 v0, 0, 1, s[8:9]
	s_mov_b64 s[10:11], 0
	global_store_byte v[1:2], v0, off
.LBB340_1067:
	s_andn2_b64 vcc, exec, s[10:11]
	s_cbranch_vccnz .LBB340_1069
; %bb.1068:
	v_cndmask_b32_e64 v0, 0, 1, s[8:9]
	global_store_byte v[1:2], v0, off
.LBB340_1069:
	s_or_b64 exec, exec, s[0:1]
	s_and_b64 s[28:29], s[2:3], exec
                                        ; implicit-def: $vgpr15
                                        ; implicit-def: $vgpr8
.LBB340_1070:
	s_or_saveexec_b64 s[30:31], s[42:43]
	s_mov_b64 s[0:1], 0
                                        ; implicit-def: $sgpr10_sgpr11
                                        ; implicit-def: $vgpr0_vgpr1
                                        ; implicit-def: $sgpr20
	s_xor_b64 exec, exec, s[30:31]
	s_cbranch_execz .LBB340_2057
; %bb.1071:
	v_cndmask_b32_e64 v0, 0, 1, s[40:41]
	v_cmp_ne_u32_e64 s[0:1], 1, v0
	s_andn2_b64 vcc, exec, s[40:41]
	s_cbranch_vccnz .LBB340_1077
; %bb.1072:
	s_cmp_lg_u32 s33, 0
	s_mov_b32 s36, 0
	s_cbranch_scc0 .LBB340_1078
; %bb.1073:
	s_min_u32 s37, s76, 15
	s_add_i32 s37, s37, 1
	s_cmp_eq_u32 s76, 2
	s_cbranch_scc1 .LBB340_1079
; %bb.1074:
	s_and_b32 s36, s37, 28
	s_add_u32 s2, s34, 0xc4
	s_addc_u32 s3, s35, 0
	v_mov_b32_e32 v13, 0
	s_mov_b32 s38, 0
	s_mov_b64 s[6:7], s[34:35]
	v_mov_b32_e32 v6, 0
	v_mov_b32_e32 v0, v8
.LBB340_1075:                           ; =>This Inner Loop Header: Depth=1
	s_load_dwordx8 s[16:23], s[6:7], 0x4
	s_load_dwordx4 s[24:27], s[6:7], 0x24
	s_load_dwordx8 s[8:15], s[2:3], 0x0
	s_add_u32 s6, s6, 48
	s_addc_u32 s7, s7, 0
	s_waitcnt lgkmcnt(0)
	v_mul_hi_u32 v1, s17, v0
	s_add_i32 s38, s38, 4
	s_add_u32 s2, s2, 32
	s_addc_u32 s3, s3, 0
	v_add_u32_e32 v1, v0, v1
	v_lshrrev_b32_e32 v1, s18, v1
	v_mul_lo_u32 v2, v1, s16
	s_waitcnt vmcnt(0)
	v_mul_hi_u32 v3, s20, v1
	s_cmp_lg_u32 s36, s38
	v_sub_u32_e32 v0, v0, v2
	v_add_u32_e32 v2, v1, v3
	v_mul_lo_u32 v3, v0, s8
	v_mul_lo_u32 v4, v0, s9
	v_lshrrev_b32_e32 v0, s21, v2
	v_mul_lo_u32 v2, v0, s19
	v_mul_hi_u32 v5, s23, v0
	v_sub_u32_e32 v1, v1, v2
	v_add_u32_e32 v2, v0, v5
	v_lshrrev_b32_e32 v2, s24, v2
	v_mul_hi_u32 v7, s26, v2
	v_mul_lo_u32 v9, v2, s22
	v_mul_lo_u32 v5, v1, s10
	;; [unrolled: 1-line block ×3, first 2 shown]
	v_sub_u32_e32 v9, v0, v9
	v_add_u32_e32 v0, v2, v7
	v_lshrrev_b32_e32 v0, s27, v0
	v_mul_lo_u32 v7, v0, s25
	v_mul_lo_u32 v10, v9, s12
	;; [unrolled: 1-line block ×3, first 2 shown]
	v_add3_u32 v3, v3, v6, v5
	v_sub_u32_e32 v2, v2, v7
	v_mul_lo_u32 v7, v2, s14
	v_mul_lo_u32 v2, v2, s15
	v_add3_u32 v1, v4, v13, v1
	v_add3_u32 v6, v10, v3, v7
	;; [unrolled: 1-line block ×3, first 2 shown]
	s_cbranch_scc1 .LBB340_1075
; %bb.1076:
	s_and_b32 s8, s37, 3
	s_cmp_eq_u32 s8, 0
	s_cbranch_scc0 .LBB340_1080
	s_branch .LBB340_1082
.LBB340_1077:
                                        ; implicit-def: $vgpr6
                                        ; implicit-def: $vgpr13
	s_branch .LBB340_1083
.LBB340_1078:
	v_mov_b32_e32 v6, 0
	v_mov_b32_e32 v13, 0
	s_branch .LBB340_1082
.LBB340_1079:
	v_mov_b32_e32 v6, 0
	v_mov_b32_e32 v13, 0
	;; [unrolled: 1-line block ×3, first 2 shown]
	s_and_b32 s8, s37, 3
	s_cmp_eq_u32 s8, 0
	s_cbranch_scc1 .LBB340_1082
.LBB340_1080:
	s_lshl_b32 s2, s36, 3
	s_add_u32 s2, s34, s2
	s_addc_u32 s3, s35, 0
	s_add_u32 s2, s2, 0xc4
	s_addc_u32 s3, s3, 0
	s_mul_i32 s6, s36, 12
	s_add_u32 s6, s34, s6
	s_addc_u32 s7, s35, 0
.LBB340_1081:                           ; =>This Inner Loop Header: Depth=1
	s_load_dwordx2 s[10:11], s[6:7], 0x4
	s_load_dword s9, s[6:7], 0xc
	s_load_dwordx2 s[12:13], s[2:3], 0x0
	s_add_u32 s6, s6, 12
	s_addc_u32 s7, s7, 0
	s_waitcnt lgkmcnt(0)
	v_mul_hi_u32 v1, s11, v0
	s_add_u32 s2, s2, 8
	s_addc_u32 s3, s3, 0
	s_add_i32 s8, s8, -1
	v_add_u32_e32 v1, v0, v1
	v_lshrrev_b32_e32 v1, s9, v1
	v_mul_lo_u32 v2, v1, s10
	s_cmp_lg_u32 s8, 0
	v_sub_u32_e32 v0, v0, v2
	v_mad_u64_u32 v[6:7], s[10:11], v0, s12, v[6:7]
	v_mad_u64_u32 v[13:14], s[10:11], v0, s13, v[13:14]
	v_mov_b32_e32 v0, v1
	s_cbranch_scc1 .LBB340_1081
.LBB340_1082:
	s_cbranch_execnz .LBB340_1085
.LBB340_1083:
	s_load_dwordx4 s[8:11], s[34:35], 0x4
	s_load_dwordx2 s[2:3], s[34:35], 0xc4
	s_cmp_lt_u32 s33, 2
	s_waitcnt lgkmcnt(0)
	v_mul_hi_u32 v0, s9, v8
	v_add_u32_e32 v0, v8, v0
	v_lshrrev_b32_e32 v0, s10, v0
	v_mul_lo_u32 v1, v0, s8
	v_sub_u32_e32 v1, v8, v1
	v_mul_lo_u32 v6, v1, s2
	v_mul_lo_u32 v13, v1, s3
	s_cbranch_scc1 .LBB340_1085
; %bb.1084:
	s_load_dwordx4 s[8:11], s[34:35], 0x10
	s_load_dwordx2 s[2:3], s[34:35], 0xcc
	s_waitcnt lgkmcnt(0)
	v_mul_hi_u32 v1, s9, v0
	v_add_u32_e32 v1, v0, v1
	v_lshrrev_b32_e32 v1, s10, v1
	v_mul_lo_u32 v1, v1, s8
	v_sub_u32_e32 v0, v0, v1
	v_mad_u64_u32 v[6:7], s[6:7], v0, s2, v[6:7]
	v_mad_u64_u32 v[13:14], s[2:3], v0, s3, v[13:14]
.LBB340_1085:
	s_and_b64 vcc, exec, s[0:1]
	v_add_u32_e32 v0, 0x80, v8
	s_cbranch_vccnz .LBB340_1091
; %bb.1086:
	s_cmp_lg_u32 s33, 0
	s_mov_b32 s36, 0
	s_cbranch_scc0 .LBB340_1092
; %bb.1087:
	s_min_u32 s37, s76, 15
	s_add_i32 s37, s37, 1
	s_cmp_eq_u32 s76, 2
	s_cbranch_scc1 .LBB340_1093
; %bb.1088:
	s_and_b32 s36, s37, 28
	s_add_u32 s2, s34, 0xc4
	s_addc_u32 s3, s35, 0
	v_mov_b32_e32 v11, 0
	s_mov_b32 s38, 0
	s_mov_b64 s[6:7], s[34:35]
	s_waitcnt vmcnt(0)
	v_mov_b32_e32 v4, 0
	v_mov_b32_e32 v1, v0
.LBB340_1089:                           ; =>This Inner Loop Header: Depth=1
	s_load_dwordx8 s[16:23], s[6:7], 0x4
	s_load_dwordx4 s[24:27], s[6:7], 0x24
	s_load_dwordx8 s[8:15], s[2:3], 0x0
	s_add_u32 s6, s6, 48
	s_addc_u32 s7, s7, 0
	s_waitcnt lgkmcnt(0)
	v_mul_hi_u32 v2, s17, v1
	s_add_i32 s38, s38, 4
	s_add_u32 s2, s2, 32
	s_addc_u32 s3, s3, 0
	v_add_u32_e32 v2, v1, v2
	v_lshrrev_b32_e32 v2, s18, v2
	v_mul_lo_u32 v3, v2, s16
	v_mul_hi_u32 v5, s20, v2
	s_cmp_lg_u32 s36, s38
	v_sub_u32_e32 v1, v1, v3
	v_add_u32_e32 v3, v2, v5
	v_mul_lo_u32 v5, v1, s8
	v_mul_lo_u32 v7, v1, s9
	v_lshrrev_b32_e32 v1, s21, v3
	v_mul_lo_u32 v3, v1, s19
	v_mul_hi_u32 v9, s23, v1
	v_sub_u32_e32 v2, v2, v3
	v_add_u32_e32 v3, v1, v9
	v_lshrrev_b32_e32 v3, s24, v3
	v_mul_hi_u32 v10, s26, v3
	v_mul_lo_u32 v12, v3, s22
	v_mul_lo_u32 v9, v2, s10
	;; [unrolled: 1-line block ×3, first 2 shown]
	v_sub_u32_e32 v12, v1, v12
	v_add_u32_e32 v1, v3, v10
	v_lshrrev_b32_e32 v1, s27, v1
	v_mul_lo_u32 v10, v1, s25
	v_mul_lo_u32 v14, v12, s12
	;; [unrolled: 1-line block ×3, first 2 shown]
	v_add3_u32 v4, v5, v4, v9
	v_sub_u32_e32 v3, v3, v10
	v_mul_lo_u32 v10, v3, s14
	v_mul_lo_u32 v3, v3, s15
	v_add3_u32 v2, v7, v11, v2
	v_add3_u32 v4, v14, v4, v10
	;; [unrolled: 1-line block ×3, first 2 shown]
	s_cbranch_scc1 .LBB340_1089
; %bb.1090:
	s_and_b32 s8, s37, 3
	s_cmp_eq_u32 s8, 0
	s_cbranch_scc0 .LBB340_1094
	s_branch .LBB340_1096
.LBB340_1091:
                                        ; implicit-def: $vgpr4
                                        ; implicit-def: $vgpr11
	s_branch .LBB340_1097
.LBB340_1092:
	s_waitcnt vmcnt(0)
	v_mov_b32_e32 v4, 0
	v_mov_b32_e32 v11, 0
	s_branch .LBB340_1096
.LBB340_1093:
	s_waitcnt vmcnt(0)
	v_mov_b32_e32 v4, 0
	v_mov_b32_e32 v11, 0
	;; [unrolled: 1-line block ×3, first 2 shown]
	s_and_b32 s8, s37, 3
	s_cmp_eq_u32 s8, 0
	s_cbranch_scc1 .LBB340_1096
.LBB340_1094:
	s_lshl_b32 s2, s36, 3
	s_add_u32 s2, s34, s2
	s_addc_u32 s3, s35, 0
	s_add_u32 s2, s2, 0xc4
	s_addc_u32 s3, s3, 0
	s_mul_i32 s6, s36, 12
	s_add_u32 s6, s34, s6
	s_addc_u32 s7, s35, 0
.LBB340_1095:                           ; =>This Inner Loop Header: Depth=1
	s_load_dwordx2 s[10:11], s[6:7], 0x4
	s_load_dword s9, s[6:7], 0xc
	s_load_dwordx2 s[12:13], s[2:3], 0x0
	s_add_u32 s6, s6, 12
	s_addc_u32 s7, s7, 0
	s_waitcnt lgkmcnt(0)
	v_mul_hi_u32 v2, s11, v1
	s_add_u32 s2, s2, 8
	s_addc_u32 s3, s3, 0
	s_add_i32 s8, s8, -1
	v_add_u32_e32 v2, v1, v2
	v_lshrrev_b32_e32 v2, s9, v2
	v_mul_lo_u32 v3, v2, s10
	s_cmp_lg_u32 s8, 0
	v_sub_u32_e32 v1, v1, v3
	v_mad_u64_u32 v[4:5], s[10:11], v1, s12, v[4:5]
	v_mad_u64_u32 v[11:12], s[10:11], v1, s13, v[11:12]
	v_mov_b32_e32 v1, v2
	s_cbranch_scc1 .LBB340_1095
.LBB340_1096:
	s_cbranch_execnz .LBB340_1099
.LBB340_1097:
	s_load_dwordx4 s[8:11], s[34:35], 0x4
	s_load_dwordx2 s[2:3], s[34:35], 0xc4
	s_cmp_lt_u32 s33, 2
	s_waitcnt lgkmcnt(0)
	v_mul_hi_u32 v1, s9, v0
	v_add_u32_e32 v1, v0, v1
	v_lshrrev_b32_e32 v1, s10, v1
	v_mul_lo_u32 v2, v1, s8
	v_sub_u32_e32 v0, v0, v2
	s_waitcnt vmcnt(0)
	v_mul_lo_u32 v4, v0, s2
	v_mul_lo_u32 v11, v0, s3
	s_cbranch_scc1 .LBB340_1099
; %bb.1098:
	s_load_dwordx4 s[8:11], s[34:35], 0x10
	s_load_dwordx2 s[2:3], s[34:35], 0xcc
	s_waitcnt lgkmcnt(0)
	v_mul_hi_u32 v0, s9, v1
	v_add_u32_e32 v0, v1, v0
	v_lshrrev_b32_e32 v0, s10, v0
	v_mul_lo_u32 v0, v0, s8
	v_sub_u32_e32 v0, v1, v0
	v_mad_u64_u32 v[4:5], s[6:7], v0, s2, v[4:5]
	v_mad_u64_u32 v[11:12], s[2:3], v0, s3, v[11:12]
.LBB340_1099:
	s_and_b64 vcc, exec, s[0:1]
	v_add_u32_e32 v0, 0x100, v8
	s_cbranch_vccnz .LBB340_1105
; %bb.1100:
	s_cmp_lg_u32 s33, 0
	s_mov_b32 s36, 0
	s_cbranch_scc0 .LBB340_1106
; %bb.1101:
	s_min_u32 s37, s76, 15
	s_add_i32 s37, s37, 1
	s_cmp_eq_u32 s76, 2
	s_cbranch_scc1 .LBB340_1107
; %bb.1102:
	s_and_b32 s36, s37, 28
	s_add_u32 s2, s34, 0xc4
	s_addc_u32 s3, s35, 0
	v_mov_b32_e32 v9, 0
	s_mov_b32 s38, 0
	s_mov_b64 s[6:7], s[34:35]
	v_mov_b32_e32 v2, 0
	v_mov_b32_e32 v1, v0
.LBB340_1103:                           ; =>This Inner Loop Header: Depth=1
	s_load_dwordx8 s[16:23], s[6:7], 0x4
	s_load_dwordx4 s[24:27], s[6:7], 0x24
	s_load_dwordx8 s[8:15], s[2:3], 0x0
	s_add_u32 s6, s6, 48
	s_addc_u32 s7, s7, 0
	s_waitcnt vmcnt(0) lgkmcnt(0)
	v_mul_hi_u32 v3, s17, v1
	s_add_i32 s38, s38, 4
	s_add_u32 s2, s2, 32
	s_addc_u32 s3, s3, 0
	v_add_u32_e32 v3, v1, v3
	v_lshrrev_b32_e32 v3, s18, v3
	v_mul_lo_u32 v5, v3, s16
	v_mul_hi_u32 v7, s20, v3
	s_cmp_lg_u32 s36, s38
	v_sub_u32_e32 v1, v1, v5
	v_add_u32_e32 v5, v3, v7
	v_mul_lo_u32 v7, v1, s8
	v_mul_lo_u32 v8, v1, s9
	v_lshrrev_b32_e32 v1, s21, v5
	v_mul_lo_u32 v5, v1, s19
	v_mul_hi_u32 v10, s23, v1
	v_sub_u32_e32 v3, v3, v5
	v_add_u32_e32 v5, v1, v10
	v_lshrrev_b32_e32 v5, s24, v5
	v_mul_hi_u32 v12, s26, v5
	v_mul_lo_u32 v14, v5, s22
	v_mul_lo_u32 v10, v3, s10
	;; [unrolled: 1-line block ×3, first 2 shown]
	v_sub_u32_e32 v14, v1, v14
	v_add_u32_e32 v1, v5, v12
	v_lshrrev_b32_e32 v1, s27, v1
	v_mul_lo_u32 v12, v1, s25
	v_mul_lo_u32 v16, v14, s12
	;; [unrolled: 1-line block ×3, first 2 shown]
	v_add3_u32 v2, v7, v2, v10
	v_sub_u32_e32 v5, v5, v12
	v_mul_lo_u32 v12, v5, s14
	v_mul_lo_u32 v5, v5, s15
	v_add3_u32 v3, v8, v9, v3
	v_add3_u32 v2, v16, v2, v12
	;; [unrolled: 1-line block ×3, first 2 shown]
	s_cbranch_scc1 .LBB340_1103
; %bb.1104:
	s_and_b32 s8, s37, 3
	s_cmp_eq_u32 s8, 0
	s_cbranch_scc0 .LBB340_1108
	s_branch .LBB340_1110
.LBB340_1105:
                                        ; implicit-def: $vgpr2
                                        ; implicit-def: $vgpr9
	s_branch .LBB340_1111
.LBB340_1106:
	v_mov_b32_e32 v2, 0
	v_mov_b32_e32 v9, 0
	s_branch .LBB340_1110
.LBB340_1107:
	v_mov_b32_e32 v2, 0
	v_mov_b32_e32 v9, 0
	;; [unrolled: 1-line block ×3, first 2 shown]
	s_and_b32 s8, s37, 3
	s_cmp_eq_u32 s8, 0
	s_cbranch_scc1 .LBB340_1110
.LBB340_1108:
	s_lshl_b32 s2, s36, 3
	s_add_u32 s2, s34, s2
	s_addc_u32 s3, s35, 0
	s_add_u32 s2, s2, 0xc4
	s_addc_u32 s3, s3, 0
	s_mul_i32 s6, s36, 12
	s_add_u32 s6, s34, s6
	s_addc_u32 s7, s35, 0
.LBB340_1109:                           ; =>This Inner Loop Header: Depth=1
	s_load_dwordx2 s[10:11], s[6:7], 0x4
	s_load_dword s9, s[6:7], 0xc
	s_load_dwordx2 s[12:13], s[2:3], 0x0
	s_add_u32 s6, s6, 12
	s_addc_u32 s7, s7, 0
	s_waitcnt vmcnt(0) lgkmcnt(0)
	v_mul_hi_u32 v3, s11, v1
	s_add_u32 s2, s2, 8
	s_addc_u32 s3, s3, 0
	s_add_i32 s8, s8, -1
	v_add_u32_e32 v3, v1, v3
	v_lshrrev_b32_e32 v5, s9, v3
	v_mul_lo_u32 v3, v5, s10
	s_cmp_lg_u32 s8, 0
	v_sub_u32_e32 v1, v1, v3
	v_mad_u64_u32 v[2:3], s[10:11], v1, s12, v[2:3]
	v_mad_u64_u32 v[9:10], s[10:11], v1, s13, v[9:10]
	v_mov_b32_e32 v1, v5
	s_cbranch_scc1 .LBB340_1109
.LBB340_1110:
	s_cbranch_execnz .LBB340_1113
.LBB340_1111:
	s_load_dwordx4 s[8:11], s[34:35], 0x4
	s_load_dwordx2 s[2:3], s[34:35], 0xc4
	s_cmp_lt_u32 s33, 2
	s_waitcnt lgkmcnt(0)
	v_mul_hi_u32 v1, s9, v0
	v_add_u32_e32 v1, v0, v1
	v_lshrrev_b32_e32 v1, s10, v1
	v_mul_lo_u32 v2, v1, s8
	v_sub_u32_e32 v0, v0, v2
	v_mul_lo_u32 v2, v0, s2
	v_mul_lo_u32 v9, v0, s3
	s_cbranch_scc1 .LBB340_1113
; %bb.1112:
	s_load_dwordx4 s[8:11], s[34:35], 0x10
	s_load_dwordx2 s[2:3], s[34:35], 0xcc
	s_waitcnt lgkmcnt(0)
	v_mul_hi_u32 v0, s9, v1
	v_add_u32_e32 v0, v1, v0
	v_lshrrev_b32_e32 v0, s10, v0
	v_mul_lo_u32 v0, v0, s8
	v_sub_u32_e32 v0, v1, v0
	s_waitcnt vmcnt(0)
	v_mad_u64_u32 v[2:3], s[6:7], v0, s2, v[2:3]
	v_mad_u64_u32 v[9:10], s[2:3], v0, s3, v[9:10]
.LBB340_1113:
	s_and_b64 vcc, exec, s[0:1]
	s_cbranch_vccnz .LBB340_1119
; %bb.1114:
	s_cmp_lg_u32 s33, 0
	s_mov_b32 s26, 0
	s_cbranch_scc0 .LBB340_1120
; %bb.1115:
	s_min_u32 s27, s76, 15
	s_add_i32 s27, s27, 1
	s_cmp_eq_u32 s76, 2
	s_cbranch_scc1 .LBB340_1121
; %bb.1116:
	s_and_b32 s26, s27, 28
	s_add_u32 s6, s34, 0xc4
	s_addc_u32 s7, s35, 0
	v_mov_b32_e32 v7, 0
	s_mov_b32 s36, 0
	s_mov_b64 s[24:25], s[34:35]
	v_mov_b32_e32 v0, 0
	v_mov_b32_e32 v1, v15
.LBB340_1117:                           ; =>This Inner Loop Header: Depth=1
	s_load_dwordx8 s[16:23], s[24:25], 0x4
	s_load_dwordx4 s[0:3], s[24:25], 0x24
	s_load_dwordx8 s[8:15], s[6:7], 0x0
	s_add_u32 s24, s24, 48
	s_addc_u32 s25, s25, 0
	s_waitcnt vmcnt(0) lgkmcnt(0)
	v_mul_hi_u32 v3, s17, v1
	s_add_i32 s36, s36, 4
	s_add_u32 s6, s6, 32
	s_addc_u32 s7, s7, 0
	v_add_u32_e32 v3, v1, v3
	v_lshrrev_b32_e32 v3, s18, v3
	v_mul_lo_u32 v5, v3, s16
	v_mul_hi_u32 v8, s20, v3
	s_cmp_lg_u32 s26, s36
	v_sub_u32_e32 v1, v1, v5
	v_add_u32_e32 v5, v3, v8
	v_mul_lo_u32 v8, v1, s8
	v_mul_lo_u32 v10, v1, s9
	v_lshrrev_b32_e32 v1, s21, v5
	v_mul_lo_u32 v5, v1, s19
	v_mul_hi_u32 v12, s23, v1
	v_sub_u32_e32 v3, v3, v5
	v_add_u32_e32 v5, v1, v12
	v_lshrrev_b32_e32 v5, s0, v5
	v_mul_hi_u32 v14, s2, v5
	v_mul_lo_u32 v16, v5, s22
	v_mul_lo_u32 v12, v3, s10
	;; [unrolled: 1-line block ×3, first 2 shown]
	v_sub_u32_e32 v16, v1, v16
	v_add_u32_e32 v1, v5, v14
	v_lshrrev_b32_e32 v1, s3, v1
	v_mul_lo_u32 v14, v1, s1
	v_mul_lo_u32 v17, v16, s12
	;; [unrolled: 1-line block ×3, first 2 shown]
	v_add3_u32 v0, v8, v0, v12
	v_sub_u32_e32 v5, v5, v14
	v_mul_lo_u32 v14, v5, s14
	v_mul_lo_u32 v5, v5, s15
	v_add3_u32 v3, v10, v7, v3
	v_add3_u32 v0, v17, v0, v14
	;; [unrolled: 1-line block ×3, first 2 shown]
	s_cbranch_scc1 .LBB340_1117
; %bb.1118:
	s_and_b32 s6, s27, 3
	s_cmp_eq_u32 s6, 0
	s_cbranch_scc0 .LBB340_1122
	s_branch .LBB340_1124
.LBB340_1119:
                                        ; implicit-def: $vgpr0
                                        ; implicit-def: $vgpr7
	s_branch .LBB340_1125
.LBB340_1120:
	v_mov_b32_e32 v0, 0
	v_mov_b32_e32 v7, 0
	s_branch .LBB340_1124
.LBB340_1121:
	v_mov_b32_e32 v0, 0
	v_mov_b32_e32 v7, 0
	;; [unrolled: 1-line block ×3, first 2 shown]
	s_and_b32 s6, s27, 3
	s_cmp_eq_u32 s6, 0
	s_cbranch_scc1 .LBB340_1124
.LBB340_1122:
	s_lshl_b32 s0, s26, 3
	s_add_u32 s0, s34, s0
	s_addc_u32 s1, s35, 0
	s_add_u32 s0, s0, 0xc4
	s_addc_u32 s1, s1, 0
	s_mul_i32 s2, s26, 12
	s_add_u32 s2, s34, s2
	s_addc_u32 s3, s35, 0
.LBB340_1123:                           ; =>This Inner Loop Header: Depth=1
	s_load_dwordx2 s[8:9], s[2:3], 0x4
	s_load_dword s7, s[2:3], 0xc
	s_load_dwordx2 s[10:11], s[0:1], 0x0
	s_add_u32 s2, s2, 12
	s_addc_u32 s3, s3, 0
	s_waitcnt vmcnt(0) lgkmcnt(0)
	v_mul_hi_u32 v3, s9, v1
	s_add_u32 s0, s0, 8
	s_addc_u32 s1, s1, 0
	s_add_i32 s6, s6, -1
	v_add_u32_e32 v3, v1, v3
	v_lshrrev_b32_e32 v3, s7, v3
	v_mul_lo_u32 v5, v3, s8
	s_cmp_lg_u32 s6, 0
	v_sub_u32_e32 v5, v1, v5
	v_mad_u64_u32 v[0:1], s[8:9], v5, s10, v[0:1]
	v_mad_u64_u32 v[7:8], s[8:9], v5, s11, v[7:8]
	v_mov_b32_e32 v1, v3
	s_cbranch_scc1 .LBB340_1123
.LBB340_1124:
	s_cbranch_execnz .LBB340_1127
.LBB340_1125:
	s_load_dwordx4 s[0:3], s[34:35], 0x4
	s_load_dwordx2 s[6:7], s[34:35], 0xc4
	s_cmp_lt_u32 s33, 2
	s_waitcnt lgkmcnt(0)
	v_mul_hi_u32 v0, s1, v15
	v_add_u32_e32 v0, v15, v0
	v_lshrrev_b32_e32 v1, s2, v0
	v_mul_lo_u32 v0, v1, s0
	s_waitcnt vmcnt(0)
	v_sub_u32_e32 v3, v15, v0
	v_mul_lo_u32 v0, v3, s6
	v_mul_lo_u32 v7, v3, s7
	s_cbranch_scc1 .LBB340_1127
; %bb.1126:
	s_load_dwordx4 s[0:3], s[34:35], 0x10
	s_load_dwordx2 s[6:7], s[34:35], 0xcc
	s_waitcnt lgkmcnt(0)
	v_mul_hi_u32 v3, s1, v1
	v_add_u32_e32 v3, v1, v3
	v_lshrrev_b32_e32 v3, s2, v3
	v_mul_lo_u32 v3, v3, s0
	v_sub_u32_e32 v3, v1, v3
	v_mad_u64_u32 v[0:1], s[0:1], v3, s6, v[0:1]
	v_mad_u64_u32 v[7:8], s[0:1], v3, s7, v[7:8]
.LBB340_1127:
	s_load_dwordx4 s[8:11], s[34:35], 0x148
	s_load_dword s12, s[4:5], 0x168
	s_waitcnt lgkmcnt(0)
	v_mov_b32_e32 v1, s11
	s_bfe_u32 s13, s12, 0x80008
	v_add_co_u32_e32 v15, vcc, s10, v13
	s_cmp_lt_i32 s13, 11
	v_addc_co_u32_e32 v16, vcc, 0, v1, vcc
	s_cbranch_scc1 .LBB340_1134
; %bb.1128:
	s_and_b32 s14, 0xffff, s13
	s_cmp_gt_i32 s14, 25
	s_mov_b64 s[4:5], 0
	s_cbranch_scc0 .LBB340_1136
; %bb.1129:
	s_cmp_gt_i32 s14, 28
	s_cbranch_scc0 .LBB340_1137
; %bb.1130:
	s_cmp_gt_i32 s14, 43
	;; [unrolled: 3-line block ×3, first 2 shown]
	s_cbranch_scc0 .LBB340_1139
; %bb.1132:
	s_cmp_eq_u32 s14, 46
	s_mov_b64 s[2:3], 0
	s_cbranch_scc0 .LBB340_1142
; %bb.1133:
	global_load_dword v1, v[15:16], off
	s_mov_b64 s[0:1], 0
	s_mov_b64 s[6:7], -1
	s_waitcnt vmcnt(0)
	v_lshlrev_b32_e32 v1, 16, v1
	v_cvt_u32_f32_e32 v13, v1
	s_branch .LBB340_1143
.LBB340_1134:
	s_mov_b64 s[6:7], 0
                                        ; implicit-def: $vgpr13
	s_mov_b64 s[2:3], s[28:29]
	s_cbranch_execnz .LBB340_1201
.LBB340_1135:
	s_andn2_b64 vcc, exec, s[6:7]
	s_cbranch_vccz .LBB340_1246
	s_branch .LBB340_2055
.LBB340_1136:
	s_mov_b64 s[6:7], 0
	s_mov_b64 s[0:1], 0
                                        ; implicit-def: $vgpr13
	s_cbranch_execnz .LBB340_1168
	s_branch .LBB340_1197
.LBB340_1137:
	s_mov_b64 s[6:7], 0
	s_mov_b64 s[0:1], 0
                                        ; implicit-def: $vgpr13
	s_cbranch_execz .LBB340_1167
	s_branch .LBB340_1152
.LBB340_1138:
	s_mov_b64 s[6:7], 0
	s_mov_b64 s[0:1], 0
                                        ; implicit-def: $vgpr13
	s_cbranch_execnz .LBB340_1148
	s_branch .LBB340_1151
.LBB340_1139:
	s_mov_b64 s[2:3], -1
	s_mov_b64 s[6:7], 0
	s_mov_b64 s[0:1], 0
                                        ; implicit-def: $vgpr13
	s_branch .LBB340_1143
.LBB340_1140:
	s_andn2_saveexec_b64 s[16:17], s[16:17]
	s_cbranch_execz .LBB340_979
.LBB340_1141:
	v_add_f32_e32 v0, 0x46000000, v3
	v_and_b32_e32 v0, 0xff, v0
	v_cmp_ne_u32_e32 vcc, 0, v0
	s_andn2_b64 s[14:15], s[14:15], exec
	s_and_b64 s[18:19], vcc, exec
	s_or_b64 s[14:15], s[14:15], s[18:19]
	s_or_b64 exec, exec, s[16:17]
	v_mov_b32_e32 v4, 0
	s_and_saveexec_b64 s[16:17], s[14:15]
	s_cbranch_execnz .LBB340_980
	s_branch .LBB340_981
.LBB340_1142:
	s_mov_b64 s[0:1], -1
                                        ; implicit-def: $vgpr13
	s_mov_b64 s[6:7], 0
.LBB340_1143:
	s_and_b64 vcc, exec, s[2:3]
	s_cbranch_vccz .LBB340_1146
; %bb.1144:
	s_cmp_eq_u32 s14, 44
	s_cbranch_scc0 .LBB340_1147
; %bb.1145:
	global_load_ubyte v1, v[15:16], off
	s_mov_b64 s[0:1], 0
	s_mov_b64 s[6:7], -1
	s_waitcnt vmcnt(0)
	v_lshlrev_b32_e32 v3, 23, v1
	v_cvt_u32_f32_e32 v3, v3
	v_cmp_ne_u32_e32 vcc, 0, v1
	v_cndmask_b32_e32 v13, 0, v3, vcc
.LBB340_1146:
	s_branch .LBB340_1151
.LBB340_1147:
	s_mov_b64 s[0:1], -1
                                        ; implicit-def: $vgpr13
	s_branch .LBB340_1151
.LBB340_1148:
	s_cmp_eq_u32 s14, 29
	s_cbranch_scc0 .LBB340_1150
; %bb.1149:
	global_load_dwordx2 v[13:14], v[15:16], off
	s_mov_b64 s[0:1], 0
	s_mov_b64 s[6:7], -1
	s_branch .LBB340_1151
.LBB340_1150:
	s_mov_b64 s[0:1], -1
                                        ; implicit-def: $vgpr13
.LBB340_1151:
	s_branch .LBB340_1167
.LBB340_1152:
	s_cmp_lt_i32 s14, 27
	s_cbranch_scc1 .LBB340_1155
; %bb.1153:
	s_cmp_gt_i32 s14, 27
	s_cbranch_scc0 .LBB340_1156
; %bb.1154:
	global_load_dword v13, v[15:16], off
	s_mov_b64 s[2:3], 0
	s_branch .LBB340_1157
.LBB340_1155:
	s_mov_b64 s[2:3], -1
                                        ; implicit-def: $vgpr13
	s_branch .LBB340_1160
.LBB340_1156:
	s_mov_b64 s[2:3], -1
                                        ; implicit-def: $vgpr13
.LBB340_1157:
	s_andn2_b64 vcc, exec, s[2:3]
	s_cbranch_vccnz .LBB340_1159
; %bb.1158:
	global_load_ushort v13, v[15:16], off
.LBB340_1159:
	s_mov_b64 s[2:3], 0
.LBB340_1160:
	s_andn2_b64 vcc, exec, s[2:3]
	s_cbranch_vccnz .LBB340_1166
; %bb.1161:
	global_load_ubyte v1, v[15:16], off
	s_movk_i32 s2, 0x7f
	s_mov_b64 s[6:7], 0
	s_waitcnt vmcnt(0)
	v_cmp_lt_i16_e32 vcc, s2, v1
	s_and_saveexec_b64 s[2:3], vcc
	s_xor_b64 s[2:3], exec, s[2:3]
	s_cbranch_execz .LBB340_1177
; %bb.1162:
	s_movk_i32 s6, 0x80
	v_cmp_ne_u16_e32 vcc, s6, v1
	s_and_b64 s[6:7], vcc, exec
	s_andn2_saveexec_b64 s[2:3], s[2:3]
	s_cbranch_execnz .LBB340_1178
.LBB340_1163:
	s_or_b64 exec, exec, s[2:3]
	v_mov_b32_e32 v13, 0
	s_and_saveexec_b64 s[2:3], s[6:7]
	s_cbranch_execz .LBB340_1165
.LBB340_1164:
	v_lshlrev_b32_e32 v3, 24, v1
	v_and_b32_e32 v1, 0xffff, v1
	v_and_b32_e32 v5, 7, v1
	v_ffbh_u32_e32 v10, v5
	v_min_u32_e32 v10, 32, v10
	v_subrev_u32_e32 v12, 28, v10
	v_bfe_u32 v8, v1, 3, 4
	v_lshlrev_b32_e32 v1, v12, v1
	v_sub_u32_e32 v10, 29, v10
	v_and_b32_e32 v1, 7, v1
	v_cmp_eq_u32_e32 vcc, 0, v8
	v_cndmask_b32_e32 v8, v8, v10, vcc
	v_cndmask_b32_e32 v1, v5, v1, vcc
	v_mov_b32_e32 v5, 0x3b800000
	v_lshlrev_b32_e32 v1, 20, v1
	v_and_b32_e32 v3, 0x80000000, v3
	v_lshl_add_u32 v5, v8, 23, v5
	v_or3_b32 v1, v3, v5, v1
	v_cvt_u32_f32_e32 v13, v1
.LBB340_1165:
	s_or_b64 exec, exec, s[2:3]
.LBB340_1166:
	s_mov_b64 s[6:7], -1
.LBB340_1167:
	s_branch .LBB340_1197
.LBB340_1168:
	s_cmp_gt_i32 s14, 22
	s_cbranch_scc0 .LBB340_1176
; %bb.1169:
	s_cmp_lt_i32 s14, 24
	s_cbranch_scc1 .LBB340_1179
; %bb.1170:
	s_cmp_gt_i32 s14, 24
	s_cbranch_scc0 .LBB340_1180
; %bb.1171:
	global_load_ubyte v1, v[15:16], off
	s_movk_i32 s2, 0x7f
	s_waitcnt vmcnt(0)
	v_cmp_lt_i16_e32 vcc, s2, v1
	s_and_saveexec_b64 s[2:3], vcc
	s_xor_b64 s[2:3], exec, s[2:3]
	s_cbranch_execz .LBB340_1191
; %bb.1172:
	s_movk_i32 s4, 0x80
	v_cmp_ne_u16_e32 vcc, s4, v1
	s_and_b64 s[4:5], vcc, exec
	s_andn2_saveexec_b64 s[2:3], s[2:3]
	s_cbranch_execnz .LBB340_1192
.LBB340_1173:
	s_or_b64 exec, exec, s[2:3]
	v_mov_b32_e32 v13, 0
	s_and_saveexec_b64 s[2:3], s[4:5]
	s_cbranch_execz .LBB340_1175
.LBB340_1174:
	v_lshlrev_b32_e32 v3, 24, v1
	v_and_b32_e32 v1, 0xffff, v1
	v_and_b32_e32 v5, 3, v1
	v_ffbh_u32_e32 v10, v5
	v_min_u32_e32 v10, 32, v10
	v_subrev_u32_e32 v12, 29, v10
	v_bfe_u32 v8, v1, 2, 5
	v_lshlrev_b32_e32 v1, v12, v1
	v_sub_u32_e32 v10, 30, v10
	v_and_b32_e32 v1, 3, v1
	v_cmp_eq_u32_e32 vcc, 0, v8
	v_cndmask_b32_e32 v8, v8, v10, vcc
	v_cndmask_b32_e32 v1, v5, v1, vcc
	v_mov_b32_e32 v5, 0x37800000
	v_lshlrev_b32_e32 v1, 21, v1
	v_and_b32_e32 v3, 0x80000000, v3
	v_lshl_add_u32 v5, v8, 23, v5
	v_or3_b32 v1, v3, v5, v1
	v_cvt_u32_f32_e32 v13, v1
.LBB340_1175:
	s_or_b64 exec, exec, s[2:3]
	s_mov_b64 s[2:3], 0
	s_branch .LBB340_1181
.LBB340_1176:
                                        ; implicit-def: $vgpr13
	s_mov_b64 s[4:5], 0
	s_branch .LBB340_1187
.LBB340_1177:
	s_andn2_saveexec_b64 s[2:3], s[2:3]
	s_cbranch_execz .LBB340_1163
.LBB340_1178:
	v_cmp_ne_u16_e32 vcc, 0, v1
	s_andn2_b64 s[6:7], s[6:7], exec
	s_and_b64 s[16:17], vcc, exec
	s_or_b64 s[6:7], s[6:7], s[16:17]
	s_or_b64 exec, exec, s[2:3]
	v_mov_b32_e32 v13, 0
	s_and_saveexec_b64 s[2:3], s[6:7]
	s_cbranch_execnz .LBB340_1164
	s_branch .LBB340_1165
.LBB340_1179:
	s_mov_b64 s[2:3], -1
                                        ; implicit-def: $vgpr13
	s_branch .LBB340_1184
.LBB340_1180:
	s_mov_b64 s[2:3], -1
                                        ; implicit-def: $vgpr13
.LBB340_1181:
	s_and_b64 vcc, exec, s[2:3]
	s_cbranch_vccz .LBB340_1183
; %bb.1182:
	global_load_ubyte v1, v[15:16], off
	s_mov_b32 s2, 0x7f800000
	s_waitcnt vmcnt(0)
	v_lshlrev_b32_e32 v1, 24, v1
	v_and_b32_e32 v3, 0x7f000000, v1
	v_ffbh_u32_e32 v5, v3
	v_min_u32_e32 v5, 32, v5
	v_sub_u32_e64 v5, v5, 4 clamp
	v_lshlrev_b32_e32 v10, v5, v3
	v_lshlrev_b32_e32 v5, 23, v5
	v_lshrrev_b32_e32 v10, 4, v10
	v_add_u32_e32 v8, 0x1000000, v3
	v_sub_u32_e32 v5, v10, v5
	v_ashrrev_i32_e32 v8, 8, v8
	v_add_u32_e32 v5, 0x3c000000, v5
	v_and_or_b32 v5, v8, s2, v5
	v_cmp_ne_u32_e32 vcc, 0, v3
	v_cndmask_b32_e32 v3, 0, v5, vcc
	s_brev_b32 s2, 1
	v_and_or_b32 v1, v1, s2, v3
	v_cvt_u32_f32_e32 v13, v1
.LBB340_1183:
	s_mov_b64 s[2:3], 0
.LBB340_1184:
	s_andn2_b64 vcc, exec, s[2:3]
	s_cbranch_vccnz .LBB340_1186
; %bb.1185:
	global_load_ubyte v1, v[15:16], off
	s_movk_i32 s2, 0x7f00
	s_brev_b32 s3, 16
	s_waitcnt vmcnt(0)
	v_lshlrev_b16_e32 v3, 8, v1
	v_lshlrev_b32_e32 v1, 25, v1
	v_lshrrev_b32_e32 v5, 4, v1
	v_and_or_b32 v8, v3, s2, 0.5
	v_or_b32_e32 v5, 0x70000000, v5
	v_add_f32_e32 v8, -0.5, v8
	v_mul_f32_e32 v5, 0x7800000, v5
	v_cmp_gt_u32_e32 vcc, s3, v1
	v_bfe_i32 v3, v3, 0, 16
	v_cndmask_b32_e32 v1, v5, v8, vcc
	s_brev_b32 s2, 1
	v_and_or_b32 v1, v3, s2, v1
	v_cvt_u32_f32_e32 v13, v1
.LBB340_1186:
	s_mov_b64 s[6:7], -1
	s_mov_b64 s[4:5], 0
	s_cbranch_execnz .LBB340_1197
.LBB340_1187:
	s_cmp_gt_i32 s14, 14
	s_cbranch_scc0 .LBB340_1190
; %bb.1188:
	s_cmp_eq_u32 s14, 15
	s_cbranch_scc0 .LBB340_1193
; %bb.1189:
	global_load_ushort v1, v[15:16], off
	s_mov_b64 s[0:1], 0
	s_mov_b64 s[6:7], -1
	s_waitcnt vmcnt(0)
	v_lshlrev_b32_e32 v1, 16, v1
	v_cvt_u32_f32_e32 v13, v1
	s_branch .LBB340_1194
.LBB340_1190:
	s_mov_b64 s[2:3], -1
                                        ; implicit-def: $vgpr13
	s_branch .LBB340_1195
.LBB340_1191:
	s_andn2_saveexec_b64 s[2:3], s[2:3]
	s_cbranch_execz .LBB340_1173
.LBB340_1192:
	v_cmp_ne_u16_e32 vcc, 0, v1
	s_andn2_b64 s[4:5], s[4:5], exec
	s_and_b64 s[6:7], vcc, exec
	s_or_b64 s[4:5], s[4:5], s[6:7]
	s_or_b64 exec, exec, s[2:3]
	v_mov_b32_e32 v13, 0
	s_and_saveexec_b64 s[2:3], s[4:5]
	s_cbranch_execnz .LBB340_1174
	s_branch .LBB340_1175
.LBB340_1193:
	s_mov_b64 s[0:1], -1
                                        ; implicit-def: $vgpr13
.LBB340_1194:
	s_mov_b64 s[2:3], 0
.LBB340_1195:
	s_and_b64 vcc, exec, s[2:3]
	s_cbranch_vccz .LBB340_1197
; %bb.1196:
	s_cmp_lg_u32 s14, 11
	s_mov_b64 s[4:5], -1
	s_cselect_b64 s[0:1], -1, 0
.LBB340_1197:
	s_and_b64 vcc, exec, s[0:1]
	s_mov_b64 s[2:3], s[28:29]
	s_cbranch_vccnz .LBB340_1258
; %bb.1198:
	s_andn2_b64 vcc, exec, s[4:5]
	s_cbranch_vccnz .LBB340_1200
.LBB340_1199:
	global_load_ubyte v1, v[15:16], off
	s_mov_b64 s[6:7], -1
	s_waitcnt vmcnt(0)
	v_cmp_ne_u16_e32 vcc, 0, v1
	v_cndmask_b32_e64 v13, 0, 1, vcc
.LBB340_1200:
	s_branch .LBB340_1135
.LBB340_1201:
	s_and_b32 s4, 0xffff, s13
	s_cmp_lt_i32 s4, 5
	s_cbranch_scc1 .LBB340_1206
; %bb.1202:
	s_cmp_lt_i32 s4, 8
	s_cbranch_scc1 .LBB340_1207
; %bb.1203:
	;; [unrolled: 3-line block ×3, first 2 shown]
	s_cmp_gt_i32 s4, 9
	s_cbranch_scc0 .LBB340_1209
; %bb.1205:
	global_load_dwordx2 v[12:13], v[15:16], off
	s_mov_b64 s[0:1], 0
	s_waitcnt vmcnt(0)
	v_cvt_u32_f64_e32 v13, v[12:13]
	s_branch .LBB340_1210
.LBB340_1206:
                                        ; implicit-def: $vgpr13
	s_branch .LBB340_1227
.LBB340_1207:
                                        ; implicit-def: $vgpr13
	s_branch .LBB340_1216
.LBB340_1208:
	s_mov_b64 s[0:1], -1
                                        ; implicit-def: $vgpr13
	s_branch .LBB340_1213
.LBB340_1209:
	s_mov_b64 s[0:1], -1
                                        ; implicit-def: $vgpr13
.LBB340_1210:
	s_andn2_b64 vcc, exec, s[0:1]
	s_cbranch_vccnz .LBB340_1212
; %bb.1211:
	global_load_dword v1, v[15:16], off
	s_waitcnt vmcnt(0)
	v_cvt_u32_f32_e32 v13, v1
.LBB340_1212:
	s_mov_b64 s[0:1], 0
.LBB340_1213:
	s_andn2_b64 vcc, exec, s[0:1]
	s_cbranch_vccnz .LBB340_1215
; %bb.1214:
	global_load_dword v1, v[15:16], off
	s_waitcnt vmcnt(0)
	v_cvt_u16_f16_e32 v13, v1
.LBB340_1215:
	s_cbranch_execnz .LBB340_1226
.LBB340_1216:
	s_cmp_lt_i32 s4, 6
	s_cbranch_scc1 .LBB340_1219
; %bb.1217:
	s_cmp_gt_i32 s4, 6
	s_cbranch_scc0 .LBB340_1220
; %bb.1218:
	global_load_dwordx2 v[12:13], v[15:16], off
	s_mov_b64 s[0:1], 0
	s_waitcnt vmcnt(0)
	v_cvt_u32_f64_e32 v13, v[12:13]
	s_branch .LBB340_1221
.LBB340_1219:
	s_mov_b64 s[0:1], -1
                                        ; implicit-def: $vgpr13
	s_branch .LBB340_1224
.LBB340_1220:
	s_mov_b64 s[0:1], -1
                                        ; implicit-def: $vgpr13
.LBB340_1221:
	s_andn2_b64 vcc, exec, s[0:1]
	s_cbranch_vccnz .LBB340_1223
; %bb.1222:
	global_load_dword v1, v[15:16], off
	s_waitcnt vmcnt(0)
	v_cvt_u32_f32_e32 v13, v1
.LBB340_1223:
	s_mov_b64 s[0:1], 0
.LBB340_1224:
	s_andn2_b64 vcc, exec, s[0:1]
	s_cbranch_vccnz .LBB340_1226
; %bb.1225:
	global_load_ushort v1, v[15:16], off
	s_waitcnt vmcnt(0)
	v_cvt_u16_f16_e32 v13, v1
.LBB340_1226:
	s_cbranch_execnz .LBB340_1245
.LBB340_1227:
	s_cmp_lt_i32 s4, 2
	s_cbranch_scc1 .LBB340_1231
; %bb.1228:
	s_cmp_lt_i32 s4, 3
	s_cbranch_scc1 .LBB340_1232
; %bb.1229:
	s_cmp_gt_i32 s4, 3
	s_cbranch_scc0 .LBB340_1233
; %bb.1230:
	global_load_dwordx2 v[13:14], v[15:16], off
	s_mov_b64 s[0:1], 0
	s_branch .LBB340_1234
.LBB340_1231:
                                        ; implicit-def: $vgpr13
	s_branch .LBB340_1240
.LBB340_1232:
	s_mov_b64 s[0:1], -1
                                        ; implicit-def: $vgpr13
	s_branch .LBB340_1237
.LBB340_1233:
	s_mov_b64 s[0:1], -1
                                        ; implicit-def: $vgpr13
.LBB340_1234:
	s_andn2_b64 vcc, exec, s[0:1]
	s_cbranch_vccnz .LBB340_1236
; %bb.1235:
	global_load_dword v13, v[15:16], off
.LBB340_1236:
	s_mov_b64 s[0:1], 0
.LBB340_1237:
	s_andn2_b64 vcc, exec, s[0:1]
	s_cbranch_vccnz .LBB340_1239
; %bb.1238:
	global_load_ushort v13, v[15:16], off
.LBB340_1239:
	s_cbranch_execnz .LBB340_1245
.LBB340_1240:
	s_cmp_gt_i32 s4, 0
	s_cbranch_scc0 .LBB340_1242
; %bb.1241:
	global_load_sbyte v13, v[15:16], off
	s_mov_b64 s[0:1], 0
	s_branch .LBB340_1243
.LBB340_1242:
	s_mov_b64 s[0:1], -1
                                        ; implicit-def: $vgpr13
.LBB340_1243:
	s_andn2_b64 vcc, exec, s[0:1]
	s_cbranch_vccnz .LBB340_1245
; %bb.1244:
	global_load_ubyte v13, v[15:16], off
.LBB340_1245:
.LBB340_1246:
	s_lshr_b32 s0, s12, 8
	v_mov_b32_e32 v1, s11
	s_and_b32 s14, s0, 0xff
	s_waitcnt vmcnt(0)
	v_add_co_u32_e32 v14, vcc, s10, v11
	s_cmp_lt_i32 s14, 11
	v_addc_co_u32_e32 v15, vcc, 0, v1, vcc
	s_cbranch_scc1 .LBB340_1253
; %bb.1247:
	s_and_b32 s15, 0xffff, s14
	s_cmp_gt_i32 s15, 25
	s_mov_b64 s[4:5], 0
	s_cbranch_scc0 .LBB340_1255
; %bb.1248:
	s_cmp_gt_i32 s15, 28
	s_cbranch_scc0 .LBB340_1256
; %bb.1249:
	s_cmp_gt_i32 s15, 43
	;; [unrolled: 3-line block ×3, first 2 shown]
	s_cbranch_scc0 .LBB340_1259
; %bb.1251:
	s_cmp_eq_u32 s15, 46
	s_mov_b64 s[12:13], 0
	s_cbranch_scc0 .LBB340_1262
; %bb.1252:
	global_load_dword v1, v[14:15], off
	s_mov_b64 s[0:1], 0
	s_mov_b64 s[6:7], -1
	s_waitcnt vmcnt(0)
	v_lshlrev_b32_e32 v1, 16, v1
	v_cvt_u32_f32_e32 v11, v1
	s_branch .LBB340_1263
.LBB340_1253:
	s_mov_b64 s[6:7], 0
                                        ; implicit-def: $vgpr11
	s_cbranch_execnz .LBB340_1324
.LBB340_1254:
	s_andn2_b64 vcc, exec, s[6:7]
	s_cbranch_vccnz .LBB340_2055
	s_branch .LBB340_1371
.LBB340_1255:
	s_mov_b64 s[6:7], 0
	s_mov_b64 s[0:1], 0
                                        ; implicit-def: $vgpr11
	s_cbranch_execnz .LBB340_1290
	s_branch .LBB340_1320
.LBB340_1256:
	s_mov_b64 s[12:13], -1
	s_mov_b64 s[6:7], 0
	s_mov_b64 s[0:1], 0
                                        ; implicit-def: $vgpr11
	s_branch .LBB340_1273
.LBB340_1257:
	s_mov_b64 s[12:13], -1
	s_mov_b64 s[6:7], 0
	s_mov_b64 s[0:1], 0
                                        ; implicit-def: $vgpr11
	s_branch .LBB340_1268
.LBB340_1258:
	s_or_b64 s[2:3], s[28:29], exec
	s_trap 2
	s_cbranch_execz .LBB340_1199
	s_branch .LBB340_1200
.LBB340_1259:
	s_mov_b64 s[12:13], -1
	s_mov_b64 s[6:7], 0
	s_mov_b64 s[0:1], 0
                                        ; implicit-def: $vgpr11
	s_branch .LBB340_1263
.LBB340_1260:
	s_andn2_saveexec_b64 s[18:19], s[18:19]
	s_cbranch_execz .LBB340_991
.LBB340_1261:
	v_add_f32_e32 v0, 0x42800000, v3
	v_and_b32_e32 v0, 0xff, v0
	v_cmp_ne_u32_e32 vcc, 0, v0
	s_andn2_b64 s[16:17], s[16:17], exec
	s_and_b64 s[22:23], vcc, exec
	s_or_b64 s[16:17], s[16:17], s[22:23]
	s_or_b64 exec, exec, s[18:19]
	v_mov_b32_e32 v4, 0
	s_and_saveexec_b64 s[18:19], s[16:17]
	s_cbranch_execnz .LBB340_992
	s_branch .LBB340_993
.LBB340_1262:
	s_mov_b64 s[0:1], -1
                                        ; implicit-def: $vgpr11
	s_mov_b64 s[6:7], 0
.LBB340_1263:
	s_and_b64 vcc, exec, s[12:13]
	s_cbranch_vccz .LBB340_1267
; %bb.1264:
	s_cmp_eq_u32 s15, 44
	s_cbranch_scc0 .LBB340_1266
; %bb.1265:
	global_load_ubyte v1, v[14:15], off
	s_mov_b64 s[0:1], 0
	s_mov_b64 s[6:7], -1
	s_waitcnt vmcnt(0)
	v_lshlrev_b32_e32 v3, 23, v1
	v_cvt_u32_f32_e32 v3, v3
	v_cmp_ne_u32_e32 vcc, 0, v1
	v_cndmask_b32_e32 v11, 0, v3, vcc
	s_branch .LBB340_1267
.LBB340_1266:
	s_mov_b64 s[0:1], -1
                                        ; implicit-def: $vgpr11
.LBB340_1267:
	s_mov_b64 s[12:13], 0
.LBB340_1268:
	s_and_b64 vcc, exec, s[12:13]
	s_cbranch_vccz .LBB340_1272
; %bb.1269:
	s_cmp_eq_u32 s15, 29
	s_cbranch_scc0 .LBB340_1271
; %bb.1270:
	global_load_dwordx2 v[11:12], v[14:15], off
	s_mov_b64 s[0:1], 0
	s_mov_b64 s[6:7], -1
	s_branch .LBB340_1272
.LBB340_1271:
	s_mov_b64 s[0:1], -1
                                        ; implicit-def: $vgpr11
.LBB340_1272:
	s_mov_b64 s[12:13], 0
.LBB340_1273:
	s_and_b64 vcc, exec, s[12:13]
	s_cbranch_vccz .LBB340_1289
; %bb.1274:
	s_cmp_lt_i32 s15, 27
	s_cbranch_scc1 .LBB340_1277
; %bb.1275:
	s_cmp_gt_i32 s15, 27
	s_cbranch_scc0 .LBB340_1278
; %bb.1276:
	global_load_dword v11, v[14:15], off
	s_mov_b64 s[6:7], 0
	s_branch .LBB340_1279
.LBB340_1277:
	s_mov_b64 s[6:7], -1
                                        ; implicit-def: $vgpr11
	s_branch .LBB340_1282
.LBB340_1278:
	s_mov_b64 s[6:7], -1
                                        ; implicit-def: $vgpr11
.LBB340_1279:
	s_andn2_b64 vcc, exec, s[6:7]
	s_cbranch_vccnz .LBB340_1281
; %bb.1280:
	global_load_ushort v11, v[14:15], off
.LBB340_1281:
	s_mov_b64 s[6:7], 0
.LBB340_1282:
	s_andn2_b64 vcc, exec, s[6:7]
	s_cbranch_vccnz .LBB340_1288
; %bb.1283:
	global_load_ubyte v1, v[14:15], off
	s_movk_i32 s6, 0x7f
	s_mov_b64 s[12:13], 0
	s_waitcnt vmcnt(0)
	v_cmp_lt_i16_e32 vcc, s6, v1
	s_and_saveexec_b64 s[6:7], vcc
	s_xor_b64 s[6:7], exec, s[6:7]
	s_cbranch_execz .LBB340_1299
; %bb.1284:
	s_movk_i32 s12, 0x80
	v_cmp_ne_u16_e32 vcc, s12, v1
	s_and_b64 s[12:13], vcc, exec
	s_andn2_saveexec_b64 s[6:7], s[6:7]
	s_cbranch_execnz .LBB340_1300
.LBB340_1285:
	s_or_b64 exec, exec, s[6:7]
	v_mov_b32_e32 v11, 0
	s_and_saveexec_b64 s[6:7], s[12:13]
	s_cbranch_execz .LBB340_1287
.LBB340_1286:
	v_lshlrev_b32_e32 v3, 24, v1
	v_and_b32_e32 v1, 0xffff, v1
	v_and_b32_e32 v5, 7, v1
	v_ffbh_u32_e32 v10, v5
	v_min_u32_e32 v10, 32, v10
	v_subrev_u32_e32 v11, 28, v10
	v_bfe_u32 v8, v1, 3, 4
	v_lshlrev_b32_e32 v1, v11, v1
	v_sub_u32_e32 v10, 29, v10
	v_and_b32_e32 v1, 7, v1
	v_cmp_eq_u32_e32 vcc, 0, v8
	v_cndmask_b32_e32 v8, v8, v10, vcc
	v_cndmask_b32_e32 v1, v5, v1, vcc
	v_mov_b32_e32 v5, 0x3b800000
	v_lshlrev_b32_e32 v1, 20, v1
	v_and_b32_e32 v3, 0x80000000, v3
	v_lshl_add_u32 v5, v8, 23, v5
	v_or3_b32 v1, v3, v5, v1
	v_cvt_u32_f32_e32 v11, v1
.LBB340_1287:
	s_or_b64 exec, exec, s[6:7]
.LBB340_1288:
	s_mov_b64 s[6:7], -1
.LBB340_1289:
	s_branch .LBB340_1320
.LBB340_1290:
	s_cmp_gt_i32 s15, 22
	s_cbranch_scc0 .LBB340_1298
; %bb.1291:
	s_cmp_lt_i32 s15, 24
	s_cbranch_scc1 .LBB340_1301
; %bb.1292:
	s_cmp_gt_i32 s15, 24
	s_cbranch_scc0 .LBB340_1302
; %bb.1293:
	global_load_ubyte v1, v[14:15], off
	s_movk_i32 s4, 0x7f
	s_mov_b64 s[6:7], 0
	s_waitcnt vmcnt(0)
	v_cmp_lt_i16_e32 vcc, s4, v1
	s_and_saveexec_b64 s[4:5], vcc
	s_xor_b64 s[4:5], exec, s[4:5]
	s_cbranch_execz .LBB340_1314
; %bb.1294:
	s_movk_i32 s6, 0x80
	v_cmp_ne_u16_e32 vcc, s6, v1
	s_and_b64 s[6:7], vcc, exec
	s_andn2_saveexec_b64 s[4:5], s[4:5]
	s_cbranch_execnz .LBB340_1315
.LBB340_1295:
	s_or_b64 exec, exec, s[4:5]
	v_mov_b32_e32 v11, 0
	s_and_saveexec_b64 s[4:5], s[6:7]
	s_cbranch_execz .LBB340_1297
.LBB340_1296:
	v_lshlrev_b32_e32 v3, 24, v1
	v_and_b32_e32 v1, 0xffff, v1
	v_and_b32_e32 v5, 3, v1
	v_ffbh_u32_e32 v10, v5
	v_min_u32_e32 v10, 32, v10
	v_subrev_u32_e32 v11, 29, v10
	v_bfe_u32 v8, v1, 2, 5
	v_lshlrev_b32_e32 v1, v11, v1
	v_sub_u32_e32 v10, 30, v10
	v_and_b32_e32 v1, 3, v1
	v_cmp_eq_u32_e32 vcc, 0, v8
	v_cndmask_b32_e32 v8, v8, v10, vcc
	v_cndmask_b32_e32 v1, v5, v1, vcc
	v_mov_b32_e32 v5, 0x37800000
	v_lshlrev_b32_e32 v1, 21, v1
	v_and_b32_e32 v3, 0x80000000, v3
	v_lshl_add_u32 v5, v8, 23, v5
	v_or3_b32 v1, v3, v5, v1
	v_cvt_u32_f32_e32 v11, v1
.LBB340_1297:
	s_or_b64 exec, exec, s[4:5]
	s_mov_b64 s[4:5], 0
	s_branch .LBB340_1303
.LBB340_1298:
	s_mov_b64 s[4:5], -1
                                        ; implicit-def: $vgpr11
	s_branch .LBB340_1309
.LBB340_1299:
	s_andn2_saveexec_b64 s[6:7], s[6:7]
	s_cbranch_execz .LBB340_1285
.LBB340_1300:
	v_cmp_ne_u16_e32 vcc, 0, v1
	s_andn2_b64 s[12:13], s[12:13], exec
	s_and_b64 s[16:17], vcc, exec
	s_or_b64 s[12:13], s[12:13], s[16:17]
	s_or_b64 exec, exec, s[6:7]
	v_mov_b32_e32 v11, 0
	s_and_saveexec_b64 s[6:7], s[12:13]
	s_cbranch_execnz .LBB340_1286
	s_branch .LBB340_1287
.LBB340_1301:
	s_mov_b64 s[4:5], -1
                                        ; implicit-def: $vgpr11
	s_branch .LBB340_1306
.LBB340_1302:
	s_mov_b64 s[4:5], -1
                                        ; implicit-def: $vgpr11
.LBB340_1303:
	s_and_b64 vcc, exec, s[4:5]
	s_cbranch_vccz .LBB340_1305
; %bb.1304:
	global_load_ubyte v1, v[14:15], off
	s_mov_b32 s4, 0x7f800000
	s_waitcnt vmcnt(0)
	v_lshlrev_b32_e32 v1, 24, v1
	v_and_b32_e32 v3, 0x7f000000, v1
	v_ffbh_u32_e32 v5, v3
	v_min_u32_e32 v5, 32, v5
	v_sub_u32_e64 v5, v5, 4 clamp
	v_lshlrev_b32_e32 v10, v5, v3
	v_lshlrev_b32_e32 v5, 23, v5
	v_lshrrev_b32_e32 v10, 4, v10
	v_add_u32_e32 v8, 0x1000000, v3
	v_sub_u32_e32 v5, v10, v5
	v_ashrrev_i32_e32 v8, 8, v8
	v_add_u32_e32 v5, 0x3c000000, v5
	v_and_or_b32 v5, v8, s4, v5
	v_cmp_ne_u32_e32 vcc, 0, v3
	v_cndmask_b32_e32 v3, 0, v5, vcc
	s_brev_b32 s4, 1
	v_and_or_b32 v1, v1, s4, v3
	v_cvt_u32_f32_e32 v11, v1
.LBB340_1305:
	s_mov_b64 s[4:5], 0
.LBB340_1306:
	s_andn2_b64 vcc, exec, s[4:5]
	s_cbranch_vccnz .LBB340_1308
; %bb.1307:
	global_load_ubyte v1, v[14:15], off
	s_movk_i32 s4, 0x7f00
	s_brev_b32 s5, 16
	s_waitcnt vmcnt(0)
	v_lshlrev_b16_e32 v3, 8, v1
	v_lshlrev_b32_e32 v1, 25, v1
	v_lshrrev_b32_e32 v5, 4, v1
	v_and_or_b32 v8, v3, s4, 0.5
	v_or_b32_e32 v5, 0x70000000, v5
	v_add_f32_e32 v8, -0.5, v8
	v_mul_f32_e32 v5, 0x7800000, v5
	v_cmp_gt_u32_e32 vcc, s5, v1
	v_bfe_i32 v3, v3, 0, 16
	v_cndmask_b32_e32 v1, v5, v8, vcc
	s_brev_b32 s4, 1
	v_and_or_b32 v1, v3, s4, v1
	v_cvt_u32_f32_e32 v11, v1
.LBB340_1308:
	s_mov_b64 s[4:5], 0
	s_mov_b64 s[6:7], -1
.LBB340_1309:
	s_andn2_b64 vcc, exec, s[4:5]
	s_mov_b64 s[4:5], 0
	s_cbranch_vccnz .LBB340_1320
; %bb.1310:
	s_cmp_gt_i32 s15, 14
	s_cbranch_scc0 .LBB340_1313
; %bb.1311:
	s_cmp_eq_u32 s15, 15
	s_cbranch_scc0 .LBB340_1316
; %bb.1312:
	global_load_ushort v1, v[14:15], off
	s_mov_b64 s[0:1], 0
	s_mov_b64 s[6:7], -1
	s_waitcnt vmcnt(0)
	v_lshlrev_b32_e32 v1, 16, v1
	v_cvt_u32_f32_e32 v11, v1
	s_branch .LBB340_1317
.LBB340_1313:
	s_mov_b64 s[12:13], -1
                                        ; implicit-def: $vgpr11
	s_branch .LBB340_1318
.LBB340_1314:
	s_andn2_saveexec_b64 s[4:5], s[4:5]
	s_cbranch_execz .LBB340_1295
.LBB340_1315:
	v_cmp_ne_u16_e32 vcc, 0, v1
	s_andn2_b64 s[6:7], s[6:7], exec
	s_and_b64 s[12:13], vcc, exec
	s_or_b64 s[6:7], s[6:7], s[12:13]
	s_or_b64 exec, exec, s[4:5]
	v_mov_b32_e32 v11, 0
	s_and_saveexec_b64 s[4:5], s[6:7]
	s_cbranch_execnz .LBB340_1296
	s_branch .LBB340_1297
.LBB340_1316:
	s_mov_b64 s[0:1], -1
                                        ; implicit-def: $vgpr11
.LBB340_1317:
	s_mov_b64 s[12:13], 0
.LBB340_1318:
	s_and_b64 vcc, exec, s[12:13]
	s_cbranch_vccz .LBB340_1320
; %bb.1319:
	s_cmp_lg_u32 s15, 11
	s_mov_b64 s[4:5], -1
	s_cselect_b64 s[0:1], -1, 0
.LBB340_1320:
	s_and_b64 vcc, exec, s[0:1]
	s_cbranch_vccnz .LBB340_1383
; %bb.1321:
	s_andn2_b64 vcc, exec, s[4:5]
	s_cbranch_vccnz .LBB340_1323
.LBB340_1322:
	global_load_ubyte v1, v[14:15], off
	s_mov_b64 s[6:7], -1
	s_waitcnt vmcnt(0)
	v_cmp_ne_u16_e32 vcc, 0, v1
	v_cndmask_b32_e64 v11, 0, 1, vcc
.LBB340_1323:
	s_branch .LBB340_1254
.LBB340_1324:
	s_and_b32 s4, 0xffff, s14
	s_cmp_lt_i32 s4, 5
	s_cbranch_scc1 .LBB340_1329
; %bb.1325:
	s_cmp_lt_i32 s4, 8
	s_cbranch_scc1 .LBB340_1330
; %bb.1326:
	;; [unrolled: 3-line block ×3, first 2 shown]
	s_cmp_gt_i32 s4, 9
	s_cbranch_scc0 .LBB340_1332
; %bb.1328:
	global_load_dwordx2 v[10:11], v[14:15], off
	s_mov_b64 s[0:1], 0
	s_waitcnt vmcnt(0)
	v_cvt_u32_f64_e32 v11, v[10:11]
	s_branch .LBB340_1333
.LBB340_1329:
                                        ; implicit-def: $vgpr11
	s_branch .LBB340_1351
.LBB340_1330:
	s_mov_b64 s[0:1], -1
                                        ; implicit-def: $vgpr11
	s_branch .LBB340_1339
.LBB340_1331:
	s_mov_b64 s[0:1], -1
                                        ; implicit-def: $vgpr11
	s_branch .LBB340_1336
.LBB340_1332:
	s_mov_b64 s[0:1], -1
                                        ; implicit-def: $vgpr11
.LBB340_1333:
	s_andn2_b64 vcc, exec, s[0:1]
	s_cbranch_vccnz .LBB340_1335
; %bb.1334:
	global_load_dword v1, v[14:15], off
	s_waitcnt vmcnt(0)
	v_cvt_u32_f32_e32 v11, v1
.LBB340_1335:
	s_mov_b64 s[0:1], 0
.LBB340_1336:
	s_andn2_b64 vcc, exec, s[0:1]
	s_cbranch_vccnz .LBB340_1338
; %bb.1337:
	global_load_dword v1, v[14:15], off
	s_waitcnt vmcnt(0)
	v_cvt_u16_f16_e32 v11, v1
.LBB340_1338:
	s_mov_b64 s[0:1], 0
.LBB340_1339:
	s_andn2_b64 vcc, exec, s[0:1]
	s_cbranch_vccnz .LBB340_1350
; %bb.1340:
	s_cmp_lt_i32 s4, 6
	s_cbranch_scc1 .LBB340_1343
; %bb.1341:
	s_cmp_gt_i32 s4, 6
	s_cbranch_scc0 .LBB340_1344
; %bb.1342:
	global_load_dwordx2 v[10:11], v[14:15], off
	s_mov_b64 s[0:1], 0
	s_waitcnt vmcnt(0)
	v_cvt_u32_f64_e32 v11, v[10:11]
	s_branch .LBB340_1345
.LBB340_1343:
	s_mov_b64 s[0:1], -1
                                        ; implicit-def: $vgpr11
	s_branch .LBB340_1348
.LBB340_1344:
	s_mov_b64 s[0:1], -1
                                        ; implicit-def: $vgpr11
.LBB340_1345:
	s_andn2_b64 vcc, exec, s[0:1]
	s_cbranch_vccnz .LBB340_1347
; %bb.1346:
	global_load_dword v1, v[14:15], off
	s_waitcnt vmcnt(0)
	v_cvt_u32_f32_e32 v11, v1
.LBB340_1347:
	s_mov_b64 s[0:1], 0
.LBB340_1348:
	s_andn2_b64 vcc, exec, s[0:1]
	s_cbranch_vccnz .LBB340_1350
; %bb.1349:
	global_load_ushort v1, v[14:15], off
	s_waitcnt vmcnt(0)
	v_cvt_u16_f16_e32 v11, v1
.LBB340_1350:
	s_cbranch_execnz .LBB340_1370
.LBB340_1351:
	s_cmp_lt_i32 s4, 2
	s_cbranch_scc1 .LBB340_1355
; %bb.1352:
	s_cmp_lt_i32 s4, 3
	s_cbranch_scc1 .LBB340_1356
; %bb.1353:
	s_cmp_gt_i32 s4, 3
	s_cbranch_scc0 .LBB340_1357
; %bb.1354:
	global_load_dwordx2 v[11:12], v[14:15], off
	s_mov_b64 s[0:1], 0
	s_branch .LBB340_1358
.LBB340_1355:
	s_mov_b64 s[0:1], -1
                                        ; implicit-def: $vgpr11
	s_branch .LBB340_1364
.LBB340_1356:
	s_mov_b64 s[0:1], -1
                                        ; implicit-def: $vgpr11
	s_branch .LBB340_1361
.LBB340_1357:
	s_mov_b64 s[0:1], -1
                                        ; implicit-def: $vgpr11
.LBB340_1358:
	s_andn2_b64 vcc, exec, s[0:1]
	s_cbranch_vccnz .LBB340_1360
; %bb.1359:
	global_load_dword v11, v[14:15], off
.LBB340_1360:
	s_mov_b64 s[0:1], 0
.LBB340_1361:
	s_andn2_b64 vcc, exec, s[0:1]
	s_cbranch_vccnz .LBB340_1363
; %bb.1362:
	global_load_ushort v11, v[14:15], off
.LBB340_1363:
	s_mov_b64 s[0:1], 0
.LBB340_1364:
	s_andn2_b64 vcc, exec, s[0:1]
	s_cbranch_vccnz .LBB340_1370
; %bb.1365:
	s_cmp_gt_i32 s4, 0
	s_cbranch_scc0 .LBB340_1367
; %bb.1366:
	global_load_sbyte v11, v[14:15], off
	s_mov_b64 s[0:1], 0
	s_branch .LBB340_1368
.LBB340_1367:
	s_mov_b64 s[0:1], -1
                                        ; implicit-def: $vgpr11
.LBB340_1368:
	s_andn2_b64 vcc, exec, s[0:1]
	s_cbranch_vccnz .LBB340_1370
; %bb.1369:
	global_load_ubyte v11, v[14:15], off
.LBB340_1370:
.LBB340_1371:
	v_mov_b32_e32 v1, s11
	v_add_co_u32_e32 v14, vcc, s10, v9
	s_cmp_lt_i32 s14, 11
	v_addc_co_u32_e32 v15, vcc, 0, v1, vcc
	s_cbranch_scc1 .LBB340_1378
; %bb.1372:
	s_and_b32 s15, 0xffff, s14
	s_cmp_gt_i32 s15, 25
	s_mov_b64 s[4:5], 0
	s_cbranch_scc0 .LBB340_1380
; %bb.1373:
	s_cmp_gt_i32 s15, 28
	s_cbranch_scc0 .LBB340_1381
; %bb.1374:
	s_cmp_gt_i32 s15, 43
	;; [unrolled: 3-line block ×3, first 2 shown]
	s_cbranch_scc0 .LBB340_1384
; %bb.1376:
	s_cmp_eq_u32 s15, 46
	s_mov_b64 s[12:13], 0
	s_cbranch_scc0 .LBB340_1385
; %bb.1377:
	global_load_dword v1, v[14:15], off
	s_mov_b64 s[0:1], 0
	s_mov_b64 s[6:7], -1
	s_waitcnt vmcnt(0)
	v_lshlrev_b32_e32 v1, 16, v1
	v_cvt_u32_f32_e32 v9, v1
	s_branch .LBB340_1386
.LBB340_1378:
	s_mov_b64 s[6:7], 0
                                        ; implicit-def: $vgpr9
	s_cbranch_execnz .LBB340_1448
.LBB340_1379:
	s_andn2_b64 vcc, exec, s[6:7]
	s_cbranch_vccnz .LBB340_2055
	s_branch .LBB340_1496
.LBB340_1380:
	s_mov_b64 s[12:13], -1
	s_mov_b64 s[6:7], 0
	s_mov_b64 s[0:1], 0
                                        ; implicit-def: $vgpr9
	s_branch .LBB340_1413
.LBB340_1381:
	s_mov_b64 s[12:13], -1
	s_mov_b64 s[6:7], 0
	s_mov_b64 s[0:1], 0
                                        ; implicit-def: $vgpr9
	s_branch .LBB340_1396
.LBB340_1382:
	s_mov_b64 s[12:13], -1
	s_mov_b64 s[6:7], 0
	s_mov_b64 s[0:1], 0
                                        ; implicit-def: $vgpr9
	s_branch .LBB340_1391
.LBB340_1383:
	s_trap 2
	s_or_b64 s[2:3], s[2:3], exec
	s_cbranch_execz .LBB340_1322
	s_branch .LBB340_1323
.LBB340_1384:
	s_mov_b64 s[12:13], -1
	s_mov_b64 s[6:7], 0
	s_mov_b64 s[0:1], 0
                                        ; implicit-def: $vgpr9
	s_branch .LBB340_1386
.LBB340_1385:
	s_mov_b64 s[0:1], -1
                                        ; implicit-def: $vgpr9
	s_mov_b64 s[6:7], 0
.LBB340_1386:
	s_and_b64 vcc, exec, s[12:13]
	s_cbranch_vccz .LBB340_1390
; %bb.1387:
	s_cmp_eq_u32 s15, 44
	s_cbranch_scc0 .LBB340_1389
; %bb.1388:
	global_load_ubyte v1, v[14:15], off
	s_mov_b64 s[0:1], 0
	s_mov_b64 s[6:7], -1
	s_waitcnt vmcnt(0)
	v_lshlrev_b32_e32 v3, 23, v1
	v_cvt_u32_f32_e32 v3, v3
	v_cmp_ne_u32_e32 vcc, 0, v1
	v_cndmask_b32_e32 v9, 0, v3, vcc
	s_branch .LBB340_1390
.LBB340_1389:
	s_mov_b64 s[0:1], -1
                                        ; implicit-def: $vgpr9
.LBB340_1390:
	s_mov_b64 s[12:13], 0
.LBB340_1391:
	s_and_b64 vcc, exec, s[12:13]
	s_cbranch_vccz .LBB340_1395
; %bb.1392:
	s_cmp_eq_u32 s15, 29
	s_cbranch_scc0 .LBB340_1394
; %bb.1393:
	global_load_dwordx2 v[9:10], v[14:15], off
	s_mov_b64 s[0:1], 0
	s_mov_b64 s[6:7], -1
	s_branch .LBB340_1395
.LBB340_1394:
	s_mov_b64 s[0:1], -1
                                        ; implicit-def: $vgpr9
.LBB340_1395:
	s_mov_b64 s[12:13], 0
.LBB340_1396:
	s_and_b64 vcc, exec, s[12:13]
	s_cbranch_vccz .LBB340_1412
; %bb.1397:
	s_cmp_lt_i32 s15, 27
	s_cbranch_scc1 .LBB340_1400
; %bb.1398:
	s_cmp_gt_i32 s15, 27
	s_cbranch_scc0 .LBB340_1401
; %bb.1399:
	global_load_dword v9, v[14:15], off
	s_mov_b64 s[6:7], 0
	s_branch .LBB340_1402
.LBB340_1400:
	s_mov_b64 s[6:7], -1
                                        ; implicit-def: $vgpr9
	s_branch .LBB340_1405
.LBB340_1401:
	s_mov_b64 s[6:7], -1
                                        ; implicit-def: $vgpr9
.LBB340_1402:
	s_andn2_b64 vcc, exec, s[6:7]
	s_cbranch_vccnz .LBB340_1404
; %bb.1403:
	global_load_ushort v9, v[14:15], off
.LBB340_1404:
	s_mov_b64 s[6:7], 0
.LBB340_1405:
	s_andn2_b64 vcc, exec, s[6:7]
	s_cbranch_vccnz .LBB340_1411
; %bb.1406:
	global_load_ubyte v1, v[14:15], off
	s_movk_i32 s6, 0x7f
	s_mov_b64 s[12:13], 0
	s_waitcnt vmcnt(0)
	v_cmp_lt_i16_e32 vcc, s6, v1
	s_and_saveexec_b64 s[6:7], vcc
	s_xor_b64 s[6:7], exec, s[6:7]
	s_cbranch_execz .LBB340_1423
; %bb.1407:
	s_movk_i32 s12, 0x80
	v_cmp_ne_u16_e32 vcc, s12, v1
	s_and_b64 s[12:13], vcc, exec
	s_andn2_saveexec_b64 s[6:7], s[6:7]
	s_cbranch_execnz .LBB340_1424
.LBB340_1408:
	s_or_b64 exec, exec, s[6:7]
	v_mov_b32_e32 v9, 0
	s_and_saveexec_b64 s[6:7], s[12:13]
	s_cbranch_execz .LBB340_1410
.LBB340_1409:
	v_lshlrev_b32_e32 v3, 24, v1
	v_and_b32_e32 v1, 0xffff, v1
	v_and_b32_e32 v5, 7, v1
	v_ffbh_u32_e32 v9, v5
	v_min_u32_e32 v9, 32, v9
	v_subrev_u32_e32 v10, 28, v9
	v_bfe_u32 v8, v1, 3, 4
	v_lshlrev_b32_e32 v1, v10, v1
	v_sub_u32_e32 v9, 29, v9
	v_and_b32_e32 v1, 7, v1
	v_cmp_eq_u32_e32 vcc, 0, v8
	v_cndmask_b32_e32 v8, v8, v9, vcc
	v_cndmask_b32_e32 v1, v5, v1, vcc
	v_mov_b32_e32 v5, 0x3b800000
	v_lshlrev_b32_e32 v1, 20, v1
	v_and_b32_e32 v3, 0x80000000, v3
	v_lshl_add_u32 v5, v8, 23, v5
	v_or3_b32 v1, v3, v5, v1
	v_cvt_u32_f32_e32 v9, v1
.LBB340_1410:
	s_or_b64 exec, exec, s[6:7]
.LBB340_1411:
	s_mov_b64 s[6:7], -1
.LBB340_1412:
	s_mov_b64 s[12:13], 0
.LBB340_1413:
	s_and_b64 vcc, exec, s[12:13]
	s_cbranch_vccz .LBB340_1444
; %bb.1414:
	s_cmp_gt_i32 s15, 22
	s_cbranch_scc0 .LBB340_1422
; %bb.1415:
	s_cmp_lt_i32 s15, 24
	s_cbranch_scc1 .LBB340_1425
; %bb.1416:
	s_cmp_gt_i32 s15, 24
	s_cbranch_scc0 .LBB340_1426
; %bb.1417:
	global_load_ubyte v1, v[14:15], off
	s_movk_i32 s4, 0x7f
	s_mov_b64 s[6:7], 0
	s_waitcnt vmcnt(0)
	v_cmp_lt_i16_e32 vcc, s4, v1
	s_and_saveexec_b64 s[4:5], vcc
	s_xor_b64 s[4:5], exec, s[4:5]
	s_cbranch_execz .LBB340_1438
; %bb.1418:
	s_movk_i32 s6, 0x80
	v_cmp_ne_u16_e32 vcc, s6, v1
	s_and_b64 s[6:7], vcc, exec
	s_andn2_saveexec_b64 s[4:5], s[4:5]
	s_cbranch_execnz .LBB340_1439
.LBB340_1419:
	s_or_b64 exec, exec, s[4:5]
	v_mov_b32_e32 v9, 0
	s_and_saveexec_b64 s[4:5], s[6:7]
	s_cbranch_execz .LBB340_1421
.LBB340_1420:
	v_lshlrev_b32_e32 v3, 24, v1
	v_and_b32_e32 v1, 0xffff, v1
	v_and_b32_e32 v5, 3, v1
	v_ffbh_u32_e32 v9, v5
	v_min_u32_e32 v9, 32, v9
	v_subrev_u32_e32 v10, 29, v9
	v_bfe_u32 v8, v1, 2, 5
	v_lshlrev_b32_e32 v1, v10, v1
	v_sub_u32_e32 v9, 30, v9
	v_and_b32_e32 v1, 3, v1
	v_cmp_eq_u32_e32 vcc, 0, v8
	v_cndmask_b32_e32 v8, v8, v9, vcc
	v_cndmask_b32_e32 v1, v5, v1, vcc
	v_mov_b32_e32 v5, 0x37800000
	v_lshlrev_b32_e32 v1, 21, v1
	v_and_b32_e32 v3, 0x80000000, v3
	v_lshl_add_u32 v5, v8, 23, v5
	v_or3_b32 v1, v3, v5, v1
	v_cvt_u32_f32_e32 v9, v1
.LBB340_1421:
	s_or_b64 exec, exec, s[4:5]
	s_mov_b64 s[4:5], 0
	s_branch .LBB340_1427
.LBB340_1422:
	s_mov_b64 s[4:5], -1
                                        ; implicit-def: $vgpr9
	s_branch .LBB340_1433
.LBB340_1423:
	s_andn2_saveexec_b64 s[6:7], s[6:7]
	s_cbranch_execz .LBB340_1408
.LBB340_1424:
	v_cmp_ne_u16_e32 vcc, 0, v1
	s_andn2_b64 s[12:13], s[12:13], exec
	s_and_b64 s[16:17], vcc, exec
	s_or_b64 s[12:13], s[12:13], s[16:17]
	s_or_b64 exec, exec, s[6:7]
	v_mov_b32_e32 v9, 0
	s_and_saveexec_b64 s[6:7], s[12:13]
	s_cbranch_execnz .LBB340_1409
	s_branch .LBB340_1410
.LBB340_1425:
	s_mov_b64 s[4:5], -1
                                        ; implicit-def: $vgpr9
	s_branch .LBB340_1430
.LBB340_1426:
	s_mov_b64 s[4:5], -1
                                        ; implicit-def: $vgpr9
.LBB340_1427:
	s_and_b64 vcc, exec, s[4:5]
	s_cbranch_vccz .LBB340_1429
; %bb.1428:
	global_load_ubyte v1, v[14:15], off
	s_mov_b32 s4, 0x7f800000
	s_waitcnt vmcnt(0)
	v_lshlrev_b32_e32 v1, 24, v1
	v_and_b32_e32 v3, 0x7f000000, v1
	v_ffbh_u32_e32 v5, v3
	v_min_u32_e32 v5, 32, v5
	v_sub_u32_e64 v5, v5, 4 clamp
	v_lshlrev_b32_e32 v9, v5, v3
	v_lshlrev_b32_e32 v5, 23, v5
	v_lshrrev_b32_e32 v9, 4, v9
	v_add_u32_e32 v8, 0x1000000, v3
	v_sub_u32_e32 v5, v9, v5
	v_ashrrev_i32_e32 v8, 8, v8
	v_add_u32_e32 v5, 0x3c000000, v5
	v_and_or_b32 v5, v8, s4, v5
	v_cmp_ne_u32_e32 vcc, 0, v3
	v_cndmask_b32_e32 v3, 0, v5, vcc
	s_brev_b32 s4, 1
	v_and_or_b32 v1, v1, s4, v3
	v_cvt_u32_f32_e32 v9, v1
.LBB340_1429:
	s_mov_b64 s[4:5], 0
.LBB340_1430:
	s_andn2_b64 vcc, exec, s[4:5]
	s_cbranch_vccnz .LBB340_1432
; %bb.1431:
	global_load_ubyte v1, v[14:15], off
	s_movk_i32 s4, 0x7f00
	s_brev_b32 s5, 16
	s_waitcnt vmcnt(0)
	v_lshlrev_b16_e32 v3, 8, v1
	v_lshlrev_b32_e32 v1, 25, v1
	v_lshrrev_b32_e32 v5, 4, v1
	v_and_or_b32 v8, v3, s4, 0.5
	v_or_b32_e32 v5, 0x70000000, v5
	v_add_f32_e32 v8, -0.5, v8
	v_mul_f32_e32 v5, 0x7800000, v5
	v_cmp_gt_u32_e32 vcc, s5, v1
	v_bfe_i32 v3, v3, 0, 16
	v_cndmask_b32_e32 v1, v5, v8, vcc
	s_brev_b32 s4, 1
	v_and_or_b32 v1, v3, s4, v1
	v_cvt_u32_f32_e32 v9, v1
.LBB340_1432:
	s_mov_b64 s[4:5], 0
	s_mov_b64 s[6:7], -1
.LBB340_1433:
	s_andn2_b64 vcc, exec, s[4:5]
	s_mov_b64 s[4:5], 0
	s_cbranch_vccnz .LBB340_1444
; %bb.1434:
	s_cmp_gt_i32 s15, 14
	s_cbranch_scc0 .LBB340_1437
; %bb.1435:
	s_cmp_eq_u32 s15, 15
	s_cbranch_scc0 .LBB340_1440
; %bb.1436:
	global_load_ushort v1, v[14:15], off
	s_mov_b64 s[0:1], 0
	s_mov_b64 s[6:7], -1
	s_waitcnt vmcnt(0)
	v_lshlrev_b32_e32 v1, 16, v1
	v_cvt_u32_f32_e32 v9, v1
	s_branch .LBB340_1441
.LBB340_1437:
	s_mov_b64 s[12:13], -1
                                        ; implicit-def: $vgpr9
	s_branch .LBB340_1442
.LBB340_1438:
	s_andn2_saveexec_b64 s[4:5], s[4:5]
	s_cbranch_execz .LBB340_1419
.LBB340_1439:
	v_cmp_ne_u16_e32 vcc, 0, v1
	s_andn2_b64 s[6:7], s[6:7], exec
	s_and_b64 s[12:13], vcc, exec
	s_or_b64 s[6:7], s[6:7], s[12:13]
	s_or_b64 exec, exec, s[4:5]
	v_mov_b32_e32 v9, 0
	s_and_saveexec_b64 s[4:5], s[6:7]
	s_cbranch_execnz .LBB340_1420
	s_branch .LBB340_1421
.LBB340_1440:
	s_mov_b64 s[0:1], -1
                                        ; implicit-def: $vgpr9
.LBB340_1441:
	s_mov_b64 s[12:13], 0
.LBB340_1442:
	s_and_b64 vcc, exec, s[12:13]
	s_cbranch_vccz .LBB340_1444
; %bb.1443:
	s_cmp_lg_u32 s15, 11
	s_mov_b64 s[4:5], -1
	s_cselect_b64 s[0:1], -1, 0
.LBB340_1444:
	s_and_b64 vcc, exec, s[0:1]
	s_cbranch_vccnz .LBB340_1507
; %bb.1445:
	s_andn2_b64 vcc, exec, s[4:5]
	s_cbranch_vccnz .LBB340_1447
.LBB340_1446:
	global_load_ubyte v1, v[14:15], off
	s_mov_b64 s[6:7], -1
	s_waitcnt vmcnt(0)
	v_cmp_ne_u16_e32 vcc, 0, v1
	v_cndmask_b32_e64 v9, 0, 1, vcc
.LBB340_1447:
	s_branch .LBB340_1379
.LBB340_1448:
	s_and_b32 s4, 0xffff, s14
	s_cmp_lt_i32 s4, 5
	s_cbranch_scc1 .LBB340_1453
; %bb.1449:
	s_cmp_lt_i32 s4, 8
	s_cbranch_scc1 .LBB340_1454
; %bb.1450:
	;; [unrolled: 3-line block ×3, first 2 shown]
	s_cmp_gt_i32 s4, 9
	s_cbranch_scc0 .LBB340_1456
; %bb.1452:
	global_load_dwordx2 v[8:9], v[14:15], off
	s_mov_b64 s[0:1], 0
	s_waitcnt vmcnt(0)
	v_cvt_u32_f64_e32 v9, v[8:9]
	s_branch .LBB340_1457
.LBB340_1453:
	s_mov_b64 s[0:1], -1
                                        ; implicit-def: $vgpr9
	s_branch .LBB340_1475
.LBB340_1454:
	s_mov_b64 s[0:1], -1
                                        ; implicit-def: $vgpr9
	s_branch .LBB340_1463
.LBB340_1455:
	s_mov_b64 s[0:1], -1
                                        ; implicit-def: $vgpr9
	s_branch .LBB340_1460
.LBB340_1456:
	s_mov_b64 s[0:1], -1
                                        ; implicit-def: $vgpr9
.LBB340_1457:
	s_andn2_b64 vcc, exec, s[0:1]
	s_cbranch_vccnz .LBB340_1459
; %bb.1458:
	global_load_dword v1, v[14:15], off
	s_waitcnt vmcnt(0)
	v_cvt_u32_f32_e32 v9, v1
.LBB340_1459:
	s_mov_b64 s[0:1], 0
.LBB340_1460:
	s_andn2_b64 vcc, exec, s[0:1]
	s_cbranch_vccnz .LBB340_1462
; %bb.1461:
	global_load_dword v1, v[14:15], off
	s_waitcnt vmcnt(0)
	v_cvt_u16_f16_e32 v9, v1
.LBB340_1462:
	s_mov_b64 s[0:1], 0
.LBB340_1463:
	s_andn2_b64 vcc, exec, s[0:1]
	s_cbranch_vccnz .LBB340_1474
; %bb.1464:
	s_cmp_lt_i32 s4, 6
	s_cbranch_scc1 .LBB340_1467
; %bb.1465:
	s_cmp_gt_i32 s4, 6
	s_cbranch_scc0 .LBB340_1468
; %bb.1466:
	global_load_dwordx2 v[8:9], v[14:15], off
	s_mov_b64 s[0:1], 0
	s_waitcnt vmcnt(0)
	v_cvt_u32_f64_e32 v9, v[8:9]
	s_branch .LBB340_1469
.LBB340_1467:
	s_mov_b64 s[0:1], -1
                                        ; implicit-def: $vgpr9
	s_branch .LBB340_1472
.LBB340_1468:
	s_mov_b64 s[0:1], -1
                                        ; implicit-def: $vgpr9
.LBB340_1469:
	s_andn2_b64 vcc, exec, s[0:1]
	s_cbranch_vccnz .LBB340_1471
; %bb.1470:
	global_load_dword v1, v[14:15], off
	s_waitcnt vmcnt(0)
	v_cvt_u32_f32_e32 v9, v1
.LBB340_1471:
	s_mov_b64 s[0:1], 0
.LBB340_1472:
	s_andn2_b64 vcc, exec, s[0:1]
	s_cbranch_vccnz .LBB340_1474
; %bb.1473:
	global_load_ushort v1, v[14:15], off
	s_waitcnt vmcnt(0)
	v_cvt_u16_f16_e32 v9, v1
.LBB340_1474:
	s_mov_b64 s[0:1], 0
.LBB340_1475:
	s_andn2_b64 vcc, exec, s[0:1]
	s_cbranch_vccnz .LBB340_1495
; %bb.1476:
	s_cmp_lt_i32 s4, 2
	s_cbranch_scc1 .LBB340_1480
; %bb.1477:
	s_cmp_lt_i32 s4, 3
	s_cbranch_scc1 .LBB340_1481
; %bb.1478:
	s_cmp_gt_i32 s4, 3
	s_cbranch_scc0 .LBB340_1482
; %bb.1479:
	global_load_dwordx2 v[9:10], v[14:15], off
	s_mov_b64 s[0:1], 0
	s_branch .LBB340_1483
.LBB340_1480:
	s_mov_b64 s[0:1], -1
                                        ; implicit-def: $vgpr9
	s_branch .LBB340_1489
.LBB340_1481:
	s_mov_b64 s[0:1], -1
                                        ; implicit-def: $vgpr9
	s_branch .LBB340_1486
.LBB340_1482:
	s_mov_b64 s[0:1], -1
                                        ; implicit-def: $vgpr9
.LBB340_1483:
	s_andn2_b64 vcc, exec, s[0:1]
	s_cbranch_vccnz .LBB340_1485
; %bb.1484:
	global_load_dword v9, v[14:15], off
.LBB340_1485:
	s_mov_b64 s[0:1], 0
.LBB340_1486:
	s_andn2_b64 vcc, exec, s[0:1]
	s_cbranch_vccnz .LBB340_1488
; %bb.1487:
	global_load_ushort v9, v[14:15], off
.LBB340_1488:
	s_mov_b64 s[0:1], 0
.LBB340_1489:
	s_andn2_b64 vcc, exec, s[0:1]
	s_cbranch_vccnz .LBB340_1495
; %bb.1490:
	s_cmp_gt_i32 s4, 0
	s_cbranch_scc0 .LBB340_1492
; %bb.1491:
	global_load_sbyte v9, v[14:15], off
	s_mov_b64 s[0:1], 0
	s_branch .LBB340_1493
.LBB340_1492:
	s_mov_b64 s[0:1], -1
                                        ; implicit-def: $vgpr9
.LBB340_1493:
	s_andn2_b64 vcc, exec, s[0:1]
	s_cbranch_vccnz .LBB340_1495
; %bb.1494:
	global_load_ubyte v9, v[14:15], off
.LBB340_1495:
.LBB340_1496:
	v_mov_b32_e32 v1, s11
	v_add_co_u32_e32 v14, vcc, s10, v7
	s_cmp_lt_i32 s14, 11
	v_addc_co_u32_e32 v15, vcc, 0, v1, vcc
	s_cbranch_scc1 .LBB340_1503
; %bb.1497:
	s_and_b32 s12, 0xffff, s14
	s_cmp_gt_i32 s12, 25
	s_mov_b64 s[4:5], 0
	s_cbranch_scc0 .LBB340_1504
; %bb.1498:
	s_cmp_gt_i32 s12, 28
	s_cbranch_scc0 .LBB340_1505
; %bb.1499:
	s_cmp_gt_i32 s12, 43
	;; [unrolled: 3-line block ×3, first 2 shown]
	s_cbranch_scc0 .LBB340_1508
; %bb.1501:
	s_cmp_eq_u32 s12, 46
	s_mov_b64 s[10:11], 0
	s_cbranch_scc0 .LBB340_1509
; %bb.1502:
	global_load_dword v1, v[14:15], off
	s_mov_b64 s[0:1], 0
	s_mov_b64 s[6:7], -1
	s_waitcnt vmcnt(0)
	v_lshlrev_b32_e32 v1, 16, v1
	v_cvt_u32_f32_e32 v7, v1
	s_branch .LBB340_1510
.LBB340_1503:
	s_mov_b64 s[0:1], -1
	s_mov_b64 s[6:7], 0
                                        ; implicit-def: $vgpr7
	s_branch .LBB340_1572
.LBB340_1504:
	s_mov_b64 s[10:11], -1
	s_mov_b64 s[6:7], 0
	s_mov_b64 s[0:1], 0
                                        ; implicit-def: $vgpr7
	s_branch .LBB340_1537
.LBB340_1505:
	s_mov_b64 s[10:11], -1
	s_mov_b64 s[6:7], 0
	s_mov_b64 s[0:1], 0
                                        ; implicit-def: $vgpr7
	s_branch .LBB340_1520
.LBB340_1506:
	s_mov_b64 s[10:11], -1
	s_mov_b64 s[6:7], 0
	s_mov_b64 s[0:1], 0
                                        ; implicit-def: $vgpr7
	s_branch .LBB340_1515
.LBB340_1507:
	s_trap 2
	s_or_b64 s[2:3], s[2:3], exec
	s_cbranch_execz .LBB340_1446
	s_branch .LBB340_1447
.LBB340_1508:
	s_mov_b64 s[10:11], -1
	s_mov_b64 s[6:7], 0
	s_mov_b64 s[0:1], 0
                                        ; implicit-def: $vgpr7
	s_branch .LBB340_1510
.LBB340_1509:
	s_mov_b64 s[0:1], -1
                                        ; implicit-def: $vgpr7
	s_mov_b64 s[6:7], 0
.LBB340_1510:
	s_and_b64 vcc, exec, s[10:11]
	s_cbranch_vccz .LBB340_1514
; %bb.1511:
	s_cmp_eq_u32 s12, 44
	s_cbranch_scc0 .LBB340_1513
; %bb.1512:
	global_load_ubyte v1, v[14:15], off
	s_mov_b64 s[0:1], 0
	s_mov_b64 s[6:7], -1
	s_waitcnt vmcnt(0)
	v_lshlrev_b32_e32 v3, 23, v1
	v_cvt_u32_f32_e32 v3, v3
	v_cmp_ne_u32_e32 vcc, 0, v1
	v_cndmask_b32_e32 v7, 0, v3, vcc
	s_branch .LBB340_1514
.LBB340_1513:
	s_mov_b64 s[0:1], -1
                                        ; implicit-def: $vgpr7
.LBB340_1514:
	s_mov_b64 s[10:11], 0
.LBB340_1515:
	s_and_b64 vcc, exec, s[10:11]
	s_cbranch_vccz .LBB340_1519
; %bb.1516:
	s_cmp_eq_u32 s12, 29
	s_cbranch_scc0 .LBB340_1518
; %bb.1517:
	global_load_dwordx2 v[7:8], v[14:15], off
	s_mov_b64 s[0:1], 0
	s_mov_b64 s[6:7], -1
	s_branch .LBB340_1519
.LBB340_1518:
	s_mov_b64 s[0:1], -1
                                        ; implicit-def: $vgpr7
.LBB340_1519:
	s_mov_b64 s[10:11], 0
.LBB340_1520:
	s_and_b64 vcc, exec, s[10:11]
	s_cbranch_vccz .LBB340_1536
; %bb.1521:
	s_cmp_lt_i32 s12, 27
	s_cbranch_scc1 .LBB340_1524
; %bb.1522:
	s_cmp_gt_i32 s12, 27
	s_cbranch_scc0 .LBB340_1525
; %bb.1523:
	global_load_dword v7, v[14:15], off
	s_mov_b64 s[6:7], 0
	s_branch .LBB340_1526
.LBB340_1524:
	s_mov_b64 s[6:7], -1
                                        ; implicit-def: $vgpr7
	s_branch .LBB340_1529
.LBB340_1525:
	s_mov_b64 s[6:7], -1
                                        ; implicit-def: $vgpr7
.LBB340_1526:
	s_andn2_b64 vcc, exec, s[6:7]
	s_cbranch_vccnz .LBB340_1528
; %bb.1527:
	global_load_ushort v7, v[14:15], off
.LBB340_1528:
	s_mov_b64 s[6:7], 0
.LBB340_1529:
	s_andn2_b64 vcc, exec, s[6:7]
	s_cbranch_vccnz .LBB340_1535
; %bb.1530:
	global_load_ubyte v1, v[14:15], off
	s_movk_i32 s6, 0x7f
	s_mov_b64 s[10:11], 0
	s_waitcnt vmcnt(0)
	v_cmp_lt_i16_e32 vcc, s6, v1
	s_and_saveexec_b64 s[6:7], vcc
	s_xor_b64 s[6:7], exec, s[6:7]
	s_cbranch_execz .LBB340_1547
; %bb.1531:
	s_movk_i32 s10, 0x80
	v_cmp_ne_u16_e32 vcc, s10, v1
	s_and_b64 s[10:11], vcc, exec
	s_andn2_saveexec_b64 s[6:7], s[6:7]
	s_cbranch_execnz .LBB340_1548
.LBB340_1532:
	s_or_b64 exec, exec, s[6:7]
	v_mov_b32_e32 v7, 0
	s_and_saveexec_b64 s[6:7], s[10:11]
	s_cbranch_execz .LBB340_1534
.LBB340_1533:
	v_lshlrev_b32_e32 v3, 24, v1
	v_and_b32_e32 v1, 0xffff, v1
	v_and_b32_e32 v5, 7, v1
	v_ffbh_u32_e32 v8, v5
	v_min_u32_e32 v8, 32, v8
	v_subrev_u32_e32 v10, 28, v8
	v_bfe_u32 v7, v1, 3, 4
	v_lshlrev_b32_e32 v1, v10, v1
	v_sub_u32_e32 v8, 29, v8
	v_and_b32_e32 v1, 7, v1
	v_cmp_eq_u32_e32 vcc, 0, v7
	v_cndmask_b32_e32 v7, v7, v8, vcc
	v_cndmask_b32_e32 v1, v5, v1, vcc
	v_mov_b32_e32 v5, 0x3b800000
	v_lshlrev_b32_e32 v1, 20, v1
	v_and_b32_e32 v3, 0x80000000, v3
	v_lshl_add_u32 v5, v7, 23, v5
	v_or3_b32 v1, v3, v5, v1
	v_cvt_u32_f32_e32 v7, v1
.LBB340_1534:
	s_or_b64 exec, exec, s[6:7]
.LBB340_1535:
	s_mov_b64 s[6:7], -1
.LBB340_1536:
	s_mov_b64 s[10:11], 0
.LBB340_1537:
	s_and_b64 vcc, exec, s[10:11]
	s_cbranch_vccz .LBB340_1568
; %bb.1538:
	s_cmp_gt_i32 s12, 22
	s_cbranch_scc0 .LBB340_1546
; %bb.1539:
	s_cmp_lt_i32 s12, 24
	s_cbranch_scc1 .LBB340_1549
; %bb.1540:
	s_cmp_gt_i32 s12, 24
	s_cbranch_scc0 .LBB340_1550
; %bb.1541:
	global_load_ubyte v1, v[14:15], off
	s_movk_i32 s4, 0x7f
	s_mov_b64 s[6:7], 0
	s_waitcnt vmcnt(0)
	v_cmp_lt_i16_e32 vcc, s4, v1
	s_and_saveexec_b64 s[4:5], vcc
	s_xor_b64 s[4:5], exec, s[4:5]
	s_cbranch_execz .LBB340_1562
; %bb.1542:
	s_movk_i32 s6, 0x80
	v_cmp_ne_u16_e32 vcc, s6, v1
	s_and_b64 s[6:7], vcc, exec
	s_andn2_saveexec_b64 s[4:5], s[4:5]
	s_cbranch_execnz .LBB340_1563
.LBB340_1543:
	s_or_b64 exec, exec, s[4:5]
	v_mov_b32_e32 v7, 0
	s_and_saveexec_b64 s[4:5], s[6:7]
	s_cbranch_execz .LBB340_1545
.LBB340_1544:
	v_lshlrev_b32_e32 v3, 24, v1
	v_and_b32_e32 v1, 0xffff, v1
	v_and_b32_e32 v5, 3, v1
	v_ffbh_u32_e32 v8, v5
	v_min_u32_e32 v8, 32, v8
	v_subrev_u32_e32 v10, 29, v8
	v_bfe_u32 v7, v1, 2, 5
	v_lshlrev_b32_e32 v1, v10, v1
	v_sub_u32_e32 v8, 30, v8
	v_and_b32_e32 v1, 3, v1
	v_cmp_eq_u32_e32 vcc, 0, v7
	v_cndmask_b32_e32 v7, v7, v8, vcc
	v_cndmask_b32_e32 v1, v5, v1, vcc
	v_mov_b32_e32 v5, 0x37800000
	v_lshlrev_b32_e32 v1, 21, v1
	v_and_b32_e32 v3, 0x80000000, v3
	v_lshl_add_u32 v5, v7, 23, v5
	v_or3_b32 v1, v3, v5, v1
	v_cvt_u32_f32_e32 v7, v1
.LBB340_1545:
	s_or_b64 exec, exec, s[4:5]
	s_mov_b64 s[4:5], 0
	s_branch .LBB340_1551
.LBB340_1546:
	s_mov_b64 s[4:5], -1
                                        ; implicit-def: $vgpr7
	s_branch .LBB340_1557
.LBB340_1547:
	s_andn2_saveexec_b64 s[6:7], s[6:7]
	s_cbranch_execz .LBB340_1532
.LBB340_1548:
	v_cmp_ne_u16_e32 vcc, 0, v1
	s_andn2_b64 s[10:11], s[10:11], exec
	s_and_b64 s[16:17], vcc, exec
	s_or_b64 s[10:11], s[10:11], s[16:17]
	s_or_b64 exec, exec, s[6:7]
	v_mov_b32_e32 v7, 0
	s_and_saveexec_b64 s[6:7], s[10:11]
	s_cbranch_execnz .LBB340_1533
	s_branch .LBB340_1534
.LBB340_1549:
	s_mov_b64 s[4:5], -1
                                        ; implicit-def: $vgpr7
	s_branch .LBB340_1554
.LBB340_1550:
	s_mov_b64 s[4:5], -1
                                        ; implicit-def: $vgpr7
.LBB340_1551:
	s_and_b64 vcc, exec, s[4:5]
	s_cbranch_vccz .LBB340_1553
; %bb.1552:
	global_load_ubyte v1, v[14:15], off
	s_mov_b32 s4, 0x7f800000
	s_waitcnt vmcnt(0)
	v_lshlrev_b32_e32 v1, 24, v1
	v_and_b32_e32 v3, 0x7f000000, v1
	v_ffbh_u32_e32 v5, v3
	v_min_u32_e32 v5, 32, v5
	v_sub_u32_e64 v5, v5, 4 clamp
	v_lshlrev_b32_e32 v8, v5, v3
	v_lshlrev_b32_e32 v5, 23, v5
	v_lshrrev_b32_e32 v8, 4, v8
	v_add_u32_e32 v7, 0x1000000, v3
	v_sub_u32_e32 v5, v8, v5
	v_ashrrev_i32_e32 v7, 8, v7
	v_add_u32_e32 v5, 0x3c000000, v5
	v_and_or_b32 v5, v7, s4, v5
	v_cmp_ne_u32_e32 vcc, 0, v3
	v_cndmask_b32_e32 v3, 0, v5, vcc
	s_brev_b32 s4, 1
	v_and_or_b32 v1, v1, s4, v3
	v_cvt_u32_f32_e32 v7, v1
.LBB340_1553:
	s_mov_b64 s[4:5], 0
.LBB340_1554:
	s_andn2_b64 vcc, exec, s[4:5]
	s_cbranch_vccnz .LBB340_1556
; %bb.1555:
	global_load_ubyte v1, v[14:15], off
	s_movk_i32 s4, 0x7f00
	s_brev_b32 s5, 16
	s_waitcnt vmcnt(0)
	v_lshlrev_b16_e32 v3, 8, v1
	v_lshlrev_b32_e32 v1, 25, v1
	v_lshrrev_b32_e32 v5, 4, v1
	v_and_or_b32 v7, v3, s4, 0.5
	v_or_b32_e32 v5, 0x70000000, v5
	v_add_f32_e32 v7, -0.5, v7
	v_mul_f32_e32 v5, 0x7800000, v5
	v_cmp_gt_u32_e32 vcc, s5, v1
	v_bfe_i32 v3, v3, 0, 16
	v_cndmask_b32_e32 v1, v5, v7, vcc
	s_brev_b32 s4, 1
	v_and_or_b32 v1, v3, s4, v1
	v_cvt_u32_f32_e32 v7, v1
.LBB340_1556:
	s_mov_b64 s[4:5], 0
	s_mov_b64 s[6:7], -1
.LBB340_1557:
	s_andn2_b64 vcc, exec, s[4:5]
	s_mov_b64 s[4:5], 0
	s_cbranch_vccnz .LBB340_1568
; %bb.1558:
	s_cmp_gt_i32 s12, 14
	s_cbranch_scc0 .LBB340_1561
; %bb.1559:
	s_cmp_eq_u32 s12, 15
	s_cbranch_scc0 .LBB340_1564
; %bb.1560:
	global_load_ushort v1, v[14:15], off
	s_mov_b64 s[0:1], 0
	s_mov_b64 s[6:7], -1
	s_waitcnt vmcnt(0)
	v_lshlrev_b32_e32 v1, 16, v1
	v_cvt_u32_f32_e32 v7, v1
	s_branch .LBB340_1565
.LBB340_1561:
	s_mov_b64 s[10:11], -1
                                        ; implicit-def: $vgpr7
	s_branch .LBB340_1566
.LBB340_1562:
	s_andn2_saveexec_b64 s[4:5], s[4:5]
	s_cbranch_execz .LBB340_1543
.LBB340_1563:
	v_cmp_ne_u16_e32 vcc, 0, v1
	s_andn2_b64 s[6:7], s[6:7], exec
	s_and_b64 s[10:11], vcc, exec
	s_or_b64 s[6:7], s[6:7], s[10:11]
	s_or_b64 exec, exec, s[4:5]
	v_mov_b32_e32 v7, 0
	s_and_saveexec_b64 s[4:5], s[6:7]
	s_cbranch_execnz .LBB340_1544
	s_branch .LBB340_1545
.LBB340_1564:
	s_mov_b64 s[0:1], -1
                                        ; implicit-def: $vgpr7
.LBB340_1565:
	s_mov_b64 s[10:11], 0
.LBB340_1566:
	s_and_b64 vcc, exec, s[10:11]
	s_cbranch_vccz .LBB340_1568
; %bb.1567:
	s_cmp_lg_u32 s12, 11
	s_mov_b64 s[4:5], -1
	s_cselect_b64 s[0:1], -1, 0
.LBB340_1568:
	s_and_b64 vcc, exec, s[0:1]
	s_cbranch_vccnz .LBB340_2101
; %bb.1569:
	s_andn2_b64 vcc, exec, s[4:5]
	s_cbranch_vccnz .LBB340_1571
.LBB340_1570:
	global_load_ubyte v1, v[14:15], off
	s_mov_b64 s[6:7], -1
	s_waitcnt vmcnt(0)
	v_cmp_ne_u16_e32 vcc, 0, v1
	v_cndmask_b32_e64 v7, 0, 1, vcc
.LBB340_1571:
	s_mov_b64 s[0:1], 0
.LBB340_1572:
	s_and_b64 vcc, exec, s[0:1]
	s_cbranch_vccz .LBB340_1621
; %bb.1573:
	s_and_b32 s4, 0xffff, s14
	s_cmp_lt_i32 s4, 5
	s_cbranch_scc1 .LBB340_1578
; %bb.1574:
	s_cmp_lt_i32 s4, 8
	s_cbranch_scc1 .LBB340_1579
; %bb.1575:
	;; [unrolled: 3-line block ×3, first 2 shown]
	s_cmp_gt_i32 s4, 9
	s_cbranch_scc0 .LBB340_1581
; %bb.1577:
	global_load_dwordx2 v[7:8], v[14:15], off
	s_mov_b64 s[0:1], 0
	s_waitcnt vmcnt(0)
	v_cvt_u32_f64_e32 v7, v[7:8]
	s_branch .LBB340_1582
.LBB340_1578:
	s_mov_b64 s[0:1], -1
                                        ; implicit-def: $vgpr7
	s_branch .LBB340_1600
.LBB340_1579:
	s_mov_b64 s[0:1], -1
                                        ; implicit-def: $vgpr7
	s_branch .LBB340_1588
.LBB340_1580:
	s_mov_b64 s[0:1], -1
                                        ; implicit-def: $vgpr7
	s_branch .LBB340_1585
.LBB340_1581:
	s_mov_b64 s[0:1], -1
                                        ; implicit-def: $vgpr7
.LBB340_1582:
	s_andn2_b64 vcc, exec, s[0:1]
	s_cbranch_vccnz .LBB340_1584
; %bb.1583:
	global_load_dword v1, v[14:15], off
	s_waitcnt vmcnt(0)
	v_cvt_u32_f32_e32 v7, v1
.LBB340_1584:
	s_mov_b64 s[0:1], 0
.LBB340_1585:
	s_andn2_b64 vcc, exec, s[0:1]
	s_cbranch_vccnz .LBB340_1587
; %bb.1586:
	global_load_dword v1, v[14:15], off
	s_waitcnt vmcnt(0)
	v_cvt_u16_f16_e32 v7, v1
.LBB340_1587:
	s_mov_b64 s[0:1], 0
.LBB340_1588:
	s_andn2_b64 vcc, exec, s[0:1]
	s_cbranch_vccnz .LBB340_1599
; %bb.1589:
	s_cmp_lt_i32 s4, 6
	s_cbranch_scc1 .LBB340_1592
; %bb.1590:
	s_cmp_gt_i32 s4, 6
	s_cbranch_scc0 .LBB340_1593
; %bb.1591:
	global_load_dwordx2 v[7:8], v[14:15], off
	s_mov_b64 s[0:1], 0
	s_waitcnt vmcnt(0)
	v_cvt_u32_f64_e32 v7, v[7:8]
	s_branch .LBB340_1594
.LBB340_1592:
	s_mov_b64 s[0:1], -1
                                        ; implicit-def: $vgpr7
	s_branch .LBB340_1597
.LBB340_1593:
	s_mov_b64 s[0:1], -1
                                        ; implicit-def: $vgpr7
.LBB340_1594:
	s_andn2_b64 vcc, exec, s[0:1]
	s_cbranch_vccnz .LBB340_1596
; %bb.1595:
	global_load_dword v1, v[14:15], off
	s_waitcnt vmcnt(0)
	v_cvt_u32_f32_e32 v7, v1
.LBB340_1596:
	s_mov_b64 s[0:1], 0
.LBB340_1597:
	s_andn2_b64 vcc, exec, s[0:1]
	s_cbranch_vccnz .LBB340_1599
; %bb.1598:
	global_load_ushort v1, v[14:15], off
	s_waitcnt vmcnt(0)
	v_cvt_u16_f16_e32 v7, v1
.LBB340_1599:
	s_mov_b64 s[0:1], 0
.LBB340_1600:
	s_andn2_b64 vcc, exec, s[0:1]
	s_cbranch_vccnz .LBB340_1620
; %bb.1601:
	s_cmp_lt_i32 s4, 2
	s_cbranch_scc1 .LBB340_1605
; %bb.1602:
	s_cmp_lt_i32 s4, 3
	s_cbranch_scc1 .LBB340_1606
; %bb.1603:
	s_cmp_gt_i32 s4, 3
	s_cbranch_scc0 .LBB340_1607
; %bb.1604:
	global_load_dwordx2 v[7:8], v[14:15], off
	s_mov_b64 s[0:1], 0
	s_branch .LBB340_1608
.LBB340_1605:
	s_mov_b64 s[0:1], -1
                                        ; implicit-def: $vgpr7
	s_branch .LBB340_1614
.LBB340_1606:
	s_mov_b64 s[0:1], -1
                                        ; implicit-def: $vgpr7
	s_branch .LBB340_1611
.LBB340_1607:
	s_mov_b64 s[0:1], -1
                                        ; implicit-def: $vgpr7
.LBB340_1608:
	s_andn2_b64 vcc, exec, s[0:1]
	s_cbranch_vccnz .LBB340_1610
; %bb.1609:
	global_load_dword v7, v[14:15], off
.LBB340_1610:
	s_mov_b64 s[0:1], 0
.LBB340_1611:
	s_andn2_b64 vcc, exec, s[0:1]
	s_cbranch_vccnz .LBB340_1613
; %bb.1612:
	global_load_ushort v7, v[14:15], off
.LBB340_1613:
	s_mov_b64 s[0:1], 0
.LBB340_1614:
	s_andn2_b64 vcc, exec, s[0:1]
	s_cbranch_vccnz .LBB340_1620
; %bb.1615:
	s_cmp_gt_i32 s4, 0
	s_cbranch_scc0 .LBB340_1617
; %bb.1616:
	global_load_sbyte v7, v[14:15], off
	s_mov_b64 s[0:1], 0
	s_branch .LBB340_1618
.LBB340_1617:
	s_mov_b64 s[0:1], -1
                                        ; implicit-def: $vgpr7
.LBB340_1618:
	s_andn2_b64 vcc, exec, s[0:1]
	s_cbranch_vccnz .LBB340_1620
; %bb.1619:
	global_load_ubyte v7, v[14:15], off
.LBB340_1620:
	s_mov_b64 s[6:7], -1
.LBB340_1621:
	s_andn2_b64 vcc, exec, s[6:7]
	s_cbranch_vccnz .LBB340_2055
; %bb.1622:
	s_load_dwordx2 s[4:5], s[34:35], 0x158
	s_load_dword s0, s[34:35], 0x160
	v_mov_b32_e32 v1, s9
	s_waitcnt lgkmcnt(0)
	s_cmp_eq_u32 s4, 0
	v_cmp_ne_u16_e32 vcc, s5, v13
	s_cselect_b64 s[6:7], -1, 0
	s_and_b32 s20, s0, 0xff
	s_xor_b64 s[10:11], s[6:7], vcc
	v_add_co_u32_e32 v5, vcc, s8, v6
	s_cmp_lt_i32 s20, 11
	v_addc_co_u32_e32 v6, vcc, 0, v1, vcc
	s_cbranch_scc1 .LBB340_1700
; %bb.1623:
	s_and_b32 s4, 0xffff, s20
	s_mov_b64 s[16:17], -1
	s_mov_b64 s[12:13], 0
	s_cmp_gt_i32 s4, 25
	s_mov_b64 s[14:15], 0
	s_mov_b64 s[0:1], 0
	s_cbranch_scc0 .LBB340_1656
; %bb.1624:
	s_cmp_gt_i32 s4, 28
	s_cbranch_scc0 .LBB340_1639
; %bb.1625:
	s_cmp_gt_i32 s4, 43
	s_cbranch_scc0 .LBB340_1635
; %bb.1626:
	s_cmp_gt_i32 s4, 45
	s_cbranch_scc0 .LBB340_1629
; %bb.1627:
	s_mov_b64 s[0:1], -1
	s_mov_b64 s[16:17], 0
	s_cmp_eq_u32 s4, 46
	s_cbranch_scc0 .LBB340_1629
; %bb.1628:
	v_cndmask_b32_e64 v1, 0, 1.0, s[10:11]
	v_bfe_u32 v3, v1, 16, 1
	s_movk_i32 s0, 0x7fff
	v_add3_u32 v1, v1, v3, s0
	v_lshrrev_b32_e32 v1, 16, v1
	global_store_dword v[5:6], v1, off
	s_mov_b64 s[0:1], 0
	s_mov_b64 s[14:15], -1
.LBB340_1629:
	s_and_b64 vcc, exec, s[16:17]
	s_cbranch_vccz .LBB340_1634
; %bb.1630:
	s_cmp_eq_u32 s4, 44
	s_mov_b64 s[0:1], -1
	s_cbranch_scc0 .LBB340_1634
; %bb.1631:
	v_cndmask_b32_e64 v3, 0, 1.0, s[10:11]
	v_lshrrev_b32_e32 v1, 23, v3
	s_movk_i32 s0, 0xff
	v_cmp_ne_u32_e32 vcc, s0, v1
	s_waitcnt vmcnt(0)
	v_mov_b32_e32 v8, 0xff
	s_and_saveexec_b64 s[14:15], vcc
; %bb.1632:
	s_mov_b32 s0, 0x3fffff
	v_and_b32_e32 v8, 0x400000, v3
	v_and_or_b32 v3, v3, s0, v1
	v_cmp_ne_u32_e32 vcc, 0, v8
	v_cmp_ne_u32_e64 s[0:1], 0, v3
	s_and_b64 s[0:1], vcc, s[0:1]
	v_cndmask_b32_e64 v3, 0, 1, s[0:1]
	v_add_u32_e32 v8, v1, v3
; %bb.1633:
	s_or_b64 exec, exec, s[14:15]
	s_mov_b64 s[0:1], 0
	s_mov_b64 s[14:15], -1
	global_store_byte v[5:6], v8, off
.LBB340_1634:
	s_mov_b64 s[16:17], 0
.LBB340_1635:
	s_and_b64 vcc, exec, s[16:17]
	s_cbranch_vccz .LBB340_1638
; %bb.1636:
	s_cmp_eq_u32 s4, 29
	s_mov_b64 s[0:1], -1
	s_cbranch_scc0 .LBB340_1638
; %bb.1637:
	s_mov_b32 s0, 0
	s_waitcnt vmcnt(0)
	v_cndmask_b32_e64 v12, 0, 1, s[10:11]
	v_mov_b32_e32 v13, s0
	global_store_dwordx2 v[5:6], v[12:13], off
	s_mov_b64 s[0:1], 0
	s_mov_b64 s[14:15], -1
.LBB340_1638:
	s_mov_b64 s[16:17], 0
.LBB340_1639:
	s_and_b64 vcc, exec, s[16:17]
	s_cbranch_vccz .LBB340_1655
; %bb.1640:
	s_cmp_lt_i32 s4, 27
	s_mov_b64 s[14:15], -1
	s_cbranch_scc1 .LBB340_1646
; %bb.1641:
	s_cmp_gt_i32 s4, 27
	s_cbranch_scc0 .LBB340_1643
; %bb.1642:
	v_cndmask_b32_e64 v1, 0, 1, s[10:11]
	s_mov_b64 s[14:15], 0
	global_store_dword v[5:6], v1, off
.LBB340_1643:
	s_andn2_b64 vcc, exec, s[14:15]
	s_cbranch_vccnz .LBB340_1645
; %bb.1644:
	v_cndmask_b32_e64 v1, 0, 1, s[10:11]
	global_store_short v[5:6], v1, off
.LBB340_1645:
	s_mov_b64 s[14:15], 0
.LBB340_1646:
	s_andn2_b64 vcc, exec, s[14:15]
	s_cbranch_vccnz .LBB340_1654
; %bb.1647:
	v_cndmask_b32_e64 v3, 0, 1.0, s[10:11]
	s_mov_b32 s14, 0x43800000
	v_cmp_gt_u32_e32 vcc, s14, v3
	s_waitcnt vmcnt(0)
	v_mov_b32_e32 v8, 0x80
	s_and_saveexec_b64 s[14:15], vcc
	s_cbranch_execz .LBB340_1653
; %bb.1648:
	s_mov_b32 s16, 0x3bffffff
	v_cmp_lt_u32_e32 vcc, s16, v3
	s_mov_b64 s[16:17], 0
                                        ; implicit-def: $vgpr1
	s_and_saveexec_b64 s[18:19], vcc
	s_xor_b64 s[18:19], exec, s[18:19]
	s_cbranch_execz .LBB340_2102
; %bb.1649:
	v_bfe_u32 v1, v3, 20, 1
	s_mov_b32 s21, 0x487ffff
	v_add3_u32 v1, v3, v1, s21
	s_mov_b64 s[16:17], exec
	v_lshrrev_b32_e32 v1, 20, v1
                                        ; implicit-def: $vgpr3
	s_andn2_saveexec_b64 s[18:19], s[18:19]
	s_cbranch_execnz .LBB340_2103
.LBB340_1650:
	s_or_b64 exec, exec, s[18:19]
	v_mov_b32_e32 v8, 0
	s_and_saveexec_b64 s[18:19], s[16:17]
.LBB340_1651:
	v_mov_b32_e32 v8, v1
.LBB340_1652:
	s_or_b64 exec, exec, s[18:19]
.LBB340_1653:
	s_or_b64 exec, exec, s[14:15]
	global_store_byte v[5:6], v8, off
.LBB340_1654:
	s_mov_b64 s[14:15], -1
.LBB340_1655:
	s_mov_b64 s[16:17], 0
.LBB340_1656:
	s_and_b64 vcc, exec, s[16:17]
	s_cbranch_vccz .LBB340_1696
; %bb.1657:
	s_cmp_gt_i32 s4, 22
	s_mov_b64 s[12:13], -1
	s_cbranch_scc0 .LBB340_1689
; %bb.1658:
	s_cmp_lt_i32 s4, 24
	s_cbranch_scc1 .LBB340_1678
; %bb.1659:
	s_cmp_gt_i32 s4, 24
	s_cbranch_scc0 .LBB340_1667
; %bb.1660:
	v_cndmask_b32_e64 v3, 0, 1.0, s[10:11]
	s_mov_b32 s12, 0x47800000
	v_cmp_gt_u32_e32 vcc, s12, v3
	s_waitcnt vmcnt(0)
	v_mov_b32_e32 v8, 0x80
	s_and_saveexec_b64 s[12:13], vcc
	s_cbranch_execz .LBB340_1666
; %bb.1661:
	s_mov_b32 s14, 0x37ffffff
	v_cmp_lt_u32_e32 vcc, s14, v3
	s_mov_b64 s[14:15], 0
                                        ; implicit-def: $vgpr1
	s_and_saveexec_b64 s[16:17], vcc
	s_xor_b64 s[16:17], exec, s[16:17]
	s_cbranch_execz .LBB340_2105
; %bb.1662:
	v_bfe_u32 v1, v3, 21, 1
	s_mov_b32 s18, 0x88fffff
	v_add3_u32 v1, v3, v1, s18
	s_mov_b64 s[14:15], exec
	v_lshrrev_b32_e32 v1, 21, v1
                                        ; implicit-def: $vgpr3
	s_andn2_saveexec_b64 s[16:17], s[16:17]
	s_cbranch_execnz .LBB340_2106
.LBB340_1663:
	s_or_b64 exec, exec, s[16:17]
	v_mov_b32_e32 v8, 0
	s_and_saveexec_b64 s[16:17], s[14:15]
.LBB340_1664:
	v_mov_b32_e32 v8, v1
.LBB340_1665:
	s_or_b64 exec, exec, s[16:17]
.LBB340_1666:
	s_or_b64 exec, exec, s[12:13]
	s_mov_b64 s[12:13], 0
	global_store_byte v[5:6], v8, off
.LBB340_1667:
	s_and_b64 vcc, exec, s[12:13]
	s_cbranch_vccz .LBB340_1677
; %bb.1668:
	v_cndmask_b32_e64 v1, 0, 1.0, s[10:11]
	s_mov_b32 s12, 0x43f00000
	v_cmp_gt_u32_e32 vcc, s12, v1
                                        ; implicit-def: $vgpr3
	s_and_saveexec_b64 s[12:13], vcc
	s_xor_b64 s[12:13], exec, s[12:13]
	s_cbranch_execz .LBB340_1674
; %bb.1669:
	s_mov_b32 s14, 0x3c7fffff
	v_cmp_lt_u32_e32 vcc, s14, v1
                                        ; implicit-def: $vgpr3
	s_and_saveexec_b64 s[14:15], vcc
	s_xor_b64 s[14:15], exec, s[14:15]
	s_cbranch_execz .LBB340_1671
; %bb.1670:
	v_bfe_u32 v3, v1, 20, 1
	s_mov_b32 s16, 0x407ffff
	v_add3_u32 v1, v1, v3, s16
	v_lshrrev_b32_e32 v3, 20, v1
	v_and_b32_e32 v1, 0xff00000, v1
	s_mov_b32 s16, 0x7f00000
	s_waitcnt vmcnt(0)
	v_mov_b32_e32 v8, 0x7e
	v_cmp_ne_u32_e32 vcc, s16, v1
	v_cndmask_b32_e32 v3, v8, v3, vcc
                                        ; implicit-def: $vgpr1
.LBB340_1671:
	s_andn2_saveexec_b64 s[14:15], s[14:15]
; %bb.1672:
	v_add_f32_e32 v3, 0x46800000, v1
; %bb.1673:
	s_or_b64 exec, exec, s[14:15]
                                        ; implicit-def: $vgpr1
.LBB340_1674:
	s_andn2_saveexec_b64 s[12:13], s[12:13]
	s_cbranch_execz .LBB340_1676
; %bb.1675:
	s_mov_b32 s14, 0x7f800000
	v_mov_b32_e32 v3, 0x7e
	s_waitcnt vmcnt(0)
	v_mov_b32_e32 v8, 0x7f
	v_cmp_lt_u32_e32 vcc, s14, v1
	v_cndmask_b32_e32 v3, v3, v8, vcc
.LBB340_1676:
	s_or_b64 exec, exec, s[12:13]
	global_store_byte v[5:6], v3, off
.LBB340_1677:
	s_mov_b64 s[12:13], 0
.LBB340_1678:
	s_andn2_b64 vcc, exec, s[12:13]
	s_cbranch_vccnz .LBB340_1688
; %bb.1679:
	v_cndmask_b32_e64 v1, 0, 1.0, s[10:11]
	s_mov_b32 s12, 0x47800000
	v_cmp_gt_u32_e32 vcc, s12, v1
                                        ; implicit-def: $vgpr3
	s_and_saveexec_b64 s[12:13], vcc
	s_xor_b64 s[12:13], exec, s[12:13]
	s_cbranch_execz .LBB340_1685
; %bb.1680:
	s_mov_b32 s14, 0x387fffff
	v_cmp_lt_u32_e32 vcc, s14, v1
                                        ; implicit-def: $vgpr3
	s_and_saveexec_b64 s[14:15], vcc
	s_xor_b64 s[14:15], exec, s[14:15]
; %bb.1681:
	v_bfe_u32 v3, v1, 21, 1
	s_mov_b32 s16, 0x80fffff
	v_add3_u32 v1, v1, v3, s16
	v_lshrrev_b32_e32 v3, 21, v1
                                        ; implicit-def: $vgpr1
; %bb.1682:
	s_andn2_saveexec_b64 s[14:15], s[14:15]
; %bb.1683:
	v_add_f32_e32 v3, 0x43000000, v1
; %bb.1684:
	s_or_b64 exec, exec, s[14:15]
                                        ; implicit-def: $vgpr1
.LBB340_1685:
	s_andn2_saveexec_b64 s[12:13], s[12:13]
	s_cbranch_execz .LBB340_1687
; %bb.1686:
	s_mov_b32 s14, 0x7f800000
	v_mov_b32_e32 v3, 0x7c
	s_waitcnt vmcnt(0)
	v_mov_b32_e32 v8, 0x7f
	v_cmp_lt_u32_e32 vcc, s14, v1
	v_cndmask_b32_e32 v3, v3, v8, vcc
.LBB340_1687:
	s_or_b64 exec, exec, s[12:13]
	global_store_byte v[5:6], v3, off
.LBB340_1688:
	s_mov_b64 s[12:13], 0
	s_mov_b64 s[14:15], -1
.LBB340_1689:
	s_andn2_b64 vcc, exec, s[12:13]
	s_mov_b64 s[12:13], 0
	s_cbranch_vccnz .LBB340_1696
; %bb.1690:
	s_cmp_gt_i32 s4, 14
	s_mov_b64 s[16:17], -1
	s_cbranch_scc0 .LBB340_1694
; %bb.1691:
	s_cmp_eq_u32 s4, 15
	s_mov_b64 s[0:1], -1
	s_cbranch_scc0 .LBB340_1693
; %bb.1692:
	v_cndmask_b32_e64 v1, 0, 1.0, s[10:11]
	v_bfe_u32 v3, v1, 16, 1
	s_movk_i32 s0, 0x7fff
	v_add3_u32 v1, v1, v3, s0
	global_store_short_d16_hi v[5:6], v1, off
	s_mov_b64 s[0:1], 0
	s_mov_b64 s[14:15], -1
.LBB340_1693:
	s_mov_b64 s[16:17], 0
.LBB340_1694:
	s_and_b64 vcc, exec, s[16:17]
	s_cbranch_vccz .LBB340_1696
; %bb.1695:
	s_cmp_lg_u32 s4, 11
	s_mov_b64 s[12:13], -1
	s_cselect_b64 s[0:1], -1, 0
.LBB340_1696:
	s_and_b64 vcc, exec, s[0:1]
	s_cbranch_vccnz .LBB340_2104
; %bb.1697:
	s_andn2_b64 vcc, exec, s[12:13]
	s_cbranch_vccnz .LBB340_1699
.LBB340_1698:
	v_cndmask_b32_e64 v1, 0, 1, s[10:11]
	s_mov_b64 s[14:15], -1
	global_store_byte v[5:6], v1, off
.LBB340_1699:
	s_mov_b64 s[0:1], 0
	s_branch .LBB340_1701
.LBB340_1700:
	s_mov_b64 s[0:1], -1
	s_mov_b64 s[14:15], 0
.LBB340_1701:
	s_and_b64 vcc, exec, s[0:1]
	s_cbranch_vccz .LBB340_1740
; %bb.1702:
	s_and_b32 s4, 0xffff, s20
	s_cmp_lt_i32 s4, 5
	s_mov_b64 s[0:1], -1
	s_cbranch_scc1 .LBB340_1723
; %bb.1703:
	s_cmp_lt_i32 s4, 8
	s_cbranch_scc1 .LBB340_1713
; %bb.1704:
	s_cmp_lt_i32 s4, 9
	s_cbranch_scc1 .LBB340_1710
; %bb.1705:
	s_cmp_gt_i32 s4, 9
	s_cbranch_scc0 .LBB340_1707
; %bb.1706:
	v_cndmask_b32_e64 v1, 0, 1, s[10:11]
	s_waitcnt vmcnt(0)
	v_cvt_f64_u32_e32 v[12:13], v1
	v_mov_b32_e32 v14, 0
	v_mov_b32_e32 v15, v14
	s_mov_b64 s[0:1], 0
	global_store_dwordx4 v[5:6], v[12:15], off
.LBB340_1707:
	s_andn2_b64 vcc, exec, s[0:1]
	s_cbranch_vccnz .LBB340_1709
; %bb.1708:
	s_waitcnt vmcnt(0)
	v_cndmask_b32_e64 v12, 0, 1.0, s[10:11]
	v_mov_b32_e32 v13, 0
	global_store_dwordx2 v[5:6], v[12:13], off
.LBB340_1709:
	s_mov_b64 s[0:1], 0
.LBB340_1710:
	s_andn2_b64 vcc, exec, s[0:1]
	s_cbranch_vccnz .LBB340_1712
; %bb.1711:
	v_cndmask_b32_e64 v1, 0, 1.0, s[10:11]
	v_cvt_f16_f32_e32 v1, v1
	global_store_dword v[5:6], v1, off
.LBB340_1712:
	s_mov_b64 s[0:1], 0
.LBB340_1713:
	s_andn2_b64 vcc, exec, s[0:1]
	s_cbranch_vccnz .LBB340_1722
; %bb.1714:
	s_cmp_lt_i32 s4, 6
	s_mov_b64 s[0:1], -1
	s_cbranch_scc1 .LBB340_1720
; %bb.1715:
	s_cmp_gt_i32 s4, 6
	s_cbranch_scc0 .LBB340_1717
; %bb.1716:
	v_cndmask_b32_e64 v1, 0, 1, s[10:11]
	s_waitcnt vmcnt(0)
	v_cvt_f64_u32_e32 v[12:13], v1
	s_mov_b64 s[0:1], 0
	global_store_dwordx2 v[5:6], v[12:13], off
.LBB340_1717:
	s_andn2_b64 vcc, exec, s[0:1]
	s_cbranch_vccnz .LBB340_1719
; %bb.1718:
	v_cndmask_b32_e64 v1, 0, 1.0, s[10:11]
	global_store_dword v[5:6], v1, off
.LBB340_1719:
	s_mov_b64 s[0:1], 0
.LBB340_1720:
	s_andn2_b64 vcc, exec, s[0:1]
	s_cbranch_vccnz .LBB340_1722
; %bb.1721:
	v_cndmask_b32_e64 v1, 0, 1.0, s[10:11]
	v_cvt_f16_f32_e32 v1, v1
	global_store_short v[5:6], v1, off
.LBB340_1722:
	s_mov_b64 s[0:1], 0
.LBB340_1723:
	s_andn2_b64 vcc, exec, s[0:1]
	s_cbranch_vccnz .LBB340_1739
; %bb.1724:
	s_cmp_lt_i32 s4, 2
	s_mov_b64 s[0:1], -1
	s_cbranch_scc1 .LBB340_1734
; %bb.1725:
	s_cmp_lt_i32 s4, 3
	s_cbranch_scc1 .LBB340_1731
; %bb.1726:
	s_cmp_gt_i32 s4, 3
	s_cbranch_scc0 .LBB340_1728
; %bb.1727:
	s_mov_b32 s0, 0
	s_waitcnt vmcnt(0)
	v_cndmask_b32_e64 v12, 0, 1, s[10:11]
	v_mov_b32_e32 v13, s0
	global_store_dwordx2 v[5:6], v[12:13], off
	s_mov_b64 s[0:1], 0
.LBB340_1728:
	s_andn2_b64 vcc, exec, s[0:1]
	s_cbranch_vccnz .LBB340_1730
; %bb.1729:
	v_cndmask_b32_e64 v1, 0, 1, s[10:11]
	global_store_dword v[5:6], v1, off
.LBB340_1730:
	s_mov_b64 s[0:1], 0
.LBB340_1731:
	s_andn2_b64 vcc, exec, s[0:1]
	s_cbranch_vccnz .LBB340_1733
; %bb.1732:
	v_cndmask_b32_e64 v1, 0, 1, s[10:11]
	global_store_short v[5:6], v1, off
.LBB340_1733:
	s_mov_b64 s[0:1], 0
.LBB340_1734:
	s_andn2_b64 vcc, exec, s[0:1]
	s_cbranch_vccnz .LBB340_1739
; %bb.1735:
	s_mov_b64 s[0:1], -1
	s_cmp_gt_i32 s4, 0
	v_cndmask_b32_e64 v1, 0, 1, s[10:11]
	s_cbranch_scc0 .LBB340_1737
; %bb.1736:
	global_store_byte v[5:6], v1, off
	s_mov_b64 s[0:1], 0
.LBB340_1737:
	s_andn2_b64 vcc, exec, s[0:1]
	s_cbranch_vccnz .LBB340_1739
; %bb.1738:
	global_store_byte v[5:6], v1, off
.LBB340_1739:
	s_mov_b64 s[14:15], -1
.LBB340_1740:
	s_andn2_b64 vcc, exec, s[14:15]
	s_cbranch_vccnz .LBB340_2055
; %bb.1741:
	s_waitcnt vmcnt(0)
	v_cmp_ne_u16_e32 vcc, s5, v11
	s_xor_b64 s[10:11], s[6:7], vcc
	v_mov_b32_e32 v1, s9
	s_and_b32 s21, 0xffff, s20
	v_add_co_u32_e32 v3, vcc, s8, v4
	s_cmp_lt_i32 s21, 11
	v_addc_co_u32_e32 v4, vcc, 0, v1, vcc
	s_cbranch_scc1 .LBB340_1819
; %bb.1742:
	s_mov_b64 s[16:17], -1
	s_mov_b64 s[12:13], 0
	s_cmp_gt_i32 s21, 25
	s_mov_b64 s[14:15], 0
	s_mov_b64 s[0:1], 0
	s_cbranch_scc0 .LBB340_1775
; %bb.1743:
	s_cmp_gt_i32 s21, 28
	s_cbranch_scc0 .LBB340_1758
; %bb.1744:
	s_cmp_gt_i32 s21, 43
	;; [unrolled: 3-line block ×3, first 2 shown]
	s_cbranch_scc0 .LBB340_1748
; %bb.1746:
	s_mov_b64 s[0:1], -1
	s_mov_b64 s[16:17], 0
	s_cmp_eq_u32 s21, 46
	s_cbranch_scc0 .LBB340_1748
; %bb.1747:
	v_cndmask_b32_e64 v1, 0, 1.0, s[10:11]
	v_bfe_u32 v5, v1, 16, 1
	s_movk_i32 s0, 0x7fff
	v_add3_u32 v1, v1, v5, s0
	v_lshrrev_b32_e32 v1, 16, v1
	global_store_dword v[3:4], v1, off
	s_mov_b64 s[0:1], 0
	s_mov_b64 s[14:15], -1
.LBB340_1748:
	s_and_b64 vcc, exec, s[16:17]
	s_cbranch_vccz .LBB340_1753
; %bb.1749:
	s_cmp_eq_u32 s21, 44
	s_mov_b64 s[0:1], -1
	s_cbranch_scc0 .LBB340_1753
; %bb.1750:
	v_cndmask_b32_e64 v5, 0, 1.0, s[10:11]
	v_lshrrev_b32_e32 v1, 23, v5
	s_movk_i32 s0, 0xff
	v_cmp_ne_u32_e32 vcc, s0, v1
	v_mov_b32_e32 v6, 0xff
	s_and_saveexec_b64 s[14:15], vcc
; %bb.1751:
	s_mov_b32 s0, 0x3fffff
	v_and_b32_e32 v6, 0x400000, v5
	v_and_or_b32 v5, v5, s0, v1
	v_cmp_ne_u32_e32 vcc, 0, v6
	v_cmp_ne_u32_e64 s[0:1], 0, v5
	s_and_b64 s[0:1], vcc, s[0:1]
	v_cndmask_b32_e64 v5, 0, 1, s[0:1]
	v_add_u32_e32 v6, v1, v5
; %bb.1752:
	s_or_b64 exec, exec, s[14:15]
	s_mov_b64 s[0:1], 0
	s_mov_b64 s[14:15], -1
	global_store_byte v[3:4], v6, off
.LBB340_1753:
	s_mov_b64 s[16:17], 0
.LBB340_1754:
	s_and_b64 vcc, exec, s[16:17]
	s_cbranch_vccz .LBB340_1757
; %bb.1755:
	s_cmp_eq_u32 s21, 29
	s_mov_b64 s[0:1], -1
	s_cbranch_scc0 .LBB340_1757
; %bb.1756:
	s_mov_b32 s0, 0
	v_cndmask_b32_e64 v5, 0, 1, s[10:11]
	v_mov_b32_e32 v6, s0
	global_store_dwordx2 v[3:4], v[5:6], off
	s_mov_b64 s[0:1], 0
	s_mov_b64 s[14:15], -1
.LBB340_1757:
	s_mov_b64 s[16:17], 0
.LBB340_1758:
	s_and_b64 vcc, exec, s[16:17]
	s_cbranch_vccz .LBB340_1774
; %bb.1759:
	s_cmp_lt_i32 s21, 27
	s_mov_b64 s[14:15], -1
	s_cbranch_scc1 .LBB340_1765
; %bb.1760:
	s_cmp_gt_i32 s21, 27
	s_cbranch_scc0 .LBB340_1762
; %bb.1761:
	v_cndmask_b32_e64 v1, 0, 1, s[10:11]
	s_mov_b64 s[14:15], 0
	global_store_dword v[3:4], v1, off
.LBB340_1762:
	s_andn2_b64 vcc, exec, s[14:15]
	s_cbranch_vccnz .LBB340_1764
; %bb.1763:
	v_cndmask_b32_e64 v1, 0, 1, s[10:11]
	global_store_short v[3:4], v1, off
.LBB340_1764:
	s_mov_b64 s[14:15], 0
.LBB340_1765:
	s_andn2_b64 vcc, exec, s[14:15]
	s_cbranch_vccnz .LBB340_1773
; %bb.1766:
	v_cndmask_b32_e64 v5, 0, 1.0, s[10:11]
	s_mov_b32 s4, 0x43800000
	v_cmp_gt_u32_e32 vcc, s4, v5
	v_mov_b32_e32 v6, 0x80
	s_and_saveexec_b64 s[14:15], vcc
	s_cbranch_execz .LBB340_1772
; %bb.1767:
	s_mov_b32 s4, 0x3bffffff
	v_cmp_lt_u32_e32 vcc, s4, v5
	s_mov_b64 s[16:17], 0
                                        ; implicit-def: $vgpr1
	s_and_saveexec_b64 s[18:19], vcc
	s_xor_b64 s[18:19], exec, s[18:19]
	s_cbranch_execz .LBB340_2107
; %bb.1768:
	v_bfe_u32 v1, v5, 20, 1
	s_mov_b32 s4, 0x487ffff
	v_add3_u32 v1, v5, v1, s4
	s_mov_b64 s[16:17], exec
	v_lshrrev_b32_e32 v1, 20, v1
                                        ; implicit-def: $vgpr5
	s_andn2_saveexec_b64 s[18:19], s[18:19]
	s_cbranch_execnz .LBB340_2108
.LBB340_1769:
	s_or_b64 exec, exec, s[18:19]
	v_mov_b32_e32 v6, 0
	s_and_saveexec_b64 s[18:19], s[16:17]
.LBB340_1770:
	v_mov_b32_e32 v6, v1
.LBB340_1771:
	s_or_b64 exec, exec, s[18:19]
.LBB340_1772:
	s_or_b64 exec, exec, s[14:15]
	global_store_byte v[3:4], v6, off
.LBB340_1773:
	s_mov_b64 s[14:15], -1
.LBB340_1774:
	s_mov_b64 s[16:17], 0
.LBB340_1775:
	s_and_b64 vcc, exec, s[16:17]
	s_cbranch_vccz .LBB340_1815
; %bb.1776:
	s_cmp_gt_i32 s21, 22
	s_mov_b64 s[12:13], -1
	s_cbranch_scc0 .LBB340_1808
; %bb.1777:
	s_cmp_lt_i32 s21, 24
	s_cbranch_scc1 .LBB340_1797
; %bb.1778:
	s_cmp_gt_i32 s21, 24
	s_cbranch_scc0 .LBB340_1786
; %bb.1779:
	v_cndmask_b32_e64 v5, 0, 1.0, s[10:11]
	s_mov_b32 s4, 0x47800000
	v_cmp_gt_u32_e32 vcc, s4, v5
	v_mov_b32_e32 v6, 0x80
	s_and_saveexec_b64 s[12:13], vcc
	s_cbranch_execz .LBB340_1785
; %bb.1780:
	s_mov_b32 s4, 0x37ffffff
	v_cmp_lt_u32_e32 vcc, s4, v5
	s_mov_b64 s[14:15], 0
                                        ; implicit-def: $vgpr1
	s_and_saveexec_b64 s[16:17], vcc
	s_xor_b64 s[16:17], exec, s[16:17]
	s_cbranch_execz .LBB340_2110
; %bb.1781:
	v_bfe_u32 v1, v5, 21, 1
	s_mov_b32 s4, 0x88fffff
	v_add3_u32 v1, v5, v1, s4
	s_mov_b64 s[14:15], exec
	v_lshrrev_b32_e32 v1, 21, v1
                                        ; implicit-def: $vgpr5
	s_andn2_saveexec_b64 s[16:17], s[16:17]
	s_cbranch_execnz .LBB340_2111
.LBB340_1782:
	s_or_b64 exec, exec, s[16:17]
	v_mov_b32_e32 v6, 0
	s_and_saveexec_b64 s[16:17], s[14:15]
.LBB340_1783:
	v_mov_b32_e32 v6, v1
.LBB340_1784:
	s_or_b64 exec, exec, s[16:17]
.LBB340_1785:
	s_or_b64 exec, exec, s[12:13]
	s_mov_b64 s[12:13], 0
	global_store_byte v[3:4], v6, off
.LBB340_1786:
	s_and_b64 vcc, exec, s[12:13]
	s_cbranch_vccz .LBB340_1796
; %bb.1787:
	v_cndmask_b32_e64 v1, 0, 1.0, s[10:11]
	s_mov_b32 s4, 0x43f00000
	v_cmp_gt_u32_e32 vcc, s4, v1
                                        ; implicit-def: $vgpr5
	s_and_saveexec_b64 s[12:13], vcc
	s_xor_b64 s[12:13], exec, s[12:13]
	s_cbranch_execz .LBB340_1793
; %bb.1788:
	s_mov_b32 s4, 0x3c7fffff
	v_cmp_lt_u32_e32 vcc, s4, v1
                                        ; implicit-def: $vgpr5
	s_and_saveexec_b64 s[14:15], vcc
	s_xor_b64 s[14:15], exec, s[14:15]
; %bb.1789:
	v_bfe_u32 v5, v1, 20, 1
	s_mov_b32 s4, 0x407ffff
	v_add3_u32 v1, v1, v5, s4
	v_lshrrev_b32_e32 v5, 20, v1
	v_and_b32_e32 v1, 0xff00000, v1
	s_mov_b32 s4, 0x7f00000
	v_mov_b32_e32 v6, 0x7e
	v_cmp_ne_u32_e32 vcc, s4, v1
	v_cndmask_b32_e32 v5, v6, v5, vcc
                                        ; implicit-def: $vgpr1
; %bb.1790:
	s_andn2_saveexec_b64 s[14:15], s[14:15]
; %bb.1791:
	v_add_f32_e32 v5, 0x46800000, v1
; %bb.1792:
	s_or_b64 exec, exec, s[14:15]
                                        ; implicit-def: $vgpr1
.LBB340_1793:
	s_andn2_saveexec_b64 s[12:13], s[12:13]
; %bb.1794:
	s_mov_b32 s4, 0x7f800000
	v_mov_b32_e32 v5, 0x7e
	v_mov_b32_e32 v6, 0x7f
	v_cmp_lt_u32_e32 vcc, s4, v1
	v_cndmask_b32_e32 v5, v5, v6, vcc
; %bb.1795:
	s_or_b64 exec, exec, s[12:13]
	global_store_byte v[3:4], v5, off
.LBB340_1796:
	s_mov_b64 s[12:13], 0
.LBB340_1797:
	s_andn2_b64 vcc, exec, s[12:13]
	s_cbranch_vccnz .LBB340_1807
; %bb.1798:
	v_cndmask_b32_e64 v1, 0, 1.0, s[10:11]
	s_mov_b32 s4, 0x47800000
	v_cmp_gt_u32_e32 vcc, s4, v1
                                        ; implicit-def: $vgpr5
	s_and_saveexec_b64 s[12:13], vcc
	s_xor_b64 s[12:13], exec, s[12:13]
	s_cbranch_execz .LBB340_1804
; %bb.1799:
	s_mov_b32 s4, 0x387fffff
	v_cmp_lt_u32_e32 vcc, s4, v1
                                        ; implicit-def: $vgpr5
	s_and_saveexec_b64 s[14:15], vcc
	s_xor_b64 s[14:15], exec, s[14:15]
; %bb.1800:
	v_bfe_u32 v5, v1, 21, 1
	s_mov_b32 s4, 0x80fffff
	v_add3_u32 v1, v1, v5, s4
	v_lshrrev_b32_e32 v5, 21, v1
                                        ; implicit-def: $vgpr1
; %bb.1801:
	s_andn2_saveexec_b64 s[14:15], s[14:15]
; %bb.1802:
	v_add_f32_e32 v5, 0x43000000, v1
; %bb.1803:
	s_or_b64 exec, exec, s[14:15]
                                        ; implicit-def: $vgpr1
.LBB340_1804:
	s_andn2_saveexec_b64 s[12:13], s[12:13]
; %bb.1805:
	s_mov_b32 s4, 0x7f800000
	v_mov_b32_e32 v5, 0x7c
	v_mov_b32_e32 v6, 0x7f
	v_cmp_lt_u32_e32 vcc, s4, v1
	v_cndmask_b32_e32 v5, v5, v6, vcc
; %bb.1806:
	s_or_b64 exec, exec, s[12:13]
	global_store_byte v[3:4], v5, off
.LBB340_1807:
	s_mov_b64 s[12:13], 0
	s_mov_b64 s[14:15], -1
.LBB340_1808:
	s_andn2_b64 vcc, exec, s[12:13]
	s_mov_b64 s[12:13], 0
	s_cbranch_vccnz .LBB340_1815
; %bb.1809:
	s_cmp_gt_i32 s21, 14
	s_mov_b64 s[16:17], -1
	s_cbranch_scc0 .LBB340_1813
; %bb.1810:
	s_cmp_eq_u32 s21, 15
	s_mov_b64 s[0:1], -1
	s_cbranch_scc0 .LBB340_1812
; %bb.1811:
	v_cndmask_b32_e64 v1, 0, 1.0, s[10:11]
	v_bfe_u32 v5, v1, 16, 1
	s_movk_i32 s0, 0x7fff
	v_add3_u32 v1, v1, v5, s0
	global_store_short_d16_hi v[3:4], v1, off
	s_mov_b64 s[0:1], 0
	s_mov_b64 s[14:15], -1
.LBB340_1812:
	s_mov_b64 s[16:17], 0
.LBB340_1813:
	s_and_b64 vcc, exec, s[16:17]
	s_cbranch_vccz .LBB340_1815
; %bb.1814:
	s_cmp_lg_u32 s21, 11
	s_mov_b64 s[12:13], -1
	s_cselect_b64 s[0:1], -1, 0
.LBB340_1815:
	s_and_b64 vcc, exec, s[0:1]
	s_cbranch_vccnz .LBB340_2109
; %bb.1816:
	s_andn2_b64 vcc, exec, s[12:13]
	s_cbranch_vccnz .LBB340_1818
.LBB340_1817:
	v_cndmask_b32_e64 v1, 0, 1, s[10:11]
	s_mov_b64 s[14:15], -1
	global_store_byte v[3:4], v1, off
.LBB340_1818:
	s_mov_b64 s[0:1], 0
	s_branch .LBB340_1820
.LBB340_1819:
	s_mov_b64 s[0:1], -1
	s_mov_b64 s[14:15], 0
.LBB340_1820:
	s_and_b64 vcc, exec, s[0:1]
	s_cbranch_vccz .LBB340_1859
; %bb.1821:
	s_cmp_lt_i32 s21, 5
	s_mov_b64 s[0:1], -1
	s_cbranch_scc1 .LBB340_1842
; %bb.1822:
	s_cmp_lt_i32 s21, 8
	s_cbranch_scc1 .LBB340_1832
; %bb.1823:
	s_cmp_lt_i32 s21, 9
	s_cbranch_scc1 .LBB340_1829
; %bb.1824:
	s_cmp_gt_i32 s21, 9
	s_cbranch_scc0 .LBB340_1826
; %bb.1825:
	v_cndmask_b32_e64 v1, 0, 1, s[10:11]
	v_cvt_f64_u32_e32 v[10:11], v1
	v_mov_b32_e32 v12, 0
	v_mov_b32_e32 v13, v12
	s_mov_b64 s[0:1], 0
	global_store_dwordx4 v[3:4], v[10:13], off
.LBB340_1826:
	s_andn2_b64 vcc, exec, s[0:1]
	s_cbranch_vccnz .LBB340_1828
; %bb.1827:
	v_cndmask_b32_e64 v5, 0, 1.0, s[10:11]
	v_mov_b32_e32 v6, 0
	global_store_dwordx2 v[3:4], v[5:6], off
.LBB340_1828:
	s_mov_b64 s[0:1], 0
.LBB340_1829:
	s_andn2_b64 vcc, exec, s[0:1]
	s_cbranch_vccnz .LBB340_1831
; %bb.1830:
	v_cndmask_b32_e64 v1, 0, 1.0, s[10:11]
	v_cvt_f16_f32_e32 v1, v1
	global_store_dword v[3:4], v1, off
.LBB340_1831:
	s_mov_b64 s[0:1], 0
.LBB340_1832:
	s_andn2_b64 vcc, exec, s[0:1]
	s_cbranch_vccnz .LBB340_1841
; %bb.1833:
	s_cmp_lt_i32 s21, 6
	s_mov_b64 s[0:1], -1
	s_cbranch_scc1 .LBB340_1839
; %bb.1834:
	s_cmp_gt_i32 s21, 6
	s_cbranch_scc0 .LBB340_1836
; %bb.1835:
	v_cndmask_b32_e64 v1, 0, 1, s[10:11]
	v_cvt_f64_u32_e32 v[5:6], v1
	s_mov_b64 s[0:1], 0
	global_store_dwordx2 v[3:4], v[5:6], off
.LBB340_1836:
	s_andn2_b64 vcc, exec, s[0:1]
	s_cbranch_vccnz .LBB340_1838
; %bb.1837:
	v_cndmask_b32_e64 v1, 0, 1.0, s[10:11]
	global_store_dword v[3:4], v1, off
.LBB340_1838:
	s_mov_b64 s[0:1], 0
.LBB340_1839:
	s_andn2_b64 vcc, exec, s[0:1]
	s_cbranch_vccnz .LBB340_1841
; %bb.1840:
	v_cndmask_b32_e64 v1, 0, 1.0, s[10:11]
	v_cvt_f16_f32_e32 v1, v1
	global_store_short v[3:4], v1, off
.LBB340_1841:
	s_mov_b64 s[0:1], 0
.LBB340_1842:
	s_andn2_b64 vcc, exec, s[0:1]
	s_cbranch_vccnz .LBB340_1858
; %bb.1843:
	s_cmp_lt_i32 s21, 2
	s_mov_b64 s[0:1], -1
	s_cbranch_scc1 .LBB340_1853
; %bb.1844:
	s_cmp_lt_i32 s21, 3
	s_cbranch_scc1 .LBB340_1850
; %bb.1845:
	s_cmp_gt_i32 s21, 3
	s_cbranch_scc0 .LBB340_1847
; %bb.1846:
	s_mov_b32 s0, 0
	v_cndmask_b32_e64 v5, 0, 1, s[10:11]
	v_mov_b32_e32 v6, s0
	global_store_dwordx2 v[3:4], v[5:6], off
	s_mov_b64 s[0:1], 0
.LBB340_1847:
	s_andn2_b64 vcc, exec, s[0:1]
	s_cbranch_vccnz .LBB340_1849
; %bb.1848:
	v_cndmask_b32_e64 v1, 0, 1, s[10:11]
	global_store_dword v[3:4], v1, off
.LBB340_1849:
	s_mov_b64 s[0:1], 0
.LBB340_1850:
	s_andn2_b64 vcc, exec, s[0:1]
	s_cbranch_vccnz .LBB340_1852
; %bb.1851:
	v_cndmask_b32_e64 v1, 0, 1, s[10:11]
	global_store_short v[3:4], v1, off
.LBB340_1852:
	s_mov_b64 s[0:1], 0
.LBB340_1853:
	s_andn2_b64 vcc, exec, s[0:1]
	s_cbranch_vccnz .LBB340_1858
; %bb.1854:
	s_mov_b64 s[0:1], -1
	s_cmp_gt_i32 s21, 0
	v_cndmask_b32_e64 v1, 0, 1, s[10:11]
	s_cbranch_scc0 .LBB340_1856
; %bb.1855:
	global_store_byte v[3:4], v1, off
	s_mov_b64 s[0:1], 0
.LBB340_1856:
	s_andn2_b64 vcc, exec, s[0:1]
	s_cbranch_vccnz .LBB340_1858
; %bb.1857:
	global_store_byte v[3:4], v1, off
.LBB340_1858:
	s_mov_b64 s[14:15], -1
.LBB340_1859:
	s_andn2_b64 vcc, exec, s[14:15]
	s_cbranch_vccnz .LBB340_2055
; %bb.1860:
	v_cmp_ne_u16_e32 vcc, s5, v9
	s_xor_b64 s[10:11], s[6:7], vcc
	v_mov_b32_e32 v3, s9
	v_add_co_u32_e32 v1, vcc, s8, v2
	s_cmp_lt_i32 s21, 11
	v_addc_co_u32_e32 v2, vcc, 0, v3, vcc
	s_cbranch_scc1 .LBB340_1938
; %bb.1861:
	s_mov_b64 s[16:17], -1
	s_mov_b64 s[12:13], 0
	s_cmp_gt_i32 s21, 25
	s_mov_b64 s[14:15], 0
	s_mov_b64 s[0:1], 0
	s_cbranch_scc0 .LBB340_1894
; %bb.1862:
	s_cmp_gt_i32 s21, 28
	s_cbranch_scc0 .LBB340_1877
; %bb.1863:
	s_cmp_gt_i32 s21, 43
	;; [unrolled: 3-line block ×3, first 2 shown]
	s_cbranch_scc0 .LBB340_1867
; %bb.1865:
	s_mov_b64 s[0:1], -1
	s_mov_b64 s[16:17], 0
	s_cmp_eq_u32 s21, 46
	s_cbranch_scc0 .LBB340_1867
; %bb.1866:
	v_cndmask_b32_e64 v3, 0, 1.0, s[10:11]
	v_bfe_u32 v4, v3, 16, 1
	s_movk_i32 s0, 0x7fff
	v_add3_u32 v3, v3, v4, s0
	v_lshrrev_b32_e32 v3, 16, v3
	global_store_dword v[1:2], v3, off
	s_mov_b64 s[0:1], 0
	s_mov_b64 s[14:15], -1
.LBB340_1867:
	s_and_b64 vcc, exec, s[16:17]
	s_cbranch_vccz .LBB340_1872
; %bb.1868:
	s_cmp_eq_u32 s21, 44
	s_mov_b64 s[0:1], -1
	s_cbranch_scc0 .LBB340_1872
; %bb.1869:
	v_cndmask_b32_e64 v4, 0, 1.0, s[10:11]
	v_lshrrev_b32_e32 v3, 23, v4
	s_movk_i32 s0, 0xff
	v_cmp_ne_u32_e32 vcc, s0, v3
	v_mov_b32_e32 v5, 0xff
	s_and_saveexec_b64 s[14:15], vcc
; %bb.1870:
	s_mov_b32 s0, 0x3fffff
	v_and_b32_e32 v5, 0x400000, v4
	v_and_or_b32 v4, v4, s0, v3
	v_cmp_ne_u32_e32 vcc, 0, v5
	v_cmp_ne_u32_e64 s[0:1], 0, v4
	s_and_b64 s[0:1], vcc, s[0:1]
	v_cndmask_b32_e64 v4, 0, 1, s[0:1]
	v_add_u32_e32 v5, v3, v4
; %bb.1871:
	s_or_b64 exec, exec, s[14:15]
	s_mov_b64 s[0:1], 0
	s_mov_b64 s[14:15], -1
	global_store_byte v[1:2], v5, off
.LBB340_1872:
	s_mov_b64 s[16:17], 0
.LBB340_1873:
	s_and_b64 vcc, exec, s[16:17]
	s_cbranch_vccz .LBB340_1876
; %bb.1874:
	s_cmp_eq_u32 s21, 29
	s_mov_b64 s[0:1], -1
	s_cbranch_scc0 .LBB340_1876
; %bb.1875:
	s_mov_b32 s0, 0
	v_cndmask_b32_e64 v3, 0, 1, s[10:11]
	v_mov_b32_e32 v4, s0
	global_store_dwordx2 v[1:2], v[3:4], off
	s_mov_b64 s[0:1], 0
	s_mov_b64 s[14:15], -1
.LBB340_1876:
	s_mov_b64 s[16:17], 0
.LBB340_1877:
	s_and_b64 vcc, exec, s[16:17]
	s_cbranch_vccz .LBB340_1893
; %bb.1878:
	s_cmp_lt_i32 s21, 27
	s_mov_b64 s[14:15], -1
	s_cbranch_scc1 .LBB340_1884
; %bb.1879:
	s_cmp_gt_i32 s21, 27
	s_cbranch_scc0 .LBB340_1881
; %bb.1880:
	v_cndmask_b32_e64 v3, 0, 1, s[10:11]
	s_mov_b64 s[14:15], 0
	global_store_dword v[1:2], v3, off
.LBB340_1881:
	s_andn2_b64 vcc, exec, s[14:15]
	s_cbranch_vccnz .LBB340_1883
; %bb.1882:
	v_cndmask_b32_e64 v3, 0, 1, s[10:11]
	global_store_short v[1:2], v3, off
.LBB340_1883:
	s_mov_b64 s[14:15], 0
.LBB340_1884:
	s_andn2_b64 vcc, exec, s[14:15]
	s_cbranch_vccnz .LBB340_1892
; %bb.1885:
	v_cndmask_b32_e64 v4, 0, 1.0, s[10:11]
	s_mov_b32 s4, 0x43800000
	v_cmp_gt_u32_e32 vcc, s4, v4
	v_mov_b32_e32 v5, 0x80
	s_and_saveexec_b64 s[14:15], vcc
	s_cbranch_execz .LBB340_1891
; %bb.1886:
	s_mov_b32 s4, 0x3bffffff
	v_cmp_lt_u32_e32 vcc, s4, v4
	s_mov_b64 s[16:17], 0
                                        ; implicit-def: $vgpr3
	s_and_saveexec_b64 s[18:19], vcc
	s_xor_b64 s[18:19], exec, s[18:19]
	s_cbranch_execz .LBB340_2112
; %bb.1887:
	v_bfe_u32 v3, v4, 20, 1
	s_mov_b32 s4, 0x487ffff
	v_add3_u32 v3, v4, v3, s4
	s_mov_b64 s[16:17], exec
	v_lshrrev_b32_e32 v3, 20, v3
                                        ; implicit-def: $vgpr4
	s_andn2_saveexec_b64 s[18:19], s[18:19]
	s_cbranch_execnz .LBB340_2113
.LBB340_1888:
	s_or_b64 exec, exec, s[18:19]
	v_mov_b32_e32 v5, 0
	s_and_saveexec_b64 s[18:19], s[16:17]
.LBB340_1889:
	v_mov_b32_e32 v5, v3
.LBB340_1890:
	s_or_b64 exec, exec, s[18:19]
.LBB340_1891:
	s_or_b64 exec, exec, s[14:15]
	global_store_byte v[1:2], v5, off
.LBB340_1892:
	s_mov_b64 s[14:15], -1
.LBB340_1893:
	s_mov_b64 s[16:17], 0
.LBB340_1894:
	s_and_b64 vcc, exec, s[16:17]
	s_cbranch_vccz .LBB340_1934
; %bb.1895:
	s_cmp_gt_i32 s21, 22
	s_mov_b64 s[12:13], -1
	s_cbranch_scc0 .LBB340_1927
; %bb.1896:
	s_cmp_lt_i32 s21, 24
	s_cbranch_scc1 .LBB340_1916
; %bb.1897:
	s_cmp_gt_i32 s21, 24
	s_cbranch_scc0 .LBB340_1905
; %bb.1898:
	v_cndmask_b32_e64 v4, 0, 1.0, s[10:11]
	s_mov_b32 s4, 0x47800000
	v_cmp_gt_u32_e32 vcc, s4, v4
	v_mov_b32_e32 v5, 0x80
	s_and_saveexec_b64 s[12:13], vcc
	s_cbranch_execz .LBB340_1904
; %bb.1899:
	s_mov_b32 s4, 0x37ffffff
	v_cmp_lt_u32_e32 vcc, s4, v4
	s_mov_b64 s[14:15], 0
                                        ; implicit-def: $vgpr3
	s_and_saveexec_b64 s[16:17], vcc
	s_xor_b64 s[16:17], exec, s[16:17]
	s_cbranch_execz .LBB340_2115
; %bb.1900:
	v_bfe_u32 v3, v4, 21, 1
	s_mov_b32 s4, 0x88fffff
	v_add3_u32 v3, v4, v3, s4
	s_mov_b64 s[14:15], exec
	v_lshrrev_b32_e32 v3, 21, v3
                                        ; implicit-def: $vgpr4
	s_andn2_saveexec_b64 s[16:17], s[16:17]
	s_cbranch_execnz .LBB340_2116
.LBB340_1901:
	s_or_b64 exec, exec, s[16:17]
	v_mov_b32_e32 v5, 0
	s_and_saveexec_b64 s[16:17], s[14:15]
.LBB340_1902:
	v_mov_b32_e32 v5, v3
.LBB340_1903:
	s_or_b64 exec, exec, s[16:17]
.LBB340_1904:
	s_or_b64 exec, exec, s[12:13]
	s_mov_b64 s[12:13], 0
	global_store_byte v[1:2], v5, off
.LBB340_1905:
	s_and_b64 vcc, exec, s[12:13]
	s_cbranch_vccz .LBB340_1915
; %bb.1906:
	v_cndmask_b32_e64 v3, 0, 1.0, s[10:11]
	s_mov_b32 s4, 0x43f00000
	v_cmp_gt_u32_e32 vcc, s4, v3
                                        ; implicit-def: $vgpr4
	s_and_saveexec_b64 s[12:13], vcc
	s_xor_b64 s[12:13], exec, s[12:13]
	s_cbranch_execz .LBB340_1912
; %bb.1907:
	s_mov_b32 s4, 0x3c7fffff
	v_cmp_lt_u32_e32 vcc, s4, v3
                                        ; implicit-def: $vgpr4
	s_and_saveexec_b64 s[14:15], vcc
	s_xor_b64 s[14:15], exec, s[14:15]
; %bb.1908:
	v_bfe_u32 v4, v3, 20, 1
	s_mov_b32 s4, 0x407ffff
	v_add3_u32 v3, v3, v4, s4
	v_lshrrev_b32_e32 v4, 20, v3
	v_and_b32_e32 v3, 0xff00000, v3
	s_mov_b32 s4, 0x7f00000
	v_mov_b32_e32 v5, 0x7e
	v_cmp_ne_u32_e32 vcc, s4, v3
	v_cndmask_b32_e32 v4, v5, v4, vcc
                                        ; implicit-def: $vgpr3
; %bb.1909:
	s_andn2_saveexec_b64 s[14:15], s[14:15]
; %bb.1910:
	v_add_f32_e32 v4, 0x46800000, v3
; %bb.1911:
	s_or_b64 exec, exec, s[14:15]
                                        ; implicit-def: $vgpr3
.LBB340_1912:
	s_andn2_saveexec_b64 s[12:13], s[12:13]
; %bb.1913:
	s_mov_b32 s4, 0x7f800000
	v_mov_b32_e32 v4, 0x7e
	v_mov_b32_e32 v5, 0x7f
	v_cmp_lt_u32_e32 vcc, s4, v3
	v_cndmask_b32_e32 v4, v4, v5, vcc
; %bb.1914:
	s_or_b64 exec, exec, s[12:13]
	global_store_byte v[1:2], v4, off
.LBB340_1915:
	s_mov_b64 s[12:13], 0
.LBB340_1916:
	s_andn2_b64 vcc, exec, s[12:13]
	s_cbranch_vccnz .LBB340_1926
; %bb.1917:
	v_cndmask_b32_e64 v3, 0, 1.0, s[10:11]
	s_mov_b32 s4, 0x47800000
	v_cmp_gt_u32_e32 vcc, s4, v3
                                        ; implicit-def: $vgpr4
	s_and_saveexec_b64 s[12:13], vcc
	s_xor_b64 s[12:13], exec, s[12:13]
	s_cbranch_execz .LBB340_1923
; %bb.1918:
	s_mov_b32 s4, 0x387fffff
	v_cmp_lt_u32_e32 vcc, s4, v3
                                        ; implicit-def: $vgpr4
	s_and_saveexec_b64 s[14:15], vcc
	s_xor_b64 s[14:15], exec, s[14:15]
; %bb.1919:
	v_bfe_u32 v4, v3, 21, 1
	s_mov_b32 s4, 0x80fffff
	v_add3_u32 v3, v3, v4, s4
	v_lshrrev_b32_e32 v4, 21, v3
                                        ; implicit-def: $vgpr3
; %bb.1920:
	s_andn2_saveexec_b64 s[14:15], s[14:15]
; %bb.1921:
	v_add_f32_e32 v4, 0x43000000, v3
; %bb.1922:
	s_or_b64 exec, exec, s[14:15]
                                        ; implicit-def: $vgpr3
.LBB340_1923:
	s_andn2_saveexec_b64 s[12:13], s[12:13]
; %bb.1924:
	s_mov_b32 s4, 0x7f800000
	v_mov_b32_e32 v4, 0x7c
	v_mov_b32_e32 v5, 0x7f
	v_cmp_lt_u32_e32 vcc, s4, v3
	v_cndmask_b32_e32 v4, v4, v5, vcc
; %bb.1925:
	s_or_b64 exec, exec, s[12:13]
	global_store_byte v[1:2], v4, off
.LBB340_1926:
	s_mov_b64 s[12:13], 0
	s_mov_b64 s[14:15], -1
.LBB340_1927:
	s_andn2_b64 vcc, exec, s[12:13]
	s_mov_b64 s[12:13], 0
	s_cbranch_vccnz .LBB340_1934
; %bb.1928:
	s_cmp_gt_i32 s21, 14
	s_mov_b64 s[16:17], -1
	s_cbranch_scc0 .LBB340_1932
; %bb.1929:
	s_cmp_eq_u32 s21, 15
	s_mov_b64 s[0:1], -1
	s_cbranch_scc0 .LBB340_1931
; %bb.1930:
	v_cndmask_b32_e64 v3, 0, 1.0, s[10:11]
	v_bfe_u32 v4, v3, 16, 1
	s_movk_i32 s0, 0x7fff
	v_add3_u32 v3, v3, v4, s0
	global_store_short_d16_hi v[1:2], v3, off
	s_mov_b64 s[0:1], 0
	s_mov_b64 s[14:15], -1
.LBB340_1931:
	s_mov_b64 s[16:17], 0
.LBB340_1932:
	s_and_b64 vcc, exec, s[16:17]
	s_cbranch_vccz .LBB340_1934
; %bb.1933:
	s_cmp_lg_u32 s21, 11
	s_mov_b64 s[12:13], -1
	s_cselect_b64 s[0:1], -1, 0
.LBB340_1934:
	s_and_b64 vcc, exec, s[0:1]
	s_cbranch_vccnz .LBB340_2114
; %bb.1935:
	s_andn2_b64 vcc, exec, s[12:13]
	s_cbranch_vccnz .LBB340_1937
.LBB340_1936:
	v_cndmask_b32_e64 v3, 0, 1, s[10:11]
	s_mov_b64 s[14:15], -1
	global_store_byte v[1:2], v3, off
.LBB340_1937:
	s_mov_b64 s[0:1], 0
	s_branch .LBB340_1939
.LBB340_1938:
	s_mov_b64 s[0:1], -1
	s_mov_b64 s[14:15], 0
.LBB340_1939:
	s_and_b64 vcc, exec, s[0:1]
	s_cbranch_vccz .LBB340_1978
; %bb.1940:
	s_cmp_lt_i32 s21, 5
	s_mov_b64 s[0:1], -1
	s_cbranch_scc1 .LBB340_1961
; %bb.1941:
	s_cmp_lt_i32 s21, 8
	s_cbranch_scc1 .LBB340_1951
; %bb.1942:
	s_cmp_lt_i32 s21, 9
	s_cbranch_scc1 .LBB340_1948
; %bb.1943:
	s_cmp_gt_i32 s21, 9
	s_cbranch_scc0 .LBB340_1945
; %bb.1944:
	v_cndmask_b32_e64 v3, 0, 1, s[10:11]
	v_cvt_f64_u32_e32 v[3:4], v3
	v_mov_b32_e32 v5, 0
	v_mov_b32_e32 v6, v5
	s_mov_b64 s[0:1], 0
	global_store_dwordx4 v[1:2], v[3:6], off
.LBB340_1945:
	s_andn2_b64 vcc, exec, s[0:1]
	s_cbranch_vccnz .LBB340_1947
; %bb.1946:
	v_cndmask_b32_e64 v3, 0, 1.0, s[10:11]
	v_mov_b32_e32 v4, 0
	global_store_dwordx2 v[1:2], v[3:4], off
.LBB340_1947:
	s_mov_b64 s[0:1], 0
.LBB340_1948:
	s_andn2_b64 vcc, exec, s[0:1]
	s_cbranch_vccnz .LBB340_1950
; %bb.1949:
	v_cndmask_b32_e64 v3, 0, 1.0, s[10:11]
	v_cvt_f16_f32_e32 v3, v3
	global_store_dword v[1:2], v3, off
.LBB340_1950:
	s_mov_b64 s[0:1], 0
.LBB340_1951:
	s_andn2_b64 vcc, exec, s[0:1]
	s_cbranch_vccnz .LBB340_1960
; %bb.1952:
	s_cmp_lt_i32 s21, 6
	s_mov_b64 s[0:1], -1
	s_cbranch_scc1 .LBB340_1958
; %bb.1953:
	s_cmp_gt_i32 s21, 6
	s_cbranch_scc0 .LBB340_1955
; %bb.1954:
	v_cndmask_b32_e64 v3, 0, 1, s[10:11]
	v_cvt_f64_u32_e32 v[3:4], v3
	s_mov_b64 s[0:1], 0
	global_store_dwordx2 v[1:2], v[3:4], off
.LBB340_1955:
	s_andn2_b64 vcc, exec, s[0:1]
	s_cbranch_vccnz .LBB340_1957
; %bb.1956:
	v_cndmask_b32_e64 v3, 0, 1.0, s[10:11]
	global_store_dword v[1:2], v3, off
.LBB340_1957:
	s_mov_b64 s[0:1], 0
.LBB340_1958:
	s_andn2_b64 vcc, exec, s[0:1]
	s_cbranch_vccnz .LBB340_1960
; %bb.1959:
	v_cndmask_b32_e64 v3, 0, 1.0, s[10:11]
	v_cvt_f16_f32_e32 v3, v3
	global_store_short v[1:2], v3, off
.LBB340_1960:
	s_mov_b64 s[0:1], 0
.LBB340_1961:
	s_andn2_b64 vcc, exec, s[0:1]
	s_cbranch_vccnz .LBB340_1977
; %bb.1962:
	s_cmp_lt_i32 s21, 2
	s_mov_b64 s[0:1], -1
	s_cbranch_scc1 .LBB340_1972
; %bb.1963:
	s_cmp_lt_i32 s21, 3
	s_cbranch_scc1 .LBB340_1969
; %bb.1964:
	s_cmp_gt_i32 s21, 3
	s_cbranch_scc0 .LBB340_1966
; %bb.1965:
	s_mov_b32 s0, 0
	v_cndmask_b32_e64 v3, 0, 1, s[10:11]
	v_mov_b32_e32 v4, s0
	global_store_dwordx2 v[1:2], v[3:4], off
	s_mov_b64 s[0:1], 0
.LBB340_1966:
	s_andn2_b64 vcc, exec, s[0:1]
	s_cbranch_vccnz .LBB340_1968
; %bb.1967:
	v_cndmask_b32_e64 v3, 0, 1, s[10:11]
	global_store_dword v[1:2], v3, off
.LBB340_1968:
	s_mov_b64 s[0:1], 0
.LBB340_1969:
	s_andn2_b64 vcc, exec, s[0:1]
	s_cbranch_vccnz .LBB340_1971
; %bb.1970:
	v_cndmask_b32_e64 v3, 0, 1, s[10:11]
	global_store_short v[1:2], v3, off
.LBB340_1971:
	s_mov_b64 s[0:1], 0
.LBB340_1972:
	s_andn2_b64 vcc, exec, s[0:1]
	s_cbranch_vccnz .LBB340_1977
; %bb.1973:
	s_cmp_gt_i32 s21, 0
	s_mov_b64 s[0:1], -1
	s_cbranch_scc0 .LBB340_1975
; %bb.1974:
	v_cndmask_b32_e64 v3, 0, 1, s[10:11]
	global_store_byte v[1:2], v3, off
	s_mov_b64 s[0:1], 0
.LBB340_1975:
	s_andn2_b64 vcc, exec, s[0:1]
	s_cbranch_vccnz .LBB340_1977
; %bb.1976:
	v_cndmask_b32_e64 v3, 0, 1, s[10:11]
	global_store_byte v[1:2], v3, off
.LBB340_1977:
	s_mov_b64 s[14:15], -1
.LBB340_1978:
	s_andn2_b64 vcc, exec, s[14:15]
	s_cbranch_vccnz .LBB340_2055
; %bb.1979:
	v_cmp_ne_u16_e32 vcc, s5, v7
	s_xor_b64 s[10:11], s[6:7], vcc
	v_mov_b32_e32 v1, s9
	v_add_co_u32_e32 v0, vcc, s8, v0
	s_cmp_lt_i32 s21, 11
	v_addc_co_u32_e32 v1, vcc, 0, v1, vcc
	s_cbranch_scc1 .LBB340_2100
; %bb.1980:
	s_mov_b64 s[6:7], -1
	s_mov_b64 s[4:5], 0
	s_cmp_gt_i32 s21, 25
	s_mov_b64 s[0:1], 0
	s_cbranch_scc0 .LBB340_2013
; %bb.1981:
	s_cmp_gt_i32 s21, 28
	s_cbranch_scc0 .LBB340_1997
; %bb.1982:
	s_cmp_gt_i32 s21, 43
	s_cbranch_scc0 .LBB340_1993
; %bb.1983:
	s_cmp_gt_i32 s21, 45
	s_cbranch_scc0 .LBB340_1987
; %bb.1984:
	s_cmp_eq_u32 s21, 46
	s_mov_b64 s[0:1], -1
	s_cbranch_scc0 .LBB340_1986
; %bb.1985:
	v_cndmask_b32_e64 v2, 0, 1.0, s[10:11]
	v_bfe_u32 v3, v2, 16, 1
	s_movk_i32 s0, 0x7fff
	v_add3_u32 v2, v2, v3, s0
	v_lshrrev_b32_e32 v2, 16, v2
	global_store_dword v[0:1], v2, off
	s_mov_b64 s[0:1], 0
.LBB340_1986:
	s_mov_b64 s[6:7], 0
.LBB340_1987:
	s_and_b64 vcc, exec, s[6:7]
	s_cbranch_vccz .LBB340_1992
; %bb.1988:
	s_cmp_eq_u32 s21, 44
	s_mov_b64 s[0:1], -1
	s_cbranch_scc0 .LBB340_1992
; %bb.1989:
	v_cndmask_b32_e64 v3, 0, 1.0, s[10:11]
	v_lshrrev_b32_e32 v2, 23, v3
	s_movk_i32 s0, 0xff
	v_cmp_ne_u32_e32 vcc, s0, v2
	v_mov_b32_e32 v4, 0xff
	s_and_saveexec_b64 s[6:7], vcc
; %bb.1990:
	s_mov_b32 s0, 0x3fffff
	v_and_b32_e32 v4, 0x400000, v3
	v_and_or_b32 v3, v3, s0, v2
	v_cmp_ne_u32_e32 vcc, 0, v4
	v_cmp_ne_u32_e64 s[0:1], 0, v3
	s_and_b64 s[0:1], vcc, s[0:1]
	v_cndmask_b32_e64 v3, 0, 1, s[0:1]
	v_add_u32_e32 v4, v2, v3
; %bb.1991:
	s_or_b64 exec, exec, s[6:7]
	s_mov_b64 s[0:1], 0
	global_store_byte v[0:1], v4, off
.LBB340_1992:
	s_mov_b64 s[6:7], 0
.LBB340_1993:
	s_and_b64 vcc, exec, s[6:7]
	s_cbranch_vccz .LBB340_1996
; %bb.1994:
	s_cmp_eq_u32 s21, 29
	s_mov_b64 s[0:1], -1
	s_cbranch_scc0 .LBB340_1996
; %bb.1995:
	s_mov_b32 s0, 0
	v_cndmask_b32_e64 v2, 0, 1, s[10:11]
	v_mov_b32_e32 v3, s0
	global_store_dwordx2 v[0:1], v[2:3], off
	s_mov_b64 s[0:1], 0
.LBB340_1996:
	s_mov_b64 s[6:7], 0
.LBB340_1997:
	s_and_b64 vcc, exec, s[6:7]
	s_cbranch_vccz .LBB340_2012
; %bb.1998:
	s_cmp_lt_i32 s21, 27
	s_mov_b64 s[6:7], -1
	s_cbranch_scc1 .LBB340_2004
; %bb.1999:
	s_cmp_gt_i32 s21, 27
	s_cbranch_scc0 .LBB340_2001
; %bb.2000:
	v_cndmask_b32_e64 v2, 0, 1, s[10:11]
	global_store_dword v[0:1], v2, off
	s_mov_b64 s[6:7], 0
.LBB340_2001:
	s_andn2_b64 vcc, exec, s[6:7]
	s_cbranch_vccnz .LBB340_2003
; %bb.2002:
	v_cndmask_b32_e64 v2, 0, 1, s[10:11]
	global_store_short v[0:1], v2, off
.LBB340_2003:
	s_mov_b64 s[6:7], 0
.LBB340_2004:
	s_andn2_b64 vcc, exec, s[6:7]
	s_cbranch_vccnz .LBB340_2012
; %bb.2005:
	v_cndmask_b32_e64 v3, 0, 1.0, s[10:11]
	s_mov_b32 s6, 0x43800000
	v_cmp_gt_u32_e32 vcc, s6, v3
	v_mov_b32_e32 v4, 0x80
	s_and_saveexec_b64 s[6:7], vcc
	s_cbranch_execz .LBB340_2011
; %bb.2006:
	s_mov_b32 s8, 0x3bffffff
	v_cmp_lt_u32_e32 vcc, s8, v3
	s_mov_b64 s[8:9], 0
                                        ; implicit-def: $vgpr2
	s_and_saveexec_b64 s[12:13], vcc
	s_xor_b64 s[12:13], exec, s[12:13]
	s_cbranch_execz .LBB340_2117
; %bb.2007:
	v_bfe_u32 v2, v3, 20, 1
	s_mov_b32 s14, 0x487ffff
	v_add3_u32 v2, v3, v2, s14
	s_mov_b64 s[8:9], exec
	v_lshrrev_b32_e32 v2, 20, v2
                                        ; implicit-def: $vgpr3
	s_andn2_saveexec_b64 s[12:13], s[12:13]
	s_cbranch_execnz .LBB340_2118
.LBB340_2008:
	s_or_b64 exec, exec, s[12:13]
	v_mov_b32_e32 v4, 0
	s_and_saveexec_b64 s[12:13], s[8:9]
.LBB340_2009:
	v_mov_b32_e32 v4, v2
.LBB340_2010:
	s_or_b64 exec, exec, s[12:13]
.LBB340_2011:
	s_or_b64 exec, exec, s[6:7]
	global_store_byte v[0:1], v4, off
.LBB340_2012:
	s_mov_b64 s[6:7], 0
.LBB340_2013:
	s_and_b64 vcc, exec, s[6:7]
	s_cbranch_vccz .LBB340_2053
; %bb.2014:
	s_cmp_gt_i32 s21, 22
	s_mov_b64 s[4:5], -1
	s_cbranch_scc0 .LBB340_2046
; %bb.2015:
	s_cmp_lt_i32 s21, 24
	s_cbranch_scc1 .LBB340_2035
; %bb.2016:
	s_cmp_gt_i32 s21, 24
	s_cbranch_scc0 .LBB340_2024
; %bb.2017:
	v_cndmask_b32_e64 v3, 0, 1.0, s[10:11]
	s_mov_b32 s4, 0x47800000
	v_cmp_gt_u32_e32 vcc, s4, v3
	v_mov_b32_e32 v4, 0x80
	s_and_saveexec_b64 s[4:5], vcc
	s_cbranch_execz .LBB340_2023
; %bb.2018:
	s_mov_b32 s6, 0x37ffffff
	v_cmp_lt_u32_e32 vcc, s6, v3
	s_mov_b64 s[6:7], 0
                                        ; implicit-def: $vgpr2
	s_and_saveexec_b64 s[8:9], vcc
	s_xor_b64 s[8:9], exec, s[8:9]
	s_cbranch_execz .LBB340_2120
; %bb.2019:
	v_bfe_u32 v2, v3, 21, 1
	s_mov_b32 s12, 0x88fffff
	v_add3_u32 v2, v3, v2, s12
	s_mov_b64 s[6:7], exec
	v_lshrrev_b32_e32 v2, 21, v2
                                        ; implicit-def: $vgpr3
	s_andn2_saveexec_b64 s[8:9], s[8:9]
	s_cbranch_execnz .LBB340_2121
.LBB340_2020:
	s_or_b64 exec, exec, s[8:9]
	v_mov_b32_e32 v4, 0
	s_and_saveexec_b64 s[8:9], s[6:7]
.LBB340_2021:
	v_mov_b32_e32 v4, v2
.LBB340_2022:
	s_or_b64 exec, exec, s[8:9]
.LBB340_2023:
	s_or_b64 exec, exec, s[4:5]
	s_mov_b64 s[4:5], 0
	global_store_byte v[0:1], v4, off
.LBB340_2024:
	s_and_b64 vcc, exec, s[4:5]
	s_cbranch_vccz .LBB340_2034
; %bb.2025:
	v_cndmask_b32_e64 v2, 0, 1.0, s[10:11]
	s_mov_b32 s4, 0x43f00000
	v_cmp_gt_u32_e32 vcc, s4, v2
                                        ; implicit-def: $vgpr3
	s_and_saveexec_b64 s[4:5], vcc
	s_xor_b64 s[4:5], exec, s[4:5]
	s_cbranch_execz .LBB340_2031
; %bb.2026:
	s_mov_b32 s6, 0x3c7fffff
	v_cmp_lt_u32_e32 vcc, s6, v2
                                        ; implicit-def: $vgpr3
	s_and_saveexec_b64 s[6:7], vcc
	s_xor_b64 s[6:7], exec, s[6:7]
; %bb.2027:
	v_bfe_u32 v3, v2, 20, 1
	s_mov_b32 s8, 0x407ffff
	v_add3_u32 v2, v2, v3, s8
	v_lshrrev_b32_e32 v3, 20, v2
	v_and_b32_e32 v2, 0xff00000, v2
	s_mov_b32 s8, 0x7f00000
	v_mov_b32_e32 v4, 0x7e
	v_cmp_ne_u32_e32 vcc, s8, v2
	v_cndmask_b32_e32 v3, v4, v3, vcc
                                        ; implicit-def: $vgpr2
; %bb.2028:
	s_andn2_saveexec_b64 s[6:7], s[6:7]
; %bb.2029:
	v_add_f32_e32 v3, 0x46800000, v2
; %bb.2030:
	s_or_b64 exec, exec, s[6:7]
                                        ; implicit-def: $vgpr2
.LBB340_2031:
	s_andn2_saveexec_b64 s[4:5], s[4:5]
; %bb.2032:
	s_mov_b32 s6, 0x7f800000
	v_mov_b32_e32 v3, 0x7e
	v_mov_b32_e32 v4, 0x7f
	v_cmp_lt_u32_e32 vcc, s6, v2
	v_cndmask_b32_e32 v3, v3, v4, vcc
; %bb.2033:
	s_or_b64 exec, exec, s[4:5]
	global_store_byte v[0:1], v3, off
.LBB340_2034:
	s_mov_b64 s[4:5], 0
.LBB340_2035:
	s_andn2_b64 vcc, exec, s[4:5]
	s_cbranch_vccnz .LBB340_2045
; %bb.2036:
	v_cndmask_b32_e64 v2, 0, 1.0, s[10:11]
	s_mov_b32 s4, 0x47800000
	v_cmp_gt_u32_e32 vcc, s4, v2
                                        ; implicit-def: $vgpr3
	s_and_saveexec_b64 s[4:5], vcc
	s_xor_b64 s[4:5], exec, s[4:5]
	s_cbranch_execz .LBB340_2042
; %bb.2037:
	s_mov_b32 s6, 0x387fffff
	v_cmp_lt_u32_e32 vcc, s6, v2
                                        ; implicit-def: $vgpr3
	s_and_saveexec_b64 s[6:7], vcc
	s_xor_b64 s[6:7], exec, s[6:7]
; %bb.2038:
	v_bfe_u32 v3, v2, 21, 1
	s_mov_b32 s8, 0x80fffff
	v_add3_u32 v2, v2, v3, s8
	v_lshrrev_b32_e32 v3, 21, v2
                                        ; implicit-def: $vgpr2
; %bb.2039:
	s_andn2_saveexec_b64 s[6:7], s[6:7]
; %bb.2040:
	v_add_f32_e32 v3, 0x43000000, v2
; %bb.2041:
	s_or_b64 exec, exec, s[6:7]
                                        ; implicit-def: $vgpr2
.LBB340_2042:
	s_andn2_saveexec_b64 s[4:5], s[4:5]
; %bb.2043:
	s_mov_b32 s6, 0x7f800000
	v_mov_b32_e32 v3, 0x7c
	v_mov_b32_e32 v4, 0x7f
	v_cmp_lt_u32_e32 vcc, s6, v2
	v_cndmask_b32_e32 v3, v3, v4, vcc
; %bb.2044:
	s_or_b64 exec, exec, s[4:5]
	global_store_byte v[0:1], v3, off
.LBB340_2045:
	s_mov_b64 s[4:5], 0
.LBB340_2046:
	s_andn2_b64 vcc, exec, s[4:5]
	s_mov_b64 s[4:5], 0
	s_cbranch_vccnz .LBB340_2053
; %bb.2047:
	s_cmp_gt_i32 s21, 14
	s_mov_b64 s[6:7], -1
	s_cbranch_scc0 .LBB340_2051
; %bb.2048:
	s_cmp_eq_u32 s21, 15
	s_mov_b64 s[0:1], -1
	s_cbranch_scc0 .LBB340_2050
; %bb.2049:
	v_cndmask_b32_e64 v2, 0, 1.0, s[10:11]
	v_bfe_u32 v3, v2, 16, 1
	s_movk_i32 s0, 0x7fff
	v_add3_u32 v2, v2, v3, s0
	global_store_short_d16_hi v[0:1], v2, off
	s_mov_b64 s[0:1], 0
.LBB340_2050:
	s_mov_b64 s[6:7], 0
.LBB340_2051:
	s_and_b64 vcc, exec, s[6:7]
	s_cbranch_vccz .LBB340_2053
; %bb.2052:
	s_cmp_lg_u32 s21, 11
	s_mov_b64 s[4:5], -1
	s_cselect_b64 s[0:1], -1, 0
.LBB340_2053:
	s_and_b64 vcc, exec, s[0:1]
	s_cbranch_vccnz .LBB340_2119
.LBB340_2054:
	s_mov_b64 s[0:1], 0
	s_branch .LBB340_2056
.LBB340_2055:
	s_mov_b64 s[0:1], 0
	s_mov_b64 s[4:5], 0
                                        ; implicit-def: $sgpr10_sgpr11
                                        ; implicit-def: $vgpr0_vgpr1
                                        ; implicit-def: $sgpr20
.LBB340_2056:
	s_and_b64 s[6:7], s[4:5], exec
	s_andn2_b64 s[4:5], s[28:29], exec
	s_and_b64 s[2:3], s[2:3], exec
	s_and_b64 s[0:1], s[0:1], exec
	s_or_b64 s[28:29], s[4:5], s[2:3]
.LBB340_2057:
	s_or_b64 exec, exec, s[30:31]
	s_and_saveexec_b64 s[2:3], s[28:29]
	s_cbranch_execz .LBB340_2060
; %bb.2058:
	; divergent unreachable
	s_or_b64 exec, exec, s[2:3]
	s_and_saveexec_b64 s[2:3], s[6:7]
	s_xor_b64 s[2:3], exec, s[2:3]
	s_cbranch_execnz .LBB340_2061
.LBB340_2059:
	s_or_b64 exec, exec, s[2:3]
	s_and_saveexec_b64 s[2:3], s[0:1]
	s_cbranch_execnz .LBB340_2062
	s_branch .LBB340_2099
.LBB340_2060:
	s_or_b64 exec, exec, s[2:3]
	s_and_saveexec_b64 s[2:3], s[6:7]
	s_xor_b64 s[2:3], exec, s[2:3]
	s_cbranch_execz .LBB340_2059
.LBB340_2061:
	v_cndmask_b32_e64 v2, 0, 1, s[10:11]
	global_store_byte v[0:1], v2, off
	s_or_b64 exec, exec, s[2:3]
	s_and_saveexec_b64 s[2:3], s[0:1]
	s_cbranch_execz .LBB340_2099
.LBB340_2062:
	s_sext_i32_i16 s2, s20
	s_cmp_lt_i32 s2, 5
	s_mov_b64 s[0:1], -1
	s_cbranch_scc1 .LBB340_2083
; %bb.2063:
	s_cmp_lt_i32 s2, 8
	s_cbranch_scc1 .LBB340_2073
; %bb.2064:
	s_cmp_lt_i32 s2, 9
	s_cbranch_scc1 .LBB340_2070
; %bb.2065:
	s_cmp_gt_i32 s2, 9
	s_cbranch_scc0 .LBB340_2067
; %bb.2066:
	v_cndmask_b32_e64 v2, 0, 1, s[10:11]
	s_waitcnt vmcnt(0)
	v_cvt_f64_u32_e32 v[2:3], v2
	v_mov_b32_e32 v4, 0
	v_mov_b32_e32 v5, v4
	s_mov_b64 s[0:1], 0
	global_store_dwordx4 v[0:1], v[2:5], off
.LBB340_2067:
	s_andn2_b64 vcc, exec, s[0:1]
	s_cbranch_vccnz .LBB340_2069
; %bb.2068:
	v_cndmask_b32_e64 v2, 0, 1.0, s[10:11]
	s_waitcnt vmcnt(0)
	v_mov_b32_e32 v3, 0
	global_store_dwordx2 v[0:1], v[2:3], off
.LBB340_2069:
	s_mov_b64 s[0:1], 0
.LBB340_2070:
	s_andn2_b64 vcc, exec, s[0:1]
	s_cbranch_vccnz .LBB340_2072
; %bb.2071:
	v_cndmask_b32_e64 v2, 0, 1.0, s[10:11]
	v_cvt_f16_f32_e32 v2, v2
	global_store_dword v[0:1], v2, off
.LBB340_2072:
	s_mov_b64 s[0:1], 0
.LBB340_2073:
	s_andn2_b64 vcc, exec, s[0:1]
	s_cbranch_vccnz .LBB340_2082
; %bb.2074:
	s_sext_i32_i16 s2, s20
	s_cmp_lt_i32 s2, 6
	s_mov_b64 s[0:1], -1
	s_cbranch_scc1 .LBB340_2080
; %bb.2075:
	s_cmp_gt_i32 s2, 6
	s_cbranch_scc0 .LBB340_2077
; %bb.2076:
	v_cndmask_b32_e64 v2, 0, 1, s[10:11]
	s_waitcnt vmcnt(0)
	v_cvt_f64_u32_e32 v[2:3], v2
	s_mov_b64 s[0:1], 0
	global_store_dwordx2 v[0:1], v[2:3], off
.LBB340_2077:
	s_andn2_b64 vcc, exec, s[0:1]
	s_cbranch_vccnz .LBB340_2079
; %bb.2078:
	v_cndmask_b32_e64 v2, 0, 1.0, s[10:11]
	global_store_dword v[0:1], v2, off
.LBB340_2079:
	s_mov_b64 s[0:1], 0
.LBB340_2080:
	s_andn2_b64 vcc, exec, s[0:1]
	s_cbranch_vccnz .LBB340_2082
; %bb.2081:
	v_cndmask_b32_e64 v2, 0, 1.0, s[10:11]
	v_cvt_f16_f32_e32 v2, v2
	global_store_short v[0:1], v2, off
.LBB340_2082:
	s_mov_b64 s[0:1], 0
.LBB340_2083:
	s_andn2_b64 vcc, exec, s[0:1]
	s_cbranch_vccnz .LBB340_2099
; %bb.2084:
	s_sext_i32_i16 s2, s20
	s_cmp_lt_i32 s2, 2
	s_mov_b64 s[0:1], -1
	s_cbranch_scc1 .LBB340_2094
; %bb.2085:
	s_cmp_lt_i32 s2, 3
	s_cbranch_scc1 .LBB340_2091
; %bb.2086:
	s_cmp_gt_i32 s2, 3
	s_cbranch_scc0 .LBB340_2088
; %bb.2087:
	s_mov_b32 s0, 0
	v_cndmask_b32_e64 v2, 0, 1, s[10:11]
	s_waitcnt vmcnt(0)
	v_mov_b32_e32 v3, s0
	global_store_dwordx2 v[0:1], v[2:3], off
	s_mov_b64 s[0:1], 0
.LBB340_2088:
	s_andn2_b64 vcc, exec, s[0:1]
	s_cbranch_vccnz .LBB340_2090
; %bb.2089:
	v_cndmask_b32_e64 v2, 0, 1, s[10:11]
	global_store_dword v[0:1], v2, off
.LBB340_2090:
	s_mov_b64 s[0:1], 0
.LBB340_2091:
	s_andn2_b64 vcc, exec, s[0:1]
	s_cbranch_vccnz .LBB340_2093
; %bb.2092:
	v_cndmask_b32_e64 v2, 0, 1, s[10:11]
	global_store_short v[0:1], v2, off
.LBB340_2093:
	s_mov_b64 s[0:1], 0
.LBB340_2094:
	s_andn2_b64 vcc, exec, s[0:1]
	s_cbranch_vccnz .LBB340_2099
; %bb.2095:
	s_sext_i32_i16 s0, s20
	s_cmp_gt_i32 s0, 0
	s_mov_b64 s[0:1], -1
	s_cbranch_scc0 .LBB340_2097
; %bb.2096:
	v_cndmask_b32_e64 v2, 0, 1, s[10:11]
	global_store_byte v[0:1], v2, off
	s_mov_b64 s[0:1], 0
.LBB340_2097:
	s_andn2_b64 vcc, exec, s[0:1]
	s_cbranch_vccnz .LBB340_2099
; %bb.2098:
	v_cndmask_b32_e64 v2, 0, 1, s[10:11]
	global_store_byte v[0:1], v2, off
	s_endpgm
.LBB340_2099:
	s_endpgm
.LBB340_2100:
	s_mov_b64 s[4:5], 0
	s_mov_b64 s[0:1], -1
	s_branch .LBB340_2056
.LBB340_2101:
	s_trap 2
	s_or_b64 s[2:3], s[2:3], exec
	s_cbranch_execz .LBB340_1570
	s_branch .LBB340_1571
.LBB340_2102:
	s_andn2_saveexec_b64 s[18:19], s[18:19]
	s_cbranch_execz .LBB340_1650
.LBB340_2103:
	v_add_f32_e32 v1, 0x46000000, v3
	v_and_b32_e32 v1, 0xff, v1
	v_cmp_ne_u32_e32 vcc, 0, v1
	s_andn2_b64 s[16:17], s[16:17], exec
	s_and_b64 s[22:23], vcc, exec
	s_or_b64 s[16:17], s[16:17], s[22:23]
	s_or_b64 exec, exec, s[18:19]
	v_mov_b32_e32 v8, 0
	s_and_saveexec_b64 s[18:19], s[16:17]
	s_cbranch_execnz .LBB340_1651
	s_branch .LBB340_1652
.LBB340_2104:
	s_trap 2
	s_or_b64 s[2:3], s[2:3], exec
	s_cbranch_execz .LBB340_1698
	s_branch .LBB340_1699
.LBB340_2105:
	s_andn2_saveexec_b64 s[16:17], s[16:17]
	s_cbranch_execz .LBB340_1663
.LBB340_2106:
	v_add_f32_e32 v1, 0x42800000, v3
	v_and_b32_e32 v1, 0xff, v1
	v_cmp_ne_u32_e32 vcc, 0, v1
	s_andn2_b64 s[14:15], s[14:15], exec
	s_and_b64 s[18:19], vcc, exec
	s_or_b64 s[14:15], s[14:15], s[18:19]
	s_or_b64 exec, exec, s[16:17]
	v_mov_b32_e32 v8, 0
	s_and_saveexec_b64 s[16:17], s[14:15]
	s_cbranch_execnz .LBB340_1664
	s_branch .LBB340_1665
.LBB340_2107:
	s_andn2_saveexec_b64 s[18:19], s[18:19]
	s_cbranch_execz .LBB340_1769
.LBB340_2108:
	v_add_f32_e32 v1, 0x46000000, v5
	v_and_b32_e32 v1, 0xff, v1
	v_cmp_ne_u32_e32 vcc, 0, v1
	s_andn2_b64 s[16:17], s[16:17], exec
	s_and_b64 s[22:23], vcc, exec
	s_or_b64 s[16:17], s[16:17], s[22:23]
	s_or_b64 exec, exec, s[18:19]
	v_mov_b32_e32 v6, 0
	s_and_saveexec_b64 s[18:19], s[16:17]
	s_cbranch_execnz .LBB340_1770
	s_branch .LBB340_1771
.LBB340_2109:
	s_trap 2
	s_or_b64 s[2:3], s[2:3], exec
	s_cbranch_execz .LBB340_1817
	s_branch .LBB340_1818
.LBB340_2110:
	s_andn2_saveexec_b64 s[16:17], s[16:17]
	s_cbranch_execz .LBB340_1782
.LBB340_2111:
	v_add_f32_e32 v1, 0x42800000, v5
	v_and_b32_e32 v1, 0xff, v1
	v_cmp_ne_u32_e32 vcc, 0, v1
	s_andn2_b64 s[14:15], s[14:15], exec
	s_and_b64 s[18:19], vcc, exec
	s_or_b64 s[14:15], s[14:15], s[18:19]
	s_or_b64 exec, exec, s[16:17]
	v_mov_b32_e32 v6, 0
	s_and_saveexec_b64 s[16:17], s[14:15]
	s_cbranch_execnz .LBB340_1783
	s_branch .LBB340_1784
.LBB340_2112:
	s_andn2_saveexec_b64 s[18:19], s[18:19]
	s_cbranch_execz .LBB340_1888
.LBB340_2113:
	v_add_f32_e32 v3, 0x46000000, v4
	v_and_b32_e32 v3, 0xff, v3
	v_cmp_ne_u32_e32 vcc, 0, v3
	s_andn2_b64 s[16:17], s[16:17], exec
	s_and_b64 s[22:23], vcc, exec
	s_or_b64 s[16:17], s[16:17], s[22:23]
	s_or_b64 exec, exec, s[18:19]
	v_mov_b32_e32 v5, 0
	s_and_saveexec_b64 s[18:19], s[16:17]
	s_cbranch_execnz .LBB340_1889
	s_branch .LBB340_1890
.LBB340_2114:
	s_trap 2
	s_or_b64 s[2:3], s[2:3], exec
	s_cbranch_execz .LBB340_1936
	s_branch .LBB340_1937
.LBB340_2115:
	s_andn2_saveexec_b64 s[16:17], s[16:17]
	s_cbranch_execz .LBB340_1901
.LBB340_2116:
	v_add_f32_e32 v3, 0x42800000, v4
	v_and_b32_e32 v3, 0xff, v3
	v_cmp_ne_u32_e32 vcc, 0, v3
	s_andn2_b64 s[14:15], s[14:15], exec
	s_and_b64 s[18:19], vcc, exec
	s_or_b64 s[14:15], s[14:15], s[18:19]
	s_or_b64 exec, exec, s[16:17]
	v_mov_b32_e32 v5, 0
	s_and_saveexec_b64 s[16:17], s[14:15]
	s_cbranch_execnz .LBB340_1902
	s_branch .LBB340_1903
.LBB340_2117:
	s_andn2_saveexec_b64 s[12:13], s[12:13]
	s_cbranch_execz .LBB340_2008
.LBB340_2118:
	v_add_f32_e32 v2, 0x46000000, v3
	v_and_b32_e32 v2, 0xff, v2
	v_cmp_ne_u32_e32 vcc, 0, v2
	s_andn2_b64 s[8:9], s[8:9], exec
	s_and_b64 s[14:15], vcc, exec
	s_or_b64 s[8:9], s[8:9], s[14:15]
	s_or_b64 exec, exec, s[12:13]
	v_mov_b32_e32 v4, 0
	s_and_saveexec_b64 s[12:13], s[8:9]
	s_cbranch_execnz .LBB340_2009
	s_branch .LBB340_2010
.LBB340_2119:
	s_mov_b64 s[4:5], 0
	s_or_b64 s[2:3], s[2:3], exec
	s_trap 2
	s_branch .LBB340_2054
.LBB340_2120:
	s_andn2_saveexec_b64 s[8:9], s[8:9]
	s_cbranch_execz .LBB340_2020
.LBB340_2121:
	v_add_f32_e32 v2, 0x42800000, v3
	v_and_b32_e32 v2, 0xff, v2
	v_cmp_ne_u32_e32 vcc, 0, v2
	s_andn2_b64 s[6:7], s[6:7], exec
	s_and_b64 s[12:13], vcc, exec
	s_or_b64 s[6:7], s[6:7], s[12:13]
	s_or_b64 exec, exec, s[8:9]
	v_mov_b32_e32 v4, 0
	s_and_saveexec_b64 s[8:9], s[6:7]
	s_cbranch_execnz .LBB340_2021
	s_branch .LBB340_2022
	.section	.rodata,"a",@progbits
	.p2align	6, 0x0
	.amdhsa_kernel _ZN2at6native32elementwise_kernel_manual_unrollILi128ELi4EZNS0_15gpu_kernel_implINS0_13AUnaryFunctorIttbNS0_12_GLOBAL__N_116CompareEqFunctorItEEEEEEvRNS_18TensorIteratorBaseERKT_EUlibE0_EEviT1_
		.amdhsa_group_segment_fixed_size 0
		.amdhsa_private_segment_fixed_size 0
		.amdhsa_kernarg_size 368
		.amdhsa_user_sgpr_count 6
		.amdhsa_user_sgpr_private_segment_buffer 1
		.amdhsa_user_sgpr_dispatch_ptr 0
		.amdhsa_user_sgpr_queue_ptr 0
		.amdhsa_user_sgpr_kernarg_segment_ptr 1
		.amdhsa_user_sgpr_dispatch_id 0
		.amdhsa_user_sgpr_flat_scratch_init 0
		.amdhsa_user_sgpr_private_segment_size 0
		.amdhsa_uses_dynamic_stack 0
		.amdhsa_system_sgpr_private_segment_wavefront_offset 0
		.amdhsa_system_sgpr_workgroup_id_x 1
		.amdhsa_system_sgpr_workgroup_id_y 0
		.amdhsa_system_sgpr_workgroup_id_z 0
		.amdhsa_system_sgpr_workgroup_info 0
		.amdhsa_system_vgpr_workitem_id 0
		.amdhsa_next_free_vgpr 18
		.amdhsa_next_free_sgpr 81
		.amdhsa_reserve_vcc 1
		.amdhsa_reserve_flat_scratch 0
		.amdhsa_float_round_mode_32 0
		.amdhsa_float_round_mode_16_64 0
		.amdhsa_float_denorm_mode_32 3
		.amdhsa_float_denorm_mode_16_64 3
		.amdhsa_dx10_clamp 1
		.amdhsa_ieee_mode 1
		.amdhsa_fp16_overflow 0
		.amdhsa_exception_fp_ieee_invalid_op 0
		.amdhsa_exception_fp_denorm_src 0
		.amdhsa_exception_fp_ieee_div_zero 0
		.amdhsa_exception_fp_ieee_overflow 0
		.amdhsa_exception_fp_ieee_underflow 0
		.amdhsa_exception_fp_ieee_inexact 0
		.amdhsa_exception_int_div_zero 0
	.end_amdhsa_kernel
	.section	.text._ZN2at6native32elementwise_kernel_manual_unrollILi128ELi4EZNS0_15gpu_kernel_implINS0_13AUnaryFunctorIttbNS0_12_GLOBAL__N_116CompareEqFunctorItEEEEEEvRNS_18TensorIteratorBaseERKT_EUlibE0_EEviT1_,"axG",@progbits,_ZN2at6native32elementwise_kernel_manual_unrollILi128ELi4EZNS0_15gpu_kernel_implINS0_13AUnaryFunctorIttbNS0_12_GLOBAL__N_116CompareEqFunctorItEEEEEEvRNS_18TensorIteratorBaseERKT_EUlibE0_EEviT1_,comdat
.Lfunc_end340:
	.size	_ZN2at6native32elementwise_kernel_manual_unrollILi128ELi4EZNS0_15gpu_kernel_implINS0_13AUnaryFunctorIttbNS0_12_GLOBAL__N_116CompareEqFunctorItEEEEEEvRNS_18TensorIteratorBaseERKT_EUlibE0_EEviT1_, .Lfunc_end340-_ZN2at6native32elementwise_kernel_manual_unrollILi128ELi4EZNS0_15gpu_kernel_implINS0_13AUnaryFunctorIttbNS0_12_GLOBAL__N_116CompareEqFunctorItEEEEEEvRNS_18TensorIteratorBaseERKT_EUlibE0_EEviT1_
                                        ; -- End function
	.set _ZN2at6native32elementwise_kernel_manual_unrollILi128ELi4EZNS0_15gpu_kernel_implINS0_13AUnaryFunctorIttbNS0_12_GLOBAL__N_116CompareEqFunctorItEEEEEEvRNS_18TensorIteratorBaseERKT_EUlibE0_EEviT1_.num_vgpr, 18
	.set _ZN2at6native32elementwise_kernel_manual_unrollILi128ELi4EZNS0_15gpu_kernel_implINS0_13AUnaryFunctorIttbNS0_12_GLOBAL__N_116CompareEqFunctorItEEEEEEvRNS_18TensorIteratorBaseERKT_EUlibE0_EEviT1_.num_agpr, 0
	.set _ZN2at6native32elementwise_kernel_manual_unrollILi128ELi4EZNS0_15gpu_kernel_implINS0_13AUnaryFunctorIttbNS0_12_GLOBAL__N_116CompareEqFunctorItEEEEEEvRNS_18TensorIteratorBaseERKT_EUlibE0_EEviT1_.numbered_sgpr, 81
	.set _ZN2at6native32elementwise_kernel_manual_unrollILi128ELi4EZNS0_15gpu_kernel_implINS0_13AUnaryFunctorIttbNS0_12_GLOBAL__N_116CompareEqFunctorItEEEEEEvRNS_18TensorIteratorBaseERKT_EUlibE0_EEviT1_.num_named_barrier, 0
	.set _ZN2at6native32elementwise_kernel_manual_unrollILi128ELi4EZNS0_15gpu_kernel_implINS0_13AUnaryFunctorIttbNS0_12_GLOBAL__N_116CompareEqFunctorItEEEEEEvRNS_18TensorIteratorBaseERKT_EUlibE0_EEviT1_.private_seg_size, 0
	.set _ZN2at6native32elementwise_kernel_manual_unrollILi128ELi4EZNS0_15gpu_kernel_implINS0_13AUnaryFunctorIttbNS0_12_GLOBAL__N_116CompareEqFunctorItEEEEEEvRNS_18TensorIteratorBaseERKT_EUlibE0_EEviT1_.uses_vcc, 1
	.set _ZN2at6native32elementwise_kernel_manual_unrollILi128ELi4EZNS0_15gpu_kernel_implINS0_13AUnaryFunctorIttbNS0_12_GLOBAL__N_116CompareEqFunctorItEEEEEEvRNS_18TensorIteratorBaseERKT_EUlibE0_EEviT1_.uses_flat_scratch, 0
	.set _ZN2at6native32elementwise_kernel_manual_unrollILi128ELi4EZNS0_15gpu_kernel_implINS0_13AUnaryFunctorIttbNS0_12_GLOBAL__N_116CompareEqFunctorItEEEEEEvRNS_18TensorIteratorBaseERKT_EUlibE0_EEviT1_.has_dyn_sized_stack, 0
	.set _ZN2at6native32elementwise_kernel_manual_unrollILi128ELi4EZNS0_15gpu_kernel_implINS0_13AUnaryFunctorIttbNS0_12_GLOBAL__N_116CompareEqFunctorItEEEEEEvRNS_18TensorIteratorBaseERKT_EUlibE0_EEviT1_.has_recursion, 0
	.set _ZN2at6native32elementwise_kernel_manual_unrollILi128ELi4EZNS0_15gpu_kernel_implINS0_13AUnaryFunctorIttbNS0_12_GLOBAL__N_116CompareEqFunctorItEEEEEEvRNS_18TensorIteratorBaseERKT_EUlibE0_EEviT1_.has_indirect_call, 0
	.section	.AMDGPU.csdata,"",@progbits
; Kernel info:
; codeLenInByte = 34528
; TotalNumSgprs: 85
; NumVgprs: 18
; ScratchSize: 0
; MemoryBound: 1
; FloatMode: 240
; IeeeMode: 1
; LDSByteSize: 0 bytes/workgroup (compile time only)
; SGPRBlocks: 10
; VGPRBlocks: 4
; NumSGPRsForWavesPerEU: 85
; NumVGPRsForWavesPerEU: 18
; Occupancy: 9
; WaveLimiterHint : 1
; COMPUTE_PGM_RSRC2:SCRATCH_EN: 0
; COMPUTE_PGM_RSRC2:USER_SGPR: 6
; COMPUTE_PGM_RSRC2:TRAP_HANDLER: 0
; COMPUTE_PGM_RSRC2:TGID_X_EN: 1
; COMPUTE_PGM_RSRC2:TGID_Y_EN: 0
; COMPUTE_PGM_RSRC2:TGID_Z_EN: 0
; COMPUTE_PGM_RSRC2:TIDIG_COMP_CNT: 0
	.section	.text._ZN2at6native29vectorized_elementwise_kernelILi16ENS0_13BinaryFunctorIjjbNS0_12_GLOBAL__N_116CompareEqFunctorIjEEEESt5arrayIPcLm3EEEEviT0_T1_,"axG",@progbits,_ZN2at6native29vectorized_elementwise_kernelILi16ENS0_13BinaryFunctorIjjbNS0_12_GLOBAL__N_116CompareEqFunctorIjEEEESt5arrayIPcLm3EEEEviT0_T1_,comdat
	.globl	_ZN2at6native29vectorized_elementwise_kernelILi16ENS0_13BinaryFunctorIjjbNS0_12_GLOBAL__N_116CompareEqFunctorIjEEEESt5arrayIPcLm3EEEEviT0_T1_ ; -- Begin function _ZN2at6native29vectorized_elementwise_kernelILi16ENS0_13BinaryFunctorIjjbNS0_12_GLOBAL__N_116CompareEqFunctorIjEEEESt5arrayIPcLm3EEEEviT0_T1_
	.p2align	8
	.type	_ZN2at6native29vectorized_elementwise_kernelILi16ENS0_13BinaryFunctorIjjbNS0_12_GLOBAL__N_116CompareEqFunctorIjEEEESt5arrayIPcLm3EEEEviT0_T1_,@function
_ZN2at6native29vectorized_elementwise_kernelILi16ENS0_13BinaryFunctorIjjbNS0_12_GLOBAL__N_116CompareEqFunctorIjEEEESt5arrayIPcLm3EEEEviT0_T1_: ; @_ZN2at6native29vectorized_elementwise_kernelILi16ENS0_13BinaryFunctorIjjbNS0_12_GLOBAL__N_116CompareEqFunctorIjEEEESt5arrayIPcLm3EEEEviT0_T1_
; %bb.0:
	s_load_dwordx2 s[34:35], s[4:5], 0x0
	s_load_dwordx4 s[36:39], s[4:5], 0x8
	s_load_dwordx2 s[40:41], s[4:5], 0x18
	s_lshl_b32 s30, s6, 12
	s_mov_b64 s[0:1], -1
	s_waitcnt lgkmcnt(0)
	s_sub_i32 s33, s34, s30
	s_cmpk_gt_i32 s33, 0xfff
	s_cbranch_scc0 .LBB341_2
; %bb.1:
	s_ashr_i32 s31, s30, 31
	s_lshl_b64 s[0:1], s[30:31], 2
	s_add_u32 s2, s38, s0
	s_addc_u32 s3, s39, s1
	s_add_u32 s0, s40, s0
	v_lshlrev_b32_e32 v33, 6, v0
	s_addc_u32 s1, s41, s1
	global_load_dwordx4 v[1:4], v33, s[0:1]
	global_load_dwordx4 v[5:8], v33, s[2:3]
	global_load_dwordx4 v[9:12], v33, s[2:3] offset:16
	global_load_dwordx4 v[13:16], v33, s[0:1] offset:16
	;; [unrolled: 1-line block ×6, first 2 shown]
	s_cmp_eq_u32 s35, 0
	s_cselect_b64 s[44:45], -1, 0
	s_add_u32 s42, s36, s30
	s_addc_u32 s43, s37, s31
	v_lshlrev_b32_e32 v33, 4, v0
	s_waitcnt vmcnt(6)
	v_cmp_ne_u32_e64 s[0:1], v5, v1
	v_cmp_ne_u32_e64 s[2:3], v8, v4
	s_xor_b64 s[0:1], s[44:45], s[0:1]
	v_cmp_ne_u32_e32 vcc, v6, v2
	v_cmp_ne_u32_e64 s[4:5], v7, v3
	v_cndmask_b32_e64 v2, 0, 1, s[0:1]
	s_xor_b64 s[0:1], s[44:45], s[2:3]
	s_waitcnt vmcnt(4)
	v_cmp_ne_u32_e64 s[6:7], v10, v14
	v_cndmask_b32_e64 v3, 0, 1, s[0:1]
	s_xor_b64 s[0:1], s[44:45], s[4:5]
	v_cmp_ne_u32_e64 s[8:9], v9, v13
	v_cndmask_b32_e64 v4, 0, 1, s[0:1]
	s_xor_b64 s[0:1], s[44:45], s[6:7]
	v_cmp_ne_u32_e64 s[10:11], v12, v16
	v_cndmask_b32_e64 v5, 0, 1, s[0:1]
	s_xor_b64 s[0:1], s[44:45], s[8:9]
	v_cmp_ne_u32_e64 s[12:13], v11, v15
	v_cndmask_b32_e64 v6, 0, 1, s[0:1]
	s_xor_b64 s[0:1], s[44:45], s[10:11]
	s_waitcnt vmcnt(2)
	v_cmp_ne_u32_e64 s[14:15], v22, v18
	v_cndmask_b32_e64 v7, 0, 1, s[0:1]
	s_xor_b64 s[0:1], s[44:45], s[12:13]
	v_cmp_ne_u32_e64 s[16:17], v21, v17
	v_cndmask_b32_e64 v8, 0, 1, s[0:1]
	s_xor_b64 s[0:1], s[44:45], s[14:15]
	v_cmp_ne_u32_e64 s[18:19], v24, v20
	v_cndmask_b32_e64 v9, 0, 1, s[0:1]
	s_xor_b64 s[0:1], s[44:45], s[16:17]
	;; [unrolled: 13-line block ×3, first 2 shown]
	v_cmp_ne_u32_e64 s[28:29], v27, v31
	s_xor_b64 s[46:47], s[44:45], vcc
	v_cndmask_b32_e64 v14, 0, 1, s[0:1]
	s_xor_b64 s[0:1], s[44:45], s[26:27]
	v_cndmask_b32_e64 v1, 0, 1, s[46:47]
	v_cndmask_b32_e64 v15, 0, 1, s[0:1]
	s_xor_b64 s[0:1], s[44:45], s[28:29]
	v_cndmask_b32_e64 v16, 0, 1, s[0:1]
	v_lshlrev_b16_e32 v1, 8, v1
	v_lshlrev_b16_e32 v3, 8, v3
	v_lshlrev_b16_e32 v5, 8, v5
	v_lshlrev_b16_e32 v7, 8, v7
	v_lshlrev_b16_e32 v9, 8, v9
	v_lshlrev_b16_e32 v11, 8, v11
	v_lshlrev_b16_e32 v13, 8, v13
	v_lshlrev_b16_e32 v15, 8, v15
	v_or_b32_e32 v1, v2, v1
	v_or_b32_sdwa v2, v4, v3 dst_sel:WORD_1 dst_unused:UNUSED_PAD src0_sel:DWORD src1_sel:DWORD
	v_or_b32_e32 v3, v6, v5
	v_or_b32_sdwa v4, v8, v7 dst_sel:WORD_1 dst_unused:UNUSED_PAD src0_sel:DWORD src1_sel:DWORD
	;; [unrolled: 2-line block ×4, first 2 shown]
	v_or_b32_sdwa v1, v1, v2 dst_sel:DWORD dst_unused:UNUSED_PAD src0_sel:WORD_0 src1_sel:DWORD
	v_or_b32_sdwa v2, v3, v4 dst_sel:DWORD dst_unused:UNUSED_PAD src0_sel:WORD_0 src1_sel:DWORD
	;; [unrolled: 1-line block ×4, first 2 shown]
	global_store_dwordx4 v33, v[1:4], s[42:43]
	s_mov_b64 s[0:1], 0
.LBB341_2:
	s_andn2_b64 vcc, exec, s[0:1]
	s_cbranch_vccnz .LBB341_54
; %bb.3:
	v_cmp_gt_i32_e32 vcc, s33, v0
	v_cmp_le_i32_e64 s[0:1], s33, v0
                                        ; implicit-def: $vgpr19
	s_and_saveexec_b64 s[2:3], s[0:1]
	s_xor_b64 s[0:1], exec, s[2:3]
; %bb.4:
	v_or_b32_e32 v19, 0x100, v0
; %bb.5:
	s_or_saveexec_b64 s[2:3], s[0:1]
	v_mov_b32_e32 v36, 0
	s_mov_b64 s[0:1], 0
	v_or_b32_e32 v1, s30, v0
	v_mov_b32_e32 v35, 0
	v_mov_b32_e32 v34, 0
	;; [unrolled: 1-line block ×29, first 2 shown]
	s_xor_b64 exec, exec, s[2:3]
	s_cbranch_execz .LBB341_37
; %bb.6:
	v_mov_b32_e32 v2, 0
	v_lshlrev_b64 v[3:4], 2, v[1:2]
	v_mov_b32_e32 v6, s39
	v_add_co_u32_e64 v5, s[0:1], s38, v3
	v_addc_co_u32_e64 v6, s[0:1], v6, v4, s[0:1]
	global_load_dword v22, v[5:6], off
	v_mov_b32_e32 v5, s41
	v_add_co_u32_e64 v3, s[0:1], s40, v3
	v_addc_co_u32_e64 v4, s[0:1], v5, v4, s[0:1]
	global_load_dword v26, v[3:4], off
	v_or_b32_e32 v19, 0x100, v0
	v_cmp_gt_u32_e64 s[0:1], s33, v19
	s_mov_b64 s[6:7], 0
	v_mov_b32_e32 v25, v2
	v_mov_b32_e32 v3, v2
	;; [unrolled: 1-line block ×27, first 2 shown]
	s_and_saveexec_b64 s[4:5], s[0:1]
	s_cbranch_execz .LBB341_36
; %bb.7:
	v_add_u32_e32 v2, s30, v0
	v_mov_b32_e32 v3, 0
	v_lshlrev_b64 v[4:5], 2, v[2:3]
	v_mov_b32_e32 v2, s39
	v_add_co_u32_e64 v15, s[0:1], s38, v4
	v_addc_co_u32_e64 v16, s[0:1], v2, v5, s[0:1]
	v_mov_b32_e32 v2, s41
	v_add_co_u32_e64 v17, s[0:1], s40, v4
	v_addc_co_u32_e64 v18, s[0:1], v2, v5, s[0:1]
	global_load_dword v25, v[15:16], off offset:1024
	global_load_dword v2, v[17:18], off offset:1024
	v_or_b32_e32 v4, 0x200, v0
	v_cmp_gt_u32_e64 s[0:1], s33, v4
	s_mov_b64 s[8:9], 0
	v_mov_b32_e32 v23, v3
	v_mov_b32_e32 v20, v3
	;; [unrolled: 1-line block ×25, first 2 shown]
	s_and_saveexec_b64 s[6:7], s[0:1]
	s_cbranch_execz .LBB341_35
; %bb.8:
	global_load_dword v23, v[15:16], off offset:2048
	global_load_dword v3, v[17:18], off offset:2048
	v_or_b32_e32 v4, 0x300, v0
	v_cmp_gt_u32_e64 s[0:1], s33, v4
	s_mov_b64 s[10:11], 0
	v_mov_b32_e32 v20, 0
	v_mov_b32_e32 v21, 0
	;; [unrolled: 1-line block ×24, first 2 shown]
	s_and_saveexec_b64 s[8:9], s[0:1]
	s_cbranch_execz .LBB341_34
; %bb.9:
	global_load_dword v21, v[15:16], off offset:3072
	global_load_dword v20, v[17:18], off offset:3072
	v_or_b32_e32 v15, 0x400, v0
	v_cmp_gt_u32_e64 s[0:1], s33, v15
	s_mov_b64 s[12:13], 0
	v_mov_b32_e32 v24, 0
	v_mov_b32_e32 v4, 0
	;; [unrolled: 1-line block ×22, first 2 shown]
	s_and_saveexec_b64 s[10:11], s[0:1]
	s_cbranch_execz .LBB341_33
; %bb.10:
	v_or_b32_e32 v4, s30, v15
	v_mov_b32_e32 v5, 0
	v_lshlrev_b64 v[6:7], 2, v[4:5]
	v_mov_b32_e32 v4, s39
	v_add_co_u32_e64 v8, s[0:1], s38, v6
	v_addc_co_u32_e64 v9, s[0:1], v4, v7, s[0:1]
	global_load_dword v4, v[8:9], off
	v_mov_b32_e32 v8, s41
	v_add_co_u32_e64 v6, s[0:1], s40, v6
	v_addc_co_u32_e64 v7, s[0:1], v8, v7, s[0:1]
	global_load_dword v24, v[6:7], off
	v_or_b32_e32 v15, 0x500, v0
	v_cmp_gt_u32_e64 s[0:1], s33, v15
	s_mov_b64 s[14:15], 0
	v_mov_b32_e32 v27, v5
	v_mov_b32_e32 v6, v5
	;; [unrolled: 1-line block ×19, first 2 shown]
	s_and_saveexec_b64 s[12:13], s[0:1]
	s_cbranch_execz .LBB341_32
; %bb.11:
	v_or_b32_e32 v5, s30, v15
	v_mov_b32_e32 v6, 0
	v_lshlrev_b64 v[7:8], 2, v[5:6]
	v_mov_b32_e32 v5, s39
	v_add_co_u32_e64 v9, s[0:1], s38, v7
	v_addc_co_u32_e64 v10, s[0:1], v5, v8, s[0:1]
	v_mov_b32_e32 v5, s41
	v_add_co_u32_e64 v7, s[0:1], s40, v7
	v_addc_co_u32_e64 v8, s[0:1], v5, v8, s[0:1]
	global_load_dword v27, v[9:10], off
	global_load_dword v5, v[7:8], off
	v_or_b32_e32 v15, 0x600, v0
	v_cmp_gt_u32_e64 s[0:1], s33, v15
	s_mov_b64 s[16:17], 0
	v_mov_b32_e32 v28, v6
	v_mov_b32_e32 v7, v6
	;; [unrolled: 1-line block ×17, first 2 shown]
	s_and_saveexec_b64 s[14:15], s[0:1]
	s_cbranch_execz .LBB341_31
; %bb.12:
	v_or_b32_e32 v6, s30, v15
	v_mov_b32_e32 v7, 0
	v_lshlrev_b64 v[8:9], 2, v[6:7]
	v_mov_b32_e32 v6, s39
	v_add_co_u32_e64 v10, s[0:1], s38, v8
	v_addc_co_u32_e64 v11, s[0:1], v6, v9, s[0:1]
	v_mov_b32_e32 v6, s41
	v_add_co_u32_e64 v8, s[0:1], s40, v8
	v_addc_co_u32_e64 v9, s[0:1], v6, v9, s[0:1]
	global_load_dword v28, v[10:11], off
	global_load_dword v6, v[8:9], off
	v_or_b32_e32 v15, 0x700, v0
	v_cmp_gt_u32_e64 s[0:1], s33, v15
	s_mov_b64 s[18:19], 0
	v_mov_b32_e32 v29, v7
	v_mov_b32_e32 v8, v7
	;; [unrolled: 1-line block ×15, first 2 shown]
	s_and_saveexec_b64 s[16:17], s[0:1]
	s_cbranch_execz .LBB341_30
; %bb.13:
	v_or_b32_e32 v7, s30, v15
	v_mov_b32_e32 v8, 0
	v_lshlrev_b64 v[9:10], 2, v[7:8]
	v_mov_b32_e32 v7, s39
	v_add_co_u32_e64 v11, s[0:1], s38, v9
	v_addc_co_u32_e64 v12, s[0:1], v7, v10, s[0:1]
	v_mov_b32_e32 v7, s41
	v_add_co_u32_e64 v9, s[0:1], s40, v9
	v_addc_co_u32_e64 v10, s[0:1], v7, v10, s[0:1]
	global_load_dword v29, v[11:12], off
	global_load_dword v7, v[9:10], off
	v_or_b32_e32 v15, 0x800, v0
	v_cmp_gt_u32_e64 s[0:1], s33, v15
	s_mov_b64 s[20:21], 0
	v_mov_b32_e32 v30, v8
	v_mov_b32_e32 v9, v8
	;; [unrolled: 1-line block ×13, first 2 shown]
	s_and_saveexec_b64 s[18:19], s[0:1]
	s_cbranch_execz .LBB341_29
; %bb.14:
	v_or_b32_e32 v8, s30, v15
	v_mov_b32_e32 v9, 0
	v_lshlrev_b64 v[10:11], 2, v[8:9]
	v_mov_b32_e32 v8, s39
	v_add_co_u32_e64 v12, s[0:1], s38, v10
	v_addc_co_u32_e64 v13, s[0:1], v8, v11, s[0:1]
	v_mov_b32_e32 v8, s41
	v_add_co_u32_e64 v10, s[0:1], s40, v10
	v_addc_co_u32_e64 v11, s[0:1], v8, v11, s[0:1]
	global_load_dword v30, v[12:13], off
	global_load_dword v8, v[10:11], off
	v_or_b32_e32 v15, 0x900, v0
	v_cmp_gt_u32_e64 s[0:1], s33, v15
	s_mov_b64 s[22:23], 0
	v_mov_b32_e32 v31, v9
	v_mov_b32_e32 v10, v9
	;; [unrolled: 1-line block ×11, first 2 shown]
	s_and_saveexec_b64 s[20:21], s[0:1]
	s_cbranch_execz .LBB341_28
; %bb.15:
	v_or_b32_e32 v9, s30, v15
	v_mov_b32_e32 v10, 0
	v_lshlrev_b64 v[11:12], 2, v[9:10]
	v_mov_b32_e32 v9, s39
	v_add_co_u32_e64 v13, s[0:1], s38, v11
	v_addc_co_u32_e64 v14, s[0:1], v9, v12, s[0:1]
	v_mov_b32_e32 v9, s41
	v_add_co_u32_e64 v11, s[0:1], s40, v11
	v_addc_co_u32_e64 v12, s[0:1], v9, v12, s[0:1]
	global_load_dword v31, v[13:14], off
	global_load_dword v9, v[11:12], off
	v_or_b32_e32 v15, 0xa00, v0
	v_cmp_gt_u32_e64 s[0:1], s33, v15
	s_mov_b64 s[24:25], 0
	v_mov_b32_e32 v32, v10
	v_mov_b32_e32 v11, v10
	;; [unrolled: 1-line block ×9, first 2 shown]
	s_and_saveexec_b64 s[22:23], s[0:1]
	s_cbranch_execz .LBB341_27
; %bb.16:
	v_or_b32_e32 v10, s30, v15
	v_mov_b32_e32 v11, 0
	v_lshlrev_b64 v[12:13], 2, v[10:11]
	v_mov_b32_e32 v10, s39
	v_add_co_u32_e64 v14, s[0:1], s38, v12
	v_addc_co_u32_e64 v15, s[0:1], v10, v13, s[0:1]
	v_mov_b32_e32 v10, s41
	v_add_co_u32_e64 v12, s[0:1], s40, v12
	v_addc_co_u32_e64 v13, s[0:1], v10, v13, s[0:1]
	global_load_dword v32, v[14:15], off
	global_load_dword v10, v[12:13], off
	v_or_b32_e32 v15, 0xb00, v0
	v_cmp_gt_u32_e64 s[0:1], s33, v15
	s_mov_b64 s[26:27], 0
	v_mov_b32_e32 v33, v11
	v_mov_b32_e32 v12, v11
	;; [unrolled: 1-line block ×7, first 2 shown]
	s_and_saveexec_b64 s[24:25], s[0:1]
	s_cbranch_execz .LBB341_26
; %bb.17:
	v_or_b32_e32 v11, s30, v15
	v_mov_b32_e32 v12, 0
	v_lshlrev_b64 v[13:14], 2, v[11:12]
	v_mov_b32_e32 v11, s39
	v_add_co_u32_e64 v15, s[0:1], s38, v13
	v_addc_co_u32_e64 v16, s[0:1], v11, v14, s[0:1]
	v_mov_b32_e32 v11, s41
	v_add_co_u32_e64 v13, s[0:1], s40, v13
	v_addc_co_u32_e64 v14, s[0:1], v11, v14, s[0:1]
	global_load_dword v33, v[15:16], off
	global_load_dword v11, v[13:14], off
	v_or_b32_e32 v15, 0xc00, v0
	v_cmp_gt_u32_e64 s[0:1], s33, v15
	s_mov_b64 s[28:29], 0
	v_mov_b32_e32 v34, v12
	v_mov_b32_e32 v13, v12
	;; [unrolled: 1-line block ×5, first 2 shown]
	s_and_saveexec_b64 s[26:27], s[0:1]
	s_cbranch_execz .LBB341_25
; %bb.18:
	v_or_b32_e32 v12, s30, v15
	v_mov_b32_e32 v13, 0
	v_lshlrev_b64 v[14:15], 2, v[12:13]
	v_mov_b32_e32 v12, s39
	v_add_co_u32_e64 v16, s[0:1], s38, v14
	v_addc_co_u32_e64 v17, s[0:1], v12, v15, s[0:1]
	v_mov_b32_e32 v12, s41
	v_add_co_u32_e64 v14, s[0:1], s40, v14
	v_addc_co_u32_e64 v15, s[0:1], v12, v15, s[0:1]
	global_load_dword v34, v[16:17], off
	global_load_dword v12, v[14:15], off
	v_or_b32_e32 v15, 0xd00, v0
	v_cmp_gt_u32_e64 s[0:1], s33, v15
	s_mov_b64 s[42:43], 0
	v_mov_b32_e32 v35, v13
	v_mov_b32_e32 v14, v13
	;; [unrolled: 1-line block ×3, first 2 shown]
	s_and_saveexec_b64 s[28:29], s[0:1]
	s_cbranch_execz .LBB341_24
; %bb.19:
	v_add_u32_e32 v13, s30, v15
	v_mov_b32_e32 v14, 0
	v_lshlrev_b64 v[15:16], 2, v[13:14]
	v_mov_b32_e32 v13, s39
	v_add_co_u32_e64 v17, s[0:1], s38, v15
	v_addc_co_u32_e64 v18, s[0:1], v13, v16, s[0:1]
	v_mov_b32_e32 v13, s41
	v_add_co_u32_e64 v15, s[0:1], s40, v15
	v_addc_co_u32_e64 v16, s[0:1], v13, v16, s[0:1]
	global_load_dword v35, v[17:18], off
	global_load_dword v13, v[15:16], off
	v_or_b32_e32 v15, 0xe00, v0
	v_cmp_gt_u32_e64 s[0:1], s33, v15
	s_mov_b64 s[44:45], 0
	v_mov_b32_e32 v36, v14
	s_and_saveexec_b64 s[42:43], s[0:1]
	s_cbranch_execz .LBB341_23
; %bb.20:
	v_add_u32_e32 v15, s30, v15
	v_mov_b32_e32 v16, 0
	v_lshlrev_b64 v[14:15], 2, v[15:16]
	v_mov_b32_e32 v18, s39
	v_add_co_u32_e64 v17, s[0:1], s38, v14
	v_addc_co_u32_e64 v18, s[0:1], v18, v15, s[0:1]
	global_load_dword v36, v[17:18], off
	v_mov_b32_e32 v17, s41
	v_add_co_u32_e64 v14, s[0:1], s40, v14
	v_addc_co_u32_e64 v15, s[0:1], v17, v15, s[0:1]
	global_load_dword v14, v[14:15], off
	v_or_b32_e32 v15, 0xf00, v0
	v_cmp_gt_u32_e64 s[0:1], s33, v15
	s_mov_b64 s[46:47], 0
	s_and_saveexec_b64 s[44:45], s[0:1]
	s_cbranch_execz .LBB341_22
; %bb.21:
	v_add_u32_e32 v15, s30, v15
	v_lshlrev_b64 v[15:16], 2, v[15:16]
	v_mov_b32_e32 v18, s41
	v_add_co_u32_e64 v17, s[0:1], s40, v15
	v_addc_co_u32_e64 v18, s[0:1], v18, v16, s[0:1]
	v_mov_b32_e32 v37, s39
	v_add_co_u32_e64 v15, s[0:1], s38, v15
	v_addc_co_u32_e64 v16, s[0:1], v37, v16, s[0:1]
	global_load_dword v37, v[15:16], off
	global_load_dword v38, v[17:18], off
	s_waitcnt vmcnt(0)
	v_cmp_ne_u32_e64 s[0:1], v37, v38
	s_and_b64 s[46:47], s[0:1], exec
.LBB341_22:
	s_or_b64 exec, exec, s[44:45]
	s_and_b64 s[44:45], s[46:47], exec
.LBB341_23:
	s_or_b64 exec, exec, s[42:43]
	s_and_b64 s[42:43], s[44:45], exec
.LBB341_24:
	s_or_b64 exec, exec, s[28:29]
	s_and_b64 s[28:29], s[42:43], exec
.LBB341_25:
	s_or_b64 exec, exec, s[26:27]
	s_and_b64 s[26:27], s[28:29], exec
.LBB341_26:
	s_or_b64 exec, exec, s[24:25]
	s_and_b64 s[24:25], s[26:27], exec
.LBB341_27:
	s_or_b64 exec, exec, s[22:23]
	s_and_b64 s[22:23], s[24:25], exec
.LBB341_28:
	s_or_b64 exec, exec, s[20:21]
	s_and_b64 s[20:21], s[22:23], exec
.LBB341_29:
	s_or_b64 exec, exec, s[18:19]
	s_and_b64 s[18:19], s[20:21], exec
.LBB341_30:
	s_or_b64 exec, exec, s[16:17]
	s_and_b64 s[16:17], s[18:19], exec
.LBB341_31:
	s_or_b64 exec, exec, s[14:15]
	s_and_b64 s[14:15], s[16:17], exec
.LBB341_32:
	s_or_b64 exec, exec, s[12:13]
	s_and_b64 s[12:13], s[14:15], exec
.LBB341_33:
	s_or_b64 exec, exec, s[10:11]
	s_and_b64 s[10:11], s[12:13], exec
.LBB341_34:
	s_or_b64 exec, exec, s[8:9]
	s_and_b64 s[8:9], s[10:11], exec
.LBB341_35:
	s_or_b64 exec, exec, s[6:7]
	s_and_b64 s[6:7], s[8:9], exec
.LBB341_36:
	s_or_b64 exec, exec, s[4:5]
	s_and_b64 s[0:1], s[6:7], exec
.LBB341_37:
	s_or_b64 exec, exec, s[2:3]
	s_cmp_eq_u32 s35, 0
	s_cselect_b64 s[2:3], -1, 0
	s_and_saveexec_b64 s[4:5], vcc
	s_cbranch_execnz .LBB341_55
; %bb.38:
	s_or_b64 exec, exec, s[4:5]
	v_cmp_gt_i32_e32 vcc, s33, v0
	s_and_saveexec_b64 s[4:5], vcc
	s_cbranch_execnz .LBB341_56
.LBB341_39:
	s_or_b64 exec, exec, s[4:5]
	v_cmp_gt_i32_e32 vcc, s33, v0
	s_and_saveexec_b64 s[4:5], vcc
	s_cbranch_execnz .LBB341_57
.LBB341_40:
	s_or_b64 exec, exec, s[4:5]
	v_cmp_gt_i32_e32 vcc, s33, v0
	s_and_saveexec_b64 s[4:5], vcc
	s_cbranch_execnz .LBB341_58
.LBB341_41:
	s_or_b64 exec, exec, s[4:5]
	v_cmp_gt_i32_e32 vcc, s33, v0
	s_and_saveexec_b64 s[4:5], vcc
	s_cbranch_execnz .LBB341_59
.LBB341_42:
	s_or_b64 exec, exec, s[4:5]
	v_cmp_gt_i32_e32 vcc, s33, v0
	s_and_saveexec_b64 s[4:5], vcc
	s_cbranch_execnz .LBB341_60
.LBB341_43:
	s_or_b64 exec, exec, s[4:5]
	v_cmp_gt_i32_e32 vcc, s33, v0
	s_and_saveexec_b64 s[4:5], vcc
	s_cbranch_execnz .LBB341_61
.LBB341_44:
	s_or_b64 exec, exec, s[4:5]
	v_cmp_gt_i32_e32 vcc, s33, v0
	s_and_saveexec_b64 s[4:5], vcc
	s_cbranch_execnz .LBB341_62
.LBB341_45:
	s_or_b64 exec, exec, s[4:5]
	v_cmp_gt_i32_e32 vcc, s33, v0
	s_and_saveexec_b64 s[4:5], vcc
	s_cbranch_execnz .LBB341_63
.LBB341_46:
	s_or_b64 exec, exec, s[4:5]
	v_cmp_gt_i32_e32 vcc, s33, v0
	s_and_saveexec_b64 s[4:5], vcc
	s_cbranch_execnz .LBB341_64
.LBB341_47:
	s_or_b64 exec, exec, s[4:5]
	v_cmp_gt_i32_e32 vcc, s33, v0
	s_and_saveexec_b64 s[4:5], vcc
	s_cbranch_execnz .LBB341_65
.LBB341_48:
	s_or_b64 exec, exec, s[4:5]
	v_cmp_gt_i32_e32 vcc, s33, v0
	s_and_saveexec_b64 s[4:5], vcc
	s_cbranch_execnz .LBB341_66
.LBB341_49:
	s_or_b64 exec, exec, s[4:5]
	v_cmp_gt_i32_e32 vcc, s33, v0
	s_and_saveexec_b64 s[4:5], vcc
	s_cbranch_execnz .LBB341_67
.LBB341_50:
	s_or_b64 exec, exec, s[4:5]
	v_cmp_gt_i32_e32 vcc, s33, v0
	s_and_saveexec_b64 s[4:5], vcc
	s_cbranch_execnz .LBB341_68
.LBB341_51:
	s_or_b64 exec, exec, s[4:5]
	v_cmp_gt_i32_e32 vcc, s33, v0
	s_and_saveexec_b64 s[4:5], vcc
	s_cbranch_execnz .LBB341_69
.LBB341_52:
	s_or_b64 exec, exec, s[4:5]
	v_cmp_gt_i32_e32 vcc, s33, v0
	s_and_saveexec_b64 s[4:5], vcc
	s_cbranch_execz .LBB341_54
.LBB341_53:
	s_xor_b64 s[0:1], s[2:3], s[0:1]
	v_cndmask_b32_e64 v1, 0, 1, s[0:1]
	v_add_u32_e32 v0, s30, v0
	global_store_byte v0, v1, s[36:37]
.LBB341_54:
	s_endpgm
.LBB341_55:
	s_waitcnt vmcnt(0)
	v_cmp_ne_u32_e32 vcc, v22, v26
	s_xor_b64 s[6:7], s[2:3], vcc
	v_cndmask_b32_e64 v0, 0, 1, s[6:7]
	global_store_byte v1, v0, s[36:37]
	v_mov_b32_e32 v0, v19
	s_or_b64 exec, exec, s[4:5]
	v_cmp_gt_i32_e32 vcc, s33, v0
	s_and_saveexec_b64 s[4:5], vcc
	s_cbranch_execz .LBB341_39
.LBB341_56:
	s_waitcnt vmcnt(0)
	v_cmp_ne_u32_e32 vcc, v25, v2
	s_xor_b64 s[6:7], s[2:3], vcc
	v_cndmask_b32_e64 v1, 0, 1, s[6:7]
	v_add_u32_e32 v2, s30, v0
	v_add_u32_e32 v0, 0x100, v0
	global_store_byte v2, v1, s[36:37]
	s_or_b64 exec, exec, s[4:5]
	v_cmp_gt_i32_e32 vcc, s33, v0
	s_and_saveexec_b64 s[4:5], vcc
	s_cbranch_execz .LBB341_40
.LBB341_57:
	s_waitcnt vmcnt(0)
	v_cmp_ne_u32_e32 vcc, v23, v3
	s_xor_b64 s[6:7], s[2:3], vcc
	v_cndmask_b32_e64 v1, 0, 1, s[6:7]
	v_add_u32_e32 v2, s30, v0
	v_add_u32_e32 v0, 0x100, v0
	global_store_byte v2, v1, s[36:37]
	s_or_b64 exec, exec, s[4:5]
	v_cmp_gt_i32_e32 vcc, s33, v0
	s_and_saveexec_b64 s[4:5], vcc
	s_cbranch_execz .LBB341_41
.LBB341_58:
	s_waitcnt vmcnt(0)
	v_cmp_ne_u32_e32 vcc, v21, v20
	s_xor_b64 s[6:7], s[2:3], vcc
	v_cndmask_b32_e64 v1, 0, 1, s[6:7]
	v_add_u32_e32 v2, s30, v0
	v_add_u32_e32 v0, 0x100, v0
	global_store_byte v2, v1, s[36:37]
	s_or_b64 exec, exec, s[4:5]
	v_cmp_gt_i32_e32 vcc, s33, v0
	s_and_saveexec_b64 s[4:5], vcc
	s_cbranch_execz .LBB341_42
.LBB341_59:
	s_waitcnt vmcnt(0)
	v_cmp_ne_u32_e32 vcc, v4, v24
	s_xor_b64 s[6:7], s[2:3], vcc
	v_cndmask_b32_e64 v1, 0, 1, s[6:7]
	v_add_u32_e32 v2, s30, v0
	v_add_u32_e32 v0, 0x100, v0
	global_store_byte v2, v1, s[36:37]
	s_or_b64 exec, exec, s[4:5]
	v_cmp_gt_i32_e32 vcc, s33, v0
	s_and_saveexec_b64 s[4:5], vcc
	s_cbranch_execz .LBB341_43
.LBB341_60:
	s_waitcnt vmcnt(0)
	v_cmp_ne_u32_e32 vcc, v27, v5
	s_xor_b64 s[6:7], s[2:3], vcc
	v_cndmask_b32_e64 v1, 0, 1, s[6:7]
	v_add_u32_e32 v2, s30, v0
	v_add_u32_e32 v0, 0x100, v0
	global_store_byte v2, v1, s[36:37]
	s_or_b64 exec, exec, s[4:5]
	v_cmp_gt_i32_e32 vcc, s33, v0
	s_and_saveexec_b64 s[4:5], vcc
	s_cbranch_execz .LBB341_44
.LBB341_61:
	s_waitcnt vmcnt(0)
	v_cmp_ne_u32_e32 vcc, v28, v6
	s_xor_b64 s[6:7], s[2:3], vcc
	v_cndmask_b32_e64 v1, 0, 1, s[6:7]
	v_add_u32_e32 v2, s30, v0
	v_add_u32_e32 v0, 0x100, v0
	global_store_byte v2, v1, s[36:37]
	s_or_b64 exec, exec, s[4:5]
	v_cmp_gt_i32_e32 vcc, s33, v0
	s_and_saveexec_b64 s[4:5], vcc
	s_cbranch_execz .LBB341_45
.LBB341_62:
	s_waitcnt vmcnt(0)
	v_cmp_ne_u32_e32 vcc, v29, v7
	s_xor_b64 s[6:7], s[2:3], vcc
	v_cndmask_b32_e64 v1, 0, 1, s[6:7]
	v_add_u32_e32 v2, s30, v0
	v_add_u32_e32 v0, 0x100, v0
	global_store_byte v2, v1, s[36:37]
	s_or_b64 exec, exec, s[4:5]
	v_cmp_gt_i32_e32 vcc, s33, v0
	s_and_saveexec_b64 s[4:5], vcc
	s_cbranch_execz .LBB341_46
.LBB341_63:
	s_waitcnt vmcnt(0)
	v_cmp_ne_u32_e32 vcc, v30, v8
	s_xor_b64 s[6:7], s[2:3], vcc
	v_cndmask_b32_e64 v1, 0, 1, s[6:7]
	v_add_u32_e32 v2, s30, v0
	v_add_u32_e32 v0, 0x100, v0
	global_store_byte v2, v1, s[36:37]
	s_or_b64 exec, exec, s[4:5]
	v_cmp_gt_i32_e32 vcc, s33, v0
	s_and_saveexec_b64 s[4:5], vcc
	s_cbranch_execz .LBB341_47
.LBB341_64:
	s_waitcnt vmcnt(0)
	v_cmp_ne_u32_e32 vcc, v31, v9
	s_xor_b64 s[6:7], s[2:3], vcc
	v_cndmask_b32_e64 v1, 0, 1, s[6:7]
	v_add_u32_e32 v2, s30, v0
	v_add_u32_e32 v0, 0x100, v0
	global_store_byte v2, v1, s[36:37]
	s_or_b64 exec, exec, s[4:5]
	v_cmp_gt_i32_e32 vcc, s33, v0
	s_and_saveexec_b64 s[4:5], vcc
	s_cbranch_execz .LBB341_48
.LBB341_65:
	s_waitcnt vmcnt(0)
	v_cmp_ne_u32_e32 vcc, v32, v10
	s_xor_b64 s[6:7], s[2:3], vcc
	v_cndmask_b32_e64 v1, 0, 1, s[6:7]
	v_add_u32_e32 v2, s30, v0
	v_add_u32_e32 v0, 0x100, v0
	global_store_byte v2, v1, s[36:37]
	s_or_b64 exec, exec, s[4:5]
	v_cmp_gt_i32_e32 vcc, s33, v0
	s_and_saveexec_b64 s[4:5], vcc
	s_cbranch_execz .LBB341_49
.LBB341_66:
	s_waitcnt vmcnt(0)
	v_cmp_ne_u32_e32 vcc, v33, v11
	s_xor_b64 s[6:7], s[2:3], vcc
	v_cndmask_b32_e64 v1, 0, 1, s[6:7]
	v_add_u32_e32 v2, s30, v0
	v_add_u32_e32 v0, 0x100, v0
	global_store_byte v2, v1, s[36:37]
	s_or_b64 exec, exec, s[4:5]
	v_cmp_gt_i32_e32 vcc, s33, v0
	s_and_saveexec_b64 s[4:5], vcc
	s_cbranch_execz .LBB341_50
.LBB341_67:
	s_waitcnt vmcnt(0)
	v_cmp_ne_u32_e32 vcc, v34, v12
	s_xor_b64 s[6:7], s[2:3], vcc
	v_cndmask_b32_e64 v1, 0, 1, s[6:7]
	v_add_u32_e32 v2, s30, v0
	v_add_u32_e32 v0, 0x100, v0
	global_store_byte v2, v1, s[36:37]
	s_or_b64 exec, exec, s[4:5]
	v_cmp_gt_i32_e32 vcc, s33, v0
	s_and_saveexec_b64 s[4:5], vcc
	s_cbranch_execz .LBB341_51
.LBB341_68:
	s_waitcnt vmcnt(0)
	v_cmp_ne_u32_e32 vcc, v35, v13
	s_xor_b64 s[6:7], s[2:3], vcc
	v_cndmask_b32_e64 v1, 0, 1, s[6:7]
	v_add_u32_e32 v2, s30, v0
	v_add_u32_e32 v0, 0x100, v0
	global_store_byte v2, v1, s[36:37]
	s_or_b64 exec, exec, s[4:5]
	v_cmp_gt_i32_e32 vcc, s33, v0
	s_and_saveexec_b64 s[4:5], vcc
	s_cbranch_execz .LBB341_52
.LBB341_69:
	s_waitcnt vmcnt(0)
	v_cmp_ne_u32_e32 vcc, v36, v14
	s_xor_b64 s[6:7], s[2:3], vcc
	v_cndmask_b32_e64 v1, 0, 1, s[6:7]
	v_add_u32_e32 v2, s30, v0
	v_add_u32_e32 v0, 0x100, v0
	global_store_byte v2, v1, s[36:37]
	s_or_b64 exec, exec, s[4:5]
	v_cmp_gt_i32_e32 vcc, s33, v0
	s_and_saveexec_b64 s[4:5], vcc
	s_cbranch_execnz .LBB341_53
	s_branch .LBB341_54
	.section	.rodata,"a",@progbits
	.p2align	6, 0x0
	.amdhsa_kernel _ZN2at6native29vectorized_elementwise_kernelILi16ENS0_13BinaryFunctorIjjbNS0_12_GLOBAL__N_116CompareEqFunctorIjEEEESt5arrayIPcLm3EEEEviT0_T1_
		.amdhsa_group_segment_fixed_size 0
		.amdhsa_private_segment_fixed_size 0
		.amdhsa_kernarg_size 32
		.amdhsa_user_sgpr_count 6
		.amdhsa_user_sgpr_private_segment_buffer 1
		.amdhsa_user_sgpr_dispatch_ptr 0
		.amdhsa_user_sgpr_queue_ptr 0
		.amdhsa_user_sgpr_kernarg_segment_ptr 1
		.amdhsa_user_sgpr_dispatch_id 0
		.amdhsa_user_sgpr_flat_scratch_init 0
		.amdhsa_user_sgpr_private_segment_size 0
		.amdhsa_uses_dynamic_stack 0
		.amdhsa_system_sgpr_private_segment_wavefront_offset 0
		.amdhsa_system_sgpr_workgroup_id_x 1
		.amdhsa_system_sgpr_workgroup_id_y 0
		.amdhsa_system_sgpr_workgroup_id_z 0
		.amdhsa_system_sgpr_workgroup_info 0
		.amdhsa_system_vgpr_workitem_id 0
		.amdhsa_next_free_vgpr 39
		.amdhsa_next_free_sgpr 48
		.amdhsa_reserve_vcc 1
		.amdhsa_reserve_flat_scratch 0
		.amdhsa_float_round_mode_32 0
		.amdhsa_float_round_mode_16_64 0
		.amdhsa_float_denorm_mode_32 3
		.amdhsa_float_denorm_mode_16_64 3
		.amdhsa_dx10_clamp 1
		.amdhsa_ieee_mode 1
		.amdhsa_fp16_overflow 0
		.amdhsa_exception_fp_ieee_invalid_op 0
		.amdhsa_exception_fp_denorm_src 0
		.amdhsa_exception_fp_ieee_div_zero 0
		.amdhsa_exception_fp_ieee_overflow 0
		.amdhsa_exception_fp_ieee_underflow 0
		.amdhsa_exception_fp_ieee_inexact 0
		.amdhsa_exception_int_div_zero 0
	.end_amdhsa_kernel
	.section	.text._ZN2at6native29vectorized_elementwise_kernelILi16ENS0_13BinaryFunctorIjjbNS0_12_GLOBAL__N_116CompareEqFunctorIjEEEESt5arrayIPcLm3EEEEviT0_T1_,"axG",@progbits,_ZN2at6native29vectorized_elementwise_kernelILi16ENS0_13BinaryFunctorIjjbNS0_12_GLOBAL__N_116CompareEqFunctorIjEEEESt5arrayIPcLm3EEEEviT0_T1_,comdat
.Lfunc_end341:
	.size	_ZN2at6native29vectorized_elementwise_kernelILi16ENS0_13BinaryFunctorIjjbNS0_12_GLOBAL__N_116CompareEqFunctorIjEEEESt5arrayIPcLm3EEEEviT0_T1_, .Lfunc_end341-_ZN2at6native29vectorized_elementwise_kernelILi16ENS0_13BinaryFunctorIjjbNS0_12_GLOBAL__N_116CompareEqFunctorIjEEEESt5arrayIPcLm3EEEEviT0_T1_
                                        ; -- End function
	.set _ZN2at6native29vectorized_elementwise_kernelILi16ENS0_13BinaryFunctorIjjbNS0_12_GLOBAL__N_116CompareEqFunctorIjEEEESt5arrayIPcLm3EEEEviT0_T1_.num_vgpr, 39
	.set _ZN2at6native29vectorized_elementwise_kernelILi16ENS0_13BinaryFunctorIjjbNS0_12_GLOBAL__N_116CompareEqFunctorIjEEEESt5arrayIPcLm3EEEEviT0_T1_.num_agpr, 0
	.set _ZN2at6native29vectorized_elementwise_kernelILi16ENS0_13BinaryFunctorIjjbNS0_12_GLOBAL__N_116CompareEqFunctorIjEEEESt5arrayIPcLm3EEEEviT0_T1_.numbered_sgpr, 48
	.set _ZN2at6native29vectorized_elementwise_kernelILi16ENS0_13BinaryFunctorIjjbNS0_12_GLOBAL__N_116CompareEqFunctorIjEEEESt5arrayIPcLm3EEEEviT0_T1_.num_named_barrier, 0
	.set _ZN2at6native29vectorized_elementwise_kernelILi16ENS0_13BinaryFunctorIjjbNS0_12_GLOBAL__N_116CompareEqFunctorIjEEEESt5arrayIPcLm3EEEEviT0_T1_.private_seg_size, 0
	.set _ZN2at6native29vectorized_elementwise_kernelILi16ENS0_13BinaryFunctorIjjbNS0_12_GLOBAL__N_116CompareEqFunctorIjEEEESt5arrayIPcLm3EEEEviT0_T1_.uses_vcc, 1
	.set _ZN2at6native29vectorized_elementwise_kernelILi16ENS0_13BinaryFunctorIjjbNS0_12_GLOBAL__N_116CompareEqFunctorIjEEEESt5arrayIPcLm3EEEEviT0_T1_.uses_flat_scratch, 0
	.set _ZN2at6native29vectorized_elementwise_kernelILi16ENS0_13BinaryFunctorIjjbNS0_12_GLOBAL__N_116CompareEqFunctorIjEEEESt5arrayIPcLm3EEEEviT0_T1_.has_dyn_sized_stack, 0
	.set _ZN2at6native29vectorized_elementwise_kernelILi16ENS0_13BinaryFunctorIjjbNS0_12_GLOBAL__N_116CompareEqFunctorIjEEEESt5arrayIPcLm3EEEEviT0_T1_.has_recursion, 0
	.set _ZN2at6native29vectorized_elementwise_kernelILi16ENS0_13BinaryFunctorIjjbNS0_12_GLOBAL__N_116CompareEqFunctorIjEEEESt5arrayIPcLm3EEEEviT0_T1_.has_indirect_call, 0
	.section	.AMDGPU.csdata,"",@progbits
; Kernel info:
; codeLenInByte = 4296
; TotalNumSgprs: 52
; NumVgprs: 39
; ScratchSize: 0
; MemoryBound: 0
; FloatMode: 240
; IeeeMode: 1
; LDSByteSize: 0 bytes/workgroup (compile time only)
; SGPRBlocks: 6
; VGPRBlocks: 9
; NumSGPRsForWavesPerEU: 52
; NumVGPRsForWavesPerEU: 39
; Occupancy: 6
; WaveLimiterHint : 0
; COMPUTE_PGM_RSRC2:SCRATCH_EN: 0
; COMPUTE_PGM_RSRC2:USER_SGPR: 6
; COMPUTE_PGM_RSRC2:TRAP_HANDLER: 0
; COMPUTE_PGM_RSRC2:TGID_X_EN: 1
; COMPUTE_PGM_RSRC2:TGID_Y_EN: 0
; COMPUTE_PGM_RSRC2:TGID_Z_EN: 0
; COMPUTE_PGM_RSRC2:TIDIG_COMP_CNT: 0
	.section	.text._ZN2at6native29vectorized_elementwise_kernelILi8ENS0_13BinaryFunctorIjjbNS0_12_GLOBAL__N_116CompareEqFunctorIjEEEESt5arrayIPcLm3EEEEviT0_T1_,"axG",@progbits,_ZN2at6native29vectorized_elementwise_kernelILi8ENS0_13BinaryFunctorIjjbNS0_12_GLOBAL__N_116CompareEqFunctorIjEEEESt5arrayIPcLm3EEEEviT0_T1_,comdat
	.globl	_ZN2at6native29vectorized_elementwise_kernelILi8ENS0_13BinaryFunctorIjjbNS0_12_GLOBAL__N_116CompareEqFunctorIjEEEESt5arrayIPcLm3EEEEviT0_T1_ ; -- Begin function _ZN2at6native29vectorized_elementwise_kernelILi8ENS0_13BinaryFunctorIjjbNS0_12_GLOBAL__N_116CompareEqFunctorIjEEEESt5arrayIPcLm3EEEEviT0_T1_
	.p2align	8
	.type	_ZN2at6native29vectorized_elementwise_kernelILi8ENS0_13BinaryFunctorIjjbNS0_12_GLOBAL__N_116CompareEqFunctorIjEEEESt5arrayIPcLm3EEEEviT0_T1_,@function
_ZN2at6native29vectorized_elementwise_kernelILi8ENS0_13BinaryFunctorIjjbNS0_12_GLOBAL__N_116CompareEqFunctorIjEEEESt5arrayIPcLm3EEEEviT0_T1_: ; @_ZN2at6native29vectorized_elementwise_kernelILi8ENS0_13BinaryFunctorIjjbNS0_12_GLOBAL__N_116CompareEqFunctorIjEEEESt5arrayIPcLm3EEEEviT0_T1_
; %bb.0:
	s_load_dwordx2 s[20:21], s[4:5], 0x0
	s_load_dwordx4 s[16:19], s[4:5], 0x8
	s_load_dwordx2 s[22:23], s[4:5], 0x18
	s_lshl_b32 s14, s6, 12
	s_mov_b64 s[0:1], -1
	s_waitcnt lgkmcnt(0)
	s_sub_i32 s20, s20, s14
	s_cmpk_gt_i32 s20, 0xfff
	s_cbranch_scc0 .LBB342_2
; %bb.1:
	s_ashr_i32 s15, s14, 31
	s_lshl_b64 s[0:1], s[14:15], 2
	s_add_u32 s2, s18, s0
	s_addc_u32 s3, s19, s1
	v_lshlrev_b32_e32 v21, 5, v0
	s_add_u32 s4, s22, s0
	v_mov_b32_e32 v17, s3
	v_add_co_u32_e32 v18, vcc, s2, v21
	s_addc_u32 s5, s23, s1
	global_load_dwordx4 v[1:4], v21, s[2:3]
	global_load_dwordx4 v[5:8], v21, s[4:5]
	v_addc_co_u32_e32 v25, vcc, 0, v17, vcc
	v_add_co_u32_e32 v33, vcc, 0x2000, v18
	v_addc_co_u32_e64 v18, s[0:1], 0, v25, vcc
	global_load_dwordx4 v[9:12], v21, s[2:3] offset:16
	global_load_dwordx4 v[13:16], v21, s[4:5] offset:16
	v_mov_b32_e32 v22, s5
	v_add_co_u32_e64 v21, s[0:1], s4, v21
	s_movk_i32 s6, 0x2000
	v_addc_co_u32_e64 v22, s[0:1], 0, v22, s[0:1]
	s_mov_b64 s[0:1], vcc
	v_add_co_u32_e32 v35, vcc, s6, v21
	v_mov_b32_e32 v17, v33
	v_addc_co_u32_e32 v36, vcc, 0, v22, vcc
	global_load_dwordx4 v[17:20], v[17:18], off
	v_addc_co_u32_e64 v34, vcc, 0, v25, s[0:1]
	global_load_dwordx4 v[21:24], v[35:36], off
	global_load_dwordx4 v[25:28], v[33:34], off offset:16
	global_load_dwordx4 v[29:32], v[35:36], off offset:16
	s_cmp_eq_u32 s21, 0
	s_cselect_b64 s[24:25], -1, 0
	v_mov_b32_e32 v33, 0x100
	v_mov_b32_e32 v34, 0x10000
	;; [unrolled: 1-line block ×3, first 2 shown]
	s_waitcnt vmcnt(6)
	v_cmp_ne_u32_e32 vcc, v1, v5
	v_cmp_ne_u32_e64 s[0:1], v2, v6
	v_cmp_ne_u32_e64 s[2:3], v3, v7
	s_xor_b64 s[26:27], s[24:25], vcc
	s_xor_b64 vcc, s[24:25], s[0:1]
	v_cmp_ne_u32_e64 s[4:5], v4, v8
	v_cndmask_b32_e32 v2, 0, v33, vcc
	s_xor_b64 vcc, s[24:25], s[2:3]
	s_waitcnt vmcnt(4)
	v_cmp_ne_u32_e64 s[8:9], v10, v14
	v_cndmask_b32_e32 v4, 0, v34, vcc
	s_xor_b64 vcc, s[24:25], s[4:5]
	v_cmp_ne_u32_e64 s[10:11], v11, v15
	v_cndmask_b32_e32 v5, 0, v35, vcc
	s_xor_b64 vcc, s[24:25], s[8:9]
	v_cmp_ne_u32_e64 s[6:7], v9, v13
	v_cmp_ne_u32_e64 s[12:13], v12, v16
	v_cndmask_b32_e32 v7, 0, v33, vcc
	s_xor_b64 vcc, s[24:25], s[10:11]
	s_xor_b64 s[0:1], s[24:25], s[6:7]
	v_cndmask_b32_e32 v8, 0, v34, vcc
	s_xor_b64 vcc, s[24:25], s[12:13]
	v_cndmask_b32_e64 v1, 0, 1, s[26:27]
	v_cndmask_b32_e64 v6, 0, 1, s[0:1]
	v_cndmask_b32_e32 v9, 0, v35, vcc
	s_waitcnt vmcnt(2)
	v_cmp_ne_u32_e32 vcc, v17, v21
	v_cmp_ne_u32_e64 s[0:1], v18, v22
	v_or_b32_e32 v1, v2, v1
	v_cmp_ne_u32_e64 s[2:3], v19, v23
	s_xor_b64 s[8:9], s[24:25], vcc
	s_xor_b64 vcc, s[24:25], s[0:1]
	v_or3_b32 v3, 0, 0, 0
	v_or3_b32 v1, v1, v4, v5
	v_cmp_ne_u32_e64 s[4:5], v20, v24
	v_cndmask_b32_e32 v5, 0, v33, vcc
	s_xor_b64 vcc, s[24:25], s[2:3]
	v_or3_b32 v2, v3, v6, v7
	v_cndmask_b32_e32 v6, 0, v34, vcc
	s_xor_b64 vcc, s[24:25], s[4:5]
	v_cndmask_b32_e32 v7, 0, v35, vcc
	s_waitcnt vmcnt(0)
	v_cmp_ne_u32_e32 vcc, v26, v30
	v_cndmask_b32_e64 v4, 0, 1, s[8:9]
	s_xor_b64 vcc, s[24:25], vcc
	v_or_b32_e32 v4, v5, v4
	v_cndmask_b32_e32 v5, 0, v33, vcc
	v_cmp_ne_u32_e32 vcc, v27, v31
	v_cmp_ne_u32_e64 s[6:7], v25, v29
	s_xor_b64 vcc, s[24:25], vcc
	s_xor_b64 s[0:1], s[24:25], s[6:7]
	v_or3_b32 v4, v4, v6, v7
	v_cndmask_b32_e32 v6, 0, v34, vcc
	v_cmp_ne_u32_e32 vcc, v28, v32
	v_or3_b32 v2, v2, v8, v9
	v_cndmask_b32_e64 v8, 0, 1, s[0:1]
	s_xor_b64 vcc, s[24:25], vcc
	v_or3_b32 v1, v1, 0, 0
	v_or3_b32 v3, v3, v8, v5
	;; [unrolled: 1-line block ×3, first 2 shown]
	v_cndmask_b32_e32 v4, 0, v35, vcc
	s_add_u32 s0, s16, s14
	v_or3_b32 v1, v1, 0, 0
	v_or3_b32 v4, v3, v6, v4
	;; [unrolled: 1-line block ×3, first 2 shown]
	s_addc_u32 s1, s17, s15
	v_lshlrev_b32_e32 v5, 3, v0
	global_store_dwordx2 v5, v[1:2], s[0:1]
	global_store_dwordx2 v5, v[3:4], s[0:1] offset:2048
	s_mov_b64 s[0:1], 0
.LBB342_2:
	s_andn2_b64 vcc, exec, s[0:1]
	s_cbranch_vccnz .LBB342_54
; %bb.3:
	v_cmp_gt_i32_e32 vcc, s20, v0
	v_cmp_le_i32_e64 s[0:1], s20, v0
                                        ; implicit-def: $vgpr19
	s_and_saveexec_b64 s[2:3], s[0:1]
	s_xor_b64 s[0:1], exec, s[2:3]
; %bb.4:
	v_or_b32_e32 v19, 0x100, v0
; %bb.5:
	s_or_saveexec_b64 s[2:3], s[0:1]
	v_mov_b32_e32 v36, 0
	s_mov_b64 s[0:1], 0
	v_or_b32_e32 v1, s14, v0
	v_mov_b32_e32 v35, 0
	v_mov_b32_e32 v34, 0
	v_mov_b32_e32 v33, 0
	v_mov_b32_e32 v32, 0
	v_mov_b32_e32 v31, 0
	v_mov_b32_e32 v30, 0
	v_mov_b32_e32 v29, 0
	v_mov_b32_e32 v28, 0
	v_mov_b32_e32 v27, 0
	v_mov_b32_e32 v4, 0
	v_mov_b32_e32 v24, 0
	v_mov_b32_e32 v21, 0
	v_mov_b32_e32 v20, 0
	v_mov_b32_e32 v23, 0
	v_mov_b32_e32 v25, 0
	v_mov_b32_e32 v2, 0
	v_mov_b32_e32 v22, 0
	v_mov_b32_e32 v26, 0
	v_mov_b32_e32 v14, 0
	v_mov_b32_e32 v13, 0
	v_mov_b32_e32 v12, 0
	v_mov_b32_e32 v11, 0
	v_mov_b32_e32 v10, 0
	v_mov_b32_e32 v9, 0
	v_mov_b32_e32 v8, 0
	v_mov_b32_e32 v7, 0
	v_mov_b32_e32 v6, 0
	v_mov_b32_e32 v5, 0
	v_mov_b32_e32 v3, 0
	s_xor_b64 exec, exec, s[2:3]
	s_cbranch_execz .LBB342_37
; %bb.6:
	v_mov_b32_e32 v2, 0
	v_lshlrev_b64 v[3:4], 2, v[1:2]
	v_mov_b32_e32 v6, s19
	v_add_co_u32_e64 v5, s[0:1], s18, v3
	v_addc_co_u32_e64 v6, s[0:1], v6, v4, s[0:1]
	global_load_dword v22, v[5:6], off
	v_mov_b32_e32 v5, s23
	v_add_co_u32_e64 v3, s[0:1], s22, v3
	v_addc_co_u32_e64 v4, s[0:1], v5, v4, s[0:1]
	global_load_dword v26, v[3:4], off
	v_or_b32_e32 v19, 0x100, v0
	v_cmp_gt_u32_e64 s[0:1], s20, v19
	s_mov_b64 s[6:7], 0
	v_mov_b32_e32 v25, v2
	v_mov_b32_e32 v3, v2
	;; [unrolled: 1-line block ×27, first 2 shown]
	s_and_saveexec_b64 s[4:5], s[0:1]
	s_cbranch_execz .LBB342_36
; %bb.7:
	v_add_u32_e32 v2, s14, v0
	v_mov_b32_e32 v3, 0
	v_lshlrev_b64 v[4:5], 2, v[2:3]
	v_mov_b32_e32 v2, s19
	v_add_co_u32_e64 v15, s[0:1], s18, v4
	v_addc_co_u32_e64 v16, s[0:1], v2, v5, s[0:1]
	v_mov_b32_e32 v2, s23
	v_add_co_u32_e64 v17, s[0:1], s22, v4
	v_addc_co_u32_e64 v18, s[0:1], v2, v5, s[0:1]
	global_load_dword v25, v[15:16], off offset:1024
	global_load_dword v2, v[17:18], off offset:1024
	v_or_b32_e32 v4, 0x200, v0
	v_cmp_gt_u32_e64 s[0:1], s20, v4
	s_mov_b64 s[8:9], 0
	v_mov_b32_e32 v23, v3
	v_mov_b32_e32 v20, v3
	;; [unrolled: 1-line block ×25, first 2 shown]
	s_and_saveexec_b64 s[6:7], s[0:1]
	s_cbranch_execz .LBB342_35
; %bb.8:
	global_load_dword v23, v[15:16], off offset:2048
	global_load_dword v3, v[17:18], off offset:2048
	v_or_b32_e32 v4, 0x300, v0
	v_cmp_gt_u32_e64 s[0:1], s20, v4
	s_mov_b64 s[10:11], 0
	v_mov_b32_e32 v20, 0
	v_mov_b32_e32 v21, 0
	;; [unrolled: 1-line block ×24, first 2 shown]
	s_and_saveexec_b64 s[8:9], s[0:1]
	s_cbranch_execz .LBB342_34
; %bb.9:
	global_load_dword v21, v[15:16], off offset:3072
	global_load_dword v20, v[17:18], off offset:3072
	v_or_b32_e32 v15, 0x400, v0
	v_cmp_gt_u32_e64 s[0:1], s20, v15
	s_mov_b64 s[12:13], 0
	v_mov_b32_e32 v24, 0
	v_mov_b32_e32 v4, 0
	;; [unrolled: 1-line block ×22, first 2 shown]
	s_and_saveexec_b64 s[10:11], s[0:1]
	s_cbranch_execz .LBB342_33
; %bb.10:
	v_or_b32_e32 v4, s14, v15
	v_mov_b32_e32 v5, 0
	v_lshlrev_b64 v[6:7], 2, v[4:5]
	v_mov_b32_e32 v4, s19
	v_add_co_u32_e64 v8, s[0:1], s18, v6
	v_addc_co_u32_e64 v9, s[0:1], v4, v7, s[0:1]
	global_load_dword v4, v[8:9], off
	v_mov_b32_e32 v8, s23
	v_add_co_u32_e64 v6, s[0:1], s22, v6
	v_addc_co_u32_e64 v7, s[0:1], v8, v7, s[0:1]
	global_load_dword v24, v[6:7], off
	v_or_b32_e32 v15, 0x500, v0
	v_cmp_gt_u32_e64 s[0:1], s20, v15
	s_mov_b64 s[24:25], 0
	v_mov_b32_e32 v27, v5
	v_mov_b32_e32 v6, v5
	;; [unrolled: 1-line block ×19, first 2 shown]
	s_and_saveexec_b64 s[12:13], s[0:1]
	s_cbranch_execz .LBB342_32
; %bb.11:
	v_or_b32_e32 v5, s14, v15
	v_mov_b32_e32 v6, 0
	v_lshlrev_b64 v[7:8], 2, v[5:6]
	v_mov_b32_e32 v5, s19
	v_add_co_u32_e64 v9, s[0:1], s18, v7
	v_addc_co_u32_e64 v10, s[0:1], v5, v8, s[0:1]
	v_mov_b32_e32 v5, s23
	v_add_co_u32_e64 v7, s[0:1], s22, v7
	v_addc_co_u32_e64 v8, s[0:1], v5, v8, s[0:1]
	global_load_dword v27, v[9:10], off
	global_load_dword v5, v[7:8], off
	v_or_b32_e32 v15, 0x600, v0
	v_cmp_gt_u32_e64 s[0:1], s20, v15
	s_mov_b64 s[26:27], 0
	v_mov_b32_e32 v28, v6
	v_mov_b32_e32 v7, v6
	;; [unrolled: 1-line block ×17, first 2 shown]
	s_and_saveexec_b64 s[24:25], s[0:1]
	s_cbranch_execz .LBB342_31
; %bb.12:
	v_or_b32_e32 v6, s14, v15
	v_mov_b32_e32 v7, 0
	v_lshlrev_b64 v[8:9], 2, v[6:7]
	v_mov_b32_e32 v6, s19
	v_add_co_u32_e64 v10, s[0:1], s18, v8
	v_addc_co_u32_e64 v11, s[0:1], v6, v9, s[0:1]
	v_mov_b32_e32 v6, s23
	v_add_co_u32_e64 v8, s[0:1], s22, v8
	v_addc_co_u32_e64 v9, s[0:1], v6, v9, s[0:1]
	global_load_dword v28, v[10:11], off
	global_load_dword v6, v[8:9], off
	v_or_b32_e32 v15, 0x700, v0
	v_cmp_gt_u32_e64 s[0:1], s20, v15
	s_mov_b64 s[28:29], 0
	v_mov_b32_e32 v29, v7
	v_mov_b32_e32 v8, v7
	;; [unrolled: 1-line block ×15, first 2 shown]
	s_and_saveexec_b64 s[26:27], s[0:1]
	s_cbranch_execz .LBB342_30
; %bb.13:
	v_or_b32_e32 v7, s14, v15
	v_mov_b32_e32 v8, 0
	v_lshlrev_b64 v[9:10], 2, v[7:8]
	v_mov_b32_e32 v7, s19
	v_add_co_u32_e64 v11, s[0:1], s18, v9
	v_addc_co_u32_e64 v12, s[0:1], v7, v10, s[0:1]
	v_mov_b32_e32 v7, s23
	v_add_co_u32_e64 v9, s[0:1], s22, v9
	v_addc_co_u32_e64 v10, s[0:1], v7, v10, s[0:1]
	global_load_dword v29, v[11:12], off
	global_load_dword v7, v[9:10], off
	v_or_b32_e32 v15, 0x800, v0
	v_cmp_gt_u32_e64 s[0:1], s20, v15
	s_mov_b64 s[30:31], 0
	v_mov_b32_e32 v30, v8
	v_mov_b32_e32 v9, v8
	;; [unrolled: 1-line block ×13, first 2 shown]
	s_and_saveexec_b64 s[28:29], s[0:1]
	s_cbranch_execz .LBB342_29
; %bb.14:
	v_or_b32_e32 v8, s14, v15
	v_mov_b32_e32 v9, 0
	v_lshlrev_b64 v[10:11], 2, v[8:9]
	v_mov_b32_e32 v8, s19
	v_add_co_u32_e64 v12, s[0:1], s18, v10
	v_addc_co_u32_e64 v13, s[0:1], v8, v11, s[0:1]
	v_mov_b32_e32 v8, s23
	v_add_co_u32_e64 v10, s[0:1], s22, v10
	v_addc_co_u32_e64 v11, s[0:1], v8, v11, s[0:1]
	global_load_dword v30, v[12:13], off
	global_load_dword v8, v[10:11], off
	v_or_b32_e32 v15, 0x900, v0
	v_cmp_gt_u32_e64 s[0:1], s20, v15
	s_mov_b64 s[34:35], 0
	v_mov_b32_e32 v31, v9
	v_mov_b32_e32 v10, v9
	;; [unrolled: 1-line block ×11, first 2 shown]
	s_and_saveexec_b64 s[30:31], s[0:1]
	s_cbranch_execz .LBB342_28
; %bb.15:
	v_or_b32_e32 v9, s14, v15
	v_mov_b32_e32 v10, 0
	v_lshlrev_b64 v[11:12], 2, v[9:10]
	v_mov_b32_e32 v9, s19
	v_add_co_u32_e64 v13, s[0:1], s18, v11
	v_addc_co_u32_e64 v14, s[0:1], v9, v12, s[0:1]
	v_mov_b32_e32 v9, s23
	v_add_co_u32_e64 v11, s[0:1], s22, v11
	v_addc_co_u32_e64 v12, s[0:1], v9, v12, s[0:1]
	global_load_dword v31, v[13:14], off
	global_load_dword v9, v[11:12], off
	v_or_b32_e32 v15, 0xa00, v0
	v_cmp_gt_u32_e64 s[0:1], s20, v15
	s_mov_b64 s[36:37], 0
	v_mov_b32_e32 v32, v10
	v_mov_b32_e32 v11, v10
	;; [unrolled: 1-line block ×9, first 2 shown]
	s_and_saveexec_b64 s[34:35], s[0:1]
	s_cbranch_execz .LBB342_27
; %bb.16:
	v_or_b32_e32 v10, s14, v15
	v_mov_b32_e32 v11, 0
	v_lshlrev_b64 v[12:13], 2, v[10:11]
	v_mov_b32_e32 v10, s19
	v_add_co_u32_e64 v14, s[0:1], s18, v12
	v_addc_co_u32_e64 v15, s[0:1], v10, v13, s[0:1]
	v_mov_b32_e32 v10, s23
	v_add_co_u32_e64 v12, s[0:1], s22, v12
	v_addc_co_u32_e64 v13, s[0:1], v10, v13, s[0:1]
	global_load_dword v32, v[14:15], off
	global_load_dword v10, v[12:13], off
	v_or_b32_e32 v15, 0xb00, v0
	v_cmp_gt_u32_e64 s[0:1], s20, v15
	s_mov_b64 s[38:39], 0
	v_mov_b32_e32 v33, v11
	v_mov_b32_e32 v12, v11
	;; [unrolled: 1-line block ×7, first 2 shown]
	s_and_saveexec_b64 s[36:37], s[0:1]
	s_cbranch_execz .LBB342_26
; %bb.17:
	v_or_b32_e32 v11, s14, v15
	v_mov_b32_e32 v12, 0
	v_lshlrev_b64 v[13:14], 2, v[11:12]
	v_mov_b32_e32 v11, s19
	v_add_co_u32_e64 v15, s[0:1], s18, v13
	v_addc_co_u32_e64 v16, s[0:1], v11, v14, s[0:1]
	v_mov_b32_e32 v11, s23
	v_add_co_u32_e64 v13, s[0:1], s22, v13
	v_addc_co_u32_e64 v14, s[0:1], v11, v14, s[0:1]
	global_load_dword v33, v[15:16], off
	global_load_dword v11, v[13:14], off
	v_or_b32_e32 v15, 0xc00, v0
	v_cmp_gt_u32_e64 s[0:1], s20, v15
	s_mov_b64 s[40:41], 0
	v_mov_b32_e32 v34, v12
	v_mov_b32_e32 v13, v12
	;; [unrolled: 1-line block ×5, first 2 shown]
	s_and_saveexec_b64 s[38:39], s[0:1]
	s_cbranch_execz .LBB342_25
; %bb.18:
	v_or_b32_e32 v12, s14, v15
	v_mov_b32_e32 v13, 0
	v_lshlrev_b64 v[14:15], 2, v[12:13]
	v_mov_b32_e32 v12, s19
	v_add_co_u32_e64 v16, s[0:1], s18, v14
	v_addc_co_u32_e64 v17, s[0:1], v12, v15, s[0:1]
	v_mov_b32_e32 v12, s23
	v_add_co_u32_e64 v14, s[0:1], s22, v14
	v_addc_co_u32_e64 v15, s[0:1], v12, v15, s[0:1]
	global_load_dword v34, v[16:17], off
	global_load_dword v12, v[14:15], off
	v_or_b32_e32 v15, 0xd00, v0
	v_cmp_gt_u32_e64 s[0:1], s20, v15
	s_mov_b64 s[42:43], 0
	v_mov_b32_e32 v35, v13
	v_mov_b32_e32 v14, v13
	;; [unrolled: 1-line block ×3, first 2 shown]
	s_and_saveexec_b64 s[40:41], s[0:1]
	s_cbranch_execz .LBB342_24
; %bb.19:
	v_add_u32_e32 v13, s14, v15
	v_mov_b32_e32 v14, 0
	v_lshlrev_b64 v[15:16], 2, v[13:14]
	v_mov_b32_e32 v13, s19
	v_add_co_u32_e64 v17, s[0:1], s18, v15
	v_addc_co_u32_e64 v18, s[0:1], v13, v16, s[0:1]
	v_mov_b32_e32 v13, s23
	v_add_co_u32_e64 v15, s[0:1], s22, v15
	v_addc_co_u32_e64 v16, s[0:1], v13, v16, s[0:1]
	global_load_dword v35, v[17:18], off
	global_load_dword v13, v[15:16], off
	v_or_b32_e32 v15, 0xe00, v0
	v_cmp_gt_u32_e64 s[0:1], s20, v15
	s_mov_b64 s[44:45], 0
	v_mov_b32_e32 v36, v14
	s_and_saveexec_b64 s[42:43], s[0:1]
	s_cbranch_execz .LBB342_23
; %bb.20:
	v_add_u32_e32 v15, s14, v15
	v_mov_b32_e32 v16, 0
	v_lshlrev_b64 v[14:15], 2, v[15:16]
	v_mov_b32_e32 v18, s19
	v_add_co_u32_e64 v17, s[0:1], s18, v14
	v_addc_co_u32_e64 v18, s[0:1], v18, v15, s[0:1]
	global_load_dword v36, v[17:18], off
	v_mov_b32_e32 v17, s23
	v_add_co_u32_e64 v14, s[0:1], s22, v14
	v_addc_co_u32_e64 v15, s[0:1], v17, v15, s[0:1]
	global_load_dword v14, v[14:15], off
	v_or_b32_e32 v15, 0xf00, v0
	v_cmp_gt_u32_e64 s[0:1], s20, v15
	s_mov_b64 s[46:47], 0
	s_and_saveexec_b64 s[44:45], s[0:1]
	s_cbranch_execz .LBB342_22
; %bb.21:
	v_add_u32_e32 v15, s14, v15
	v_lshlrev_b64 v[15:16], 2, v[15:16]
	v_mov_b32_e32 v18, s23
	v_add_co_u32_e64 v17, s[0:1], s22, v15
	v_addc_co_u32_e64 v18, s[0:1], v18, v16, s[0:1]
	v_mov_b32_e32 v37, s19
	v_add_co_u32_e64 v15, s[0:1], s18, v15
	v_addc_co_u32_e64 v16, s[0:1], v37, v16, s[0:1]
	global_load_dword v37, v[15:16], off
	global_load_dword v38, v[17:18], off
	s_waitcnt vmcnt(0)
	v_cmp_ne_u32_e64 s[0:1], v37, v38
	s_and_b64 s[46:47], s[0:1], exec
.LBB342_22:
	s_or_b64 exec, exec, s[44:45]
	s_and_b64 s[44:45], s[46:47], exec
.LBB342_23:
	s_or_b64 exec, exec, s[42:43]
	s_and_b64 s[42:43], s[44:45], exec
.LBB342_24:
	s_or_b64 exec, exec, s[40:41]
	s_and_b64 s[40:41], s[42:43], exec
.LBB342_25:
	s_or_b64 exec, exec, s[38:39]
	s_and_b64 s[38:39], s[40:41], exec
.LBB342_26:
	s_or_b64 exec, exec, s[36:37]
	s_and_b64 s[36:37], s[38:39], exec
.LBB342_27:
	s_or_b64 exec, exec, s[34:35]
	s_and_b64 s[34:35], s[36:37], exec
.LBB342_28:
	s_or_b64 exec, exec, s[30:31]
	s_and_b64 s[30:31], s[34:35], exec
.LBB342_29:
	s_or_b64 exec, exec, s[28:29]
	s_and_b64 s[28:29], s[30:31], exec
.LBB342_30:
	s_or_b64 exec, exec, s[26:27]
	s_and_b64 s[26:27], s[28:29], exec
.LBB342_31:
	s_or_b64 exec, exec, s[24:25]
	s_and_b64 s[24:25], s[26:27], exec
.LBB342_32:
	s_or_b64 exec, exec, s[12:13]
	s_and_b64 s[12:13], s[24:25], exec
.LBB342_33:
	s_or_b64 exec, exec, s[10:11]
	s_and_b64 s[10:11], s[12:13], exec
.LBB342_34:
	s_or_b64 exec, exec, s[8:9]
	s_and_b64 s[8:9], s[10:11], exec
.LBB342_35:
	s_or_b64 exec, exec, s[6:7]
	s_and_b64 s[6:7], s[8:9], exec
.LBB342_36:
	s_or_b64 exec, exec, s[4:5]
	s_and_b64 s[0:1], s[6:7], exec
.LBB342_37:
	s_or_b64 exec, exec, s[2:3]
	s_cmp_eq_u32 s21, 0
	s_cselect_b64 s[2:3], -1, 0
	s_and_saveexec_b64 s[4:5], vcc
	s_cbranch_execnz .LBB342_55
; %bb.38:
	s_or_b64 exec, exec, s[4:5]
	v_cmp_gt_i32_e32 vcc, s20, v0
	s_and_saveexec_b64 s[4:5], vcc
	s_cbranch_execnz .LBB342_56
.LBB342_39:
	s_or_b64 exec, exec, s[4:5]
	v_cmp_gt_i32_e32 vcc, s20, v0
	s_and_saveexec_b64 s[4:5], vcc
	s_cbranch_execnz .LBB342_57
.LBB342_40:
	s_or_b64 exec, exec, s[4:5]
	v_cmp_gt_i32_e32 vcc, s20, v0
	s_and_saveexec_b64 s[4:5], vcc
	s_cbranch_execnz .LBB342_58
.LBB342_41:
	s_or_b64 exec, exec, s[4:5]
	v_cmp_gt_i32_e32 vcc, s20, v0
	s_and_saveexec_b64 s[4:5], vcc
	s_cbranch_execnz .LBB342_59
.LBB342_42:
	s_or_b64 exec, exec, s[4:5]
	v_cmp_gt_i32_e32 vcc, s20, v0
	s_and_saveexec_b64 s[4:5], vcc
	s_cbranch_execnz .LBB342_60
.LBB342_43:
	s_or_b64 exec, exec, s[4:5]
	v_cmp_gt_i32_e32 vcc, s20, v0
	s_and_saveexec_b64 s[4:5], vcc
	s_cbranch_execnz .LBB342_61
.LBB342_44:
	s_or_b64 exec, exec, s[4:5]
	v_cmp_gt_i32_e32 vcc, s20, v0
	s_and_saveexec_b64 s[4:5], vcc
	s_cbranch_execnz .LBB342_62
.LBB342_45:
	s_or_b64 exec, exec, s[4:5]
	v_cmp_gt_i32_e32 vcc, s20, v0
	s_and_saveexec_b64 s[4:5], vcc
	s_cbranch_execnz .LBB342_63
.LBB342_46:
	s_or_b64 exec, exec, s[4:5]
	v_cmp_gt_i32_e32 vcc, s20, v0
	s_and_saveexec_b64 s[4:5], vcc
	s_cbranch_execnz .LBB342_64
.LBB342_47:
	s_or_b64 exec, exec, s[4:5]
	v_cmp_gt_i32_e32 vcc, s20, v0
	s_and_saveexec_b64 s[4:5], vcc
	s_cbranch_execnz .LBB342_65
.LBB342_48:
	s_or_b64 exec, exec, s[4:5]
	v_cmp_gt_i32_e32 vcc, s20, v0
	s_and_saveexec_b64 s[4:5], vcc
	s_cbranch_execnz .LBB342_66
.LBB342_49:
	s_or_b64 exec, exec, s[4:5]
	v_cmp_gt_i32_e32 vcc, s20, v0
	s_and_saveexec_b64 s[4:5], vcc
	s_cbranch_execnz .LBB342_67
.LBB342_50:
	s_or_b64 exec, exec, s[4:5]
	v_cmp_gt_i32_e32 vcc, s20, v0
	s_and_saveexec_b64 s[4:5], vcc
	s_cbranch_execnz .LBB342_68
.LBB342_51:
	s_or_b64 exec, exec, s[4:5]
	v_cmp_gt_i32_e32 vcc, s20, v0
	s_and_saveexec_b64 s[4:5], vcc
	s_cbranch_execnz .LBB342_69
.LBB342_52:
	s_or_b64 exec, exec, s[4:5]
	v_cmp_gt_i32_e32 vcc, s20, v0
	s_and_saveexec_b64 s[4:5], vcc
	s_cbranch_execz .LBB342_54
.LBB342_53:
	s_xor_b64 s[0:1], s[2:3], s[0:1]
	v_cndmask_b32_e64 v1, 0, 1, s[0:1]
	v_add_u32_e32 v0, s14, v0
	global_store_byte v0, v1, s[16:17]
.LBB342_54:
	s_endpgm
.LBB342_55:
	s_waitcnt vmcnt(0)
	v_cmp_ne_u32_e32 vcc, v22, v26
	s_xor_b64 s[6:7], s[2:3], vcc
	v_cndmask_b32_e64 v0, 0, 1, s[6:7]
	global_store_byte v1, v0, s[16:17]
	v_mov_b32_e32 v0, v19
	s_or_b64 exec, exec, s[4:5]
	v_cmp_gt_i32_e32 vcc, s20, v0
	s_and_saveexec_b64 s[4:5], vcc
	s_cbranch_execz .LBB342_39
.LBB342_56:
	s_waitcnt vmcnt(0)
	v_cmp_ne_u32_e32 vcc, v25, v2
	s_xor_b64 s[6:7], s[2:3], vcc
	v_cndmask_b32_e64 v1, 0, 1, s[6:7]
	v_add_u32_e32 v2, s14, v0
	v_add_u32_e32 v0, 0x100, v0
	global_store_byte v2, v1, s[16:17]
	s_or_b64 exec, exec, s[4:5]
	v_cmp_gt_i32_e32 vcc, s20, v0
	s_and_saveexec_b64 s[4:5], vcc
	s_cbranch_execz .LBB342_40
.LBB342_57:
	s_waitcnt vmcnt(0)
	v_cmp_ne_u32_e32 vcc, v23, v3
	s_xor_b64 s[6:7], s[2:3], vcc
	v_cndmask_b32_e64 v1, 0, 1, s[6:7]
	v_add_u32_e32 v2, s14, v0
	v_add_u32_e32 v0, 0x100, v0
	global_store_byte v2, v1, s[16:17]
	s_or_b64 exec, exec, s[4:5]
	v_cmp_gt_i32_e32 vcc, s20, v0
	s_and_saveexec_b64 s[4:5], vcc
	s_cbranch_execz .LBB342_41
.LBB342_58:
	s_waitcnt vmcnt(0)
	v_cmp_ne_u32_e32 vcc, v21, v20
	s_xor_b64 s[6:7], s[2:3], vcc
	v_cndmask_b32_e64 v1, 0, 1, s[6:7]
	v_add_u32_e32 v2, s14, v0
	v_add_u32_e32 v0, 0x100, v0
	global_store_byte v2, v1, s[16:17]
	s_or_b64 exec, exec, s[4:5]
	v_cmp_gt_i32_e32 vcc, s20, v0
	s_and_saveexec_b64 s[4:5], vcc
	s_cbranch_execz .LBB342_42
.LBB342_59:
	s_waitcnt vmcnt(0)
	v_cmp_ne_u32_e32 vcc, v4, v24
	s_xor_b64 s[6:7], s[2:3], vcc
	v_cndmask_b32_e64 v1, 0, 1, s[6:7]
	v_add_u32_e32 v2, s14, v0
	v_add_u32_e32 v0, 0x100, v0
	global_store_byte v2, v1, s[16:17]
	s_or_b64 exec, exec, s[4:5]
	v_cmp_gt_i32_e32 vcc, s20, v0
	s_and_saveexec_b64 s[4:5], vcc
	s_cbranch_execz .LBB342_43
.LBB342_60:
	s_waitcnt vmcnt(0)
	v_cmp_ne_u32_e32 vcc, v27, v5
	s_xor_b64 s[6:7], s[2:3], vcc
	v_cndmask_b32_e64 v1, 0, 1, s[6:7]
	v_add_u32_e32 v2, s14, v0
	v_add_u32_e32 v0, 0x100, v0
	global_store_byte v2, v1, s[16:17]
	s_or_b64 exec, exec, s[4:5]
	v_cmp_gt_i32_e32 vcc, s20, v0
	s_and_saveexec_b64 s[4:5], vcc
	s_cbranch_execz .LBB342_44
.LBB342_61:
	s_waitcnt vmcnt(0)
	v_cmp_ne_u32_e32 vcc, v28, v6
	s_xor_b64 s[6:7], s[2:3], vcc
	v_cndmask_b32_e64 v1, 0, 1, s[6:7]
	v_add_u32_e32 v2, s14, v0
	v_add_u32_e32 v0, 0x100, v0
	global_store_byte v2, v1, s[16:17]
	s_or_b64 exec, exec, s[4:5]
	v_cmp_gt_i32_e32 vcc, s20, v0
	s_and_saveexec_b64 s[4:5], vcc
	s_cbranch_execz .LBB342_45
.LBB342_62:
	s_waitcnt vmcnt(0)
	v_cmp_ne_u32_e32 vcc, v29, v7
	s_xor_b64 s[6:7], s[2:3], vcc
	v_cndmask_b32_e64 v1, 0, 1, s[6:7]
	v_add_u32_e32 v2, s14, v0
	v_add_u32_e32 v0, 0x100, v0
	global_store_byte v2, v1, s[16:17]
	s_or_b64 exec, exec, s[4:5]
	v_cmp_gt_i32_e32 vcc, s20, v0
	s_and_saveexec_b64 s[4:5], vcc
	s_cbranch_execz .LBB342_46
.LBB342_63:
	s_waitcnt vmcnt(0)
	v_cmp_ne_u32_e32 vcc, v30, v8
	s_xor_b64 s[6:7], s[2:3], vcc
	v_cndmask_b32_e64 v1, 0, 1, s[6:7]
	v_add_u32_e32 v2, s14, v0
	v_add_u32_e32 v0, 0x100, v0
	global_store_byte v2, v1, s[16:17]
	s_or_b64 exec, exec, s[4:5]
	v_cmp_gt_i32_e32 vcc, s20, v0
	s_and_saveexec_b64 s[4:5], vcc
	s_cbranch_execz .LBB342_47
.LBB342_64:
	s_waitcnt vmcnt(0)
	v_cmp_ne_u32_e32 vcc, v31, v9
	s_xor_b64 s[6:7], s[2:3], vcc
	v_cndmask_b32_e64 v1, 0, 1, s[6:7]
	v_add_u32_e32 v2, s14, v0
	v_add_u32_e32 v0, 0x100, v0
	global_store_byte v2, v1, s[16:17]
	s_or_b64 exec, exec, s[4:5]
	v_cmp_gt_i32_e32 vcc, s20, v0
	s_and_saveexec_b64 s[4:5], vcc
	s_cbranch_execz .LBB342_48
.LBB342_65:
	s_waitcnt vmcnt(0)
	v_cmp_ne_u32_e32 vcc, v32, v10
	s_xor_b64 s[6:7], s[2:3], vcc
	v_cndmask_b32_e64 v1, 0, 1, s[6:7]
	v_add_u32_e32 v2, s14, v0
	v_add_u32_e32 v0, 0x100, v0
	global_store_byte v2, v1, s[16:17]
	s_or_b64 exec, exec, s[4:5]
	v_cmp_gt_i32_e32 vcc, s20, v0
	s_and_saveexec_b64 s[4:5], vcc
	s_cbranch_execz .LBB342_49
.LBB342_66:
	s_waitcnt vmcnt(0)
	v_cmp_ne_u32_e32 vcc, v33, v11
	s_xor_b64 s[6:7], s[2:3], vcc
	v_cndmask_b32_e64 v1, 0, 1, s[6:7]
	v_add_u32_e32 v2, s14, v0
	v_add_u32_e32 v0, 0x100, v0
	global_store_byte v2, v1, s[16:17]
	s_or_b64 exec, exec, s[4:5]
	v_cmp_gt_i32_e32 vcc, s20, v0
	s_and_saveexec_b64 s[4:5], vcc
	s_cbranch_execz .LBB342_50
.LBB342_67:
	s_waitcnt vmcnt(0)
	v_cmp_ne_u32_e32 vcc, v34, v12
	s_xor_b64 s[6:7], s[2:3], vcc
	v_cndmask_b32_e64 v1, 0, 1, s[6:7]
	v_add_u32_e32 v2, s14, v0
	v_add_u32_e32 v0, 0x100, v0
	global_store_byte v2, v1, s[16:17]
	s_or_b64 exec, exec, s[4:5]
	v_cmp_gt_i32_e32 vcc, s20, v0
	s_and_saveexec_b64 s[4:5], vcc
	s_cbranch_execz .LBB342_51
.LBB342_68:
	s_waitcnt vmcnt(0)
	v_cmp_ne_u32_e32 vcc, v35, v13
	s_xor_b64 s[6:7], s[2:3], vcc
	v_cndmask_b32_e64 v1, 0, 1, s[6:7]
	v_add_u32_e32 v2, s14, v0
	v_add_u32_e32 v0, 0x100, v0
	global_store_byte v2, v1, s[16:17]
	s_or_b64 exec, exec, s[4:5]
	v_cmp_gt_i32_e32 vcc, s20, v0
	s_and_saveexec_b64 s[4:5], vcc
	s_cbranch_execz .LBB342_52
.LBB342_69:
	s_waitcnt vmcnt(0)
	v_cmp_ne_u32_e32 vcc, v36, v14
	s_xor_b64 s[6:7], s[2:3], vcc
	v_cndmask_b32_e64 v1, 0, 1, s[6:7]
	v_add_u32_e32 v2, s14, v0
	v_add_u32_e32 v0, 0x100, v0
	global_store_byte v2, v1, s[16:17]
	s_or_b64 exec, exec, s[4:5]
	v_cmp_gt_i32_e32 vcc, s20, v0
	s_and_saveexec_b64 s[4:5], vcc
	s_cbranch_execnz .LBB342_53
	s_branch .LBB342_54
	.section	.rodata,"a",@progbits
	.p2align	6, 0x0
	.amdhsa_kernel _ZN2at6native29vectorized_elementwise_kernelILi8ENS0_13BinaryFunctorIjjbNS0_12_GLOBAL__N_116CompareEqFunctorIjEEEESt5arrayIPcLm3EEEEviT0_T1_
		.amdhsa_group_segment_fixed_size 0
		.amdhsa_private_segment_fixed_size 0
		.amdhsa_kernarg_size 32
		.amdhsa_user_sgpr_count 6
		.amdhsa_user_sgpr_private_segment_buffer 1
		.amdhsa_user_sgpr_dispatch_ptr 0
		.amdhsa_user_sgpr_queue_ptr 0
		.amdhsa_user_sgpr_kernarg_segment_ptr 1
		.amdhsa_user_sgpr_dispatch_id 0
		.amdhsa_user_sgpr_flat_scratch_init 0
		.amdhsa_user_sgpr_private_segment_size 0
		.amdhsa_uses_dynamic_stack 0
		.amdhsa_system_sgpr_private_segment_wavefront_offset 0
		.amdhsa_system_sgpr_workgroup_id_x 1
		.amdhsa_system_sgpr_workgroup_id_y 0
		.amdhsa_system_sgpr_workgroup_id_z 0
		.amdhsa_system_sgpr_workgroup_info 0
		.amdhsa_system_vgpr_workitem_id 0
		.amdhsa_next_free_vgpr 39
		.amdhsa_next_free_sgpr 48
		.amdhsa_reserve_vcc 1
		.amdhsa_reserve_flat_scratch 0
		.amdhsa_float_round_mode_32 0
		.amdhsa_float_round_mode_16_64 0
		.amdhsa_float_denorm_mode_32 3
		.amdhsa_float_denorm_mode_16_64 3
		.amdhsa_dx10_clamp 1
		.amdhsa_ieee_mode 1
		.amdhsa_fp16_overflow 0
		.amdhsa_exception_fp_ieee_invalid_op 0
		.amdhsa_exception_fp_denorm_src 0
		.amdhsa_exception_fp_ieee_div_zero 0
		.amdhsa_exception_fp_ieee_overflow 0
		.amdhsa_exception_fp_ieee_underflow 0
		.amdhsa_exception_fp_ieee_inexact 0
		.amdhsa_exception_int_div_zero 0
	.end_amdhsa_kernel
	.section	.text._ZN2at6native29vectorized_elementwise_kernelILi8ENS0_13BinaryFunctorIjjbNS0_12_GLOBAL__N_116CompareEqFunctorIjEEEESt5arrayIPcLm3EEEEviT0_T1_,"axG",@progbits,_ZN2at6native29vectorized_elementwise_kernelILi8ENS0_13BinaryFunctorIjjbNS0_12_GLOBAL__N_116CompareEqFunctorIjEEEESt5arrayIPcLm3EEEEviT0_T1_,comdat
.Lfunc_end342:
	.size	_ZN2at6native29vectorized_elementwise_kernelILi8ENS0_13BinaryFunctorIjjbNS0_12_GLOBAL__N_116CompareEqFunctorIjEEEESt5arrayIPcLm3EEEEviT0_T1_, .Lfunc_end342-_ZN2at6native29vectorized_elementwise_kernelILi8ENS0_13BinaryFunctorIjjbNS0_12_GLOBAL__N_116CompareEqFunctorIjEEEESt5arrayIPcLm3EEEEviT0_T1_
                                        ; -- End function
	.set _ZN2at6native29vectorized_elementwise_kernelILi8ENS0_13BinaryFunctorIjjbNS0_12_GLOBAL__N_116CompareEqFunctorIjEEEESt5arrayIPcLm3EEEEviT0_T1_.num_vgpr, 39
	.set _ZN2at6native29vectorized_elementwise_kernelILi8ENS0_13BinaryFunctorIjjbNS0_12_GLOBAL__N_116CompareEqFunctorIjEEEESt5arrayIPcLm3EEEEviT0_T1_.num_agpr, 0
	.set _ZN2at6native29vectorized_elementwise_kernelILi8ENS0_13BinaryFunctorIjjbNS0_12_GLOBAL__N_116CompareEqFunctorIjEEEESt5arrayIPcLm3EEEEviT0_T1_.numbered_sgpr, 48
	.set _ZN2at6native29vectorized_elementwise_kernelILi8ENS0_13BinaryFunctorIjjbNS0_12_GLOBAL__N_116CompareEqFunctorIjEEEESt5arrayIPcLm3EEEEviT0_T1_.num_named_barrier, 0
	.set _ZN2at6native29vectorized_elementwise_kernelILi8ENS0_13BinaryFunctorIjjbNS0_12_GLOBAL__N_116CompareEqFunctorIjEEEESt5arrayIPcLm3EEEEviT0_T1_.private_seg_size, 0
	.set _ZN2at6native29vectorized_elementwise_kernelILi8ENS0_13BinaryFunctorIjjbNS0_12_GLOBAL__N_116CompareEqFunctorIjEEEESt5arrayIPcLm3EEEEviT0_T1_.uses_vcc, 1
	.set _ZN2at6native29vectorized_elementwise_kernelILi8ENS0_13BinaryFunctorIjjbNS0_12_GLOBAL__N_116CompareEqFunctorIjEEEESt5arrayIPcLm3EEEEviT0_T1_.uses_flat_scratch, 0
	.set _ZN2at6native29vectorized_elementwise_kernelILi8ENS0_13BinaryFunctorIjjbNS0_12_GLOBAL__N_116CompareEqFunctorIjEEEESt5arrayIPcLm3EEEEviT0_T1_.has_dyn_sized_stack, 0
	.set _ZN2at6native29vectorized_elementwise_kernelILi8ENS0_13BinaryFunctorIjjbNS0_12_GLOBAL__N_116CompareEqFunctorIjEEEESt5arrayIPcLm3EEEEviT0_T1_.has_recursion, 0
	.set _ZN2at6native29vectorized_elementwise_kernelILi8ENS0_13BinaryFunctorIjjbNS0_12_GLOBAL__N_116CompareEqFunctorIjEEEESt5arrayIPcLm3EEEEviT0_T1_.has_indirect_call, 0
	.section	.AMDGPU.csdata,"",@progbits
; Kernel info:
; codeLenInByte = 4324
; TotalNumSgprs: 52
; NumVgprs: 39
; ScratchSize: 0
; MemoryBound: 0
; FloatMode: 240
; IeeeMode: 1
; LDSByteSize: 0 bytes/workgroup (compile time only)
; SGPRBlocks: 6
; VGPRBlocks: 9
; NumSGPRsForWavesPerEU: 52
; NumVGPRsForWavesPerEU: 39
; Occupancy: 6
; WaveLimiterHint : 1
; COMPUTE_PGM_RSRC2:SCRATCH_EN: 0
; COMPUTE_PGM_RSRC2:USER_SGPR: 6
; COMPUTE_PGM_RSRC2:TRAP_HANDLER: 0
; COMPUTE_PGM_RSRC2:TGID_X_EN: 1
; COMPUTE_PGM_RSRC2:TGID_Y_EN: 0
; COMPUTE_PGM_RSRC2:TGID_Z_EN: 0
; COMPUTE_PGM_RSRC2:TIDIG_COMP_CNT: 0
	.section	.text._ZN2at6native29vectorized_elementwise_kernelILi4ENS0_13BinaryFunctorIjjbNS0_12_GLOBAL__N_116CompareEqFunctorIjEEEESt5arrayIPcLm3EEEEviT0_T1_,"axG",@progbits,_ZN2at6native29vectorized_elementwise_kernelILi4ENS0_13BinaryFunctorIjjbNS0_12_GLOBAL__N_116CompareEqFunctorIjEEEESt5arrayIPcLm3EEEEviT0_T1_,comdat
	.globl	_ZN2at6native29vectorized_elementwise_kernelILi4ENS0_13BinaryFunctorIjjbNS0_12_GLOBAL__N_116CompareEqFunctorIjEEEESt5arrayIPcLm3EEEEviT0_T1_ ; -- Begin function _ZN2at6native29vectorized_elementwise_kernelILi4ENS0_13BinaryFunctorIjjbNS0_12_GLOBAL__N_116CompareEqFunctorIjEEEESt5arrayIPcLm3EEEEviT0_T1_
	.p2align	8
	.type	_ZN2at6native29vectorized_elementwise_kernelILi4ENS0_13BinaryFunctorIjjbNS0_12_GLOBAL__N_116CompareEqFunctorIjEEEESt5arrayIPcLm3EEEEviT0_T1_,@function
_ZN2at6native29vectorized_elementwise_kernelILi4ENS0_13BinaryFunctorIjjbNS0_12_GLOBAL__N_116CompareEqFunctorIjEEEESt5arrayIPcLm3EEEEviT0_T1_: ; @_ZN2at6native29vectorized_elementwise_kernelILi4ENS0_13BinaryFunctorIjjbNS0_12_GLOBAL__N_116CompareEqFunctorIjEEEESt5arrayIPcLm3EEEEviT0_T1_
; %bb.0:
	s_load_dwordx2 s[18:19], s[4:5], 0x0
	s_load_dwordx4 s[12:15], s[4:5], 0x8
	s_load_dwordx2 s[20:21], s[4:5], 0x18
	s_lshl_b32 s16, s6, 12
	s_mov_b64 s[0:1], -1
	s_waitcnt lgkmcnt(0)
	s_sub_i32 s18, s18, s16
	s_cmpk_gt_i32 s18, 0xfff
	s_cbranch_scc0 .LBB343_2
; %bb.1:
	s_ashr_i32 s17, s16, 31
	s_lshl_b64 s[0:1], s[16:17], 2
	s_add_u32 s2, s14, s0
	s_addc_u32 s3, s15, s1
	v_lshlrev_b32_e32 v13, 4, v0
	v_mov_b32_e32 v1, s3
	v_add_co_u32_e32 v14, vcc, s2, v13
	v_addc_co_u32_e32 v30, vcc, 0, v1, vcc
	v_add_co_u32_e32 v1, vcc, 0x1000, v14
	v_addc_co_u32_e32 v2, vcc, 0, v30, vcc
	s_add_u32 s4, s20, s0
	v_add_co_u32_e32 v25, vcc, 0x2000, v14
	s_addc_u32 s5, s21, s1
	global_load_dwordx4 v[1:4], v[1:2], off
	s_nop 0
	global_load_dwordx4 v[5:8], v13, s[2:3]
	global_load_dwordx4 v[9:12], v13, s[4:5]
	s_mov_b64 s[0:1], vcc
	v_add_co_u32_e32 v27, vcc, 0x3000, v14
	v_mov_b32_e32 v14, s5
	v_add_co_u32_e64 v31, s[2:3], s4, v13
	s_movk_i32 s6, 0x2000
	v_addc_co_u32_e64 v32, s[2:3], 0, v14, s[2:3]
	s_mov_b64 s[2:3], vcc
	v_add_co_u32_e32 v28, vcc, s6, v31
	v_addc_co_u32_e32 v29, vcc, 0, v32, vcc
	global_load_dwordx4 v[13:16], v[28:29], off offset:-4096
	v_addc_co_u32_e64 v26, vcc, 0, v30, s[0:1]
	global_load_dwordx4 v[17:20], v[25:26], off
	global_load_dwordx4 v[21:24], v[28:29], off
	s_movk_i32 s0, 0x3000
	v_addc_co_u32_e64 v28, vcc, 0, v30, s[2:3]
	v_add_co_u32_e32 v29, vcc, s0, v31
	v_addc_co_u32_e32 v30, vcc, 0, v32, vcc
	global_load_dwordx4 v[25:28], v[27:28], off
	s_cmp_eq_u32 s19, 0
	global_load_dwordx4 v[29:32], v[29:30], off
	s_cselect_b64 s[22:23], -1, 0
	v_mov_b32_e32 v33, 0x100
	v_mov_b32_e32 v34, 0x10000
	;; [unrolled: 1-line block ×3, first 2 shown]
	s_waitcnt vmcnt(5)
	v_cmp_ne_u32_e32 vcc, v5, v9
	v_cmp_ne_u32_e64 s[0:1], v6, v10
	v_cmp_ne_u32_e64 s[2:3], v7, v11
	s_xor_b64 s[6:7], s[22:23], vcc
	s_xor_b64 vcc, s[22:23], s[0:1]
	v_cmp_ne_u32_e64 s[4:5], v8, v12
	v_cndmask_b32_e32 v6, 0, v33, vcc
	s_xor_b64 vcc, s[22:23], s[2:3]
	v_cndmask_b32_e32 v7, 0, v34, vcc
	s_xor_b64 vcc, s[22:23], s[4:5]
	v_cndmask_b32_e32 v8, 0, v35, vcc
	v_cndmask_b32_e64 v5, 0, 1, s[6:7]
	v_or_b32_e32 v5, v6, v5
	v_or3_b32 v5, v5, v7, v8
	s_waitcnt vmcnt(4)
	v_cmp_ne_u32_e32 vcc, v1, v13
	v_cmp_ne_u32_e64 s[0:1], v2, v14
	v_cmp_ne_u32_e64 s[2:3], v3, v15
	s_xor_b64 s[24:25], s[22:23], vcc
	s_xor_b64 vcc, s[22:23], s[0:1]
	v_cmp_ne_u32_e64 s[4:5], v4, v16
	v_cndmask_b32_e32 v2, 0, v33, vcc
	s_xor_b64 vcc, s[22:23], s[2:3]
	s_waitcnt vmcnt(2)
	v_cmp_ne_u32_e64 s[8:9], v18, v22
	v_cndmask_b32_e32 v3, 0, v34, vcc
	s_xor_b64 vcc, s[22:23], s[4:5]
	v_cmp_ne_u32_e64 s[10:11], v19, v23
	v_cndmask_b32_e64 v1, 0, 1, s[24:25]
	v_cndmask_b32_e32 v4, 0, v35, vcc
	s_xor_b64 vcc, s[22:23], s[8:9]
	v_cndmask_b32_e32 v7, 0, v33, vcc
	v_or_b32_e32 v1, v2, v1
	s_xor_b64 vcc, s[22:23], s[10:11]
	v_or3_b32 v1, v1, v3, v4
	v_cndmask_b32_e32 v3, 0, v34, vcc
	v_cmp_ne_u32_e32 vcc, v20, v24
	v_cmp_ne_u32_e64 s[6:7], v17, v21
	s_xor_b64 vcc, s[22:23], vcc
	s_xor_b64 s[0:1], s[22:23], s[6:7]
	v_cndmask_b32_e32 v4, 0, v35, vcc
	s_waitcnt vmcnt(0)
	v_cmp_ne_u32_e32 vcc, v25, v29
	v_cndmask_b32_e64 v6, 0, 1, s[0:1]
	s_xor_b64 s[0:1], s[22:23], vcc
	v_cmp_ne_u32_e32 vcc, v26, v30
	v_or_b32_e32 v2, v7, v6
	s_xor_b64 vcc, s[22:23], vcc
	v_or3_b32 v2, v2, v3, v4
	v_cndmask_b32_e32 v4, 0, v33, vcc
	v_cmp_ne_u32_e32 vcc, v27, v31
	v_cndmask_b32_e64 v3, 0, 1, s[0:1]
	s_xor_b64 vcc, s[22:23], vcc
	v_or_b32_e32 v3, v4, v3
	v_cndmask_b32_e32 v4, 0, v34, vcc
	v_cmp_ne_u32_e32 vcc, v28, v32
	s_xor_b64 vcc, s[22:23], vcc
	v_cndmask_b32_e32 v6, 0, v35, vcc
	s_add_u32 s0, s12, s16
	v_or3_b32 v3, v3, v4, v6
	s_addc_u32 s1, s13, s17
	v_lshlrev_b32_e32 v4, 2, v0
	global_store_dword v4, v5, s[0:1]
	global_store_dword v4, v1, s[0:1] offset:1024
	global_store_dword v4, v2, s[0:1] offset:2048
	;; [unrolled: 1-line block ×3, first 2 shown]
	s_mov_b64 s[0:1], 0
.LBB343_2:
	s_andn2_b64 vcc, exec, s[0:1]
	s_cbranch_vccnz .LBB343_54
; %bb.3:
	v_cmp_gt_i32_e32 vcc, s18, v0
	v_cmp_le_i32_e64 s[0:1], s18, v0
                                        ; implicit-def: $vgpr19
	s_and_saveexec_b64 s[2:3], s[0:1]
	s_xor_b64 s[0:1], exec, s[2:3]
; %bb.4:
	v_or_b32_e32 v19, 0x100, v0
; %bb.5:
	s_or_saveexec_b64 s[2:3], s[0:1]
	v_mov_b32_e32 v36, 0
	s_mov_b64 s[0:1], 0
	v_or_b32_e32 v1, s16, v0
	v_mov_b32_e32 v35, 0
	v_mov_b32_e32 v34, 0
	v_mov_b32_e32 v33, 0
	v_mov_b32_e32 v32, 0
	v_mov_b32_e32 v31, 0
	v_mov_b32_e32 v30, 0
	v_mov_b32_e32 v29, 0
	v_mov_b32_e32 v28, 0
	v_mov_b32_e32 v27, 0
	v_mov_b32_e32 v4, 0
	v_mov_b32_e32 v24, 0
	v_mov_b32_e32 v21, 0
	v_mov_b32_e32 v20, 0
	v_mov_b32_e32 v23, 0
	v_mov_b32_e32 v25, 0
	v_mov_b32_e32 v2, 0
	v_mov_b32_e32 v22, 0
	v_mov_b32_e32 v26, 0
	v_mov_b32_e32 v14, 0
	v_mov_b32_e32 v13, 0
	v_mov_b32_e32 v12, 0
	v_mov_b32_e32 v11, 0
	v_mov_b32_e32 v10, 0
	v_mov_b32_e32 v9, 0
	v_mov_b32_e32 v8, 0
	v_mov_b32_e32 v7, 0
	v_mov_b32_e32 v6, 0
	v_mov_b32_e32 v5, 0
	v_mov_b32_e32 v3, 0
	s_xor_b64 exec, exec, s[2:3]
	s_cbranch_execz .LBB343_37
; %bb.6:
	v_mov_b32_e32 v2, 0
	v_lshlrev_b64 v[3:4], 2, v[1:2]
	v_mov_b32_e32 v6, s15
	v_add_co_u32_e64 v5, s[0:1], s14, v3
	v_addc_co_u32_e64 v6, s[0:1], v6, v4, s[0:1]
	global_load_dword v22, v[5:6], off
	v_mov_b32_e32 v5, s21
	v_add_co_u32_e64 v3, s[0:1], s20, v3
	v_addc_co_u32_e64 v4, s[0:1], v5, v4, s[0:1]
	global_load_dword v26, v[3:4], off
	v_or_b32_e32 v19, 0x100, v0
	v_cmp_gt_u32_e64 s[0:1], s18, v19
	s_mov_b64 s[6:7], 0
	v_mov_b32_e32 v25, v2
	v_mov_b32_e32 v3, v2
	;; [unrolled: 1-line block ×27, first 2 shown]
	s_and_saveexec_b64 s[4:5], s[0:1]
	s_cbranch_execz .LBB343_36
; %bb.7:
	v_add_u32_e32 v2, s16, v0
	v_mov_b32_e32 v3, 0
	v_lshlrev_b64 v[4:5], 2, v[2:3]
	v_mov_b32_e32 v2, s15
	v_add_co_u32_e64 v15, s[0:1], s14, v4
	v_addc_co_u32_e64 v16, s[0:1], v2, v5, s[0:1]
	v_mov_b32_e32 v2, s21
	v_add_co_u32_e64 v17, s[0:1], s20, v4
	v_addc_co_u32_e64 v18, s[0:1], v2, v5, s[0:1]
	global_load_dword v25, v[15:16], off offset:1024
	global_load_dword v2, v[17:18], off offset:1024
	v_or_b32_e32 v4, 0x200, v0
	v_cmp_gt_u32_e64 s[0:1], s18, v4
	s_mov_b64 s[8:9], 0
	v_mov_b32_e32 v23, v3
	v_mov_b32_e32 v20, v3
	;; [unrolled: 1-line block ×25, first 2 shown]
	s_and_saveexec_b64 s[6:7], s[0:1]
	s_cbranch_execz .LBB343_35
; %bb.8:
	global_load_dword v23, v[15:16], off offset:2048
	global_load_dword v3, v[17:18], off offset:2048
	v_or_b32_e32 v4, 0x300, v0
	v_cmp_gt_u32_e64 s[0:1], s18, v4
	s_mov_b64 s[10:11], 0
	v_mov_b32_e32 v20, 0
	v_mov_b32_e32 v21, 0
	v_mov_b32_e32 v24, 0
	v_mov_b32_e32 v4, 0
	v_mov_b32_e32 v5, 0
	v_mov_b32_e32 v27, 0
	v_mov_b32_e32 v6, 0
	v_mov_b32_e32 v28, 0
	v_mov_b32_e32 v7, 0
	v_mov_b32_e32 v29, 0
	v_mov_b32_e32 v8, 0
	v_mov_b32_e32 v30, 0
	v_mov_b32_e32 v9, 0
	v_mov_b32_e32 v31, 0
	v_mov_b32_e32 v10, 0
	v_mov_b32_e32 v32, 0
	v_mov_b32_e32 v11, 0
	v_mov_b32_e32 v33, 0
	v_mov_b32_e32 v34, 0
	v_mov_b32_e32 v35, 0
	v_mov_b32_e32 v36, 0
	v_mov_b32_e32 v12, 0
	v_mov_b32_e32 v13, 0
	v_mov_b32_e32 v14, 0
	s_and_saveexec_b64 s[8:9], s[0:1]
	s_cbranch_execz .LBB343_34
; %bb.9:
	global_load_dword v21, v[15:16], off offset:3072
	global_load_dword v20, v[17:18], off offset:3072
	v_or_b32_e32 v15, 0x400, v0
	v_cmp_gt_u32_e64 s[0:1], s18, v15
	s_mov_b64 s[22:23], 0
	v_mov_b32_e32 v24, 0
	v_mov_b32_e32 v4, 0
	;; [unrolled: 1-line block ×22, first 2 shown]
	s_and_saveexec_b64 s[10:11], s[0:1]
	s_cbranch_execz .LBB343_33
; %bb.10:
	v_or_b32_e32 v4, s16, v15
	v_mov_b32_e32 v5, 0
	v_lshlrev_b64 v[6:7], 2, v[4:5]
	v_mov_b32_e32 v4, s15
	v_add_co_u32_e64 v8, s[0:1], s14, v6
	v_addc_co_u32_e64 v9, s[0:1], v4, v7, s[0:1]
	global_load_dword v4, v[8:9], off
	v_mov_b32_e32 v8, s21
	v_add_co_u32_e64 v6, s[0:1], s20, v6
	v_addc_co_u32_e64 v7, s[0:1], v8, v7, s[0:1]
	global_load_dword v24, v[6:7], off
	v_or_b32_e32 v15, 0x500, v0
	v_cmp_gt_u32_e64 s[0:1], s18, v15
	s_mov_b64 s[24:25], 0
	v_mov_b32_e32 v27, v5
	v_mov_b32_e32 v6, v5
	;; [unrolled: 1-line block ×19, first 2 shown]
	s_and_saveexec_b64 s[22:23], s[0:1]
	s_cbranch_execz .LBB343_32
; %bb.11:
	v_or_b32_e32 v5, s16, v15
	v_mov_b32_e32 v6, 0
	v_lshlrev_b64 v[7:8], 2, v[5:6]
	v_mov_b32_e32 v5, s15
	v_add_co_u32_e64 v9, s[0:1], s14, v7
	v_addc_co_u32_e64 v10, s[0:1], v5, v8, s[0:1]
	v_mov_b32_e32 v5, s21
	v_add_co_u32_e64 v7, s[0:1], s20, v7
	v_addc_co_u32_e64 v8, s[0:1], v5, v8, s[0:1]
	global_load_dword v27, v[9:10], off
	global_load_dword v5, v[7:8], off
	v_or_b32_e32 v15, 0x600, v0
	v_cmp_gt_u32_e64 s[0:1], s18, v15
	s_mov_b64 s[26:27], 0
	v_mov_b32_e32 v28, v6
	v_mov_b32_e32 v7, v6
	;; [unrolled: 1-line block ×17, first 2 shown]
	s_and_saveexec_b64 s[24:25], s[0:1]
	s_cbranch_execz .LBB343_31
; %bb.12:
	v_or_b32_e32 v6, s16, v15
	v_mov_b32_e32 v7, 0
	v_lshlrev_b64 v[8:9], 2, v[6:7]
	v_mov_b32_e32 v6, s15
	v_add_co_u32_e64 v10, s[0:1], s14, v8
	v_addc_co_u32_e64 v11, s[0:1], v6, v9, s[0:1]
	v_mov_b32_e32 v6, s21
	v_add_co_u32_e64 v8, s[0:1], s20, v8
	v_addc_co_u32_e64 v9, s[0:1], v6, v9, s[0:1]
	global_load_dword v28, v[10:11], off
	global_load_dword v6, v[8:9], off
	v_or_b32_e32 v15, 0x700, v0
	v_cmp_gt_u32_e64 s[0:1], s18, v15
	s_mov_b64 s[28:29], 0
	v_mov_b32_e32 v29, v7
	v_mov_b32_e32 v8, v7
	;; [unrolled: 1-line block ×15, first 2 shown]
	s_and_saveexec_b64 s[26:27], s[0:1]
	s_cbranch_execz .LBB343_30
; %bb.13:
	v_or_b32_e32 v7, s16, v15
	v_mov_b32_e32 v8, 0
	v_lshlrev_b64 v[9:10], 2, v[7:8]
	v_mov_b32_e32 v7, s15
	v_add_co_u32_e64 v11, s[0:1], s14, v9
	v_addc_co_u32_e64 v12, s[0:1], v7, v10, s[0:1]
	v_mov_b32_e32 v7, s21
	v_add_co_u32_e64 v9, s[0:1], s20, v9
	v_addc_co_u32_e64 v10, s[0:1], v7, v10, s[0:1]
	global_load_dword v29, v[11:12], off
	global_load_dword v7, v[9:10], off
	v_or_b32_e32 v15, 0x800, v0
	v_cmp_gt_u32_e64 s[0:1], s18, v15
	s_mov_b64 s[30:31], 0
	v_mov_b32_e32 v30, v8
	v_mov_b32_e32 v9, v8
	v_mov_b32_e32 v31, v8
	v_mov_b32_e32 v10, v8
	v_mov_b32_e32 v32, v8
	v_mov_b32_e32 v11, v8
	v_mov_b32_e32 v33, v8
	v_mov_b32_e32 v12, v8
	v_mov_b32_e32 v34, v8
	v_mov_b32_e32 v13, v8
	v_mov_b32_e32 v35, v8
	v_mov_b32_e32 v14, v8
	v_mov_b32_e32 v36, v8
	s_and_saveexec_b64 s[28:29], s[0:1]
	s_cbranch_execz .LBB343_29
; %bb.14:
	v_or_b32_e32 v8, s16, v15
	v_mov_b32_e32 v9, 0
	v_lshlrev_b64 v[10:11], 2, v[8:9]
	v_mov_b32_e32 v8, s15
	v_add_co_u32_e64 v12, s[0:1], s14, v10
	v_addc_co_u32_e64 v13, s[0:1], v8, v11, s[0:1]
	v_mov_b32_e32 v8, s21
	v_add_co_u32_e64 v10, s[0:1], s20, v10
	v_addc_co_u32_e64 v11, s[0:1], v8, v11, s[0:1]
	global_load_dword v30, v[12:13], off
	global_load_dword v8, v[10:11], off
	v_or_b32_e32 v15, 0x900, v0
	v_cmp_gt_u32_e64 s[0:1], s18, v15
	s_mov_b64 s[34:35], 0
	v_mov_b32_e32 v31, v9
	v_mov_b32_e32 v10, v9
	;; [unrolled: 1-line block ×11, first 2 shown]
	s_and_saveexec_b64 s[30:31], s[0:1]
	s_cbranch_execz .LBB343_28
; %bb.15:
	v_or_b32_e32 v9, s16, v15
	v_mov_b32_e32 v10, 0
	v_lshlrev_b64 v[11:12], 2, v[9:10]
	v_mov_b32_e32 v9, s15
	v_add_co_u32_e64 v13, s[0:1], s14, v11
	v_addc_co_u32_e64 v14, s[0:1], v9, v12, s[0:1]
	v_mov_b32_e32 v9, s21
	v_add_co_u32_e64 v11, s[0:1], s20, v11
	v_addc_co_u32_e64 v12, s[0:1], v9, v12, s[0:1]
	global_load_dword v31, v[13:14], off
	global_load_dword v9, v[11:12], off
	v_or_b32_e32 v15, 0xa00, v0
	v_cmp_gt_u32_e64 s[0:1], s18, v15
	s_mov_b64 s[36:37], 0
	v_mov_b32_e32 v32, v10
	v_mov_b32_e32 v11, v10
	;; [unrolled: 1-line block ×9, first 2 shown]
	s_and_saveexec_b64 s[34:35], s[0:1]
	s_cbranch_execz .LBB343_27
; %bb.16:
	v_or_b32_e32 v10, s16, v15
	v_mov_b32_e32 v11, 0
	v_lshlrev_b64 v[12:13], 2, v[10:11]
	v_mov_b32_e32 v10, s15
	v_add_co_u32_e64 v14, s[0:1], s14, v12
	v_addc_co_u32_e64 v15, s[0:1], v10, v13, s[0:1]
	v_mov_b32_e32 v10, s21
	v_add_co_u32_e64 v12, s[0:1], s20, v12
	v_addc_co_u32_e64 v13, s[0:1], v10, v13, s[0:1]
	global_load_dword v32, v[14:15], off
	global_load_dword v10, v[12:13], off
	v_or_b32_e32 v15, 0xb00, v0
	v_cmp_gt_u32_e64 s[0:1], s18, v15
	s_mov_b64 s[38:39], 0
	v_mov_b32_e32 v33, v11
	v_mov_b32_e32 v12, v11
	;; [unrolled: 1-line block ×7, first 2 shown]
	s_and_saveexec_b64 s[36:37], s[0:1]
	s_cbranch_execz .LBB343_26
; %bb.17:
	v_or_b32_e32 v11, s16, v15
	v_mov_b32_e32 v12, 0
	v_lshlrev_b64 v[13:14], 2, v[11:12]
	v_mov_b32_e32 v11, s15
	v_add_co_u32_e64 v15, s[0:1], s14, v13
	v_addc_co_u32_e64 v16, s[0:1], v11, v14, s[0:1]
	v_mov_b32_e32 v11, s21
	v_add_co_u32_e64 v13, s[0:1], s20, v13
	v_addc_co_u32_e64 v14, s[0:1], v11, v14, s[0:1]
	global_load_dword v33, v[15:16], off
	global_load_dword v11, v[13:14], off
	v_or_b32_e32 v15, 0xc00, v0
	v_cmp_gt_u32_e64 s[0:1], s18, v15
	s_mov_b64 s[40:41], 0
	v_mov_b32_e32 v34, v12
	v_mov_b32_e32 v13, v12
	;; [unrolled: 1-line block ×5, first 2 shown]
	s_and_saveexec_b64 s[38:39], s[0:1]
	s_cbranch_execz .LBB343_25
; %bb.18:
	v_or_b32_e32 v12, s16, v15
	v_mov_b32_e32 v13, 0
	v_lshlrev_b64 v[14:15], 2, v[12:13]
	v_mov_b32_e32 v12, s15
	v_add_co_u32_e64 v16, s[0:1], s14, v14
	v_addc_co_u32_e64 v17, s[0:1], v12, v15, s[0:1]
	v_mov_b32_e32 v12, s21
	v_add_co_u32_e64 v14, s[0:1], s20, v14
	v_addc_co_u32_e64 v15, s[0:1], v12, v15, s[0:1]
	global_load_dword v34, v[16:17], off
	global_load_dword v12, v[14:15], off
	v_or_b32_e32 v15, 0xd00, v0
	v_cmp_gt_u32_e64 s[0:1], s18, v15
	s_mov_b64 s[42:43], 0
	v_mov_b32_e32 v35, v13
	v_mov_b32_e32 v14, v13
	v_mov_b32_e32 v36, v13
	s_and_saveexec_b64 s[40:41], s[0:1]
	s_cbranch_execz .LBB343_24
; %bb.19:
	v_add_u32_e32 v13, s16, v15
	v_mov_b32_e32 v14, 0
	v_lshlrev_b64 v[15:16], 2, v[13:14]
	v_mov_b32_e32 v13, s15
	v_add_co_u32_e64 v17, s[0:1], s14, v15
	v_addc_co_u32_e64 v18, s[0:1], v13, v16, s[0:1]
	v_mov_b32_e32 v13, s21
	v_add_co_u32_e64 v15, s[0:1], s20, v15
	v_addc_co_u32_e64 v16, s[0:1], v13, v16, s[0:1]
	global_load_dword v35, v[17:18], off
	global_load_dword v13, v[15:16], off
	v_or_b32_e32 v15, 0xe00, v0
	v_cmp_gt_u32_e64 s[0:1], s18, v15
	s_mov_b64 s[44:45], 0
	v_mov_b32_e32 v36, v14
	s_and_saveexec_b64 s[42:43], s[0:1]
	s_cbranch_execz .LBB343_23
; %bb.20:
	v_add_u32_e32 v15, s16, v15
	v_mov_b32_e32 v16, 0
	v_lshlrev_b64 v[14:15], 2, v[15:16]
	v_mov_b32_e32 v18, s15
	v_add_co_u32_e64 v17, s[0:1], s14, v14
	v_addc_co_u32_e64 v18, s[0:1], v18, v15, s[0:1]
	global_load_dword v36, v[17:18], off
	v_mov_b32_e32 v17, s21
	v_add_co_u32_e64 v14, s[0:1], s20, v14
	v_addc_co_u32_e64 v15, s[0:1], v17, v15, s[0:1]
	global_load_dword v14, v[14:15], off
	v_or_b32_e32 v15, 0xf00, v0
	v_cmp_gt_u32_e64 s[0:1], s18, v15
	s_mov_b64 s[46:47], 0
	s_and_saveexec_b64 s[44:45], s[0:1]
	s_cbranch_execz .LBB343_22
; %bb.21:
	v_add_u32_e32 v15, s16, v15
	v_lshlrev_b64 v[15:16], 2, v[15:16]
	v_mov_b32_e32 v18, s21
	v_add_co_u32_e64 v17, s[0:1], s20, v15
	v_addc_co_u32_e64 v18, s[0:1], v18, v16, s[0:1]
	v_mov_b32_e32 v37, s15
	v_add_co_u32_e64 v15, s[0:1], s14, v15
	v_addc_co_u32_e64 v16, s[0:1], v37, v16, s[0:1]
	global_load_dword v37, v[15:16], off
	global_load_dword v38, v[17:18], off
	s_waitcnt vmcnt(0)
	v_cmp_ne_u32_e64 s[0:1], v37, v38
	s_and_b64 s[46:47], s[0:1], exec
.LBB343_22:
	s_or_b64 exec, exec, s[44:45]
	s_and_b64 s[44:45], s[46:47], exec
.LBB343_23:
	s_or_b64 exec, exec, s[42:43]
	s_and_b64 s[42:43], s[44:45], exec
.LBB343_24:
	s_or_b64 exec, exec, s[40:41]
	s_and_b64 s[40:41], s[42:43], exec
.LBB343_25:
	s_or_b64 exec, exec, s[38:39]
	s_and_b64 s[38:39], s[40:41], exec
.LBB343_26:
	s_or_b64 exec, exec, s[36:37]
	s_and_b64 s[36:37], s[38:39], exec
.LBB343_27:
	s_or_b64 exec, exec, s[34:35]
	s_and_b64 s[34:35], s[36:37], exec
.LBB343_28:
	s_or_b64 exec, exec, s[30:31]
	s_and_b64 s[30:31], s[34:35], exec
.LBB343_29:
	s_or_b64 exec, exec, s[28:29]
	s_and_b64 s[28:29], s[30:31], exec
.LBB343_30:
	s_or_b64 exec, exec, s[26:27]
	s_and_b64 s[26:27], s[28:29], exec
.LBB343_31:
	s_or_b64 exec, exec, s[24:25]
	s_and_b64 s[24:25], s[26:27], exec
.LBB343_32:
	s_or_b64 exec, exec, s[22:23]
	s_and_b64 s[22:23], s[24:25], exec
.LBB343_33:
	s_or_b64 exec, exec, s[10:11]
	s_and_b64 s[10:11], s[22:23], exec
.LBB343_34:
	s_or_b64 exec, exec, s[8:9]
	s_and_b64 s[8:9], s[10:11], exec
.LBB343_35:
	s_or_b64 exec, exec, s[6:7]
	s_and_b64 s[6:7], s[8:9], exec
.LBB343_36:
	s_or_b64 exec, exec, s[4:5]
	s_and_b64 s[0:1], s[6:7], exec
.LBB343_37:
	s_or_b64 exec, exec, s[2:3]
	s_cmp_eq_u32 s19, 0
	s_cselect_b64 s[2:3], -1, 0
	s_and_saveexec_b64 s[4:5], vcc
	s_cbranch_execnz .LBB343_55
; %bb.38:
	s_or_b64 exec, exec, s[4:5]
	v_cmp_gt_i32_e32 vcc, s18, v0
	s_and_saveexec_b64 s[4:5], vcc
	s_cbranch_execnz .LBB343_56
.LBB343_39:
	s_or_b64 exec, exec, s[4:5]
	v_cmp_gt_i32_e32 vcc, s18, v0
	s_and_saveexec_b64 s[4:5], vcc
	s_cbranch_execnz .LBB343_57
.LBB343_40:
	s_or_b64 exec, exec, s[4:5]
	v_cmp_gt_i32_e32 vcc, s18, v0
	s_and_saveexec_b64 s[4:5], vcc
	s_cbranch_execnz .LBB343_58
.LBB343_41:
	s_or_b64 exec, exec, s[4:5]
	v_cmp_gt_i32_e32 vcc, s18, v0
	s_and_saveexec_b64 s[4:5], vcc
	s_cbranch_execnz .LBB343_59
.LBB343_42:
	s_or_b64 exec, exec, s[4:5]
	v_cmp_gt_i32_e32 vcc, s18, v0
	s_and_saveexec_b64 s[4:5], vcc
	s_cbranch_execnz .LBB343_60
.LBB343_43:
	s_or_b64 exec, exec, s[4:5]
	v_cmp_gt_i32_e32 vcc, s18, v0
	s_and_saveexec_b64 s[4:5], vcc
	s_cbranch_execnz .LBB343_61
.LBB343_44:
	s_or_b64 exec, exec, s[4:5]
	v_cmp_gt_i32_e32 vcc, s18, v0
	s_and_saveexec_b64 s[4:5], vcc
	s_cbranch_execnz .LBB343_62
.LBB343_45:
	s_or_b64 exec, exec, s[4:5]
	v_cmp_gt_i32_e32 vcc, s18, v0
	s_and_saveexec_b64 s[4:5], vcc
	s_cbranch_execnz .LBB343_63
.LBB343_46:
	s_or_b64 exec, exec, s[4:5]
	v_cmp_gt_i32_e32 vcc, s18, v0
	s_and_saveexec_b64 s[4:5], vcc
	s_cbranch_execnz .LBB343_64
.LBB343_47:
	s_or_b64 exec, exec, s[4:5]
	v_cmp_gt_i32_e32 vcc, s18, v0
	s_and_saveexec_b64 s[4:5], vcc
	s_cbranch_execnz .LBB343_65
.LBB343_48:
	s_or_b64 exec, exec, s[4:5]
	v_cmp_gt_i32_e32 vcc, s18, v0
	s_and_saveexec_b64 s[4:5], vcc
	s_cbranch_execnz .LBB343_66
.LBB343_49:
	s_or_b64 exec, exec, s[4:5]
	v_cmp_gt_i32_e32 vcc, s18, v0
	s_and_saveexec_b64 s[4:5], vcc
	s_cbranch_execnz .LBB343_67
.LBB343_50:
	s_or_b64 exec, exec, s[4:5]
	v_cmp_gt_i32_e32 vcc, s18, v0
	s_and_saveexec_b64 s[4:5], vcc
	s_cbranch_execnz .LBB343_68
.LBB343_51:
	s_or_b64 exec, exec, s[4:5]
	v_cmp_gt_i32_e32 vcc, s18, v0
	s_and_saveexec_b64 s[4:5], vcc
	s_cbranch_execnz .LBB343_69
.LBB343_52:
	s_or_b64 exec, exec, s[4:5]
	v_cmp_gt_i32_e32 vcc, s18, v0
	s_and_saveexec_b64 s[4:5], vcc
	s_cbranch_execz .LBB343_54
.LBB343_53:
	s_xor_b64 s[0:1], s[2:3], s[0:1]
	v_cndmask_b32_e64 v1, 0, 1, s[0:1]
	v_add_u32_e32 v0, s16, v0
	global_store_byte v0, v1, s[12:13]
.LBB343_54:
	s_endpgm
.LBB343_55:
	s_waitcnt vmcnt(0)
	v_cmp_ne_u32_e32 vcc, v22, v26
	s_xor_b64 s[6:7], s[2:3], vcc
	v_cndmask_b32_e64 v0, 0, 1, s[6:7]
	global_store_byte v1, v0, s[12:13]
	v_mov_b32_e32 v0, v19
	s_or_b64 exec, exec, s[4:5]
	v_cmp_gt_i32_e32 vcc, s18, v0
	s_and_saveexec_b64 s[4:5], vcc
	s_cbranch_execz .LBB343_39
.LBB343_56:
	s_waitcnt vmcnt(0)
	v_cmp_ne_u32_e32 vcc, v25, v2
	s_xor_b64 s[6:7], s[2:3], vcc
	v_cndmask_b32_e64 v1, 0, 1, s[6:7]
	v_add_u32_e32 v2, s16, v0
	v_add_u32_e32 v0, 0x100, v0
	global_store_byte v2, v1, s[12:13]
	s_or_b64 exec, exec, s[4:5]
	v_cmp_gt_i32_e32 vcc, s18, v0
	s_and_saveexec_b64 s[4:5], vcc
	s_cbranch_execz .LBB343_40
.LBB343_57:
	s_waitcnt vmcnt(0)
	v_cmp_ne_u32_e32 vcc, v23, v3
	s_xor_b64 s[6:7], s[2:3], vcc
	v_cndmask_b32_e64 v1, 0, 1, s[6:7]
	v_add_u32_e32 v2, s16, v0
	v_add_u32_e32 v0, 0x100, v0
	global_store_byte v2, v1, s[12:13]
	s_or_b64 exec, exec, s[4:5]
	v_cmp_gt_i32_e32 vcc, s18, v0
	s_and_saveexec_b64 s[4:5], vcc
	s_cbranch_execz .LBB343_41
.LBB343_58:
	s_waitcnt vmcnt(0)
	v_cmp_ne_u32_e32 vcc, v21, v20
	s_xor_b64 s[6:7], s[2:3], vcc
	v_cndmask_b32_e64 v1, 0, 1, s[6:7]
	v_add_u32_e32 v2, s16, v0
	v_add_u32_e32 v0, 0x100, v0
	global_store_byte v2, v1, s[12:13]
	s_or_b64 exec, exec, s[4:5]
	v_cmp_gt_i32_e32 vcc, s18, v0
	s_and_saveexec_b64 s[4:5], vcc
	s_cbranch_execz .LBB343_42
.LBB343_59:
	s_waitcnt vmcnt(0)
	v_cmp_ne_u32_e32 vcc, v4, v24
	s_xor_b64 s[6:7], s[2:3], vcc
	v_cndmask_b32_e64 v1, 0, 1, s[6:7]
	v_add_u32_e32 v2, s16, v0
	v_add_u32_e32 v0, 0x100, v0
	global_store_byte v2, v1, s[12:13]
	s_or_b64 exec, exec, s[4:5]
	v_cmp_gt_i32_e32 vcc, s18, v0
	s_and_saveexec_b64 s[4:5], vcc
	s_cbranch_execz .LBB343_43
.LBB343_60:
	s_waitcnt vmcnt(0)
	v_cmp_ne_u32_e32 vcc, v27, v5
	s_xor_b64 s[6:7], s[2:3], vcc
	v_cndmask_b32_e64 v1, 0, 1, s[6:7]
	v_add_u32_e32 v2, s16, v0
	v_add_u32_e32 v0, 0x100, v0
	global_store_byte v2, v1, s[12:13]
	s_or_b64 exec, exec, s[4:5]
	v_cmp_gt_i32_e32 vcc, s18, v0
	s_and_saveexec_b64 s[4:5], vcc
	s_cbranch_execz .LBB343_44
.LBB343_61:
	s_waitcnt vmcnt(0)
	v_cmp_ne_u32_e32 vcc, v28, v6
	s_xor_b64 s[6:7], s[2:3], vcc
	v_cndmask_b32_e64 v1, 0, 1, s[6:7]
	v_add_u32_e32 v2, s16, v0
	v_add_u32_e32 v0, 0x100, v0
	global_store_byte v2, v1, s[12:13]
	s_or_b64 exec, exec, s[4:5]
	v_cmp_gt_i32_e32 vcc, s18, v0
	s_and_saveexec_b64 s[4:5], vcc
	s_cbranch_execz .LBB343_45
.LBB343_62:
	s_waitcnt vmcnt(0)
	v_cmp_ne_u32_e32 vcc, v29, v7
	s_xor_b64 s[6:7], s[2:3], vcc
	v_cndmask_b32_e64 v1, 0, 1, s[6:7]
	v_add_u32_e32 v2, s16, v0
	v_add_u32_e32 v0, 0x100, v0
	global_store_byte v2, v1, s[12:13]
	s_or_b64 exec, exec, s[4:5]
	v_cmp_gt_i32_e32 vcc, s18, v0
	s_and_saveexec_b64 s[4:5], vcc
	s_cbranch_execz .LBB343_46
.LBB343_63:
	s_waitcnt vmcnt(0)
	v_cmp_ne_u32_e32 vcc, v30, v8
	s_xor_b64 s[6:7], s[2:3], vcc
	v_cndmask_b32_e64 v1, 0, 1, s[6:7]
	v_add_u32_e32 v2, s16, v0
	v_add_u32_e32 v0, 0x100, v0
	global_store_byte v2, v1, s[12:13]
	s_or_b64 exec, exec, s[4:5]
	v_cmp_gt_i32_e32 vcc, s18, v0
	s_and_saveexec_b64 s[4:5], vcc
	s_cbranch_execz .LBB343_47
.LBB343_64:
	s_waitcnt vmcnt(0)
	v_cmp_ne_u32_e32 vcc, v31, v9
	s_xor_b64 s[6:7], s[2:3], vcc
	v_cndmask_b32_e64 v1, 0, 1, s[6:7]
	v_add_u32_e32 v2, s16, v0
	v_add_u32_e32 v0, 0x100, v0
	global_store_byte v2, v1, s[12:13]
	s_or_b64 exec, exec, s[4:5]
	v_cmp_gt_i32_e32 vcc, s18, v0
	s_and_saveexec_b64 s[4:5], vcc
	s_cbranch_execz .LBB343_48
.LBB343_65:
	s_waitcnt vmcnt(0)
	v_cmp_ne_u32_e32 vcc, v32, v10
	s_xor_b64 s[6:7], s[2:3], vcc
	v_cndmask_b32_e64 v1, 0, 1, s[6:7]
	v_add_u32_e32 v2, s16, v0
	v_add_u32_e32 v0, 0x100, v0
	global_store_byte v2, v1, s[12:13]
	s_or_b64 exec, exec, s[4:5]
	v_cmp_gt_i32_e32 vcc, s18, v0
	s_and_saveexec_b64 s[4:5], vcc
	s_cbranch_execz .LBB343_49
.LBB343_66:
	s_waitcnt vmcnt(0)
	v_cmp_ne_u32_e32 vcc, v33, v11
	s_xor_b64 s[6:7], s[2:3], vcc
	v_cndmask_b32_e64 v1, 0, 1, s[6:7]
	v_add_u32_e32 v2, s16, v0
	v_add_u32_e32 v0, 0x100, v0
	global_store_byte v2, v1, s[12:13]
	s_or_b64 exec, exec, s[4:5]
	v_cmp_gt_i32_e32 vcc, s18, v0
	s_and_saveexec_b64 s[4:5], vcc
	s_cbranch_execz .LBB343_50
.LBB343_67:
	s_waitcnt vmcnt(0)
	v_cmp_ne_u32_e32 vcc, v34, v12
	s_xor_b64 s[6:7], s[2:3], vcc
	v_cndmask_b32_e64 v1, 0, 1, s[6:7]
	v_add_u32_e32 v2, s16, v0
	v_add_u32_e32 v0, 0x100, v0
	global_store_byte v2, v1, s[12:13]
	s_or_b64 exec, exec, s[4:5]
	v_cmp_gt_i32_e32 vcc, s18, v0
	s_and_saveexec_b64 s[4:5], vcc
	s_cbranch_execz .LBB343_51
.LBB343_68:
	s_waitcnt vmcnt(0)
	v_cmp_ne_u32_e32 vcc, v35, v13
	s_xor_b64 s[6:7], s[2:3], vcc
	v_cndmask_b32_e64 v1, 0, 1, s[6:7]
	v_add_u32_e32 v2, s16, v0
	v_add_u32_e32 v0, 0x100, v0
	global_store_byte v2, v1, s[12:13]
	s_or_b64 exec, exec, s[4:5]
	v_cmp_gt_i32_e32 vcc, s18, v0
	s_and_saveexec_b64 s[4:5], vcc
	s_cbranch_execz .LBB343_52
.LBB343_69:
	s_waitcnt vmcnt(0)
	v_cmp_ne_u32_e32 vcc, v36, v14
	s_xor_b64 s[6:7], s[2:3], vcc
	v_cndmask_b32_e64 v1, 0, 1, s[6:7]
	v_add_u32_e32 v2, s16, v0
	v_add_u32_e32 v0, 0x100, v0
	global_store_byte v2, v1, s[12:13]
	s_or_b64 exec, exec, s[4:5]
	v_cmp_gt_i32_e32 vcc, s18, v0
	s_and_saveexec_b64 s[4:5], vcc
	s_cbranch_execnz .LBB343_53
	s_branch .LBB343_54
	.section	.rodata,"a",@progbits
	.p2align	6, 0x0
	.amdhsa_kernel _ZN2at6native29vectorized_elementwise_kernelILi4ENS0_13BinaryFunctorIjjbNS0_12_GLOBAL__N_116CompareEqFunctorIjEEEESt5arrayIPcLm3EEEEviT0_T1_
		.amdhsa_group_segment_fixed_size 0
		.amdhsa_private_segment_fixed_size 0
		.amdhsa_kernarg_size 32
		.amdhsa_user_sgpr_count 6
		.amdhsa_user_sgpr_private_segment_buffer 1
		.amdhsa_user_sgpr_dispatch_ptr 0
		.amdhsa_user_sgpr_queue_ptr 0
		.amdhsa_user_sgpr_kernarg_segment_ptr 1
		.amdhsa_user_sgpr_dispatch_id 0
		.amdhsa_user_sgpr_flat_scratch_init 0
		.amdhsa_user_sgpr_private_segment_size 0
		.amdhsa_uses_dynamic_stack 0
		.amdhsa_system_sgpr_private_segment_wavefront_offset 0
		.amdhsa_system_sgpr_workgroup_id_x 1
		.amdhsa_system_sgpr_workgroup_id_y 0
		.amdhsa_system_sgpr_workgroup_id_z 0
		.amdhsa_system_sgpr_workgroup_info 0
		.amdhsa_system_vgpr_workitem_id 0
		.amdhsa_next_free_vgpr 39
		.amdhsa_next_free_sgpr 48
		.amdhsa_reserve_vcc 1
		.amdhsa_reserve_flat_scratch 0
		.amdhsa_float_round_mode_32 0
		.amdhsa_float_round_mode_16_64 0
		.amdhsa_float_denorm_mode_32 3
		.amdhsa_float_denorm_mode_16_64 3
		.amdhsa_dx10_clamp 1
		.amdhsa_ieee_mode 1
		.amdhsa_fp16_overflow 0
		.amdhsa_exception_fp_ieee_invalid_op 0
		.amdhsa_exception_fp_denorm_src 0
		.amdhsa_exception_fp_ieee_div_zero 0
		.amdhsa_exception_fp_ieee_overflow 0
		.amdhsa_exception_fp_ieee_underflow 0
		.amdhsa_exception_fp_ieee_inexact 0
		.amdhsa_exception_int_div_zero 0
	.end_amdhsa_kernel
	.section	.text._ZN2at6native29vectorized_elementwise_kernelILi4ENS0_13BinaryFunctorIjjbNS0_12_GLOBAL__N_116CompareEqFunctorIjEEEESt5arrayIPcLm3EEEEviT0_T1_,"axG",@progbits,_ZN2at6native29vectorized_elementwise_kernelILi4ENS0_13BinaryFunctorIjjbNS0_12_GLOBAL__N_116CompareEqFunctorIjEEEESt5arrayIPcLm3EEEEviT0_T1_,comdat
.Lfunc_end343:
	.size	_ZN2at6native29vectorized_elementwise_kernelILi4ENS0_13BinaryFunctorIjjbNS0_12_GLOBAL__N_116CompareEqFunctorIjEEEESt5arrayIPcLm3EEEEviT0_T1_, .Lfunc_end343-_ZN2at6native29vectorized_elementwise_kernelILi4ENS0_13BinaryFunctorIjjbNS0_12_GLOBAL__N_116CompareEqFunctorIjEEEESt5arrayIPcLm3EEEEviT0_T1_
                                        ; -- End function
	.set _ZN2at6native29vectorized_elementwise_kernelILi4ENS0_13BinaryFunctorIjjbNS0_12_GLOBAL__N_116CompareEqFunctorIjEEEESt5arrayIPcLm3EEEEviT0_T1_.num_vgpr, 39
	.set _ZN2at6native29vectorized_elementwise_kernelILi4ENS0_13BinaryFunctorIjjbNS0_12_GLOBAL__N_116CompareEqFunctorIjEEEESt5arrayIPcLm3EEEEviT0_T1_.num_agpr, 0
	.set _ZN2at6native29vectorized_elementwise_kernelILi4ENS0_13BinaryFunctorIjjbNS0_12_GLOBAL__N_116CompareEqFunctorIjEEEESt5arrayIPcLm3EEEEviT0_T1_.numbered_sgpr, 48
	.set _ZN2at6native29vectorized_elementwise_kernelILi4ENS0_13BinaryFunctorIjjbNS0_12_GLOBAL__N_116CompareEqFunctorIjEEEESt5arrayIPcLm3EEEEviT0_T1_.num_named_barrier, 0
	.set _ZN2at6native29vectorized_elementwise_kernelILi4ENS0_13BinaryFunctorIjjbNS0_12_GLOBAL__N_116CompareEqFunctorIjEEEESt5arrayIPcLm3EEEEviT0_T1_.private_seg_size, 0
	.set _ZN2at6native29vectorized_elementwise_kernelILi4ENS0_13BinaryFunctorIjjbNS0_12_GLOBAL__N_116CompareEqFunctorIjEEEESt5arrayIPcLm3EEEEviT0_T1_.uses_vcc, 1
	.set _ZN2at6native29vectorized_elementwise_kernelILi4ENS0_13BinaryFunctorIjjbNS0_12_GLOBAL__N_116CompareEqFunctorIjEEEESt5arrayIPcLm3EEEEviT0_T1_.uses_flat_scratch, 0
	.set _ZN2at6native29vectorized_elementwise_kernelILi4ENS0_13BinaryFunctorIjjbNS0_12_GLOBAL__N_116CompareEqFunctorIjEEEESt5arrayIPcLm3EEEEviT0_T1_.has_dyn_sized_stack, 0
	.set _ZN2at6native29vectorized_elementwise_kernelILi4ENS0_13BinaryFunctorIjjbNS0_12_GLOBAL__N_116CompareEqFunctorIjEEEESt5arrayIPcLm3EEEEviT0_T1_.has_recursion, 0
	.set _ZN2at6native29vectorized_elementwise_kernelILi4ENS0_13BinaryFunctorIjjbNS0_12_GLOBAL__N_116CompareEqFunctorIjEEEESt5arrayIPcLm3EEEEviT0_T1_.has_indirect_call, 0
	.section	.AMDGPU.csdata,"",@progbits
; Kernel info:
; codeLenInByte = 4320
; TotalNumSgprs: 52
; NumVgprs: 39
; ScratchSize: 0
; MemoryBound: 0
; FloatMode: 240
; IeeeMode: 1
; LDSByteSize: 0 bytes/workgroup (compile time only)
; SGPRBlocks: 6
; VGPRBlocks: 9
; NumSGPRsForWavesPerEU: 52
; NumVGPRsForWavesPerEU: 39
; Occupancy: 6
; WaveLimiterHint : 1
; COMPUTE_PGM_RSRC2:SCRATCH_EN: 0
; COMPUTE_PGM_RSRC2:USER_SGPR: 6
; COMPUTE_PGM_RSRC2:TRAP_HANDLER: 0
; COMPUTE_PGM_RSRC2:TGID_X_EN: 1
; COMPUTE_PGM_RSRC2:TGID_Y_EN: 0
; COMPUTE_PGM_RSRC2:TGID_Z_EN: 0
; COMPUTE_PGM_RSRC2:TIDIG_COMP_CNT: 0
	.section	.text._ZN2at6native29vectorized_elementwise_kernelILi2ENS0_13BinaryFunctorIjjbNS0_12_GLOBAL__N_116CompareEqFunctorIjEEEESt5arrayIPcLm3EEEEviT0_T1_,"axG",@progbits,_ZN2at6native29vectorized_elementwise_kernelILi2ENS0_13BinaryFunctorIjjbNS0_12_GLOBAL__N_116CompareEqFunctorIjEEEESt5arrayIPcLm3EEEEviT0_T1_,comdat
	.globl	_ZN2at6native29vectorized_elementwise_kernelILi2ENS0_13BinaryFunctorIjjbNS0_12_GLOBAL__N_116CompareEqFunctorIjEEEESt5arrayIPcLm3EEEEviT0_T1_ ; -- Begin function _ZN2at6native29vectorized_elementwise_kernelILi2ENS0_13BinaryFunctorIjjbNS0_12_GLOBAL__N_116CompareEqFunctorIjEEEESt5arrayIPcLm3EEEEviT0_T1_
	.p2align	8
	.type	_ZN2at6native29vectorized_elementwise_kernelILi2ENS0_13BinaryFunctorIjjbNS0_12_GLOBAL__N_116CompareEqFunctorIjEEEESt5arrayIPcLm3EEEEviT0_T1_,@function
_ZN2at6native29vectorized_elementwise_kernelILi2ENS0_13BinaryFunctorIjjbNS0_12_GLOBAL__N_116CompareEqFunctorIjEEEESt5arrayIPcLm3EEEEviT0_T1_: ; @_ZN2at6native29vectorized_elementwise_kernelILi2ENS0_13BinaryFunctorIjjbNS0_12_GLOBAL__N_116CompareEqFunctorIjEEEESt5arrayIPcLm3EEEEviT0_T1_
; %bb.0:
	s_load_dwordx2 s[12:13], s[4:5], 0x0
	s_load_dwordx4 s[8:11], s[4:5], 0x8
	s_load_dwordx2 s[16:17], s[4:5], 0x18
	s_lshl_b32 s6, s6, 12
	s_mov_b64 s[0:1], -1
	s_waitcnt lgkmcnt(0)
	s_sub_i32 s12, s12, s6
	s_cmpk_gt_i32 s12, 0xfff
	s_cbranch_scc0 .LBB344_2
; %bb.1:
	s_ashr_i32 s7, s6, 31
	s_lshl_b64 s[2:3], s[6:7], 2
	s_add_u32 s4, s10, s2
	s_addc_u32 s5, s11, s3
	v_lshlrev_b32_e32 v8, 3, v0
	v_mov_b32_e32 v1, s5
	v_add_co_u32_e32 v7, vcc, s4, v8
	v_addc_co_u32_e32 v29, vcc, 0, v1, vcc
	v_add_co_u32_e32 v1, vcc, 0x1000, v7
	s_add_u32 s2, s16, s2
	v_addc_co_u32_e32 v2, vcc, 0, v29, vcc
	s_addc_u32 s3, s17, s3
	global_load_dwordx2 v[3:4], v[1:2], off
	global_load_dwordx2 v[5:6], v[1:2], off offset:2048
	v_add_co_u32_e32 v1, vcc, 0x2000, v7
	v_mov_b32_e32 v2, s3
	global_load_dwordx2 v[9:10], v8, s[4:5]
	global_load_dwordx2 v[11:12], v8, s[4:5] offset:2048
	global_load_dwordx2 v[13:14], v8, s[2:3]
	global_load_dwordx2 v[15:16], v8, s[2:3] offset:2048
	v_add_co_u32_e64 v30, s[2:3], s2, v8
	s_movk_i32 s14, 0x1000
	s_mov_b64 s[0:1], vcc
	v_add_co_u32_e32 v7, vcc, 0x3000, v7
	v_addc_co_u32_e64 v31, s[2:3], 0, v2, s[2:3]
	s_mov_b64 s[2:3], vcc
	v_add_co_u32_e32 v17, vcc, s14, v30
	s_movk_i32 s15, 0x2000
	v_addc_co_u32_e32 v18, vcc, 0, v31, vcc
	v_add_co_u32_e32 v19, vcc, s15, v30
	v_addc_co_u32_e32 v20, vcc, 0, v31, vcc
	global_load_dwordx2 v[17:18], v[17:18], off offset:2048
	v_addc_co_u32_e64 v2, vcc, 0, v29, s[0:1]
	global_load_dwordx2 v[21:22], v[19:20], off offset:-4096
	global_load_dwordx2 v[23:24], v[19:20], off
	global_load_dwordx2 v[25:26], v[1:2], off
	global_load_dwordx2 v[27:28], v[1:2], off offset:2048
	s_movk_i32 s0, 0x3000
	global_load_dwordx2 v[1:2], v[19:20], off offset:2048
	v_addc_co_u32_e64 v8, vcc, 0, v29, s[2:3]
	v_add_co_u32_e32 v19, vcc, s0, v30
	v_addc_co_u32_e32 v20, vcc, 0, v31, vcc
	global_load_dwordx2 v[29:30], v[19:20], off
	global_load_dwordx2 v[31:32], v[7:8], off
	global_load_dwordx2 v[33:34], v[7:8], off offset:2048
	global_load_dwordx2 v[35:36], v[19:20], off offset:2048
	s_cmp_eq_u32 s13, 0
	s_cselect_b64 s[14:15], -1, 0
	v_mov_b32_e32 v7, 0x100
	s_waitcnt vmcnt(11)
	v_cmp_ne_u32_e32 vcc, v9, v13
	v_cmp_ne_u32_e64 s[0:1], v10, v14
	s_waitcnt vmcnt(10)
	v_cmp_ne_u32_e64 s[4:5], v12, v16
	s_xor_b64 s[18:19], s[14:15], vcc
	s_xor_b64 vcc, s[14:15], s[0:1]
	v_cmp_ne_u32_e64 s[2:3], v11, v15
	v_cndmask_b32_e32 v9, 0, v7, vcc
	s_xor_b64 vcc, s[14:15], s[4:5]
	s_xor_b64 s[0:1], s[14:15], s[2:3]
	v_cndmask_b32_e32 v11, 0, v7, vcc
	v_cndmask_b32_e64 v8, 0, 1, s[18:19]
	v_cndmask_b32_e64 v10, 0, 1, s[0:1]
	v_or_b32_e32 v8, v9, v8
	v_or_b32_e32 v9, v11, v10
	s_waitcnt vmcnt(9)
	v_cmp_ne_u32_e32 vcc, v5, v17
	v_cmp_ne_u32_e64 s[0:1], v6, v18
	s_xor_b64 s[18:19], s[14:15], vcc
	s_waitcnt vmcnt(8)
	v_cmp_ne_u32_e64 s[2:3], v3, v21
	v_cmp_ne_u32_e64 s[4:5], v4, v22
	s_xor_b64 s[2:3], s[14:15], s[2:3]
	s_xor_b64 vcc, s[14:15], s[4:5]
	v_cndmask_b32_e64 v4, 0, 1, s[2:3]
	v_cndmask_b32_e32 v5, 0, v7, vcc
	s_xor_b64 vcc, s[14:15], s[0:1]
	v_or_b32_e32 v4, v5, v4
	v_cndmask_b32_e32 v5, 0, v7, vcc
	s_waitcnt vmcnt(6)
	v_cmp_ne_u32_e32 vcc, v25, v23
	s_xor_b64 s[0:1], s[14:15], vcc
	v_cmp_ne_u32_e32 vcc, v26, v24
	s_xor_b64 vcc, s[14:15], vcc
	v_cndmask_b32_e64 v3, 0, 1, s[18:19]
	v_cndmask_b32_e32 v6, 0, v7, vcc
	s_waitcnt vmcnt(4)
	v_cmp_ne_u32_e32 vcc, v27, v1
	v_or_b32_e32 v3, v5, v3
	v_cndmask_b32_e64 v5, 0, 1, s[0:1]
	s_xor_b64 s[0:1], s[14:15], vcc
	v_cmp_ne_u32_e32 vcc, v28, v2
	s_xor_b64 vcc, s[14:15], vcc
	v_cndmask_b32_e32 v2, 0, v7, vcc
	s_waitcnt vmcnt(2)
	v_cmp_ne_u32_e32 vcc, v31, v29
	v_cndmask_b32_e64 v1, 0, 1, s[0:1]
	s_xor_b64 s[0:1], s[14:15], vcc
	v_cmp_ne_u32_e32 vcc, v32, v30
	s_xor_b64 vcc, s[14:15], vcc
	v_or_b32_e32 v5, v6, v5
	v_cndmask_b32_e32 v6, 0, v7, vcc
	s_waitcnt vmcnt(0)
	v_cmp_ne_u32_e32 vcc, v33, v35
	v_or_b32_e32 v1, v2, v1
	v_cndmask_b32_e64 v2, 0, 1, s[0:1]
	s_xor_b64 s[0:1], s[14:15], vcc
	v_cmp_ne_u32_e32 vcc, v34, v36
	s_xor_b64 vcc, s[14:15], vcc
	v_or_b32_e32 v2, v6, v2
	v_cndmask_b32_e64 v6, 0, 1, s[0:1]
	v_cndmask_b32_e32 v7, 0, v7, vcc
	s_add_u32 s0, s8, s6
	v_or_b32_e32 v6, v7, v6
	s_addc_u32 s1, s9, s7
	v_lshlrev_b32_e32 v7, 1, v0
	global_store_short v7, v8, s[0:1]
	global_store_short v7, v9, s[0:1] offset:512
	global_store_short v7, v4, s[0:1] offset:1024
	;; [unrolled: 1-line block ×7, first 2 shown]
	s_mov_b64 s[0:1], 0
.LBB344_2:
	s_andn2_b64 vcc, exec, s[0:1]
	s_cbranch_vccnz .LBB344_54
; %bb.3:
	v_cmp_gt_i32_e32 vcc, s12, v0
	v_cmp_le_i32_e64 s[0:1], s12, v0
                                        ; implicit-def: $vgpr19
	s_and_saveexec_b64 s[2:3], s[0:1]
	s_xor_b64 s[0:1], exec, s[2:3]
; %bb.4:
	v_or_b32_e32 v19, 0x100, v0
; %bb.5:
	s_or_saveexec_b64 s[2:3], s[0:1]
	v_mov_b32_e32 v36, 0
	s_mov_b64 s[0:1], 0
	v_or_b32_e32 v1, s6, v0
	v_mov_b32_e32 v35, 0
	v_mov_b32_e32 v34, 0
	;; [unrolled: 1-line block ×29, first 2 shown]
	s_xor_b64 exec, exec, s[2:3]
	s_cbranch_execz .LBB344_37
; %bb.6:
	v_mov_b32_e32 v2, 0
	v_lshlrev_b64 v[3:4], 2, v[1:2]
	v_mov_b32_e32 v6, s11
	v_add_co_u32_e64 v5, s[0:1], s10, v3
	v_addc_co_u32_e64 v6, s[0:1], v6, v4, s[0:1]
	global_load_dword v22, v[5:6], off
	v_mov_b32_e32 v5, s17
	v_add_co_u32_e64 v3, s[0:1], s16, v3
	v_addc_co_u32_e64 v4, s[0:1], v5, v4, s[0:1]
	global_load_dword v26, v[3:4], off
	v_or_b32_e32 v19, 0x100, v0
	v_cmp_gt_u32_e64 s[0:1], s12, v19
	s_mov_b64 s[14:15], 0
	v_mov_b32_e32 v25, v2
	v_mov_b32_e32 v3, v2
	;; [unrolled: 1-line block ×27, first 2 shown]
	s_and_saveexec_b64 s[4:5], s[0:1]
	s_cbranch_execz .LBB344_36
; %bb.7:
	v_add_u32_e32 v2, s6, v0
	v_mov_b32_e32 v3, 0
	v_lshlrev_b64 v[4:5], 2, v[2:3]
	v_mov_b32_e32 v2, s11
	v_add_co_u32_e64 v15, s[0:1], s10, v4
	v_addc_co_u32_e64 v16, s[0:1], v2, v5, s[0:1]
	v_mov_b32_e32 v2, s17
	v_add_co_u32_e64 v17, s[0:1], s16, v4
	v_addc_co_u32_e64 v18, s[0:1], v2, v5, s[0:1]
	global_load_dword v25, v[15:16], off offset:1024
	global_load_dword v2, v[17:18], off offset:1024
	v_or_b32_e32 v4, 0x200, v0
	v_cmp_gt_u32_e64 s[0:1], s12, v4
	s_mov_b64 s[18:19], 0
	v_mov_b32_e32 v23, v3
	v_mov_b32_e32 v20, v3
	;; [unrolled: 1-line block ×25, first 2 shown]
	s_and_saveexec_b64 s[14:15], s[0:1]
	s_cbranch_execz .LBB344_35
; %bb.8:
	global_load_dword v23, v[15:16], off offset:2048
	global_load_dword v3, v[17:18], off offset:2048
	v_or_b32_e32 v4, 0x300, v0
	v_cmp_gt_u32_e64 s[0:1], s12, v4
	s_mov_b64 s[20:21], 0
	v_mov_b32_e32 v20, 0
	v_mov_b32_e32 v21, 0
	;; [unrolled: 1-line block ×24, first 2 shown]
	s_and_saveexec_b64 s[18:19], s[0:1]
	s_cbranch_execz .LBB344_34
; %bb.9:
	global_load_dword v21, v[15:16], off offset:3072
	global_load_dword v20, v[17:18], off offset:3072
	v_or_b32_e32 v15, 0x400, v0
	v_cmp_gt_u32_e64 s[0:1], s12, v15
	s_mov_b64 s[22:23], 0
	v_mov_b32_e32 v24, 0
	v_mov_b32_e32 v4, 0
	;; [unrolled: 1-line block ×22, first 2 shown]
	s_and_saveexec_b64 s[20:21], s[0:1]
	s_cbranch_execz .LBB344_33
; %bb.10:
	v_or_b32_e32 v4, s6, v15
	v_mov_b32_e32 v5, 0
	v_lshlrev_b64 v[6:7], 2, v[4:5]
	v_mov_b32_e32 v4, s11
	v_add_co_u32_e64 v8, s[0:1], s10, v6
	v_addc_co_u32_e64 v9, s[0:1], v4, v7, s[0:1]
	global_load_dword v4, v[8:9], off
	v_mov_b32_e32 v8, s17
	v_add_co_u32_e64 v6, s[0:1], s16, v6
	v_addc_co_u32_e64 v7, s[0:1], v8, v7, s[0:1]
	global_load_dword v24, v[6:7], off
	v_or_b32_e32 v15, 0x500, v0
	v_cmp_gt_u32_e64 s[0:1], s12, v15
	s_mov_b64 s[24:25], 0
	v_mov_b32_e32 v27, v5
	v_mov_b32_e32 v6, v5
	;; [unrolled: 1-line block ×19, first 2 shown]
	s_and_saveexec_b64 s[22:23], s[0:1]
	s_cbranch_execz .LBB344_32
; %bb.11:
	v_or_b32_e32 v5, s6, v15
	v_mov_b32_e32 v6, 0
	v_lshlrev_b64 v[7:8], 2, v[5:6]
	v_mov_b32_e32 v5, s11
	v_add_co_u32_e64 v9, s[0:1], s10, v7
	v_addc_co_u32_e64 v10, s[0:1], v5, v8, s[0:1]
	v_mov_b32_e32 v5, s17
	v_add_co_u32_e64 v7, s[0:1], s16, v7
	v_addc_co_u32_e64 v8, s[0:1], v5, v8, s[0:1]
	global_load_dword v27, v[9:10], off
	global_load_dword v5, v[7:8], off
	v_or_b32_e32 v15, 0x600, v0
	v_cmp_gt_u32_e64 s[0:1], s12, v15
	s_mov_b64 s[26:27], 0
	v_mov_b32_e32 v28, v6
	v_mov_b32_e32 v7, v6
	;; [unrolled: 1-line block ×17, first 2 shown]
	s_and_saveexec_b64 s[24:25], s[0:1]
	s_cbranch_execz .LBB344_31
; %bb.12:
	v_or_b32_e32 v6, s6, v15
	v_mov_b32_e32 v7, 0
	v_lshlrev_b64 v[8:9], 2, v[6:7]
	v_mov_b32_e32 v6, s11
	v_add_co_u32_e64 v10, s[0:1], s10, v8
	v_addc_co_u32_e64 v11, s[0:1], v6, v9, s[0:1]
	v_mov_b32_e32 v6, s17
	v_add_co_u32_e64 v8, s[0:1], s16, v8
	v_addc_co_u32_e64 v9, s[0:1], v6, v9, s[0:1]
	global_load_dword v28, v[10:11], off
	global_load_dword v6, v[8:9], off
	v_or_b32_e32 v15, 0x700, v0
	v_cmp_gt_u32_e64 s[0:1], s12, v15
	s_mov_b64 s[28:29], 0
	v_mov_b32_e32 v29, v7
	v_mov_b32_e32 v8, v7
	v_mov_b32_e32 v30, v7
	v_mov_b32_e32 v9, v7
	v_mov_b32_e32 v31, v7
	v_mov_b32_e32 v10, v7
	v_mov_b32_e32 v32, v7
	v_mov_b32_e32 v11, v7
	v_mov_b32_e32 v33, v7
	v_mov_b32_e32 v12, v7
	v_mov_b32_e32 v34, v7
	v_mov_b32_e32 v13, v7
	v_mov_b32_e32 v35, v7
	v_mov_b32_e32 v14, v7
	v_mov_b32_e32 v36, v7
	s_and_saveexec_b64 s[26:27], s[0:1]
	s_cbranch_execz .LBB344_30
; %bb.13:
	v_or_b32_e32 v7, s6, v15
	v_mov_b32_e32 v8, 0
	v_lshlrev_b64 v[9:10], 2, v[7:8]
	v_mov_b32_e32 v7, s11
	v_add_co_u32_e64 v11, s[0:1], s10, v9
	v_addc_co_u32_e64 v12, s[0:1], v7, v10, s[0:1]
	v_mov_b32_e32 v7, s17
	v_add_co_u32_e64 v9, s[0:1], s16, v9
	v_addc_co_u32_e64 v10, s[0:1], v7, v10, s[0:1]
	global_load_dword v29, v[11:12], off
	global_load_dword v7, v[9:10], off
	v_or_b32_e32 v15, 0x800, v0
	v_cmp_gt_u32_e64 s[0:1], s12, v15
	s_mov_b64 s[30:31], 0
	v_mov_b32_e32 v30, v8
	v_mov_b32_e32 v9, v8
	;; [unrolled: 1-line block ×13, first 2 shown]
	s_and_saveexec_b64 s[28:29], s[0:1]
	s_cbranch_execz .LBB344_29
; %bb.14:
	v_or_b32_e32 v8, s6, v15
	v_mov_b32_e32 v9, 0
	v_lshlrev_b64 v[10:11], 2, v[8:9]
	v_mov_b32_e32 v8, s11
	v_add_co_u32_e64 v12, s[0:1], s10, v10
	v_addc_co_u32_e64 v13, s[0:1], v8, v11, s[0:1]
	v_mov_b32_e32 v8, s17
	v_add_co_u32_e64 v10, s[0:1], s16, v10
	v_addc_co_u32_e64 v11, s[0:1], v8, v11, s[0:1]
	global_load_dword v30, v[12:13], off
	global_load_dword v8, v[10:11], off
	v_or_b32_e32 v15, 0x900, v0
	v_cmp_gt_u32_e64 s[0:1], s12, v15
	s_mov_b64 s[34:35], 0
	v_mov_b32_e32 v31, v9
	v_mov_b32_e32 v10, v9
	;; [unrolled: 1-line block ×11, first 2 shown]
	s_and_saveexec_b64 s[30:31], s[0:1]
	s_cbranch_execz .LBB344_28
; %bb.15:
	v_or_b32_e32 v9, s6, v15
	v_mov_b32_e32 v10, 0
	v_lshlrev_b64 v[11:12], 2, v[9:10]
	v_mov_b32_e32 v9, s11
	v_add_co_u32_e64 v13, s[0:1], s10, v11
	v_addc_co_u32_e64 v14, s[0:1], v9, v12, s[0:1]
	v_mov_b32_e32 v9, s17
	v_add_co_u32_e64 v11, s[0:1], s16, v11
	v_addc_co_u32_e64 v12, s[0:1], v9, v12, s[0:1]
	global_load_dword v31, v[13:14], off
	global_load_dword v9, v[11:12], off
	v_or_b32_e32 v15, 0xa00, v0
	v_cmp_gt_u32_e64 s[0:1], s12, v15
	s_mov_b64 s[36:37], 0
	v_mov_b32_e32 v32, v10
	v_mov_b32_e32 v11, v10
	;; [unrolled: 1-line block ×9, first 2 shown]
	s_and_saveexec_b64 s[34:35], s[0:1]
	s_cbranch_execz .LBB344_27
; %bb.16:
	v_or_b32_e32 v10, s6, v15
	v_mov_b32_e32 v11, 0
	v_lshlrev_b64 v[12:13], 2, v[10:11]
	v_mov_b32_e32 v10, s11
	v_add_co_u32_e64 v14, s[0:1], s10, v12
	v_addc_co_u32_e64 v15, s[0:1], v10, v13, s[0:1]
	v_mov_b32_e32 v10, s17
	v_add_co_u32_e64 v12, s[0:1], s16, v12
	v_addc_co_u32_e64 v13, s[0:1], v10, v13, s[0:1]
	global_load_dword v32, v[14:15], off
	global_load_dword v10, v[12:13], off
	v_or_b32_e32 v15, 0xb00, v0
	v_cmp_gt_u32_e64 s[0:1], s12, v15
	s_mov_b64 s[38:39], 0
	v_mov_b32_e32 v33, v11
	v_mov_b32_e32 v12, v11
	;; [unrolled: 1-line block ×7, first 2 shown]
	s_and_saveexec_b64 s[36:37], s[0:1]
	s_cbranch_execz .LBB344_26
; %bb.17:
	v_or_b32_e32 v11, s6, v15
	v_mov_b32_e32 v12, 0
	v_lshlrev_b64 v[13:14], 2, v[11:12]
	v_mov_b32_e32 v11, s11
	v_add_co_u32_e64 v15, s[0:1], s10, v13
	v_addc_co_u32_e64 v16, s[0:1], v11, v14, s[0:1]
	v_mov_b32_e32 v11, s17
	v_add_co_u32_e64 v13, s[0:1], s16, v13
	v_addc_co_u32_e64 v14, s[0:1], v11, v14, s[0:1]
	global_load_dword v33, v[15:16], off
	global_load_dword v11, v[13:14], off
	v_or_b32_e32 v15, 0xc00, v0
	v_cmp_gt_u32_e64 s[0:1], s12, v15
	s_mov_b64 s[40:41], 0
	v_mov_b32_e32 v34, v12
	v_mov_b32_e32 v13, v12
	;; [unrolled: 1-line block ×5, first 2 shown]
	s_and_saveexec_b64 s[38:39], s[0:1]
	s_cbranch_execz .LBB344_25
; %bb.18:
	v_or_b32_e32 v12, s6, v15
	v_mov_b32_e32 v13, 0
	v_lshlrev_b64 v[14:15], 2, v[12:13]
	v_mov_b32_e32 v12, s11
	v_add_co_u32_e64 v16, s[0:1], s10, v14
	v_addc_co_u32_e64 v17, s[0:1], v12, v15, s[0:1]
	v_mov_b32_e32 v12, s17
	v_add_co_u32_e64 v14, s[0:1], s16, v14
	v_addc_co_u32_e64 v15, s[0:1], v12, v15, s[0:1]
	global_load_dword v34, v[16:17], off
	global_load_dword v12, v[14:15], off
	v_or_b32_e32 v15, 0xd00, v0
	v_cmp_gt_u32_e64 s[0:1], s12, v15
	s_mov_b64 s[42:43], 0
	v_mov_b32_e32 v35, v13
	v_mov_b32_e32 v14, v13
	;; [unrolled: 1-line block ×3, first 2 shown]
	s_and_saveexec_b64 s[40:41], s[0:1]
	s_cbranch_execz .LBB344_24
; %bb.19:
	v_add_u32_e32 v13, s6, v15
	v_mov_b32_e32 v14, 0
	v_lshlrev_b64 v[15:16], 2, v[13:14]
	v_mov_b32_e32 v13, s11
	v_add_co_u32_e64 v17, s[0:1], s10, v15
	v_addc_co_u32_e64 v18, s[0:1], v13, v16, s[0:1]
	v_mov_b32_e32 v13, s17
	v_add_co_u32_e64 v15, s[0:1], s16, v15
	v_addc_co_u32_e64 v16, s[0:1], v13, v16, s[0:1]
	global_load_dword v35, v[17:18], off
	global_load_dword v13, v[15:16], off
	v_or_b32_e32 v15, 0xe00, v0
	v_cmp_gt_u32_e64 s[0:1], s12, v15
	s_mov_b64 s[44:45], 0
	v_mov_b32_e32 v36, v14
	s_and_saveexec_b64 s[42:43], s[0:1]
	s_cbranch_execz .LBB344_23
; %bb.20:
	v_add_u32_e32 v15, s6, v15
	v_mov_b32_e32 v16, 0
	v_lshlrev_b64 v[14:15], 2, v[15:16]
	v_mov_b32_e32 v18, s11
	v_add_co_u32_e64 v17, s[0:1], s10, v14
	v_addc_co_u32_e64 v18, s[0:1], v18, v15, s[0:1]
	global_load_dword v36, v[17:18], off
	v_mov_b32_e32 v17, s17
	v_add_co_u32_e64 v14, s[0:1], s16, v14
	v_addc_co_u32_e64 v15, s[0:1], v17, v15, s[0:1]
	global_load_dword v14, v[14:15], off
	v_or_b32_e32 v15, 0xf00, v0
	v_cmp_gt_u32_e64 s[0:1], s12, v15
	s_mov_b64 s[46:47], 0
	s_and_saveexec_b64 s[44:45], s[0:1]
	s_cbranch_execz .LBB344_22
; %bb.21:
	v_add_u32_e32 v15, s6, v15
	v_lshlrev_b64 v[15:16], 2, v[15:16]
	v_mov_b32_e32 v18, s17
	v_add_co_u32_e64 v17, s[0:1], s16, v15
	v_addc_co_u32_e64 v18, s[0:1], v18, v16, s[0:1]
	v_mov_b32_e32 v37, s11
	v_add_co_u32_e64 v15, s[0:1], s10, v15
	v_addc_co_u32_e64 v16, s[0:1], v37, v16, s[0:1]
	global_load_dword v37, v[15:16], off
	global_load_dword v38, v[17:18], off
	s_waitcnt vmcnt(0)
	v_cmp_ne_u32_e64 s[0:1], v37, v38
	s_and_b64 s[46:47], s[0:1], exec
.LBB344_22:
	s_or_b64 exec, exec, s[44:45]
	s_and_b64 s[44:45], s[46:47], exec
.LBB344_23:
	s_or_b64 exec, exec, s[42:43]
	s_and_b64 s[42:43], s[44:45], exec
.LBB344_24:
	s_or_b64 exec, exec, s[40:41]
	s_and_b64 s[40:41], s[42:43], exec
.LBB344_25:
	s_or_b64 exec, exec, s[38:39]
	s_and_b64 s[38:39], s[40:41], exec
.LBB344_26:
	s_or_b64 exec, exec, s[36:37]
	s_and_b64 s[36:37], s[38:39], exec
.LBB344_27:
	s_or_b64 exec, exec, s[34:35]
	s_and_b64 s[34:35], s[36:37], exec
.LBB344_28:
	s_or_b64 exec, exec, s[30:31]
	s_and_b64 s[30:31], s[34:35], exec
.LBB344_29:
	s_or_b64 exec, exec, s[28:29]
	s_and_b64 s[28:29], s[30:31], exec
.LBB344_30:
	s_or_b64 exec, exec, s[26:27]
	s_and_b64 s[26:27], s[28:29], exec
.LBB344_31:
	s_or_b64 exec, exec, s[24:25]
	s_and_b64 s[24:25], s[26:27], exec
.LBB344_32:
	s_or_b64 exec, exec, s[22:23]
	s_and_b64 s[22:23], s[24:25], exec
.LBB344_33:
	s_or_b64 exec, exec, s[20:21]
	s_and_b64 s[20:21], s[22:23], exec
.LBB344_34:
	s_or_b64 exec, exec, s[18:19]
	s_and_b64 s[18:19], s[20:21], exec
.LBB344_35:
	s_or_b64 exec, exec, s[14:15]
	s_and_b64 s[14:15], s[18:19], exec
.LBB344_36:
	s_or_b64 exec, exec, s[4:5]
	s_and_b64 s[0:1], s[14:15], exec
.LBB344_37:
	s_or_b64 exec, exec, s[2:3]
	s_cmp_eq_u32 s13, 0
	s_cselect_b64 s[2:3], -1, 0
	s_and_saveexec_b64 s[4:5], vcc
	s_cbranch_execnz .LBB344_55
; %bb.38:
	s_or_b64 exec, exec, s[4:5]
	v_cmp_gt_i32_e32 vcc, s12, v0
	s_and_saveexec_b64 s[4:5], vcc
	s_cbranch_execnz .LBB344_56
.LBB344_39:
	s_or_b64 exec, exec, s[4:5]
	v_cmp_gt_i32_e32 vcc, s12, v0
	s_and_saveexec_b64 s[4:5], vcc
	s_cbranch_execnz .LBB344_57
.LBB344_40:
	s_or_b64 exec, exec, s[4:5]
	v_cmp_gt_i32_e32 vcc, s12, v0
	s_and_saveexec_b64 s[4:5], vcc
	s_cbranch_execnz .LBB344_58
.LBB344_41:
	s_or_b64 exec, exec, s[4:5]
	v_cmp_gt_i32_e32 vcc, s12, v0
	s_and_saveexec_b64 s[4:5], vcc
	s_cbranch_execnz .LBB344_59
.LBB344_42:
	s_or_b64 exec, exec, s[4:5]
	v_cmp_gt_i32_e32 vcc, s12, v0
	s_and_saveexec_b64 s[4:5], vcc
	s_cbranch_execnz .LBB344_60
.LBB344_43:
	s_or_b64 exec, exec, s[4:5]
	v_cmp_gt_i32_e32 vcc, s12, v0
	s_and_saveexec_b64 s[4:5], vcc
	s_cbranch_execnz .LBB344_61
.LBB344_44:
	s_or_b64 exec, exec, s[4:5]
	v_cmp_gt_i32_e32 vcc, s12, v0
	s_and_saveexec_b64 s[4:5], vcc
	s_cbranch_execnz .LBB344_62
.LBB344_45:
	s_or_b64 exec, exec, s[4:5]
	v_cmp_gt_i32_e32 vcc, s12, v0
	s_and_saveexec_b64 s[4:5], vcc
	s_cbranch_execnz .LBB344_63
.LBB344_46:
	s_or_b64 exec, exec, s[4:5]
	v_cmp_gt_i32_e32 vcc, s12, v0
	s_and_saveexec_b64 s[4:5], vcc
	s_cbranch_execnz .LBB344_64
.LBB344_47:
	s_or_b64 exec, exec, s[4:5]
	v_cmp_gt_i32_e32 vcc, s12, v0
	s_and_saveexec_b64 s[4:5], vcc
	s_cbranch_execnz .LBB344_65
.LBB344_48:
	s_or_b64 exec, exec, s[4:5]
	v_cmp_gt_i32_e32 vcc, s12, v0
	s_and_saveexec_b64 s[4:5], vcc
	s_cbranch_execnz .LBB344_66
.LBB344_49:
	s_or_b64 exec, exec, s[4:5]
	v_cmp_gt_i32_e32 vcc, s12, v0
	s_and_saveexec_b64 s[4:5], vcc
	s_cbranch_execnz .LBB344_67
.LBB344_50:
	s_or_b64 exec, exec, s[4:5]
	v_cmp_gt_i32_e32 vcc, s12, v0
	s_and_saveexec_b64 s[4:5], vcc
	s_cbranch_execnz .LBB344_68
.LBB344_51:
	s_or_b64 exec, exec, s[4:5]
	v_cmp_gt_i32_e32 vcc, s12, v0
	s_and_saveexec_b64 s[4:5], vcc
	s_cbranch_execnz .LBB344_69
.LBB344_52:
	s_or_b64 exec, exec, s[4:5]
	v_cmp_gt_i32_e32 vcc, s12, v0
	s_and_saveexec_b64 s[4:5], vcc
	s_cbranch_execz .LBB344_54
.LBB344_53:
	s_xor_b64 s[0:1], s[2:3], s[0:1]
	v_cndmask_b32_e64 v1, 0, 1, s[0:1]
	v_add_u32_e32 v0, s6, v0
	global_store_byte v0, v1, s[8:9]
.LBB344_54:
	s_endpgm
.LBB344_55:
	s_waitcnt vmcnt(0)
	v_cmp_ne_u32_e32 vcc, v22, v26
	s_xor_b64 s[10:11], s[2:3], vcc
	v_cndmask_b32_e64 v0, 0, 1, s[10:11]
	global_store_byte v1, v0, s[8:9]
	v_mov_b32_e32 v0, v19
	s_or_b64 exec, exec, s[4:5]
	v_cmp_gt_i32_e32 vcc, s12, v0
	s_and_saveexec_b64 s[4:5], vcc
	s_cbranch_execz .LBB344_39
.LBB344_56:
	s_waitcnt vmcnt(0)
	v_cmp_ne_u32_e32 vcc, v25, v2
	s_xor_b64 s[10:11], s[2:3], vcc
	v_cndmask_b32_e64 v1, 0, 1, s[10:11]
	v_add_u32_e32 v2, s6, v0
	v_add_u32_e32 v0, 0x100, v0
	global_store_byte v2, v1, s[8:9]
	s_or_b64 exec, exec, s[4:5]
	v_cmp_gt_i32_e32 vcc, s12, v0
	s_and_saveexec_b64 s[4:5], vcc
	s_cbranch_execz .LBB344_40
.LBB344_57:
	s_waitcnt vmcnt(0)
	v_cmp_ne_u32_e32 vcc, v23, v3
	s_xor_b64 s[10:11], s[2:3], vcc
	v_cndmask_b32_e64 v1, 0, 1, s[10:11]
	v_add_u32_e32 v2, s6, v0
	v_add_u32_e32 v0, 0x100, v0
	global_store_byte v2, v1, s[8:9]
	s_or_b64 exec, exec, s[4:5]
	v_cmp_gt_i32_e32 vcc, s12, v0
	s_and_saveexec_b64 s[4:5], vcc
	s_cbranch_execz .LBB344_41
.LBB344_58:
	s_waitcnt vmcnt(0)
	v_cmp_ne_u32_e32 vcc, v21, v20
	s_xor_b64 s[10:11], s[2:3], vcc
	v_cndmask_b32_e64 v1, 0, 1, s[10:11]
	v_add_u32_e32 v2, s6, v0
	v_add_u32_e32 v0, 0x100, v0
	global_store_byte v2, v1, s[8:9]
	s_or_b64 exec, exec, s[4:5]
	v_cmp_gt_i32_e32 vcc, s12, v0
	s_and_saveexec_b64 s[4:5], vcc
	s_cbranch_execz .LBB344_42
.LBB344_59:
	s_waitcnt vmcnt(0)
	v_cmp_ne_u32_e32 vcc, v4, v24
	s_xor_b64 s[10:11], s[2:3], vcc
	v_cndmask_b32_e64 v1, 0, 1, s[10:11]
	v_add_u32_e32 v2, s6, v0
	v_add_u32_e32 v0, 0x100, v0
	global_store_byte v2, v1, s[8:9]
	s_or_b64 exec, exec, s[4:5]
	v_cmp_gt_i32_e32 vcc, s12, v0
	s_and_saveexec_b64 s[4:5], vcc
	s_cbranch_execz .LBB344_43
.LBB344_60:
	s_waitcnt vmcnt(0)
	v_cmp_ne_u32_e32 vcc, v27, v5
	s_xor_b64 s[10:11], s[2:3], vcc
	v_cndmask_b32_e64 v1, 0, 1, s[10:11]
	v_add_u32_e32 v2, s6, v0
	v_add_u32_e32 v0, 0x100, v0
	global_store_byte v2, v1, s[8:9]
	s_or_b64 exec, exec, s[4:5]
	v_cmp_gt_i32_e32 vcc, s12, v0
	s_and_saveexec_b64 s[4:5], vcc
	s_cbranch_execz .LBB344_44
.LBB344_61:
	s_waitcnt vmcnt(0)
	v_cmp_ne_u32_e32 vcc, v28, v6
	s_xor_b64 s[10:11], s[2:3], vcc
	v_cndmask_b32_e64 v1, 0, 1, s[10:11]
	v_add_u32_e32 v2, s6, v0
	v_add_u32_e32 v0, 0x100, v0
	global_store_byte v2, v1, s[8:9]
	s_or_b64 exec, exec, s[4:5]
	v_cmp_gt_i32_e32 vcc, s12, v0
	s_and_saveexec_b64 s[4:5], vcc
	s_cbranch_execz .LBB344_45
.LBB344_62:
	s_waitcnt vmcnt(0)
	v_cmp_ne_u32_e32 vcc, v29, v7
	s_xor_b64 s[10:11], s[2:3], vcc
	v_cndmask_b32_e64 v1, 0, 1, s[10:11]
	v_add_u32_e32 v2, s6, v0
	v_add_u32_e32 v0, 0x100, v0
	global_store_byte v2, v1, s[8:9]
	s_or_b64 exec, exec, s[4:5]
	v_cmp_gt_i32_e32 vcc, s12, v0
	s_and_saveexec_b64 s[4:5], vcc
	s_cbranch_execz .LBB344_46
.LBB344_63:
	s_waitcnt vmcnt(0)
	v_cmp_ne_u32_e32 vcc, v30, v8
	s_xor_b64 s[10:11], s[2:3], vcc
	v_cndmask_b32_e64 v1, 0, 1, s[10:11]
	v_add_u32_e32 v2, s6, v0
	v_add_u32_e32 v0, 0x100, v0
	global_store_byte v2, v1, s[8:9]
	s_or_b64 exec, exec, s[4:5]
	v_cmp_gt_i32_e32 vcc, s12, v0
	s_and_saveexec_b64 s[4:5], vcc
	s_cbranch_execz .LBB344_47
.LBB344_64:
	s_waitcnt vmcnt(0)
	v_cmp_ne_u32_e32 vcc, v31, v9
	s_xor_b64 s[10:11], s[2:3], vcc
	v_cndmask_b32_e64 v1, 0, 1, s[10:11]
	v_add_u32_e32 v2, s6, v0
	v_add_u32_e32 v0, 0x100, v0
	global_store_byte v2, v1, s[8:9]
	s_or_b64 exec, exec, s[4:5]
	v_cmp_gt_i32_e32 vcc, s12, v0
	s_and_saveexec_b64 s[4:5], vcc
	s_cbranch_execz .LBB344_48
.LBB344_65:
	s_waitcnt vmcnt(0)
	v_cmp_ne_u32_e32 vcc, v32, v10
	s_xor_b64 s[10:11], s[2:3], vcc
	v_cndmask_b32_e64 v1, 0, 1, s[10:11]
	v_add_u32_e32 v2, s6, v0
	v_add_u32_e32 v0, 0x100, v0
	global_store_byte v2, v1, s[8:9]
	s_or_b64 exec, exec, s[4:5]
	v_cmp_gt_i32_e32 vcc, s12, v0
	s_and_saveexec_b64 s[4:5], vcc
	s_cbranch_execz .LBB344_49
.LBB344_66:
	s_waitcnt vmcnt(0)
	v_cmp_ne_u32_e32 vcc, v33, v11
	s_xor_b64 s[10:11], s[2:3], vcc
	v_cndmask_b32_e64 v1, 0, 1, s[10:11]
	v_add_u32_e32 v2, s6, v0
	v_add_u32_e32 v0, 0x100, v0
	global_store_byte v2, v1, s[8:9]
	s_or_b64 exec, exec, s[4:5]
	v_cmp_gt_i32_e32 vcc, s12, v0
	s_and_saveexec_b64 s[4:5], vcc
	s_cbranch_execz .LBB344_50
.LBB344_67:
	s_waitcnt vmcnt(0)
	v_cmp_ne_u32_e32 vcc, v34, v12
	s_xor_b64 s[10:11], s[2:3], vcc
	v_cndmask_b32_e64 v1, 0, 1, s[10:11]
	v_add_u32_e32 v2, s6, v0
	v_add_u32_e32 v0, 0x100, v0
	global_store_byte v2, v1, s[8:9]
	s_or_b64 exec, exec, s[4:5]
	v_cmp_gt_i32_e32 vcc, s12, v0
	s_and_saveexec_b64 s[4:5], vcc
	s_cbranch_execz .LBB344_51
.LBB344_68:
	s_waitcnt vmcnt(0)
	v_cmp_ne_u32_e32 vcc, v35, v13
	s_xor_b64 s[10:11], s[2:3], vcc
	v_cndmask_b32_e64 v1, 0, 1, s[10:11]
	v_add_u32_e32 v2, s6, v0
	v_add_u32_e32 v0, 0x100, v0
	global_store_byte v2, v1, s[8:9]
	s_or_b64 exec, exec, s[4:5]
	v_cmp_gt_i32_e32 vcc, s12, v0
	s_and_saveexec_b64 s[4:5], vcc
	s_cbranch_execz .LBB344_52
.LBB344_69:
	s_waitcnt vmcnt(0)
	v_cmp_ne_u32_e32 vcc, v36, v14
	s_xor_b64 s[10:11], s[2:3], vcc
	v_cndmask_b32_e64 v1, 0, 1, s[10:11]
	v_add_u32_e32 v2, s6, v0
	v_add_u32_e32 v0, 0x100, v0
	global_store_byte v2, v1, s[8:9]
	s_or_b64 exec, exec, s[4:5]
	v_cmp_gt_i32_e32 vcc, s12, v0
	s_and_saveexec_b64 s[4:5], vcc
	s_cbranch_execnz .LBB344_53
	s_branch .LBB344_54
	.section	.rodata,"a",@progbits
	.p2align	6, 0x0
	.amdhsa_kernel _ZN2at6native29vectorized_elementwise_kernelILi2ENS0_13BinaryFunctorIjjbNS0_12_GLOBAL__N_116CompareEqFunctorIjEEEESt5arrayIPcLm3EEEEviT0_T1_
		.amdhsa_group_segment_fixed_size 0
		.amdhsa_private_segment_fixed_size 0
		.amdhsa_kernarg_size 32
		.amdhsa_user_sgpr_count 6
		.amdhsa_user_sgpr_private_segment_buffer 1
		.amdhsa_user_sgpr_dispatch_ptr 0
		.amdhsa_user_sgpr_queue_ptr 0
		.amdhsa_user_sgpr_kernarg_segment_ptr 1
		.amdhsa_user_sgpr_dispatch_id 0
		.amdhsa_user_sgpr_flat_scratch_init 0
		.amdhsa_user_sgpr_private_segment_size 0
		.amdhsa_uses_dynamic_stack 0
		.amdhsa_system_sgpr_private_segment_wavefront_offset 0
		.amdhsa_system_sgpr_workgroup_id_x 1
		.amdhsa_system_sgpr_workgroup_id_y 0
		.amdhsa_system_sgpr_workgroup_id_z 0
		.amdhsa_system_sgpr_workgroup_info 0
		.amdhsa_system_vgpr_workitem_id 0
		.amdhsa_next_free_vgpr 39
		.amdhsa_next_free_sgpr 48
		.amdhsa_reserve_vcc 1
		.amdhsa_reserve_flat_scratch 0
		.amdhsa_float_round_mode_32 0
		.amdhsa_float_round_mode_16_64 0
		.amdhsa_float_denorm_mode_32 3
		.amdhsa_float_denorm_mode_16_64 3
		.amdhsa_dx10_clamp 1
		.amdhsa_ieee_mode 1
		.amdhsa_fp16_overflow 0
		.amdhsa_exception_fp_ieee_invalid_op 0
		.amdhsa_exception_fp_denorm_src 0
		.amdhsa_exception_fp_ieee_div_zero 0
		.amdhsa_exception_fp_ieee_overflow 0
		.amdhsa_exception_fp_ieee_underflow 0
		.amdhsa_exception_fp_ieee_inexact 0
		.amdhsa_exception_int_div_zero 0
	.end_amdhsa_kernel
	.section	.text._ZN2at6native29vectorized_elementwise_kernelILi2ENS0_13BinaryFunctorIjjbNS0_12_GLOBAL__N_116CompareEqFunctorIjEEEESt5arrayIPcLm3EEEEviT0_T1_,"axG",@progbits,_ZN2at6native29vectorized_elementwise_kernelILi2ENS0_13BinaryFunctorIjjbNS0_12_GLOBAL__N_116CompareEqFunctorIjEEEESt5arrayIPcLm3EEEEviT0_T1_,comdat
.Lfunc_end344:
	.size	_ZN2at6native29vectorized_elementwise_kernelILi2ENS0_13BinaryFunctorIjjbNS0_12_GLOBAL__N_116CompareEqFunctorIjEEEESt5arrayIPcLm3EEEEviT0_T1_, .Lfunc_end344-_ZN2at6native29vectorized_elementwise_kernelILi2ENS0_13BinaryFunctorIjjbNS0_12_GLOBAL__N_116CompareEqFunctorIjEEEESt5arrayIPcLm3EEEEviT0_T1_
                                        ; -- End function
	.set _ZN2at6native29vectorized_elementwise_kernelILi2ENS0_13BinaryFunctorIjjbNS0_12_GLOBAL__N_116CompareEqFunctorIjEEEESt5arrayIPcLm3EEEEviT0_T1_.num_vgpr, 39
	.set _ZN2at6native29vectorized_elementwise_kernelILi2ENS0_13BinaryFunctorIjjbNS0_12_GLOBAL__N_116CompareEqFunctorIjEEEESt5arrayIPcLm3EEEEviT0_T1_.num_agpr, 0
	.set _ZN2at6native29vectorized_elementwise_kernelILi2ENS0_13BinaryFunctorIjjbNS0_12_GLOBAL__N_116CompareEqFunctorIjEEEESt5arrayIPcLm3EEEEviT0_T1_.numbered_sgpr, 48
	.set _ZN2at6native29vectorized_elementwise_kernelILi2ENS0_13BinaryFunctorIjjbNS0_12_GLOBAL__N_116CompareEqFunctorIjEEEESt5arrayIPcLm3EEEEviT0_T1_.num_named_barrier, 0
	.set _ZN2at6native29vectorized_elementwise_kernelILi2ENS0_13BinaryFunctorIjjbNS0_12_GLOBAL__N_116CompareEqFunctorIjEEEESt5arrayIPcLm3EEEEviT0_T1_.private_seg_size, 0
	.set _ZN2at6native29vectorized_elementwise_kernelILi2ENS0_13BinaryFunctorIjjbNS0_12_GLOBAL__N_116CompareEqFunctorIjEEEESt5arrayIPcLm3EEEEviT0_T1_.uses_vcc, 1
	.set _ZN2at6native29vectorized_elementwise_kernelILi2ENS0_13BinaryFunctorIjjbNS0_12_GLOBAL__N_116CompareEqFunctorIjEEEESt5arrayIPcLm3EEEEviT0_T1_.uses_flat_scratch, 0
	.set _ZN2at6native29vectorized_elementwise_kernelILi2ENS0_13BinaryFunctorIjjbNS0_12_GLOBAL__N_116CompareEqFunctorIjEEEESt5arrayIPcLm3EEEEviT0_T1_.has_dyn_sized_stack, 0
	.set _ZN2at6native29vectorized_elementwise_kernelILi2ENS0_13BinaryFunctorIjjbNS0_12_GLOBAL__N_116CompareEqFunctorIjEEEESt5arrayIPcLm3EEEEviT0_T1_.has_recursion, 0
	.set _ZN2at6native29vectorized_elementwise_kernelILi2ENS0_13BinaryFunctorIjjbNS0_12_GLOBAL__N_116CompareEqFunctorIjEEEESt5arrayIPcLm3EEEEviT0_T1_.has_indirect_call, 0
	.section	.AMDGPU.csdata,"",@progbits
; Kernel info:
; codeLenInByte = 4412
; TotalNumSgprs: 52
; NumVgprs: 39
; ScratchSize: 0
; MemoryBound: 0
; FloatMode: 240
; IeeeMode: 1
; LDSByteSize: 0 bytes/workgroup (compile time only)
; SGPRBlocks: 6
; VGPRBlocks: 9
; NumSGPRsForWavesPerEU: 52
; NumVGPRsForWavesPerEU: 39
; Occupancy: 6
; WaveLimiterHint : 1
; COMPUTE_PGM_RSRC2:SCRATCH_EN: 0
; COMPUTE_PGM_RSRC2:USER_SGPR: 6
; COMPUTE_PGM_RSRC2:TRAP_HANDLER: 0
; COMPUTE_PGM_RSRC2:TGID_X_EN: 1
; COMPUTE_PGM_RSRC2:TGID_Y_EN: 0
; COMPUTE_PGM_RSRC2:TGID_Z_EN: 0
; COMPUTE_PGM_RSRC2:TIDIG_COMP_CNT: 0
	.section	.text._ZN2at6native27unrolled_elementwise_kernelINS0_13BinaryFunctorIjjbNS0_12_GLOBAL__N_116CompareEqFunctorIjEEEESt5arrayIPcLm3EELi4E23TrivialOffsetCalculatorILi2EjESA_ILi1EjENS0_6memory15LoadWithoutCastENSD_16StoreWithoutCastEEEviT_T0_T2_T3_T4_T5_,"axG",@progbits,_ZN2at6native27unrolled_elementwise_kernelINS0_13BinaryFunctorIjjbNS0_12_GLOBAL__N_116CompareEqFunctorIjEEEESt5arrayIPcLm3EELi4E23TrivialOffsetCalculatorILi2EjESA_ILi1EjENS0_6memory15LoadWithoutCastENSD_16StoreWithoutCastEEEviT_T0_T2_T3_T4_T5_,comdat
	.globl	_ZN2at6native27unrolled_elementwise_kernelINS0_13BinaryFunctorIjjbNS0_12_GLOBAL__N_116CompareEqFunctorIjEEEESt5arrayIPcLm3EELi4E23TrivialOffsetCalculatorILi2EjESA_ILi1EjENS0_6memory15LoadWithoutCastENSD_16StoreWithoutCastEEEviT_T0_T2_T3_T4_T5_ ; -- Begin function _ZN2at6native27unrolled_elementwise_kernelINS0_13BinaryFunctorIjjbNS0_12_GLOBAL__N_116CompareEqFunctorIjEEEESt5arrayIPcLm3EELi4E23TrivialOffsetCalculatorILi2EjESA_ILi1EjENS0_6memory15LoadWithoutCastENSD_16StoreWithoutCastEEEviT_T0_T2_T3_T4_T5_
	.p2align	8
	.type	_ZN2at6native27unrolled_elementwise_kernelINS0_13BinaryFunctorIjjbNS0_12_GLOBAL__N_116CompareEqFunctorIjEEEESt5arrayIPcLm3EELi4E23TrivialOffsetCalculatorILi2EjESA_ILi1EjENS0_6memory15LoadWithoutCastENSD_16StoreWithoutCastEEEviT_T0_T2_T3_T4_T5_,@function
_ZN2at6native27unrolled_elementwise_kernelINS0_13BinaryFunctorIjjbNS0_12_GLOBAL__N_116CompareEqFunctorIjEEEESt5arrayIPcLm3EELi4E23TrivialOffsetCalculatorILi2EjESA_ILi1EjENS0_6memory15LoadWithoutCastENSD_16StoreWithoutCastEEEviT_T0_T2_T3_T4_T5_: ; @_ZN2at6native27unrolled_elementwise_kernelINS0_13BinaryFunctorIjjbNS0_12_GLOBAL__N_116CompareEqFunctorIjEEEESt5arrayIPcLm3EELi4E23TrivialOffsetCalculatorILi2EjESA_ILi1EjENS0_6memory15LoadWithoutCastENSD_16StoreWithoutCastEEEviT_T0_T2_T3_T4_T5_
; %bb.0:
	s_load_dwordx2 s[2:3], s[4:5], 0x0
	s_load_dwordx4 s[8:11], s[4:5], 0x8
	s_load_dwordx2 s[12:13], s[4:5], 0x18
	s_lshl_b32 s20, s6, 10
                                        ; implicit-def: $vgpr6
	s_waitcnt lgkmcnt(0)
	s_sub_i32 s2, s2, s20
	v_cmp_gt_i32_e32 vcc, s2, v0
	v_cmp_le_i32_e64 s[0:1], s2, v0
	s_and_saveexec_b64 s[4:5], s[0:1]
	s_xor_b64 s[0:1], exec, s[4:5]
; %bb.1:
	v_or_b32_e32 v6, 0x100, v0
; %bb.2:
	s_or_saveexec_b64 s[4:5], s[0:1]
	v_mov_b32_e32 v10, 0
	s_mov_b64 s[6:7], 0
	v_or_b32_e32 v1, s20, v0
	v_mov_b32_e32 v3, 0
	v_mov_b32_e32 v9, 0
	;; [unrolled: 1-line block ×5, first 2 shown]
	s_xor_b64 exec, exec, s[4:5]
	s_cbranch_execz .LBB345_10
; %bb.3:
	v_mov_b32_e32 v2, 0
	v_lshlrev_b64 v[3:4], 2, v[1:2]
	v_mov_b32_e32 v6, s11
	v_add_co_u32_e64 v5, s[0:1], s10, v3
	v_addc_co_u32_e64 v6, s[0:1], v6, v4, s[0:1]
	global_load_dword v7, v[5:6], off
	v_mov_b32_e32 v5, s13
	v_add_co_u32_e64 v3, s[0:1], s12, v3
	v_addc_co_u32_e64 v4, s[0:1], v5, v4, s[0:1]
	global_load_dword v8, v[3:4], off
	v_or_b32_e32 v6, 0x100, v0
	v_cmp_gt_u32_e64 s[0:1], s2, v6
	s_mov_b64 s[14:15], 0
	v_mov_b32_e32 v9, v2
	v_mov_b32_e32 v3, v2
	;; [unrolled: 1-line block ×3, first 2 shown]
	s_and_saveexec_b64 s[6:7], s[0:1]
	s_cbranch_execz .LBB345_9
; %bb.4:
	v_add_u32_e32 v2, s20, v6
	v_mov_b32_e32 v3, 0
	v_lshlrev_b64 v[4:5], 2, v[2:3]
	v_mov_b32_e32 v2, s11
	v_add_co_u32_e64 v9, s[0:1], s10, v4
	v_addc_co_u32_e64 v10, s[0:1], v2, v5, s[0:1]
	v_mov_b32_e32 v2, s13
	v_add_co_u32_e64 v4, s[0:1], s12, v4
	v_addc_co_u32_e64 v5, s[0:1], v2, v5, s[0:1]
	global_load_dword v9, v[9:10], off
	s_mov_b64 s[16:17], 0
	global_load_dword v2, v[4:5], off
	v_or_b32_e32 v4, 0x200, v0
	v_cmp_gt_u32_e64 s[0:1], s2, v4
	v_mov_b32_e32 v10, v3
	s_and_saveexec_b64 s[14:15], s[0:1]
	s_cbranch_execz .LBB345_8
; %bb.5:
	v_add_u32_e32 v4, s20, v4
	v_mov_b32_e32 v5, 0
	v_lshlrev_b64 v[3:4], 2, v[4:5]
	v_mov_b32_e32 v11, s11
	v_add_co_u32_e64 v10, s[0:1], s10, v3
	v_addc_co_u32_e64 v11, s[0:1], v11, v4, s[0:1]
	global_load_dword v10, v[10:11], off
	v_mov_b32_e32 v11, s13
	v_add_co_u32_e64 v3, s[0:1], s12, v3
	v_addc_co_u32_e64 v4, s[0:1], v11, v4, s[0:1]
	global_load_dword v3, v[3:4], off
	v_or_b32_e32 v4, 0x300, v0
	v_cmp_gt_u32_e64 s[0:1], s2, v4
	s_mov_b64 s[18:19], 0
	s_and_saveexec_b64 s[16:17], s[0:1]
	s_cbranch_execz .LBB345_7
; %bb.6:
	v_add_u32_e32 v4, s20, v4
	v_lshlrev_b64 v[4:5], 2, v[4:5]
	v_mov_b32_e32 v12, s11
	v_add_co_u32_e64 v11, s[0:1], s10, v4
	v_addc_co_u32_e64 v12, s[0:1], v12, v5, s[0:1]
	v_mov_b32_e32 v13, s13
	v_add_co_u32_e64 v4, s[0:1], s12, v4
	v_addc_co_u32_e64 v5, s[0:1], v13, v5, s[0:1]
	global_load_dword v13, v[11:12], off
	global_load_dword v14, v[4:5], off
	s_waitcnt vmcnt(0)
	v_cmp_ne_u32_e64 s[0:1], v13, v14
	s_and_b64 s[18:19], s[0:1], exec
.LBB345_7:
	s_or_b64 exec, exec, s[16:17]
	s_and_b64 s[16:17], s[18:19], exec
.LBB345_8:
	s_or_b64 exec, exec, s[14:15]
	s_and_b64 s[14:15], s[16:17], exec
.LBB345_9:
	s_or_b64 exec, exec, s[6:7]
	s_and_b64 s[6:7], s[14:15], exec
.LBB345_10:
	s_or_b64 exec, exec, s[4:5]
	s_cmp_eq_u32 s3, 0
	s_cselect_b64 s[4:5], -1, 0
	s_waitcnt vmcnt(0)
	v_cmp_ne_u32_e64 s[0:1], v7, v8
	s_xor_b64 s[0:1], s[4:5], s[0:1]
	v_cndmask_b32_e64 v4, 0, 1, s[0:1]
	v_cmp_ne_u32_e64 s[0:1], v9, v2
	s_xor_b64 s[0:1], s[4:5], s[0:1]
	v_cndmask_b32_e64 v2, 0, 1, s[0:1]
	v_cndmask_b32_e32 v4, 0, v4, vcc
	v_lshlrev_b16_e32 v2, 8, v2
	v_or_b32_e32 v2, v4, v2
	v_and_b32_e32 v2, 0xffff, v2
	v_cmp_gt_i32_e64 s[0:1], s2, v6
	v_cndmask_b32_e64 v2, v4, v2, s[0:1]
	v_cmp_ne_u32_e64 s[0:1], v10, v3
	s_xor_b64 s[0:1], s[4:5], s[0:1]
	v_cndmask_b32_e64 v3, 0, 1, s[0:1]
	v_or_b32_e32 v4, 0x200, v0
	v_lshlrev_b32_e32 v3, 16, v3
	v_or_b32_e32 v3, v2, v3
	v_cmp_gt_i32_e64 s[0:1], s2, v4
	v_cndmask_b32_e64 v2, v2, v3, s[0:1]
	s_movk_i32 s0, 0xff
	v_and_b32_sdwa v3, v2, s0 dst_sel:DWORD dst_unused:UNUSED_PAD src0_sel:WORD_1 src1_sel:DWORD
	s_xor_b64 s[0:1], s[4:5], s[6:7]
	v_cndmask_b32_e64 v5, 0, 1, s[0:1]
	v_lshlrev_b16_e32 v5, 8, v5
	s_mov_b32 s3, 0xffff
	v_or_b32_e32 v4, 0x300, v0
	v_or_b32_sdwa v3, v3, v5 dst_sel:WORD_1 dst_unused:UNUSED_PAD src0_sel:DWORD src1_sel:DWORD
	v_and_or_b32 v3, v2, s3, v3
	v_cmp_gt_i32_e64 s[0:1], s2, v4
	v_cndmask_b32_e64 v2, v2, v3, s[0:1]
	s_and_saveexec_b64 s[0:1], vcc
	s_cbranch_execnz .LBB345_15
; %bb.11:
	s_or_b64 exec, exec, s[0:1]
	v_cmp_gt_i32_e32 vcc, s2, v0
	s_and_saveexec_b64 s[0:1], vcc
	s_cbranch_execnz .LBB345_16
.LBB345_12:
	s_or_b64 exec, exec, s[0:1]
	v_cmp_gt_i32_e32 vcc, s2, v0
	s_and_saveexec_b64 s[0:1], vcc
	s_cbranch_execnz .LBB345_17
.LBB345_13:
	s_or_b64 exec, exec, s[0:1]
	v_cmp_gt_i32_e32 vcc, s2, v0
	s_and_saveexec_b64 s[0:1], vcc
	s_cbranch_execnz .LBB345_18
.LBB345_14:
	s_endpgm
.LBB345_15:
	v_mov_b32_e32 v0, v6
	global_store_byte v1, v2, s[8:9]
	s_or_b64 exec, exec, s[0:1]
	v_cmp_gt_i32_e32 vcc, s2, v0
	s_and_saveexec_b64 s[0:1], vcc
	s_cbranch_execz .LBB345_12
.LBB345_16:
	v_add_u32_e32 v1, 0x100, v0
	v_add_u32_e32 v0, s20, v0
	v_lshrrev_b32_e32 v3, 8, v2
	global_store_byte v0, v3, s[8:9]
	v_mov_b32_e32 v0, v1
	s_or_b64 exec, exec, s[0:1]
	v_cmp_gt_i32_e32 vcc, s2, v0
	s_and_saveexec_b64 s[0:1], vcc
	s_cbranch_execz .LBB345_13
.LBB345_17:
	v_add_u32_e32 v1, 0x100, v0
	v_add_u32_e32 v0, s20, v0
	global_store_byte_d16_hi v0, v2, s[8:9]
	v_mov_b32_e32 v0, v1
	s_or_b64 exec, exec, s[0:1]
	v_cmp_gt_i32_e32 vcc, s2, v0
	s_and_saveexec_b64 s[0:1], vcc
	s_cbranch_execz .LBB345_14
.LBB345_18:
	v_add_u32_e32 v0, s20, v0
	v_lshrrev_b32_e32 v1, 24, v2
	global_store_byte v0, v1, s[8:9]
	s_endpgm
	.section	.rodata,"a",@progbits
	.p2align	6, 0x0
	.amdhsa_kernel _ZN2at6native27unrolled_elementwise_kernelINS0_13BinaryFunctorIjjbNS0_12_GLOBAL__N_116CompareEqFunctorIjEEEESt5arrayIPcLm3EELi4E23TrivialOffsetCalculatorILi2EjESA_ILi1EjENS0_6memory15LoadWithoutCastENSD_16StoreWithoutCastEEEviT_T0_T2_T3_T4_T5_
		.amdhsa_group_segment_fixed_size 0
		.amdhsa_private_segment_fixed_size 0
		.amdhsa_kernarg_size 36
		.amdhsa_user_sgpr_count 6
		.amdhsa_user_sgpr_private_segment_buffer 1
		.amdhsa_user_sgpr_dispatch_ptr 0
		.amdhsa_user_sgpr_queue_ptr 0
		.amdhsa_user_sgpr_kernarg_segment_ptr 1
		.amdhsa_user_sgpr_dispatch_id 0
		.amdhsa_user_sgpr_flat_scratch_init 0
		.amdhsa_user_sgpr_private_segment_size 0
		.amdhsa_uses_dynamic_stack 0
		.amdhsa_system_sgpr_private_segment_wavefront_offset 0
		.amdhsa_system_sgpr_workgroup_id_x 1
		.amdhsa_system_sgpr_workgroup_id_y 0
		.amdhsa_system_sgpr_workgroup_id_z 0
		.amdhsa_system_sgpr_workgroup_info 0
		.amdhsa_system_vgpr_workitem_id 0
		.amdhsa_next_free_vgpr 15
		.amdhsa_next_free_sgpr 21
		.amdhsa_reserve_vcc 1
		.amdhsa_reserve_flat_scratch 0
		.amdhsa_float_round_mode_32 0
		.amdhsa_float_round_mode_16_64 0
		.amdhsa_float_denorm_mode_32 3
		.amdhsa_float_denorm_mode_16_64 3
		.amdhsa_dx10_clamp 1
		.amdhsa_ieee_mode 1
		.amdhsa_fp16_overflow 0
		.amdhsa_exception_fp_ieee_invalid_op 0
		.amdhsa_exception_fp_denorm_src 0
		.amdhsa_exception_fp_ieee_div_zero 0
		.amdhsa_exception_fp_ieee_overflow 0
		.amdhsa_exception_fp_ieee_underflow 0
		.amdhsa_exception_fp_ieee_inexact 0
		.amdhsa_exception_int_div_zero 0
	.end_amdhsa_kernel
	.section	.text._ZN2at6native27unrolled_elementwise_kernelINS0_13BinaryFunctorIjjbNS0_12_GLOBAL__N_116CompareEqFunctorIjEEEESt5arrayIPcLm3EELi4E23TrivialOffsetCalculatorILi2EjESA_ILi1EjENS0_6memory15LoadWithoutCastENSD_16StoreWithoutCastEEEviT_T0_T2_T3_T4_T5_,"axG",@progbits,_ZN2at6native27unrolled_elementwise_kernelINS0_13BinaryFunctorIjjbNS0_12_GLOBAL__N_116CompareEqFunctorIjEEEESt5arrayIPcLm3EELi4E23TrivialOffsetCalculatorILi2EjESA_ILi1EjENS0_6memory15LoadWithoutCastENSD_16StoreWithoutCastEEEviT_T0_T2_T3_T4_T5_,comdat
.Lfunc_end345:
	.size	_ZN2at6native27unrolled_elementwise_kernelINS0_13BinaryFunctorIjjbNS0_12_GLOBAL__N_116CompareEqFunctorIjEEEESt5arrayIPcLm3EELi4E23TrivialOffsetCalculatorILi2EjESA_ILi1EjENS0_6memory15LoadWithoutCastENSD_16StoreWithoutCastEEEviT_T0_T2_T3_T4_T5_, .Lfunc_end345-_ZN2at6native27unrolled_elementwise_kernelINS0_13BinaryFunctorIjjbNS0_12_GLOBAL__N_116CompareEqFunctorIjEEEESt5arrayIPcLm3EELi4E23TrivialOffsetCalculatorILi2EjESA_ILi1EjENS0_6memory15LoadWithoutCastENSD_16StoreWithoutCastEEEviT_T0_T2_T3_T4_T5_
                                        ; -- End function
	.set _ZN2at6native27unrolled_elementwise_kernelINS0_13BinaryFunctorIjjbNS0_12_GLOBAL__N_116CompareEqFunctorIjEEEESt5arrayIPcLm3EELi4E23TrivialOffsetCalculatorILi2EjESA_ILi1EjENS0_6memory15LoadWithoutCastENSD_16StoreWithoutCastEEEviT_T0_T2_T3_T4_T5_.num_vgpr, 15
	.set _ZN2at6native27unrolled_elementwise_kernelINS0_13BinaryFunctorIjjbNS0_12_GLOBAL__N_116CompareEqFunctorIjEEEESt5arrayIPcLm3EELi4E23TrivialOffsetCalculatorILi2EjESA_ILi1EjENS0_6memory15LoadWithoutCastENSD_16StoreWithoutCastEEEviT_T0_T2_T3_T4_T5_.num_agpr, 0
	.set _ZN2at6native27unrolled_elementwise_kernelINS0_13BinaryFunctorIjjbNS0_12_GLOBAL__N_116CompareEqFunctorIjEEEESt5arrayIPcLm3EELi4E23TrivialOffsetCalculatorILi2EjESA_ILi1EjENS0_6memory15LoadWithoutCastENSD_16StoreWithoutCastEEEviT_T0_T2_T3_T4_T5_.numbered_sgpr, 21
	.set _ZN2at6native27unrolled_elementwise_kernelINS0_13BinaryFunctorIjjbNS0_12_GLOBAL__N_116CompareEqFunctorIjEEEESt5arrayIPcLm3EELi4E23TrivialOffsetCalculatorILi2EjESA_ILi1EjENS0_6memory15LoadWithoutCastENSD_16StoreWithoutCastEEEviT_T0_T2_T3_T4_T5_.num_named_barrier, 0
	.set _ZN2at6native27unrolled_elementwise_kernelINS0_13BinaryFunctorIjjbNS0_12_GLOBAL__N_116CompareEqFunctorIjEEEESt5arrayIPcLm3EELi4E23TrivialOffsetCalculatorILi2EjESA_ILi1EjENS0_6memory15LoadWithoutCastENSD_16StoreWithoutCastEEEviT_T0_T2_T3_T4_T5_.private_seg_size, 0
	.set _ZN2at6native27unrolled_elementwise_kernelINS0_13BinaryFunctorIjjbNS0_12_GLOBAL__N_116CompareEqFunctorIjEEEESt5arrayIPcLm3EELi4E23TrivialOffsetCalculatorILi2EjESA_ILi1EjENS0_6memory15LoadWithoutCastENSD_16StoreWithoutCastEEEviT_T0_T2_T3_T4_T5_.uses_vcc, 1
	.set _ZN2at6native27unrolled_elementwise_kernelINS0_13BinaryFunctorIjjbNS0_12_GLOBAL__N_116CompareEqFunctorIjEEEESt5arrayIPcLm3EELi4E23TrivialOffsetCalculatorILi2EjESA_ILi1EjENS0_6memory15LoadWithoutCastENSD_16StoreWithoutCastEEEviT_T0_T2_T3_T4_T5_.uses_flat_scratch, 0
	.set _ZN2at6native27unrolled_elementwise_kernelINS0_13BinaryFunctorIjjbNS0_12_GLOBAL__N_116CompareEqFunctorIjEEEESt5arrayIPcLm3EELi4E23TrivialOffsetCalculatorILi2EjESA_ILi1EjENS0_6memory15LoadWithoutCastENSD_16StoreWithoutCastEEEviT_T0_T2_T3_T4_T5_.has_dyn_sized_stack, 0
	.set _ZN2at6native27unrolled_elementwise_kernelINS0_13BinaryFunctorIjjbNS0_12_GLOBAL__N_116CompareEqFunctorIjEEEESt5arrayIPcLm3EELi4E23TrivialOffsetCalculatorILi2EjESA_ILi1EjENS0_6memory15LoadWithoutCastENSD_16StoreWithoutCastEEEviT_T0_T2_T3_T4_T5_.has_recursion, 0
	.set _ZN2at6native27unrolled_elementwise_kernelINS0_13BinaryFunctorIjjbNS0_12_GLOBAL__N_116CompareEqFunctorIjEEEESt5arrayIPcLm3EELi4E23TrivialOffsetCalculatorILi2EjESA_ILi1EjENS0_6memory15LoadWithoutCastENSD_16StoreWithoutCastEEEviT_T0_T2_T3_T4_T5_.has_indirect_call, 0
	.section	.AMDGPU.csdata,"",@progbits
; Kernel info:
; codeLenInByte = 940
; TotalNumSgprs: 25
; NumVgprs: 15
; ScratchSize: 0
; MemoryBound: 0
; FloatMode: 240
; IeeeMode: 1
; LDSByteSize: 0 bytes/workgroup (compile time only)
; SGPRBlocks: 3
; VGPRBlocks: 3
; NumSGPRsForWavesPerEU: 25
; NumVGPRsForWavesPerEU: 15
; Occupancy: 10
; WaveLimiterHint : 0
; COMPUTE_PGM_RSRC2:SCRATCH_EN: 0
; COMPUTE_PGM_RSRC2:USER_SGPR: 6
; COMPUTE_PGM_RSRC2:TRAP_HANDLER: 0
; COMPUTE_PGM_RSRC2:TGID_X_EN: 1
; COMPUTE_PGM_RSRC2:TGID_Y_EN: 0
; COMPUTE_PGM_RSRC2:TGID_Z_EN: 0
; COMPUTE_PGM_RSRC2:TIDIG_COMP_CNT: 0
	.section	.text._ZN2at6native32elementwise_kernel_manual_unrollILi128ELi8EZNS0_22gpu_kernel_impl_nocastINS0_13BinaryFunctorIjjbNS0_12_GLOBAL__N_116CompareEqFunctorIjEEEEEEvRNS_18TensorIteratorBaseERKT_EUlibE_EEviT1_,"axG",@progbits,_ZN2at6native32elementwise_kernel_manual_unrollILi128ELi8EZNS0_22gpu_kernel_impl_nocastINS0_13BinaryFunctorIjjbNS0_12_GLOBAL__N_116CompareEqFunctorIjEEEEEEvRNS_18TensorIteratorBaseERKT_EUlibE_EEviT1_,comdat
	.globl	_ZN2at6native32elementwise_kernel_manual_unrollILi128ELi8EZNS0_22gpu_kernel_impl_nocastINS0_13BinaryFunctorIjjbNS0_12_GLOBAL__N_116CompareEqFunctorIjEEEEEEvRNS_18TensorIteratorBaseERKT_EUlibE_EEviT1_ ; -- Begin function _ZN2at6native32elementwise_kernel_manual_unrollILi128ELi8EZNS0_22gpu_kernel_impl_nocastINS0_13BinaryFunctorIjjbNS0_12_GLOBAL__N_116CompareEqFunctorIjEEEEEEvRNS_18TensorIteratorBaseERKT_EUlibE_EEviT1_
	.p2align	8
	.type	_ZN2at6native32elementwise_kernel_manual_unrollILi128ELi8EZNS0_22gpu_kernel_impl_nocastINS0_13BinaryFunctorIjjbNS0_12_GLOBAL__N_116CompareEqFunctorIjEEEEEEvRNS_18TensorIteratorBaseERKT_EUlibE_EEviT1_,@function
_ZN2at6native32elementwise_kernel_manual_unrollILi128ELi8EZNS0_22gpu_kernel_impl_nocastINS0_13BinaryFunctorIjjbNS0_12_GLOBAL__N_116CompareEqFunctorIjEEEEEEvRNS_18TensorIteratorBaseERKT_EUlibE_EEviT1_: ; @_ZN2at6native32elementwise_kernel_manual_unrollILi128ELi8EZNS0_22gpu_kernel_impl_nocastINS0_13BinaryFunctorIjjbNS0_12_GLOBAL__N_116CompareEqFunctorIjEEEEEEvRNS_18TensorIteratorBaseERKT_EUlibE_EEviT1_
; %bb.0:
	s_load_dword s38, s[4:5], 0x0
	s_load_dword s33, s[4:5], 0x8
	s_add_u32 s12, s4, 8
	s_addc_u32 s13, s5, 0
	v_lshl_or_b32 v31, s6, 10, v0
	v_or_b32_e32 v41, 0x380, v31
	s_waitcnt lgkmcnt(0)
	s_add_i32 s36, s33, -1
	s_cmp_gt_u32 s36, 1
	v_cmp_le_i32_e32 vcc, s38, v41
	s_cselect_b64 s[14:15], -1, 0
	s_and_saveexec_b64 s[0:1], vcc
	s_xor_b64 s[16:17], exec, s[0:1]
	s_cbranch_execz .LBB346_106
; %bb.1:
	s_load_dwordx4 s[8:11], s[12:13], 0x4
	s_load_dwordx2 s[24:25], s[12:13], 0x14
	s_load_dwordx4 s[4:7], s[12:13], 0xc4
	s_load_dwordx2 s[22:23], s[12:13], 0xd4
	s_load_dword s20, s[12:13], 0x1a0
	s_cmp_lg_u32 s33, 0
	s_load_dwordx2 s[18:19], s[12:13], 0x198
	s_load_dwordx4 s[0:3], s[12:13], 0x188
	s_cselect_b64 s[28:29], -1, 0
	s_min_u32 s37, s36, 15
	s_cmp_gt_u32 s33, 1
	s_cselect_b64 s[26:27], -1, 0
	s_waitcnt lgkmcnt(0)
	s_cmp_eq_u32 s20, 0
	s_cselect_b64 s[20:21], -1, 0
	v_cmp_gt_i32_e32 vcc, s38, v31
	s_and_saveexec_b64 s[30:31], vcc
	s_cbranch_execnz .LBB346_9
; %bb.2:
	s_or_b64 exec, exec, s[30:31]
	v_cmp_gt_i32_e32 vcc, s38, v31
	s_and_saveexec_b64 s[30:31], vcc
	s_cbranch_execnz .LBB346_21
.LBB346_3:
	s_or_b64 exec, exec, s[30:31]
	v_cmp_gt_i32_e32 vcc, s38, v31
	s_and_saveexec_b64 s[30:31], vcc
	s_cbranch_execnz .LBB346_33
.LBB346_4:
	s_or_b64 exec, exec, s[30:31]
	v_cmp_gt_i32_e32 vcc, s38, v31
	s_and_saveexec_b64 s[30:31], vcc
	s_cbranch_execnz .LBB346_45
.LBB346_5:
	s_or_b64 exec, exec, s[30:31]
	v_cmp_gt_i32_e32 vcc, s38, v31
	s_and_saveexec_b64 s[30:31], vcc
	s_cbranch_execnz .LBB346_57
.LBB346_6:
	s_or_b64 exec, exec, s[30:31]
	v_cmp_gt_i32_e32 vcc, s38, v31
	s_and_saveexec_b64 s[30:31], vcc
	s_cbranch_execnz .LBB346_69
.LBB346_7:
	s_or_b64 exec, exec, s[30:31]
	v_cmp_gt_i32_e32 vcc, s38, v31
	s_and_saveexec_b64 s[30:31], vcc
	s_cbranch_execnz .LBB346_81
.LBB346_8:
	s_or_b64 exec, exec, s[30:31]
	v_cmp_gt_i32_e32 vcc, s38, v31
	s_and_saveexec_b64 s[30:31], vcc
	s_cbranch_execnz .LBB346_93
	s_branch .LBB346_105
.LBB346_9:
	s_andn2_b64 vcc, exec, s[14:15]
	s_cbranch_vccnz .LBB346_15
; %bb.10:
	s_andn2_b64 vcc, exec, s[28:29]
	s_cbranch_vccnz .LBB346_16
; %bb.11:
	s_add_i32 s34, s37, 1
	s_and_b32 s39, s34, 30
	s_add_u32 s34, s12, 0xffffffe8
	s_addc_u32 s35, s13, -1
	v_mov_b32_e32 v2, 0
	v_mov_b32_e32 v4, 0
	;; [unrolled: 1-line block ×4, first 2 shown]
.LBB346_12:                             ; =>This Inner Loop Header: Depth=1
	s_load_dwordx4 s[40:43], s[34:35], 0x1c
	s_load_dwordx2 s[48:49], s[34:35], 0x2c
	s_load_dwordx2 s[50:51], s[34:35], 0xec
	s_load_dwordx4 s[44:47], s[34:35], 0xdc
	s_add_u32 s34, s34, 24
	s_waitcnt lgkmcnt(0)
	v_mul_hi_u32 v3, s41, v1
	s_addc_u32 s35, s35, 0
	s_add_i32 s39, s39, -2
	s_cmp_lg_u32 s39, 0
	v_add_u32_e32 v3, v1, v3
	v_lshrrev_b32_e32 v3, s42, v3
	v_mul_lo_u32 v5, v3, s40
	v_mul_hi_u32 v6, s48, v3
	v_sub_u32_e32 v5, v1, v5
	v_add_u32_e32 v1, v3, v6
	v_lshrrev_b32_e32 v1, s49, v1
	v_mul_lo_u32 v8, v1, s43
	v_mul_lo_u32 v6, v5, s44
	;; [unrolled: 1-line block ×4, first 2 shown]
	v_sub_u32_e32 v3, v3, v8
	v_mul_lo_u32 v8, v3, s47
	v_mul_lo_u32 v9, v3, s50
	;; [unrolled: 1-line block ×3, first 2 shown]
	v_add3_u32 v0, v6, v0, v8
	v_add3_u32 v4, v7, v4, v9
	;; [unrolled: 1-line block ×3, first 2 shown]
	s_cbranch_scc1 .LBB346_12
; %bb.13:
	s_bitcmp1_b32 s37, 0
	s_cselect_b64 s[40:41], -1, 0
	s_and_b64 vcc, exec, s[40:41]
	s_cbranch_vccnz .LBB346_17
; %bb.14:
	s_load_dwordx2 s[40:41], s[34:35], 0x1c
	s_load_dword s39, s[34:35], 0x24
	s_load_dwordx2 s[42:43], s[34:35], 0xdc
	s_waitcnt lgkmcnt(0)
	v_mul_hi_u32 v3, s41, v1
	v_add_u32_e32 v3, v1, v3
	v_lshrrev_b32_e32 v3, s39, v3
	v_mul_lo_u32 v3, v3, s40
	s_load_dword s39, s[34:35], 0xe4
	v_sub_u32_e32 v3, v1, v3
	v_mad_u64_u32 v[0:1], s[34:35], v3, s42, v[0:1]
	v_mad_u64_u32 v[4:5], s[34:35], v3, s43, v[4:5]
	s_waitcnt lgkmcnt(0)
	v_mad_u64_u32 v[2:3], s[34:35], v3, s39, v[2:3]
	s_cbranch_execz .LBB346_18
	s_branch .LBB346_20
.LBB346_15:
                                        ; implicit-def: $vgpr0
                                        ; implicit-def: $vgpr4
                                        ; implicit-def: $vgpr2
	s_branch .LBB346_18
.LBB346_16:
	v_mov_b32_e32 v0, 0
	v_mov_b32_e32 v4, 0
	;; [unrolled: 1-line block ×3, first 2 shown]
.LBB346_17:
	s_cbranch_execnz .LBB346_20
.LBB346_18:
	v_mul_hi_u32 v0, s9, v31
	s_andn2_b64 vcc, exec, s[26:27]
	v_add_u32_e32 v0, v31, v0
	v_lshrrev_b32_e32 v1, s10, v0
	v_mul_lo_u32 v0, v1, s8
	v_sub_u32_e32 v2, v31, v0
	v_mul_lo_u32 v0, v2, s4
	v_mul_lo_u32 v4, v2, s5
	;; [unrolled: 1-line block ×3, first 2 shown]
	s_cbranch_vccnz .LBB346_20
; %bb.19:
	v_mul_hi_u32 v3, s24, v1
	v_add_u32_e32 v3, v1, v3
	v_lshrrev_b32_e32 v3, s25, v3
	v_mul_lo_u32 v3, v3, s11
	v_sub_u32_e32 v3, v1, v3
	v_mad_u64_u32 v[0:1], s[34:35], v3, s7, v[0:1]
	v_mad_u64_u32 v[4:5], s[34:35], v3, s22, v[4:5]
	;; [unrolled: 1-line block ×3, first 2 shown]
.LBB346_20:
	global_load_dword v1, v4, s[2:3]
	global_load_dword v3, v2, s[18:19]
	v_add_u32_e32 v31, 0x80, v31
	s_waitcnt vmcnt(0)
	v_cmp_ne_u32_e32 vcc, v1, v3
	s_xor_b64 s[34:35], s[20:21], vcc
	v_cndmask_b32_e64 v1, 0, 1, s[34:35]
	global_store_byte v0, v1, s[0:1]
	s_or_b64 exec, exec, s[30:31]
	v_cmp_gt_i32_e32 vcc, s38, v31
	s_and_saveexec_b64 s[30:31], vcc
	s_cbranch_execz .LBB346_3
.LBB346_21:
	s_andn2_b64 vcc, exec, s[14:15]
	s_cbranch_vccnz .LBB346_27
; %bb.22:
	s_andn2_b64 vcc, exec, s[28:29]
	s_cbranch_vccnz .LBB346_28
; %bb.23:
	s_add_i32 s34, s37, 1
	s_and_b32 s39, s34, 30
	s_add_u32 s34, s12, 0xffffffe8
	s_addc_u32 s35, s13, -1
	v_mov_b32_e32 v2, 0
	v_mov_b32_e32 v4, 0
	;; [unrolled: 1-line block ×4, first 2 shown]
.LBB346_24:                             ; =>This Inner Loop Header: Depth=1
	s_load_dwordx4 s[40:43], s[34:35], 0x1c
	s_load_dwordx2 s[48:49], s[34:35], 0x2c
	s_load_dwordx2 s[50:51], s[34:35], 0xec
	s_load_dwordx4 s[44:47], s[34:35], 0xdc
	s_add_u32 s34, s34, 24
	s_waitcnt lgkmcnt(0)
	v_mul_hi_u32 v3, s41, v1
	s_addc_u32 s35, s35, 0
	s_add_i32 s39, s39, -2
	s_cmp_eq_u32 s39, 0
	v_add_u32_e32 v3, v1, v3
	v_lshrrev_b32_e32 v3, s42, v3
	v_mul_lo_u32 v5, v3, s40
	v_mul_hi_u32 v6, s48, v3
	v_sub_u32_e32 v5, v1, v5
	v_add_u32_e32 v1, v3, v6
	v_lshrrev_b32_e32 v1, s49, v1
	v_mul_lo_u32 v8, v1, s43
	v_mul_lo_u32 v6, v5, s44
	;; [unrolled: 1-line block ×4, first 2 shown]
	v_sub_u32_e32 v3, v3, v8
	v_mul_lo_u32 v8, v3, s47
	v_mul_lo_u32 v9, v3, s50
	;; [unrolled: 1-line block ×3, first 2 shown]
	v_add3_u32 v0, v6, v0, v8
	v_add3_u32 v4, v7, v4, v9
	;; [unrolled: 1-line block ×3, first 2 shown]
	s_cbranch_scc0 .LBB346_24
; %bb.25:
	s_bitcmp1_b32 s37, 0
	s_cselect_b64 s[40:41], -1, 0
	s_and_b64 vcc, exec, s[40:41]
	s_cbranch_vccnz .LBB346_29
; %bb.26:
	s_load_dwordx2 s[40:41], s[34:35], 0x1c
	s_load_dword s39, s[34:35], 0x24
	s_load_dwordx2 s[42:43], s[34:35], 0xdc
	s_waitcnt lgkmcnt(0)
	v_mul_hi_u32 v3, s41, v1
	v_add_u32_e32 v3, v1, v3
	v_lshrrev_b32_e32 v3, s39, v3
	v_mul_lo_u32 v3, v3, s40
	s_load_dword s39, s[34:35], 0xe4
	v_sub_u32_e32 v3, v1, v3
	v_mad_u64_u32 v[0:1], s[34:35], v3, s42, v[0:1]
	v_mad_u64_u32 v[4:5], s[34:35], v3, s43, v[4:5]
	s_waitcnt lgkmcnt(0)
	v_mad_u64_u32 v[2:3], s[34:35], v3, s39, v[2:3]
	s_branch .LBB346_29
.LBB346_27:
                                        ; implicit-def: $vgpr0
                                        ; implicit-def: $vgpr4
                                        ; implicit-def: $vgpr2
	s_branch .LBB346_30
.LBB346_28:
	v_mov_b32_e32 v0, 0
	v_mov_b32_e32 v4, 0
	;; [unrolled: 1-line block ×3, first 2 shown]
.LBB346_29:
	s_cbranch_execnz .LBB346_32
.LBB346_30:
	v_mul_hi_u32 v0, s9, v31
	s_andn2_b64 vcc, exec, s[26:27]
	v_add_u32_e32 v0, v31, v0
	v_lshrrev_b32_e32 v1, s10, v0
	v_mul_lo_u32 v0, v1, s8
	v_sub_u32_e32 v2, v31, v0
	v_mul_lo_u32 v0, v2, s4
	v_mul_lo_u32 v4, v2, s5
	;; [unrolled: 1-line block ×3, first 2 shown]
	s_cbranch_vccnz .LBB346_32
; %bb.31:
	v_mul_hi_u32 v3, s24, v1
	v_add_u32_e32 v3, v1, v3
	v_lshrrev_b32_e32 v3, s25, v3
	v_mul_lo_u32 v3, v3, s11
	v_sub_u32_e32 v3, v1, v3
	v_mad_u64_u32 v[0:1], s[34:35], v3, s7, v[0:1]
	v_mad_u64_u32 v[4:5], s[34:35], v3, s22, v[4:5]
	;; [unrolled: 1-line block ×3, first 2 shown]
.LBB346_32:
	global_load_dword v1, v4, s[2:3]
	global_load_dword v3, v2, s[18:19]
	v_add_u32_e32 v31, 0x80, v31
	s_waitcnt vmcnt(0)
	v_cmp_ne_u32_e32 vcc, v1, v3
	s_xor_b64 s[34:35], s[20:21], vcc
	v_cndmask_b32_e64 v1, 0, 1, s[34:35]
	global_store_byte v0, v1, s[0:1]
	s_or_b64 exec, exec, s[30:31]
	v_cmp_gt_i32_e32 vcc, s38, v31
	s_and_saveexec_b64 s[30:31], vcc
	s_cbranch_execz .LBB346_4
.LBB346_33:
	s_andn2_b64 vcc, exec, s[14:15]
	s_cbranch_vccnz .LBB346_39
; %bb.34:
	s_andn2_b64 vcc, exec, s[28:29]
	s_cbranch_vccnz .LBB346_40
; %bb.35:
	s_add_i32 s34, s37, 1
	s_and_b32 s39, s34, 30
	s_add_u32 s34, s12, 0xffffffe8
	s_addc_u32 s35, s13, -1
	v_mov_b32_e32 v2, 0
	v_mov_b32_e32 v4, 0
	;; [unrolled: 1-line block ×4, first 2 shown]
.LBB346_36:                             ; =>This Inner Loop Header: Depth=1
	s_load_dwordx4 s[40:43], s[34:35], 0x1c
	s_load_dwordx2 s[48:49], s[34:35], 0x2c
	s_load_dwordx2 s[50:51], s[34:35], 0xec
	s_load_dwordx4 s[44:47], s[34:35], 0xdc
	s_add_u32 s34, s34, 24
	s_waitcnt lgkmcnt(0)
	v_mul_hi_u32 v3, s41, v1
	s_addc_u32 s35, s35, 0
	s_add_i32 s39, s39, -2
	s_cmp_eq_u32 s39, 0
	v_add_u32_e32 v3, v1, v3
	v_lshrrev_b32_e32 v3, s42, v3
	v_mul_lo_u32 v5, v3, s40
	v_mul_hi_u32 v6, s48, v3
	v_sub_u32_e32 v5, v1, v5
	v_add_u32_e32 v1, v3, v6
	v_lshrrev_b32_e32 v1, s49, v1
	v_mul_lo_u32 v8, v1, s43
	v_mul_lo_u32 v6, v5, s44
	v_mul_lo_u32 v7, v5, s45
	v_mul_lo_u32 v5, v5, s46
	v_sub_u32_e32 v3, v3, v8
	v_mul_lo_u32 v8, v3, s47
	v_mul_lo_u32 v9, v3, s50
	;; [unrolled: 1-line block ×3, first 2 shown]
	v_add3_u32 v0, v6, v0, v8
	v_add3_u32 v4, v7, v4, v9
	;; [unrolled: 1-line block ×3, first 2 shown]
	s_cbranch_scc0 .LBB346_36
; %bb.37:
	s_bitcmp1_b32 s37, 0
	s_cselect_b64 s[40:41], -1, 0
	s_and_b64 vcc, exec, s[40:41]
	s_cbranch_vccnz .LBB346_41
; %bb.38:
	s_load_dwordx2 s[40:41], s[34:35], 0x1c
	s_load_dword s39, s[34:35], 0x24
	s_load_dwordx2 s[42:43], s[34:35], 0xdc
	s_waitcnt lgkmcnt(0)
	v_mul_hi_u32 v3, s41, v1
	v_add_u32_e32 v3, v1, v3
	v_lshrrev_b32_e32 v3, s39, v3
	v_mul_lo_u32 v3, v3, s40
	s_load_dword s39, s[34:35], 0xe4
	v_sub_u32_e32 v3, v1, v3
	v_mad_u64_u32 v[0:1], s[34:35], v3, s42, v[0:1]
	v_mad_u64_u32 v[4:5], s[34:35], v3, s43, v[4:5]
	s_waitcnt lgkmcnt(0)
	v_mad_u64_u32 v[2:3], s[34:35], v3, s39, v[2:3]
	s_branch .LBB346_41
.LBB346_39:
                                        ; implicit-def: $vgpr0
                                        ; implicit-def: $vgpr4
                                        ; implicit-def: $vgpr2
	s_branch .LBB346_42
.LBB346_40:
	v_mov_b32_e32 v0, 0
	v_mov_b32_e32 v4, 0
	;; [unrolled: 1-line block ×3, first 2 shown]
.LBB346_41:
	s_cbranch_execnz .LBB346_44
.LBB346_42:
	v_mul_hi_u32 v0, s9, v31
	s_andn2_b64 vcc, exec, s[26:27]
	v_add_u32_e32 v0, v31, v0
	v_lshrrev_b32_e32 v1, s10, v0
	v_mul_lo_u32 v0, v1, s8
	v_sub_u32_e32 v2, v31, v0
	v_mul_lo_u32 v0, v2, s4
	v_mul_lo_u32 v4, v2, s5
	v_mul_lo_u32 v2, v2, s6
	s_cbranch_vccnz .LBB346_44
; %bb.43:
	v_mul_hi_u32 v3, s24, v1
	v_add_u32_e32 v3, v1, v3
	v_lshrrev_b32_e32 v3, s25, v3
	v_mul_lo_u32 v3, v3, s11
	v_sub_u32_e32 v3, v1, v3
	v_mad_u64_u32 v[0:1], s[34:35], v3, s7, v[0:1]
	v_mad_u64_u32 v[4:5], s[34:35], v3, s22, v[4:5]
	;; [unrolled: 1-line block ×3, first 2 shown]
.LBB346_44:
	global_load_dword v1, v4, s[2:3]
	global_load_dword v3, v2, s[18:19]
	v_add_u32_e32 v31, 0x80, v31
	s_waitcnt vmcnt(0)
	v_cmp_ne_u32_e32 vcc, v1, v3
	s_xor_b64 s[34:35], s[20:21], vcc
	v_cndmask_b32_e64 v1, 0, 1, s[34:35]
	global_store_byte v0, v1, s[0:1]
	s_or_b64 exec, exec, s[30:31]
	v_cmp_gt_i32_e32 vcc, s38, v31
	s_and_saveexec_b64 s[30:31], vcc
	s_cbranch_execz .LBB346_5
.LBB346_45:
	s_andn2_b64 vcc, exec, s[14:15]
	s_cbranch_vccnz .LBB346_51
; %bb.46:
	s_andn2_b64 vcc, exec, s[28:29]
	s_cbranch_vccnz .LBB346_52
; %bb.47:
	s_add_i32 s34, s37, 1
	s_and_b32 s39, s34, 30
	s_add_u32 s34, s12, 0xffffffe8
	s_addc_u32 s35, s13, -1
	v_mov_b32_e32 v2, 0
	v_mov_b32_e32 v4, 0
	;; [unrolled: 1-line block ×4, first 2 shown]
.LBB346_48:                             ; =>This Inner Loop Header: Depth=1
	s_load_dwordx4 s[40:43], s[34:35], 0x1c
	s_load_dwordx2 s[48:49], s[34:35], 0x2c
	s_load_dwordx2 s[50:51], s[34:35], 0xec
	s_load_dwordx4 s[44:47], s[34:35], 0xdc
	s_add_u32 s34, s34, 24
	s_waitcnt lgkmcnt(0)
	v_mul_hi_u32 v3, s41, v1
	s_addc_u32 s35, s35, 0
	s_add_i32 s39, s39, -2
	s_cmp_eq_u32 s39, 0
	v_add_u32_e32 v3, v1, v3
	v_lshrrev_b32_e32 v3, s42, v3
	v_mul_lo_u32 v5, v3, s40
	v_mul_hi_u32 v6, s48, v3
	v_sub_u32_e32 v5, v1, v5
	v_add_u32_e32 v1, v3, v6
	v_lshrrev_b32_e32 v1, s49, v1
	v_mul_lo_u32 v8, v1, s43
	v_mul_lo_u32 v6, v5, s44
	;; [unrolled: 1-line block ×4, first 2 shown]
	v_sub_u32_e32 v3, v3, v8
	v_mul_lo_u32 v8, v3, s47
	v_mul_lo_u32 v9, v3, s50
	;; [unrolled: 1-line block ×3, first 2 shown]
	v_add3_u32 v0, v6, v0, v8
	v_add3_u32 v4, v7, v4, v9
	;; [unrolled: 1-line block ×3, first 2 shown]
	s_cbranch_scc0 .LBB346_48
; %bb.49:
	s_bitcmp1_b32 s37, 0
	s_cselect_b64 s[40:41], -1, 0
	s_and_b64 vcc, exec, s[40:41]
	s_cbranch_vccnz .LBB346_53
; %bb.50:
	s_load_dwordx2 s[40:41], s[34:35], 0x1c
	s_load_dword s39, s[34:35], 0x24
	s_load_dwordx2 s[42:43], s[34:35], 0xdc
	s_waitcnt lgkmcnt(0)
	v_mul_hi_u32 v3, s41, v1
	v_add_u32_e32 v3, v1, v3
	v_lshrrev_b32_e32 v3, s39, v3
	v_mul_lo_u32 v3, v3, s40
	s_load_dword s39, s[34:35], 0xe4
	v_sub_u32_e32 v3, v1, v3
	v_mad_u64_u32 v[0:1], s[34:35], v3, s42, v[0:1]
	v_mad_u64_u32 v[4:5], s[34:35], v3, s43, v[4:5]
	s_waitcnt lgkmcnt(0)
	v_mad_u64_u32 v[2:3], s[34:35], v3, s39, v[2:3]
	s_branch .LBB346_53
.LBB346_51:
                                        ; implicit-def: $vgpr0
                                        ; implicit-def: $vgpr4
                                        ; implicit-def: $vgpr2
	s_branch .LBB346_54
.LBB346_52:
	v_mov_b32_e32 v0, 0
	v_mov_b32_e32 v4, 0
	;; [unrolled: 1-line block ×3, first 2 shown]
.LBB346_53:
	s_cbranch_execnz .LBB346_56
.LBB346_54:
	v_mul_hi_u32 v0, s9, v31
	s_andn2_b64 vcc, exec, s[26:27]
	v_add_u32_e32 v0, v31, v0
	v_lshrrev_b32_e32 v1, s10, v0
	v_mul_lo_u32 v0, v1, s8
	v_sub_u32_e32 v2, v31, v0
	v_mul_lo_u32 v0, v2, s4
	v_mul_lo_u32 v4, v2, s5
	;; [unrolled: 1-line block ×3, first 2 shown]
	s_cbranch_vccnz .LBB346_56
; %bb.55:
	v_mul_hi_u32 v3, s24, v1
	v_add_u32_e32 v3, v1, v3
	v_lshrrev_b32_e32 v3, s25, v3
	v_mul_lo_u32 v3, v3, s11
	v_sub_u32_e32 v3, v1, v3
	v_mad_u64_u32 v[0:1], s[34:35], v3, s7, v[0:1]
	v_mad_u64_u32 v[4:5], s[34:35], v3, s22, v[4:5]
	;; [unrolled: 1-line block ×3, first 2 shown]
.LBB346_56:
	global_load_dword v1, v4, s[2:3]
	global_load_dword v3, v2, s[18:19]
	v_add_u32_e32 v31, 0x80, v31
	s_waitcnt vmcnt(0)
	v_cmp_ne_u32_e32 vcc, v1, v3
	s_xor_b64 s[34:35], s[20:21], vcc
	v_cndmask_b32_e64 v1, 0, 1, s[34:35]
	global_store_byte v0, v1, s[0:1]
	s_or_b64 exec, exec, s[30:31]
	v_cmp_gt_i32_e32 vcc, s38, v31
	s_and_saveexec_b64 s[30:31], vcc
	s_cbranch_execz .LBB346_6
.LBB346_57:
	s_andn2_b64 vcc, exec, s[14:15]
	s_cbranch_vccnz .LBB346_63
; %bb.58:
	s_andn2_b64 vcc, exec, s[28:29]
	s_cbranch_vccnz .LBB346_64
; %bb.59:
	s_add_i32 s34, s37, 1
	s_and_b32 s39, s34, 30
	s_add_u32 s34, s12, 0xffffffe8
	s_addc_u32 s35, s13, -1
	v_mov_b32_e32 v2, 0
	v_mov_b32_e32 v4, 0
	;; [unrolled: 1-line block ×4, first 2 shown]
.LBB346_60:                             ; =>This Inner Loop Header: Depth=1
	s_load_dwordx4 s[40:43], s[34:35], 0x1c
	s_load_dwordx2 s[48:49], s[34:35], 0x2c
	s_load_dwordx2 s[50:51], s[34:35], 0xec
	s_load_dwordx4 s[44:47], s[34:35], 0xdc
	s_add_u32 s34, s34, 24
	s_waitcnt lgkmcnt(0)
	v_mul_hi_u32 v3, s41, v1
	s_addc_u32 s35, s35, 0
	s_add_i32 s39, s39, -2
	s_cmp_eq_u32 s39, 0
	v_add_u32_e32 v3, v1, v3
	v_lshrrev_b32_e32 v3, s42, v3
	v_mul_lo_u32 v5, v3, s40
	v_mul_hi_u32 v6, s48, v3
	v_sub_u32_e32 v5, v1, v5
	v_add_u32_e32 v1, v3, v6
	v_lshrrev_b32_e32 v1, s49, v1
	v_mul_lo_u32 v8, v1, s43
	v_mul_lo_u32 v6, v5, s44
	;; [unrolled: 1-line block ×4, first 2 shown]
	v_sub_u32_e32 v3, v3, v8
	v_mul_lo_u32 v8, v3, s47
	v_mul_lo_u32 v9, v3, s50
	;; [unrolled: 1-line block ×3, first 2 shown]
	v_add3_u32 v0, v6, v0, v8
	v_add3_u32 v4, v7, v4, v9
	;; [unrolled: 1-line block ×3, first 2 shown]
	s_cbranch_scc0 .LBB346_60
; %bb.61:
	s_bitcmp1_b32 s37, 0
	s_cselect_b64 s[40:41], -1, 0
	s_and_b64 vcc, exec, s[40:41]
	s_cbranch_vccnz .LBB346_65
; %bb.62:
	s_load_dwordx2 s[40:41], s[34:35], 0x1c
	s_load_dword s39, s[34:35], 0x24
	s_load_dwordx2 s[42:43], s[34:35], 0xdc
	s_waitcnt lgkmcnt(0)
	v_mul_hi_u32 v3, s41, v1
	v_add_u32_e32 v3, v1, v3
	v_lshrrev_b32_e32 v3, s39, v3
	v_mul_lo_u32 v3, v3, s40
	s_load_dword s39, s[34:35], 0xe4
	v_sub_u32_e32 v3, v1, v3
	v_mad_u64_u32 v[0:1], s[34:35], v3, s42, v[0:1]
	v_mad_u64_u32 v[4:5], s[34:35], v3, s43, v[4:5]
	s_waitcnt lgkmcnt(0)
	v_mad_u64_u32 v[2:3], s[34:35], v3, s39, v[2:3]
	s_branch .LBB346_65
.LBB346_63:
                                        ; implicit-def: $vgpr0
                                        ; implicit-def: $vgpr4
                                        ; implicit-def: $vgpr2
	s_branch .LBB346_66
.LBB346_64:
	v_mov_b32_e32 v0, 0
	v_mov_b32_e32 v4, 0
	;; [unrolled: 1-line block ×3, first 2 shown]
.LBB346_65:
	s_cbranch_execnz .LBB346_68
.LBB346_66:
	v_mul_hi_u32 v0, s9, v31
	s_andn2_b64 vcc, exec, s[26:27]
	v_add_u32_e32 v0, v31, v0
	v_lshrrev_b32_e32 v1, s10, v0
	v_mul_lo_u32 v0, v1, s8
	v_sub_u32_e32 v2, v31, v0
	v_mul_lo_u32 v0, v2, s4
	v_mul_lo_u32 v4, v2, s5
	v_mul_lo_u32 v2, v2, s6
	s_cbranch_vccnz .LBB346_68
; %bb.67:
	v_mul_hi_u32 v3, s24, v1
	v_add_u32_e32 v3, v1, v3
	v_lshrrev_b32_e32 v3, s25, v3
	v_mul_lo_u32 v3, v3, s11
	v_sub_u32_e32 v3, v1, v3
	v_mad_u64_u32 v[0:1], s[34:35], v3, s7, v[0:1]
	v_mad_u64_u32 v[4:5], s[34:35], v3, s22, v[4:5]
	;; [unrolled: 1-line block ×3, first 2 shown]
.LBB346_68:
	global_load_dword v1, v4, s[2:3]
	global_load_dword v3, v2, s[18:19]
	v_add_u32_e32 v31, 0x80, v31
	s_waitcnt vmcnt(0)
	v_cmp_ne_u32_e32 vcc, v1, v3
	s_xor_b64 s[34:35], s[20:21], vcc
	v_cndmask_b32_e64 v1, 0, 1, s[34:35]
	global_store_byte v0, v1, s[0:1]
	s_or_b64 exec, exec, s[30:31]
	v_cmp_gt_i32_e32 vcc, s38, v31
	s_and_saveexec_b64 s[30:31], vcc
	s_cbranch_execz .LBB346_7
.LBB346_69:
	s_andn2_b64 vcc, exec, s[14:15]
	s_cbranch_vccnz .LBB346_75
; %bb.70:
	s_andn2_b64 vcc, exec, s[28:29]
	s_cbranch_vccnz .LBB346_76
; %bb.71:
	s_add_i32 s34, s37, 1
	s_and_b32 s39, s34, 30
	s_add_u32 s34, s12, 0xffffffe8
	s_addc_u32 s35, s13, -1
	v_mov_b32_e32 v2, 0
	v_mov_b32_e32 v4, 0
	;; [unrolled: 1-line block ×4, first 2 shown]
.LBB346_72:                             ; =>This Inner Loop Header: Depth=1
	s_load_dwordx4 s[40:43], s[34:35], 0x1c
	s_load_dwordx2 s[48:49], s[34:35], 0x2c
	s_load_dwordx2 s[50:51], s[34:35], 0xec
	s_load_dwordx4 s[44:47], s[34:35], 0xdc
	s_add_u32 s34, s34, 24
	s_waitcnt lgkmcnt(0)
	v_mul_hi_u32 v3, s41, v1
	s_addc_u32 s35, s35, 0
	s_add_i32 s39, s39, -2
	s_cmp_eq_u32 s39, 0
	v_add_u32_e32 v3, v1, v3
	v_lshrrev_b32_e32 v3, s42, v3
	v_mul_lo_u32 v5, v3, s40
	v_mul_hi_u32 v6, s48, v3
	v_sub_u32_e32 v5, v1, v5
	v_add_u32_e32 v1, v3, v6
	v_lshrrev_b32_e32 v1, s49, v1
	v_mul_lo_u32 v8, v1, s43
	v_mul_lo_u32 v6, v5, s44
	;; [unrolled: 1-line block ×4, first 2 shown]
	v_sub_u32_e32 v3, v3, v8
	v_mul_lo_u32 v8, v3, s47
	v_mul_lo_u32 v9, v3, s50
	;; [unrolled: 1-line block ×3, first 2 shown]
	v_add3_u32 v0, v6, v0, v8
	v_add3_u32 v4, v7, v4, v9
	;; [unrolled: 1-line block ×3, first 2 shown]
	s_cbranch_scc0 .LBB346_72
; %bb.73:
	s_bitcmp1_b32 s37, 0
	s_cselect_b64 s[40:41], -1, 0
	s_and_b64 vcc, exec, s[40:41]
	s_cbranch_vccnz .LBB346_77
; %bb.74:
	s_load_dwordx2 s[40:41], s[34:35], 0x1c
	s_load_dword s39, s[34:35], 0x24
	s_load_dwordx2 s[42:43], s[34:35], 0xdc
	s_waitcnt lgkmcnt(0)
	v_mul_hi_u32 v3, s41, v1
	v_add_u32_e32 v3, v1, v3
	v_lshrrev_b32_e32 v3, s39, v3
	v_mul_lo_u32 v3, v3, s40
	s_load_dword s39, s[34:35], 0xe4
	v_sub_u32_e32 v3, v1, v3
	v_mad_u64_u32 v[0:1], s[34:35], v3, s42, v[0:1]
	v_mad_u64_u32 v[4:5], s[34:35], v3, s43, v[4:5]
	s_waitcnt lgkmcnt(0)
	v_mad_u64_u32 v[2:3], s[34:35], v3, s39, v[2:3]
	s_branch .LBB346_77
.LBB346_75:
                                        ; implicit-def: $vgpr0
                                        ; implicit-def: $vgpr4
                                        ; implicit-def: $vgpr2
	s_branch .LBB346_78
.LBB346_76:
	v_mov_b32_e32 v0, 0
	v_mov_b32_e32 v4, 0
	;; [unrolled: 1-line block ×3, first 2 shown]
.LBB346_77:
	s_cbranch_execnz .LBB346_80
.LBB346_78:
	v_mul_hi_u32 v0, s9, v31
	s_andn2_b64 vcc, exec, s[26:27]
	v_add_u32_e32 v0, v31, v0
	v_lshrrev_b32_e32 v1, s10, v0
	v_mul_lo_u32 v0, v1, s8
	v_sub_u32_e32 v2, v31, v0
	v_mul_lo_u32 v0, v2, s4
	v_mul_lo_u32 v4, v2, s5
	;; [unrolled: 1-line block ×3, first 2 shown]
	s_cbranch_vccnz .LBB346_80
; %bb.79:
	v_mul_hi_u32 v3, s24, v1
	v_add_u32_e32 v3, v1, v3
	v_lshrrev_b32_e32 v3, s25, v3
	v_mul_lo_u32 v3, v3, s11
	v_sub_u32_e32 v3, v1, v3
	v_mad_u64_u32 v[0:1], s[34:35], v3, s7, v[0:1]
	v_mad_u64_u32 v[4:5], s[34:35], v3, s22, v[4:5]
	;; [unrolled: 1-line block ×3, first 2 shown]
.LBB346_80:
	global_load_dword v1, v4, s[2:3]
	global_load_dword v3, v2, s[18:19]
	v_add_u32_e32 v31, 0x80, v31
	s_waitcnt vmcnt(0)
	v_cmp_ne_u32_e32 vcc, v1, v3
	s_xor_b64 s[34:35], s[20:21], vcc
	v_cndmask_b32_e64 v1, 0, 1, s[34:35]
	global_store_byte v0, v1, s[0:1]
	s_or_b64 exec, exec, s[30:31]
	v_cmp_gt_i32_e32 vcc, s38, v31
	s_and_saveexec_b64 s[30:31], vcc
	s_cbranch_execz .LBB346_8
.LBB346_81:
	s_andn2_b64 vcc, exec, s[14:15]
	s_cbranch_vccnz .LBB346_87
; %bb.82:
	s_andn2_b64 vcc, exec, s[28:29]
	s_cbranch_vccnz .LBB346_88
; %bb.83:
	s_add_i32 s34, s37, 1
	s_and_b32 s39, s34, 30
	s_add_u32 s34, s12, 0xffffffe8
	s_addc_u32 s35, s13, -1
	v_mov_b32_e32 v2, 0
	v_mov_b32_e32 v4, 0
	;; [unrolled: 1-line block ×4, first 2 shown]
.LBB346_84:                             ; =>This Inner Loop Header: Depth=1
	s_load_dwordx4 s[40:43], s[34:35], 0x1c
	s_load_dwordx2 s[48:49], s[34:35], 0x2c
	s_load_dwordx2 s[50:51], s[34:35], 0xec
	s_load_dwordx4 s[44:47], s[34:35], 0xdc
	s_add_u32 s34, s34, 24
	s_waitcnt lgkmcnt(0)
	v_mul_hi_u32 v3, s41, v1
	s_addc_u32 s35, s35, 0
	s_add_i32 s39, s39, -2
	s_cmp_eq_u32 s39, 0
	v_add_u32_e32 v3, v1, v3
	v_lshrrev_b32_e32 v3, s42, v3
	v_mul_lo_u32 v5, v3, s40
	v_mul_hi_u32 v6, s48, v3
	v_sub_u32_e32 v5, v1, v5
	v_add_u32_e32 v1, v3, v6
	v_lshrrev_b32_e32 v1, s49, v1
	v_mul_lo_u32 v8, v1, s43
	v_mul_lo_u32 v6, v5, s44
	;; [unrolled: 1-line block ×4, first 2 shown]
	v_sub_u32_e32 v3, v3, v8
	v_mul_lo_u32 v8, v3, s47
	v_mul_lo_u32 v9, v3, s50
	;; [unrolled: 1-line block ×3, first 2 shown]
	v_add3_u32 v0, v6, v0, v8
	v_add3_u32 v4, v7, v4, v9
	;; [unrolled: 1-line block ×3, first 2 shown]
	s_cbranch_scc0 .LBB346_84
; %bb.85:
	s_bitcmp1_b32 s37, 0
	s_cselect_b64 s[40:41], -1, 0
	s_and_b64 vcc, exec, s[40:41]
	s_cbranch_vccnz .LBB346_89
; %bb.86:
	s_load_dwordx2 s[40:41], s[34:35], 0x1c
	s_load_dword s39, s[34:35], 0x24
	s_load_dwordx2 s[42:43], s[34:35], 0xdc
	s_waitcnt lgkmcnt(0)
	v_mul_hi_u32 v3, s41, v1
	v_add_u32_e32 v3, v1, v3
	v_lshrrev_b32_e32 v3, s39, v3
	v_mul_lo_u32 v3, v3, s40
	s_load_dword s39, s[34:35], 0xe4
	v_sub_u32_e32 v3, v1, v3
	v_mad_u64_u32 v[0:1], s[34:35], v3, s42, v[0:1]
	v_mad_u64_u32 v[4:5], s[34:35], v3, s43, v[4:5]
	s_waitcnt lgkmcnt(0)
	v_mad_u64_u32 v[2:3], s[34:35], v3, s39, v[2:3]
	s_branch .LBB346_89
.LBB346_87:
                                        ; implicit-def: $vgpr0
                                        ; implicit-def: $vgpr4
                                        ; implicit-def: $vgpr2
	s_branch .LBB346_90
.LBB346_88:
	v_mov_b32_e32 v0, 0
	v_mov_b32_e32 v4, 0
	;; [unrolled: 1-line block ×3, first 2 shown]
.LBB346_89:
	s_cbranch_execnz .LBB346_92
.LBB346_90:
	v_mul_hi_u32 v0, s9, v31
	s_andn2_b64 vcc, exec, s[26:27]
	v_add_u32_e32 v0, v31, v0
	v_lshrrev_b32_e32 v1, s10, v0
	v_mul_lo_u32 v0, v1, s8
	v_sub_u32_e32 v2, v31, v0
	v_mul_lo_u32 v0, v2, s4
	v_mul_lo_u32 v4, v2, s5
	;; [unrolled: 1-line block ×3, first 2 shown]
	s_cbranch_vccnz .LBB346_92
; %bb.91:
	v_mul_hi_u32 v3, s24, v1
	v_add_u32_e32 v3, v1, v3
	v_lshrrev_b32_e32 v3, s25, v3
	v_mul_lo_u32 v3, v3, s11
	v_sub_u32_e32 v3, v1, v3
	v_mad_u64_u32 v[0:1], s[34:35], v3, s7, v[0:1]
	v_mad_u64_u32 v[4:5], s[34:35], v3, s22, v[4:5]
	;; [unrolled: 1-line block ×3, first 2 shown]
.LBB346_92:
	global_load_dword v1, v4, s[2:3]
	global_load_dword v3, v2, s[18:19]
	v_add_u32_e32 v31, 0x80, v31
	s_waitcnt vmcnt(0)
	v_cmp_ne_u32_e32 vcc, v1, v3
	s_xor_b64 s[34:35], s[20:21], vcc
	v_cndmask_b32_e64 v1, 0, 1, s[34:35]
	global_store_byte v0, v1, s[0:1]
	s_or_b64 exec, exec, s[30:31]
	v_cmp_gt_i32_e32 vcc, s38, v31
	s_and_saveexec_b64 s[30:31], vcc
	s_cbranch_execz .LBB346_105
.LBB346_93:
	s_andn2_b64 vcc, exec, s[14:15]
	s_cbranch_vccnz .LBB346_99
; %bb.94:
	s_andn2_b64 vcc, exec, s[28:29]
	s_cbranch_vccnz .LBB346_100
; %bb.95:
	s_add_i32 s28, s37, 1
	s_and_b32 s34, s28, 30
	s_add_u32 s28, s12, 0xffffffe8
	s_addc_u32 s29, s13, -1
	v_mov_b32_e32 v4, 0
	v_mov_b32_e32 v2, 0
	v_mov_b32_e32 v0, 0
	v_mov_b32_e32 v1, v31
.LBB346_96:                             ; =>This Inner Loop Header: Depth=1
	s_load_dwordx4 s[40:43], s[28:29], 0x1c
	s_load_dwordx2 s[38:39], s[28:29], 0x2c
	s_load_dwordx2 s[48:49], s[28:29], 0xec
	s_load_dwordx4 s[44:47], s[28:29], 0xdc
	s_add_u32 s28, s28, 24
	s_waitcnt lgkmcnt(0)
	v_mul_hi_u32 v3, s41, v1
	s_addc_u32 s29, s29, 0
	s_add_i32 s34, s34, -2
	s_cmp_eq_u32 s34, 0
	v_add_u32_e32 v3, v1, v3
	v_lshrrev_b32_e32 v3, s42, v3
	v_mul_lo_u32 v5, v3, s40
	v_mul_hi_u32 v6, s38, v3
	v_sub_u32_e32 v5, v1, v5
	v_add_u32_e32 v1, v3, v6
	v_lshrrev_b32_e32 v1, s39, v1
	v_mul_lo_u32 v8, v1, s43
	v_mul_lo_u32 v6, v5, s44
	;; [unrolled: 1-line block ×4, first 2 shown]
	v_sub_u32_e32 v3, v3, v8
	v_mul_lo_u32 v8, v3, s47
	v_mul_lo_u32 v9, v3, s48
	;; [unrolled: 1-line block ×3, first 2 shown]
	v_add3_u32 v0, v6, v0, v8
	v_add3_u32 v2, v7, v2, v9
	;; [unrolled: 1-line block ×3, first 2 shown]
	s_cbranch_scc0 .LBB346_96
; %bb.97:
	s_bitcmp1_b32 s37, 0
	s_cselect_b64 s[34:35], -1, 0
	s_and_b64 vcc, exec, s[34:35]
	s_cbranch_vccnz .LBB346_101
; %bb.98:
	s_load_dwordx2 s[34:35], s[28:29], 0x1c
	s_load_dword s37, s[28:29], 0x24
	s_load_dwordx2 s[38:39], s[28:29], 0xdc
	s_waitcnt lgkmcnt(0)
	v_mul_hi_u32 v3, s35, v1
	v_add_u32_e32 v3, v1, v3
	v_lshrrev_b32_e32 v3, s37, v3
	v_mul_lo_u32 v3, v3, s34
	s_load_dword s34, s[28:29], 0xe4
	v_sub_u32_e32 v5, v1, v3
	v_mad_u64_u32 v[0:1], s[28:29], v5, s38, v[0:1]
	v_mad_u64_u32 v[2:3], s[28:29], v5, s39, v[2:3]
	s_waitcnt lgkmcnt(0)
	v_mad_u64_u32 v[4:5], s[28:29], v5, s34, v[4:5]
	s_branch .LBB346_101
.LBB346_99:
                                        ; implicit-def: $vgpr0
                                        ; implicit-def: $vgpr2
                                        ; implicit-def: $vgpr4
	s_branch .LBB346_102
.LBB346_100:
	v_mov_b32_e32 v0, 0
	v_mov_b32_e32 v2, 0
	v_mov_b32_e32 v4, 0
.LBB346_101:
	s_cbranch_execnz .LBB346_104
.LBB346_102:
	v_mul_hi_u32 v0, s9, v31
	s_andn2_b64 vcc, exec, s[26:27]
	v_add_u32_e32 v0, v31, v0
	v_lshrrev_b32_e32 v1, s10, v0
	v_mul_lo_u32 v0, v1, s8
	v_sub_u32_e32 v3, v31, v0
	v_mul_lo_u32 v0, v3, s4
	v_mul_lo_u32 v2, v3, s5
	;; [unrolled: 1-line block ×3, first 2 shown]
	s_cbranch_vccnz .LBB346_104
; %bb.103:
	v_mul_hi_u32 v3, s24, v1
	v_add_u32_e32 v3, v1, v3
	v_lshrrev_b32_e32 v3, s25, v3
	v_mul_lo_u32 v3, v3, s11
	v_sub_u32_e32 v5, v1, v3
	v_mad_u64_u32 v[0:1], s[4:5], v5, s7, v[0:1]
	v_mad_u64_u32 v[2:3], s[4:5], v5, s22, v[2:3]
	;; [unrolled: 1-line block ×3, first 2 shown]
.LBB346_104:
	global_load_dword v1, v2, s[2:3]
	global_load_dword v3, v4, s[18:19]
	s_waitcnt vmcnt(0)
	v_cmp_ne_u32_e32 vcc, v1, v3
	s_xor_b64 s[2:3], s[20:21], vcc
	v_cndmask_b32_e64 v1, 0, 1, s[2:3]
	global_store_byte v0, v1, s[0:1]
.LBB346_105:
	s_or_b64 exec, exec, s[30:31]
                                        ; implicit-def: $vgpr41
                                        ; implicit-def: $vgpr31
.LBB346_106:
	s_andn2_saveexec_b64 s[0:1], s[16:17]
	s_cbranch_execz .LBB346_113
; %bb.107:
	v_cndmask_b32_e64 v0, 0, 1, s[14:15]
	v_cmp_ne_u32_e64 s[0:1], 1, v0
	s_andn2_b64 vcc, exec, s[14:15]
	s_cbranch_vccnz .LBB346_114
; %bb.108:
	s_cmp_lg_u32 s33, 0
	s_cbranch_scc0 .LBB346_115
; %bb.109:
	s_min_u32 s4, s36, 15
	s_add_i32 s2, s4, 1
	s_and_b32 s5, s2, 30
	s_add_u32 s2, s12, 0xffffffe8
	s_addc_u32 s3, s13, -1
	v_mov_b32_e32 v2, 0
	v_mov_b32_e32 v4, 0
	v_mov_b32_e32 v0, 0
	v_mov_b32_e32 v1, v31
.LBB346_110:                            ; =>This Inner Loop Header: Depth=1
	s_load_dwordx4 s[8:11], s[2:3], 0x1c
	s_load_dwordx2 s[6:7], s[2:3], 0x2c
	s_load_dwordx2 s[14:15], s[2:3], 0xec
	s_load_dwordx4 s[16:19], s[2:3], 0xdc
	s_add_u32 s2, s2, 24
	s_waitcnt lgkmcnt(0)
	v_mul_hi_u32 v3, s9, v1
	s_addc_u32 s3, s3, 0
	s_add_i32 s5, s5, -2
	s_cmp_lg_u32 s5, 0
	v_add_u32_e32 v3, v1, v3
	v_lshrrev_b32_e32 v3, s10, v3
	v_mul_lo_u32 v5, v3, s8
	v_mul_hi_u32 v6, s6, v3
	v_sub_u32_e32 v5, v1, v5
	v_add_u32_e32 v1, v3, v6
	v_lshrrev_b32_e32 v1, s7, v1
	v_mul_lo_u32 v8, v1, s11
	v_mul_lo_u32 v6, v5, s16
	;; [unrolled: 1-line block ×4, first 2 shown]
	v_sub_u32_e32 v3, v3, v8
	v_mul_lo_u32 v8, v3, s19
	v_mul_lo_u32 v9, v3, s14
	;; [unrolled: 1-line block ×3, first 2 shown]
	v_add3_u32 v0, v6, v0, v8
	v_add3_u32 v4, v7, v4, v9
	;; [unrolled: 1-line block ×3, first 2 shown]
	s_cbranch_scc1 .LBB346_110
; %bb.111:
	s_bitcmp1_b32 s4, 0
	s_cselect_b64 s[4:5], -1, 0
	s_and_b64 vcc, exec, s[4:5]
	s_cbranch_vccnz .LBB346_116
; %bb.112:
	s_load_dwordx2 s[4:5], s[2:3], 0x1c
	s_load_dword s8, s[2:3], 0x24
	s_load_dwordx2 s[6:7], s[2:3], 0xdc
	s_waitcnt lgkmcnt(0)
	v_mul_hi_u32 v3, s5, v1
	v_add_u32_e32 v3, v1, v3
	v_lshrrev_b32_e32 v3, s8, v3
	v_mul_lo_u32 v3, v3, s4
	s_load_dword s4, s[2:3], 0xe4
	v_sub_u32_e32 v3, v1, v3
	v_mad_u64_u32 v[0:1], s[2:3], v3, s6, v[0:1]
	v_mad_u64_u32 v[4:5], s[2:3], v3, s7, v[4:5]
	s_waitcnt lgkmcnt(0)
	v_mad_u64_u32 v[2:3], s[2:3], v3, s4, v[2:3]
	s_cbranch_execz .LBB346_117
	s_branch .LBB346_119
.LBB346_113:
	s_endpgm
.LBB346_114:
                                        ; implicit-def: $vgpr0
                                        ; implicit-def: $vgpr4
                                        ; implicit-def: $vgpr2
	s_branch .LBB346_117
.LBB346_115:
	v_mov_b32_e32 v0, 0
	v_mov_b32_e32 v4, 0
	;; [unrolled: 1-line block ×3, first 2 shown]
.LBB346_116:
	s_cbranch_execnz .LBB346_119
.LBB346_117:
	s_load_dwordx4 s[4:7], s[12:13], 0x4
	s_load_dwordx4 s[8:11], s[12:13], 0xc4
	s_cmp_lt_u32 s33, 2
	s_waitcnt lgkmcnt(0)
	v_mul_hi_u32 v0, s5, v31
	v_add_u32_e32 v0, v31, v0
	v_lshrrev_b32_e32 v1, s6, v0
	v_mul_lo_u32 v0, v1, s4
	v_sub_u32_e32 v2, v31, v0
	v_mul_lo_u32 v0, v2, s8
	v_mul_lo_u32 v4, v2, s9
	;; [unrolled: 1-line block ×3, first 2 shown]
	s_cbranch_scc1 .LBB346_119
; %bb.118:
	s_load_dwordx4 s[4:7], s[12:13], 0x10
	s_load_dwordx4 s[8:11], s[12:13], 0xd0
	s_waitcnt lgkmcnt(0)
	v_mul_hi_u32 v3, s5, v1
	v_add_u32_e32 v3, v1, v3
	v_lshrrev_b32_e32 v3, s6, v3
	v_mul_lo_u32 v3, v3, s4
	v_sub_u32_e32 v3, v1, v3
	v_mad_u64_u32 v[0:1], s[2:3], v3, s8, v[0:1]
	v_mad_u64_u32 v[4:5], s[2:3], v3, s9, v[4:5]
	;; [unrolled: 1-line block ×3, first 2 shown]
.LBB346_119:
	s_and_b64 vcc, exec, s[0:1]
	v_add_u32_e32 v1, 0x80, v31
	s_cbranch_vccnz .LBB346_125
; %bb.120:
	s_cmp_lg_u32 s33, 0
	s_cbranch_scc0 .LBB346_126
; %bb.121:
	s_min_u32 s4, s36, 15
	s_add_i32 s2, s4, 1
	s_and_b32 s5, s2, 30
	s_add_u32 s2, s12, 0xffffffe8
	s_addc_u32 s3, s13, -1
	v_mov_b32_e32 v7, 0
	v_mov_b32_e32 v9, 0
	;; [unrolled: 1-line block ×4, first 2 shown]
.LBB346_122:                            ; =>This Inner Loop Header: Depth=1
	s_load_dwordx4 s[8:11], s[2:3], 0x1c
	s_load_dwordx2 s[6:7], s[2:3], 0x2c
	s_load_dwordx2 s[14:15], s[2:3], 0xec
	s_load_dwordx4 s[16:19], s[2:3], 0xdc
	s_add_u32 s2, s2, 24
	s_waitcnt lgkmcnt(0)
	v_mul_hi_u32 v6, s9, v3
	s_addc_u32 s3, s3, 0
	s_add_i32 s5, s5, -2
	s_cmp_lg_u32 s5, 0
	v_add_u32_e32 v6, v3, v6
	v_lshrrev_b32_e32 v6, s10, v6
	v_mul_lo_u32 v8, v6, s8
	v_mul_hi_u32 v10, s6, v6
	v_sub_u32_e32 v8, v3, v8
	v_add_u32_e32 v3, v6, v10
	v_lshrrev_b32_e32 v3, s7, v3
	v_mul_lo_u32 v12, v3, s11
	v_mul_lo_u32 v10, v8, s16
	;; [unrolled: 1-line block ×4, first 2 shown]
	v_sub_u32_e32 v6, v6, v12
	v_mul_lo_u32 v12, v6, s19
	v_mul_lo_u32 v13, v6, s14
	;; [unrolled: 1-line block ×3, first 2 shown]
	v_add3_u32 v5, v10, v5, v12
	v_add3_u32 v9, v11, v9, v13
	;; [unrolled: 1-line block ×3, first 2 shown]
	s_cbranch_scc1 .LBB346_122
; %bb.123:
	s_bitcmp1_b32 s4, 0
	s_cselect_b64 s[4:5], -1, 0
	s_and_b64 vcc, exec, s[4:5]
	s_cbranch_vccnz .LBB346_127
; %bb.124:
	s_load_dwordx2 s[4:5], s[2:3], 0x1c
	s_load_dword s8, s[2:3], 0x24
	s_load_dwordx2 s[6:7], s[2:3], 0xdc
	s_waitcnt lgkmcnt(0)
	v_mul_hi_u32 v6, s5, v3
	v_add_u32_e32 v6, v3, v6
	v_lshrrev_b32_e32 v6, s8, v6
	v_mul_lo_u32 v6, v6, s4
	s_load_dword s4, s[2:3], 0xe4
	v_sub_u32_e32 v3, v3, v6
	v_mad_u64_u32 v[5:6], s[2:3], v3, s6, v[5:6]
	v_mad_u64_u32 v[9:10], s[2:3], v3, s7, v[9:10]
	s_waitcnt lgkmcnt(0)
	v_mad_u64_u32 v[7:8], s[2:3], v3, s4, v[7:8]
	s_cbranch_execz .LBB346_128
	s_branch .LBB346_130
.LBB346_125:
                                        ; implicit-def: $vgpr5
                                        ; implicit-def: $vgpr9
                                        ; implicit-def: $vgpr7
	s_branch .LBB346_128
.LBB346_126:
	v_mov_b32_e32 v5, 0
	v_mov_b32_e32 v9, 0
	;; [unrolled: 1-line block ×3, first 2 shown]
.LBB346_127:
	s_cbranch_execnz .LBB346_130
.LBB346_128:
	s_load_dwordx4 s[4:7], s[12:13], 0x4
	s_load_dwordx4 s[8:11], s[12:13], 0xc4
	s_cmp_lt_u32 s33, 2
	s_waitcnt lgkmcnt(0)
	v_mul_hi_u32 v3, s5, v1
	v_add_u32_e32 v3, v1, v3
	v_lshrrev_b32_e32 v3, s6, v3
	v_mul_lo_u32 v5, v3, s4
	v_sub_u32_e32 v1, v1, v5
	v_mul_lo_u32 v5, v1, s8
	v_mul_lo_u32 v9, v1, s9
	;; [unrolled: 1-line block ×3, first 2 shown]
	s_cbranch_scc1 .LBB346_130
; %bb.129:
	s_load_dwordx4 s[4:7], s[12:13], 0x10
	s_load_dwordx4 s[8:11], s[12:13], 0xd0
	s_waitcnt lgkmcnt(0)
	v_mul_hi_u32 v1, s5, v3
	v_add_u32_e32 v1, v3, v1
	v_lshrrev_b32_e32 v1, s6, v1
	v_mul_lo_u32 v1, v1, s4
	v_sub_u32_e32 v1, v3, v1
	v_mad_u64_u32 v[5:6], s[2:3], v1, s8, v[5:6]
	v_mad_u64_u32 v[9:10], s[2:3], v1, s9, v[9:10]
	v_mad_u64_u32 v[7:8], s[2:3], v1, s10, v[7:8]
.LBB346_130:
	s_and_b64 vcc, exec, s[0:1]
	v_add_u32_e32 v1, 0x100, v31
	s_cbranch_vccnz .LBB346_136
; %bb.131:
	s_cmp_lg_u32 s33, 0
	s_cbranch_scc0 .LBB346_137
; %bb.132:
	s_min_u32 s4, s36, 15
	s_add_i32 s2, s4, 1
	s_and_b32 s5, s2, 30
	s_add_u32 s2, s12, 0xffffffe8
	s_addc_u32 s3, s13, -1
	v_mov_b32_e32 v12, 0
	v_mov_b32_e32 v14, 0
	;; [unrolled: 1-line block ×4, first 2 shown]
.LBB346_133:                            ; =>This Inner Loop Header: Depth=1
	s_load_dwordx4 s[8:11], s[2:3], 0x1c
	s_load_dwordx2 s[6:7], s[2:3], 0x2c
	s_load_dwordx2 s[14:15], s[2:3], 0xec
	s_load_dwordx4 s[16:19], s[2:3], 0xdc
	s_add_u32 s2, s2, 24
	s_waitcnt lgkmcnt(0)
	v_mul_hi_u32 v6, s9, v3
	s_addc_u32 s3, s3, 0
	s_add_i32 s5, s5, -2
	s_cmp_lg_u32 s5, 0
	v_add_u32_e32 v6, v3, v6
	v_lshrrev_b32_e32 v6, s10, v6
	v_mul_lo_u32 v8, v6, s8
	v_mul_hi_u32 v11, s6, v6
	v_sub_u32_e32 v8, v3, v8
	v_add_u32_e32 v3, v6, v11
	v_lshrrev_b32_e32 v3, s7, v3
	v_mul_lo_u32 v15, v3, s11
	v_mul_lo_u32 v11, v8, s16
	v_mul_lo_u32 v13, v8, s17
	v_mul_lo_u32 v8, v8, s18
	v_sub_u32_e32 v6, v6, v15
	v_mul_lo_u32 v15, v6, s19
	v_mul_lo_u32 v16, v6, s14
	v_mul_lo_u32 v6, v6, s15
	v_add3_u32 v10, v11, v10, v15
	v_add3_u32 v14, v13, v14, v16
	;; [unrolled: 1-line block ×3, first 2 shown]
	s_cbranch_scc1 .LBB346_133
; %bb.134:
	s_bitcmp1_b32 s4, 0
	s_cselect_b64 s[4:5], -1, 0
	s_and_b64 vcc, exec, s[4:5]
	s_cbranch_vccnz .LBB346_138
; %bb.135:
	s_load_dwordx2 s[4:5], s[2:3], 0x1c
	s_load_dword s8, s[2:3], 0x24
	s_load_dwordx2 s[6:7], s[2:3], 0xdc
	s_waitcnt lgkmcnt(0)
	v_mul_hi_u32 v6, s5, v3
	v_add_u32_e32 v6, v3, v6
	v_lshrrev_b32_e32 v6, s8, v6
	v_mul_lo_u32 v6, v6, s4
	s_load_dword s4, s[2:3], 0xe4
	v_sub_u32_e32 v3, v3, v6
	v_mad_u64_u32 v[10:11], s[2:3], v3, s6, v[10:11]
	v_mad_u64_u32 v[14:15], s[2:3], v3, s7, v[14:15]
	s_waitcnt lgkmcnt(0)
	v_mad_u64_u32 v[12:13], s[2:3], v3, s4, v[12:13]
	s_cbranch_execz .LBB346_139
	s_branch .LBB346_141
.LBB346_136:
                                        ; implicit-def: $vgpr10
                                        ; implicit-def: $vgpr14
                                        ; implicit-def: $vgpr12
	s_branch .LBB346_139
.LBB346_137:
	v_mov_b32_e32 v10, 0
	v_mov_b32_e32 v14, 0
	;; [unrolled: 1-line block ×3, first 2 shown]
.LBB346_138:
	s_cbranch_execnz .LBB346_141
.LBB346_139:
	s_load_dwordx4 s[4:7], s[12:13], 0x4
	s_load_dwordx4 s[8:11], s[12:13], 0xc4
	s_cmp_lt_u32 s33, 2
	s_waitcnt lgkmcnt(0)
	v_mul_hi_u32 v3, s5, v1
	v_add_u32_e32 v3, v1, v3
	v_lshrrev_b32_e32 v3, s6, v3
	v_mul_lo_u32 v6, v3, s4
	v_sub_u32_e32 v1, v1, v6
	v_mul_lo_u32 v10, v1, s8
	v_mul_lo_u32 v14, v1, s9
	;; [unrolled: 1-line block ×3, first 2 shown]
	s_cbranch_scc1 .LBB346_141
; %bb.140:
	s_load_dwordx4 s[4:7], s[12:13], 0x10
	s_load_dwordx4 s[8:11], s[12:13], 0xd0
	s_waitcnt lgkmcnt(0)
	v_mul_hi_u32 v1, s5, v3
	v_add_u32_e32 v1, v3, v1
	v_lshrrev_b32_e32 v1, s6, v1
	v_mul_lo_u32 v1, v1, s4
	v_sub_u32_e32 v1, v3, v1
	v_mad_u64_u32 v[10:11], s[2:3], v1, s8, v[10:11]
	v_mad_u64_u32 v[14:15], s[2:3], v1, s9, v[14:15]
	v_mad_u64_u32 v[12:13], s[2:3], v1, s10, v[12:13]
.LBB346_141:
	s_and_b64 vcc, exec, s[0:1]
	v_add_u32_e32 v1, 0x180, v31
	s_cbranch_vccnz .LBB346_147
; %bb.142:
	s_cmp_lg_u32 s33, 0
	s_cbranch_scc0 .LBB346_148
; %bb.143:
	s_min_u32 s4, s36, 15
	s_add_i32 s2, s4, 1
	s_and_b32 s5, s2, 30
	s_add_u32 s2, s12, 0xffffffe8
	s_addc_u32 s3, s13, -1
	v_mov_b32_e32 v17, 0
	v_mov_b32_e32 v19, 0
	;; [unrolled: 1-line block ×4, first 2 shown]
.LBB346_144:                            ; =>This Inner Loop Header: Depth=1
	s_load_dwordx4 s[8:11], s[2:3], 0x1c
	s_load_dwordx2 s[6:7], s[2:3], 0x2c
	s_load_dwordx2 s[14:15], s[2:3], 0xec
	s_load_dwordx4 s[16:19], s[2:3], 0xdc
	s_add_u32 s2, s2, 24
	s_waitcnt lgkmcnt(0)
	v_mul_hi_u32 v6, s9, v3
	s_addc_u32 s3, s3, 0
	s_add_i32 s5, s5, -2
	s_cmp_lg_u32 s5, 0
	v_add_u32_e32 v6, v3, v6
	v_lshrrev_b32_e32 v6, s10, v6
	v_mul_lo_u32 v8, v6, s8
	v_mul_hi_u32 v11, s6, v6
	v_sub_u32_e32 v8, v3, v8
	v_add_u32_e32 v3, v6, v11
	v_lshrrev_b32_e32 v3, s7, v3
	v_mul_lo_u32 v16, v3, s11
	v_mul_lo_u32 v11, v8, s16
	;; [unrolled: 1-line block ×4, first 2 shown]
	v_sub_u32_e32 v6, v6, v16
	v_mul_lo_u32 v16, v6, s19
	v_mul_lo_u32 v18, v6, s14
	;; [unrolled: 1-line block ×3, first 2 shown]
	v_add3_u32 v15, v11, v15, v16
	v_add3_u32 v19, v13, v19, v18
	;; [unrolled: 1-line block ×3, first 2 shown]
	s_cbranch_scc1 .LBB346_144
; %bb.145:
	s_bitcmp1_b32 s4, 0
	s_cselect_b64 s[4:5], -1, 0
	s_and_b64 vcc, exec, s[4:5]
	s_cbranch_vccnz .LBB346_149
; %bb.146:
	s_load_dwordx2 s[4:5], s[2:3], 0x1c
	s_load_dword s8, s[2:3], 0x24
	s_load_dwordx2 s[6:7], s[2:3], 0xdc
	s_waitcnt lgkmcnt(0)
	v_mul_hi_u32 v6, s5, v3
	v_add_u32_e32 v6, v3, v6
	v_lshrrev_b32_e32 v6, s8, v6
	v_mul_lo_u32 v6, v6, s4
	s_load_dword s4, s[2:3], 0xe4
	v_sub_u32_e32 v3, v3, v6
	v_mad_u64_u32 v[15:16], s[2:3], v3, s6, v[15:16]
	v_mad_u64_u32 v[19:20], s[2:3], v3, s7, v[19:20]
	s_waitcnt lgkmcnt(0)
	v_mad_u64_u32 v[17:18], s[2:3], v3, s4, v[17:18]
	s_cbranch_execz .LBB346_150
	s_branch .LBB346_152
.LBB346_147:
                                        ; implicit-def: $vgpr15
                                        ; implicit-def: $vgpr19
                                        ; implicit-def: $vgpr17
	s_branch .LBB346_150
.LBB346_148:
	v_mov_b32_e32 v15, 0
	v_mov_b32_e32 v19, 0
	;; [unrolled: 1-line block ×3, first 2 shown]
.LBB346_149:
	s_cbranch_execnz .LBB346_152
.LBB346_150:
	s_load_dwordx4 s[4:7], s[12:13], 0x4
	s_load_dwordx4 s[8:11], s[12:13], 0xc4
	s_cmp_lt_u32 s33, 2
	s_waitcnt lgkmcnt(0)
	v_mul_hi_u32 v3, s5, v1
	v_add_u32_e32 v3, v1, v3
	v_lshrrev_b32_e32 v3, s6, v3
	v_mul_lo_u32 v6, v3, s4
	v_sub_u32_e32 v1, v1, v6
	v_mul_lo_u32 v15, v1, s8
	v_mul_lo_u32 v19, v1, s9
	;; [unrolled: 1-line block ×3, first 2 shown]
	s_cbranch_scc1 .LBB346_152
; %bb.151:
	s_load_dwordx4 s[4:7], s[12:13], 0x10
	s_load_dwordx4 s[8:11], s[12:13], 0xd0
	s_waitcnt lgkmcnt(0)
	v_mul_hi_u32 v1, s5, v3
	v_add_u32_e32 v1, v3, v1
	v_lshrrev_b32_e32 v1, s6, v1
	v_mul_lo_u32 v1, v1, s4
	v_sub_u32_e32 v1, v3, v1
	v_mad_u64_u32 v[15:16], s[2:3], v1, s8, v[15:16]
	v_mad_u64_u32 v[19:20], s[2:3], v1, s9, v[19:20]
	;; [unrolled: 1-line block ×3, first 2 shown]
.LBB346_152:
	s_and_b64 vcc, exec, s[0:1]
	v_add_u32_e32 v1, 0x200, v31
	s_cbranch_vccnz .LBB346_158
; %bb.153:
	s_cmp_lg_u32 s33, 0
	s_cbranch_scc0 .LBB346_159
; %bb.154:
	s_min_u32 s4, s36, 15
	s_add_i32 s2, s4, 1
	s_and_b32 s5, s2, 30
	s_add_u32 s2, s12, 0xffffffe8
	s_addc_u32 s3, s13, -1
	v_mov_b32_e32 v22, 0
	v_mov_b32_e32 v24, 0
	;; [unrolled: 1-line block ×4, first 2 shown]
.LBB346_155:                            ; =>This Inner Loop Header: Depth=1
	s_load_dwordx4 s[8:11], s[2:3], 0x1c
	s_load_dwordx2 s[6:7], s[2:3], 0x2c
	s_load_dwordx2 s[14:15], s[2:3], 0xec
	s_load_dwordx4 s[16:19], s[2:3], 0xdc
	s_add_u32 s2, s2, 24
	s_waitcnt lgkmcnt(0)
	v_mul_hi_u32 v6, s9, v3
	s_addc_u32 s3, s3, 0
	s_add_i32 s5, s5, -2
	s_cmp_lg_u32 s5, 0
	v_add_u32_e32 v6, v3, v6
	v_lshrrev_b32_e32 v6, s10, v6
	v_mul_lo_u32 v8, v6, s8
	v_mul_hi_u32 v11, s6, v6
	v_sub_u32_e32 v8, v3, v8
	v_add_u32_e32 v3, v6, v11
	v_lshrrev_b32_e32 v3, s7, v3
	v_mul_lo_u32 v16, v3, s11
	v_mul_lo_u32 v11, v8, s16
	;; [unrolled: 1-line block ×4, first 2 shown]
	v_sub_u32_e32 v6, v6, v16
	v_mul_lo_u32 v16, v6, s19
	v_mul_lo_u32 v18, v6, s14
	;; [unrolled: 1-line block ×3, first 2 shown]
	v_add3_u32 v20, v11, v20, v16
	v_add3_u32 v24, v13, v24, v18
	;; [unrolled: 1-line block ×3, first 2 shown]
	s_cbranch_scc1 .LBB346_155
; %bb.156:
	s_bitcmp1_b32 s4, 0
	s_cselect_b64 s[4:5], -1, 0
	s_and_b64 vcc, exec, s[4:5]
	s_cbranch_vccnz .LBB346_160
; %bb.157:
	s_load_dwordx2 s[4:5], s[2:3], 0x1c
	s_load_dword s8, s[2:3], 0x24
	s_load_dwordx2 s[6:7], s[2:3], 0xdc
	s_waitcnt lgkmcnt(0)
	v_mul_hi_u32 v6, s5, v3
	v_add_u32_e32 v6, v3, v6
	v_lshrrev_b32_e32 v6, s8, v6
	v_mul_lo_u32 v6, v6, s4
	s_load_dword s4, s[2:3], 0xe4
	v_sub_u32_e32 v3, v3, v6
	v_mad_u64_u32 v[20:21], s[2:3], v3, s6, v[20:21]
	v_mad_u64_u32 v[24:25], s[2:3], v3, s7, v[24:25]
	s_waitcnt lgkmcnt(0)
	v_mad_u64_u32 v[22:23], s[2:3], v3, s4, v[22:23]
	s_cbranch_execz .LBB346_161
	s_branch .LBB346_163
.LBB346_158:
                                        ; implicit-def: $vgpr20
                                        ; implicit-def: $vgpr24
                                        ; implicit-def: $vgpr22
	s_branch .LBB346_161
.LBB346_159:
	v_mov_b32_e32 v20, 0
	v_mov_b32_e32 v24, 0
	;; [unrolled: 1-line block ×3, first 2 shown]
.LBB346_160:
	s_cbranch_execnz .LBB346_163
.LBB346_161:
	s_load_dwordx4 s[4:7], s[12:13], 0x4
	s_load_dwordx4 s[8:11], s[12:13], 0xc4
	s_cmp_lt_u32 s33, 2
	s_waitcnt lgkmcnt(0)
	v_mul_hi_u32 v3, s5, v1
	v_add_u32_e32 v3, v1, v3
	v_lshrrev_b32_e32 v3, s6, v3
	v_mul_lo_u32 v6, v3, s4
	v_sub_u32_e32 v1, v1, v6
	v_mul_lo_u32 v20, v1, s8
	v_mul_lo_u32 v24, v1, s9
	v_mul_lo_u32 v22, v1, s10
	s_cbranch_scc1 .LBB346_163
; %bb.162:
	s_load_dwordx4 s[4:7], s[12:13], 0x10
	s_load_dwordx4 s[8:11], s[12:13], 0xd0
	s_waitcnt lgkmcnt(0)
	v_mul_hi_u32 v1, s5, v3
	v_add_u32_e32 v1, v3, v1
	v_lshrrev_b32_e32 v1, s6, v1
	v_mul_lo_u32 v1, v1, s4
	v_sub_u32_e32 v1, v3, v1
	v_mad_u64_u32 v[20:21], s[2:3], v1, s8, v[20:21]
	v_mad_u64_u32 v[24:25], s[2:3], v1, s9, v[24:25]
	;; [unrolled: 1-line block ×3, first 2 shown]
.LBB346_163:
	s_and_b64 vcc, exec, s[0:1]
	v_add_u32_e32 v1, 0x280, v31
	s_cbranch_vccnz .LBB346_169
; %bb.164:
	s_cmp_lg_u32 s33, 0
	s_cbranch_scc0 .LBB346_170
; %bb.165:
	s_min_u32 s4, s36, 15
	s_add_i32 s2, s4, 1
	s_and_b32 s5, s2, 30
	s_add_u32 s2, s12, 0xffffffe8
	s_addc_u32 s3, s13, -1
	v_mov_b32_e32 v27, 0
	v_mov_b32_e32 v29, 0
	;; [unrolled: 1-line block ×4, first 2 shown]
.LBB346_166:                            ; =>This Inner Loop Header: Depth=1
	s_load_dwordx4 s[8:11], s[2:3], 0x1c
	s_load_dwordx2 s[6:7], s[2:3], 0x2c
	s_load_dwordx2 s[14:15], s[2:3], 0xec
	s_load_dwordx4 s[16:19], s[2:3], 0xdc
	s_add_u32 s2, s2, 24
	s_waitcnt lgkmcnt(0)
	v_mul_hi_u32 v6, s9, v3
	s_addc_u32 s3, s3, 0
	s_add_i32 s5, s5, -2
	s_cmp_lg_u32 s5, 0
	v_add_u32_e32 v6, v3, v6
	v_lshrrev_b32_e32 v6, s10, v6
	v_mul_lo_u32 v8, v6, s8
	v_mul_hi_u32 v11, s6, v6
	v_sub_u32_e32 v8, v3, v8
	v_add_u32_e32 v3, v6, v11
	v_lshrrev_b32_e32 v3, s7, v3
	v_mul_lo_u32 v16, v3, s11
	v_mul_lo_u32 v11, v8, s16
	;; [unrolled: 1-line block ×4, first 2 shown]
	v_sub_u32_e32 v6, v6, v16
	v_mul_lo_u32 v16, v6, s19
	v_mul_lo_u32 v18, v6, s14
	;; [unrolled: 1-line block ×3, first 2 shown]
	v_add3_u32 v25, v11, v25, v16
	v_add3_u32 v29, v13, v29, v18
	;; [unrolled: 1-line block ×3, first 2 shown]
	s_cbranch_scc1 .LBB346_166
; %bb.167:
	s_bitcmp1_b32 s4, 0
	s_cselect_b64 s[4:5], -1, 0
	s_and_b64 vcc, exec, s[4:5]
	s_cbranch_vccnz .LBB346_171
; %bb.168:
	s_load_dwordx2 s[4:5], s[2:3], 0x1c
	s_load_dword s8, s[2:3], 0x24
	s_load_dwordx2 s[6:7], s[2:3], 0xdc
	s_waitcnt lgkmcnt(0)
	v_mul_hi_u32 v6, s5, v3
	v_add_u32_e32 v6, v3, v6
	v_lshrrev_b32_e32 v6, s8, v6
	v_mul_lo_u32 v6, v6, s4
	s_load_dword s4, s[2:3], 0xe4
	v_sub_u32_e32 v3, v3, v6
	v_mad_u64_u32 v[25:26], s[2:3], v3, s6, v[25:26]
	v_mad_u64_u32 v[29:30], s[2:3], v3, s7, v[29:30]
	s_waitcnt lgkmcnt(0)
	v_mad_u64_u32 v[27:28], s[2:3], v3, s4, v[27:28]
	s_cbranch_execz .LBB346_172
	s_branch .LBB346_174
.LBB346_169:
                                        ; implicit-def: $vgpr25
                                        ; implicit-def: $vgpr29
                                        ; implicit-def: $vgpr27
	s_branch .LBB346_172
.LBB346_170:
	v_mov_b32_e32 v25, 0
	v_mov_b32_e32 v29, 0
	;; [unrolled: 1-line block ×3, first 2 shown]
.LBB346_171:
	s_cbranch_execnz .LBB346_174
.LBB346_172:
	s_load_dwordx4 s[4:7], s[12:13], 0x4
	s_load_dwordx4 s[8:11], s[12:13], 0xc4
	s_cmp_lt_u32 s33, 2
	s_waitcnt lgkmcnt(0)
	v_mul_hi_u32 v3, s5, v1
	v_add_u32_e32 v3, v1, v3
	v_lshrrev_b32_e32 v3, s6, v3
	v_mul_lo_u32 v6, v3, s4
	v_sub_u32_e32 v1, v1, v6
	v_mul_lo_u32 v25, v1, s8
	v_mul_lo_u32 v29, v1, s9
	;; [unrolled: 1-line block ×3, first 2 shown]
	s_cbranch_scc1 .LBB346_174
; %bb.173:
	s_load_dwordx4 s[4:7], s[12:13], 0x10
	s_load_dwordx4 s[8:11], s[12:13], 0xd0
	s_waitcnt lgkmcnt(0)
	v_mul_hi_u32 v1, s5, v3
	v_add_u32_e32 v1, v3, v1
	v_lshrrev_b32_e32 v1, s6, v1
	v_mul_lo_u32 v1, v1, s4
	v_sub_u32_e32 v1, v3, v1
	v_mad_u64_u32 v[25:26], s[2:3], v1, s8, v[25:26]
	v_mad_u64_u32 v[29:30], s[2:3], v1, s9, v[29:30]
	;; [unrolled: 1-line block ×3, first 2 shown]
.LBB346_174:
	s_and_b64 vcc, exec, s[0:1]
	v_add_u32_e32 v1, 0x300, v31
	s_cbranch_vccnz .LBB346_180
; %bb.175:
	s_cmp_lg_u32 s33, 0
	s_cbranch_scc0 .LBB346_181
; %bb.176:
	s_min_u32 s4, s36, 15
	s_add_i32 s2, s4, 1
	s_and_b32 s5, s2, 30
	s_add_u32 s2, s12, 0xffffffe8
	s_addc_u32 s3, s13, -1
	v_mov_b32_e32 v34, 0
	v_mov_b32_e32 v32, 0
	;; [unrolled: 1-line block ×4, first 2 shown]
.LBB346_177:                            ; =>This Inner Loop Header: Depth=1
	s_load_dwordx4 s[8:11], s[2:3], 0x1c
	s_load_dwordx2 s[6:7], s[2:3], 0x2c
	s_load_dwordx2 s[14:15], s[2:3], 0xec
	s_load_dwordx4 s[16:19], s[2:3], 0xdc
	s_add_u32 s2, s2, 24
	s_waitcnt lgkmcnt(0)
	v_mul_hi_u32 v6, s9, v3
	s_addc_u32 s3, s3, 0
	s_add_i32 s5, s5, -2
	s_cmp_lg_u32 s5, 0
	v_add_u32_e32 v6, v3, v6
	v_lshrrev_b32_e32 v6, s10, v6
	v_mul_lo_u32 v8, v6, s8
	v_mul_hi_u32 v11, s6, v6
	v_sub_u32_e32 v8, v3, v8
	v_add_u32_e32 v3, v6, v11
	v_lshrrev_b32_e32 v3, s7, v3
	v_mul_lo_u32 v16, v3, s11
	v_mul_lo_u32 v11, v8, s16
	;; [unrolled: 1-line block ×4, first 2 shown]
	v_sub_u32_e32 v6, v6, v16
	v_mul_lo_u32 v16, v6, s19
	v_mul_lo_u32 v18, v6, s14
	;; [unrolled: 1-line block ×3, first 2 shown]
	v_add3_u32 v30, v11, v30, v16
	v_add3_u32 v32, v13, v32, v18
	;; [unrolled: 1-line block ×3, first 2 shown]
	s_cbranch_scc1 .LBB346_177
; %bb.178:
	s_bitcmp1_b32 s4, 0
	s_cselect_b64 s[4:5], -1, 0
	s_and_b64 vcc, exec, s[4:5]
	s_cbranch_vccnz .LBB346_182
; %bb.179:
	s_load_dwordx2 s[4:5], s[2:3], 0x1c
	s_load_dword s8, s[2:3], 0x24
	s_load_dwordx2 s[6:7], s[2:3], 0xdc
	s_waitcnt lgkmcnt(0)
	v_mul_hi_u32 v6, s5, v3
	v_add_u32_e32 v6, v3, v6
	v_lshrrev_b32_e32 v6, s8, v6
	v_mul_lo_u32 v6, v6, s4
	s_load_dword s4, s[2:3], 0xe4
	v_sub_u32_e32 v3, v3, v6
	v_mad_u64_u32 v[30:31], s[2:3], v3, s6, v[30:31]
	v_mad_u64_u32 v[32:33], s[2:3], v3, s7, v[32:33]
	s_waitcnt lgkmcnt(0)
	v_mad_u64_u32 v[34:35], s[2:3], v3, s4, v[34:35]
	s_cbranch_execz .LBB346_183
	s_branch .LBB346_185
.LBB346_180:
                                        ; implicit-def: $vgpr30
                                        ; implicit-def: $vgpr32
                                        ; implicit-def: $vgpr34
	s_branch .LBB346_183
.LBB346_181:
	v_mov_b32_e32 v30, 0
	v_mov_b32_e32 v32, 0
	;; [unrolled: 1-line block ×3, first 2 shown]
.LBB346_182:
	s_cbranch_execnz .LBB346_185
.LBB346_183:
	s_load_dwordx4 s[4:7], s[12:13], 0x4
	s_load_dwordx4 s[8:11], s[12:13], 0xc4
	s_cmp_lt_u32 s33, 2
	s_waitcnt lgkmcnt(0)
	v_mul_hi_u32 v3, s5, v1
	v_add_u32_e32 v3, v1, v3
	v_lshrrev_b32_e32 v3, s6, v3
	v_mul_lo_u32 v6, v3, s4
	v_sub_u32_e32 v1, v1, v6
	v_mul_lo_u32 v30, v1, s8
	v_mul_lo_u32 v32, v1, s9
	v_mul_lo_u32 v34, v1, s10
	s_cbranch_scc1 .LBB346_185
; %bb.184:
	s_load_dwordx4 s[4:7], s[12:13], 0x10
	s_load_dwordx4 s[8:11], s[12:13], 0xd0
	s_waitcnt lgkmcnt(0)
	v_mul_hi_u32 v1, s5, v3
	v_add_u32_e32 v1, v3, v1
	v_lshrrev_b32_e32 v1, s6, v1
	v_mul_lo_u32 v1, v1, s4
	v_sub_u32_e32 v1, v3, v1
	v_mad_u64_u32 v[30:31], s[2:3], v1, s8, v[30:31]
	v_mad_u64_u32 v[32:33], s[2:3], v1, s9, v[32:33]
	;; [unrolled: 1-line block ×3, first 2 shown]
.LBB346_185:
	s_and_b64 vcc, exec, s[0:1]
	s_cbranch_vccnz .LBB346_191
; %bb.186:
	s_cmp_lg_u32 s33, 0
	s_cbranch_scc0 .LBB346_192
; %bb.187:
	s_min_u32 s2, s36, 15
	s_add_i32 s0, s2, 1
	s_and_b32 s3, s0, 30
	s_add_u32 s0, s12, 0xffffffe8
	s_addc_u32 s1, s13, -1
	v_mov_b32_e32 v39, 0
	v_mov_b32_e32 v37, 0
	;; [unrolled: 1-line block ×4, first 2 shown]
.LBB346_188:                            ; =>This Inner Loop Header: Depth=1
	s_load_dwordx4 s[4:7], s[0:1], 0x1c
	s_load_dwordx2 s[14:15], s[0:1], 0x2c
	s_load_dwordx2 s[16:17], s[0:1], 0xec
	s_load_dwordx4 s[8:11], s[0:1], 0xdc
	s_add_u32 s0, s0, 24
	s_waitcnt lgkmcnt(0)
	v_mul_hi_u32 v3, s5, v1
	s_addc_u32 s1, s1, 0
	s_add_i32 s3, s3, -2
	s_cmp_lg_u32 s3, 0
	v_add_u32_e32 v3, v1, v3
	v_lshrrev_b32_e32 v3, s6, v3
	v_mul_lo_u32 v6, v3, s4
	v_mul_hi_u32 v8, s14, v3
	v_sub_u32_e32 v6, v1, v6
	v_add_u32_e32 v1, v3, v8
	v_lshrrev_b32_e32 v1, s15, v1
	v_mul_lo_u32 v13, v1, s7
	v_mul_lo_u32 v8, v6, s8
	;; [unrolled: 1-line block ×4, first 2 shown]
	v_sub_u32_e32 v3, v3, v13
	v_mul_lo_u32 v13, v3, s11
	v_mul_lo_u32 v16, v3, s16
	;; [unrolled: 1-line block ×3, first 2 shown]
	v_add3_u32 v35, v8, v35, v13
	v_add3_u32 v37, v11, v37, v16
	;; [unrolled: 1-line block ×3, first 2 shown]
	s_cbranch_scc1 .LBB346_188
; %bb.189:
	s_bitcmp1_b32 s2, 0
	s_cselect_b64 s[2:3], -1, 0
	s_and_b64 vcc, exec, s[2:3]
	s_cbranch_vccnz .LBB346_193
; %bb.190:
	s_load_dwordx2 s[2:3], s[0:1], 0x1c
	s_load_dword s6, s[0:1], 0x24
	s_load_dwordx2 s[4:5], s[0:1], 0xdc
	s_waitcnt lgkmcnt(0)
	v_mul_hi_u32 v3, s3, v1
	v_add_u32_e32 v3, v1, v3
	v_lshrrev_b32_e32 v3, s6, v3
	v_mul_lo_u32 v3, v3, s2
	s_load_dword s2, s[0:1], 0xe4
	v_sub_u32_e32 v1, v1, v3
	v_mad_u64_u32 v[35:36], s[0:1], v1, s4, v[35:36]
	v_mad_u64_u32 v[37:38], s[0:1], v1, s5, v[37:38]
	s_waitcnt lgkmcnt(0)
	v_mad_u64_u32 v[39:40], s[0:1], v1, s2, v[39:40]
	s_cbranch_execz .LBB346_194
	s_branch .LBB346_196
.LBB346_191:
                                        ; implicit-def: $vgpr35
                                        ; implicit-def: $vgpr37
                                        ; implicit-def: $vgpr39
	s_branch .LBB346_194
.LBB346_192:
	v_mov_b32_e32 v35, 0
	v_mov_b32_e32 v37, 0
	;; [unrolled: 1-line block ×3, first 2 shown]
.LBB346_193:
	s_cbranch_execnz .LBB346_196
.LBB346_194:
	s_load_dwordx4 s[0:3], s[12:13], 0x4
	s_load_dwordx4 s[4:7], s[12:13], 0xc4
	s_cmp_lt_u32 s33, 2
	s_waitcnt lgkmcnt(0)
	v_mul_hi_u32 v1, s1, v41
	v_add_u32_e32 v1, v41, v1
	v_lshrrev_b32_e32 v1, s2, v1
	v_mul_lo_u32 v3, v1, s0
	v_sub_u32_e32 v3, v41, v3
	v_mul_lo_u32 v35, v3, s4
	v_mul_lo_u32 v37, v3, s5
	v_mul_lo_u32 v39, v3, s6
	s_cbranch_scc1 .LBB346_196
; %bb.195:
	s_load_dwordx4 s[0:3], s[12:13], 0x10
	s_load_dwordx4 s[4:7], s[12:13], 0xd0
	s_waitcnt lgkmcnt(0)
	v_mul_hi_u32 v3, s1, v1
	v_add_u32_e32 v3, v1, v3
	v_lshrrev_b32_e32 v3, s2, v3
	v_mul_lo_u32 v3, v3, s0
	v_sub_u32_e32 v1, v1, v3
	v_mad_u64_u32 v[35:36], s[0:1], v1, s4, v[35:36]
	v_mad_u64_u32 v[37:38], s[0:1], v1, s5, v[37:38]
	;; [unrolled: 1-line block ×3, first 2 shown]
.LBB346_196:
	s_load_dwordx4 s[16:19], s[12:13], 0x188
	s_load_dwordx2 s[0:1], s[12:13], 0x198
	s_waitcnt lgkmcnt(0)
	global_load_dword v1, v4, s[18:19]
	s_nop 0
	global_load_dword v3, v2, s[0:1]
	global_load_dword v6, v9, s[18:19]
	;; [unrolled: 1-line block ×7, first 2 shown]
                                        ; kill: killed $vgpr4
                                        ; kill: killed $vgpr9
                                        ; kill: killed $vgpr2
                                        ; kill: killed $vgpr14
                                        ; kill: killed $vgpr7
                                        ; kill: killed $vgpr19
                                        ; kill: killed $vgpr12
                                        ; kill: killed $vgpr17
	global_load_dword v2, v24, s[18:19]
	global_load_dword v4, v22, s[0:1]
	;; [unrolled: 1-line block ×8, first 2 shown]
	s_load_dword s0, s[12:13], 0x1a0
	s_waitcnt lgkmcnt(0)
	s_cmp_eq_u32 s0, 0
	s_cselect_b64 s[14:15], -1, 0
	s_waitcnt vmcnt(14)
	v_cmp_ne_u32_e32 vcc, v1, v3
	s_xor_b64 s[18:19], s[14:15], vcc
	s_waitcnt vmcnt(12)
	v_cmp_ne_u32_e64 s[0:1], v6, v8
	s_xor_b64 s[0:1], s[14:15], s[0:1]
	s_waitcnt vmcnt(10)
	v_cmp_ne_u32_e64 s[2:3], v11, v13
	v_cndmask_b32_e64 v1, 0, 1, s[18:19]
	s_waitcnt vmcnt(8)
	v_cmp_ne_u32_e64 s[4:5], v16, v18
	s_waitcnt vmcnt(6)
	v_cmp_ne_u32_e64 s[6:7], v2, v4
	v_cndmask_b32_e64 v2, 0, 1, s[0:1]
	s_xor_b64 s[0:1], s[14:15], s[2:3]
	v_cndmask_b32_e64 v3, 0, 1, s[0:1]
	s_xor_b64 s[0:1], s[14:15], s[4:5]
	s_waitcnt vmcnt(4)
	v_cmp_ne_u32_e64 s[8:9], v7, v9
	v_cndmask_b32_e64 v4, 0, 1, s[0:1]
	s_xor_b64 s[0:1], s[14:15], s[6:7]
	s_waitcnt vmcnt(2)
	v_cmp_ne_u32_e64 s[10:11], v12, v14
	v_cndmask_b32_e64 v6, 0, 1, s[0:1]
	s_xor_b64 s[0:1], s[14:15], s[8:9]
	s_waitcnt vmcnt(0)
	v_cmp_ne_u32_e64 s[12:13], v17, v19
	v_cndmask_b32_e64 v7, 0, 1, s[0:1]
	s_xor_b64 s[0:1], s[14:15], s[10:11]
	v_cndmask_b32_e64 v8, 0, 1, s[0:1]
	s_xor_b64 s[0:1], s[14:15], s[12:13]
	v_cndmask_b32_e64 v9, 0, 1, s[0:1]
	global_store_byte v0, v1, s[16:17]
	global_store_byte v5, v2, s[16:17]
	;; [unrolled: 1-line block ×8, first 2 shown]
	s_endpgm
	.section	.rodata,"a",@progbits
	.p2align	6, 0x0
	.amdhsa_kernel _ZN2at6native32elementwise_kernel_manual_unrollILi128ELi8EZNS0_22gpu_kernel_impl_nocastINS0_13BinaryFunctorIjjbNS0_12_GLOBAL__N_116CompareEqFunctorIjEEEEEEvRNS_18TensorIteratorBaseERKT_EUlibE_EEviT1_
		.amdhsa_group_segment_fixed_size 0
		.amdhsa_private_segment_fixed_size 0
		.amdhsa_kernarg_size 432
		.amdhsa_user_sgpr_count 6
		.amdhsa_user_sgpr_private_segment_buffer 1
		.amdhsa_user_sgpr_dispatch_ptr 0
		.amdhsa_user_sgpr_queue_ptr 0
		.amdhsa_user_sgpr_kernarg_segment_ptr 1
		.amdhsa_user_sgpr_dispatch_id 0
		.amdhsa_user_sgpr_flat_scratch_init 0
		.amdhsa_user_sgpr_private_segment_size 0
		.amdhsa_uses_dynamic_stack 0
		.amdhsa_system_sgpr_private_segment_wavefront_offset 0
		.amdhsa_system_sgpr_workgroup_id_x 1
		.amdhsa_system_sgpr_workgroup_id_y 0
		.amdhsa_system_sgpr_workgroup_id_z 0
		.amdhsa_system_sgpr_workgroup_info 0
		.amdhsa_system_vgpr_workitem_id 0
		.amdhsa_next_free_vgpr 42
		.amdhsa_next_free_sgpr 52
		.amdhsa_reserve_vcc 1
		.amdhsa_reserve_flat_scratch 0
		.amdhsa_float_round_mode_32 0
		.amdhsa_float_round_mode_16_64 0
		.amdhsa_float_denorm_mode_32 3
		.amdhsa_float_denorm_mode_16_64 3
		.amdhsa_dx10_clamp 1
		.amdhsa_ieee_mode 1
		.amdhsa_fp16_overflow 0
		.amdhsa_exception_fp_ieee_invalid_op 0
		.amdhsa_exception_fp_denorm_src 0
		.amdhsa_exception_fp_ieee_div_zero 0
		.amdhsa_exception_fp_ieee_overflow 0
		.amdhsa_exception_fp_ieee_underflow 0
		.amdhsa_exception_fp_ieee_inexact 0
		.amdhsa_exception_int_div_zero 0
	.end_amdhsa_kernel
	.section	.text._ZN2at6native32elementwise_kernel_manual_unrollILi128ELi8EZNS0_22gpu_kernel_impl_nocastINS0_13BinaryFunctorIjjbNS0_12_GLOBAL__N_116CompareEqFunctorIjEEEEEEvRNS_18TensorIteratorBaseERKT_EUlibE_EEviT1_,"axG",@progbits,_ZN2at6native32elementwise_kernel_manual_unrollILi128ELi8EZNS0_22gpu_kernel_impl_nocastINS0_13BinaryFunctorIjjbNS0_12_GLOBAL__N_116CompareEqFunctorIjEEEEEEvRNS_18TensorIteratorBaseERKT_EUlibE_EEviT1_,comdat
.Lfunc_end346:
	.size	_ZN2at6native32elementwise_kernel_manual_unrollILi128ELi8EZNS0_22gpu_kernel_impl_nocastINS0_13BinaryFunctorIjjbNS0_12_GLOBAL__N_116CompareEqFunctorIjEEEEEEvRNS_18TensorIteratorBaseERKT_EUlibE_EEviT1_, .Lfunc_end346-_ZN2at6native32elementwise_kernel_manual_unrollILi128ELi8EZNS0_22gpu_kernel_impl_nocastINS0_13BinaryFunctorIjjbNS0_12_GLOBAL__N_116CompareEqFunctorIjEEEEEEvRNS_18TensorIteratorBaseERKT_EUlibE_EEviT1_
                                        ; -- End function
	.set _ZN2at6native32elementwise_kernel_manual_unrollILi128ELi8EZNS0_22gpu_kernel_impl_nocastINS0_13BinaryFunctorIjjbNS0_12_GLOBAL__N_116CompareEqFunctorIjEEEEEEvRNS_18TensorIteratorBaseERKT_EUlibE_EEviT1_.num_vgpr, 42
	.set _ZN2at6native32elementwise_kernel_manual_unrollILi128ELi8EZNS0_22gpu_kernel_impl_nocastINS0_13BinaryFunctorIjjbNS0_12_GLOBAL__N_116CompareEqFunctorIjEEEEEEvRNS_18TensorIteratorBaseERKT_EUlibE_EEviT1_.num_agpr, 0
	.set _ZN2at6native32elementwise_kernel_manual_unrollILi128ELi8EZNS0_22gpu_kernel_impl_nocastINS0_13BinaryFunctorIjjbNS0_12_GLOBAL__N_116CompareEqFunctorIjEEEEEEvRNS_18TensorIteratorBaseERKT_EUlibE_EEviT1_.numbered_sgpr, 52
	.set _ZN2at6native32elementwise_kernel_manual_unrollILi128ELi8EZNS0_22gpu_kernel_impl_nocastINS0_13BinaryFunctorIjjbNS0_12_GLOBAL__N_116CompareEqFunctorIjEEEEEEvRNS_18TensorIteratorBaseERKT_EUlibE_EEviT1_.num_named_barrier, 0
	.set _ZN2at6native32elementwise_kernel_manual_unrollILi128ELi8EZNS0_22gpu_kernel_impl_nocastINS0_13BinaryFunctorIjjbNS0_12_GLOBAL__N_116CompareEqFunctorIjEEEEEEvRNS_18TensorIteratorBaseERKT_EUlibE_EEviT1_.private_seg_size, 0
	.set _ZN2at6native32elementwise_kernel_manual_unrollILi128ELi8EZNS0_22gpu_kernel_impl_nocastINS0_13BinaryFunctorIjjbNS0_12_GLOBAL__N_116CompareEqFunctorIjEEEEEEvRNS_18TensorIteratorBaseERKT_EUlibE_EEviT1_.uses_vcc, 1
	.set _ZN2at6native32elementwise_kernel_manual_unrollILi128ELi8EZNS0_22gpu_kernel_impl_nocastINS0_13BinaryFunctorIjjbNS0_12_GLOBAL__N_116CompareEqFunctorIjEEEEEEvRNS_18TensorIteratorBaseERKT_EUlibE_EEviT1_.uses_flat_scratch, 0
	.set _ZN2at6native32elementwise_kernel_manual_unrollILi128ELi8EZNS0_22gpu_kernel_impl_nocastINS0_13BinaryFunctorIjjbNS0_12_GLOBAL__N_116CompareEqFunctorIjEEEEEEvRNS_18TensorIteratorBaseERKT_EUlibE_EEviT1_.has_dyn_sized_stack, 0
	.set _ZN2at6native32elementwise_kernel_manual_unrollILi128ELi8EZNS0_22gpu_kernel_impl_nocastINS0_13BinaryFunctorIjjbNS0_12_GLOBAL__N_116CompareEqFunctorIjEEEEEEvRNS_18TensorIteratorBaseERKT_EUlibE_EEviT1_.has_recursion, 0
	.set _ZN2at6native32elementwise_kernel_manual_unrollILi128ELi8EZNS0_22gpu_kernel_impl_nocastINS0_13BinaryFunctorIjjbNS0_12_GLOBAL__N_116CompareEqFunctorIjEEEEEEvRNS_18TensorIteratorBaseERKT_EUlibE_EEviT1_.has_indirect_call, 0
	.section	.AMDGPU.csdata,"",@progbits
; Kernel info:
; codeLenInByte = 9384
; TotalNumSgprs: 56
; NumVgprs: 42
; ScratchSize: 0
; MemoryBound: 0
; FloatMode: 240
; IeeeMode: 1
; LDSByteSize: 0 bytes/workgroup (compile time only)
; SGPRBlocks: 6
; VGPRBlocks: 10
; NumSGPRsForWavesPerEU: 56
; NumVGPRsForWavesPerEU: 42
; Occupancy: 5
; WaveLimiterHint : 1
; COMPUTE_PGM_RSRC2:SCRATCH_EN: 0
; COMPUTE_PGM_RSRC2:USER_SGPR: 6
; COMPUTE_PGM_RSRC2:TRAP_HANDLER: 0
; COMPUTE_PGM_RSRC2:TGID_X_EN: 1
; COMPUTE_PGM_RSRC2:TGID_Y_EN: 0
; COMPUTE_PGM_RSRC2:TGID_Z_EN: 0
; COMPUTE_PGM_RSRC2:TIDIG_COMP_CNT: 0
	.section	.text._ZN2at6native32elementwise_kernel_manual_unrollILi128ELi4EZNS0_15gpu_kernel_implINS0_13BinaryFunctorIjjbNS0_12_GLOBAL__N_116CompareEqFunctorIjEEEEEEvRNS_18TensorIteratorBaseERKT_EUlibE_EEviT1_,"axG",@progbits,_ZN2at6native32elementwise_kernel_manual_unrollILi128ELi4EZNS0_15gpu_kernel_implINS0_13BinaryFunctorIjjbNS0_12_GLOBAL__N_116CompareEqFunctorIjEEEEEEvRNS_18TensorIteratorBaseERKT_EUlibE_EEviT1_,comdat
	.globl	_ZN2at6native32elementwise_kernel_manual_unrollILi128ELi4EZNS0_15gpu_kernel_implINS0_13BinaryFunctorIjjbNS0_12_GLOBAL__N_116CompareEqFunctorIjEEEEEEvRNS_18TensorIteratorBaseERKT_EUlibE_EEviT1_ ; -- Begin function _ZN2at6native32elementwise_kernel_manual_unrollILi128ELi4EZNS0_15gpu_kernel_implINS0_13BinaryFunctorIjjbNS0_12_GLOBAL__N_116CompareEqFunctorIjEEEEEEvRNS_18TensorIteratorBaseERKT_EUlibE_EEviT1_
	.p2align	8
	.type	_ZN2at6native32elementwise_kernel_manual_unrollILi128ELi4EZNS0_15gpu_kernel_implINS0_13BinaryFunctorIjjbNS0_12_GLOBAL__N_116CompareEqFunctorIjEEEEEEvRNS_18TensorIteratorBaseERKT_EUlibE_EEviT1_,@function
_ZN2at6native32elementwise_kernel_manual_unrollILi128ELi4EZNS0_15gpu_kernel_implINS0_13BinaryFunctorIjjbNS0_12_GLOBAL__N_116CompareEqFunctorIjEEEEEEvRNS_18TensorIteratorBaseERKT_EUlibE_EEviT1_: ; @_ZN2at6native32elementwise_kernel_manual_unrollILi128ELi4EZNS0_15gpu_kernel_implINS0_13BinaryFunctorIjjbNS0_12_GLOBAL__N_116CompareEqFunctorIjEEEEEEvRNS_18TensorIteratorBaseERKT_EUlibE_EEviT1_
; %bb.0:
	s_load_dword s33, s[4:5], 0x30
	s_load_dword s50, s[4:5], 0x0
	s_load_dwordx4 s[8:11], s[4:5], 0x8
	s_load_dwordx2 s[2:3], s[4:5], 0x18
	s_load_dwordx4 s[12:15], s[4:5], 0x20
	v_lshl_or_b32 v2, s6, 9, v0
	v_or_b32_e32 v0, 0x180, v2
	s_waitcnt lgkmcnt(0)
	s_lshr_b32 s57, s33, 8
	s_lshr_b32 s56, s33, 16
	v_cmp_le_i32_e32 vcc, s50, v0
	s_mov_b64 s[4:5], 0
	s_mov_b64 s[16:17], 0
	s_and_saveexec_b64 s[0:1], vcc
	s_xor_b64 s[6:7], exec, s[0:1]
	s_cbranch_execz .LBB347_1512
; %bb.1:
	s_cmp_eq_u32 s15, 0
	s_cselect_b64 s[16:17], -1, 0
	v_cmp_gt_i32_e32 vcc, s50, v2
	s_mov_b64 s[0:1], -1
	s_mov_b64 s[28:29], 0
	s_mov_b64 s[22:23], 0
	;; [unrolled: 1-line block ×4, first 2 shown]
	s_and_saveexec_b64 s[24:25], vcc
	s_cbranch_execz .LBB347_375
; %bb.2:
	v_mul_lo_u32 v0, v2, s13
	v_mov_b32_e32 v1, s11
	s_and_b32 s20, s57, 0xff
	s_cmp_lt_i32 s20, 11
	v_ashrrev_i32_e32 v3, 31, v0
	v_add_co_u32_e32 v0, vcc, s10, v0
	v_addc_co_u32_e32 v1, vcc, v1, v3, vcc
	s_cbranch_scc1 .LBB347_9
; %bb.3:
	s_and_b32 s21, 0xffff, s20
	s_cmp_gt_i32 s21, 25
	s_cbranch_scc0 .LBB347_18
; %bb.4:
	s_cmp_gt_i32 s21, 28
	s_cbranch_scc0 .LBB347_28
; %bb.5:
	;; [unrolled: 3-line block ×4, first 2 shown]
	s_cmp_eq_u32 s21, 46
	s_cbranch_scc0 .LBB347_37
; %bb.8:
	global_load_dword v3, v[0:1], off
	s_waitcnt vmcnt(0)
	v_lshlrev_b32_e32 v3, 16, v3
	v_cvt_u32_f32_e32 v3, v3
	s_branch .LBB347_39
.LBB347_9:
                                        ; implicit-def: $vgpr3
	s_mov_b64 s[0:1], 0
	s_cbranch_execnz .LBB347_101
.LBB347_10:
	s_andn2_b64 vcc, exec, s[0:1]
	s_cbranch_vccnz .LBB347_148
.LBB347_11:
	v_mul_lo_u32 v0, v2, s14
	v_mov_b32_e32 v1, s3
	s_and_b32 s26, s56, 0xff
	s_cmp_lt_i32 s26, 11
	v_ashrrev_i32_e32 v4, 31, v0
	v_add_co_u32_e32 v0, vcc, s2, v0
	v_addc_co_u32_e32 v1, vcc, v1, v4, vcc
	s_cbranch_scc1 .LBB347_19
; %bb.12:
	s_and_b32 s27, 0xffff, s26
	s_cmp_gt_i32 s27, 25
	s_cbranch_scc0 .LBB347_29
; %bb.13:
	s_cmp_gt_i32 s27, 28
	s_cbranch_scc0 .LBB347_32
; %bb.14:
	;; [unrolled: 3-line block ×4, first 2 shown]
	s_cmp_eq_u32 s27, 46
	s_mov_b64 s[18:19], 0
	s_cbranch_scc0 .LBB347_149
; %bb.17:
	global_load_dword v4, v[0:1], off
	s_mov_b64 s[0:1], -1
	s_mov_b64 s[20:21], 0
	s_waitcnt vmcnt(0)
	v_lshlrev_b32_e32 v4, 16, v4
	v_cvt_u32_f32_e32 v4, v4
	s_branch .LBB347_151
.LBB347_18:
	s_mov_b64 s[0:1], 0
                                        ; implicit-def: $vgpr3
	s_cbranch_execnz .LBB347_68
	s_branch .LBB347_100
.LBB347_19:
	s_mov_b64 s[20:21], 0
                                        ; implicit-def: $vgpr4
	s_mov_b64 s[0:1], 0
	s_cbranch_execnz .LBB347_324
.LBB347_20:
	s_andn2_b64 vcc, exec, s[0:1]
	s_cbranch_vccnz .LBB347_372
.LBB347_21:
	v_mul_lo_u32 v0, v2, s12
	s_waitcnt vmcnt(0)
	v_cmp_ne_u32_e32 vcc, v3, v4
	v_mov_b32_e32 v1, s9
	s_xor_b64 s[18:19], s[16:17], vcc
	v_ashrrev_i32_e32 v3, 31, v0
	s_and_b32 s36, s33, 0xff
	v_add_co_u32_e32 v0, vcc, s8, v0
	s_cmp_lt_i32 s36, 11
	v_addc_co_u32_e32 v1, vcc, v1, v3, vcc
	s_cbranch_scc1 .LBB347_30
; %bb.22:
	s_and_b32 s37, 0xffff, s36
	s_cmp_gt_i32 s37, 25
	s_cbranch_scc0 .LBB347_33
; %bb.23:
	s_cmp_gt_i32 s37, 28
	s_cbranch_scc0 .LBB347_36
; %bb.24:
	;; [unrolled: 3-line block ×4, first 2 shown]
	s_mov_b64 s[30:31], 0
	s_mov_b64 s[0:1], -1
	s_cmp_eq_u32 s37, 46
	s_mov_b64 s[26:27], 0
	s_cbranch_scc0 .LBB347_155
; %bb.27:
	v_cndmask_b32_e64 v3, 0, 1.0, s[18:19]
	v_bfe_u32 v4, v3, 16, 1
	s_movk_i32 s0, 0x7fff
	v_add3_u32 v3, v3, v4, s0
	v_lshrrev_b32_e32 v3, 16, v3
	global_store_dword v[0:1], v3, off
	s_mov_b64 s[26:27], -1
	s_mov_b64 s[0:1], 0
	s_branch .LBB347_155
.LBB347_28:
	s_mov_b64 s[18:19], -1
	s_mov_b64 s[0:1], 0
                                        ; implicit-def: $vgpr3
	s_branch .LBB347_51
.LBB347_29:
	s_mov_b64 s[18:19], -1
	s_mov_b64 s[20:21], 0
	s_mov_b64 s[0:1], 0
                                        ; implicit-def: $vgpr4
	s_branch .LBB347_290
.LBB347_30:
	s_mov_b64 s[30:31], -1
	s_mov_b64 s[0:1], 0
	s_mov_b64 s[26:27], 0
	s_branch .LBB347_224
.LBB347_31:
	s_mov_b64 s[18:19], -1
	s_mov_b64 s[0:1], 0
                                        ; implicit-def: $vgpr3
	s_branch .LBB347_46
.LBB347_32:
	s_mov_b64 s[18:19], -1
	s_mov_b64 s[20:21], 0
	s_mov_b64 s[0:1], 0
                                        ; implicit-def: $vgpr4
	s_branch .LBB347_273
.LBB347_33:
	s_mov_b64 s[30:31], -1
	s_mov_b64 s[0:1], 0
	s_mov_b64 s[26:27], 0
	s_branch .LBB347_182
.LBB347_34:
	s_mov_b64 s[18:19], -1
	s_branch .LBB347_38
.LBB347_35:
	s_mov_b64 s[18:19], -1
	s_mov_b64 s[20:21], 0
	s_mov_b64 s[0:1], 0
                                        ; implicit-def: $vgpr4
	s_branch .LBB347_268
.LBB347_36:
	s_mov_b64 s[30:31], -1
	s_mov_b64 s[0:1], 0
	s_mov_b64 s[26:27], 0
	s_branch .LBB347_165
.LBB347_37:
	s_mov_b64 s[22:23], -1
.LBB347_38:
	s_mov_b64 s[0:1], 0
                                        ; implicit-def: $vgpr3
.LBB347_39:
	s_and_b64 vcc, exec, s[18:19]
	s_cbranch_vccz .LBB347_45
; %bb.40:
	s_cmp_eq_u32 s21, 44
	s_cbranch_scc0 .LBB347_44
; %bb.41:
	global_load_ubyte v3, v[0:1], off
	s_mov_b64 s[0:1], -1
	s_mov_b64 s[22:23], 0
	s_waitcnt vmcnt(0)
	v_lshlrev_b32_e32 v4, 23, v3
	v_cvt_u32_f32_e32 v4, v4
	v_cmp_ne_u32_e32 vcc, 0, v3
	v_cndmask_b32_e32 v3, 0, v4, vcc
	s_branch .LBB347_45
.LBB347_42:
	s_mov_b64 s[18:19], -1
	s_mov_b64 s[20:21], 0
	s_branch .LBB347_150
.LBB347_43:
	s_mov_b64 s[30:31], -1
	s_mov_b64 s[0:1], 0
	s_mov_b64 s[26:27], 0
	s_branch .LBB347_161
.LBB347_44:
	s_mov_b64 s[22:23], -1
                                        ; implicit-def: $vgpr3
.LBB347_45:
	s_mov_b64 s[18:19], 0
.LBB347_46:
	s_and_b64 vcc, exec, s[18:19]
	s_cbranch_vccz .LBB347_50
; %bb.47:
	s_cmp_eq_u32 s21, 29
	s_cbranch_scc0 .LBB347_49
; %bb.48:
	global_load_dword v3, v[0:1], off
	s_mov_b64 s[0:1], -1
	s_mov_b64 s[22:23], 0
	s_branch .LBB347_50
.LBB347_49:
	s_mov_b64 s[22:23], -1
                                        ; implicit-def: $vgpr3
.LBB347_50:
	s_mov_b64 s[18:19], 0
.LBB347_51:
	s_and_b64 vcc, exec, s[18:19]
	s_cbranch_vccz .LBB347_67
; %bb.52:
	s_cmp_lt_i32 s21, 27
	s_cbranch_scc1 .LBB347_55
; %bb.53:
	s_cmp_gt_i32 s21, 27
	s_cbranch_scc0 .LBB347_56
; %bb.54:
	global_load_dword v3, v[0:1], off
	s_mov_b64 s[0:1], 0
	s_branch .LBB347_57
.LBB347_55:
	s_mov_b64 s[0:1], -1
                                        ; implicit-def: $vgpr3
	s_branch .LBB347_60
.LBB347_56:
	s_mov_b64 s[0:1], -1
                                        ; implicit-def: $vgpr3
.LBB347_57:
	s_andn2_b64 vcc, exec, s[0:1]
	s_cbranch_vccnz .LBB347_59
; %bb.58:
	global_load_ushort v3, v[0:1], off
.LBB347_59:
	s_mov_b64 s[0:1], 0
.LBB347_60:
	s_andn2_b64 vcc, exec, s[0:1]
	s_cbranch_vccnz .LBB347_66
; %bb.61:
	global_load_ubyte v4, v[0:1], off
	s_movk_i32 s0, 0x7f
	s_mov_b64 s[18:19], 0
	s_waitcnt vmcnt(0)
	v_cmp_lt_i16_e32 vcc, s0, v4
	s_and_saveexec_b64 s[0:1], vcc
	s_xor_b64 s[0:1], exec, s[0:1]
	s_cbranch_execz .LBB347_77
; %bb.62:
	s_movk_i32 s18, 0x80
	v_cmp_ne_u16_e32 vcc, s18, v4
	s_and_b64 s[18:19], vcc, exec
	s_andn2_saveexec_b64 s[0:1], s[0:1]
	s_cbranch_execnz .LBB347_78
.LBB347_63:
	s_or_b64 exec, exec, s[0:1]
	v_mov_b32_e32 v3, 0
	s_and_saveexec_b64 s[0:1], s[18:19]
	s_cbranch_execz .LBB347_65
.LBB347_64:
	v_lshlrev_b32_e32 v3, 24, v4
	v_and_b32_e32 v4, 0xffff, v4
	v_and_b32_e32 v5, 7, v4
	v_ffbh_u32_e32 v7, v5
	v_min_u32_e32 v7, 32, v7
	v_subrev_u32_e32 v8, 28, v7
	v_bfe_u32 v6, v4, 3, 4
	v_lshlrev_b32_e32 v4, v8, v4
	v_sub_u32_e32 v7, 29, v7
	v_and_b32_e32 v4, 7, v4
	v_cmp_eq_u32_e32 vcc, 0, v6
	v_cndmask_b32_e32 v6, v6, v7, vcc
	v_cndmask_b32_e32 v4, v5, v4, vcc
	v_mov_b32_e32 v5, 0x3b800000
	v_lshlrev_b32_e32 v4, 20, v4
	v_and_b32_e32 v3, 0x80000000, v3
	v_lshl_add_u32 v5, v6, 23, v5
	v_or3_b32 v3, v3, v5, v4
	v_cvt_u32_f32_e32 v3, v3
.LBB347_65:
	s_or_b64 exec, exec, s[0:1]
.LBB347_66:
	s_mov_b64 s[0:1], -1
.LBB347_67:
	s_branch .LBB347_100
.LBB347_68:
	s_cmp_gt_i32 s21, 22
	s_cbranch_scc0 .LBB347_76
; %bb.69:
	s_cmp_lt_i32 s21, 24
	s_cbranch_scc1 .LBB347_79
; %bb.70:
	s_cmp_gt_i32 s21, 24
	s_cbranch_scc0 .LBB347_80
; %bb.71:
	global_load_ubyte v4, v[0:1], off
	s_movk_i32 s0, 0x7f
	s_mov_b64 s[18:19], 0
	s_waitcnt vmcnt(0)
	v_cmp_lt_i16_e32 vcc, s0, v4
	s_and_saveexec_b64 s[0:1], vcc
	s_xor_b64 s[0:1], exec, s[0:1]
	s_cbranch_execz .LBB347_92
; %bb.72:
	s_movk_i32 s18, 0x80
	v_cmp_ne_u16_e32 vcc, s18, v4
	s_and_b64 s[18:19], vcc, exec
	s_andn2_saveexec_b64 s[0:1], s[0:1]
	s_cbranch_execnz .LBB347_93
.LBB347_73:
	s_or_b64 exec, exec, s[0:1]
	v_mov_b32_e32 v3, 0
	s_and_saveexec_b64 s[0:1], s[18:19]
	s_cbranch_execz .LBB347_75
.LBB347_74:
	v_lshlrev_b32_e32 v3, 24, v4
	v_and_b32_e32 v4, 0xffff, v4
	v_and_b32_e32 v5, 3, v4
	v_ffbh_u32_e32 v7, v5
	v_min_u32_e32 v7, 32, v7
	v_subrev_u32_e32 v8, 29, v7
	v_bfe_u32 v6, v4, 2, 5
	v_lshlrev_b32_e32 v4, v8, v4
	v_sub_u32_e32 v7, 30, v7
	v_and_b32_e32 v4, 3, v4
	v_cmp_eq_u32_e32 vcc, 0, v6
	v_cndmask_b32_e32 v6, v6, v7, vcc
	v_cndmask_b32_e32 v4, v5, v4, vcc
	v_mov_b32_e32 v5, 0x37800000
	v_lshlrev_b32_e32 v4, 21, v4
	v_and_b32_e32 v3, 0x80000000, v3
	v_lshl_add_u32 v5, v6, 23, v5
	v_or3_b32 v3, v3, v5, v4
	v_cvt_u32_f32_e32 v3, v3
.LBB347_75:
	s_or_b64 exec, exec, s[0:1]
	s_mov_b64 s[0:1], 0
	s_branch .LBB347_81
.LBB347_76:
	s_mov_b64 s[18:19], -1
                                        ; implicit-def: $vgpr3
	s_branch .LBB347_87
.LBB347_77:
	s_andn2_saveexec_b64 s[0:1], s[0:1]
	s_cbranch_execz .LBB347_63
.LBB347_78:
	v_cmp_ne_u16_e32 vcc, 0, v4
	s_andn2_b64 s[18:19], s[18:19], exec
	s_and_b64 s[26:27], vcc, exec
	s_or_b64 s[18:19], s[18:19], s[26:27]
	s_or_b64 exec, exec, s[0:1]
	v_mov_b32_e32 v3, 0
	s_and_saveexec_b64 s[0:1], s[18:19]
	s_cbranch_execnz .LBB347_64
	s_branch .LBB347_65
.LBB347_79:
	s_mov_b64 s[0:1], -1
                                        ; implicit-def: $vgpr3
	s_branch .LBB347_84
.LBB347_80:
	s_mov_b64 s[0:1], -1
                                        ; implicit-def: $vgpr3
.LBB347_81:
	s_and_b64 vcc, exec, s[0:1]
	s_cbranch_vccz .LBB347_83
; %bb.82:
	global_load_ubyte v3, v[0:1], off
	s_mov_b32 s0, 0x7f800000
	s_waitcnt vmcnt(0)
	v_lshlrev_b32_e32 v3, 24, v3
	v_and_b32_e32 v4, 0x7f000000, v3
	v_ffbh_u32_e32 v5, v4
	v_min_u32_e32 v5, 32, v5
	v_sub_u32_e64 v5, v5, 4 clamp
	v_lshlrev_b32_e32 v7, v5, v4
	v_lshlrev_b32_e32 v5, 23, v5
	v_lshrrev_b32_e32 v7, 4, v7
	v_add_u32_e32 v6, 0x1000000, v4
	v_sub_u32_e32 v5, v7, v5
	v_ashrrev_i32_e32 v6, 8, v6
	v_add_u32_e32 v5, 0x3c000000, v5
	v_and_or_b32 v5, v6, s0, v5
	v_cmp_ne_u32_e32 vcc, 0, v4
	v_cndmask_b32_e32 v4, 0, v5, vcc
	s_brev_b32 s0, 1
	v_and_or_b32 v3, v3, s0, v4
	v_cvt_u32_f32_e32 v3, v3
.LBB347_83:
	s_mov_b64 s[0:1], 0
.LBB347_84:
	s_andn2_b64 vcc, exec, s[0:1]
	s_cbranch_vccnz .LBB347_86
; %bb.85:
	global_load_ubyte v3, v[0:1], off
	s_movk_i32 s0, 0x7f00
	s_brev_b32 s1, 16
	s_waitcnt vmcnt(0)
	v_lshlrev_b16_e32 v4, 8, v3
	v_lshlrev_b32_e32 v3, 25, v3
	v_lshrrev_b32_e32 v5, 4, v3
	v_and_or_b32 v6, v4, s0, 0.5
	v_or_b32_e32 v5, 0x70000000, v5
	v_add_f32_e32 v6, -0.5, v6
	v_mul_f32_e32 v5, 0x7800000, v5
	v_cmp_gt_u32_e32 vcc, s1, v3
	v_bfe_i32 v4, v4, 0, 16
	v_cndmask_b32_e32 v3, v5, v6, vcc
	s_brev_b32 s0, 1
	v_and_or_b32 v3, v4, s0, v3
	v_cvt_u32_f32_e32 v3, v3
.LBB347_86:
	s_mov_b64 s[18:19], 0
	s_mov_b64 s[0:1], -1
.LBB347_87:
	s_andn2_b64 vcc, exec, s[18:19]
	s_cbranch_vccnz .LBB347_100
; %bb.88:
	s_cmp_gt_i32 s21, 14
	s_cbranch_scc0 .LBB347_91
; %bb.89:
	s_cmp_eq_u32 s21, 15
	s_cbranch_scc0 .LBB347_94
; %bb.90:
	global_load_ushort v3, v[0:1], off
	s_mov_b64 s[0:1], -1
	s_mov_b64 s[22:23], 0
	s_waitcnt vmcnt(0)
	v_lshlrev_b32_e32 v3, 16, v3
	v_cvt_u32_f32_e32 v3, v3
	s_branch .LBB347_95
.LBB347_91:
	s_mov_b64 s[18:19], -1
                                        ; implicit-def: $vgpr3
	s_branch .LBB347_96
.LBB347_92:
	s_andn2_saveexec_b64 s[0:1], s[0:1]
	s_cbranch_execz .LBB347_73
.LBB347_93:
	v_cmp_ne_u16_e32 vcc, 0, v4
	s_andn2_b64 s[18:19], s[18:19], exec
	s_and_b64 s[26:27], vcc, exec
	s_or_b64 s[18:19], s[18:19], s[26:27]
	s_or_b64 exec, exec, s[0:1]
	v_mov_b32_e32 v3, 0
	s_and_saveexec_b64 s[0:1], s[18:19]
	s_cbranch_execnz .LBB347_74
	s_branch .LBB347_75
.LBB347_94:
	s_mov_b64 s[22:23], -1
                                        ; implicit-def: $vgpr3
.LBB347_95:
	s_mov_b64 s[18:19], 0
.LBB347_96:
	s_and_b64 vcc, exec, s[18:19]
	s_cbranch_vccz .LBB347_100
; %bb.97:
	s_cmp_eq_u32 s21, 11
	s_cbranch_scc0 .LBB347_99
; %bb.98:
	global_load_ubyte v3, v[0:1], off
	s_mov_b64 s[0:1], -1
	s_mov_b64 s[22:23], 0
	s_waitcnt vmcnt(0)
	v_cmp_ne_u16_e32 vcc, 0, v3
	v_cndmask_b32_e64 v3, 0, 1, vcc
	s_branch .LBB347_100
.LBB347_99:
	s_mov_b64 s[22:23], -1
                                        ; implicit-def: $vgpr3
.LBB347_100:
	s_branch .LBB347_10
.LBB347_101:
	s_and_b32 s18, 0xffff, s20
	s_cmp_lt_i32 s18, 5
	s_cbranch_scc1 .LBB347_106
; %bb.102:
	s_cmp_lt_i32 s18, 8
	s_cbranch_scc1 .LBB347_107
; %bb.103:
	;; [unrolled: 3-line block ×3, first 2 shown]
	s_cmp_gt_i32 s18, 9
	s_cbranch_scc0 .LBB347_109
; %bb.105:
	global_load_dwordx2 v[3:4], v[0:1], off
	s_mov_b64 s[0:1], 0
	s_waitcnt vmcnt(0)
	v_cvt_u32_f64_e32 v3, v[3:4]
	s_branch .LBB347_110
.LBB347_106:
                                        ; implicit-def: $vgpr3
	s_branch .LBB347_128
.LBB347_107:
	s_mov_b64 s[0:1], -1
                                        ; implicit-def: $vgpr3
	s_branch .LBB347_116
.LBB347_108:
	s_mov_b64 s[0:1], -1
                                        ; implicit-def: $vgpr3
	s_branch .LBB347_113
.LBB347_109:
	s_mov_b64 s[0:1], -1
                                        ; implicit-def: $vgpr3
.LBB347_110:
	s_andn2_b64 vcc, exec, s[0:1]
	s_cbranch_vccnz .LBB347_112
; %bb.111:
	global_load_dword v3, v[0:1], off
	s_waitcnt vmcnt(0)
	v_cvt_u32_f32_e32 v3, v3
.LBB347_112:
	s_mov_b64 s[0:1], 0
.LBB347_113:
	s_andn2_b64 vcc, exec, s[0:1]
	s_cbranch_vccnz .LBB347_115
; %bb.114:
	global_load_dword v3, v[0:1], off
	s_waitcnt vmcnt(0)
	v_cvt_f32_f16_e32 v3, v3
	v_cvt_u32_f32_e32 v3, v3
.LBB347_115:
	s_mov_b64 s[0:1], 0
.LBB347_116:
	s_andn2_b64 vcc, exec, s[0:1]
	s_cbranch_vccnz .LBB347_127
; %bb.117:
	s_cmp_lt_i32 s18, 6
	s_cbranch_scc1 .LBB347_120
; %bb.118:
	s_cmp_gt_i32 s18, 6
	s_cbranch_scc0 .LBB347_121
; %bb.119:
	global_load_dwordx2 v[3:4], v[0:1], off
	s_mov_b64 s[0:1], 0
	s_waitcnt vmcnt(0)
	v_cvt_u32_f64_e32 v3, v[3:4]
	s_branch .LBB347_122
.LBB347_120:
	s_mov_b64 s[0:1], -1
                                        ; implicit-def: $vgpr3
	s_branch .LBB347_125
.LBB347_121:
	s_mov_b64 s[0:1], -1
                                        ; implicit-def: $vgpr3
.LBB347_122:
	s_andn2_b64 vcc, exec, s[0:1]
	s_cbranch_vccnz .LBB347_124
; %bb.123:
	global_load_dword v3, v[0:1], off
	s_waitcnt vmcnt(0)
	v_cvt_u32_f32_e32 v3, v3
.LBB347_124:
	s_mov_b64 s[0:1], 0
.LBB347_125:
	s_andn2_b64 vcc, exec, s[0:1]
	s_cbranch_vccnz .LBB347_127
; %bb.126:
	global_load_ushort v3, v[0:1], off
	s_waitcnt vmcnt(0)
	v_cvt_f32_f16_e32 v3, v3
	v_cvt_u32_f32_e32 v3, v3
.LBB347_127:
	s_cbranch_execnz .LBB347_147
.LBB347_128:
	s_cmp_lt_i32 s18, 2
	s_cbranch_scc1 .LBB347_132
; %bb.129:
	s_cmp_lt_i32 s18, 3
	s_cbranch_scc1 .LBB347_133
; %bb.130:
	s_cmp_gt_i32 s18, 3
	s_cbranch_scc0 .LBB347_134
; %bb.131:
	global_load_dword v3, v[0:1], off
	s_mov_b64 s[0:1], 0
	s_branch .LBB347_135
.LBB347_132:
	s_mov_b64 s[0:1], -1
                                        ; implicit-def: $vgpr3
	s_branch .LBB347_141
.LBB347_133:
	s_mov_b64 s[0:1], -1
                                        ; implicit-def: $vgpr3
	s_branch .LBB347_138
.LBB347_134:
	s_mov_b64 s[0:1], -1
                                        ; implicit-def: $vgpr3
.LBB347_135:
	s_andn2_b64 vcc, exec, s[0:1]
	s_cbranch_vccnz .LBB347_137
; %bb.136:
	global_load_dword v3, v[0:1], off
.LBB347_137:
	s_mov_b64 s[0:1], 0
.LBB347_138:
	s_andn2_b64 vcc, exec, s[0:1]
	s_cbranch_vccnz .LBB347_140
; %bb.139:
	global_load_sshort v3, v[0:1], off
.LBB347_140:
	s_mov_b64 s[0:1], 0
.LBB347_141:
	s_andn2_b64 vcc, exec, s[0:1]
	s_cbranch_vccnz .LBB347_147
; %bb.142:
	s_cmp_gt_i32 s18, 0
	s_cbranch_scc0 .LBB347_144
; %bb.143:
	global_load_sbyte v3, v[0:1], off
	s_mov_b64 s[0:1], 0
	s_branch .LBB347_145
.LBB347_144:
	s_mov_b64 s[0:1], -1
                                        ; implicit-def: $vgpr3
.LBB347_145:
	s_andn2_b64 vcc, exec, s[0:1]
	s_cbranch_vccnz .LBB347_147
; %bb.146:
	global_load_ubyte v3, v[0:1], off
.LBB347_147:
	s_branch .LBB347_11
.LBB347_148:
	s_mov_b64 s[0:1], 0
	s_mov_b64 s[20:21], 0
	s_branch .LBB347_373
.LBB347_149:
	s_mov_b64 s[20:21], -1
.LBB347_150:
	s_mov_b64 s[0:1], 0
                                        ; implicit-def: $vgpr4
.LBB347_151:
	s_and_b64 vcc, exec, s[18:19]
	s_cbranch_vccz .LBB347_267
; %bb.152:
	s_cmp_eq_u32 s27, 44
	s_cbranch_scc0 .LBB347_266
; %bb.153:
	global_load_ubyte v4, v[0:1], off
	s_mov_b64 s[0:1], -1
	s_mov_b64 s[20:21], 0
	s_waitcnt vmcnt(0)
	v_lshlrev_b32_e32 v5, 23, v4
	v_cvt_u32_f32_e32 v5, v5
	v_cmp_ne_u32_e32 vcc, 0, v4
	v_cndmask_b32_e32 v4, 0, v5, vcc
	s_branch .LBB347_267
.LBB347_154:
	s_mov_b64 s[30:31], -1
	s_mov_b64 s[0:1], 0
	s_mov_b64 s[26:27], 0
.LBB347_155:
	s_and_b64 vcc, exec, s[30:31]
	s_cbranch_vccz .LBB347_160
; %bb.156:
	s_cmp_eq_u32 s37, 44
	s_mov_b64 s[0:1], -1
	s_cbranch_scc0 .LBB347_160
; %bb.157:
	v_cndmask_b32_e64 v4, 0, 1.0, s[18:19]
	v_lshrrev_b32_e32 v3, 23, v4
	s_movk_i32 s0, 0xff
	v_cmp_ne_u32_e32 vcc, s0, v3
	v_mov_b32_e32 v5, 0xff
	s_and_saveexec_b64 s[26:27], vcc
; %bb.158:
	s_mov_b32 s0, 0x3fffff
	v_and_b32_e32 v5, 0x400000, v4
	v_and_or_b32 v4, v4, s0, v3
	v_cmp_ne_u32_e32 vcc, 0, v5
	v_cmp_ne_u32_e64 s[0:1], 0, v4
	s_and_b64 s[0:1], vcc, s[0:1]
	v_cndmask_b32_e64 v4, 0, 1, s[0:1]
	v_add_u32_e32 v5, v3, v4
; %bb.159:
	s_or_b64 exec, exec, s[26:27]
	s_mov_b64 s[26:27], -1
	s_mov_b64 s[0:1], 0
	global_store_byte v[0:1], v5, off
.LBB347_160:
	s_mov_b64 s[30:31], 0
.LBB347_161:
	s_and_b64 vcc, exec, s[30:31]
	s_cbranch_vccz .LBB347_164
; %bb.162:
	s_cmp_eq_u32 s37, 29
	s_mov_b64 s[0:1], -1
	s_cbranch_scc0 .LBB347_164
; %bb.163:
	s_mov_b32 s0, 0
	v_cndmask_b32_e64 v3, 0, 1, s[18:19]
	v_mov_b32_e32 v4, s0
	global_store_dwordx2 v[0:1], v[3:4], off
	s_mov_b64 s[26:27], -1
	s_mov_b64 s[0:1], 0
.LBB347_164:
	s_mov_b64 s[30:31], 0
.LBB347_165:
	s_and_b64 vcc, exec, s[30:31]
	s_cbranch_vccz .LBB347_181
; %bb.166:
	s_cmp_lt_i32 s37, 27
	s_mov_b64 s[26:27], -1
	s_cbranch_scc1 .LBB347_172
; %bb.167:
	s_cmp_gt_i32 s37, 27
	s_cbranch_scc0 .LBB347_169
; %bb.168:
	v_cndmask_b32_e64 v3, 0, 1, s[18:19]
	s_mov_b64 s[26:27], 0
	global_store_dword v[0:1], v3, off
.LBB347_169:
	s_andn2_b64 vcc, exec, s[26:27]
	s_cbranch_vccnz .LBB347_171
; %bb.170:
	v_cndmask_b32_e64 v3, 0, 1, s[18:19]
	global_store_short v[0:1], v3, off
.LBB347_171:
	s_mov_b64 s[26:27], 0
.LBB347_172:
	s_andn2_b64 vcc, exec, s[26:27]
	s_cbranch_vccnz .LBB347_180
; %bb.173:
	v_cndmask_b32_e64 v4, 0, 1.0, s[18:19]
	s_mov_b32 s26, 0x43800000
	v_cmp_gt_u32_e32 vcc, s26, v4
	v_mov_b32_e32 v5, 0x80
	s_and_saveexec_b64 s[26:27], vcc
	s_cbranch_execz .LBB347_179
; %bb.174:
	s_mov_b32 s30, 0x3bffffff
	v_cmp_lt_u32_e32 vcc, s30, v4
	s_mov_b64 s[30:31], 0
                                        ; implicit-def: $vgpr3
	s_and_saveexec_b64 s[34:35], vcc
	s_xor_b64 s[34:35], exec, s[34:35]
	s_cbranch_execz .LBB347_404
; %bb.175:
	v_bfe_u32 v3, v4, 20, 1
	s_mov_b32 s38, 0x487ffff
	v_add3_u32 v3, v4, v3, s38
	s_mov_b64 s[30:31], exec
	v_lshrrev_b32_e32 v3, 20, v3
                                        ; implicit-def: $vgpr4
	s_andn2_saveexec_b64 s[34:35], s[34:35]
	s_cbranch_execnz .LBB347_405
.LBB347_176:
	s_or_b64 exec, exec, s[34:35]
	v_mov_b32_e32 v5, 0
	s_and_saveexec_b64 s[34:35], s[30:31]
.LBB347_177:
	v_mov_b32_e32 v5, v3
.LBB347_178:
	s_or_b64 exec, exec, s[34:35]
.LBB347_179:
	s_or_b64 exec, exec, s[26:27]
	global_store_byte v[0:1], v5, off
.LBB347_180:
	s_mov_b64 s[26:27], -1
.LBB347_181:
	s_mov_b64 s[30:31], 0
.LBB347_182:
	s_and_b64 vcc, exec, s[30:31]
	s_cbranch_vccz .LBB347_223
; %bb.183:
	s_cmp_gt_i32 s37, 22
	s_mov_b64 s[30:31], -1
	s_cbranch_scc0 .LBB347_215
; %bb.184:
	s_cmp_lt_i32 s37, 24
	s_mov_b64 s[26:27], -1
	s_cbranch_scc1 .LBB347_204
; %bb.185:
	s_cmp_gt_i32 s37, 24
	s_cbranch_scc0 .LBB347_193
; %bb.186:
	v_cndmask_b32_e64 v4, 0, 1.0, s[18:19]
	s_mov_b32 s26, 0x47800000
	v_cmp_gt_u32_e32 vcc, s26, v4
	v_mov_b32_e32 v5, 0x80
	s_and_saveexec_b64 s[26:27], vcc
	s_cbranch_execz .LBB347_192
; %bb.187:
	s_mov_b32 s30, 0x37ffffff
	v_cmp_lt_u32_e32 vcc, s30, v4
	s_mov_b64 s[30:31], 0
                                        ; implicit-def: $vgpr3
	s_and_saveexec_b64 s[34:35], vcc
	s_xor_b64 s[34:35], exec, s[34:35]
	s_cbranch_execz .LBB347_519
; %bb.188:
	v_bfe_u32 v3, v4, 21, 1
	s_mov_b32 s38, 0x88fffff
	v_add3_u32 v3, v4, v3, s38
	s_mov_b64 s[30:31], exec
	v_lshrrev_b32_e32 v3, 21, v3
                                        ; implicit-def: $vgpr4
	s_andn2_saveexec_b64 s[34:35], s[34:35]
	s_cbranch_execnz .LBB347_520
.LBB347_189:
	s_or_b64 exec, exec, s[34:35]
	v_mov_b32_e32 v5, 0
	s_and_saveexec_b64 s[34:35], s[30:31]
.LBB347_190:
	v_mov_b32_e32 v5, v3
.LBB347_191:
	s_or_b64 exec, exec, s[34:35]
.LBB347_192:
	s_or_b64 exec, exec, s[26:27]
	s_mov_b64 s[26:27], 0
	global_store_byte v[0:1], v5, off
.LBB347_193:
	s_and_b64 vcc, exec, s[26:27]
	s_cbranch_vccz .LBB347_203
; %bb.194:
	v_cndmask_b32_e64 v3, 0, 1.0, s[18:19]
	s_mov_b32 s26, 0x43f00000
	v_cmp_gt_u32_e32 vcc, s26, v3
                                        ; implicit-def: $vgpr4
	s_and_saveexec_b64 s[26:27], vcc
	s_xor_b64 s[26:27], exec, s[26:27]
	s_cbranch_execz .LBB347_200
; %bb.195:
	s_mov_b32 s30, 0x3c7fffff
	v_cmp_lt_u32_e32 vcc, s30, v3
                                        ; implicit-def: $vgpr4
	s_and_saveexec_b64 s[30:31], vcc
	s_xor_b64 s[30:31], exec, s[30:31]
; %bb.196:
	v_bfe_u32 v4, v3, 20, 1
	s_mov_b32 s34, 0x407ffff
	v_add3_u32 v3, v3, v4, s34
	v_lshrrev_b32_e32 v4, 20, v3
	v_and_b32_e32 v3, 0xff00000, v3
	s_mov_b32 s34, 0x7f00000
	v_mov_b32_e32 v5, 0x7e
	v_cmp_ne_u32_e32 vcc, s34, v3
	v_cndmask_b32_e32 v4, v5, v4, vcc
                                        ; implicit-def: $vgpr3
; %bb.197:
	s_andn2_saveexec_b64 s[30:31], s[30:31]
; %bb.198:
	v_add_f32_e32 v4, 0x46800000, v3
; %bb.199:
	s_or_b64 exec, exec, s[30:31]
                                        ; implicit-def: $vgpr3
.LBB347_200:
	s_andn2_saveexec_b64 s[26:27], s[26:27]
; %bb.201:
	s_mov_b32 s30, 0x7f800000
	v_mov_b32_e32 v4, 0x7e
	v_mov_b32_e32 v5, 0x7f
	v_cmp_lt_u32_e32 vcc, s30, v3
	v_cndmask_b32_e32 v4, v4, v5, vcc
; %bb.202:
	s_or_b64 exec, exec, s[26:27]
	global_store_byte v[0:1], v4, off
.LBB347_203:
	s_mov_b64 s[26:27], 0
.LBB347_204:
	s_andn2_b64 vcc, exec, s[26:27]
	s_cbranch_vccnz .LBB347_214
; %bb.205:
	v_cndmask_b32_e64 v3, 0, 1.0, s[18:19]
	s_mov_b32 s26, 0x47800000
	v_cmp_gt_u32_e32 vcc, s26, v3
                                        ; implicit-def: $vgpr4
	s_and_saveexec_b64 s[26:27], vcc
	s_xor_b64 s[26:27], exec, s[26:27]
	s_cbranch_execz .LBB347_211
; %bb.206:
	s_mov_b32 s30, 0x387fffff
	v_cmp_lt_u32_e32 vcc, s30, v3
                                        ; implicit-def: $vgpr4
	s_and_saveexec_b64 s[30:31], vcc
	s_xor_b64 s[30:31], exec, s[30:31]
; %bb.207:
	v_bfe_u32 v4, v3, 21, 1
	s_mov_b32 s34, 0x80fffff
	v_add3_u32 v3, v3, v4, s34
	v_lshrrev_b32_e32 v4, 21, v3
                                        ; implicit-def: $vgpr3
; %bb.208:
	s_andn2_saveexec_b64 s[30:31], s[30:31]
; %bb.209:
	v_add_f32_e32 v4, 0x43000000, v3
; %bb.210:
	s_or_b64 exec, exec, s[30:31]
                                        ; implicit-def: $vgpr3
.LBB347_211:
	s_andn2_saveexec_b64 s[26:27], s[26:27]
; %bb.212:
	s_mov_b32 s30, 0x7f800000
	v_mov_b32_e32 v4, 0x7c
	v_mov_b32_e32 v5, 0x7f
	v_cmp_lt_u32_e32 vcc, s30, v3
	v_cndmask_b32_e32 v4, v4, v5, vcc
; %bb.213:
	s_or_b64 exec, exec, s[26:27]
	global_store_byte v[0:1], v4, off
.LBB347_214:
	s_mov_b64 s[30:31], 0
	s_mov_b64 s[26:27], -1
.LBB347_215:
	s_andn2_b64 vcc, exec, s[30:31]
	s_cbranch_vccnz .LBB347_223
; %bb.216:
	s_cmp_gt_i32 s37, 14
	s_mov_b64 s[30:31], -1
	s_cbranch_scc0 .LBB347_220
; %bb.217:
	s_cmp_eq_u32 s37, 15
	s_mov_b64 s[0:1], -1
	s_cbranch_scc0 .LBB347_219
; %bb.218:
	v_cndmask_b32_e64 v3, 0, 1.0, s[18:19]
	v_bfe_u32 v4, v3, 16, 1
	s_movk_i32 s0, 0x7fff
	v_add3_u32 v3, v3, v4, s0
	global_store_short_d16_hi v[0:1], v3, off
	s_mov_b64 s[26:27], -1
	s_mov_b64 s[0:1], 0
.LBB347_219:
	s_mov_b64 s[30:31], 0
.LBB347_220:
	s_and_b64 vcc, exec, s[30:31]
	s_cbranch_vccz .LBB347_223
; %bb.221:
	s_cmp_eq_u32 s37, 11
	s_mov_b64 s[0:1], -1
	s_cbranch_scc0 .LBB347_223
; %bb.222:
	v_cndmask_b32_e64 v3, 0, 1, s[18:19]
	s_mov_b64 s[26:27], -1
	s_mov_b64 s[0:1], 0
	global_store_byte v[0:1], v3, off
.LBB347_223:
	s_mov_b64 s[30:31], 0
.LBB347_224:
	s_and_b64 vcc, exec, s[30:31]
	s_cbranch_vccz .LBB347_263
; %bb.225:
	s_and_b32 s30, 0xffff, s36
	s_cmp_lt_i32 s30, 5
	s_mov_b64 s[26:27], -1
	s_cbranch_scc1 .LBB347_246
; %bb.226:
	s_cmp_lt_i32 s30, 8
	s_cbranch_scc1 .LBB347_236
; %bb.227:
	s_cmp_lt_i32 s30, 9
	s_cbranch_scc1 .LBB347_233
; %bb.228:
	s_cmp_gt_i32 s30, 9
	s_cbranch_scc0 .LBB347_230
; %bb.229:
	v_cndmask_b32_e64 v3, 0, 1, s[18:19]
	v_cvt_f64_u32_e32 v[3:4], v3
	v_mov_b32_e32 v5, 0
	v_mov_b32_e32 v6, v5
	s_mov_b64 s[26:27], 0
	global_store_dwordx4 v[0:1], v[3:6], off
.LBB347_230:
	s_andn2_b64 vcc, exec, s[26:27]
	s_cbranch_vccnz .LBB347_232
; %bb.231:
	v_cndmask_b32_e64 v3, 0, 1.0, s[18:19]
	v_mov_b32_e32 v4, 0
	global_store_dwordx2 v[0:1], v[3:4], off
.LBB347_232:
	s_mov_b64 s[26:27], 0
.LBB347_233:
	s_andn2_b64 vcc, exec, s[26:27]
	s_cbranch_vccnz .LBB347_235
; %bb.234:
	v_cndmask_b32_e64 v3, 0, 1.0, s[18:19]
	v_cvt_f16_f32_e32 v3, v3
	global_store_dword v[0:1], v3, off
.LBB347_235:
	s_mov_b64 s[26:27], 0
.LBB347_236:
	s_andn2_b64 vcc, exec, s[26:27]
	s_cbranch_vccnz .LBB347_245
; %bb.237:
	s_cmp_lt_i32 s30, 6
	s_mov_b64 s[26:27], -1
	s_cbranch_scc1 .LBB347_243
; %bb.238:
	s_cmp_gt_i32 s30, 6
	s_cbranch_scc0 .LBB347_240
; %bb.239:
	v_cndmask_b32_e64 v3, 0, 1, s[18:19]
	v_cvt_f64_u32_e32 v[3:4], v3
	s_mov_b64 s[26:27], 0
	global_store_dwordx2 v[0:1], v[3:4], off
.LBB347_240:
	s_andn2_b64 vcc, exec, s[26:27]
	s_cbranch_vccnz .LBB347_242
; %bb.241:
	v_cndmask_b32_e64 v3, 0, 1.0, s[18:19]
	global_store_dword v[0:1], v3, off
.LBB347_242:
	s_mov_b64 s[26:27], 0
.LBB347_243:
	s_andn2_b64 vcc, exec, s[26:27]
	s_cbranch_vccnz .LBB347_245
; %bb.244:
	v_cndmask_b32_e64 v3, 0, 1.0, s[18:19]
	v_cvt_f16_f32_e32 v3, v3
	global_store_short v[0:1], v3, off
.LBB347_245:
	s_mov_b64 s[26:27], 0
.LBB347_246:
	s_andn2_b64 vcc, exec, s[26:27]
	s_cbranch_vccnz .LBB347_262
; %bb.247:
	s_cmp_lt_i32 s30, 2
	s_mov_b64 s[26:27], -1
	s_cbranch_scc1 .LBB347_257
; %bb.248:
	s_cmp_lt_i32 s30, 3
	s_cbranch_scc1 .LBB347_254
; %bb.249:
	s_cmp_gt_i32 s30, 3
	s_cbranch_scc0 .LBB347_251
; %bb.250:
	s_mov_b32 s26, 0
	v_cndmask_b32_e64 v3, 0, 1, s[18:19]
	v_mov_b32_e32 v4, s26
	global_store_dwordx2 v[0:1], v[3:4], off
	s_mov_b64 s[26:27], 0
.LBB347_251:
	s_andn2_b64 vcc, exec, s[26:27]
	s_cbranch_vccnz .LBB347_253
; %bb.252:
	v_cndmask_b32_e64 v3, 0, 1, s[18:19]
	global_store_dword v[0:1], v3, off
.LBB347_253:
	s_mov_b64 s[26:27], 0
.LBB347_254:
	s_andn2_b64 vcc, exec, s[26:27]
	s_cbranch_vccnz .LBB347_256
; %bb.255:
	v_cndmask_b32_e64 v3, 0, 1, s[18:19]
	global_store_short v[0:1], v3, off
.LBB347_256:
	s_mov_b64 s[26:27], 0
.LBB347_257:
	s_andn2_b64 vcc, exec, s[26:27]
	s_cbranch_vccnz .LBB347_262
; %bb.258:
	s_mov_b64 s[26:27], -1
	s_cmp_gt_i32 s30, 0
	v_cndmask_b32_e64 v3, 0, 1, s[18:19]
	s_cbranch_scc0 .LBB347_260
; %bb.259:
	global_store_byte v[0:1], v3, off
	s_mov_b64 s[26:27], 0
.LBB347_260:
	s_andn2_b64 vcc, exec, s[26:27]
	s_cbranch_vccnz .LBB347_262
; %bb.261:
	global_store_byte v[0:1], v3, off
.LBB347_262:
	s_mov_b64 s[26:27], -1
.LBB347_263:
	s_andn2_b64 vcc, exec, s[26:27]
	s_cbranch_vccnz .LBB347_265
; %bb.264:
	v_add_u32_e32 v2, 0x80, v2
	s_mov_b64 s[26:27], -1
	s_branch .LBB347_374
.LBB347_265:
	s_mov_b64 s[26:27], 0
                                        ; implicit-def: $vgpr2
	s_branch .LBB347_374
.LBB347_266:
	s_mov_b64 s[20:21], -1
                                        ; implicit-def: $vgpr4
.LBB347_267:
	s_mov_b64 s[18:19], 0
.LBB347_268:
	s_and_b64 vcc, exec, s[18:19]
	s_cbranch_vccz .LBB347_272
; %bb.269:
	s_cmp_eq_u32 s27, 29
	s_cbranch_scc0 .LBB347_271
; %bb.270:
	global_load_dword v4, v[0:1], off
	s_mov_b64 s[0:1], -1
	s_mov_b64 s[20:21], 0
	s_branch .LBB347_272
.LBB347_271:
	s_mov_b64 s[20:21], -1
                                        ; implicit-def: $vgpr4
.LBB347_272:
	s_mov_b64 s[18:19], 0
.LBB347_273:
	s_and_b64 vcc, exec, s[18:19]
	s_cbranch_vccz .LBB347_289
; %bb.274:
	s_cmp_lt_i32 s27, 27
	s_cbranch_scc1 .LBB347_277
; %bb.275:
	s_cmp_gt_i32 s27, 27
	s_cbranch_scc0 .LBB347_278
; %bb.276:
	global_load_dword v4, v[0:1], off
	s_mov_b64 s[0:1], 0
	s_branch .LBB347_279
.LBB347_277:
	s_mov_b64 s[0:1], -1
                                        ; implicit-def: $vgpr4
	s_branch .LBB347_282
.LBB347_278:
	s_mov_b64 s[0:1], -1
                                        ; implicit-def: $vgpr4
.LBB347_279:
	s_andn2_b64 vcc, exec, s[0:1]
	s_cbranch_vccnz .LBB347_281
; %bb.280:
	global_load_ushort v4, v[0:1], off
.LBB347_281:
	s_mov_b64 s[0:1], 0
.LBB347_282:
	s_andn2_b64 vcc, exec, s[0:1]
	s_cbranch_vccnz .LBB347_288
; %bb.283:
	global_load_ubyte v5, v[0:1], off
	s_movk_i32 s0, 0x7f
	s_mov_b64 s[18:19], 0
	s_waitcnt vmcnt(0)
	v_cmp_lt_i16_e32 vcc, s0, v5
	s_and_saveexec_b64 s[0:1], vcc
	s_xor_b64 s[0:1], exec, s[0:1]
	s_cbranch_execz .LBB347_300
; %bb.284:
	s_movk_i32 s18, 0x80
	v_cmp_ne_u16_e32 vcc, s18, v5
	s_and_b64 s[18:19], vcc, exec
	s_andn2_saveexec_b64 s[0:1], s[0:1]
	s_cbranch_execnz .LBB347_301
.LBB347_285:
	s_or_b64 exec, exec, s[0:1]
	v_mov_b32_e32 v4, 0
	s_and_saveexec_b64 s[0:1], s[18:19]
	s_cbranch_execz .LBB347_287
.LBB347_286:
	v_lshlrev_b32_e32 v4, 24, v5
	v_and_b32_e32 v5, 0xffff, v5
	v_and_b32_e32 v6, 7, v5
	v_ffbh_u32_e32 v8, v6
	v_min_u32_e32 v8, 32, v8
	v_subrev_u32_e32 v9, 28, v8
	v_bfe_u32 v7, v5, 3, 4
	v_lshlrev_b32_e32 v5, v9, v5
	v_sub_u32_e32 v8, 29, v8
	v_and_b32_e32 v5, 7, v5
	v_cmp_eq_u32_e32 vcc, 0, v7
	v_cndmask_b32_e32 v7, v7, v8, vcc
	v_cndmask_b32_e32 v5, v6, v5, vcc
	v_mov_b32_e32 v6, 0x3b800000
	v_lshlrev_b32_e32 v5, 20, v5
	v_and_b32_e32 v4, 0x80000000, v4
	v_lshl_add_u32 v6, v7, 23, v6
	v_or3_b32 v4, v4, v6, v5
	v_cvt_u32_f32_e32 v4, v4
.LBB347_287:
	s_or_b64 exec, exec, s[0:1]
.LBB347_288:
	s_mov_b64 s[0:1], -1
.LBB347_289:
	s_mov_b64 s[18:19], 0
.LBB347_290:
	s_and_b64 vcc, exec, s[18:19]
	s_cbranch_vccz .LBB347_323
; %bb.291:
	s_cmp_gt_i32 s27, 22
	s_cbranch_scc0 .LBB347_299
; %bb.292:
	s_cmp_lt_i32 s27, 24
	s_cbranch_scc1 .LBB347_302
; %bb.293:
	s_cmp_gt_i32 s27, 24
	s_cbranch_scc0 .LBB347_303
; %bb.294:
	global_load_ubyte v5, v[0:1], off
	s_movk_i32 s0, 0x7f
	s_mov_b64 s[18:19], 0
	s_waitcnt vmcnt(0)
	v_cmp_lt_i16_e32 vcc, s0, v5
	s_and_saveexec_b64 s[0:1], vcc
	s_xor_b64 s[0:1], exec, s[0:1]
	s_cbranch_execz .LBB347_315
; %bb.295:
	s_movk_i32 s18, 0x80
	v_cmp_ne_u16_e32 vcc, s18, v5
	s_and_b64 s[18:19], vcc, exec
	s_andn2_saveexec_b64 s[0:1], s[0:1]
	s_cbranch_execnz .LBB347_316
.LBB347_296:
	s_or_b64 exec, exec, s[0:1]
	v_mov_b32_e32 v4, 0
	s_and_saveexec_b64 s[0:1], s[18:19]
	s_cbranch_execz .LBB347_298
.LBB347_297:
	v_lshlrev_b32_e32 v4, 24, v5
	v_and_b32_e32 v5, 0xffff, v5
	v_and_b32_e32 v6, 3, v5
	v_ffbh_u32_e32 v8, v6
	v_min_u32_e32 v8, 32, v8
	v_subrev_u32_e32 v9, 29, v8
	v_bfe_u32 v7, v5, 2, 5
	v_lshlrev_b32_e32 v5, v9, v5
	v_sub_u32_e32 v8, 30, v8
	v_and_b32_e32 v5, 3, v5
	v_cmp_eq_u32_e32 vcc, 0, v7
	v_cndmask_b32_e32 v7, v7, v8, vcc
	v_cndmask_b32_e32 v5, v6, v5, vcc
	v_mov_b32_e32 v6, 0x37800000
	v_lshlrev_b32_e32 v5, 21, v5
	v_and_b32_e32 v4, 0x80000000, v4
	v_lshl_add_u32 v6, v7, 23, v6
	v_or3_b32 v4, v4, v6, v5
	v_cvt_u32_f32_e32 v4, v4
.LBB347_298:
	s_or_b64 exec, exec, s[0:1]
	s_mov_b64 s[0:1], 0
	s_branch .LBB347_304
.LBB347_299:
	s_mov_b64 s[18:19], -1
                                        ; implicit-def: $vgpr4
	s_branch .LBB347_310
.LBB347_300:
	s_andn2_saveexec_b64 s[0:1], s[0:1]
	s_cbranch_execz .LBB347_285
.LBB347_301:
	v_cmp_ne_u16_e32 vcc, 0, v5
	s_andn2_b64 s[18:19], s[18:19], exec
	s_and_b64 s[30:31], vcc, exec
	s_or_b64 s[18:19], s[18:19], s[30:31]
	s_or_b64 exec, exec, s[0:1]
	v_mov_b32_e32 v4, 0
	s_and_saveexec_b64 s[0:1], s[18:19]
	s_cbranch_execnz .LBB347_286
	s_branch .LBB347_287
.LBB347_302:
	s_mov_b64 s[0:1], -1
                                        ; implicit-def: $vgpr4
	s_branch .LBB347_307
.LBB347_303:
	s_mov_b64 s[0:1], -1
                                        ; implicit-def: $vgpr4
.LBB347_304:
	s_and_b64 vcc, exec, s[0:1]
	s_cbranch_vccz .LBB347_306
; %bb.305:
	global_load_ubyte v4, v[0:1], off
	s_mov_b32 s0, 0x7f800000
	s_waitcnt vmcnt(0)
	v_lshlrev_b32_e32 v4, 24, v4
	v_and_b32_e32 v5, 0x7f000000, v4
	v_ffbh_u32_e32 v6, v5
	v_min_u32_e32 v6, 32, v6
	v_sub_u32_e64 v6, v6, 4 clamp
	v_lshlrev_b32_e32 v8, v6, v5
	v_lshlrev_b32_e32 v6, 23, v6
	v_lshrrev_b32_e32 v8, 4, v8
	v_add_u32_e32 v7, 0x1000000, v5
	v_sub_u32_e32 v6, v8, v6
	v_ashrrev_i32_e32 v7, 8, v7
	v_add_u32_e32 v6, 0x3c000000, v6
	v_and_or_b32 v6, v7, s0, v6
	v_cmp_ne_u32_e32 vcc, 0, v5
	v_cndmask_b32_e32 v5, 0, v6, vcc
	s_brev_b32 s0, 1
	v_and_or_b32 v4, v4, s0, v5
	v_cvt_u32_f32_e32 v4, v4
.LBB347_306:
	s_mov_b64 s[0:1], 0
.LBB347_307:
	s_andn2_b64 vcc, exec, s[0:1]
	s_cbranch_vccnz .LBB347_309
; %bb.308:
	global_load_ubyte v4, v[0:1], off
	s_movk_i32 s0, 0x7f00
	s_brev_b32 s1, 16
	s_waitcnt vmcnt(0)
	v_lshlrev_b16_e32 v5, 8, v4
	v_lshlrev_b32_e32 v4, 25, v4
	v_lshrrev_b32_e32 v6, 4, v4
	v_and_or_b32 v7, v5, s0, 0.5
	v_or_b32_e32 v6, 0x70000000, v6
	v_add_f32_e32 v7, -0.5, v7
	v_mul_f32_e32 v6, 0x7800000, v6
	v_cmp_gt_u32_e32 vcc, s1, v4
	v_bfe_i32 v5, v5, 0, 16
	v_cndmask_b32_e32 v4, v6, v7, vcc
	s_brev_b32 s0, 1
	v_and_or_b32 v4, v5, s0, v4
	v_cvt_u32_f32_e32 v4, v4
.LBB347_309:
	s_mov_b64 s[18:19], 0
	s_mov_b64 s[0:1], -1
.LBB347_310:
	s_andn2_b64 vcc, exec, s[18:19]
	s_cbranch_vccnz .LBB347_323
; %bb.311:
	s_cmp_gt_i32 s27, 14
	s_cbranch_scc0 .LBB347_314
; %bb.312:
	s_cmp_eq_u32 s27, 15
	s_cbranch_scc0 .LBB347_317
; %bb.313:
	global_load_ushort v4, v[0:1], off
	s_mov_b64 s[0:1], -1
	s_mov_b64 s[20:21], 0
	s_waitcnt vmcnt(0)
	v_lshlrev_b32_e32 v4, 16, v4
	v_cvt_u32_f32_e32 v4, v4
	s_branch .LBB347_318
.LBB347_314:
	s_mov_b64 s[18:19], -1
                                        ; implicit-def: $vgpr4
	s_branch .LBB347_319
.LBB347_315:
	s_andn2_saveexec_b64 s[0:1], s[0:1]
	s_cbranch_execz .LBB347_296
.LBB347_316:
	v_cmp_ne_u16_e32 vcc, 0, v5
	s_andn2_b64 s[18:19], s[18:19], exec
	s_and_b64 s[30:31], vcc, exec
	s_or_b64 s[18:19], s[18:19], s[30:31]
	s_or_b64 exec, exec, s[0:1]
	v_mov_b32_e32 v4, 0
	s_and_saveexec_b64 s[0:1], s[18:19]
	s_cbranch_execnz .LBB347_297
	s_branch .LBB347_298
.LBB347_317:
	s_mov_b64 s[20:21], -1
                                        ; implicit-def: $vgpr4
.LBB347_318:
	s_mov_b64 s[18:19], 0
.LBB347_319:
	s_and_b64 vcc, exec, s[18:19]
	s_cbranch_vccz .LBB347_323
; %bb.320:
	s_cmp_eq_u32 s27, 11
	s_cbranch_scc0 .LBB347_322
; %bb.321:
	global_load_ubyte v4, v[0:1], off
	s_mov_b64 s[0:1], -1
	s_mov_b64 s[20:21], 0
	s_waitcnt vmcnt(0)
	v_cmp_ne_u16_e32 vcc, 0, v4
	v_cndmask_b32_e64 v4, 0, 1, vcc
	s_branch .LBB347_323
.LBB347_322:
	s_mov_b64 s[20:21], -1
                                        ; implicit-def: $vgpr4
.LBB347_323:
	s_branch .LBB347_20
.LBB347_324:
	s_and_b32 s18, 0xffff, s26
	s_cmp_lt_i32 s18, 5
	s_cbranch_scc1 .LBB347_329
; %bb.325:
	s_cmp_lt_i32 s18, 8
	s_cbranch_scc1 .LBB347_330
; %bb.326:
	;; [unrolled: 3-line block ×3, first 2 shown]
	s_cmp_gt_i32 s18, 9
	s_cbranch_scc0 .LBB347_332
; %bb.328:
	global_load_dwordx2 v[4:5], v[0:1], off
	s_mov_b64 s[0:1], 0
	s_waitcnt vmcnt(0)
	v_cvt_u32_f64_e32 v4, v[4:5]
	s_branch .LBB347_333
.LBB347_329:
	s_mov_b64 s[0:1], -1
                                        ; implicit-def: $vgpr4
	s_branch .LBB347_351
.LBB347_330:
	s_mov_b64 s[0:1], -1
                                        ; implicit-def: $vgpr4
	s_branch .LBB347_339
.LBB347_331:
	s_mov_b64 s[0:1], -1
                                        ; implicit-def: $vgpr4
	s_branch .LBB347_336
.LBB347_332:
	s_mov_b64 s[0:1], -1
                                        ; implicit-def: $vgpr4
.LBB347_333:
	s_andn2_b64 vcc, exec, s[0:1]
	s_cbranch_vccnz .LBB347_335
; %bb.334:
	global_load_dword v4, v[0:1], off
	s_waitcnt vmcnt(0)
	v_cvt_u32_f32_e32 v4, v4
.LBB347_335:
	s_mov_b64 s[0:1], 0
.LBB347_336:
	s_andn2_b64 vcc, exec, s[0:1]
	s_cbranch_vccnz .LBB347_338
; %bb.337:
	global_load_dword v4, v[0:1], off
	s_waitcnt vmcnt(0)
	v_cvt_f32_f16_e32 v4, v4
	v_cvt_u32_f32_e32 v4, v4
.LBB347_338:
	s_mov_b64 s[0:1], 0
.LBB347_339:
	s_andn2_b64 vcc, exec, s[0:1]
	s_cbranch_vccnz .LBB347_350
; %bb.340:
	s_cmp_lt_i32 s18, 6
	s_cbranch_scc1 .LBB347_343
; %bb.341:
	s_cmp_gt_i32 s18, 6
	s_cbranch_scc0 .LBB347_344
; %bb.342:
	global_load_dwordx2 v[4:5], v[0:1], off
	s_mov_b64 s[0:1], 0
	s_waitcnt vmcnt(0)
	v_cvt_u32_f64_e32 v4, v[4:5]
	s_branch .LBB347_345
.LBB347_343:
	s_mov_b64 s[0:1], -1
                                        ; implicit-def: $vgpr4
	s_branch .LBB347_348
.LBB347_344:
	s_mov_b64 s[0:1], -1
                                        ; implicit-def: $vgpr4
.LBB347_345:
	s_andn2_b64 vcc, exec, s[0:1]
	s_cbranch_vccnz .LBB347_347
; %bb.346:
	global_load_dword v4, v[0:1], off
	s_waitcnt vmcnt(0)
	v_cvt_u32_f32_e32 v4, v4
.LBB347_347:
	s_mov_b64 s[0:1], 0
.LBB347_348:
	s_andn2_b64 vcc, exec, s[0:1]
	s_cbranch_vccnz .LBB347_350
; %bb.349:
	global_load_ushort v4, v[0:1], off
	s_waitcnt vmcnt(0)
	v_cvt_f32_f16_e32 v4, v4
	v_cvt_u32_f32_e32 v4, v4
.LBB347_350:
	s_mov_b64 s[0:1], 0
.LBB347_351:
	s_andn2_b64 vcc, exec, s[0:1]
	s_cbranch_vccnz .LBB347_371
; %bb.352:
	s_cmp_lt_i32 s18, 2
	s_cbranch_scc1 .LBB347_356
; %bb.353:
	s_cmp_lt_i32 s18, 3
	s_cbranch_scc1 .LBB347_357
; %bb.354:
	s_cmp_gt_i32 s18, 3
	s_cbranch_scc0 .LBB347_358
; %bb.355:
	global_load_dword v4, v[0:1], off
	s_mov_b64 s[0:1], 0
	s_branch .LBB347_359
.LBB347_356:
	s_mov_b64 s[0:1], -1
                                        ; implicit-def: $vgpr4
	s_branch .LBB347_365
.LBB347_357:
	s_mov_b64 s[0:1], -1
                                        ; implicit-def: $vgpr4
	s_branch .LBB347_362
.LBB347_358:
	s_mov_b64 s[0:1], -1
                                        ; implicit-def: $vgpr4
.LBB347_359:
	s_andn2_b64 vcc, exec, s[0:1]
	s_cbranch_vccnz .LBB347_361
; %bb.360:
	global_load_dword v4, v[0:1], off
.LBB347_361:
	s_mov_b64 s[0:1], 0
.LBB347_362:
	s_andn2_b64 vcc, exec, s[0:1]
	s_cbranch_vccnz .LBB347_364
; %bb.363:
	global_load_sshort v4, v[0:1], off
.LBB347_364:
	s_mov_b64 s[0:1], 0
.LBB347_365:
	s_andn2_b64 vcc, exec, s[0:1]
	s_cbranch_vccnz .LBB347_371
; %bb.366:
	s_cmp_gt_i32 s18, 0
	s_cbranch_scc0 .LBB347_368
; %bb.367:
	global_load_sbyte v4, v[0:1], off
	s_mov_b64 s[0:1], 0
	s_branch .LBB347_369
.LBB347_368:
	s_mov_b64 s[0:1], -1
                                        ; implicit-def: $vgpr4
.LBB347_369:
	s_andn2_b64 vcc, exec, s[0:1]
	s_cbranch_vccnz .LBB347_371
; %bb.370:
	global_load_ubyte v4, v[0:1], off
.LBB347_371:
	s_branch .LBB347_21
.LBB347_372:
	s_mov_b64 s[0:1], 0
.LBB347_373:
                                        ; implicit-def: $vgpr2
	s_mov_b64 s[26:27], 0
.LBB347_374:
	s_and_b64 s[18:19], s[0:1], exec
	s_and_b64 s[20:21], s[20:21], exec
	;; [unrolled: 1-line block ×3, first 2 shown]
	s_orn2_b64 s[0:1], s[26:27], exec
.LBB347_375:
	s_or_b64 exec, exec, s[24:25]
	s_mov_b64 s[34:35], 0
	s_mov_b64 s[30:31], 0
                                        ; implicit-def: $sgpr58
                                        ; implicit-def: $vgpr0_vgpr1
                                        ; implicit-def: $vgpr3
	s_and_saveexec_b64 s[24:25], s[0:1]
	s_cbranch_execz .LBB347_384
; %bb.376:
	v_cmp_gt_i32_e32 vcc, s50, v2
	s_mov_b64 s[0:1], -1
	s_mov_b64 s[26:27], s[22:23]
	s_mov_b64 s[28:29], s[20:21]
	;; [unrolled: 1-line block ×3, first 2 shown]
	s_and_saveexec_b64 s[34:35], vcc
	s_cbranch_execz .LBB347_757
; %bb.377:
	v_mul_lo_u32 v0, v2, s13
	v_mov_b32_e32 v1, s11
	s_and_b32 s30, s57, 0xff
	s_cmp_lt_i32 s30, 11
	s_waitcnt vmcnt(0)
	v_ashrrev_i32_e32 v3, 31, v0
	v_add_co_u32_e32 v0, vcc, s10, v0
	v_addc_co_u32_e32 v1, vcc, v1, v3, vcc
	s_cbranch_scc1 .LBB347_387
; %bb.378:
	s_and_b32 s31, 0xffff, s30
	s_cmp_gt_i32 s31, 25
	s_cbranch_scc0 .LBB347_396
; %bb.379:
	s_cmp_gt_i32 s31, 28
	s_cbranch_scc0 .LBB347_398
; %bb.380:
	;; [unrolled: 3-line block ×4, first 2 shown]
	s_cmp_eq_u32 s31, 46
	s_mov_b64 s[28:29], 0
	s_cbranch_scc0 .LBB347_406
; %bb.383:
	global_load_dword v3, v[0:1], off
	s_mov_b64 s[26:27], 0
	s_waitcnt vmcnt(0)
	v_lshlrev_b32_e32 v3, 16, v3
	v_cvt_u32_f32_e32 v3, v3
	s_branch .LBB347_407
.LBB347_384:
	s_or_b64 exec, exec, s[24:25]
	s_mov_b64 s[24:25], 0
	s_and_saveexec_b64 s[0:1], s[22:23]
	s_cbranch_execnz .LBB347_1220
.LBB347_385:
	s_or_b64 exec, exec, s[0:1]
	s_and_saveexec_b64 s[0:1], s[28:29]
	s_xor_b64 s[0:1], exec, s[0:1]
	s_cbranch_execz .LBB347_1221
.LBB347_386:
	global_load_ubyte v3, v[0:1], off
	s_or_b64 s[30:31], s[30:31], exec
	s_waitcnt vmcnt(0)
	v_cmp_ne_u16_e32 vcc, 0, v3
	v_cndmask_b32_e64 v3, 0, 1, vcc
	s_or_b64 exec, exec, s[0:1]
	s_and_saveexec_b64 s[0:1], s[34:35]
	s_cbranch_execz .LBB347_1267
	s_branch .LBB347_1222
.LBB347_387:
	s_mov_b64 s[0:1], 0
                                        ; implicit-def: $vgpr3
	s_mov_b64 s[26:27], s[22:23]
	s_cbranch_execnz .LBB347_469
.LBB347_388:
	s_andn2_b64 vcc, exec, s[0:1]
	s_cbranch_vccnz .LBB347_517
.LBB347_389:
	v_mul_lo_u32 v0, v2, s14
	v_mov_b32_e32 v1, s3
	s_and_b32 s36, s56, 0xff
	s_cmp_lt_i32 s36, 11
	v_ashrrev_i32_e32 v4, 31, v0
	v_add_co_u32_e32 v0, vcc, s2, v0
	v_addc_co_u32_e32 v1, vcc, v1, v4, vcc
	s_cbranch_scc1 .LBB347_397
; %bb.390:
	s_and_b32 s37, 0xffff, s36
	s_cmp_gt_i32 s37, 25
	s_cbranch_scc0 .LBB347_399
; %bb.391:
	s_cmp_gt_i32 s37, 28
	s_cbranch_scc0 .LBB347_401
; %bb.392:
	;; [unrolled: 3-line block ×4, first 2 shown]
	s_cmp_eq_u32 s37, 46
	s_mov_b64 s[30:31], 0
	s_cbranch_scc0 .LBB347_521
; %bb.395:
	global_load_dword v4, v[0:1], off
	s_mov_b64 s[0:1], -1
	s_mov_b64 s[28:29], 0
	s_waitcnt vmcnt(0)
	v_lshlrev_b32_e32 v4, 16, v4
	v_cvt_u32_f32_e32 v4, v4
	s_branch .LBB347_522
.LBB347_396:
	s_mov_b64 s[28:29], -1
	s_mov_b64 s[0:1], 0
	s_mov_b64 s[26:27], s[22:23]
                                        ; implicit-def: $vgpr3
	s_branch .LBB347_435
.LBB347_397:
	s_mov_b64 s[30:31], -1
	s_mov_b64 s[0:1], 0
                                        ; implicit-def: $vgpr4
	s_mov_b64 s[28:29], s[20:21]
	s_branch .LBB347_583
.LBB347_398:
	s_mov_b64 s[28:29], -1
	s_mov_b64 s[0:1], 0
	s_mov_b64 s[26:27], s[22:23]
                                        ; implicit-def: $vgpr3
	s_branch .LBB347_418
.LBB347_399:
	s_mov_b64 s[30:31], -1
	s_mov_b64 s[0:1], 0
	s_mov_b64 s[28:29], s[20:21]
                                        ; implicit-def: $vgpr4
	s_branch .LBB347_549
.LBB347_400:
	s_mov_b64 s[28:29], -1
	s_mov_b64 s[0:1], 0
	s_mov_b64 s[26:27], s[22:23]
                                        ; implicit-def: $vgpr3
	s_branch .LBB347_413
.LBB347_401:
	s_mov_b64 s[30:31], -1
	s_mov_b64 s[0:1], 0
	s_mov_b64 s[28:29], s[20:21]
                                        ; implicit-def: $vgpr4
	s_branch .LBB347_532
.LBB347_402:
	s_mov_b64 s[28:29], -1
	s_mov_b64 s[0:1], 0
	s_mov_b64 s[26:27], s[22:23]
                                        ; implicit-def: $vgpr3
	s_branch .LBB347_407
.LBB347_403:
	s_mov_b64 s[30:31], -1
	s_mov_b64 s[0:1], 0
	s_mov_b64 s[28:29], s[20:21]
                                        ; implicit-def: $vgpr4
	s_branch .LBB347_527
.LBB347_404:
	s_andn2_saveexec_b64 s[34:35], s[34:35]
	s_cbranch_execz .LBB347_176
.LBB347_405:
	v_add_f32_e32 v3, 0x46000000, v4
	v_and_b32_e32 v3, 0xff, v3
	v_cmp_ne_u32_e32 vcc, 0, v3
	s_andn2_b64 s[30:31], s[30:31], exec
	s_and_b64 s[38:39], vcc, exec
	s_or_b64 s[30:31], s[30:31], s[38:39]
	s_or_b64 exec, exec, s[34:35]
	v_mov_b32_e32 v5, 0
	s_and_saveexec_b64 s[34:35], s[30:31]
	s_cbranch_execnz .LBB347_177
	s_branch .LBB347_178
.LBB347_406:
	s_mov_b64 s[26:27], -1
                                        ; implicit-def: $vgpr3
	s_mov_b64 s[0:1], 0
.LBB347_407:
	s_and_b64 vcc, exec, s[28:29]
	s_cbranch_vccz .LBB347_412
; %bb.408:
	s_cmp_eq_u32 s31, 44
	s_cbranch_scc0 .LBB347_411
; %bb.409:
	global_load_ubyte v3, v[0:1], off
	s_mov_b64 s[0:1], -1
	s_mov_b64 s[26:27], 0
	s_waitcnt vmcnt(0)
	v_lshlrev_b32_e32 v4, 23, v3
	v_cvt_u32_f32_e32 v4, v4
	v_cmp_ne_u32_e32 vcc, 0, v3
	v_cndmask_b32_e32 v3, 0, v4, vcc
	s_branch .LBB347_412
.LBB347_410:
	s_mov_b64 s[30:31], -1
	s_mov_b64 s[0:1], 0
	s_mov_b64 s[28:29], s[20:21]
                                        ; implicit-def: $vgpr4
	s_branch .LBB347_522
.LBB347_411:
	s_mov_b64 s[26:27], -1
                                        ; implicit-def: $vgpr3
.LBB347_412:
	s_mov_b64 s[28:29], 0
.LBB347_413:
	s_and_b64 vcc, exec, s[28:29]
	s_cbranch_vccz .LBB347_417
; %bb.414:
	s_cmp_eq_u32 s31, 29
	s_cbranch_scc0 .LBB347_416
; %bb.415:
	global_load_dword v3, v[0:1], off
	s_mov_b64 s[0:1], -1
	s_mov_b64 s[26:27], 0
	s_branch .LBB347_417
.LBB347_416:
	s_mov_b64 s[26:27], -1
                                        ; implicit-def: $vgpr3
.LBB347_417:
	s_mov_b64 s[28:29], 0
.LBB347_418:
	s_and_b64 vcc, exec, s[28:29]
	s_cbranch_vccz .LBB347_434
; %bb.419:
	s_cmp_lt_i32 s31, 27
	s_cbranch_scc1 .LBB347_422
; %bb.420:
	s_cmp_gt_i32 s31, 27
	s_cbranch_scc0 .LBB347_423
; %bb.421:
	global_load_dword v3, v[0:1], off
	s_mov_b64 s[0:1], 0
	s_branch .LBB347_424
.LBB347_422:
	s_mov_b64 s[0:1], -1
                                        ; implicit-def: $vgpr3
	s_branch .LBB347_427
.LBB347_423:
	s_mov_b64 s[0:1], -1
                                        ; implicit-def: $vgpr3
.LBB347_424:
	s_andn2_b64 vcc, exec, s[0:1]
	s_cbranch_vccnz .LBB347_426
; %bb.425:
	global_load_ushort v3, v[0:1], off
.LBB347_426:
	s_mov_b64 s[0:1], 0
.LBB347_427:
	s_andn2_b64 vcc, exec, s[0:1]
	s_cbranch_vccnz .LBB347_433
; %bb.428:
	global_load_ubyte v4, v[0:1], off
	s_movk_i32 s0, 0x7f
	s_mov_b64 s[28:29], 0
	s_waitcnt vmcnt(0)
	v_cmp_lt_i16_e32 vcc, s0, v4
	s_and_saveexec_b64 s[0:1], vcc
	s_xor_b64 s[0:1], exec, s[0:1]
	s_cbranch_execz .LBB347_445
; %bb.429:
	s_movk_i32 s28, 0x80
	v_cmp_ne_u16_e32 vcc, s28, v4
	s_and_b64 s[28:29], vcc, exec
	s_andn2_saveexec_b64 s[0:1], s[0:1]
	s_cbranch_execnz .LBB347_446
.LBB347_430:
	s_or_b64 exec, exec, s[0:1]
	v_mov_b32_e32 v3, 0
	s_and_saveexec_b64 s[0:1], s[28:29]
	s_cbranch_execz .LBB347_432
.LBB347_431:
	v_lshlrev_b32_e32 v3, 24, v4
	v_and_b32_e32 v4, 0xffff, v4
	v_and_b32_e32 v5, 7, v4
	v_ffbh_u32_e32 v7, v5
	v_min_u32_e32 v7, 32, v7
	v_subrev_u32_e32 v8, 28, v7
	v_bfe_u32 v6, v4, 3, 4
	v_lshlrev_b32_e32 v4, v8, v4
	v_sub_u32_e32 v7, 29, v7
	v_and_b32_e32 v4, 7, v4
	v_cmp_eq_u32_e32 vcc, 0, v6
	v_cndmask_b32_e32 v6, v6, v7, vcc
	v_cndmask_b32_e32 v4, v5, v4, vcc
	v_mov_b32_e32 v5, 0x3b800000
	v_lshlrev_b32_e32 v4, 20, v4
	v_and_b32_e32 v3, 0x80000000, v3
	v_lshl_add_u32 v5, v6, 23, v5
	v_or3_b32 v3, v3, v5, v4
	v_cvt_u32_f32_e32 v3, v3
.LBB347_432:
	s_or_b64 exec, exec, s[0:1]
.LBB347_433:
	s_mov_b64 s[0:1], -1
.LBB347_434:
	s_mov_b64 s[28:29], 0
.LBB347_435:
	s_and_b64 vcc, exec, s[28:29]
	s_cbranch_vccz .LBB347_468
; %bb.436:
	s_cmp_gt_i32 s31, 22
	s_cbranch_scc0 .LBB347_444
; %bb.437:
	s_cmp_lt_i32 s31, 24
	s_cbranch_scc1 .LBB347_447
; %bb.438:
	s_cmp_gt_i32 s31, 24
	s_cbranch_scc0 .LBB347_448
; %bb.439:
	global_load_ubyte v4, v[0:1], off
	s_movk_i32 s0, 0x7f
	s_mov_b64 s[28:29], 0
	s_waitcnt vmcnt(0)
	v_cmp_lt_i16_e32 vcc, s0, v4
	s_and_saveexec_b64 s[0:1], vcc
	s_xor_b64 s[0:1], exec, s[0:1]
	s_cbranch_execz .LBB347_460
; %bb.440:
	s_movk_i32 s28, 0x80
	v_cmp_ne_u16_e32 vcc, s28, v4
	s_and_b64 s[28:29], vcc, exec
	s_andn2_saveexec_b64 s[0:1], s[0:1]
	s_cbranch_execnz .LBB347_461
.LBB347_441:
	s_or_b64 exec, exec, s[0:1]
	v_mov_b32_e32 v3, 0
	s_and_saveexec_b64 s[0:1], s[28:29]
	s_cbranch_execz .LBB347_443
.LBB347_442:
	v_lshlrev_b32_e32 v3, 24, v4
	v_and_b32_e32 v4, 0xffff, v4
	v_and_b32_e32 v5, 3, v4
	v_ffbh_u32_e32 v7, v5
	v_min_u32_e32 v7, 32, v7
	v_subrev_u32_e32 v8, 29, v7
	v_bfe_u32 v6, v4, 2, 5
	v_lshlrev_b32_e32 v4, v8, v4
	v_sub_u32_e32 v7, 30, v7
	v_and_b32_e32 v4, 3, v4
	v_cmp_eq_u32_e32 vcc, 0, v6
	v_cndmask_b32_e32 v6, v6, v7, vcc
	v_cndmask_b32_e32 v4, v5, v4, vcc
	v_mov_b32_e32 v5, 0x37800000
	v_lshlrev_b32_e32 v4, 21, v4
	v_and_b32_e32 v3, 0x80000000, v3
	v_lshl_add_u32 v5, v6, 23, v5
	v_or3_b32 v3, v3, v5, v4
	v_cvt_u32_f32_e32 v3, v3
.LBB347_443:
	s_or_b64 exec, exec, s[0:1]
	s_mov_b64 s[0:1], 0
	s_branch .LBB347_449
.LBB347_444:
	s_mov_b64 s[28:29], -1
                                        ; implicit-def: $vgpr3
	s_branch .LBB347_455
.LBB347_445:
	s_andn2_saveexec_b64 s[0:1], s[0:1]
	s_cbranch_execz .LBB347_430
.LBB347_446:
	v_cmp_ne_u16_e32 vcc, 0, v4
	s_andn2_b64 s[28:29], s[28:29], exec
	s_and_b64 s[36:37], vcc, exec
	s_or_b64 s[28:29], s[28:29], s[36:37]
	s_or_b64 exec, exec, s[0:1]
	v_mov_b32_e32 v3, 0
	s_and_saveexec_b64 s[0:1], s[28:29]
	s_cbranch_execnz .LBB347_431
	s_branch .LBB347_432
.LBB347_447:
	s_mov_b64 s[0:1], -1
                                        ; implicit-def: $vgpr3
	s_branch .LBB347_452
.LBB347_448:
	s_mov_b64 s[0:1], -1
                                        ; implicit-def: $vgpr3
.LBB347_449:
	s_and_b64 vcc, exec, s[0:1]
	s_cbranch_vccz .LBB347_451
; %bb.450:
	global_load_ubyte v3, v[0:1], off
	s_mov_b32 s0, 0x7f800000
	s_waitcnt vmcnt(0)
	v_lshlrev_b32_e32 v3, 24, v3
	v_and_b32_e32 v4, 0x7f000000, v3
	v_ffbh_u32_e32 v5, v4
	v_min_u32_e32 v5, 32, v5
	v_sub_u32_e64 v5, v5, 4 clamp
	v_lshlrev_b32_e32 v7, v5, v4
	v_lshlrev_b32_e32 v5, 23, v5
	v_lshrrev_b32_e32 v7, 4, v7
	v_add_u32_e32 v6, 0x1000000, v4
	v_sub_u32_e32 v5, v7, v5
	v_ashrrev_i32_e32 v6, 8, v6
	v_add_u32_e32 v5, 0x3c000000, v5
	v_and_or_b32 v5, v6, s0, v5
	v_cmp_ne_u32_e32 vcc, 0, v4
	v_cndmask_b32_e32 v4, 0, v5, vcc
	s_brev_b32 s0, 1
	v_and_or_b32 v3, v3, s0, v4
	v_cvt_u32_f32_e32 v3, v3
.LBB347_451:
	s_mov_b64 s[0:1], 0
.LBB347_452:
	s_andn2_b64 vcc, exec, s[0:1]
	s_cbranch_vccnz .LBB347_454
; %bb.453:
	global_load_ubyte v3, v[0:1], off
	s_movk_i32 s0, 0x7f00
	s_brev_b32 s1, 16
	s_waitcnt vmcnt(0)
	v_lshlrev_b16_e32 v4, 8, v3
	v_lshlrev_b32_e32 v3, 25, v3
	v_lshrrev_b32_e32 v5, 4, v3
	v_and_or_b32 v6, v4, s0, 0.5
	v_or_b32_e32 v5, 0x70000000, v5
	v_add_f32_e32 v6, -0.5, v6
	v_mul_f32_e32 v5, 0x7800000, v5
	v_cmp_gt_u32_e32 vcc, s1, v3
	v_bfe_i32 v4, v4, 0, 16
	v_cndmask_b32_e32 v3, v5, v6, vcc
	s_brev_b32 s0, 1
	v_and_or_b32 v3, v4, s0, v3
	v_cvt_u32_f32_e32 v3, v3
.LBB347_454:
	s_mov_b64 s[28:29], 0
	s_mov_b64 s[0:1], -1
.LBB347_455:
	s_andn2_b64 vcc, exec, s[28:29]
	s_cbranch_vccnz .LBB347_468
; %bb.456:
	s_cmp_gt_i32 s31, 14
	s_cbranch_scc0 .LBB347_459
; %bb.457:
	s_cmp_eq_u32 s31, 15
	s_cbranch_scc0 .LBB347_462
; %bb.458:
	global_load_ushort v3, v[0:1], off
	s_mov_b64 s[0:1], -1
	s_mov_b64 s[26:27], 0
	s_waitcnt vmcnt(0)
	v_lshlrev_b32_e32 v3, 16, v3
	v_cvt_u32_f32_e32 v3, v3
	s_branch .LBB347_463
.LBB347_459:
	s_mov_b64 s[28:29], -1
                                        ; implicit-def: $vgpr3
	s_branch .LBB347_464
.LBB347_460:
	s_andn2_saveexec_b64 s[0:1], s[0:1]
	s_cbranch_execz .LBB347_441
.LBB347_461:
	v_cmp_ne_u16_e32 vcc, 0, v4
	s_andn2_b64 s[28:29], s[28:29], exec
	s_and_b64 s[36:37], vcc, exec
	s_or_b64 s[28:29], s[28:29], s[36:37]
	s_or_b64 exec, exec, s[0:1]
	v_mov_b32_e32 v3, 0
	s_and_saveexec_b64 s[0:1], s[28:29]
	s_cbranch_execnz .LBB347_442
	s_branch .LBB347_443
.LBB347_462:
	s_mov_b64 s[26:27], -1
                                        ; implicit-def: $vgpr3
.LBB347_463:
	s_mov_b64 s[28:29], 0
.LBB347_464:
	s_and_b64 vcc, exec, s[28:29]
	s_cbranch_vccz .LBB347_468
; %bb.465:
	s_cmp_eq_u32 s31, 11
	s_cbranch_scc0 .LBB347_467
; %bb.466:
	global_load_ubyte v3, v[0:1], off
	s_mov_b64 s[0:1], -1
	s_mov_b64 s[26:27], 0
	s_waitcnt vmcnt(0)
	v_cmp_ne_u16_e32 vcc, 0, v3
	v_cndmask_b32_e64 v3, 0, 1, vcc
	s_branch .LBB347_468
.LBB347_467:
	s_mov_b64 s[26:27], -1
                                        ; implicit-def: $vgpr3
.LBB347_468:
	s_branch .LBB347_388
.LBB347_469:
	s_and_b32 s28, 0xffff, s30
	s_cmp_lt_i32 s28, 5
	s_cbranch_scc1 .LBB347_474
; %bb.470:
	s_cmp_lt_i32 s28, 8
	s_cbranch_scc1 .LBB347_475
; %bb.471:
	;; [unrolled: 3-line block ×3, first 2 shown]
	s_cmp_gt_i32 s28, 9
	s_cbranch_scc0 .LBB347_477
; %bb.473:
	global_load_dwordx2 v[3:4], v[0:1], off
	s_mov_b64 s[0:1], 0
	s_waitcnt vmcnt(0)
	v_cvt_u32_f64_e32 v3, v[3:4]
	s_branch .LBB347_478
.LBB347_474:
	s_mov_b64 s[0:1], -1
                                        ; implicit-def: $vgpr3
	s_branch .LBB347_496
.LBB347_475:
	s_mov_b64 s[0:1], -1
                                        ; implicit-def: $vgpr3
	s_branch .LBB347_484
.LBB347_476:
	s_mov_b64 s[0:1], -1
                                        ; implicit-def: $vgpr3
	s_branch .LBB347_481
.LBB347_477:
	s_mov_b64 s[0:1], -1
                                        ; implicit-def: $vgpr3
.LBB347_478:
	s_andn2_b64 vcc, exec, s[0:1]
	s_cbranch_vccnz .LBB347_480
; %bb.479:
	global_load_dword v3, v[0:1], off
	s_waitcnt vmcnt(0)
	v_cvt_u32_f32_e32 v3, v3
.LBB347_480:
	s_mov_b64 s[0:1], 0
.LBB347_481:
	s_andn2_b64 vcc, exec, s[0:1]
	s_cbranch_vccnz .LBB347_483
; %bb.482:
	global_load_dword v3, v[0:1], off
	s_waitcnt vmcnt(0)
	v_cvt_f32_f16_e32 v3, v3
	v_cvt_u32_f32_e32 v3, v3
.LBB347_483:
	s_mov_b64 s[0:1], 0
.LBB347_484:
	s_andn2_b64 vcc, exec, s[0:1]
	s_cbranch_vccnz .LBB347_495
; %bb.485:
	s_cmp_lt_i32 s28, 6
	s_cbranch_scc1 .LBB347_488
; %bb.486:
	s_cmp_gt_i32 s28, 6
	s_cbranch_scc0 .LBB347_489
; %bb.487:
	global_load_dwordx2 v[3:4], v[0:1], off
	s_mov_b64 s[0:1], 0
	s_waitcnt vmcnt(0)
	v_cvt_u32_f64_e32 v3, v[3:4]
	s_branch .LBB347_490
.LBB347_488:
	s_mov_b64 s[0:1], -1
                                        ; implicit-def: $vgpr3
	s_branch .LBB347_493
.LBB347_489:
	s_mov_b64 s[0:1], -1
                                        ; implicit-def: $vgpr3
.LBB347_490:
	s_andn2_b64 vcc, exec, s[0:1]
	s_cbranch_vccnz .LBB347_492
; %bb.491:
	global_load_dword v3, v[0:1], off
	s_waitcnt vmcnt(0)
	v_cvt_u32_f32_e32 v3, v3
.LBB347_492:
	s_mov_b64 s[0:1], 0
.LBB347_493:
	s_andn2_b64 vcc, exec, s[0:1]
	s_cbranch_vccnz .LBB347_495
; %bb.494:
	global_load_ushort v3, v[0:1], off
	s_waitcnt vmcnt(0)
	v_cvt_f32_f16_e32 v3, v3
	v_cvt_u32_f32_e32 v3, v3
.LBB347_495:
	s_mov_b64 s[0:1], 0
.LBB347_496:
	s_andn2_b64 vcc, exec, s[0:1]
	s_cbranch_vccnz .LBB347_516
; %bb.497:
	s_cmp_lt_i32 s28, 2
	s_cbranch_scc1 .LBB347_501
; %bb.498:
	s_cmp_lt_i32 s28, 3
	s_cbranch_scc1 .LBB347_502
; %bb.499:
	s_cmp_gt_i32 s28, 3
	s_cbranch_scc0 .LBB347_503
; %bb.500:
	global_load_dword v3, v[0:1], off
	s_mov_b64 s[0:1], 0
	s_branch .LBB347_504
.LBB347_501:
	s_mov_b64 s[0:1], -1
                                        ; implicit-def: $vgpr3
	s_branch .LBB347_510
.LBB347_502:
	s_mov_b64 s[0:1], -1
                                        ; implicit-def: $vgpr3
	s_branch .LBB347_507
.LBB347_503:
	s_mov_b64 s[0:1], -1
                                        ; implicit-def: $vgpr3
.LBB347_504:
	s_andn2_b64 vcc, exec, s[0:1]
	s_cbranch_vccnz .LBB347_506
; %bb.505:
	global_load_dword v3, v[0:1], off
.LBB347_506:
	s_mov_b64 s[0:1], 0
.LBB347_507:
	s_andn2_b64 vcc, exec, s[0:1]
	s_cbranch_vccnz .LBB347_509
; %bb.508:
	global_load_sshort v3, v[0:1], off
.LBB347_509:
	s_mov_b64 s[0:1], 0
.LBB347_510:
	s_andn2_b64 vcc, exec, s[0:1]
	s_cbranch_vccnz .LBB347_516
; %bb.511:
	s_cmp_gt_i32 s28, 0
	s_cbranch_scc0 .LBB347_513
; %bb.512:
	global_load_sbyte v3, v[0:1], off
	s_mov_b64 s[0:1], 0
	s_branch .LBB347_514
.LBB347_513:
	s_mov_b64 s[0:1], -1
                                        ; implicit-def: $vgpr3
.LBB347_514:
	s_andn2_b64 vcc, exec, s[0:1]
	s_cbranch_vccnz .LBB347_516
; %bb.515:
	global_load_ubyte v3, v[0:1], off
.LBB347_516:
	s_branch .LBB347_389
.LBB347_517:
	s_mov_b64 s[36:37], 0
	s_mov_b64 s[0:1], s[18:19]
	;; [unrolled: 1-line block ×3, first 2 shown]
.LBB347_518:
                                        ; implicit-def: $vgpr2
	s_branch .LBB347_756
.LBB347_519:
	s_andn2_saveexec_b64 s[34:35], s[34:35]
	s_cbranch_execz .LBB347_189
.LBB347_520:
	v_add_f32_e32 v3, 0x42800000, v4
	v_and_b32_e32 v3, 0xff, v3
	v_cmp_ne_u32_e32 vcc, 0, v3
	s_andn2_b64 s[30:31], s[30:31], exec
	s_and_b64 s[38:39], vcc, exec
	s_or_b64 s[30:31], s[30:31], s[38:39]
	s_or_b64 exec, exec, s[34:35]
	v_mov_b32_e32 v5, 0
	s_and_saveexec_b64 s[34:35], s[30:31]
	s_cbranch_execnz .LBB347_190
	s_branch .LBB347_191
.LBB347_521:
	s_mov_b64 s[28:29], -1
                                        ; implicit-def: $vgpr4
	s_mov_b64 s[0:1], 0
.LBB347_522:
	s_and_b64 vcc, exec, s[30:31]
	s_cbranch_vccz .LBB347_526
; %bb.523:
	s_cmp_eq_u32 s37, 44
	s_cbranch_scc0 .LBB347_525
; %bb.524:
	global_load_ubyte v4, v[0:1], off
	s_mov_b64 s[0:1], -1
	s_mov_b64 s[28:29], 0
	s_waitcnt vmcnt(0)
	v_lshlrev_b32_e32 v5, 23, v4
	v_cvt_u32_f32_e32 v5, v5
	v_cmp_ne_u32_e32 vcc, 0, v4
	v_cndmask_b32_e32 v4, 0, v5, vcc
	s_branch .LBB347_526
.LBB347_525:
	s_mov_b64 s[28:29], -1
                                        ; implicit-def: $vgpr4
.LBB347_526:
	s_mov_b64 s[30:31], 0
.LBB347_527:
	s_and_b64 vcc, exec, s[30:31]
	s_cbranch_vccz .LBB347_531
; %bb.528:
	s_cmp_eq_u32 s37, 29
	s_cbranch_scc0 .LBB347_530
; %bb.529:
	global_load_dword v4, v[0:1], off
	s_mov_b64 s[0:1], -1
	s_mov_b64 s[28:29], 0
	s_branch .LBB347_531
.LBB347_530:
	s_mov_b64 s[28:29], -1
                                        ; implicit-def: $vgpr4
.LBB347_531:
	s_mov_b64 s[30:31], 0
.LBB347_532:
	s_and_b64 vcc, exec, s[30:31]
	s_cbranch_vccz .LBB347_548
; %bb.533:
	s_cmp_lt_i32 s37, 27
	s_cbranch_scc1 .LBB347_536
; %bb.534:
	s_cmp_gt_i32 s37, 27
	s_cbranch_scc0 .LBB347_537
; %bb.535:
	global_load_dword v4, v[0:1], off
	s_mov_b64 s[0:1], 0
	s_branch .LBB347_538
.LBB347_536:
	s_mov_b64 s[0:1], -1
                                        ; implicit-def: $vgpr4
	s_branch .LBB347_541
.LBB347_537:
	s_mov_b64 s[0:1], -1
                                        ; implicit-def: $vgpr4
.LBB347_538:
	s_andn2_b64 vcc, exec, s[0:1]
	s_cbranch_vccnz .LBB347_540
; %bb.539:
	global_load_ushort v4, v[0:1], off
.LBB347_540:
	s_mov_b64 s[0:1], 0
.LBB347_541:
	s_andn2_b64 vcc, exec, s[0:1]
	s_cbranch_vccnz .LBB347_547
; %bb.542:
	global_load_ubyte v5, v[0:1], off
	s_movk_i32 s0, 0x7f
	s_mov_b64 s[30:31], 0
	s_waitcnt vmcnt(0)
	v_cmp_lt_i16_e32 vcc, s0, v5
	s_and_saveexec_b64 s[0:1], vcc
	s_xor_b64 s[0:1], exec, s[0:1]
	s_cbranch_execz .LBB347_559
; %bb.543:
	s_movk_i32 s30, 0x80
	v_cmp_ne_u16_e32 vcc, s30, v5
	s_and_b64 s[30:31], vcc, exec
	s_andn2_saveexec_b64 s[0:1], s[0:1]
	s_cbranch_execnz .LBB347_560
.LBB347_544:
	s_or_b64 exec, exec, s[0:1]
	v_mov_b32_e32 v4, 0
	s_and_saveexec_b64 s[0:1], s[30:31]
	s_cbranch_execz .LBB347_546
.LBB347_545:
	v_lshlrev_b32_e32 v4, 24, v5
	v_and_b32_e32 v5, 0xffff, v5
	v_and_b32_e32 v6, 7, v5
	v_ffbh_u32_e32 v8, v6
	v_min_u32_e32 v8, 32, v8
	v_subrev_u32_e32 v9, 28, v8
	v_bfe_u32 v7, v5, 3, 4
	v_lshlrev_b32_e32 v5, v9, v5
	v_sub_u32_e32 v8, 29, v8
	v_and_b32_e32 v5, 7, v5
	v_cmp_eq_u32_e32 vcc, 0, v7
	v_cndmask_b32_e32 v7, v7, v8, vcc
	v_cndmask_b32_e32 v5, v6, v5, vcc
	v_mov_b32_e32 v6, 0x3b800000
	v_lshlrev_b32_e32 v5, 20, v5
	v_and_b32_e32 v4, 0x80000000, v4
	v_lshl_add_u32 v6, v7, 23, v6
	v_or3_b32 v4, v4, v6, v5
	v_cvt_u32_f32_e32 v4, v4
.LBB347_546:
	s_or_b64 exec, exec, s[0:1]
.LBB347_547:
	s_mov_b64 s[0:1], -1
.LBB347_548:
	s_mov_b64 s[30:31], 0
.LBB347_549:
	s_and_b64 vcc, exec, s[30:31]
	s_cbranch_vccz .LBB347_582
; %bb.550:
	s_cmp_gt_i32 s37, 22
	s_cbranch_scc0 .LBB347_558
; %bb.551:
	s_cmp_lt_i32 s37, 24
	s_cbranch_scc1 .LBB347_561
; %bb.552:
	s_cmp_gt_i32 s37, 24
	s_cbranch_scc0 .LBB347_562
; %bb.553:
	global_load_ubyte v5, v[0:1], off
	s_movk_i32 s0, 0x7f
	s_mov_b64 s[30:31], 0
	s_waitcnt vmcnt(0)
	v_cmp_lt_i16_e32 vcc, s0, v5
	s_and_saveexec_b64 s[0:1], vcc
	s_xor_b64 s[0:1], exec, s[0:1]
	s_cbranch_execz .LBB347_574
; %bb.554:
	s_movk_i32 s30, 0x80
	v_cmp_ne_u16_e32 vcc, s30, v5
	s_and_b64 s[30:31], vcc, exec
	s_andn2_saveexec_b64 s[0:1], s[0:1]
	s_cbranch_execnz .LBB347_575
.LBB347_555:
	s_or_b64 exec, exec, s[0:1]
	v_mov_b32_e32 v4, 0
	s_and_saveexec_b64 s[0:1], s[30:31]
	s_cbranch_execz .LBB347_557
.LBB347_556:
	v_lshlrev_b32_e32 v4, 24, v5
	v_and_b32_e32 v5, 0xffff, v5
	v_and_b32_e32 v6, 3, v5
	v_ffbh_u32_e32 v8, v6
	v_min_u32_e32 v8, 32, v8
	v_subrev_u32_e32 v9, 29, v8
	v_bfe_u32 v7, v5, 2, 5
	v_lshlrev_b32_e32 v5, v9, v5
	v_sub_u32_e32 v8, 30, v8
	v_and_b32_e32 v5, 3, v5
	v_cmp_eq_u32_e32 vcc, 0, v7
	v_cndmask_b32_e32 v7, v7, v8, vcc
	v_cndmask_b32_e32 v5, v6, v5, vcc
	v_mov_b32_e32 v6, 0x37800000
	v_lshlrev_b32_e32 v5, 21, v5
	v_and_b32_e32 v4, 0x80000000, v4
	v_lshl_add_u32 v6, v7, 23, v6
	v_or3_b32 v4, v4, v6, v5
	v_cvt_u32_f32_e32 v4, v4
.LBB347_557:
	s_or_b64 exec, exec, s[0:1]
	s_mov_b64 s[0:1], 0
	s_branch .LBB347_563
.LBB347_558:
	s_mov_b64 s[30:31], -1
                                        ; implicit-def: $vgpr4
	s_branch .LBB347_569
.LBB347_559:
	s_andn2_saveexec_b64 s[0:1], s[0:1]
	s_cbranch_execz .LBB347_544
.LBB347_560:
	v_cmp_ne_u16_e32 vcc, 0, v5
	s_andn2_b64 s[30:31], s[30:31], exec
	s_and_b64 s[38:39], vcc, exec
	s_or_b64 s[30:31], s[30:31], s[38:39]
	s_or_b64 exec, exec, s[0:1]
	v_mov_b32_e32 v4, 0
	s_and_saveexec_b64 s[0:1], s[30:31]
	s_cbranch_execnz .LBB347_545
	s_branch .LBB347_546
.LBB347_561:
	s_mov_b64 s[0:1], -1
                                        ; implicit-def: $vgpr4
	s_branch .LBB347_566
.LBB347_562:
	s_mov_b64 s[0:1], -1
                                        ; implicit-def: $vgpr4
.LBB347_563:
	s_and_b64 vcc, exec, s[0:1]
	s_cbranch_vccz .LBB347_565
; %bb.564:
	global_load_ubyte v4, v[0:1], off
	s_mov_b32 s0, 0x7f800000
	s_waitcnt vmcnt(0)
	v_lshlrev_b32_e32 v4, 24, v4
	v_and_b32_e32 v5, 0x7f000000, v4
	v_ffbh_u32_e32 v6, v5
	v_min_u32_e32 v6, 32, v6
	v_sub_u32_e64 v6, v6, 4 clamp
	v_lshlrev_b32_e32 v8, v6, v5
	v_lshlrev_b32_e32 v6, 23, v6
	v_lshrrev_b32_e32 v8, 4, v8
	v_add_u32_e32 v7, 0x1000000, v5
	v_sub_u32_e32 v6, v8, v6
	v_ashrrev_i32_e32 v7, 8, v7
	v_add_u32_e32 v6, 0x3c000000, v6
	v_and_or_b32 v6, v7, s0, v6
	v_cmp_ne_u32_e32 vcc, 0, v5
	v_cndmask_b32_e32 v5, 0, v6, vcc
	s_brev_b32 s0, 1
	v_and_or_b32 v4, v4, s0, v5
	v_cvt_u32_f32_e32 v4, v4
.LBB347_565:
	s_mov_b64 s[0:1], 0
.LBB347_566:
	s_andn2_b64 vcc, exec, s[0:1]
	s_cbranch_vccnz .LBB347_568
; %bb.567:
	global_load_ubyte v4, v[0:1], off
	s_movk_i32 s0, 0x7f00
	s_brev_b32 s1, 16
	s_waitcnt vmcnt(0)
	v_lshlrev_b16_e32 v5, 8, v4
	v_lshlrev_b32_e32 v4, 25, v4
	v_lshrrev_b32_e32 v6, 4, v4
	v_and_or_b32 v7, v5, s0, 0.5
	v_or_b32_e32 v6, 0x70000000, v6
	v_add_f32_e32 v7, -0.5, v7
	v_mul_f32_e32 v6, 0x7800000, v6
	v_cmp_gt_u32_e32 vcc, s1, v4
	v_bfe_i32 v5, v5, 0, 16
	v_cndmask_b32_e32 v4, v6, v7, vcc
	s_brev_b32 s0, 1
	v_and_or_b32 v4, v5, s0, v4
	v_cvt_u32_f32_e32 v4, v4
.LBB347_568:
	s_mov_b64 s[30:31], 0
	s_mov_b64 s[0:1], -1
.LBB347_569:
	s_andn2_b64 vcc, exec, s[30:31]
	s_cbranch_vccnz .LBB347_582
; %bb.570:
	s_cmp_gt_i32 s37, 14
	s_cbranch_scc0 .LBB347_573
; %bb.571:
	s_cmp_eq_u32 s37, 15
	s_cbranch_scc0 .LBB347_576
; %bb.572:
	global_load_ushort v4, v[0:1], off
	s_mov_b64 s[0:1], -1
	s_mov_b64 s[28:29], 0
	s_waitcnt vmcnt(0)
	v_lshlrev_b32_e32 v4, 16, v4
	v_cvt_u32_f32_e32 v4, v4
	s_branch .LBB347_577
.LBB347_573:
	s_mov_b64 s[30:31], -1
                                        ; implicit-def: $vgpr4
	s_branch .LBB347_578
.LBB347_574:
	s_andn2_saveexec_b64 s[0:1], s[0:1]
	s_cbranch_execz .LBB347_555
.LBB347_575:
	v_cmp_ne_u16_e32 vcc, 0, v5
	s_andn2_b64 s[30:31], s[30:31], exec
	s_and_b64 s[38:39], vcc, exec
	s_or_b64 s[30:31], s[30:31], s[38:39]
	s_or_b64 exec, exec, s[0:1]
	v_mov_b32_e32 v4, 0
	s_and_saveexec_b64 s[0:1], s[30:31]
	s_cbranch_execnz .LBB347_556
	s_branch .LBB347_557
.LBB347_576:
	s_mov_b64 s[28:29], -1
                                        ; implicit-def: $vgpr4
.LBB347_577:
	s_mov_b64 s[30:31], 0
.LBB347_578:
	s_and_b64 vcc, exec, s[30:31]
	s_cbranch_vccz .LBB347_582
; %bb.579:
	s_cmp_eq_u32 s37, 11
	s_cbranch_scc0 .LBB347_581
; %bb.580:
	global_load_ubyte v4, v[0:1], off
	s_mov_b64 s[0:1], -1
	s_mov_b64 s[28:29], 0
	s_waitcnt vmcnt(0)
	v_cmp_ne_u16_e32 vcc, 0, v4
	v_cndmask_b32_e64 v4, 0, 1, vcc
	s_branch .LBB347_582
.LBB347_581:
	s_mov_b64 s[28:29], -1
                                        ; implicit-def: $vgpr4
.LBB347_582:
	s_mov_b64 s[30:31], 0
.LBB347_583:
	s_and_b64 vcc, exec, s[30:31]
	s_cbranch_vccz .LBB347_632
; %bb.584:
	s_and_b32 s30, 0xffff, s36
	s_cmp_lt_i32 s30, 5
	s_cbranch_scc1 .LBB347_589
; %bb.585:
	s_cmp_lt_i32 s30, 8
	s_cbranch_scc1 .LBB347_590
; %bb.586:
	;; [unrolled: 3-line block ×3, first 2 shown]
	s_cmp_gt_i32 s30, 9
	s_cbranch_scc0 .LBB347_592
; %bb.588:
	global_load_dwordx2 v[4:5], v[0:1], off
	s_mov_b64 s[0:1], 0
	s_waitcnt vmcnt(0)
	v_cvt_u32_f64_e32 v4, v[4:5]
	s_branch .LBB347_593
.LBB347_589:
	s_mov_b64 s[0:1], -1
                                        ; implicit-def: $vgpr4
	s_branch .LBB347_611
.LBB347_590:
	s_mov_b64 s[0:1], -1
                                        ; implicit-def: $vgpr4
	s_branch .LBB347_599
.LBB347_591:
	s_mov_b64 s[0:1], -1
                                        ; implicit-def: $vgpr4
	s_branch .LBB347_596
.LBB347_592:
	s_mov_b64 s[0:1], -1
                                        ; implicit-def: $vgpr4
.LBB347_593:
	s_andn2_b64 vcc, exec, s[0:1]
	s_cbranch_vccnz .LBB347_595
; %bb.594:
	global_load_dword v4, v[0:1], off
	s_waitcnt vmcnt(0)
	v_cvt_u32_f32_e32 v4, v4
.LBB347_595:
	s_mov_b64 s[0:1], 0
.LBB347_596:
	s_andn2_b64 vcc, exec, s[0:1]
	s_cbranch_vccnz .LBB347_598
; %bb.597:
	global_load_dword v4, v[0:1], off
	s_waitcnt vmcnt(0)
	v_cvt_f32_f16_e32 v4, v4
	v_cvt_u32_f32_e32 v4, v4
.LBB347_598:
	s_mov_b64 s[0:1], 0
.LBB347_599:
	s_andn2_b64 vcc, exec, s[0:1]
	s_cbranch_vccnz .LBB347_610
; %bb.600:
	s_cmp_lt_i32 s30, 6
	s_cbranch_scc1 .LBB347_603
; %bb.601:
	s_cmp_gt_i32 s30, 6
	s_cbranch_scc0 .LBB347_604
; %bb.602:
	global_load_dwordx2 v[4:5], v[0:1], off
	s_mov_b64 s[0:1], 0
	s_waitcnt vmcnt(0)
	v_cvt_u32_f64_e32 v4, v[4:5]
	s_branch .LBB347_605
.LBB347_603:
	s_mov_b64 s[0:1], -1
                                        ; implicit-def: $vgpr4
	s_branch .LBB347_608
.LBB347_604:
	s_mov_b64 s[0:1], -1
                                        ; implicit-def: $vgpr4
.LBB347_605:
	s_andn2_b64 vcc, exec, s[0:1]
	s_cbranch_vccnz .LBB347_607
; %bb.606:
	global_load_dword v4, v[0:1], off
	s_waitcnt vmcnt(0)
	v_cvt_u32_f32_e32 v4, v4
.LBB347_607:
	s_mov_b64 s[0:1], 0
.LBB347_608:
	s_andn2_b64 vcc, exec, s[0:1]
	s_cbranch_vccnz .LBB347_610
; %bb.609:
	global_load_ushort v4, v[0:1], off
	s_waitcnt vmcnt(0)
	v_cvt_f32_f16_e32 v4, v4
	v_cvt_u32_f32_e32 v4, v4
.LBB347_610:
	s_mov_b64 s[0:1], 0
.LBB347_611:
	s_andn2_b64 vcc, exec, s[0:1]
	s_cbranch_vccnz .LBB347_631
; %bb.612:
	s_cmp_lt_i32 s30, 2
	s_cbranch_scc1 .LBB347_616
; %bb.613:
	s_cmp_lt_i32 s30, 3
	s_cbranch_scc1 .LBB347_617
; %bb.614:
	s_cmp_gt_i32 s30, 3
	s_cbranch_scc0 .LBB347_618
; %bb.615:
	global_load_dword v4, v[0:1], off
	s_mov_b64 s[0:1], 0
	s_branch .LBB347_619
.LBB347_616:
	s_mov_b64 s[0:1], -1
                                        ; implicit-def: $vgpr4
	s_branch .LBB347_625
.LBB347_617:
	s_mov_b64 s[0:1], -1
                                        ; implicit-def: $vgpr4
	s_branch .LBB347_622
.LBB347_618:
	s_mov_b64 s[0:1], -1
                                        ; implicit-def: $vgpr4
.LBB347_619:
	s_andn2_b64 vcc, exec, s[0:1]
	s_cbranch_vccnz .LBB347_621
; %bb.620:
	global_load_dword v4, v[0:1], off
.LBB347_621:
	s_mov_b64 s[0:1], 0
.LBB347_622:
	s_andn2_b64 vcc, exec, s[0:1]
	s_cbranch_vccnz .LBB347_624
; %bb.623:
	global_load_sshort v4, v[0:1], off
.LBB347_624:
	s_mov_b64 s[0:1], 0
.LBB347_625:
	s_andn2_b64 vcc, exec, s[0:1]
	s_cbranch_vccnz .LBB347_631
; %bb.626:
	s_cmp_gt_i32 s30, 0
	s_cbranch_scc0 .LBB347_628
; %bb.627:
	global_load_sbyte v4, v[0:1], off
	s_mov_b64 s[0:1], 0
	s_branch .LBB347_629
.LBB347_628:
	s_mov_b64 s[0:1], -1
                                        ; implicit-def: $vgpr4
.LBB347_629:
	s_andn2_b64 vcc, exec, s[0:1]
	s_cbranch_vccnz .LBB347_631
; %bb.630:
	global_load_ubyte v4, v[0:1], off
.LBB347_631:
	s_mov_b64 s[0:1], -1
.LBB347_632:
	s_andn2_b64 vcc, exec, s[0:1]
	s_cbranch_vccnz .LBB347_640
; %bb.633:
	v_mul_lo_u32 v0, v2, s12
	s_waitcnt vmcnt(0)
	v_cmp_ne_u32_e32 vcc, v3, v4
	v_mov_b32_e32 v1, s9
	s_xor_b64 s[30:31], s[16:17], vcc
	v_ashrrev_i32_e32 v3, 31, v0
	s_and_b32 s42, s33, 0xff
	v_add_co_u32_e32 v0, vcc, s8, v0
	s_cmp_lt_i32 s42, 11
	v_addc_co_u32_e32 v1, vcc, v1, v3, vcc
	s_cbranch_scc1 .LBB347_641
; %bb.634:
	s_and_b32 s43, 0xffff, s42
	s_cmp_gt_i32 s43, 25
	s_cbranch_scc0 .LBB347_642
; %bb.635:
	s_cmp_gt_i32 s43, 28
	s_cbranch_scc0 .LBB347_643
; %bb.636:
	;; [unrolled: 3-line block ×4, first 2 shown]
	s_mov_b64 s[38:39], 0
	s_mov_b64 s[0:1], -1
	s_cmp_eq_u32 s43, 46
	s_mov_b64 s[36:37], 0
	s_cbranch_scc0 .LBB347_646
; %bb.639:
	v_cndmask_b32_e64 v3, 0, 1.0, s[30:31]
	v_bfe_u32 v4, v3, 16, 1
	s_movk_i32 s0, 0x7fff
	v_add3_u32 v3, v3, v4, s0
	v_lshrrev_b32_e32 v3, 16, v3
	global_store_dword v[0:1], v3, off
	s_mov_b64 s[36:37], -1
	s_mov_b64 s[0:1], 0
	s_branch .LBB347_646
.LBB347_640:
	s_mov_b64 s[36:37], 0
                                        ; implicit-def: $vgpr2
	s_mov_b64 s[0:1], s[18:19]
	s_branch .LBB347_756
.LBB347_641:
	s_mov_b64 s[38:39], -1
	s_mov_b64 s[36:37], 0
	s_mov_b64 s[0:1], s[18:19]
	s_branch .LBB347_715
.LBB347_642:
	s_mov_b64 s[38:39], -1
	s_mov_b64 s[36:37], 0
	s_mov_b64 s[0:1], s[18:19]
	s_branch .LBB347_673
.LBB347_643:
	s_mov_b64 s[38:39], -1
	s_mov_b64 s[36:37], 0
	s_mov_b64 s[0:1], s[18:19]
	s_branch .LBB347_656
.LBB347_644:
	s_mov_b64 s[38:39], -1
	s_mov_b64 s[36:37], 0
	s_mov_b64 s[0:1], s[18:19]
	s_branch .LBB347_652
.LBB347_645:
	s_mov_b64 s[38:39], -1
	s_mov_b64 s[36:37], 0
	s_mov_b64 s[0:1], s[18:19]
.LBB347_646:
	s_and_b64 vcc, exec, s[38:39]
	s_cbranch_vccz .LBB347_651
; %bb.647:
	s_cmp_eq_u32 s43, 44
	s_mov_b64 s[0:1], -1
	s_cbranch_scc0 .LBB347_651
; %bb.648:
	v_cndmask_b32_e64 v4, 0, 1.0, s[30:31]
	v_lshrrev_b32_e32 v3, 23, v4
	s_movk_i32 s0, 0xff
	v_cmp_ne_u32_e32 vcc, s0, v3
	v_mov_b32_e32 v5, 0xff
	s_and_saveexec_b64 s[36:37], vcc
; %bb.649:
	s_mov_b32 s0, 0x3fffff
	v_and_b32_e32 v5, 0x400000, v4
	v_and_or_b32 v4, v4, s0, v3
	v_cmp_ne_u32_e32 vcc, 0, v5
	v_cmp_ne_u32_e64 s[0:1], 0, v4
	s_and_b64 s[0:1], vcc, s[0:1]
	v_cndmask_b32_e64 v4, 0, 1, s[0:1]
	v_add_u32_e32 v5, v3, v4
; %bb.650:
	s_or_b64 exec, exec, s[36:37]
	s_mov_b64 s[36:37], -1
	s_mov_b64 s[0:1], 0
	global_store_byte v[0:1], v5, off
.LBB347_651:
	s_mov_b64 s[38:39], 0
.LBB347_652:
	s_and_b64 vcc, exec, s[38:39]
	s_cbranch_vccz .LBB347_655
; %bb.653:
	s_cmp_eq_u32 s43, 29
	s_mov_b64 s[0:1], -1
	s_cbranch_scc0 .LBB347_655
; %bb.654:
	s_mov_b32 s0, 0
	v_cndmask_b32_e64 v3, 0, 1, s[30:31]
	v_mov_b32_e32 v4, s0
	global_store_dwordx2 v[0:1], v[3:4], off
	s_mov_b64 s[36:37], -1
	s_mov_b64 s[0:1], 0
.LBB347_655:
	s_mov_b64 s[38:39], 0
.LBB347_656:
	s_and_b64 vcc, exec, s[38:39]
	s_cbranch_vccz .LBB347_672
; %bb.657:
	s_cmp_lt_i32 s43, 27
	s_mov_b64 s[36:37], -1
	s_cbranch_scc1 .LBB347_663
; %bb.658:
	s_cmp_gt_i32 s43, 27
	s_cbranch_scc0 .LBB347_660
; %bb.659:
	v_cndmask_b32_e64 v3, 0, 1, s[30:31]
	s_mov_b64 s[36:37], 0
	global_store_dword v[0:1], v3, off
.LBB347_660:
	s_andn2_b64 vcc, exec, s[36:37]
	s_cbranch_vccnz .LBB347_662
; %bb.661:
	v_cndmask_b32_e64 v3, 0, 1, s[30:31]
	global_store_short v[0:1], v3, off
.LBB347_662:
	s_mov_b64 s[36:37], 0
.LBB347_663:
	s_andn2_b64 vcc, exec, s[36:37]
	s_cbranch_vccnz .LBB347_671
; %bb.664:
	v_cndmask_b32_e64 v4, 0, 1.0, s[30:31]
	s_mov_b32 s36, 0x43800000
	v_cmp_gt_u32_e32 vcc, s36, v4
	v_mov_b32_e32 v5, 0x80
	s_and_saveexec_b64 s[36:37], vcc
	s_cbranch_execz .LBB347_670
; %bb.665:
	s_mov_b32 s38, 0x3bffffff
	v_cmp_lt_u32_e32 vcc, s38, v4
	s_mov_b64 s[38:39], 0
                                        ; implicit-def: $vgpr3
	s_and_saveexec_b64 s[40:41], vcc
	s_xor_b64 s[40:41], exec, s[40:41]
	s_cbranch_execz .LBB347_772
; %bb.666:
	v_bfe_u32 v3, v4, 20, 1
	s_mov_b32 s44, 0x487ffff
	v_add3_u32 v3, v4, v3, s44
	s_mov_b64 s[38:39], exec
	v_lshrrev_b32_e32 v3, 20, v3
                                        ; implicit-def: $vgpr4
	s_andn2_saveexec_b64 s[40:41], s[40:41]
	s_cbranch_execnz .LBB347_773
.LBB347_667:
	s_or_b64 exec, exec, s[40:41]
	v_mov_b32_e32 v5, 0
	s_and_saveexec_b64 s[40:41], s[38:39]
.LBB347_668:
	v_mov_b32_e32 v5, v3
.LBB347_669:
	s_or_b64 exec, exec, s[40:41]
.LBB347_670:
	s_or_b64 exec, exec, s[36:37]
	global_store_byte v[0:1], v5, off
.LBB347_671:
	s_mov_b64 s[36:37], -1
.LBB347_672:
	s_mov_b64 s[38:39], 0
.LBB347_673:
	s_and_b64 vcc, exec, s[38:39]
	s_cbranch_vccz .LBB347_714
; %bb.674:
	s_cmp_gt_i32 s43, 22
	s_mov_b64 s[38:39], -1
	s_cbranch_scc0 .LBB347_706
; %bb.675:
	s_cmp_lt_i32 s43, 24
	s_mov_b64 s[36:37], -1
	s_cbranch_scc1 .LBB347_695
; %bb.676:
	s_cmp_gt_i32 s43, 24
	s_cbranch_scc0 .LBB347_684
; %bb.677:
	v_cndmask_b32_e64 v4, 0, 1.0, s[30:31]
	s_mov_b32 s36, 0x47800000
	v_cmp_gt_u32_e32 vcc, s36, v4
	v_mov_b32_e32 v5, 0x80
	s_and_saveexec_b64 s[36:37], vcc
	s_cbranch_execz .LBB347_683
; %bb.678:
	s_mov_b32 s38, 0x37ffffff
	v_cmp_lt_u32_e32 vcc, s38, v4
	s_mov_b64 s[38:39], 0
                                        ; implicit-def: $vgpr3
	s_and_saveexec_b64 s[40:41], vcc
	s_xor_b64 s[40:41], exec, s[40:41]
	s_cbranch_execz .LBB347_900
; %bb.679:
	v_bfe_u32 v3, v4, 21, 1
	s_mov_b32 s44, 0x88fffff
	v_add3_u32 v3, v4, v3, s44
	s_mov_b64 s[38:39], exec
	v_lshrrev_b32_e32 v3, 21, v3
                                        ; implicit-def: $vgpr4
	s_andn2_saveexec_b64 s[40:41], s[40:41]
	s_cbranch_execnz .LBB347_901
.LBB347_680:
	s_or_b64 exec, exec, s[40:41]
	v_mov_b32_e32 v5, 0
	s_and_saveexec_b64 s[40:41], s[38:39]
.LBB347_681:
	v_mov_b32_e32 v5, v3
.LBB347_682:
	s_or_b64 exec, exec, s[40:41]
.LBB347_683:
	s_or_b64 exec, exec, s[36:37]
	s_mov_b64 s[36:37], 0
	global_store_byte v[0:1], v5, off
.LBB347_684:
	s_and_b64 vcc, exec, s[36:37]
	s_cbranch_vccz .LBB347_694
; %bb.685:
	v_cndmask_b32_e64 v3, 0, 1.0, s[30:31]
	s_mov_b32 s36, 0x43f00000
	v_cmp_gt_u32_e32 vcc, s36, v3
                                        ; implicit-def: $vgpr4
	s_and_saveexec_b64 s[36:37], vcc
	s_xor_b64 s[36:37], exec, s[36:37]
	s_cbranch_execz .LBB347_691
; %bb.686:
	s_mov_b32 s38, 0x3c7fffff
	v_cmp_lt_u32_e32 vcc, s38, v3
                                        ; implicit-def: $vgpr4
	s_and_saveexec_b64 s[38:39], vcc
	s_xor_b64 s[38:39], exec, s[38:39]
; %bb.687:
	v_bfe_u32 v4, v3, 20, 1
	s_mov_b32 s40, 0x407ffff
	v_add3_u32 v3, v3, v4, s40
	v_lshrrev_b32_e32 v4, 20, v3
	v_and_b32_e32 v3, 0xff00000, v3
	s_mov_b32 s40, 0x7f00000
	v_mov_b32_e32 v5, 0x7e
	v_cmp_ne_u32_e32 vcc, s40, v3
	v_cndmask_b32_e32 v4, v5, v4, vcc
                                        ; implicit-def: $vgpr3
; %bb.688:
	s_andn2_saveexec_b64 s[38:39], s[38:39]
; %bb.689:
	v_add_f32_e32 v4, 0x46800000, v3
; %bb.690:
	s_or_b64 exec, exec, s[38:39]
                                        ; implicit-def: $vgpr3
.LBB347_691:
	s_andn2_saveexec_b64 s[36:37], s[36:37]
; %bb.692:
	s_mov_b32 s38, 0x7f800000
	v_mov_b32_e32 v4, 0x7e
	v_mov_b32_e32 v5, 0x7f
	v_cmp_lt_u32_e32 vcc, s38, v3
	v_cndmask_b32_e32 v4, v4, v5, vcc
; %bb.693:
	s_or_b64 exec, exec, s[36:37]
	global_store_byte v[0:1], v4, off
.LBB347_694:
	s_mov_b64 s[36:37], 0
.LBB347_695:
	s_andn2_b64 vcc, exec, s[36:37]
	s_cbranch_vccnz .LBB347_705
; %bb.696:
	v_cndmask_b32_e64 v3, 0, 1.0, s[30:31]
	s_mov_b32 s36, 0x47800000
	v_cmp_gt_u32_e32 vcc, s36, v3
                                        ; implicit-def: $vgpr4
	s_and_saveexec_b64 s[36:37], vcc
	s_xor_b64 s[36:37], exec, s[36:37]
	s_cbranch_execz .LBB347_702
; %bb.697:
	s_mov_b32 s38, 0x387fffff
	v_cmp_lt_u32_e32 vcc, s38, v3
                                        ; implicit-def: $vgpr4
	s_and_saveexec_b64 s[38:39], vcc
	s_xor_b64 s[38:39], exec, s[38:39]
; %bb.698:
	v_bfe_u32 v4, v3, 21, 1
	s_mov_b32 s40, 0x80fffff
	v_add3_u32 v3, v3, v4, s40
	v_lshrrev_b32_e32 v4, 21, v3
                                        ; implicit-def: $vgpr3
; %bb.699:
	s_andn2_saveexec_b64 s[38:39], s[38:39]
; %bb.700:
	v_add_f32_e32 v4, 0x43000000, v3
; %bb.701:
	s_or_b64 exec, exec, s[38:39]
                                        ; implicit-def: $vgpr3
.LBB347_702:
	s_andn2_saveexec_b64 s[36:37], s[36:37]
; %bb.703:
	s_mov_b32 s38, 0x7f800000
	v_mov_b32_e32 v4, 0x7c
	v_mov_b32_e32 v5, 0x7f
	v_cmp_lt_u32_e32 vcc, s38, v3
	v_cndmask_b32_e32 v4, v4, v5, vcc
; %bb.704:
	s_or_b64 exec, exec, s[36:37]
	global_store_byte v[0:1], v4, off
.LBB347_705:
	s_mov_b64 s[38:39], 0
	s_mov_b64 s[36:37], -1
.LBB347_706:
	s_andn2_b64 vcc, exec, s[38:39]
	s_cbranch_vccnz .LBB347_714
; %bb.707:
	s_cmp_gt_i32 s43, 14
	s_mov_b64 s[38:39], -1
	s_cbranch_scc0 .LBB347_711
; %bb.708:
	s_cmp_eq_u32 s43, 15
	s_mov_b64 s[0:1], -1
	s_cbranch_scc0 .LBB347_710
; %bb.709:
	v_cndmask_b32_e64 v3, 0, 1.0, s[30:31]
	v_bfe_u32 v4, v3, 16, 1
	s_movk_i32 s0, 0x7fff
	v_add3_u32 v3, v3, v4, s0
	global_store_short_d16_hi v[0:1], v3, off
	s_mov_b64 s[36:37], -1
	s_mov_b64 s[0:1], 0
.LBB347_710:
	s_mov_b64 s[38:39], 0
.LBB347_711:
	s_and_b64 vcc, exec, s[38:39]
	s_cbranch_vccz .LBB347_714
; %bb.712:
	s_cmp_eq_u32 s43, 11
	s_mov_b64 s[0:1], -1
	s_cbranch_scc0 .LBB347_714
; %bb.713:
	v_cndmask_b32_e64 v3, 0, 1, s[30:31]
	s_mov_b64 s[36:37], -1
	s_mov_b64 s[0:1], 0
	global_store_byte v[0:1], v3, off
.LBB347_714:
	s_mov_b64 s[38:39], 0
.LBB347_715:
	s_and_b64 vcc, exec, s[38:39]
	s_cbranch_vccz .LBB347_754
; %bb.716:
	s_and_b32 s38, 0xffff, s42
	s_cmp_lt_i32 s38, 5
	s_mov_b64 s[36:37], -1
	s_cbranch_scc1 .LBB347_737
; %bb.717:
	s_cmp_lt_i32 s38, 8
	s_cbranch_scc1 .LBB347_727
; %bb.718:
	s_cmp_lt_i32 s38, 9
	s_cbranch_scc1 .LBB347_724
; %bb.719:
	s_cmp_gt_i32 s38, 9
	s_cbranch_scc0 .LBB347_721
; %bb.720:
	v_cndmask_b32_e64 v3, 0, 1, s[30:31]
	v_cvt_f64_u32_e32 v[3:4], v3
	v_mov_b32_e32 v5, 0
	v_mov_b32_e32 v6, v5
	s_mov_b64 s[36:37], 0
	global_store_dwordx4 v[0:1], v[3:6], off
.LBB347_721:
	s_andn2_b64 vcc, exec, s[36:37]
	s_cbranch_vccnz .LBB347_723
; %bb.722:
	v_cndmask_b32_e64 v3, 0, 1.0, s[30:31]
	v_mov_b32_e32 v4, 0
	global_store_dwordx2 v[0:1], v[3:4], off
.LBB347_723:
	s_mov_b64 s[36:37], 0
.LBB347_724:
	s_andn2_b64 vcc, exec, s[36:37]
	s_cbranch_vccnz .LBB347_726
; %bb.725:
	v_cndmask_b32_e64 v3, 0, 1.0, s[30:31]
	v_cvt_f16_f32_e32 v3, v3
	global_store_dword v[0:1], v3, off
.LBB347_726:
	s_mov_b64 s[36:37], 0
.LBB347_727:
	s_andn2_b64 vcc, exec, s[36:37]
	s_cbranch_vccnz .LBB347_736
; %bb.728:
	s_cmp_lt_i32 s38, 6
	s_mov_b64 s[36:37], -1
	s_cbranch_scc1 .LBB347_734
; %bb.729:
	s_cmp_gt_i32 s38, 6
	s_cbranch_scc0 .LBB347_731
; %bb.730:
	v_cndmask_b32_e64 v3, 0, 1, s[30:31]
	v_cvt_f64_u32_e32 v[3:4], v3
	s_mov_b64 s[36:37], 0
	global_store_dwordx2 v[0:1], v[3:4], off
.LBB347_731:
	s_andn2_b64 vcc, exec, s[36:37]
	s_cbranch_vccnz .LBB347_733
; %bb.732:
	v_cndmask_b32_e64 v3, 0, 1.0, s[30:31]
	global_store_dword v[0:1], v3, off
.LBB347_733:
	s_mov_b64 s[36:37], 0
.LBB347_734:
	s_andn2_b64 vcc, exec, s[36:37]
	s_cbranch_vccnz .LBB347_736
; %bb.735:
	v_cndmask_b32_e64 v3, 0, 1.0, s[30:31]
	v_cvt_f16_f32_e32 v3, v3
	global_store_short v[0:1], v3, off
.LBB347_736:
	s_mov_b64 s[36:37], 0
.LBB347_737:
	s_andn2_b64 vcc, exec, s[36:37]
	s_cbranch_vccnz .LBB347_753
; %bb.738:
	s_cmp_lt_i32 s38, 2
	s_mov_b64 s[36:37], -1
	s_cbranch_scc1 .LBB347_748
; %bb.739:
	s_cmp_lt_i32 s38, 3
	s_cbranch_scc1 .LBB347_745
; %bb.740:
	s_cmp_gt_i32 s38, 3
	s_cbranch_scc0 .LBB347_742
; %bb.741:
	s_mov_b32 s36, 0
	v_cndmask_b32_e64 v3, 0, 1, s[30:31]
	v_mov_b32_e32 v4, s36
	s_mov_b64 s[36:37], 0
	global_store_dwordx2 v[0:1], v[3:4], off
.LBB347_742:
	s_andn2_b64 vcc, exec, s[36:37]
	s_cbranch_vccnz .LBB347_744
; %bb.743:
	v_cndmask_b32_e64 v3, 0, 1, s[30:31]
	global_store_dword v[0:1], v3, off
.LBB347_744:
	s_mov_b64 s[36:37], 0
.LBB347_745:
	s_andn2_b64 vcc, exec, s[36:37]
	s_cbranch_vccnz .LBB347_747
; %bb.746:
	v_cndmask_b32_e64 v3, 0, 1, s[30:31]
	global_store_short v[0:1], v3, off
.LBB347_747:
	s_mov_b64 s[36:37], 0
.LBB347_748:
	s_andn2_b64 vcc, exec, s[36:37]
	s_cbranch_vccnz .LBB347_753
; %bb.749:
	s_mov_b64 s[36:37], -1
	s_cmp_gt_i32 s38, 0
	v_cndmask_b32_e64 v3, 0, 1, s[30:31]
	s_cbranch_scc0 .LBB347_751
; %bb.750:
	s_mov_b64 s[36:37], 0
	global_store_byte v[0:1], v3, off
.LBB347_751:
	s_andn2_b64 vcc, exec, s[36:37]
	s_cbranch_vccnz .LBB347_753
; %bb.752:
	global_store_byte v[0:1], v3, off
.LBB347_753:
	s_mov_b64 s[36:37], -1
.LBB347_754:
	s_andn2_b64 vcc, exec, s[36:37]
	s_cbranch_vccnz .LBB347_767
; %bb.755:
	v_add_u32_e32 v2, 0x80, v2
	s_mov_b64 s[36:37], -1
.LBB347_756:
	s_andn2_b64 s[30:31], s[18:19], exec
	s_and_b64 s[0:1], s[0:1], exec
	s_or_b64 s[30:31], s[30:31], s[0:1]
	s_andn2_b64 s[0:1], s[20:21], exec
	s_and_b64 s[28:29], s[28:29], exec
	s_or_b64 s[28:29], s[0:1], s[28:29]
	;; [unrolled: 3-line block ×3, first 2 shown]
	s_orn2_b64 s[0:1], s[36:37], exec
.LBB347_757:
	s_or_b64 exec, exec, s[34:35]
	s_mov_b64 s[36:37], 0
	s_mov_b64 s[38:39], 0
	;; [unrolled: 1-line block ×3, first 2 shown]
                                        ; implicit-def: $sgpr58
                                        ; implicit-def: $vgpr0_vgpr1
                                        ; implicit-def: $vgpr3
	s_and_saveexec_b64 s[34:35], s[0:1]
	s_cbranch_execz .LBB347_1219
; %bb.758:
	v_cmp_gt_i32_e32 vcc, s50, v2
	s_mov_b64 s[48:49], -1
	s_mov_b64 s[0:1], s[26:27]
	s_mov_b64 s[40:41], s[28:29]
	;; [unrolled: 1-line block ×3, first 2 shown]
	s_and_saveexec_b64 s[36:37], vcc
	s_cbranch_execz .LBB347_1138
; %bb.759:
	v_mul_lo_u32 v0, v2, s13
	v_mov_b32_e32 v1, s11
	s_and_b32 s42, s57, 0xff
	s_cmp_lt_i32 s42, 11
	s_waitcnt vmcnt(0)
	v_ashrrev_i32_e32 v3, 31, v0
	v_add_co_u32_e32 v0, vcc, s10, v0
	v_addc_co_u32_e32 v1, vcc, v1, v3, vcc
	s_cbranch_scc1 .LBB347_766
; %bb.760:
	s_and_b32 s43, 0xffff, s42
	s_cmp_gt_i32 s43, 25
	s_cbranch_scc0 .LBB347_768
; %bb.761:
	s_cmp_gt_i32 s43, 28
	s_cbranch_scc0 .LBB347_769
; %bb.762:
	;; [unrolled: 3-line block ×4, first 2 shown]
	s_cmp_eq_u32 s43, 46
	s_mov_b64 s[40:41], 0
	s_cbranch_scc0 .LBB347_774
; %bb.765:
	global_load_dword v3, v[0:1], off
	s_mov_b64 s[0:1], -1
	s_waitcnt vmcnt(0)
	v_lshlrev_b32_e32 v3, 16, v3
	v_cvt_u32_f32_e32 v3, v3
	s_branch .LBB347_775
.LBB347_766:
	s_mov_b64 s[40:41], -1
	s_mov_b64 s[0:1], 0
                                        ; implicit-def: $vgpr3
	s_mov_b64 s[38:39], s[26:27]
	s_branch .LBB347_836
.LBB347_767:
	s_mov_b64 s[36:37], 0
	s_branch .LBB347_518
.LBB347_768:
	s_mov_b64 s[40:41], -1
	s_mov_b64 s[0:1], 0
	s_mov_b64 s[38:39], s[26:27]
                                        ; implicit-def: $vgpr3
	s_branch .LBB347_802
.LBB347_769:
	s_mov_b64 s[40:41], -1
	s_mov_b64 s[0:1], 0
	s_mov_b64 s[38:39], s[26:27]
                                        ; implicit-def: $vgpr3
	s_branch .LBB347_785
.LBB347_770:
	s_mov_b64 s[40:41], -1
	s_mov_b64 s[0:1], 0
	s_mov_b64 s[38:39], s[26:27]
                                        ; implicit-def: $vgpr3
	s_branch .LBB347_780
.LBB347_771:
	s_mov_b64 s[40:41], -1
	s_mov_b64 s[0:1], 0
	s_mov_b64 s[38:39], s[26:27]
                                        ; implicit-def: $vgpr3
	s_branch .LBB347_775
.LBB347_772:
	s_andn2_saveexec_b64 s[40:41], s[40:41]
	s_cbranch_execz .LBB347_667
.LBB347_773:
	v_add_f32_e32 v3, 0x46000000, v4
	v_and_b32_e32 v3, 0xff, v3
	v_cmp_ne_u32_e32 vcc, 0, v3
	s_andn2_b64 s[38:39], s[38:39], exec
	s_and_b64 s[44:45], vcc, exec
	s_or_b64 s[38:39], s[38:39], s[44:45]
	s_or_b64 exec, exec, s[40:41]
	v_mov_b32_e32 v5, 0
	s_and_saveexec_b64 s[40:41], s[38:39]
	s_cbranch_execnz .LBB347_668
	s_branch .LBB347_669
.LBB347_774:
	s_mov_b64 s[38:39], -1
                                        ; implicit-def: $vgpr3
	s_mov_b64 s[0:1], 0
.LBB347_775:
	s_and_b64 vcc, exec, s[40:41]
	s_cbranch_vccz .LBB347_779
; %bb.776:
	s_cmp_eq_u32 s43, 44
	s_cbranch_scc0 .LBB347_778
; %bb.777:
	global_load_ubyte v3, v[0:1], off
	s_mov_b64 s[0:1], -1
	s_mov_b64 s[38:39], 0
	s_waitcnt vmcnt(0)
	v_lshlrev_b32_e32 v4, 23, v3
	v_cvt_u32_f32_e32 v4, v4
	v_cmp_ne_u32_e32 vcc, 0, v3
	v_cndmask_b32_e32 v3, 0, v4, vcc
	s_branch .LBB347_779
.LBB347_778:
	s_mov_b64 s[38:39], -1
                                        ; implicit-def: $vgpr3
.LBB347_779:
	s_mov_b64 s[40:41], 0
.LBB347_780:
	s_and_b64 vcc, exec, s[40:41]
	s_cbranch_vccz .LBB347_784
; %bb.781:
	s_cmp_eq_u32 s43, 29
	s_cbranch_scc0 .LBB347_783
; %bb.782:
	global_load_dword v3, v[0:1], off
	s_mov_b64 s[0:1], -1
	s_mov_b64 s[38:39], 0
	s_branch .LBB347_784
.LBB347_783:
	s_mov_b64 s[38:39], -1
                                        ; implicit-def: $vgpr3
.LBB347_784:
	s_mov_b64 s[40:41], 0
.LBB347_785:
	s_and_b64 vcc, exec, s[40:41]
	s_cbranch_vccz .LBB347_801
; %bb.786:
	s_cmp_lt_i32 s43, 27
	s_cbranch_scc1 .LBB347_789
; %bb.787:
	s_cmp_gt_i32 s43, 27
	s_cbranch_scc0 .LBB347_790
; %bb.788:
	global_load_dword v3, v[0:1], off
	s_mov_b64 s[0:1], 0
	s_branch .LBB347_791
.LBB347_789:
	s_mov_b64 s[0:1], -1
                                        ; implicit-def: $vgpr3
	s_branch .LBB347_794
.LBB347_790:
	s_mov_b64 s[0:1], -1
                                        ; implicit-def: $vgpr3
.LBB347_791:
	s_andn2_b64 vcc, exec, s[0:1]
	s_cbranch_vccnz .LBB347_793
; %bb.792:
	global_load_ushort v3, v[0:1], off
.LBB347_793:
	s_mov_b64 s[0:1], 0
.LBB347_794:
	s_andn2_b64 vcc, exec, s[0:1]
	s_cbranch_vccnz .LBB347_800
; %bb.795:
	global_load_ubyte v4, v[0:1], off
	s_movk_i32 s0, 0x7f
	s_mov_b64 s[40:41], 0
	s_waitcnt vmcnt(0)
	v_cmp_lt_i16_e32 vcc, s0, v4
	s_and_saveexec_b64 s[0:1], vcc
	s_xor_b64 s[0:1], exec, s[0:1]
	s_cbranch_execz .LBB347_812
; %bb.796:
	s_movk_i32 s40, 0x80
	v_cmp_ne_u16_e32 vcc, s40, v4
	s_and_b64 s[40:41], vcc, exec
	s_andn2_saveexec_b64 s[0:1], s[0:1]
	s_cbranch_execnz .LBB347_813
.LBB347_797:
	s_or_b64 exec, exec, s[0:1]
	v_mov_b32_e32 v3, 0
	s_and_saveexec_b64 s[0:1], s[40:41]
	s_cbranch_execz .LBB347_799
.LBB347_798:
	v_lshlrev_b32_e32 v3, 24, v4
	v_and_b32_e32 v4, 0xffff, v4
	v_and_b32_e32 v5, 7, v4
	v_ffbh_u32_e32 v7, v5
	v_min_u32_e32 v7, 32, v7
	v_subrev_u32_e32 v8, 28, v7
	v_bfe_u32 v6, v4, 3, 4
	v_lshlrev_b32_e32 v4, v8, v4
	v_sub_u32_e32 v7, 29, v7
	v_and_b32_e32 v4, 7, v4
	v_cmp_eq_u32_e32 vcc, 0, v6
	v_cndmask_b32_e32 v6, v6, v7, vcc
	v_cndmask_b32_e32 v4, v5, v4, vcc
	v_mov_b32_e32 v5, 0x3b800000
	v_lshlrev_b32_e32 v4, 20, v4
	v_and_b32_e32 v3, 0x80000000, v3
	v_lshl_add_u32 v5, v6, 23, v5
	v_or3_b32 v3, v3, v5, v4
	v_cvt_u32_f32_e32 v3, v3
.LBB347_799:
	s_or_b64 exec, exec, s[0:1]
.LBB347_800:
	s_mov_b64 s[0:1], -1
.LBB347_801:
	s_mov_b64 s[40:41], 0
.LBB347_802:
	s_and_b64 vcc, exec, s[40:41]
	s_cbranch_vccz .LBB347_835
; %bb.803:
	s_cmp_gt_i32 s43, 22
	s_cbranch_scc0 .LBB347_811
; %bb.804:
	s_cmp_lt_i32 s43, 24
	s_cbranch_scc1 .LBB347_814
; %bb.805:
	s_cmp_gt_i32 s43, 24
	s_cbranch_scc0 .LBB347_815
; %bb.806:
	global_load_ubyte v4, v[0:1], off
	s_movk_i32 s0, 0x7f
	s_mov_b64 s[40:41], 0
	s_waitcnt vmcnt(0)
	v_cmp_lt_i16_e32 vcc, s0, v4
	s_and_saveexec_b64 s[0:1], vcc
	s_xor_b64 s[0:1], exec, s[0:1]
	s_cbranch_execz .LBB347_827
; %bb.807:
	s_movk_i32 s40, 0x80
	v_cmp_ne_u16_e32 vcc, s40, v4
	s_and_b64 s[40:41], vcc, exec
	s_andn2_saveexec_b64 s[0:1], s[0:1]
	s_cbranch_execnz .LBB347_828
.LBB347_808:
	s_or_b64 exec, exec, s[0:1]
	v_mov_b32_e32 v3, 0
	s_and_saveexec_b64 s[0:1], s[40:41]
	s_cbranch_execz .LBB347_810
.LBB347_809:
	v_lshlrev_b32_e32 v3, 24, v4
	v_and_b32_e32 v4, 0xffff, v4
	v_and_b32_e32 v5, 3, v4
	v_ffbh_u32_e32 v7, v5
	v_min_u32_e32 v7, 32, v7
	v_subrev_u32_e32 v8, 29, v7
	v_bfe_u32 v6, v4, 2, 5
	v_lshlrev_b32_e32 v4, v8, v4
	v_sub_u32_e32 v7, 30, v7
	v_and_b32_e32 v4, 3, v4
	v_cmp_eq_u32_e32 vcc, 0, v6
	v_cndmask_b32_e32 v6, v6, v7, vcc
	v_cndmask_b32_e32 v4, v5, v4, vcc
	v_mov_b32_e32 v5, 0x37800000
	v_lshlrev_b32_e32 v4, 21, v4
	v_and_b32_e32 v3, 0x80000000, v3
	v_lshl_add_u32 v5, v6, 23, v5
	v_or3_b32 v3, v3, v5, v4
	v_cvt_u32_f32_e32 v3, v3
.LBB347_810:
	s_or_b64 exec, exec, s[0:1]
	s_mov_b64 s[0:1], 0
	s_branch .LBB347_816
.LBB347_811:
	s_mov_b64 s[40:41], -1
                                        ; implicit-def: $vgpr3
	s_branch .LBB347_822
.LBB347_812:
	s_andn2_saveexec_b64 s[0:1], s[0:1]
	s_cbranch_execz .LBB347_797
.LBB347_813:
	v_cmp_ne_u16_e32 vcc, 0, v4
	s_andn2_b64 s[40:41], s[40:41], exec
	s_and_b64 s[44:45], vcc, exec
	s_or_b64 s[40:41], s[40:41], s[44:45]
	s_or_b64 exec, exec, s[0:1]
	v_mov_b32_e32 v3, 0
	s_and_saveexec_b64 s[0:1], s[40:41]
	s_cbranch_execnz .LBB347_798
	s_branch .LBB347_799
.LBB347_814:
	s_mov_b64 s[0:1], -1
                                        ; implicit-def: $vgpr3
	s_branch .LBB347_819
.LBB347_815:
	s_mov_b64 s[0:1], -1
                                        ; implicit-def: $vgpr3
.LBB347_816:
	s_and_b64 vcc, exec, s[0:1]
	s_cbranch_vccz .LBB347_818
; %bb.817:
	global_load_ubyte v3, v[0:1], off
	s_mov_b32 s0, 0x7f800000
	s_waitcnt vmcnt(0)
	v_lshlrev_b32_e32 v3, 24, v3
	v_and_b32_e32 v4, 0x7f000000, v3
	v_ffbh_u32_e32 v5, v4
	v_min_u32_e32 v5, 32, v5
	v_sub_u32_e64 v5, v5, 4 clamp
	v_lshlrev_b32_e32 v7, v5, v4
	v_lshlrev_b32_e32 v5, 23, v5
	v_lshrrev_b32_e32 v7, 4, v7
	v_add_u32_e32 v6, 0x1000000, v4
	v_sub_u32_e32 v5, v7, v5
	v_ashrrev_i32_e32 v6, 8, v6
	v_add_u32_e32 v5, 0x3c000000, v5
	v_and_or_b32 v5, v6, s0, v5
	v_cmp_ne_u32_e32 vcc, 0, v4
	v_cndmask_b32_e32 v4, 0, v5, vcc
	s_brev_b32 s0, 1
	v_and_or_b32 v3, v3, s0, v4
	v_cvt_u32_f32_e32 v3, v3
.LBB347_818:
	s_mov_b64 s[0:1], 0
.LBB347_819:
	s_andn2_b64 vcc, exec, s[0:1]
	s_cbranch_vccnz .LBB347_821
; %bb.820:
	global_load_ubyte v3, v[0:1], off
	s_movk_i32 s0, 0x7f00
	s_brev_b32 s1, 16
	s_waitcnt vmcnt(0)
	v_lshlrev_b16_e32 v4, 8, v3
	v_lshlrev_b32_e32 v3, 25, v3
	v_lshrrev_b32_e32 v5, 4, v3
	v_and_or_b32 v6, v4, s0, 0.5
	v_or_b32_e32 v5, 0x70000000, v5
	v_add_f32_e32 v6, -0.5, v6
	v_mul_f32_e32 v5, 0x7800000, v5
	v_cmp_gt_u32_e32 vcc, s1, v3
	v_bfe_i32 v4, v4, 0, 16
	v_cndmask_b32_e32 v3, v5, v6, vcc
	s_brev_b32 s0, 1
	v_and_or_b32 v3, v4, s0, v3
	v_cvt_u32_f32_e32 v3, v3
.LBB347_821:
	s_mov_b64 s[40:41], 0
	s_mov_b64 s[0:1], -1
.LBB347_822:
	s_andn2_b64 vcc, exec, s[40:41]
	s_cbranch_vccnz .LBB347_835
; %bb.823:
	s_cmp_gt_i32 s43, 14
	s_cbranch_scc0 .LBB347_826
; %bb.824:
	s_cmp_eq_u32 s43, 15
	s_cbranch_scc0 .LBB347_829
; %bb.825:
	global_load_ushort v3, v[0:1], off
	s_mov_b64 s[0:1], -1
	s_mov_b64 s[38:39], 0
	s_waitcnt vmcnt(0)
	v_lshlrev_b32_e32 v3, 16, v3
	v_cvt_u32_f32_e32 v3, v3
	s_branch .LBB347_830
.LBB347_826:
	s_mov_b64 s[40:41], -1
                                        ; implicit-def: $vgpr3
	s_branch .LBB347_831
.LBB347_827:
	s_andn2_saveexec_b64 s[0:1], s[0:1]
	s_cbranch_execz .LBB347_808
.LBB347_828:
	v_cmp_ne_u16_e32 vcc, 0, v4
	s_andn2_b64 s[40:41], s[40:41], exec
	s_and_b64 s[44:45], vcc, exec
	s_or_b64 s[40:41], s[40:41], s[44:45]
	s_or_b64 exec, exec, s[0:1]
	v_mov_b32_e32 v3, 0
	s_and_saveexec_b64 s[0:1], s[40:41]
	s_cbranch_execnz .LBB347_809
	s_branch .LBB347_810
.LBB347_829:
	s_mov_b64 s[38:39], -1
                                        ; implicit-def: $vgpr3
.LBB347_830:
	s_mov_b64 s[40:41], 0
.LBB347_831:
	s_and_b64 vcc, exec, s[40:41]
	s_cbranch_vccz .LBB347_835
; %bb.832:
	s_cmp_eq_u32 s43, 11
	s_cbranch_scc0 .LBB347_834
; %bb.833:
	global_load_ubyte v3, v[0:1], off
	s_mov_b64 s[0:1], -1
	s_mov_b64 s[38:39], 0
	s_waitcnt vmcnt(0)
	v_cmp_ne_u16_e32 vcc, 0, v3
	v_cndmask_b32_e64 v3, 0, 1, vcc
	s_branch .LBB347_835
.LBB347_834:
	s_mov_b64 s[38:39], -1
                                        ; implicit-def: $vgpr3
.LBB347_835:
	s_mov_b64 s[40:41], 0
.LBB347_836:
	s_and_b64 vcc, exec, s[40:41]
	s_cbranch_vccz .LBB347_885
; %bb.837:
	s_and_b32 s40, 0xffff, s42
	s_cmp_lt_i32 s40, 5
	s_cbranch_scc1 .LBB347_842
; %bb.838:
	s_cmp_lt_i32 s40, 8
	s_cbranch_scc1 .LBB347_843
; %bb.839:
	;; [unrolled: 3-line block ×3, first 2 shown]
	s_cmp_gt_i32 s40, 9
	s_cbranch_scc0 .LBB347_845
; %bb.841:
	global_load_dwordx2 v[3:4], v[0:1], off
	s_mov_b64 s[0:1], 0
	s_waitcnt vmcnt(0)
	v_cvt_u32_f64_e32 v3, v[3:4]
	s_branch .LBB347_846
.LBB347_842:
	s_mov_b64 s[0:1], -1
                                        ; implicit-def: $vgpr3
	s_branch .LBB347_864
.LBB347_843:
	s_mov_b64 s[0:1], -1
                                        ; implicit-def: $vgpr3
	s_branch .LBB347_852
.LBB347_844:
	s_mov_b64 s[0:1], -1
                                        ; implicit-def: $vgpr3
	s_branch .LBB347_849
.LBB347_845:
	s_mov_b64 s[0:1], -1
                                        ; implicit-def: $vgpr3
.LBB347_846:
	s_andn2_b64 vcc, exec, s[0:1]
	s_cbranch_vccnz .LBB347_848
; %bb.847:
	global_load_dword v3, v[0:1], off
	s_waitcnt vmcnt(0)
	v_cvt_u32_f32_e32 v3, v3
.LBB347_848:
	s_mov_b64 s[0:1], 0
.LBB347_849:
	s_andn2_b64 vcc, exec, s[0:1]
	s_cbranch_vccnz .LBB347_851
; %bb.850:
	global_load_dword v3, v[0:1], off
	s_waitcnt vmcnt(0)
	v_cvt_f32_f16_e32 v3, v3
	v_cvt_u32_f32_e32 v3, v3
.LBB347_851:
	s_mov_b64 s[0:1], 0
.LBB347_852:
	s_andn2_b64 vcc, exec, s[0:1]
	s_cbranch_vccnz .LBB347_863
; %bb.853:
	s_cmp_lt_i32 s40, 6
	s_cbranch_scc1 .LBB347_856
; %bb.854:
	s_cmp_gt_i32 s40, 6
	s_cbranch_scc0 .LBB347_857
; %bb.855:
	global_load_dwordx2 v[3:4], v[0:1], off
	s_mov_b64 s[0:1], 0
	s_waitcnt vmcnt(0)
	v_cvt_u32_f64_e32 v3, v[3:4]
	s_branch .LBB347_858
.LBB347_856:
	s_mov_b64 s[0:1], -1
                                        ; implicit-def: $vgpr3
	s_branch .LBB347_861
.LBB347_857:
	s_mov_b64 s[0:1], -1
                                        ; implicit-def: $vgpr3
.LBB347_858:
	s_andn2_b64 vcc, exec, s[0:1]
	s_cbranch_vccnz .LBB347_860
; %bb.859:
	global_load_dword v3, v[0:1], off
	s_waitcnt vmcnt(0)
	v_cvt_u32_f32_e32 v3, v3
.LBB347_860:
	s_mov_b64 s[0:1], 0
.LBB347_861:
	s_andn2_b64 vcc, exec, s[0:1]
	s_cbranch_vccnz .LBB347_863
; %bb.862:
	global_load_ushort v3, v[0:1], off
	s_waitcnt vmcnt(0)
	v_cvt_f32_f16_e32 v3, v3
	v_cvt_u32_f32_e32 v3, v3
.LBB347_863:
	s_mov_b64 s[0:1], 0
.LBB347_864:
	s_andn2_b64 vcc, exec, s[0:1]
	s_cbranch_vccnz .LBB347_884
; %bb.865:
	s_cmp_lt_i32 s40, 2
	s_cbranch_scc1 .LBB347_869
; %bb.866:
	s_cmp_lt_i32 s40, 3
	s_cbranch_scc1 .LBB347_870
; %bb.867:
	s_cmp_gt_i32 s40, 3
	s_cbranch_scc0 .LBB347_871
; %bb.868:
	global_load_dword v3, v[0:1], off
	s_mov_b64 s[0:1], 0
	s_branch .LBB347_872
.LBB347_869:
	s_mov_b64 s[0:1], -1
                                        ; implicit-def: $vgpr3
	s_branch .LBB347_878
.LBB347_870:
	s_mov_b64 s[0:1], -1
                                        ; implicit-def: $vgpr3
	s_branch .LBB347_875
.LBB347_871:
	s_mov_b64 s[0:1], -1
                                        ; implicit-def: $vgpr3
.LBB347_872:
	s_andn2_b64 vcc, exec, s[0:1]
	s_cbranch_vccnz .LBB347_874
; %bb.873:
	global_load_dword v3, v[0:1], off
.LBB347_874:
	s_mov_b64 s[0:1], 0
.LBB347_875:
	s_andn2_b64 vcc, exec, s[0:1]
	s_cbranch_vccnz .LBB347_877
; %bb.876:
	global_load_sshort v3, v[0:1], off
.LBB347_877:
	s_mov_b64 s[0:1], 0
.LBB347_878:
	s_andn2_b64 vcc, exec, s[0:1]
	s_cbranch_vccnz .LBB347_884
; %bb.879:
	s_cmp_gt_i32 s40, 0
	s_cbranch_scc0 .LBB347_881
; %bb.880:
	global_load_sbyte v3, v[0:1], off
	s_mov_b64 s[0:1], 0
	s_branch .LBB347_882
.LBB347_881:
	s_mov_b64 s[0:1], -1
                                        ; implicit-def: $vgpr3
.LBB347_882:
	s_andn2_b64 vcc, exec, s[0:1]
	s_cbranch_vccnz .LBB347_884
; %bb.883:
	global_load_ubyte v3, v[0:1], off
.LBB347_884:
	s_mov_b64 s[0:1], -1
.LBB347_885:
	s_andn2_b64 vcc, exec, s[0:1]
	s_cbranch_vccnz .LBB347_893
; %bb.886:
	v_mul_lo_u32 v0, v2, s14
	v_mov_b32_e32 v1, s3
	s_and_b32 s44, s56, 0xff
	s_cmp_lt_i32 s44, 11
	v_ashrrev_i32_e32 v4, 31, v0
	v_add_co_u32_e32 v0, vcc, s2, v0
	v_addc_co_u32_e32 v1, vcc, v1, v4, vcc
	s_cbranch_scc1 .LBB347_895
; %bb.887:
	s_and_b32 s45, 0xffff, s44
	s_cmp_gt_i32 s45, 25
	s_cbranch_scc0 .LBB347_896
; %bb.888:
	s_cmp_gt_i32 s45, 28
	s_cbranch_scc0 .LBB347_897
; %bb.889:
	;; [unrolled: 3-line block ×4, first 2 shown]
	s_cmp_eq_u32 s45, 46
	s_mov_b64 s[42:43], 0
	s_cbranch_scc0 .LBB347_902
; %bb.892:
	global_load_dword v4, v[0:1], off
	s_mov_b64 s[0:1], -1
	s_mov_b64 s[40:41], 0
	s_waitcnt vmcnt(0)
	v_lshlrev_b32_e32 v4, 16, v4
	v_cvt_u32_f32_e32 v4, v4
	s_branch .LBB347_903
.LBB347_893:
	s_mov_b64 s[44:45], 0
	s_mov_b64 s[0:1], s[30:31]
	;; [unrolled: 1-line block ×3, first 2 shown]
.LBB347_894:
                                        ; implicit-def: $vgpr2
	s_branch .LBB347_1137
.LBB347_895:
	s_mov_b64 s[42:43], -1
	s_mov_b64 s[0:1], 0
                                        ; implicit-def: $vgpr4
	s_mov_b64 s[40:41], s[28:29]
	s_branch .LBB347_964
.LBB347_896:
	s_mov_b64 s[42:43], -1
	s_mov_b64 s[0:1], 0
	s_mov_b64 s[40:41], s[28:29]
                                        ; implicit-def: $vgpr4
	s_branch .LBB347_930
.LBB347_897:
	s_mov_b64 s[42:43], -1
	s_mov_b64 s[0:1], 0
	s_mov_b64 s[40:41], s[28:29]
                                        ; implicit-def: $vgpr4
	s_branch .LBB347_913
.LBB347_898:
	s_mov_b64 s[42:43], -1
	s_mov_b64 s[0:1], 0
	s_mov_b64 s[40:41], s[28:29]
                                        ; implicit-def: $vgpr4
	s_branch .LBB347_908
.LBB347_899:
	s_mov_b64 s[42:43], -1
	s_mov_b64 s[0:1], 0
	s_mov_b64 s[40:41], s[28:29]
                                        ; implicit-def: $vgpr4
	s_branch .LBB347_903
.LBB347_900:
	s_andn2_saveexec_b64 s[40:41], s[40:41]
	s_cbranch_execz .LBB347_680
.LBB347_901:
	v_add_f32_e32 v3, 0x42800000, v4
	v_and_b32_e32 v3, 0xff, v3
	v_cmp_ne_u32_e32 vcc, 0, v3
	s_andn2_b64 s[38:39], s[38:39], exec
	s_and_b64 s[44:45], vcc, exec
	s_or_b64 s[38:39], s[38:39], s[44:45]
	s_or_b64 exec, exec, s[40:41]
	v_mov_b32_e32 v5, 0
	s_and_saveexec_b64 s[40:41], s[38:39]
	s_cbranch_execnz .LBB347_681
	s_branch .LBB347_682
.LBB347_902:
	s_mov_b64 s[40:41], -1
                                        ; implicit-def: $vgpr4
	s_mov_b64 s[0:1], 0
.LBB347_903:
	s_and_b64 vcc, exec, s[42:43]
	s_cbranch_vccz .LBB347_907
; %bb.904:
	s_cmp_eq_u32 s45, 44
	s_cbranch_scc0 .LBB347_906
; %bb.905:
	global_load_ubyte v4, v[0:1], off
	s_mov_b64 s[0:1], -1
	s_mov_b64 s[40:41], 0
	s_waitcnt vmcnt(0)
	v_lshlrev_b32_e32 v5, 23, v4
	v_cvt_u32_f32_e32 v5, v5
	v_cmp_ne_u32_e32 vcc, 0, v4
	v_cndmask_b32_e32 v4, 0, v5, vcc
	s_branch .LBB347_907
.LBB347_906:
	s_mov_b64 s[40:41], -1
                                        ; implicit-def: $vgpr4
.LBB347_907:
	s_mov_b64 s[42:43], 0
.LBB347_908:
	s_and_b64 vcc, exec, s[42:43]
	s_cbranch_vccz .LBB347_912
; %bb.909:
	s_cmp_eq_u32 s45, 29
	s_cbranch_scc0 .LBB347_911
; %bb.910:
	global_load_dword v4, v[0:1], off
	s_mov_b64 s[0:1], -1
	s_mov_b64 s[40:41], 0
	s_branch .LBB347_912
.LBB347_911:
	s_mov_b64 s[40:41], -1
                                        ; implicit-def: $vgpr4
.LBB347_912:
	s_mov_b64 s[42:43], 0
.LBB347_913:
	s_and_b64 vcc, exec, s[42:43]
	s_cbranch_vccz .LBB347_929
; %bb.914:
	s_cmp_lt_i32 s45, 27
	s_cbranch_scc1 .LBB347_917
; %bb.915:
	s_cmp_gt_i32 s45, 27
	s_cbranch_scc0 .LBB347_918
; %bb.916:
	global_load_dword v4, v[0:1], off
	s_mov_b64 s[0:1], 0
	s_branch .LBB347_919
.LBB347_917:
	s_mov_b64 s[0:1], -1
                                        ; implicit-def: $vgpr4
	s_branch .LBB347_922
.LBB347_918:
	s_mov_b64 s[0:1], -1
                                        ; implicit-def: $vgpr4
.LBB347_919:
	s_andn2_b64 vcc, exec, s[0:1]
	s_cbranch_vccnz .LBB347_921
; %bb.920:
	global_load_ushort v4, v[0:1], off
.LBB347_921:
	s_mov_b64 s[0:1], 0
.LBB347_922:
	s_andn2_b64 vcc, exec, s[0:1]
	s_cbranch_vccnz .LBB347_928
; %bb.923:
	global_load_ubyte v5, v[0:1], off
	s_movk_i32 s0, 0x7f
	s_mov_b64 s[42:43], 0
	s_waitcnt vmcnt(0)
	v_cmp_lt_i16_e32 vcc, s0, v5
	s_and_saveexec_b64 s[0:1], vcc
	s_xor_b64 s[0:1], exec, s[0:1]
	s_cbranch_execz .LBB347_940
; %bb.924:
	s_movk_i32 s42, 0x80
	v_cmp_ne_u16_e32 vcc, s42, v5
	s_and_b64 s[42:43], vcc, exec
	s_andn2_saveexec_b64 s[0:1], s[0:1]
	s_cbranch_execnz .LBB347_941
.LBB347_925:
	s_or_b64 exec, exec, s[0:1]
	v_mov_b32_e32 v4, 0
	s_and_saveexec_b64 s[0:1], s[42:43]
	s_cbranch_execz .LBB347_927
.LBB347_926:
	v_lshlrev_b32_e32 v4, 24, v5
	v_and_b32_e32 v5, 0xffff, v5
	v_and_b32_e32 v6, 7, v5
	v_ffbh_u32_e32 v8, v6
	v_min_u32_e32 v8, 32, v8
	v_subrev_u32_e32 v9, 28, v8
	v_bfe_u32 v7, v5, 3, 4
	v_lshlrev_b32_e32 v5, v9, v5
	v_sub_u32_e32 v8, 29, v8
	v_and_b32_e32 v5, 7, v5
	v_cmp_eq_u32_e32 vcc, 0, v7
	v_cndmask_b32_e32 v7, v7, v8, vcc
	v_cndmask_b32_e32 v5, v6, v5, vcc
	v_mov_b32_e32 v6, 0x3b800000
	v_lshlrev_b32_e32 v5, 20, v5
	v_and_b32_e32 v4, 0x80000000, v4
	v_lshl_add_u32 v6, v7, 23, v6
	v_or3_b32 v4, v4, v6, v5
	v_cvt_u32_f32_e32 v4, v4
.LBB347_927:
	s_or_b64 exec, exec, s[0:1]
.LBB347_928:
	s_mov_b64 s[0:1], -1
.LBB347_929:
	s_mov_b64 s[42:43], 0
.LBB347_930:
	s_and_b64 vcc, exec, s[42:43]
	s_cbranch_vccz .LBB347_963
; %bb.931:
	s_cmp_gt_i32 s45, 22
	s_cbranch_scc0 .LBB347_939
; %bb.932:
	s_cmp_lt_i32 s45, 24
	s_cbranch_scc1 .LBB347_942
; %bb.933:
	s_cmp_gt_i32 s45, 24
	s_cbranch_scc0 .LBB347_943
; %bb.934:
	global_load_ubyte v5, v[0:1], off
	s_movk_i32 s0, 0x7f
	s_mov_b64 s[42:43], 0
	s_waitcnt vmcnt(0)
	v_cmp_lt_i16_e32 vcc, s0, v5
	s_and_saveexec_b64 s[0:1], vcc
	s_xor_b64 s[0:1], exec, s[0:1]
	s_cbranch_execz .LBB347_955
; %bb.935:
	s_movk_i32 s42, 0x80
	v_cmp_ne_u16_e32 vcc, s42, v5
	s_and_b64 s[42:43], vcc, exec
	s_andn2_saveexec_b64 s[0:1], s[0:1]
	s_cbranch_execnz .LBB347_956
.LBB347_936:
	s_or_b64 exec, exec, s[0:1]
	v_mov_b32_e32 v4, 0
	s_and_saveexec_b64 s[0:1], s[42:43]
	s_cbranch_execz .LBB347_938
.LBB347_937:
	v_lshlrev_b32_e32 v4, 24, v5
	v_and_b32_e32 v5, 0xffff, v5
	v_and_b32_e32 v6, 3, v5
	v_ffbh_u32_e32 v8, v6
	v_min_u32_e32 v8, 32, v8
	v_subrev_u32_e32 v9, 29, v8
	v_bfe_u32 v7, v5, 2, 5
	v_lshlrev_b32_e32 v5, v9, v5
	v_sub_u32_e32 v8, 30, v8
	v_and_b32_e32 v5, 3, v5
	v_cmp_eq_u32_e32 vcc, 0, v7
	v_cndmask_b32_e32 v7, v7, v8, vcc
	v_cndmask_b32_e32 v5, v6, v5, vcc
	v_mov_b32_e32 v6, 0x37800000
	v_lshlrev_b32_e32 v5, 21, v5
	v_and_b32_e32 v4, 0x80000000, v4
	v_lshl_add_u32 v6, v7, 23, v6
	v_or3_b32 v4, v4, v6, v5
	v_cvt_u32_f32_e32 v4, v4
.LBB347_938:
	s_or_b64 exec, exec, s[0:1]
	s_mov_b64 s[0:1], 0
	s_branch .LBB347_944
.LBB347_939:
	s_mov_b64 s[42:43], -1
                                        ; implicit-def: $vgpr4
	s_branch .LBB347_950
.LBB347_940:
	s_andn2_saveexec_b64 s[0:1], s[0:1]
	s_cbranch_execz .LBB347_925
.LBB347_941:
	v_cmp_ne_u16_e32 vcc, 0, v5
	s_andn2_b64 s[42:43], s[42:43], exec
	s_and_b64 s[46:47], vcc, exec
	s_or_b64 s[42:43], s[42:43], s[46:47]
	s_or_b64 exec, exec, s[0:1]
	v_mov_b32_e32 v4, 0
	s_and_saveexec_b64 s[0:1], s[42:43]
	s_cbranch_execnz .LBB347_926
	s_branch .LBB347_927
.LBB347_942:
	s_mov_b64 s[0:1], -1
                                        ; implicit-def: $vgpr4
	s_branch .LBB347_947
.LBB347_943:
	s_mov_b64 s[0:1], -1
                                        ; implicit-def: $vgpr4
.LBB347_944:
	s_and_b64 vcc, exec, s[0:1]
	s_cbranch_vccz .LBB347_946
; %bb.945:
	global_load_ubyte v4, v[0:1], off
	s_mov_b32 s0, 0x7f800000
	s_waitcnt vmcnt(0)
	v_lshlrev_b32_e32 v4, 24, v4
	v_and_b32_e32 v5, 0x7f000000, v4
	v_ffbh_u32_e32 v6, v5
	v_min_u32_e32 v6, 32, v6
	v_sub_u32_e64 v6, v6, 4 clamp
	v_lshlrev_b32_e32 v8, v6, v5
	v_lshlrev_b32_e32 v6, 23, v6
	v_lshrrev_b32_e32 v8, 4, v8
	v_add_u32_e32 v7, 0x1000000, v5
	v_sub_u32_e32 v6, v8, v6
	v_ashrrev_i32_e32 v7, 8, v7
	v_add_u32_e32 v6, 0x3c000000, v6
	v_and_or_b32 v6, v7, s0, v6
	v_cmp_ne_u32_e32 vcc, 0, v5
	v_cndmask_b32_e32 v5, 0, v6, vcc
	s_brev_b32 s0, 1
	v_and_or_b32 v4, v4, s0, v5
	v_cvt_u32_f32_e32 v4, v4
.LBB347_946:
	s_mov_b64 s[0:1], 0
.LBB347_947:
	s_andn2_b64 vcc, exec, s[0:1]
	s_cbranch_vccnz .LBB347_949
; %bb.948:
	global_load_ubyte v4, v[0:1], off
	s_movk_i32 s0, 0x7f00
	s_brev_b32 s1, 16
	s_waitcnt vmcnt(0)
	v_lshlrev_b16_e32 v5, 8, v4
	v_lshlrev_b32_e32 v4, 25, v4
	v_lshrrev_b32_e32 v6, 4, v4
	v_and_or_b32 v7, v5, s0, 0.5
	v_or_b32_e32 v6, 0x70000000, v6
	v_add_f32_e32 v7, -0.5, v7
	v_mul_f32_e32 v6, 0x7800000, v6
	v_cmp_gt_u32_e32 vcc, s1, v4
	v_bfe_i32 v5, v5, 0, 16
	v_cndmask_b32_e32 v4, v6, v7, vcc
	s_brev_b32 s0, 1
	v_and_or_b32 v4, v5, s0, v4
	v_cvt_u32_f32_e32 v4, v4
.LBB347_949:
	s_mov_b64 s[42:43], 0
	s_mov_b64 s[0:1], -1
.LBB347_950:
	s_andn2_b64 vcc, exec, s[42:43]
	s_cbranch_vccnz .LBB347_963
; %bb.951:
	s_cmp_gt_i32 s45, 14
	s_cbranch_scc0 .LBB347_954
; %bb.952:
	s_cmp_eq_u32 s45, 15
	s_cbranch_scc0 .LBB347_957
; %bb.953:
	global_load_ushort v4, v[0:1], off
	s_mov_b64 s[0:1], -1
	s_mov_b64 s[40:41], 0
	s_waitcnt vmcnt(0)
	v_lshlrev_b32_e32 v4, 16, v4
	v_cvt_u32_f32_e32 v4, v4
	s_branch .LBB347_958
.LBB347_954:
	s_mov_b64 s[42:43], -1
                                        ; implicit-def: $vgpr4
	s_branch .LBB347_959
.LBB347_955:
	s_andn2_saveexec_b64 s[0:1], s[0:1]
	s_cbranch_execz .LBB347_936
.LBB347_956:
	v_cmp_ne_u16_e32 vcc, 0, v5
	s_andn2_b64 s[42:43], s[42:43], exec
	s_and_b64 s[46:47], vcc, exec
	s_or_b64 s[42:43], s[42:43], s[46:47]
	s_or_b64 exec, exec, s[0:1]
	v_mov_b32_e32 v4, 0
	s_and_saveexec_b64 s[0:1], s[42:43]
	s_cbranch_execnz .LBB347_937
	s_branch .LBB347_938
.LBB347_957:
	s_mov_b64 s[40:41], -1
                                        ; implicit-def: $vgpr4
.LBB347_958:
	s_mov_b64 s[42:43], 0
.LBB347_959:
	s_and_b64 vcc, exec, s[42:43]
	s_cbranch_vccz .LBB347_963
; %bb.960:
	s_cmp_eq_u32 s45, 11
	s_cbranch_scc0 .LBB347_962
; %bb.961:
	global_load_ubyte v4, v[0:1], off
	s_mov_b64 s[0:1], -1
	s_mov_b64 s[40:41], 0
	s_waitcnt vmcnt(0)
	v_cmp_ne_u16_e32 vcc, 0, v4
	v_cndmask_b32_e64 v4, 0, 1, vcc
	s_branch .LBB347_963
.LBB347_962:
	s_mov_b64 s[40:41], -1
                                        ; implicit-def: $vgpr4
.LBB347_963:
	s_mov_b64 s[42:43], 0
.LBB347_964:
	s_and_b64 vcc, exec, s[42:43]
	s_cbranch_vccz .LBB347_1013
; %bb.965:
	s_and_b32 s42, 0xffff, s44
	s_cmp_lt_i32 s42, 5
	s_cbranch_scc1 .LBB347_970
; %bb.966:
	s_cmp_lt_i32 s42, 8
	s_cbranch_scc1 .LBB347_971
; %bb.967:
	;; [unrolled: 3-line block ×3, first 2 shown]
	s_cmp_gt_i32 s42, 9
	s_cbranch_scc0 .LBB347_973
; %bb.969:
	global_load_dwordx2 v[4:5], v[0:1], off
	s_mov_b64 s[0:1], 0
	s_waitcnt vmcnt(0)
	v_cvt_u32_f64_e32 v4, v[4:5]
	s_branch .LBB347_974
.LBB347_970:
	s_mov_b64 s[0:1], -1
                                        ; implicit-def: $vgpr4
	s_branch .LBB347_992
.LBB347_971:
	s_mov_b64 s[0:1], -1
                                        ; implicit-def: $vgpr4
	s_branch .LBB347_980
.LBB347_972:
	s_mov_b64 s[0:1], -1
                                        ; implicit-def: $vgpr4
	s_branch .LBB347_977
.LBB347_973:
	s_mov_b64 s[0:1], -1
                                        ; implicit-def: $vgpr4
.LBB347_974:
	s_andn2_b64 vcc, exec, s[0:1]
	s_cbranch_vccnz .LBB347_976
; %bb.975:
	global_load_dword v4, v[0:1], off
	s_waitcnt vmcnt(0)
	v_cvt_u32_f32_e32 v4, v4
.LBB347_976:
	s_mov_b64 s[0:1], 0
.LBB347_977:
	s_andn2_b64 vcc, exec, s[0:1]
	s_cbranch_vccnz .LBB347_979
; %bb.978:
	global_load_dword v4, v[0:1], off
	s_waitcnt vmcnt(0)
	v_cvt_f32_f16_e32 v4, v4
	v_cvt_u32_f32_e32 v4, v4
.LBB347_979:
	s_mov_b64 s[0:1], 0
.LBB347_980:
	s_andn2_b64 vcc, exec, s[0:1]
	s_cbranch_vccnz .LBB347_991
; %bb.981:
	s_cmp_lt_i32 s42, 6
	s_cbranch_scc1 .LBB347_984
; %bb.982:
	s_cmp_gt_i32 s42, 6
	s_cbranch_scc0 .LBB347_985
; %bb.983:
	global_load_dwordx2 v[4:5], v[0:1], off
	s_mov_b64 s[0:1], 0
	s_waitcnt vmcnt(0)
	v_cvt_u32_f64_e32 v4, v[4:5]
	s_branch .LBB347_986
.LBB347_984:
	s_mov_b64 s[0:1], -1
                                        ; implicit-def: $vgpr4
	s_branch .LBB347_989
.LBB347_985:
	s_mov_b64 s[0:1], -1
                                        ; implicit-def: $vgpr4
.LBB347_986:
	s_andn2_b64 vcc, exec, s[0:1]
	s_cbranch_vccnz .LBB347_988
; %bb.987:
	global_load_dword v4, v[0:1], off
	s_waitcnt vmcnt(0)
	v_cvt_u32_f32_e32 v4, v4
.LBB347_988:
	s_mov_b64 s[0:1], 0
.LBB347_989:
	s_andn2_b64 vcc, exec, s[0:1]
	s_cbranch_vccnz .LBB347_991
; %bb.990:
	global_load_ushort v4, v[0:1], off
	s_waitcnt vmcnt(0)
	v_cvt_f32_f16_e32 v4, v4
	v_cvt_u32_f32_e32 v4, v4
.LBB347_991:
	s_mov_b64 s[0:1], 0
.LBB347_992:
	s_andn2_b64 vcc, exec, s[0:1]
	s_cbranch_vccnz .LBB347_1012
; %bb.993:
	s_cmp_lt_i32 s42, 2
	s_cbranch_scc1 .LBB347_997
; %bb.994:
	s_cmp_lt_i32 s42, 3
	s_cbranch_scc1 .LBB347_998
; %bb.995:
	s_cmp_gt_i32 s42, 3
	s_cbranch_scc0 .LBB347_999
; %bb.996:
	global_load_dword v4, v[0:1], off
	s_mov_b64 s[0:1], 0
	s_branch .LBB347_1000
.LBB347_997:
	s_mov_b64 s[0:1], -1
                                        ; implicit-def: $vgpr4
	s_branch .LBB347_1006
.LBB347_998:
	s_mov_b64 s[0:1], -1
                                        ; implicit-def: $vgpr4
	s_branch .LBB347_1003
.LBB347_999:
	s_mov_b64 s[0:1], -1
                                        ; implicit-def: $vgpr4
.LBB347_1000:
	s_andn2_b64 vcc, exec, s[0:1]
	s_cbranch_vccnz .LBB347_1002
; %bb.1001:
	global_load_dword v4, v[0:1], off
.LBB347_1002:
	s_mov_b64 s[0:1], 0
.LBB347_1003:
	s_andn2_b64 vcc, exec, s[0:1]
	s_cbranch_vccnz .LBB347_1005
; %bb.1004:
	global_load_sshort v4, v[0:1], off
.LBB347_1005:
	s_mov_b64 s[0:1], 0
.LBB347_1006:
	s_andn2_b64 vcc, exec, s[0:1]
	s_cbranch_vccnz .LBB347_1012
; %bb.1007:
	s_cmp_gt_i32 s42, 0
	s_cbranch_scc0 .LBB347_1009
; %bb.1008:
	global_load_sbyte v4, v[0:1], off
	s_mov_b64 s[0:1], 0
	s_branch .LBB347_1010
.LBB347_1009:
	s_mov_b64 s[0:1], -1
                                        ; implicit-def: $vgpr4
.LBB347_1010:
	s_andn2_b64 vcc, exec, s[0:1]
	s_cbranch_vccnz .LBB347_1012
; %bb.1011:
	global_load_ubyte v4, v[0:1], off
.LBB347_1012:
	s_mov_b64 s[0:1], -1
.LBB347_1013:
	s_andn2_b64 vcc, exec, s[0:1]
	s_cbranch_vccnz .LBB347_1021
; %bb.1014:
	v_mul_lo_u32 v0, v2, s12
	s_waitcnt vmcnt(0)
	v_cmp_ne_u32_e32 vcc, v3, v4
	v_mov_b32_e32 v1, s9
	s_xor_b64 s[42:43], s[16:17], vcc
	v_ashrrev_i32_e32 v3, 31, v0
	s_and_b32 s51, s33, 0xff
	v_add_co_u32_e32 v0, vcc, s8, v0
	s_cmp_lt_i32 s51, 11
	v_addc_co_u32_e32 v1, vcc, v1, v3, vcc
	s_cbranch_scc1 .LBB347_1022
; %bb.1015:
	s_and_b32 s52, 0xffff, s51
	s_cmp_gt_i32 s52, 25
	s_cbranch_scc0 .LBB347_1023
; %bb.1016:
	s_cmp_gt_i32 s52, 28
	s_cbranch_scc0 .LBB347_1024
; %bb.1017:
	;; [unrolled: 3-line block ×4, first 2 shown]
	s_mov_b64 s[46:47], 0
	s_mov_b64 s[0:1], -1
	s_cmp_eq_u32 s52, 46
	s_mov_b64 s[44:45], 0
	s_cbranch_scc0 .LBB347_1027
; %bb.1020:
	v_cndmask_b32_e64 v3, 0, 1.0, s[42:43]
	v_bfe_u32 v4, v3, 16, 1
	s_movk_i32 s0, 0x7fff
	v_add3_u32 v3, v3, v4, s0
	v_lshrrev_b32_e32 v3, 16, v3
	global_store_dword v[0:1], v3, off
	s_mov_b64 s[44:45], -1
	s_mov_b64 s[0:1], 0
	s_branch .LBB347_1027
.LBB347_1021:
	s_mov_b64 s[44:45], 0
                                        ; implicit-def: $vgpr2
	s_mov_b64 s[0:1], s[30:31]
	s_branch .LBB347_1137
.LBB347_1022:
	s_mov_b64 s[46:47], -1
	s_mov_b64 s[44:45], 0
	s_mov_b64 s[0:1], s[30:31]
	s_branch .LBB347_1096
.LBB347_1023:
	s_mov_b64 s[46:47], -1
	s_mov_b64 s[44:45], 0
	s_mov_b64 s[0:1], s[30:31]
	s_branch .LBB347_1054
.LBB347_1024:
	s_mov_b64 s[46:47], -1
	s_mov_b64 s[44:45], 0
	s_mov_b64 s[0:1], s[30:31]
	s_branch .LBB347_1037
.LBB347_1025:
	s_mov_b64 s[46:47], -1
	s_mov_b64 s[44:45], 0
	s_mov_b64 s[0:1], s[30:31]
	s_branch .LBB347_1033
.LBB347_1026:
	s_mov_b64 s[46:47], -1
	s_mov_b64 s[44:45], 0
	s_mov_b64 s[0:1], s[30:31]
.LBB347_1027:
	s_and_b64 vcc, exec, s[46:47]
	s_cbranch_vccz .LBB347_1032
; %bb.1028:
	s_cmp_eq_u32 s52, 44
	s_mov_b64 s[0:1], -1
	s_cbranch_scc0 .LBB347_1032
; %bb.1029:
	v_cndmask_b32_e64 v4, 0, 1.0, s[42:43]
	v_lshrrev_b32_e32 v3, 23, v4
	s_movk_i32 s0, 0xff
	v_cmp_ne_u32_e32 vcc, s0, v3
	v_mov_b32_e32 v5, 0xff
	s_and_saveexec_b64 s[44:45], vcc
; %bb.1030:
	s_mov_b32 s0, 0x3fffff
	v_and_b32_e32 v5, 0x400000, v4
	v_and_or_b32 v4, v4, s0, v3
	v_cmp_ne_u32_e32 vcc, 0, v5
	v_cmp_ne_u32_e64 s[0:1], 0, v4
	s_and_b64 s[0:1], vcc, s[0:1]
	v_cndmask_b32_e64 v4, 0, 1, s[0:1]
	v_add_u32_e32 v5, v3, v4
; %bb.1031:
	s_or_b64 exec, exec, s[44:45]
	s_mov_b64 s[44:45], -1
	s_mov_b64 s[0:1], 0
	global_store_byte v[0:1], v5, off
.LBB347_1032:
	s_mov_b64 s[46:47], 0
.LBB347_1033:
	s_and_b64 vcc, exec, s[46:47]
	s_cbranch_vccz .LBB347_1036
; %bb.1034:
	s_cmp_eq_u32 s52, 29
	s_mov_b64 s[0:1], -1
	s_cbranch_scc0 .LBB347_1036
; %bb.1035:
	s_mov_b32 s0, 0
	v_cndmask_b32_e64 v3, 0, 1, s[42:43]
	v_mov_b32_e32 v4, s0
	global_store_dwordx2 v[0:1], v[3:4], off
	s_mov_b64 s[44:45], -1
	s_mov_b64 s[0:1], 0
.LBB347_1036:
	s_mov_b64 s[46:47], 0
.LBB347_1037:
	s_and_b64 vcc, exec, s[46:47]
	s_cbranch_vccz .LBB347_1053
; %bb.1038:
	s_cmp_lt_i32 s52, 27
	s_mov_b64 s[44:45], -1
	s_cbranch_scc1 .LBB347_1044
; %bb.1039:
	s_cmp_gt_i32 s52, 27
	s_cbranch_scc0 .LBB347_1041
; %bb.1040:
	v_cndmask_b32_e64 v3, 0, 1, s[42:43]
	s_mov_b64 s[44:45], 0
	global_store_dword v[0:1], v3, off
.LBB347_1041:
	s_andn2_b64 vcc, exec, s[44:45]
	s_cbranch_vccnz .LBB347_1043
; %bb.1042:
	v_cndmask_b32_e64 v3, 0, 1, s[42:43]
	global_store_short v[0:1], v3, off
.LBB347_1043:
	s_mov_b64 s[44:45], 0
.LBB347_1044:
	s_andn2_b64 vcc, exec, s[44:45]
	s_cbranch_vccnz .LBB347_1052
; %bb.1045:
	v_cndmask_b32_e64 v4, 0, 1.0, s[42:43]
	s_mov_b32 s44, 0x43800000
	v_cmp_gt_u32_e32 vcc, s44, v4
	v_mov_b32_e32 v5, 0x80
	s_and_saveexec_b64 s[44:45], vcc
	s_cbranch_execz .LBB347_1051
; %bb.1046:
	s_mov_b32 s46, 0x3bffffff
	v_cmp_lt_u32_e32 vcc, s46, v4
	s_mov_b64 s[46:47], 0
                                        ; implicit-def: $vgpr3
	s_and_saveexec_b64 s[48:49], vcc
	s_xor_b64 s[48:49], exec, s[48:49]
	s_cbranch_execz .LBB347_1153
; %bb.1047:
	v_bfe_u32 v3, v4, 20, 1
	s_mov_b32 s53, 0x487ffff
	v_add3_u32 v3, v4, v3, s53
	s_mov_b64 s[46:47], exec
	v_lshrrev_b32_e32 v3, 20, v3
                                        ; implicit-def: $vgpr4
	s_andn2_saveexec_b64 s[48:49], s[48:49]
	s_cbranch_execnz .LBB347_1154
.LBB347_1048:
	s_or_b64 exec, exec, s[48:49]
	v_mov_b32_e32 v5, 0
	s_and_saveexec_b64 s[48:49], s[46:47]
.LBB347_1049:
	v_mov_b32_e32 v5, v3
.LBB347_1050:
	s_or_b64 exec, exec, s[48:49]
.LBB347_1051:
	s_or_b64 exec, exec, s[44:45]
	global_store_byte v[0:1], v5, off
.LBB347_1052:
	s_mov_b64 s[44:45], -1
.LBB347_1053:
	s_mov_b64 s[46:47], 0
.LBB347_1054:
	s_and_b64 vcc, exec, s[46:47]
	s_cbranch_vccz .LBB347_1095
; %bb.1055:
	s_cmp_gt_i32 s52, 22
	s_mov_b64 s[46:47], -1
	s_cbranch_scc0 .LBB347_1087
; %bb.1056:
	s_cmp_lt_i32 s52, 24
	s_mov_b64 s[44:45], -1
	s_cbranch_scc1 .LBB347_1076
; %bb.1057:
	s_cmp_gt_i32 s52, 24
	s_cbranch_scc0 .LBB347_1065
; %bb.1058:
	v_cndmask_b32_e64 v4, 0, 1.0, s[42:43]
	s_mov_b32 s44, 0x47800000
	v_cmp_gt_u32_e32 vcc, s44, v4
	v_mov_b32_e32 v5, 0x80
	s_and_saveexec_b64 s[44:45], vcc
	s_cbranch_execz .LBB347_1064
; %bb.1059:
	s_mov_b32 s46, 0x37ffffff
	v_cmp_lt_u32_e32 vcc, s46, v4
	s_mov_b64 s[46:47], 0
                                        ; implicit-def: $vgpr3
	s_and_saveexec_b64 s[48:49], vcc
	s_xor_b64 s[48:49], exec, s[48:49]
	s_cbranch_execz .LBB347_2147
; %bb.1060:
	v_bfe_u32 v3, v4, 21, 1
	s_mov_b32 s53, 0x88fffff
	v_add3_u32 v3, v4, v3, s53
	s_mov_b64 s[46:47], exec
	v_lshrrev_b32_e32 v3, 21, v3
                                        ; implicit-def: $vgpr4
	s_andn2_saveexec_b64 s[48:49], s[48:49]
	s_cbranch_execnz .LBB347_2148
.LBB347_1061:
	s_or_b64 exec, exec, s[48:49]
	v_mov_b32_e32 v5, 0
	s_and_saveexec_b64 s[48:49], s[46:47]
.LBB347_1062:
	v_mov_b32_e32 v5, v3
.LBB347_1063:
	s_or_b64 exec, exec, s[48:49]
.LBB347_1064:
	s_or_b64 exec, exec, s[44:45]
	s_mov_b64 s[44:45], 0
	global_store_byte v[0:1], v5, off
.LBB347_1065:
	s_and_b64 vcc, exec, s[44:45]
	s_cbranch_vccz .LBB347_1075
; %bb.1066:
	v_cndmask_b32_e64 v3, 0, 1.0, s[42:43]
	s_mov_b32 s44, 0x43f00000
	v_cmp_gt_u32_e32 vcc, s44, v3
                                        ; implicit-def: $vgpr4
	s_and_saveexec_b64 s[44:45], vcc
	s_xor_b64 s[44:45], exec, s[44:45]
	s_cbranch_execz .LBB347_1072
; %bb.1067:
	s_mov_b32 s46, 0x3c7fffff
	v_cmp_lt_u32_e32 vcc, s46, v3
                                        ; implicit-def: $vgpr4
	s_and_saveexec_b64 s[46:47], vcc
	s_xor_b64 s[46:47], exec, s[46:47]
; %bb.1068:
	v_bfe_u32 v4, v3, 20, 1
	s_mov_b32 s48, 0x407ffff
	v_add3_u32 v3, v3, v4, s48
	v_lshrrev_b32_e32 v4, 20, v3
	v_and_b32_e32 v3, 0xff00000, v3
	s_mov_b32 s48, 0x7f00000
	v_mov_b32_e32 v5, 0x7e
	v_cmp_ne_u32_e32 vcc, s48, v3
	v_cndmask_b32_e32 v4, v5, v4, vcc
                                        ; implicit-def: $vgpr3
; %bb.1069:
	s_andn2_saveexec_b64 s[46:47], s[46:47]
; %bb.1070:
	v_add_f32_e32 v4, 0x46800000, v3
; %bb.1071:
	s_or_b64 exec, exec, s[46:47]
                                        ; implicit-def: $vgpr3
.LBB347_1072:
	s_andn2_saveexec_b64 s[44:45], s[44:45]
; %bb.1073:
	s_mov_b32 s46, 0x7f800000
	v_mov_b32_e32 v4, 0x7e
	v_mov_b32_e32 v5, 0x7f
	v_cmp_lt_u32_e32 vcc, s46, v3
	v_cndmask_b32_e32 v4, v4, v5, vcc
; %bb.1074:
	s_or_b64 exec, exec, s[44:45]
	global_store_byte v[0:1], v4, off
.LBB347_1075:
	s_mov_b64 s[44:45], 0
.LBB347_1076:
	s_andn2_b64 vcc, exec, s[44:45]
	s_cbranch_vccnz .LBB347_1086
; %bb.1077:
	v_cndmask_b32_e64 v3, 0, 1.0, s[42:43]
	s_mov_b32 s44, 0x47800000
	v_cmp_gt_u32_e32 vcc, s44, v3
                                        ; implicit-def: $vgpr4
	s_and_saveexec_b64 s[44:45], vcc
	s_xor_b64 s[44:45], exec, s[44:45]
	s_cbranch_execz .LBB347_1083
; %bb.1078:
	s_mov_b32 s46, 0x387fffff
	v_cmp_lt_u32_e32 vcc, s46, v3
                                        ; implicit-def: $vgpr4
	s_and_saveexec_b64 s[46:47], vcc
	s_xor_b64 s[46:47], exec, s[46:47]
; %bb.1079:
	v_bfe_u32 v4, v3, 21, 1
	s_mov_b32 s48, 0x80fffff
	v_add3_u32 v3, v3, v4, s48
	v_lshrrev_b32_e32 v4, 21, v3
                                        ; implicit-def: $vgpr3
; %bb.1080:
	s_andn2_saveexec_b64 s[46:47], s[46:47]
; %bb.1081:
	v_add_f32_e32 v4, 0x43000000, v3
; %bb.1082:
	s_or_b64 exec, exec, s[46:47]
                                        ; implicit-def: $vgpr3
.LBB347_1083:
	s_andn2_saveexec_b64 s[44:45], s[44:45]
; %bb.1084:
	s_mov_b32 s46, 0x7f800000
	v_mov_b32_e32 v4, 0x7c
	v_mov_b32_e32 v5, 0x7f
	v_cmp_lt_u32_e32 vcc, s46, v3
	v_cndmask_b32_e32 v4, v4, v5, vcc
; %bb.1085:
	s_or_b64 exec, exec, s[44:45]
	global_store_byte v[0:1], v4, off
.LBB347_1086:
	s_mov_b64 s[46:47], 0
	s_mov_b64 s[44:45], -1
.LBB347_1087:
	s_andn2_b64 vcc, exec, s[46:47]
	s_cbranch_vccnz .LBB347_1095
; %bb.1088:
	s_cmp_gt_i32 s52, 14
	s_mov_b64 s[46:47], -1
	s_cbranch_scc0 .LBB347_1092
; %bb.1089:
	s_cmp_eq_u32 s52, 15
	s_mov_b64 s[0:1], -1
	s_cbranch_scc0 .LBB347_1091
; %bb.1090:
	v_cndmask_b32_e64 v3, 0, 1.0, s[42:43]
	v_bfe_u32 v4, v3, 16, 1
	s_movk_i32 s0, 0x7fff
	v_add3_u32 v3, v3, v4, s0
	global_store_short_d16_hi v[0:1], v3, off
	s_mov_b64 s[44:45], -1
	s_mov_b64 s[0:1], 0
.LBB347_1091:
	s_mov_b64 s[46:47], 0
.LBB347_1092:
	s_and_b64 vcc, exec, s[46:47]
	s_cbranch_vccz .LBB347_1095
; %bb.1093:
	s_cmp_eq_u32 s52, 11
	s_mov_b64 s[0:1], -1
	s_cbranch_scc0 .LBB347_1095
; %bb.1094:
	v_cndmask_b32_e64 v3, 0, 1, s[42:43]
	s_mov_b64 s[44:45], -1
	s_mov_b64 s[0:1], 0
	global_store_byte v[0:1], v3, off
.LBB347_1095:
	s_mov_b64 s[46:47], 0
.LBB347_1096:
	s_and_b64 vcc, exec, s[46:47]
	s_cbranch_vccz .LBB347_1135
; %bb.1097:
	s_and_b32 s46, 0xffff, s51
	s_cmp_lt_i32 s46, 5
	s_mov_b64 s[44:45], -1
	s_cbranch_scc1 .LBB347_1118
; %bb.1098:
	s_cmp_lt_i32 s46, 8
	s_cbranch_scc1 .LBB347_1108
; %bb.1099:
	s_cmp_lt_i32 s46, 9
	s_cbranch_scc1 .LBB347_1105
; %bb.1100:
	s_cmp_gt_i32 s46, 9
	s_cbranch_scc0 .LBB347_1102
; %bb.1101:
	v_cndmask_b32_e64 v3, 0, 1, s[42:43]
	v_cvt_f64_u32_e32 v[3:4], v3
	v_mov_b32_e32 v5, 0
	v_mov_b32_e32 v6, v5
	s_mov_b64 s[44:45], 0
	global_store_dwordx4 v[0:1], v[3:6], off
.LBB347_1102:
	s_andn2_b64 vcc, exec, s[44:45]
	s_cbranch_vccnz .LBB347_1104
; %bb.1103:
	v_cndmask_b32_e64 v3, 0, 1.0, s[42:43]
	v_mov_b32_e32 v4, 0
	global_store_dwordx2 v[0:1], v[3:4], off
.LBB347_1104:
	s_mov_b64 s[44:45], 0
.LBB347_1105:
	s_andn2_b64 vcc, exec, s[44:45]
	s_cbranch_vccnz .LBB347_1107
; %bb.1106:
	v_cndmask_b32_e64 v3, 0, 1.0, s[42:43]
	v_cvt_f16_f32_e32 v3, v3
	global_store_dword v[0:1], v3, off
.LBB347_1107:
	s_mov_b64 s[44:45], 0
.LBB347_1108:
	s_andn2_b64 vcc, exec, s[44:45]
	s_cbranch_vccnz .LBB347_1117
; %bb.1109:
	s_cmp_lt_i32 s46, 6
	s_mov_b64 s[44:45], -1
	s_cbranch_scc1 .LBB347_1115
; %bb.1110:
	s_cmp_gt_i32 s46, 6
	s_cbranch_scc0 .LBB347_1112
; %bb.1111:
	v_cndmask_b32_e64 v3, 0, 1, s[42:43]
	v_cvt_f64_u32_e32 v[3:4], v3
	s_mov_b64 s[44:45], 0
	global_store_dwordx2 v[0:1], v[3:4], off
.LBB347_1112:
	s_andn2_b64 vcc, exec, s[44:45]
	s_cbranch_vccnz .LBB347_1114
; %bb.1113:
	v_cndmask_b32_e64 v3, 0, 1.0, s[42:43]
	global_store_dword v[0:1], v3, off
.LBB347_1114:
	s_mov_b64 s[44:45], 0
.LBB347_1115:
	s_andn2_b64 vcc, exec, s[44:45]
	s_cbranch_vccnz .LBB347_1117
; %bb.1116:
	v_cndmask_b32_e64 v3, 0, 1.0, s[42:43]
	v_cvt_f16_f32_e32 v3, v3
	global_store_short v[0:1], v3, off
.LBB347_1117:
	s_mov_b64 s[44:45], 0
.LBB347_1118:
	s_andn2_b64 vcc, exec, s[44:45]
	s_cbranch_vccnz .LBB347_1134
; %bb.1119:
	s_cmp_lt_i32 s46, 2
	s_mov_b64 s[44:45], -1
	s_cbranch_scc1 .LBB347_1129
; %bb.1120:
	s_cmp_lt_i32 s46, 3
	s_cbranch_scc1 .LBB347_1126
; %bb.1121:
	s_cmp_gt_i32 s46, 3
	s_cbranch_scc0 .LBB347_1123
; %bb.1122:
	s_mov_b32 s44, 0
	v_cndmask_b32_e64 v3, 0, 1, s[42:43]
	v_mov_b32_e32 v4, s44
	s_mov_b64 s[44:45], 0
	global_store_dwordx2 v[0:1], v[3:4], off
.LBB347_1123:
	s_andn2_b64 vcc, exec, s[44:45]
	s_cbranch_vccnz .LBB347_1125
; %bb.1124:
	v_cndmask_b32_e64 v3, 0, 1, s[42:43]
	global_store_dword v[0:1], v3, off
.LBB347_1125:
	s_mov_b64 s[44:45], 0
.LBB347_1126:
	s_andn2_b64 vcc, exec, s[44:45]
	s_cbranch_vccnz .LBB347_1128
; %bb.1127:
	v_cndmask_b32_e64 v3, 0, 1, s[42:43]
	global_store_short v[0:1], v3, off
.LBB347_1128:
	s_mov_b64 s[44:45], 0
.LBB347_1129:
	s_andn2_b64 vcc, exec, s[44:45]
	s_cbranch_vccnz .LBB347_1134
; %bb.1130:
	s_mov_b64 s[44:45], -1
	s_cmp_gt_i32 s46, 0
	v_cndmask_b32_e64 v3, 0, 1, s[42:43]
	s_cbranch_scc0 .LBB347_1132
; %bb.1131:
	s_mov_b64 s[44:45], 0
	global_store_byte v[0:1], v3, off
.LBB347_1132:
	s_andn2_b64 vcc, exec, s[44:45]
	s_cbranch_vccnz .LBB347_1134
; %bb.1133:
	global_store_byte v[0:1], v3, off
.LBB347_1134:
	s_mov_b64 s[44:45], -1
.LBB347_1135:
	s_andn2_b64 vcc, exec, s[44:45]
	s_cbranch_vccnz .LBB347_1148
; %bb.1136:
	v_add_u32_e32 v2, 0x80, v2
	s_mov_b64 s[44:45], -1
.LBB347_1137:
	s_andn2_b64 s[42:43], s[30:31], exec
	s_and_b64 s[0:1], s[0:1], exec
	s_or_b64 s[42:43], s[42:43], s[0:1]
	s_andn2_b64 s[0:1], s[28:29], exec
	s_and_b64 s[40:41], s[40:41], exec
	s_or_b64 s[40:41], s[0:1], s[40:41]
	s_andn2_b64 s[0:1], s[26:27], exec
	s_and_b64 s[38:39], s[38:39], exec
	s_or_b64 s[0:1], s[0:1], s[38:39]
	s_orn2_b64 s[48:49], s[44:45], exec
.LBB347_1138:
	s_or_b64 exec, exec, s[36:37]
	s_mov_b64 s[44:45], 0
	s_mov_b64 s[38:39], 0
	;; [unrolled: 1-line block ×3, first 2 shown]
                                        ; implicit-def: $sgpr58
                                        ; implicit-def: $vgpr0_vgpr1
                                        ; implicit-def: $vgpr3
	s_and_saveexec_b64 s[36:37], s[48:49]
	s_cbranch_execz .LBB347_1218
; %bb.1139:
	v_cmp_gt_i32_e32 vcc, s50, v2
	s_mov_b64 s[48:49], 0
	s_mov_b64 s[50:51], s[0:1]
	;; [unrolled: 1-line block ×4, first 2 shown]
                                        ; implicit-def: $sgpr58
                                        ; implicit-def: $vgpr0_vgpr1
                                        ; implicit-def: $vgpr3
	s_and_saveexec_b64 s[38:39], vcc
	s_cbranch_execz .LBB347_1217
; %bb.1140:
	v_mul_lo_u32 v0, v2, s13
	v_mov_b32_e32 v1, s11
	s_and_b32 s58, s57, 0xff
	s_cmp_lt_i32 s58, 11
	s_waitcnt vmcnt(0)
	v_ashrrev_i32_e32 v3, 31, v0
	v_add_co_u32_e32 v0, vcc, s10, v0
	v_addc_co_u32_e32 v1, vcc, v1, v3, vcc
	s_cbranch_scc1 .LBB347_1147
; %bb.1141:
	s_and_b32 s52, 0xffff, s58
	s_cmp_gt_i32 s52, 25
	s_cbranch_scc0 .LBB347_1149
; %bb.1142:
	s_cmp_gt_i32 s52, 28
	s_cbranch_scc0 .LBB347_1150
; %bb.1143:
	;; [unrolled: 3-line block ×4, first 2 shown]
	s_cmp_eq_u32 s52, 46
	s_mov_b64 s[50:51], 0
	s_cbranch_scc0 .LBB347_1155
; %bb.1146:
	global_load_dword v3, v[0:1], off
	s_mov_b64 s[48:49], -1
	s_waitcnt vmcnt(0)
	v_lshlrev_b32_e32 v3, 16, v3
	v_cvt_u32_f32_e32 v3, v3
	s_branch .LBB347_1157
.LBB347_1147:
	s_mov_b64 s[50:51], -1
                                        ; implicit-def: $vgpr3
	s_mov_b64 s[44:45], s[0:1]
	s_branch .LBB347_1216
.LBB347_1148:
	s_mov_b64 s[44:45], 0
	s_branch .LBB347_894
.LBB347_1149:
	s_mov_b64 s[50:51], -1
	s_mov_b64 s[44:45], s[0:1]
                                        ; implicit-def: $vgpr3
	s_branch .LBB347_1184
.LBB347_1150:
	s_mov_b64 s[50:51], -1
	s_mov_b64 s[44:45], s[0:1]
                                        ; implicit-def: $vgpr3
	s_branch .LBB347_1167
.LBB347_1151:
	s_mov_b64 s[50:51], -1
	s_mov_b64 s[44:45], s[0:1]
                                        ; implicit-def: $vgpr3
	s_branch .LBB347_1162
.LBB347_1152:
	s_mov_b64 s[50:51], -1
	s_mov_b64 s[44:45], s[0:1]
	s_branch .LBB347_1156
.LBB347_1153:
	s_andn2_saveexec_b64 s[48:49], s[48:49]
	s_cbranch_execz .LBB347_1048
.LBB347_1154:
	v_add_f32_e32 v3, 0x46000000, v4
	v_and_b32_e32 v3, 0xff, v3
	v_cmp_ne_u32_e32 vcc, 0, v3
	s_andn2_b64 s[46:47], s[46:47], exec
	s_and_b64 s[54:55], vcc, exec
	s_or_b64 s[46:47], s[46:47], s[54:55]
	s_or_b64 exec, exec, s[48:49]
	v_mov_b32_e32 v5, 0
	s_and_saveexec_b64 s[48:49], s[46:47]
	s_cbranch_execnz .LBB347_1049
	s_branch .LBB347_1050
.LBB347_1155:
	s_mov_b64 s[44:45], -1
.LBB347_1156:
                                        ; implicit-def: $vgpr3
.LBB347_1157:
	s_and_b64 vcc, exec, s[50:51]
	s_cbranch_vccz .LBB347_1161
; %bb.1158:
	s_cmp_eq_u32 s52, 44
	s_cbranch_scc0 .LBB347_1160
; %bb.1159:
	global_load_ubyte v3, v[0:1], off
	s_mov_b64 s[44:45], 0
	s_mov_b64 s[48:49], -1
	s_waitcnt vmcnt(0)
	v_lshlrev_b32_e32 v4, 23, v3
	v_cvt_u32_f32_e32 v4, v4
	v_cmp_ne_u32_e32 vcc, 0, v3
	v_cndmask_b32_e32 v3, 0, v4, vcc
	s_branch .LBB347_1161
.LBB347_1160:
	s_mov_b64 s[44:45], -1
                                        ; implicit-def: $vgpr3
.LBB347_1161:
	s_mov_b64 s[50:51], 0
.LBB347_1162:
	s_and_b64 vcc, exec, s[50:51]
	s_cbranch_vccz .LBB347_1166
; %bb.1163:
	s_cmp_eq_u32 s52, 29
	s_cbranch_scc0 .LBB347_1165
; %bb.1164:
	global_load_dword v3, v[0:1], off
	s_mov_b64 s[44:45], 0
	s_mov_b64 s[48:49], -1
	s_branch .LBB347_1166
.LBB347_1165:
	s_mov_b64 s[44:45], -1
                                        ; implicit-def: $vgpr3
.LBB347_1166:
	s_mov_b64 s[50:51], 0
.LBB347_1167:
	s_and_b64 vcc, exec, s[50:51]
	s_cbranch_vccz .LBB347_1183
; %bb.1168:
	s_cmp_lt_i32 s52, 27
	s_cbranch_scc1 .LBB347_1171
; %bb.1169:
	s_cmp_gt_i32 s52, 27
	s_cbranch_scc0 .LBB347_1172
; %bb.1170:
	global_load_dword v3, v[0:1], off
	s_mov_b64 s[48:49], 0
	s_branch .LBB347_1173
.LBB347_1171:
	s_mov_b64 s[48:49], -1
                                        ; implicit-def: $vgpr3
	s_branch .LBB347_1176
.LBB347_1172:
	s_mov_b64 s[48:49], -1
                                        ; implicit-def: $vgpr3
.LBB347_1173:
	s_andn2_b64 vcc, exec, s[48:49]
	s_cbranch_vccnz .LBB347_1175
; %bb.1174:
	global_load_ushort v3, v[0:1], off
.LBB347_1175:
	s_mov_b64 s[48:49], 0
.LBB347_1176:
	s_andn2_b64 vcc, exec, s[48:49]
	s_cbranch_vccnz .LBB347_1182
; %bb.1177:
	global_load_ubyte v4, v[0:1], off
	s_movk_i32 s48, 0x7f
	s_mov_b64 s[50:51], 0
	s_waitcnt vmcnt(0)
	v_cmp_lt_i16_e32 vcc, s48, v4
	s_and_saveexec_b64 s[48:49], vcc
	s_xor_b64 s[48:49], exec, s[48:49]
	s_cbranch_execz .LBB347_1194
; %bb.1178:
	s_movk_i32 s50, 0x80
	v_cmp_ne_u16_e32 vcc, s50, v4
	s_and_b64 s[50:51], vcc, exec
	s_andn2_saveexec_b64 s[48:49], s[48:49]
	s_cbranch_execnz .LBB347_1195
.LBB347_1179:
	s_or_b64 exec, exec, s[48:49]
	v_mov_b32_e32 v3, 0
	s_and_saveexec_b64 s[48:49], s[50:51]
	s_cbranch_execz .LBB347_1181
.LBB347_1180:
	v_lshlrev_b32_e32 v3, 24, v4
	v_and_b32_e32 v4, 0xffff, v4
	v_and_b32_e32 v5, 7, v4
	v_ffbh_u32_e32 v7, v5
	v_min_u32_e32 v7, 32, v7
	v_subrev_u32_e32 v8, 28, v7
	v_bfe_u32 v6, v4, 3, 4
	v_lshlrev_b32_e32 v4, v8, v4
	v_sub_u32_e32 v7, 29, v7
	v_and_b32_e32 v4, 7, v4
	v_cmp_eq_u32_e32 vcc, 0, v6
	v_cndmask_b32_e32 v6, v6, v7, vcc
	v_cndmask_b32_e32 v4, v5, v4, vcc
	v_mov_b32_e32 v5, 0x3b800000
	v_lshlrev_b32_e32 v4, 20, v4
	v_and_b32_e32 v3, 0x80000000, v3
	v_lshl_add_u32 v5, v6, 23, v5
	v_or3_b32 v3, v3, v5, v4
	v_cvt_u32_f32_e32 v3, v3
.LBB347_1181:
	s_or_b64 exec, exec, s[48:49]
.LBB347_1182:
	s_mov_b64 s[48:49], -1
.LBB347_1183:
	s_mov_b64 s[50:51], 0
.LBB347_1184:
	s_and_b64 vcc, exec, s[50:51]
	s_cbranch_vccz .LBB347_1215
; %bb.1185:
	s_cmp_gt_i32 s52, 22
	s_cbranch_scc0 .LBB347_1193
; %bb.1186:
	s_cmp_lt_i32 s52, 24
	s_cbranch_scc1 .LBB347_1196
; %bb.1187:
	s_cmp_gt_i32 s52, 24
	s_cbranch_scc0 .LBB347_1197
; %bb.1188:
	global_load_ubyte v4, v[0:1], off
	s_movk_i32 s46, 0x7f
	s_mov_b64 s[48:49], 0
	s_waitcnt vmcnt(0)
	v_cmp_lt_i16_e32 vcc, s46, v4
	s_and_saveexec_b64 s[46:47], vcc
	s_xor_b64 s[46:47], exec, s[46:47]
	s_cbranch_execz .LBB347_1209
; %bb.1189:
	s_movk_i32 s48, 0x80
	v_cmp_ne_u16_e32 vcc, s48, v4
	s_and_b64 s[48:49], vcc, exec
	s_andn2_saveexec_b64 s[46:47], s[46:47]
	s_cbranch_execnz .LBB347_1210
.LBB347_1190:
	s_or_b64 exec, exec, s[46:47]
	v_mov_b32_e32 v3, 0
	s_and_saveexec_b64 s[46:47], s[48:49]
	s_cbranch_execz .LBB347_1192
.LBB347_1191:
	v_lshlrev_b32_e32 v3, 24, v4
	v_and_b32_e32 v4, 0xffff, v4
	v_and_b32_e32 v5, 3, v4
	v_ffbh_u32_e32 v7, v5
	v_min_u32_e32 v7, 32, v7
	v_subrev_u32_e32 v8, 29, v7
	v_bfe_u32 v6, v4, 2, 5
	v_lshlrev_b32_e32 v4, v8, v4
	v_sub_u32_e32 v7, 30, v7
	v_and_b32_e32 v4, 3, v4
	v_cmp_eq_u32_e32 vcc, 0, v6
	v_cndmask_b32_e32 v6, v6, v7, vcc
	v_cndmask_b32_e32 v4, v5, v4, vcc
	v_mov_b32_e32 v5, 0x37800000
	v_lshlrev_b32_e32 v4, 21, v4
	v_and_b32_e32 v3, 0x80000000, v3
	v_lshl_add_u32 v5, v6, 23, v5
	v_or3_b32 v3, v3, v5, v4
	v_cvt_u32_f32_e32 v3, v3
.LBB347_1192:
	s_or_b64 exec, exec, s[46:47]
	s_mov_b64 s[46:47], 0
	s_branch .LBB347_1198
.LBB347_1193:
	s_mov_b64 s[46:47], -1
                                        ; implicit-def: $vgpr3
	s_branch .LBB347_1204
.LBB347_1194:
	s_andn2_saveexec_b64 s[48:49], s[48:49]
	s_cbranch_execz .LBB347_1179
.LBB347_1195:
	v_cmp_ne_u16_e32 vcc, 0, v4
	s_andn2_b64 s[50:51], s[50:51], exec
	s_and_b64 s[54:55], vcc, exec
	s_or_b64 s[50:51], s[50:51], s[54:55]
	s_or_b64 exec, exec, s[48:49]
	v_mov_b32_e32 v3, 0
	s_and_saveexec_b64 s[48:49], s[50:51]
	s_cbranch_execnz .LBB347_1180
	s_branch .LBB347_1181
.LBB347_1196:
	s_mov_b64 s[46:47], -1
                                        ; implicit-def: $vgpr3
	s_branch .LBB347_1201
.LBB347_1197:
	s_mov_b64 s[46:47], -1
                                        ; implicit-def: $vgpr3
.LBB347_1198:
	s_and_b64 vcc, exec, s[46:47]
	s_cbranch_vccz .LBB347_1200
; %bb.1199:
	global_load_ubyte v3, v[0:1], off
	s_mov_b32 s46, 0x7f800000
	s_waitcnt vmcnt(0)
	v_lshlrev_b32_e32 v3, 24, v3
	v_and_b32_e32 v4, 0x7f000000, v3
	v_ffbh_u32_e32 v5, v4
	v_min_u32_e32 v5, 32, v5
	v_sub_u32_e64 v5, v5, 4 clamp
	v_lshlrev_b32_e32 v7, v5, v4
	v_lshlrev_b32_e32 v5, 23, v5
	v_lshrrev_b32_e32 v7, 4, v7
	v_add_u32_e32 v6, 0x1000000, v4
	v_sub_u32_e32 v5, v7, v5
	v_ashrrev_i32_e32 v6, 8, v6
	v_add_u32_e32 v5, 0x3c000000, v5
	v_and_or_b32 v5, v6, s46, v5
	v_cmp_ne_u32_e32 vcc, 0, v4
	v_cndmask_b32_e32 v4, 0, v5, vcc
	s_brev_b32 s46, 1
	v_and_or_b32 v3, v3, s46, v4
	v_cvt_u32_f32_e32 v3, v3
.LBB347_1200:
	s_mov_b64 s[46:47], 0
.LBB347_1201:
	s_andn2_b64 vcc, exec, s[46:47]
	s_cbranch_vccnz .LBB347_1203
; %bb.1202:
	global_load_ubyte v3, v[0:1], off
	s_movk_i32 s46, 0x7f00
	s_brev_b32 s47, 16
	s_waitcnt vmcnt(0)
	v_lshlrev_b16_e32 v4, 8, v3
	v_lshlrev_b32_e32 v3, 25, v3
	v_lshrrev_b32_e32 v5, 4, v3
	v_and_or_b32 v6, v4, s46, 0.5
	v_or_b32_e32 v5, 0x70000000, v5
	v_add_f32_e32 v6, -0.5, v6
	v_mul_f32_e32 v5, 0x7800000, v5
	v_cmp_gt_u32_e32 vcc, s47, v3
	v_bfe_i32 v4, v4, 0, 16
	v_cndmask_b32_e32 v3, v5, v6, vcc
	s_brev_b32 s46, 1
	v_and_or_b32 v3, v4, s46, v3
	v_cvt_u32_f32_e32 v3, v3
.LBB347_1203:
	s_mov_b64 s[46:47], 0
	s_mov_b64 s[48:49], -1
.LBB347_1204:
	s_andn2_b64 vcc, exec, s[46:47]
	s_mov_b64 s[46:47], 0
	s_cbranch_vccnz .LBB347_1215
; %bb.1205:
	s_cmp_gt_i32 s52, 14
	s_cbranch_scc0 .LBB347_1208
; %bb.1206:
	s_cmp_eq_u32 s52, 15
	s_cbranch_scc0 .LBB347_1211
; %bb.1207:
	global_load_ushort v3, v[0:1], off
	s_mov_b64 s[44:45], 0
	s_mov_b64 s[48:49], -1
	s_waitcnt vmcnt(0)
	v_lshlrev_b32_e32 v3, 16, v3
	v_cvt_u32_f32_e32 v3, v3
	s_branch .LBB347_1212
.LBB347_1208:
	s_mov_b64 s[50:51], -1
                                        ; implicit-def: $vgpr3
	s_branch .LBB347_1213
.LBB347_1209:
	s_andn2_saveexec_b64 s[46:47], s[46:47]
	s_cbranch_execz .LBB347_1190
.LBB347_1210:
	v_cmp_ne_u16_e32 vcc, 0, v4
	s_andn2_b64 s[48:49], s[48:49], exec
	s_and_b64 s[50:51], vcc, exec
	s_or_b64 s[48:49], s[48:49], s[50:51]
	s_or_b64 exec, exec, s[46:47]
	v_mov_b32_e32 v3, 0
	s_and_saveexec_b64 s[46:47], s[48:49]
	s_cbranch_execnz .LBB347_1191
	s_branch .LBB347_1192
.LBB347_1211:
	s_mov_b64 s[44:45], -1
                                        ; implicit-def: $vgpr3
.LBB347_1212:
	s_mov_b64 s[50:51], 0
.LBB347_1213:
	s_and_b64 vcc, exec, s[50:51]
	s_cbranch_vccz .LBB347_1215
; %bb.1214:
	s_cmp_lg_u32 s52, 11
	s_cselect_b64 s[50:51], -1, 0
	s_andn2_b64 s[44:45], s[44:45], exec
	s_and_b64 s[50:51], s[50:51], exec
	s_mov_b64 s[46:47], -1
	s_or_b64 s[44:45], s[44:45], s[50:51]
.LBB347_1215:
	s_mov_b64 s[50:51], 0
.LBB347_1216:
	s_and_b64 s[54:55], s[48:49], exec
	s_and_b64 s[48:49], s[46:47], exec
	s_andn2_b64 s[46:47], s[0:1], exec
	s_and_b64 s[44:45], s[44:45], exec
	s_and_b64 s[52:53], s[50:51], exec
	s_or_b64 s[50:51], s[46:47], s[44:45]
.LBB347_1217:
	s_or_b64 exec, exec, s[38:39]
	s_and_b64 s[44:45], s[48:49], exec
	s_andn2_b64 s[0:1], s[0:1], exec
	s_and_b64 s[48:49], s[50:51], exec
	s_and_b64 s[46:47], s[54:55], exec
	;; [unrolled: 1-line block ×3, first 2 shown]
	s_or_b64 s[0:1], s[0:1], s[48:49]
.LBB347_1218:
	s_or_b64 exec, exec, s[36:37]
	s_andn2_b64 s[30:31], s[30:31], exec
	s_and_b64 s[36:37], s[42:43], exec
	s_or_b64 s[30:31], s[30:31], s[36:37]
	s_andn2_b64 s[28:29], s[28:29], exec
	s_and_b64 s[36:37], s[40:41], exec
	s_andn2_b64 s[26:27], s[26:27], exec
	s_and_b64 s[0:1], s[0:1], exec
	s_or_b64 s[28:29], s[28:29], s[36:37]
	s_and_b64 s[40:41], s[46:47], exec
	s_and_b64 s[38:39], s[38:39], exec
	;; [unrolled: 1-line block ×3, first 2 shown]
	s_or_b64 s[26:27], s[26:27], s[0:1]
.LBB347_1219:
	s_or_b64 exec, exec, s[34:35]
	s_andn2_b64 s[0:1], s[18:19], exec
	s_and_b64 s[18:19], s[30:31], exec
	s_or_b64 s[18:19], s[0:1], s[18:19]
	s_andn2_b64 s[0:1], s[20:21], exec
	s_and_b64 s[20:21], s[28:29], exec
	s_or_b64 s[20:21], s[0:1], s[20:21]
	s_andn2_b64 s[0:1], s[22:23], exec
	s_and_b64 s[22:23], s[26:27], exec
	s_and_b64 s[30:31], s[40:41], exec
	;; [unrolled: 1-line block ×4, first 2 shown]
	s_or_b64 s[22:23], s[0:1], s[22:23]
	s_or_b64 exec, exec, s[24:25]
	s_mov_b64 s[24:25], 0
	s_and_saveexec_b64 s[0:1], s[22:23]
	s_cbranch_execz .LBB347_385
.LBB347_1220:
	s_mov_b64 s[24:25], exec
	s_andn2_b64 s[28:29], s[28:29], exec
	s_trap 2
	s_or_b64 exec, exec, s[0:1]
	s_and_saveexec_b64 s[0:1], s[28:29]
	s_xor_b64 s[0:1], exec, s[0:1]
	s_cbranch_execnz .LBB347_386
.LBB347_1221:
	s_or_b64 exec, exec, s[0:1]
	s_and_saveexec_b64 s[0:1], s[34:35]
	s_cbranch_execz .LBB347_1267
.LBB347_1222:
	s_sext_i32_i16 s22, s58
	s_cmp_lt_i32 s22, 5
	s_cbranch_scc1 .LBB347_1227
; %bb.1223:
	s_cmp_lt_i32 s22, 8
	s_cbranch_scc1 .LBB347_1228
; %bb.1224:
	;; [unrolled: 3-line block ×3, first 2 shown]
	s_cmp_gt_i32 s22, 9
	s_cbranch_scc0 .LBB347_1230
; %bb.1226:
	global_load_dwordx2 v[3:4], v[0:1], off
	s_mov_b64 s[22:23], 0
	s_waitcnt vmcnt(0)
	v_cvt_u32_f64_e32 v3, v[3:4]
	s_branch .LBB347_1231
.LBB347_1227:
                                        ; implicit-def: $vgpr3
	s_branch .LBB347_1248
.LBB347_1228:
                                        ; implicit-def: $vgpr3
	s_branch .LBB347_1237
.LBB347_1229:
	s_mov_b64 s[22:23], -1
                                        ; implicit-def: $vgpr3
	s_branch .LBB347_1234
.LBB347_1230:
	s_mov_b64 s[22:23], -1
                                        ; implicit-def: $vgpr3
.LBB347_1231:
	s_andn2_b64 vcc, exec, s[22:23]
	s_cbranch_vccnz .LBB347_1233
; %bb.1232:
	global_load_dword v3, v[0:1], off
	s_waitcnt vmcnt(0)
	v_cvt_u32_f32_e32 v3, v3
.LBB347_1233:
	s_mov_b64 s[22:23], 0
.LBB347_1234:
	s_andn2_b64 vcc, exec, s[22:23]
	s_cbranch_vccnz .LBB347_1236
; %bb.1235:
	global_load_dword v3, v[0:1], off
	s_waitcnt vmcnt(0)
	v_cvt_f32_f16_e32 v3, v3
	v_cvt_u32_f32_e32 v3, v3
.LBB347_1236:
	s_cbranch_execnz .LBB347_1247
.LBB347_1237:
	s_sext_i32_i16 s22, s58
	s_cmp_lt_i32 s22, 6
	s_cbranch_scc1 .LBB347_1240
; %bb.1238:
	s_cmp_gt_i32 s22, 6
	s_cbranch_scc0 .LBB347_1241
; %bb.1239:
	global_load_dwordx2 v[3:4], v[0:1], off
	s_mov_b64 s[22:23], 0
	s_waitcnt vmcnt(0)
	v_cvt_u32_f64_e32 v3, v[3:4]
	s_branch .LBB347_1242
.LBB347_1240:
	s_mov_b64 s[22:23], -1
                                        ; implicit-def: $vgpr3
	s_branch .LBB347_1245
.LBB347_1241:
	s_mov_b64 s[22:23], -1
                                        ; implicit-def: $vgpr3
.LBB347_1242:
	s_andn2_b64 vcc, exec, s[22:23]
	s_cbranch_vccnz .LBB347_1244
; %bb.1243:
	global_load_dword v3, v[0:1], off
	s_waitcnt vmcnt(0)
	v_cvt_u32_f32_e32 v3, v3
.LBB347_1244:
	s_mov_b64 s[22:23], 0
.LBB347_1245:
	s_andn2_b64 vcc, exec, s[22:23]
	s_cbranch_vccnz .LBB347_1247
; %bb.1246:
	global_load_ushort v3, v[0:1], off
	s_waitcnt vmcnt(0)
	v_cvt_f32_f16_e32 v3, v3
	v_cvt_u32_f32_e32 v3, v3
.LBB347_1247:
	s_cbranch_execnz .LBB347_1266
.LBB347_1248:
	s_sext_i32_i16 s22, s58
	s_cmp_lt_i32 s22, 2
	s_cbranch_scc1 .LBB347_1252
; %bb.1249:
	s_cmp_lt_i32 s22, 3
	s_cbranch_scc1 .LBB347_1253
; %bb.1250:
	s_cmp_gt_i32 s22, 3
	s_cbranch_scc0 .LBB347_1254
; %bb.1251:
	global_load_dword v3, v[0:1], off
	s_mov_b64 s[22:23], 0
	s_branch .LBB347_1255
.LBB347_1252:
                                        ; implicit-def: $vgpr3
	s_branch .LBB347_1261
.LBB347_1253:
	s_mov_b64 s[22:23], -1
                                        ; implicit-def: $vgpr3
	s_branch .LBB347_1258
.LBB347_1254:
	s_mov_b64 s[22:23], -1
                                        ; implicit-def: $vgpr3
.LBB347_1255:
	s_andn2_b64 vcc, exec, s[22:23]
	s_cbranch_vccnz .LBB347_1257
; %bb.1256:
	global_load_dword v3, v[0:1], off
.LBB347_1257:
	s_mov_b64 s[22:23], 0
.LBB347_1258:
	s_andn2_b64 vcc, exec, s[22:23]
	s_cbranch_vccnz .LBB347_1260
; %bb.1259:
	global_load_sshort v3, v[0:1], off
.LBB347_1260:
	s_cbranch_execnz .LBB347_1266
.LBB347_1261:
	s_sext_i32_i16 s22, s58
	s_cmp_gt_i32 s22, 0
	s_cbranch_scc0 .LBB347_1263
; %bb.1262:
	global_load_sbyte v3, v[0:1], off
	s_mov_b64 s[22:23], 0
	s_branch .LBB347_1264
.LBB347_1263:
	s_mov_b64 s[22:23], -1
                                        ; implicit-def: $vgpr3
.LBB347_1264:
	s_andn2_b64 vcc, exec, s[22:23]
	s_cbranch_vccnz .LBB347_1266
; %bb.1265:
	global_load_ubyte v3, v[0:1], off
.LBB347_1266:
	s_or_b64 s[30:31], s[30:31], exec
.LBB347_1267:
	s_or_b64 exec, exec, s[0:1]
	s_mov_b64 s[28:29], 0
	s_mov_b64 s[34:35], 0
	s_mov_b64 s[26:27], 0
                                        ; implicit-def: $sgpr36
                                        ; implicit-def: $vgpr0_vgpr1
                                        ; implicit-def: $vgpr4
	s_and_saveexec_b64 s[0:1], s[30:31]
	s_cbranch_execz .LBB347_1275
; %bb.1268:
	v_mul_lo_u32 v0, v2, s14
	v_mov_b32_e32 v1, s3
	s_and_b32 s36, s56, 0xff
	s_cmp_lt_i32 s36, 11
	s_waitcnt vmcnt(0)
	v_ashrrev_i32_e32 v4, 31, v0
	v_add_co_u32_e32 v0, vcc, s2, v0
	v_addc_co_u32_e32 v1, vcc, v1, v4, vcc
	s_cbranch_scc1 .LBB347_1278
; %bb.1269:
	s_and_b32 s34, 0xffff, s36
	s_cmp_gt_i32 s34, 25
	s_cbranch_scc0 .LBB347_1279
; %bb.1270:
	s_cmp_gt_i32 s34, 28
	s_cbranch_scc0 .LBB347_1280
; %bb.1271:
	;; [unrolled: 3-line block ×4, first 2 shown]
	s_cmp_eq_u32 s34, 46
	s_mov_b64 s[30:31], 0
	s_cbranch_scc0 .LBB347_1283
; %bb.1274:
	global_load_dword v4, v[0:1], off
	s_mov_b64 s[22:23], 0
	s_mov_b64 s[26:27], -1
	s_waitcnt vmcnt(0)
	v_lshlrev_b32_e32 v4, 16, v4
	v_cvt_u32_f32_e32 v4, v4
	s_branch .LBB347_1285
.LBB347_1275:
	s_or_b64 exec, exec, s[0:1]
	s_and_saveexec_b64 s[0:1], s[20:21]
	s_cbranch_execnz .LBB347_1344
.LBB347_1276:
	s_or_b64 exec, exec, s[0:1]
	s_and_saveexec_b64 s[0:1], s[28:29]
	s_xor_b64 s[0:1], exec, s[0:1]
	s_cbranch_execz .LBB347_1345
.LBB347_1277:
	global_load_ubyte v4, v[0:1], off
	s_or_b64 s[26:27], s[26:27], exec
	s_waitcnt vmcnt(0)
	v_cmp_ne_u16_e32 vcc, 0, v4
	v_cndmask_b32_e64 v4, 0, 1, vcc
	s_or_b64 exec, exec, s[0:1]
	s_and_saveexec_b64 s[0:1], s[34:35]
	s_cbranch_execz .LBB347_1391
	s_branch .LBB347_1346
.LBB347_1278:
	s_mov_b64 s[30:31], -1
                                        ; implicit-def: $vgpr4
	s_mov_b64 s[22:23], s[20:21]
	s_branch .LBB347_1343
.LBB347_1279:
	s_mov_b64 s[22:23], s[20:21]
                                        ; implicit-def: $vgpr4
	s_cbranch_execnz .LBB347_1312
	s_branch .LBB347_1342
.LBB347_1280:
	s_mov_b64 s[30:31], -1
	s_mov_b64 s[22:23], s[20:21]
                                        ; implicit-def: $vgpr4
	s_branch .LBB347_1295
.LBB347_1281:
	s_mov_b64 s[30:31], -1
	s_mov_b64 s[22:23], s[20:21]
                                        ; implicit-def: $vgpr4
	s_branch .LBB347_1290
.LBB347_1282:
	s_mov_b64 s[30:31], -1
	s_mov_b64 s[22:23], s[20:21]
	s_branch .LBB347_1284
.LBB347_1283:
	s_mov_b64 s[22:23], -1
.LBB347_1284:
                                        ; implicit-def: $vgpr4
.LBB347_1285:
	s_and_b64 vcc, exec, s[30:31]
	s_cbranch_vccz .LBB347_1289
; %bb.1286:
	s_cmp_eq_u32 s34, 44
	s_cbranch_scc0 .LBB347_1288
; %bb.1287:
	global_load_ubyte v4, v[0:1], off
	s_mov_b64 s[22:23], 0
	s_mov_b64 s[26:27], -1
	s_waitcnt vmcnt(0)
	v_lshlrev_b32_e32 v5, 23, v4
	v_cvt_u32_f32_e32 v5, v5
	v_cmp_ne_u32_e32 vcc, 0, v4
	v_cndmask_b32_e32 v4, 0, v5, vcc
	s_branch .LBB347_1289
.LBB347_1288:
	s_mov_b64 s[22:23], -1
                                        ; implicit-def: $vgpr4
.LBB347_1289:
	s_mov_b64 s[30:31], 0
.LBB347_1290:
	s_and_b64 vcc, exec, s[30:31]
	s_cbranch_vccz .LBB347_1294
; %bb.1291:
	s_cmp_eq_u32 s34, 29
	s_cbranch_scc0 .LBB347_1293
; %bb.1292:
	global_load_dword v4, v[0:1], off
	s_mov_b64 s[22:23], 0
	s_mov_b64 s[26:27], -1
	s_branch .LBB347_1294
.LBB347_1293:
	s_mov_b64 s[22:23], -1
                                        ; implicit-def: $vgpr4
.LBB347_1294:
	s_mov_b64 s[30:31], 0
.LBB347_1295:
	s_and_b64 vcc, exec, s[30:31]
	s_cbranch_vccz .LBB347_1311
; %bb.1296:
	s_cmp_lt_i32 s34, 27
	s_cbranch_scc1 .LBB347_1299
; %bb.1297:
	s_cmp_gt_i32 s34, 27
	s_cbranch_scc0 .LBB347_1300
; %bb.1298:
	global_load_dword v4, v[0:1], off
	s_mov_b64 s[26:27], 0
	s_branch .LBB347_1301
.LBB347_1299:
	s_mov_b64 s[26:27], -1
                                        ; implicit-def: $vgpr4
	s_branch .LBB347_1304
.LBB347_1300:
	s_mov_b64 s[26:27], -1
                                        ; implicit-def: $vgpr4
.LBB347_1301:
	s_andn2_b64 vcc, exec, s[26:27]
	s_cbranch_vccnz .LBB347_1303
; %bb.1302:
	global_load_ushort v4, v[0:1], off
.LBB347_1303:
	s_mov_b64 s[26:27], 0
.LBB347_1304:
	s_andn2_b64 vcc, exec, s[26:27]
	s_cbranch_vccnz .LBB347_1310
; %bb.1305:
	global_load_ubyte v5, v[0:1], off
	s_movk_i32 s26, 0x7f
	s_mov_b64 s[30:31], 0
	s_waitcnt vmcnt(0)
	v_cmp_lt_i16_e32 vcc, s26, v5
	s_and_saveexec_b64 s[26:27], vcc
	s_xor_b64 s[26:27], exec, s[26:27]
	s_cbranch_execz .LBB347_1321
; %bb.1306:
	s_movk_i32 s30, 0x80
	v_cmp_ne_u16_e32 vcc, s30, v5
	s_and_b64 s[30:31], vcc, exec
	s_andn2_saveexec_b64 s[26:27], s[26:27]
	s_cbranch_execnz .LBB347_1322
.LBB347_1307:
	s_or_b64 exec, exec, s[26:27]
	v_mov_b32_e32 v4, 0
	s_and_saveexec_b64 s[26:27], s[30:31]
	s_cbranch_execz .LBB347_1309
.LBB347_1308:
	v_lshlrev_b32_e32 v4, 24, v5
	v_and_b32_e32 v5, 0xffff, v5
	v_and_b32_e32 v6, 7, v5
	v_ffbh_u32_e32 v8, v6
	v_min_u32_e32 v8, 32, v8
	v_subrev_u32_e32 v9, 28, v8
	v_bfe_u32 v7, v5, 3, 4
	v_lshlrev_b32_e32 v5, v9, v5
	v_sub_u32_e32 v8, 29, v8
	v_and_b32_e32 v5, 7, v5
	v_cmp_eq_u32_e32 vcc, 0, v7
	v_cndmask_b32_e32 v7, v7, v8, vcc
	v_cndmask_b32_e32 v5, v6, v5, vcc
	v_mov_b32_e32 v6, 0x3b800000
	v_lshlrev_b32_e32 v5, 20, v5
	v_and_b32_e32 v4, 0x80000000, v4
	v_lshl_add_u32 v6, v7, 23, v6
	v_or3_b32 v4, v4, v6, v5
	v_cvt_u32_f32_e32 v4, v4
.LBB347_1309:
	s_or_b64 exec, exec, s[26:27]
.LBB347_1310:
	s_mov_b64 s[26:27], -1
.LBB347_1311:
	s_branch .LBB347_1342
.LBB347_1312:
	s_cmp_gt_i32 s34, 22
	s_cbranch_scc0 .LBB347_1320
; %bb.1313:
	s_cmp_lt_i32 s34, 24
	s_cbranch_scc1 .LBB347_1323
; %bb.1314:
	s_cmp_gt_i32 s34, 24
	s_cbranch_scc0 .LBB347_1324
; %bb.1315:
	global_load_ubyte v5, v[0:1], off
	s_movk_i32 s26, 0x7f
	s_waitcnt vmcnt(0)
	v_cmp_lt_i16_e32 vcc, s26, v5
	s_and_saveexec_b64 s[26:27], vcc
	s_xor_b64 s[26:27], exec, s[26:27]
	s_cbranch_execz .LBB347_1336
; %bb.1316:
	s_movk_i32 s28, 0x80
	v_cmp_ne_u16_e32 vcc, s28, v5
	s_and_b64 s[28:29], vcc, exec
	s_andn2_saveexec_b64 s[26:27], s[26:27]
	s_cbranch_execnz .LBB347_1337
.LBB347_1317:
	s_or_b64 exec, exec, s[26:27]
	v_mov_b32_e32 v4, 0
	s_and_saveexec_b64 s[26:27], s[28:29]
	s_cbranch_execz .LBB347_1319
.LBB347_1318:
	v_lshlrev_b32_e32 v4, 24, v5
	v_and_b32_e32 v5, 0xffff, v5
	v_and_b32_e32 v6, 3, v5
	v_ffbh_u32_e32 v8, v6
	v_min_u32_e32 v8, 32, v8
	v_subrev_u32_e32 v9, 29, v8
	v_bfe_u32 v7, v5, 2, 5
	v_lshlrev_b32_e32 v5, v9, v5
	v_sub_u32_e32 v8, 30, v8
	v_and_b32_e32 v5, 3, v5
	v_cmp_eq_u32_e32 vcc, 0, v7
	v_cndmask_b32_e32 v7, v7, v8, vcc
	v_cndmask_b32_e32 v5, v6, v5, vcc
	v_mov_b32_e32 v6, 0x37800000
	v_lshlrev_b32_e32 v5, 21, v5
	v_and_b32_e32 v4, 0x80000000, v4
	v_lshl_add_u32 v6, v7, 23, v6
	v_or3_b32 v4, v4, v6, v5
	v_cvt_u32_f32_e32 v4, v4
.LBB347_1319:
	s_or_b64 exec, exec, s[26:27]
	s_mov_b64 s[26:27], 0
	s_branch .LBB347_1325
.LBB347_1320:
	s_mov_b64 s[28:29], -1
                                        ; implicit-def: $vgpr4
	s_branch .LBB347_1331
.LBB347_1321:
	s_andn2_saveexec_b64 s[26:27], s[26:27]
	s_cbranch_execz .LBB347_1307
.LBB347_1322:
	v_cmp_ne_u16_e32 vcc, 0, v5
	s_andn2_b64 s[30:31], s[30:31], exec
	s_and_b64 s[38:39], vcc, exec
	s_or_b64 s[30:31], s[30:31], s[38:39]
	s_or_b64 exec, exec, s[26:27]
	v_mov_b32_e32 v4, 0
	s_and_saveexec_b64 s[26:27], s[30:31]
	s_cbranch_execnz .LBB347_1308
	s_branch .LBB347_1309
.LBB347_1323:
	s_mov_b64 s[26:27], -1
                                        ; implicit-def: $vgpr4
	s_branch .LBB347_1328
.LBB347_1324:
	s_mov_b64 s[26:27], -1
                                        ; implicit-def: $vgpr4
.LBB347_1325:
	s_and_b64 vcc, exec, s[26:27]
	s_cbranch_vccz .LBB347_1327
; %bb.1326:
	global_load_ubyte v4, v[0:1], off
	s_mov_b32 s26, 0x7f800000
	s_waitcnt vmcnt(0)
	v_lshlrev_b32_e32 v4, 24, v4
	v_and_b32_e32 v5, 0x7f000000, v4
	v_ffbh_u32_e32 v6, v5
	v_min_u32_e32 v6, 32, v6
	v_sub_u32_e64 v6, v6, 4 clamp
	v_lshlrev_b32_e32 v8, v6, v5
	v_lshlrev_b32_e32 v6, 23, v6
	v_lshrrev_b32_e32 v8, 4, v8
	v_add_u32_e32 v7, 0x1000000, v5
	v_sub_u32_e32 v6, v8, v6
	v_ashrrev_i32_e32 v7, 8, v7
	v_add_u32_e32 v6, 0x3c000000, v6
	v_and_or_b32 v6, v7, s26, v6
	v_cmp_ne_u32_e32 vcc, 0, v5
	v_cndmask_b32_e32 v5, 0, v6, vcc
	s_brev_b32 s26, 1
	v_and_or_b32 v4, v4, s26, v5
	v_cvt_u32_f32_e32 v4, v4
.LBB347_1327:
	s_mov_b64 s[26:27], 0
.LBB347_1328:
	s_andn2_b64 vcc, exec, s[26:27]
	s_cbranch_vccnz .LBB347_1330
; %bb.1329:
	global_load_ubyte v4, v[0:1], off
	s_movk_i32 s26, 0x7f00
	s_brev_b32 s27, 16
	s_waitcnt vmcnt(0)
	v_lshlrev_b16_e32 v5, 8, v4
	v_lshlrev_b32_e32 v4, 25, v4
	v_lshrrev_b32_e32 v6, 4, v4
	v_and_or_b32 v7, v5, s26, 0.5
	v_or_b32_e32 v6, 0x70000000, v6
	v_add_f32_e32 v7, -0.5, v7
	v_mul_f32_e32 v6, 0x7800000, v6
	v_cmp_gt_u32_e32 vcc, s27, v4
	v_bfe_i32 v5, v5, 0, 16
	v_cndmask_b32_e32 v4, v6, v7, vcc
	s_brev_b32 s26, 1
	v_and_or_b32 v4, v5, s26, v4
	v_cvt_u32_f32_e32 v4, v4
.LBB347_1330:
	s_mov_b64 s[28:29], 0
	s_mov_b64 s[26:27], -1
.LBB347_1331:
	s_andn2_b64 vcc, exec, s[28:29]
	s_mov_b64 s[28:29], 0
	s_cbranch_vccnz .LBB347_1342
; %bb.1332:
	s_cmp_gt_i32 s34, 14
	s_cbranch_scc0 .LBB347_1335
; %bb.1333:
	s_cmp_eq_u32 s34, 15
	s_cbranch_scc0 .LBB347_1338
; %bb.1334:
	global_load_ushort v4, v[0:1], off
	s_mov_b64 s[22:23], 0
	s_mov_b64 s[26:27], -1
	s_waitcnt vmcnt(0)
	v_lshlrev_b32_e32 v4, 16, v4
	v_cvt_u32_f32_e32 v4, v4
	s_branch .LBB347_1339
.LBB347_1335:
	s_mov_b64 s[30:31], -1
                                        ; implicit-def: $vgpr4
	s_branch .LBB347_1340
.LBB347_1336:
	s_andn2_saveexec_b64 s[26:27], s[26:27]
	s_cbranch_execz .LBB347_1317
.LBB347_1337:
	v_cmp_ne_u16_e32 vcc, 0, v5
	s_andn2_b64 s[28:29], s[28:29], exec
	s_and_b64 s[30:31], vcc, exec
	s_or_b64 s[28:29], s[28:29], s[30:31]
	s_or_b64 exec, exec, s[26:27]
	v_mov_b32_e32 v4, 0
	s_and_saveexec_b64 s[26:27], s[28:29]
	s_cbranch_execnz .LBB347_1318
	s_branch .LBB347_1319
.LBB347_1338:
	s_mov_b64 s[22:23], -1
                                        ; implicit-def: $vgpr4
.LBB347_1339:
	s_mov_b64 s[30:31], 0
.LBB347_1340:
	s_and_b64 vcc, exec, s[30:31]
	s_cbranch_vccz .LBB347_1342
; %bb.1341:
	s_cmp_lg_u32 s34, 11
	s_cselect_b64 s[30:31], -1, 0
	s_andn2_b64 s[22:23], s[22:23], exec
	s_and_b64 s[30:31], s[30:31], exec
	s_mov_b64 s[28:29], -1
	s_or_b64 s[22:23], s[22:23], s[30:31]
.LBB347_1342:
	s_mov_b64 s[30:31], 0
.LBB347_1343:
	s_andn2_b64 s[20:21], s[20:21], exec
	s_and_b64 s[22:23], s[22:23], exec
	s_and_b64 s[26:27], s[26:27], exec
	;; [unrolled: 1-line block ×4, first 2 shown]
	s_or_b64 s[20:21], s[20:21], s[22:23]
	s_or_b64 exec, exec, s[0:1]
	s_and_saveexec_b64 s[0:1], s[20:21]
	s_cbranch_execz .LBB347_1276
.LBB347_1344:
	s_or_b64 s[24:25], s[24:25], exec
	s_andn2_b64 s[28:29], s[28:29], exec
	s_trap 2
	s_or_b64 exec, exec, s[0:1]
	s_and_saveexec_b64 s[0:1], s[28:29]
	s_xor_b64 s[0:1], exec, s[0:1]
	s_cbranch_execnz .LBB347_1277
.LBB347_1345:
	s_or_b64 exec, exec, s[0:1]
	s_and_saveexec_b64 s[0:1], s[34:35]
	s_cbranch_execz .LBB347_1391
.LBB347_1346:
	s_sext_i32_i16 s20, s36
	s_cmp_lt_i32 s20, 5
	s_cbranch_scc1 .LBB347_1351
; %bb.1347:
	s_cmp_lt_i32 s20, 8
	s_cbranch_scc1 .LBB347_1352
; %bb.1348:
	;; [unrolled: 3-line block ×3, first 2 shown]
	s_cmp_gt_i32 s20, 9
	s_cbranch_scc0 .LBB347_1354
; %bb.1350:
	global_load_dwordx2 v[4:5], v[0:1], off
	s_mov_b64 s[20:21], 0
	s_waitcnt vmcnt(0)
	v_cvt_u32_f64_e32 v4, v[4:5]
	s_branch .LBB347_1355
.LBB347_1351:
                                        ; implicit-def: $vgpr4
	s_branch .LBB347_1372
.LBB347_1352:
                                        ; implicit-def: $vgpr4
	s_branch .LBB347_1361
.LBB347_1353:
	s_mov_b64 s[20:21], -1
                                        ; implicit-def: $vgpr4
	s_branch .LBB347_1358
.LBB347_1354:
	s_mov_b64 s[20:21], -1
                                        ; implicit-def: $vgpr4
.LBB347_1355:
	s_andn2_b64 vcc, exec, s[20:21]
	s_cbranch_vccnz .LBB347_1357
; %bb.1356:
	global_load_dword v4, v[0:1], off
	s_waitcnt vmcnt(0)
	v_cvt_u32_f32_e32 v4, v4
.LBB347_1357:
	s_mov_b64 s[20:21], 0
.LBB347_1358:
	s_andn2_b64 vcc, exec, s[20:21]
	s_cbranch_vccnz .LBB347_1360
; %bb.1359:
	global_load_dword v4, v[0:1], off
	s_waitcnt vmcnt(0)
	v_cvt_f32_f16_e32 v4, v4
	v_cvt_u32_f32_e32 v4, v4
.LBB347_1360:
	s_cbranch_execnz .LBB347_1371
.LBB347_1361:
	s_sext_i32_i16 s20, s36
	s_cmp_lt_i32 s20, 6
	s_cbranch_scc1 .LBB347_1364
; %bb.1362:
	s_cmp_gt_i32 s20, 6
	s_cbranch_scc0 .LBB347_1365
; %bb.1363:
	global_load_dwordx2 v[4:5], v[0:1], off
	s_mov_b64 s[20:21], 0
	s_waitcnt vmcnt(0)
	v_cvt_u32_f64_e32 v4, v[4:5]
	s_branch .LBB347_1366
.LBB347_1364:
	s_mov_b64 s[20:21], -1
                                        ; implicit-def: $vgpr4
	s_branch .LBB347_1369
.LBB347_1365:
	s_mov_b64 s[20:21], -1
                                        ; implicit-def: $vgpr4
.LBB347_1366:
	s_andn2_b64 vcc, exec, s[20:21]
	s_cbranch_vccnz .LBB347_1368
; %bb.1367:
	global_load_dword v4, v[0:1], off
	s_waitcnt vmcnt(0)
	v_cvt_u32_f32_e32 v4, v4
.LBB347_1368:
	s_mov_b64 s[20:21], 0
.LBB347_1369:
	s_andn2_b64 vcc, exec, s[20:21]
	s_cbranch_vccnz .LBB347_1371
; %bb.1370:
	global_load_ushort v4, v[0:1], off
	s_waitcnt vmcnt(0)
	v_cvt_f32_f16_e32 v4, v4
	v_cvt_u32_f32_e32 v4, v4
.LBB347_1371:
	s_cbranch_execnz .LBB347_1390
.LBB347_1372:
	s_sext_i32_i16 s20, s36
	s_cmp_lt_i32 s20, 2
	s_cbranch_scc1 .LBB347_1376
; %bb.1373:
	s_cmp_lt_i32 s20, 3
	s_cbranch_scc1 .LBB347_1377
; %bb.1374:
	s_cmp_gt_i32 s20, 3
	s_cbranch_scc0 .LBB347_1378
; %bb.1375:
	global_load_dword v4, v[0:1], off
	s_mov_b64 s[20:21], 0
	s_branch .LBB347_1379
.LBB347_1376:
                                        ; implicit-def: $vgpr4
	s_branch .LBB347_1385
.LBB347_1377:
	s_mov_b64 s[20:21], -1
                                        ; implicit-def: $vgpr4
	s_branch .LBB347_1382
.LBB347_1378:
	s_mov_b64 s[20:21], -1
                                        ; implicit-def: $vgpr4
.LBB347_1379:
	s_andn2_b64 vcc, exec, s[20:21]
	s_cbranch_vccnz .LBB347_1381
; %bb.1380:
	global_load_dword v4, v[0:1], off
.LBB347_1381:
	s_mov_b64 s[20:21], 0
.LBB347_1382:
	s_andn2_b64 vcc, exec, s[20:21]
	s_cbranch_vccnz .LBB347_1384
; %bb.1383:
	global_load_sshort v4, v[0:1], off
.LBB347_1384:
	s_cbranch_execnz .LBB347_1390
.LBB347_1385:
	s_sext_i32_i16 s20, s36
	s_cmp_gt_i32 s20, 0
	s_cbranch_scc0 .LBB347_1387
; %bb.1386:
	global_load_sbyte v4, v[0:1], off
	s_mov_b64 s[20:21], 0
	s_branch .LBB347_1388
.LBB347_1387:
	s_mov_b64 s[20:21], -1
                                        ; implicit-def: $vgpr4
.LBB347_1388:
	s_andn2_b64 vcc, exec, s[20:21]
	s_cbranch_vccnz .LBB347_1390
; %bb.1389:
	global_load_ubyte v4, v[0:1], off
.LBB347_1390:
	s_or_b64 s[26:27], s[26:27], exec
.LBB347_1391:
	s_or_b64 exec, exec, s[0:1]
	s_mov_b64 s[30:31], 0
	s_mov_b64 s[28:29], 0
                                        ; implicit-def: $sgpr20_sgpr21
                                        ; implicit-def: $sgpr34
                                        ; implicit-def: $vgpr0_vgpr1
	s_and_saveexec_b64 s[22:23], s[26:27]
	s_cbranch_execz .LBB347_1466
; %bb.1392:
	v_mul_lo_u32 v0, v2, s12
	s_waitcnt vmcnt(0)
	v_cmp_ne_u32_e32 vcc, v3, v4
	v_mov_b32_e32 v1, s9
	s_xor_b64 s[20:21], s[16:17], vcc
	v_ashrrev_i32_e32 v2, 31, v0
	s_and_b32 s34, s33, 0xff
	v_add_co_u32_e32 v0, vcc, s8, v0
	s_cmp_lt_i32 s34, 11
	v_addc_co_u32_e32 v1, vcc, v1, v2, vcc
	s_cbranch_scc1 .LBB347_1469
; %bb.1393:
	s_and_b32 s35, 0xffff, s34
	s_mov_b64 s[26:27], -1
	s_cmp_gt_i32 s35, 25
	s_mov_b64 s[0:1], s[18:19]
	s_cbranch_scc0 .LBB347_1426
; %bb.1394:
	s_mov_b64 s[16:17], -1
	s_cmp_gt_i32 s35, 28
	s_mov_b64 s[0:1], s[18:19]
	s_cbranch_scc0 .LBB347_1410
; %bb.1395:
	s_cmp_gt_i32 s35, 43
	s_mov_b64 s[0:1], s[18:19]
	s_cbranch_scc0 .LBB347_1406
; %bb.1396:
	;; [unrolled: 4-line block ×3, first 2 shown]
	s_cmp_eq_u32 s35, 46
	s_mov_b64 s[0:1], -1
	s_cbranch_scc0 .LBB347_1399
; %bb.1398:
	v_cndmask_b32_e64 v2, 0, 1.0, s[20:21]
	v_bfe_u32 v3, v2, 16, 1
	s_movk_i32 s0, 0x7fff
	v_add3_u32 v2, v2, v3, s0
	v_lshrrev_b32_e32 v2, 16, v2
	global_store_dword v[0:1], v2, off
	s_mov_b64 s[0:1], 0
.LBB347_1399:
	s_mov_b64 s[16:17], 0
.LBB347_1400:
	s_and_b64 vcc, exec, s[16:17]
	s_cbranch_vccz .LBB347_1405
; %bb.1401:
	s_cmp_eq_u32 s35, 44
	s_mov_b64 s[0:1], -1
	s_cbranch_scc0 .LBB347_1405
; %bb.1402:
	v_cndmask_b32_e64 v3, 0, 1.0, s[20:21]
	v_lshrrev_b32_e32 v2, 23, v3
	s_movk_i32 s0, 0xff
	v_cmp_ne_u32_e32 vcc, s0, v2
	v_mov_b32_e32 v4, 0xff
	s_and_saveexec_b64 s[16:17], vcc
; %bb.1403:
	s_mov_b32 s0, 0x3fffff
	v_and_b32_e32 v4, 0x400000, v3
	v_and_or_b32 v3, v3, s0, v2
	v_cmp_ne_u32_e32 vcc, 0, v4
	v_cmp_ne_u32_e64 s[0:1], 0, v3
	s_and_b64 s[0:1], vcc, s[0:1]
	v_cndmask_b32_e64 v3, 0, 1, s[0:1]
	v_add_u32_e32 v4, v2, v3
; %bb.1404:
	s_or_b64 exec, exec, s[16:17]
	s_mov_b64 s[0:1], 0
	global_store_byte v[0:1], v4, off
.LBB347_1405:
	s_mov_b64 s[16:17], 0
.LBB347_1406:
	s_and_b64 vcc, exec, s[16:17]
	s_cbranch_vccz .LBB347_1409
; %bb.1407:
	s_cmp_eq_u32 s35, 29
	s_mov_b64 s[0:1], -1
	s_cbranch_scc0 .LBB347_1409
; %bb.1408:
	s_mov_b32 s0, 0
	v_cndmask_b32_e64 v2, 0, 1, s[20:21]
	v_mov_b32_e32 v3, s0
	global_store_dwordx2 v[0:1], v[2:3], off
	s_mov_b64 s[0:1], 0
.LBB347_1409:
	s_mov_b64 s[16:17], 0
.LBB347_1410:
	s_and_b64 vcc, exec, s[16:17]
	s_cbranch_vccz .LBB347_1425
; %bb.1411:
	s_cmp_lt_i32 s35, 27
	s_mov_b64 s[16:17], -1
	s_cbranch_scc1 .LBB347_1417
; %bb.1412:
	s_cmp_gt_i32 s35, 27
	v_cndmask_b32_e64 v2, 0, 1, s[20:21]
	s_cbranch_scc0 .LBB347_1414
; %bb.1413:
	s_mov_b64 s[16:17], 0
	global_store_dword v[0:1], v2, off
.LBB347_1414:
	s_andn2_b64 vcc, exec, s[16:17]
	s_cbranch_vccnz .LBB347_1416
; %bb.1415:
	global_store_short v[0:1], v2, off
.LBB347_1416:
	s_mov_b64 s[16:17], 0
.LBB347_1417:
	s_andn2_b64 vcc, exec, s[16:17]
	s_cbranch_vccnz .LBB347_1425
; %bb.1418:
	v_cndmask_b32_e64 v3, 0, 1.0, s[20:21]
	s_mov_b32 s16, 0x43800000
	v_cmp_gt_u32_e32 vcc, s16, v3
	v_mov_b32_e32 v4, 0x80
	s_and_saveexec_b64 s[16:17], vcc
	s_cbranch_execz .LBB347_1424
; %bb.1419:
	s_mov_b32 s26, 0x3bffffff
	v_cmp_lt_u32_e32 vcc, s26, v3
	s_mov_b64 s[26:27], 0
                                        ; implicit-def: $vgpr2
	s_and_saveexec_b64 s[28:29], vcc
	s_xor_b64 s[28:29], exec, s[28:29]
	s_cbranch_execz .LBB347_1526
; %bb.1420:
	v_bfe_u32 v2, v3, 20, 1
	s_mov_b32 s30, 0x487ffff
	v_add3_u32 v2, v3, v2, s30
	s_mov_b64 s[26:27], exec
	v_lshrrev_b32_e32 v2, 20, v2
                                        ; implicit-def: $vgpr3
	s_andn2_saveexec_b64 s[28:29], s[28:29]
	s_cbranch_execnz .LBB347_1527
.LBB347_1421:
	s_or_b64 exec, exec, s[28:29]
	v_mov_b32_e32 v4, 0
	s_and_saveexec_b64 s[28:29], s[26:27]
.LBB347_1422:
	v_mov_b32_e32 v4, v2
.LBB347_1423:
	s_or_b64 exec, exec, s[28:29]
.LBB347_1424:
	s_or_b64 exec, exec, s[16:17]
	global_store_byte v[0:1], v4, off
.LBB347_1425:
	s_mov_b64 s[26:27], 0
.LBB347_1426:
	s_mov_b64 s[16:17], 0
	s_and_b64 vcc, exec, s[26:27]
	s_cbranch_vccz .LBB347_1470
; %bb.1427:
	s_cmp_gt_i32 s35, 22
	s_mov_b64 s[26:27], -1
	s_cbranch_scc0 .LBB347_1459
; %bb.1428:
	s_cmp_lt_i32 s35, 24
	s_cbranch_scc1 .LBB347_1448
; %bb.1429:
	s_cmp_gt_i32 s35, 24
	s_cbranch_scc0 .LBB347_1437
; %bb.1430:
	v_cndmask_b32_e64 v3, 0, 1.0, s[20:21]
	s_mov_b32 s26, 0x47800000
	v_cmp_gt_u32_e32 vcc, s26, v3
	v_mov_b32_e32 v4, 0x80
	s_and_saveexec_b64 s[26:27], vcc
	s_cbranch_execz .LBB347_1436
; %bb.1431:
	s_mov_b32 s28, 0x37ffffff
	v_cmp_lt_u32_e32 vcc, s28, v3
	s_mov_b64 s[28:29], 0
                                        ; implicit-def: $vgpr2
	s_and_saveexec_b64 s[30:31], vcc
	s_xor_b64 s[30:31], exec, s[30:31]
	s_cbranch_execz .LBB347_1646
; %bb.1432:
	v_bfe_u32 v2, v3, 21, 1
	s_mov_b32 s36, 0x88fffff
	v_add3_u32 v2, v3, v2, s36
	s_mov_b64 s[28:29], exec
	v_lshrrev_b32_e32 v2, 21, v2
                                        ; implicit-def: $vgpr3
	s_andn2_saveexec_b64 s[30:31], s[30:31]
	s_cbranch_execnz .LBB347_1647
.LBB347_1433:
	s_or_b64 exec, exec, s[30:31]
	v_mov_b32_e32 v4, 0
	s_and_saveexec_b64 s[30:31], s[28:29]
.LBB347_1434:
	v_mov_b32_e32 v4, v2
.LBB347_1435:
	s_or_b64 exec, exec, s[30:31]
.LBB347_1436:
	s_or_b64 exec, exec, s[26:27]
	s_mov_b64 s[26:27], 0
	global_store_byte v[0:1], v4, off
.LBB347_1437:
	s_and_b64 vcc, exec, s[26:27]
	s_cbranch_vccz .LBB347_1447
; %bb.1438:
	v_cndmask_b32_e64 v2, 0, 1.0, s[20:21]
	s_mov_b32 s26, 0x43f00000
	v_cmp_gt_u32_e32 vcc, s26, v2
                                        ; implicit-def: $vgpr3
	s_and_saveexec_b64 s[26:27], vcc
	s_xor_b64 s[26:27], exec, s[26:27]
	s_cbranch_execz .LBB347_1444
; %bb.1439:
	s_mov_b32 s28, 0x3c7fffff
	v_cmp_lt_u32_e32 vcc, s28, v2
                                        ; implicit-def: $vgpr3
	s_and_saveexec_b64 s[28:29], vcc
	s_xor_b64 s[28:29], exec, s[28:29]
; %bb.1440:
	v_bfe_u32 v3, v2, 20, 1
	s_mov_b32 s30, 0x407ffff
	v_add3_u32 v2, v2, v3, s30
	v_lshrrev_b32_e32 v3, 20, v2
	v_and_b32_e32 v2, 0xff00000, v2
	s_mov_b32 s30, 0x7f00000
	v_mov_b32_e32 v4, 0x7e
	v_cmp_ne_u32_e32 vcc, s30, v2
	v_cndmask_b32_e32 v3, v4, v3, vcc
                                        ; implicit-def: $vgpr2
; %bb.1441:
	s_andn2_saveexec_b64 s[28:29], s[28:29]
; %bb.1442:
	v_add_f32_e32 v3, 0x46800000, v2
; %bb.1443:
	s_or_b64 exec, exec, s[28:29]
                                        ; implicit-def: $vgpr2
.LBB347_1444:
	s_andn2_saveexec_b64 s[26:27], s[26:27]
; %bb.1445:
	s_mov_b32 s28, 0x7f800000
	v_mov_b32_e32 v3, 0x7e
	v_mov_b32_e32 v4, 0x7f
	v_cmp_lt_u32_e32 vcc, s28, v2
	v_cndmask_b32_e32 v3, v3, v4, vcc
; %bb.1446:
	s_or_b64 exec, exec, s[26:27]
	global_store_byte v[0:1], v3, off
.LBB347_1447:
	s_mov_b64 s[26:27], 0
.LBB347_1448:
	s_andn2_b64 vcc, exec, s[26:27]
	s_cbranch_vccnz .LBB347_1458
; %bb.1449:
	v_cndmask_b32_e64 v2, 0, 1.0, s[20:21]
	s_mov_b32 s26, 0x47800000
	v_cmp_gt_u32_e32 vcc, s26, v2
                                        ; implicit-def: $vgpr3
	s_and_saveexec_b64 s[26:27], vcc
	s_xor_b64 s[26:27], exec, s[26:27]
	s_cbranch_execz .LBB347_1455
; %bb.1450:
	s_mov_b32 s28, 0x387fffff
	v_cmp_lt_u32_e32 vcc, s28, v2
                                        ; implicit-def: $vgpr3
	s_and_saveexec_b64 s[28:29], vcc
	s_xor_b64 s[28:29], exec, s[28:29]
; %bb.1451:
	v_bfe_u32 v3, v2, 21, 1
	s_mov_b32 s30, 0x80fffff
	v_add3_u32 v2, v2, v3, s30
	v_lshrrev_b32_e32 v3, 21, v2
                                        ; implicit-def: $vgpr2
; %bb.1452:
	s_andn2_saveexec_b64 s[28:29], s[28:29]
; %bb.1453:
	v_add_f32_e32 v3, 0x43000000, v2
; %bb.1454:
	s_or_b64 exec, exec, s[28:29]
                                        ; implicit-def: $vgpr2
.LBB347_1455:
	s_andn2_saveexec_b64 s[26:27], s[26:27]
; %bb.1456:
	s_mov_b32 s28, 0x7f800000
	v_mov_b32_e32 v3, 0x7c
	v_mov_b32_e32 v4, 0x7f
	v_cmp_lt_u32_e32 vcc, s28, v2
	v_cndmask_b32_e32 v3, v3, v4, vcc
; %bb.1457:
	s_or_b64 exec, exec, s[26:27]
	global_store_byte v[0:1], v3, off
.LBB347_1458:
	s_mov_b64 s[26:27], 0
.LBB347_1459:
	s_andn2_b64 vcc, exec, s[26:27]
	s_mov_b64 s[26:27], 0
	s_cbranch_vccnz .LBB347_1471
; %bb.1460:
	s_cmp_gt_i32 s35, 14
	s_mov_b64 s[28:29], -1
	s_cbranch_scc0 .LBB347_1464
; %bb.1461:
	s_cmp_eq_u32 s35, 15
	s_mov_b64 s[0:1], -1
	s_cbranch_scc0 .LBB347_1463
; %bb.1462:
	v_cndmask_b32_e64 v2, 0, 1.0, s[20:21]
	v_bfe_u32 v3, v2, 16, 1
	s_movk_i32 s0, 0x7fff
	v_add3_u32 v2, v2, v3, s0
	global_store_short_d16_hi v[0:1], v2, off
	s_mov_b64 s[0:1], 0
.LBB347_1463:
	s_mov_b64 s[28:29], 0
.LBB347_1464:
	s_and_b64 vcc, exec, s[28:29]
	s_cbranch_vccz .LBB347_1471
; %bb.1465:
	s_cmp_lg_u32 s35, 11
	s_cselect_b64 s[28:29], -1, 0
	s_andn2_b64 s[0:1], s[0:1], exec
	s_and_b64 s[28:29], s[28:29], exec
	s_mov_b64 s[26:27], -1
	s_or_b64 s[0:1], s[0:1], s[28:29]
	s_branch .LBB347_1471
.LBB347_1466:
	s_or_b64 exec, exec, s[22:23]
	s_and_saveexec_b64 s[0:1], s[18:19]
	s_cbranch_execnz .LBB347_1472
.LBB347_1467:
	s_or_b64 exec, exec, s[0:1]
	s_and_saveexec_b64 s[0:1], s[30:31]
	s_xor_b64 s[0:1], exec, s[0:1]
	s_cbranch_execz .LBB347_1473
.LBB347_1468:
	v_cndmask_b32_e64 v2, 0, 1, s[20:21]
	global_store_byte v[0:1], v2, off
	s_or_b64 exec, exec, s[0:1]
	s_and_saveexec_b64 s[0:1], s[28:29]
	s_xor_b64 s[0:1], exec, s[0:1]
	s_cbranch_execz .LBB347_1511
	s_branch .LBB347_1474
.LBB347_1469:
	s_mov_b64 s[26:27], 0
	s_mov_b64 s[16:17], -1
	s_mov_b64 s[0:1], s[18:19]
	s_branch .LBB347_1471
.LBB347_1470:
	s_mov_b64 s[26:27], 0
.LBB347_1471:
	s_and_b64 s[28:29], s[16:17], exec
	s_andn2_b64 s[16:17], s[18:19], exec
	s_and_b64 s[0:1], s[0:1], exec
	s_and_b64 s[30:31], s[26:27], exec
	s_or_b64 s[18:19], s[16:17], s[0:1]
	s_or_b64 exec, exec, s[22:23]
	s_and_saveexec_b64 s[0:1], s[18:19]
	s_cbranch_execz .LBB347_1467
.LBB347_1472:
	s_or_b64 s[24:25], s[24:25], exec
	s_andn2_b64 s[30:31], s[30:31], exec
	s_trap 2
	s_or_b64 exec, exec, s[0:1]
	s_and_saveexec_b64 s[0:1], s[30:31]
	s_xor_b64 s[0:1], exec, s[0:1]
	s_cbranch_execnz .LBB347_1468
.LBB347_1473:
	s_or_b64 exec, exec, s[0:1]
	s_and_saveexec_b64 s[0:1], s[28:29]
	s_xor_b64 s[0:1], exec, s[0:1]
	s_cbranch_execz .LBB347_1511
.LBB347_1474:
	s_sext_i32_i16 s18, s34
	s_cmp_lt_i32 s18, 5
	s_mov_b64 s[16:17], -1
	s_cbranch_scc1 .LBB347_1495
; %bb.1475:
	s_cmp_lt_i32 s18, 8
	s_cbranch_scc1 .LBB347_1485
; %bb.1476:
	s_cmp_lt_i32 s18, 9
	s_cbranch_scc1 .LBB347_1482
; %bb.1477:
	s_cmp_gt_i32 s18, 9
	s_cbranch_scc0 .LBB347_1479
; %bb.1478:
	v_cndmask_b32_e64 v2, 0, 1, s[20:21]
	s_waitcnt vmcnt(0)
	v_cvt_f64_u32_e32 v[2:3], v2
	v_mov_b32_e32 v4, 0
	v_mov_b32_e32 v5, v4
	s_mov_b64 s[16:17], 0
	global_store_dwordx4 v[0:1], v[2:5], off
.LBB347_1479:
	s_andn2_b64 vcc, exec, s[16:17]
	s_cbranch_vccnz .LBB347_1481
; %bb.1480:
	v_cndmask_b32_e64 v2, 0, 1.0, s[20:21]
	s_waitcnt vmcnt(0)
	v_mov_b32_e32 v3, 0
	global_store_dwordx2 v[0:1], v[2:3], off
.LBB347_1481:
	s_mov_b64 s[16:17], 0
.LBB347_1482:
	s_andn2_b64 vcc, exec, s[16:17]
	s_cbranch_vccnz .LBB347_1484
; %bb.1483:
	v_cndmask_b32_e64 v2, 0, 1.0, s[20:21]
	v_cvt_f16_f32_e32 v2, v2
	global_store_dword v[0:1], v2, off
.LBB347_1484:
	s_mov_b64 s[16:17], 0
.LBB347_1485:
	s_andn2_b64 vcc, exec, s[16:17]
	s_cbranch_vccnz .LBB347_1494
; %bb.1486:
	s_sext_i32_i16 s18, s34
	s_cmp_lt_i32 s18, 6
	s_mov_b64 s[16:17], -1
	s_cbranch_scc1 .LBB347_1492
; %bb.1487:
	s_cmp_gt_i32 s18, 6
	s_cbranch_scc0 .LBB347_1489
; %bb.1488:
	v_cndmask_b32_e64 v2, 0, 1, s[20:21]
	s_waitcnt vmcnt(0)
	v_cvt_f64_u32_e32 v[2:3], v2
	s_mov_b64 s[16:17], 0
	global_store_dwordx2 v[0:1], v[2:3], off
.LBB347_1489:
	s_andn2_b64 vcc, exec, s[16:17]
	s_cbranch_vccnz .LBB347_1491
; %bb.1490:
	v_cndmask_b32_e64 v2, 0, 1.0, s[20:21]
	global_store_dword v[0:1], v2, off
.LBB347_1491:
	s_mov_b64 s[16:17], 0
.LBB347_1492:
	s_andn2_b64 vcc, exec, s[16:17]
	s_cbranch_vccnz .LBB347_1494
; %bb.1493:
	v_cndmask_b32_e64 v2, 0, 1.0, s[20:21]
	v_cvt_f16_f32_e32 v2, v2
	global_store_short v[0:1], v2, off
.LBB347_1494:
	s_mov_b64 s[16:17], 0
.LBB347_1495:
	s_andn2_b64 vcc, exec, s[16:17]
	s_cbranch_vccnz .LBB347_1511
; %bb.1496:
	s_sext_i32_i16 s18, s34
	s_cmp_lt_i32 s18, 2
	s_mov_b64 s[16:17], -1
	s_cbranch_scc1 .LBB347_1506
; %bb.1497:
	s_cmp_lt_i32 s18, 3
	s_cbranch_scc1 .LBB347_1503
; %bb.1498:
	s_cmp_gt_i32 s18, 3
	s_cbranch_scc0 .LBB347_1500
; %bb.1499:
	s_mov_b32 s16, 0
	v_cndmask_b32_e64 v2, 0, 1, s[20:21]
	s_waitcnt vmcnt(0)
	v_mov_b32_e32 v3, s16
	s_mov_b64 s[16:17], 0
	global_store_dwordx2 v[0:1], v[2:3], off
.LBB347_1500:
	s_andn2_b64 vcc, exec, s[16:17]
	s_cbranch_vccnz .LBB347_1502
; %bb.1501:
	v_cndmask_b32_e64 v2, 0, 1, s[20:21]
	global_store_dword v[0:1], v2, off
.LBB347_1502:
	s_mov_b64 s[16:17], 0
.LBB347_1503:
	s_andn2_b64 vcc, exec, s[16:17]
	s_cbranch_vccnz .LBB347_1505
; %bb.1504:
	v_cndmask_b32_e64 v2, 0, 1, s[20:21]
	global_store_short v[0:1], v2, off
.LBB347_1505:
	s_mov_b64 s[16:17], 0
.LBB347_1506:
	s_andn2_b64 vcc, exec, s[16:17]
	s_cbranch_vccnz .LBB347_1511
; %bb.1507:
	s_sext_i32_i16 s18, s34
	s_mov_b64 s[16:17], -1
	s_cmp_gt_i32 s18, 0
	v_cndmask_b32_e64 v2, 0, 1, s[20:21]
	s_cbranch_scc0 .LBB347_1509
; %bb.1508:
	s_mov_b64 s[16:17], 0
	global_store_byte v[0:1], v2, off
.LBB347_1509:
	s_andn2_b64 vcc, exec, s[16:17]
	s_cbranch_vccnz .LBB347_1511
; %bb.1510:
	global_store_byte v[0:1], v2, off
.LBB347_1511:
	s_or_b64 exec, exec, s[0:1]
	s_and_b64 s[16:17], s[24:25], exec
                                        ; implicit-def: $vgpr2
.LBB347_1512:
	s_or_saveexec_b64 s[6:7], s[6:7]
	s_mov_b64 s[0:1], 0
                                        ; implicit-def: $sgpr20_sgpr21
                                        ; implicit-def: $sgpr24
                                        ; implicit-def: $vgpr0_vgpr1
	s_xor_b64 exec, exec, s[6:7]
	s_cbranch_execz .LBB347_2949
; %bb.1513:
	s_waitcnt vmcnt(0)
	v_mul_lo_u32 v4, s13, v2
	v_mov_b32_e32 v1, s11
	s_and_b32 s24, s57, 0xff
	s_cmp_lt_i32 s24, 11
	v_ashrrev_i32_e32 v3, 31, v4
	v_add_co_u32_e32 v0, vcc, s10, v4
	v_addc_co_u32_e32 v1, vcc, v1, v3, vcc
	s_cbranch_scc1 .LBB347_1520
; %bb.1514:
	s_and_b32 s22, 0xffff, s24
	s_cmp_gt_i32 s22, 25
	s_cbranch_scc0 .LBB347_1522
; %bb.1515:
	s_cmp_gt_i32 s22, 28
	s_cbranch_scc0 .LBB347_1523
; %bb.1516:
	;; [unrolled: 3-line block ×4, first 2 shown]
	s_cmp_eq_u32 s22, 46
	s_mov_b64 s[18:19], 0
	s_cbranch_scc0 .LBB347_1528
; %bb.1519:
	global_load_dword v3, v[0:1], off
	s_mov_b64 s[20:21], -1
	s_waitcnt vmcnt(0)
	v_lshlrev_b32_e32 v3, 16, v3
	v_cvt_u32_f32_e32 v3, v3
	s_branch .LBB347_1529
.LBB347_1520:
	s_mov_b64 s[20:21], 0
                                        ; implicit-def: $vgpr3
	s_mov_b64 s[18:19], s[16:17]
	s_cbranch_execnz .LBB347_1587
.LBB347_1521:
	s_andn2_b64 vcc, exec, s[20:21]
	s_cbranch_vccz .LBB347_1632
	s_branch .LBB347_2947
.LBB347_1522:
	s_mov_b64 s[20:21], 0
                                        ; implicit-def: $vgpr3
	s_cbranch_execnz .LBB347_1554
	s_branch .LBB347_1583
.LBB347_1523:
	s_mov_b64 s[20:21], 0
                                        ; implicit-def: $vgpr3
	s_cbranch_execz .LBB347_1553
	s_branch .LBB347_1538
.LBB347_1524:
	s_mov_b64 s[20:21], 0
                                        ; implicit-def: $vgpr3
	s_cbranch_execnz .LBB347_1534
	s_branch .LBB347_1537
.LBB347_1525:
	s_mov_b64 s[18:19], -1
	s_mov_b64 s[20:21], 0
                                        ; implicit-def: $vgpr3
	s_branch .LBB347_1529
.LBB347_1526:
	s_andn2_saveexec_b64 s[28:29], s[28:29]
	s_cbranch_execz .LBB347_1421
.LBB347_1527:
	v_add_f32_e32 v2, 0x46000000, v3
	v_and_b32_e32 v2, 0xff, v2
	v_cmp_ne_u32_e32 vcc, 0, v2
	s_andn2_b64 s[26:27], s[26:27], exec
	s_and_b64 s[30:31], vcc, exec
	s_or_b64 s[26:27], s[26:27], s[30:31]
	s_or_b64 exec, exec, s[28:29]
	v_mov_b32_e32 v4, 0
	s_and_saveexec_b64 s[28:29], s[26:27]
	s_cbranch_execnz .LBB347_1422
	s_branch .LBB347_1423
.LBB347_1528:
	s_mov_b64 s[0:1], -1
                                        ; implicit-def: $vgpr3
	s_mov_b64 s[20:21], 0
.LBB347_1529:
	s_and_b64 vcc, exec, s[18:19]
	s_cbranch_vccz .LBB347_1532
; %bb.1530:
	s_cmp_eq_u32 s22, 44
	s_cbranch_scc0 .LBB347_1533
; %bb.1531:
	global_load_ubyte v3, v[0:1], off
	s_mov_b64 s[0:1], 0
	s_mov_b64 s[20:21], -1
	s_waitcnt vmcnt(0)
	v_lshlrev_b32_e32 v5, 23, v3
	v_cvt_u32_f32_e32 v5, v5
	v_cmp_ne_u32_e32 vcc, 0, v3
	v_cndmask_b32_e32 v3, 0, v5, vcc
.LBB347_1532:
	s_branch .LBB347_1537
.LBB347_1533:
	s_mov_b64 s[0:1], -1
                                        ; implicit-def: $vgpr3
	s_branch .LBB347_1537
.LBB347_1534:
	s_cmp_eq_u32 s22, 29
	s_cbranch_scc0 .LBB347_1536
; %bb.1535:
	global_load_dword v3, v[0:1], off
	s_mov_b64 s[0:1], 0
	s_mov_b64 s[20:21], -1
	s_branch .LBB347_1537
.LBB347_1536:
	s_mov_b64 s[0:1], -1
                                        ; implicit-def: $vgpr3
.LBB347_1537:
	s_branch .LBB347_1553
.LBB347_1538:
	s_cmp_lt_i32 s22, 27
	s_cbranch_scc1 .LBB347_1541
; %bb.1539:
	s_cmp_gt_i32 s22, 27
	s_cbranch_scc0 .LBB347_1542
; %bb.1540:
	global_load_dword v3, v[0:1], off
	s_mov_b64 s[18:19], 0
	s_branch .LBB347_1543
.LBB347_1541:
	s_mov_b64 s[18:19], -1
                                        ; implicit-def: $vgpr3
	s_branch .LBB347_1546
.LBB347_1542:
	s_mov_b64 s[18:19], -1
                                        ; implicit-def: $vgpr3
.LBB347_1543:
	s_andn2_b64 vcc, exec, s[18:19]
	s_cbranch_vccnz .LBB347_1545
; %bb.1544:
	global_load_ushort v3, v[0:1], off
.LBB347_1545:
	s_mov_b64 s[18:19], 0
.LBB347_1546:
	s_andn2_b64 vcc, exec, s[18:19]
	s_cbranch_vccnz .LBB347_1552
; %bb.1547:
	global_load_ubyte v5, v[0:1], off
	s_movk_i32 s18, 0x7f
	s_mov_b64 s[20:21], 0
	s_waitcnt vmcnt(0)
	v_cmp_lt_i16_e32 vcc, s18, v5
	s_and_saveexec_b64 s[18:19], vcc
	s_xor_b64 s[18:19], exec, s[18:19]
	s_cbranch_execz .LBB347_1563
; %bb.1548:
	s_movk_i32 s20, 0x80
	v_cmp_ne_u16_e32 vcc, s20, v5
	s_and_b64 s[20:21], vcc, exec
	s_andn2_saveexec_b64 s[18:19], s[18:19]
	s_cbranch_execnz .LBB347_1564
.LBB347_1549:
	s_or_b64 exec, exec, s[18:19]
	v_mov_b32_e32 v3, 0
	s_and_saveexec_b64 s[18:19], s[20:21]
	s_cbranch_execz .LBB347_1551
.LBB347_1550:
	v_lshlrev_b32_e32 v3, 24, v5
	v_and_b32_e32 v5, 0xffff, v5
	v_and_b32_e32 v6, 7, v5
	v_ffbh_u32_e32 v8, v6
	v_min_u32_e32 v8, 32, v8
	v_subrev_u32_e32 v9, 28, v8
	v_bfe_u32 v7, v5, 3, 4
	v_lshlrev_b32_e32 v5, v9, v5
	v_sub_u32_e32 v8, 29, v8
	v_and_b32_e32 v5, 7, v5
	v_cmp_eq_u32_e32 vcc, 0, v7
	v_cndmask_b32_e32 v7, v7, v8, vcc
	v_cndmask_b32_e32 v5, v6, v5, vcc
	v_mov_b32_e32 v6, 0x3b800000
	v_lshlrev_b32_e32 v5, 20, v5
	v_and_b32_e32 v3, 0x80000000, v3
	v_lshl_add_u32 v6, v7, 23, v6
	v_or3_b32 v3, v3, v6, v5
	v_cvt_u32_f32_e32 v3, v3
.LBB347_1551:
	s_or_b64 exec, exec, s[18:19]
.LBB347_1552:
	s_mov_b64 s[20:21], -1
.LBB347_1553:
	s_branch .LBB347_1583
.LBB347_1554:
	s_cmp_gt_i32 s22, 22
	s_cbranch_scc0 .LBB347_1562
; %bb.1555:
	s_cmp_lt_i32 s22, 24
	s_cbranch_scc1 .LBB347_1565
; %bb.1556:
	s_cmp_gt_i32 s22, 24
	s_cbranch_scc0 .LBB347_1566
; %bb.1557:
	global_load_ubyte v5, v[0:1], off
	s_movk_i32 s4, 0x7f
	s_mov_b64 s[18:19], 0
	s_waitcnt vmcnt(0)
	v_cmp_lt_i16_e32 vcc, s4, v5
	s_and_saveexec_b64 s[4:5], vcc
	s_xor_b64 s[4:5], exec, s[4:5]
	s_cbranch_execz .LBB347_1577
; %bb.1558:
	s_movk_i32 s18, 0x80
	v_cmp_ne_u16_e32 vcc, s18, v5
	s_and_b64 s[18:19], vcc, exec
	s_andn2_saveexec_b64 s[4:5], s[4:5]
	s_cbranch_execnz .LBB347_1578
.LBB347_1559:
	s_or_b64 exec, exec, s[4:5]
	v_mov_b32_e32 v3, 0
	s_and_saveexec_b64 s[4:5], s[18:19]
	s_cbranch_execz .LBB347_1561
.LBB347_1560:
	v_lshlrev_b32_e32 v3, 24, v5
	v_and_b32_e32 v5, 0xffff, v5
	v_and_b32_e32 v6, 3, v5
	v_ffbh_u32_e32 v8, v6
	v_min_u32_e32 v8, 32, v8
	v_subrev_u32_e32 v9, 29, v8
	v_bfe_u32 v7, v5, 2, 5
	v_lshlrev_b32_e32 v5, v9, v5
	v_sub_u32_e32 v8, 30, v8
	v_and_b32_e32 v5, 3, v5
	v_cmp_eq_u32_e32 vcc, 0, v7
	v_cndmask_b32_e32 v7, v7, v8, vcc
	v_cndmask_b32_e32 v5, v6, v5, vcc
	v_mov_b32_e32 v6, 0x37800000
	v_lshlrev_b32_e32 v5, 21, v5
	v_and_b32_e32 v3, 0x80000000, v3
	v_lshl_add_u32 v6, v7, 23, v6
	v_or3_b32 v3, v3, v6, v5
	v_cvt_u32_f32_e32 v3, v3
.LBB347_1561:
	s_or_b64 exec, exec, s[4:5]
	s_mov_b64 s[4:5], 0
	s_branch .LBB347_1567
.LBB347_1562:
                                        ; implicit-def: $vgpr3
	s_mov_b64 s[4:5], 0
	s_branch .LBB347_1573
.LBB347_1563:
	s_andn2_saveexec_b64 s[18:19], s[18:19]
	s_cbranch_execz .LBB347_1549
.LBB347_1564:
	v_cmp_ne_u16_e32 vcc, 0, v5
	s_andn2_b64 s[20:21], s[20:21], exec
	s_and_b64 s[26:27], vcc, exec
	s_or_b64 s[20:21], s[20:21], s[26:27]
	s_or_b64 exec, exec, s[18:19]
	v_mov_b32_e32 v3, 0
	s_and_saveexec_b64 s[18:19], s[20:21]
	s_cbranch_execnz .LBB347_1550
	s_branch .LBB347_1551
.LBB347_1565:
	s_mov_b64 s[4:5], -1
                                        ; implicit-def: $vgpr3
	s_branch .LBB347_1570
.LBB347_1566:
	s_mov_b64 s[4:5], -1
                                        ; implicit-def: $vgpr3
.LBB347_1567:
	s_and_b64 vcc, exec, s[4:5]
	s_cbranch_vccz .LBB347_1569
; %bb.1568:
	global_load_ubyte v3, v[0:1], off
	s_mov_b32 s4, 0x7f800000
	s_waitcnt vmcnt(0)
	v_lshlrev_b32_e32 v3, 24, v3
	v_and_b32_e32 v5, 0x7f000000, v3
	v_ffbh_u32_e32 v6, v5
	v_min_u32_e32 v6, 32, v6
	v_sub_u32_e64 v6, v6, 4 clamp
	v_lshlrev_b32_e32 v8, v6, v5
	v_lshlrev_b32_e32 v6, 23, v6
	v_lshrrev_b32_e32 v8, 4, v8
	v_add_u32_e32 v7, 0x1000000, v5
	v_sub_u32_e32 v6, v8, v6
	v_ashrrev_i32_e32 v7, 8, v7
	v_add_u32_e32 v6, 0x3c000000, v6
	v_and_or_b32 v6, v7, s4, v6
	v_cmp_ne_u32_e32 vcc, 0, v5
	v_cndmask_b32_e32 v5, 0, v6, vcc
	s_brev_b32 s4, 1
	v_and_or_b32 v3, v3, s4, v5
	v_cvt_u32_f32_e32 v3, v3
.LBB347_1569:
	s_mov_b64 s[4:5], 0
.LBB347_1570:
	s_andn2_b64 vcc, exec, s[4:5]
	s_cbranch_vccnz .LBB347_1572
; %bb.1571:
	global_load_ubyte v3, v[0:1], off
	s_movk_i32 s4, 0x7f00
	s_brev_b32 s5, 16
	s_waitcnt vmcnt(0)
	v_lshlrev_b16_e32 v5, 8, v3
	v_lshlrev_b32_e32 v3, 25, v3
	v_lshrrev_b32_e32 v6, 4, v3
	v_and_or_b32 v7, v5, s4, 0.5
	v_or_b32_e32 v6, 0x70000000, v6
	v_add_f32_e32 v7, -0.5, v7
	v_mul_f32_e32 v6, 0x7800000, v6
	v_cmp_gt_u32_e32 vcc, s5, v3
	v_bfe_i32 v5, v5, 0, 16
	v_cndmask_b32_e32 v3, v6, v7, vcc
	s_brev_b32 s4, 1
	v_and_or_b32 v3, v5, s4, v3
	v_cvt_u32_f32_e32 v3, v3
.LBB347_1572:
	s_mov_b64 s[20:21], -1
	s_mov_b64 s[4:5], 0
	s_cbranch_execnz .LBB347_1583
.LBB347_1573:
	s_cmp_gt_i32 s22, 14
	s_cbranch_scc0 .LBB347_1576
; %bb.1574:
	s_cmp_eq_u32 s22, 15
	s_cbranch_scc0 .LBB347_1579
; %bb.1575:
	global_load_ushort v3, v[0:1], off
	s_mov_b64 s[0:1], 0
	s_mov_b64 s[20:21], -1
	s_waitcnt vmcnt(0)
	v_lshlrev_b32_e32 v3, 16, v3
	v_cvt_u32_f32_e32 v3, v3
	s_branch .LBB347_1580
.LBB347_1576:
	s_mov_b64 s[18:19], -1
                                        ; implicit-def: $vgpr3
	s_branch .LBB347_1581
.LBB347_1577:
	s_andn2_saveexec_b64 s[4:5], s[4:5]
	s_cbranch_execz .LBB347_1559
.LBB347_1578:
	v_cmp_ne_u16_e32 vcc, 0, v5
	s_andn2_b64 s[18:19], s[18:19], exec
	s_and_b64 s[20:21], vcc, exec
	s_or_b64 s[18:19], s[18:19], s[20:21]
	s_or_b64 exec, exec, s[4:5]
	v_mov_b32_e32 v3, 0
	s_and_saveexec_b64 s[4:5], s[18:19]
	s_cbranch_execnz .LBB347_1560
	s_branch .LBB347_1561
.LBB347_1579:
	s_mov_b64 s[0:1], -1
                                        ; implicit-def: $vgpr3
.LBB347_1580:
	s_mov_b64 s[18:19], 0
.LBB347_1581:
	s_and_b64 vcc, exec, s[18:19]
	s_cbranch_vccz .LBB347_1583
; %bb.1582:
	s_cmp_lg_u32 s22, 11
	s_mov_b64 s[4:5], -1
	s_cselect_b64 s[0:1], -1, 0
.LBB347_1583:
	s_and_b64 vcc, exec, s[0:1]
	s_mov_b64 s[18:19], s[16:17]
	s_cbranch_vccnz .LBB347_1644
; %bb.1584:
	s_andn2_b64 vcc, exec, s[4:5]
	s_cbranch_vccnz .LBB347_1586
.LBB347_1585:
	global_load_ubyte v3, v[0:1], off
	s_mov_b64 s[20:21], -1
	s_waitcnt vmcnt(0)
	v_cmp_ne_u16_e32 vcc, 0, v3
	v_cndmask_b32_e64 v3, 0, 1, vcc
.LBB347_1586:
	s_branch .LBB347_1521
.LBB347_1587:
	s_and_b32 s4, 0xffff, s24
	s_cmp_lt_i32 s4, 5
	s_cbranch_scc1 .LBB347_1592
; %bb.1588:
	s_cmp_lt_i32 s4, 8
	s_cbranch_scc1 .LBB347_1593
; %bb.1589:
	s_cmp_lt_i32 s4, 9
	s_cbranch_scc1 .LBB347_1594
; %bb.1590:
	s_cmp_gt_i32 s4, 9
	s_cbranch_scc0 .LBB347_1595
; %bb.1591:
	global_load_dwordx2 v[5:6], v[0:1], off
	s_mov_b64 s[0:1], 0
	s_waitcnt vmcnt(0)
	v_cvt_u32_f64_e32 v3, v[5:6]
	s_branch .LBB347_1596
.LBB347_1592:
                                        ; implicit-def: $vgpr3
	s_branch .LBB347_1613
.LBB347_1593:
                                        ; implicit-def: $vgpr3
	s_branch .LBB347_1602
.LBB347_1594:
	s_mov_b64 s[0:1], -1
                                        ; implicit-def: $vgpr3
	s_branch .LBB347_1599
.LBB347_1595:
	s_mov_b64 s[0:1], -1
                                        ; implicit-def: $vgpr3
.LBB347_1596:
	s_andn2_b64 vcc, exec, s[0:1]
	s_cbranch_vccnz .LBB347_1598
; %bb.1597:
	global_load_dword v3, v[0:1], off
	s_waitcnt vmcnt(0)
	v_cvt_u32_f32_e32 v3, v3
.LBB347_1598:
	s_mov_b64 s[0:1], 0
.LBB347_1599:
	s_andn2_b64 vcc, exec, s[0:1]
	s_cbranch_vccnz .LBB347_1601
; %bb.1600:
	global_load_dword v3, v[0:1], off
	s_waitcnt vmcnt(0)
	v_cvt_f32_f16_e32 v3, v3
	v_cvt_u32_f32_e32 v3, v3
.LBB347_1601:
	s_cbranch_execnz .LBB347_1612
.LBB347_1602:
	s_cmp_lt_i32 s4, 6
	s_cbranch_scc1 .LBB347_1605
; %bb.1603:
	s_cmp_gt_i32 s4, 6
	s_cbranch_scc0 .LBB347_1606
; %bb.1604:
	global_load_dwordx2 v[5:6], v[0:1], off
	s_mov_b64 s[0:1], 0
	s_waitcnt vmcnt(0)
	v_cvt_u32_f64_e32 v3, v[5:6]
	s_branch .LBB347_1607
.LBB347_1605:
	s_mov_b64 s[0:1], -1
                                        ; implicit-def: $vgpr3
	s_branch .LBB347_1610
.LBB347_1606:
	s_mov_b64 s[0:1], -1
                                        ; implicit-def: $vgpr3
.LBB347_1607:
	s_andn2_b64 vcc, exec, s[0:1]
	s_cbranch_vccnz .LBB347_1609
; %bb.1608:
	global_load_dword v3, v[0:1], off
	s_waitcnt vmcnt(0)
	v_cvt_u32_f32_e32 v3, v3
.LBB347_1609:
	s_mov_b64 s[0:1], 0
.LBB347_1610:
	s_andn2_b64 vcc, exec, s[0:1]
	s_cbranch_vccnz .LBB347_1612
; %bb.1611:
	global_load_ushort v3, v[0:1], off
	s_waitcnt vmcnt(0)
	v_cvt_f32_f16_e32 v3, v3
	v_cvt_u32_f32_e32 v3, v3
.LBB347_1612:
	s_cbranch_execnz .LBB347_1631
.LBB347_1613:
	s_cmp_lt_i32 s4, 2
	s_cbranch_scc1 .LBB347_1617
; %bb.1614:
	s_cmp_lt_i32 s4, 3
	s_cbranch_scc1 .LBB347_1618
; %bb.1615:
	s_cmp_gt_i32 s4, 3
	s_cbranch_scc0 .LBB347_1619
; %bb.1616:
	global_load_dword v3, v[0:1], off
	s_mov_b64 s[0:1], 0
	s_branch .LBB347_1620
.LBB347_1617:
                                        ; implicit-def: $vgpr3
	s_branch .LBB347_1626
.LBB347_1618:
	s_mov_b64 s[0:1], -1
                                        ; implicit-def: $vgpr3
	s_branch .LBB347_1623
.LBB347_1619:
	s_mov_b64 s[0:1], -1
                                        ; implicit-def: $vgpr3
.LBB347_1620:
	s_andn2_b64 vcc, exec, s[0:1]
	s_cbranch_vccnz .LBB347_1622
; %bb.1621:
	global_load_dword v3, v[0:1], off
.LBB347_1622:
	s_mov_b64 s[0:1], 0
.LBB347_1623:
	s_andn2_b64 vcc, exec, s[0:1]
	s_cbranch_vccnz .LBB347_1625
; %bb.1624:
	global_load_sshort v3, v[0:1], off
.LBB347_1625:
	s_cbranch_execnz .LBB347_1631
.LBB347_1626:
	s_cmp_gt_i32 s4, 0
	s_cbranch_scc0 .LBB347_1628
; %bb.1627:
	global_load_sbyte v3, v[0:1], off
	s_mov_b64 s[0:1], 0
	s_branch .LBB347_1629
.LBB347_1628:
	s_mov_b64 s[0:1], -1
                                        ; implicit-def: $vgpr3
.LBB347_1629:
	s_andn2_b64 vcc, exec, s[0:1]
	s_cbranch_vccnz .LBB347_1631
; %bb.1630:
	global_load_ubyte v3, v[0:1], off
.LBB347_1631:
.LBB347_1632:
	v_mul_lo_u32 v6, s14, v2
	v_mov_b32_e32 v1, s3
	s_and_b32 s25, s56, 0xff
	s_cmp_lt_i32 s25, 11
	v_ashrrev_i32_e32 v5, 31, v6
	v_add_co_u32_e32 v0, vcc, s2, v6
	v_addc_co_u32_e32 v1, vcc, v1, v5, vcc
	s_cbranch_scc1 .LBB347_1639
; %bb.1633:
	s_and_b32 s26, 0xffff, s25
	s_cmp_gt_i32 s26, 25
	s_mov_b64 s[4:5], 0
	s_cbranch_scc0 .LBB347_1641
; %bb.1634:
	s_cmp_gt_i32 s26, 28
	s_cbranch_scc0 .LBB347_1642
; %bb.1635:
	s_cmp_gt_i32 s26, 43
	s_cbranch_scc0 .LBB347_1643
; %bb.1636:
	s_cmp_gt_i32 s26, 45
	s_cbranch_scc0 .LBB347_1645
; %bb.1637:
	s_cmp_eq_u32 s26, 46
	s_mov_b64 s[22:23], 0
	s_cbranch_scc0 .LBB347_1648
; %bb.1638:
	global_load_dword v5, v[0:1], off
	s_mov_b64 s[0:1], 0
	s_mov_b64 s[20:21], -1
	s_waitcnt vmcnt(0)
	v_lshlrev_b32_e32 v5, 16, v5
	v_cvt_u32_f32_e32 v5, v5
	s_branch .LBB347_1649
.LBB347_1639:
	s_mov_b64 s[20:21], 0
                                        ; implicit-def: $vgpr5
	s_cbranch_execnz .LBB347_1710
.LBB347_1640:
	s_andn2_b64 vcc, exec, s[20:21]
	s_cbranch_vccnz .LBB347_2947
	s_branch .LBB347_1757
.LBB347_1641:
	s_mov_b64 s[20:21], 0
	s_mov_b64 s[0:1], 0
                                        ; implicit-def: $vgpr5
	s_cbranch_execnz .LBB347_1676
	s_branch .LBB347_1706
.LBB347_1642:
	s_mov_b64 s[22:23], -1
	s_mov_b64 s[20:21], 0
	s_mov_b64 s[0:1], 0
                                        ; implicit-def: $vgpr5
	s_branch .LBB347_1659
.LBB347_1643:
	s_mov_b64 s[22:23], -1
	s_mov_b64 s[20:21], 0
	s_mov_b64 s[0:1], 0
                                        ; implicit-def: $vgpr5
	s_branch .LBB347_1654
.LBB347_1644:
	s_or_b64 s[18:19], s[16:17], exec
	s_trap 2
	s_cbranch_execz .LBB347_1585
	s_branch .LBB347_1586
.LBB347_1645:
	s_mov_b64 s[22:23], -1
	s_mov_b64 s[20:21], 0
	s_mov_b64 s[0:1], 0
                                        ; implicit-def: $vgpr5
	s_branch .LBB347_1649
.LBB347_1646:
	s_andn2_saveexec_b64 s[30:31], s[30:31]
	s_cbranch_execz .LBB347_1433
.LBB347_1647:
	v_add_f32_e32 v2, 0x42800000, v3
	v_and_b32_e32 v2, 0xff, v2
	v_cmp_ne_u32_e32 vcc, 0, v2
	s_andn2_b64 s[28:29], s[28:29], exec
	s_and_b64 s[36:37], vcc, exec
	s_or_b64 s[28:29], s[28:29], s[36:37]
	s_or_b64 exec, exec, s[30:31]
	v_mov_b32_e32 v4, 0
	s_and_saveexec_b64 s[30:31], s[28:29]
	s_cbranch_execnz .LBB347_1434
	s_branch .LBB347_1435
.LBB347_1648:
	s_mov_b64 s[0:1], -1
                                        ; implicit-def: $vgpr5
	s_mov_b64 s[20:21], 0
.LBB347_1649:
	s_and_b64 vcc, exec, s[22:23]
	s_cbranch_vccz .LBB347_1653
; %bb.1650:
	s_cmp_eq_u32 s26, 44
	s_cbranch_scc0 .LBB347_1652
; %bb.1651:
	global_load_ubyte v5, v[0:1], off
	s_mov_b64 s[0:1], 0
	s_mov_b64 s[20:21], -1
	s_waitcnt vmcnt(0)
	v_lshlrev_b32_e32 v7, 23, v5
	v_cvt_u32_f32_e32 v7, v7
	v_cmp_ne_u32_e32 vcc, 0, v5
	v_cndmask_b32_e32 v5, 0, v7, vcc
	s_branch .LBB347_1653
.LBB347_1652:
	s_mov_b64 s[0:1], -1
                                        ; implicit-def: $vgpr5
.LBB347_1653:
	s_mov_b64 s[22:23], 0
.LBB347_1654:
	s_and_b64 vcc, exec, s[22:23]
	s_cbranch_vccz .LBB347_1658
; %bb.1655:
	s_cmp_eq_u32 s26, 29
	s_cbranch_scc0 .LBB347_1657
; %bb.1656:
	global_load_dword v5, v[0:1], off
	s_mov_b64 s[0:1], 0
	s_mov_b64 s[20:21], -1
	s_branch .LBB347_1658
.LBB347_1657:
	s_mov_b64 s[0:1], -1
                                        ; implicit-def: $vgpr5
.LBB347_1658:
	s_mov_b64 s[22:23], 0
.LBB347_1659:
	s_and_b64 vcc, exec, s[22:23]
	s_cbranch_vccz .LBB347_1675
; %bb.1660:
	s_cmp_lt_i32 s26, 27
	s_cbranch_scc1 .LBB347_1663
; %bb.1661:
	s_cmp_gt_i32 s26, 27
	s_cbranch_scc0 .LBB347_1664
; %bb.1662:
	global_load_dword v5, v[0:1], off
	s_mov_b64 s[20:21], 0
	s_branch .LBB347_1665
.LBB347_1663:
	s_mov_b64 s[20:21], -1
                                        ; implicit-def: $vgpr5
	s_branch .LBB347_1668
.LBB347_1664:
	s_mov_b64 s[20:21], -1
                                        ; implicit-def: $vgpr5
.LBB347_1665:
	s_andn2_b64 vcc, exec, s[20:21]
	s_cbranch_vccnz .LBB347_1667
; %bb.1666:
	global_load_ushort v5, v[0:1], off
.LBB347_1667:
	s_mov_b64 s[20:21], 0
.LBB347_1668:
	s_andn2_b64 vcc, exec, s[20:21]
	s_cbranch_vccnz .LBB347_1674
; %bb.1669:
	global_load_ubyte v7, v[0:1], off
	s_movk_i32 s20, 0x7f
	s_mov_b64 s[22:23], 0
	s_waitcnt vmcnt(0)
	v_cmp_lt_i16_e32 vcc, s20, v7
	s_and_saveexec_b64 s[20:21], vcc
	s_xor_b64 s[20:21], exec, s[20:21]
	s_cbranch_execz .LBB347_1685
; %bb.1670:
	s_movk_i32 s22, 0x80
	v_cmp_ne_u16_e32 vcc, s22, v7
	s_and_b64 s[22:23], vcc, exec
	s_andn2_saveexec_b64 s[20:21], s[20:21]
	s_cbranch_execnz .LBB347_1686
.LBB347_1671:
	s_or_b64 exec, exec, s[20:21]
	v_mov_b32_e32 v5, 0
	s_and_saveexec_b64 s[20:21], s[22:23]
	s_cbranch_execz .LBB347_1673
.LBB347_1672:
	v_lshlrev_b32_e32 v5, 24, v7
	v_and_b32_e32 v7, 0xffff, v7
	v_and_b32_e32 v8, 7, v7
	v_ffbh_u32_e32 v10, v8
	v_min_u32_e32 v10, 32, v10
	v_subrev_u32_e32 v11, 28, v10
	v_bfe_u32 v9, v7, 3, 4
	v_lshlrev_b32_e32 v7, v11, v7
	v_sub_u32_e32 v10, 29, v10
	v_and_b32_e32 v7, 7, v7
	v_cmp_eq_u32_e32 vcc, 0, v9
	v_cndmask_b32_e32 v9, v9, v10, vcc
	v_cndmask_b32_e32 v7, v8, v7, vcc
	v_mov_b32_e32 v8, 0x3b800000
	v_lshlrev_b32_e32 v7, 20, v7
	v_and_b32_e32 v5, 0x80000000, v5
	v_lshl_add_u32 v8, v9, 23, v8
	v_or3_b32 v5, v5, v8, v7
	v_cvt_u32_f32_e32 v5, v5
.LBB347_1673:
	s_or_b64 exec, exec, s[20:21]
.LBB347_1674:
	s_mov_b64 s[20:21], -1
.LBB347_1675:
	s_branch .LBB347_1706
.LBB347_1676:
	s_cmp_gt_i32 s26, 22
	s_cbranch_scc0 .LBB347_1684
; %bb.1677:
	s_cmp_lt_i32 s26, 24
	s_cbranch_scc1 .LBB347_1687
; %bb.1678:
	s_cmp_gt_i32 s26, 24
	s_cbranch_scc0 .LBB347_1688
; %bb.1679:
	global_load_ubyte v7, v[0:1], off
	s_movk_i32 s4, 0x7f
	s_mov_b64 s[20:21], 0
	s_waitcnt vmcnt(0)
	v_cmp_lt_i16_e32 vcc, s4, v7
	s_and_saveexec_b64 s[4:5], vcc
	s_xor_b64 s[4:5], exec, s[4:5]
	s_cbranch_execz .LBB347_1700
; %bb.1680:
	s_movk_i32 s20, 0x80
	v_cmp_ne_u16_e32 vcc, s20, v7
	s_and_b64 s[20:21], vcc, exec
	s_andn2_saveexec_b64 s[4:5], s[4:5]
	s_cbranch_execnz .LBB347_1701
.LBB347_1681:
	s_or_b64 exec, exec, s[4:5]
	v_mov_b32_e32 v5, 0
	s_and_saveexec_b64 s[4:5], s[20:21]
	s_cbranch_execz .LBB347_1683
.LBB347_1682:
	v_lshlrev_b32_e32 v5, 24, v7
	v_and_b32_e32 v7, 0xffff, v7
	v_and_b32_e32 v8, 3, v7
	v_ffbh_u32_e32 v10, v8
	v_min_u32_e32 v10, 32, v10
	v_subrev_u32_e32 v11, 29, v10
	v_bfe_u32 v9, v7, 2, 5
	v_lshlrev_b32_e32 v7, v11, v7
	v_sub_u32_e32 v10, 30, v10
	v_and_b32_e32 v7, 3, v7
	v_cmp_eq_u32_e32 vcc, 0, v9
	v_cndmask_b32_e32 v9, v9, v10, vcc
	v_cndmask_b32_e32 v7, v8, v7, vcc
	v_mov_b32_e32 v8, 0x37800000
	v_lshlrev_b32_e32 v7, 21, v7
	v_and_b32_e32 v5, 0x80000000, v5
	v_lshl_add_u32 v8, v9, 23, v8
	v_or3_b32 v5, v5, v8, v7
	v_cvt_u32_f32_e32 v5, v5
.LBB347_1683:
	s_or_b64 exec, exec, s[4:5]
	s_mov_b64 s[4:5], 0
	s_branch .LBB347_1689
.LBB347_1684:
	s_mov_b64 s[4:5], -1
                                        ; implicit-def: $vgpr5
	s_branch .LBB347_1695
.LBB347_1685:
	s_andn2_saveexec_b64 s[20:21], s[20:21]
	s_cbranch_execz .LBB347_1671
.LBB347_1686:
	v_cmp_ne_u16_e32 vcc, 0, v7
	s_andn2_b64 s[22:23], s[22:23], exec
	s_and_b64 s[28:29], vcc, exec
	s_or_b64 s[22:23], s[22:23], s[28:29]
	s_or_b64 exec, exec, s[20:21]
	v_mov_b32_e32 v5, 0
	s_and_saveexec_b64 s[20:21], s[22:23]
	s_cbranch_execnz .LBB347_1672
	s_branch .LBB347_1673
.LBB347_1687:
	s_mov_b64 s[4:5], -1
                                        ; implicit-def: $vgpr5
	s_branch .LBB347_1692
.LBB347_1688:
	s_mov_b64 s[4:5], -1
                                        ; implicit-def: $vgpr5
.LBB347_1689:
	s_and_b64 vcc, exec, s[4:5]
	s_cbranch_vccz .LBB347_1691
; %bb.1690:
	global_load_ubyte v5, v[0:1], off
	s_mov_b32 s4, 0x7f800000
	s_waitcnt vmcnt(0)
	v_lshlrev_b32_e32 v5, 24, v5
	v_and_b32_e32 v7, 0x7f000000, v5
	v_ffbh_u32_e32 v8, v7
	v_min_u32_e32 v8, 32, v8
	v_sub_u32_e64 v8, v8, 4 clamp
	v_lshlrev_b32_e32 v10, v8, v7
	v_lshlrev_b32_e32 v8, 23, v8
	v_lshrrev_b32_e32 v10, 4, v10
	v_add_u32_e32 v9, 0x1000000, v7
	v_sub_u32_e32 v8, v10, v8
	v_ashrrev_i32_e32 v9, 8, v9
	v_add_u32_e32 v8, 0x3c000000, v8
	v_and_or_b32 v8, v9, s4, v8
	v_cmp_ne_u32_e32 vcc, 0, v7
	v_cndmask_b32_e32 v7, 0, v8, vcc
	s_brev_b32 s4, 1
	v_and_or_b32 v5, v5, s4, v7
	v_cvt_u32_f32_e32 v5, v5
.LBB347_1691:
	s_mov_b64 s[4:5], 0
.LBB347_1692:
	s_andn2_b64 vcc, exec, s[4:5]
	s_cbranch_vccnz .LBB347_1694
; %bb.1693:
	global_load_ubyte v5, v[0:1], off
	s_movk_i32 s4, 0x7f00
	s_brev_b32 s5, 16
	s_waitcnt vmcnt(0)
	v_lshlrev_b16_e32 v7, 8, v5
	v_lshlrev_b32_e32 v5, 25, v5
	v_lshrrev_b32_e32 v8, 4, v5
	v_and_or_b32 v9, v7, s4, 0.5
	v_or_b32_e32 v8, 0x70000000, v8
	v_add_f32_e32 v9, -0.5, v9
	v_mul_f32_e32 v8, 0x7800000, v8
	v_cmp_gt_u32_e32 vcc, s5, v5
	v_bfe_i32 v7, v7, 0, 16
	v_cndmask_b32_e32 v5, v8, v9, vcc
	s_brev_b32 s4, 1
	v_and_or_b32 v5, v7, s4, v5
	v_cvt_u32_f32_e32 v5, v5
.LBB347_1694:
	s_mov_b64 s[4:5], 0
	s_mov_b64 s[20:21], -1
.LBB347_1695:
	s_andn2_b64 vcc, exec, s[4:5]
	s_mov_b64 s[4:5], 0
	s_cbranch_vccnz .LBB347_1706
; %bb.1696:
	s_cmp_gt_i32 s26, 14
	s_cbranch_scc0 .LBB347_1699
; %bb.1697:
	s_cmp_eq_u32 s26, 15
	s_cbranch_scc0 .LBB347_1702
; %bb.1698:
	global_load_ushort v5, v[0:1], off
	s_mov_b64 s[0:1], 0
	s_mov_b64 s[20:21], -1
	s_waitcnt vmcnt(0)
	v_lshlrev_b32_e32 v5, 16, v5
	v_cvt_u32_f32_e32 v5, v5
	s_branch .LBB347_1703
.LBB347_1699:
	s_mov_b64 s[22:23], -1
                                        ; implicit-def: $vgpr5
	s_branch .LBB347_1704
.LBB347_1700:
	s_andn2_saveexec_b64 s[4:5], s[4:5]
	s_cbranch_execz .LBB347_1681
.LBB347_1701:
	v_cmp_ne_u16_e32 vcc, 0, v7
	s_andn2_b64 s[20:21], s[20:21], exec
	s_and_b64 s[22:23], vcc, exec
	s_or_b64 s[20:21], s[20:21], s[22:23]
	s_or_b64 exec, exec, s[4:5]
	v_mov_b32_e32 v5, 0
	s_and_saveexec_b64 s[4:5], s[20:21]
	s_cbranch_execnz .LBB347_1682
	s_branch .LBB347_1683
.LBB347_1702:
	s_mov_b64 s[0:1], -1
                                        ; implicit-def: $vgpr5
.LBB347_1703:
	s_mov_b64 s[22:23], 0
.LBB347_1704:
	s_and_b64 vcc, exec, s[22:23]
	s_cbranch_vccz .LBB347_1706
; %bb.1705:
	s_cmp_lg_u32 s26, 11
	s_mov_b64 s[4:5], -1
	s_cselect_b64 s[0:1], -1, 0
.LBB347_1706:
	s_and_b64 vcc, exec, s[0:1]
	s_cbranch_vccnz .LBB347_1769
; %bb.1707:
	s_andn2_b64 vcc, exec, s[4:5]
	s_cbranch_vccnz .LBB347_1709
.LBB347_1708:
	global_load_ubyte v5, v[0:1], off
	s_mov_b64 s[20:21], -1
	s_waitcnt vmcnt(0)
	v_cmp_ne_u16_e32 vcc, 0, v5
	v_cndmask_b32_e64 v5, 0, 1, vcc
.LBB347_1709:
	s_branch .LBB347_1640
.LBB347_1710:
	s_and_b32 s4, 0xffff, s25
	s_cmp_lt_i32 s4, 5
	s_cbranch_scc1 .LBB347_1715
; %bb.1711:
	s_cmp_lt_i32 s4, 8
	s_cbranch_scc1 .LBB347_1716
; %bb.1712:
	;; [unrolled: 3-line block ×3, first 2 shown]
	s_cmp_gt_i32 s4, 9
	s_cbranch_scc0 .LBB347_1718
; %bb.1714:
	global_load_dwordx2 v[7:8], v[0:1], off
	s_mov_b64 s[0:1], 0
	s_waitcnt vmcnt(0)
	v_cvt_u32_f64_e32 v5, v[7:8]
	s_branch .LBB347_1719
.LBB347_1715:
                                        ; implicit-def: $vgpr5
	s_branch .LBB347_1737
.LBB347_1716:
	s_mov_b64 s[0:1], -1
                                        ; implicit-def: $vgpr5
	s_branch .LBB347_1725
.LBB347_1717:
	s_mov_b64 s[0:1], -1
                                        ; implicit-def: $vgpr5
	s_branch .LBB347_1722
.LBB347_1718:
	s_mov_b64 s[0:1], -1
                                        ; implicit-def: $vgpr5
.LBB347_1719:
	s_andn2_b64 vcc, exec, s[0:1]
	s_cbranch_vccnz .LBB347_1721
; %bb.1720:
	global_load_dword v5, v[0:1], off
	s_waitcnt vmcnt(0)
	v_cvt_u32_f32_e32 v5, v5
.LBB347_1721:
	s_mov_b64 s[0:1], 0
.LBB347_1722:
	s_andn2_b64 vcc, exec, s[0:1]
	s_cbranch_vccnz .LBB347_1724
; %bb.1723:
	global_load_dword v5, v[0:1], off
	s_waitcnt vmcnt(0)
	v_cvt_f32_f16_e32 v5, v5
	v_cvt_u32_f32_e32 v5, v5
.LBB347_1724:
	s_mov_b64 s[0:1], 0
.LBB347_1725:
	s_andn2_b64 vcc, exec, s[0:1]
	s_cbranch_vccnz .LBB347_1736
; %bb.1726:
	s_cmp_lt_i32 s4, 6
	s_cbranch_scc1 .LBB347_1729
; %bb.1727:
	s_cmp_gt_i32 s4, 6
	s_cbranch_scc0 .LBB347_1730
; %bb.1728:
	global_load_dwordx2 v[7:8], v[0:1], off
	s_mov_b64 s[0:1], 0
	s_waitcnt vmcnt(0)
	v_cvt_u32_f64_e32 v5, v[7:8]
	s_branch .LBB347_1731
.LBB347_1729:
	s_mov_b64 s[0:1], -1
                                        ; implicit-def: $vgpr5
	s_branch .LBB347_1734
.LBB347_1730:
	s_mov_b64 s[0:1], -1
                                        ; implicit-def: $vgpr5
.LBB347_1731:
	s_andn2_b64 vcc, exec, s[0:1]
	s_cbranch_vccnz .LBB347_1733
; %bb.1732:
	global_load_dword v5, v[0:1], off
	s_waitcnt vmcnt(0)
	v_cvt_u32_f32_e32 v5, v5
.LBB347_1733:
	s_mov_b64 s[0:1], 0
.LBB347_1734:
	s_andn2_b64 vcc, exec, s[0:1]
	s_cbranch_vccnz .LBB347_1736
; %bb.1735:
	global_load_ushort v5, v[0:1], off
	s_waitcnt vmcnt(0)
	v_cvt_f32_f16_e32 v5, v5
	v_cvt_u32_f32_e32 v5, v5
.LBB347_1736:
	s_cbranch_execnz .LBB347_1756
.LBB347_1737:
	s_cmp_lt_i32 s4, 2
	s_cbranch_scc1 .LBB347_1741
; %bb.1738:
	s_cmp_lt_i32 s4, 3
	s_cbranch_scc1 .LBB347_1742
; %bb.1739:
	s_cmp_gt_i32 s4, 3
	s_cbranch_scc0 .LBB347_1743
; %bb.1740:
	global_load_dword v5, v[0:1], off
	s_mov_b64 s[0:1], 0
	s_branch .LBB347_1744
.LBB347_1741:
	s_mov_b64 s[0:1], -1
                                        ; implicit-def: $vgpr5
	s_branch .LBB347_1750
.LBB347_1742:
	s_mov_b64 s[0:1], -1
                                        ; implicit-def: $vgpr5
	s_branch .LBB347_1747
.LBB347_1743:
	s_mov_b64 s[0:1], -1
                                        ; implicit-def: $vgpr5
.LBB347_1744:
	s_andn2_b64 vcc, exec, s[0:1]
	s_cbranch_vccnz .LBB347_1746
; %bb.1745:
	global_load_dword v5, v[0:1], off
.LBB347_1746:
	s_mov_b64 s[0:1], 0
.LBB347_1747:
	s_andn2_b64 vcc, exec, s[0:1]
	s_cbranch_vccnz .LBB347_1749
; %bb.1748:
	global_load_sshort v5, v[0:1], off
.LBB347_1749:
	s_mov_b64 s[0:1], 0
.LBB347_1750:
	s_andn2_b64 vcc, exec, s[0:1]
	s_cbranch_vccnz .LBB347_1756
; %bb.1751:
	s_cmp_gt_i32 s4, 0
	s_cbranch_scc0 .LBB347_1753
; %bb.1752:
	global_load_sbyte v5, v[0:1], off
	s_mov_b64 s[0:1], 0
	s_branch .LBB347_1754
.LBB347_1753:
	s_mov_b64 s[0:1], -1
                                        ; implicit-def: $vgpr5
.LBB347_1754:
	s_andn2_b64 vcc, exec, s[0:1]
	s_cbranch_vccnz .LBB347_1756
; %bb.1755:
	global_load_ubyte v5, v[0:1], off
.LBB347_1756:
.LBB347_1757:
	s_lshl_b32 s13, s13, 7
	v_add_u32_e32 v8, s13, v4
	v_ashrrev_i32_e32 v1, 31, v8
	v_mov_b32_e32 v4, s11
	v_add_co_u32_e32 v0, vcc, s10, v8
	s_cmp_lt_i32 s24, 11
	v_addc_co_u32_e32 v1, vcc, v4, v1, vcc
	s_cbranch_scc1 .LBB347_1764
; %bb.1758:
	s_and_b32 s26, 0xffff, s24
	s_cmp_gt_i32 s26, 25
	s_mov_b64 s[4:5], 0
	s_cbranch_scc0 .LBB347_1766
; %bb.1759:
	s_cmp_gt_i32 s26, 28
	s_cbranch_scc0 .LBB347_1767
; %bb.1760:
	s_cmp_gt_i32 s26, 43
	;; [unrolled: 3-line block ×3, first 2 shown]
	s_cbranch_scc0 .LBB347_1770
; %bb.1762:
	s_cmp_eq_u32 s26, 46
	s_mov_b64 s[22:23], 0
	s_cbranch_scc0 .LBB347_1771
; %bb.1763:
	global_load_dword v4, v[0:1], off
	s_mov_b64 s[0:1], 0
	s_mov_b64 s[20:21], -1
	s_waitcnt vmcnt(0)
	v_lshlrev_b32_e32 v4, 16, v4
	v_cvt_u32_f32_e32 v4, v4
	s_branch .LBB347_1772
.LBB347_1764:
	s_mov_b64 s[20:21], 0
                                        ; implicit-def: $vgpr4
	s_cbranch_execnz .LBB347_1834
.LBB347_1765:
	s_andn2_b64 vcc, exec, s[20:21]
	s_cbranch_vccnz .LBB347_2947
	s_branch .LBB347_1882
.LBB347_1766:
	s_mov_b64 s[22:23], -1
	s_mov_b64 s[20:21], 0
	s_mov_b64 s[0:1], 0
                                        ; implicit-def: $vgpr4
	s_branch .LBB347_1799
.LBB347_1767:
	s_mov_b64 s[22:23], -1
	s_mov_b64 s[20:21], 0
	s_mov_b64 s[0:1], 0
                                        ; implicit-def: $vgpr4
	s_branch .LBB347_1782
.LBB347_1768:
	s_mov_b64 s[22:23], -1
	s_mov_b64 s[20:21], 0
	s_mov_b64 s[0:1], 0
                                        ; implicit-def: $vgpr4
	s_branch .LBB347_1777
.LBB347_1769:
	s_trap 2
	s_or_b64 s[18:19], s[18:19], exec
	s_cbranch_execz .LBB347_1708
	s_branch .LBB347_1709
.LBB347_1770:
	s_mov_b64 s[22:23], -1
	s_mov_b64 s[20:21], 0
	s_mov_b64 s[0:1], 0
                                        ; implicit-def: $vgpr4
	s_branch .LBB347_1772
.LBB347_1771:
	s_mov_b64 s[0:1], -1
                                        ; implicit-def: $vgpr4
	s_mov_b64 s[20:21], 0
.LBB347_1772:
	s_and_b64 vcc, exec, s[22:23]
	s_cbranch_vccz .LBB347_1776
; %bb.1773:
	s_cmp_eq_u32 s26, 44
	s_cbranch_scc0 .LBB347_1775
; %bb.1774:
	global_load_ubyte v4, v[0:1], off
	s_mov_b64 s[0:1], 0
	s_mov_b64 s[20:21], -1
	s_waitcnt vmcnt(0)
	v_lshlrev_b32_e32 v7, 23, v4
	v_cvt_u32_f32_e32 v7, v7
	v_cmp_ne_u32_e32 vcc, 0, v4
	v_cndmask_b32_e32 v4, 0, v7, vcc
	s_branch .LBB347_1776
.LBB347_1775:
	s_mov_b64 s[0:1], -1
                                        ; implicit-def: $vgpr4
.LBB347_1776:
	s_mov_b64 s[22:23], 0
.LBB347_1777:
	s_and_b64 vcc, exec, s[22:23]
	s_cbranch_vccz .LBB347_1781
; %bb.1778:
	s_cmp_eq_u32 s26, 29
	s_cbranch_scc0 .LBB347_1780
; %bb.1779:
	global_load_dword v4, v[0:1], off
	s_mov_b64 s[0:1], 0
	s_mov_b64 s[20:21], -1
	s_branch .LBB347_1781
.LBB347_1780:
	s_mov_b64 s[0:1], -1
                                        ; implicit-def: $vgpr4
.LBB347_1781:
	s_mov_b64 s[22:23], 0
.LBB347_1782:
	s_and_b64 vcc, exec, s[22:23]
	s_cbranch_vccz .LBB347_1798
; %bb.1783:
	s_cmp_lt_i32 s26, 27
	s_cbranch_scc1 .LBB347_1786
; %bb.1784:
	s_cmp_gt_i32 s26, 27
	s_cbranch_scc0 .LBB347_1787
; %bb.1785:
	global_load_dword v4, v[0:1], off
	s_mov_b64 s[20:21], 0
	s_branch .LBB347_1788
.LBB347_1786:
	s_mov_b64 s[20:21], -1
                                        ; implicit-def: $vgpr4
	s_branch .LBB347_1791
.LBB347_1787:
	s_mov_b64 s[20:21], -1
                                        ; implicit-def: $vgpr4
.LBB347_1788:
	s_andn2_b64 vcc, exec, s[20:21]
	s_cbranch_vccnz .LBB347_1790
; %bb.1789:
	global_load_ushort v4, v[0:1], off
.LBB347_1790:
	s_mov_b64 s[20:21], 0
.LBB347_1791:
	s_andn2_b64 vcc, exec, s[20:21]
	s_cbranch_vccnz .LBB347_1797
; %bb.1792:
	global_load_ubyte v7, v[0:1], off
	s_movk_i32 s20, 0x7f
	s_mov_b64 s[22:23], 0
	s_waitcnt vmcnt(0)
	v_cmp_lt_i16_e32 vcc, s20, v7
	s_and_saveexec_b64 s[20:21], vcc
	s_xor_b64 s[20:21], exec, s[20:21]
	s_cbranch_execz .LBB347_1809
; %bb.1793:
	s_movk_i32 s22, 0x80
	v_cmp_ne_u16_e32 vcc, s22, v7
	s_and_b64 s[22:23], vcc, exec
	s_andn2_saveexec_b64 s[20:21], s[20:21]
	s_cbranch_execnz .LBB347_1810
.LBB347_1794:
	s_or_b64 exec, exec, s[20:21]
	v_mov_b32_e32 v4, 0
	s_and_saveexec_b64 s[20:21], s[22:23]
	s_cbranch_execz .LBB347_1796
.LBB347_1795:
	v_lshlrev_b32_e32 v4, 24, v7
	v_and_b32_e32 v7, 0xffff, v7
	v_and_b32_e32 v9, 7, v7
	v_ffbh_u32_e32 v11, v9
	v_min_u32_e32 v11, 32, v11
	v_subrev_u32_e32 v12, 28, v11
	v_bfe_u32 v10, v7, 3, 4
	v_lshlrev_b32_e32 v7, v12, v7
	v_sub_u32_e32 v11, 29, v11
	v_and_b32_e32 v7, 7, v7
	v_cmp_eq_u32_e32 vcc, 0, v10
	v_cndmask_b32_e32 v10, v10, v11, vcc
	v_cndmask_b32_e32 v7, v9, v7, vcc
	v_mov_b32_e32 v9, 0x3b800000
	v_lshlrev_b32_e32 v7, 20, v7
	v_and_b32_e32 v4, 0x80000000, v4
	v_lshl_add_u32 v9, v10, 23, v9
	v_or3_b32 v4, v4, v9, v7
	v_cvt_u32_f32_e32 v4, v4
.LBB347_1796:
	s_or_b64 exec, exec, s[20:21]
.LBB347_1797:
	s_mov_b64 s[20:21], -1
.LBB347_1798:
	s_mov_b64 s[22:23], 0
.LBB347_1799:
	s_and_b64 vcc, exec, s[22:23]
	s_cbranch_vccz .LBB347_1830
; %bb.1800:
	s_cmp_gt_i32 s26, 22
	s_cbranch_scc0 .LBB347_1808
; %bb.1801:
	s_cmp_lt_i32 s26, 24
	s_cbranch_scc1 .LBB347_1811
; %bb.1802:
	s_cmp_gt_i32 s26, 24
	s_cbranch_scc0 .LBB347_1812
; %bb.1803:
	global_load_ubyte v7, v[0:1], off
	s_movk_i32 s4, 0x7f
	s_mov_b64 s[20:21], 0
	s_waitcnt vmcnt(0)
	v_cmp_lt_i16_e32 vcc, s4, v7
	s_and_saveexec_b64 s[4:5], vcc
	s_xor_b64 s[4:5], exec, s[4:5]
	s_cbranch_execz .LBB347_1824
; %bb.1804:
	s_movk_i32 s20, 0x80
	v_cmp_ne_u16_e32 vcc, s20, v7
	s_and_b64 s[20:21], vcc, exec
	s_andn2_saveexec_b64 s[4:5], s[4:5]
	s_cbranch_execnz .LBB347_1825
.LBB347_1805:
	s_or_b64 exec, exec, s[4:5]
	v_mov_b32_e32 v4, 0
	s_and_saveexec_b64 s[4:5], s[20:21]
	s_cbranch_execz .LBB347_1807
.LBB347_1806:
	v_lshlrev_b32_e32 v4, 24, v7
	v_and_b32_e32 v7, 0xffff, v7
	v_and_b32_e32 v9, 3, v7
	v_ffbh_u32_e32 v11, v9
	v_min_u32_e32 v11, 32, v11
	v_subrev_u32_e32 v12, 29, v11
	v_bfe_u32 v10, v7, 2, 5
	v_lshlrev_b32_e32 v7, v12, v7
	v_sub_u32_e32 v11, 30, v11
	v_and_b32_e32 v7, 3, v7
	v_cmp_eq_u32_e32 vcc, 0, v10
	v_cndmask_b32_e32 v10, v10, v11, vcc
	v_cndmask_b32_e32 v7, v9, v7, vcc
	v_mov_b32_e32 v9, 0x37800000
	v_lshlrev_b32_e32 v7, 21, v7
	v_and_b32_e32 v4, 0x80000000, v4
	v_lshl_add_u32 v9, v10, 23, v9
	v_or3_b32 v4, v4, v9, v7
	v_cvt_u32_f32_e32 v4, v4
.LBB347_1807:
	s_or_b64 exec, exec, s[4:5]
	s_mov_b64 s[4:5], 0
	s_branch .LBB347_1813
.LBB347_1808:
	s_mov_b64 s[4:5], -1
                                        ; implicit-def: $vgpr4
	s_branch .LBB347_1819
.LBB347_1809:
	s_andn2_saveexec_b64 s[20:21], s[20:21]
	s_cbranch_execz .LBB347_1794
.LBB347_1810:
	v_cmp_ne_u16_e32 vcc, 0, v7
	s_andn2_b64 s[22:23], s[22:23], exec
	s_and_b64 s[28:29], vcc, exec
	s_or_b64 s[22:23], s[22:23], s[28:29]
	s_or_b64 exec, exec, s[20:21]
	v_mov_b32_e32 v4, 0
	s_and_saveexec_b64 s[20:21], s[22:23]
	s_cbranch_execnz .LBB347_1795
	s_branch .LBB347_1796
.LBB347_1811:
	s_mov_b64 s[4:5], -1
                                        ; implicit-def: $vgpr4
	s_branch .LBB347_1816
.LBB347_1812:
	s_mov_b64 s[4:5], -1
                                        ; implicit-def: $vgpr4
.LBB347_1813:
	s_and_b64 vcc, exec, s[4:5]
	s_cbranch_vccz .LBB347_1815
; %bb.1814:
	global_load_ubyte v4, v[0:1], off
	s_mov_b32 s4, 0x7f800000
	s_waitcnt vmcnt(0)
	v_lshlrev_b32_e32 v4, 24, v4
	v_and_b32_e32 v7, 0x7f000000, v4
	v_ffbh_u32_e32 v9, v7
	v_min_u32_e32 v9, 32, v9
	v_sub_u32_e64 v9, v9, 4 clamp
	v_lshlrev_b32_e32 v11, v9, v7
	v_lshlrev_b32_e32 v9, 23, v9
	v_lshrrev_b32_e32 v11, 4, v11
	v_add_u32_e32 v10, 0x1000000, v7
	v_sub_u32_e32 v9, v11, v9
	v_ashrrev_i32_e32 v10, 8, v10
	v_add_u32_e32 v9, 0x3c000000, v9
	v_and_or_b32 v9, v10, s4, v9
	v_cmp_ne_u32_e32 vcc, 0, v7
	v_cndmask_b32_e32 v7, 0, v9, vcc
	s_brev_b32 s4, 1
	v_and_or_b32 v4, v4, s4, v7
	v_cvt_u32_f32_e32 v4, v4
.LBB347_1815:
	s_mov_b64 s[4:5], 0
.LBB347_1816:
	s_andn2_b64 vcc, exec, s[4:5]
	s_cbranch_vccnz .LBB347_1818
; %bb.1817:
	global_load_ubyte v4, v[0:1], off
	s_movk_i32 s4, 0x7f00
	s_brev_b32 s5, 16
	s_waitcnt vmcnt(0)
	v_lshlrev_b16_e32 v7, 8, v4
	v_lshlrev_b32_e32 v4, 25, v4
	v_lshrrev_b32_e32 v9, 4, v4
	v_and_or_b32 v10, v7, s4, 0.5
	v_or_b32_e32 v9, 0x70000000, v9
	v_add_f32_e32 v10, -0.5, v10
	v_mul_f32_e32 v9, 0x7800000, v9
	v_cmp_gt_u32_e32 vcc, s5, v4
	v_bfe_i32 v7, v7, 0, 16
	v_cndmask_b32_e32 v4, v9, v10, vcc
	s_brev_b32 s4, 1
	v_and_or_b32 v4, v7, s4, v4
	v_cvt_u32_f32_e32 v4, v4
.LBB347_1818:
	s_mov_b64 s[4:5], 0
	s_mov_b64 s[20:21], -1
.LBB347_1819:
	s_andn2_b64 vcc, exec, s[4:5]
	s_mov_b64 s[4:5], 0
	s_cbranch_vccnz .LBB347_1830
; %bb.1820:
	s_cmp_gt_i32 s26, 14
	s_cbranch_scc0 .LBB347_1823
; %bb.1821:
	s_cmp_eq_u32 s26, 15
	s_cbranch_scc0 .LBB347_1826
; %bb.1822:
	global_load_ushort v4, v[0:1], off
	s_mov_b64 s[0:1], 0
	s_mov_b64 s[20:21], -1
	s_waitcnt vmcnt(0)
	v_lshlrev_b32_e32 v4, 16, v4
	v_cvt_u32_f32_e32 v4, v4
	s_branch .LBB347_1827
.LBB347_1823:
	s_mov_b64 s[22:23], -1
                                        ; implicit-def: $vgpr4
	s_branch .LBB347_1828
.LBB347_1824:
	s_andn2_saveexec_b64 s[4:5], s[4:5]
	s_cbranch_execz .LBB347_1805
.LBB347_1825:
	v_cmp_ne_u16_e32 vcc, 0, v7
	s_andn2_b64 s[20:21], s[20:21], exec
	s_and_b64 s[22:23], vcc, exec
	s_or_b64 s[20:21], s[20:21], s[22:23]
	s_or_b64 exec, exec, s[4:5]
	v_mov_b32_e32 v4, 0
	s_and_saveexec_b64 s[4:5], s[20:21]
	s_cbranch_execnz .LBB347_1806
	s_branch .LBB347_1807
.LBB347_1826:
	s_mov_b64 s[0:1], -1
                                        ; implicit-def: $vgpr4
.LBB347_1827:
	s_mov_b64 s[22:23], 0
.LBB347_1828:
	s_and_b64 vcc, exec, s[22:23]
	s_cbranch_vccz .LBB347_1830
; %bb.1829:
	s_cmp_lg_u32 s26, 11
	s_mov_b64 s[4:5], -1
	s_cselect_b64 s[0:1], -1, 0
.LBB347_1830:
	s_and_b64 vcc, exec, s[0:1]
	s_cbranch_vccnz .LBB347_1893
; %bb.1831:
	s_andn2_b64 vcc, exec, s[4:5]
	s_cbranch_vccnz .LBB347_1833
.LBB347_1832:
	global_load_ubyte v4, v[0:1], off
	s_mov_b64 s[20:21], -1
	s_waitcnt vmcnt(0)
	v_cmp_ne_u16_e32 vcc, 0, v4
	v_cndmask_b32_e64 v4, 0, 1, vcc
.LBB347_1833:
	s_branch .LBB347_1765
.LBB347_1834:
	s_and_b32 s4, 0xffff, s24
	s_cmp_lt_i32 s4, 5
	s_cbranch_scc1 .LBB347_1839
; %bb.1835:
	s_cmp_lt_i32 s4, 8
	s_cbranch_scc1 .LBB347_1840
; %bb.1836:
	;; [unrolled: 3-line block ×3, first 2 shown]
	s_cmp_gt_i32 s4, 9
	s_cbranch_scc0 .LBB347_1842
; %bb.1838:
	global_load_dwordx2 v[9:10], v[0:1], off
	s_mov_b64 s[0:1], 0
	s_waitcnt vmcnt(0)
	v_cvt_u32_f64_e32 v4, v[9:10]
	s_branch .LBB347_1843
.LBB347_1839:
	s_mov_b64 s[0:1], -1
                                        ; implicit-def: $vgpr4
	s_branch .LBB347_1861
.LBB347_1840:
	s_mov_b64 s[0:1], -1
                                        ; implicit-def: $vgpr4
	s_branch .LBB347_1849
.LBB347_1841:
	s_mov_b64 s[0:1], -1
                                        ; implicit-def: $vgpr4
	s_branch .LBB347_1846
.LBB347_1842:
	s_mov_b64 s[0:1], -1
                                        ; implicit-def: $vgpr4
.LBB347_1843:
	s_andn2_b64 vcc, exec, s[0:1]
	s_cbranch_vccnz .LBB347_1845
; %bb.1844:
	global_load_dword v4, v[0:1], off
	s_waitcnt vmcnt(0)
	v_cvt_u32_f32_e32 v4, v4
.LBB347_1845:
	s_mov_b64 s[0:1], 0
.LBB347_1846:
	s_andn2_b64 vcc, exec, s[0:1]
	s_cbranch_vccnz .LBB347_1848
; %bb.1847:
	global_load_dword v4, v[0:1], off
	s_waitcnt vmcnt(0)
	v_cvt_f32_f16_e32 v4, v4
	v_cvt_u32_f32_e32 v4, v4
.LBB347_1848:
	s_mov_b64 s[0:1], 0
.LBB347_1849:
	s_andn2_b64 vcc, exec, s[0:1]
	s_cbranch_vccnz .LBB347_1860
; %bb.1850:
	s_cmp_lt_i32 s4, 6
	s_cbranch_scc1 .LBB347_1853
; %bb.1851:
	s_cmp_gt_i32 s4, 6
	s_cbranch_scc0 .LBB347_1854
; %bb.1852:
	global_load_dwordx2 v[9:10], v[0:1], off
	s_mov_b64 s[0:1], 0
	s_waitcnt vmcnt(0)
	v_cvt_u32_f64_e32 v4, v[9:10]
	s_branch .LBB347_1855
.LBB347_1853:
	s_mov_b64 s[0:1], -1
                                        ; implicit-def: $vgpr4
	s_branch .LBB347_1858
.LBB347_1854:
	s_mov_b64 s[0:1], -1
                                        ; implicit-def: $vgpr4
.LBB347_1855:
	s_andn2_b64 vcc, exec, s[0:1]
	s_cbranch_vccnz .LBB347_1857
; %bb.1856:
	global_load_dword v4, v[0:1], off
	s_waitcnt vmcnt(0)
	v_cvt_u32_f32_e32 v4, v4
.LBB347_1857:
	s_mov_b64 s[0:1], 0
.LBB347_1858:
	s_andn2_b64 vcc, exec, s[0:1]
	s_cbranch_vccnz .LBB347_1860
; %bb.1859:
	global_load_ushort v4, v[0:1], off
	s_waitcnt vmcnt(0)
	v_cvt_f32_f16_e32 v4, v4
	v_cvt_u32_f32_e32 v4, v4
.LBB347_1860:
	s_mov_b64 s[0:1], 0
.LBB347_1861:
	s_andn2_b64 vcc, exec, s[0:1]
	s_cbranch_vccnz .LBB347_1881
; %bb.1862:
	s_cmp_lt_i32 s4, 2
	s_cbranch_scc1 .LBB347_1866
; %bb.1863:
	s_cmp_lt_i32 s4, 3
	s_cbranch_scc1 .LBB347_1867
; %bb.1864:
	s_cmp_gt_i32 s4, 3
	s_cbranch_scc0 .LBB347_1868
; %bb.1865:
	global_load_dword v4, v[0:1], off
	s_mov_b64 s[0:1], 0
	s_branch .LBB347_1869
.LBB347_1866:
	s_mov_b64 s[0:1], -1
                                        ; implicit-def: $vgpr4
	s_branch .LBB347_1875
.LBB347_1867:
	s_mov_b64 s[0:1], -1
                                        ; implicit-def: $vgpr4
	s_branch .LBB347_1872
.LBB347_1868:
	s_mov_b64 s[0:1], -1
                                        ; implicit-def: $vgpr4
.LBB347_1869:
	s_andn2_b64 vcc, exec, s[0:1]
	s_cbranch_vccnz .LBB347_1871
; %bb.1870:
	global_load_dword v4, v[0:1], off
.LBB347_1871:
	s_mov_b64 s[0:1], 0
.LBB347_1872:
	s_andn2_b64 vcc, exec, s[0:1]
	s_cbranch_vccnz .LBB347_1874
; %bb.1873:
	global_load_sshort v4, v[0:1], off
.LBB347_1874:
	s_mov_b64 s[0:1], 0
.LBB347_1875:
	s_andn2_b64 vcc, exec, s[0:1]
	s_cbranch_vccnz .LBB347_1881
; %bb.1876:
	s_cmp_gt_i32 s4, 0
	s_cbranch_scc0 .LBB347_1878
; %bb.1877:
	global_load_sbyte v4, v[0:1], off
	s_mov_b64 s[0:1], 0
	s_branch .LBB347_1879
.LBB347_1878:
	s_mov_b64 s[0:1], -1
                                        ; implicit-def: $vgpr4
.LBB347_1879:
	s_andn2_b64 vcc, exec, s[0:1]
	s_cbranch_vccnz .LBB347_1881
; %bb.1880:
	global_load_ubyte v4, v[0:1], off
.LBB347_1881:
.LBB347_1882:
	s_lshl_b32 s14, s14, 7
	v_add_u32_e32 v9, s14, v6
	v_ashrrev_i32_e32 v1, 31, v9
	v_mov_b32_e32 v6, s3
	v_add_co_u32_e32 v0, vcc, s2, v9
	s_cmp_lt_i32 s25, 11
	v_addc_co_u32_e32 v1, vcc, v6, v1, vcc
	s_cbranch_scc1 .LBB347_1889
; %bb.1883:
	s_and_b32 s26, 0xffff, s25
	s_cmp_gt_i32 s26, 25
	s_mov_b64 s[4:5], 0
	s_cbranch_scc0 .LBB347_1890
; %bb.1884:
	s_cmp_gt_i32 s26, 28
	s_cbranch_scc0 .LBB347_1891
; %bb.1885:
	s_cmp_gt_i32 s26, 43
	;; [unrolled: 3-line block ×3, first 2 shown]
	s_cbranch_scc0 .LBB347_1894
; %bb.1887:
	s_cmp_eq_u32 s26, 46
	s_mov_b64 s[22:23], 0
	s_cbranch_scc0 .LBB347_1895
; %bb.1888:
	global_load_dword v6, v[0:1], off
	s_mov_b64 s[0:1], 0
	s_mov_b64 s[20:21], -1
	s_waitcnt vmcnt(0)
	v_lshlrev_b32_e32 v6, 16, v6
	v_cvt_u32_f32_e32 v7, v6
	s_branch .LBB347_1896
.LBB347_1889:
	s_mov_b64 s[0:1], -1
	s_mov_b64 s[20:21], 0
                                        ; implicit-def: $vgpr7
	s_branch .LBB347_1958
.LBB347_1890:
	s_mov_b64 s[22:23], -1
	s_mov_b64 s[20:21], 0
	s_mov_b64 s[0:1], 0
                                        ; implicit-def: $vgpr7
	s_branch .LBB347_1923
.LBB347_1891:
	s_mov_b64 s[22:23], -1
	s_mov_b64 s[20:21], 0
	s_mov_b64 s[0:1], 0
                                        ; implicit-def: $vgpr7
	s_branch .LBB347_1906
.LBB347_1892:
	s_mov_b64 s[22:23], -1
	s_mov_b64 s[20:21], 0
	s_mov_b64 s[0:1], 0
                                        ; implicit-def: $vgpr7
	s_branch .LBB347_1901
.LBB347_1893:
	s_trap 2
	s_or_b64 s[18:19], s[18:19], exec
	s_cbranch_execz .LBB347_1832
	s_branch .LBB347_1833
.LBB347_1894:
	s_mov_b64 s[22:23], -1
	s_mov_b64 s[20:21], 0
	s_mov_b64 s[0:1], 0
                                        ; implicit-def: $vgpr7
	s_branch .LBB347_1896
.LBB347_1895:
	s_mov_b64 s[0:1], -1
                                        ; implicit-def: $vgpr7
	s_mov_b64 s[20:21], 0
.LBB347_1896:
	s_and_b64 vcc, exec, s[22:23]
	s_cbranch_vccz .LBB347_1900
; %bb.1897:
	s_cmp_eq_u32 s26, 44
	s_cbranch_scc0 .LBB347_1899
; %bb.1898:
	global_load_ubyte v6, v[0:1], off
	s_mov_b64 s[0:1], 0
	s_mov_b64 s[20:21], -1
	s_waitcnt vmcnt(0)
	v_lshlrev_b32_e32 v7, 23, v6
	v_cvt_u32_f32_e32 v7, v7
	v_cmp_ne_u32_e32 vcc, 0, v6
	v_cndmask_b32_e32 v7, 0, v7, vcc
	s_branch .LBB347_1900
.LBB347_1899:
	s_mov_b64 s[0:1], -1
                                        ; implicit-def: $vgpr7
.LBB347_1900:
	s_mov_b64 s[22:23], 0
.LBB347_1901:
	s_and_b64 vcc, exec, s[22:23]
	s_cbranch_vccz .LBB347_1905
; %bb.1902:
	s_cmp_eq_u32 s26, 29
	s_cbranch_scc0 .LBB347_1904
; %bb.1903:
	global_load_dword v7, v[0:1], off
	s_mov_b64 s[0:1], 0
	s_mov_b64 s[20:21], -1
	s_branch .LBB347_1905
.LBB347_1904:
	s_mov_b64 s[0:1], -1
                                        ; implicit-def: $vgpr7
.LBB347_1905:
	s_mov_b64 s[22:23], 0
.LBB347_1906:
	s_and_b64 vcc, exec, s[22:23]
	s_cbranch_vccz .LBB347_1922
; %bb.1907:
	s_cmp_lt_i32 s26, 27
	s_cbranch_scc1 .LBB347_1910
; %bb.1908:
	s_cmp_gt_i32 s26, 27
	s_cbranch_scc0 .LBB347_1911
; %bb.1909:
	global_load_dword v7, v[0:1], off
	s_mov_b64 s[20:21], 0
	s_branch .LBB347_1912
.LBB347_1910:
	s_mov_b64 s[20:21], -1
                                        ; implicit-def: $vgpr7
	s_branch .LBB347_1915
.LBB347_1911:
	s_mov_b64 s[20:21], -1
                                        ; implicit-def: $vgpr7
.LBB347_1912:
	s_andn2_b64 vcc, exec, s[20:21]
	s_cbranch_vccnz .LBB347_1914
; %bb.1913:
	global_load_ushort v7, v[0:1], off
.LBB347_1914:
	s_mov_b64 s[20:21], 0
.LBB347_1915:
	s_andn2_b64 vcc, exec, s[20:21]
	s_cbranch_vccnz .LBB347_1921
; %bb.1916:
	global_load_ubyte v6, v[0:1], off
	s_movk_i32 s20, 0x7f
	s_mov_b64 s[22:23], 0
	s_waitcnt vmcnt(0)
	v_cmp_lt_i16_e32 vcc, s20, v6
	s_and_saveexec_b64 s[20:21], vcc
	s_xor_b64 s[20:21], exec, s[20:21]
	s_cbranch_execz .LBB347_1933
; %bb.1917:
	s_movk_i32 s22, 0x80
	v_cmp_ne_u16_e32 vcc, s22, v6
	s_and_b64 s[22:23], vcc, exec
	s_andn2_saveexec_b64 s[20:21], s[20:21]
	s_cbranch_execnz .LBB347_1934
.LBB347_1918:
	s_or_b64 exec, exec, s[20:21]
	v_mov_b32_e32 v7, 0
	s_and_saveexec_b64 s[20:21], s[22:23]
	s_cbranch_execz .LBB347_1920
.LBB347_1919:
	v_lshlrev_b32_e32 v7, 24, v6
	v_and_b32_e32 v6, 0xffff, v6
	v_and_b32_e32 v10, 7, v6
	v_ffbh_u32_e32 v12, v10
	v_min_u32_e32 v12, 32, v12
	v_subrev_u32_e32 v13, 28, v12
	v_bfe_u32 v11, v6, 3, 4
	v_lshlrev_b32_e32 v6, v13, v6
	v_sub_u32_e32 v12, 29, v12
	v_and_b32_e32 v6, 7, v6
	v_cmp_eq_u32_e32 vcc, 0, v11
	v_cndmask_b32_e32 v11, v11, v12, vcc
	v_cndmask_b32_e32 v6, v10, v6, vcc
	v_mov_b32_e32 v10, 0x3b800000
	v_lshlrev_b32_e32 v6, 20, v6
	v_and_b32_e32 v7, 0x80000000, v7
	v_lshl_add_u32 v10, v11, 23, v10
	v_or3_b32 v6, v7, v10, v6
	v_cvt_u32_f32_e32 v7, v6
.LBB347_1920:
	s_or_b64 exec, exec, s[20:21]
.LBB347_1921:
	s_mov_b64 s[20:21], -1
.LBB347_1922:
	s_mov_b64 s[22:23], 0
.LBB347_1923:
	s_and_b64 vcc, exec, s[22:23]
	s_cbranch_vccz .LBB347_1954
; %bb.1924:
	s_cmp_gt_i32 s26, 22
	s_cbranch_scc0 .LBB347_1932
; %bb.1925:
	s_cmp_lt_i32 s26, 24
	s_cbranch_scc1 .LBB347_1935
; %bb.1926:
	s_cmp_gt_i32 s26, 24
	s_cbranch_scc0 .LBB347_1936
; %bb.1927:
	global_load_ubyte v6, v[0:1], off
	s_movk_i32 s4, 0x7f
	s_mov_b64 s[20:21], 0
	s_waitcnt vmcnt(0)
	v_cmp_lt_i16_e32 vcc, s4, v6
	s_and_saveexec_b64 s[4:5], vcc
	s_xor_b64 s[4:5], exec, s[4:5]
	s_cbranch_execz .LBB347_1948
; %bb.1928:
	s_movk_i32 s20, 0x80
	v_cmp_ne_u16_e32 vcc, s20, v6
	s_and_b64 s[20:21], vcc, exec
	s_andn2_saveexec_b64 s[4:5], s[4:5]
	s_cbranch_execnz .LBB347_1949
.LBB347_1929:
	s_or_b64 exec, exec, s[4:5]
	v_mov_b32_e32 v7, 0
	s_and_saveexec_b64 s[4:5], s[20:21]
	s_cbranch_execz .LBB347_1931
.LBB347_1930:
	v_lshlrev_b32_e32 v7, 24, v6
	v_and_b32_e32 v6, 0xffff, v6
	v_and_b32_e32 v10, 3, v6
	v_ffbh_u32_e32 v12, v10
	v_min_u32_e32 v12, 32, v12
	v_subrev_u32_e32 v13, 29, v12
	v_bfe_u32 v11, v6, 2, 5
	v_lshlrev_b32_e32 v6, v13, v6
	v_sub_u32_e32 v12, 30, v12
	v_and_b32_e32 v6, 3, v6
	v_cmp_eq_u32_e32 vcc, 0, v11
	v_cndmask_b32_e32 v11, v11, v12, vcc
	v_cndmask_b32_e32 v6, v10, v6, vcc
	v_mov_b32_e32 v10, 0x37800000
	v_lshlrev_b32_e32 v6, 21, v6
	v_and_b32_e32 v7, 0x80000000, v7
	v_lshl_add_u32 v10, v11, 23, v10
	v_or3_b32 v6, v7, v10, v6
	v_cvt_u32_f32_e32 v7, v6
.LBB347_1931:
	s_or_b64 exec, exec, s[4:5]
	s_mov_b64 s[4:5], 0
	s_branch .LBB347_1937
.LBB347_1932:
	s_mov_b64 s[4:5], -1
                                        ; implicit-def: $vgpr7
	s_branch .LBB347_1943
.LBB347_1933:
	s_andn2_saveexec_b64 s[20:21], s[20:21]
	s_cbranch_execz .LBB347_1918
.LBB347_1934:
	v_cmp_ne_u16_e32 vcc, 0, v6
	s_andn2_b64 s[22:23], s[22:23], exec
	s_and_b64 s[28:29], vcc, exec
	s_or_b64 s[22:23], s[22:23], s[28:29]
	s_or_b64 exec, exec, s[20:21]
	v_mov_b32_e32 v7, 0
	s_and_saveexec_b64 s[20:21], s[22:23]
	s_cbranch_execnz .LBB347_1919
	s_branch .LBB347_1920
.LBB347_1935:
	s_mov_b64 s[4:5], -1
                                        ; implicit-def: $vgpr7
	s_branch .LBB347_1940
.LBB347_1936:
	s_mov_b64 s[4:5], -1
                                        ; implicit-def: $vgpr7
.LBB347_1937:
	s_and_b64 vcc, exec, s[4:5]
	s_cbranch_vccz .LBB347_1939
; %bb.1938:
	global_load_ubyte v6, v[0:1], off
	s_mov_b32 s4, 0x7f800000
	s_waitcnt vmcnt(0)
	v_lshlrev_b32_e32 v6, 24, v6
	v_and_b32_e32 v7, 0x7f000000, v6
	v_ffbh_u32_e32 v10, v7
	v_min_u32_e32 v10, 32, v10
	v_sub_u32_e64 v10, v10, 4 clamp
	v_lshlrev_b32_e32 v12, v10, v7
	v_lshlrev_b32_e32 v10, 23, v10
	v_lshrrev_b32_e32 v12, 4, v12
	v_add_u32_e32 v11, 0x1000000, v7
	v_sub_u32_e32 v10, v12, v10
	v_ashrrev_i32_e32 v11, 8, v11
	v_add_u32_e32 v10, 0x3c000000, v10
	v_and_or_b32 v10, v11, s4, v10
	v_cmp_ne_u32_e32 vcc, 0, v7
	v_cndmask_b32_e32 v7, 0, v10, vcc
	s_brev_b32 s4, 1
	v_and_or_b32 v6, v6, s4, v7
	v_cvt_u32_f32_e32 v7, v6
.LBB347_1939:
	s_mov_b64 s[4:5], 0
.LBB347_1940:
	s_andn2_b64 vcc, exec, s[4:5]
	s_cbranch_vccnz .LBB347_1942
; %bb.1941:
	global_load_ubyte v6, v[0:1], off
	s_movk_i32 s4, 0x7f00
	s_brev_b32 s5, 16
	s_waitcnt vmcnt(0)
	v_lshlrev_b16_e32 v7, 8, v6
	v_lshlrev_b32_e32 v6, 25, v6
	v_lshrrev_b32_e32 v10, 4, v6
	v_and_or_b32 v11, v7, s4, 0.5
	v_or_b32_e32 v10, 0x70000000, v10
	v_add_f32_e32 v11, -0.5, v11
	v_mul_f32_e32 v10, 0x7800000, v10
	v_cmp_gt_u32_e32 vcc, s5, v6
	v_bfe_i32 v7, v7, 0, 16
	v_cndmask_b32_e32 v6, v10, v11, vcc
	s_brev_b32 s4, 1
	v_and_or_b32 v6, v7, s4, v6
	v_cvt_u32_f32_e32 v7, v6
.LBB347_1942:
	s_mov_b64 s[4:5], 0
	s_mov_b64 s[20:21], -1
.LBB347_1943:
	s_andn2_b64 vcc, exec, s[4:5]
	s_mov_b64 s[4:5], 0
	s_cbranch_vccnz .LBB347_1954
; %bb.1944:
	s_cmp_gt_i32 s26, 14
	s_cbranch_scc0 .LBB347_1947
; %bb.1945:
	s_cmp_eq_u32 s26, 15
	s_cbranch_scc0 .LBB347_1950
; %bb.1946:
	global_load_ushort v6, v[0:1], off
	s_mov_b64 s[0:1], 0
	s_mov_b64 s[20:21], -1
	s_waitcnt vmcnt(0)
	v_lshlrev_b32_e32 v6, 16, v6
	v_cvt_u32_f32_e32 v7, v6
	s_branch .LBB347_1951
.LBB347_1947:
	s_mov_b64 s[22:23], -1
                                        ; implicit-def: $vgpr7
	s_branch .LBB347_1952
.LBB347_1948:
	s_andn2_saveexec_b64 s[4:5], s[4:5]
	s_cbranch_execz .LBB347_1929
.LBB347_1949:
	v_cmp_ne_u16_e32 vcc, 0, v6
	s_andn2_b64 s[20:21], s[20:21], exec
	s_and_b64 s[22:23], vcc, exec
	s_or_b64 s[20:21], s[20:21], s[22:23]
	s_or_b64 exec, exec, s[4:5]
	v_mov_b32_e32 v7, 0
	s_and_saveexec_b64 s[4:5], s[20:21]
	s_cbranch_execnz .LBB347_1930
	s_branch .LBB347_1931
.LBB347_1950:
	s_mov_b64 s[0:1], -1
                                        ; implicit-def: $vgpr7
.LBB347_1951:
	s_mov_b64 s[22:23], 0
.LBB347_1952:
	s_and_b64 vcc, exec, s[22:23]
	s_cbranch_vccz .LBB347_1954
; %bb.1953:
	s_cmp_lg_u32 s26, 11
	s_mov_b64 s[4:5], -1
	s_cselect_b64 s[0:1], -1, 0
.LBB347_1954:
	s_and_b64 vcc, exec, s[0:1]
	s_cbranch_vccnz .LBB347_2019
; %bb.1955:
	s_andn2_b64 vcc, exec, s[4:5]
	s_cbranch_vccnz .LBB347_1957
.LBB347_1956:
	global_load_ubyte v6, v[0:1], off
	s_mov_b64 s[20:21], -1
	s_waitcnt vmcnt(0)
	v_cmp_ne_u16_e32 vcc, 0, v6
	v_cndmask_b32_e64 v7, 0, 1, vcc
.LBB347_1957:
	s_mov_b64 s[0:1], 0
.LBB347_1958:
	s_and_b64 vcc, exec, s[0:1]
	s_cbranch_vccz .LBB347_2007
; %bb.1959:
	s_and_b32 s4, 0xffff, s25
	s_cmp_lt_i32 s4, 5
	s_cbranch_scc1 .LBB347_1964
; %bb.1960:
	s_cmp_lt_i32 s4, 8
	s_cbranch_scc1 .LBB347_1965
; %bb.1961:
	;; [unrolled: 3-line block ×3, first 2 shown]
	s_cmp_gt_i32 s4, 9
	s_cbranch_scc0 .LBB347_1967
; %bb.1963:
	global_load_dwordx2 v[6:7], v[0:1], off
	s_mov_b64 s[0:1], 0
	s_waitcnt vmcnt(0)
	v_cvt_u32_f64_e32 v7, v[6:7]
	s_branch .LBB347_1968
.LBB347_1964:
	s_mov_b64 s[0:1], -1
                                        ; implicit-def: $vgpr7
	s_branch .LBB347_1986
.LBB347_1965:
	s_mov_b64 s[0:1], -1
                                        ; implicit-def: $vgpr7
	s_branch .LBB347_1974
.LBB347_1966:
	s_mov_b64 s[0:1], -1
                                        ; implicit-def: $vgpr7
	s_branch .LBB347_1971
.LBB347_1967:
	s_mov_b64 s[0:1], -1
                                        ; implicit-def: $vgpr7
.LBB347_1968:
	s_andn2_b64 vcc, exec, s[0:1]
	s_cbranch_vccnz .LBB347_1970
; %bb.1969:
	global_load_dword v6, v[0:1], off
	s_waitcnt vmcnt(0)
	v_cvt_u32_f32_e32 v7, v6
.LBB347_1970:
	s_mov_b64 s[0:1], 0
.LBB347_1971:
	s_andn2_b64 vcc, exec, s[0:1]
	s_cbranch_vccnz .LBB347_1973
; %bb.1972:
	global_load_dword v6, v[0:1], off
	s_waitcnt vmcnt(0)
	v_cvt_f32_f16_e32 v6, v6
	v_cvt_u32_f32_e32 v7, v6
.LBB347_1973:
	s_mov_b64 s[0:1], 0
.LBB347_1974:
	s_andn2_b64 vcc, exec, s[0:1]
	s_cbranch_vccnz .LBB347_1985
; %bb.1975:
	s_cmp_lt_i32 s4, 6
	s_cbranch_scc1 .LBB347_1978
; %bb.1976:
	s_cmp_gt_i32 s4, 6
	s_cbranch_scc0 .LBB347_1979
; %bb.1977:
	global_load_dwordx2 v[6:7], v[0:1], off
	s_mov_b64 s[0:1], 0
	s_waitcnt vmcnt(0)
	v_cvt_u32_f64_e32 v7, v[6:7]
	s_branch .LBB347_1980
.LBB347_1978:
	s_mov_b64 s[0:1], -1
                                        ; implicit-def: $vgpr7
	s_branch .LBB347_1983
.LBB347_1979:
	s_mov_b64 s[0:1], -1
                                        ; implicit-def: $vgpr7
.LBB347_1980:
	s_andn2_b64 vcc, exec, s[0:1]
	s_cbranch_vccnz .LBB347_1982
; %bb.1981:
	global_load_dword v6, v[0:1], off
	s_waitcnt vmcnt(0)
	v_cvt_u32_f32_e32 v7, v6
.LBB347_1982:
	s_mov_b64 s[0:1], 0
.LBB347_1983:
	s_andn2_b64 vcc, exec, s[0:1]
	s_cbranch_vccnz .LBB347_1985
; %bb.1984:
	global_load_ushort v6, v[0:1], off
	s_waitcnt vmcnt(0)
	v_cvt_f32_f16_e32 v6, v6
	v_cvt_u32_f32_e32 v7, v6
.LBB347_1985:
	s_mov_b64 s[0:1], 0
.LBB347_1986:
	s_andn2_b64 vcc, exec, s[0:1]
	s_cbranch_vccnz .LBB347_2006
; %bb.1987:
	s_cmp_lt_i32 s4, 2
	s_cbranch_scc1 .LBB347_1991
; %bb.1988:
	s_cmp_lt_i32 s4, 3
	s_cbranch_scc1 .LBB347_1992
; %bb.1989:
	s_cmp_gt_i32 s4, 3
	s_cbranch_scc0 .LBB347_1993
; %bb.1990:
	global_load_dword v7, v[0:1], off
	s_mov_b64 s[0:1], 0
	s_branch .LBB347_1994
.LBB347_1991:
	s_mov_b64 s[0:1], -1
                                        ; implicit-def: $vgpr7
	s_branch .LBB347_2000
.LBB347_1992:
	s_mov_b64 s[0:1], -1
                                        ; implicit-def: $vgpr7
	s_branch .LBB347_1997
.LBB347_1993:
	s_mov_b64 s[0:1], -1
                                        ; implicit-def: $vgpr7
.LBB347_1994:
	s_andn2_b64 vcc, exec, s[0:1]
	s_cbranch_vccnz .LBB347_1996
; %bb.1995:
	global_load_dword v7, v[0:1], off
.LBB347_1996:
	s_mov_b64 s[0:1], 0
.LBB347_1997:
	s_andn2_b64 vcc, exec, s[0:1]
	s_cbranch_vccnz .LBB347_1999
; %bb.1998:
	global_load_sshort v7, v[0:1], off
.LBB347_1999:
	s_mov_b64 s[0:1], 0
.LBB347_2000:
	s_andn2_b64 vcc, exec, s[0:1]
	s_cbranch_vccnz .LBB347_2006
; %bb.2001:
	s_cmp_gt_i32 s4, 0
	s_cbranch_scc0 .LBB347_2003
; %bb.2002:
	global_load_sbyte v7, v[0:1], off
	s_mov_b64 s[0:1], 0
	s_branch .LBB347_2004
.LBB347_2003:
	s_mov_b64 s[0:1], -1
                                        ; implicit-def: $vgpr7
.LBB347_2004:
	s_andn2_b64 vcc, exec, s[0:1]
	s_cbranch_vccnz .LBB347_2006
; %bb.2005:
	global_load_ubyte v7, v[0:1], off
.LBB347_2006:
	s_mov_b64 s[20:21], -1
.LBB347_2007:
	s_andn2_b64 vcc, exec, s[20:21]
	s_cbranch_vccnz .LBB347_2947
; %bb.2008:
	v_add_u32_e32 v8, s13, v8
	v_ashrrev_i32_e32 v1, 31, v8
	v_mov_b32_e32 v6, s11
	v_add_co_u32_e32 v0, vcc, s10, v8
	s_cmp_lt_i32 s24, 11
	v_addc_co_u32_e32 v1, vcc, v6, v1, vcc
	s_cbranch_scc1 .LBB347_2015
; %bb.2009:
	s_and_b32 s26, 0xffff, s24
	s_cmp_gt_i32 s26, 25
	s_mov_b64 s[4:5], 0
	s_cbranch_scc0 .LBB347_2016
; %bb.2010:
	s_cmp_gt_i32 s26, 28
	s_cbranch_scc0 .LBB347_2017
; %bb.2011:
	s_cmp_gt_i32 s26, 43
	;; [unrolled: 3-line block ×3, first 2 shown]
	s_cbranch_scc0 .LBB347_2020
; %bb.2013:
	s_cmp_eq_u32 s26, 46
	s_mov_b64 s[22:23], 0
	s_cbranch_scc0 .LBB347_2021
; %bb.2014:
	global_load_dword v6, v[0:1], off
	s_mov_b64 s[0:1], 0
	s_mov_b64 s[20:21], -1
	s_waitcnt vmcnt(0)
	v_lshlrev_b32_e32 v6, 16, v6
	v_cvt_u32_f32_e32 v6, v6
	s_branch .LBB347_2022
.LBB347_2015:
	s_mov_b64 s[0:1], -1
	s_mov_b64 s[20:21], 0
                                        ; implicit-def: $vgpr6
	s_branch .LBB347_2084
.LBB347_2016:
	s_mov_b64 s[22:23], -1
	s_mov_b64 s[20:21], 0
	s_mov_b64 s[0:1], 0
                                        ; implicit-def: $vgpr6
	s_branch .LBB347_2049
.LBB347_2017:
	s_mov_b64 s[22:23], -1
	s_mov_b64 s[20:21], 0
	s_mov_b64 s[0:1], 0
                                        ; implicit-def: $vgpr6
	s_branch .LBB347_2032
.LBB347_2018:
	s_mov_b64 s[22:23], -1
	s_mov_b64 s[20:21], 0
	s_mov_b64 s[0:1], 0
                                        ; implicit-def: $vgpr6
	s_branch .LBB347_2027
.LBB347_2019:
	s_trap 2
	s_or_b64 s[18:19], s[18:19], exec
	s_cbranch_execz .LBB347_1956
	s_branch .LBB347_1957
.LBB347_2020:
	s_mov_b64 s[22:23], -1
	s_mov_b64 s[20:21], 0
	s_mov_b64 s[0:1], 0
                                        ; implicit-def: $vgpr6
	s_branch .LBB347_2022
.LBB347_2021:
	s_mov_b64 s[0:1], -1
                                        ; implicit-def: $vgpr6
	s_mov_b64 s[20:21], 0
.LBB347_2022:
	s_and_b64 vcc, exec, s[22:23]
	s_cbranch_vccz .LBB347_2026
; %bb.2023:
	s_cmp_eq_u32 s26, 44
	s_cbranch_scc0 .LBB347_2025
; %bb.2024:
	global_load_ubyte v6, v[0:1], off
	s_mov_b64 s[0:1], 0
	s_mov_b64 s[20:21], -1
	s_waitcnt vmcnt(0)
	v_lshlrev_b32_e32 v10, 23, v6
	v_cvt_u32_f32_e32 v10, v10
	v_cmp_ne_u32_e32 vcc, 0, v6
	v_cndmask_b32_e32 v6, 0, v10, vcc
	s_branch .LBB347_2026
.LBB347_2025:
	s_mov_b64 s[0:1], -1
                                        ; implicit-def: $vgpr6
.LBB347_2026:
	s_mov_b64 s[22:23], 0
.LBB347_2027:
	s_and_b64 vcc, exec, s[22:23]
	s_cbranch_vccz .LBB347_2031
; %bb.2028:
	s_cmp_eq_u32 s26, 29
	s_cbranch_scc0 .LBB347_2030
; %bb.2029:
	global_load_dword v6, v[0:1], off
	s_mov_b64 s[0:1], 0
	s_mov_b64 s[20:21], -1
	s_branch .LBB347_2031
.LBB347_2030:
	s_mov_b64 s[0:1], -1
                                        ; implicit-def: $vgpr6
.LBB347_2031:
	s_mov_b64 s[22:23], 0
.LBB347_2032:
	s_and_b64 vcc, exec, s[22:23]
	s_cbranch_vccz .LBB347_2048
; %bb.2033:
	s_cmp_lt_i32 s26, 27
	s_cbranch_scc1 .LBB347_2036
; %bb.2034:
	s_cmp_gt_i32 s26, 27
	s_cbranch_scc0 .LBB347_2037
; %bb.2035:
	global_load_dword v6, v[0:1], off
	s_mov_b64 s[20:21], 0
	s_branch .LBB347_2038
.LBB347_2036:
	s_mov_b64 s[20:21], -1
                                        ; implicit-def: $vgpr6
	s_branch .LBB347_2041
.LBB347_2037:
	s_mov_b64 s[20:21], -1
                                        ; implicit-def: $vgpr6
.LBB347_2038:
	s_andn2_b64 vcc, exec, s[20:21]
	s_cbranch_vccnz .LBB347_2040
; %bb.2039:
	global_load_ushort v6, v[0:1], off
.LBB347_2040:
	s_mov_b64 s[20:21], 0
.LBB347_2041:
	s_andn2_b64 vcc, exec, s[20:21]
	s_cbranch_vccnz .LBB347_2047
; %bb.2042:
	global_load_ubyte v10, v[0:1], off
	s_movk_i32 s20, 0x7f
	s_mov_b64 s[22:23], 0
	s_waitcnt vmcnt(0)
	v_cmp_lt_i16_e32 vcc, s20, v10
	s_and_saveexec_b64 s[20:21], vcc
	s_xor_b64 s[20:21], exec, s[20:21]
	s_cbranch_execz .LBB347_2059
; %bb.2043:
	s_movk_i32 s22, 0x80
	v_cmp_ne_u16_e32 vcc, s22, v10
	s_and_b64 s[22:23], vcc, exec
	s_andn2_saveexec_b64 s[20:21], s[20:21]
	s_cbranch_execnz .LBB347_2060
.LBB347_2044:
	s_or_b64 exec, exec, s[20:21]
	v_mov_b32_e32 v6, 0
	s_and_saveexec_b64 s[20:21], s[22:23]
	s_cbranch_execz .LBB347_2046
.LBB347_2045:
	v_lshlrev_b32_e32 v6, 24, v10
	v_and_b32_e32 v10, 0xffff, v10
	v_and_b32_e32 v11, 7, v10
	v_ffbh_u32_e32 v13, v11
	v_min_u32_e32 v13, 32, v13
	v_subrev_u32_e32 v14, 28, v13
	v_bfe_u32 v12, v10, 3, 4
	v_lshlrev_b32_e32 v10, v14, v10
	v_sub_u32_e32 v13, 29, v13
	v_and_b32_e32 v10, 7, v10
	v_cmp_eq_u32_e32 vcc, 0, v12
	v_cndmask_b32_e32 v12, v12, v13, vcc
	v_cndmask_b32_e32 v10, v11, v10, vcc
	v_mov_b32_e32 v11, 0x3b800000
	v_lshlrev_b32_e32 v10, 20, v10
	v_and_b32_e32 v6, 0x80000000, v6
	v_lshl_add_u32 v11, v12, 23, v11
	v_or3_b32 v6, v6, v11, v10
	v_cvt_u32_f32_e32 v6, v6
.LBB347_2046:
	s_or_b64 exec, exec, s[20:21]
.LBB347_2047:
	s_mov_b64 s[20:21], -1
.LBB347_2048:
	s_mov_b64 s[22:23], 0
.LBB347_2049:
	s_and_b64 vcc, exec, s[22:23]
	s_cbranch_vccz .LBB347_2080
; %bb.2050:
	s_cmp_gt_i32 s26, 22
	s_cbranch_scc0 .LBB347_2058
; %bb.2051:
	s_cmp_lt_i32 s26, 24
	s_cbranch_scc1 .LBB347_2061
; %bb.2052:
	s_cmp_gt_i32 s26, 24
	s_cbranch_scc0 .LBB347_2062
; %bb.2053:
	global_load_ubyte v10, v[0:1], off
	s_movk_i32 s4, 0x7f
	s_mov_b64 s[20:21], 0
	s_waitcnt vmcnt(0)
	v_cmp_lt_i16_e32 vcc, s4, v10
	s_and_saveexec_b64 s[4:5], vcc
	s_xor_b64 s[4:5], exec, s[4:5]
	s_cbranch_execz .LBB347_2074
; %bb.2054:
	s_movk_i32 s20, 0x80
	v_cmp_ne_u16_e32 vcc, s20, v10
	s_and_b64 s[20:21], vcc, exec
	s_andn2_saveexec_b64 s[4:5], s[4:5]
	s_cbranch_execnz .LBB347_2075
.LBB347_2055:
	s_or_b64 exec, exec, s[4:5]
	v_mov_b32_e32 v6, 0
	s_and_saveexec_b64 s[4:5], s[20:21]
	s_cbranch_execz .LBB347_2057
.LBB347_2056:
	v_lshlrev_b32_e32 v6, 24, v10
	v_and_b32_e32 v10, 0xffff, v10
	v_and_b32_e32 v11, 3, v10
	v_ffbh_u32_e32 v13, v11
	v_min_u32_e32 v13, 32, v13
	v_subrev_u32_e32 v14, 29, v13
	v_bfe_u32 v12, v10, 2, 5
	v_lshlrev_b32_e32 v10, v14, v10
	v_sub_u32_e32 v13, 30, v13
	v_and_b32_e32 v10, 3, v10
	v_cmp_eq_u32_e32 vcc, 0, v12
	v_cndmask_b32_e32 v12, v12, v13, vcc
	v_cndmask_b32_e32 v10, v11, v10, vcc
	v_mov_b32_e32 v11, 0x37800000
	v_lshlrev_b32_e32 v10, 21, v10
	v_and_b32_e32 v6, 0x80000000, v6
	v_lshl_add_u32 v11, v12, 23, v11
	v_or3_b32 v6, v6, v11, v10
	v_cvt_u32_f32_e32 v6, v6
.LBB347_2057:
	s_or_b64 exec, exec, s[4:5]
	s_mov_b64 s[4:5], 0
	s_branch .LBB347_2063
.LBB347_2058:
	s_mov_b64 s[4:5], -1
                                        ; implicit-def: $vgpr6
	s_branch .LBB347_2069
.LBB347_2059:
	s_andn2_saveexec_b64 s[20:21], s[20:21]
	s_cbranch_execz .LBB347_2044
.LBB347_2060:
	v_cmp_ne_u16_e32 vcc, 0, v10
	s_andn2_b64 s[22:23], s[22:23], exec
	s_and_b64 s[28:29], vcc, exec
	s_or_b64 s[22:23], s[22:23], s[28:29]
	s_or_b64 exec, exec, s[20:21]
	v_mov_b32_e32 v6, 0
	s_and_saveexec_b64 s[20:21], s[22:23]
	s_cbranch_execnz .LBB347_2045
	s_branch .LBB347_2046
.LBB347_2061:
	s_mov_b64 s[4:5], -1
                                        ; implicit-def: $vgpr6
	s_branch .LBB347_2066
.LBB347_2062:
	s_mov_b64 s[4:5], -1
                                        ; implicit-def: $vgpr6
.LBB347_2063:
	s_and_b64 vcc, exec, s[4:5]
	s_cbranch_vccz .LBB347_2065
; %bb.2064:
	global_load_ubyte v6, v[0:1], off
	s_mov_b32 s4, 0x7f800000
	s_waitcnt vmcnt(0)
	v_lshlrev_b32_e32 v6, 24, v6
	v_and_b32_e32 v10, 0x7f000000, v6
	v_ffbh_u32_e32 v11, v10
	v_min_u32_e32 v11, 32, v11
	v_sub_u32_e64 v11, v11, 4 clamp
	v_lshlrev_b32_e32 v13, v11, v10
	v_lshlrev_b32_e32 v11, 23, v11
	v_lshrrev_b32_e32 v13, 4, v13
	v_add_u32_e32 v12, 0x1000000, v10
	v_sub_u32_e32 v11, v13, v11
	v_ashrrev_i32_e32 v12, 8, v12
	v_add_u32_e32 v11, 0x3c000000, v11
	v_and_or_b32 v11, v12, s4, v11
	v_cmp_ne_u32_e32 vcc, 0, v10
	v_cndmask_b32_e32 v10, 0, v11, vcc
	s_brev_b32 s4, 1
	v_and_or_b32 v6, v6, s4, v10
	v_cvt_u32_f32_e32 v6, v6
.LBB347_2065:
	s_mov_b64 s[4:5], 0
.LBB347_2066:
	s_andn2_b64 vcc, exec, s[4:5]
	s_cbranch_vccnz .LBB347_2068
; %bb.2067:
	global_load_ubyte v6, v[0:1], off
	s_movk_i32 s4, 0x7f00
	s_brev_b32 s5, 16
	s_waitcnt vmcnt(0)
	v_lshlrev_b16_e32 v10, 8, v6
	v_lshlrev_b32_e32 v6, 25, v6
	v_lshrrev_b32_e32 v11, 4, v6
	v_and_or_b32 v12, v10, s4, 0.5
	v_or_b32_e32 v11, 0x70000000, v11
	v_add_f32_e32 v12, -0.5, v12
	v_mul_f32_e32 v11, 0x7800000, v11
	v_cmp_gt_u32_e32 vcc, s5, v6
	v_bfe_i32 v10, v10, 0, 16
	v_cndmask_b32_e32 v6, v11, v12, vcc
	s_brev_b32 s4, 1
	v_and_or_b32 v6, v10, s4, v6
	v_cvt_u32_f32_e32 v6, v6
.LBB347_2068:
	s_mov_b64 s[4:5], 0
	s_mov_b64 s[20:21], -1
.LBB347_2069:
	s_andn2_b64 vcc, exec, s[4:5]
	s_mov_b64 s[4:5], 0
	s_cbranch_vccnz .LBB347_2080
; %bb.2070:
	s_cmp_gt_i32 s26, 14
	s_cbranch_scc0 .LBB347_2073
; %bb.2071:
	s_cmp_eq_u32 s26, 15
	s_cbranch_scc0 .LBB347_2076
; %bb.2072:
	global_load_ushort v6, v[0:1], off
	s_mov_b64 s[0:1], 0
	s_mov_b64 s[20:21], -1
	s_waitcnt vmcnt(0)
	v_lshlrev_b32_e32 v6, 16, v6
	v_cvt_u32_f32_e32 v6, v6
	s_branch .LBB347_2077
.LBB347_2073:
	s_mov_b64 s[22:23], -1
                                        ; implicit-def: $vgpr6
	s_branch .LBB347_2078
.LBB347_2074:
	s_andn2_saveexec_b64 s[4:5], s[4:5]
	s_cbranch_execz .LBB347_2055
.LBB347_2075:
	v_cmp_ne_u16_e32 vcc, 0, v10
	s_andn2_b64 s[20:21], s[20:21], exec
	s_and_b64 s[22:23], vcc, exec
	s_or_b64 s[20:21], s[20:21], s[22:23]
	s_or_b64 exec, exec, s[4:5]
	v_mov_b32_e32 v6, 0
	s_and_saveexec_b64 s[4:5], s[20:21]
	s_cbranch_execnz .LBB347_2056
	s_branch .LBB347_2057
.LBB347_2076:
	s_mov_b64 s[0:1], -1
                                        ; implicit-def: $vgpr6
.LBB347_2077:
	s_mov_b64 s[22:23], 0
.LBB347_2078:
	s_and_b64 vcc, exec, s[22:23]
	s_cbranch_vccz .LBB347_2080
; %bb.2079:
	s_cmp_lg_u32 s26, 11
	s_mov_b64 s[4:5], -1
	s_cselect_b64 s[0:1], -1, 0
.LBB347_2080:
	s_and_b64 vcc, exec, s[0:1]
	s_cbranch_vccnz .LBB347_2145
; %bb.2081:
	s_andn2_b64 vcc, exec, s[4:5]
	s_cbranch_vccnz .LBB347_2083
.LBB347_2082:
	global_load_ubyte v6, v[0:1], off
	s_mov_b64 s[20:21], -1
	s_waitcnt vmcnt(0)
	v_cmp_ne_u16_e32 vcc, 0, v6
	v_cndmask_b32_e64 v6, 0, 1, vcc
.LBB347_2083:
	s_mov_b64 s[0:1], 0
.LBB347_2084:
	s_and_b64 vcc, exec, s[0:1]
	s_cbranch_vccz .LBB347_2133
; %bb.2085:
	s_and_b32 s4, 0xffff, s24
	s_cmp_lt_i32 s4, 5
	s_cbranch_scc1 .LBB347_2090
; %bb.2086:
	s_cmp_lt_i32 s4, 8
	s_cbranch_scc1 .LBB347_2091
; %bb.2087:
	;; [unrolled: 3-line block ×3, first 2 shown]
	s_cmp_gt_i32 s4, 9
	s_cbranch_scc0 .LBB347_2093
; %bb.2089:
	global_load_dwordx2 v[10:11], v[0:1], off
	s_mov_b64 s[0:1], 0
	s_waitcnt vmcnt(0)
	v_cvt_u32_f64_e32 v6, v[10:11]
	s_branch .LBB347_2094
.LBB347_2090:
	s_mov_b64 s[0:1], -1
                                        ; implicit-def: $vgpr6
	s_branch .LBB347_2112
.LBB347_2091:
	s_mov_b64 s[0:1], -1
                                        ; implicit-def: $vgpr6
	s_branch .LBB347_2100
.LBB347_2092:
	s_mov_b64 s[0:1], -1
                                        ; implicit-def: $vgpr6
	s_branch .LBB347_2097
.LBB347_2093:
	s_mov_b64 s[0:1], -1
                                        ; implicit-def: $vgpr6
.LBB347_2094:
	s_andn2_b64 vcc, exec, s[0:1]
	s_cbranch_vccnz .LBB347_2096
; %bb.2095:
	global_load_dword v6, v[0:1], off
	s_waitcnt vmcnt(0)
	v_cvt_u32_f32_e32 v6, v6
.LBB347_2096:
	s_mov_b64 s[0:1], 0
.LBB347_2097:
	s_andn2_b64 vcc, exec, s[0:1]
	s_cbranch_vccnz .LBB347_2099
; %bb.2098:
	global_load_dword v6, v[0:1], off
	s_waitcnt vmcnt(0)
	v_cvt_f32_f16_e32 v6, v6
	v_cvt_u32_f32_e32 v6, v6
.LBB347_2099:
	s_mov_b64 s[0:1], 0
.LBB347_2100:
	s_andn2_b64 vcc, exec, s[0:1]
	s_cbranch_vccnz .LBB347_2111
; %bb.2101:
	s_cmp_lt_i32 s4, 6
	s_cbranch_scc1 .LBB347_2104
; %bb.2102:
	s_cmp_gt_i32 s4, 6
	s_cbranch_scc0 .LBB347_2105
; %bb.2103:
	global_load_dwordx2 v[10:11], v[0:1], off
	s_mov_b64 s[0:1], 0
	s_waitcnt vmcnt(0)
	v_cvt_u32_f64_e32 v6, v[10:11]
	s_branch .LBB347_2106
.LBB347_2104:
	s_mov_b64 s[0:1], -1
                                        ; implicit-def: $vgpr6
	s_branch .LBB347_2109
.LBB347_2105:
	s_mov_b64 s[0:1], -1
                                        ; implicit-def: $vgpr6
.LBB347_2106:
	s_andn2_b64 vcc, exec, s[0:1]
	s_cbranch_vccnz .LBB347_2108
; %bb.2107:
	global_load_dword v6, v[0:1], off
	s_waitcnt vmcnt(0)
	v_cvt_u32_f32_e32 v6, v6
.LBB347_2108:
	s_mov_b64 s[0:1], 0
.LBB347_2109:
	s_andn2_b64 vcc, exec, s[0:1]
	s_cbranch_vccnz .LBB347_2111
; %bb.2110:
	global_load_ushort v6, v[0:1], off
	s_waitcnt vmcnt(0)
	v_cvt_f32_f16_e32 v6, v6
	v_cvt_u32_f32_e32 v6, v6
.LBB347_2111:
	s_mov_b64 s[0:1], 0
.LBB347_2112:
	s_andn2_b64 vcc, exec, s[0:1]
	s_cbranch_vccnz .LBB347_2132
; %bb.2113:
	s_cmp_lt_i32 s4, 2
	s_cbranch_scc1 .LBB347_2117
; %bb.2114:
	s_cmp_lt_i32 s4, 3
	s_cbranch_scc1 .LBB347_2118
; %bb.2115:
	s_cmp_gt_i32 s4, 3
	s_cbranch_scc0 .LBB347_2119
; %bb.2116:
	global_load_dword v6, v[0:1], off
	s_mov_b64 s[0:1], 0
	s_branch .LBB347_2120
.LBB347_2117:
	s_mov_b64 s[0:1], -1
                                        ; implicit-def: $vgpr6
	s_branch .LBB347_2126
.LBB347_2118:
	s_mov_b64 s[0:1], -1
                                        ; implicit-def: $vgpr6
	s_branch .LBB347_2123
.LBB347_2119:
	s_mov_b64 s[0:1], -1
                                        ; implicit-def: $vgpr6
.LBB347_2120:
	s_andn2_b64 vcc, exec, s[0:1]
	s_cbranch_vccnz .LBB347_2122
; %bb.2121:
	global_load_dword v6, v[0:1], off
.LBB347_2122:
	s_mov_b64 s[0:1], 0
.LBB347_2123:
	s_andn2_b64 vcc, exec, s[0:1]
	s_cbranch_vccnz .LBB347_2125
; %bb.2124:
	global_load_sshort v6, v[0:1], off
.LBB347_2125:
	s_mov_b64 s[0:1], 0
.LBB347_2126:
	s_andn2_b64 vcc, exec, s[0:1]
	s_cbranch_vccnz .LBB347_2132
; %bb.2127:
	s_cmp_gt_i32 s4, 0
	s_cbranch_scc0 .LBB347_2129
; %bb.2128:
	global_load_sbyte v6, v[0:1], off
	s_mov_b64 s[0:1], 0
	s_branch .LBB347_2130
.LBB347_2129:
	s_mov_b64 s[0:1], -1
                                        ; implicit-def: $vgpr6
.LBB347_2130:
	s_andn2_b64 vcc, exec, s[0:1]
	s_cbranch_vccnz .LBB347_2132
; %bb.2131:
	global_load_ubyte v6, v[0:1], off
.LBB347_2132:
	s_mov_b64 s[20:21], -1
.LBB347_2133:
	s_andn2_b64 vcc, exec, s[20:21]
	s_cbranch_vccnz .LBB347_2947
; %bb.2134:
	v_add_u32_e32 v10, s14, v9
	v_ashrrev_i32_e32 v1, 31, v10
	v_mov_b32_e32 v9, s3
	v_add_co_u32_e32 v0, vcc, s2, v10
	s_cmp_lt_i32 s25, 11
	v_addc_co_u32_e32 v1, vcc, v9, v1, vcc
	s_cbranch_scc1 .LBB347_2141
; %bb.2135:
	s_and_b32 s26, 0xffff, s25
	s_cmp_gt_i32 s26, 25
	s_mov_b64 s[4:5], 0
	s_cbranch_scc0 .LBB347_2142
; %bb.2136:
	s_cmp_gt_i32 s26, 28
	s_cbranch_scc0 .LBB347_2143
; %bb.2137:
	s_cmp_gt_i32 s26, 43
	;; [unrolled: 3-line block ×3, first 2 shown]
	s_cbranch_scc0 .LBB347_2146
; %bb.2139:
	s_cmp_eq_u32 s26, 46
	s_mov_b64 s[22:23], 0
	s_cbranch_scc0 .LBB347_2149
; %bb.2140:
	global_load_dword v9, v[0:1], off
	s_mov_b64 s[0:1], 0
	s_mov_b64 s[20:21], -1
	s_waitcnt vmcnt(0)
	v_lshlrev_b32_e32 v9, 16, v9
	v_cvt_u32_f32_e32 v9, v9
	s_branch .LBB347_2150
.LBB347_2141:
	s_mov_b64 s[0:1], -1
	s_mov_b64 s[20:21], 0
                                        ; implicit-def: $vgpr9
	s_branch .LBB347_2212
.LBB347_2142:
	s_mov_b64 s[22:23], -1
	s_mov_b64 s[20:21], 0
	s_mov_b64 s[0:1], 0
                                        ; implicit-def: $vgpr9
	s_branch .LBB347_2177
.LBB347_2143:
	s_mov_b64 s[22:23], -1
	s_mov_b64 s[20:21], 0
	s_mov_b64 s[0:1], 0
                                        ; implicit-def: $vgpr9
	s_branch .LBB347_2160
.LBB347_2144:
	s_mov_b64 s[22:23], -1
	s_mov_b64 s[20:21], 0
	s_mov_b64 s[0:1], 0
                                        ; implicit-def: $vgpr9
	s_branch .LBB347_2155
.LBB347_2145:
	s_trap 2
	s_or_b64 s[18:19], s[18:19], exec
	s_cbranch_execz .LBB347_2082
	s_branch .LBB347_2083
.LBB347_2146:
	s_mov_b64 s[22:23], -1
	s_mov_b64 s[20:21], 0
	s_mov_b64 s[0:1], 0
                                        ; implicit-def: $vgpr9
	s_branch .LBB347_2150
.LBB347_2147:
	s_andn2_saveexec_b64 s[48:49], s[48:49]
	s_cbranch_execz .LBB347_1061
.LBB347_2148:
	v_add_f32_e32 v3, 0x42800000, v4
	v_and_b32_e32 v3, 0xff, v3
	v_cmp_ne_u32_e32 vcc, 0, v3
	s_andn2_b64 s[46:47], s[46:47], exec
	s_and_b64 s[54:55], vcc, exec
	s_or_b64 s[46:47], s[46:47], s[54:55]
	s_or_b64 exec, exec, s[48:49]
	v_mov_b32_e32 v5, 0
	s_and_saveexec_b64 s[48:49], s[46:47]
	s_cbranch_execnz .LBB347_1062
	s_branch .LBB347_1063
.LBB347_2149:
	s_mov_b64 s[0:1], -1
                                        ; implicit-def: $vgpr9
	s_mov_b64 s[20:21], 0
.LBB347_2150:
	s_and_b64 vcc, exec, s[22:23]
	s_cbranch_vccz .LBB347_2154
; %bb.2151:
	s_cmp_eq_u32 s26, 44
	s_cbranch_scc0 .LBB347_2153
; %bb.2152:
	global_load_ubyte v9, v[0:1], off
	s_mov_b64 s[0:1], 0
	s_mov_b64 s[20:21], -1
	s_waitcnt vmcnt(0)
	v_lshlrev_b32_e32 v11, 23, v9
	v_cvt_u32_f32_e32 v11, v11
	v_cmp_ne_u32_e32 vcc, 0, v9
	v_cndmask_b32_e32 v9, 0, v11, vcc
	s_branch .LBB347_2154
.LBB347_2153:
	s_mov_b64 s[0:1], -1
                                        ; implicit-def: $vgpr9
.LBB347_2154:
	s_mov_b64 s[22:23], 0
.LBB347_2155:
	s_and_b64 vcc, exec, s[22:23]
	s_cbranch_vccz .LBB347_2159
; %bb.2156:
	s_cmp_eq_u32 s26, 29
	s_cbranch_scc0 .LBB347_2158
; %bb.2157:
	global_load_dword v9, v[0:1], off
	s_mov_b64 s[0:1], 0
	s_mov_b64 s[20:21], -1
	s_branch .LBB347_2159
.LBB347_2158:
	s_mov_b64 s[0:1], -1
                                        ; implicit-def: $vgpr9
.LBB347_2159:
	s_mov_b64 s[22:23], 0
.LBB347_2160:
	s_and_b64 vcc, exec, s[22:23]
	s_cbranch_vccz .LBB347_2176
; %bb.2161:
	s_cmp_lt_i32 s26, 27
	s_cbranch_scc1 .LBB347_2164
; %bb.2162:
	s_cmp_gt_i32 s26, 27
	s_cbranch_scc0 .LBB347_2165
; %bb.2163:
	global_load_dword v9, v[0:1], off
	s_mov_b64 s[20:21], 0
	s_branch .LBB347_2166
.LBB347_2164:
	s_mov_b64 s[20:21], -1
                                        ; implicit-def: $vgpr9
	s_branch .LBB347_2169
.LBB347_2165:
	s_mov_b64 s[20:21], -1
                                        ; implicit-def: $vgpr9
.LBB347_2166:
	s_andn2_b64 vcc, exec, s[20:21]
	s_cbranch_vccnz .LBB347_2168
; %bb.2167:
	global_load_ushort v9, v[0:1], off
.LBB347_2168:
	s_mov_b64 s[20:21], 0
.LBB347_2169:
	s_andn2_b64 vcc, exec, s[20:21]
	s_cbranch_vccnz .LBB347_2175
; %bb.2170:
	global_load_ubyte v11, v[0:1], off
	s_movk_i32 s20, 0x7f
	s_mov_b64 s[22:23], 0
	s_waitcnt vmcnt(0)
	v_cmp_lt_i16_e32 vcc, s20, v11
	s_and_saveexec_b64 s[20:21], vcc
	s_xor_b64 s[20:21], exec, s[20:21]
	s_cbranch_execz .LBB347_2187
; %bb.2171:
	s_movk_i32 s22, 0x80
	v_cmp_ne_u16_e32 vcc, s22, v11
	s_and_b64 s[22:23], vcc, exec
	s_andn2_saveexec_b64 s[20:21], s[20:21]
	s_cbranch_execnz .LBB347_2188
.LBB347_2172:
	s_or_b64 exec, exec, s[20:21]
	v_mov_b32_e32 v9, 0
	s_and_saveexec_b64 s[20:21], s[22:23]
	s_cbranch_execz .LBB347_2174
.LBB347_2173:
	v_lshlrev_b32_e32 v9, 24, v11
	v_and_b32_e32 v11, 0xffff, v11
	v_and_b32_e32 v12, 7, v11
	v_ffbh_u32_e32 v14, v12
	v_min_u32_e32 v14, 32, v14
	v_subrev_u32_e32 v15, 28, v14
	v_bfe_u32 v13, v11, 3, 4
	v_lshlrev_b32_e32 v11, v15, v11
	v_sub_u32_e32 v14, 29, v14
	v_and_b32_e32 v11, 7, v11
	v_cmp_eq_u32_e32 vcc, 0, v13
	v_cndmask_b32_e32 v13, v13, v14, vcc
	v_cndmask_b32_e32 v11, v12, v11, vcc
	v_mov_b32_e32 v12, 0x3b800000
	v_lshlrev_b32_e32 v11, 20, v11
	v_and_b32_e32 v9, 0x80000000, v9
	v_lshl_add_u32 v12, v13, 23, v12
	v_or3_b32 v9, v9, v12, v11
	v_cvt_u32_f32_e32 v9, v9
.LBB347_2174:
	s_or_b64 exec, exec, s[20:21]
.LBB347_2175:
	s_mov_b64 s[20:21], -1
.LBB347_2176:
	s_mov_b64 s[22:23], 0
.LBB347_2177:
	s_and_b64 vcc, exec, s[22:23]
	s_cbranch_vccz .LBB347_2208
; %bb.2178:
	s_cmp_gt_i32 s26, 22
	s_cbranch_scc0 .LBB347_2186
; %bb.2179:
	s_cmp_lt_i32 s26, 24
	s_cbranch_scc1 .LBB347_2189
; %bb.2180:
	s_cmp_gt_i32 s26, 24
	s_cbranch_scc0 .LBB347_2190
; %bb.2181:
	global_load_ubyte v11, v[0:1], off
	s_movk_i32 s4, 0x7f
	s_mov_b64 s[20:21], 0
	s_waitcnt vmcnt(0)
	v_cmp_lt_i16_e32 vcc, s4, v11
	s_and_saveexec_b64 s[4:5], vcc
	s_xor_b64 s[4:5], exec, s[4:5]
	s_cbranch_execz .LBB347_2202
; %bb.2182:
	s_movk_i32 s20, 0x80
	v_cmp_ne_u16_e32 vcc, s20, v11
	s_and_b64 s[20:21], vcc, exec
	s_andn2_saveexec_b64 s[4:5], s[4:5]
	s_cbranch_execnz .LBB347_2203
.LBB347_2183:
	s_or_b64 exec, exec, s[4:5]
	v_mov_b32_e32 v9, 0
	s_and_saveexec_b64 s[4:5], s[20:21]
	s_cbranch_execz .LBB347_2185
.LBB347_2184:
	v_lshlrev_b32_e32 v9, 24, v11
	v_and_b32_e32 v11, 0xffff, v11
	v_and_b32_e32 v12, 3, v11
	v_ffbh_u32_e32 v14, v12
	v_min_u32_e32 v14, 32, v14
	v_subrev_u32_e32 v15, 29, v14
	v_bfe_u32 v13, v11, 2, 5
	v_lshlrev_b32_e32 v11, v15, v11
	v_sub_u32_e32 v14, 30, v14
	v_and_b32_e32 v11, 3, v11
	v_cmp_eq_u32_e32 vcc, 0, v13
	v_cndmask_b32_e32 v13, v13, v14, vcc
	v_cndmask_b32_e32 v11, v12, v11, vcc
	v_mov_b32_e32 v12, 0x37800000
	v_lshlrev_b32_e32 v11, 21, v11
	v_and_b32_e32 v9, 0x80000000, v9
	v_lshl_add_u32 v12, v13, 23, v12
	v_or3_b32 v9, v9, v12, v11
	v_cvt_u32_f32_e32 v9, v9
.LBB347_2185:
	s_or_b64 exec, exec, s[4:5]
	s_mov_b64 s[4:5], 0
	s_branch .LBB347_2191
.LBB347_2186:
	s_mov_b64 s[4:5], -1
                                        ; implicit-def: $vgpr9
	s_branch .LBB347_2197
.LBB347_2187:
	s_andn2_saveexec_b64 s[20:21], s[20:21]
	s_cbranch_execz .LBB347_2172
.LBB347_2188:
	v_cmp_ne_u16_e32 vcc, 0, v11
	s_andn2_b64 s[22:23], s[22:23], exec
	s_and_b64 s[28:29], vcc, exec
	s_or_b64 s[22:23], s[22:23], s[28:29]
	s_or_b64 exec, exec, s[20:21]
	v_mov_b32_e32 v9, 0
	s_and_saveexec_b64 s[20:21], s[22:23]
	s_cbranch_execnz .LBB347_2173
	s_branch .LBB347_2174
.LBB347_2189:
	s_mov_b64 s[4:5], -1
                                        ; implicit-def: $vgpr9
	s_branch .LBB347_2194
.LBB347_2190:
	s_mov_b64 s[4:5], -1
                                        ; implicit-def: $vgpr9
.LBB347_2191:
	s_and_b64 vcc, exec, s[4:5]
	s_cbranch_vccz .LBB347_2193
; %bb.2192:
	global_load_ubyte v9, v[0:1], off
	s_mov_b32 s4, 0x7f800000
	s_waitcnt vmcnt(0)
	v_lshlrev_b32_e32 v9, 24, v9
	v_and_b32_e32 v11, 0x7f000000, v9
	v_ffbh_u32_e32 v12, v11
	v_min_u32_e32 v12, 32, v12
	v_sub_u32_e64 v12, v12, 4 clamp
	v_lshlrev_b32_e32 v14, v12, v11
	v_lshlrev_b32_e32 v12, 23, v12
	v_lshrrev_b32_e32 v14, 4, v14
	v_add_u32_e32 v13, 0x1000000, v11
	v_sub_u32_e32 v12, v14, v12
	v_ashrrev_i32_e32 v13, 8, v13
	v_add_u32_e32 v12, 0x3c000000, v12
	v_and_or_b32 v12, v13, s4, v12
	v_cmp_ne_u32_e32 vcc, 0, v11
	v_cndmask_b32_e32 v11, 0, v12, vcc
	s_brev_b32 s4, 1
	v_and_or_b32 v9, v9, s4, v11
	v_cvt_u32_f32_e32 v9, v9
.LBB347_2193:
	s_mov_b64 s[4:5], 0
.LBB347_2194:
	s_andn2_b64 vcc, exec, s[4:5]
	s_cbranch_vccnz .LBB347_2196
; %bb.2195:
	global_load_ubyte v9, v[0:1], off
	s_movk_i32 s4, 0x7f00
	s_brev_b32 s5, 16
	s_waitcnt vmcnt(0)
	v_lshlrev_b16_e32 v11, 8, v9
	v_lshlrev_b32_e32 v9, 25, v9
	v_lshrrev_b32_e32 v12, 4, v9
	v_and_or_b32 v13, v11, s4, 0.5
	v_or_b32_e32 v12, 0x70000000, v12
	v_add_f32_e32 v13, -0.5, v13
	v_mul_f32_e32 v12, 0x7800000, v12
	v_cmp_gt_u32_e32 vcc, s5, v9
	v_bfe_i32 v11, v11, 0, 16
	v_cndmask_b32_e32 v9, v12, v13, vcc
	s_brev_b32 s4, 1
	v_and_or_b32 v9, v11, s4, v9
	v_cvt_u32_f32_e32 v9, v9
.LBB347_2196:
	s_mov_b64 s[4:5], 0
	s_mov_b64 s[20:21], -1
.LBB347_2197:
	s_andn2_b64 vcc, exec, s[4:5]
	s_mov_b64 s[4:5], 0
	s_cbranch_vccnz .LBB347_2208
; %bb.2198:
	s_cmp_gt_i32 s26, 14
	s_cbranch_scc0 .LBB347_2201
; %bb.2199:
	s_cmp_eq_u32 s26, 15
	s_cbranch_scc0 .LBB347_2204
; %bb.2200:
	global_load_ushort v9, v[0:1], off
	s_mov_b64 s[0:1], 0
	s_mov_b64 s[20:21], -1
	s_waitcnt vmcnt(0)
	v_lshlrev_b32_e32 v9, 16, v9
	v_cvt_u32_f32_e32 v9, v9
	s_branch .LBB347_2205
.LBB347_2201:
	s_mov_b64 s[22:23], -1
                                        ; implicit-def: $vgpr9
	s_branch .LBB347_2206
.LBB347_2202:
	s_andn2_saveexec_b64 s[4:5], s[4:5]
	s_cbranch_execz .LBB347_2183
.LBB347_2203:
	v_cmp_ne_u16_e32 vcc, 0, v11
	s_andn2_b64 s[20:21], s[20:21], exec
	s_and_b64 s[22:23], vcc, exec
	s_or_b64 s[20:21], s[20:21], s[22:23]
	s_or_b64 exec, exec, s[4:5]
	v_mov_b32_e32 v9, 0
	s_and_saveexec_b64 s[4:5], s[20:21]
	s_cbranch_execnz .LBB347_2184
	s_branch .LBB347_2185
.LBB347_2204:
	s_mov_b64 s[0:1], -1
                                        ; implicit-def: $vgpr9
.LBB347_2205:
	s_mov_b64 s[22:23], 0
.LBB347_2206:
	s_and_b64 vcc, exec, s[22:23]
	s_cbranch_vccz .LBB347_2208
; %bb.2207:
	s_cmp_lg_u32 s26, 11
	s_mov_b64 s[4:5], -1
	s_cselect_b64 s[0:1], -1, 0
.LBB347_2208:
	s_and_b64 vcc, exec, s[0:1]
	s_cbranch_vccnz .LBB347_2273
; %bb.2209:
	s_andn2_b64 vcc, exec, s[4:5]
	s_cbranch_vccnz .LBB347_2211
.LBB347_2210:
	global_load_ubyte v9, v[0:1], off
	s_mov_b64 s[20:21], -1
	s_waitcnt vmcnt(0)
	v_cmp_ne_u16_e32 vcc, 0, v9
	v_cndmask_b32_e64 v9, 0, 1, vcc
.LBB347_2211:
	s_mov_b64 s[0:1], 0
.LBB347_2212:
	s_and_b64 vcc, exec, s[0:1]
	s_cbranch_vccz .LBB347_2261
; %bb.2213:
	s_and_b32 s4, 0xffff, s25
	s_cmp_lt_i32 s4, 5
	s_cbranch_scc1 .LBB347_2218
; %bb.2214:
	s_cmp_lt_i32 s4, 8
	s_cbranch_scc1 .LBB347_2219
; %bb.2215:
	;; [unrolled: 3-line block ×3, first 2 shown]
	s_cmp_gt_i32 s4, 9
	s_cbranch_scc0 .LBB347_2221
; %bb.2217:
	global_load_dwordx2 v[11:12], v[0:1], off
	s_mov_b64 s[0:1], 0
	s_waitcnt vmcnt(0)
	v_cvt_u32_f64_e32 v9, v[11:12]
	s_branch .LBB347_2222
.LBB347_2218:
	s_mov_b64 s[0:1], -1
                                        ; implicit-def: $vgpr9
	s_branch .LBB347_2240
.LBB347_2219:
	s_mov_b64 s[0:1], -1
                                        ; implicit-def: $vgpr9
	s_branch .LBB347_2228
.LBB347_2220:
	s_mov_b64 s[0:1], -1
                                        ; implicit-def: $vgpr9
	s_branch .LBB347_2225
.LBB347_2221:
	s_mov_b64 s[0:1], -1
                                        ; implicit-def: $vgpr9
.LBB347_2222:
	s_andn2_b64 vcc, exec, s[0:1]
	s_cbranch_vccnz .LBB347_2224
; %bb.2223:
	global_load_dword v9, v[0:1], off
	s_waitcnt vmcnt(0)
	v_cvt_u32_f32_e32 v9, v9
.LBB347_2224:
	s_mov_b64 s[0:1], 0
.LBB347_2225:
	s_andn2_b64 vcc, exec, s[0:1]
	s_cbranch_vccnz .LBB347_2227
; %bb.2226:
	global_load_dword v9, v[0:1], off
	s_waitcnt vmcnt(0)
	v_cvt_f32_f16_e32 v9, v9
	v_cvt_u32_f32_e32 v9, v9
.LBB347_2227:
	s_mov_b64 s[0:1], 0
.LBB347_2228:
	s_andn2_b64 vcc, exec, s[0:1]
	s_cbranch_vccnz .LBB347_2239
; %bb.2229:
	s_cmp_lt_i32 s4, 6
	s_cbranch_scc1 .LBB347_2232
; %bb.2230:
	s_cmp_gt_i32 s4, 6
	s_cbranch_scc0 .LBB347_2233
; %bb.2231:
	global_load_dwordx2 v[11:12], v[0:1], off
	s_mov_b64 s[0:1], 0
	s_waitcnt vmcnt(0)
	v_cvt_u32_f64_e32 v9, v[11:12]
	s_branch .LBB347_2234
.LBB347_2232:
	s_mov_b64 s[0:1], -1
                                        ; implicit-def: $vgpr9
	s_branch .LBB347_2237
.LBB347_2233:
	s_mov_b64 s[0:1], -1
                                        ; implicit-def: $vgpr9
.LBB347_2234:
	s_andn2_b64 vcc, exec, s[0:1]
	s_cbranch_vccnz .LBB347_2236
; %bb.2235:
	global_load_dword v9, v[0:1], off
	s_waitcnt vmcnt(0)
	v_cvt_u32_f32_e32 v9, v9
.LBB347_2236:
	s_mov_b64 s[0:1], 0
.LBB347_2237:
	s_andn2_b64 vcc, exec, s[0:1]
	s_cbranch_vccnz .LBB347_2239
; %bb.2238:
	global_load_ushort v9, v[0:1], off
	s_waitcnt vmcnt(0)
	v_cvt_f32_f16_e32 v9, v9
	v_cvt_u32_f32_e32 v9, v9
.LBB347_2239:
	s_mov_b64 s[0:1], 0
.LBB347_2240:
	s_andn2_b64 vcc, exec, s[0:1]
	s_cbranch_vccnz .LBB347_2260
; %bb.2241:
	s_cmp_lt_i32 s4, 2
	s_cbranch_scc1 .LBB347_2245
; %bb.2242:
	s_cmp_lt_i32 s4, 3
	s_cbranch_scc1 .LBB347_2246
; %bb.2243:
	s_cmp_gt_i32 s4, 3
	s_cbranch_scc0 .LBB347_2247
; %bb.2244:
	global_load_dword v9, v[0:1], off
	s_mov_b64 s[0:1], 0
	s_branch .LBB347_2248
.LBB347_2245:
	s_mov_b64 s[0:1], -1
                                        ; implicit-def: $vgpr9
	s_branch .LBB347_2254
.LBB347_2246:
	s_mov_b64 s[0:1], -1
                                        ; implicit-def: $vgpr9
	s_branch .LBB347_2251
.LBB347_2247:
	s_mov_b64 s[0:1], -1
                                        ; implicit-def: $vgpr9
.LBB347_2248:
	s_andn2_b64 vcc, exec, s[0:1]
	s_cbranch_vccnz .LBB347_2250
; %bb.2249:
	global_load_dword v9, v[0:1], off
.LBB347_2250:
	s_mov_b64 s[0:1], 0
.LBB347_2251:
	s_andn2_b64 vcc, exec, s[0:1]
	s_cbranch_vccnz .LBB347_2253
; %bb.2252:
	global_load_sshort v9, v[0:1], off
.LBB347_2253:
	s_mov_b64 s[0:1], 0
.LBB347_2254:
	s_andn2_b64 vcc, exec, s[0:1]
	s_cbranch_vccnz .LBB347_2260
; %bb.2255:
	s_cmp_gt_i32 s4, 0
	s_cbranch_scc0 .LBB347_2257
; %bb.2256:
	global_load_sbyte v9, v[0:1], off
	s_mov_b64 s[0:1], 0
	s_branch .LBB347_2258
.LBB347_2257:
	s_mov_b64 s[0:1], -1
                                        ; implicit-def: $vgpr9
.LBB347_2258:
	s_andn2_b64 vcc, exec, s[0:1]
	s_cbranch_vccnz .LBB347_2260
; %bb.2259:
	global_load_ubyte v9, v[0:1], off
.LBB347_2260:
	s_mov_b64 s[20:21], -1
.LBB347_2261:
	s_andn2_b64 vcc, exec, s[20:21]
	s_cbranch_vccnz .LBB347_2947
; %bb.2262:
	v_add_u32_e32 v0, s13, v8
	v_ashrrev_i32_e32 v1, 31, v0
	v_mov_b32_e32 v8, s11
	v_add_co_u32_e32 v0, vcc, s10, v0
	s_cmp_lt_i32 s24, 11
	v_addc_co_u32_e32 v1, vcc, v8, v1, vcc
	s_cbranch_scc1 .LBB347_2269
; %bb.2263:
	s_and_b32 s13, 0xffff, s24
	s_cmp_gt_i32 s13, 25
	s_mov_b64 s[4:5], 0
	s_cbranch_scc0 .LBB347_2270
; %bb.2264:
	s_cmp_gt_i32 s13, 28
	s_cbranch_scc0 .LBB347_2271
; %bb.2265:
	s_cmp_gt_i32 s13, 43
	;; [unrolled: 3-line block ×3, first 2 shown]
	s_cbranch_scc0 .LBB347_2274
; %bb.2267:
	s_cmp_eq_u32 s13, 46
	s_mov_b64 s[20:21], 0
	s_cbranch_scc0 .LBB347_2275
; %bb.2268:
	global_load_dword v8, v[0:1], off
	s_mov_b64 s[0:1], 0
	s_mov_b64 s[10:11], -1
	s_waitcnt vmcnt(0)
	v_lshlrev_b32_e32 v8, 16, v8
	v_cvt_u32_f32_e32 v8, v8
	s_branch .LBB347_2276
.LBB347_2269:
	s_mov_b64 s[0:1], -1
	s_mov_b64 s[10:11], 0
                                        ; implicit-def: $vgpr8
	s_branch .LBB347_2338
.LBB347_2270:
	s_mov_b64 s[20:21], -1
	s_mov_b64 s[10:11], 0
	s_mov_b64 s[0:1], 0
                                        ; implicit-def: $vgpr8
	s_branch .LBB347_2303
.LBB347_2271:
	s_mov_b64 s[20:21], -1
	s_mov_b64 s[10:11], 0
	s_mov_b64 s[0:1], 0
                                        ; implicit-def: $vgpr8
	s_branch .LBB347_2286
.LBB347_2272:
	s_mov_b64 s[20:21], -1
	s_mov_b64 s[10:11], 0
	s_mov_b64 s[0:1], 0
                                        ; implicit-def: $vgpr8
	s_branch .LBB347_2281
.LBB347_2273:
	s_trap 2
	s_or_b64 s[18:19], s[18:19], exec
	s_cbranch_execz .LBB347_2210
	s_branch .LBB347_2211
.LBB347_2274:
	s_mov_b64 s[20:21], -1
	s_mov_b64 s[10:11], 0
	s_mov_b64 s[0:1], 0
                                        ; implicit-def: $vgpr8
	s_branch .LBB347_2276
.LBB347_2275:
	s_mov_b64 s[0:1], -1
                                        ; implicit-def: $vgpr8
	s_mov_b64 s[10:11], 0
.LBB347_2276:
	s_and_b64 vcc, exec, s[20:21]
	s_cbranch_vccz .LBB347_2280
; %bb.2277:
	s_cmp_eq_u32 s13, 44
	s_cbranch_scc0 .LBB347_2279
; %bb.2278:
	global_load_ubyte v8, v[0:1], off
	s_mov_b64 s[0:1], 0
	s_mov_b64 s[10:11], -1
	s_waitcnt vmcnt(0)
	v_lshlrev_b32_e32 v11, 23, v8
	v_cvt_u32_f32_e32 v11, v11
	v_cmp_ne_u32_e32 vcc, 0, v8
	v_cndmask_b32_e32 v8, 0, v11, vcc
	s_branch .LBB347_2280
.LBB347_2279:
	s_mov_b64 s[0:1], -1
                                        ; implicit-def: $vgpr8
.LBB347_2280:
	s_mov_b64 s[20:21], 0
.LBB347_2281:
	s_and_b64 vcc, exec, s[20:21]
	s_cbranch_vccz .LBB347_2285
; %bb.2282:
	s_cmp_eq_u32 s13, 29
	s_cbranch_scc0 .LBB347_2284
; %bb.2283:
	global_load_dword v8, v[0:1], off
	s_mov_b64 s[0:1], 0
	s_mov_b64 s[10:11], -1
	s_branch .LBB347_2285
.LBB347_2284:
	s_mov_b64 s[0:1], -1
                                        ; implicit-def: $vgpr8
.LBB347_2285:
	s_mov_b64 s[20:21], 0
.LBB347_2286:
	s_and_b64 vcc, exec, s[20:21]
	s_cbranch_vccz .LBB347_2302
; %bb.2287:
	s_cmp_lt_i32 s13, 27
	s_cbranch_scc1 .LBB347_2290
; %bb.2288:
	s_cmp_gt_i32 s13, 27
	s_cbranch_scc0 .LBB347_2291
; %bb.2289:
	global_load_dword v8, v[0:1], off
	s_mov_b64 s[10:11], 0
	s_branch .LBB347_2292
.LBB347_2290:
	s_mov_b64 s[10:11], -1
                                        ; implicit-def: $vgpr8
	s_branch .LBB347_2295
.LBB347_2291:
	s_mov_b64 s[10:11], -1
                                        ; implicit-def: $vgpr8
.LBB347_2292:
	s_andn2_b64 vcc, exec, s[10:11]
	s_cbranch_vccnz .LBB347_2294
; %bb.2293:
	global_load_ushort v8, v[0:1], off
.LBB347_2294:
	s_mov_b64 s[10:11], 0
.LBB347_2295:
	s_andn2_b64 vcc, exec, s[10:11]
	s_cbranch_vccnz .LBB347_2301
; %bb.2296:
	global_load_ubyte v11, v[0:1], off
	s_movk_i32 s10, 0x7f
	s_mov_b64 s[20:21], 0
	s_waitcnt vmcnt(0)
	v_cmp_lt_i16_e32 vcc, s10, v11
	s_and_saveexec_b64 s[10:11], vcc
	s_xor_b64 s[10:11], exec, s[10:11]
	s_cbranch_execz .LBB347_2313
; %bb.2297:
	s_movk_i32 s20, 0x80
	v_cmp_ne_u16_e32 vcc, s20, v11
	s_and_b64 s[20:21], vcc, exec
	s_andn2_saveexec_b64 s[10:11], s[10:11]
	s_cbranch_execnz .LBB347_2314
.LBB347_2298:
	s_or_b64 exec, exec, s[10:11]
	v_mov_b32_e32 v8, 0
	s_and_saveexec_b64 s[10:11], s[20:21]
	s_cbranch_execz .LBB347_2300
.LBB347_2299:
	v_lshlrev_b32_e32 v8, 24, v11
	v_and_b32_e32 v11, 0xffff, v11
	v_and_b32_e32 v12, 7, v11
	v_ffbh_u32_e32 v14, v12
	v_min_u32_e32 v14, 32, v14
	v_subrev_u32_e32 v15, 28, v14
	v_bfe_u32 v13, v11, 3, 4
	v_lshlrev_b32_e32 v11, v15, v11
	v_sub_u32_e32 v14, 29, v14
	v_and_b32_e32 v11, 7, v11
	v_cmp_eq_u32_e32 vcc, 0, v13
	v_cndmask_b32_e32 v13, v13, v14, vcc
	v_cndmask_b32_e32 v11, v12, v11, vcc
	v_mov_b32_e32 v12, 0x3b800000
	v_lshlrev_b32_e32 v11, 20, v11
	v_and_b32_e32 v8, 0x80000000, v8
	v_lshl_add_u32 v12, v13, 23, v12
	v_or3_b32 v8, v8, v12, v11
	v_cvt_u32_f32_e32 v8, v8
.LBB347_2300:
	s_or_b64 exec, exec, s[10:11]
.LBB347_2301:
	s_mov_b64 s[10:11], -1
.LBB347_2302:
	s_mov_b64 s[20:21], 0
.LBB347_2303:
	s_and_b64 vcc, exec, s[20:21]
	s_cbranch_vccz .LBB347_2334
; %bb.2304:
	s_cmp_gt_i32 s13, 22
	s_cbranch_scc0 .LBB347_2312
; %bb.2305:
	s_cmp_lt_i32 s13, 24
	s_cbranch_scc1 .LBB347_2315
; %bb.2306:
	s_cmp_gt_i32 s13, 24
	s_cbranch_scc0 .LBB347_2316
; %bb.2307:
	global_load_ubyte v11, v[0:1], off
	s_movk_i32 s4, 0x7f
	s_mov_b64 s[10:11], 0
	s_waitcnt vmcnt(0)
	v_cmp_lt_i16_e32 vcc, s4, v11
	s_and_saveexec_b64 s[4:5], vcc
	s_xor_b64 s[4:5], exec, s[4:5]
	s_cbranch_execz .LBB347_2328
; %bb.2308:
	s_movk_i32 s10, 0x80
	v_cmp_ne_u16_e32 vcc, s10, v11
	s_and_b64 s[10:11], vcc, exec
	s_andn2_saveexec_b64 s[4:5], s[4:5]
	s_cbranch_execnz .LBB347_2329
.LBB347_2309:
	s_or_b64 exec, exec, s[4:5]
	v_mov_b32_e32 v8, 0
	s_and_saveexec_b64 s[4:5], s[10:11]
	s_cbranch_execz .LBB347_2311
.LBB347_2310:
	v_lshlrev_b32_e32 v8, 24, v11
	v_and_b32_e32 v11, 0xffff, v11
	v_and_b32_e32 v12, 3, v11
	v_ffbh_u32_e32 v14, v12
	v_min_u32_e32 v14, 32, v14
	v_subrev_u32_e32 v15, 29, v14
	v_bfe_u32 v13, v11, 2, 5
	v_lshlrev_b32_e32 v11, v15, v11
	v_sub_u32_e32 v14, 30, v14
	v_and_b32_e32 v11, 3, v11
	v_cmp_eq_u32_e32 vcc, 0, v13
	v_cndmask_b32_e32 v13, v13, v14, vcc
	v_cndmask_b32_e32 v11, v12, v11, vcc
	v_mov_b32_e32 v12, 0x37800000
	v_lshlrev_b32_e32 v11, 21, v11
	v_and_b32_e32 v8, 0x80000000, v8
	v_lshl_add_u32 v12, v13, 23, v12
	v_or3_b32 v8, v8, v12, v11
	v_cvt_u32_f32_e32 v8, v8
.LBB347_2311:
	s_or_b64 exec, exec, s[4:5]
	s_mov_b64 s[4:5], 0
	s_branch .LBB347_2317
.LBB347_2312:
	s_mov_b64 s[4:5], -1
                                        ; implicit-def: $vgpr8
	s_branch .LBB347_2323
.LBB347_2313:
	s_andn2_saveexec_b64 s[10:11], s[10:11]
	s_cbranch_execz .LBB347_2298
.LBB347_2314:
	v_cmp_ne_u16_e32 vcc, 0, v11
	s_andn2_b64 s[20:21], s[20:21], exec
	s_and_b64 s[22:23], vcc, exec
	s_or_b64 s[20:21], s[20:21], s[22:23]
	s_or_b64 exec, exec, s[10:11]
	v_mov_b32_e32 v8, 0
	s_and_saveexec_b64 s[10:11], s[20:21]
	s_cbranch_execnz .LBB347_2299
	s_branch .LBB347_2300
.LBB347_2315:
	s_mov_b64 s[4:5], -1
                                        ; implicit-def: $vgpr8
	s_branch .LBB347_2320
.LBB347_2316:
	s_mov_b64 s[4:5], -1
                                        ; implicit-def: $vgpr8
.LBB347_2317:
	s_and_b64 vcc, exec, s[4:5]
	s_cbranch_vccz .LBB347_2319
; %bb.2318:
	global_load_ubyte v8, v[0:1], off
	s_mov_b32 s4, 0x7f800000
	s_waitcnt vmcnt(0)
	v_lshlrev_b32_e32 v8, 24, v8
	v_and_b32_e32 v11, 0x7f000000, v8
	v_ffbh_u32_e32 v12, v11
	v_min_u32_e32 v12, 32, v12
	v_sub_u32_e64 v12, v12, 4 clamp
	v_lshlrev_b32_e32 v14, v12, v11
	v_lshlrev_b32_e32 v12, 23, v12
	v_lshrrev_b32_e32 v14, 4, v14
	v_add_u32_e32 v13, 0x1000000, v11
	v_sub_u32_e32 v12, v14, v12
	v_ashrrev_i32_e32 v13, 8, v13
	v_add_u32_e32 v12, 0x3c000000, v12
	v_and_or_b32 v12, v13, s4, v12
	v_cmp_ne_u32_e32 vcc, 0, v11
	v_cndmask_b32_e32 v11, 0, v12, vcc
	s_brev_b32 s4, 1
	v_and_or_b32 v8, v8, s4, v11
	v_cvt_u32_f32_e32 v8, v8
.LBB347_2319:
	s_mov_b64 s[4:5], 0
.LBB347_2320:
	s_andn2_b64 vcc, exec, s[4:5]
	s_cbranch_vccnz .LBB347_2322
; %bb.2321:
	global_load_ubyte v8, v[0:1], off
	s_movk_i32 s4, 0x7f00
	s_brev_b32 s5, 16
	s_waitcnt vmcnt(0)
	v_lshlrev_b16_e32 v11, 8, v8
	v_lshlrev_b32_e32 v8, 25, v8
	v_lshrrev_b32_e32 v12, 4, v8
	v_and_or_b32 v13, v11, s4, 0.5
	v_or_b32_e32 v12, 0x70000000, v12
	v_add_f32_e32 v13, -0.5, v13
	v_mul_f32_e32 v12, 0x7800000, v12
	v_cmp_gt_u32_e32 vcc, s5, v8
	v_bfe_i32 v11, v11, 0, 16
	v_cndmask_b32_e32 v8, v12, v13, vcc
	s_brev_b32 s4, 1
	v_and_or_b32 v8, v11, s4, v8
	v_cvt_u32_f32_e32 v8, v8
.LBB347_2322:
	s_mov_b64 s[4:5], 0
	s_mov_b64 s[10:11], -1
.LBB347_2323:
	s_andn2_b64 vcc, exec, s[4:5]
	s_mov_b64 s[4:5], 0
	s_cbranch_vccnz .LBB347_2334
; %bb.2324:
	s_cmp_gt_i32 s13, 14
	s_cbranch_scc0 .LBB347_2327
; %bb.2325:
	s_cmp_eq_u32 s13, 15
	s_cbranch_scc0 .LBB347_2330
; %bb.2326:
	global_load_ushort v8, v[0:1], off
	s_mov_b64 s[0:1], 0
	s_mov_b64 s[10:11], -1
	s_waitcnt vmcnt(0)
	v_lshlrev_b32_e32 v8, 16, v8
	v_cvt_u32_f32_e32 v8, v8
	s_branch .LBB347_2331
.LBB347_2327:
	s_mov_b64 s[20:21], -1
                                        ; implicit-def: $vgpr8
	s_branch .LBB347_2332
.LBB347_2328:
	s_andn2_saveexec_b64 s[4:5], s[4:5]
	s_cbranch_execz .LBB347_2309
.LBB347_2329:
	v_cmp_ne_u16_e32 vcc, 0, v11
	s_andn2_b64 s[10:11], s[10:11], exec
	s_and_b64 s[20:21], vcc, exec
	s_or_b64 s[10:11], s[10:11], s[20:21]
	s_or_b64 exec, exec, s[4:5]
	v_mov_b32_e32 v8, 0
	s_and_saveexec_b64 s[4:5], s[10:11]
	s_cbranch_execnz .LBB347_2310
	s_branch .LBB347_2311
.LBB347_2330:
	s_mov_b64 s[0:1], -1
                                        ; implicit-def: $vgpr8
.LBB347_2331:
	s_mov_b64 s[20:21], 0
.LBB347_2332:
	s_and_b64 vcc, exec, s[20:21]
	s_cbranch_vccz .LBB347_2334
; %bb.2333:
	s_cmp_lg_u32 s13, 11
	s_mov_b64 s[4:5], -1
	s_cselect_b64 s[0:1], -1, 0
.LBB347_2334:
	s_and_b64 vcc, exec, s[0:1]
	s_cbranch_vccnz .LBB347_2399
; %bb.2335:
	s_andn2_b64 vcc, exec, s[4:5]
	s_cbranch_vccnz .LBB347_2337
.LBB347_2336:
	global_load_ubyte v8, v[0:1], off
	s_mov_b64 s[10:11], -1
	s_waitcnt vmcnt(0)
	v_cmp_ne_u16_e32 vcc, 0, v8
	v_cndmask_b32_e64 v8, 0, 1, vcc
.LBB347_2337:
	s_mov_b64 s[0:1], 0
.LBB347_2338:
	s_and_b64 vcc, exec, s[0:1]
	s_cbranch_vccz .LBB347_2387
; %bb.2339:
	s_and_b32 s4, 0xffff, s24
	s_cmp_lt_i32 s4, 5
	s_cbranch_scc1 .LBB347_2344
; %bb.2340:
	s_cmp_lt_i32 s4, 8
	s_cbranch_scc1 .LBB347_2345
; %bb.2341:
	;; [unrolled: 3-line block ×3, first 2 shown]
	s_cmp_gt_i32 s4, 9
	s_cbranch_scc0 .LBB347_2347
; %bb.2343:
	global_load_dwordx2 v[11:12], v[0:1], off
	s_mov_b64 s[0:1], 0
	s_waitcnt vmcnt(0)
	v_cvt_u32_f64_e32 v8, v[11:12]
	s_branch .LBB347_2348
.LBB347_2344:
	s_mov_b64 s[0:1], -1
                                        ; implicit-def: $vgpr8
	s_branch .LBB347_2366
.LBB347_2345:
	s_mov_b64 s[0:1], -1
                                        ; implicit-def: $vgpr8
	s_branch .LBB347_2354
.LBB347_2346:
	s_mov_b64 s[0:1], -1
                                        ; implicit-def: $vgpr8
	s_branch .LBB347_2351
.LBB347_2347:
	s_mov_b64 s[0:1], -1
                                        ; implicit-def: $vgpr8
.LBB347_2348:
	s_andn2_b64 vcc, exec, s[0:1]
	s_cbranch_vccnz .LBB347_2350
; %bb.2349:
	global_load_dword v8, v[0:1], off
	s_waitcnt vmcnt(0)
	v_cvt_u32_f32_e32 v8, v8
.LBB347_2350:
	s_mov_b64 s[0:1], 0
.LBB347_2351:
	s_andn2_b64 vcc, exec, s[0:1]
	s_cbranch_vccnz .LBB347_2353
; %bb.2352:
	global_load_dword v8, v[0:1], off
	s_waitcnt vmcnt(0)
	v_cvt_f32_f16_e32 v8, v8
	v_cvt_u32_f32_e32 v8, v8
.LBB347_2353:
	s_mov_b64 s[0:1], 0
.LBB347_2354:
	s_andn2_b64 vcc, exec, s[0:1]
	s_cbranch_vccnz .LBB347_2365
; %bb.2355:
	s_cmp_lt_i32 s4, 6
	s_cbranch_scc1 .LBB347_2358
; %bb.2356:
	s_cmp_gt_i32 s4, 6
	s_cbranch_scc0 .LBB347_2359
; %bb.2357:
	global_load_dwordx2 v[11:12], v[0:1], off
	s_mov_b64 s[0:1], 0
	s_waitcnt vmcnt(0)
	v_cvt_u32_f64_e32 v8, v[11:12]
	s_branch .LBB347_2360
.LBB347_2358:
	s_mov_b64 s[0:1], -1
                                        ; implicit-def: $vgpr8
	s_branch .LBB347_2363
.LBB347_2359:
	s_mov_b64 s[0:1], -1
                                        ; implicit-def: $vgpr8
.LBB347_2360:
	s_andn2_b64 vcc, exec, s[0:1]
	s_cbranch_vccnz .LBB347_2362
; %bb.2361:
	global_load_dword v8, v[0:1], off
	s_waitcnt vmcnt(0)
	v_cvt_u32_f32_e32 v8, v8
.LBB347_2362:
	s_mov_b64 s[0:1], 0
.LBB347_2363:
	s_andn2_b64 vcc, exec, s[0:1]
	s_cbranch_vccnz .LBB347_2365
; %bb.2364:
	global_load_ushort v8, v[0:1], off
	s_waitcnt vmcnt(0)
	v_cvt_f32_f16_e32 v8, v8
	v_cvt_u32_f32_e32 v8, v8
.LBB347_2365:
	s_mov_b64 s[0:1], 0
.LBB347_2366:
	s_andn2_b64 vcc, exec, s[0:1]
	s_cbranch_vccnz .LBB347_2386
; %bb.2367:
	s_cmp_lt_i32 s4, 2
	s_cbranch_scc1 .LBB347_2371
; %bb.2368:
	s_cmp_lt_i32 s4, 3
	s_cbranch_scc1 .LBB347_2372
; %bb.2369:
	s_cmp_gt_i32 s4, 3
	s_cbranch_scc0 .LBB347_2373
; %bb.2370:
	global_load_dword v8, v[0:1], off
	s_mov_b64 s[0:1], 0
	s_branch .LBB347_2374
.LBB347_2371:
	s_mov_b64 s[0:1], -1
                                        ; implicit-def: $vgpr8
	s_branch .LBB347_2380
.LBB347_2372:
	s_mov_b64 s[0:1], -1
                                        ; implicit-def: $vgpr8
	s_branch .LBB347_2377
.LBB347_2373:
	s_mov_b64 s[0:1], -1
                                        ; implicit-def: $vgpr8
.LBB347_2374:
	s_andn2_b64 vcc, exec, s[0:1]
	s_cbranch_vccnz .LBB347_2376
; %bb.2375:
	global_load_dword v8, v[0:1], off
.LBB347_2376:
	s_mov_b64 s[0:1], 0
.LBB347_2377:
	s_andn2_b64 vcc, exec, s[0:1]
	s_cbranch_vccnz .LBB347_2379
; %bb.2378:
	global_load_sshort v8, v[0:1], off
.LBB347_2379:
	s_mov_b64 s[0:1], 0
.LBB347_2380:
	s_andn2_b64 vcc, exec, s[0:1]
	s_cbranch_vccnz .LBB347_2386
; %bb.2381:
	s_cmp_gt_i32 s4, 0
	s_cbranch_scc0 .LBB347_2383
; %bb.2382:
	global_load_sbyte v8, v[0:1], off
	s_mov_b64 s[0:1], 0
	s_branch .LBB347_2384
.LBB347_2383:
	s_mov_b64 s[0:1], -1
                                        ; implicit-def: $vgpr8
.LBB347_2384:
	s_andn2_b64 vcc, exec, s[0:1]
	s_cbranch_vccnz .LBB347_2386
; %bb.2385:
	global_load_ubyte v8, v[0:1], off
.LBB347_2386:
	s_mov_b64 s[10:11], -1
.LBB347_2387:
	s_andn2_b64 vcc, exec, s[10:11]
	s_cbranch_vccnz .LBB347_2947
; %bb.2388:
	v_add_u32_e32 v0, s14, v10
	v_ashrrev_i32_e32 v1, 31, v0
	v_mov_b32_e32 v10, s3
	v_add_co_u32_e32 v0, vcc, s2, v0
	s_cmp_lt_i32 s25, 11
	v_addc_co_u32_e32 v1, vcc, v10, v1, vcc
	s_cbranch_scc1 .LBB347_2395
; %bb.2389:
	s_and_b32 s13, 0xffff, s25
	s_cmp_gt_i32 s13, 25
	s_mov_b64 s[2:3], 0
	s_cbranch_scc0 .LBB347_2396
; %bb.2390:
	s_cmp_gt_i32 s13, 28
	s_cbranch_scc0 .LBB347_2397
; %bb.2391:
	s_cmp_gt_i32 s13, 43
	;; [unrolled: 3-line block ×3, first 2 shown]
	s_cbranch_scc0 .LBB347_2400
; %bb.2393:
	s_cmp_eq_u32 s13, 46
	s_mov_b64 s[10:11], 0
	s_cbranch_scc0 .LBB347_2401
; %bb.2394:
	global_load_dword v10, v[0:1], off
	s_mov_b64 s[0:1], 0
	s_mov_b64 s[4:5], -1
	s_waitcnt vmcnt(0)
	v_lshlrev_b32_e32 v10, 16, v10
	v_cvt_u32_f32_e32 v10, v10
	s_branch .LBB347_2402
.LBB347_2395:
	s_mov_b64 s[0:1], -1
	s_mov_b64 s[4:5], 0
                                        ; implicit-def: $vgpr10
	s_branch .LBB347_2464
.LBB347_2396:
	s_mov_b64 s[10:11], -1
	s_mov_b64 s[4:5], 0
	s_mov_b64 s[0:1], 0
                                        ; implicit-def: $vgpr10
	s_branch .LBB347_2429
.LBB347_2397:
	s_mov_b64 s[10:11], -1
	s_mov_b64 s[4:5], 0
	s_mov_b64 s[0:1], 0
                                        ; implicit-def: $vgpr10
	s_branch .LBB347_2412
.LBB347_2398:
	s_mov_b64 s[10:11], -1
	s_mov_b64 s[4:5], 0
	s_mov_b64 s[0:1], 0
                                        ; implicit-def: $vgpr10
	s_branch .LBB347_2407
.LBB347_2399:
	s_trap 2
	s_or_b64 s[18:19], s[18:19], exec
	s_cbranch_execz .LBB347_2336
	s_branch .LBB347_2337
.LBB347_2400:
	s_mov_b64 s[10:11], -1
	s_mov_b64 s[4:5], 0
	s_mov_b64 s[0:1], 0
                                        ; implicit-def: $vgpr10
	s_branch .LBB347_2402
.LBB347_2401:
	s_mov_b64 s[0:1], -1
                                        ; implicit-def: $vgpr10
	s_mov_b64 s[4:5], 0
.LBB347_2402:
	s_and_b64 vcc, exec, s[10:11]
	s_cbranch_vccz .LBB347_2406
; %bb.2403:
	s_cmp_eq_u32 s13, 44
	s_cbranch_scc0 .LBB347_2405
; %bb.2404:
	global_load_ubyte v10, v[0:1], off
	s_mov_b64 s[0:1], 0
	s_mov_b64 s[4:5], -1
	s_waitcnt vmcnt(0)
	v_lshlrev_b32_e32 v11, 23, v10
	v_cvt_u32_f32_e32 v11, v11
	v_cmp_ne_u32_e32 vcc, 0, v10
	v_cndmask_b32_e32 v10, 0, v11, vcc
	s_branch .LBB347_2406
.LBB347_2405:
	s_mov_b64 s[0:1], -1
                                        ; implicit-def: $vgpr10
.LBB347_2406:
	s_mov_b64 s[10:11], 0
.LBB347_2407:
	s_and_b64 vcc, exec, s[10:11]
	s_cbranch_vccz .LBB347_2411
; %bb.2408:
	s_cmp_eq_u32 s13, 29
	s_cbranch_scc0 .LBB347_2410
; %bb.2409:
	global_load_dword v10, v[0:1], off
	s_mov_b64 s[0:1], 0
	s_mov_b64 s[4:5], -1
	s_branch .LBB347_2411
.LBB347_2410:
	s_mov_b64 s[0:1], -1
                                        ; implicit-def: $vgpr10
.LBB347_2411:
	s_mov_b64 s[10:11], 0
.LBB347_2412:
	s_and_b64 vcc, exec, s[10:11]
	s_cbranch_vccz .LBB347_2428
; %bb.2413:
	s_cmp_lt_i32 s13, 27
	s_cbranch_scc1 .LBB347_2416
; %bb.2414:
	s_cmp_gt_i32 s13, 27
	s_cbranch_scc0 .LBB347_2417
; %bb.2415:
	global_load_dword v10, v[0:1], off
	s_mov_b64 s[4:5], 0
	s_branch .LBB347_2418
.LBB347_2416:
	s_mov_b64 s[4:5], -1
                                        ; implicit-def: $vgpr10
	s_branch .LBB347_2421
.LBB347_2417:
	s_mov_b64 s[4:5], -1
                                        ; implicit-def: $vgpr10
.LBB347_2418:
	s_andn2_b64 vcc, exec, s[4:5]
	s_cbranch_vccnz .LBB347_2420
; %bb.2419:
	global_load_ushort v10, v[0:1], off
.LBB347_2420:
	s_mov_b64 s[4:5], 0
.LBB347_2421:
	s_andn2_b64 vcc, exec, s[4:5]
	s_cbranch_vccnz .LBB347_2427
; %bb.2422:
	global_load_ubyte v11, v[0:1], off
	s_movk_i32 s4, 0x7f
	s_mov_b64 s[10:11], 0
	s_waitcnt vmcnt(0)
	v_cmp_lt_i16_e32 vcc, s4, v11
	s_and_saveexec_b64 s[4:5], vcc
	s_xor_b64 s[4:5], exec, s[4:5]
	s_cbranch_execz .LBB347_2439
; %bb.2423:
	s_movk_i32 s10, 0x80
	v_cmp_ne_u16_e32 vcc, s10, v11
	s_and_b64 s[10:11], vcc, exec
	s_andn2_saveexec_b64 s[4:5], s[4:5]
	s_cbranch_execnz .LBB347_2440
.LBB347_2424:
	s_or_b64 exec, exec, s[4:5]
	v_mov_b32_e32 v10, 0
	s_and_saveexec_b64 s[4:5], s[10:11]
	s_cbranch_execz .LBB347_2426
.LBB347_2425:
	v_lshlrev_b32_e32 v10, 24, v11
	v_and_b32_e32 v11, 0xffff, v11
	v_and_b32_e32 v12, 7, v11
	v_ffbh_u32_e32 v14, v12
	v_min_u32_e32 v14, 32, v14
	v_subrev_u32_e32 v15, 28, v14
	v_bfe_u32 v13, v11, 3, 4
	v_lshlrev_b32_e32 v11, v15, v11
	v_sub_u32_e32 v14, 29, v14
	v_and_b32_e32 v11, 7, v11
	v_cmp_eq_u32_e32 vcc, 0, v13
	v_cndmask_b32_e32 v13, v13, v14, vcc
	v_cndmask_b32_e32 v11, v12, v11, vcc
	v_mov_b32_e32 v12, 0x3b800000
	v_lshlrev_b32_e32 v11, 20, v11
	v_and_b32_e32 v10, 0x80000000, v10
	v_lshl_add_u32 v12, v13, 23, v12
	v_or3_b32 v10, v10, v12, v11
	v_cvt_u32_f32_e32 v10, v10
.LBB347_2426:
	s_or_b64 exec, exec, s[4:5]
.LBB347_2427:
	s_mov_b64 s[4:5], -1
.LBB347_2428:
	s_mov_b64 s[10:11], 0
.LBB347_2429:
	s_and_b64 vcc, exec, s[10:11]
	s_cbranch_vccz .LBB347_2460
; %bb.2430:
	s_cmp_gt_i32 s13, 22
	s_cbranch_scc0 .LBB347_2438
; %bb.2431:
	s_cmp_lt_i32 s13, 24
	s_cbranch_scc1 .LBB347_2441
; %bb.2432:
	s_cmp_gt_i32 s13, 24
	s_cbranch_scc0 .LBB347_2442
; %bb.2433:
	global_load_ubyte v11, v[0:1], off
	s_movk_i32 s2, 0x7f
	s_mov_b64 s[4:5], 0
	s_waitcnt vmcnt(0)
	v_cmp_lt_i16_e32 vcc, s2, v11
	s_and_saveexec_b64 s[2:3], vcc
	s_xor_b64 s[2:3], exec, s[2:3]
	s_cbranch_execz .LBB347_2454
; %bb.2434:
	s_movk_i32 s4, 0x80
	v_cmp_ne_u16_e32 vcc, s4, v11
	s_and_b64 s[4:5], vcc, exec
	s_andn2_saveexec_b64 s[2:3], s[2:3]
	s_cbranch_execnz .LBB347_2455
.LBB347_2435:
	s_or_b64 exec, exec, s[2:3]
	v_mov_b32_e32 v10, 0
	s_and_saveexec_b64 s[2:3], s[4:5]
	s_cbranch_execz .LBB347_2437
.LBB347_2436:
	v_lshlrev_b32_e32 v10, 24, v11
	v_and_b32_e32 v11, 0xffff, v11
	v_and_b32_e32 v12, 3, v11
	v_ffbh_u32_e32 v14, v12
	v_min_u32_e32 v14, 32, v14
	v_subrev_u32_e32 v15, 29, v14
	v_bfe_u32 v13, v11, 2, 5
	v_lshlrev_b32_e32 v11, v15, v11
	v_sub_u32_e32 v14, 30, v14
	v_and_b32_e32 v11, 3, v11
	v_cmp_eq_u32_e32 vcc, 0, v13
	v_cndmask_b32_e32 v13, v13, v14, vcc
	v_cndmask_b32_e32 v11, v12, v11, vcc
	v_mov_b32_e32 v12, 0x37800000
	v_lshlrev_b32_e32 v11, 21, v11
	v_and_b32_e32 v10, 0x80000000, v10
	v_lshl_add_u32 v12, v13, 23, v12
	v_or3_b32 v10, v10, v12, v11
	v_cvt_u32_f32_e32 v10, v10
.LBB347_2437:
	s_or_b64 exec, exec, s[2:3]
	s_mov_b64 s[2:3], 0
	s_branch .LBB347_2443
.LBB347_2438:
	s_mov_b64 s[2:3], -1
                                        ; implicit-def: $vgpr10
	s_branch .LBB347_2449
.LBB347_2439:
	s_andn2_saveexec_b64 s[4:5], s[4:5]
	s_cbranch_execz .LBB347_2424
.LBB347_2440:
	v_cmp_ne_u16_e32 vcc, 0, v11
	s_andn2_b64 s[10:11], s[10:11], exec
	s_and_b64 s[20:21], vcc, exec
	s_or_b64 s[10:11], s[10:11], s[20:21]
	s_or_b64 exec, exec, s[4:5]
	v_mov_b32_e32 v10, 0
	s_and_saveexec_b64 s[4:5], s[10:11]
	s_cbranch_execnz .LBB347_2425
	s_branch .LBB347_2426
.LBB347_2441:
	s_mov_b64 s[2:3], -1
                                        ; implicit-def: $vgpr10
	s_branch .LBB347_2446
.LBB347_2442:
	s_mov_b64 s[2:3], -1
                                        ; implicit-def: $vgpr10
.LBB347_2443:
	s_and_b64 vcc, exec, s[2:3]
	s_cbranch_vccz .LBB347_2445
; %bb.2444:
	global_load_ubyte v10, v[0:1], off
	s_mov_b32 s2, 0x7f800000
	s_waitcnt vmcnt(0)
	v_lshlrev_b32_e32 v10, 24, v10
	v_and_b32_e32 v11, 0x7f000000, v10
	v_ffbh_u32_e32 v12, v11
	v_min_u32_e32 v12, 32, v12
	v_sub_u32_e64 v12, v12, 4 clamp
	v_lshlrev_b32_e32 v14, v12, v11
	v_lshlrev_b32_e32 v12, 23, v12
	v_lshrrev_b32_e32 v14, 4, v14
	v_add_u32_e32 v13, 0x1000000, v11
	v_sub_u32_e32 v12, v14, v12
	v_ashrrev_i32_e32 v13, 8, v13
	v_add_u32_e32 v12, 0x3c000000, v12
	v_and_or_b32 v12, v13, s2, v12
	v_cmp_ne_u32_e32 vcc, 0, v11
	v_cndmask_b32_e32 v11, 0, v12, vcc
	s_brev_b32 s2, 1
	v_and_or_b32 v10, v10, s2, v11
	v_cvt_u32_f32_e32 v10, v10
.LBB347_2445:
	s_mov_b64 s[2:3], 0
.LBB347_2446:
	s_andn2_b64 vcc, exec, s[2:3]
	s_cbranch_vccnz .LBB347_2448
; %bb.2447:
	global_load_ubyte v10, v[0:1], off
	s_movk_i32 s2, 0x7f00
	s_brev_b32 s3, 16
	s_waitcnt vmcnt(0)
	v_lshlrev_b16_e32 v11, 8, v10
	v_lshlrev_b32_e32 v10, 25, v10
	v_lshrrev_b32_e32 v12, 4, v10
	v_and_or_b32 v13, v11, s2, 0.5
	v_or_b32_e32 v12, 0x70000000, v12
	v_add_f32_e32 v13, -0.5, v13
	v_mul_f32_e32 v12, 0x7800000, v12
	v_cmp_gt_u32_e32 vcc, s3, v10
	v_bfe_i32 v11, v11, 0, 16
	v_cndmask_b32_e32 v10, v12, v13, vcc
	s_brev_b32 s2, 1
	v_and_or_b32 v10, v11, s2, v10
	v_cvt_u32_f32_e32 v10, v10
.LBB347_2448:
	s_mov_b64 s[2:3], 0
	s_mov_b64 s[4:5], -1
.LBB347_2449:
	s_andn2_b64 vcc, exec, s[2:3]
	s_mov_b64 s[2:3], 0
	s_cbranch_vccnz .LBB347_2460
; %bb.2450:
	s_cmp_gt_i32 s13, 14
	s_cbranch_scc0 .LBB347_2453
; %bb.2451:
	s_cmp_eq_u32 s13, 15
	s_cbranch_scc0 .LBB347_2456
; %bb.2452:
	global_load_ushort v10, v[0:1], off
	s_mov_b64 s[0:1], 0
	s_mov_b64 s[4:5], -1
	s_waitcnt vmcnt(0)
	v_lshlrev_b32_e32 v10, 16, v10
	v_cvt_u32_f32_e32 v10, v10
	s_branch .LBB347_2457
.LBB347_2453:
	s_mov_b64 s[10:11], -1
                                        ; implicit-def: $vgpr10
	s_branch .LBB347_2458
.LBB347_2454:
	s_andn2_saveexec_b64 s[2:3], s[2:3]
	s_cbranch_execz .LBB347_2435
.LBB347_2455:
	v_cmp_ne_u16_e32 vcc, 0, v11
	s_andn2_b64 s[4:5], s[4:5], exec
	s_and_b64 s[10:11], vcc, exec
	s_or_b64 s[4:5], s[4:5], s[10:11]
	s_or_b64 exec, exec, s[2:3]
	v_mov_b32_e32 v10, 0
	s_and_saveexec_b64 s[2:3], s[4:5]
	s_cbranch_execnz .LBB347_2436
	s_branch .LBB347_2437
.LBB347_2456:
	s_mov_b64 s[0:1], -1
                                        ; implicit-def: $vgpr10
.LBB347_2457:
	s_mov_b64 s[10:11], 0
.LBB347_2458:
	s_and_b64 vcc, exec, s[10:11]
	s_cbranch_vccz .LBB347_2460
; %bb.2459:
	s_cmp_lg_u32 s13, 11
	s_mov_b64 s[2:3], -1
	s_cselect_b64 s[0:1], -1, 0
.LBB347_2460:
	s_and_b64 vcc, exec, s[0:1]
	s_cbranch_vccnz .LBB347_2993
; %bb.2461:
	s_andn2_b64 vcc, exec, s[2:3]
	s_cbranch_vccnz .LBB347_2463
.LBB347_2462:
	global_load_ubyte v10, v[0:1], off
	s_mov_b64 s[4:5], -1
	s_waitcnt vmcnt(0)
	v_cmp_ne_u16_e32 vcc, 0, v10
	v_cndmask_b32_e64 v10, 0, 1, vcc
.LBB347_2463:
	s_mov_b64 s[0:1], 0
.LBB347_2464:
	s_and_b64 vcc, exec, s[0:1]
	s_cbranch_vccz .LBB347_2513
; %bb.2465:
	s_and_b32 s2, 0xffff, s25
	s_cmp_lt_i32 s2, 5
	s_cbranch_scc1 .LBB347_2470
; %bb.2466:
	s_cmp_lt_i32 s2, 8
	s_cbranch_scc1 .LBB347_2471
; %bb.2467:
	;; [unrolled: 3-line block ×3, first 2 shown]
	s_cmp_gt_i32 s2, 9
	s_cbranch_scc0 .LBB347_2473
; %bb.2469:
	global_load_dwordx2 v[10:11], v[0:1], off
	s_mov_b64 s[0:1], 0
	s_waitcnt vmcnt(0)
	v_cvt_u32_f64_e32 v10, v[10:11]
	s_branch .LBB347_2474
.LBB347_2470:
	s_mov_b64 s[0:1], -1
                                        ; implicit-def: $vgpr10
	s_branch .LBB347_2492
.LBB347_2471:
	s_mov_b64 s[0:1], -1
                                        ; implicit-def: $vgpr10
	s_branch .LBB347_2480
.LBB347_2472:
	s_mov_b64 s[0:1], -1
                                        ; implicit-def: $vgpr10
	s_branch .LBB347_2477
.LBB347_2473:
	s_mov_b64 s[0:1], -1
                                        ; implicit-def: $vgpr10
.LBB347_2474:
	s_andn2_b64 vcc, exec, s[0:1]
	s_cbranch_vccnz .LBB347_2476
; %bb.2475:
	global_load_dword v10, v[0:1], off
	s_waitcnt vmcnt(0)
	v_cvt_u32_f32_e32 v10, v10
.LBB347_2476:
	s_mov_b64 s[0:1], 0
.LBB347_2477:
	s_andn2_b64 vcc, exec, s[0:1]
	s_cbranch_vccnz .LBB347_2479
; %bb.2478:
	global_load_dword v10, v[0:1], off
	s_waitcnt vmcnt(0)
	v_cvt_f32_f16_e32 v10, v10
	v_cvt_u32_f32_e32 v10, v10
.LBB347_2479:
	s_mov_b64 s[0:1], 0
.LBB347_2480:
	s_andn2_b64 vcc, exec, s[0:1]
	s_cbranch_vccnz .LBB347_2491
; %bb.2481:
	s_cmp_lt_i32 s2, 6
	s_cbranch_scc1 .LBB347_2484
; %bb.2482:
	s_cmp_gt_i32 s2, 6
	s_cbranch_scc0 .LBB347_2485
; %bb.2483:
	global_load_dwordx2 v[10:11], v[0:1], off
	s_mov_b64 s[0:1], 0
	s_waitcnt vmcnt(0)
	v_cvt_u32_f64_e32 v10, v[10:11]
	s_branch .LBB347_2486
.LBB347_2484:
	s_mov_b64 s[0:1], -1
                                        ; implicit-def: $vgpr10
	s_branch .LBB347_2489
.LBB347_2485:
	s_mov_b64 s[0:1], -1
                                        ; implicit-def: $vgpr10
.LBB347_2486:
	s_andn2_b64 vcc, exec, s[0:1]
	s_cbranch_vccnz .LBB347_2488
; %bb.2487:
	global_load_dword v10, v[0:1], off
	s_waitcnt vmcnt(0)
	v_cvt_u32_f32_e32 v10, v10
.LBB347_2488:
	s_mov_b64 s[0:1], 0
.LBB347_2489:
	s_andn2_b64 vcc, exec, s[0:1]
	s_cbranch_vccnz .LBB347_2491
; %bb.2490:
	global_load_ushort v10, v[0:1], off
	s_waitcnt vmcnt(0)
	v_cvt_f32_f16_e32 v10, v10
	v_cvt_u32_f32_e32 v10, v10
.LBB347_2491:
	s_mov_b64 s[0:1], 0
.LBB347_2492:
	s_andn2_b64 vcc, exec, s[0:1]
	s_cbranch_vccnz .LBB347_2512
; %bb.2493:
	s_cmp_lt_i32 s2, 2
	s_cbranch_scc1 .LBB347_2497
; %bb.2494:
	s_cmp_lt_i32 s2, 3
	s_cbranch_scc1 .LBB347_2498
; %bb.2495:
	s_cmp_gt_i32 s2, 3
	s_cbranch_scc0 .LBB347_2499
; %bb.2496:
	global_load_dword v10, v[0:1], off
	s_mov_b64 s[0:1], 0
	s_branch .LBB347_2500
.LBB347_2497:
	s_mov_b64 s[0:1], -1
                                        ; implicit-def: $vgpr10
	s_branch .LBB347_2506
.LBB347_2498:
	s_mov_b64 s[0:1], -1
                                        ; implicit-def: $vgpr10
	s_branch .LBB347_2503
.LBB347_2499:
	s_mov_b64 s[0:1], -1
                                        ; implicit-def: $vgpr10
.LBB347_2500:
	s_andn2_b64 vcc, exec, s[0:1]
	s_cbranch_vccnz .LBB347_2502
; %bb.2501:
	global_load_dword v10, v[0:1], off
.LBB347_2502:
	s_mov_b64 s[0:1], 0
.LBB347_2503:
	s_andn2_b64 vcc, exec, s[0:1]
	s_cbranch_vccnz .LBB347_2505
; %bb.2504:
	global_load_sshort v10, v[0:1], off
.LBB347_2505:
	s_mov_b64 s[0:1], 0
.LBB347_2506:
	s_andn2_b64 vcc, exec, s[0:1]
	s_cbranch_vccnz .LBB347_2512
; %bb.2507:
	s_cmp_gt_i32 s2, 0
	s_cbranch_scc0 .LBB347_2509
; %bb.2508:
	global_load_sbyte v10, v[0:1], off
	s_mov_b64 s[0:1], 0
	s_branch .LBB347_2510
.LBB347_2509:
	s_mov_b64 s[0:1], -1
                                        ; implicit-def: $vgpr10
.LBB347_2510:
	s_andn2_b64 vcc, exec, s[0:1]
	s_cbranch_vccnz .LBB347_2512
; %bb.2511:
	global_load_ubyte v10, v[0:1], off
.LBB347_2512:
	s_mov_b64 s[4:5], -1
.LBB347_2513:
	s_andn2_b64 vcc, exec, s[4:5]
	s_cbranch_vccnz .LBB347_2947
; %bb.2514:
	v_mul_lo_u32 v2, s12, v2
	s_cmp_eq_u32 s15, 0
	s_cselect_b64 s[2:3], -1, 0
	s_waitcnt vmcnt(0)
	v_cmp_ne_u32_e32 vcc, v3, v5
	s_xor_b64 s[4:5], s[2:3], vcc
	v_ashrrev_i32_e32 v1, 31, v2
	v_mov_b32_e32 v3, s9
	s_and_b32 s24, s33, 0xff
	v_add_co_u32_e32 v0, vcc, s8, v2
	s_cmp_lt_i32 s24, 11
	v_addc_co_u32_e32 v1, vcc, v3, v1, vcc
	s_cbranch_scc1 .LBB347_2592
; %bb.2515:
	s_and_b32 s13, 0xffff, s24
	s_mov_b64 s[20:21], -1
	s_mov_b64 s[10:11], 0
	s_cmp_gt_i32 s13, 25
	s_mov_b64 s[14:15], 0
	s_mov_b64 s[0:1], 0
	s_cbranch_scc0 .LBB347_2548
; %bb.2516:
	s_cmp_gt_i32 s13, 28
	s_cbranch_scc0 .LBB347_2531
; %bb.2517:
	s_cmp_gt_i32 s13, 43
	;; [unrolled: 3-line block ×3, first 2 shown]
	s_cbranch_scc0 .LBB347_2521
; %bb.2519:
	s_mov_b64 s[0:1], -1
	s_mov_b64 s[20:21], 0
	s_cmp_eq_u32 s13, 46
	s_cbranch_scc0 .LBB347_2521
; %bb.2520:
	v_cndmask_b32_e64 v3, 0, 1.0, s[4:5]
	v_bfe_u32 v5, v3, 16, 1
	s_movk_i32 s0, 0x7fff
	v_add3_u32 v3, v3, v5, s0
	v_lshrrev_b32_e32 v3, 16, v3
	global_store_dword v[0:1], v3, off
	s_mov_b64 s[0:1], 0
	s_mov_b64 s[14:15], -1
.LBB347_2521:
	s_and_b64 vcc, exec, s[20:21]
	s_cbranch_vccz .LBB347_2526
; %bb.2522:
	s_cmp_eq_u32 s13, 44
	s_mov_b64 s[0:1], -1
	s_cbranch_scc0 .LBB347_2526
; %bb.2523:
	v_cndmask_b32_e64 v5, 0, 1.0, s[4:5]
	v_lshrrev_b32_e32 v3, 23, v5
	s_movk_i32 s0, 0xff
	v_cmp_ne_u32_e32 vcc, s0, v3
	v_mov_b32_e32 v11, 0xff
	s_and_saveexec_b64 s[14:15], vcc
; %bb.2524:
	s_mov_b32 s0, 0x3fffff
	v_and_b32_e32 v11, 0x400000, v5
	v_and_or_b32 v5, v5, s0, v3
	v_cmp_ne_u32_e32 vcc, 0, v11
	v_cmp_ne_u32_e64 s[0:1], 0, v5
	s_and_b64 s[0:1], vcc, s[0:1]
	v_cndmask_b32_e64 v5, 0, 1, s[0:1]
	v_add_u32_e32 v11, v3, v5
; %bb.2525:
	s_or_b64 exec, exec, s[14:15]
	s_mov_b64 s[0:1], 0
	s_mov_b64 s[14:15], -1
	global_store_byte v[0:1], v11, off
.LBB347_2526:
	s_mov_b64 s[20:21], 0
.LBB347_2527:
	s_and_b64 vcc, exec, s[20:21]
	s_cbranch_vccz .LBB347_2530
; %bb.2528:
	s_cmp_eq_u32 s13, 29
	s_mov_b64 s[0:1], -1
	s_cbranch_scc0 .LBB347_2530
; %bb.2529:
	s_mov_b32 s0, 0
	v_cndmask_b32_e64 v11, 0, 1, s[4:5]
	v_mov_b32_e32 v12, s0
	global_store_dwordx2 v[0:1], v[11:12], off
	s_mov_b64 s[0:1], 0
	s_mov_b64 s[14:15], -1
.LBB347_2530:
	s_mov_b64 s[20:21], 0
.LBB347_2531:
	s_and_b64 vcc, exec, s[20:21]
	s_cbranch_vccz .LBB347_2547
; %bb.2532:
	s_cmp_lt_i32 s13, 27
	s_mov_b64 s[14:15], -1
	s_cbranch_scc1 .LBB347_2538
; %bb.2533:
	s_cmp_gt_i32 s13, 27
	s_cbranch_scc0 .LBB347_2535
; %bb.2534:
	v_cndmask_b32_e64 v3, 0, 1, s[4:5]
	s_mov_b64 s[14:15], 0
	global_store_dword v[0:1], v3, off
.LBB347_2535:
	s_andn2_b64 vcc, exec, s[14:15]
	s_cbranch_vccnz .LBB347_2537
; %bb.2536:
	v_cndmask_b32_e64 v3, 0, 1, s[4:5]
	global_store_short v[0:1], v3, off
.LBB347_2537:
	s_mov_b64 s[14:15], 0
.LBB347_2538:
	s_andn2_b64 vcc, exec, s[14:15]
	s_cbranch_vccnz .LBB347_2546
; %bb.2539:
	v_cndmask_b32_e64 v5, 0, 1.0, s[4:5]
	s_mov_b32 s14, 0x43800000
	v_cmp_gt_u32_e32 vcc, s14, v5
	v_mov_b32_e32 v11, 0x80
	s_and_saveexec_b64 s[14:15], vcc
	s_cbranch_execz .LBB347_2545
; %bb.2540:
	s_mov_b32 s20, 0x3bffffff
	v_cmp_lt_u32_e32 vcc, s20, v5
	s_mov_b64 s[20:21], 0
                                        ; implicit-def: $vgpr3
	s_and_saveexec_b64 s[22:23], vcc
	s_xor_b64 s[22:23], exec, s[22:23]
	s_cbranch_execz .LBB347_2994
; %bb.2541:
	v_bfe_u32 v3, v5, 20, 1
	s_mov_b32 s25, 0x487ffff
	v_add3_u32 v3, v5, v3, s25
	s_mov_b64 s[20:21], exec
	v_lshrrev_b32_e32 v3, 20, v3
                                        ; implicit-def: $vgpr5
	s_andn2_saveexec_b64 s[22:23], s[22:23]
	s_cbranch_execnz .LBB347_2995
.LBB347_2542:
	s_or_b64 exec, exec, s[22:23]
	v_mov_b32_e32 v11, 0
	s_and_saveexec_b64 s[22:23], s[20:21]
.LBB347_2543:
	v_mov_b32_e32 v11, v3
.LBB347_2544:
	s_or_b64 exec, exec, s[22:23]
.LBB347_2545:
	s_or_b64 exec, exec, s[14:15]
	global_store_byte v[0:1], v11, off
.LBB347_2546:
	s_mov_b64 s[14:15], -1
.LBB347_2547:
	s_mov_b64 s[20:21], 0
.LBB347_2548:
	s_and_b64 vcc, exec, s[20:21]
	s_cbranch_vccz .LBB347_2588
; %bb.2549:
	s_cmp_gt_i32 s13, 22
	s_mov_b64 s[10:11], -1
	s_cbranch_scc0 .LBB347_2581
; %bb.2550:
	s_cmp_lt_i32 s13, 24
	s_cbranch_scc1 .LBB347_2570
; %bb.2551:
	s_cmp_gt_i32 s13, 24
	s_cbranch_scc0 .LBB347_2559
; %bb.2552:
	v_cndmask_b32_e64 v5, 0, 1.0, s[4:5]
	s_mov_b32 s10, 0x47800000
	v_cmp_gt_u32_e32 vcc, s10, v5
	v_mov_b32_e32 v11, 0x80
	s_and_saveexec_b64 s[10:11], vcc
	s_cbranch_execz .LBB347_2558
; %bb.2553:
	s_mov_b32 s14, 0x37ffffff
	v_cmp_lt_u32_e32 vcc, s14, v5
	s_mov_b64 s[14:15], 0
                                        ; implicit-def: $vgpr3
	s_and_saveexec_b64 s[20:21], vcc
	s_xor_b64 s[20:21], exec, s[20:21]
	s_cbranch_execz .LBB347_2997
; %bb.2554:
	v_bfe_u32 v3, v5, 21, 1
	s_mov_b32 s22, 0x88fffff
	v_add3_u32 v3, v5, v3, s22
	s_mov_b64 s[14:15], exec
	v_lshrrev_b32_e32 v3, 21, v3
                                        ; implicit-def: $vgpr5
	s_andn2_saveexec_b64 s[20:21], s[20:21]
	s_cbranch_execnz .LBB347_2998
.LBB347_2555:
	s_or_b64 exec, exec, s[20:21]
	v_mov_b32_e32 v11, 0
	s_and_saveexec_b64 s[20:21], s[14:15]
.LBB347_2556:
	v_mov_b32_e32 v11, v3
.LBB347_2557:
	s_or_b64 exec, exec, s[20:21]
.LBB347_2558:
	s_or_b64 exec, exec, s[10:11]
	s_mov_b64 s[10:11], 0
	global_store_byte v[0:1], v11, off
.LBB347_2559:
	s_and_b64 vcc, exec, s[10:11]
	s_cbranch_vccz .LBB347_2569
; %bb.2560:
	v_cndmask_b32_e64 v3, 0, 1.0, s[4:5]
	s_mov_b32 s10, 0x43f00000
	v_cmp_gt_u32_e32 vcc, s10, v3
                                        ; implicit-def: $vgpr5
	s_and_saveexec_b64 s[10:11], vcc
	s_xor_b64 s[10:11], exec, s[10:11]
	s_cbranch_execz .LBB347_2566
; %bb.2561:
	s_mov_b32 s14, 0x3c7fffff
	v_cmp_lt_u32_e32 vcc, s14, v3
                                        ; implicit-def: $vgpr5
	s_and_saveexec_b64 s[14:15], vcc
	s_xor_b64 s[14:15], exec, s[14:15]
; %bb.2562:
	v_bfe_u32 v5, v3, 20, 1
	s_mov_b32 s20, 0x407ffff
	v_add3_u32 v3, v3, v5, s20
	v_lshrrev_b32_e32 v5, 20, v3
	v_and_b32_e32 v3, 0xff00000, v3
	s_mov_b32 s20, 0x7f00000
	v_mov_b32_e32 v11, 0x7e
	v_cmp_ne_u32_e32 vcc, s20, v3
	v_cndmask_b32_e32 v5, v11, v5, vcc
                                        ; implicit-def: $vgpr3
; %bb.2563:
	s_andn2_saveexec_b64 s[14:15], s[14:15]
; %bb.2564:
	v_add_f32_e32 v5, 0x46800000, v3
; %bb.2565:
	s_or_b64 exec, exec, s[14:15]
                                        ; implicit-def: $vgpr3
.LBB347_2566:
	s_andn2_saveexec_b64 s[10:11], s[10:11]
; %bb.2567:
	s_mov_b32 s14, 0x7f800000
	v_mov_b32_e32 v5, 0x7e
	v_mov_b32_e32 v11, 0x7f
	v_cmp_lt_u32_e32 vcc, s14, v3
	v_cndmask_b32_e32 v5, v5, v11, vcc
; %bb.2568:
	s_or_b64 exec, exec, s[10:11]
	global_store_byte v[0:1], v5, off
.LBB347_2569:
	s_mov_b64 s[10:11], 0
.LBB347_2570:
	s_andn2_b64 vcc, exec, s[10:11]
	s_cbranch_vccnz .LBB347_2580
; %bb.2571:
	v_cndmask_b32_e64 v3, 0, 1.0, s[4:5]
	s_mov_b32 s10, 0x47800000
	v_cmp_gt_u32_e32 vcc, s10, v3
                                        ; implicit-def: $vgpr5
	s_and_saveexec_b64 s[10:11], vcc
	s_xor_b64 s[10:11], exec, s[10:11]
	s_cbranch_execz .LBB347_2577
; %bb.2572:
	s_mov_b32 s14, 0x387fffff
	v_cmp_lt_u32_e32 vcc, s14, v3
                                        ; implicit-def: $vgpr5
	s_and_saveexec_b64 s[14:15], vcc
	s_xor_b64 s[14:15], exec, s[14:15]
; %bb.2573:
	v_bfe_u32 v5, v3, 21, 1
	s_mov_b32 s20, 0x80fffff
	v_add3_u32 v3, v3, v5, s20
	v_lshrrev_b32_e32 v5, 21, v3
                                        ; implicit-def: $vgpr3
; %bb.2574:
	s_andn2_saveexec_b64 s[14:15], s[14:15]
; %bb.2575:
	v_add_f32_e32 v5, 0x43000000, v3
; %bb.2576:
	s_or_b64 exec, exec, s[14:15]
                                        ; implicit-def: $vgpr3
.LBB347_2577:
	s_andn2_saveexec_b64 s[10:11], s[10:11]
; %bb.2578:
	s_mov_b32 s14, 0x7f800000
	v_mov_b32_e32 v5, 0x7c
	v_mov_b32_e32 v11, 0x7f
	v_cmp_lt_u32_e32 vcc, s14, v3
	v_cndmask_b32_e32 v5, v5, v11, vcc
; %bb.2579:
	s_or_b64 exec, exec, s[10:11]
	global_store_byte v[0:1], v5, off
.LBB347_2580:
	s_mov_b64 s[10:11], 0
	s_mov_b64 s[14:15], -1
.LBB347_2581:
	s_andn2_b64 vcc, exec, s[10:11]
	s_mov_b64 s[10:11], 0
	s_cbranch_vccnz .LBB347_2588
; %bb.2582:
	s_cmp_gt_i32 s13, 14
	s_mov_b64 s[20:21], -1
	s_cbranch_scc0 .LBB347_2586
; %bb.2583:
	s_cmp_eq_u32 s13, 15
	s_mov_b64 s[0:1], -1
	s_cbranch_scc0 .LBB347_2585
; %bb.2584:
	v_cndmask_b32_e64 v3, 0, 1.0, s[4:5]
	v_bfe_u32 v5, v3, 16, 1
	s_movk_i32 s0, 0x7fff
	v_add3_u32 v3, v3, v5, s0
	global_store_short_d16_hi v[0:1], v3, off
	s_mov_b64 s[0:1], 0
	s_mov_b64 s[14:15], -1
.LBB347_2585:
	s_mov_b64 s[20:21], 0
.LBB347_2586:
	s_and_b64 vcc, exec, s[20:21]
	s_cbranch_vccz .LBB347_2588
; %bb.2587:
	s_cmp_lg_u32 s13, 11
	s_mov_b64 s[10:11], -1
	s_cselect_b64 s[0:1], -1, 0
.LBB347_2588:
	s_and_b64 vcc, exec, s[0:1]
	s_cbranch_vccnz .LBB347_2996
; %bb.2589:
	s_andn2_b64 vcc, exec, s[10:11]
	s_cbranch_vccnz .LBB347_2591
.LBB347_2590:
	v_cndmask_b32_e64 v3, 0, 1, s[4:5]
	s_mov_b64 s[14:15], -1
	global_store_byte v[0:1], v3, off
.LBB347_2591:
	s_mov_b64 s[0:1], 0
	s_branch .LBB347_2593
.LBB347_2592:
	s_mov_b64 s[0:1], -1
	s_mov_b64 s[14:15], 0
.LBB347_2593:
	s_and_b64 vcc, exec, s[0:1]
	s_cbranch_vccz .LBB347_2632
; %bb.2594:
	s_and_b32 s10, 0xffff, s24
	s_cmp_lt_i32 s10, 5
	s_mov_b64 s[0:1], -1
	s_cbranch_scc1 .LBB347_2615
; %bb.2595:
	s_cmp_lt_i32 s10, 8
	s_cbranch_scc1 .LBB347_2605
; %bb.2596:
	s_cmp_lt_i32 s10, 9
	s_cbranch_scc1 .LBB347_2602
; %bb.2597:
	s_cmp_gt_i32 s10, 9
	s_cbranch_scc0 .LBB347_2599
; %bb.2598:
	v_cndmask_b32_e64 v3, 0, 1, s[4:5]
	v_cvt_f64_u32_e32 v[11:12], v3
	v_mov_b32_e32 v13, 0
	v_mov_b32_e32 v14, v13
	s_mov_b64 s[0:1], 0
	global_store_dwordx4 v[0:1], v[11:14], off
.LBB347_2599:
	s_andn2_b64 vcc, exec, s[0:1]
	s_cbranch_vccnz .LBB347_2601
; %bb.2600:
	v_cndmask_b32_e64 v11, 0, 1.0, s[4:5]
	v_mov_b32_e32 v12, 0
	global_store_dwordx2 v[0:1], v[11:12], off
.LBB347_2601:
	s_mov_b64 s[0:1], 0
.LBB347_2602:
	s_andn2_b64 vcc, exec, s[0:1]
	s_cbranch_vccnz .LBB347_2604
; %bb.2603:
	v_cndmask_b32_e64 v3, 0, 1.0, s[4:5]
	v_cvt_f16_f32_e32 v3, v3
	global_store_dword v[0:1], v3, off
.LBB347_2604:
	s_mov_b64 s[0:1], 0
.LBB347_2605:
	s_andn2_b64 vcc, exec, s[0:1]
	s_cbranch_vccnz .LBB347_2614
; %bb.2606:
	s_cmp_lt_i32 s10, 6
	s_mov_b64 s[0:1], -1
	s_cbranch_scc1 .LBB347_2612
; %bb.2607:
	s_cmp_gt_i32 s10, 6
	s_cbranch_scc0 .LBB347_2609
; %bb.2608:
	v_cndmask_b32_e64 v3, 0, 1, s[4:5]
	v_cvt_f64_u32_e32 v[11:12], v3
	s_mov_b64 s[0:1], 0
	global_store_dwordx2 v[0:1], v[11:12], off
.LBB347_2609:
	s_andn2_b64 vcc, exec, s[0:1]
	s_cbranch_vccnz .LBB347_2611
; %bb.2610:
	v_cndmask_b32_e64 v3, 0, 1.0, s[4:5]
	global_store_dword v[0:1], v3, off
.LBB347_2611:
	s_mov_b64 s[0:1], 0
.LBB347_2612:
	s_andn2_b64 vcc, exec, s[0:1]
	s_cbranch_vccnz .LBB347_2614
; %bb.2613:
	v_cndmask_b32_e64 v3, 0, 1.0, s[4:5]
	v_cvt_f16_f32_e32 v3, v3
	global_store_short v[0:1], v3, off
.LBB347_2614:
	s_mov_b64 s[0:1], 0
.LBB347_2615:
	s_andn2_b64 vcc, exec, s[0:1]
	s_cbranch_vccnz .LBB347_2631
; %bb.2616:
	s_cmp_lt_i32 s10, 2
	s_mov_b64 s[0:1], -1
	s_cbranch_scc1 .LBB347_2626
; %bb.2617:
	s_cmp_lt_i32 s10, 3
	s_cbranch_scc1 .LBB347_2623
; %bb.2618:
	s_cmp_gt_i32 s10, 3
	s_cbranch_scc0 .LBB347_2620
; %bb.2619:
	s_mov_b32 s0, 0
	v_cndmask_b32_e64 v11, 0, 1, s[4:5]
	v_mov_b32_e32 v12, s0
	global_store_dwordx2 v[0:1], v[11:12], off
	s_mov_b64 s[0:1], 0
.LBB347_2620:
	s_andn2_b64 vcc, exec, s[0:1]
	s_cbranch_vccnz .LBB347_2622
; %bb.2621:
	v_cndmask_b32_e64 v3, 0, 1, s[4:5]
	global_store_dword v[0:1], v3, off
.LBB347_2622:
	s_mov_b64 s[0:1], 0
.LBB347_2623:
	s_andn2_b64 vcc, exec, s[0:1]
	s_cbranch_vccnz .LBB347_2625
; %bb.2624:
	v_cndmask_b32_e64 v3, 0, 1, s[4:5]
	global_store_short v[0:1], v3, off
.LBB347_2625:
	s_mov_b64 s[0:1], 0
.LBB347_2626:
	s_andn2_b64 vcc, exec, s[0:1]
	s_cbranch_vccnz .LBB347_2631
; %bb.2627:
	s_mov_b64 s[0:1], -1
	s_cmp_gt_i32 s10, 0
	v_cndmask_b32_e64 v3, 0, 1, s[4:5]
	s_cbranch_scc0 .LBB347_2629
; %bb.2628:
	global_store_byte v[0:1], v3, off
	s_mov_b64 s[0:1], 0
.LBB347_2629:
	s_andn2_b64 vcc, exec, s[0:1]
	s_cbranch_vccnz .LBB347_2631
; %bb.2630:
	global_store_byte v[0:1], v3, off
.LBB347_2631:
	s_mov_b64 s[14:15], -1
.LBB347_2632:
	s_andn2_b64 vcc, exec, s[14:15]
	s_cbranch_vccnz .LBB347_2947
; %bb.2633:
	s_lshl_b32 s22, s12, 7
	v_cmp_ne_u32_e32 vcc, v4, v7
	v_add_u32_e32 v2, s22, v2
	s_xor_b64 s[4:5], s[2:3], vcc
	v_ashrrev_i32_e32 v1, 31, v2
	v_mov_b32_e32 v3, s9
	v_add_co_u32_e32 v0, vcc, s8, v2
	s_cmp_lt_i32 s24, 11
	v_addc_co_u32_e32 v1, vcc, v3, v1, vcc
	s_cbranch_scc1 .LBB347_2711
; %bb.2634:
	s_and_b32 s23, 0xffff, s24
	s_mov_b64 s[14:15], -1
	s_mov_b64 s[10:11], 0
	s_cmp_gt_i32 s23, 25
	s_mov_b64 s[12:13], 0
	s_mov_b64 s[0:1], 0
	s_cbranch_scc0 .LBB347_2667
; %bb.2635:
	s_cmp_gt_i32 s23, 28
	s_cbranch_scc0 .LBB347_2650
; %bb.2636:
	s_cmp_gt_i32 s23, 43
	;; [unrolled: 3-line block ×3, first 2 shown]
	s_cbranch_scc0 .LBB347_2640
; %bb.2638:
	s_mov_b64 s[0:1], -1
	s_mov_b64 s[14:15], 0
	s_cmp_eq_u32 s23, 46
	s_cbranch_scc0 .LBB347_2640
; %bb.2639:
	v_cndmask_b32_e64 v3, 0, 1.0, s[4:5]
	v_bfe_u32 v4, v3, 16, 1
	s_movk_i32 s0, 0x7fff
	v_add3_u32 v3, v3, v4, s0
	v_lshrrev_b32_e32 v3, 16, v3
	global_store_dword v[0:1], v3, off
	s_mov_b64 s[0:1], 0
	s_mov_b64 s[12:13], -1
.LBB347_2640:
	s_and_b64 vcc, exec, s[14:15]
	s_cbranch_vccz .LBB347_2645
; %bb.2641:
	s_cmp_eq_u32 s23, 44
	s_mov_b64 s[0:1], -1
	s_cbranch_scc0 .LBB347_2645
; %bb.2642:
	v_cndmask_b32_e64 v4, 0, 1.0, s[4:5]
	v_lshrrev_b32_e32 v3, 23, v4
	s_movk_i32 s0, 0xff
	v_cmp_ne_u32_e32 vcc, s0, v3
	v_mov_b32_e32 v5, 0xff
	s_and_saveexec_b64 s[12:13], vcc
; %bb.2643:
	s_mov_b32 s0, 0x3fffff
	v_and_b32_e32 v5, 0x400000, v4
	v_and_or_b32 v4, v4, s0, v3
	v_cmp_ne_u32_e32 vcc, 0, v5
	v_cmp_ne_u32_e64 s[0:1], 0, v4
	s_and_b64 s[0:1], vcc, s[0:1]
	v_cndmask_b32_e64 v4, 0, 1, s[0:1]
	v_add_u32_e32 v5, v3, v4
; %bb.2644:
	s_or_b64 exec, exec, s[12:13]
	s_mov_b64 s[0:1], 0
	s_mov_b64 s[12:13], -1
	global_store_byte v[0:1], v5, off
.LBB347_2645:
	s_mov_b64 s[14:15], 0
.LBB347_2646:
	s_and_b64 vcc, exec, s[14:15]
	s_cbranch_vccz .LBB347_2649
; %bb.2647:
	s_cmp_eq_u32 s23, 29
	s_mov_b64 s[0:1], -1
	s_cbranch_scc0 .LBB347_2649
; %bb.2648:
	s_mov_b32 s0, 0
	v_cndmask_b32_e64 v3, 0, 1, s[4:5]
	v_mov_b32_e32 v4, s0
	global_store_dwordx2 v[0:1], v[3:4], off
	s_mov_b64 s[0:1], 0
	s_mov_b64 s[12:13], -1
.LBB347_2649:
	s_mov_b64 s[14:15], 0
.LBB347_2650:
	s_and_b64 vcc, exec, s[14:15]
	s_cbranch_vccz .LBB347_2666
; %bb.2651:
	s_cmp_lt_i32 s23, 27
	s_mov_b64 s[12:13], -1
	s_cbranch_scc1 .LBB347_2657
; %bb.2652:
	s_cmp_gt_i32 s23, 27
	s_cbranch_scc0 .LBB347_2654
; %bb.2653:
	v_cndmask_b32_e64 v3, 0, 1, s[4:5]
	s_mov_b64 s[12:13], 0
	global_store_dword v[0:1], v3, off
.LBB347_2654:
	s_andn2_b64 vcc, exec, s[12:13]
	s_cbranch_vccnz .LBB347_2656
; %bb.2655:
	v_cndmask_b32_e64 v3, 0, 1, s[4:5]
	global_store_short v[0:1], v3, off
.LBB347_2656:
	s_mov_b64 s[12:13], 0
.LBB347_2657:
	s_andn2_b64 vcc, exec, s[12:13]
	s_cbranch_vccnz .LBB347_2665
; %bb.2658:
	v_cndmask_b32_e64 v4, 0, 1.0, s[4:5]
	s_mov_b32 s12, 0x43800000
	v_cmp_gt_u32_e32 vcc, s12, v4
	v_mov_b32_e32 v5, 0x80
	s_and_saveexec_b64 s[12:13], vcc
	s_cbranch_execz .LBB347_2664
; %bb.2659:
	s_mov_b32 s14, 0x3bffffff
	v_cmp_lt_u32_e32 vcc, s14, v4
	s_mov_b64 s[14:15], 0
                                        ; implicit-def: $vgpr3
	s_and_saveexec_b64 s[20:21], vcc
	s_xor_b64 s[20:21], exec, s[20:21]
	s_cbranch_execz .LBB347_2999
; %bb.2660:
	v_bfe_u32 v3, v4, 20, 1
	s_mov_b32 s25, 0x487ffff
	v_add3_u32 v3, v4, v3, s25
	s_mov_b64 s[14:15], exec
	v_lshrrev_b32_e32 v3, 20, v3
                                        ; implicit-def: $vgpr4
	s_andn2_saveexec_b64 s[20:21], s[20:21]
	s_cbranch_execnz .LBB347_3000
.LBB347_2661:
	s_or_b64 exec, exec, s[20:21]
	v_mov_b32_e32 v5, 0
	s_and_saveexec_b64 s[20:21], s[14:15]
.LBB347_2662:
	v_mov_b32_e32 v5, v3
.LBB347_2663:
	s_or_b64 exec, exec, s[20:21]
.LBB347_2664:
	s_or_b64 exec, exec, s[12:13]
	global_store_byte v[0:1], v5, off
.LBB347_2665:
	s_mov_b64 s[12:13], -1
.LBB347_2666:
	s_mov_b64 s[14:15], 0
.LBB347_2667:
	s_and_b64 vcc, exec, s[14:15]
	s_cbranch_vccz .LBB347_2707
; %bb.2668:
	s_cmp_gt_i32 s23, 22
	s_mov_b64 s[10:11], -1
	s_cbranch_scc0 .LBB347_2700
; %bb.2669:
	s_cmp_lt_i32 s23, 24
	s_cbranch_scc1 .LBB347_2689
; %bb.2670:
	s_cmp_gt_i32 s23, 24
	s_cbranch_scc0 .LBB347_2678
; %bb.2671:
	v_cndmask_b32_e64 v4, 0, 1.0, s[4:5]
	s_mov_b32 s10, 0x47800000
	v_cmp_gt_u32_e32 vcc, s10, v4
	v_mov_b32_e32 v5, 0x80
	s_and_saveexec_b64 s[10:11], vcc
	s_cbranch_execz .LBB347_2677
; %bb.2672:
	s_mov_b32 s12, 0x37ffffff
	v_cmp_lt_u32_e32 vcc, s12, v4
	s_mov_b64 s[12:13], 0
                                        ; implicit-def: $vgpr3
	s_and_saveexec_b64 s[14:15], vcc
	s_xor_b64 s[14:15], exec, s[14:15]
	s_cbranch_execz .LBB347_3002
; %bb.2673:
	v_bfe_u32 v3, v4, 21, 1
	s_mov_b32 s20, 0x88fffff
	v_add3_u32 v3, v4, v3, s20
	s_mov_b64 s[12:13], exec
	v_lshrrev_b32_e32 v3, 21, v3
                                        ; implicit-def: $vgpr4
	s_andn2_saveexec_b64 s[14:15], s[14:15]
	s_cbranch_execnz .LBB347_3003
.LBB347_2674:
	s_or_b64 exec, exec, s[14:15]
	v_mov_b32_e32 v5, 0
	s_and_saveexec_b64 s[14:15], s[12:13]
.LBB347_2675:
	v_mov_b32_e32 v5, v3
.LBB347_2676:
	s_or_b64 exec, exec, s[14:15]
.LBB347_2677:
	s_or_b64 exec, exec, s[10:11]
	s_mov_b64 s[10:11], 0
	global_store_byte v[0:1], v5, off
.LBB347_2678:
	s_and_b64 vcc, exec, s[10:11]
	s_cbranch_vccz .LBB347_2688
; %bb.2679:
	v_cndmask_b32_e64 v3, 0, 1.0, s[4:5]
	s_mov_b32 s10, 0x43f00000
	v_cmp_gt_u32_e32 vcc, s10, v3
                                        ; implicit-def: $vgpr4
	s_and_saveexec_b64 s[10:11], vcc
	s_xor_b64 s[10:11], exec, s[10:11]
	s_cbranch_execz .LBB347_2685
; %bb.2680:
	s_mov_b32 s12, 0x3c7fffff
	v_cmp_lt_u32_e32 vcc, s12, v3
                                        ; implicit-def: $vgpr4
	s_and_saveexec_b64 s[12:13], vcc
	s_xor_b64 s[12:13], exec, s[12:13]
; %bb.2681:
	v_bfe_u32 v4, v3, 20, 1
	s_mov_b32 s14, 0x407ffff
	v_add3_u32 v3, v3, v4, s14
	v_lshrrev_b32_e32 v4, 20, v3
	v_and_b32_e32 v3, 0xff00000, v3
	s_mov_b32 s14, 0x7f00000
	v_mov_b32_e32 v5, 0x7e
	v_cmp_ne_u32_e32 vcc, s14, v3
	v_cndmask_b32_e32 v4, v5, v4, vcc
                                        ; implicit-def: $vgpr3
; %bb.2682:
	s_andn2_saveexec_b64 s[12:13], s[12:13]
; %bb.2683:
	v_add_f32_e32 v4, 0x46800000, v3
; %bb.2684:
	s_or_b64 exec, exec, s[12:13]
                                        ; implicit-def: $vgpr3
.LBB347_2685:
	s_andn2_saveexec_b64 s[10:11], s[10:11]
; %bb.2686:
	s_mov_b32 s12, 0x7f800000
	v_mov_b32_e32 v4, 0x7e
	v_mov_b32_e32 v5, 0x7f
	v_cmp_lt_u32_e32 vcc, s12, v3
	v_cndmask_b32_e32 v4, v4, v5, vcc
; %bb.2687:
	s_or_b64 exec, exec, s[10:11]
	global_store_byte v[0:1], v4, off
.LBB347_2688:
	s_mov_b64 s[10:11], 0
.LBB347_2689:
	s_andn2_b64 vcc, exec, s[10:11]
	s_cbranch_vccnz .LBB347_2699
; %bb.2690:
	v_cndmask_b32_e64 v3, 0, 1.0, s[4:5]
	s_mov_b32 s10, 0x47800000
	v_cmp_gt_u32_e32 vcc, s10, v3
                                        ; implicit-def: $vgpr4
	s_and_saveexec_b64 s[10:11], vcc
	s_xor_b64 s[10:11], exec, s[10:11]
	s_cbranch_execz .LBB347_2696
; %bb.2691:
	s_mov_b32 s12, 0x387fffff
	v_cmp_lt_u32_e32 vcc, s12, v3
                                        ; implicit-def: $vgpr4
	s_and_saveexec_b64 s[12:13], vcc
	s_xor_b64 s[12:13], exec, s[12:13]
; %bb.2692:
	v_bfe_u32 v4, v3, 21, 1
	s_mov_b32 s14, 0x80fffff
	v_add3_u32 v3, v3, v4, s14
	v_lshrrev_b32_e32 v4, 21, v3
                                        ; implicit-def: $vgpr3
; %bb.2693:
	s_andn2_saveexec_b64 s[12:13], s[12:13]
; %bb.2694:
	v_add_f32_e32 v4, 0x43000000, v3
; %bb.2695:
	s_or_b64 exec, exec, s[12:13]
                                        ; implicit-def: $vgpr3
.LBB347_2696:
	s_andn2_saveexec_b64 s[10:11], s[10:11]
; %bb.2697:
	s_mov_b32 s12, 0x7f800000
	v_mov_b32_e32 v4, 0x7c
	v_mov_b32_e32 v5, 0x7f
	v_cmp_lt_u32_e32 vcc, s12, v3
	v_cndmask_b32_e32 v4, v4, v5, vcc
; %bb.2698:
	s_or_b64 exec, exec, s[10:11]
	global_store_byte v[0:1], v4, off
.LBB347_2699:
	s_mov_b64 s[10:11], 0
	s_mov_b64 s[12:13], -1
.LBB347_2700:
	s_andn2_b64 vcc, exec, s[10:11]
	s_mov_b64 s[10:11], 0
	s_cbranch_vccnz .LBB347_2707
; %bb.2701:
	s_cmp_gt_i32 s23, 14
	s_mov_b64 s[14:15], -1
	s_cbranch_scc0 .LBB347_2705
; %bb.2702:
	s_cmp_eq_u32 s23, 15
	s_mov_b64 s[0:1], -1
	s_cbranch_scc0 .LBB347_2704
; %bb.2703:
	v_cndmask_b32_e64 v3, 0, 1.0, s[4:5]
	v_bfe_u32 v4, v3, 16, 1
	s_movk_i32 s0, 0x7fff
	v_add3_u32 v3, v3, v4, s0
	global_store_short_d16_hi v[0:1], v3, off
	s_mov_b64 s[0:1], 0
	s_mov_b64 s[12:13], -1
.LBB347_2704:
	s_mov_b64 s[14:15], 0
.LBB347_2705:
	s_and_b64 vcc, exec, s[14:15]
	s_cbranch_vccz .LBB347_2707
; %bb.2706:
	s_cmp_lg_u32 s23, 11
	s_mov_b64 s[10:11], -1
	s_cselect_b64 s[0:1], -1, 0
.LBB347_2707:
	s_and_b64 vcc, exec, s[0:1]
	s_cbranch_vccnz .LBB347_3001
; %bb.2708:
	s_andn2_b64 vcc, exec, s[10:11]
	s_cbranch_vccnz .LBB347_2710
.LBB347_2709:
	v_cndmask_b32_e64 v3, 0, 1, s[4:5]
	s_mov_b64 s[12:13], -1
	global_store_byte v[0:1], v3, off
.LBB347_2710:
	s_mov_b64 s[0:1], 0
	s_branch .LBB347_2712
.LBB347_2711:
	s_mov_b64 s[0:1], -1
	s_mov_b64 s[12:13], 0
.LBB347_2712:
	s_and_b64 vcc, exec, s[0:1]
	s_cbranch_vccz .LBB347_2751
; %bb.2713:
	s_and_b32 s10, 0xffff, s24
	s_cmp_lt_i32 s10, 5
	s_mov_b64 s[0:1], -1
	s_cbranch_scc1 .LBB347_2734
; %bb.2714:
	s_cmp_lt_i32 s10, 8
	s_cbranch_scc1 .LBB347_2724
; %bb.2715:
	s_cmp_lt_i32 s10, 9
	s_cbranch_scc1 .LBB347_2721
; %bb.2716:
	s_cmp_gt_i32 s10, 9
	s_cbranch_scc0 .LBB347_2718
; %bb.2717:
	v_cndmask_b32_e64 v3, 0, 1, s[4:5]
	v_cvt_f64_u32_e32 v[11:12], v3
	v_mov_b32_e32 v13, 0
	v_mov_b32_e32 v14, v13
	s_mov_b64 s[0:1], 0
	global_store_dwordx4 v[0:1], v[11:14], off
.LBB347_2718:
	s_andn2_b64 vcc, exec, s[0:1]
	s_cbranch_vccnz .LBB347_2720
; %bb.2719:
	v_cndmask_b32_e64 v3, 0, 1.0, s[4:5]
	v_mov_b32_e32 v4, 0
	global_store_dwordx2 v[0:1], v[3:4], off
.LBB347_2720:
	s_mov_b64 s[0:1], 0
.LBB347_2721:
	s_andn2_b64 vcc, exec, s[0:1]
	s_cbranch_vccnz .LBB347_2723
; %bb.2722:
	v_cndmask_b32_e64 v3, 0, 1.0, s[4:5]
	v_cvt_f16_f32_e32 v3, v3
	global_store_dword v[0:1], v3, off
.LBB347_2723:
	s_mov_b64 s[0:1], 0
.LBB347_2724:
	s_andn2_b64 vcc, exec, s[0:1]
	s_cbranch_vccnz .LBB347_2733
; %bb.2725:
	s_cmp_lt_i32 s10, 6
	s_mov_b64 s[0:1], -1
	s_cbranch_scc1 .LBB347_2731
; %bb.2726:
	s_cmp_gt_i32 s10, 6
	s_cbranch_scc0 .LBB347_2728
; %bb.2727:
	v_cndmask_b32_e64 v3, 0, 1, s[4:5]
	v_cvt_f64_u32_e32 v[3:4], v3
	s_mov_b64 s[0:1], 0
	global_store_dwordx2 v[0:1], v[3:4], off
.LBB347_2728:
	s_andn2_b64 vcc, exec, s[0:1]
	s_cbranch_vccnz .LBB347_2730
; %bb.2729:
	v_cndmask_b32_e64 v3, 0, 1.0, s[4:5]
	global_store_dword v[0:1], v3, off
.LBB347_2730:
	s_mov_b64 s[0:1], 0
.LBB347_2731:
	s_andn2_b64 vcc, exec, s[0:1]
	s_cbranch_vccnz .LBB347_2733
; %bb.2732:
	v_cndmask_b32_e64 v3, 0, 1.0, s[4:5]
	v_cvt_f16_f32_e32 v3, v3
	global_store_short v[0:1], v3, off
.LBB347_2733:
	s_mov_b64 s[0:1], 0
.LBB347_2734:
	s_andn2_b64 vcc, exec, s[0:1]
	s_cbranch_vccnz .LBB347_2750
; %bb.2735:
	s_cmp_lt_i32 s10, 2
	s_mov_b64 s[0:1], -1
	s_cbranch_scc1 .LBB347_2745
; %bb.2736:
	s_cmp_lt_i32 s10, 3
	s_cbranch_scc1 .LBB347_2742
; %bb.2737:
	s_cmp_gt_i32 s10, 3
	s_cbranch_scc0 .LBB347_2739
; %bb.2738:
	s_mov_b32 s0, 0
	v_cndmask_b32_e64 v3, 0, 1, s[4:5]
	v_mov_b32_e32 v4, s0
	global_store_dwordx2 v[0:1], v[3:4], off
	s_mov_b64 s[0:1], 0
.LBB347_2739:
	s_andn2_b64 vcc, exec, s[0:1]
	s_cbranch_vccnz .LBB347_2741
; %bb.2740:
	v_cndmask_b32_e64 v3, 0, 1, s[4:5]
	global_store_dword v[0:1], v3, off
.LBB347_2741:
	s_mov_b64 s[0:1], 0
.LBB347_2742:
	s_andn2_b64 vcc, exec, s[0:1]
	s_cbranch_vccnz .LBB347_2744
; %bb.2743:
	v_cndmask_b32_e64 v3, 0, 1, s[4:5]
	global_store_short v[0:1], v3, off
.LBB347_2744:
	s_mov_b64 s[0:1], 0
.LBB347_2745:
	s_andn2_b64 vcc, exec, s[0:1]
	s_cbranch_vccnz .LBB347_2750
; %bb.2746:
	s_mov_b64 s[0:1], -1
	s_cmp_gt_i32 s10, 0
	v_cndmask_b32_e64 v3, 0, 1, s[4:5]
	s_cbranch_scc0 .LBB347_2748
; %bb.2747:
	global_store_byte v[0:1], v3, off
	s_mov_b64 s[0:1], 0
.LBB347_2748:
	s_andn2_b64 vcc, exec, s[0:1]
	s_cbranch_vccnz .LBB347_2750
; %bb.2749:
	global_store_byte v[0:1], v3, off
.LBB347_2750:
	s_mov_b64 s[12:13], -1
.LBB347_2751:
	s_andn2_b64 vcc, exec, s[12:13]
	s_cbranch_vccnz .LBB347_2947
; %bb.2752:
	v_cmp_ne_u32_e32 vcc, v6, v9
	v_add_u32_e32 v2, s22, v2
	s_xor_b64 s[4:5], s[2:3], vcc
	v_ashrrev_i32_e32 v1, 31, v2
	v_mov_b32_e32 v3, s9
	v_add_co_u32_e32 v0, vcc, s8, v2
	s_cmp_lt_i32 s24, 11
	v_addc_co_u32_e32 v1, vcc, v3, v1, vcc
	s_cbranch_scc1 .LBB347_2830
; %bb.2753:
	s_and_b32 s23, 0xffff, s24
	s_mov_b64 s[14:15], -1
	s_mov_b64 s[10:11], 0
	s_cmp_gt_i32 s23, 25
	s_mov_b64 s[12:13], 0
	s_mov_b64 s[0:1], 0
	s_cbranch_scc0 .LBB347_2786
; %bb.2754:
	s_cmp_gt_i32 s23, 28
	s_cbranch_scc0 .LBB347_2769
; %bb.2755:
	s_cmp_gt_i32 s23, 43
	;; [unrolled: 3-line block ×3, first 2 shown]
	s_cbranch_scc0 .LBB347_2759
; %bb.2757:
	s_mov_b64 s[0:1], -1
	s_mov_b64 s[14:15], 0
	s_cmp_eq_u32 s23, 46
	s_cbranch_scc0 .LBB347_2759
; %bb.2758:
	v_cndmask_b32_e64 v3, 0, 1.0, s[4:5]
	v_bfe_u32 v4, v3, 16, 1
	s_movk_i32 s0, 0x7fff
	v_add3_u32 v3, v3, v4, s0
	v_lshrrev_b32_e32 v3, 16, v3
	global_store_dword v[0:1], v3, off
	s_mov_b64 s[0:1], 0
	s_mov_b64 s[12:13], -1
.LBB347_2759:
	s_and_b64 vcc, exec, s[14:15]
	s_cbranch_vccz .LBB347_2764
; %bb.2760:
	s_cmp_eq_u32 s23, 44
	s_mov_b64 s[0:1], -1
	s_cbranch_scc0 .LBB347_2764
; %bb.2761:
	v_cndmask_b32_e64 v4, 0, 1.0, s[4:5]
	v_lshrrev_b32_e32 v3, 23, v4
	s_movk_i32 s0, 0xff
	v_cmp_ne_u32_e32 vcc, s0, v3
	v_mov_b32_e32 v5, 0xff
	s_and_saveexec_b64 s[12:13], vcc
; %bb.2762:
	s_mov_b32 s0, 0x3fffff
	v_and_b32_e32 v5, 0x400000, v4
	v_and_or_b32 v4, v4, s0, v3
	v_cmp_ne_u32_e32 vcc, 0, v5
	v_cmp_ne_u32_e64 s[0:1], 0, v4
	s_and_b64 s[0:1], vcc, s[0:1]
	v_cndmask_b32_e64 v4, 0, 1, s[0:1]
	v_add_u32_e32 v5, v3, v4
; %bb.2763:
	s_or_b64 exec, exec, s[12:13]
	s_mov_b64 s[0:1], 0
	s_mov_b64 s[12:13], -1
	global_store_byte v[0:1], v5, off
.LBB347_2764:
	s_mov_b64 s[14:15], 0
.LBB347_2765:
	s_and_b64 vcc, exec, s[14:15]
	s_cbranch_vccz .LBB347_2768
; %bb.2766:
	s_cmp_eq_u32 s23, 29
	s_mov_b64 s[0:1], -1
	s_cbranch_scc0 .LBB347_2768
; %bb.2767:
	s_mov_b32 s0, 0
	v_cndmask_b32_e64 v3, 0, 1, s[4:5]
	v_mov_b32_e32 v4, s0
	global_store_dwordx2 v[0:1], v[3:4], off
	s_mov_b64 s[0:1], 0
	s_mov_b64 s[12:13], -1
.LBB347_2768:
	s_mov_b64 s[14:15], 0
.LBB347_2769:
	s_and_b64 vcc, exec, s[14:15]
	s_cbranch_vccz .LBB347_2785
; %bb.2770:
	s_cmp_lt_i32 s23, 27
	s_mov_b64 s[12:13], -1
	s_cbranch_scc1 .LBB347_2776
; %bb.2771:
	s_cmp_gt_i32 s23, 27
	s_cbranch_scc0 .LBB347_2773
; %bb.2772:
	v_cndmask_b32_e64 v3, 0, 1, s[4:5]
	s_mov_b64 s[12:13], 0
	global_store_dword v[0:1], v3, off
.LBB347_2773:
	s_andn2_b64 vcc, exec, s[12:13]
	s_cbranch_vccnz .LBB347_2775
; %bb.2774:
	v_cndmask_b32_e64 v3, 0, 1, s[4:5]
	global_store_short v[0:1], v3, off
.LBB347_2775:
	s_mov_b64 s[12:13], 0
.LBB347_2776:
	s_andn2_b64 vcc, exec, s[12:13]
	s_cbranch_vccnz .LBB347_2784
; %bb.2777:
	v_cndmask_b32_e64 v4, 0, 1.0, s[4:5]
	s_mov_b32 s12, 0x43800000
	v_cmp_gt_u32_e32 vcc, s12, v4
	v_mov_b32_e32 v5, 0x80
	s_and_saveexec_b64 s[12:13], vcc
	s_cbranch_execz .LBB347_2783
; %bb.2778:
	s_mov_b32 s14, 0x3bffffff
	v_cmp_lt_u32_e32 vcc, s14, v4
	s_mov_b64 s[14:15], 0
                                        ; implicit-def: $vgpr3
	s_and_saveexec_b64 s[20:21], vcc
	s_xor_b64 s[20:21], exec, s[20:21]
	s_cbranch_execz .LBB347_3004
; %bb.2779:
	v_bfe_u32 v3, v4, 20, 1
	s_mov_b32 s25, 0x487ffff
	v_add3_u32 v3, v4, v3, s25
	s_mov_b64 s[14:15], exec
	v_lshrrev_b32_e32 v3, 20, v3
                                        ; implicit-def: $vgpr4
	s_andn2_saveexec_b64 s[20:21], s[20:21]
	s_cbranch_execnz .LBB347_3005
.LBB347_2780:
	s_or_b64 exec, exec, s[20:21]
	v_mov_b32_e32 v5, 0
	s_and_saveexec_b64 s[20:21], s[14:15]
.LBB347_2781:
	v_mov_b32_e32 v5, v3
.LBB347_2782:
	s_or_b64 exec, exec, s[20:21]
.LBB347_2783:
	s_or_b64 exec, exec, s[12:13]
	global_store_byte v[0:1], v5, off
.LBB347_2784:
	s_mov_b64 s[12:13], -1
.LBB347_2785:
	s_mov_b64 s[14:15], 0
.LBB347_2786:
	s_and_b64 vcc, exec, s[14:15]
	s_cbranch_vccz .LBB347_2826
; %bb.2787:
	s_cmp_gt_i32 s23, 22
	s_mov_b64 s[10:11], -1
	s_cbranch_scc0 .LBB347_2819
; %bb.2788:
	s_cmp_lt_i32 s23, 24
	s_cbranch_scc1 .LBB347_2808
; %bb.2789:
	s_cmp_gt_i32 s23, 24
	s_cbranch_scc0 .LBB347_2797
; %bb.2790:
	v_cndmask_b32_e64 v4, 0, 1.0, s[4:5]
	s_mov_b32 s10, 0x47800000
	v_cmp_gt_u32_e32 vcc, s10, v4
	v_mov_b32_e32 v5, 0x80
	s_and_saveexec_b64 s[10:11], vcc
	s_cbranch_execz .LBB347_2796
; %bb.2791:
	s_mov_b32 s12, 0x37ffffff
	v_cmp_lt_u32_e32 vcc, s12, v4
	s_mov_b64 s[12:13], 0
                                        ; implicit-def: $vgpr3
	s_and_saveexec_b64 s[14:15], vcc
	s_xor_b64 s[14:15], exec, s[14:15]
	s_cbranch_execz .LBB347_3007
; %bb.2792:
	v_bfe_u32 v3, v4, 21, 1
	s_mov_b32 s20, 0x88fffff
	v_add3_u32 v3, v4, v3, s20
	s_mov_b64 s[12:13], exec
	v_lshrrev_b32_e32 v3, 21, v3
                                        ; implicit-def: $vgpr4
	s_andn2_saveexec_b64 s[14:15], s[14:15]
	s_cbranch_execnz .LBB347_3008
.LBB347_2793:
	s_or_b64 exec, exec, s[14:15]
	v_mov_b32_e32 v5, 0
	s_and_saveexec_b64 s[14:15], s[12:13]
.LBB347_2794:
	v_mov_b32_e32 v5, v3
.LBB347_2795:
	s_or_b64 exec, exec, s[14:15]
.LBB347_2796:
	s_or_b64 exec, exec, s[10:11]
	s_mov_b64 s[10:11], 0
	global_store_byte v[0:1], v5, off
.LBB347_2797:
	s_and_b64 vcc, exec, s[10:11]
	s_cbranch_vccz .LBB347_2807
; %bb.2798:
	v_cndmask_b32_e64 v3, 0, 1.0, s[4:5]
	s_mov_b32 s10, 0x43f00000
	v_cmp_gt_u32_e32 vcc, s10, v3
                                        ; implicit-def: $vgpr4
	s_and_saveexec_b64 s[10:11], vcc
	s_xor_b64 s[10:11], exec, s[10:11]
	s_cbranch_execz .LBB347_2804
; %bb.2799:
	s_mov_b32 s12, 0x3c7fffff
	v_cmp_lt_u32_e32 vcc, s12, v3
                                        ; implicit-def: $vgpr4
	s_and_saveexec_b64 s[12:13], vcc
	s_xor_b64 s[12:13], exec, s[12:13]
; %bb.2800:
	v_bfe_u32 v4, v3, 20, 1
	s_mov_b32 s14, 0x407ffff
	v_add3_u32 v3, v3, v4, s14
	v_lshrrev_b32_e32 v4, 20, v3
	v_and_b32_e32 v3, 0xff00000, v3
	s_mov_b32 s14, 0x7f00000
	v_mov_b32_e32 v5, 0x7e
	v_cmp_ne_u32_e32 vcc, s14, v3
	v_cndmask_b32_e32 v4, v5, v4, vcc
                                        ; implicit-def: $vgpr3
; %bb.2801:
	s_andn2_saveexec_b64 s[12:13], s[12:13]
; %bb.2802:
	v_add_f32_e32 v4, 0x46800000, v3
; %bb.2803:
	s_or_b64 exec, exec, s[12:13]
                                        ; implicit-def: $vgpr3
.LBB347_2804:
	s_andn2_saveexec_b64 s[10:11], s[10:11]
; %bb.2805:
	s_mov_b32 s12, 0x7f800000
	v_mov_b32_e32 v4, 0x7e
	v_mov_b32_e32 v5, 0x7f
	v_cmp_lt_u32_e32 vcc, s12, v3
	v_cndmask_b32_e32 v4, v4, v5, vcc
; %bb.2806:
	s_or_b64 exec, exec, s[10:11]
	global_store_byte v[0:1], v4, off
.LBB347_2807:
	s_mov_b64 s[10:11], 0
.LBB347_2808:
	s_andn2_b64 vcc, exec, s[10:11]
	s_cbranch_vccnz .LBB347_2818
; %bb.2809:
	v_cndmask_b32_e64 v3, 0, 1.0, s[4:5]
	s_mov_b32 s10, 0x47800000
	v_cmp_gt_u32_e32 vcc, s10, v3
                                        ; implicit-def: $vgpr4
	s_and_saveexec_b64 s[10:11], vcc
	s_xor_b64 s[10:11], exec, s[10:11]
	s_cbranch_execz .LBB347_2815
; %bb.2810:
	s_mov_b32 s12, 0x387fffff
	v_cmp_lt_u32_e32 vcc, s12, v3
                                        ; implicit-def: $vgpr4
	s_and_saveexec_b64 s[12:13], vcc
	s_xor_b64 s[12:13], exec, s[12:13]
; %bb.2811:
	v_bfe_u32 v4, v3, 21, 1
	s_mov_b32 s14, 0x80fffff
	v_add3_u32 v3, v3, v4, s14
	v_lshrrev_b32_e32 v4, 21, v3
                                        ; implicit-def: $vgpr3
; %bb.2812:
	s_andn2_saveexec_b64 s[12:13], s[12:13]
; %bb.2813:
	v_add_f32_e32 v4, 0x43000000, v3
; %bb.2814:
	s_or_b64 exec, exec, s[12:13]
                                        ; implicit-def: $vgpr3
.LBB347_2815:
	s_andn2_saveexec_b64 s[10:11], s[10:11]
; %bb.2816:
	s_mov_b32 s12, 0x7f800000
	v_mov_b32_e32 v4, 0x7c
	v_mov_b32_e32 v5, 0x7f
	v_cmp_lt_u32_e32 vcc, s12, v3
	v_cndmask_b32_e32 v4, v4, v5, vcc
; %bb.2817:
	s_or_b64 exec, exec, s[10:11]
	global_store_byte v[0:1], v4, off
.LBB347_2818:
	s_mov_b64 s[10:11], 0
	s_mov_b64 s[12:13], -1
.LBB347_2819:
	s_andn2_b64 vcc, exec, s[10:11]
	s_mov_b64 s[10:11], 0
	s_cbranch_vccnz .LBB347_2826
; %bb.2820:
	s_cmp_gt_i32 s23, 14
	s_mov_b64 s[14:15], -1
	s_cbranch_scc0 .LBB347_2824
; %bb.2821:
	s_cmp_eq_u32 s23, 15
	s_mov_b64 s[0:1], -1
	s_cbranch_scc0 .LBB347_2823
; %bb.2822:
	v_cndmask_b32_e64 v3, 0, 1.0, s[4:5]
	v_bfe_u32 v4, v3, 16, 1
	s_movk_i32 s0, 0x7fff
	v_add3_u32 v3, v3, v4, s0
	global_store_short_d16_hi v[0:1], v3, off
	s_mov_b64 s[0:1], 0
	s_mov_b64 s[12:13], -1
.LBB347_2823:
	s_mov_b64 s[14:15], 0
.LBB347_2824:
	s_and_b64 vcc, exec, s[14:15]
	s_cbranch_vccz .LBB347_2826
; %bb.2825:
	s_cmp_lg_u32 s23, 11
	s_mov_b64 s[10:11], -1
	s_cselect_b64 s[0:1], -1, 0
.LBB347_2826:
	s_and_b64 vcc, exec, s[0:1]
	s_cbranch_vccnz .LBB347_3006
; %bb.2827:
	s_andn2_b64 vcc, exec, s[10:11]
	s_cbranch_vccnz .LBB347_2829
.LBB347_2828:
	v_cndmask_b32_e64 v3, 0, 1, s[4:5]
	s_mov_b64 s[12:13], -1
	global_store_byte v[0:1], v3, off
.LBB347_2829:
	s_mov_b64 s[0:1], 0
	s_branch .LBB347_2831
.LBB347_2830:
	s_mov_b64 s[0:1], -1
	s_mov_b64 s[12:13], 0
.LBB347_2831:
	s_and_b64 vcc, exec, s[0:1]
	s_cbranch_vccz .LBB347_2870
; %bb.2832:
	s_and_b32 s10, 0xffff, s24
	s_cmp_lt_i32 s10, 5
	s_mov_b64 s[0:1], -1
	s_cbranch_scc1 .LBB347_2853
; %bb.2833:
	s_cmp_lt_i32 s10, 8
	s_cbranch_scc1 .LBB347_2843
; %bb.2834:
	s_cmp_lt_i32 s10, 9
	s_cbranch_scc1 .LBB347_2840
; %bb.2835:
	s_cmp_gt_i32 s10, 9
	s_cbranch_scc0 .LBB347_2837
; %bb.2836:
	v_cndmask_b32_e64 v3, 0, 1, s[4:5]
	v_cvt_f64_u32_e32 v[3:4], v3
	v_mov_b32_e32 v5, 0
	v_mov_b32_e32 v6, v5
	s_mov_b64 s[0:1], 0
	global_store_dwordx4 v[0:1], v[3:6], off
.LBB347_2837:
	s_andn2_b64 vcc, exec, s[0:1]
	s_cbranch_vccnz .LBB347_2839
; %bb.2838:
	v_cndmask_b32_e64 v3, 0, 1.0, s[4:5]
	v_mov_b32_e32 v4, 0
	global_store_dwordx2 v[0:1], v[3:4], off
.LBB347_2839:
	s_mov_b64 s[0:1], 0
.LBB347_2840:
	s_andn2_b64 vcc, exec, s[0:1]
	s_cbranch_vccnz .LBB347_2842
; %bb.2841:
	v_cndmask_b32_e64 v3, 0, 1.0, s[4:5]
	v_cvt_f16_f32_e32 v3, v3
	global_store_dword v[0:1], v3, off
.LBB347_2842:
	s_mov_b64 s[0:1], 0
.LBB347_2843:
	s_andn2_b64 vcc, exec, s[0:1]
	s_cbranch_vccnz .LBB347_2852
; %bb.2844:
	s_cmp_lt_i32 s10, 6
	s_mov_b64 s[0:1], -1
	s_cbranch_scc1 .LBB347_2850
; %bb.2845:
	s_cmp_gt_i32 s10, 6
	s_cbranch_scc0 .LBB347_2847
; %bb.2846:
	v_cndmask_b32_e64 v3, 0, 1, s[4:5]
	v_cvt_f64_u32_e32 v[3:4], v3
	s_mov_b64 s[0:1], 0
	global_store_dwordx2 v[0:1], v[3:4], off
.LBB347_2847:
	s_andn2_b64 vcc, exec, s[0:1]
	s_cbranch_vccnz .LBB347_2849
; %bb.2848:
	v_cndmask_b32_e64 v3, 0, 1.0, s[4:5]
	global_store_dword v[0:1], v3, off
.LBB347_2849:
	s_mov_b64 s[0:1], 0
.LBB347_2850:
	s_andn2_b64 vcc, exec, s[0:1]
	s_cbranch_vccnz .LBB347_2852
; %bb.2851:
	v_cndmask_b32_e64 v3, 0, 1.0, s[4:5]
	v_cvt_f16_f32_e32 v3, v3
	global_store_short v[0:1], v3, off
.LBB347_2852:
	s_mov_b64 s[0:1], 0
.LBB347_2853:
	s_andn2_b64 vcc, exec, s[0:1]
	s_cbranch_vccnz .LBB347_2869
; %bb.2854:
	s_cmp_lt_i32 s10, 2
	s_mov_b64 s[0:1], -1
	s_cbranch_scc1 .LBB347_2864
; %bb.2855:
	s_cmp_lt_i32 s10, 3
	s_cbranch_scc1 .LBB347_2861
; %bb.2856:
	s_cmp_gt_i32 s10, 3
	s_cbranch_scc0 .LBB347_2858
; %bb.2857:
	s_mov_b32 s0, 0
	v_cndmask_b32_e64 v3, 0, 1, s[4:5]
	v_mov_b32_e32 v4, s0
	global_store_dwordx2 v[0:1], v[3:4], off
	s_mov_b64 s[0:1], 0
.LBB347_2858:
	s_andn2_b64 vcc, exec, s[0:1]
	s_cbranch_vccnz .LBB347_2860
; %bb.2859:
	v_cndmask_b32_e64 v3, 0, 1, s[4:5]
	global_store_dword v[0:1], v3, off
.LBB347_2860:
	s_mov_b64 s[0:1], 0
.LBB347_2861:
	s_andn2_b64 vcc, exec, s[0:1]
	s_cbranch_vccnz .LBB347_2863
; %bb.2862:
	v_cndmask_b32_e64 v3, 0, 1, s[4:5]
	global_store_short v[0:1], v3, off
.LBB347_2863:
	s_mov_b64 s[0:1], 0
.LBB347_2864:
	s_andn2_b64 vcc, exec, s[0:1]
	s_cbranch_vccnz .LBB347_2869
; %bb.2865:
	s_mov_b64 s[0:1], -1
	s_cmp_gt_i32 s10, 0
	v_cndmask_b32_e64 v3, 0, 1, s[4:5]
	s_cbranch_scc0 .LBB347_2867
; %bb.2866:
	global_store_byte v[0:1], v3, off
	s_mov_b64 s[0:1], 0
.LBB347_2867:
	s_andn2_b64 vcc, exec, s[0:1]
	s_cbranch_vccnz .LBB347_2869
; %bb.2868:
	global_store_byte v[0:1], v3, off
.LBB347_2869:
	s_mov_b64 s[12:13], -1
.LBB347_2870:
	s_andn2_b64 vcc, exec, s[12:13]
	s_cbranch_vccnz .LBB347_2947
; %bb.2871:
	v_cmp_ne_u32_e32 vcc, v8, v10
	v_add_u32_e32 v0, s22, v2
	s_xor_b64 s[20:21], s[2:3], vcc
	v_ashrrev_i32_e32 v1, 31, v0
	v_mov_b32_e32 v2, s9
	v_add_co_u32_e32 v0, vcc, s8, v0
	s_cmp_lt_i32 s24, 11
	v_addc_co_u32_e32 v1, vcc, v2, v1, vcc
	s_cbranch_scc1 .LBB347_2992
; %bb.2872:
	s_and_b32 s12, 0xffff, s24
	s_mov_b64 s[4:5], -1
	s_mov_b64 s[2:3], 0
	s_cmp_gt_i32 s12, 25
	s_mov_b64 s[0:1], 0
	s_cbranch_scc0 .LBB347_2905
; %bb.2873:
	s_cmp_gt_i32 s12, 28
	s_cbranch_scc0 .LBB347_2889
; %bb.2874:
	s_cmp_gt_i32 s12, 43
	;; [unrolled: 3-line block ×3, first 2 shown]
	s_cbranch_scc0 .LBB347_2879
; %bb.2876:
	s_cmp_eq_u32 s12, 46
	s_mov_b64 s[0:1], -1
	s_cbranch_scc0 .LBB347_2878
; %bb.2877:
	v_cndmask_b32_e64 v2, 0, 1.0, s[20:21]
	v_bfe_u32 v3, v2, 16, 1
	s_movk_i32 s0, 0x7fff
	v_add3_u32 v2, v2, v3, s0
	v_lshrrev_b32_e32 v2, 16, v2
	global_store_dword v[0:1], v2, off
	s_mov_b64 s[0:1], 0
.LBB347_2878:
	s_mov_b64 s[4:5], 0
.LBB347_2879:
	s_and_b64 vcc, exec, s[4:5]
	s_cbranch_vccz .LBB347_2884
; %bb.2880:
	s_cmp_eq_u32 s12, 44
	s_mov_b64 s[0:1], -1
	s_cbranch_scc0 .LBB347_2884
; %bb.2881:
	v_cndmask_b32_e64 v3, 0, 1.0, s[20:21]
	v_lshrrev_b32_e32 v2, 23, v3
	s_movk_i32 s0, 0xff
	v_cmp_ne_u32_e32 vcc, s0, v2
	v_mov_b32_e32 v4, 0xff
	s_and_saveexec_b64 s[4:5], vcc
; %bb.2882:
	s_mov_b32 s0, 0x3fffff
	v_and_b32_e32 v4, 0x400000, v3
	v_and_or_b32 v3, v3, s0, v2
	v_cmp_ne_u32_e32 vcc, 0, v4
	v_cmp_ne_u32_e64 s[0:1], 0, v3
	s_and_b64 s[0:1], vcc, s[0:1]
	v_cndmask_b32_e64 v3, 0, 1, s[0:1]
	v_add_u32_e32 v4, v2, v3
; %bb.2883:
	s_or_b64 exec, exec, s[4:5]
	s_mov_b64 s[0:1], 0
	global_store_byte v[0:1], v4, off
.LBB347_2884:
	s_mov_b64 s[4:5], 0
.LBB347_2885:
	s_and_b64 vcc, exec, s[4:5]
	s_cbranch_vccz .LBB347_2888
; %bb.2886:
	s_cmp_eq_u32 s12, 29
	s_mov_b64 s[0:1], -1
	s_cbranch_scc0 .LBB347_2888
; %bb.2887:
	s_mov_b32 s0, 0
	v_cndmask_b32_e64 v2, 0, 1, s[20:21]
	v_mov_b32_e32 v3, s0
	global_store_dwordx2 v[0:1], v[2:3], off
	s_mov_b64 s[0:1], 0
.LBB347_2888:
	s_mov_b64 s[4:5], 0
.LBB347_2889:
	s_and_b64 vcc, exec, s[4:5]
	s_cbranch_vccz .LBB347_2904
; %bb.2890:
	s_cmp_lt_i32 s12, 27
	s_mov_b64 s[4:5], -1
	s_cbranch_scc1 .LBB347_2896
; %bb.2891:
	s_cmp_gt_i32 s12, 27
	v_cndmask_b32_e64 v2, 0, 1, s[20:21]
	s_cbranch_scc0 .LBB347_2893
; %bb.2892:
	global_store_dword v[0:1], v2, off
	s_mov_b64 s[4:5], 0
.LBB347_2893:
	s_andn2_b64 vcc, exec, s[4:5]
	s_cbranch_vccnz .LBB347_2895
; %bb.2894:
	global_store_short v[0:1], v2, off
.LBB347_2895:
	s_mov_b64 s[4:5], 0
.LBB347_2896:
	s_andn2_b64 vcc, exec, s[4:5]
	s_cbranch_vccnz .LBB347_2904
; %bb.2897:
	v_cndmask_b32_e64 v3, 0, 1.0, s[20:21]
	s_mov_b32 s4, 0x43800000
	v_cmp_gt_u32_e32 vcc, s4, v3
	v_mov_b32_e32 v4, 0x80
	s_and_saveexec_b64 s[4:5], vcc
	s_cbranch_execz .LBB347_2903
; %bb.2898:
	s_mov_b32 s8, 0x3bffffff
	v_cmp_lt_u32_e32 vcc, s8, v3
	s_mov_b64 s[8:9], 0
                                        ; implicit-def: $vgpr2
	s_and_saveexec_b64 s[10:11], vcc
	s_xor_b64 s[10:11], exec, s[10:11]
	s_cbranch_execz .LBB347_3009
; %bb.2899:
	v_bfe_u32 v2, v3, 20, 1
	s_mov_b32 s13, 0x487ffff
	v_add3_u32 v2, v3, v2, s13
	s_mov_b64 s[8:9], exec
	v_lshrrev_b32_e32 v2, 20, v2
                                        ; implicit-def: $vgpr3
	s_andn2_saveexec_b64 s[10:11], s[10:11]
	s_cbranch_execnz .LBB347_3010
.LBB347_2900:
	s_or_b64 exec, exec, s[10:11]
	v_mov_b32_e32 v4, 0
	s_and_saveexec_b64 s[10:11], s[8:9]
.LBB347_2901:
	v_mov_b32_e32 v4, v2
.LBB347_2902:
	s_or_b64 exec, exec, s[10:11]
.LBB347_2903:
	s_or_b64 exec, exec, s[4:5]
	global_store_byte v[0:1], v4, off
.LBB347_2904:
	s_mov_b64 s[4:5], 0
.LBB347_2905:
	s_and_b64 vcc, exec, s[4:5]
	s_cbranch_vccz .LBB347_2945
; %bb.2906:
	s_cmp_gt_i32 s12, 22
	s_mov_b64 s[2:3], -1
	s_cbranch_scc0 .LBB347_2938
; %bb.2907:
	s_cmp_lt_i32 s12, 24
	s_cbranch_scc1 .LBB347_2927
; %bb.2908:
	s_cmp_gt_i32 s12, 24
	s_cbranch_scc0 .LBB347_2916
; %bb.2909:
	v_cndmask_b32_e64 v3, 0, 1.0, s[20:21]
	s_mov_b32 s2, 0x47800000
	v_cmp_gt_u32_e32 vcc, s2, v3
	v_mov_b32_e32 v4, 0x80
	s_and_saveexec_b64 s[2:3], vcc
	s_cbranch_execz .LBB347_2915
; %bb.2910:
	s_mov_b32 s4, 0x37ffffff
	v_cmp_lt_u32_e32 vcc, s4, v3
	s_mov_b64 s[4:5], 0
                                        ; implicit-def: $vgpr2
	s_and_saveexec_b64 s[8:9], vcc
	s_xor_b64 s[8:9], exec, s[8:9]
	s_cbranch_execz .LBB347_3012
; %bb.2911:
	v_bfe_u32 v2, v3, 21, 1
	s_mov_b32 s10, 0x88fffff
	v_add3_u32 v2, v3, v2, s10
	s_mov_b64 s[4:5], exec
	v_lshrrev_b32_e32 v2, 21, v2
                                        ; implicit-def: $vgpr3
	s_andn2_saveexec_b64 s[8:9], s[8:9]
	s_cbranch_execnz .LBB347_3013
.LBB347_2912:
	s_or_b64 exec, exec, s[8:9]
	v_mov_b32_e32 v4, 0
	s_and_saveexec_b64 s[8:9], s[4:5]
.LBB347_2913:
	v_mov_b32_e32 v4, v2
.LBB347_2914:
	s_or_b64 exec, exec, s[8:9]
.LBB347_2915:
	s_or_b64 exec, exec, s[2:3]
	s_mov_b64 s[2:3], 0
	global_store_byte v[0:1], v4, off
.LBB347_2916:
	s_and_b64 vcc, exec, s[2:3]
	s_cbranch_vccz .LBB347_2926
; %bb.2917:
	v_cndmask_b32_e64 v2, 0, 1.0, s[20:21]
	s_mov_b32 s2, 0x43f00000
	v_cmp_gt_u32_e32 vcc, s2, v2
                                        ; implicit-def: $vgpr3
	s_and_saveexec_b64 s[2:3], vcc
	s_xor_b64 s[2:3], exec, s[2:3]
	s_cbranch_execz .LBB347_2923
; %bb.2918:
	s_mov_b32 s4, 0x3c7fffff
	v_cmp_lt_u32_e32 vcc, s4, v2
                                        ; implicit-def: $vgpr3
	s_and_saveexec_b64 s[4:5], vcc
	s_xor_b64 s[4:5], exec, s[4:5]
; %bb.2919:
	v_bfe_u32 v3, v2, 20, 1
	s_mov_b32 s8, 0x407ffff
	v_add3_u32 v2, v2, v3, s8
	v_lshrrev_b32_e32 v3, 20, v2
	v_and_b32_e32 v2, 0xff00000, v2
	s_mov_b32 s8, 0x7f00000
	v_mov_b32_e32 v4, 0x7e
	v_cmp_ne_u32_e32 vcc, s8, v2
	v_cndmask_b32_e32 v3, v4, v3, vcc
                                        ; implicit-def: $vgpr2
; %bb.2920:
	s_andn2_saveexec_b64 s[4:5], s[4:5]
; %bb.2921:
	v_add_f32_e32 v3, 0x46800000, v2
; %bb.2922:
	s_or_b64 exec, exec, s[4:5]
                                        ; implicit-def: $vgpr2
.LBB347_2923:
	s_andn2_saveexec_b64 s[2:3], s[2:3]
; %bb.2924:
	s_mov_b32 s4, 0x7f800000
	v_mov_b32_e32 v3, 0x7e
	v_mov_b32_e32 v4, 0x7f
	v_cmp_lt_u32_e32 vcc, s4, v2
	v_cndmask_b32_e32 v3, v3, v4, vcc
; %bb.2925:
	s_or_b64 exec, exec, s[2:3]
	global_store_byte v[0:1], v3, off
.LBB347_2926:
	s_mov_b64 s[2:3], 0
.LBB347_2927:
	s_andn2_b64 vcc, exec, s[2:3]
	s_cbranch_vccnz .LBB347_2937
; %bb.2928:
	v_cndmask_b32_e64 v2, 0, 1.0, s[20:21]
	s_mov_b32 s2, 0x47800000
	v_cmp_gt_u32_e32 vcc, s2, v2
                                        ; implicit-def: $vgpr3
	s_and_saveexec_b64 s[2:3], vcc
	s_xor_b64 s[2:3], exec, s[2:3]
	s_cbranch_execz .LBB347_2934
; %bb.2929:
	s_mov_b32 s4, 0x387fffff
	v_cmp_lt_u32_e32 vcc, s4, v2
                                        ; implicit-def: $vgpr3
	s_and_saveexec_b64 s[4:5], vcc
	s_xor_b64 s[4:5], exec, s[4:5]
; %bb.2930:
	v_bfe_u32 v3, v2, 21, 1
	s_mov_b32 s8, 0x80fffff
	v_add3_u32 v2, v2, v3, s8
	v_lshrrev_b32_e32 v3, 21, v2
                                        ; implicit-def: $vgpr2
; %bb.2931:
	s_andn2_saveexec_b64 s[4:5], s[4:5]
; %bb.2932:
	v_add_f32_e32 v3, 0x43000000, v2
; %bb.2933:
	s_or_b64 exec, exec, s[4:5]
                                        ; implicit-def: $vgpr2
.LBB347_2934:
	s_andn2_saveexec_b64 s[2:3], s[2:3]
; %bb.2935:
	s_mov_b32 s4, 0x7f800000
	v_mov_b32_e32 v3, 0x7c
	v_mov_b32_e32 v4, 0x7f
	v_cmp_lt_u32_e32 vcc, s4, v2
	v_cndmask_b32_e32 v3, v3, v4, vcc
; %bb.2936:
	s_or_b64 exec, exec, s[2:3]
	global_store_byte v[0:1], v3, off
.LBB347_2937:
	s_mov_b64 s[2:3], 0
.LBB347_2938:
	s_andn2_b64 vcc, exec, s[2:3]
	s_mov_b64 s[2:3], 0
	s_cbranch_vccnz .LBB347_2945
; %bb.2939:
	s_cmp_gt_i32 s12, 14
	s_mov_b64 s[4:5], -1
	s_cbranch_scc0 .LBB347_2943
; %bb.2940:
	s_cmp_eq_u32 s12, 15
	s_mov_b64 s[0:1], -1
	s_cbranch_scc0 .LBB347_2942
; %bb.2941:
	v_cndmask_b32_e64 v2, 0, 1.0, s[20:21]
	v_bfe_u32 v3, v2, 16, 1
	s_movk_i32 s0, 0x7fff
	v_add3_u32 v2, v2, v3, s0
	global_store_short_d16_hi v[0:1], v2, off
	s_mov_b64 s[0:1], 0
.LBB347_2942:
	s_mov_b64 s[4:5], 0
.LBB347_2943:
	s_and_b64 vcc, exec, s[4:5]
	s_cbranch_vccz .LBB347_2945
; %bb.2944:
	s_cmp_lg_u32 s12, 11
	s_mov_b64 s[2:3], -1
	s_cselect_b64 s[0:1], -1, 0
.LBB347_2945:
	s_and_b64 vcc, exec, s[0:1]
	s_cbranch_vccnz .LBB347_3011
.LBB347_2946:
	s_mov_b64 s[0:1], 0
	s_branch .LBB347_2948
.LBB347_2947:
	s_mov_b64 s[0:1], 0
	s_mov_b64 s[2:3], 0
                                        ; implicit-def: $sgpr20_sgpr21
                                        ; implicit-def: $sgpr24
                                        ; implicit-def: $vgpr0_vgpr1
.LBB347_2948:
	s_and_b64 s[4:5], s[2:3], exec
	s_andn2_b64 s[2:3], s[16:17], exec
	s_and_b64 s[8:9], s[18:19], exec
	s_and_b64 s[0:1], s[0:1], exec
	s_or_b64 s[16:17], s[2:3], s[8:9]
.LBB347_2949:
	s_or_b64 exec, exec, s[6:7]
	s_and_saveexec_b64 s[2:3], s[16:17]
	s_cbranch_execz .LBB347_2952
; %bb.2950:
	; divergent unreachable
	s_or_b64 exec, exec, s[2:3]
	s_and_saveexec_b64 s[2:3], s[4:5]
	s_xor_b64 s[2:3], exec, s[2:3]
	s_cbranch_execnz .LBB347_2953
.LBB347_2951:
	s_or_b64 exec, exec, s[2:3]
	s_and_saveexec_b64 s[2:3], s[0:1]
	s_cbranch_execnz .LBB347_2954
	s_branch .LBB347_2991
.LBB347_2952:
	s_or_b64 exec, exec, s[2:3]
	s_and_saveexec_b64 s[2:3], s[4:5]
	s_xor_b64 s[2:3], exec, s[2:3]
	s_cbranch_execz .LBB347_2951
.LBB347_2953:
	v_cndmask_b32_e64 v2, 0, 1, s[20:21]
	global_store_byte v[0:1], v2, off
	s_or_b64 exec, exec, s[2:3]
	s_and_saveexec_b64 s[2:3], s[0:1]
	s_cbranch_execz .LBB347_2991
.LBB347_2954:
	s_sext_i32_i16 s2, s24
	s_cmp_lt_i32 s2, 5
	s_mov_b64 s[0:1], -1
	s_cbranch_scc1 .LBB347_2975
; %bb.2955:
	s_cmp_lt_i32 s2, 8
	s_cbranch_scc1 .LBB347_2965
; %bb.2956:
	s_cmp_lt_i32 s2, 9
	s_cbranch_scc1 .LBB347_2962
; %bb.2957:
	s_cmp_gt_i32 s2, 9
	s_cbranch_scc0 .LBB347_2959
; %bb.2958:
	v_cndmask_b32_e64 v2, 0, 1, s[20:21]
	s_waitcnt vmcnt(0)
	v_cvt_f64_u32_e32 v[2:3], v2
	v_mov_b32_e32 v4, 0
	v_mov_b32_e32 v5, v4
	s_mov_b64 s[0:1], 0
	global_store_dwordx4 v[0:1], v[2:5], off
.LBB347_2959:
	s_andn2_b64 vcc, exec, s[0:1]
	s_cbranch_vccnz .LBB347_2961
; %bb.2960:
	v_cndmask_b32_e64 v2, 0, 1.0, s[20:21]
	s_waitcnt vmcnt(0)
	v_mov_b32_e32 v3, 0
	global_store_dwordx2 v[0:1], v[2:3], off
.LBB347_2961:
	s_mov_b64 s[0:1], 0
.LBB347_2962:
	s_andn2_b64 vcc, exec, s[0:1]
	s_cbranch_vccnz .LBB347_2964
; %bb.2963:
	v_cndmask_b32_e64 v2, 0, 1.0, s[20:21]
	v_cvt_f16_f32_e32 v2, v2
	global_store_dword v[0:1], v2, off
.LBB347_2964:
	s_mov_b64 s[0:1], 0
.LBB347_2965:
	s_andn2_b64 vcc, exec, s[0:1]
	s_cbranch_vccnz .LBB347_2974
; %bb.2966:
	s_sext_i32_i16 s2, s24
	s_cmp_lt_i32 s2, 6
	s_mov_b64 s[0:1], -1
	s_cbranch_scc1 .LBB347_2972
; %bb.2967:
	s_cmp_gt_i32 s2, 6
	s_cbranch_scc0 .LBB347_2969
; %bb.2968:
	v_cndmask_b32_e64 v2, 0, 1, s[20:21]
	s_waitcnt vmcnt(0)
	v_cvt_f64_u32_e32 v[2:3], v2
	s_mov_b64 s[0:1], 0
	global_store_dwordx2 v[0:1], v[2:3], off
.LBB347_2969:
	s_andn2_b64 vcc, exec, s[0:1]
	s_cbranch_vccnz .LBB347_2971
; %bb.2970:
	v_cndmask_b32_e64 v2, 0, 1.0, s[20:21]
	global_store_dword v[0:1], v2, off
.LBB347_2971:
	s_mov_b64 s[0:1], 0
.LBB347_2972:
	s_andn2_b64 vcc, exec, s[0:1]
	s_cbranch_vccnz .LBB347_2974
; %bb.2973:
	v_cndmask_b32_e64 v2, 0, 1.0, s[20:21]
	v_cvt_f16_f32_e32 v2, v2
	global_store_short v[0:1], v2, off
.LBB347_2974:
	s_mov_b64 s[0:1], 0
.LBB347_2975:
	s_andn2_b64 vcc, exec, s[0:1]
	s_cbranch_vccnz .LBB347_2991
; %bb.2976:
	s_sext_i32_i16 s2, s24
	s_cmp_lt_i32 s2, 2
	s_mov_b64 s[0:1], -1
	s_cbranch_scc1 .LBB347_2986
; %bb.2977:
	s_cmp_lt_i32 s2, 3
	s_cbranch_scc1 .LBB347_2983
; %bb.2978:
	s_cmp_gt_i32 s2, 3
	s_cbranch_scc0 .LBB347_2980
; %bb.2979:
	s_mov_b32 s0, 0
	v_cndmask_b32_e64 v2, 0, 1, s[20:21]
	s_waitcnt vmcnt(0)
	v_mov_b32_e32 v3, s0
	global_store_dwordx2 v[0:1], v[2:3], off
	s_mov_b64 s[0:1], 0
.LBB347_2980:
	s_andn2_b64 vcc, exec, s[0:1]
	s_cbranch_vccnz .LBB347_2982
; %bb.2981:
	v_cndmask_b32_e64 v2, 0, 1, s[20:21]
	global_store_dword v[0:1], v2, off
.LBB347_2982:
	s_mov_b64 s[0:1], 0
.LBB347_2983:
	s_andn2_b64 vcc, exec, s[0:1]
	s_cbranch_vccnz .LBB347_2985
; %bb.2984:
	v_cndmask_b32_e64 v2, 0, 1, s[20:21]
	global_store_short v[0:1], v2, off
.LBB347_2985:
	s_mov_b64 s[0:1], 0
.LBB347_2986:
	s_andn2_b64 vcc, exec, s[0:1]
	s_cbranch_vccnz .LBB347_2991
; %bb.2987:
	s_sext_i32_i16 s2, s24
	s_mov_b64 s[0:1], -1
	s_cmp_gt_i32 s2, 0
	v_cndmask_b32_e64 v2, 0, 1, s[20:21]
	s_cbranch_scc0 .LBB347_2989
; %bb.2988:
	global_store_byte v[0:1], v2, off
	s_mov_b64 s[0:1], 0
.LBB347_2989:
	s_andn2_b64 vcc, exec, s[0:1]
	s_cbranch_vccnz .LBB347_2991
; %bb.2990:
	global_store_byte v[0:1], v2, off
	s_endpgm
.LBB347_2991:
	s_endpgm
.LBB347_2992:
	s_mov_b64 s[2:3], 0
	s_mov_b64 s[0:1], -1
	s_branch .LBB347_2948
.LBB347_2993:
	s_trap 2
	s_or_b64 s[18:19], s[18:19], exec
	s_cbranch_execz .LBB347_2462
	s_branch .LBB347_2463
.LBB347_2994:
	s_andn2_saveexec_b64 s[22:23], s[22:23]
	s_cbranch_execz .LBB347_2542
.LBB347_2995:
	v_add_f32_e32 v3, 0x46000000, v5
	v_and_b32_e32 v3, 0xff, v3
	v_cmp_ne_u32_e32 vcc, 0, v3
	s_andn2_b64 s[20:21], s[20:21], exec
	s_and_b64 s[26:27], vcc, exec
	s_or_b64 s[20:21], s[20:21], s[26:27]
	s_or_b64 exec, exec, s[22:23]
	v_mov_b32_e32 v11, 0
	s_and_saveexec_b64 s[22:23], s[20:21]
	s_cbranch_execnz .LBB347_2543
	s_branch .LBB347_2544
.LBB347_2996:
	s_trap 2
	s_or_b64 s[18:19], s[18:19], exec
	s_cbranch_execz .LBB347_2590
	s_branch .LBB347_2591
.LBB347_2997:
	s_andn2_saveexec_b64 s[20:21], s[20:21]
	s_cbranch_execz .LBB347_2555
.LBB347_2998:
	v_add_f32_e32 v3, 0x42800000, v5
	v_and_b32_e32 v3, 0xff, v3
	v_cmp_ne_u32_e32 vcc, 0, v3
	s_andn2_b64 s[14:15], s[14:15], exec
	s_and_b64 s[22:23], vcc, exec
	s_or_b64 s[14:15], s[14:15], s[22:23]
	s_or_b64 exec, exec, s[20:21]
	v_mov_b32_e32 v11, 0
	s_and_saveexec_b64 s[20:21], s[14:15]
	s_cbranch_execnz .LBB347_2556
	s_branch .LBB347_2557
.LBB347_2999:
	s_andn2_saveexec_b64 s[20:21], s[20:21]
	s_cbranch_execz .LBB347_2661
.LBB347_3000:
	v_add_f32_e32 v3, 0x46000000, v4
	v_and_b32_e32 v3, 0xff, v3
	v_cmp_ne_u32_e32 vcc, 0, v3
	s_andn2_b64 s[14:15], s[14:15], exec
	s_and_b64 s[26:27], vcc, exec
	s_or_b64 s[14:15], s[14:15], s[26:27]
	s_or_b64 exec, exec, s[20:21]
	v_mov_b32_e32 v5, 0
	s_and_saveexec_b64 s[20:21], s[14:15]
	s_cbranch_execnz .LBB347_2662
	s_branch .LBB347_2663
.LBB347_3001:
	s_trap 2
	s_or_b64 s[18:19], s[18:19], exec
	s_cbranch_execz .LBB347_2709
	s_branch .LBB347_2710
.LBB347_3002:
	s_andn2_saveexec_b64 s[14:15], s[14:15]
	s_cbranch_execz .LBB347_2674
.LBB347_3003:
	v_add_f32_e32 v3, 0x42800000, v4
	v_and_b32_e32 v3, 0xff, v3
	v_cmp_ne_u32_e32 vcc, 0, v3
	s_andn2_b64 s[12:13], s[12:13], exec
	s_and_b64 s[20:21], vcc, exec
	s_or_b64 s[12:13], s[12:13], s[20:21]
	s_or_b64 exec, exec, s[14:15]
	v_mov_b32_e32 v5, 0
	s_and_saveexec_b64 s[14:15], s[12:13]
	s_cbranch_execnz .LBB347_2675
	s_branch .LBB347_2676
.LBB347_3004:
	s_andn2_saveexec_b64 s[20:21], s[20:21]
	s_cbranch_execz .LBB347_2780
.LBB347_3005:
	v_add_f32_e32 v3, 0x46000000, v4
	v_and_b32_e32 v3, 0xff, v3
	v_cmp_ne_u32_e32 vcc, 0, v3
	s_andn2_b64 s[14:15], s[14:15], exec
	s_and_b64 s[26:27], vcc, exec
	s_or_b64 s[14:15], s[14:15], s[26:27]
	s_or_b64 exec, exec, s[20:21]
	v_mov_b32_e32 v5, 0
	s_and_saveexec_b64 s[20:21], s[14:15]
	s_cbranch_execnz .LBB347_2781
	s_branch .LBB347_2782
.LBB347_3006:
	s_trap 2
	s_or_b64 s[18:19], s[18:19], exec
	s_cbranch_execz .LBB347_2828
	s_branch .LBB347_2829
.LBB347_3007:
	s_andn2_saveexec_b64 s[14:15], s[14:15]
	s_cbranch_execz .LBB347_2793
.LBB347_3008:
	v_add_f32_e32 v3, 0x42800000, v4
	v_and_b32_e32 v3, 0xff, v3
	v_cmp_ne_u32_e32 vcc, 0, v3
	s_andn2_b64 s[12:13], s[12:13], exec
	s_and_b64 s[20:21], vcc, exec
	s_or_b64 s[12:13], s[12:13], s[20:21]
	s_or_b64 exec, exec, s[14:15]
	v_mov_b32_e32 v5, 0
	s_and_saveexec_b64 s[14:15], s[12:13]
	s_cbranch_execnz .LBB347_2794
	s_branch .LBB347_2795
.LBB347_3009:
	s_andn2_saveexec_b64 s[10:11], s[10:11]
	s_cbranch_execz .LBB347_2900
.LBB347_3010:
	v_add_f32_e32 v2, 0x46000000, v3
	v_and_b32_e32 v2, 0xff, v2
	v_cmp_ne_u32_e32 vcc, 0, v2
	s_andn2_b64 s[8:9], s[8:9], exec
	s_and_b64 s[14:15], vcc, exec
	s_or_b64 s[8:9], s[8:9], s[14:15]
	s_or_b64 exec, exec, s[10:11]
	v_mov_b32_e32 v4, 0
	s_and_saveexec_b64 s[10:11], s[8:9]
	s_cbranch_execnz .LBB347_2901
	s_branch .LBB347_2902
.LBB347_3011:
	s_mov_b64 s[2:3], 0
	s_or_b64 s[18:19], s[18:19], exec
	s_trap 2
	s_branch .LBB347_2946
.LBB347_3012:
	s_andn2_saveexec_b64 s[8:9], s[8:9]
	s_cbranch_execz .LBB347_2912
.LBB347_3013:
	v_add_f32_e32 v2, 0x42800000, v3
	v_and_b32_e32 v2, 0xff, v2
	v_cmp_ne_u32_e32 vcc, 0, v2
	s_andn2_b64 s[4:5], s[4:5], exec
	s_and_b64 s[10:11], vcc, exec
	s_or_b64 s[4:5], s[4:5], s[10:11]
	s_or_b64 exec, exec, s[8:9]
	v_mov_b32_e32 v4, 0
	s_and_saveexec_b64 s[8:9], s[4:5]
	s_cbranch_execnz .LBB347_2913
	s_branch .LBB347_2914
	.section	.rodata,"a",@progbits
	.p2align	6, 0x0
	.amdhsa_kernel _ZN2at6native32elementwise_kernel_manual_unrollILi128ELi4EZNS0_15gpu_kernel_implINS0_13BinaryFunctorIjjbNS0_12_GLOBAL__N_116CompareEqFunctorIjEEEEEEvRNS_18TensorIteratorBaseERKT_EUlibE_EEviT1_
		.amdhsa_group_segment_fixed_size 0
		.amdhsa_private_segment_fixed_size 0
		.amdhsa_kernarg_size 56
		.amdhsa_user_sgpr_count 6
		.amdhsa_user_sgpr_private_segment_buffer 1
		.amdhsa_user_sgpr_dispatch_ptr 0
		.amdhsa_user_sgpr_queue_ptr 0
		.amdhsa_user_sgpr_kernarg_segment_ptr 1
		.amdhsa_user_sgpr_dispatch_id 0
		.amdhsa_user_sgpr_flat_scratch_init 0
		.amdhsa_user_sgpr_private_segment_size 0
		.amdhsa_uses_dynamic_stack 0
		.amdhsa_system_sgpr_private_segment_wavefront_offset 0
		.amdhsa_system_sgpr_workgroup_id_x 1
		.amdhsa_system_sgpr_workgroup_id_y 0
		.amdhsa_system_sgpr_workgroup_id_z 0
		.amdhsa_system_sgpr_workgroup_info 0
		.amdhsa_system_vgpr_workitem_id 0
		.amdhsa_next_free_vgpr 16
		.amdhsa_next_free_sgpr 59
		.amdhsa_reserve_vcc 1
		.amdhsa_reserve_flat_scratch 0
		.amdhsa_float_round_mode_32 0
		.amdhsa_float_round_mode_16_64 0
		.amdhsa_float_denorm_mode_32 3
		.amdhsa_float_denorm_mode_16_64 3
		.amdhsa_dx10_clamp 1
		.amdhsa_ieee_mode 1
		.amdhsa_fp16_overflow 0
		.amdhsa_exception_fp_ieee_invalid_op 0
		.amdhsa_exception_fp_denorm_src 0
		.amdhsa_exception_fp_ieee_div_zero 0
		.amdhsa_exception_fp_ieee_overflow 0
		.amdhsa_exception_fp_ieee_underflow 0
		.amdhsa_exception_fp_ieee_inexact 0
		.amdhsa_exception_int_div_zero 0
	.end_amdhsa_kernel
	.section	.text._ZN2at6native32elementwise_kernel_manual_unrollILi128ELi4EZNS0_15gpu_kernel_implINS0_13BinaryFunctorIjjbNS0_12_GLOBAL__N_116CompareEqFunctorIjEEEEEEvRNS_18TensorIteratorBaseERKT_EUlibE_EEviT1_,"axG",@progbits,_ZN2at6native32elementwise_kernel_manual_unrollILi128ELi4EZNS0_15gpu_kernel_implINS0_13BinaryFunctorIjjbNS0_12_GLOBAL__N_116CompareEqFunctorIjEEEEEEvRNS_18TensorIteratorBaseERKT_EUlibE_EEviT1_,comdat
.Lfunc_end347:
	.size	_ZN2at6native32elementwise_kernel_manual_unrollILi128ELi4EZNS0_15gpu_kernel_implINS0_13BinaryFunctorIjjbNS0_12_GLOBAL__N_116CompareEqFunctorIjEEEEEEvRNS_18TensorIteratorBaseERKT_EUlibE_EEviT1_, .Lfunc_end347-_ZN2at6native32elementwise_kernel_manual_unrollILi128ELi4EZNS0_15gpu_kernel_implINS0_13BinaryFunctorIjjbNS0_12_GLOBAL__N_116CompareEqFunctorIjEEEEEEvRNS_18TensorIteratorBaseERKT_EUlibE_EEviT1_
                                        ; -- End function
	.set _ZN2at6native32elementwise_kernel_manual_unrollILi128ELi4EZNS0_15gpu_kernel_implINS0_13BinaryFunctorIjjbNS0_12_GLOBAL__N_116CompareEqFunctorIjEEEEEEvRNS_18TensorIteratorBaseERKT_EUlibE_EEviT1_.num_vgpr, 16
	.set _ZN2at6native32elementwise_kernel_manual_unrollILi128ELi4EZNS0_15gpu_kernel_implINS0_13BinaryFunctorIjjbNS0_12_GLOBAL__N_116CompareEqFunctorIjEEEEEEvRNS_18TensorIteratorBaseERKT_EUlibE_EEviT1_.num_agpr, 0
	.set _ZN2at6native32elementwise_kernel_manual_unrollILi128ELi4EZNS0_15gpu_kernel_implINS0_13BinaryFunctorIjjbNS0_12_GLOBAL__N_116CompareEqFunctorIjEEEEEEvRNS_18TensorIteratorBaseERKT_EUlibE_EEviT1_.numbered_sgpr, 59
	.set _ZN2at6native32elementwise_kernel_manual_unrollILi128ELi4EZNS0_15gpu_kernel_implINS0_13BinaryFunctorIjjbNS0_12_GLOBAL__N_116CompareEqFunctorIjEEEEEEvRNS_18TensorIteratorBaseERKT_EUlibE_EEviT1_.num_named_barrier, 0
	.set _ZN2at6native32elementwise_kernel_manual_unrollILi128ELi4EZNS0_15gpu_kernel_implINS0_13BinaryFunctorIjjbNS0_12_GLOBAL__N_116CompareEqFunctorIjEEEEEEvRNS_18TensorIteratorBaseERKT_EUlibE_EEviT1_.private_seg_size, 0
	.set _ZN2at6native32elementwise_kernel_manual_unrollILi128ELi4EZNS0_15gpu_kernel_implINS0_13BinaryFunctorIjjbNS0_12_GLOBAL__N_116CompareEqFunctorIjEEEEEEvRNS_18TensorIteratorBaseERKT_EUlibE_EEviT1_.uses_vcc, 1
	.set _ZN2at6native32elementwise_kernel_manual_unrollILi128ELi4EZNS0_15gpu_kernel_implINS0_13BinaryFunctorIjjbNS0_12_GLOBAL__N_116CompareEqFunctorIjEEEEEEvRNS_18TensorIteratorBaseERKT_EUlibE_EEviT1_.uses_flat_scratch, 0
	.set _ZN2at6native32elementwise_kernel_manual_unrollILi128ELi4EZNS0_15gpu_kernel_implINS0_13BinaryFunctorIjjbNS0_12_GLOBAL__N_116CompareEqFunctorIjEEEEEEvRNS_18TensorIteratorBaseERKT_EUlibE_EEviT1_.has_dyn_sized_stack, 0
	.set _ZN2at6native32elementwise_kernel_manual_unrollILi128ELi4EZNS0_15gpu_kernel_implINS0_13BinaryFunctorIjjbNS0_12_GLOBAL__N_116CompareEqFunctorIjEEEEEEvRNS_18TensorIteratorBaseERKT_EUlibE_EEviT1_.has_recursion, 0
	.set _ZN2at6native32elementwise_kernel_manual_unrollILi128ELi4EZNS0_15gpu_kernel_implINS0_13BinaryFunctorIjjbNS0_12_GLOBAL__N_116CompareEqFunctorIjEEEEEEvRNS_18TensorIteratorBaseERKT_EUlibE_EEviT1_.has_indirect_call, 0
	.section	.AMDGPU.csdata,"",@progbits
; Kernel info:
; codeLenInByte = 43408
; TotalNumSgprs: 63
; NumVgprs: 16
; ScratchSize: 0
; MemoryBound: 1
; FloatMode: 240
; IeeeMode: 1
; LDSByteSize: 0 bytes/workgroup (compile time only)
; SGPRBlocks: 7
; VGPRBlocks: 3
; NumSGPRsForWavesPerEU: 63
; NumVGPRsForWavesPerEU: 16
; Occupancy: 10
; WaveLimiterHint : 0
; COMPUTE_PGM_RSRC2:SCRATCH_EN: 0
; COMPUTE_PGM_RSRC2:USER_SGPR: 6
; COMPUTE_PGM_RSRC2:TRAP_HANDLER: 0
; COMPUTE_PGM_RSRC2:TGID_X_EN: 1
; COMPUTE_PGM_RSRC2:TGID_Y_EN: 0
; COMPUTE_PGM_RSRC2:TGID_Z_EN: 0
; COMPUTE_PGM_RSRC2:TIDIG_COMP_CNT: 0
	.section	.text._ZN2at6native32elementwise_kernel_manual_unrollILi128ELi4EZNS0_15gpu_kernel_implINS0_13BinaryFunctorIjjbNS0_12_GLOBAL__N_116CompareEqFunctorIjEEEEEEvRNS_18TensorIteratorBaseERKT_EUlibE0_EEviT1_,"axG",@progbits,_ZN2at6native32elementwise_kernel_manual_unrollILi128ELi4EZNS0_15gpu_kernel_implINS0_13BinaryFunctorIjjbNS0_12_GLOBAL__N_116CompareEqFunctorIjEEEEEEvRNS_18TensorIteratorBaseERKT_EUlibE0_EEviT1_,comdat
	.globl	_ZN2at6native32elementwise_kernel_manual_unrollILi128ELi4EZNS0_15gpu_kernel_implINS0_13BinaryFunctorIjjbNS0_12_GLOBAL__N_116CompareEqFunctorIjEEEEEEvRNS_18TensorIteratorBaseERKT_EUlibE0_EEviT1_ ; -- Begin function _ZN2at6native32elementwise_kernel_manual_unrollILi128ELi4EZNS0_15gpu_kernel_implINS0_13BinaryFunctorIjjbNS0_12_GLOBAL__N_116CompareEqFunctorIjEEEEEEvRNS_18TensorIteratorBaseERKT_EUlibE0_EEviT1_
	.p2align	8
	.type	_ZN2at6native32elementwise_kernel_manual_unrollILi128ELi4EZNS0_15gpu_kernel_implINS0_13BinaryFunctorIjjbNS0_12_GLOBAL__N_116CompareEqFunctorIjEEEEEEvRNS_18TensorIteratorBaseERKT_EUlibE0_EEviT1_,@function
_ZN2at6native32elementwise_kernel_manual_unrollILi128ELi4EZNS0_15gpu_kernel_implINS0_13BinaryFunctorIjjbNS0_12_GLOBAL__N_116CompareEqFunctorIjEEEEEEvRNS_18TensorIteratorBaseERKT_EUlibE0_EEviT1_: ; @_ZN2at6native32elementwise_kernel_manual_unrollILi128ELi4EZNS0_15gpu_kernel_implINS0_13BinaryFunctorIjjbNS0_12_GLOBAL__N_116CompareEqFunctorIjEEEEEEvRNS_18TensorIteratorBaseERKT_EUlibE0_EEviT1_
; %bb.0:
	s_load_dword s70, s[4:5], 0x0
	s_load_dword s33, s[4:5], 0x8
	s_add_u32 s2, s4, 8
	s_addc_u32 s3, s5, 0
	v_lshl_or_b32 v8, s6, 9, v0
	v_or_b32_e32 v23, 0x180, v8
	s_waitcnt lgkmcnt(0)
	s_add_i32 s72, s33, -1
	s_cmp_gt_u32 s72, 1
	v_cmp_le_i32_e32 vcc, s70, v23
	s_cselect_b64 s[24:25], -1, 0
	s_mov_b64 s[6:7], 0
	s_mov_b64 s[12:13], 0
	s_and_saveexec_b64 s[0:1], vcc
	s_xor_b64 s[26:27], exec, s[0:1]
	s_cbranch_execz .LBB348_1557
; %bb.1:
	s_cmp_lg_u32 s33, 0
	s_load_dwordx4 s[16:19], s[2:3], 0x4
	s_load_dwordx2 s[34:35], s[2:3], 0x14
	s_load_dwordx8 s[8:15], s[2:3], 0x188
	s_load_dwordx4 s[20:23], s[2:3], 0xc4
	s_load_dwordx2 s[30:31], s[2:3], 0xd4
	s_cselect_b64 s[38:39], -1, 0
	s_min_u32 s75, s72, 15
	s_cmp_gt_u32 s33, 1
	s_cselect_b64 s[36:37], -1, 0
	s_waitcnt lgkmcnt(0)
	s_lshr_b32 s74, s15, 8
	s_lshr_b32 s73, s15, 16
	s_cmp_eq_u32 s14, 0
	s_cselect_b64 s[28:29], -1, 0
	v_cmp_gt_i32_e32 vcc, s70, v8
	s_mov_b64 s[0:1], -1
	s_mov_b64 s[50:51], 0
	s_mov_b64 s[44:45], 0
	;; [unrolled: 1-line block ×4, first 2 shown]
	s_and_saveexec_b64 s[46:47], vcc
	s_cbranch_execz .LBB348_386
; %bb.2:
	s_andn2_b64 vcc, exec, s[24:25]
	s_cbranch_vccnz .LBB348_8
; %bb.3:
	s_andn2_b64 vcc, exec, s[38:39]
	s_cbranch_vccnz .LBB348_9
; %bb.4:
	s_add_i32 s0, s75, 1
	s_and_b32 s14, s0, 30
	s_add_u32 s0, s2, 0xffffffe8
	s_addc_u32 s1, s3, -1
	v_mov_b32_e32 v2, 0
	v_mov_b32_e32 v4, 0
	;; [unrolled: 1-line block ×4, first 2 shown]
.LBB348_5:                              ; =>This Inner Loop Header: Depth=1
	s_load_dwordx4 s[40:43], s[0:1], 0x1c
	s_load_dwordx2 s[44:45], s[0:1], 0x2c
	s_load_dwordx2 s[48:49], s[0:1], 0xec
	s_load_dwordx4 s[52:55], s[0:1], 0xdc
	s_add_u32 s0, s0, 24
	s_waitcnt lgkmcnt(0)
	v_mul_hi_u32 v3, s41, v1
	s_addc_u32 s1, s1, 0
	s_add_i32 s14, s14, -2
	s_cmp_lg_u32 s14, 0
	v_add_u32_e32 v3, v1, v3
	v_lshrrev_b32_e32 v3, s42, v3
	v_mul_lo_u32 v5, v3, s40
	v_mul_hi_u32 v6, s44, v3
	v_sub_u32_e32 v5, v1, v5
	v_add_u32_e32 v1, v3, v6
	v_lshrrev_b32_e32 v1, s45, v1
	v_mul_lo_u32 v9, v1, s43
	v_mul_lo_u32 v6, v5, s52
	;; [unrolled: 1-line block ×4, first 2 shown]
	v_sub_u32_e32 v3, v3, v9
	v_mul_lo_u32 v9, v3, s55
	v_mul_lo_u32 v10, v3, s48
	;; [unrolled: 1-line block ×3, first 2 shown]
	v_add3_u32 v0, v6, v0, v9
	v_add3_u32 v4, v7, v4, v10
	;; [unrolled: 1-line block ×3, first 2 shown]
	s_cbranch_scc1 .LBB348_5
; %bb.6:
	s_bitcmp1_b32 s75, 0
	s_cselect_b64 s[40:41], -1, 0
	s_and_b64 vcc, exec, s[40:41]
	s_cbranch_vccnz .LBB348_10
; %bb.7:
	s_load_dwordx2 s[40:41], s[0:1], 0x1c
	s_load_dword s14, s[0:1], 0x24
	s_load_dwordx2 s[42:43], s[0:1], 0xdc
	s_waitcnt lgkmcnt(0)
	v_mul_hi_u32 v3, s41, v1
	v_add_u32_e32 v3, v1, v3
	v_lshrrev_b32_e32 v3, s14, v3
	v_mul_lo_u32 v3, v3, s40
	s_load_dword s14, s[0:1], 0xe4
	v_sub_u32_e32 v3, v1, v3
	v_mad_u64_u32 v[0:1], s[0:1], v3, s42, v[0:1]
	v_mad_u64_u32 v[4:5], s[0:1], v3, s43, v[4:5]
	s_waitcnt lgkmcnt(0)
	v_mad_u64_u32 v[2:3], s[0:1], v3, s14, v[2:3]
	s_cbranch_execz .LBB348_11
	s_branch .LBB348_13
.LBB348_8:
                                        ; implicit-def: $vgpr0
                                        ; implicit-def: $vgpr4
                                        ; implicit-def: $vgpr2
	s_andn2_b64 vcc, exec, s[0:1]
	s_cbranch_vccz .LBB348_11
	s_branch .LBB348_13
.LBB348_9:
	v_mov_b32_e32 v0, 0
	v_mov_b32_e32 v4, 0
	v_mov_b32_e32 v2, 0
.LBB348_10:
	s_cbranch_execnz .LBB348_13
.LBB348_11:
	v_mul_hi_u32 v0, s17, v8
	s_andn2_b64 vcc, exec, s[36:37]
	v_add_u32_e32 v0, v8, v0
	v_lshrrev_b32_e32 v1, s18, v0
	v_mul_lo_u32 v0, v1, s16
	v_sub_u32_e32 v2, v8, v0
	v_mul_lo_u32 v0, v2, s20
	v_mul_lo_u32 v4, v2, s21
	;; [unrolled: 1-line block ×3, first 2 shown]
	s_cbranch_vccnz .LBB348_13
; %bb.12:
	v_mul_hi_u32 v3, s34, v1
	v_add_u32_e32 v3, v1, v3
	v_lshrrev_b32_e32 v3, s35, v3
	v_mul_lo_u32 v3, v3, s19
	v_sub_u32_e32 v3, v1, v3
	v_mad_u64_u32 v[0:1], s[0:1], v3, s23, v[0:1]
	v_mad_u64_u32 v[4:5], s[0:1], v3, s30, v[4:5]
	;; [unrolled: 1-line block ×3, first 2 shown]
.LBB348_13:
	v_mov_b32_e32 v1, s11
	s_and_b32 s14, s74, 0xff
	v_add_co_u32_e32 v3, vcc, s10, v4
	s_cmp_lt_i32 s14, 11
	v_addc_co_u32_e32 v4, vcc, 0, v1, vcc
	s_cbranch_scc1 .LBB348_20
; %bb.14:
	s_and_b32 s42, 0xffff, s14
	s_cmp_gt_i32 s42, 25
	s_cbranch_scc0 .LBB348_29
; %bb.15:
	s_cmp_gt_i32 s42, 28
	s_cbranch_scc0 .LBB348_39
; %bb.16:
	;; [unrolled: 3-line block ×4, first 2 shown]
	s_cmp_eq_u32 s42, 46
	s_mov_b64 s[40:41], 0
	s_cbranch_scc0 .LBB348_48
; %bb.19:
	global_load_dword v1, v[3:4], off
	s_mov_b64 s[0:1], -1
	s_mov_b64 s[44:45], 0
	s_waitcnt vmcnt(0)
	v_lshlrev_b32_e32 v1, 16, v1
	v_cvt_u32_f32_e32 v5, v1
	s_branch .LBB348_50
.LBB348_20:
	s_mov_b64 s[44:45], 0
                                        ; implicit-def: $vgpr5
	s_mov_b64 s[0:1], 0
	s_cbranch_execnz .LBB348_112
.LBB348_21:
	s_andn2_b64 vcc, exec, s[0:1]
	s_cbranch_vccnz .LBB348_159
.LBB348_22:
	v_mov_b32_e32 v3, s13
	s_and_b32 s14, s73, 0xff
	v_add_co_u32_e32 v1, vcc, s12, v2
	s_cmp_lt_i32 s14, 11
	v_addc_co_u32_e32 v2, vcc, 0, v3, vcc
	s_cbranch_scc1 .LBB348_30
; %bb.23:
	s_and_b32 s48, 0xffff, s14
	s_cmp_gt_i32 s48, 25
	s_cbranch_scc0 .LBB348_40
; %bb.24:
	s_cmp_gt_i32 s48, 28
	s_cbranch_scc0 .LBB348_43
; %bb.25:
	;; [unrolled: 3-line block ×4, first 2 shown]
	s_cmp_eq_u32 s48, 46
	s_mov_b64 s[40:41], 0
	s_cbranch_scc0 .LBB348_160
; %bb.28:
	global_load_dword v3, v[1:2], off
	s_mov_b64 s[0:1], -1
	s_mov_b64 s[42:43], 0
	s_waitcnt vmcnt(0)
	v_lshlrev_b32_e32 v3, 16, v3
	v_cvt_u32_f32_e32 v3, v3
	s_branch .LBB348_162
.LBB348_29:
	s_mov_b64 s[44:45], 0
	s_mov_b64 s[0:1], 0
                                        ; implicit-def: $vgpr5
	s_cbranch_execnz .LBB348_79
	s_branch .LBB348_111
.LBB348_30:
	s_mov_b64 s[42:43], 0
                                        ; implicit-def: $vgpr3
	s_mov_b64 s[0:1], 0
	s_cbranch_execnz .LBB348_335
.LBB348_31:
	s_andn2_b64 vcc, exec, s[0:1]
	s_cbranch_vccnz .LBB348_383
.LBB348_32:
	s_waitcnt vmcnt(0)
	v_cmp_ne_u32_e32 vcc, v5, v3
	s_xor_b64 s[40:41], s[28:29], vcc
	v_mov_b32_e32 v1, s9
	s_and_b32 s14, s15, 0xff
	v_add_co_u32_e32 v0, vcc, s8, v0
	s_cmp_lt_i32 s14, 11
	v_addc_co_u32_e32 v1, vcc, 0, v1, vcc
	s_cbranch_scc1 .LBB348_41
; %bb.33:
	s_and_b32 s56, 0xffff, s14
	s_cmp_gt_i32 s56, 25
	s_cbranch_scc0 .LBB348_44
; %bb.34:
	s_cmp_gt_i32 s56, 28
	s_cbranch_scc0 .LBB348_47
; %bb.35:
	;; [unrolled: 3-line block ×4, first 2 shown]
	s_mov_b64 s[52:53], 0
	s_mov_b64 s[0:1], -1
	s_cmp_eq_u32 s56, 46
	s_mov_b64 s[48:49], 0
	s_cbranch_scc0 .LBB348_166
; %bb.38:
	v_cndmask_b32_e64 v2, 0, 1.0, s[40:41]
	v_bfe_u32 v3, v2, 16, 1
	s_movk_i32 s0, 0x7fff
	v_add3_u32 v2, v2, v3, s0
	v_lshrrev_b32_e32 v2, 16, v2
	global_store_dword v[0:1], v2, off
	s_mov_b64 s[48:49], -1
	s_mov_b64 s[0:1], 0
	s_branch .LBB348_166
.LBB348_39:
	s_mov_b64 s[40:41], -1
	s_mov_b64 s[44:45], 0
	s_mov_b64 s[0:1], 0
                                        ; implicit-def: $vgpr5
	s_branch .LBB348_62
.LBB348_40:
	s_mov_b64 s[40:41], -1
	s_mov_b64 s[42:43], 0
	s_mov_b64 s[0:1], 0
                                        ; implicit-def: $vgpr3
	s_branch .LBB348_301
.LBB348_41:
	s_mov_b64 s[52:53], -1
	s_mov_b64 s[0:1], 0
	s_mov_b64 s[48:49], 0
	s_branch .LBB348_235
.LBB348_42:
	s_mov_b64 s[40:41], -1
	s_mov_b64 s[44:45], 0
	s_mov_b64 s[0:1], 0
                                        ; implicit-def: $vgpr5
	s_branch .LBB348_57
.LBB348_43:
	s_mov_b64 s[40:41], -1
	s_mov_b64 s[42:43], 0
	s_mov_b64 s[0:1], 0
                                        ; implicit-def: $vgpr3
	s_branch .LBB348_284
.LBB348_44:
	s_mov_b64 s[52:53], -1
	s_mov_b64 s[0:1], 0
	s_mov_b64 s[48:49], 0
	s_branch .LBB348_193
.LBB348_45:
	s_mov_b64 s[40:41], -1
	s_mov_b64 s[44:45], 0
	s_branch .LBB348_49
.LBB348_46:
	s_mov_b64 s[40:41], -1
	s_mov_b64 s[42:43], 0
	s_mov_b64 s[0:1], 0
                                        ; implicit-def: $vgpr3
	s_branch .LBB348_279
.LBB348_47:
	s_mov_b64 s[52:53], -1
	s_mov_b64 s[0:1], 0
	s_mov_b64 s[48:49], 0
	s_branch .LBB348_176
.LBB348_48:
	s_mov_b64 s[44:45], -1
.LBB348_49:
	s_mov_b64 s[0:1], 0
                                        ; implicit-def: $vgpr5
.LBB348_50:
	s_and_b64 vcc, exec, s[40:41]
	s_cbranch_vccz .LBB348_56
; %bb.51:
	s_cmp_eq_u32 s42, 44
	s_cbranch_scc0 .LBB348_55
; %bb.52:
	global_load_ubyte v1, v[3:4], off
	s_mov_b64 s[0:1], -1
	s_mov_b64 s[44:45], 0
	s_waitcnt vmcnt(0)
	v_lshlrev_b32_e32 v5, 23, v1
	v_cvt_u32_f32_e32 v5, v5
	v_cmp_ne_u32_e32 vcc, 0, v1
	v_cndmask_b32_e32 v5, 0, v5, vcc
	s_branch .LBB348_56
.LBB348_53:
	s_mov_b64 s[40:41], -1
	s_mov_b64 s[42:43], 0
	s_branch .LBB348_161
.LBB348_54:
	s_mov_b64 s[52:53], -1
	s_mov_b64 s[0:1], 0
	s_mov_b64 s[48:49], 0
	s_branch .LBB348_172
.LBB348_55:
	s_mov_b64 s[44:45], -1
                                        ; implicit-def: $vgpr5
.LBB348_56:
	s_mov_b64 s[40:41], 0
.LBB348_57:
	s_and_b64 vcc, exec, s[40:41]
	s_cbranch_vccz .LBB348_61
; %bb.58:
	s_cmp_eq_u32 s42, 29
	s_cbranch_scc0 .LBB348_60
; %bb.59:
	global_load_dword v5, v[3:4], off
	s_mov_b64 s[0:1], -1
	s_mov_b64 s[44:45], 0
	s_branch .LBB348_61
.LBB348_60:
	s_mov_b64 s[44:45], -1
                                        ; implicit-def: $vgpr5
.LBB348_61:
	s_mov_b64 s[40:41], 0
.LBB348_62:
	s_and_b64 vcc, exec, s[40:41]
	s_cbranch_vccz .LBB348_78
; %bb.63:
	s_cmp_lt_i32 s42, 27
	s_cbranch_scc1 .LBB348_66
; %bb.64:
	s_cmp_gt_i32 s42, 27
	s_cbranch_scc0 .LBB348_67
; %bb.65:
	global_load_dword v5, v[3:4], off
	s_mov_b64 s[0:1], 0
	s_branch .LBB348_68
.LBB348_66:
	s_mov_b64 s[0:1], -1
                                        ; implicit-def: $vgpr5
	s_branch .LBB348_71
.LBB348_67:
	s_mov_b64 s[0:1], -1
                                        ; implicit-def: $vgpr5
.LBB348_68:
	s_andn2_b64 vcc, exec, s[0:1]
	s_cbranch_vccnz .LBB348_70
; %bb.69:
	global_load_ushort v5, v[3:4], off
.LBB348_70:
	s_mov_b64 s[0:1], 0
.LBB348_71:
	s_andn2_b64 vcc, exec, s[0:1]
	s_cbranch_vccnz .LBB348_77
; %bb.72:
	global_load_ubyte v1, v[3:4], off
	s_movk_i32 s0, 0x7f
	s_mov_b64 s[40:41], 0
	s_waitcnt vmcnt(0)
	v_cmp_lt_i16_e32 vcc, s0, v1
	s_and_saveexec_b64 s[0:1], vcc
	s_xor_b64 s[0:1], exec, s[0:1]
	s_cbranch_execz .LBB348_88
; %bb.73:
	s_movk_i32 s40, 0x80
	v_cmp_ne_u16_e32 vcc, s40, v1
	s_and_b64 s[40:41], vcc, exec
	s_andn2_saveexec_b64 s[0:1], s[0:1]
	s_cbranch_execnz .LBB348_89
.LBB348_74:
	s_or_b64 exec, exec, s[0:1]
	v_mov_b32_e32 v5, 0
	s_and_saveexec_b64 s[0:1], s[40:41]
	s_cbranch_execz .LBB348_76
.LBB348_75:
	v_lshlrev_b32_e32 v5, 24, v1
	v_and_b32_e32 v1, 0xffff, v1
	v_and_b32_e32 v6, 7, v1
	v_ffbh_u32_e32 v9, v6
	v_min_u32_e32 v9, 32, v9
	v_subrev_u32_e32 v10, 28, v9
	v_bfe_u32 v7, v1, 3, 4
	v_lshlrev_b32_e32 v1, v10, v1
	v_sub_u32_e32 v9, 29, v9
	v_and_b32_e32 v1, 7, v1
	v_cmp_eq_u32_e32 vcc, 0, v7
	v_cndmask_b32_e32 v7, v7, v9, vcc
	v_cndmask_b32_e32 v1, v6, v1, vcc
	v_mov_b32_e32 v6, 0x3b800000
	v_lshlrev_b32_e32 v1, 20, v1
	v_and_b32_e32 v5, 0x80000000, v5
	v_lshl_add_u32 v6, v7, 23, v6
	v_or3_b32 v1, v5, v6, v1
	v_cvt_u32_f32_e32 v5, v1
.LBB348_76:
	s_or_b64 exec, exec, s[0:1]
.LBB348_77:
	s_mov_b64 s[0:1], -1
.LBB348_78:
	s_branch .LBB348_111
.LBB348_79:
	s_cmp_gt_i32 s42, 22
	s_cbranch_scc0 .LBB348_87
; %bb.80:
	s_cmp_lt_i32 s42, 24
	s_cbranch_scc1 .LBB348_90
; %bb.81:
	s_cmp_gt_i32 s42, 24
	s_cbranch_scc0 .LBB348_91
; %bb.82:
	global_load_ubyte v1, v[3:4], off
	s_movk_i32 s0, 0x7f
	s_mov_b64 s[40:41], 0
	s_waitcnt vmcnt(0)
	v_cmp_lt_i16_e32 vcc, s0, v1
	s_and_saveexec_b64 s[0:1], vcc
	s_xor_b64 s[0:1], exec, s[0:1]
	s_cbranch_execz .LBB348_103
; %bb.83:
	s_movk_i32 s40, 0x80
	v_cmp_ne_u16_e32 vcc, s40, v1
	s_and_b64 s[40:41], vcc, exec
	s_andn2_saveexec_b64 s[0:1], s[0:1]
	s_cbranch_execnz .LBB348_104
.LBB348_84:
	s_or_b64 exec, exec, s[0:1]
	v_mov_b32_e32 v5, 0
	s_and_saveexec_b64 s[0:1], s[40:41]
	s_cbranch_execz .LBB348_86
.LBB348_85:
	v_lshlrev_b32_e32 v5, 24, v1
	v_and_b32_e32 v1, 0xffff, v1
	v_and_b32_e32 v6, 3, v1
	v_ffbh_u32_e32 v9, v6
	v_min_u32_e32 v9, 32, v9
	v_subrev_u32_e32 v10, 29, v9
	v_bfe_u32 v7, v1, 2, 5
	v_lshlrev_b32_e32 v1, v10, v1
	v_sub_u32_e32 v9, 30, v9
	v_and_b32_e32 v1, 3, v1
	v_cmp_eq_u32_e32 vcc, 0, v7
	v_cndmask_b32_e32 v7, v7, v9, vcc
	v_cndmask_b32_e32 v1, v6, v1, vcc
	v_mov_b32_e32 v6, 0x37800000
	v_lshlrev_b32_e32 v1, 21, v1
	v_and_b32_e32 v5, 0x80000000, v5
	v_lshl_add_u32 v6, v7, 23, v6
	v_or3_b32 v1, v5, v6, v1
	v_cvt_u32_f32_e32 v5, v1
.LBB348_86:
	s_or_b64 exec, exec, s[0:1]
	s_mov_b64 s[0:1], 0
	s_branch .LBB348_92
.LBB348_87:
	s_mov_b64 s[40:41], -1
                                        ; implicit-def: $vgpr5
	s_branch .LBB348_98
.LBB348_88:
	s_andn2_saveexec_b64 s[0:1], s[0:1]
	s_cbranch_execz .LBB348_74
.LBB348_89:
	v_cmp_ne_u16_e32 vcc, 0, v1
	s_andn2_b64 s[40:41], s[40:41], exec
	s_and_b64 s[48:49], vcc, exec
	s_or_b64 s[40:41], s[40:41], s[48:49]
	s_or_b64 exec, exec, s[0:1]
	v_mov_b32_e32 v5, 0
	s_and_saveexec_b64 s[0:1], s[40:41]
	s_cbranch_execnz .LBB348_75
	s_branch .LBB348_76
.LBB348_90:
	s_mov_b64 s[0:1], -1
                                        ; implicit-def: $vgpr5
	s_branch .LBB348_95
.LBB348_91:
	s_mov_b64 s[0:1], -1
                                        ; implicit-def: $vgpr5
.LBB348_92:
	s_and_b64 vcc, exec, s[0:1]
	s_cbranch_vccz .LBB348_94
; %bb.93:
	global_load_ubyte v1, v[3:4], off
	s_mov_b32 s0, 0x7f800000
	s_waitcnt vmcnt(0)
	v_lshlrev_b32_e32 v1, 24, v1
	v_and_b32_e32 v5, 0x7f000000, v1
	v_ffbh_u32_e32 v6, v5
	v_min_u32_e32 v6, 32, v6
	v_sub_u32_e64 v6, v6, 4 clamp
	v_lshlrev_b32_e32 v9, v6, v5
	v_lshlrev_b32_e32 v6, 23, v6
	v_lshrrev_b32_e32 v9, 4, v9
	v_add_u32_e32 v7, 0x1000000, v5
	v_sub_u32_e32 v6, v9, v6
	v_ashrrev_i32_e32 v7, 8, v7
	v_add_u32_e32 v6, 0x3c000000, v6
	v_and_or_b32 v6, v7, s0, v6
	v_cmp_ne_u32_e32 vcc, 0, v5
	v_cndmask_b32_e32 v5, 0, v6, vcc
	s_brev_b32 s0, 1
	v_and_or_b32 v1, v1, s0, v5
	v_cvt_u32_f32_e32 v5, v1
.LBB348_94:
	s_mov_b64 s[0:1], 0
.LBB348_95:
	s_andn2_b64 vcc, exec, s[0:1]
	s_cbranch_vccnz .LBB348_97
; %bb.96:
	global_load_ubyte v1, v[3:4], off
	s_movk_i32 s0, 0x7f00
	s_brev_b32 s1, 16
	s_waitcnt vmcnt(0)
	v_lshlrev_b16_e32 v5, 8, v1
	v_lshlrev_b32_e32 v1, 25, v1
	v_lshrrev_b32_e32 v6, 4, v1
	v_and_or_b32 v7, v5, s0, 0.5
	v_or_b32_e32 v6, 0x70000000, v6
	v_add_f32_e32 v7, -0.5, v7
	v_mul_f32_e32 v6, 0x7800000, v6
	v_cmp_gt_u32_e32 vcc, s1, v1
	v_bfe_i32 v5, v5, 0, 16
	v_cndmask_b32_e32 v1, v6, v7, vcc
	s_brev_b32 s0, 1
	v_and_or_b32 v1, v5, s0, v1
	v_cvt_u32_f32_e32 v5, v1
.LBB348_97:
	s_mov_b64 s[40:41], 0
	s_mov_b64 s[0:1], -1
.LBB348_98:
	s_andn2_b64 vcc, exec, s[40:41]
	s_cbranch_vccnz .LBB348_111
; %bb.99:
	s_cmp_gt_i32 s42, 14
	s_cbranch_scc0 .LBB348_102
; %bb.100:
	s_cmp_eq_u32 s42, 15
	s_cbranch_scc0 .LBB348_105
; %bb.101:
	global_load_ushort v1, v[3:4], off
	s_mov_b64 s[0:1], -1
	s_mov_b64 s[44:45], 0
	s_waitcnt vmcnt(0)
	v_lshlrev_b32_e32 v1, 16, v1
	v_cvt_u32_f32_e32 v5, v1
	s_branch .LBB348_106
.LBB348_102:
	s_mov_b64 s[40:41], -1
                                        ; implicit-def: $vgpr5
	s_branch .LBB348_107
.LBB348_103:
	s_andn2_saveexec_b64 s[0:1], s[0:1]
	s_cbranch_execz .LBB348_84
.LBB348_104:
	v_cmp_ne_u16_e32 vcc, 0, v1
	s_andn2_b64 s[40:41], s[40:41], exec
	s_and_b64 s[48:49], vcc, exec
	s_or_b64 s[40:41], s[40:41], s[48:49]
	s_or_b64 exec, exec, s[0:1]
	v_mov_b32_e32 v5, 0
	s_and_saveexec_b64 s[0:1], s[40:41]
	s_cbranch_execnz .LBB348_85
	s_branch .LBB348_86
.LBB348_105:
	s_mov_b64 s[44:45], -1
                                        ; implicit-def: $vgpr5
.LBB348_106:
	s_mov_b64 s[40:41], 0
.LBB348_107:
	s_and_b64 vcc, exec, s[40:41]
	s_cbranch_vccz .LBB348_111
; %bb.108:
	s_cmp_eq_u32 s42, 11
	s_cbranch_scc0 .LBB348_110
; %bb.109:
	global_load_ubyte v1, v[3:4], off
	s_mov_b64 s[0:1], -1
	s_mov_b64 s[44:45], 0
	s_waitcnt vmcnt(0)
	v_cmp_ne_u16_e32 vcc, 0, v1
	v_cndmask_b32_e64 v5, 0, 1, vcc
	s_branch .LBB348_111
.LBB348_110:
	s_mov_b64 s[44:45], -1
                                        ; implicit-def: $vgpr5
.LBB348_111:
	s_branch .LBB348_21
.LBB348_112:
	s_and_b32 s14, 0xffff, s14
	s_cmp_lt_i32 s14, 5
	s_cbranch_scc1 .LBB348_117
; %bb.113:
	s_cmp_lt_i32 s14, 8
	s_cbranch_scc1 .LBB348_118
; %bb.114:
	;; [unrolled: 3-line block ×3, first 2 shown]
	s_cmp_gt_i32 s14, 9
	s_cbranch_scc0 .LBB348_120
; %bb.116:
	global_load_dwordx2 v[5:6], v[3:4], off
	s_mov_b64 s[0:1], 0
	s_waitcnt vmcnt(0)
	v_cvt_u32_f64_e32 v5, v[5:6]
	s_branch .LBB348_121
.LBB348_117:
                                        ; implicit-def: $vgpr5
	s_branch .LBB348_139
.LBB348_118:
	s_mov_b64 s[0:1], -1
                                        ; implicit-def: $vgpr5
	s_branch .LBB348_127
.LBB348_119:
	s_mov_b64 s[0:1], -1
                                        ; implicit-def: $vgpr5
	s_branch .LBB348_124
.LBB348_120:
	s_mov_b64 s[0:1], -1
                                        ; implicit-def: $vgpr5
.LBB348_121:
	s_andn2_b64 vcc, exec, s[0:1]
	s_cbranch_vccnz .LBB348_123
; %bb.122:
	global_load_dword v1, v[3:4], off
	s_waitcnt vmcnt(0)
	v_cvt_u32_f32_e32 v5, v1
.LBB348_123:
	s_mov_b64 s[0:1], 0
.LBB348_124:
	s_andn2_b64 vcc, exec, s[0:1]
	s_cbranch_vccnz .LBB348_126
; %bb.125:
	global_load_dword v1, v[3:4], off
	s_waitcnt vmcnt(0)
	v_cvt_f32_f16_e32 v1, v1
	v_cvt_u32_f32_e32 v5, v1
.LBB348_126:
	s_mov_b64 s[0:1], 0
.LBB348_127:
	s_andn2_b64 vcc, exec, s[0:1]
	s_cbranch_vccnz .LBB348_138
; %bb.128:
	s_cmp_lt_i32 s14, 6
	s_cbranch_scc1 .LBB348_131
; %bb.129:
	s_cmp_gt_i32 s14, 6
	s_cbranch_scc0 .LBB348_132
; %bb.130:
	global_load_dwordx2 v[5:6], v[3:4], off
	s_mov_b64 s[0:1], 0
	s_waitcnt vmcnt(0)
	v_cvt_u32_f64_e32 v5, v[5:6]
	s_branch .LBB348_133
.LBB348_131:
	s_mov_b64 s[0:1], -1
                                        ; implicit-def: $vgpr5
	s_branch .LBB348_136
.LBB348_132:
	s_mov_b64 s[0:1], -1
                                        ; implicit-def: $vgpr5
.LBB348_133:
	s_andn2_b64 vcc, exec, s[0:1]
	s_cbranch_vccnz .LBB348_135
; %bb.134:
	global_load_dword v1, v[3:4], off
	s_waitcnt vmcnt(0)
	v_cvt_u32_f32_e32 v5, v1
.LBB348_135:
	s_mov_b64 s[0:1], 0
.LBB348_136:
	s_andn2_b64 vcc, exec, s[0:1]
	s_cbranch_vccnz .LBB348_138
; %bb.137:
	global_load_ushort v1, v[3:4], off
	s_waitcnt vmcnt(0)
	v_cvt_f32_f16_e32 v1, v1
	v_cvt_u32_f32_e32 v5, v1
.LBB348_138:
	s_cbranch_execnz .LBB348_158
.LBB348_139:
	s_cmp_lt_i32 s14, 2
	s_cbranch_scc1 .LBB348_143
; %bb.140:
	s_cmp_lt_i32 s14, 3
	s_cbranch_scc1 .LBB348_144
; %bb.141:
	s_cmp_gt_i32 s14, 3
	s_cbranch_scc0 .LBB348_145
; %bb.142:
	global_load_dword v5, v[3:4], off
	s_mov_b64 s[0:1], 0
	s_branch .LBB348_146
.LBB348_143:
	s_mov_b64 s[0:1], -1
                                        ; implicit-def: $vgpr5
	s_branch .LBB348_152
.LBB348_144:
	s_mov_b64 s[0:1], -1
                                        ; implicit-def: $vgpr5
	s_branch .LBB348_149
.LBB348_145:
	s_mov_b64 s[0:1], -1
                                        ; implicit-def: $vgpr5
.LBB348_146:
	s_andn2_b64 vcc, exec, s[0:1]
	s_cbranch_vccnz .LBB348_148
; %bb.147:
	global_load_dword v5, v[3:4], off
.LBB348_148:
	s_mov_b64 s[0:1], 0
.LBB348_149:
	s_andn2_b64 vcc, exec, s[0:1]
	s_cbranch_vccnz .LBB348_151
; %bb.150:
	global_load_sshort v5, v[3:4], off
.LBB348_151:
	s_mov_b64 s[0:1], 0
.LBB348_152:
	s_andn2_b64 vcc, exec, s[0:1]
	s_cbranch_vccnz .LBB348_158
; %bb.153:
	s_cmp_gt_i32 s14, 0
	s_cbranch_scc0 .LBB348_155
; %bb.154:
	global_load_sbyte v5, v[3:4], off
	s_mov_b64 s[0:1], 0
	s_branch .LBB348_156
.LBB348_155:
	s_mov_b64 s[0:1], -1
                                        ; implicit-def: $vgpr5
.LBB348_156:
	s_andn2_b64 vcc, exec, s[0:1]
	s_cbranch_vccnz .LBB348_158
; %bb.157:
	global_load_ubyte v5, v[3:4], off
.LBB348_158:
	s_branch .LBB348_22
.LBB348_159:
	s_mov_b64 s[0:1], 0
	s_mov_b64 s[42:43], 0
	s_branch .LBB348_384
.LBB348_160:
	s_mov_b64 s[42:43], -1
.LBB348_161:
	s_mov_b64 s[0:1], 0
                                        ; implicit-def: $vgpr3
.LBB348_162:
	s_and_b64 vcc, exec, s[40:41]
	s_cbranch_vccz .LBB348_278
; %bb.163:
	s_cmp_eq_u32 s48, 44
	s_cbranch_scc0 .LBB348_277
; %bb.164:
	global_load_ubyte v3, v[1:2], off
	s_mov_b64 s[0:1], -1
	s_mov_b64 s[42:43], 0
	s_waitcnt vmcnt(0)
	v_lshlrev_b32_e32 v4, 23, v3
	v_cvt_u32_f32_e32 v4, v4
	v_cmp_ne_u32_e32 vcc, 0, v3
	v_cndmask_b32_e32 v3, 0, v4, vcc
	s_branch .LBB348_278
.LBB348_165:
	s_mov_b64 s[52:53], -1
	s_mov_b64 s[0:1], 0
	s_mov_b64 s[48:49], 0
.LBB348_166:
	s_and_b64 vcc, exec, s[52:53]
	s_cbranch_vccz .LBB348_171
; %bb.167:
	s_cmp_eq_u32 s56, 44
	s_mov_b64 s[0:1], -1
	s_cbranch_scc0 .LBB348_171
; %bb.168:
	v_cndmask_b32_e64 v3, 0, 1.0, s[40:41]
	v_lshrrev_b32_e32 v2, 23, v3
	s_movk_i32 s0, 0xff
	v_cmp_ne_u32_e32 vcc, s0, v2
	v_mov_b32_e32 v4, 0xff
	s_and_saveexec_b64 s[48:49], vcc
; %bb.169:
	s_mov_b32 s0, 0x3fffff
	v_and_b32_e32 v4, 0x400000, v3
	v_and_or_b32 v3, v3, s0, v2
	v_cmp_ne_u32_e32 vcc, 0, v4
	v_cmp_ne_u32_e64 s[0:1], 0, v3
	s_and_b64 s[0:1], vcc, s[0:1]
	v_cndmask_b32_e64 v3, 0, 1, s[0:1]
	v_add_u32_e32 v4, v2, v3
; %bb.170:
	s_or_b64 exec, exec, s[48:49]
	s_mov_b64 s[48:49], -1
	s_mov_b64 s[0:1], 0
	global_store_byte v[0:1], v4, off
.LBB348_171:
	s_mov_b64 s[52:53], 0
.LBB348_172:
	s_and_b64 vcc, exec, s[52:53]
	s_cbranch_vccz .LBB348_175
; %bb.173:
	s_cmp_eq_u32 s56, 29
	s_mov_b64 s[0:1], -1
	s_cbranch_scc0 .LBB348_175
; %bb.174:
	s_mov_b32 s0, 0
	v_cndmask_b32_e64 v2, 0, 1, s[40:41]
	v_mov_b32_e32 v3, s0
	global_store_dwordx2 v[0:1], v[2:3], off
	s_mov_b64 s[48:49], -1
	s_mov_b64 s[0:1], 0
.LBB348_175:
	s_mov_b64 s[52:53], 0
.LBB348_176:
	s_and_b64 vcc, exec, s[52:53]
	s_cbranch_vccz .LBB348_192
; %bb.177:
	s_cmp_lt_i32 s56, 27
	s_mov_b64 s[48:49], -1
	s_cbranch_scc1 .LBB348_183
; %bb.178:
	s_cmp_gt_i32 s56, 27
	s_cbranch_scc0 .LBB348_180
; %bb.179:
	v_cndmask_b32_e64 v2, 0, 1, s[40:41]
	s_mov_b64 s[48:49], 0
	global_store_dword v[0:1], v2, off
.LBB348_180:
	s_andn2_b64 vcc, exec, s[48:49]
	s_cbranch_vccnz .LBB348_182
; %bb.181:
	v_cndmask_b32_e64 v2, 0, 1, s[40:41]
	global_store_short v[0:1], v2, off
.LBB348_182:
	s_mov_b64 s[48:49], 0
.LBB348_183:
	s_andn2_b64 vcc, exec, s[48:49]
	s_cbranch_vccnz .LBB348_191
; %bb.184:
	v_cndmask_b32_e64 v3, 0, 1.0, s[40:41]
	s_mov_b32 s48, 0x43800000
	v_cmp_gt_u32_e32 vcc, s48, v3
	v_mov_b32_e32 v4, 0x80
	s_and_saveexec_b64 s[48:49], vcc
	s_cbranch_execz .LBB348_190
; %bb.185:
	s_mov_b32 s52, 0x3bffffff
	v_cmp_lt_u32_e32 vcc, s52, v3
	s_mov_b64 s[52:53], 0
                                        ; implicit-def: $vgpr2
	s_and_saveexec_b64 s[54:55], vcc
	s_xor_b64 s[54:55], exec, s[54:55]
	s_cbranch_execz .LBB348_426
; %bb.186:
	v_bfe_u32 v2, v3, 20, 1
	s_mov_b32 s57, 0x487ffff
	v_add3_u32 v2, v3, v2, s57
	s_mov_b64 s[52:53], exec
	v_lshrrev_b32_e32 v2, 20, v2
                                        ; implicit-def: $vgpr3
	s_andn2_saveexec_b64 s[54:55], s[54:55]
	s_cbranch_execnz .LBB348_427
.LBB348_187:
	s_or_b64 exec, exec, s[54:55]
	v_mov_b32_e32 v4, 0
	s_and_saveexec_b64 s[54:55], s[52:53]
.LBB348_188:
	v_mov_b32_e32 v4, v2
.LBB348_189:
	s_or_b64 exec, exec, s[54:55]
.LBB348_190:
	s_or_b64 exec, exec, s[48:49]
	global_store_byte v[0:1], v4, off
.LBB348_191:
	s_mov_b64 s[48:49], -1
.LBB348_192:
	s_mov_b64 s[52:53], 0
.LBB348_193:
	s_and_b64 vcc, exec, s[52:53]
	s_cbranch_vccz .LBB348_234
; %bb.194:
	s_cmp_gt_i32 s56, 22
	s_mov_b64 s[52:53], -1
	s_cbranch_scc0 .LBB348_226
; %bb.195:
	s_cmp_lt_i32 s56, 24
	s_mov_b64 s[48:49], -1
	s_cbranch_scc1 .LBB348_215
; %bb.196:
	s_cmp_gt_i32 s56, 24
	s_cbranch_scc0 .LBB348_204
; %bb.197:
	v_cndmask_b32_e64 v3, 0, 1.0, s[40:41]
	s_mov_b32 s48, 0x47800000
	v_cmp_gt_u32_e32 vcc, s48, v3
	v_mov_b32_e32 v4, 0x80
	s_and_saveexec_b64 s[48:49], vcc
	s_cbranch_execz .LBB348_203
; %bb.198:
	s_mov_b32 s52, 0x37ffffff
	v_cmp_lt_u32_e32 vcc, s52, v3
	s_mov_b64 s[52:53], 0
                                        ; implicit-def: $vgpr2
	s_and_saveexec_b64 s[54:55], vcc
	s_xor_b64 s[54:55], exec, s[54:55]
	s_cbranch_execz .LBB348_541
; %bb.199:
	v_bfe_u32 v2, v3, 21, 1
	s_mov_b32 s57, 0x88fffff
	v_add3_u32 v2, v3, v2, s57
	s_mov_b64 s[52:53], exec
	v_lshrrev_b32_e32 v2, 21, v2
                                        ; implicit-def: $vgpr3
	s_andn2_saveexec_b64 s[54:55], s[54:55]
	s_cbranch_execnz .LBB348_542
.LBB348_200:
	s_or_b64 exec, exec, s[54:55]
	v_mov_b32_e32 v4, 0
	s_and_saveexec_b64 s[54:55], s[52:53]
.LBB348_201:
	v_mov_b32_e32 v4, v2
.LBB348_202:
	s_or_b64 exec, exec, s[54:55]
.LBB348_203:
	s_or_b64 exec, exec, s[48:49]
	s_mov_b64 s[48:49], 0
	global_store_byte v[0:1], v4, off
.LBB348_204:
	s_and_b64 vcc, exec, s[48:49]
	s_cbranch_vccz .LBB348_214
; %bb.205:
	v_cndmask_b32_e64 v2, 0, 1.0, s[40:41]
	s_mov_b32 s48, 0x43f00000
	v_cmp_gt_u32_e32 vcc, s48, v2
                                        ; implicit-def: $vgpr3
	s_and_saveexec_b64 s[48:49], vcc
	s_xor_b64 s[48:49], exec, s[48:49]
	s_cbranch_execz .LBB348_211
; %bb.206:
	s_mov_b32 s52, 0x3c7fffff
	v_cmp_lt_u32_e32 vcc, s52, v2
                                        ; implicit-def: $vgpr3
	s_and_saveexec_b64 s[52:53], vcc
	s_xor_b64 s[52:53], exec, s[52:53]
; %bb.207:
	v_bfe_u32 v3, v2, 20, 1
	s_mov_b32 s54, 0x407ffff
	v_add3_u32 v2, v2, v3, s54
	v_lshrrev_b32_e32 v3, 20, v2
	v_and_b32_e32 v2, 0xff00000, v2
	s_mov_b32 s54, 0x7f00000
	v_mov_b32_e32 v4, 0x7e
	v_cmp_ne_u32_e32 vcc, s54, v2
	v_cndmask_b32_e32 v3, v4, v3, vcc
                                        ; implicit-def: $vgpr2
; %bb.208:
	s_andn2_saveexec_b64 s[52:53], s[52:53]
; %bb.209:
	v_add_f32_e32 v3, 0x46800000, v2
; %bb.210:
	s_or_b64 exec, exec, s[52:53]
                                        ; implicit-def: $vgpr2
.LBB348_211:
	s_andn2_saveexec_b64 s[48:49], s[48:49]
; %bb.212:
	s_mov_b32 s52, 0x7f800000
	v_mov_b32_e32 v3, 0x7e
	v_mov_b32_e32 v4, 0x7f
	v_cmp_lt_u32_e32 vcc, s52, v2
	v_cndmask_b32_e32 v3, v3, v4, vcc
; %bb.213:
	s_or_b64 exec, exec, s[48:49]
	global_store_byte v[0:1], v3, off
.LBB348_214:
	s_mov_b64 s[48:49], 0
.LBB348_215:
	s_andn2_b64 vcc, exec, s[48:49]
	s_cbranch_vccnz .LBB348_225
; %bb.216:
	v_cndmask_b32_e64 v2, 0, 1.0, s[40:41]
	s_mov_b32 s48, 0x47800000
	v_cmp_gt_u32_e32 vcc, s48, v2
                                        ; implicit-def: $vgpr3
	s_and_saveexec_b64 s[48:49], vcc
	s_xor_b64 s[48:49], exec, s[48:49]
	s_cbranch_execz .LBB348_222
; %bb.217:
	s_mov_b32 s52, 0x387fffff
	v_cmp_lt_u32_e32 vcc, s52, v2
                                        ; implicit-def: $vgpr3
	s_and_saveexec_b64 s[52:53], vcc
	s_xor_b64 s[52:53], exec, s[52:53]
; %bb.218:
	v_bfe_u32 v3, v2, 21, 1
	s_mov_b32 s54, 0x80fffff
	v_add3_u32 v2, v2, v3, s54
	v_lshrrev_b32_e32 v3, 21, v2
                                        ; implicit-def: $vgpr2
; %bb.219:
	s_andn2_saveexec_b64 s[52:53], s[52:53]
; %bb.220:
	v_add_f32_e32 v3, 0x43000000, v2
; %bb.221:
	s_or_b64 exec, exec, s[52:53]
                                        ; implicit-def: $vgpr2
.LBB348_222:
	s_andn2_saveexec_b64 s[48:49], s[48:49]
; %bb.223:
	s_mov_b32 s52, 0x7f800000
	v_mov_b32_e32 v3, 0x7c
	v_mov_b32_e32 v4, 0x7f
	v_cmp_lt_u32_e32 vcc, s52, v2
	v_cndmask_b32_e32 v3, v3, v4, vcc
; %bb.224:
	s_or_b64 exec, exec, s[48:49]
	global_store_byte v[0:1], v3, off
.LBB348_225:
	s_mov_b64 s[52:53], 0
	s_mov_b64 s[48:49], -1
.LBB348_226:
	s_andn2_b64 vcc, exec, s[52:53]
	s_cbranch_vccnz .LBB348_234
; %bb.227:
	s_cmp_gt_i32 s56, 14
	s_mov_b64 s[52:53], -1
	s_cbranch_scc0 .LBB348_231
; %bb.228:
	s_cmp_eq_u32 s56, 15
	s_mov_b64 s[0:1], -1
	s_cbranch_scc0 .LBB348_230
; %bb.229:
	v_cndmask_b32_e64 v2, 0, 1.0, s[40:41]
	v_bfe_u32 v3, v2, 16, 1
	s_movk_i32 s0, 0x7fff
	v_add3_u32 v2, v2, v3, s0
	global_store_short_d16_hi v[0:1], v2, off
	s_mov_b64 s[48:49], -1
	s_mov_b64 s[0:1], 0
.LBB348_230:
	s_mov_b64 s[52:53], 0
.LBB348_231:
	s_and_b64 vcc, exec, s[52:53]
	s_cbranch_vccz .LBB348_234
; %bb.232:
	s_cmp_eq_u32 s56, 11
	s_mov_b64 s[0:1], -1
	s_cbranch_scc0 .LBB348_234
; %bb.233:
	v_cndmask_b32_e64 v2, 0, 1, s[40:41]
	s_mov_b64 s[48:49], -1
	s_mov_b64 s[0:1], 0
	global_store_byte v[0:1], v2, off
.LBB348_234:
	s_mov_b64 s[52:53], 0
.LBB348_235:
	s_and_b64 vcc, exec, s[52:53]
	s_cbranch_vccz .LBB348_274
; %bb.236:
	s_and_b32 s14, 0xffff, s14
	s_cmp_lt_i32 s14, 5
	s_mov_b64 s[48:49], -1
	s_cbranch_scc1 .LBB348_257
; %bb.237:
	s_cmp_lt_i32 s14, 8
	s_cbranch_scc1 .LBB348_247
; %bb.238:
	s_cmp_lt_i32 s14, 9
	s_cbranch_scc1 .LBB348_244
; %bb.239:
	s_cmp_gt_i32 s14, 9
	s_cbranch_scc0 .LBB348_241
; %bb.240:
	v_cndmask_b32_e64 v2, 0, 1, s[40:41]
	v_cvt_f64_u32_e32 v[2:3], v2
	v_mov_b32_e32 v4, 0
	v_mov_b32_e32 v5, v4
	s_mov_b64 s[48:49], 0
	global_store_dwordx4 v[0:1], v[2:5], off
.LBB348_241:
	s_andn2_b64 vcc, exec, s[48:49]
	s_cbranch_vccnz .LBB348_243
; %bb.242:
	v_cndmask_b32_e64 v2, 0, 1.0, s[40:41]
	v_mov_b32_e32 v3, 0
	global_store_dwordx2 v[0:1], v[2:3], off
.LBB348_243:
	s_mov_b64 s[48:49], 0
.LBB348_244:
	s_andn2_b64 vcc, exec, s[48:49]
	s_cbranch_vccnz .LBB348_246
; %bb.245:
	v_cndmask_b32_e64 v2, 0, 1.0, s[40:41]
	v_cvt_f16_f32_e32 v2, v2
	global_store_dword v[0:1], v2, off
.LBB348_246:
	s_mov_b64 s[48:49], 0
.LBB348_247:
	s_andn2_b64 vcc, exec, s[48:49]
	s_cbranch_vccnz .LBB348_256
; %bb.248:
	s_cmp_lt_i32 s14, 6
	s_mov_b64 s[48:49], -1
	s_cbranch_scc1 .LBB348_254
; %bb.249:
	s_cmp_gt_i32 s14, 6
	s_cbranch_scc0 .LBB348_251
; %bb.250:
	v_cndmask_b32_e64 v2, 0, 1, s[40:41]
	v_cvt_f64_u32_e32 v[2:3], v2
	s_mov_b64 s[48:49], 0
	global_store_dwordx2 v[0:1], v[2:3], off
.LBB348_251:
	s_andn2_b64 vcc, exec, s[48:49]
	s_cbranch_vccnz .LBB348_253
; %bb.252:
	v_cndmask_b32_e64 v2, 0, 1.0, s[40:41]
	global_store_dword v[0:1], v2, off
.LBB348_253:
	s_mov_b64 s[48:49], 0
.LBB348_254:
	s_andn2_b64 vcc, exec, s[48:49]
	s_cbranch_vccnz .LBB348_256
; %bb.255:
	v_cndmask_b32_e64 v2, 0, 1.0, s[40:41]
	v_cvt_f16_f32_e32 v2, v2
	global_store_short v[0:1], v2, off
.LBB348_256:
	s_mov_b64 s[48:49], 0
.LBB348_257:
	s_andn2_b64 vcc, exec, s[48:49]
	s_cbranch_vccnz .LBB348_273
; %bb.258:
	s_cmp_lt_i32 s14, 2
	s_mov_b64 s[48:49], -1
	s_cbranch_scc1 .LBB348_268
; %bb.259:
	s_cmp_lt_i32 s14, 3
	s_cbranch_scc1 .LBB348_265
; %bb.260:
	s_cmp_gt_i32 s14, 3
	s_cbranch_scc0 .LBB348_262
; %bb.261:
	s_mov_b32 s48, 0
	v_cndmask_b32_e64 v2, 0, 1, s[40:41]
	v_mov_b32_e32 v3, s48
	global_store_dwordx2 v[0:1], v[2:3], off
	s_mov_b64 s[48:49], 0
.LBB348_262:
	s_andn2_b64 vcc, exec, s[48:49]
	s_cbranch_vccnz .LBB348_264
; %bb.263:
	v_cndmask_b32_e64 v2, 0, 1, s[40:41]
	global_store_dword v[0:1], v2, off
.LBB348_264:
	s_mov_b64 s[48:49], 0
.LBB348_265:
	s_andn2_b64 vcc, exec, s[48:49]
	s_cbranch_vccnz .LBB348_267
; %bb.266:
	v_cndmask_b32_e64 v2, 0, 1, s[40:41]
	global_store_short v[0:1], v2, off
.LBB348_267:
	s_mov_b64 s[48:49], 0
.LBB348_268:
	s_andn2_b64 vcc, exec, s[48:49]
	s_cbranch_vccnz .LBB348_273
; %bb.269:
	s_cmp_gt_i32 s14, 0
	s_mov_b64 s[48:49], -1
	s_cbranch_scc0 .LBB348_271
; %bb.270:
	v_cndmask_b32_e64 v2, 0, 1, s[40:41]
	global_store_byte v[0:1], v2, off
	s_mov_b64 s[48:49], 0
.LBB348_271:
	s_andn2_b64 vcc, exec, s[48:49]
	s_cbranch_vccnz .LBB348_273
; %bb.272:
	v_cndmask_b32_e64 v2, 0, 1, s[40:41]
	global_store_byte v[0:1], v2, off
.LBB348_273:
	s_mov_b64 s[48:49], -1
.LBB348_274:
	s_andn2_b64 vcc, exec, s[48:49]
	s_cbranch_vccnz .LBB348_276
; %bb.275:
	v_add_u32_e32 v8, 0x80, v8
	s_mov_b64 s[48:49], -1
	s_branch .LBB348_385
.LBB348_276:
	s_mov_b64 s[48:49], 0
                                        ; implicit-def: $vgpr8
	s_branch .LBB348_385
.LBB348_277:
	s_mov_b64 s[42:43], -1
                                        ; implicit-def: $vgpr3
.LBB348_278:
	s_mov_b64 s[40:41], 0
.LBB348_279:
	s_and_b64 vcc, exec, s[40:41]
	s_cbranch_vccz .LBB348_283
; %bb.280:
	s_cmp_eq_u32 s48, 29
	s_cbranch_scc0 .LBB348_282
; %bb.281:
	global_load_dword v3, v[1:2], off
	s_mov_b64 s[0:1], -1
	s_mov_b64 s[42:43], 0
	s_branch .LBB348_283
.LBB348_282:
	s_mov_b64 s[42:43], -1
                                        ; implicit-def: $vgpr3
.LBB348_283:
	s_mov_b64 s[40:41], 0
.LBB348_284:
	s_and_b64 vcc, exec, s[40:41]
	s_cbranch_vccz .LBB348_300
; %bb.285:
	s_cmp_lt_i32 s48, 27
	s_cbranch_scc1 .LBB348_288
; %bb.286:
	s_cmp_gt_i32 s48, 27
	s_cbranch_scc0 .LBB348_289
; %bb.287:
	global_load_dword v3, v[1:2], off
	s_mov_b64 s[0:1], 0
	s_branch .LBB348_290
.LBB348_288:
	s_mov_b64 s[0:1], -1
                                        ; implicit-def: $vgpr3
	s_branch .LBB348_293
.LBB348_289:
	s_mov_b64 s[0:1], -1
                                        ; implicit-def: $vgpr3
.LBB348_290:
	s_andn2_b64 vcc, exec, s[0:1]
	s_cbranch_vccnz .LBB348_292
; %bb.291:
	global_load_ushort v3, v[1:2], off
.LBB348_292:
	s_mov_b64 s[0:1], 0
.LBB348_293:
	s_andn2_b64 vcc, exec, s[0:1]
	s_cbranch_vccnz .LBB348_299
; %bb.294:
	global_load_ubyte v4, v[1:2], off
	s_movk_i32 s0, 0x7f
	s_mov_b64 s[40:41], 0
	s_waitcnt vmcnt(0)
	v_cmp_lt_i16_e32 vcc, s0, v4
	s_and_saveexec_b64 s[0:1], vcc
	s_xor_b64 s[0:1], exec, s[0:1]
	s_cbranch_execz .LBB348_311
; %bb.295:
	s_movk_i32 s40, 0x80
	v_cmp_ne_u16_e32 vcc, s40, v4
	s_and_b64 s[40:41], vcc, exec
	s_andn2_saveexec_b64 s[0:1], s[0:1]
	s_cbranch_execnz .LBB348_312
.LBB348_296:
	s_or_b64 exec, exec, s[0:1]
	v_mov_b32_e32 v3, 0
	s_and_saveexec_b64 s[0:1], s[40:41]
	s_cbranch_execz .LBB348_298
.LBB348_297:
	v_lshlrev_b32_e32 v3, 24, v4
	v_and_b32_e32 v4, 0xffff, v4
	v_and_b32_e32 v6, 7, v4
	v_ffbh_u32_e32 v9, v6
	v_min_u32_e32 v9, 32, v9
	v_subrev_u32_e32 v10, 28, v9
	v_bfe_u32 v7, v4, 3, 4
	v_lshlrev_b32_e32 v4, v10, v4
	v_sub_u32_e32 v9, 29, v9
	v_and_b32_e32 v4, 7, v4
	v_cmp_eq_u32_e32 vcc, 0, v7
	v_cndmask_b32_e32 v7, v7, v9, vcc
	v_cndmask_b32_e32 v4, v6, v4, vcc
	v_mov_b32_e32 v6, 0x3b800000
	v_lshlrev_b32_e32 v4, 20, v4
	v_and_b32_e32 v3, 0x80000000, v3
	v_lshl_add_u32 v6, v7, 23, v6
	v_or3_b32 v3, v3, v6, v4
	v_cvt_u32_f32_e32 v3, v3
.LBB348_298:
	s_or_b64 exec, exec, s[0:1]
.LBB348_299:
	s_mov_b64 s[0:1], -1
.LBB348_300:
	s_mov_b64 s[40:41], 0
.LBB348_301:
	s_and_b64 vcc, exec, s[40:41]
	s_cbranch_vccz .LBB348_334
; %bb.302:
	s_cmp_gt_i32 s48, 22
	s_cbranch_scc0 .LBB348_310
; %bb.303:
	s_cmp_lt_i32 s48, 24
	s_cbranch_scc1 .LBB348_313
; %bb.304:
	s_cmp_gt_i32 s48, 24
	s_cbranch_scc0 .LBB348_314
; %bb.305:
	global_load_ubyte v4, v[1:2], off
	s_movk_i32 s0, 0x7f
	s_mov_b64 s[40:41], 0
	s_waitcnt vmcnt(0)
	v_cmp_lt_i16_e32 vcc, s0, v4
	s_and_saveexec_b64 s[0:1], vcc
	s_xor_b64 s[0:1], exec, s[0:1]
	s_cbranch_execz .LBB348_326
; %bb.306:
	s_movk_i32 s40, 0x80
	v_cmp_ne_u16_e32 vcc, s40, v4
	s_and_b64 s[40:41], vcc, exec
	s_andn2_saveexec_b64 s[0:1], s[0:1]
	s_cbranch_execnz .LBB348_327
.LBB348_307:
	s_or_b64 exec, exec, s[0:1]
	v_mov_b32_e32 v3, 0
	s_and_saveexec_b64 s[0:1], s[40:41]
	s_cbranch_execz .LBB348_309
.LBB348_308:
	v_lshlrev_b32_e32 v3, 24, v4
	v_and_b32_e32 v4, 0xffff, v4
	v_and_b32_e32 v6, 3, v4
	v_ffbh_u32_e32 v9, v6
	v_min_u32_e32 v9, 32, v9
	v_subrev_u32_e32 v10, 29, v9
	v_bfe_u32 v7, v4, 2, 5
	v_lshlrev_b32_e32 v4, v10, v4
	v_sub_u32_e32 v9, 30, v9
	v_and_b32_e32 v4, 3, v4
	v_cmp_eq_u32_e32 vcc, 0, v7
	v_cndmask_b32_e32 v7, v7, v9, vcc
	v_cndmask_b32_e32 v4, v6, v4, vcc
	v_mov_b32_e32 v6, 0x37800000
	v_lshlrev_b32_e32 v4, 21, v4
	v_and_b32_e32 v3, 0x80000000, v3
	v_lshl_add_u32 v6, v7, 23, v6
	v_or3_b32 v3, v3, v6, v4
	v_cvt_u32_f32_e32 v3, v3
.LBB348_309:
	s_or_b64 exec, exec, s[0:1]
	s_mov_b64 s[0:1], 0
	s_branch .LBB348_315
.LBB348_310:
	s_mov_b64 s[40:41], -1
                                        ; implicit-def: $vgpr3
	s_branch .LBB348_321
.LBB348_311:
	s_andn2_saveexec_b64 s[0:1], s[0:1]
	s_cbranch_execz .LBB348_296
.LBB348_312:
	v_cmp_ne_u16_e32 vcc, 0, v4
	s_andn2_b64 s[40:41], s[40:41], exec
	s_and_b64 s[52:53], vcc, exec
	s_or_b64 s[40:41], s[40:41], s[52:53]
	s_or_b64 exec, exec, s[0:1]
	v_mov_b32_e32 v3, 0
	s_and_saveexec_b64 s[0:1], s[40:41]
	s_cbranch_execnz .LBB348_297
	s_branch .LBB348_298
.LBB348_313:
	s_mov_b64 s[0:1], -1
                                        ; implicit-def: $vgpr3
	s_branch .LBB348_318
.LBB348_314:
	s_mov_b64 s[0:1], -1
                                        ; implicit-def: $vgpr3
.LBB348_315:
	s_and_b64 vcc, exec, s[0:1]
	s_cbranch_vccz .LBB348_317
; %bb.316:
	global_load_ubyte v3, v[1:2], off
	s_mov_b32 s0, 0x7f800000
	s_waitcnt vmcnt(0)
	v_lshlrev_b32_e32 v3, 24, v3
	v_and_b32_e32 v4, 0x7f000000, v3
	v_ffbh_u32_e32 v6, v4
	v_min_u32_e32 v6, 32, v6
	v_sub_u32_e64 v6, v6, 4 clamp
	v_lshlrev_b32_e32 v9, v6, v4
	v_lshlrev_b32_e32 v6, 23, v6
	v_lshrrev_b32_e32 v9, 4, v9
	v_add_u32_e32 v7, 0x1000000, v4
	v_sub_u32_e32 v6, v9, v6
	v_ashrrev_i32_e32 v7, 8, v7
	v_add_u32_e32 v6, 0x3c000000, v6
	v_and_or_b32 v6, v7, s0, v6
	v_cmp_ne_u32_e32 vcc, 0, v4
	v_cndmask_b32_e32 v4, 0, v6, vcc
	s_brev_b32 s0, 1
	v_and_or_b32 v3, v3, s0, v4
	v_cvt_u32_f32_e32 v3, v3
.LBB348_317:
	s_mov_b64 s[0:1], 0
.LBB348_318:
	s_andn2_b64 vcc, exec, s[0:1]
	s_cbranch_vccnz .LBB348_320
; %bb.319:
	global_load_ubyte v3, v[1:2], off
	s_movk_i32 s0, 0x7f00
	s_brev_b32 s1, 16
	s_waitcnt vmcnt(0)
	v_lshlrev_b16_e32 v4, 8, v3
	v_lshlrev_b32_e32 v3, 25, v3
	v_lshrrev_b32_e32 v6, 4, v3
	v_and_or_b32 v7, v4, s0, 0.5
	v_or_b32_e32 v6, 0x70000000, v6
	v_add_f32_e32 v7, -0.5, v7
	v_mul_f32_e32 v6, 0x7800000, v6
	v_cmp_gt_u32_e32 vcc, s1, v3
	v_bfe_i32 v4, v4, 0, 16
	v_cndmask_b32_e32 v3, v6, v7, vcc
	s_brev_b32 s0, 1
	v_and_or_b32 v3, v4, s0, v3
	v_cvt_u32_f32_e32 v3, v3
.LBB348_320:
	s_mov_b64 s[40:41], 0
	s_mov_b64 s[0:1], -1
.LBB348_321:
	s_andn2_b64 vcc, exec, s[40:41]
	s_cbranch_vccnz .LBB348_334
; %bb.322:
	s_cmp_gt_i32 s48, 14
	s_cbranch_scc0 .LBB348_325
; %bb.323:
	s_cmp_eq_u32 s48, 15
	s_cbranch_scc0 .LBB348_328
; %bb.324:
	global_load_ushort v3, v[1:2], off
	s_mov_b64 s[0:1], -1
	s_mov_b64 s[42:43], 0
	s_waitcnt vmcnt(0)
	v_lshlrev_b32_e32 v3, 16, v3
	v_cvt_u32_f32_e32 v3, v3
	s_branch .LBB348_329
.LBB348_325:
	s_mov_b64 s[40:41], -1
                                        ; implicit-def: $vgpr3
	s_branch .LBB348_330
.LBB348_326:
	s_andn2_saveexec_b64 s[0:1], s[0:1]
	s_cbranch_execz .LBB348_307
.LBB348_327:
	v_cmp_ne_u16_e32 vcc, 0, v4
	s_andn2_b64 s[40:41], s[40:41], exec
	s_and_b64 s[52:53], vcc, exec
	s_or_b64 s[40:41], s[40:41], s[52:53]
	s_or_b64 exec, exec, s[0:1]
	v_mov_b32_e32 v3, 0
	s_and_saveexec_b64 s[0:1], s[40:41]
	s_cbranch_execnz .LBB348_308
	s_branch .LBB348_309
.LBB348_328:
	s_mov_b64 s[42:43], -1
                                        ; implicit-def: $vgpr3
.LBB348_329:
	s_mov_b64 s[40:41], 0
.LBB348_330:
	s_and_b64 vcc, exec, s[40:41]
	s_cbranch_vccz .LBB348_334
; %bb.331:
	s_cmp_eq_u32 s48, 11
	s_cbranch_scc0 .LBB348_333
; %bb.332:
	global_load_ubyte v3, v[1:2], off
	s_mov_b64 s[0:1], -1
	s_mov_b64 s[42:43], 0
	s_waitcnt vmcnt(0)
	v_cmp_ne_u16_e32 vcc, 0, v3
	v_cndmask_b32_e64 v3, 0, 1, vcc
	s_branch .LBB348_334
.LBB348_333:
	s_mov_b64 s[42:43], -1
                                        ; implicit-def: $vgpr3
.LBB348_334:
	s_branch .LBB348_31
.LBB348_335:
	s_and_b32 s14, 0xffff, s14
	s_cmp_lt_i32 s14, 5
	s_cbranch_scc1 .LBB348_340
; %bb.336:
	s_cmp_lt_i32 s14, 8
	s_cbranch_scc1 .LBB348_341
; %bb.337:
	;; [unrolled: 3-line block ×3, first 2 shown]
	s_cmp_gt_i32 s14, 9
	s_cbranch_scc0 .LBB348_343
; %bb.339:
	global_load_dwordx2 v[3:4], v[1:2], off
	s_mov_b64 s[0:1], 0
	s_waitcnt vmcnt(0)
	v_cvt_u32_f64_e32 v3, v[3:4]
	s_branch .LBB348_344
.LBB348_340:
	s_mov_b64 s[0:1], -1
                                        ; implicit-def: $vgpr3
	s_branch .LBB348_362
.LBB348_341:
	s_mov_b64 s[0:1], -1
                                        ; implicit-def: $vgpr3
	s_branch .LBB348_350
.LBB348_342:
	s_mov_b64 s[0:1], -1
                                        ; implicit-def: $vgpr3
	s_branch .LBB348_347
.LBB348_343:
	s_mov_b64 s[0:1], -1
                                        ; implicit-def: $vgpr3
.LBB348_344:
	s_andn2_b64 vcc, exec, s[0:1]
	s_cbranch_vccnz .LBB348_346
; %bb.345:
	global_load_dword v3, v[1:2], off
	s_waitcnt vmcnt(0)
	v_cvt_u32_f32_e32 v3, v3
.LBB348_346:
	s_mov_b64 s[0:1], 0
.LBB348_347:
	s_andn2_b64 vcc, exec, s[0:1]
	s_cbranch_vccnz .LBB348_349
; %bb.348:
	global_load_dword v3, v[1:2], off
	s_waitcnt vmcnt(0)
	v_cvt_f32_f16_e32 v3, v3
	v_cvt_u32_f32_e32 v3, v3
.LBB348_349:
	s_mov_b64 s[0:1], 0
.LBB348_350:
	s_andn2_b64 vcc, exec, s[0:1]
	s_cbranch_vccnz .LBB348_361
; %bb.351:
	s_cmp_lt_i32 s14, 6
	s_cbranch_scc1 .LBB348_354
; %bb.352:
	s_cmp_gt_i32 s14, 6
	s_cbranch_scc0 .LBB348_355
; %bb.353:
	global_load_dwordx2 v[3:4], v[1:2], off
	s_mov_b64 s[0:1], 0
	s_waitcnt vmcnt(0)
	v_cvt_u32_f64_e32 v3, v[3:4]
	s_branch .LBB348_356
.LBB348_354:
	s_mov_b64 s[0:1], -1
                                        ; implicit-def: $vgpr3
	s_branch .LBB348_359
.LBB348_355:
	s_mov_b64 s[0:1], -1
                                        ; implicit-def: $vgpr3
.LBB348_356:
	s_andn2_b64 vcc, exec, s[0:1]
	s_cbranch_vccnz .LBB348_358
; %bb.357:
	global_load_dword v3, v[1:2], off
	s_waitcnt vmcnt(0)
	v_cvt_u32_f32_e32 v3, v3
.LBB348_358:
	s_mov_b64 s[0:1], 0
.LBB348_359:
	s_andn2_b64 vcc, exec, s[0:1]
	s_cbranch_vccnz .LBB348_361
; %bb.360:
	global_load_ushort v3, v[1:2], off
	s_waitcnt vmcnt(0)
	v_cvt_f32_f16_e32 v3, v3
	v_cvt_u32_f32_e32 v3, v3
.LBB348_361:
	s_mov_b64 s[0:1], 0
.LBB348_362:
	s_andn2_b64 vcc, exec, s[0:1]
	s_cbranch_vccnz .LBB348_382
; %bb.363:
	s_cmp_lt_i32 s14, 2
	s_cbranch_scc1 .LBB348_367
; %bb.364:
	s_cmp_lt_i32 s14, 3
	s_cbranch_scc1 .LBB348_368
; %bb.365:
	s_cmp_gt_i32 s14, 3
	s_cbranch_scc0 .LBB348_369
; %bb.366:
	global_load_dword v3, v[1:2], off
	s_mov_b64 s[0:1], 0
	s_branch .LBB348_370
.LBB348_367:
	s_mov_b64 s[0:1], -1
                                        ; implicit-def: $vgpr3
	s_branch .LBB348_376
.LBB348_368:
	s_mov_b64 s[0:1], -1
                                        ; implicit-def: $vgpr3
	s_branch .LBB348_373
.LBB348_369:
	s_mov_b64 s[0:1], -1
                                        ; implicit-def: $vgpr3
.LBB348_370:
	s_andn2_b64 vcc, exec, s[0:1]
	s_cbranch_vccnz .LBB348_372
; %bb.371:
	global_load_dword v3, v[1:2], off
.LBB348_372:
	s_mov_b64 s[0:1], 0
.LBB348_373:
	s_andn2_b64 vcc, exec, s[0:1]
	s_cbranch_vccnz .LBB348_375
; %bb.374:
	global_load_sshort v3, v[1:2], off
.LBB348_375:
	s_mov_b64 s[0:1], 0
.LBB348_376:
	s_andn2_b64 vcc, exec, s[0:1]
	s_cbranch_vccnz .LBB348_382
; %bb.377:
	s_cmp_gt_i32 s14, 0
	s_cbranch_scc0 .LBB348_379
; %bb.378:
	global_load_sbyte v3, v[1:2], off
	s_mov_b64 s[0:1], 0
	s_branch .LBB348_380
.LBB348_379:
	s_mov_b64 s[0:1], -1
                                        ; implicit-def: $vgpr3
.LBB348_380:
	s_andn2_b64 vcc, exec, s[0:1]
	s_cbranch_vccnz .LBB348_382
; %bb.381:
	global_load_ubyte v3, v[1:2], off
.LBB348_382:
	s_branch .LBB348_32
.LBB348_383:
	s_mov_b64 s[0:1], 0
.LBB348_384:
                                        ; implicit-def: $vgpr8
	s_mov_b64 s[48:49], 0
.LBB348_385:
	s_and_b64 s[40:41], s[0:1], exec
	s_and_b64 s[42:43], s[42:43], exec
	;; [unrolled: 1-line block ×3, first 2 shown]
	s_orn2_b64 s[0:1], s[48:49], exec
.LBB348_386:
	s_or_b64 exec, exec, s[46:47]
	s_mov_b64 s[54:55], 0
	s_mov_b64 s[52:53], 0
                                        ; implicit-def: $sgpr14
                                        ; implicit-def: $vgpr3_vgpr4
                                        ; implicit-def: $vgpr0
                                        ; implicit-def: $vgpr2
                                        ; implicit-def: $vgpr5
	s_and_saveexec_b64 s[46:47], s[0:1]
	s_cbranch_execz .LBB348_394
; %bb.387:
	v_cmp_gt_i32_e32 vcc, s70, v8
	s_mov_b64 s[0:1], -1
	s_mov_b64 s[48:49], s[44:45]
	s_mov_b64 s[50:51], s[42:43]
	;; [unrolled: 1-line block ×3, first 2 shown]
	s_and_saveexec_b64 s[54:55], vcc
	s_cbranch_execz .LBB348_779
; %bb.388:
	s_andn2_b64 vcc, exec, s[24:25]
	s_cbranch_vccnz .LBB348_397
; %bb.389:
	s_andn2_b64 vcc, exec, s[38:39]
	s_cbranch_vccnz .LBB348_398
; %bb.390:
	s_add_i32 s0, s75, 1
	s_and_b32 s14, s0, 30
	s_add_u32 s0, s2, 0xffffffe8
	s_addc_u32 s1, s3, -1
	v_mov_b32_e32 v2, 0
	v_mov_b32_e32 v4, 0
	;; [unrolled: 1-line block ×4, first 2 shown]
.LBB348_391:                            ; =>This Inner Loop Header: Depth=1
	s_load_dwordx4 s[48:51], s[0:1], 0x1c
	s_load_dwordx2 s[52:53], s[0:1], 0x2c
	s_load_dwordx2 s[60:61], s[0:1], 0xec
	s_load_dwordx4 s[56:59], s[0:1], 0xdc
	s_add_u32 s0, s0, 24
	s_waitcnt vmcnt(0) lgkmcnt(0)
	v_mul_hi_u32 v3, s49, v1
	s_addc_u32 s1, s1, 0
	s_add_i32 s14, s14, -2
	s_cmp_eq_u32 s14, 0
	v_add_u32_e32 v3, v1, v3
	v_lshrrev_b32_e32 v3, s50, v3
	v_mul_lo_u32 v5, v3, s48
	v_mul_hi_u32 v6, s52, v3
	v_sub_u32_e32 v5, v1, v5
	v_add_u32_e32 v1, v3, v6
	v_lshrrev_b32_e32 v1, s53, v1
	v_mul_lo_u32 v9, v1, s51
	v_mul_lo_u32 v6, v5, s56
	v_mul_lo_u32 v7, v5, s57
	v_mul_lo_u32 v5, v5, s58
	v_sub_u32_e32 v3, v3, v9
	v_mul_lo_u32 v9, v3, s59
	v_mul_lo_u32 v10, v3, s60
	;; [unrolled: 1-line block ×3, first 2 shown]
	v_add3_u32 v0, v6, v0, v9
	v_add3_u32 v4, v7, v4, v10
	v_add3_u32 v2, v5, v2, v3
	s_cbranch_scc0 .LBB348_391
; %bb.392:
	s_bitcmp1_b32 s75, 0
	s_cselect_b64 s[48:49], -1, 0
	s_and_b64 vcc, exec, s[48:49]
	s_cbranch_vccnz .LBB348_399
; %bb.393:
	s_load_dwordx2 s[48:49], s[0:1], 0x1c
	s_load_dword s14, s[0:1], 0x24
	s_load_dwordx2 s[50:51], s[0:1], 0xdc
	s_waitcnt lgkmcnt(0)
	v_mul_hi_u32 v3, s49, v1
	v_add_u32_e32 v3, v1, v3
	v_lshrrev_b32_e32 v3, s14, v3
	v_mul_lo_u32 v3, v3, s48
	s_load_dword s14, s[0:1], 0xe4
	v_sub_u32_e32 v3, v1, v3
	v_mad_u64_u32 v[0:1], s[0:1], v3, s50, v[0:1]
	v_mad_u64_u32 v[4:5], s[0:1], v3, s51, v[4:5]
	s_waitcnt lgkmcnt(0)
	v_mad_u64_u32 v[2:3], s[0:1], v3, s14, v[2:3]
	s_branch .LBB348_399
.LBB348_394:
	s_or_b64 exec, exec, s[46:47]
	s_mov_b64 s[10:11], 0
	s_and_saveexec_b64 s[0:1], s[44:45]
	s_cbranch_execnz .LBB348_1265
.LBB348_395:
	s_or_b64 exec, exec, s[0:1]
	s_and_saveexec_b64 s[0:1], s[50:51]
	s_xor_b64 s[0:1], exec, s[0:1]
	s_cbranch_execz .LBB348_1266
.LBB348_396:
	s_waitcnt vmcnt(0)
	global_load_ubyte v1, v[3:4], off
	s_or_b64 s[52:53], s[52:53], exec
	s_waitcnt vmcnt(0)
	v_cmp_ne_u16_e32 vcc, 0, v1
	v_cndmask_b32_e64 v5, 0, 1, vcc
	s_or_b64 exec, exec, s[0:1]
	s_and_saveexec_b64 s[0:1], s[54:55]
	s_cbranch_execz .LBB348_1312
	s_branch .LBB348_1267
.LBB348_397:
                                        ; implicit-def: $vgpr0
                                        ; implicit-def: $vgpr4
                                        ; implicit-def: $vgpr2
	s_andn2_b64 vcc, exec, s[0:1]
	s_cbranch_vccz .LBB348_400
	s_branch .LBB348_402
.LBB348_398:
	v_mov_b32_e32 v0, 0
	v_mov_b32_e32 v4, 0
	v_mov_b32_e32 v2, 0
.LBB348_399:
	s_cbranch_execnz .LBB348_402
.LBB348_400:
	v_mul_hi_u32 v0, s17, v8
	s_andn2_b64 vcc, exec, s[36:37]
	v_add_u32_e32 v0, v8, v0
	v_lshrrev_b32_e32 v1, s18, v0
	v_mul_lo_u32 v0, v1, s16
	v_sub_u32_e32 v2, v8, v0
	v_mul_lo_u32 v0, v2, s20
	v_mul_lo_u32 v4, v2, s21
	;; [unrolled: 1-line block ×3, first 2 shown]
	s_cbranch_vccnz .LBB348_402
; %bb.401:
	s_waitcnt vmcnt(0)
	v_mul_hi_u32 v3, s34, v1
	v_add_u32_e32 v3, v1, v3
	v_lshrrev_b32_e32 v3, s35, v3
	v_mul_lo_u32 v3, v3, s19
	v_sub_u32_e32 v3, v1, v3
	v_mad_u64_u32 v[0:1], s[0:1], v3, s23, v[0:1]
	v_mad_u64_u32 v[4:5], s[0:1], v3, s30, v[4:5]
	;; [unrolled: 1-line block ×3, first 2 shown]
.LBB348_402:
	v_mov_b32_e32 v1, s11
	s_and_b32 s14, s74, 0xff
	s_waitcnt vmcnt(0)
	v_add_co_u32_e32 v3, vcc, s10, v4
	s_cmp_lt_i32 s14, 11
	v_addc_co_u32_e32 v4, vcc, 0, v1, vcc
	s_cbranch_scc1 .LBB348_409
; %bb.403:
	s_and_b32 s52, 0xffff, s14
	s_cmp_gt_i32 s52, 25
	s_cbranch_scc0 .LBB348_418
; %bb.404:
	s_cmp_gt_i32 s52, 28
	s_cbranch_scc0 .LBB348_420
; %bb.405:
	;; [unrolled: 3-line block ×4, first 2 shown]
	s_cmp_eq_u32 s52, 46
	s_mov_b64 s[50:51], 0
	s_cbranch_scc0 .LBB348_428
; %bb.408:
	global_load_dword v1, v[3:4], off
	s_mov_b64 s[0:1], -1
	s_mov_b64 s[48:49], 0
	s_waitcnt vmcnt(0)
	v_lshlrev_b32_e32 v1, 16, v1
	v_cvt_u32_f32_e32 v5, v1
	s_branch .LBB348_429
.LBB348_409:
	s_mov_b64 s[0:1], 0
                                        ; implicit-def: $vgpr5
	s_mov_b64 s[48:49], s[44:45]
	s_cbranch_execnz .LBB348_491
.LBB348_410:
	s_andn2_b64 vcc, exec, s[0:1]
	s_cbranch_vccnz .LBB348_539
.LBB348_411:
	v_mov_b32_e32 v3, s13
	s_and_b32 s14, s73, 0xff
	v_add_co_u32_e32 v1, vcc, s12, v2
	s_cmp_lt_i32 s14, 11
	v_addc_co_u32_e32 v2, vcc, 0, v3, vcc
	s_cbranch_scc1 .LBB348_419
; %bb.412:
	s_and_b32 s56, 0xffff, s14
	s_cmp_gt_i32 s56, 25
	s_cbranch_scc0 .LBB348_421
; %bb.413:
	s_cmp_gt_i32 s56, 28
	s_cbranch_scc0 .LBB348_423
; %bb.414:
	;; [unrolled: 3-line block ×4, first 2 shown]
	s_cmp_eq_u32 s56, 46
	s_mov_b64 s[52:53], 0
	s_cbranch_scc0 .LBB348_543
; %bb.417:
	global_load_dword v3, v[1:2], off
	s_mov_b64 s[0:1], -1
	s_mov_b64 s[50:51], 0
	s_waitcnt vmcnt(0)
	v_lshlrev_b32_e32 v3, 16, v3
	v_cvt_u32_f32_e32 v3, v3
	s_branch .LBB348_544
.LBB348_418:
	s_mov_b64 s[50:51], -1
	s_mov_b64 s[0:1], 0
	s_mov_b64 s[48:49], s[44:45]
                                        ; implicit-def: $vgpr5
	s_branch .LBB348_457
.LBB348_419:
	s_mov_b64 s[52:53], -1
	s_mov_b64 s[0:1], 0
                                        ; implicit-def: $vgpr3
	s_mov_b64 s[50:51], s[42:43]
	s_branch .LBB348_605
.LBB348_420:
	s_mov_b64 s[50:51], -1
	s_mov_b64 s[0:1], 0
	s_mov_b64 s[48:49], s[44:45]
                                        ; implicit-def: $vgpr5
	s_branch .LBB348_440
.LBB348_421:
	s_mov_b64 s[52:53], -1
	s_mov_b64 s[0:1], 0
	s_mov_b64 s[50:51], s[42:43]
                                        ; implicit-def: $vgpr3
	s_branch .LBB348_571
.LBB348_422:
	s_mov_b64 s[50:51], -1
	s_mov_b64 s[0:1], 0
	s_mov_b64 s[48:49], s[44:45]
                                        ; implicit-def: $vgpr5
	s_branch .LBB348_435
.LBB348_423:
	s_mov_b64 s[52:53], -1
	s_mov_b64 s[0:1], 0
	s_mov_b64 s[50:51], s[42:43]
                                        ; implicit-def: $vgpr3
	s_branch .LBB348_554
.LBB348_424:
	s_mov_b64 s[50:51], -1
	s_mov_b64 s[0:1], 0
	s_mov_b64 s[48:49], s[44:45]
                                        ; implicit-def: $vgpr5
	s_branch .LBB348_429
.LBB348_425:
	s_mov_b64 s[52:53], -1
	s_mov_b64 s[0:1], 0
	s_mov_b64 s[50:51], s[42:43]
                                        ; implicit-def: $vgpr3
	s_branch .LBB348_549
.LBB348_426:
	s_andn2_saveexec_b64 s[54:55], s[54:55]
	s_cbranch_execz .LBB348_187
.LBB348_427:
	v_add_f32_e32 v2, 0x46000000, v3
	v_and_b32_e32 v2, 0xff, v2
	v_cmp_ne_u32_e32 vcc, 0, v2
	s_andn2_b64 s[52:53], s[52:53], exec
	s_and_b64 s[58:59], vcc, exec
	s_or_b64 s[52:53], s[52:53], s[58:59]
	s_or_b64 exec, exec, s[54:55]
	v_mov_b32_e32 v4, 0
	s_and_saveexec_b64 s[54:55], s[52:53]
	s_cbranch_execnz .LBB348_188
	s_branch .LBB348_189
.LBB348_428:
	s_mov_b64 s[48:49], -1
                                        ; implicit-def: $vgpr5
	s_mov_b64 s[0:1], 0
.LBB348_429:
	s_and_b64 vcc, exec, s[50:51]
	s_cbranch_vccz .LBB348_434
; %bb.430:
	s_cmp_eq_u32 s52, 44
	s_cbranch_scc0 .LBB348_433
; %bb.431:
	global_load_ubyte v1, v[3:4], off
	s_mov_b64 s[0:1], -1
	s_mov_b64 s[48:49], 0
	s_waitcnt vmcnt(0)
	v_lshlrev_b32_e32 v5, 23, v1
	v_cvt_u32_f32_e32 v5, v5
	v_cmp_ne_u32_e32 vcc, 0, v1
	v_cndmask_b32_e32 v5, 0, v5, vcc
	s_branch .LBB348_434
.LBB348_432:
	s_mov_b64 s[52:53], -1
	s_mov_b64 s[0:1], 0
	s_mov_b64 s[50:51], s[42:43]
                                        ; implicit-def: $vgpr3
	s_branch .LBB348_544
.LBB348_433:
	s_mov_b64 s[48:49], -1
                                        ; implicit-def: $vgpr5
.LBB348_434:
	s_mov_b64 s[50:51], 0
.LBB348_435:
	s_and_b64 vcc, exec, s[50:51]
	s_cbranch_vccz .LBB348_439
; %bb.436:
	s_cmp_eq_u32 s52, 29
	s_cbranch_scc0 .LBB348_438
; %bb.437:
	global_load_dword v5, v[3:4], off
	s_mov_b64 s[0:1], -1
	s_mov_b64 s[48:49], 0
	s_branch .LBB348_439
.LBB348_438:
	s_mov_b64 s[48:49], -1
                                        ; implicit-def: $vgpr5
.LBB348_439:
	s_mov_b64 s[50:51], 0
.LBB348_440:
	s_and_b64 vcc, exec, s[50:51]
	s_cbranch_vccz .LBB348_456
; %bb.441:
	s_cmp_lt_i32 s52, 27
	s_cbranch_scc1 .LBB348_444
; %bb.442:
	s_cmp_gt_i32 s52, 27
	s_cbranch_scc0 .LBB348_445
; %bb.443:
	global_load_dword v5, v[3:4], off
	s_mov_b64 s[0:1], 0
	s_branch .LBB348_446
.LBB348_444:
	s_mov_b64 s[0:1], -1
                                        ; implicit-def: $vgpr5
	s_branch .LBB348_449
.LBB348_445:
	s_mov_b64 s[0:1], -1
                                        ; implicit-def: $vgpr5
.LBB348_446:
	s_andn2_b64 vcc, exec, s[0:1]
	s_cbranch_vccnz .LBB348_448
; %bb.447:
	global_load_ushort v5, v[3:4], off
.LBB348_448:
	s_mov_b64 s[0:1], 0
.LBB348_449:
	s_andn2_b64 vcc, exec, s[0:1]
	s_cbranch_vccnz .LBB348_455
; %bb.450:
	global_load_ubyte v1, v[3:4], off
	s_movk_i32 s0, 0x7f
	s_mov_b64 s[50:51], 0
	s_waitcnt vmcnt(0)
	v_cmp_lt_i16_e32 vcc, s0, v1
	s_and_saveexec_b64 s[0:1], vcc
	s_xor_b64 s[0:1], exec, s[0:1]
	s_cbranch_execz .LBB348_467
; %bb.451:
	s_movk_i32 s50, 0x80
	v_cmp_ne_u16_e32 vcc, s50, v1
	s_and_b64 s[50:51], vcc, exec
	s_andn2_saveexec_b64 s[0:1], s[0:1]
	s_cbranch_execnz .LBB348_468
.LBB348_452:
	s_or_b64 exec, exec, s[0:1]
	v_mov_b32_e32 v5, 0
	s_and_saveexec_b64 s[0:1], s[50:51]
	s_cbranch_execz .LBB348_454
.LBB348_453:
	v_lshlrev_b32_e32 v5, 24, v1
	v_and_b32_e32 v1, 0xffff, v1
	v_and_b32_e32 v6, 7, v1
	v_ffbh_u32_e32 v9, v6
	v_min_u32_e32 v9, 32, v9
	v_subrev_u32_e32 v10, 28, v9
	v_bfe_u32 v7, v1, 3, 4
	v_lshlrev_b32_e32 v1, v10, v1
	v_sub_u32_e32 v9, 29, v9
	v_and_b32_e32 v1, 7, v1
	v_cmp_eq_u32_e32 vcc, 0, v7
	v_cndmask_b32_e32 v7, v7, v9, vcc
	v_cndmask_b32_e32 v1, v6, v1, vcc
	v_mov_b32_e32 v6, 0x3b800000
	v_lshlrev_b32_e32 v1, 20, v1
	v_and_b32_e32 v5, 0x80000000, v5
	v_lshl_add_u32 v6, v7, 23, v6
	v_or3_b32 v1, v5, v6, v1
	v_cvt_u32_f32_e32 v5, v1
.LBB348_454:
	s_or_b64 exec, exec, s[0:1]
.LBB348_455:
	s_mov_b64 s[0:1], -1
.LBB348_456:
	s_mov_b64 s[50:51], 0
.LBB348_457:
	s_and_b64 vcc, exec, s[50:51]
	s_cbranch_vccz .LBB348_490
; %bb.458:
	s_cmp_gt_i32 s52, 22
	s_cbranch_scc0 .LBB348_466
; %bb.459:
	s_cmp_lt_i32 s52, 24
	s_cbranch_scc1 .LBB348_469
; %bb.460:
	s_cmp_gt_i32 s52, 24
	s_cbranch_scc0 .LBB348_470
; %bb.461:
	global_load_ubyte v1, v[3:4], off
	s_movk_i32 s0, 0x7f
	s_mov_b64 s[50:51], 0
	s_waitcnt vmcnt(0)
	v_cmp_lt_i16_e32 vcc, s0, v1
	s_and_saveexec_b64 s[0:1], vcc
	s_xor_b64 s[0:1], exec, s[0:1]
	s_cbranch_execz .LBB348_482
; %bb.462:
	s_movk_i32 s50, 0x80
	v_cmp_ne_u16_e32 vcc, s50, v1
	s_and_b64 s[50:51], vcc, exec
	s_andn2_saveexec_b64 s[0:1], s[0:1]
	s_cbranch_execnz .LBB348_483
.LBB348_463:
	s_or_b64 exec, exec, s[0:1]
	v_mov_b32_e32 v5, 0
	s_and_saveexec_b64 s[0:1], s[50:51]
	s_cbranch_execz .LBB348_465
.LBB348_464:
	v_lshlrev_b32_e32 v5, 24, v1
	v_and_b32_e32 v1, 0xffff, v1
	v_and_b32_e32 v6, 3, v1
	v_ffbh_u32_e32 v9, v6
	v_min_u32_e32 v9, 32, v9
	v_subrev_u32_e32 v10, 29, v9
	v_bfe_u32 v7, v1, 2, 5
	v_lshlrev_b32_e32 v1, v10, v1
	v_sub_u32_e32 v9, 30, v9
	v_and_b32_e32 v1, 3, v1
	v_cmp_eq_u32_e32 vcc, 0, v7
	v_cndmask_b32_e32 v7, v7, v9, vcc
	v_cndmask_b32_e32 v1, v6, v1, vcc
	v_mov_b32_e32 v6, 0x37800000
	v_lshlrev_b32_e32 v1, 21, v1
	v_and_b32_e32 v5, 0x80000000, v5
	v_lshl_add_u32 v6, v7, 23, v6
	v_or3_b32 v1, v5, v6, v1
	v_cvt_u32_f32_e32 v5, v1
.LBB348_465:
	s_or_b64 exec, exec, s[0:1]
	s_mov_b64 s[0:1], 0
	s_branch .LBB348_471
.LBB348_466:
	s_mov_b64 s[50:51], -1
                                        ; implicit-def: $vgpr5
	s_branch .LBB348_477
.LBB348_467:
	s_andn2_saveexec_b64 s[0:1], s[0:1]
	s_cbranch_execz .LBB348_452
.LBB348_468:
	v_cmp_ne_u16_e32 vcc, 0, v1
	s_andn2_b64 s[50:51], s[50:51], exec
	s_and_b64 s[56:57], vcc, exec
	s_or_b64 s[50:51], s[50:51], s[56:57]
	s_or_b64 exec, exec, s[0:1]
	v_mov_b32_e32 v5, 0
	s_and_saveexec_b64 s[0:1], s[50:51]
	s_cbranch_execnz .LBB348_453
	s_branch .LBB348_454
.LBB348_469:
	s_mov_b64 s[0:1], -1
                                        ; implicit-def: $vgpr5
	s_branch .LBB348_474
.LBB348_470:
	s_mov_b64 s[0:1], -1
                                        ; implicit-def: $vgpr5
.LBB348_471:
	s_and_b64 vcc, exec, s[0:1]
	s_cbranch_vccz .LBB348_473
; %bb.472:
	global_load_ubyte v1, v[3:4], off
	s_mov_b32 s0, 0x7f800000
	s_waitcnt vmcnt(0)
	v_lshlrev_b32_e32 v1, 24, v1
	v_and_b32_e32 v5, 0x7f000000, v1
	v_ffbh_u32_e32 v6, v5
	v_min_u32_e32 v6, 32, v6
	v_sub_u32_e64 v6, v6, 4 clamp
	v_lshlrev_b32_e32 v9, v6, v5
	v_lshlrev_b32_e32 v6, 23, v6
	v_lshrrev_b32_e32 v9, 4, v9
	v_add_u32_e32 v7, 0x1000000, v5
	v_sub_u32_e32 v6, v9, v6
	v_ashrrev_i32_e32 v7, 8, v7
	v_add_u32_e32 v6, 0x3c000000, v6
	v_and_or_b32 v6, v7, s0, v6
	v_cmp_ne_u32_e32 vcc, 0, v5
	v_cndmask_b32_e32 v5, 0, v6, vcc
	s_brev_b32 s0, 1
	v_and_or_b32 v1, v1, s0, v5
	v_cvt_u32_f32_e32 v5, v1
.LBB348_473:
	s_mov_b64 s[0:1], 0
.LBB348_474:
	s_andn2_b64 vcc, exec, s[0:1]
	s_cbranch_vccnz .LBB348_476
; %bb.475:
	global_load_ubyte v1, v[3:4], off
	s_movk_i32 s0, 0x7f00
	s_brev_b32 s1, 16
	s_waitcnt vmcnt(0)
	v_lshlrev_b16_e32 v5, 8, v1
	v_lshlrev_b32_e32 v1, 25, v1
	v_lshrrev_b32_e32 v6, 4, v1
	v_and_or_b32 v7, v5, s0, 0.5
	v_or_b32_e32 v6, 0x70000000, v6
	v_add_f32_e32 v7, -0.5, v7
	v_mul_f32_e32 v6, 0x7800000, v6
	v_cmp_gt_u32_e32 vcc, s1, v1
	v_bfe_i32 v5, v5, 0, 16
	v_cndmask_b32_e32 v1, v6, v7, vcc
	s_brev_b32 s0, 1
	v_and_or_b32 v1, v5, s0, v1
	v_cvt_u32_f32_e32 v5, v1
.LBB348_476:
	s_mov_b64 s[50:51], 0
	s_mov_b64 s[0:1], -1
.LBB348_477:
	s_andn2_b64 vcc, exec, s[50:51]
	s_cbranch_vccnz .LBB348_490
; %bb.478:
	s_cmp_gt_i32 s52, 14
	s_cbranch_scc0 .LBB348_481
; %bb.479:
	s_cmp_eq_u32 s52, 15
	s_cbranch_scc0 .LBB348_484
; %bb.480:
	global_load_ushort v1, v[3:4], off
	s_mov_b64 s[0:1], -1
	s_mov_b64 s[48:49], 0
	s_waitcnt vmcnt(0)
	v_lshlrev_b32_e32 v1, 16, v1
	v_cvt_u32_f32_e32 v5, v1
	s_branch .LBB348_485
.LBB348_481:
	s_mov_b64 s[50:51], -1
                                        ; implicit-def: $vgpr5
	s_branch .LBB348_486
.LBB348_482:
	s_andn2_saveexec_b64 s[0:1], s[0:1]
	s_cbranch_execz .LBB348_463
.LBB348_483:
	v_cmp_ne_u16_e32 vcc, 0, v1
	s_andn2_b64 s[50:51], s[50:51], exec
	s_and_b64 s[56:57], vcc, exec
	s_or_b64 s[50:51], s[50:51], s[56:57]
	s_or_b64 exec, exec, s[0:1]
	v_mov_b32_e32 v5, 0
	s_and_saveexec_b64 s[0:1], s[50:51]
	s_cbranch_execnz .LBB348_464
	s_branch .LBB348_465
.LBB348_484:
	s_mov_b64 s[48:49], -1
                                        ; implicit-def: $vgpr5
.LBB348_485:
	s_mov_b64 s[50:51], 0
.LBB348_486:
	s_and_b64 vcc, exec, s[50:51]
	s_cbranch_vccz .LBB348_490
; %bb.487:
	s_cmp_eq_u32 s52, 11
	s_cbranch_scc0 .LBB348_489
; %bb.488:
	global_load_ubyte v1, v[3:4], off
	s_mov_b64 s[0:1], -1
	s_mov_b64 s[48:49], 0
	s_waitcnt vmcnt(0)
	v_cmp_ne_u16_e32 vcc, 0, v1
	v_cndmask_b32_e64 v5, 0, 1, vcc
	s_branch .LBB348_490
.LBB348_489:
	s_mov_b64 s[48:49], -1
                                        ; implicit-def: $vgpr5
.LBB348_490:
	s_branch .LBB348_410
.LBB348_491:
	s_and_b32 s14, 0xffff, s14
	s_cmp_lt_i32 s14, 5
	s_cbranch_scc1 .LBB348_496
; %bb.492:
	s_cmp_lt_i32 s14, 8
	s_cbranch_scc1 .LBB348_497
; %bb.493:
	;; [unrolled: 3-line block ×3, first 2 shown]
	s_cmp_gt_i32 s14, 9
	s_cbranch_scc0 .LBB348_499
; %bb.495:
	global_load_dwordx2 v[5:6], v[3:4], off
	s_mov_b64 s[0:1], 0
	s_waitcnt vmcnt(0)
	v_cvt_u32_f64_e32 v5, v[5:6]
	s_branch .LBB348_500
.LBB348_496:
	s_mov_b64 s[0:1], -1
                                        ; implicit-def: $vgpr5
	s_branch .LBB348_518
.LBB348_497:
	s_mov_b64 s[0:1], -1
                                        ; implicit-def: $vgpr5
	s_branch .LBB348_506
.LBB348_498:
	s_mov_b64 s[0:1], -1
                                        ; implicit-def: $vgpr5
	s_branch .LBB348_503
.LBB348_499:
	s_mov_b64 s[0:1], -1
                                        ; implicit-def: $vgpr5
.LBB348_500:
	s_andn2_b64 vcc, exec, s[0:1]
	s_cbranch_vccnz .LBB348_502
; %bb.501:
	global_load_dword v1, v[3:4], off
	s_waitcnt vmcnt(0)
	v_cvt_u32_f32_e32 v5, v1
.LBB348_502:
	s_mov_b64 s[0:1], 0
.LBB348_503:
	s_andn2_b64 vcc, exec, s[0:1]
	s_cbranch_vccnz .LBB348_505
; %bb.504:
	global_load_dword v1, v[3:4], off
	s_waitcnt vmcnt(0)
	v_cvt_f32_f16_e32 v1, v1
	v_cvt_u32_f32_e32 v5, v1
.LBB348_505:
	s_mov_b64 s[0:1], 0
.LBB348_506:
	s_andn2_b64 vcc, exec, s[0:1]
	s_cbranch_vccnz .LBB348_517
; %bb.507:
	s_cmp_lt_i32 s14, 6
	s_cbranch_scc1 .LBB348_510
; %bb.508:
	s_cmp_gt_i32 s14, 6
	s_cbranch_scc0 .LBB348_511
; %bb.509:
	global_load_dwordx2 v[5:6], v[3:4], off
	s_mov_b64 s[0:1], 0
	s_waitcnt vmcnt(0)
	v_cvt_u32_f64_e32 v5, v[5:6]
	s_branch .LBB348_512
.LBB348_510:
	s_mov_b64 s[0:1], -1
                                        ; implicit-def: $vgpr5
	s_branch .LBB348_515
.LBB348_511:
	s_mov_b64 s[0:1], -1
                                        ; implicit-def: $vgpr5
.LBB348_512:
	s_andn2_b64 vcc, exec, s[0:1]
	s_cbranch_vccnz .LBB348_514
; %bb.513:
	global_load_dword v1, v[3:4], off
	s_waitcnt vmcnt(0)
	v_cvt_u32_f32_e32 v5, v1
.LBB348_514:
	s_mov_b64 s[0:1], 0
.LBB348_515:
	s_andn2_b64 vcc, exec, s[0:1]
	s_cbranch_vccnz .LBB348_517
; %bb.516:
	global_load_ushort v1, v[3:4], off
	s_waitcnt vmcnt(0)
	v_cvt_f32_f16_e32 v1, v1
	v_cvt_u32_f32_e32 v5, v1
.LBB348_517:
	s_mov_b64 s[0:1], 0
.LBB348_518:
	s_andn2_b64 vcc, exec, s[0:1]
	s_cbranch_vccnz .LBB348_538
; %bb.519:
	s_cmp_lt_i32 s14, 2
	s_cbranch_scc1 .LBB348_523
; %bb.520:
	s_cmp_lt_i32 s14, 3
	s_cbranch_scc1 .LBB348_524
; %bb.521:
	s_cmp_gt_i32 s14, 3
	s_cbranch_scc0 .LBB348_525
; %bb.522:
	global_load_dword v5, v[3:4], off
	s_mov_b64 s[0:1], 0
	s_branch .LBB348_526
.LBB348_523:
	s_mov_b64 s[0:1], -1
                                        ; implicit-def: $vgpr5
	s_branch .LBB348_532
.LBB348_524:
	s_mov_b64 s[0:1], -1
                                        ; implicit-def: $vgpr5
	s_branch .LBB348_529
.LBB348_525:
	s_mov_b64 s[0:1], -1
                                        ; implicit-def: $vgpr5
.LBB348_526:
	s_andn2_b64 vcc, exec, s[0:1]
	s_cbranch_vccnz .LBB348_528
; %bb.527:
	global_load_dword v5, v[3:4], off
.LBB348_528:
	s_mov_b64 s[0:1], 0
.LBB348_529:
	s_andn2_b64 vcc, exec, s[0:1]
	s_cbranch_vccnz .LBB348_531
; %bb.530:
	global_load_sshort v5, v[3:4], off
.LBB348_531:
	s_mov_b64 s[0:1], 0
.LBB348_532:
	s_andn2_b64 vcc, exec, s[0:1]
	s_cbranch_vccnz .LBB348_538
; %bb.533:
	s_cmp_gt_i32 s14, 0
	s_cbranch_scc0 .LBB348_535
; %bb.534:
	global_load_sbyte v5, v[3:4], off
	s_mov_b64 s[0:1], 0
	s_branch .LBB348_536
.LBB348_535:
	s_mov_b64 s[0:1], -1
                                        ; implicit-def: $vgpr5
.LBB348_536:
	s_andn2_b64 vcc, exec, s[0:1]
	s_cbranch_vccnz .LBB348_538
; %bb.537:
	global_load_ubyte v5, v[3:4], off
.LBB348_538:
	s_branch .LBB348_411
.LBB348_539:
	s_mov_b64 s[56:57], 0
	s_mov_b64 s[0:1], s[40:41]
	;; [unrolled: 1-line block ×3, first 2 shown]
.LBB348_540:
                                        ; implicit-def: $vgpr8
	s_branch .LBB348_778
.LBB348_541:
	s_andn2_saveexec_b64 s[54:55], s[54:55]
	s_cbranch_execz .LBB348_200
.LBB348_542:
	v_add_f32_e32 v2, 0x42800000, v3
	v_and_b32_e32 v2, 0xff, v2
	v_cmp_ne_u32_e32 vcc, 0, v2
	s_andn2_b64 s[52:53], s[52:53], exec
	s_and_b64 s[58:59], vcc, exec
	s_or_b64 s[52:53], s[52:53], s[58:59]
	s_or_b64 exec, exec, s[54:55]
	v_mov_b32_e32 v4, 0
	s_and_saveexec_b64 s[54:55], s[52:53]
	s_cbranch_execnz .LBB348_201
	s_branch .LBB348_202
.LBB348_543:
	s_mov_b64 s[50:51], -1
                                        ; implicit-def: $vgpr3
	s_mov_b64 s[0:1], 0
.LBB348_544:
	s_and_b64 vcc, exec, s[52:53]
	s_cbranch_vccz .LBB348_548
; %bb.545:
	s_cmp_eq_u32 s56, 44
	s_cbranch_scc0 .LBB348_547
; %bb.546:
	global_load_ubyte v3, v[1:2], off
	s_mov_b64 s[0:1], -1
	s_mov_b64 s[50:51], 0
	s_waitcnt vmcnt(0)
	v_lshlrev_b32_e32 v4, 23, v3
	v_cvt_u32_f32_e32 v4, v4
	v_cmp_ne_u32_e32 vcc, 0, v3
	v_cndmask_b32_e32 v3, 0, v4, vcc
	s_branch .LBB348_548
.LBB348_547:
	s_mov_b64 s[50:51], -1
                                        ; implicit-def: $vgpr3
.LBB348_548:
	s_mov_b64 s[52:53], 0
.LBB348_549:
	s_and_b64 vcc, exec, s[52:53]
	s_cbranch_vccz .LBB348_553
; %bb.550:
	s_cmp_eq_u32 s56, 29
	s_cbranch_scc0 .LBB348_552
; %bb.551:
	global_load_dword v3, v[1:2], off
	s_mov_b64 s[0:1], -1
	s_mov_b64 s[50:51], 0
	s_branch .LBB348_553
.LBB348_552:
	s_mov_b64 s[50:51], -1
                                        ; implicit-def: $vgpr3
.LBB348_553:
	s_mov_b64 s[52:53], 0
.LBB348_554:
	s_and_b64 vcc, exec, s[52:53]
	s_cbranch_vccz .LBB348_570
; %bb.555:
	s_cmp_lt_i32 s56, 27
	s_cbranch_scc1 .LBB348_558
; %bb.556:
	s_cmp_gt_i32 s56, 27
	s_cbranch_scc0 .LBB348_559
; %bb.557:
	global_load_dword v3, v[1:2], off
	s_mov_b64 s[0:1], 0
	s_branch .LBB348_560
.LBB348_558:
	s_mov_b64 s[0:1], -1
                                        ; implicit-def: $vgpr3
	s_branch .LBB348_563
.LBB348_559:
	s_mov_b64 s[0:1], -1
                                        ; implicit-def: $vgpr3
.LBB348_560:
	s_andn2_b64 vcc, exec, s[0:1]
	s_cbranch_vccnz .LBB348_562
; %bb.561:
	global_load_ushort v3, v[1:2], off
.LBB348_562:
	s_mov_b64 s[0:1], 0
.LBB348_563:
	s_andn2_b64 vcc, exec, s[0:1]
	s_cbranch_vccnz .LBB348_569
; %bb.564:
	global_load_ubyte v4, v[1:2], off
	s_movk_i32 s0, 0x7f
	s_mov_b64 s[52:53], 0
	s_waitcnt vmcnt(0)
	v_cmp_lt_i16_e32 vcc, s0, v4
	s_and_saveexec_b64 s[0:1], vcc
	s_xor_b64 s[0:1], exec, s[0:1]
	s_cbranch_execz .LBB348_581
; %bb.565:
	s_movk_i32 s52, 0x80
	v_cmp_ne_u16_e32 vcc, s52, v4
	s_and_b64 s[52:53], vcc, exec
	s_andn2_saveexec_b64 s[0:1], s[0:1]
	s_cbranch_execnz .LBB348_582
.LBB348_566:
	s_or_b64 exec, exec, s[0:1]
	v_mov_b32_e32 v3, 0
	s_and_saveexec_b64 s[0:1], s[52:53]
	s_cbranch_execz .LBB348_568
.LBB348_567:
	v_lshlrev_b32_e32 v3, 24, v4
	v_and_b32_e32 v4, 0xffff, v4
	v_and_b32_e32 v6, 7, v4
	v_ffbh_u32_e32 v9, v6
	v_min_u32_e32 v9, 32, v9
	v_subrev_u32_e32 v10, 28, v9
	v_bfe_u32 v7, v4, 3, 4
	v_lshlrev_b32_e32 v4, v10, v4
	v_sub_u32_e32 v9, 29, v9
	v_and_b32_e32 v4, 7, v4
	v_cmp_eq_u32_e32 vcc, 0, v7
	v_cndmask_b32_e32 v7, v7, v9, vcc
	v_cndmask_b32_e32 v4, v6, v4, vcc
	v_mov_b32_e32 v6, 0x3b800000
	v_lshlrev_b32_e32 v4, 20, v4
	v_and_b32_e32 v3, 0x80000000, v3
	v_lshl_add_u32 v6, v7, 23, v6
	v_or3_b32 v3, v3, v6, v4
	v_cvt_u32_f32_e32 v3, v3
.LBB348_568:
	s_or_b64 exec, exec, s[0:1]
.LBB348_569:
	s_mov_b64 s[0:1], -1
.LBB348_570:
	s_mov_b64 s[52:53], 0
.LBB348_571:
	s_and_b64 vcc, exec, s[52:53]
	s_cbranch_vccz .LBB348_604
; %bb.572:
	s_cmp_gt_i32 s56, 22
	s_cbranch_scc0 .LBB348_580
; %bb.573:
	s_cmp_lt_i32 s56, 24
	s_cbranch_scc1 .LBB348_583
; %bb.574:
	s_cmp_gt_i32 s56, 24
	s_cbranch_scc0 .LBB348_584
; %bb.575:
	global_load_ubyte v4, v[1:2], off
	s_movk_i32 s0, 0x7f
	s_mov_b64 s[52:53], 0
	s_waitcnt vmcnt(0)
	v_cmp_lt_i16_e32 vcc, s0, v4
	s_and_saveexec_b64 s[0:1], vcc
	s_xor_b64 s[0:1], exec, s[0:1]
	s_cbranch_execz .LBB348_596
; %bb.576:
	s_movk_i32 s52, 0x80
	v_cmp_ne_u16_e32 vcc, s52, v4
	s_and_b64 s[52:53], vcc, exec
	s_andn2_saveexec_b64 s[0:1], s[0:1]
	s_cbranch_execnz .LBB348_597
.LBB348_577:
	s_or_b64 exec, exec, s[0:1]
	v_mov_b32_e32 v3, 0
	s_and_saveexec_b64 s[0:1], s[52:53]
	s_cbranch_execz .LBB348_579
.LBB348_578:
	v_lshlrev_b32_e32 v3, 24, v4
	v_and_b32_e32 v4, 0xffff, v4
	v_and_b32_e32 v6, 3, v4
	v_ffbh_u32_e32 v9, v6
	v_min_u32_e32 v9, 32, v9
	v_subrev_u32_e32 v10, 29, v9
	v_bfe_u32 v7, v4, 2, 5
	v_lshlrev_b32_e32 v4, v10, v4
	v_sub_u32_e32 v9, 30, v9
	v_and_b32_e32 v4, 3, v4
	v_cmp_eq_u32_e32 vcc, 0, v7
	v_cndmask_b32_e32 v7, v7, v9, vcc
	v_cndmask_b32_e32 v4, v6, v4, vcc
	v_mov_b32_e32 v6, 0x37800000
	v_lshlrev_b32_e32 v4, 21, v4
	v_and_b32_e32 v3, 0x80000000, v3
	v_lshl_add_u32 v6, v7, 23, v6
	v_or3_b32 v3, v3, v6, v4
	v_cvt_u32_f32_e32 v3, v3
.LBB348_579:
	s_or_b64 exec, exec, s[0:1]
	s_mov_b64 s[0:1], 0
	s_branch .LBB348_585
.LBB348_580:
	s_mov_b64 s[52:53], -1
                                        ; implicit-def: $vgpr3
	s_branch .LBB348_591
.LBB348_581:
	s_andn2_saveexec_b64 s[0:1], s[0:1]
	s_cbranch_execz .LBB348_566
.LBB348_582:
	v_cmp_ne_u16_e32 vcc, 0, v4
	s_andn2_b64 s[52:53], s[52:53], exec
	s_and_b64 s[58:59], vcc, exec
	s_or_b64 s[52:53], s[52:53], s[58:59]
	s_or_b64 exec, exec, s[0:1]
	v_mov_b32_e32 v3, 0
	s_and_saveexec_b64 s[0:1], s[52:53]
	s_cbranch_execnz .LBB348_567
	s_branch .LBB348_568
.LBB348_583:
	s_mov_b64 s[0:1], -1
                                        ; implicit-def: $vgpr3
	s_branch .LBB348_588
.LBB348_584:
	s_mov_b64 s[0:1], -1
                                        ; implicit-def: $vgpr3
.LBB348_585:
	s_and_b64 vcc, exec, s[0:1]
	s_cbranch_vccz .LBB348_587
; %bb.586:
	global_load_ubyte v3, v[1:2], off
	s_mov_b32 s0, 0x7f800000
	s_waitcnt vmcnt(0)
	v_lshlrev_b32_e32 v3, 24, v3
	v_and_b32_e32 v4, 0x7f000000, v3
	v_ffbh_u32_e32 v6, v4
	v_min_u32_e32 v6, 32, v6
	v_sub_u32_e64 v6, v6, 4 clamp
	v_lshlrev_b32_e32 v9, v6, v4
	v_lshlrev_b32_e32 v6, 23, v6
	v_lshrrev_b32_e32 v9, 4, v9
	v_add_u32_e32 v7, 0x1000000, v4
	v_sub_u32_e32 v6, v9, v6
	v_ashrrev_i32_e32 v7, 8, v7
	v_add_u32_e32 v6, 0x3c000000, v6
	v_and_or_b32 v6, v7, s0, v6
	v_cmp_ne_u32_e32 vcc, 0, v4
	v_cndmask_b32_e32 v4, 0, v6, vcc
	s_brev_b32 s0, 1
	v_and_or_b32 v3, v3, s0, v4
	v_cvt_u32_f32_e32 v3, v3
.LBB348_587:
	s_mov_b64 s[0:1], 0
.LBB348_588:
	s_andn2_b64 vcc, exec, s[0:1]
	s_cbranch_vccnz .LBB348_590
; %bb.589:
	global_load_ubyte v3, v[1:2], off
	s_movk_i32 s0, 0x7f00
	s_brev_b32 s1, 16
	s_waitcnt vmcnt(0)
	v_lshlrev_b16_e32 v4, 8, v3
	v_lshlrev_b32_e32 v3, 25, v3
	v_lshrrev_b32_e32 v6, 4, v3
	v_and_or_b32 v7, v4, s0, 0.5
	v_or_b32_e32 v6, 0x70000000, v6
	v_add_f32_e32 v7, -0.5, v7
	v_mul_f32_e32 v6, 0x7800000, v6
	v_cmp_gt_u32_e32 vcc, s1, v3
	v_bfe_i32 v4, v4, 0, 16
	v_cndmask_b32_e32 v3, v6, v7, vcc
	s_brev_b32 s0, 1
	v_and_or_b32 v3, v4, s0, v3
	v_cvt_u32_f32_e32 v3, v3
.LBB348_590:
	s_mov_b64 s[52:53], 0
	s_mov_b64 s[0:1], -1
.LBB348_591:
	s_andn2_b64 vcc, exec, s[52:53]
	s_cbranch_vccnz .LBB348_604
; %bb.592:
	s_cmp_gt_i32 s56, 14
	s_cbranch_scc0 .LBB348_595
; %bb.593:
	s_cmp_eq_u32 s56, 15
	s_cbranch_scc0 .LBB348_598
; %bb.594:
	global_load_ushort v3, v[1:2], off
	s_mov_b64 s[0:1], -1
	s_mov_b64 s[50:51], 0
	s_waitcnt vmcnt(0)
	v_lshlrev_b32_e32 v3, 16, v3
	v_cvt_u32_f32_e32 v3, v3
	s_branch .LBB348_599
.LBB348_595:
	s_mov_b64 s[52:53], -1
                                        ; implicit-def: $vgpr3
	s_branch .LBB348_600
.LBB348_596:
	s_andn2_saveexec_b64 s[0:1], s[0:1]
	s_cbranch_execz .LBB348_577
.LBB348_597:
	v_cmp_ne_u16_e32 vcc, 0, v4
	s_andn2_b64 s[52:53], s[52:53], exec
	s_and_b64 s[58:59], vcc, exec
	s_or_b64 s[52:53], s[52:53], s[58:59]
	s_or_b64 exec, exec, s[0:1]
	v_mov_b32_e32 v3, 0
	s_and_saveexec_b64 s[0:1], s[52:53]
	s_cbranch_execnz .LBB348_578
	s_branch .LBB348_579
.LBB348_598:
	s_mov_b64 s[50:51], -1
                                        ; implicit-def: $vgpr3
.LBB348_599:
	s_mov_b64 s[52:53], 0
.LBB348_600:
	s_and_b64 vcc, exec, s[52:53]
	s_cbranch_vccz .LBB348_604
; %bb.601:
	s_cmp_eq_u32 s56, 11
	s_cbranch_scc0 .LBB348_603
; %bb.602:
	global_load_ubyte v3, v[1:2], off
	s_mov_b64 s[0:1], -1
	s_mov_b64 s[50:51], 0
	s_waitcnt vmcnt(0)
	v_cmp_ne_u16_e32 vcc, 0, v3
	v_cndmask_b32_e64 v3, 0, 1, vcc
	s_branch .LBB348_604
.LBB348_603:
	s_mov_b64 s[50:51], -1
                                        ; implicit-def: $vgpr3
.LBB348_604:
	s_mov_b64 s[52:53], 0
.LBB348_605:
	s_and_b64 vcc, exec, s[52:53]
	s_cbranch_vccz .LBB348_654
; %bb.606:
	s_and_b32 s14, 0xffff, s14
	s_cmp_lt_i32 s14, 5
	s_cbranch_scc1 .LBB348_611
; %bb.607:
	s_cmp_lt_i32 s14, 8
	s_cbranch_scc1 .LBB348_612
; %bb.608:
	;; [unrolled: 3-line block ×3, first 2 shown]
	s_cmp_gt_i32 s14, 9
	s_cbranch_scc0 .LBB348_614
; %bb.610:
	global_load_dwordx2 v[3:4], v[1:2], off
	s_mov_b64 s[0:1], 0
	s_waitcnt vmcnt(0)
	v_cvt_u32_f64_e32 v3, v[3:4]
	s_branch .LBB348_615
.LBB348_611:
	s_mov_b64 s[0:1], -1
                                        ; implicit-def: $vgpr3
	s_branch .LBB348_633
.LBB348_612:
	s_mov_b64 s[0:1], -1
                                        ; implicit-def: $vgpr3
	s_branch .LBB348_621
.LBB348_613:
	s_mov_b64 s[0:1], -1
                                        ; implicit-def: $vgpr3
	s_branch .LBB348_618
.LBB348_614:
	s_mov_b64 s[0:1], -1
                                        ; implicit-def: $vgpr3
.LBB348_615:
	s_andn2_b64 vcc, exec, s[0:1]
	s_cbranch_vccnz .LBB348_617
; %bb.616:
	global_load_dword v3, v[1:2], off
	s_waitcnt vmcnt(0)
	v_cvt_u32_f32_e32 v3, v3
.LBB348_617:
	s_mov_b64 s[0:1], 0
.LBB348_618:
	s_andn2_b64 vcc, exec, s[0:1]
	s_cbranch_vccnz .LBB348_620
; %bb.619:
	global_load_dword v3, v[1:2], off
	s_waitcnt vmcnt(0)
	v_cvt_f32_f16_e32 v3, v3
	v_cvt_u32_f32_e32 v3, v3
.LBB348_620:
	s_mov_b64 s[0:1], 0
.LBB348_621:
	s_andn2_b64 vcc, exec, s[0:1]
	s_cbranch_vccnz .LBB348_632
; %bb.622:
	s_cmp_lt_i32 s14, 6
	s_cbranch_scc1 .LBB348_625
; %bb.623:
	s_cmp_gt_i32 s14, 6
	s_cbranch_scc0 .LBB348_626
; %bb.624:
	global_load_dwordx2 v[3:4], v[1:2], off
	s_mov_b64 s[0:1], 0
	s_waitcnt vmcnt(0)
	v_cvt_u32_f64_e32 v3, v[3:4]
	s_branch .LBB348_627
.LBB348_625:
	s_mov_b64 s[0:1], -1
                                        ; implicit-def: $vgpr3
	s_branch .LBB348_630
.LBB348_626:
	s_mov_b64 s[0:1], -1
                                        ; implicit-def: $vgpr3
.LBB348_627:
	s_andn2_b64 vcc, exec, s[0:1]
	s_cbranch_vccnz .LBB348_629
; %bb.628:
	global_load_dword v3, v[1:2], off
	s_waitcnt vmcnt(0)
	v_cvt_u32_f32_e32 v3, v3
.LBB348_629:
	s_mov_b64 s[0:1], 0
.LBB348_630:
	s_andn2_b64 vcc, exec, s[0:1]
	s_cbranch_vccnz .LBB348_632
; %bb.631:
	global_load_ushort v3, v[1:2], off
	s_waitcnt vmcnt(0)
	v_cvt_f32_f16_e32 v3, v3
	v_cvt_u32_f32_e32 v3, v3
.LBB348_632:
	s_mov_b64 s[0:1], 0
.LBB348_633:
	s_andn2_b64 vcc, exec, s[0:1]
	s_cbranch_vccnz .LBB348_653
; %bb.634:
	s_cmp_lt_i32 s14, 2
	s_cbranch_scc1 .LBB348_638
; %bb.635:
	s_cmp_lt_i32 s14, 3
	s_cbranch_scc1 .LBB348_639
; %bb.636:
	s_cmp_gt_i32 s14, 3
	s_cbranch_scc0 .LBB348_640
; %bb.637:
	global_load_dword v3, v[1:2], off
	s_mov_b64 s[0:1], 0
	s_branch .LBB348_641
.LBB348_638:
	s_mov_b64 s[0:1], -1
                                        ; implicit-def: $vgpr3
	s_branch .LBB348_647
.LBB348_639:
	s_mov_b64 s[0:1], -1
                                        ; implicit-def: $vgpr3
	s_branch .LBB348_644
.LBB348_640:
	s_mov_b64 s[0:1], -1
                                        ; implicit-def: $vgpr3
.LBB348_641:
	s_andn2_b64 vcc, exec, s[0:1]
	s_cbranch_vccnz .LBB348_643
; %bb.642:
	global_load_dword v3, v[1:2], off
.LBB348_643:
	s_mov_b64 s[0:1], 0
.LBB348_644:
	s_andn2_b64 vcc, exec, s[0:1]
	s_cbranch_vccnz .LBB348_646
; %bb.645:
	global_load_sshort v3, v[1:2], off
.LBB348_646:
	s_mov_b64 s[0:1], 0
.LBB348_647:
	s_andn2_b64 vcc, exec, s[0:1]
	s_cbranch_vccnz .LBB348_653
; %bb.648:
	s_cmp_gt_i32 s14, 0
	s_cbranch_scc0 .LBB348_650
; %bb.649:
	global_load_sbyte v3, v[1:2], off
	s_mov_b64 s[0:1], 0
	s_branch .LBB348_651
.LBB348_650:
	s_mov_b64 s[0:1], -1
                                        ; implicit-def: $vgpr3
.LBB348_651:
	s_andn2_b64 vcc, exec, s[0:1]
	s_cbranch_vccnz .LBB348_653
; %bb.652:
	global_load_ubyte v3, v[1:2], off
.LBB348_653:
	s_mov_b64 s[0:1], -1
.LBB348_654:
	s_andn2_b64 vcc, exec, s[0:1]
	s_cbranch_vccnz .LBB348_662
; %bb.655:
	s_waitcnt vmcnt(0)
	v_cmp_ne_u32_e32 vcc, v5, v3
	s_xor_b64 s[52:53], s[28:29], vcc
	v_mov_b32_e32 v1, s9
	s_and_b32 s14, s15, 0xff
	v_add_co_u32_e32 v0, vcc, s8, v0
	s_cmp_lt_i32 s14, 11
	v_addc_co_u32_e32 v1, vcc, 0, v1, vcc
	s_cbranch_scc1 .LBB348_663
; %bb.656:
	s_and_b32 s62, 0xffff, s14
	s_cmp_gt_i32 s62, 25
	s_cbranch_scc0 .LBB348_664
; %bb.657:
	s_cmp_gt_i32 s62, 28
	s_cbranch_scc0 .LBB348_665
; %bb.658:
	;; [unrolled: 3-line block ×4, first 2 shown]
	s_mov_b64 s[58:59], 0
	s_mov_b64 s[0:1], -1
	s_cmp_eq_u32 s62, 46
	s_mov_b64 s[56:57], 0
	s_cbranch_scc0 .LBB348_668
; %bb.661:
	v_cndmask_b32_e64 v2, 0, 1.0, s[52:53]
	v_bfe_u32 v3, v2, 16, 1
	s_movk_i32 s0, 0x7fff
	v_add3_u32 v2, v2, v3, s0
	v_lshrrev_b32_e32 v2, 16, v2
	global_store_dword v[0:1], v2, off
	s_mov_b64 s[56:57], -1
	s_mov_b64 s[0:1], 0
	s_branch .LBB348_668
.LBB348_662:
	s_mov_b64 s[56:57], 0
                                        ; implicit-def: $vgpr8
	s_mov_b64 s[0:1], s[40:41]
	s_branch .LBB348_778
.LBB348_663:
	s_mov_b64 s[58:59], -1
	s_mov_b64 s[56:57], 0
	s_mov_b64 s[0:1], s[40:41]
	s_branch .LBB348_737
.LBB348_664:
	s_mov_b64 s[58:59], -1
	s_mov_b64 s[56:57], 0
	s_mov_b64 s[0:1], s[40:41]
	s_branch .LBB348_695
.LBB348_665:
	s_mov_b64 s[58:59], -1
	s_mov_b64 s[56:57], 0
	s_mov_b64 s[0:1], s[40:41]
	s_branch .LBB348_678
.LBB348_666:
	s_mov_b64 s[58:59], -1
	s_mov_b64 s[56:57], 0
	s_mov_b64 s[0:1], s[40:41]
	s_branch .LBB348_674
.LBB348_667:
	s_mov_b64 s[58:59], -1
	s_mov_b64 s[56:57], 0
	s_mov_b64 s[0:1], s[40:41]
.LBB348_668:
	s_and_b64 vcc, exec, s[58:59]
	s_cbranch_vccz .LBB348_673
; %bb.669:
	s_cmp_eq_u32 s62, 44
	s_mov_b64 s[0:1], -1
	s_cbranch_scc0 .LBB348_673
; %bb.670:
	v_cndmask_b32_e64 v3, 0, 1.0, s[52:53]
	v_lshrrev_b32_e32 v2, 23, v3
	s_movk_i32 s0, 0xff
	v_cmp_ne_u32_e32 vcc, s0, v2
	v_mov_b32_e32 v4, 0xff
	s_and_saveexec_b64 s[56:57], vcc
; %bb.671:
	s_mov_b32 s0, 0x3fffff
	v_and_b32_e32 v4, 0x400000, v3
	v_and_or_b32 v3, v3, s0, v2
	v_cmp_ne_u32_e32 vcc, 0, v4
	v_cmp_ne_u32_e64 s[0:1], 0, v3
	s_and_b64 s[0:1], vcc, s[0:1]
	v_cndmask_b32_e64 v3, 0, 1, s[0:1]
	v_add_u32_e32 v4, v2, v3
; %bb.672:
	s_or_b64 exec, exec, s[56:57]
	s_mov_b64 s[56:57], -1
	s_mov_b64 s[0:1], 0
	global_store_byte v[0:1], v4, off
.LBB348_673:
	s_mov_b64 s[58:59], 0
.LBB348_674:
	s_and_b64 vcc, exec, s[58:59]
	s_cbranch_vccz .LBB348_677
; %bb.675:
	s_cmp_eq_u32 s62, 29
	s_mov_b64 s[0:1], -1
	s_cbranch_scc0 .LBB348_677
; %bb.676:
	s_mov_b32 s0, 0
	v_cndmask_b32_e64 v2, 0, 1, s[52:53]
	v_mov_b32_e32 v3, s0
	global_store_dwordx2 v[0:1], v[2:3], off
	s_mov_b64 s[56:57], -1
	s_mov_b64 s[0:1], 0
.LBB348_677:
	s_mov_b64 s[58:59], 0
.LBB348_678:
	s_and_b64 vcc, exec, s[58:59]
	s_cbranch_vccz .LBB348_694
; %bb.679:
	s_cmp_lt_i32 s62, 27
	s_mov_b64 s[56:57], -1
	s_cbranch_scc1 .LBB348_685
; %bb.680:
	s_cmp_gt_i32 s62, 27
	s_cbranch_scc0 .LBB348_682
; %bb.681:
	v_cndmask_b32_e64 v2, 0, 1, s[52:53]
	s_mov_b64 s[56:57], 0
	global_store_dword v[0:1], v2, off
.LBB348_682:
	s_andn2_b64 vcc, exec, s[56:57]
	s_cbranch_vccnz .LBB348_684
; %bb.683:
	v_cndmask_b32_e64 v2, 0, 1, s[52:53]
	global_store_short v[0:1], v2, off
.LBB348_684:
	s_mov_b64 s[56:57], 0
.LBB348_685:
	s_andn2_b64 vcc, exec, s[56:57]
	s_cbranch_vccnz .LBB348_693
; %bb.686:
	v_cndmask_b32_e64 v3, 0, 1.0, s[52:53]
	s_mov_b32 s56, 0x43800000
	v_cmp_gt_u32_e32 vcc, s56, v3
	v_mov_b32_e32 v4, 0x80
	s_and_saveexec_b64 s[56:57], vcc
	s_cbranch_execz .LBB348_692
; %bb.687:
	s_mov_b32 s58, 0x3bffffff
	v_cmp_lt_u32_e32 vcc, s58, v3
	s_mov_b64 s[58:59], 0
                                        ; implicit-def: $vgpr2
	s_and_saveexec_b64 s[60:61], vcc
	s_xor_b64 s[60:61], exec, s[60:61]
	s_cbranch_execz .LBB348_806
; %bb.688:
	v_bfe_u32 v2, v3, 20, 1
	s_mov_b32 s63, 0x487ffff
	v_add3_u32 v2, v3, v2, s63
	s_mov_b64 s[58:59], exec
	v_lshrrev_b32_e32 v2, 20, v2
                                        ; implicit-def: $vgpr3
	s_andn2_saveexec_b64 s[60:61], s[60:61]
	s_cbranch_execnz .LBB348_807
.LBB348_689:
	s_or_b64 exec, exec, s[60:61]
	v_mov_b32_e32 v4, 0
	s_and_saveexec_b64 s[60:61], s[58:59]
.LBB348_690:
	v_mov_b32_e32 v4, v2
.LBB348_691:
	s_or_b64 exec, exec, s[60:61]
.LBB348_692:
	s_or_b64 exec, exec, s[56:57]
	global_store_byte v[0:1], v4, off
.LBB348_693:
	s_mov_b64 s[56:57], -1
.LBB348_694:
	s_mov_b64 s[58:59], 0
.LBB348_695:
	s_and_b64 vcc, exec, s[58:59]
	s_cbranch_vccz .LBB348_736
; %bb.696:
	s_cmp_gt_i32 s62, 22
	s_mov_b64 s[58:59], -1
	s_cbranch_scc0 .LBB348_728
; %bb.697:
	s_cmp_lt_i32 s62, 24
	s_mov_b64 s[56:57], -1
	s_cbranch_scc1 .LBB348_717
; %bb.698:
	s_cmp_gt_i32 s62, 24
	s_cbranch_scc0 .LBB348_706
; %bb.699:
	v_cndmask_b32_e64 v3, 0, 1.0, s[52:53]
	s_mov_b32 s56, 0x47800000
	v_cmp_gt_u32_e32 vcc, s56, v3
	v_mov_b32_e32 v4, 0x80
	s_and_saveexec_b64 s[56:57], vcc
	s_cbranch_execz .LBB348_705
; %bb.700:
	s_mov_b32 s58, 0x37ffffff
	v_cmp_lt_u32_e32 vcc, s58, v3
	s_mov_b64 s[58:59], 0
                                        ; implicit-def: $vgpr2
	s_and_saveexec_b64 s[60:61], vcc
	s_xor_b64 s[60:61], exec, s[60:61]
	s_cbranch_execz .LBB348_934
; %bb.701:
	v_bfe_u32 v2, v3, 21, 1
	s_mov_b32 s63, 0x88fffff
	v_add3_u32 v2, v3, v2, s63
	s_mov_b64 s[58:59], exec
	v_lshrrev_b32_e32 v2, 21, v2
                                        ; implicit-def: $vgpr3
	s_andn2_saveexec_b64 s[60:61], s[60:61]
	s_cbranch_execnz .LBB348_935
.LBB348_702:
	s_or_b64 exec, exec, s[60:61]
	v_mov_b32_e32 v4, 0
	s_and_saveexec_b64 s[60:61], s[58:59]
.LBB348_703:
	v_mov_b32_e32 v4, v2
.LBB348_704:
	s_or_b64 exec, exec, s[60:61]
.LBB348_705:
	s_or_b64 exec, exec, s[56:57]
	s_mov_b64 s[56:57], 0
	global_store_byte v[0:1], v4, off
.LBB348_706:
	s_and_b64 vcc, exec, s[56:57]
	s_cbranch_vccz .LBB348_716
; %bb.707:
	v_cndmask_b32_e64 v2, 0, 1.0, s[52:53]
	s_mov_b32 s56, 0x43f00000
	v_cmp_gt_u32_e32 vcc, s56, v2
                                        ; implicit-def: $vgpr3
	s_and_saveexec_b64 s[56:57], vcc
	s_xor_b64 s[56:57], exec, s[56:57]
	s_cbranch_execz .LBB348_713
; %bb.708:
	s_mov_b32 s58, 0x3c7fffff
	v_cmp_lt_u32_e32 vcc, s58, v2
                                        ; implicit-def: $vgpr3
	s_and_saveexec_b64 s[58:59], vcc
	s_xor_b64 s[58:59], exec, s[58:59]
; %bb.709:
	v_bfe_u32 v3, v2, 20, 1
	s_mov_b32 s60, 0x407ffff
	v_add3_u32 v2, v2, v3, s60
	v_lshrrev_b32_e32 v3, 20, v2
	v_and_b32_e32 v2, 0xff00000, v2
	s_mov_b32 s60, 0x7f00000
	v_mov_b32_e32 v4, 0x7e
	v_cmp_ne_u32_e32 vcc, s60, v2
	v_cndmask_b32_e32 v3, v4, v3, vcc
                                        ; implicit-def: $vgpr2
; %bb.710:
	s_andn2_saveexec_b64 s[58:59], s[58:59]
; %bb.711:
	v_add_f32_e32 v3, 0x46800000, v2
; %bb.712:
	s_or_b64 exec, exec, s[58:59]
                                        ; implicit-def: $vgpr2
.LBB348_713:
	s_andn2_saveexec_b64 s[56:57], s[56:57]
; %bb.714:
	s_mov_b32 s58, 0x7f800000
	v_mov_b32_e32 v3, 0x7e
	v_mov_b32_e32 v4, 0x7f
	v_cmp_lt_u32_e32 vcc, s58, v2
	v_cndmask_b32_e32 v3, v3, v4, vcc
; %bb.715:
	s_or_b64 exec, exec, s[56:57]
	global_store_byte v[0:1], v3, off
.LBB348_716:
	s_mov_b64 s[56:57], 0
.LBB348_717:
	s_andn2_b64 vcc, exec, s[56:57]
	s_cbranch_vccnz .LBB348_727
; %bb.718:
	v_cndmask_b32_e64 v2, 0, 1.0, s[52:53]
	s_mov_b32 s56, 0x47800000
	v_cmp_gt_u32_e32 vcc, s56, v2
                                        ; implicit-def: $vgpr3
	s_and_saveexec_b64 s[56:57], vcc
	s_xor_b64 s[56:57], exec, s[56:57]
	s_cbranch_execz .LBB348_724
; %bb.719:
	s_mov_b32 s58, 0x387fffff
	v_cmp_lt_u32_e32 vcc, s58, v2
                                        ; implicit-def: $vgpr3
	s_and_saveexec_b64 s[58:59], vcc
	s_xor_b64 s[58:59], exec, s[58:59]
; %bb.720:
	v_bfe_u32 v3, v2, 21, 1
	s_mov_b32 s60, 0x80fffff
	v_add3_u32 v2, v2, v3, s60
	v_lshrrev_b32_e32 v3, 21, v2
                                        ; implicit-def: $vgpr2
; %bb.721:
	s_andn2_saveexec_b64 s[58:59], s[58:59]
; %bb.722:
	v_add_f32_e32 v3, 0x43000000, v2
; %bb.723:
	s_or_b64 exec, exec, s[58:59]
                                        ; implicit-def: $vgpr2
.LBB348_724:
	s_andn2_saveexec_b64 s[56:57], s[56:57]
; %bb.725:
	s_mov_b32 s58, 0x7f800000
	v_mov_b32_e32 v3, 0x7c
	v_mov_b32_e32 v4, 0x7f
	v_cmp_lt_u32_e32 vcc, s58, v2
	v_cndmask_b32_e32 v3, v3, v4, vcc
; %bb.726:
	s_or_b64 exec, exec, s[56:57]
	global_store_byte v[0:1], v3, off
.LBB348_727:
	s_mov_b64 s[58:59], 0
	s_mov_b64 s[56:57], -1
.LBB348_728:
	s_andn2_b64 vcc, exec, s[58:59]
	s_cbranch_vccnz .LBB348_736
; %bb.729:
	s_cmp_gt_i32 s62, 14
	s_mov_b64 s[58:59], -1
	s_cbranch_scc0 .LBB348_733
; %bb.730:
	s_cmp_eq_u32 s62, 15
	s_mov_b64 s[0:1], -1
	s_cbranch_scc0 .LBB348_732
; %bb.731:
	v_cndmask_b32_e64 v2, 0, 1.0, s[52:53]
	v_bfe_u32 v3, v2, 16, 1
	s_movk_i32 s0, 0x7fff
	v_add3_u32 v2, v2, v3, s0
	global_store_short_d16_hi v[0:1], v2, off
	s_mov_b64 s[56:57], -1
	s_mov_b64 s[0:1], 0
.LBB348_732:
	s_mov_b64 s[58:59], 0
.LBB348_733:
	s_and_b64 vcc, exec, s[58:59]
	s_cbranch_vccz .LBB348_736
; %bb.734:
	s_cmp_eq_u32 s62, 11
	s_mov_b64 s[0:1], -1
	s_cbranch_scc0 .LBB348_736
; %bb.735:
	v_cndmask_b32_e64 v2, 0, 1, s[52:53]
	s_mov_b64 s[56:57], -1
	s_mov_b64 s[0:1], 0
	global_store_byte v[0:1], v2, off
.LBB348_736:
	s_mov_b64 s[58:59], 0
.LBB348_737:
	s_and_b64 vcc, exec, s[58:59]
	s_cbranch_vccz .LBB348_776
; %bb.738:
	s_and_b32 s14, 0xffff, s14
	s_cmp_lt_i32 s14, 5
	s_mov_b64 s[56:57], -1
	s_cbranch_scc1 .LBB348_759
; %bb.739:
	s_cmp_lt_i32 s14, 8
	s_cbranch_scc1 .LBB348_749
; %bb.740:
	s_cmp_lt_i32 s14, 9
	s_cbranch_scc1 .LBB348_746
; %bb.741:
	s_cmp_gt_i32 s14, 9
	s_cbranch_scc0 .LBB348_743
; %bb.742:
	v_cndmask_b32_e64 v2, 0, 1, s[52:53]
	v_cvt_f64_u32_e32 v[2:3], v2
	v_mov_b32_e32 v4, 0
	v_mov_b32_e32 v5, v4
	s_mov_b64 s[56:57], 0
	global_store_dwordx4 v[0:1], v[2:5], off
.LBB348_743:
	s_andn2_b64 vcc, exec, s[56:57]
	s_cbranch_vccnz .LBB348_745
; %bb.744:
	v_cndmask_b32_e64 v2, 0, 1.0, s[52:53]
	v_mov_b32_e32 v3, 0
	global_store_dwordx2 v[0:1], v[2:3], off
.LBB348_745:
	s_mov_b64 s[56:57], 0
.LBB348_746:
	s_andn2_b64 vcc, exec, s[56:57]
	s_cbranch_vccnz .LBB348_748
; %bb.747:
	v_cndmask_b32_e64 v2, 0, 1.0, s[52:53]
	v_cvt_f16_f32_e32 v2, v2
	global_store_dword v[0:1], v2, off
.LBB348_748:
	s_mov_b64 s[56:57], 0
.LBB348_749:
	s_andn2_b64 vcc, exec, s[56:57]
	s_cbranch_vccnz .LBB348_758
; %bb.750:
	s_cmp_lt_i32 s14, 6
	s_mov_b64 s[56:57], -1
	s_cbranch_scc1 .LBB348_756
; %bb.751:
	s_cmp_gt_i32 s14, 6
	s_cbranch_scc0 .LBB348_753
; %bb.752:
	v_cndmask_b32_e64 v2, 0, 1, s[52:53]
	v_cvt_f64_u32_e32 v[2:3], v2
	s_mov_b64 s[56:57], 0
	global_store_dwordx2 v[0:1], v[2:3], off
.LBB348_753:
	s_andn2_b64 vcc, exec, s[56:57]
	s_cbranch_vccnz .LBB348_755
; %bb.754:
	v_cndmask_b32_e64 v2, 0, 1.0, s[52:53]
	global_store_dword v[0:1], v2, off
.LBB348_755:
	s_mov_b64 s[56:57], 0
.LBB348_756:
	s_andn2_b64 vcc, exec, s[56:57]
	s_cbranch_vccnz .LBB348_758
; %bb.757:
	v_cndmask_b32_e64 v2, 0, 1.0, s[52:53]
	v_cvt_f16_f32_e32 v2, v2
	global_store_short v[0:1], v2, off
.LBB348_758:
	s_mov_b64 s[56:57], 0
.LBB348_759:
	s_andn2_b64 vcc, exec, s[56:57]
	s_cbranch_vccnz .LBB348_775
; %bb.760:
	s_cmp_lt_i32 s14, 2
	s_mov_b64 s[56:57], -1
	s_cbranch_scc1 .LBB348_770
; %bb.761:
	s_cmp_lt_i32 s14, 3
	s_cbranch_scc1 .LBB348_767
; %bb.762:
	s_cmp_gt_i32 s14, 3
	s_cbranch_scc0 .LBB348_764
; %bb.763:
	s_mov_b32 s56, 0
	v_cndmask_b32_e64 v2, 0, 1, s[52:53]
	v_mov_b32_e32 v3, s56
	s_mov_b64 s[56:57], 0
	global_store_dwordx2 v[0:1], v[2:3], off
.LBB348_764:
	s_andn2_b64 vcc, exec, s[56:57]
	s_cbranch_vccnz .LBB348_766
; %bb.765:
	v_cndmask_b32_e64 v2, 0, 1, s[52:53]
	global_store_dword v[0:1], v2, off
.LBB348_766:
	s_mov_b64 s[56:57], 0
.LBB348_767:
	s_andn2_b64 vcc, exec, s[56:57]
	s_cbranch_vccnz .LBB348_769
; %bb.768:
	v_cndmask_b32_e64 v2, 0, 1, s[52:53]
	global_store_short v[0:1], v2, off
.LBB348_769:
	s_mov_b64 s[56:57], 0
.LBB348_770:
	s_andn2_b64 vcc, exec, s[56:57]
	s_cbranch_vccnz .LBB348_775
; %bb.771:
	s_mov_b64 s[56:57], -1
	s_cmp_gt_i32 s14, 0
	v_cndmask_b32_e64 v2, 0, 1, s[52:53]
	s_cbranch_scc0 .LBB348_773
; %bb.772:
	s_mov_b64 s[56:57], 0
	global_store_byte v[0:1], v2, off
.LBB348_773:
	s_andn2_b64 vcc, exec, s[56:57]
	s_cbranch_vccnz .LBB348_775
; %bb.774:
	global_store_byte v[0:1], v2, off
.LBB348_775:
	s_mov_b64 s[56:57], -1
.LBB348_776:
	s_andn2_b64 vcc, exec, s[56:57]
	s_cbranch_vccnz .LBB348_788
; %bb.777:
	v_add_u32_e32 v8, 0x80, v8
	s_mov_b64 s[56:57], -1
.LBB348_778:
	s_andn2_b64 s[52:53], s[40:41], exec
	s_and_b64 s[0:1], s[0:1], exec
	s_or_b64 s[52:53], s[52:53], s[0:1]
	s_andn2_b64 s[0:1], s[42:43], exec
	s_and_b64 s[50:51], s[50:51], exec
	s_or_b64 s[50:51], s[0:1], s[50:51]
	;; [unrolled: 3-line block ×3, first 2 shown]
	s_orn2_b64 s[0:1], s[56:57], exec
.LBB348_779:
	s_or_b64 exec, exec, s[54:55]
	s_mov_b64 s[56:57], 0
	s_mov_b64 s[58:59], 0
	;; [unrolled: 1-line block ×3, first 2 shown]
                                        ; implicit-def: $sgpr14
                                        ; implicit-def: $vgpr3_vgpr4
                                        ; implicit-def: $vgpr0
                                        ; implicit-def: $vgpr2
                                        ; implicit-def: $vgpr5
	s_and_saveexec_b64 s[54:55], s[0:1]
	s_cbranch_execz .LBB348_1264
; %bb.780:
	v_cmp_gt_i32_e32 vcc, s70, v8
	s_mov_b64 s[68:69], -1
	s_mov_b64 s[0:1], s[48:49]
	s_mov_b64 s[60:61], s[50:51]
	s_mov_b64 s[62:63], s[52:53]
	s_and_saveexec_b64 s[56:57], vcc
	s_cbranch_execz .LBB348_1172
; %bb.781:
	s_andn2_b64 vcc, exec, s[24:25]
	s_cbranch_vccnz .LBB348_787
; %bb.782:
	s_andn2_b64 vcc, exec, s[38:39]
	s_cbranch_vccnz .LBB348_789
; %bb.783:
	s_add_i32 s0, s75, 1
	s_and_b32 s14, s0, 30
	s_add_u32 s0, s2, 0xffffffe8
	s_addc_u32 s1, s3, -1
	v_mov_b32_e32 v2, 0
	v_mov_b32_e32 v4, 0
	;; [unrolled: 1-line block ×4, first 2 shown]
.LBB348_784:                            ; =>This Inner Loop Header: Depth=1
	s_load_dwordx4 s[60:63], s[0:1], 0x1c
	s_load_dwordx2 s[58:59], s[0:1], 0x2c
	s_load_dwordx2 s[68:69], s[0:1], 0xec
	s_load_dwordx4 s[64:67], s[0:1], 0xdc
	s_add_u32 s0, s0, 24
	s_waitcnt vmcnt(0) lgkmcnt(0)
	v_mul_hi_u32 v3, s61, v1
	s_addc_u32 s1, s1, 0
	s_add_i32 s14, s14, -2
	s_cmp_eq_u32 s14, 0
	v_add_u32_e32 v3, v1, v3
	v_lshrrev_b32_e32 v3, s62, v3
	v_mul_lo_u32 v5, v3, s60
	v_mul_hi_u32 v6, s58, v3
	v_sub_u32_e32 v5, v1, v5
	v_add_u32_e32 v1, v3, v6
	v_lshrrev_b32_e32 v1, s59, v1
	v_mul_lo_u32 v9, v1, s63
	v_mul_lo_u32 v6, v5, s64
	;; [unrolled: 1-line block ×4, first 2 shown]
	v_sub_u32_e32 v3, v3, v9
	v_mul_lo_u32 v9, v3, s67
	v_mul_lo_u32 v10, v3, s68
	;; [unrolled: 1-line block ×3, first 2 shown]
	v_add3_u32 v0, v6, v0, v9
	v_add3_u32 v4, v7, v4, v10
	v_add3_u32 v2, v5, v2, v3
	s_cbranch_scc0 .LBB348_784
; %bb.785:
	s_bitcmp1_b32 s75, 0
	s_cselect_b64 s[58:59], -1, 0
	s_and_b64 vcc, exec, s[58:59]
	s_cbranch_vccnz .LBB348_790
; %bb.786:
	s_load_dwordx2 s[58:59], s[0:1], 0x1c
	s_load_dword s14, s[0:1], 0x24
	s_load_dwordx2 s[60:61], s[0:1], 0xdc
	s_waitcnt lgkmcnt(0)
	v_mul_hi_u32 v3, s59, v1
	v_add_u32_e32 v3, v1, v3
	v_lshrrev_b32_e32 v3, s14, v3
	v_mul_lo_u32 v3, v3, s58
	s_load_dword s14, s[0:1], 0xe4
	v_sub_u32_e32 v3, v1, v3
	v_mad_u64_u32 v[0:1], s[0:1], v3, s60, v[0:1]
	v_mad_u64_u32 v[4:5], s[0:1], v3, s61, v[4:5]
	s_waitcnt lgkmcnt(0)
	v_mad_u64_u32 v[2:3], s[0:1], v3, s14, v[2:3]
	s_branch .LBB348_790
.LBB348_787:
	s_mov_b64 s[0:1], -1
                                        ; implicit-def: $vgpr0
                                        ; implicit-def: $vgpr4
                                        ; implicit-def: $vgpr2
	s_branch .LBB348_791
.LBB348_788:
	s_mov_b64 s[56:57], 0
	s_branch .LBB348_540
.LBB348_789:
	v_mov_b32_e32 v0, 0
	v_mov_b32_e32 v4, 0
	;; [unrolled: 1-line block ×3, first 2 shown]
.LBB348_790:
	s_mov_b64 s[0:1], 0
.LBB348_791:
	s_andn2_b64 vcc, exec, s[0:1]
	s_cbranch_vccnz .LBB348_794
; %bb.792:
	v_mul_hi_u32 v0, s17, v8
	s_andn2_b64 vcc, exec, s[36:37]
	v_add_u32_e32 v0, v8, v0
	v_lshrrev_b32_e32 v1, s18, v0
	v_mul_lo_u32 v0, v1, s16
	v_sub_u32_e32 v2, v8, v0
	v_mul_lo_u32 v0, v2, s20
	v_mul_lo_u32 v4, v2, s21
	v_mul_lo_u32 v2, v2, s22
	s_cbranch_vccnz .LBB348_794
; %bb.793:
	s_waitcnt vmcnt(0)
	v_mul_hi_u32 v3, s34, v1
	v_add_u32_e32 v3, v1, v3
	v_lshrrev_b32_e32 v3, s35, v3
	v_mul_lo_u32 v3, v3, s19
	v_sub_u32_e32 v3, v1, v3
	v_mad_u64_u32 v[0:1], s[0:1], v3, s23, v[0:1]
	v_mad_u64_u32 v[4:5], s[0:1], v3, s30, v[4:5]
	;; [unrolled: 1-line block ×3, first 2 shown]
.LBB348_794:
	v_mov_b32_e32 v1, s11
	s_and_b32 s14, s74, 0xff
	s_waitcnt vmcnt(0)
	v_add_co_u32_e32 v3, vcc, s10, v4
	s_cmp_lt_i32 s14, 11
	v_addc_co_u32_e32 v4, vcc, 0, v1, vcc
	s_cbranch_scc1 .LBB348_801
; %bb.795:
	s_and_b32 s62, 0xffff, s14
	s_cmp_gt_i32 s62, 25
	s_cbranch_scc0 .LBB348_802
; %bb.796:
	s_cmp_gt_i32 s62, 28
	s_cbranch_scc0 .LBB348_803
; %bb.797:
	;; [unrolled: 3-line block ×4, first 2 shown]
	s_cmp_eq_u32 s62, 46
	s_mov_b64 s[60:61], 0
	s_cbranch_scc0 .LBB348_808
; %bb.800:
	global_load_dword v1, v[3:4], off
	s_mov_b64 s[0:1], -1
	s_mov_b64 s[58:59], 0
	s_waitcnt vmcnt(0)
	v_lshlrev_b32_e32 v1, 16, v1
	v_cvt_u32_f32_e32 v5, v1
	s_branch .LBB348_809
.LBB348_801:
	s_mov_b64 s[60:61], -1
	s_mov_b64 s[0:1], 0
                                        ; implicit-def: $vgpr5
	s_mov_b64 s[58:59], s[48:49]
	s_branch .LBB348_870
.LBB348_802:
	s_mov_b64 s[60:61], -1
	s_mov_b64 s[0:1], 0
	s_mov_b64 s[58:59], s[48:49]
                                        ; implicit-def: $vgpr5
	s_branch .LBB348_836
.LBB348_803:
	s_mov_b64 s[60:61], -1
	s_mov_b64 s[0:1], 0
	s_mov_b64 s[58:59], s[48:49]
                                        ; implicit-def: $vgpr5
	s_branch .LBB348_819
.LBB348_804:
	s_mov_b64 s[60:61], -1
	s_mov_b64 s[0:1], 0
	s_mov_b64 s[58:59], s[48:49]
                                        ; implicit-def: $vgpr5
	s_branch .LBB348_814
.LBB348_805:
	s_mov_b64 s[60:61], -1
	s_mov_b64 s[0:1], 0
	s_mov_b64 s[58:59], s[48:49]
                                        ; implicit-def: $vgpr5
	s_branch .LBB348_809
.LBB348_806:
	s_andn2_saveexec_b64 s[60:61], s[60:61]
	s_cbranch_execz .LBB348_689
.LBB348_807:
	v_add_f32_e32 v2, 0x46000000, v3
	v_and_b32_e32 v2, 0xff, v2
	v_cmp_ne_u32_e32 vcc, 0, v2
	s_andn2_b64 s[58:59], s[58:59], exec
	s_and_b64 s[64:65], vcc, exec
	s_or_b64 s[58:59], s[58:59], s[64:65]
	s_or_b64 exec, exec, s[60:61]
	v_mov_b32_e32 v4, 0
	s_and_saveexec_b64 s[60:61], s[58:59]
	s_cbranch_execnz .LBB348_690
	s_branch .LBB348_691
.LBB348_808:
	s_mov_b64 s[58:59], -1
                                        ; implicit-def: $vgpr5
	s_mov_b64 s[0:1], 0
.LBB348_809:
	s_and_b64 vcc, exec, s[60:61]
	s_cbranch_vccz .LBB348_813
; %bb.810:
	s_cmp_eq_u32 s62, 44
	s_cbranch_scc0 .LBB348_812
; %bb.811:
	global_load_ubyte v1, v[3:4], off
	s_mov_b64 s[0:1], -1
	s_mov_b64 s[58:59], 0
	s_waitcnt vmcnt(0)
	v_lshlrev_b32_e32 v5, 23, v1
	v_cvt_u32_f32_e32 v5, v5
	v_cmp_ne_u32_e32 vcc, 0, v1
	v_cndmask_b32_e32 v5, 0, v5, vcc
	s_branch .LBB348_813
.LBB348_812:
	s_mov_b64 s[58:59], -1
                                        ; implicit-def: $vgpr5
.LBB348_813:
	s_mov_b64 s[60:61], 0
.LBB348_814:
	s_and_b64 vcc, exec, s[60:61]
	s_cbranch_vccz .LBB348_818
; %bb.815:
	s_cmp_eq_u32 s62, 29
	s_cbranch_scc0 .LBB348_817
; %bb.816:
	global_load_dword v5, v[3:4], off
	s_mov_b64 s[0:1], -1
	s_mov_b64 s[58:59], 0
	s_branch .LBB348_818
.LBB348_817:
	s_mov_b64 s[58:59], -1
                                        ; implicit-def: $vgpr5
.LBB348_818:
	s_mov_b64 s[60:61], 0
.LBB348_819:
	s_and_b64 vcc, exec, s[60:61]
	s_cbranch_vccz .LBB348_835
; %bb.820:
	s_cmp_lt_i32 s62, 27
	s_cbranch_scc1 .LBB348_823
; %bb.821:
	s_cmp_gt_i32 s62, 27
	s_cbranch_scc0 .LBB348_824
; %bb.822:
	global_load_dword v5, v[3:4], off
	s_mov_b64 s[0:1], 0
	s_branch .LBB348_825
.LBB348_823:
	s_mov_b64 s[0:1], -1
                                        ; implicit-def: $vgpr5
	s_branch .LBB348_828
.LBB348_824:
	s_mov_b64 s[0:1], -1
                                        ; implicit-def: $vgpr5
.LBB348_825:
	s_andn2_b64 vcc, exec, s[0:1]
	s_cbranch_vccnz .LBB348_827
; %bb.826:
	global_load_ushort v5, v[3:4], off
.LBB348_827:
	s_mov_b64 s[0:1], 0
.LBB348_828:
	s_andn2_b64 vcc, exec, s[0:1]
	s_cbranch_vccnz .LBB348_834
; %bb.829:
	global_load_ubyte v1, v[3:4], off
	s_movk_i32 s0, 0x7f
	s_mov_b64 s[60:61], 0
	s_waitcnt vmcnt(0)
	v_cmp_lt_i16_e32 vcc, s0, v1
	s_and_saveexec_b64 s[0:1], vcc
	s_xor_b64 s[0:1], exec, s[0:1]
	s_cbranch_execz .LBB348_846
; %bb.830:
	s_movk_i32 s60, 0x80
	v_cmp_ne_u16_e32 vcc, s60, v1
	s_and_b64 s[60:61], vcc, exec
	s_andn2_saveexec_b64 s[0:1], s[0:1]
	s_cbranch_execnz .LBB348_847
.LBB348_831:
	s_or_b64 exec, exec, s[0:1]
	v_mov_b32_e32 v5, 0
	s_and_saveexec_b64 s[0:1], s[60:61]
	s_cbranch_execz .LBB348_833
.LBB348_832:
	v_lshlrev_b32_e32 v5, 24, v1
	v_and_b32_e32 v1, 0xffff, v1
	v_and_b32_e32 v6, 7, v1
	v_ffbh_u32_e32 v9, v6
	v_min_u32_e32 v9, 32, v9
	v_subrev_u32_e32 v10, 28, v9
	v_bfe_u32 v7, v1, 3, 4
	v_lshlrev_b32_e32 v1, v10, v1
	v_sub_u32_e32 v9, 29, v9
	v_and_b32_e32 v1, 7, v1
	v_cmp_eq_u32_e32 vcc, 0, v7
	v_cndmask_b32_e32 v7, v7, v9, vcc
	v_cndmask_b32_e32 v1, v6, v1, vcc
	v_mov_b32_e32 v6, 0x3b800000
	v_lshlrev_b32_e32 v1, 20, v1
	v_and_b32_e32 v5, 0x80000000, v5
	v_lshl_add_u32 v6, v7, 23, v6
	v_or3_b32 v1, v5, v6, v1
	v_cvt_u32_f32_e32 v5, v1
.LBB348_833:
	s_or_b64 exec, exec, s[0:1]
.LBB348_834:
	s_mov_b64 s[0:1], -1
.LBB348_835:
	s_mov_b64 s[60:61], 0
.LBB348_836:
	s_and_b64 vcc, exec, s[60:61]
	s_cbranch_vccz .LBB348_869
; %bb.837:
	s_cmp_gt_i32 s62, 22
	s_cbranch_scc0 .LBB348_845
; %bb.838:
	s_cmp_lt_i32 s62, 24
	s_cbranch_scc1 .LBB348_848
; %bb.839:
	s_cmp_gt_i32 s62, 24
	s_cbranch_scc0 .LBB348_849
; %bb.840:
	global_load_ubyte v1, v[3:4], off
	s_movk_i32 s0, 0x7f
	s_mov_b64 s[60:61], 0
	s_waitcnt vmcnt(0)
	v_cmp_lt_i16_e32 vcc, s0, v1
	s_and_saveexec_b64 s[0:1], vcc
	s_xor_b64 s[0:1], exec, s[0:1]
	s_cbranch_execz .LBB348_861
; %bb.841:
	s_movk_i32 s60, 0x80
	v_cmp_ne_u16_e32 vcc, s60, v1
	s_and_b64 s[60:61], vcc, exec
	s_andn2_saveexec_b64 s[0:1], s[0:1]
	s_cbranch_execnz .LBB348_862
.LBB348_842:
	s_or_b64 exec, exec, s[0:1]
	v_mov_b32_e32 v5, 0
	s_and_saveexec_b64 s[0:1], s[60:61]
	s_cbranch_execz .LBB348_844
.LBB348_843:
	v_lshlrev_b32_e32 v5, 24, v1
	v_and_b32_e32 v1, 0xffff, v1
	v_and_b32_e32 v6, 3, v1
	v_ffbh_u32_e32 v9, v6
	v_min_u32_e32 v9, 32, v9
	v_subrev_u32_e32 v10, 29, v9
	v_bfe_u32 v7, v1, 2, 5
	v_lshlrev_b32_e32 v1, v10, v1
	v_sub_u32_e32 v9, 30, v9
	v_and_b32_e32 v1, 3, v1
	v_cmp_eq_u32_e32 vcc, 0, v7
	v_cndmask_b32_e32 v7, v7, v9, vcc
	v_cndmask_b32_e32 v1, v6, v1, vcc
	v_mov_b32_e32 v6, 0x37800000
	v_lshlrev_b32_e32 v1, 21, v1
	v_and_b32_e32 v5, 0x80000000, v5
	v_lshl_add_u32 v6, v7, 23, v6
	v_or3_b32 v1, v5, v6, v1
	v_cvt_u32_f32_e32 v5, v1
.LBB348_844:
	s_or_b64 exec, exec, s[0:1]
	s_mov_b64 s[0:1], 0
	s_branch .LBB348_850
.LBB348_845:
	s_mov_b64 s[60:61], -1
                                        ; implicit-def: $vgpr5
	s_branch .LBB348_856
.LBB348_846:
	s_andn2_saveexec_b64 s[0:1], s[0:1]
	s_cbranch_execz .LBB348_831
.LBB348_847:
	v_cmp_ne_u16_e32 vcc, 0, v1
	s_andn2_b64 s[60:61], s[60:61], exec
	s_and_b64 s[64:65], vcc, exec
	s_or_b64 s[60:61], s[60:61], s[64:65]
	s_or_b64 exec, exec, s[0:1]
	v_mov_b32_e32 v5, 0
	s_and_saveexec_b64 s[0:1], s[60:61]
	s_cbranch_execnz .LBB348_832
	s_branch .LBB348_833
.LBB348_848:
	s_mov_b64 s[0:1], -1
                                        ; implicit-def: $vgpr5
	s_branch .LBB348_853
.LBB348_849:
	s_mov_b64 s[0:1], -1
                                        ; implicit-def: $vgpr5
.LBB348_850:
	s_and_b64 vcc, exec, s[0:1]
	s_cbranch_vccz .LBB348_852
; %bb.851:
	global_load_ubyte v1, v[3:4], off
	s_mov_b32 s0, 0x7f800000
	s_waitcnt vmcnt(0)
	v_lshlrev_b32_e32 v1, 24, v1
	v_and_b32_e32 v5, 0x7f000000, v1
	v_ffbh_u32_e32 v6, v5
	v_min_u32_e32 v6, 32, v6
	v_sub_u32_e64 v6, v6, 4 clamp
	v_lshlrev_b32_e32 v9, v6, v5
	v_lshlrev_b32_e32 v6, 23, v6
	v_lshrrev_b32_e32 v9, 4, v9
	v_add_u32_e32 v7, 0x1000000, v5
	v_sub_u32_e32 v6, v9, v6
	v_ashrrev_i32_e32 v7, 8, v7
	v_add_u32_e32 v6, 0x3c000000, v6
	v_and_or_b32 v6, v7, s0, v6
	v_cmp_ne_u32_e32 vcc, 0, v5
	v_cndmask_b32_e32 v5, 0, v6, vcc
	s_brev_b32 s0, 1
	v_and_or_b32 v1, v1, s0, v5
	v_cvt_u32_f32_e32 v5, v1
.LBB348_852:
	s_mov_b64 s[0:1], 0
.LBB348_853:
	s_andn2_b64 vcc, exec, s[0:1]
	s_cbranch_vccnz .LBB348_855
; %bb.854:
	global_load_ubyte v1, v[3:4], off
	s_movk_i32 s0, 0x7f00
	s_brev_b32 s1, 16
	s_waitcnt vmcnt(0)
	v_lshlrev_b16_e32 v5, 8, v1
	v_lshlrev_b32_e32 v1, 25, v1
	v_lshrrev_b32_e32 v6, 4, v1
	v_and_or_b32 v7, v5, s0, 0.5
	v_or_b32_e32 v6, 0x70000000, v6
	v_add_f32_e32 v7, -0.5, v7
	v_mul_f32_e32 v6, 0x7800000, v6
	v_cmp_gt_u32_e32 vcc, s1, v1
	v_bfe_i32 v5, v5, 0, 16
	v_cndmask_b32_e32 v1, v6, v7, vcc
	s_brev_b32 s0, 1
	v_and_or_b32 v1, v5, s0, v1
	v_cvt_u32_f32_e32 v5, v1
.LBB348_855:
	s_mov_b64 s[60:61], 0
	s_mov_b64 s[0:1], -1
.LBB348_856:
	s_andn2_b64 vcc, exec, s[60:61]
	s_cbranch_vccnz .LBB348_869
; %bb.857:
	s_cmp_gt_i32 s62, 14
	s_cbranch_scc0 .LBB348_860
; %bb.858:
	s_cmp_eq_u32 s62, 15
	s_cbranch_scc0 .LBB348_863
; %bb.859:
	global_load_ushort v1, v[3:4], off
	s_mov_b64 s[0:1], -1
	s_mov_b64 s[58:59], 0
	s_waitcnt vmcnt(0)
	v_lshlrev_b32_e32 v1, 16, v1
	v_cvt_u32_f32_e32 v5, v1
	s_branch .LBB348_864
.LBB348_860:
	s_mov_b64 s[60:61], -1
                                        ; implicit-def: $vgpr5
	s_branch .LBB348_865
.LBB348_861:
	s_andn2_saveexec_b64 s[0:1], s[0:1]
	s_cbranch_execz .LBB348_842
.LBB348_862:
	v_cmp_ne_u16_e32 vcc, 0, v1
	s_andn2_b64 s[60:61], s[60:61], exec
	s_and_b64 s[64:65], vcc, exec
	s_or_b64 s[60:61], s[60:61], s[64:65]
	s_or_b64 exec, exec, s[0:1]
	v_mov_b32_e32 v5, 0
	s_and_saveexec_b64 s[0:1], s[60:61]
	s_cbranch_execnz .LBB348_843
	s_branch .LBB348_844
.LBB348_863:
	s_mov_b64 s[58:59], -1
                                        ; implicit-def: $vgpr5
.LBB348_864:
	s_mov_b64 s[60:61], 0
.LBB348_865:
	s_and_b64 vcc, exec, s[60:61]
	s_cbranch_vccz .LBB348_869
; %bb.866:
	s_cmp_eq_u32 s62, 11
	s_cbranch_scc0 .LBB348_868
; %bb.867:
	global_load_ubyte v1, v[3:4], off
	s_mov_b64 s[0:1], -1
	s_mov_b64 s[58:59], 0
	s_waitcnt vmcnt(0)
	v_cmp_ne_u16_e32 vcc, 0, v1
	v_cndmask_b32_e64 v5, 0, 1, vcc
	s_branch .LBB348_869
.LBB348_868:
	s_mov_b64 s[58:59], -1
                                        ; implicit-def: $vgpr5
.LBB348_869:
	s_mov_b64 s[60:61], 0
.LBB348_870:
	s_and_b64 vcc, exec, s[60:61]
	s_cbranch_vccz .LBB348_919
; %bb.871:
	s_and_b32 s14, 0xffff, s14
	s_cmp_lt_i32 s14, 5
	s_cbranch_scc1 .LBB348_876
; %bb.872:
	s_cmp_lt_i32 s14, 8
	s_cbranch_scc1 .LBB348_877
; %bb.873:
	;; [unrolled: 3-line block ×3, first 2 shown]
	s_cmp_gt_i32 s14, 9
	s_cbranch_scc0 .LBB348_879
; %bb.875:
	global_load_dwordx2 v[5:6], v[3:4], off
	s_mov_b64 s[0:1], 0
	s_waitcnt vmcnt(0)
	v_cvt_u32_f64_e32 v5, v[5:6]
	s_branch .LBB348_880
.LBB348_876:
	s_mov_b64 s[0:1], -1
                                        ; implicit-def: $vgpr5
	s_branch .LBB348_898
.LBB348_877:
	s_mov_b64 s[0:1], -1
                                        ; implicit-def: $vgpr5
	s_branch .LBB348_886
.LBB348_878:
	s_mov_b64 s[0:1], -1
                                        ; implicit-def: $vgpr5
	s_branch .LBB348_883
.LBB348_879:
	s_mov_b64 s[0:1], -1
                                        ; implicit-def: $vgpr5
.LBB348_880:
	s_andn2_b64 vcc, exec, s[0:1]
	s_cbranch_vccnz .LBB348_882
; %bb.881:
	global_load_dword v1, v[3:4], off
	s_waitcnt vmcnt(0)
	v_cvt_u32_f32_e32 v5, v1
.LBB348_882:
	s_mov_b64 s[0:1], 0
.LBB348_883:
	s_andn2_b64 vcc, exec, s[0:1]
	s_cbranch_vccnz .LBB348_885
; %bb.884:
	global_load_dword v1, v[3:4], off
	s_waitcnt vmcnt(0)
	v_cvt_f32_f16_e32 v1, v1
	v_cvt_u32_f32_e32 v5, v1
.LBB348_885:
	s_mov_b64 s[0:1], 0
.LBB348_886:
	s_andn2_b64 vcc, exec, s[0:1]
	s_cbranch_vccnz .LBB348_897
; %bb.887:
	s_cmp_lt_i32 s14, 6
	s_cbranch_scc1 .LBB348_890
; %bb.888:
	s_cmp_gt_i32 s14, 6
	s_cbranch_scc0 .LBB348_891
; %bb.889:
	global_load_dwordx2 v[5:6], v[3:4], off
	s_mov_b64 s[0:1], 0
	s_waitcnt vmcnt(0)
	v_cvt_u32_f64_e32 v5, v[5:6]
	s_branch .LBB348_892
.LBB348_890:
	s_mov_b64 s[0:1], -1
                                        ; implicit-def: $vgpr5
	s_branch .LBB348_895
.LBB348_891:
	s_mov_b64 s[0:1], -1
                                        ; implicit-def: $vgpr5
.LBB348_892:
	s_andn2_b64 vcc, exec, s[0:1]
	s_cbranch_vccnz .LBB348_894
; %bb.893:
	global_load_dword v1, v[3:4], off
	s_waitcnt vmcnt(0)
	v_cvt_u32_f32_e32 v5, v1
.LBB348_894:
	s_mov_b64 s[0:1], 0
.LBB348_895:
	s_andn2_b64 vcc, exec, s[0:1]
	s_cbranch_vccnz .LBB348_897
; %bb.896:
	global_load_ushort v1, v[3:4], off
	s_waitcnt vmcnt(0)
	v_cvt_f32_f16_e32 v1, v1
	v_cvt_u32_f32_e32 v5, v1
.LBB348_897:
	s_mov_b64 s[0:1], 0
.LBB348_898:
	s_andn2_b64 vcc, exec, s[0:1]
	s_cbranch_vccnz .LBB348_918
; %bb.899:
	s_cmp_lt_i32 s14, 2
	s_cbranch_scc1 .LBB348_903
; %bb.900:
	s_cmp_lt_i32 s14, 3
	s_cbranch_scc1 .LBB348_904
; %bb.901:
	s_cmp_gt_i32 s14, 3
	s_cbranch_scc0 .LBB348_905
; %bb.902:
	global_load_dword v5, v[3:4], off
	s_mov_b64 s[0:1], 0
	s_branch .LBB348_906
.LBB348_903:
	s_mov_b64 s[0:1], -1
                                        ; implicit-def: $vgpr5
	s_branch .LBB348_912
.LBB348_904:
	s_mov_b64 s[0:1], -1
                                        ; implicit-def: $vgpr5
	s_branch .LBB348_909
.LBB348_905:
	s_mov_b64 s[0:1], -1
                                        ; implicit-def: $vgpr5
.LBB348_906:
	s_andn2_b64 vcc, exec, s[0:1]
	s_cbranch_vccnz .LBB348_908
; %bb.907:
	global_load_dword v5, v[3:4], off
.LBB348_908:
	s_mov_b64 s[0:1], 0
.LBB348_909:
	s_andn2_b64 vcc, exec, s[0:1]
	s_cbranch_vccnz .LBB348_911
; %bb.910:
	global_load_sshort v5, v[3:4], off
.LBB348_911:
	s_mov_b64 s[0:1], 0
.LBB348_912:
	s_andn2_b64 vcc, exec, s[0:1]
	s_cbranch_vccnz .LBB348_918
; %bb.913:
	s_cmp_gt_i32 s14, 0
	s_cbranch_scc0 .LBB348_915
; %bb.914:
	global_load_sbyte v5, v[3:4], off
	s_mov_b64 s[0:1], 0
	s_branch .LBB348_916
.LBB348_915:
	s_mov_b64 s[0:1], -1
                                        ; implicit-def: $vgpr5
.LBB348_916:
	s_andn2_b64 vcc, exec, s[0:1]
	s_cbranch_vccnz .LBB348_918
; %bb.917:
	global_load_ubyte v5, v[3:4], off
.LBB348_918:
	s_mov_b64 s[0:1], -1
.LBB348_919:
	s_andn2_b64 vcc, exec, s[0:1]
	s_cbranch_vccnz .LBB348_927
; %bb.920:
	v_mov_b32_e32 v3, s13
	s_and_b32 s14, s73, 0xff
	v_add_co_u32_e32 v1, vcc, s12, v2
	s_cmp_lt_i32 s14, 11
	v_addc_co_u32_e32 v2, vcc, 0, v3, vcc
	s_cbranch_scc1 .LBB348_929
; %bb.921:
	s_and_b32 s64, 0xffff, s14
	s_cmp_gt_i32 s64, 25
	s_cbranch_scc0 .LBB348_930
; %bb.922:
	s_cmp_gt_i32 s64, 28
	s_cbranch_scc0 .LBB348_931
; %bb.923:
	;; [unrolled: 3-line block ×4, first 2 shown]
	s_cmp_eq_u32 s64, 46
	s_mov_b64 s[62:63], 0
	s_cbranch_scc0 .LBB348_936
; %bb.926:
	global_load_dword v3, v[1:2], off
	s_mov_b64 s[0:1], -1
	s_mov_b64 s[60:61], 0
	s_waitcnt vmcnt(0)
	v_lshlrev_b32_e32 v3, 16, v3
	v_cvt_u32_f32_e32 v3, v3
	s_branch .LBB348_937
.LBB348_927:
	s_mov_b64 s[64:65], 0
	s_mov_b64 s[0:1], s[52:53]
	;; [unrolled: 1-line block ×3, first 2 shown]
.LBB348_928:
                                        ; implicit-def: $vgpr8
	s_branch .LBB348_1171
.LBB348_929:
	s_mov_b64 s[62:63], -1
	s_mov_b64 s[0:1], 0
                                        ; implicit-def: $vgpr3
	s_mov_b64 s[60:61], s[50:51]
	s_branch .LBB348_998
.LBB348_930:
	s_mov_b64 s[62:63], -1
	s_mov_b64 s[0:1], 0
	s_mov_b64 s[60:61], s[50:51]
                                        ; implicit-def: $vgpr3
	s_branch .LBB348_964
.LBB348_931:
	s_mov_b64 s[62:63], -1
	s_mov_b64 s[0:1], 0
	s_mov_b64 s[60:61], s[50:51]
                                        ; implicit-def: $vgpr3
	s_branch .LBB348_947
.LBB348_932:
	s_mov_b64 s[62:63], -1
	s_mov_b64 s[0:1], 0
	s_mov_b64 s[60:61], s[50:51]
                                        ; implicit-def: $vgpr3
	s_branch .LBB348_942
.LBB348_933:
	s_mov_b64 s[62:63], -1
	s_mov_b64 s[0:1], 0
	s_mov_b64 s[60:61], s[50:51]
                                        ; implicit-def: $vgpr3
	s_branch .LBB348_937
.LBB348_934:
	s_andn2_saveexec_b64 s[60:61], s[60:61]
	s_cbranch_execz .LBB348_702
.LBB348_935:
	v_add_f32_e32 v2, 0x42800000, v3
	v_and_b32_e32 v2, 0xff, v2
	v_cmp_ne_u32_e32 vcc, 0, v2
	s_andn2_b64 s[58:59], s[58:59], exec
	s_and_b64 s[64:65], vcc, exec
	s_or_b64 s[58:59], s[58:59], s[64:65]
	s_or_b64 exec, exec, s[60:61]
	v_mov_b32_e32 v4, 0
	s_and_saveexec_b64 s[60:61], s[58:59]
	s_cbranch_execnz .LBB348_703
	s_branch .LBB348_704
.LBB348_936:
	s_mov_b64 s[60:61], -1
                                        ; implicit-def: $vgpr3
	s_mov_b64 s[0:1], 0
.LBB348_937:
	s_and_b64 vcc, exec, s[62:63]
	s_cbranch_vccz .LBB348_941
; %bb.938:
	s_cmp_eq_u32 s64, 44
	s_cbranch_scc0 .LBB348_940
; %bb.939:
	global_load_ubyte v3, v[1:2], off
	s_mov_b64 s[0:1], -1
	s_mov_b64 s[60:61], 0
	s_waitcnt vmcnt(0)
	v_lshlrev_b32_e32 v4, 23, v3
	v_cvt_u32_f32_e32 v4, v4
	v_cmp_ne_u32_e32 vcc, 0, v3
	v_cndmask_b32_e32 v3, 0, v4, vcc
	s_branch .LBB348_941
.LBB348_940:
	s_mov_b64 s[60:61], -1
                                        ; implicit-def: $vgpr3
.LBB348_941:
	s_mov_b64 s[62:63], 0
.LBB348_942:
	s_and_b64 vcc, exec, s[62:63]
	s_cbranch_vccz .LBB348_946
; %bb.943:
	s_cmp_eq_u32 s64, 29
	s_cbranch_scc0 .LBB348_945
; %bb.944:
	global_load_dword v3, v[1:2], off
	s_mov_b64 s[0:1], -1
	s_mov_b64 s[60:61], 0
	s_branch .LBB348_946
.LBB348_945:
	s_mov_b64 s[60:61], -1
                                        ; implicit-def: $vgpr3
.LBB348_946:
	s_mov_b64 s[62:63], 0
.LBB348_947:
	s_and_b64 vcc, exec, s[62:63]
	s_cbranch_vccz .LBB348_963
; %bb.948:
	s_cmp_lt_i32 s64, 27
	s_cbranch_scc1 .LBB348_951
; %bb.949:
	s_cmp_gt_i32 s64, 27
	s_cbranch_scc0 .LBB348_952
; %bb.950:
	global_load_dword v3, v[1:2], off
	s_mov_b64 s[0:1], 0
	s_branch .LBB348_953
.LBB348_951:
	s_mov_b64 s[0:1], -1
                                        ; implicit-def: $vgpr3
	s_branch .LBB348_956
.LBB348_952:
	s_mov_b64 s[0:1], -1
                                        ; implicit-def: $vgpr3
.LBB348_953:
	s_andn2_b64 vcc, exec, s[0:1]
	s_cbranch_vccnz .LBB348_955
; %bb.954:
	global_load_ushort v3, v[1:2], off
.LBB348_955:
	s_mov_b64 s[0:1], 0
.LBB348_956:
	s_andn2_b64 vcc, exec, s[0:1]
	s_cbranch_vccnz .LBB348_962
; %bb.957:
	global_load_ubyte v4, v[1:2], off
	s_movk_i32 s0, 0x7f
	s_mov_b64 s[62:63], 0
	s_waitcnt vmcnt(0)
	v_cmp_lt_i16_e32 vcc, s0, v4
	s_and_saveexec_b64 s[0:1], vcc
	s_xor_b64 s[0:1], exec, s[0:1]
	s_cbranch_execz .LBB348_974
; %bb.958:
	s_movk_i32 s62, 0x80
	v_cmp_ne_u16_e32 vcc, s62, v4
	s_and_b64 s[62:63], vcc, exec
	s_andn2_saveexec_b64 s[0:1], s[0:1]
	s_cbranch_execnz .LBB348_975
.LBB348_959:
	s_or_b64 exec, exec, s[0:1]
	v_mov_b32_e32 v3, 0
	s_and_saveexec_b64 s[0:1], s[62:63]
	s_cbranch_execz .LBB348_961
.LBB348_960:
	v_lshlrev_b32_e32 v3, 24, v4
	v_and_b32_e32 v4, 0xffff, v4
	v_and_b32_e32 v6, 7, v4
	v_ffbh_u32_e32 v9, v6
	v_min_u32_e32 v9, 32, v9
	v_subrev_u32_e32 v10, 28, v9
	v_bfe_u32 v7, v4, 3, 4
	v_lshlrev_b32_e32 v4, v10, v4
	v_sub_u32_e32 v9, 29, v9
	v_and_b32_e32 v4, 7, v4
	v_cmp_eq_u32_e32 vcc, 0, v7
	v_cndmask_b32_e32 v7, v7, v9, vcc
	v_cndmask_b32_e32 v4, v6, v4, vcc
	v_mov_b32_e32 v6, 0x3b800000
	v_lshlrev_b32_e32 v4, 20, v4
	v_and_b32_e32 v3, 0x80000000, v3
	v_lshl_add_u32 v6, v7, 23, v6
	v_or3_b32 v3, v3, v6, v4
	v_cvt_u32_f32_e32 v3, v3
.LBB348_961:
	s_or_b64 exec, exec, s[0:1]
.LBB348_962:
	s_mov_b64 s[0:1], -1
.LBB348_963:
	s_mov_b64 s[62:63], 0
.LBB348_964:
	s_and_b64 vcc, exec, s[62:63]
	s_cbranch_vccz .LBB348_997
; %bb.965:
	s_cmp_gt_i32 s64, 22
	s_cbranch_scc0 .LBB348_973
; %bb.966:
	s_cmp_lt_i32 s64, 24
	s_cbranch_scc1 .LBB348_976
; %bb.967:
	s_cmp_gt_i32 s64, 24
	s_cbranch_scc0 .LBB348_977
; %bb.968:
	global_load_ubyte v4, v[1:2], off
	s_movk_i32 s0, 0x7f
	s_mov_b64 s[62:63], 0
	s_waitcnt vmcnt(0)
	v_cmp_lt_i16_e32 vcc, s0, v4
	s_and_saveexec_b64 s[0:1], vcc
	s_xor_b64 s[0:1], exec, s[0:1]
	s_cbranch_execz .LBB348_989
; %bb.969:
	s_movk_i32 s62, 0x80
	v_cmp_ne_u16_e32 vcc, s62, v4
	s_and_b64 s[62:63], vcc, exec
	s_andn2_saveexec_b64 s[0:1], s[0:1]
	s_cbranch_execnz .LBB348_990
.LBB348_970:
	s_or_b64 exec, exec, s[0:1]
	v_mov_b32_e32 v3, 0
	s_and_saveexec_b64 s[0:1], s[62:63]
	s_cbranch_execz .LBB348_972
.LBB348_971:
	v_lshlrev_b32_e32 v3, 24, v4
	v_and_b32_e32 v4, 0xffff, v4
	v_and_b32_e32 v6, 3, v4
	v_ffbh_u32_e32 v9, v6
	v_min_u32_e32 v9, 32, v9
	v_subrev_u32_e32 v10, 29, v9
	v_bfe_u32 v7, v4, 2, 5
	v_lshlrev_b32_e32 v4, v10, v4
	v_sub_u32_e32 v9, 30, v9
	v_and_b32_e32 v4, 3, v4
	v_cmp_eq_u32_e32 vcc, 0, v7
	v_cndmask_b32_e32 v7, v7, v9, vcc
	v_cndmask_b32_e32 v4, v6, v4, vcc
	v_mov_b32_e32 v6, 0x37800000
	v_lshlrev_b32_e32 v4, 21, v4
	v_and_b32_e32 v3, 0x80000000, v3
	v_lshl_add_u32 v6, v7, 23, v6
	v_or3_b32 v3, v3, v6, v4
	v_cvt_u32_f32_e32 v3, v3
.LBB348_972:
	s_or_b64 exec, exec, s[0:1]
	s_mov_b64 s[0:1], 0
	s_branch .LBB348_978
.LBB348_973:
	s_mov_b64 s[62:63], -1
                                        ; implicit-def: $vgpr3
	s_branch .LBB348_984
.LBB348_974:
	s_andn2_saveexec_b64 s[0:1], s[0:1]
	s_cbranch_execz .LBB348_959
.LBB348_975:
	v_cmp_ne_u16_e32 vcc, 0, v4
	s_andn2_b64 s[62:63], s[62:63], exec
	s_and_b64 s[66:67], vcc, exec
	s_or_b64 s[62:63], s[62:63], s[66:67]
	s_or_b64 exec, exec, s[0:1]
	v_mov_b32_e32 v3, 0
	s_and_saveexec_b64 s[0:1], s[62:63]
	s_cbranch_execnz .LBB348_960
	s_branch .LBB348_961
.LBB348_976:
	s_mov_b64 s[0:1], -1
                                        ; implicit-def: $vgpr3
	s_branch .LBB348_981
.LBB348_977:
	s_mov_b64 s[0:1], -1
                                        ; implicit-def: $vgpr3
.LBB348_978:
	s_and_b64 vcc, exec, s[0:1]
	s_cbranch_vccz .LBB348_980
; %bb.979:
	global_load_ubyte v3, v[1:2], off
	s_mov_b32 s0, 0x7f800000
	s_waitcnt vmcnt(0)
	v_lshlrev_b32_e32 v3, 24, v3
	v_and_b32_e32 v4, 0x7f000000, v3
	v_ffbh_u32_e32 v6, v4
	v_min_u32_e32 v6, 32, v6
	v_sub_u32_e64 v6, v6, 4 clamp
	v_lshlrev_b32_e32 v9, v6, v4
	v_lshlrev_b32_e32 v6, 23, v6
	v_lshrrev_b32_e32 v9, 4, v9
	v_add_u32_e32 v7, 0x1000000, v4
	v_sub_u32_e32 v6, v9, v6
	v_ashrrev_i32_e32 v7, 8, v7
	v_add_u32_e32 v6, 0x3c000000, v6
	v_and_or_b32 v6, v7, s0, v6
	v_cmp_ne_u32_e32 vcc, 0, v4
	v_cndmask_b32_e32 v4, 0, v6, vcc
	s_brev_b32 s0, 1
	v_and_or_b32 v3, v3, s0, v4
	v_cvt_u32_f32_e32 v3, v3
.LBB348_980:
	s_mov_b64 s[0:1], 0
.LBB348_981:
	s_andn2_b64 vcc, exec, s[0:1]
	s_cbranch_vccnz .LBB348_983
; %bb.982:
	global_load_ubyte v3, v[1:2], off
	s_movk_i32 s0, 0x7f00
	s_brev_b32 s1, 16
	s_waitcnt vmcnt(0)
	v_lshlrev_b16_e32 v4, 8, v3
	v_lshlrev_b32_e32 v3, 25, v3
	v_lshrrev_b32_e32 v6, 4, v3
	v_and_or_b32 v7, v4, s0, 0.5
	v_or_b32_e32 v6, 0x70000000, v6
	v_add_f32_e32 v7, -0.5, v7
	v_mul_f32_e32 v6, 0x7800000, v6
	v_cmp_gt_u32_e32 vcc, s1, v3
	v_bfe_i32 v4, v4, 0, 16
	v_cndmask_b32_e32 v3, v6, v7, vcc
	s_brev_b32 s0, 1
	v_and_or_b32 v3, v4, s0, v3
	v_cvt_u32_f32_e32 v3, v3
.LBB348_983:
	s_mov_b64 s[62:63], 0
	s_mov_b64 s[0:1], -1
.LBB348_984:
	s_andn2_b64 vcc, exec, s[62:63]
	s_cbranch_vccnz .LBB348_997
; %bb.985:
	s_cmp_gt_i32 s64, 14
	s_cbranch_scc0 .LBB348_988
; %bb.986:
	s_cmp_eq_u32 s64, 15
	s_cbranch_scc0 .LBB348_991
; %bb.987:
	global_load_ushort v3, v[1:2], off
	s_mov_b64 s[0:1], -1
	s_mov_b64 s[60:61], 0
	s_waitcnt vmcnt(0)
	v_lshlrev_b32_e32 v3, 16, v3
	v_cvt_u32_f32_e32 v3, v3
	s_branch .LBB348_992
.LBB348_988:
	s_mov_b64 s[62:63], -1
                                        ; implicit-def: $vgpr3
	s_branch .LBB348_993
.LBB348_989:
	s_andn2_saveexec_b64 s[0:1], s[0:1]
	s_cbranch_execz .LBB348_970
.LBB348_990:
	v_cmp_ne_u16_e32 vcc, 0, v4
	s_andn2_b64 s[62:63], s[62:63], exec
	s_and_b64 s[66:67], vcc, exec
	s_or_b64 s[62:63], s[62:63], s[66:67]
	s_or_b64 exec, exec, s[0:1]
	v_mov_b32_e32 v3, 0
	s_and_saveexec_b64 s[0:1], s[62:63]
	s_cbranch_execnz .LBB348_971
	s_branch .LBB348_972
.LBB348_991:
	s_mov_b64 s[60:61], -1
                                        ; implicit-def: $vgpr3
.LBB348_992:
	s_mov_b64 s[62:63], 0
.LBB348_993:
	s_and_b64 vcc, exec, s[62:63]
	s_cbranch_vccz .LBB348_997
; %bb.994:
	s_cmp_eq_u32 s64, 11
	s_cbranch_scc0 .LBB348_996
; %bb.995:
	global_load_ubyte v3, v[1:2], off
	s_mov_b64 s[0:1], -1
	s_mov_b64 s[60:61], 0
	s_waitcnt vmcnt(0)
	v_cmp_ne_u16_e32 vcc, 0, v3
	v_cndmask_b32_e64 v3, 0, 1, vcc
	s_branch .LBB348_997
.LBB348_996:
	s_mov_b64 s[60:61], -1
                                        ; implicit-def: $vgpr3
.LBB348_997:
	s_mov_b64 s[62:63], 0
.LBB348_998:
	s_and_b64 vcc, exec, s[62:63]
	s_cbranch_vccz .LBB348_1047
; %bb.999:
	s_and_b32 s14, 0xffff, s14
	s_cmp_lt_i32 s14, 5
	s_cbranch_scc1 .LBB348_1004
; %bb.1000:
	s_cmp_lt_i32 s14, 8
	s_cbranch_scc1 .LBB348_1005
; %bb.1001:
	;; [unrolled: 3-line block ×3, first 2 shown]
	s_cmp_gt_i32 s14, 9
	s_cbranch_scc0 .LBB348_1007
; %bb.1003:
	global_load_dwordx2 v[3:4], v[1:2], off
	s_mov_b64 s[0:1], 0
	s_waitcnt vmcnt(0)
	v_cvt_u32_f64_e32 v3, v[3:4]
	s_branch .LBB348_1008
.LBB348_1004:
	s_mov_b64 s[0:1], -1
                                        ; implicit-def: $vgpr3
	s_branch .LBB348_1026
.LBB348_1005:
	s_mov_b64 s[0:1], -1
                                        ; implicit-def: $vgpr3
	s_branch .LBB348_1014
.LBB348_1006:
	s_mov_b64 s[0:1], -1
                                        ; implicit-def: $vgpr3
	s_branch .LBB348_1011
.LBB348_1007:
	s_mov_b64 s[0:1], -1
                                        ; implicit-def: $vgpr3
.LBB348_1008:
	s_andn2_b64 vcc, exec, s[0:1]
	s_cbranch_vccnz .LBB348_1010
; %bb.1009:
	global_load_dword v3, v[1:2], off
	s_waitcnt vmcnt(0)
	v_cvt_u32_f32_e32 v3, v3
.LBB348_1010:
	s_mov_b64 s[0:1], 0
.LBB348_1011:
	s_andn2_b64 vcc, exec, s[0:1]
	s_cbranch_vccnz .LBB348_1013
; %bb.1012:
	global_load_dword v3, v[1:2], off
	s_waitcnt vmcnt(0)
	v_cvt_f32_f16_e32 v3, v3
	v_cvt_u32_f32_e32 v3, v3
.LBB348_1013:
	s_mov_b64 s[0:1], 0
.LBB348_1014:
	s_andn2_b64 vcc, exec, s[0:1]
	s_cbranch_vccnz .LBB348_1025
; %bb.1015:
	s_cmp_lt_i32 s14, 6
	s_cbranch_scc1 .LBB348_1018
; %bb.1016:
	s_cmp_gt_i32 s14, 6
	s_cbranch_scc0 .LBB348_1019
; %bb.1017:
	global_load_dwordx2 v[3:4], v[1:2], off
	s_mov_b64 s[0:1], 0
	s_waitcnt vmcnt(0)
	v_cvt_u32_f64_e32 v3, v[3:4]
	s_branch .LBB348_1020
.LBB348_1018:
	s_mov_b64 s[0:1], -1
                                        ; implicit-def: $vgpr3
	s_branch .LBB348_1023
.LBB348_1019:
	s_mov_b64 s[0:1], -1
                                        ; implicit-def: $vgpr3
.LBB348_1020:
	s_andn2_b64 vcc, exec, s[0:1]
	s_cbranch_vccnz .LBB348_1022
; %bb.1021:
	global_load_dword v3, v[1:2], off
	s_waitcnt vmcnt(0)
	v_cvt_u32_f32_e32 v3, v3
.LBB348_1022:
	s_mov_b64 s[0:1], 0
.LBB348_1023:
	s_andn2_b64 vcc, exec, s[0:1]
	s_cbranch_vccnz .LBB348_1025
; %bb.1024:
	global_load_ushort v3, v[1:2], off
	s_waitcnt vmcnt(0)
	v_cvt_f32_f16_e32 v3, v3
	v_cvt_u32_f32_e32 v3, v3
.LBB348_1025:
	s_mov_b64 s[0:1], 0
.LBB348_1026:
	s_andn2_b64 vcc, exec, s[0:1]
	s_cbranch_vccnz .LBB348_1046
; %bb.1027:
	s_cmp_lt_i32 s14, 2
	s_cbranch_scc1 .LBB348_1031
; %bb.1028:
	s_cmp_lt_i32 s14, 3
	s_cbranch_scc1 .LBB348_1032
; %bb.1029:
	s_cmp_gt_i32 s14, 3
	s_cbranch_scc0 .LBB348_1033
; %bb.1030:
	global_load_dword v3, v[1:2], off
	s_mov_b64 s[0:1], 0
	s_branch .LBB348_1034
.LBB348_1031:
	s_mov_b64 s[0:1], -1
                                        ; implicit-def: $vgpr3
	s_branch .LBB348_1040
.LBB348_1032:
	s_mov_b64 s[0:1], -1
                                        ; implicit-def: $vgpr3
	s_branch .LBB348_1037
.LBB348_1033:
	s_mov_b64 s[0:1], -1
                                        ; implicit-def: $vgpr3
.LBB348_1034:
	s_andn2_b64 vcc, exec, s[0:1]
	s_cbranch_vccnz .LBB348_1036
; %bb.1035:
	global_load_dword v3, v[1:2], off
.LBB348_1036:
	s_mov_b64 s[0:1], 0
.LBB348_1037:
	s_andn2_b64 vcc, exec, s[0:1]
	s_cbranch_vccnz .LBB348_1039
; %bb.1038:
	global_load_sshort v3, v[1:2], off
.LBB348_1039:
	s_mov_b64 s[0:1], 0
.LBB348_1040:
	s_andn2_b64 vcc, exec, s[0:1]
	s_cbranch_vccnz .LBB348_1046
; %bb.1041:
	s_cmp_gt_i32 s14, 0
	s_cbranch_scc0 .LBB348_1043
; %bb.1042:
	global_load_sbyte v3, v[1:2], off
	s_mov_b64 s[0:1], 0
	s_branch .LBB348_1044
.LBB348_1043:
	s_mov_b64 s[0:1], -1
                                        ; implicit-def: $vgpr3
.LBB348_1044:
	s_andn2_b64 vcc, exec, s[0:1]
	s_cbranch_vccnz .LBB348_1046
; %bb.1045:
	global_load_ubyte v3, v[1:2], off
.LBB348_1046:
	s_mov_b64 s[0:1], -1
.LBB348_1047:
	s_andn2_b64 vcc, exec, s[0:1]
	s_cbranch_vccnz .LBB348_1055
; %bb.1048:
	s_waitcnt vmcnt(0)
	v_cmp_ne_u32_e32 vcc, v5, v3
	s_xor_b64 s[62:63], s[28:29], vcc
	v_mov_b32_e32 v1, s9
	s_and_b32 s14, s15, 0xff
	v_add_co_u32_e32 v0, vcc, s8, v0
	s_cmp_lt_i32 s14, 11
	v_addc_co_u32_e32 v1, vcc, 0, v1, vcc
	s_cbranch_scc1 .LBB348_1056
; %bb.1049:
	s_and_b32 s71, 0xffff, s14
	s_cmp_gt_i32 s71, 25
	s_cbranch_scc0 .LBB348_1057
; %bb.1050:
	s_cmp_gt_i32 s71, 28
	s_cbranch_scc0 .LBB348_1058
; %bb.1051:
	;; [unrolled: 3-line block ×4, first 2 shown]
	s_mov_b64 s[66:67], 0
	s_mov_b64 s[0:1], -1
	s_cmp_eq_u32 s71, 46
	s_mov_b64 s[64:65], 0
	s_cbranch_scc0 .LBB348_1061
; %bb.1054:
	v_cndmask_b32_e64 v2, 0, 1.0, s[62:63]
	v_bfe_u32 v3, v2, 16, 1
	s_movk_i32 s0, 0x7fff
	v_add3_u32 v2, v2, v3, s0
	v_lshrrev_b32_e32 v2, 16, v2
	global_store_dword v[0:1], v2, off
	s_mov_b64 s[64:65], -1
	s_mov_b64 s[0:1], 0
	s_branch .LBB348_1061
.LBB348_1055:
	s_mov_b64 s[64:65], 0
                                        ; implicit-def: $vgpr8
	s_mov_b64 s[0:1], s[52:53]
	s_branch .LBB348_1171
.LBB348_1056:
	s_mov_b64 s[66:67], -1
	s_mov_b64 s[64:65], 0
	s_mov_b64 s[0:1], s[52:53]
	s_branch .LBB348_1130
.LBB348_1057:
	s_mov_b64 s[66:67], -1
	s_mov_b64 s[64:65], 0
	s_mov_b64 s[0:1], s[52:53]
	s_branch .LBB348_1088
.LBB348_1058:
	s_mov_b64 s[66:67], -1
	s_mov_b64 s[64:65], 0
	s_mov_b64 s[0:1], s[52:53]
	s_branch .LBB348_1071
.LBB348_1059:
	s_mov_b64 s[66:67], -1
	s_mov_b64 s[64:65], 0
	s_mov_b64 s[0:1], s[52:53]
	s_branch .LBB348_1067
.LBB348_1060:
	s_mov_b64 s[66:67], -1
	s_mov_b64 s[64:65], 0
	s_mov_b64 s[0:1], s[52:53]
.LBB348_1061:
	s_and_b64 vcc, exec, s[66:67]
	s_cbranch_vccz .LBB348_1066
; %bb.1062:
	s_cmp_eq_u32 s71, 44
	s_mov_b64 s[0:1], -1
	s_cbranch_scc0 .LBB348_1066
; %bb.1063:
	v_cndmask_b32_e64 v3, 0, 1.0, s[62:63]
	v_lshrrev_b32_e32 v2, 23, v3
	s_movk_i32 s0, 0xff
	v_cmp_ne_u32_e32 vcc, s0, v2
	v_mov_b32_e32 v4, 0xff
	s_and_saveexec_b64 s[64:65], vcc
; %bb.1064:
	s_mov_b32 s0, 0x3fffff
	v_and_b32_e32 v4, 0x400000, v3
	v_and_or_b32 v3, v3, s0, v2
	v_cmp_ne_u32_e32 vcc, 0, v4
	v_cmp_ne_u32_e64 s[0:1], 0, v3
	s_and_b64 s[0:1], vcc, s[0:1]
	v_cndmask_b32_e64 v3, 0, 1, s[0:1]
	v_add_u32_e32 v4, v2, v3
; %bb.1065:
	s_or_b64 exec, exec, s[64:65]
	s_mov_b64 s[64:65], -1
	s_mov_b64 s[0:1], 0
	global_store_byte v[0:1], v4, off
.LBB348_1066:
	s_mov_b64 s[66:67], 0
.LBB348_1067:
	s_and_b64 vcc, exec, s[66:67]
	s_cbranch_vccz .LBB348_1070
; %bb.1068:
	s_cmp_eq_u32 s71, 29
	s_mov_b64 s[0:1], -1
	s_cbranch_scc0 .LBB348_1070
; %bb.1069:
	s_mov_b32 s0, 0
	v_cndmask_b32_e64 v2, 0, 1, s[62:63]
	v_mov_b32_e32 v3, s0
	global_store_dwordx2 v[0:1], v[2:3], off
	s_mov_b64 s[64:65], -1
	s_mov_b64 s[0:1], 0
.LBB348_1070:
	s_mov_b64 s[66:67], 0
.LBB348_1071:
	s_and_b64 vcc, exec, s[66:67]
	s_cbranch_vccz .LBB348_1087
; %bb.1072:
	s_cmp_lt_i32 s71, 27
	s_mov_b64 s[64:65], -1
	s_cbranch_scc1 .LBB348_1078
; %bb.1073:
	s_cmp_gt_i32 s71, 27
	s_cbranch_scc0 .LBB348_1075
; %bb.1074:
	v_cndmask_b32_e64 v2, 0, 1, s[62:63]
	s_mov_b64 s[64:65], 0
	global_store_dword v[0:1], v2, off
.LBB348_1075:
	s_andn2_b64 vcc, exec, s[64:65]
	s_cbranch_vccnz .LBB348_1077
; %bb.1076:
	v_cndmask_b32_e64 v2, 0, 1, s[62:63]
	global_store_short v[0:1], v2, off
.LBB348_1077:
	s_mov_b64 s[64:65], 0
.LBB348_1078:
	s_andn2_b64 vcc, exec, s[64:65]
	s_cbranch_vccnz .LBB348_1086
; %bb.1079:
	v_cndmask_b32_e64 v3, 0, 1.0, s[62:63]
	s_mov_b32 s64, 0x43800000
	v_cmp_gt_u32_e32 vcc, s64, v3
	v_mov_b32_e32 v4, 0x80
	s_and_saveexec_b64 s[64:65], vcc
	s_cbranch_execz .LBB348_1085
; %bb.1080:
	s_mov_b32 s66, 0x3bffffff
	v_cmp_lt_u32_e32 vcc, s66, v3
	s_mov_b64 s[66:67], 0
                                        ; implicit-def: $vgpr2
	s_and_saveexec_b64 s[68:69], vcc
	s_xor_b64 s[68:69], exec, s[68:69]
	s_cbranch_execz .LBB348_1199
; %bb.1081:
	v_bfe_u32 v2, v3, 20, 1
	s_mov_b32 s76, 0x487ffff
	v_add3_u32 v2, v3, v2, s76
	s_mov_b64 s[66:67], exec
	v_lshrrev_b32_e32 v2, 20, v2
                                        ; implicit-def: $vgpr3
	s_andn2_saveexec_b64 s[68:69], s[68:69]
	s_cbranch_execnz .LBB348_1200
.LBB348_1082:
	s_or_b64 exec, exec, s[68:69]
	v_mov_b32_e32 v4, 0
	s_and_saveexec_b64 s[68:69], s[66:67]
.LBB348_1083:
	v_mov_b32_e32 v4, v2
.LBB348_1084:
	s_or_b64 exec, exec, s[68:69]
.LBB348_1085:
	s_or_b64 exec, exec, s[64:65]
	global_store_byte v[0:1], v4, off
.LBB348_1086:
	s_mov_b64 s[64:65], -1
.LBB348_1087:
	s_mov_b64 s[66:67], 0
.LBB348_1088:
	s_and_b64 vcc, exec, s[66:67]
	s_cbranch_vccz .LBB348_1129
; %bb.1089:
	s_cmp_gt_i32 s71, 22
	s_mov_b64 s[66:67], -1
	s_cbranch_scc0 .LBB348_1121
; %bb.1090:
	s_cmp_lt_i32 s71, 24
	s_mov_b64 s[64:65], -1
	s_cbranch_scc1 .LBB348_1110
; %bb.1091:
	s_cmp_gt_i32 s71, 24
	s_cbranch_scc0 .LBB348_1099
; %bb.1092:
	v_cndmask_b32_e64 v3, 0, 1.0, s[62:63]
	s_mov_b32 s64, 0x47800000
	v_cmp_gt_u32_e32 vcc, s64, v3
	v_mov_b32_e32 v4, 0x80
	s_and_saveexec_b64 s[64:65], vcc
	s_cbranch_execz .LBB348_1098
; %bb.1093:
	s_mov_b32 s66, 0x37ffffff
	v_cmp_lt_u32_e32 vcc, s66, v3
	s_mov_b64 s[66:67], 0
                                        ; implicit-def: $vgpr2
	s_and_saveexec_b64 s[68:69], vcc
	s_xor_b64 s[68:69], exec, s[68:69]
	s_cbranch_execz .LBB348_2236
; %bb.1094:
	v_bfe_u32 v2, v3, 21, 1
	s_mov_b32 s76, 0x88fffff
	v_add3_u32 v2, v3, v2, s76
	s_mov_b64 s[66:67], exec
	v_lshrrev_b32_e32 v2, 21, v2
                                        ; implicit-def: $vgpr3
	s_andn2_saveexec_b64 s[68:69], s[68:69]
	s_cbranch_execnz .LBB348_2237
.LBB348_1095:
	s_or_b64 exec, exec, s[68:69]
	v_mov_b32_e32 v4, 0
	s_and_saveexec_b64 s[68:69], s[66:67]
.LBB348_1096:
	v_mov_b32_e32 v4, v2
.LBB348_1097:
	s_or_b64 exec, exec, s[68:69]
.LBB348_1098:
	s_or_b64 exec, exec, s[64:65]
	s_mov_b64 s[64:65], 0
	global_store_byte v[0:1], v4, off
.LBB348_1099:
	s_and_b64 vcc, exec, s[64:65]
	s_cbranch_vccz .LBB348_1109
; %bb.1100:
	v_cndmask_b32_e64 v2, 0, 1.0, s[62:63]
	s_mov_b32 s64, 0x43f00000
	v_cmp_gt_u32_e32 vcc, s64, v2
                                        ; implicit-def: $vgpr3
	s_and_saveexec_b64 s[64:65], vcc
	s_xor_b64 s[64:65], exec, s[64:65]
	s_cbranch_execz .LBB348_1106
; %bb.1101:
	s_mov_b32 s66, 0x3c7fffff
	v_cmp_lt_u32_e32 vcc, s66, v2
                                        ; implicit-def: $vgpr3
	s_and_saveexec_b64 s[66:67], vcc
	s_xor_b64 s[66:67], exec, s[66:67]
; %bb.1102:
	v_bfe_u32 v3, v2, 20, 1
	s_mov_b32 s68, 0x407ffff
	v_add3_u32 v2, v2, v3, s68
	v_lshrrev_b32_e32 v3, 20, v2
	v_and_b32_e32 v2, 0xff00000, v2
	s_mov_b32 s68, 0x7f00000
	v_mov_b32_e32 v4, 0x7e
	v_cmp_ne_u32_e32 vcc, s68, v2
	v_cndmask_b32_e32 v3, v4, v3, vcc
                                        ; implicit-def: $vgpr2
; %bb.1103:
	s_andn2_saveexec_b64 s[66:67], s[66:67]
; %bb.1104:
	v_add_f32_e32 v3, 0x46800000, v2
; %bb.1105:
	s_or_b64 exec, exec, s[66:67]
                                        ; implicit-def: $vgpr2
.LBB348_1106:
	s_andn2_saveexec_b64 s[64:65], s[64:65]
; %bb.1107:
	s_mov_b32 s66, 0x7f800000
	v_mov_b32_e32 v3, 0x7e
	v_mov_b32_e32 v4, 0x7f
	v_cmp_lt_u32_e32 vcc, s66, v2
	v_cndmask_b32_e32 v3, v3, v4, vcc
; %bb.1108:
	s_or_b64 exec, exec, s[64:65]
	global_store_byte v[0:1], v3, off
.LBB348_1109:
	s_mov_b64 s[64:65], 0
.LBB348_1110:
	s_andn2_b64 vcc, exec, s[64:65]
	s_cbranch_vccnz .LBB348_1120
; %bb.1111:
	v_cndmask_b32_e64 v2, 0, 1.0, s[62:63]
	s_mov_b32 s64, 0x47800000
	v_cmp_gt_u32_e32 vcc, s64, v2
                                        ; implicit-def: $vgpr3
	s_and_saveexec_b64 s[64:65], vcc
	s_xor_b64 s[64:65], exec, s[64:65]
	s_cbranch_execz .LBB348_1117
; %bb.1112:
	s_mov_b32 s66, 0x387fffff
	v_cmp_lt_u32_e32 vcc, s66, v2
                                        ; implicit-def: $vgpr3
	s_and_saveexec_b64 s[66:67], vcc
	s_xor_b64 s[66:67], exec, s[66:67]
; %bb.1113:
	v_bfe_u32 v3, v2, 21, 1
	s_mov_b32 s68, 0x80fffff
	v_add3_u32 v2, v2, v3, s68
	v_lshrrev_b32_e32 v3, 21, v2
                                        ; implicit-def: $vgpr2
; %bb.1114:
	s_andn2_saveexec_b64 s[66:67], s[66:67]
; %bb.1115:
	v_add_f32_e32 v3, 0x43000000, v2
; %bb.1116:
	s_or_b64 exec, exec, s[66:67]
                                        ; implicit-def: $vgpr2
.LBB348_1117:
	s_andn2_saveexec_b64 s[64:65], s[64:65]
; %bb.1118:
	s_mov_b32 s66, 0x7f800000
	v_mov_b32_e32 v3, 0x7c
	v_mov_b32_e32 v4, 0x7f
	v_cmp_lt_u32_e32 vcc, s66, v2
	v_cndmask_b32_e32 v3, v3, v4, vcc
; %bb.1119:
	s_or_b64 exec, exec, s[64:65]
	global_store_byte v[0:1], v3, off
.LBB348_1120:
	s_mov_b64 s[66:67], 0
	s_mov_b64 s[64:65], -1
.LBB348_1121:
	s_andn2_b64 vcc, exec, s[66:67]
	s_cbranch_vccnz .LBB348_1129
; %bb.1122:
	s_cmp_gt_i32 s71, 14
	s_mov_b64 s[66:67], -1
	s_cbranch_scc0 .LBB348_1126
; %bb.1123:
	s_cmp_eq_u32 s71, 15
	s_mov_b64 s[0:1], -1
	s_cbranch_scc0 .LBB348_1125
; %bb.1124:
	v_cndmask_b32_e64 v2, 0, 1.0, s[62:63]
	v_bfe_u32 v3, v2, 16, 1
	s_movk_i32 s0, 0x7fff
	v_add3_u32 v2, v2, v3, s0
	global_store_short_d16_hi v[0:1], v2, off
	s_mov_b64 s[64:65], -1
	s_mov_b64 s[0:1], 0
.LBB348_1125:
	s_mov_b64 s[66:67], 0
.LBB348_1126:
	s_and_b64 vcc, exec, s[66:67]
	s_cbranch_vccz .LBB348_1129
; %bb.1127:
	s_cmp_eq_u32 s71, 11
	s_mov_b64 s[0:1], -1
	s_cbranch_scc0 .LBB348_1129
; %bb.1128:
	v_cndmask_b32_e64 v2, 0, 1, s[62:63]
	s_mov_b64 s[64:65], -1
	s_mov_b64 s[0:1], 0
	global_store_byte v[0:1], v2, off
.LBB348_1129:
	s_mov_b64 s[66:67], 0
.LBB348_1130:
	s_and_b64 vcc, exec, s[66:67]
	s_cbranch_vccz .LBB348_1169
; %bb.1131:
	s_and_b32 s14, 0xffff, s14
	s_cmp_lt_i32 s14, 5
	s_mov_b64 s[64:65], -1
	s_cbranch_scc1 .LBB348_1152
; %bb.1132:
	s_cmp_lt_i32 s14, 8
	s_cbranch_scc1 .LBB348_1142
; %bb.1133:
	s_cmp_lt_i32 s14, 9
	s_cbranch_scc1 .LBB348_1139
; %bb.1134:
	s_cmp_gt_i32 s14, 9
	s_cbranch_scc0 .LBB348_1136
; %bb.1135:
	v_cndmask_b32_e64 v2, 0, 1, s[62:63]
	v_cvt_f64_u32_e32 v[2:3], v2
	v_mov_b32_e32 v4, 0
	v_mov_b32_e32 v5, v4
	s_mov_b64 s[64:65], 0
	global_store_dwordx4 v[0:1], v[2:5], off
.LBB348_1136:
	s_andn2_b64 vcc, exec, s[64:65]
	s_cbranch_vccnz .LBB348_1138
; %bb.1137:
	v_cndmask_b32_e64 v2, 0, 1.0, s[62:63]
	v_mov_b32_e32 v3, 0
	global_store_dwordx2 v[0:1], v[2:3], off
.LBB348_1138:
	s_mov_b64 s[64:65], 0
.LBB348_1139:
	s_andn2_b64 vcc, exec, s[64:65]
	s_cbranch_vccnz .LBB348_1141
; %bb.1140:
	v_cndmask_b32_e64 v2, 0, 1.0, s[62:63]
	v_cvt_f16_f32_e32 v2, v2
	global_store_dword v[0:1], v2, off
.LBB348_1141:
	s_mov_b64 s[64:65], 0
.LBB348_1142:
	s_andn2_b64 vcc, exec, s[64:65]
	s_cbranch_vccnz .LBB348_1151
; %bb.1143:
	s_cmp_lt_i32 s14, 6
	s_mov_b64 s[64:65], -1
	s_cbranch_scc1 .LBB348_1149
; %bb.1144:
	s_cmp_gt_i32 s14, 6
	s_cbranch_scc0 .LBB348_1146
; %bb.1145:
	v_cndmask_b32_e64 v2, 0, 1, s[62:63]
	v_cvt_f64_u32_e32 v[2:3], v2
	s_mov_b64 s[64:65], 0
	global_store_dwordx2 v[0:1], v[2:3], off
.LBB348_1146:
	s_andn2_b64 vcc, exec, s[64:65]
	s_cbranch_vccnz .LBB348_1148
; %bb.1147:
	v_cndmask_b32_e64 v2, 0, 1.0, s[62:63]
	global_store_dword v[0:1], v2, off
.LBB348_1148:
	s_mov_b64 s[64:65], 0
.LBB348_1149:
	s_andn2_b64 vcc, exec, s[64:65]
	s_cbranch_vccnz .LBB348_1151
; %bb.1150:
	v_cndmask_b32_e64 v2, 0, 1.0, s[62:63]
	v_cvt_f16_f32_e32 v2, v2
	global_store_short v[0:1], v2, off
.LBB348_1151:
	s_mov_b64 s[64:65], 0
.LBB348_1152:
	s_andn2_b64 vcc, exec, s[64:65]
	s_cbranch_vccnz .LBB348_1168
; %bb.1153:
	s_cmp_lt_i32 s14, 2
	s_mov_b64 s[64:65], -1
	s_cbranch_scc1 .LBB348_1163
; %bb.1154:
	s_cmp_lt_i32 s14, 3
	s_cbranch_scc1 .LBB348_1160
; %bb.1155:
	s_cmp_gt_i32 s14, 3
	s_cbranch_scc0 .LBB348_1157
; %bb.1156:
	s_mov_b32 s64, 0
	v_cndmask_b32_e64 v2, 0, 1, s[62:63]
	v_mov_b32_e32 v3, s64
	s_mov_b64 s[64:65], 0
	global_store_dwordx2 v[0:1], v[2:3], off
.LBB348_1157:
	s_andn2_b64 vcc, exec, s[64:65]
	s_cbranch_vccnz .LBB348_1159
; %bb.1158:
	v_cndmask_b32_e64 v2, 0, 1, s[62:63]
	global_store_dword v[0:1], v2, off
.LBB348_1159:
	s_mov_b64 s[64:65], 0
.LBB348_1160:
	s_andn2_b64 vcc, exec, s[64:65]
	s_cbranch_vccnz .LBB348_1162
; %bb.1161:
	v_cndmask_b32_e64 v2, 0, 1, s[62:63]
	global_store_short v[0:1], v2, off
.LBB348_1162:
	s_mov_b64 s[64:65], 0
.LBB348_1163:
	s_andn2_b64 vcc, exec, s[64:65]
	s_cbranch_vccnz .LBB348_1168
; %bb.1164:
	s_mov_b64 s[64:65], -1
	s_cmp_gt_i32 s14, 0
	v_cndmask_b32_e64 v2, 0, 1, s[62:63]
	s_cbranch_scc0 .LBB348_1166
; %bb.1165:
	s_mov_b64 s[64:65], 0
	global_store_byte v[0:1], v2, off
.LBB348_1166:
	s_andn2_b64 vcc, exec, s[64:65]
	s_cbranch_vccnz .LBB348_1168
; %bb.1167:
	global_store_byte v[0:1], v2, off
.LBB348_1168:
	s_mov_b64 s[64:65], -1
.LBB348_1169:
	s_andn2_b64 vcc, exec, s[64:65]
	s_cbranch_vccnz .LBB348_1181
; %bb.1170:
	v_add_u32_e32 v8, 0x80, v8
	s_mov_b64 s[64:65], -1
.LBB348_1171:
	s_andn2_b64 s[62:63], s[52:53], exec
	s_and_b64 s[0:1], s[0:1], exec
	s_or_b64 s[62:63], s[62:63], s[0:1]
	s_andn2_b64 s[0:1], s[50:51], exec
	s_and_b64 s[60:61], s[60:61], exec
	s_or_b64 s[60:61], s[0:1], s[60:61]
	s_andn2_b64 s[0:1], s[48:49], exec
	s_and_b64 s[58:59], s[58:59], exec
	s_or_b64 s[0:1], s[0:1], s[58:59]
	s_orn2_b64 s[68:69], s[64:65], exec
.LBB348_1172:
	s_or_b64 exec, exec, s[56:57]
	s_mov_b64 s[64:65], 0
	s_mov_b64 s[58:59], 0
	;; [unrolled: 1-line block ×3, first 2 shown]
                                        ; implicit-def: $sgpr14
                                        ; implicit-def: $vgpr3_vgpr4
                                        ; implicit-def: $vgpr0
                                        ; implicit-def: $vgpr2
                                        ; implicit-def: $vgpr5
	s_and_saveexec_b64 s[56:57], s[68:69]
	s_cbranch_execz .LBB348_1263
; %bb.1173:
	v_cmp_gt_i32_e32 vcc, s70, v8
	s_mov_b64 s[68:69], s[0:1]
	s_mov_b64 s[70:71], 0
                                        ; implicit-def: $sgpr14
                                        ; implicit-def: $vgpr3_vgpr4
                                        ; implicit-def: $vgpr0
                                        ; implicit-def: $vgpr2
                                        ; implicit-def: $vgpr5
	s_and_saveexec_b64 s[58:59], vcc
	s_cbranch_execz .LBB348_1262
; %bb.1174:
	s_andn2_b64 vcc, exec, s[24:25]
	s_cbranch_vccnz .LBB348_1180
; %bb.1175:
	s_andn2_b64 vcc, exec, s[38:39]
	s_cbranch_vccnz .LBB348_1182
; %bb.1176:
	s_add_i32 s14, s75, 1
	s_and_b32 s14, s14, 30
	s_add_u32 s38, s2, 0xffffffe8
	s_addc_u32 s39, s3, -1
	v_mov_b32_e32 v2, 0
	v_mov_b32_e32 v4, 0
	;; [unrolled: 1-line block ×4, first 2 shown]
.LBB348_1177:                           ; =>This Inner Loop Header: Depth=1
	s_load_dwordx4 s[64:67], s[38:39], 0x1c
	s_load_dwordx2 s[76:77], s[38:39], 0x2c
	s_load_dwordx2 s[78:79], s[38:39], 0xec
	s_load_dwordx4 s[68:71], s[38:39], 0xdc
	s_add_u32 s38, s38, 24
	s_waitcnt vmcnt(0) lgkmcnt(0)
	v_mul_hi_u32 v3, s65, v1
	s_addc_u32 s39, s39, 0
	s_add_i32 s14, s14, -2
	s_cmp_eq_u32 s14, 0
	v_add_u32_e32 v3, v1, v3
	v_lshrrev_b32_e32 v3, s66, v3
	v_mul_lo_u32 v5, v3, s64
	v_mul_hi_u32 v6, s76, v3
	v_sub_u32_e32 v5, v1, v5
	v_add_u32_e32 v1, v3, v6
	v_lshrrev_b32_e32 v1, s77, v1
	v_mul_lo_u32 v9, v1, s67
	v_mul_lo_u32 v6, v5, s68
	;; [unrolled: 1-line block ×4, first 2 shown]
	v_sub_u32_e32 v3, v3, v9
	v_mul_lo_u32 v9, v3, s71
	v_mul_lo_u32 v10, v3, s78
	v_mul_lo_u32 v3, v3, s79
	v_add3_u32 v0, v6, v0, v9
	v_add3_u32 v4, v7, v4, v10
	;; [unrolled: 1-line block ×3, first 2 shown]
	s_cbranch_scc0 .LBB348_1177
; %bb.1178:
	s_bitcmp1_b32 s75, 0
	s_cselect_b64 s[64:65], -1, 0
	s_and_b64 vcc, exec, s[64:65]
	s_cbranch_vccnz .LBB348_1183
; %bb.1179:
	s_load_dwordx2 s[64:65], s[38:39], 0x1c
	s_load_dword s14, s[38:39], 0x24
	s_load_dwordx2 s[66:67], s[38:39], 0xdc
	s_waitcnt lgkmcnt(0)
	v_mul_hi_u32 v3, s65, v1
	v_add_u32_e32 v3, v1, v3
	v_lshrrev_b32_e32 v3, s14, v3
	v_mul_lo_u32 v3, v3, s64
	s_load_dword s14, s[38:39], 0xe4
	v_sub_u32_e32 v3, v1, v3
	v_mad_u64_u32 v[0:1], s[38:39], v3, s66, v[0:1]
	v_mad_u64_u32 v[4:5], s[38:39], v3, s67, v[4:5]
	s_waitcnt lgkmcnt(0)
	v_mad_u64_u32 v[2:3], s[38:39], v3, s14, v[2:3]
	s_branch .LBB348_1183
.LBB348_1180:
	s_mov_b64 s[38:39], -1
                                        ; implicit-def: $vgpr0
                                        ; implicit-def: $vgpr4
                                        ; implicit-def: $vgpr2
	s_branch .LBB348_1184
.LBB348_1181:
	s_mov_b64 s[64:65], 0
	s_branch .LBB348_928
.LBB348_1182:
	v_mov_b32_e32 v0, 0
	v_mov_b32_e32 v4, 0
	v_mov_b32_e32 v2, 0
.LBB348_1183:
	s_mov_b64 s[38:39], 0
.LBB348_1184:
	s_andn2_b64 vcc, exec, s[38:39]
	s_cbranch_vccnz .LBB348_1187
; %bb.1185:
	v_mul_hi_u32 v0, s17, v8
	s_andn2_b64 vcc, exec, s[36:37]
	v_add_u32_e32 v0, v8, v0
	v_lshrrev_b32_e32 v1, s18, v0
	v_mul_lo_u32 v0, v1, s16
	v_sub_u32_e32 v2, v8, v0
	v_mul_lo_u32 v0, v2, s20
	v_mul_lo_u32 v4, v2, s21
	;; [unrolled: 1-line block ×3, first 2 shown]
	s_cbranch_vccnz .LBB348_1187
; %bb.1186:
	s_waitcnt vmcnt(0)
	v_mul_hi_u32 v3, s34, v1
	v_add_u32_e32 v3, v1, v3
	v_lshrrev_b32_e32 v3, s35, v3
	v_mul_lo_u32 v3, v3, s19
	v_sub_u32_e32 v3, v1, v3
	v_mad_u64_u32 v[0:1], s[16:17], v3, s23, v[0:1]
	v_mad_u64_u32 v[4:5], s[16:17], v3, s30, v[4:5]
	;; [unrolled: 1-line block ×3, first 2 shown]
.LBB348_1187:
	v_mov_b32_e32 v1, s11
	s_and_b32 s14, s74, 0xff
	s_waitcnt vmcnt(0)
	v_add_co_u32_e32 v3, vcc, s10, v4
	s_cmp_lt_i32 s14, 11
	v_addc_co_u32_e32 v4, vcc, 0, v1, vcc
	s_cbranch_scc1 .LBB348_1194
; %bb.1188:
	s_and_b32 s22, 0xffff, s14
	s_cmp_gt_i32 s22, 25
	s_mov_b64 s[16:17], 0
	s_cbranch_scc0 .LBB348_1195
; %bb.1189:
	s_cmp_gt_i32 s22, 28
	s_cbranch_scc0 .LBB348_1196
; %bb.1190:
	s_cmp_gt_i32 s22, 43
	;; [unrolled: 3-line block ×3, first 2 shown]
	s_cbranch_scc0 .LBB348_1198
; %bb.1192:
	s_cmp_eq_u32 s22, 46
	s_mov_b64 s[20:21], 0
	s_cbranch_scc0 .LBB348_1201
; %bb.1193:
	global_load_dword v1, v[3:4], off
	s_mov_b64 s[10:11], 0
	s_mov_b64 s[18:19], -1
	s_waitcnt vmcnt(0)
	v_lshlrev_b32_e32 v1, 16, v1
	v_cvt_u32_f32_e32 v5, v1
	s_branch .LBB348_1202
.LBB348_1194:
	s_mov_b64 s[20:21], -1
	s_mov_b64 s[18:19], 0
	s_mov_b64 s[16:17], 0
	;; [unrolled: 1-line block ×3, first 2 shown]
                                        ; implicit-def: $vgpr5
	s_branch .LBB348_1261
.LBB348_1195:
	s_mov_b64 s[20:21], -1
	s_mov_b64 s[18:19], 0
	s_mov_b64 s[10:11], s[0:1]
                                        ; implicit-def: $vgpr5
	s_branch .LBB348_1229
.LBB348_1196:
	s_mov_b64 s[20:21], -1
	s_mov_b64 s[18:19], 0
	s_mov_b64 s[10:11], s[0:1]
                                        ; implicit-def: $vgpr5
	s_branch .LBB348_1212
.LBB348_1197:
	s_mov_b64 s[20:21], -1
	s_mov_b64 s[18:19], 0
	s_mov_b64 s[10:11], s[0:1]
                                        ; implicit-def: $vgpr5
	s_branch .LBB348_1207
.LBB348_1198:
	s_mov_b64 s[20:21], -1
	s_mov_b64 s[18:19], 0
	s_mov_b64 s[10:11], s[0:1]
                                        ; implicit-def: $vgpr5
	s_branch .LBB348_1202
.LBB348_1199:
	s_andn2_saveexec_b64 s[68:69], s[68:69]
	s_cbranch_execz .LBB348_1082
.LBB348_1200:
	v_add_f32_e32 v2, 0x46000000, v3
	v_and_b32_e32 v2, 0xff, v2
	v_cmp_ne_u32_e32 vcc, 0, v2
	s_andn2_b64 s[66:67], s[66:67], exec
	s_and_b64 s[76:77], vcc, exec
	s_or_b64 s[66:67], s[66:67], s[76:77]
	s_or_b64 exec, exec, s[68:69]
	v_mov_b32_e32 v4, 0
	s_and_saveexec_b64 s[68:69], s[66:67]
	s_cbranch_execnz .LBB348_1083
	s_branch .LBB348_1084
.LBB348_1201:
	s_mov_b64 s[10:11], -1
                                        ; implicit-def: $vgpr5
	s_mov_b64 s[18:19], 0
.LBB348_1202:
	s_and_b64 vcc, exec, s[20:21]
	s_cbranch_vccz .LBB348_1206
; %bb.1203:
	s_cmp_eq_u32 s22, 44
	s_cbranch_scc0 .LBB348_1205
; %bb.1204:
	global_load_ubyte v1, v[3:4], off
	s_mov_b64 s[10:11], 0
	s_mov_b64 s[18:19], -1
	s_waitcnt vmcnt(0)
	v_lshlrev_b32_e32 v5, 23, v1
	v_cvt_u32_f32_e32 v5, v5
	v_cmp_ne_u32_e32 vcc, 0, v1
	v_cndmask_b32_e32 v5, 0, v5, vcc
	s_branch .LBB348_1206
.LBB348_1205:
	s_mov_b64 s[10:11], -1
                                        ; implicit-def: $vgpr5
.LBB348_1206:
	s_mov_b64 s[20:21], 0
.LBB348_1207:
	s_and_b64 vcc, exec, s[20:21]
	s_cbranch_vccz .LBB348_1211
; %bb.1208:
	s_cmp_eq_u32 s22, 29
	s_cbranch_scc0 .LBB348_1210
; %bb.1209:
	global_load_dword v5, v[3:4], off
	s_mov_b64 s[10:11], 0
	s_mov_b64 s[18:19], -1
	s_branch .LBB348_1211
.LBB348_1210:
	s_mov_b64 s[10:11], -1
                                        ; implicit-def: $vgpr5
.LBB348_1211:
	s_mov_b64 s[20:21], 0
.LBB348_1212:
	s_and_b64 vcc, exec, s[20:21]
	s_cbranch_vccz .LBB348_1228
; %bb.1213:
	s_cmp_lt_i32 s22, 27
	s_cbranch_scc1 .LBB348_1216
; %bb.1214:
	s_cmp_gt_i32 s22, 27
	s_cbranch_scc0 .LBB348_1217
; %bb.1215:
	global_load_dword v5, v[3:4], off
	s_mov_b64 s[18:19], 0
	s_branch .LBB348_1218
.LBB348_1216:
	s_mov_b64 s[18:19], -1
                                        ; implicit-def: $vgpr5
	s_branch .LBB348_1221
.LBB348_1217:
	s_mov_b64 s[18:19], -1
                                        ; implicit-def: $vgpr5
.LBB348_1218:
	s_andn2_b64 vcc, exec, s[18:19]
	s_cbranch_vccnz .LBB348_1220
; %bb.1219:
	global_load_ushort v5, v[3:4], off
.LBB348_1220:
	s_mov_b64 s[18:19], 0
.LBB348_1221:
	s_andn2_b64 vcc, exec, s[18:19]
	s_cbranch_vccnz .LBB348_1227
; %bb.1222:
	global_load_ubyte v1, v[3:4], off
	s_movk_i32 s18, 0x7f
	s_mov_b64 s[20:21], 0
	s_waitcnt vmcnt(0)
	v_cmp_lt_i16_e32 vcc, s18, v1
	s_and_saveexec_b64 s[18:19], vcc
	s_xor_b64 s[18:19], exec, s[18:19]
	s_cbranch_execz .LBB348_1239
; %bb.1223:
	s_movk_i32 s20, 0x80
	v_cmp_ne_u16_e32 vcc, s20, v1
	s_and_b64 s[20:21], vcc, exec
	s_andn2_saveexec_b64 s[18:19], s[18:19]
	s_cbranch_execnz .LBB348_1240
.LBB348_1224:
	s_or_b64 exec, exec, s[18:19]
	v_mov_b32_e32 v5, 0
	s_and_saveexec_b64 s[18:19], s[20:21]
	s_cbranch_execz .LBB348_1226
.LBB348_1225:
	v_lshlrev_b32_e32 v5, 24, v1
	v_and_b32_e32 v1, 0xffff, v1
	v_and_b32_e32 v6, 7, v1
	v_ffbh_u32_e32 v8, v6
	v_min_u32_e32 v8, 32, v8
	v_subrev_u32_e32 v9, 28, v8
	v_bfe_u32 v7, v1, 3, 4
	v_lshlrev_b32_e32 v1, v9, v1
	v_sub_u32_e32 v8, 29, v8
	v_and_b32_e32 v1, 7, v1
	v_cmp_eq_u32_e32 vcc, 0, v7
	v_cndmask_b32_e32 v7, v7, v8, vcc
	v_cndmask_b32_e32 v1, v6, v1, vcc
	v_mov_b32_e32 v6, 0x3b800000
	v_lshlrev_b32_e32 v1, 20, v1
	v_and_b32_e32 v5, 0x80000000, v5
	v_lshl_add_u32 v6, v7, 23, v6
	v_or3_b32 v1, v5, v6, v1
	v_cvt_u32_f32_e32 v5, v1
.LBB348_1226:
	s_or_b64 exec, exec, s[18:19]
.LBB348_1227:
	s_mov_b64 s[18:19], -1
.LBB348_1228:
	s_mov_b64 s[20:21], 0
.LBB348_1229:
	s_and_b64 vcc, exec, s[20:21]
	s_cbranch_vccz .LBB348_1260
; %bb.1230:
	s_cmp_gt_i32 s22, 22
	s_cbranch_scc0 .LBB348_1238
; %bb.1231:
	s_cmp_lt_i32 s22, 24
	s_cbranch_scc1 .LBB348_1241
; %bb.1232:
	s_cmp_gt_i32 s22, 24
	s_cbranch_scc0 .LBB348_1242
; %bb.1233:
	global_load_ubyte v1, v[3:4], off
	s_movk_i32 s16, 0x7f
	s_mov_b64 s[18:19], 0
	s_waitcnt vmcnt(0)
	v_cmp_lt_i16_e32 vcc, s16, v1
	s_and_saveexec_b64 s[16:17], vcc
	s_xor_b64 s[16:17], exec, s[16:17]
	s_cbranch_execz .LBB348_1254
; %bb.1234:
	s_movk_i32 s18, 0x80
	v_cmp_ne_u16_e32 vcc, s18, v1
	s_and_b64 s[18:19], vcc, exec
	s_andn2_saveexec_b64 s[16:17], s[16:17]
	s_cbranch_execnz .LBB348_1255
.LBB348_1235:
	s_or_b64 exec, exec, s[16:17]
	v_mov_b32_e32 v5, 0
	s_and_saveexec_b64 s[16:17], s[18:19]
	s_cbranch_execz .LBB348_1237
.LBB348_1236:
	v_lshlrev_b32_e32 v5, 24, v1
	v_and_b32_e32 v1, 0xffff, v1
	v_and_b32_e32 v6, 3, v1
	v_ffbh_u32_e32 v8, v6
	v_min_u32_e32 v8, 32, v8
	v_subrev_u32_e32 v9, 29, v8
	v_bfe_u32 v7, v1, 2, 5
	v_lshlrev_b32_e32 v1, v9, v1
	v_sub_u32_e32 v8, 30, v8
	v_and_b32_e32 v1, 3, v1
	v_cmp_eq_u32_e32 vcc, 0, v7
	v_cndmask_b32_e32 v7, v7, v8, vcc
	v_cndmask_b32_e32 v1, v6, v1, vcc
	v_mov_b32_e32 v6, 0x37800000
	v_lshlrev_b32_e32 v1, 21, v1
	v_and_b32_e32 v5, 0x80000000, v5
	v_lshl_add_u32 v6, v7, 23, v6
	v_or3_b32 v1, v5, v6, v1
	v_cvt_u32_f32_e32 v5, v1
.LBB348_1237:
	s_or_b64 exec, exec, s[16:17]
	s_mov_b64 s[16:17], 0
	s_branch .LBB348_1243
.LBB348_1238:
	s_mov_b64 s[16:17], -1
                                        ; implicit-def: $vgpr5
	s_branch .LBB348_1249
.LBB348_1239:
	s_andn2_saveexec_b64 s[18:19], s[18:19]
	s_cbranch_execz .LBB348_1224
.LBB348_1240:
	v_cmp_ne_u16_e32 vcc, 0, v1
	s_andn2_b64 s[20:21], s[20:21], exec
	s_and_b64 s[30:31], vcc, exec
	s_or_b64 s[20:21], s[20:21], s[30:31]
	s_or_b64 exec, exec, s[18:19]
	v_mov_b32_e32 v5, 0
	s_and_saveexec_b64 s[18:19], s[20:21]
	s_cbranch_execnz .LBB348_1225
	s_branch .LBB348_1226
.LBB348_1241:
	s_mov_b64 s[16:17], -1
                                        ; implicit-def: $vgpr5
	s_branch .LBB348_1246
.LBB348_1242:
	s_mov_b64 s[16:17], -1
                                        ; implicit-def: $vgpr5
.LBB348_1243:
	s_and_b64 vcc, exec, s[16:17]
	s_cbranch_vccz .LBB348_1245
; %bb.1244:
	global_load_ubyte v1, v[3:4], off
	s_mov_b32 s16, 0x7f800000
	s_waitcnt vmcnt(0)
	v_lshlrev_b32_e32 v1, 24, v1
	v_and_b32_e32 v5, 0x7f000000, v1
	v_ffbh_u32_e32 v6, v5
	v_min_u32_e32 v6, 32, v6
	v_sub_u32_e64 v6, v6, 4 clamp
	v_lshlrev_b32_e32 v8, v6, v5
	v_lshlrev_b32_e32 v6, 23, v6
	v_lshrrev_b32_e32 v8, 4, v8
	v_add_u32_e32 v7, 0x1000000, v5
	v_sub_u32_e32 v6, v8, v6
	v_ashrrev_i32_e32 v7, 8, v7
	v_add_u32_e32 v6, 0x3c000000, v6
	v_and_or_b32 v6, v7, s16, v6
	v_cmp_ne_u32_e32 vcc, 0, v5
	v_cndmask_b32_e32 v5, 0, v6, vcc
	s_brev_b32 s16, 1
	v_and_or_b32 v1, v1, s16, v5
	v_cvt_u32_f32_e32 v5, v1
.LBB348_1245:
	s_mov_b64 s[16:17], 0
.LBB348_1246:
	s_andn2_b64 vcc, exec, s[16:17]
	s_cbranch_vccnz .LBB348_1248
; %bb.1247:
	global_load_ubyte v1, v[3:4], off
	s_movk_i32 s16, 0x7f00
	s_brev_b32 s17, 16
	s_waitcnt vmcnt(0)
	v_lshlrev_b16_e32 v5, 8, v1
	v_lshlrev_b32_e32 v1, 25, v1
	v_lshrrev_b32_e32 v6, 4, v1
	v_and_or_b32 v7, v5, s16, 0.5
	v_or_b32_e32 v6, 0x70000000, v6
	v_add_f32_e32 v7, -0.5, v7
	v_mul_f32_e32 v6, 0x7800000, v6
	v_cmp_gt_u32_e32 vcc, s17, v1
	v_bfe_i32 v5, v5, 0, 16
	v_cndmask_b32_e32 v1, v6, v7, vcc
	s_brev_b32 s16, 1
	v_and_or_b32 v1, v5, s16, v1
	v_cvt_u32_f32_e32 v5, v1
.LBB348_1248:
	s_mov_b64 s[16:17], 0
	s_mov_b64 s[18:19], -1
.LBB348_1249:
	s_andn2_b64 vcc, exec, s[16:17]
	s_mov_b64 s[16:17], 0
	s_cbranch_vccnz .LBB348_1260
; %bb.1250:
	s_cmp_gt_i32 s22, 14
	s_cbranch_scc0 .LBB348_1253
; %bb.1251:
	s_cmp_eq_u32 s22, 15
	s_cbranch_scc0 .LBB348_1256
; %bb.1252:
	global_load_ushort v1, v[3:4], off
	s_mov_b64 s[10:11], 0
	s_mov_b64 s[18:19], -1
	s_waitcnt vmcnt(0)
	v_lshlrev_b32_e32 v1, 16, v1
	v_cvt_u32_f32_e32 v5, v1
	s_branch .LBB348_1257
.LBB348_1253:
	s_mov_b64 s[20:21], -1
                                        ; implicit-def: $vgpr5
	s_branch .LBB348_1258
.LBB348_1254:
	s_andn2_saveexec_b64 s[16:17], s[16:17]
	s_cbranch_execz .LBB348_1235
.LBB348_1255:
	v_cmp_ne_u16_e32 vcc, 0, v1
	s_andn2_b64 s[18:19], s[18:19], exec
	s_and_b64 s[20:21], vcc, exec
	s_or_b64 s[18:19], s[18:19], s[20:21]
	s_or_b64 exec, exec, s[16:17]
	v_mov_b32_e32 v5, 0
	s_and_saveexec_b64 s[16:17], s[18:19]
	s_cbranch_execnz .LBB348_1236
	s_branch .LBB348_1237
.LBB348_1256:
	s_mov_b64 s[10:11], -1
                                        ; implicit-def: $vgpr5
.LBB348_1257:
	s_mov_b64 s[20:21], 0
.LBB348_1258:
	s_and_b64 vcc, exec, s[20:21]
	s_cbranch_vccz .LBB348_1260
; %bb.1259:
	s_cmp_lg_u32 s22, 11
	s_cselect_b64 s[20:21], -1, 0
	s_andn2_b64 s[10:11], s[10:11], exec
	s_and_b64 s[20:21], s[20:21], exec
	s_mov_b64 s[16:17], -1
	s_or_b64 s[10:11], s[10:11], s[20:21]
.LBB348_1260:
	s_mov_b64 s[20:21], 0
.LBB348_1261:
	s_and_b64 s[64:65], s[16:17], exec
	s_andn2_b64 s[16:17], s[0:1], exec
	s_and_b64 s[10:11], s[10:11], exec
	s_and_b64 s[66:67], s[18:19], exec
	s_and_b64 s[70:71], s[20:21], exec
	s_or_b64 s[68:69], s[16:17], s[10:11]
.LBB348_1262:
	s_or_b64 exec, exec, s[58:59]
	s_andn2_b64 s[0:1], s[0:1], exec
	s_and_b64 s[10:11], s[68:69], exec
	s_and_b64 s[66:67], s[66:67], exec
	;; [unrolled: 1-line block ×4, first 2 shown]
	s_or_b64 s[0:1], s[0:1], s[10:11]
.LBB348_1263:
	s_or_b64 exec, exec, s[56:57]
	s_andn2_b64 s[10:11], s[52:53], exec
	s_and_b64 s[16:17], s[62:63], exec
	s_or_b64 s[52:53], s[10:11], s[16:17]
	s_andn2_b64 s[10:11], s[50:51], exec
	s_and_b64 s[16:17], s[60:61], exec
	s_or_b64 s[50:51], s[10:11], s[16:17]
	s_andn2_b64 s[10:11], s[48:49], exec
	s_and_b64 s[0:1], s[0:1], exec
	s_and_b64 s[60:61], s[66:67], exec
	;; [unrolled: 1-line block ×4, first 2 shown]
	s_or_b64 s[48:49], s[10:11], s[0:1]
.LBB348_1264:
	s_or_b64 exec, exec, s[54:55]
	s_andn2_b64 s[0:1], s[40:41], exec
	s_and_b64 s[10:11], s[52:53], exec
	s_or_b64 s[40:41], s[0:1], s[10:11]
	s_andn2_b64 s[0:1], s[42:43], exec
	s_and_b64 s[10:11], s[50:51], exec
	s_or_b64 s[42:43], s[0:1], s[10:11]
	s_andn2_b64 s[0:1], s[44:45], exec
	s_and_b64 s[10:11], s[48:49], exec
	s_and_b64 s[52:53], s[60:61], exec
	;; [unrolled: 1-line block ×4, first 2 shown]
	s_or_b64 s[44:45], s[0:1], s[10:11]
	s_or_b64 exec, exec, s[46:47]
	s_mov_b64 s[10:11], 0
	s_and_saveexec_b64 s[0:1], s[44:45]
	s_cbranch_execz .LBB348_395
.LBB348_1265:
	s_mov_b64 s[10:11], exec
	s_andn2_b64 s[50:51], s[50:51], exec
	s_trap 2
	s_or_b64 exec, exec, s[0:1]
	s_and_saveexec_b64 s[0:1], s[50:51]
	s_xor_b64 s[0:1], exec, s[0:1]
	s_cbranch_execnz .LBB348_396
.LBB348_1266:
	s_or_b64 exec, exec, s[0:1]
	s_and_saveexec_b64 s[0:1], s[54:55]
	s_cbranch_execz .LBB348_1312
.LBB348_1267:
	s_sext_i32_i16 s16, s14
	s_cmp_lt_i32 s16, 5
	s_cbranch_scc1 .LBB348_1272
; %bb.1268:
	s_cmp_lt_i32 s16, 8
	s_cbranch_scc1 .LBB348_1273
; %bb.1269:
	;; [unrolled: 3-line block ×3, first 2 shown]
	s_cmp_gt_i32 s16, 9
	s_cbranch_scc0 .LBB348_1275
; %bb.1271:
	s_waitcnt vmcnt(0)
	global_load_dwordx2 v[5:6], v[3:4], off
	s_mov_b64 s[16:17], 0
	s_waitcnt vmcnt(0)
	v_cvt_u32_f64_e32 v5, v[5:6]
	s_branch .LBB348_1276
.LBB348_1272:
                                        ; implicit-def: $vgpr5
	s_branch .LBB348_1293
.LBB348_1273:
                                        ; implicit-def: $vgpr5
	s_branch .LBB348_1282
.LBB348_1274:
	s_mov_b64 s[16:17], -1
                                        ; implicit-def: $vgpr5
	s_branch .LBB348_1279
.LBB348_1275:
	s_mov_b64 s[16:17], -1
                                        ; implicit-def: $vgpr5
.LBB348_1276:
	s_andn2_b64 vcc, exec, s[16:17]
	s_cbranch_vccnz .LBB348_1278
; %bb.1277:
	s_waitcnt vmcnt(0)
	global_load_dword v1, v[3:4], off
	s_waitcnt vmcnt(0)
	v_cvt_u32_f32_e32 v5, v1
.LBB348_1278:
	s_mov_b64 s[16:17], 0
.LBB348_1279:
	s_andn2_b64 vcc, exec, s[16:17]
	s_cbranch_vccnz .LBB348_1281
; %bb.1280:
	s_waitcnt vmcnt(0)
	global_load_dword v1, v[3:4], off
	s_waitcnt vmcnt(0)
	v_cvt_f32_f16_e32 v1, v1
	v_cvt_u32_f32_e32 v5, v1
.LBB348_1281:
	s_cbranch_execnz .LBB348_1292
.LBB348_1282:
	s_sext_i32_i16 s16, s14
	s_cmp_lt_i32 s16, 6
	s_cbranch_scc1 .LBB348_1285
; %bb.1283:
	s_cmp_gt_i32 s16, 6
	s_cbranch_scc0 .LBB348_1286
; %bb.1284:
	s_waitcnt vmcnt(0)
	global_load_dwordx2 v[5:6], v[3:4], off
	s_mov_b64 s[16:17], 0
	s_waitcnt vmcnt(0)
	v_cvt_u32_f64_e32 v5, v[5:6]
	s_branch .LBB348_1287
.LBB348_1285:
	s_mov_b64 s[16:17], -1
                                        ; implicit-def: $vgpr5
	s_branch .LBB348_1290
.LBB348_1286:
	s_mov_b64 s[16:17], -1
                                        ; implicit-def: $vgpr5
.LBB348_1287:
	s_andn2_b64 vcc, exec, s[16:17]
	s_cbranch_vccnz .LBB348_1289
; %bb.1288:
	s_waitcnt vmcnt(0)
	global_load_dword v1, v[3:4], off
	s_waitcnt vmcnt(0)
	v_cvt_u32_f32_e32 v5, v1
.LBB348_1289:
	s_mov_b64 s[16:17], 0
.LBB348_1290:
	s_andn2_b64 vcc, exec, s[16:17]
	s_cbranch_vccnz .LBB348_1292
; %bb.1291:
	s_waitcnt vmcnt(0)
	global_load_ushort v1, v[3:4], off
	s_waitcnt vmcnt(0)
	v_cvt_f32_f16_e32 v1, v1
	v_cvt_u32_f32_e32 v5, v1
.LBB348_1292:
	s_cbranch_execnz .LBB348_1311
.LBB348_1293:
	s_sext_i32_i16 s16, s14
	s_cmp_lt_i32 s16, 2
	s_cbranch_scc1 .LBB348_1297
; %bb.1294:
	s_cmp_lt_i32 s16, 3
	s_cbranch_scc1 .LBB348_1298
; %bb.1295:
	s_cmp_gt_i32 s16, 3
	s_cbranch_scc0 .LBB348_1299
; %bb.1296:
	s_waitcnt vmcnt(0)
	global_load_dword v5, v[3:4], off
	s_mov_b64 s[16:17], 0
	s_branch .LBB348_1300
.LBB348_1297:
                                        ; implicit-def: $vgpr5
	s_branch .LBB348_1306
.LBB348_1298:
	s_mov_b64 s[16:17], -1
                                        ; implicit-def: $vgpr5
	s_branch .LBB348_1303
.LBB348_1299:
	s_mov_b64 s[16:17], -1
                                        ; implicit-def: $vgpr5
.LBB348_1300:
	s_andn2_b64 vcc, exec, s[16:17]
	s_cbranch_vccnz .LBB348_1302
; %bb.1301:
	s_waitcnt vmcnt(0)
	global_load_dword v5, v[3:4], off
.LBB348_1302:
	s_mov_b64 s[16:17], 0
.LBB348_1303:
	s_andn2_b64 vcc, exec, s[16:17]
	s_cbranch_vccnz .LBB348_1305
; %bb.1304:
	s_waitcnt vmcnt(0)
	global_load_sshort v5, v[3:4], off
.LBB348_1305:
	s_cbranch_execnz .LBB348_1311
.LBB348_1306:
	s_sext_i32_i16 s14, s14
	s_cmp_gt_i32 s14, 0
	s_cbranch_scc0 .LBB348_1308
; %bb.1307:
	s_waitcnt vmcnt(0)
	global_load_sbyte v5, v[3:4], off
	s_mov_b64 s[16:17], 0
	s_branch .LBB348_1309
.LBB348_1308:
	s_mov_b64 s[16:17], -1
                                        ; implicit-def: $vgpr5
.LBB348_1309:
	s_andn2_b64 vcc, exec, s[16:17]
	s_cbranch_vccnz .LBB348_1311
; %bb.1310:
	s_waitcnt vmcnt(0)
	global_load_ubyte v5, v[3:4], off
.LBB348_1311:
	s_or_b64 s[52:53], s[52:53], exec
.LBB348_1312:
	s_or_b64 exec, exec, s[0:1]
	s_mov_b64 s[16:17], 0
	s_mov_b64 s[20:21], 0
	;; [unrolled: 1-line block ×3, first 2 shown]
                                        ; implicit-def: $sgpr14
                                        ; implicit-def: $vgpr3_vgpr4
                                        ; implicit-def: $vgpr6
	s_and_saveexec_b64 s[0:1], s[52:53]
	s_cbranch_execz .LBB348_1320
; %bb.1313:
	v_mov_b32_e32 v1, s13
	s_and_b32 s14, s73, 0xff
	s_waitcnt vmcnt(0)
	v_add_co_u32_e32 v3, vcc, s12, v2
	s_cmp_lt_i32 s14, 11
	v_addc_co_u32_e32 v4, vcc, 0, v1, vcc
	s_cbranch_scc1 .LBB348_1323
; %bb.1314:
	s_and_b32 s22, 0xffff, s14
	s_cmp_gt_i32 s22, 25
	s_cbranch_scc0 .LBB348_1324
; %bb.1315:
	s_cmp_gt_i32 s22, 28
	s_cbranch_scc0 .LBB348_1325
; %bb.1316:
	;; [unrolled: 3-line block ×4, first 2 shown]
	s_cmp_eq_u32 s22, 46
	s_cbranch_scc0 .LBB348_1328
; %bb.1319:
	global_load_dword v1, v[3:4], off
	s_mov_b64 s[12:13], 0
	s_mov_b64 s[18:19], -1
	s_waitcnt vmcnt(0)
	v_lshlrev_b32_e32 v1, 16, v1
	v_cvt_u32_f32_e32 v6, v1
	s_branch .LBB348_1330
.LBB348_1320:
	s_or_b64 exec, exec, s[0:1]
	s_and_saveexec_b64 s[0:1], s[42:43]
	s_cbranch_execnz .LBB348_1389
.LBB348_1321:
	s_or_b64 exec, exec, s[0:1]
	s_and_saveexec_b64 s[0:1], s[16:17]
	s_xor_b64 s[0:1], exec, s[0:1]
	s_cbranch_execz .LBB348_1390
.LBB348_1322:
	s_waitcnt vmcnt(0)
	global_load_ubyte v1, v[3:4], off
	s_or_b64 s[18:19], s[18:19], exec
	s_waitcnt vmcnt(0)
	v_cmp_ne_u16_e32 vcc, 0, v1
	v_cndmask_b32_e64 v6, 0, 1, vcc
	s_or_b64 exec, exec, s[0:1]
	s_and_saveexec_b64 s[0:1], s[20:21]
	s_cbranch_execz .LBB348_1436
	s_branch .LBB348_1391
.LBB348_1323:
	s_mov_b64 s[20:21], -1
                                        ; implicit-def: $vgpr6
	s_mov_b64 s[12:13], s[42:43]
	s_branch .LBB348_1388
.LBB348_1324:
	s_mov_b64 s[12:13], s[42:43]
                                        ; implicit-def: $vgpr6
	s_cbranch_execnz .LBB348_1357
	s_branch .LBB348_1387
.LBB348_1325:
	s_mov_b64 s[20:21], -1
	s_mov_b64 s[12:13], s[42:43]
                                        ; implicit-def: $vgpr6
	s_branch .LBB348_1340
.LBB348_1326:
	s_mov_b64 s[20:21], -1
	s_mov_b64 s[12:13], s[42:43]
                                        ; implicit-def: $vgpr6
	s_branch .LBB348_1335
.LBB348_1327:
	s_mov_b64 s[20:21], -1
	s_mov_b64 s[12:13], s[42:43]
	s_branch .LBB348_1329
.LBB348_1328:
	s_mov_b64 s[12:13], -1
.LBB348_1329:
                                        ; implicit-def: $vgpr6
.LBB348_1330:
	s_and_b64 vcc, exec, s[20:21]
	s_cbranch_vccz .LBB348_1334
; %bb.1331:
	s_cmp_eq_u32 s22, 44
	s_cbranch_scc0 .LBB348_1333
; %bb.1332:
	global_load_ubyte v1, v[3:4], off
	s_mov_b64 s[12:13], 0
	s_mov_b64 s[18:19], -1
	s_waitcnt vmcnt(0)
	v_lshlrev_b32_e32 v2, 23, v1
	v_cvt_u32_f32_e32 v2, v2
	v_cmp_ne_u32_e32 vcc, 0, v1
	v_cndmask_b32_e32 v6, 0, v2, vcc
	s_branch .LBB348_1334
.LBB348_1333:
	s_mov_b64 s[12:13], -1
                                        ; implicit-def: $vgpr6
.LBB348_1334:
	s_mov_b64 s[20:21], 0
.LBB348_1335:
	s_and_b64 vcc, exec, s[20:21]
	s_cbranch_vccz .LBB348_1339
; %bb.1336:
	s_cmp_eq_u32 s22, 29
	s_cbranch_scc0 .LBB348_1338
; %bb.1337:
	global_load_dword v6, v[3:4], off
	s_mov_b64 s[12:13], 0
	s_mov_b64 s[18:19], -1
	s_branch .LBB348_1339
.LBB348_1338:
	s_mov_b64 s[12:13], -1
                                        ; implicit-def: $vgpr6
.LBB348_1339:
	s_mov_b64 s[20:21], 0
.LBB348_1340:
	s_and_b64 vcc, exec, s[20:21]
	s_cbranch_vccz .LBB348_1356
; %bb.1341:
	s_cmp_lt_i32 s22, 27
	s_cbranch_scc1 .LBB348_1344
; %bb.1342:
	s_cmp_gt_i32 s22, 27
	s_cbranch_scc0 .LBB348_1345
; %bb.1343:
	global_load_dword v6, v[3:4], off
	s_mov_b64 s[18:19], 0
	s_branch .LBB348_1346
.LBB348_1344:
	s_mov_b64 s[18:19], -1
                                        ; implicit-def: $vgpr6
	s_branch .LBB348_1349
.LBB348_1345:
	s_mov_b64 s[18:19], -1
                                        ; implicit-def: $vgpr6
.LBB348_1346:
	s_andn2_b64 vcc, exec, s[18:19]
	s_cbranch_vccnz .LBB348_1348
; %bb.1347:
	global_load_ushort v6, v[3:4], off
.LBB348_1348:
	s_mov_b64 s[18:19], 0
.LBB348_1349:
	s_andn2_b64 vcc, exec, s[18:19]
	s_cbranch_vccnz .LBB348_1355
; %bb.1350:
	global_load_ubyte v1, v[3:4], off
	s_movk_i32 s18, 0x7f
	s_mov_b64 s[20:21], 0
	s_waitcnt vmcnt(0)
	v_cmp_lt_i16_e32 vcc, s18, v1
	s_and_saveexec_b64 s[18:19], vcc
	s_xor_b64 s[18:19], exec, s[18:19]
	s_cbranch_execz .LBB348_1366
; %bb.1351:
	s_movk_i32 s20, 0x80
	v_cmp_ne_u16_e32 vcc, s20, v1
	s_and_b64 s[20:21], vcc, exec
	s_andn2_saveexec_b64 s[18:19], s[18:19]
	s_cbranch_execnz .LBB348_1367
.LBB348_1352:
	s_or_b64 exec, exec, s[18:19]
	v_mov_b32_e32 v6, 0
	s_and_saveexec_b64 s[18:19], s[20:21]
	s_cbranch_execz .LBB348_1354
.LBB348_1353:
	v_lshlrev_b32_e32 v2, 24, v1
	v_and_b32_e32 v1, 0xffff, v1
	v_and_b32_e32 v6, 7, v1
	v_ffbh_u32_e32 v8, v6
	v_min_u32_e32 v8, 32, v8
	v_subrev_u32_e32 v9, 28, v8
	v_bfe_u32 v7, v1, 3, 4
	v_lshlrev_b32_e32 v1, v9, v1
	v_sub_u32_e32 v8, 29, v8
	v_and_b32_e32 v1, 7, v1
	v_cmp_eq_u32_e32 vcc, 0, v7
	v_cndmask_b32_e32 v7, v7, v8, vcc
	v_cndmask_b32_e32 v1, v6, v1, vcc
	v_mov_b32_e32 v6, 0x3b800000
	v_lshlrev_b32_e32 v1, 20, v1
	v_and_b32_e32 v2, 0x80000000, v2
	v_lshl_add_u32 v6, v7, 23, v6
	v_or3_b32 v1, v2, v6, v1
	v_cvt_u32_f32_e32 v6, v1
.LBB348_1354:
	s_or_b64 exec, exec, s[18:19]
.LBB348_1355:
	s_mov_b64 s[18:19], -1
.LBB348_1356:
	s_branch .LBB348_1387
.LBB348_1357:
	s_cmp_gt_i32 s22, 22
	s_cbranch_scc0 .LBB348_1365
; %bb.1358:
	s_cmp_lt_i32 s22, 24
	s_cbranch_scc1 .LBB348_1368
; %bb.1359:
	s_cmp_gt_i32 s22, 24
	s_cbranch_scc0 .LBB348_1369
; %bb.1360:
	global_load_ubyte v1, v[3:4], off
	s_movk_i32 s16, 0x7f
	s_mov_b64 s[18:19], 0
	s_waitcnt vmcnt(0)
	v_cmp_lt_i16_e32 vcc, s16, v1
	s_and_saveexec_b64 s[16:17], vcc
	s_xor_b64 s[16:17], exec, s[16:17]
	s_cbranch_execz .LBB348_1381
; %bb.1361:
	s_movk_i32 s18, 0x80
	v_cmp_ne_u16_e32 vcc, s18, v1
	s_and_b64 s[18:19], vcc, exec
	s_andn2_saveexec_b64 s[16:17], s[16:17]
	s_cbranch_execnz .LBB348_1382
.LBB348_1362:
	s_or_b64 exec, exec, s[16:17]
	v_mov_b32_e32 v6, 0
	s_and_saveexec_b64 s[16:17], s[18:19]
	s_cbranch_execz .LBB348_1364
.LBB348_1363:
	v_lshlrev_b32_e32 v2, 24, v1
	v_and_b32_e32 v1, 0xffff, v1
	v_and_b32_e32 v6, 3, v1
	v_ffbh_u32_e32 v8, v6
	v_min_u32_e32 v8, 32, v8
	v_subrev_u32_e32 v9, 29, v8
	v_bfe_u32 v7, v1, 2, 5
	v_lshlrev_b32_e32 v1, v9, v1
	v_sub_u32_e32 v8, 30, v8
	v_and_b32_e32 v1, 3, v1
	v_cmp_eq_u32_e32 vcc, 0, v7
	v_cndmask_b32_e32 v7, v7, v8, vcc
	v_cndmask_b32_e32 v1, v6, v1, vcc
	v_mov_b32_e32 v6, 0x37800000
	v_lshlrev_b32_e32 v1, 21, v1
	v_and_b32_e32 v2, 0x80000000, v2
	v_lshl_add_u32 v6, v7, 23, v6
	v_or3_b32 v1, v2, v6, v1
	v_cvt_u32_f32_e32 v6, v1
.LBB348_1364:
	s_or_b64 exec, exec, s[16:17]
	s_mov_b64 s[16:17], 0
	s_branch .LBB348_1370
.LBB348_1365:
	s_mov_b64 s[16:17], -1
                                        ; implicit-def: $vgpr6
	s_branch .LBB348_1376
.LBB348_1366:
	s_andn2_saveexec_b64 s[18:19], s[18:19]
	s_cbranch_execz .LBB348_1352
.LBB348_1367:
	v_cmp_ne_u16_e32 vcc, 0, v1
	s_andn2_b64 s[20:21], s[20:21], exec
	s_and_b64 s[30:31], vcc, exec
	s_or_b64 s[20:21], s[20:21], s[30:31]
	s_or_b64 exec, exec, s[18:19]
	v_mov_b32_e32 v6, 0
	s_and_saveexec_b64 s[18:19], s[20:21]
	s_cbranch_execnz .LBB348_1353
	s_branch .LBB348_1354
.LBB348_1368:
	s_mov_b64 s[16:17], -1
                                        ; implicit-def: $vgpr6
	s_branch .LBB348_1373
.LBB348_1369:
	s_mov_b64 s[16:17], -1
                                        ; implicit-def: $vgpr6
.LBB348_1370:
	s_and_b64 vcc, exec, s[16:17]
	s_cbranch_vccz .LBB348_1372
; %bb.1371:
	global_load_ubyte v1, v[3:4], off
	s_mov_b32 s16, 0x7f800000
	s_waitcnt vmcnt(0)
	v_lshlrev_b32_e32 v1, 24, v1
	v_and_b32_e32 v2, 0x7f000000, v1
	v_ffbh_u32_e32 v6, v2
	v_min_u32_e32 v6, 32, v6
	v_sub_u32_e64 v6, v6, 4 clamp
	v_lshlrev_b32_e32 v8, v6, v2
	v_lshlrev_b32_e32 v6, 23, v6
	v_lshrrev_b32_e32 v8, 4, v8
	v_add_u32_e32 v7, 0x1000000, v2
	v_sub_u32_e32 v6, v8, v6
	v_ashrrev_i32_e32 v7, 8, v7
	v_add_u32_e32 v6, 0x3c000000, v6
	v_and_or_b32 v6, v7, s16, v6
	v_cmp_ne_u32_e32 vcc, 0, v2
	v_cndmask_b32_e32 v2, 0, v6, vcc
	s_brev_b32 s16, 1
	v_and_or_b32 v1, v1, s16, v2
	v_cvt_u32_f32_e32 v6, v1
.LBB348_1372:
	s_mov_b64 s[16:17], 0
.LBB348_1373:
	s_andn2_b64 vcc, exec, s[16:17]
	s_cbranch_vccnz .LBB348_1375
; %bb.1374:
	global_load_ubyte v1, v[3:4], off
	s_movk_i32 s16, 0x7f00
	s_brev_b32 s17, 16
	s_waitcnt vmcnt(0)
	v_lshlrev_b16_e32 v2, 8, v1
	v_lshlrev_b32_e32 v1, 25, v1
	v_lshrrev_b32_e32 v6, 4, v1
	v_and_or_b32 v7, v2, s16, 0.5
	v_or_b32_e32 v6, 0x70000000, v6
	v_add_f32_e32 v7, -0.5, v7
	v_mul_f32_e32 v6, 0x7800000, v6
	v_cmp_gt_u32_e32 vcc, s17, v1
	v_bfe_i32 v2, v2, 0, 16
	v_cndmask_b32_e32 v1, v6, v7, vcc
	s_brev_b32 s16, 1
	v_and_or_b32 v1, v2, s16, v1
	v_cvt_u32_f32_e32 v6, v1
.LBB348_1375:
	s_mov_b64 s[16:17], 0
	s_mov_b64 s[18:19], -1
.LBB348_1376:
	s_andn2_b64 vcc, exec, s[16:17]
	s_mov_b64 s[16:17], 0
	s_cbranch_vccnz .LBB348_1387
; %bb.1377:
	s_cmp_gt_i32 s22, 14
	s_cbranch_scc0 .LBB348_1380
; %bb.1378:
	s_cmp_eq_u32 s22, 15
	s_cbranch_scc0 .LBB348_1383
; %bb.1379:
	global_load_ushort v1, v[3:4], off
	s_mov_b64 s[12:13], 0
	s_mov_b64 s[18:19], -1
	s_waitcnt vmcnt(0)
	v_lshlrev_b32_e32 v1, 16, v1
	v_cvt_u32_f32_e32 v6, v1
	s_branch .LBB348_1384
.LBB348_1380:
	s_mov_b64 s[20:21], -1
                                        ; implicit-def: $vgpr6
	s_branch .LBB348_1385
.LBB348_1381:
	s_andn2_saveexec_b64 s[16:17], s[16:17]
	s_cbranch_execz .LBB348_1362
.LBB348_1382:
	v_cmp_ne_u16_e32 vcc, 0, v1
	s_andn2_b64 s[18:19], s[18:19], exec
	s_and_b64 s[20:21], vcc, exec
	s_or_b64 s[18:19], s[18:19], s[20:21]
	s_or_b64 exec, exec, s[16:17]
	v_mov_b32_e32 v6, 0
	s_and_saveexec_b64 s[16:17], s[18:19]
	s_cbranch_execnz .LBB348_1363
	s_branch .LBB348_1364
.LBB348_1383:
	s_mov_b64 s[12:13], -1
                                        ; implicit-def: $vgpr6
.LBB348_1384:
	s_mov_b64 s[20:21], 0
.LBB348_1385:
	s_and_b64 vcc, exec, s[20:21]
	s_cbranch_vccz .LBB348_1387
; %bb.1386:
	s_cmp_lg_u32 s22, 11
	s_cselect_b64 s[20:21], -1, 0
	s_andn2_b64 s[12:13], s[12:13], exec
	s_and_b64 s[20:21], s[20:21], exec
	s_mov_b64 s[16:17], -1
	s_or_b64 s[12:13], s[12:13], s[20:21]
.LBB348_1387:
	s_mov_b64 s[20:21], 0
.LBB348_1388:
	s_andn2_b64 s[22:23], s[42:43], exec
	s_and_b64 s[12:13], s[12:13], exec
	s_and_b64 s[18:19], s[18:19], exec
	;; [unrolled: 1-line block ×4, first 2 shown]
	s_or_b64 s[42:43], s[22:23], s[12:13]
	s_or_b64 exec, exec, s[0:1]
	s_and_saveexec_b64 s[0:1], s[42:43]
	s_cbranch_execz .LBB348_1321
.LBB348_1389:
	s_or_b64 s[10:11], s[10:11], exec
	s_andn2_b64 s[16:17], s[16:17], exec
	s_trap 2
	s_or_b64 exec, exec, s[0:1]
	s_and_saveexec_b64 s[0:1], s[16:17]
	s_xor_b64 s[0:1], exec, s[0:1]
	s_cbranch_execnz .LBB348_1322
.LBB348_1390:
	s_or_b64 exec, exec, s[0:1]
	s_and_saveexec_b64 s[0:1], s[20:21]
	s_cbranch_execz .LBB348_1436
.LBB348_1391:
	s_sext_i32_i16 s12, s14
	s_cmp_lt_i32 s12, 5
	s_cbranch_scc1 .LBB348_1396
; %bb.1392:
	s_cmp_lt_i32 s12, 8
	s_cbranch_scc1 .LBB348_1397
; %bb.1393:
	;; [unrolled: 3-line block ×3, first 2 shown]
	s_cmp_gt_i32 s12, 9
	s_cbranch_scc0 .LBB348_1399
; %bb.1395:
	s_waitcnt vmcnt(0)
	global_load_dwordx2 v[1:2], v[3:4], off
	s_mov_b64 s[12:13], 0
	s_waitcnt vmcnt(0)
	v_cvt_u32_f64_e32 v6, v[1:2]
	s_branch .LBB348_1400
.LBB348_1396:
                                        ; implicit-def: $vgpr6
	s_branch .LBB348_1417
.LBB348_1397:
                                        ; implicit-def: $vgpr6
	s_branch .LBB348_1406
.LBB348_1398:
	s_mov_b64 s[12:13], -1
                                        ; implicit-def: $vgpr6
	s_branch .LBB348_1403
.LBB348_1399:
	s_mov_b64 s[12:13], -1
                                        ; implicit-def: $vgpr6
.LBB348_1400:
	s_andn2_b64 vcc, exec, s[12:13]
	s_cbranch_vccnz .LBB348_1402
; %bb.1401:
	s_waitcnt vmcnt(0)
	global_load_dword v1, v[3:4], off
	s_waitcnt vmcnt(0)
	v_cvt_u32_f32_e32 v6, v1
.LBB348_1402:
	s_mov_b64 s[12:13], 0
.LBB348_1403:
	s_andn2_b64 vcc, exec, s[12:13]
	s_cbranch_vccnz .LBB348_1405
; %bb.1404:
	s_waitcnt vmcnt(0)
	global_load_dword v1, v[3:4], off
	s_waitcnt vmcnt(0)
	v_cvt_f32_f16_e32 v1, v1
	v_cvt_u32_f32_e32 v6, v1
.LBB348_1405:
	s_cbranch_execnz .LBB348_1416
.LBB348_1406:
	s_sext_i32_i16 s12, s14
	s_cmp_lt_i32 s12, 6
	s_cbranch_scc1 .LBB348_1409
; %bb.1407:
	s_cmp_gt_i32 s12, 6
	s_cbranch_scc0 .LBB348_1410
; %bb.1408:
	s_waitcnt vmcnt(0)
	global_load_dwordx2 v[1:2], v[3:4], off
	s_mov_b64 s[12:13], 0
	s_waitcnt vmcnt(0)
	v_cvt_u32_f64_e32 v6, v[1:2]
	s_branch .LBB348_1411
.LBB348_1409:
	s_mov_b64 s[12:13], -1
                                        ; implicit-def: $vgpr6
	s_branch .LBB348_1414
.LBB348_1410:
	s_mov_b64 s[12:13], -1
                                        ; implicit-def: $vgpr6
.LBB348_1411:
	s_andn2_b64 vcc, exec, s[12:13]
	s_cbranch_vccnz .LBB348_1413
; %bb.1412:
	s_waitcnt vmcnt(0)
	global_load_dword v1, v[3:4], off
	s_waitcnt vmcnt(0)
	v_cvt_u32_f32_e32 v6, v1
.LBB348_1413:
	s_mov_b64 s[12:13], 0
.LBB348_1414:
	s_andn2_b64 vcc, exec, s[12:13]
	s_cbranch_vccnz .LBB348_1416
; %bb.1415:
	s_waitcnt vmcnt(0)
	global_load_ushort v1, v[3:4], off
	s_waitcnt vmcnt(0)
	v_cvt_f32_f16_e32 v1, v1
	v_cvt_u32_f32_e32 v6, v1
.LBB348_1416:
	s_cbranch_execnz .LBB348_1435
.LBB348_1417:
	s_sext_i32_i16 s12, s14
	s_cmp_lt_i32 s12, 2
	s_cbranch_scc1 .LBB348_1421
; %bb.1418:
	s_cmp_lt_i32 s12, 3
	s_cbranch_scc1 .LBB348_1422
; %bb.1419:
	s_cmp_gt_i32 s12, 3
	s_cbranch_scc0 .LBB348_1423
; %bb.1420:
	s_waitcnt vmcnt(0)
	global_load_dword v6, v[3:4], off
	s_mov_b64 s[12:13], 0
	s_branch .LBB348_1424
.LBB348_1421:
                                        ; implicit-def: $vgpr6
	s_branch .LBB348_1430
.LBB348_1422:
	s_mov_b64 s[12:13], -1
                                        ; implicit-def: $vgpr6
	s_branch .LBB348_1427
.LBB348_1423:
	s_mov_b64 s[12:13], -1
                                        ; implicit-def: $vgpr6
.LBB348_1424:
	s_andn2_b64 vcc, exec, s[12:13]
	s_cbranch_vccnz .LBB348_1426
; %bb.1425:
	s_waitcnt vmcnt(0)
	global_load_dword v6, v[3:4], off
.LBB348_1426:
	s_mov_b64 s[12:13], 0
.LBB348_1427:
	s_andn2_b64 vcc, exec, s[12:13]
	s_cbranch_vccnz .LBB348_1429
; %bb.1428:
	s_waitcnt vmcnt(0)
	global_load_sshort v6, v[3:4], off
.LBB348_1429:
	s_cbranch_execnz .LBB348_1435
.LBB348_1430:
	s_sext_i32_i16 s12, s14
	s_cmp_gt_i32 s12, 0
	s_cbranch_scc0 .LBB348_1432
; %bb.1431:
	s_waitcnt vmcnt(0)
	global_load_sbyte v6, v[3:4], off
	s_mov_b64 s[12:13], 0
	s_branch .LBB348_1433
.LBB348_1432:
	s_mov_b64 s[12:13], -1
                                        ; implicit-def: $vgpr6
.LBB348_1433:
	s_andn2_b64 vcc, exec, s[12:13]
	s_cbranch_vccnz .LBB348_1435
; %bb.1434:
	s_waitcnt vmcnt(0)
	global_load_ubyte v6, v[3:4], off
.LBB348_1435:
	s_or_b64 s[18:19], s[18:19], exec
.LBB348_1436:
	s_or_b64 exec, exec, s[0:1]
	s_mov_b64 s[22:23], 0
	s_mov_b64 s[20:21], 0
                                        ; implicit-def: $sgpr12_sgpr13
                                        ; implicit-def: $sgpr30
                                        ; implicit-def: $vgpr1_vgpr2
	s_and_saveexec_b64 s[16:17], s[18:19]
	s_cbranch_execz .LBB348_1511
; %bb.1437:
	s_waitcnt vmcnt(0)
	v_cmp_ne_u32_e32 vcc, v5, v6
	s_xor_b64 s[12:13], s[28:29], vcc
	v_mov_b32_e32 v2, s9
	s_and_b32 s30, s15, 0xff
	v_add_co_u32_e32 v1, vcc, s8, v0
	s_cmp_lt_i32 s30, 11
	v_addc_co_u32_e32 v2, vcc, 0, v2, vcc
	s_cbranch_scc1 .LBB348_1514
; %bb.1438:
	s_and_b32 s22, 0xffff, s30
	s_mov_b64 s[14:15], -1
	s_cmp_gt_i32 s22, 25
	s_mov_b64 s[0:1], s[40:41]
	s_cbranch_scc0 .LBB348_1471
; %bb.1439:
	s_mov_b64 s[8:9], -1
	s_cmp_gt_i32 s22, 28
	s_mov_b64 s[0:1], s[40:41]
	s_cbranch_scc0 .LBB348_1455
; %bb.1440:
	s_cmp_gt_i32 s22, 43
	s_mov_b64 s[0:1], s[40:41]
	s_cbranch_scc0 .LBB348_1451
; %bb.1441:
	;; [unrolled: 4-line block ×3, first 2 shown]
	s_cmp_eq_u32 s22, 46
	s_mov_b64 s[0:1], -1
	s_cbranch_scc0 .LBB348_1444
; %bb.1443:
	v_cndmask_b32_e64 v0, 0, 1.0, s[12:13]
	v_bfe_u32 v3, v0, 16, 1
	s_movk_i32 s0, 0x7fff
	v_add3_u32 v0, v0, v3, s0
	v_lshrrev_b32_e32 v0, 16, v0
	global_store_dword v[1:2], v0, off
	s_mov_b64 s[0:1], 0
.LBB348_1444:
	s_mov_b64 s[8:9], 0
.LBB348_1445:
	s_and_b64 vcc, exec, s[8:9]
	s_cbranch_vccz .LBB348_1450
; %bb.1446:
	s_cmp_eq_u32 s22, 44
	s_mov_b64 s[0:1], -1
	s_cbranch_scc0 .LBB348_1450
; %bb.1447:
	v_cndmask_b32_e64 v3, 0, 1.0, s[12:13]
	v_lshrrev_b32_e32 v0, 23, v3
	s_movk_i32 s0, 0xff
	v_cmp_ne_u32_e32 vcc, s0, v0
	v_mov_b32_e32 v4, 0xff
	s_and_saveexec_b64 s[8:9], vcc
; %bb.1448:
	s_mov_b32 s0, 0x3fffff
	v_and_b32_e32 v4, 0x400000, v3
	v_and_or_b32 v3, v3, s0, v0
	v_cmp_ne_u32_e32 vcc, 0, v4
	v_cmp_ne_u32_e64 s[0:1], 0, v3
	s_and_b64 s[0:1], vcc, s[0:1]
	v_cndmask_b32_e64 v3, 0, 1, s[0:1]
	v_add_u32_e32 v4, v0, v3
; %bb.1449:
	s_or_b64 exec, exec, s[8:9]
	s_mov_b64 s[0:1], 0
	global_store_byte v[1:2], v4, off
.LBB348_1450:
	s_mov_b64 s[8:9], 0
.LBB348_1451:
	s_and_b64 vcc, exec, s[8:9]
	s_cbranch_vccz .LBB348_1454
; %bb.1452:
	s_cmp_eq_u32 s22, 29
	s_mov_b64 s[0:1], -1
	s_cbranch_scc0 .LBB348_1454
; %bb.1453:
	s_mov_b32 s0, 0
	v_cndmask_b32_e64 v3, 0, 1, s[12:13]
	v_mov_b32_e32 v4, s0
	global_store_dwordx2 v[1:2], v[3:4], off
	s_mov_b64 s[0:1], 0
.LBB348_1454:
	s_mov_b64 s[8:9], 0
.LBB348_1455:
	s_and_b64 vcc, exec, s[8:9]
	s_cbranch_vccz .LBB348_1470
; %bb.1456:
	s_cmp_lt_i32 s22, 27
	s_mov_b64 s[8:9], -1
	s_cbranch_scc1 .LBB348_1462
; %bb.1457:
	s_cmp_gt_i32 s22, 27
	s_cbranch_scc0 .LBB348_1459
; %bb.1458:
	v_cndmask_b32_e64 v0, 0, 1, s[12:13]
	s_mov_b64 s[8:9], 0
	global_store_dword v[1:2], v0, off
.LBB348_1459:
	s_andn2_b64 vcc, exec, s[8:9]
	s_cbranch_vccnz .LBB348_1461
; %bb.1460:
	v_cndmask_b32_e64 v0, 0, 1, s[12:13]
	global_store_short v[1:2], v0, off
.LBB348_1461:
	s_mov_b64 s[8:9], 0
.LBB348_1462:
	s_andn2_b64 vcc, exec, s[8:9]
	s_cbranch_vccnz .LBB348_1470
; %bb.1463:
	v_cndmask_b32_e64 v3, 0, 1.0, s[12:13]
	s_mov_b32 s8, 0x43800000
	v_cmp_gt_u32_e32 vcc, s8, v3
	v_mov_b32_e32 v4, 0x80
	s_and_saveexec_b64 s[8:9], vcc
	s_cbranch_execz .LBB348_1469
; %bb.1464:
	s_mov_b32 s14, 0x3bffffff
	v_cmp_lt_u32_e32 vcc, s14, v3
	s_mov_b64 s[14:15], 0
                                        ; implicit-def: $vgpr0
	s_and_saveexec_b64 s[18:19], vcc
	s_xor_b64 s[18:19], exec, s[18:19]
	s_cbranch_execz .LBB348_1615
; %bb.1465:
	v_bfe_u32 v0, v3, 20, 1
	s_mov_b32 s20, 0x487ffff
	v_add3_u32 v0, v3, v0, s20
	s_mov_b64 s[14:15], exec
	v_lshrrev_b32_e32 v0, 20, v0
                                        ; implicit-def: $vgpr3
	s_andn2_saveexec_b64 s[18:19], s[18:19]
	s_cbranch_execnz .LBB348_1616
.LBB348_1466:
	s_or_b64 exec, exec, s[18:19]
	v_mov_b32_e32 v4, 0
	s_and_saveexec_b64 s[18:19], s[14:15]
.LBB348_1467:
	v_mov_b32_e32 v4, v0
.LBB348_1468:
	s_or_b64 exec, exec, s[18:19]
.LBB348_1469:
	s_or_b64 exec, exec, s[8:9]
	global_store_byte v[1:2], v4, off
.LBB348_1470:
	s_mov_b64 s[14:15], 0
.LBB348_1471:
	s_mov_b64 s[8:9], 0
	s_and_b64 vcc, exec, s[14:15]
	s_cbranch_vccz .LBB348_1515
; %bb.1472:
	s_cmp_gt_i32 s22, 22
	s_mov_b64 s[14:15], -1
	s_cbranch_scc0 .LBB348_1504
; %bb.1473:
	s_cmp_lt_i32 s22, 24
	s_cbranch_scc1 .LBB348_1493
; %bb.1474:
	s_cmp_gt_i32 s22, 24
	s_cbranch_scc0 .LBB348_1482
; %bb.1475:
	v_cndmask_b32_e64 v3, 0, 1.0, s[12:13]
	s_mov_b32 s14, 0x47800000
	v_cmp_gt_u32_e32 vcc, s14, v3
	v_mov_b32_e32 v4, 0x80
	s_and_saveexec_b64 s[14:15], vcc
	s_cbranch_execz .LBB348_1481
; %bb.1476:
	s_mov_b32 s18, 0x37ffffff
	v_cmp_lt_u32_e32 vcc, s18, v3
	s_mov_b64 s[18:19], 0
                                        ; implicit-def: $vgpr0
	s_and_saveexec_b64 s[20:21], vcc
	s_xor_b64 s[20:21], exec, s[20:21]
	s_cbranch_execz .LBB348_1735
; %bb.1477:
	v_bfe_u32 v0, v3, 21, 1
	s_mov_b32 s23, 0x88fffff
	v_add3_u32 v0, v3, v0, s23
	s_mov_b64 s[18:19], exec
	v_lshrrev_b32_e32 v0, 21, v0
                                        ; implicit-def: $vgpr3
	s_andn2_saveexec_b64 s[20:21], s[20:21]
	s_cbranch_execnz .LBB348_1736
.LBB348_1478:
	s_or_b64 exec, exec, s[20:21]
	v_mov_b32_e32 v4, 0
	s_and_saveexec_b64 s[20:21], s[18:19]
.LBB348_1479:
	v_mov_b32_e32 v4, v0
.LBB348_1480:
	s_or_b64 exec, exec, s[20:21]
.LBB348_1481:
	s_or_b64 exec, exec, s[14:15]
	s_mov_b64 s[14:15], 0
	global_store_byte v[1:2], v4, off
.LBB348_1482:
	s_and_b64 vcc, exec, s[14:15]
	s_cbranch_vccz .LBB348_1492
; %bb.1483:
	v_cndmask_b32_e64 v0, 0, 1.0, s[12:13]
	s_mov_b32 s14, 0x43f00000
	v_cmp_gt_u32_e32 vcc, s14, v0
                                        ; implicit-def: $vgpr3
	s_and_saveexec_b64 s[14:15], vcc
	s_xor_b64 s[14:15], exec, s[14:15]
	s_cbranch_execz .LBB348_1489
; %bb.1484:
	s_mov_b32 s18, 0x3c7fffff
	v_cmp_lt_u32_e32 vcc, s18, v0
                                        ; implicit-def: $vgpr3
	s_and_saveexec_b64 s[18:19], vcc
	s_xor_b64 s[18:19], exec, s[18:19]
; %bb.1485:
	v_bfe_u32 v3, v0, 20, 1
	s_mov_b32 s20, 0x407ffff
	v_add3_u32 v0, v0, v3, s20
	v_lshrrev_b32_e32 v3, 20, v0
	v_and_b32_e32 v0, 0xff00000, v0
	s_mov_b32 s20, 0x7f00000
	v_mov_b32_e32 v4, 0x7e
	v_cmp_ne_u32_e32 vcc, s20, v0
	v_cndmask_b32_e32 v3, v4, v3, vcc
                                        ; implicit-def: $vgpr0
; %bb.1486:
	s_andn2_saveexec_b64 s[18:19], s[18:19]
; %bb.1487:
	v_add_f32_e32 v3, 0x46800000, v0
; %bb.1488:
	s_or_b64 exec, exec, s[18:19]
                                        ; implicit-def: $vgpr0
.LBB348_1489:
	s_andn2_saveexec_b64 s[14:15], s[14:15]
; %bb.1490:
	s_mov_b32 s18, 0x7f800000
	v_mov_b32_e32 v3, 0x7e
	v_mov_b32_e32 v4, 0x7f
	v_cmp_lt_u32_e32 vcc, s18, v0
	v_cndmask_b32_e32 v3, v3, v4, vcc
; %bb.1491:
	s_or_b64 exec, exec, s[14:15]
	global_store_byte v[1:2], v3, off
.LBB348_1492:
	s_mov_b64 s[14:15], 0
.LBB348_1493:
	s_andn2_b64 vcc, exec, s[14:15]
	s_cbranch_vccnz .LBB348_1503
; %bb.1494:
	v_cndmask_b32_e64 v0, 0, 1.0, s[12:13]
	s_mov_b32 s14, 0x47800000
	v_cmp_gt_u32_e32 vcc, s14, v0
                                        ; implicit-def: $vgpr3
	s_and_saveexec_b64 s[14:15], vcc
	s_xor_b64 s[14:15], exec, s[14:15]
	s_cbranch_execz .LBB348_1500
; %bb.1495:
	s_mov_b32 s18, 0x387fffff
	v_cmp_lt_u32_e32 vcc, s18, v0
                                        ; implicit-def: $vgpr3
	s_and_saveexec_b64 s[18:19], vcc
	s_xor_b64 s[18:19], exec, s[18:19]
; %bb.1496:
	v_bfe_u32 v3, v0, 21, 1
	s_mov_b32 s20, 0x80fffff
	v_add3_u32 v0, v0, v3, s20
	v_lshrrev_b32_e32 v3, 21, v0
                                        ; implicit-def: $vgpr0
; %bb.1497:
	s_andn2_saveexec_b64 s[18:19], s[18:19]
; %bb.1498:
	v_add_f32_e32 v3, 0x43000000, v0
; %bb.1499:
	s_or_b64 exec, exec, s[18:19]
                                        ; implicit-def: $vgpr0
.LBB348_1500:
	s_andn2_saveexec_b64 s[14:15], s[14:15]
; %bb.1501:
	s_mov_b32 s18, 0x7f800000
	v_mov_b32_e32 v3, 0x7c
	v_mov_b32_e32 v4, 0x7f
	v_cmp_lt_u32_e32 vcc, s18, v0
	v_cndmask_b32_e32 v3, v3, v4, vcc
; %bb.1502:
	s_or_b64 exec, exec, s[14:15]
	global_store_byte v[1:2], v3, off
.LBB348_1503:
	s_mov_b64 s[14:15], 0
.LBB348_1504:
	s_andn2_b64 vcc, exec, s[14:15]
	s_mov_b64 s[14:15], 0
	s_cbranch_vccnz .LBB348_1516
; %bb.1505:
	s_cmp_gt_i32 s22, 14
	s_mov_b64 s[18:19], -1
	s_cbranch_scc0 .LBB348_1509
; %bb.1506:
	s_cmp_eq_u32 s22, 15
	s_mov_b64 s[0:1], -1
	s_cbranch_scc0 .LBB348_1508
; %bb.1507:
	v_cndmask_b32_e64 v0, 0, 1.0, s[12:13]
	v_bfe_u32 v3, v0, 16, 1
	s_movk_i32 s0, 0x7fff
	v_add3_u32 v0, v0, v3, s0
	global_store_short_d16_hi v[1:2], v0, off
	s_mov_b64 s[0:1], 0
.LBB348_1508:
	s_mov_b64 s[18:19], 0
.LBB348_1509:
	s_and_b64 vcc, exec, s[18:19]
	s_cbranch_vccz .LBB348_1516
; %bb.1510:
	s_cmp_lg_u32 s22, 11
	s_cselect_b64 s[18:19], -1, 0
	s_andn2_b64 s[0:1], s[0:1], exec
	s_and_b64 s[18:19], s[18:19], exec
	s_mov_b64 s[14:15], -1
	s_or_b64 s[0:1], s[0:1], s[18:19]
	s_branch .LBB348_1516
.LBB348_1511:
	s_or_b64 exec, exec, s[16:17]
	s_and_saveexec_b64 s[0:1], s[40:41]
	s_cbranch_execnz .LBB348_1517
.LBB348_1512:
	s_or_b64 exec, exec, s[0:1]
	s_and_saveexec_b64 s[0:1], s[22:23]
	s_xor_b64 s[0:1], exec, s[0:1]
	s_cbranch_execz .LBB348_1518
.LBB348_1513:
	v_cndmask_b32_e64 v0, 0, 1, s[12:13]
	global_store_byte v[1:2], v0, off
	s_or_b64 exec, exec, s[0:1]
	s_and_saveexec_b64 s[0:1], s[20:21]
	s_xor_b64 s[0:1], exec, s[0:1]
	s_cbranch_execz .LBB348_1556
	s_branch .LBB348_1519
.LBB348_1514:
	s_mov_b64 s[14:15], 0
	s_mov_b64 s[8:9], -1
	s_mov_b64 s[0:1], s[40:41]
	s_branch .LBB348_1516
.LBB348_1515:
	s_mov_b64 s[14:15], 0
.LBB348_1516:
	s_and_b64 s[20:21], s[8:9], exec
	s_andn2_b64 s[8:9], s[40:41], exec
	s_and_b64 s[0:1], s[0:1], exec
	s_and_b64 s[22:23], s[14:15], exec
	s_or_b64 s[40:41], s[8:9], s[0:1]
	s_or_b64 exec, exec, s[16:17]
	s_and_saveexec_b64 s[0:1], s[40:41]
	s_cbranch_execz .LBB348_1512
.LBB348_1517:
	s_or_b64 s[10:11], s[10:11], exec
	s_andn2_b64 s[22:23], s[22:23], exec
	s_trap 2
	s_or_b64 exec, exec, s[0:1]
	s_and_saveexec_b64 s[0:1], s[22:23]
	s_xor_b64 s[0:1], exec, s[0:1]
	s_cbranch_execnz .LBB348_1513
.LBB348_1518:
	s_or_b64 exec, exec, s[0:1]
	s_and_saveexec_b64 s[0:1], s[20:21]
	s_xor_b64 s[0:1], exec, s[0:1]
	s_cbranch_execz .LBB348_1556
.LBB348_1519:
	s_sext_i32_i16 s14, s30
	s_cmp_lt_i32 s14, 5
	s_mov_b64 s[8:9], -1
	s_cbranch_scc1 .LBB348_1540
; %bb.1520:
	s_cmp_lt_i32 s14, 8
	s_cbranch_scc1 .LBB348_1530
; %bb.1521:
	s_cmp_lt_i32 s14, 9
	s_cbranch_scc1 .LBB348_1527
; %bb.1522:
	s_cmp_gt_i32 s14, 9
	s_cbranch_scc0 .LBB348_1524
; %bb.1523:
	v_cndmask_b32_e64 v0, 0, 1, s[12:13]
	s_waitcnt vmcnt(0)
	v_cvt_f64_u32_e32 v[3:4], v0
	v_mov_b32_e32 v5, 0
	v_mov_b32_e32 v6, v5
	s_mov_b64 s[8:9], 0
	global_store_dwordx4 v[1:2], v[3:6], off
.LBB348_1524:
	s_andn2_b64 vcc, exec, s[8:9]
	s_cbranch_vccnz .LBB348_1526
; %bb.1525:
	s_waitcnt vmcnt(0)
	v_cndmask_b32_e64 v3, 0, 1.0, s[12:13]
	v_mov_b32_e32 v4, 0
	global_store_dwordx2 v[1:2], v[3:4], off
.LBB348_1526:
	s_mov_b64 s[8:9], 0
.LBB348_1527:
	s_andn2_b64 vcc, exec, s[8:9]
	s_cbranch_vccnz .LBB348_1529
; %bb.1528:
	v_cndmask_b32_e64 v0, 0, 1.0, s[12:13]
	v_cvt_f16_f32_e32 v0, v0
	global_store_dword v[1:2], v0, off
.LBB348_1529:
	s_mov_b64 s[8:9], 0
.LBB348_1530:
	s_andn2_b64 vcc, exec, s[8:9]
	s_cbranch_vccnz .LBB348_1539
; %bb.1531:
	s_sext_i32_i16 s14, s30
	s_cmp_lt_i32 s14, 6
	s_mov_b64 s[8:9], -1
	s_cbranch_scc1 .LBB348_1537
; %bb.1532:
	s_cmp_gt_i32 s14, 6
	s_cbranch_scc0 .LBB348_1534
; %bb.1533:
	v_cndmask_b32_e64 v0, 0, 1, s[12:13]
	s_waitcnt vmcnt(0)
	v_cvt_f64_u32_e32 v[3:4], v0
	s_mov_b64 s[8:9], 0
	global_store_dwordx2 v[1:2], v[3:4], off
.LBB348_1534:
	s_andn2_b64 vcc, exec, s[8:9]
	s_cbranch_vccnz .LBB348_1536
; %bb.1535:
	v_cndmask_b32_e64 v0, 0, 1.0, s[12:13]
	global_store_dword v[1:2], v0, off
.LBB348_1536:
	s_mov_b64 s[8:9], 0
.LBB348_1537:
	s_andn2_b64 vcc, exec, s[8:9]
	s_cbranch_vccnz .LBB348_1539
; %bb.1538:
	v_cndmask_b32_e64 v0, 0, 1.0, s[12:13]
	v_cvt_f16_f32_e32 v0, v0
	global_store_short v[1:2], v0, off
.LBB348_1539:
	s_mov_b64 s[8:9], 0
.LBB348_1540:
	s_andn2_b64 vcc, exec, s[8:9]
	s_cbranch_vccnz .LBB348_1556
; %bb.1541:
	s_sext_i32_i16 s14, s30
	s_cmp_lt_i32 s14, 2
	s_mov_b64 s[8:9], -1
	s_cbranch_scc1 .LBB348_1551
; %bb.1542:
	s_cmp_lt_i32 s14, 3
	s_cbranch_scc1 .LBB348_1548
; %bb.1543:
	s_cmp_gt_i32 s14, 3
	s_cbranch_scc0 .LBB348_1545
; %bb.1544:
	s_mov_b32 s8, 0
	s_waitcnt vmcnt(0)
	v_cndmask_b32_e64 v3, 0, 1, s[12:13]
	v_mov_b32_e32 v4, s8
	s_mov_b64 s[8:9], 0
	global_store_dwordx2 v[1:2], v[3:4], off
.LBB348_1545:
	s_andn2_b64 vcc, exec, s[8:9]
	s_cbranch_vccnz .LBB348_1547
; %bb.1546:
	v_cndmask_b32_e64 v0, 0, 1, s[12:13]
	global_store_dword v[1:2], v0, off
.LBB348_1547:
	s_mov_b64 s[8:9], 0
.LBB348_1548:
	s_andn2_b64 vcc, exec, s[8:9]
	s_cbranch_vccnz .LBB348_1550
; %bb.1549:
	v_cndmask_b32_e64 v0, 0, 1, s[12:13]
	global_store_short v[1:2], v0, off
.LBB348_1550:
	s_mov_b64 s[8:9], 0
.LBB348_1551:
	s_andn2_b64 vcc, exec, s[8:9]
	s_cbranch_vccnz .LBB348_1556
; %bb.1552:
	s_sext_i32_i16 s14, s30
	s_mov_b64 s[8:9], -1
	s_cmp_gt_i32 s14, 0
	v_cndmask_b32_e64 v0, 0, 1, s[12:13]
	s_cbranch_scc0 .LBB348_1554
; %bb.1553:
	s_mov_b64 s[8:9], 0
	global_store_byte v[1:2], v0, off
.LBB348_1554:
	s_andn2_b64 vcc, exec, s[8:9]
	s_cbranch_vccnz .LBB348_1556
; %bb.1555:
	global_store_byte v[1:2], v0, off
.LBB348_1556:
	s_or_b64 exec, exec, s[0:1]
	s_and_b64 s[12:13], s[10:11], exec
                                        ; implicit-def: $vgpr23
                                        ; implicit-def: $vgpr8
.LBB348_1557:
	s_or_saveexec_b64 s[14:15], s[26:27]
	s_mov_b64 s[0:1], 0
                                        ; implicit-def: $sgpr10_sgpr11
                                        ; implicit-def: $vgpr0_vgpr1
                                        ; implicit-def: $sgpr22
	s_xor_b64 exec, exec, s[14:15]
	s_cbranch_execz .LBB348_3038
; %bb.1558:
	v_cndmask_b32_e64 v0, 0, 1, s[24:25]
	v_cmp_ne_u32_e64 s[0:1], 1, v0
	s_andn2_b64 vcc, exec, s[24:25]
	s_cbranch_vccnz .LBB348_1564
; %bb.1559:
	s_cmp_lg_u32 s33, 0
	s_cbranch_scc0 .LBB348_1565
; %bb.1560:
	s_min_u32 s8, s72, 15
	s_add_i32 s6, s8, 1
	s_and_b32 s9, s6, 30
	s_add_u32 s6, s2, 0xffffffe8
	s_addc_u32 s7, s3, -1
	v_mov_b32_e32 v19, 0
	v_mov_b32_e32 v21, 0
	s_waitcnt vmcnt(0)
	v_mov_b32_e32 v6, 0
	v_mov_b32_e32 v0, v8
.LBB348_1561:                           ; =>This Inner Loop Header: Depth=1
	s_load_dwordx4 s[16:19], s[6:7], 0x1c
	s_load_dwordx2 s[10:11], s[6:7], 0x2c
	s_load_dwordx2 s[24:25], s[6:7], 0xec
	s_load_dwordx4 s[20:23], s[6:7], 0xdc
	s_add_u32 s6, s6, 24
	s_waitcnt lgkmcnt(0)
	v_mul_hi_u32 v1, s17, v0
	s_addc_u32 s7, s7, 0
	s_add_i32 s9, s9, -2
	s_cmp_lg_u32 s9, 0
	v_add_u32_e32 v1, v0, v1
	v_lshrrev_b32_e32 v1, s18, v1
	v_mul_lo_u32 v2, v1, s16
	v_mul_hi_u32 v3, s10, v1
	v_sub_u32_e32 v2, v0, v2
	v_add_u32_e32 v0, v1, v3
	v_lshrrev_b32_e32 v0, s11, v0
	v_mul_lo_u32 v5, v0, s19
	v_mul_lo_u32 v3, v2, s20
	;; [unrolled: 1-line block ×4, first 2 shown]
	v_sub_u32_e32 v1, v1, v5
	v_mul_lo_u32 v5, v1, s23
	v_mul_lo_u32 v7, v1, s24
	;; [unrolled: 1-line block ×3, first 2 shown]
	v_add3_u32 v6, v3, v6, v5
	v_add3_u32 v21, v4, v21, v7
	;; [unrolled: 1-line block ×3, first 2 shown]
	s_cbranch_scc1 .LBB348_1561
; %bb.1562:
	s_bitcmp1_b32 s8, 0
	s_cselect_b64 s[8:9], -1, 0
	s_and_b64 vcc, exec, s[8:9]
	s_cbranch_vccnz .LBB348_1566
; %bb.1563:
	s_load_dwordx2 s[8:9], s[6:7], 0x1c
	s_load_dword s16, s[6:7], 0x24
	s_load_dwordx2 s[10:11], s[6:7], 0xdc
	s_waitcnt lgkmcnt(0)
	v_mul_hi_u32 v1, s9, v0
	v_add_u32_e32 v1, v0, v1
	v_lshrrev_b32_e32 v1, s16, v1
	v_mul_lo_u32 v1, v1, s8
	s_load_dword s8, s[6:7], 0xe4
	v_sub_u32_e32 v0, v0, v1
	v_mad_u64_u32 v[6:7], s[6:7], v0, s10, v[6:7]
	v_mad_u64_u32 v[21:22], s[6:7], v0, s11, v[21:22]
	s_waitcnt lgkmcnt(0)
	v_mad_u64_u32 v[19:20], s[6:7], v0, s8, v[19:20]
	s_cbranch_execz .LBB348_1567
	s_branch .LBB348_1569
.LBB348_1564:
                                        ; implicit-def: $vgpr6
                                        ; implicit-def: $vgpr21
                                        ; implicit-def: $vgpr19
	s_branch .LBB348_1567
.LBB348_1565:
	s_waitcnt vmcnt(0)
	v_mov_b32_e32 v6, 0
	v_mov_b32_e32 v21, 0
	;; [unrolled: 1-line block ×3, first 2 shown]
.LBB348_1566:
	s_cbranch_execnz .LBB348_1569
.LBB348_1567:
	s_load_dwordx4 s[8:11], s[2:3], 0x4
	s_load_dwordx4 s[16:19], s[2:3], 0xc4
	s_cmp_lt_u32 s33, 2
	s_waitcnt lgkmcnt(0)
	v_mul_hi_u32 v0, s9, v8
	v_add_u32_e32 v0, v8, v0
	v_lshrrev_b32_e32 v0, s10, v0
	v_mul_lo_u32 v1, v0, s8
	v_sub_u32_e32 v1, v8, v1
	s_waitcnt vmcnt(0)
	v_mul_lo_u32 v6, v1, s16
	v_mul_lo_u32 v21, v1, s17
	;; [unrolled: 1-line block ×3, first 2 shown]
	s_cbranch_scc1 .LBB348_1569
; %bb.1568:
	s_load_dwordx4 s[8:11], s[2:3], 0x10
	s_load_dwordx4 s[16:19], s[2:3], 0xd0
	s_waitcnt lgkmcnt(0)
	v_mul_hi_u32 v1, s9, v0
	v_add_u32_e32 v1, v0, v1
	v_lshrrev_b32_e32 v1, s10, v1
	v_mul_lo_u32 v1, v1, s8
	v_sub_u32_e32 v0, v0, v1
	v_mad_u64_u32 v[6:7], s[6:7], v0, s16, v[6:7]
	v_mad_u64_u32 v[21:22], s[6:7], v0, s17, v[21:22]
	;; [unrolled: 1-line block ×3, first 2 shown]
.LBB348_1569:
	s_and_b64 vcc, exec, s[0:1]
	v_add_u32_e32 v0, 0x80, v8
	s_cbranch_vccnz .LBB348_1575
; %bb.1570:
	s_cmp_lg_u32 s33, 0
	s_cbranch_scc0 .LBB348_1576
; %bb.1571:
	s_min_u32 s8, s72, 15
	s_add_i32 s6, s8, 1
	s_and_b32 s9, s6, 30
	s_add_u32 s6, s2, 0xffffffe8
	s_addc_u32 s7, s3, -1
	v_mov_b32_e32 v15, 0
	v_mov_b32_e32 v17, 0
	;; [unrolled: 1-line block ×4, first 2 shown]
.LBB348_1572:                           ; =>This Inner Loop Header: Depth=1
	s_load_dwordx4 s[16:19], s[6:7], 0x1c
	s_load_dwordx2 s[10:11], s[6:7], 0x2c
	s_load_dwordx2 s[24:25], s[6:7], 0xec
	s_load_dwordx4 s[20:23], s[6:7], 0xdc
	s_add_u32 s6, s6, 24
	s_waitcnt lgkmcnt(0)
	v_mul_hi_u32 v2, s17, v1
	s_addc_u32 s7, s7, 0
	s_add_i32 s9, s9, -2
	s_cmp_lg_u32 s9, 0
	v_add_u32_e32 v2, v1, v2
	v_lshrrev_b32_e32 v2, s18, v2
	s_waitcnt vmcnt(0)
	v_mul_lo_u32 v3, v2, s16
	v_mul_hi_u32 v5, s10, v2
	v_sub_u32_e32 v3, v1, v3
	v_add_u32_e32 v1, v2, v5
	v_lshrrev_b32_e32 v1, s11, v1
	v_mul_lo_u32 v9, v1, s19
	v_mul_lo_u32 v5, v3, s20
	;; [unrolled: 1-line block ×4, first 2 shown]
	v_sub_u32_e32 v2, v2, v9
	v_mul_lo_u32 v9, v2, s23
	v_mul_lo_u32 v10, v2, s24
	v_mul_lo_u32 v2, v2, s25
	v_add3_u32 v4, v5, v4, v9
	v_add3_u32 v17, v7, v17, v10
	;; [unrolled: 1-line block ×3, first 2 shown]
	s_cbranch_scc1 .LBB348_1572
; %bb.1573:
	s_bitcmp1_b32 s8, 0
	s_cselect_b64 s[8:9], -1, 0
	s_and_b64 vcc, exec, s[8:9]
	s_cbranch_vccnz .LBB348_1577
; %bb.1574:
	s_load_dwordx2 s[8:9], s[6:7], 0x1c
	s_load_dword s16, s[6:7], 0x24
	s_load_dwordx2 s[10:11], s[6:7], 0xdc
	s_waitcnt lgkmcnt(0)
	v_mul_hi_u32 v2, s9, v1
	v_add_u32_e32 v2, v1, v2
	v_lshrrev_b32_e32 v2, s16, v2
	v_mul_lo_u32 v2, v2, s8
	s_load_dword s8, s[6:7], 0xe4
	v_sub_u32_e32 v1, v1, v2
	v_mad_u64_u32 v[4:5], s[6:7], v1, s10, v[4:5]
	v_mad_u64_u32 v[17:18], s[6:7], v1, s11, v[17:18]
	s_waitcnt lgkmcnt(0)
	v_mad_u64_u32 v[15:16], s[6:7], v1, s8, v[15:16]
	s_cbranch_execz .LBB348_1578
	s_branch .LBB348_1580
.LBB348_1575:
                                        ; implicit-def: $vgpr4
                                        ; implicit-def: $vgpr17
                                        ; implicit-def: $vgpr15
	s_branch .LBB348_1578
.LBB348_1576:
	v_mov_b32_e32 v4, 0
	v_mov_b32_e32 v17, 0
	;; [unrolled: 1-line block ×3, first 2 shown]
.LBB348_1577:
	s_cbranch_execnz .LBB348_1580
.LBB348_1578:
	s_load_dwordx4 s[8:11], s[2:3], 0x4
	s_load_dwordx4 s[16:19], s[2:3], 0xc4
	s_cmp_lt_u32 s33, 2
	s_waitcnt lgkmcnt(0)
	v_mul_hi_u32 v1, s9, v0
	v_add_u32_e32 v1, v0, v1
	v_lshrrev_b32_e32 v1, s10, v1
	v_mul_lo_u32 v2, v1, s8
	v_sub_u32_e32 v0, v0, v2
	v_mul_lo_u32 v4, v0, s16
	v_mul_lo_u32 v17, v0, s17
	;; [unrolled: 1-line block ×3, first 2 shown]
	s_cbranch_scc1 .LBB348_1580
; %bb.1579:
	s_load_dwordx4 s[8:11], s[2:3], 0x10
	s_load_dwordx4 s[16:19], s[2:3], 0xd0
	s_waitcnt lgkmcnt(0)
	v_mul_hi_u32 v0, s9, v1
	v_add_u32_e32 v0, v1, v0
	v_lshrrev_b32_e32 v0, s10, v0
	v_mul_lo_u32 v0, v0, s8
	v_sub_u32_e32 v0, v1, v0
	s_waitcnt vmcnt(0)
	v_mad_u64_u32 v[4:5], s[6:7], v0, s16, v[4:5]
	v_mad_u64_u32 v[17:18], s[6:7], v0, s17, v[17:18]
	;; [unrolled: 1-line block ×3, first 2 shown]
.LBB348_1580:
	s_and_b64 vcc, exec, s[0:1]
	v_add_u32_e32 v0, 0x100, v8
	s_cbranch_vccnz .LBB348_1586
; %bb.1581:
	s_cmp_lg_u32 s33, 0
	s_cbranch_scc0 .LBB348_1587
; %bb.1582:
	s_min_u32 s8, s72, 15
	s_add_i32 s6, s8, 1
	s_and_b32 s9, s6, 30
	s_add_u32 s6, s2, 0xffffffe8
	s_addc_u32 s7, s3, -1
	v_mov_b32_e32 v11, 0
	v_mov_b32_e32 v13, 0
	;; [unrolled: 1-line block ×4, first 2 shown]
.LBB348_1583:                           ; =>This Inner Loop Header: Depth=1
	s_load_dwordx4 s[16:19], s[6:7], 0x1c
	s_load_dwordx2 s[10:11], s[6:7], 0x2c
	s_load_dwordx2 s[24:25], s[6:7], 0xec
	s_load_dwordx4 s[20:23], s[6:7], 0xdc
	s_add_u32 s6, s6, 24
	s_waitcnt vmcnt(0) lgkmcnt(0)
	v_mul_hi_u32 v3, s17, v1
	s_addc_u32 s7, s7, 0
	s_add_i32 s9, s9, -2
	s_cmp_lg_u32 s9, 0
	v_add_u32_e32 v3, v1, v3
	v_lshrrev_b32_e32 v3, s18, v3
	v_mul_lo_u32 v5, v3, s16
	v_mul_hi_u32 v7, s10, v3
	v_sub_u32_e32 v5, v1, v5
	v_add_u32_e32 v1, v3, v7
	v_lshrrev_b32_e32 v1, s11, v1
	v_mul_lo_u32 v9, v1, s19
	v_mul_lo_u32 v7, v5, s20
	v_mul_lo_u32 v8, v5, s21
	v_mul_lo_u32 v5, v5, s22
	v_sub_u32_e32 v3, v3, v9
	v_mul_lo_u32 v9, v3, s23
	v_mul_lo_u32 v10, v3, s24
	v_mul_lo_u32 v3, v3, s25
	v_add3_u32 v2, v7, v2, v9
	v_add3_u32 v13, v8, v13, v10
	;; [unrolled: 1-line block ×3, first 2 shown]
	s_cbranch_scc1 .LBB348_1583
; %bb.1584:
	s_bitcmp1_b32 s8, 0
	s_cselect_b64 s[8:9], -1, 0
	s_and_b64 vcc, exec, s[8:9]
	s_cbranch_vccnz .LBB348_1588
; %bb.1585:
	s_load_dwordx2 s[8:9], s[6:7], 0x1c
	s_load_dword s16, s[6:7], 0x24
	s_load_dwordx2 s[10:11], s[6:7], 0xdc
	s_waitcnt lgkmcnt(0)
	v_mul_hi_u32 v3, s9, v1
	v_add_u32_e32 v3, v1, v3
	v_lshrrev_b32_e32 v3, s16, v3
	v_mul_lo_u32 v3, v3, s8
	s_load_dword s8, s[6:7], 0xe4
	v_sub_u32_e32 v1, v1, v3
	v_mad_u64_u32 v[2:3], s[6:7], v1, s10, v[2:3]
	v_mad_u64_u32 v[13:14], s[6:7], v1, s11, v[13:14]
	s_waitcnt lgkmcnt(0)
	v_mad_u64_u32 v[11:12], s[6:7], v1, s8, v[11:12]
	s_cbranch_execz .LBB348_1589
	s_branch .LBB348_1591
.LBB348_1586:
                                        ; implicit-def: $vgpr2
                                        ; implicit-def: $vgpr13
                                        ; implicit-def: $vgpr11
	s_branch .LBB348_1589
.LBB348_1587:
	v_mov_b32_e32 v2, 0
	v_mov_b32_e32 v13, 0
	v_mov_b32_e32 v11, 0
.LBB348_1588:
	s_cbranch_execnz .LBB348_1591
.LBB348_1589:
	s_load_dwordx4 s[8:11], s[2:3], 0x4
	s_load_dwordx4 s[16:19], s[2:3], 0xc4
	s_cmp_lt_u32 s33, 2
	s_waitcnt lgkmcnt(0)
	v_mul_hi_u32 v1, s9, v0
	v_add_u32_e32 v1, v0, v1
	v_lshrrev_b32_e32 v1, s10, v1
	v_mul_lo_u32 v2, v1, s8
	v_sub_u32_e32 v0, v0, v2
	v_mul_lo_u32 v2, v0, s16
	v_mul_lo_u32 v13, v0, s17
	;; [unrolled: 1-line block ×3, first 2 shown]
	s_cbranch_scc1 .LBB348_1591
; %bb.1590:
	s_load_dwordx4 s[8:11], s[2:3], 0x10
	s_load_dwordx4 s[16:19], s[2:3], 0xd0
	s_waitcnt lgkmcnt(0)
	v_mul_hi_u32 v0, s9, v1
	v_add_u32_e32 v0, v1, v0
	v_lshrrev_b32_e32 v0, s10, v0
	v_mul_lo_u32 v0, v0, s8
	v_sub_u32_e32 v0, v1, v0
	s_waitcnt vmcnt(0)
	v_mad_u64_u32 v[2:3], s[6:7], v0, s16, v[2:3]
	v_mad_u64_u32 v[13:14], s[6:7], v0, s17, v[13:14]
	;; [unrolled: 1-line block ×3, first 2 shown]
.LBB348_1591:
	s_and_b64 vcc, exec, s[0:1]
	s_cbranch_vccnz .LBB348_1597
; %bb.1592:
	s_cmp_lg_u32 s33, 0
	s_cbranch_scc0 .LBB348_1598
; %bb.1593:
	s_min_u32 s6, s72, 15
	s_add_i32 s0, s6, 1
	s_and_b32 s7, s0, 30
	s_add_u32 s0, s2, 0xffffffe8
	s_addc_u32 s1, s3, -1
	v_mov_b32_e32 v7, 0
	v_mov_b32_e32 v9, 0
	;; [unrolled: 1-line block ×4, first 2 shown]
.LBB348_1594:                           ; =>This Inner Loop Header: Depth=1
	s_load_dwordx4 s[8:11], s[0:1], 0x1c
	s_load_dwordx2 s[20:21], s[0:1], 0x2c
	s_load_dwordx2 s[22:23], s[0:1], 0xec
	s_load_dwordx4 s[16:19], s[0:1], 0xdc
	s_add_u32 s0, s0, 24
	s_waitcnt vmcnt(0) lgkmcnt(0)
	v_mul_hi_u32 v3, s9, v1
	s_addc_u32 s1, s1, 0
	s_add_i32 s7, s7, -2
	s_cmp_lg_u32 s7, 0
	v_add_u32_e32 v3, v1, v3
	v_lshrrev_b32_e32 v3, s10, v3
	v_mul_lo_u32 v5, v3, s8
	v_mul_hi_u32 v8, s20, v3
	v_sub_u32_e32 v5, v1, v5
	v_add_u32_e32 v1, v3, v8
	v_lshrrev_b32_e32 v1, s21, v1
	v_mul_lo_u32 v12, v1, s11
	v_mul_lo_u32 v8, v5, s16
	;; [unrolled: 1-line block ×4, first 2 shown]
	v_sub_u32_e32 v3, v3, v12
	v_mul_lo_u32 v12, v3, s19
	v_mul_lo_u32 v14, v3, s22
	;; [unrolled: 1-line block ×3, first 2 shown]
	v_add3_u32 v0, v8, v0, v12
	v_add3_u32 v9, v10, v9, v14
	;; [unrolled: 1-line block ×3, first 2 shown]
	s_cbranch_scc1 .LBB348_1594
; %bb.1595:
	s_bitcmp1_b32 s6, 0
	s_cselect_b64 s[6:7], -1, 0
	s_and_b64 vcc, exec, s[6:7]
	s_cbranch_vccnz .LBB348_1599
; %bb.1596:
	s_load_dwordx2 s[6:7], s[0:1], 0x1c
	s_load_dword s10, s[0:1], 0x24
	s_load_dwordx2 s[8:9], s[0:1], 0xdc
	s_waitcnt lgkmcnt(0)
	v_mul_hi_u32 v3, s7, v1
	v_add_u32_e32 v3, v1, v3
	v_lshrrev_b32_e32 v3, s10, v3
	v_mul_lo_u32 v3, v3, s6
	s_load_dword s6, s[0:1], 0xe4
	v_sub_u32_e32 v3, v1, v3
	v_mad_u64_u32 v[0:1], s[0:1], v3, s8, v[0:1]
	v_mad_u64_u32 v[9:10], s[0:1], v3, s9, v[9:10]
	s_waitcnt lgkmcnt(0)
	v_mad_u64_u32 v[7:8], s[0:1], v3, s6, v[7:8]
	s_cbranch_execz .LBB348_1600
	s_branch .LBB348_1602
.LBB348_1597:
                                        ; implicit-def: $vgpr0
                                        ; implicit-def: $vgpr9
                                        ; implicit-def: $vgpr7
	s_branch .LBB348_1600
.LBB348_1598:
	v_mov_b32_e32 v0, 0
	v_mov_b32_e32 v9, 0
	;; [unrolled: 1-line block ×3, first 2 shown]
.LBB348_1599:
	s_cbranch_execnz .LBB348_1602
.LBB348_1600:
	s_load_dwordx4 s[8:11], s[2:3], 0x4
	s_load_dwordx4 s[16:19], s[2:3], 0xc4
	s_cmp_lt_u32 s33, 2
	s_waitcnt lgkmcnt(0)
	v_mul_hi_u32 v0, s9, v23
	v_add_u32_e32 v0, v23, v0
	v_lshrrev_b32_e32 v1, s10, v0
	v_mul_lo_u32 v0, v1, s8
	s_waitcnt vmcnt(0)
	v_sub_u32_e32 v3, v23, v0
	v_mul_lo_u32 v0, v3, s16
	v_mul_lo_u32 v9, v3, s17
	;; [unrolled: 1-line block ×3, first 2 shown]
	s_cbranch_scc1 .LBB348_1602
; %bb.1601:
	s_load_dwordx4 s[8:11], s[2:3], 0x10
	s_load_dwordx4 s[16:19], s[2:3], 0xd0
	s_waitcnt lgkmcnt(0)
	v_mul_hi_u32 v3, s9, v1
	v_add_u32_e32 v3, v1, v3
	v_lshrrev_b32_e32 v3, s10, v3
	v_mul_lo_u32 v3, v3, s8
	v_sub_u32_e32 v3, v1, v3
	v_mad_u64_u32 v[0:1], s[0:1], v3, s16, v[0:1]
	v_mad_u64_u32 v[9:10], s[0:1], v3, s17, v[9:10]
	;; [unrolled: 1-line block ×3, first 2 shown]
.LBB348_1602:
	s_load_dwordx4 s[8:11], s[2:3], 0x188
	s_load_dword s23, s[4:5], 0x1ac
	s_waitcnt lgkmcnt(0)
	v_mov_b32_e32 v1, s11
	s_bfe_u32 s18, s23, 0x80008
	v_add_co_u32_e32 v20, vcc, s10, v21
	s_cmp_lt_i32 s18, 11
	v_addc_co_u32_e32 v21, vcc, 0, v1, vcc
	s_cbranch_scc1 .LBB348_1609
; %bb.1603:
	s_and_b32 s19, 0xffff, s18
	s_cmp_gt_i32 s19, 25
	s_mov_b64 s[6:7], 0
	s_cbranch_scc0 .LBB348_1611
; %bb.1604:
	s_cmp_gt_i32 s19, 28
	s_cbranch_scc0 .LBB348_1612
; %bb.1605:
	s_cmp_gt_i32 s19, 43
	;; [unrolled: 3-line block ×3, first 2 shown]
	s_cbranch_scc0 .LBB348_1614
; %bb.1607:
	s_cmp_eq_u32 s19, 46
	s_mov_b64 s[4:5], 0
	s_cbranch_scc0 .LBB348_1617
; %bb.1608:
	global_load_dword v1, v[20:21], off
	s_mov_b64 s[0:1], 0
	s_mov_b64 s[16:17], -1
	s_waitcnt vmcnt(0)
	v_lshlrev_b32_e32 v1, 16, v1
	v_cvt_u32_f32_e32 v1, v1
	s_branch .LBB348_1618
.LBB348_1609:
	s_mov_b64 s[16:17], 0
                                        ; implicit-def: $vgpr1
	s_mov_b64 s[4:5], s[12:13]
	s_cbranch_execnz .LBB348_1676
.LBB348_1610:
	s_andn2_b64 vcc, exec, s[16:17]
	s_cbranch_vccz .LBB348_1721
	s_branch .LBB348_3036
.LBB348_1611:
	s_mov_b64 s[16:17], 0
	s_mov_b64 s[0:1], 0
                                        ; implicit-def: $vgpr1
	s_cbranch_execnz .LBB348_1643
	s_branch .LBB348_1672
.LBB348_1612:
	s_mov_b64 s[16:17], 0
	s_mov_b64 s[0:1], 0
                                        ; implicit-def: $vgpr1
	s_cbranch_execz .LBB348_1642
	s_branch .LBB348_1627
.LBB348_1613:
	s_mov_b64 s[16:17], 0
	s_mov_b64 s[0:1], 0
                                        ; implicit-def: $vgpr1
	s_cbranch_execnz .LBB348_1623
	s_branch .LBB348_1626
.LBB348_1614:
	s_mov_b64 s[4:5], -1
	s_mov_b64 s[16:17], 0
	s_mov_b64 s[0:1], 0
                                        ; implicit-def: $vgpr1
	s_branch .LBB348_1618
.LBB348_1615:
	s_andn2_saveexec_b64 s[18:19], s[18:19]
	s_cbranch_execz .LBB348_1466
.LBB348_1616:
	v_add_f32_e32 v0, 0x46000000, v3
	v_and_b32_e32 v0, 0xff, v0
	v_cmp_ne_u32_e32 vcc, 0, v0
	s_andn2_b64 s[14:15], s[14:15], exec
	s_and_b64 s[20:21], vcc, exec
	s_or_b64 s[14:15], s[14:15], s[20:21]
	s_or_b64 exec, exec, s[18:19]
	v_mov_b32_e32 v4, 0
	s_and_saveexec_b64 s[18:19], s[14:15]
	s_cbranch_execnz .LBB348_1467
	s_branch .LBB348_1468
.LBB348_1617:
	s_mov_b64 s[0:1], -1
                                        ; implicit-def: $vgpr1
	s_mov_b64 s[16:17], 0
.LBB348_1618:
	s_and_b64 vcc, exec, s[4:5]
	s_cbranch_vccz .LBB348_1621
; %bb.1619:
	s_cmp_eq_u32 s19, 44
	s_cbranch_scc0 .LBB348_1622
; %bb.1620:
	global_load_ubyte v1, v[20:21], off
	s_mov_b64 s[0:1], 0
	s_mov_b64 s[16:17], -1
	s_waitcnt vmcnt(0)
	v_lshlrev_b32_e32 v3, 23, v1
	v_cvt_u32_f32_e32 v3, v3
	v_cmp_ne_u32_e32 vcc, 0, v1
	v_cndmask_b32_e32 v1, 0, v3, vcc
.LBB348_1621:
	s_branch .LBB348_1626
.LBB348_1622:
	s_mov_b64 s[0:1], -1
                                        ; implicit-def: $vgpr1
	s_branch .LBB348_1626
.LBB348_1623:
	s_cmp_eq_u32 s19, 29
	s_cbranch_scc0 .LBB348_1625
; %bb.1624:
	global_load_dword v1, v[20:21], off
	s_mov_b64 s[0:1], 0
	s_mov_b64 s[16:17], -1
	s_branch .LBB348_1626
.LBB348_1625:
	s_mov_b64 s[0:1], -1
                                        ; implicit-def: $vgpr1
.LBB348_1626:
	s_branch .LBB348_1642
.LBB348_1627:
	s_cmp_lt_i32 s19, 27
	s_cbranch_scc1 .LBB348_1630
; %bb.1628:
	s_cmp_gt_i32 s19, 27
	s_cbranch_scc0 .LBB348_1631
; %bb.1629:
	global_load_dword v1, v[20:21], off
	s_mov_b64 s[4:5], 0
	s_branch .LBB348_1632
.LBB348_1630:
	s_mov_b64 s[4:5], -1
                                        ; implicit-def: $vgpr1
	s_branch .LBB348_1635
.LBB348_1631:
	s_mov_b64 s[4:5], -1
                                        ; implicit-def: $vgpr1
.LBB348_1632:
	s_andn2_b64 vcc, exec, s[4:5]
	s_cbranch_vccnz .LBB348_1634
; %bb.1633:
	global_load_ushort v1, v[20:21], off
.LBB348_1634:
	s_mov_b64 s[4:5], 0
.LBB348_1635:
	s_andn2_b64 vcc, exec, s[4:5]
	s_cbranch_vccnz .LBB348_1641
; %bb.1636:
	global_load_ubyte v3, v[20:21], off
	s_movk_i32 s4, 0x7f
	s_mov_b64 s[16:17], 0
	s_waitcnt vmcnt(0)
	v_cmp_lt_i16_e32 vcc, s4, v3
	s_and_saveexec_b64 s[4:5], vcc
	s_xor_b64 s[4:5], exec, s[4:5]
	s_cbranch_execz .LBB348_1652
; %bb.1637:
	s_movk_i32 s16, 0x80
	v_cmp_ne_u16_e32 vcc, s16, v3
	s_and_b64 s[16:17], vcc, exec
	s_andn2_saveexec_b64 s[4:5], s[4:5]
	s_cbranch_execnz .LBB348_1653
.LBB348_1638:
	s_or_b64 exec, exec, s[4:5]
	v_mov_b32_e32 v1, 0
	s_and_saveexec_b64 s[4:5], s[16:17]
	s_cbranch_execz .LBB348_1640
.LBB348_1639:
	v_lshlrev_b32_e32 v1, 24, v3
	v_and_b32_e32 v3, 0xffff, v3
	v_and_b32_e32 v5, 7, v3
	v_ffbh_u32_e32 v10, v5
	v_min_u32_e32 v10, 32, v10
	v_subrev_u32_e32 v12, 28, v10
	v_bfe_u32 v8, v3, 3, 4
	v_lshlrev_b32_e32 v3, v12, v3
	v_sub_u32_e32 v10, 29, v10
	v_and_b32_e32 v3, 7, v3
	v_cmp_eq_u32_e32 vcc, 0, v8
	v_cndmask_b32_e32 v8, v8, v10, vcc
	v_cndmask_b32_e32 v3, v5, v3, vcc
	v_mov_b32_e32 v5, 0x3b800000
	v_lshlrev_b32_e32 v3, 20, v3
	v_and_b32_e32 v1, 0x80000000, v1
	v_lshl_add_u32 v5, v8, 23, v5
	v_or3_b32 v1, v1, v5, v3
	v_cvt_u32_f32_e32 v1, v1
.LBB348_1640:
	s_or_b64 exec, exec, s[4:5]
.LBB348_1641:
	s_mov_b64 s[16:17], -1
.LBB348_1642:
	s_branch .LBB348_1672
.LBB348_1643:
	s_cmp_gt_i32 s19, 22
	s_cbranch_scc0 .LBB348_1651
; %bb.1644:
	s_cmp_lt_i32 s19, 24
	s_cbranch_scc1 .LBB348_1654
; %bb.1645:
	s_cmp_gt_i32 s19, 24
	s_cbranch_scc0 .LBB348_1655
; %bb.1646:
	global_load_ubyte v3, v[20:21], off
	s_movk_i32 s4, 0x7f
	s_waitcnt vmcnt(0)
	v_cmp_lt_i16_e32 vcc, s4, v3
	s_and_saveexec_b64 s[4:5], vcc
	s_xor_b64 s[4:5], exec, s[4:5]
	s_cbranch_execz .LBB348_1666
; %bb.1647:
	s_movk_i32 s6, 0x80
	v_cmp_ne_u16_e32 vcc, s6, v3
	s_and_b64 s[6:7], vcc, exec
	s_andn2_saveexec_b64 s[4:5], s[4:5]
	s_cbranch_execnz .LBB348_1667
.LBB348_1648:
	s_or_b64 exec, exec, s[4:5]
	v_mov_b32_e32 v1, 0
	s_and_saveexec_b64 s[4:5], s[6:7]
	s_cbranch_execz .LBB348_1650
.LBB348_1649:
	v_lshlrev_b32_e32 v1, 24, v3
	v_and_b32_e32 v3, 0xffff, v3
	v_and_b32_e32 v5, 3, v3
	v_ffbh_u32_e32 v10, v5
	v_min_u32_e32 v10, 32, v10
	v_subrev_u32_e32 v12, 29, v10
	v_bfe_u32 v8, v3, 2, 5
	v_lshlrev_b32_e32 v3, v12, v3
	v_sub_u32_e32 v10, 30, v10
	v_and_b32_e32 v3, 3, v3
	v_cmp_eq_u32_e32 vcc, 0, v8
	v_cndmask_b32_e32 v8, v8, v10, vcc
	v_cndmask_b32_e32 v3, v5, v3, vcc
	v_mov_b32_e32 v5, 0x37800000
	v_lshlrev_b32_e32 v3, 21, v3
	v_and_b32_e32 v1, 0x80000000, v1
	v_lshl_add_u32 v5, v8, 23, v5
	v_or3_b32 v1, v1, v5, v3
	v_cvt_u32_f32_e32 v1, v1
.LBB348_1650:
	s_or_b64 exec, exec, s[4:5]
	s_mov_b64 s[4:5], 0
	s_branch .LBB348_1656
.LBB348_1651:
                                        ; implicit-def: $vgpr1
	s_mov_b64 s[6:7], 0
	s_branch .LBB348_1662
.LBB348_1652:
	s_andn2_saveexec_b64 s[4:5], s[4:5]
	s_cbranch_execz .LBB348_1638
.LBB348_1653:
	v_cmp_ne_u16_e32 vcc, 0, v3
	s_andn2_b64 s[16:17], s[16:17], exec
	s_and_b64 s[20:21], vcc, exec
	s_or_b64 s[16:17], s[16:17], s[20:21]
	s_or_b64 exec, exec, s[4:5]
	v_mov_b32_e32 v1, 0
	s_and_saveexec_b64 s[4:5], s[16:17]
	s_cbranch_execnz .LBB348_1639
	s_branch .LBB348_1640
.LBB348_1654:
	s_mov_b64 s[4:5], -1
                                        ; implicit-def: $vgpr1
	s_branch .LBB348_1659
.LBB348_1655:
	s_mov_b64 s[4:5], -1
                                        ; implicit-def: $vgpr1
.LBB348_1656:
	s_and_b64 vcc, exec, s[4:5]
	s_cbranch_vccz .LBB348_1658
; %bb.1657:
	global_load_ubyte v1, v[20:21], off
	s_mov_b32 s4, 0x7f800000
	s_waitcnt vmcnt(0)
	v_lshlrev_b32_e32 v1, 24, v1
	v_and_b32_e32 v3, 0x7f000000, v1
	v_ffbh_u32_e32 v5, v3
	v_min_u32_e32 v5, 32, v5
	v_sub_u32_e64 v5, v5, 4 clamp
	v_lshlrev_b32_e32 v10, v5, v3
	v_lshlrev_b32_e32 v5, 23, v5
	v_lshrrev_b32_e32 v10, 4, v10
	v_add_u32_e32 v8, 0x1000000, v3
	v_sub_u32_e32 v5, v10, v5
	v_ashrrev_i32_e32 v8, 8, v8
	v_add_u32_e32 v5, 0x3c000000, v5
	v_and_or_b32 v5, v8, s4, v5
	v_cmp_ne_u32_e32 vcc, 0, v3
	v_cndmask_b32_e32 v3, 0, v5, vcc
	s_brev_b32 s4, 1
	v_and_or_b32 v1, v1, s4, v3
	v_cvt_u32_f32_e32 v1, v1
.LBB348_1658:
	s_mov_b64 s[4:5], 0
.LBB348_1659:
	s_andn2_b64 vcc, exec, s[4:5]
	s_cbranch_vccnz .LBB348_1661
; %bb.1660:
	global_load_ubyte v1, v[20:21], off
	s_movk_i32 s4, 0x7f00
	s_brev_b32 s5, 16
	s_waitcnt vmcnt(0)
	v_lshlrev_b16_e32 v3, 8, v1
	v_lshlrev_b32_e32 v1, 25, v1
	v_lshrrev_b32_e32 v5, 4, v1
	v_and_or_b32 v8, v3, s4, 0.5
	v_or_b32_e32 v5, 0x70000000, v5
	v_add_f32_e32 v8, -0.5, v8
	v_mul_f32_e32 v5, 0x7800000, v5
	v_cmp_gt_u32_e32 vcc, s5, v1
	v_bfe_i32 v3, v3, 0, 16
	v_cndmask_b32_e32 v1, v5, v8, vcc
	s_brev_b32 s4, 1
	v_and_or_b32 v1, v3, s4, v1
	v_cvt_u32_f32_e32 v1, v1
.LBB348_1661:
	s_mov_b64 s[16:17], -1
	s_mov_b64 s[6:7], 0
	s_cbranch_execnz .LBB348_1672
.LBB348_1662:
	s_cmp_gt_i32 s19, 14
	s_cbranch_scc0 .LBB348_1665
; %bb.1663:
	s_cmp_eq_u32 s19, 15
	s_cbranch_scc0 .LBB348_1668
; %bb.1664:
	global_load_ushort v1, v[20:21], off
	s_mov_b64 s[0:1], 0
	s_mov_b64 s[16:17], -1
	s_waitcnt vmcnt(0)
	v_lshlrev_b32_e32 v1, 16, v1
	v_cvt_u32_f32_e32 v1, v1
	s_branch .LBB348_1669
.LBB348_1665:
	s_mov_b64 s[4:5], -1
                                        ; implicit-def: $vgpr1
	s_branch .LBB348_1670
.LBB348_1666:
	s_andn2_saveexec_b64 s[4:5], s[4:5]
	s_cbranch_execz .LBB348_1648
.LBB348_1667:
	v_cmp_ne_u16_e32 vcc, 0, v3
	s_andn2_b64 s[6:7], s[6:7], exec
	s_and_b64 s[16:17], vcc, exec
	s_or_b64 s[6:7], s[6:7], s[16:17]
	s_or_b64 exec, exec, s[4:5]
	v_mov_b32_e32 v1, 0
	s_and_saveexec_b64 s[4:5], s[6:7]
	s_cbranch_execnz .LBB348_1649
	s_branch .LBB348_1650
.LBB348_1668:
	s_mov_b64 s[0:1], -1
                                        ; implicit-def: $vgpr1
.LBB348_1669:
	s_mov_b64 s[4:5], 0
.LBB348_1670:
	s_and_b64 vcc, exec, s[4:5]
	s_cbranch_vccz .LBB348_1672
; %bb.1671:
	s_cmp_lg_u32 s19, 11
	s_mov_b64 s[6:7], -1
	s_cselect_b64 s[0:1], -1, 0
.LBB348_1672:
	s_and_b64 vcc, exec, s[0:1]
	s_mov_b64 s[4:5], s[12:13]
	s_cbranch_vccnz .LBB348_1733
; %bb.1673:
	s_andn2_b64 vcc, exec, s[6:7]
	s_cbranch_vccnz .LBB348_1675
.LBB348_1674:
	global_load_ubyte v1, v[20:21], off
	s_mov_b64 s[16:17], -1
	s_waitcnt vmcnt(0)
	v_cmp_ne_u16_e32 vcc, 0, v1
	v_cndmask_b32_e64 v1, 0, 1, vcc
.LBB348_1675:
	s_branch .LBB348_1610
.LBB348_1676:
	s_and_b32 s6, 0xffff, s18
	s_cmp_lt_i32 s6, 5
	s_cbranch_scc1 .LBB348_1681
; %bb.1677:
	s_cmp_lt_i32 s6, 8
	s_cbranch_scc1 .LBB348_1682
; %bb.1678:
	;; [unrolled: 3-line block ×3, first 2 shown]
	s_cmp_gt_i32 s6, 9
	s_cbranch_scc0 .LBB348_1684
; %bb.1680:
	global_load_dwordx2 v[22:23], v[20:21], off
	s_mov_b64 s[0:1], 0
	s_waitcnt vmcnt(0)
	v_cvt_u32_f64_e32 v1, v[22:23]
	s_branch .LBB348_1685
.LBB348_1681:
                                        ; implicit-def: $vgpr1
	s_branch .LBB348_1702
.LBB348_1682:
                                        ; implicit-def: $vgpr1
	s_branch .LBB348_1691
.LBB348_1683:
	s_mov_b64 s[0:1], -1
                                        ; implicit-def: $vgpr1
	s_branch .LBB348_1688
.LBB348_1684:
	s_mov_b64 s[0:1], -1
                                        ; implicit-def: $vgpr1
.LBB348_1685:
	s_andn2_b64 vcc, exec, s[0:1]
	s_cbranch_vccnz .LBB348_1687
; %bb.1686:
	global_load_dword v1, v[20:21], off
	s_waitcnt vmcnt(0)
	v_cvt_u32_f32_e32 v1, v1
.LBB348_1687:
	s_mov_b64 s[0:1], 0
.LBB348_1688:
	s_andn2_b64 vcc, exec, s[0:1]
	s_cbranch_vccnz .LBB348_1690
; %bb.1689:
	global_load_dword v1, v[20:21], off
	s_waitcnt vmcnt(0)
	v_cvt_f32_f16_e32 v1, v1
	v_cvt_u32_f32_e32 v1, v1
.LBB348_1690:
	s_cbranch_execnz .LBB348_1701
.LBB348_1691:
	s_cmp_lt_i32 s6, 6
	s_cbranch_scc1 .LBB348_1694
; %bb.1692:
	s_cmp_gt_i32 s6, 6
	s_cbranch_scc0 .LBB348_1695
; %bb.1693:
	global_load_dwordx2 v[22:23], v[20:21], off
	s_mov_b64 s[0:1], 0
	s_waitcnt vmcnt(0)
	v_cvt_u32_f64_e32 v1, v[22:23]
	s_branch .LBB348_1696
.LBB348_1694:
	s_mov_b64 s[0:1], -1
                                        ; implicit-def: $vgpr1
	s_branch .LBB348_1699
.LBB348_1695:
	s_mov_b64 s[0:1], -1
                                        ; implicit-def: $vgpr1
.LBB348_1696:
	s_andn2_b64 vcc, exec, s[0:1]
	s_cbranch_vccnz .LBB348_1698
; %bb.1697:
	global_load_dword v1, v[20:21], off
	s_waitcnt vmcnt(0)
	v_cvt_u32_f32_e32 v1, v1
.LBB348_1698:
	s_mov_b64 s[0:1], 0
.LBB348_1699:
	s_andn2_b64 vcc, exec, s[0:1]
	s_cbranch_vccnz .LBB348_1701
; %bb.1700:
	global_load_ushort v1, v[20:21], off
	s_waitcnt vmcnt(0)
	v_cvt_f32_f16_e32 v1, v1
	v_cvt_u32_f32_e32 v1, v1
.LBB348_1701:
	s_cbranch_execnz .LBB348_1720
.LBB348_1702:
	s_cmp_lt_i32 s6, 2
	s_cbranch_scc1 .LBB348_1706
; %bb.1703:
	s_cmp_lt_i32 s6, 3
	s_cbranch_scc1 .LBB348_1707
; %bb.1704:
	s_cmp_gt_i32 s6, 3
	s_cbranch_scc0 .LBB348_1708
; %bb.1705:
	global_load_dword v1, v[20:21], off
	s_mov_b64 s[0:1], 0
	s_branch .LBB348_1709
.LBB348_1706:
                                        ; implicit-def: $vgpr1
	s_branch .LBB348_1715
.LBB348_1707:
	s_mov_b64 s[0:1], -1
                                        ; implicit-def: $vgpr1
	s_branch .LBB348_1712
.LBB348_1708:
	s_mov_b64 s[0:1], -1
                                        ; implicit-def: $vgpr1
.LBB348_1709:
	s_andn2_b64 vcc, exec, s[0:1]
	s_cbranch_vccnz .LBB348_1711
; %bb.1710:
	global_load_dword v1, v[20:21], off
.LBB348_1711:
	s_mov_b64 s[0:1], 0
.LBB348_1712:
	s_andn2_b64 vcc, exec, s[0:1]
	s_cbranch_vccnz .LBB348_1714
; %bb.1713:
	global_load_sshort v1, v[20:21], off
.LBB348_1714:
	s_cbranch_execnz .LBB348_1720
.LBB348_1715:
	s_cmp_gt_i32 s6, 0
	s_cbranch_scc0 .LBB348_1717
; %bb.1716:
	global_load_sbyte v1, v[20:21], off
	s_mov_b64 s[0:1], 0
	s_branch .LBB348_1718
.LBB348_1717:
	s_mov_b64 s[0:1], -1
                                        ; implicit-def: $vgpr1
.LBB348_1718:
	s_andn2_b64 vcc, exec, s[0:1]
	s_cbranch_vccnz .LBB348_1720
; %bb.1719:
	global_load_ubyte v1, v[20:21], off
.LBB348_1720:
.LBB348_1721:
	s_load_dwordx2 s[0:1], s[2:3], 0x198
	s_bfe_u32 s22, s23, 0x80010
	s_cmp_lt_i32 s22, 11
	s_waitcnt vmcnt(0) lgkmcnt(0)
	v_mov_b32_e32 v3, s1
	v_add_co_u32_e32 v18, vcc, s0, v19
	v_addc_co_u32_e32 v19, vcc, 0, v3, vcc
	s_cbranch_scc1 .LBB348_1728
; %bb.1722:
	s_and_b32 s24, 0xffff, s22
	s_cmp_gt_i32 s24, 25
	s_mov_b64 s[16:17], 0
	s_cbranch_scc0 .LBB348_1730
; %bb.1723:
	s_cmp_gt_i32 s24, 28
	s_cbranch_scc0 .LBB348_1731
; %bb.1724:
	s_cmp_gt_i32 s24, 43
	;; [unrolled: 3-line block ×3, first 2 shown]
	s_cbranch_scc0 .LBB348_1734
; %bb.1726:
	s_cmp_eq_u32 s24, 46
	s_mov_b64 s[20:21], 0
	s_cbranch_scc0 .LBB348_1737
; %bb.1727:
	global_load_dword v3, v[18:19], off
	s_mov_b64 s[6:7], 0
	s_mov_b64 s[18:19], -1
	s_waitcnt vmcnt(0)
	v_lshlrev_b32_e32 v3, 16, v3
	v_cvt_u32_f32_e32 v5, v3
	s_branch .LBB348_1738
.LBB348_1728:
	s_mov_b64 s[18:19], 0
                                        ; implicit-def: $vgpr5
	s_cbranch_execnz .LBB348_1799
.LBB348_1729:
	s_andn2_b64 vcc, exec, s[18:19]
	s_cbranch_vccnz .LBB348_3036
	s_branch .LBB348_1846
.LBB348_1730:
	s_mov_b64 s[18:19], 0
	s_mov_b64 s[6:7], 0
                                        ; implicit-def: $vgpr5
	s_cbranch_execnz .LBB348_1765
	s_branch .LBB348_1795
.LBB348_1731:
	s_mov_b64 s[20:21], -1
	s_mov_b64 s[18:19], 0
	s_mov_b64 s[6:7], 0
                                        ; implicit-def: $vgpr5
	s_branch .LBB348_1748
.LBB348_1732:
	s_mov_b64 s[20:21], -1
	s_mov_b64 s[18:19], 0
	s_mov_b64 s[6:7], 0
                                        ; implicit-def: $vgpr5
	s_branch .LBB348_1743
.LBB348_1733:
	s_or_b64 s[4:5], s[12:13], exec
	s_trap 2
	s_cbranch_execz .LBB348_1674
	s_branch .LBB348_1675
.LBB348_1734:
	s_mov_b64 s[20:21], -1
	s_mov_b64 s[18:19], 0
	s_mov_b64 s[6:7], 0
                                        ; implicit-def: $vgpr5
	s_branch .LBB348_1738
.LBB348_1735:
	s_andn2_saveexec_b64 s[20:21], s[20:21]
	s_cbranch_execz .LBB348_1478
.LBB348_1736:
	v_add_f32_e32 v0, 0x42800000, v3
	v_and_b32_e32 v0, 0xff, v0
	v_cmp_ne_u32_e32 vcc, 0, v0
	s_andn2_b64 s[18:19], s[18:19], exec
	s_and_b64 s[28:29], vcc, exec
	s_or_b64 s[18:19], s[18:19], s[28:29]
	s_or_b64 exec, exec, s[20:21]
	v_mov_b32_e32 v4, 0
	s_and_saveexec_b64 s[20:21], s[18:19]
	s_cbranch_execnz .LBB348_1479
	s_branch .LBB348_1480
.LBB348_1737:
	s_mov_b64 s[6:7], -1
                                        ; implicit-def: $vgpr5
	s_mov_b64 s[18:19], 0
.LBB348_1738:
	s_and_b64 vcc, exec, s[20:21]
	s_cbranch_vccz .LBB348_1742
; %bb.1739:
	s_cmp_eq_u32 s24, 44
	s_cbranch_scc0 .LBB348_1741
; %bb.1740:
	global_load_ubyte v3, v[18:19], off
	s_mov_b64 s[6:7], 0
	s_mov_b64 s[18:19], -1
	s_waitcnt vmcnt(0)
	v_lshlrev_b32_e32 v5, 23, v3
	v_cvt_u32_f32_e32 v5, v5
	v_cmp_ne_u32_e32 vcc, 0, v3
	v_cndmask_b32_e32 v5, 0, v5, vcc
	s_branch .LBB348_1742
.LBB348_1741:
	s_mov_b64 s[6:7], -1
                                        ; implicit-def: $vgpr5
.LBB348_1742:
	s_mov_b64 s[20:21], 0
.LBB348_1743:
	s_and_b64 vcc, exec, s[20:21]
	s_cbranch_vccz .LBB348_1747
; %bb.1744:
	s_cmp_eq_u32 s24, 29
	s_cbranch_scc0 .LBB348_1746
; %bb.1745:
	global_load_dword v5, v[18:19], off
	s_mov_b64 s[6:7], 0
	s_mov_b64 s[18:19], -1
	s_branch .LBB348_1747
.LBB348_1746:
	s_mov_b64 s[6:7], -1
                                        ; implicit-def: $vgpr5
.LBB348_1747:
	s_mov_b64 s[20:21], 0
.LBB348_1748:
	s_and_b64 vcc, exec, s[20:21]
	s_cbranch_vccz .LBB348_1764
; %bb.1749:
	s_cmp_lt_i32 s24, 27
	s_cbranch_scc1 .LBB348_1752
; %bb.1750:
	s_cmp_gt_i32 s24, 27
	s_cbranch_scc0 .LBB348_1753
; %bb.1751:
	global_load_dword v5, v[18:19], off
	s_mov_b64 s[18:19], 0
	s_branch .LBB348_1754
.LBB348_1752:
	s_mov_b64 s[18:19], -1
                                        ; implicit-def: $vgpr5
	s_branch .LBB348_1757
.LBB348_1753:
	s_mov_b64 s[18:19], -1
                                        ; implicit-def: $vgpr5
.LBB348_1754:
	s_andn2_b64 vcc, exec, s[18:19]
	s_cbranch_vccnz .LBB348_1756
; %bb.1755:
	global_load_ushort v5, v[18:19], off
.LBB348_1756:
	s_mov_b64 s[18:19], 0
.LBB348_1757:
	s_andn2_b64 vcc, exec, s[18:19]
	s_cbranch_vccnz .LBB348_1763
; %bb.1758:
	global_load_ubyte v3, v[18:19], off
	s_movk_i32 s18, 0x7f
	s_mov_b64 s[20:21], 0
	s_waitcnt vmcnt(0)
	v_cmp_lt_i16_e32 vcc, s18, v3
	s_and_saveexec_b64 s[18:19], vcc
	s_xor_b64 s[18:19], exec, s[18:19]
	s_cbranch_execz .LBB348_1774
; %bb.1759:
	s_movk_i32 s20, 0x80
	v_cmp_ne_u16_e32 vcc, s20, v3
	s_and_b64 s[20:21], vcc, exec
	s_andn2_saveexec_b64 s[18:19], s[18:19]
	s_cbranch_execnz .LBB348_1775
.LBB348_1760:
	s_or_b64 exec, exec, s[18:19]
	v_mov_b32_e32 v5, 0
	s_and_saveexec_b64 s[18:19], s[20:21]
	s_cbranch_execz .LBB348_1762
.LBB348_1761:
	v_lshlrev_b32_e32 v5, 24, v3
	v_and_b32_e32 v3, 0xffff, v3
	v_and_b32_e32 v8, 7, v3
	v_ffbh_u32_e32 v12, v8
	v_min_u32_e32 v12, 32, v12
	v_subrev_u32_e32 v14, 28, v12
	v_bfe_u32 v10, v3, 3, 4
	v_lshlrev_b32_e32 v3, v14, v3
	v_sub_u32_e32 v12, 29, v12
	v_and_b32_e32 v3, 7, v3
	v_cmp_eq_u32_e32 vcc, 0, v10
	v_cndmask_b32_e32 v10, v10, v12, vcc
	v_cndmask_b32_e32 v3, v8, v3, vcc
	v_mov_b32_e32 v8, 0x3b800000
	v_lshlrev_b32_e32 v3, 20, v3
	v_and_b32_e32 v5, 0x80000000, v5
	v_lshl_add_u32 v8, v10, 23, v8
	v_or3_b32 v3, v5, v8, v3
	v_cvt_u32_f32_e32 v5, v3
.LBB348_1762:
	s_or_b64 exec, exec, s[18:19]
.LBB348_1763:
	s_mov_b64 s[18:19], -1
.LBB348_1764:
	s_branch .LBB348_1795
.LBB348_1765:
	s_cmp_gt_i32 s24, 22
	s_cbranch_scc0 .LBB348_1773
; %bb.1766:
	s_cmp_lt_i32 s24, 24
	s_cbranch_scc1 .LBB348_1776
; %bb.1767:
	s_cmp_gt_i32 s24, 24
	s_cbranch_scc0 .LBB348_1777
; %bb.1768:
	global_load_ubyte v3, v[18:19], off
	s_movk_i32 s16, 0x7f
	s_mov_b64 s[18:19], 0
	s_waitcnt vmcnt(0)
	v_cmp_lt_i16_e32 vcc, s16, v3
	s_and_saveexec_b64 s[16:17], vcc
	s_xor_b64 s[16:17], exec, s[16:17]
	s_cbranch_execz .LBB348_1789
; %bb.1769:
	s_movk_i32 s18, 0x80
	v_cmp_ne_u16_e32 vcc, s18, v3
	s_and_b64 s[18:19], vcc, exec
	s_andn2_saveexec_b64 s[16:17], s[16:17]
	s_cbranch_execnz .LBB348_1790
.LBB348_1770:
	s_or_b64 exec, exec, s[16:17]
	v_mov_b32_e32 v5, 0
	s_and_saveexec_b64 s[16:17], s[18:19]
	s_cbranch_execz .LBB348_1772
.LBB348_1771:
	v_lshlrev_b32_e32 v5, 24, v3
	v_and_b32_e32 v3, 0xffff, v3
	v_and_b32_e32 v8, 3, v3
	v_ffbh_u32_e32 v12, v8
	v_min_u32_e32 v12, 32, v12
	v_subrev_u32_e32 v14, 29, v12
	v_bfe_u32 v10, v3, 2, 5
	v_lshlrev_b32_e32 v3, v14, v3
	v_sub_u32_e32 v12, 30, v12
	v_and_b32_e32 v3, 3, v3
	v_cmp_eq_u32_e32 vcc, 0, v10
	v_cndmask_b32_e32 v10, v10, v12, vcc
	v_cndmask_b32_e32 v3, v8, v3, vcc
	v_mov_b32_e32 v8, 0x37800000
	v_lshlrev_b32_e32 v3, 21, v3
	v_and_b32_e32 v5, 0x80000000, v5
	v_lshl_add_u32 v8, v10, 23, v8
	v_or3_b32 v3, v5, v8, v3
	v_cvt_u32_f32_e32 v5, v3
.LBB348_1772:
	s_or_b64 exec, exec, s[16:17]
	s_mov_b64 s[16:17], 0
	s_branch .LBB348_1778
.LBB348_1773:
	s_mov_b64 s[16:17], -1
                                        ; implicit-def: $vgpr5
	s_branch .LBB348_1784
.LBB348_1774:
	s_andn2_saveexec_b64 s[18:19], s[18:19]
	s_cbranch_execz .LBB348_1760
.LBB348_1775:
	v_cmp_ne_u16_e32 vcc, 0, v3
	s_andn2_b64 s[20:21], s[20:21], exec
	s_and_b64 s[26:27], vcc, exec
	s_or_b64 s[20:21], s[20:21], s[26:27]
	s_or_b64 exec, exec, s[18:19]
	v_mov_b32_e32 v5, 0
	s_and_saveexec_b64 s[18:19], s[20:21]
	s_cbranch_execnz .LBB348_1761
	s_branch .LBB348_1762
.LBB348_1776:
	s_mov_b64 s[16:17], -1
                                        ; implicit-def: $vgpr5
	s_branch .LBB348_1781
.LBB348_1777:
	s_mov_b64 s[16:17], -1
                                        ; implicit-def: $vgpr5
.LBB348_1778:
	s_and_b64 vcc, exec, s[16:17]
	s_cbranch_vccz .LBB348_1780
; %bb.1779:
	global_load_ubyte v3, v[18:19], off
	s_mov_b32 s16, 0x7f800000
	s_waitcnt vmcnt(0)
	v_lshlrev_b32_e32 v3, 24, v3
	v_and_b32_e32 v5, 0x7f000000, v3
	v_ffbh_u32_e32 v8, v5
	v_min_u32_e32 v8, 32, v8
	v_sub_u32_e64 v8, v8, 4 clamp
	v_lshlrev_b32_e32 v12, v8, v5
	v_lshlrev_b32_e32 v8, 23, v8
	v_lshrrev_b32_e32 v12, 4, v12
	v_add_u32_e32 v10, 0x1000000, v5
	v_sub_u32_e32 v8, v12, v8
	v_ashrrev_i32_e32 v10, 8, v10
	v_add_u32_e32 v8, 0x3c000000, v8
	v_and_or_b32 v8, v10, s16, v8
	v_cmp_ne_u32_e32 vcc, 0, v5
	v_cndmask_b32_e32 v5, 0, v8, vcc
	s_brev_b32 s16, 1
	v_and_or_b32 v3, v3, s16, v5
	v_cvt_u32_f32_e32 v5, v3
.LBB348_1780:
	s_mov_b64 s[16:17], 0
.LBB348_1781:
	s_andn2_b64 vcc, exec, s[16:17]
	s_cbranch_vccnz .LBB348_1783
; %bb.1782:
	global_load_ubyte v3, v[18:19], off
	s_movk_i32 s16, 0x7f00
	s_brev_b32 s17, 16
	s_waitcnt vmcnt(0)
	v_lshlrev_b16_e32 v5, 8, v3
	v_lshlrev_b32_e32 v3, 25, v3
	v_lshrrev_b32_e32 v8, 4, v3
	v_and_or_b32 v10, v5, s16, 0.5
	v_or_b32_e32 v8, 0x70000000, v8
	v_add_f32_e32 v10, -0.5, v10
	v_mul_f32_e32 v8, 0x7800000, v8
	v_cmp_gt_u32_e32 vcc, s17, v3
	v_bfe_i32 v5, v5, 0, 16
	v_cndmask_b32_e32 v3, v8, v10, vcc
	s_brev_b32 s16, 1
	v_and_or_b32 v3, v5, s16, v3
	v_cvt_u32_f32_e32 v5, v3
.LBB348_1783:
	s_mov_b64 s[16:17], 0
	s_mov_b64 s[18:19], -1
.LBB348_1784:
	s_andn2_b64 vcc, exec, s[16:17]
	s_mov_b64 s[16:17], 0
	s_cbranch_vccnz .LBB348_1795
; %bb.1785:
	s_cmp_gt_i32 s24, 14
	s_cbranch_scc0 .LBB348_1788
; %bb.1786:
	s_cmp_eq_u32 s24, 15
	s_cbranch_scc0 .LBB348_1791
; %bb.1787:
	global_load_ushort v3, v[18:19], off
	s_mov_b64 s[6:7], 0
	s_mov_b64 s[18:19], -1
	s_waitcnt vmcnt(0)
	v_lshlrev_b32_e32 v3, 16, v3
	v_cvt_u32_f32_e32 v5, v3
	s_branch .LBB348_1792
.LBB348_1788:
	s_mov_b64 s[20:21], -1
                                        ; implicit-def: $vgpr5
	s_branch .LBB348_1793
.LBB348_1789:
	s_andn2_saveexec_b64 s[16:17], s[16:17]
	s_cbranch_execz .LBB348_1770
.LBB348_1790:
	v_cmp_ne_u16_e32 vcc, 0, v3
	s_andn2_b64 s[18:19], s[18:19], exec
	s_and_b64 s[20:21], vcc, exec
	s_or_b64 s[18:19], s[18:19], s[20:21]
	s_or_b64 exec, exec, s[16:17]
	v_mov_b32_e32 v5, 0
	s_and_saveexec_b64 s[16:17], s[18:19]
	s_cbranch_execnz .LBB348_1771
	s_branch .LBB348_1772
.LBB348_1791:
	s_mov_b64 s[6:7], -1
                                        ; implicit-def: $vgpr5
.LBB348_1792:
	s_mov_b64 s[20:21], 0
.LBB348_1793:
	s_and_b64 vcc, exec, s[20:21]
	s_cbranch_vccz .LBB348_1795
; %bb.1794:
	s_cmp_lg_u32 s24, 11
	s_mov_b64 s[16:17], -1
	s_cselect_b64 s[6:7], -1, 0
.LBB348_1795:
	s_and_b64 vcc, exec, s[6:7]
	s_cbranch_vccnz .LBB348_1858
; %bb.1796:
	s_andn2_b64 vcc, exec, s[16:17]
	s_cbranch_vccnz .LBB348_1798
.LBB348_1797:
	global_load_ubyte v3, v[18:19], off
	s_mov_b64 s[18:19], -1
	s_waitcnt vmcnt(0)
	v_cmp_ne_u16_e32 vcc, 0, v3
	v_cndmask_b32_e64 v5, 0, 1, vcc
.LBB348_1798:
	s_branch .LBB348_1729
.LBB348_1799:
	s_and_b32 s16, 0xffff, s22
	s_cmp_lt_i32 s16, 5
	s_cbranch_scc1 .LBB348_1804
; %bb.1800:
	s_cmp_lt_i32 s16, 8
	s_cbranch_scc1 .LBB348_1805
; %bb.1801:
	;; [unrolled: 3-line block ×3, first 2 shown]
	s_cmp_gt_i32 s16, 9
	s_cbranch_scc0 .LBB348_1807
; %bb.1803:
	global_load_dwordx2 v[20:21], v[18:19], off
	s_mov_b64 s[6:7], 0
	s_waitcnt vmcnt(0)
	v_cvt_u32_f64_e32 v5, v[20:21]
	s_branch .LBB348_1808
.LBB348_1804:
                                        ; implicit-def: $vgpr5
	s_branch .LBB348_1826
.LBB348_1805:
	s_mov_b64 s[6:7], -1
                                        ; implicit-def: $vgpr5
	s_branch .LBB348_1814
.LBB348_1806:
	s_mov_b64 s[6:7], -1
                                        ; implicit-def: $vgpr5
	s_branch .LBB348_1811
.LBB348_1807:
	s_mov_b64 s[6:7], -1
                                        ; implicit-def: $vgpr5
.LBB348_1808:
	s_andn2_b64 vcc, exec, s[6:7]
	s_cbranch_vccnz .LBB348_1810
; %bb.1809:
	global_load_dword v3, v[18:19], off
	s_waitcnt vmcnt(0)
	v_cvt_u32_f32_e32 v5, v3
.LBB348_1810:
	s_mov_b64 s[6:7], 0
.LBB348_1811:
	s_andn2_b64 vcc, exec, s[6:7]
	s_cbranch_vccnz .LBB348_1813
; %bb.1812:
	global_load_dword v3, v[18:19], off
	s_waitcnt vmcnt(0)
	v_cvt_f32_f16_e32 v3, v3
	v_cvt_u32_f32_e32 v5, v3
.LBB348_1813:
	s_mov_b64 s[6:7], 0
.LBB348_1814:
	s_andn2_b64 vcc, exec, s[6:7]
	s_cbranch_vccnz .LBB348_1825
; %bb.1815:
	s_cmp_lt_i32 s16, 6
	s_cbranch_scc1 .LBB348_1818
; %bb.1816:
	s_cmp_gt_i32 s16, 6
	s_cbranch_scc0 .LBB348_1819
; %bb.1817:
	global_load_dwordx2 v[20:21], v[18:19], off
	s_mov_b64 s[6:7], 0
	s_waitcnt vmcnt(0)
	v_cvt_u32_f64_e32 v5, v[20:21]
	s_branch .LBB348_1820
.LBB348_1818:
	s_mov_b64 s[6:7], -1
                                        ; implicit-def: $vgpr5
	s_branch .LBB348_1823
.LBB348_1819:
	s_mov_b64 s[6:7], -1
                                        ; implicit-def: $vgpr5
.LBB348_1820:
	s_andn2_b64 vcc, exec, s[6:7]
	s_cbranch_vccnz .LBB348_1822
; %bb.1821:
	global_load_dword v3, v[18:19], off
	s_waitcnt vmcnt(0)
	v_cvt_u32_f32_e32 v5, v3
.LBB348_1822:
	s_mov_b64 s[6:7], 0
.LBB348_1823:
	s_andn2_b64 vcc, exec, s[6:7]
	s_cbranch_vccnz .LBB348_1825
; %bb.1824:
	global_load_ushort v3, v[18:19], off
	s_waitcnt vmcnt(0)
	v_cvt_f32_f16_e32 v3, v3
	v_cvt_u32_f32_e32 v5, v3
.LBB348_1825:
	s_cbranch_execnz .LBB348_1845
.LBB348_1826:
	s_cmp_lt_i32 s16, 2
	s_cbranch_scc1 .LBB348_1830
; %bb.1827:
	s_cmp_lt_i32 s16, 3
	s_cbranch_scc1 .LBB348_1831
; %bb.1828:
	s_cmp_gt_i32 s16, 3
	s_cbranch_scc0 .LBB348_1832
; %bb.1829:
	global_load_dword v5, v[18:19], off
	s_mov_b64 s[6:7], 0
	s_branch .LBB348_1833
.LBB348_1830:
	s_mov_b64 s[6:7], -1
                                        ; implicit-def: $vgpr5
	s_branch .LBB348_1839
.LBB348_1831:
	s_mov_b64 s[6:7], -1
                                        ; implicit-def: $vgpr5
	s_branch .LBB348_1836
.LBB348_1832:
	s_mov_b64 s[6:7], -1
                                        ; implicit-def: $vgpr5
.LBB348_1833:
	s_andn2_b64 vcc, exec, s[6:7]
	s_cbranch_vccnz .LBB348_1835
; %bb.1834:
	global_load_dword v5, v[18:19], off
.LBB348_1835:
	s_mov_b64 s[6:7], 0
.LBB348_1836:
	s_andn2_b64 vcc, exec, s[6:7]
	s_cbranch_vccnz .LBB348_1838
; %bb.1837:
	global_load_sshort v5, v[18:19], off
.LBB348_1838:
	s_mov_b64 s[6:7], 0
.LBB348_1839:
	s_andn2_b64 vcc, exec, s[6:7]
	s_cbranch_vccnz .LBB348_1845
; %bb.1840:
	s_cmp_gt_i32 s16, 0
	s_cbranch_scc0 .LBB348_1842
; %bb.1841:
	global_load_sbyte v5, v[18:19], off
	s_mov_b64 s[6:7], 0
	s_branch .LBB348_1843
.LBB348_1842:
	s_mov_b64 s[6:7], -1
                                        ; implicit-def: $vgpr5
.LBB348_1843:
	s_andn2_b64 vcc, exec, s[6:7]
	s_cbranch_vccnz .LBB348_1845
; %bb.1844:
	global_load_ubyte v5, v[18:19], off
.LBB348_1845:
.LBB348_1846:
	s_lshr_b32 s6, s23, 8
	v_mov_b32_e32 v3, s11
	s_and_b32 s22, s6, 0xff
	v_add_co_u32_e32 v16, vcc, s10, v17
	s_cmp_lt_i32 s22, 11
	v_addc_co_u32_e32 v17, vcc, 0, v3, vcc
	s_cbranch_scc1 .LBB348_1853
; %bb.1847:
	s_and_b32 s24, 0xffff, s22
	s_cmp_gt_i32 s24, 25
	s_mov_b64 s[16:17], 0
	s_cbranch_scc0 .LBB348_1855
; %bb.1848:
	s_cmp_gt_i32 s24, 28
	s_cbranch_scc0 .LBB348_1856
; %bb.1849:
	s_cmp_gt_i32 s24, 43
	;; [unrolled: 3-line block ×3, first 2 shown]
	s_cbranch_scc0 .LBB348_1859
; %bb.1851:
	s_cmp_eq_u32 s24, 46
	s_mov_b64 s[20:21], 0
	s_cbranch_scc0 .LBB348_1860
; %bb.1852:
	global_load_dword v3, v[16:17], off
	s_mov_b64 s[6:7], 0
	s_mov_b64 s[18:19], -1
	s_waitcnt vmcnt(0)
	v_lshlrev_b32_e32 v3, 16, v3
	v_cvt_u32_f32_e32 v3, v3
	s_branch .LBB348_1861
.LBB348_1853:
	s_mov_b64 s[18:19], 0
                                        ; implicit-def: $vgpr3
	s_cbranch_execnz .LBB348_1923
.LBB348_1854:
	s_andn2_b64 vcc, exec, s[18:19]
	s_cbranch_vccnz .LBB348_3036
	s_branch .LBB348_1971
.LBB348_1855:
	s_mov_b64 s[20:21], -1
	s_mov_b64 s[18:19], 0
	s_mov_b64 s[6:7], 0
                                        ; implicit-def: $vgpr3
	s_branch .LBB348_1888
.LBB348_1856:
	s_mov_b64 s[20:21], -1
	s_mov_b64 s[18:19], 0
	s_mov_b64 s[6:7], 0
                                        ; implicit-def: $vgpr3
	s_branch .LBB348_1871
.LBB348_1857:
	s_mov_b64 s[20:21], -1
	s_mov_b64 s[18:19], 0
	s_mov_b64 s[6:7], 0
                                        ; implicit-def: $vgpr3
	s_branch .LBB348_1866
.LBB348_1858:
	s_trap 2
	s_or_b64 s[4:5], s[4:5], exec
	s_cbranch_execz .LBB348_1797
	s_branch .LBB348_1798
.LBB348_1859:
	s_mov_b64 s[20:21], -1
	s_mov_b64 s[18:19], 0
	s_mov_b64 s[6:7], 0
                                        ; implicit-def: $vgpr3
	s_branch .LBB348_1861
.LBB348_1860:
	s_mov_b64 s[6:7], -1
                                        ; implicit-def: $vgpr3
	s_mov_b64 s[18:19], 0
.LBB348_1861:
	s_and_b64 vcc, exec, s[20:21]
	s_cbranch_vccz .LBB348_1865
; %bb.1862:
	s_cmp_eq_u32 s24, 44
	s_cbranch_scc0 .LBB348_1864
; %bb.1863:
	global_load_ubyte v3, v[16:17], off
	s_mov_b64 s[6:7], 0
	s_mov_b64 s[18:19], -1
	s_waitcnt vmcnt(0)
	v_lshlrev_b32_e32 v8, 23, v3
	v_cvt_u32_f32_e32 v8, v8
	v_cmp_ne_u32_e32 vcc, 0, v3
	v_cndmask_b32_e32 v3, 0, v8, vcc
	s_branch .LBB348_1865
.LBB348_1864:
	s_mov_b64 s[6:7], -1
                                        ; implicit-def: $vgpr3
.LBB348_1865:
	s_mov_b64 s[20:21], 0
.LBB348_1866:
	s_and_b64 vcc, exec, s[20:21]
	s_cbranch_vccz .LBB348_1870
; %bb.1867:
	s_cmp_eq_u32 s24, 29
	s_cbranch_scc0 .LBB348_1869
; %bb.1868:
	global_load_dword v3, v[16:17], off
	s_mov_b64 s[6:7], 0
	s_mov_b64 s[18:19], -1
	s_branch .LBB348_1870
.LBB348_1869:
	s_mov_b64 s[6:7], -1
                                        ; implicit-def: $vgpr3
.LBB348_1870:
	s_mov_b64 s[20:21], 0
.LBB348_1871:
	s_and_b64 vcc, exec, s[20:21]
	s_cbranch_vccz .LBB348_1887
; %bb.1872:
	s_cmp_lt_i32 s24, 27
	s_cbranch_scc1 .LBB348_1875
; %bb.1873:
	s_cmp_gt_i32 s24, 27
	s_cbranch_scc0 .LBB348_1876
; %bb.1874:
	global_load_dword v3, v[16:17], off
	s_mov_b64 s[18:19], 0
	s_branch .LBB348_1877
.LBB348_1875:
	s_mov_b64 s[18:19], -1
                                        ; implicit-def: $vgpr3
	s_branch .LBB348_1880
.LBB348_1876:
	s_mov_b64 s[18:19], -1
                                        ; implicit-def: $vgpr3
.LBB348_1877:
	s_andn2_b64 vcc, exec, s[18:19]
	s_cbranch_vccnz .LBB348_1879
; %bb.1878:
	global_load_ushort v3, v[16:17], off
.LBB348_1879:
	s_mov_b64 s[18:19], 0
.LBB348_1880:
	s_andn2_b64 vcc, exec, s[18:19]
	s_cbranch_vccnz .LBB348_1886
; %bb.1881:
	global_load_ubyte v8, v[16:17], off
	s_movk_i32 s18, 0x7f
	s_mov_b64 s[20:21], 0
	s_waitcnt vmcnt(0)
	v_cmp_lt_i16_e32 vcc, s18, v8
	s_and_saveexec_b64 s[18:19], vcc
	s_xor_b64 s[18:19], exec, s[18:19]
	s_cbranch_execz .LBB348_1898
; %bb.1882:
	s_movk_i32 s20, 0x80
	v_cmp_ne_u16_e32 vcc, s20, v8
	s_and_b64 s[20:21], vcc, exec
	s_andn2_saveexec_b64 s[18:19], s[18:19]
	s_cbranch_execnz .LBB348_1899
.LBB348_1883:
	s_or_b64 exec, exec, s[18:19]
	v_mov_b32_e32 v3, 0
	s_and_saveexec_b64 s[18:19], s[20:21]
	s_cbranch_execz .LBB348_1885
.LBB348_1884:
	v_lshlrev_b32_e32 v3, 24, v8
	v_and_b32_e32 v8, 0xffff, v8
	v_and_b32_e32 v10, 7, v8
	v_ffbh_u32_e32 v14, v10
	v_min_u32_e32 v14, 32, v14
	v_subrev_u32_e32 v18, 28, v14
	v_bfe_u32 v12, v8, 3, 4
	v_lshlrev_b32_e32 v8, v18, v8
	v_sub_u32_e32 v14, 29, v14
	v_and_b32_e32 v8, 7, v8
	v_cmp_eq_u32_e32 vcc, 0, v12
	v_cndmask_b32_e32 v12, v12, v14, vcc
	v_cndmask_b32_e32 v8, v10, v8, vcc
	v_mov_b32_e32 v10, 0x3b800000
	v_lshlrev_b32_e32 v8, 20, v8
	v_and_b32_e32 v3, 0x80000000, v3
	v_lshl_add_u32 v10, v12, 23, v10
	v_or3_b32 v3, v3, v10, v8
	v_cvt_u32_f32_e32 v3, v3
.LBB348_1885:
	s_or_b64 exec, exec, s[18:19]
.LBB348_1886:
	s_mov_b64 s[18:19], -1
.LBB348_1887:
	s_mov_b64 s[20:21], 0
.LBB348_1888:
	s_and_b64 vcc, exec, s[20:21]
	s_cbranch_vccz .LBB348_1919
; %bb.1889:
	s_cmp_gt_i32 s24, 22
	s_cbranch_scc0 .LBB348_1897
; %bb.1890:
	s_cmp_lt_i32 s24, 24
	s_cbranch_scc1 .LBB348_1900
; %bb.1891:
	s_cmp_gt_i32 s24, 24
	s_cbranch_scc0 .LBB348_1901
; %bb.1892:
	global_load_ubyte v8, v[16:17], off
	s_movk_i32 s16, 0x7f
	s_mov_b64 s[18:19], 0
	s_waitcnt vmcnt(0)
	v_cmp_lt_i16_e32 vcc, s16, v8
	s_and_saveexec_b64 s[16:17], vcc
	s_xor_b64 s[16:17], exec, s[16:17]
	s_cbranch_execz .LBB348_1913
; %bb.1893:
	s_movk_i32 s18, 0x80
	v_cmp_ne_u16_e32 vcc, s18, v8
	s_and_b64 s[18:19], vcc, exec
	s_andn2_saveexec_b64 s[16:17], s[16:17]
	s_cbranch_execnz .LBB348_1914
.LBB348_1894:
	s_or_b64 exec, exec, s[16:17]
	v_mov_b32_e32 v3, 0
	s_and_saveexec_b64 s[16:17], s[18:19]
	s_cbranch_execz .LBB348_1896
.LBB348_1895:
	v_lshlrev_b32_e32 v3, 24, v8
	v_and_b32_e32 v8, 0xffff, v8
	v_and_b32_e32 v10, 3, v8
	v_ffbh_u32_e32 v14, v10
	v_min_u32_e32 v14, 32, v14
	v_subrev_u32_e32 v18, 29, v14
	v_bfe_u32 v12, v8, 2, 5
	v_lshlrev_b32_e32 v8, v18, v8
	v_sub_u32_e32 v14, 30, v14
	v_and_b32_e32 v8, 3, v8
	v_cmp_eq_u32_e32 vcc, 0, v12
	v_cndmask_b32_e32 v12, v12, v14, vcc
	v_cndmask_b32_e32 v8, v10, v8, vcc
	v_mov_b32_e32 v10, 0x37800000
	v_lshlrev_b32_e32 v8, 21, v8
	v_and_b32_e32 v3, 0x80000000, v3
	v_lshl_add_u32 v10, v12, 23, v10
	v_or3_b32 v3, v3, v10, v8
	v_cvt_u32_f32_e32 v3, v3
.LBB348_1896:
	s_or_b64 exec, exec, s[16:17]
	s_mov_b64 s[16:17], 0
	s_branch .LBB348_1902
.LBB348_1897:
	s_mov_b64 s[16:17], -1
                                        ; implicit-def: $vgpr3
	s_branch .LBB348_1908
.LBB348_1898:
	s_andn2_saveexec_b64 s[18:19], s[18:19]
	s_cbranch_execz .LBB348_1883
.LBB348_1899:
	v_cmp_ne_u16_e32 vcc, 0, v8
	s_andn2_b64 s[20:21], s[20:21], exec
	s_and_b64 s[26:27], vcc, exec
	s_or_b64 s[20:21], s[20:21], s[26:27]
	s_or_b64 exec, exec, s[18:19]
	v_mov_b32_e32 v3, 0
	s_and_saveexec_b64 s[18:19], s[20:21]
	s_cbranch_execnz .LBB348_1884
	s_branch .LBB348_1885
.LBB348_1900:
	s_mov_b64 s[16:17], -1
                                        ; implicit-def: $vgpr3
	s_branch .LBB348_1905
.LBB348_1901:
	s_mov_b64 s[16:17], -1
                                        ; implicit-def: $vgpr3
.LBB348_1902:
	s_and_b64 vcc, exec, s[16:17]
	s_cbranch_vccz .LBB348_1904
; %bb.1903:
	global_load_ubyte v3, v[16:17], off
	s_mov_b32 s16, 0x7f800000
	s_waitcnt vmcnt(0)
	v_lshlrev_b32_e32 v3, 24, v3
	v_and_b32_e32 v8, 0x7f000000, v3
	v_ffbh_u32_e32 v10, v8
	v_min_u32_e32 v10, 32, v10
	v_sub_u32_e64 v10, v10, 4 clamp
	v_lshlrev_b32_e32 v14, v10, v8
	v_lshlrev_b32_e32 v10, 23, v10
	v_lshrrev_b32_e32 v14, 4, v14
	v_add_u32_e32 v12, 0x1000000, v8
	v_sub_u32_e32 v10, v14, v10
	v_ashrrev_i32_e32 v12, 8, v12
	v_add_u32_e32 v10, 0x3c000000, v10
	v_and_or_b32 v10, v12, s16, v10
	v_cmp_ne_u32_e32 vcc, 0, v8
	v_cndmask_b32_e32 v8, 0, v10, vcc
	s_brev_b32 s16, 1
	v_and_or_b32 v3, v3, s16, v8
	v_cvt_u32_f32_e32 v3, v3
.LBB348_1904:
	s_mov_b64 s[16:17], 0
.LBB348_1905:
	s_andn2_b64 vcc, exec, s[16:17]
	s_cbranch_vccnz .LBB348_1907
; %bb.1906:
	global_load_ubyte v3, v[16:17], off
	s_movk_i32 s16, 0x7f00
	s_brev_b32 s17, 16
	s_waitcnt vmcnt(0)
	v_lshlrev_b16_e32 v8, 8, v3
	v_lshlrev_b32_e32 v3, 25, v3
	v_lshrrev_b32_e32 v10, 4, v3
	v_and_or_b32 v12, v8, s16, 0.5
	v_or_b32_e32 v10, 0x70000000, v10
	v_add_f32_e32 v12, -0.5, v12
	v_mul_f32_e32 v10, 0x7800000, v10
	v_cmp_gt_u32_e32 vcc, s17, v3
	v_bfe_i32 v8, v8, 0, 16
	v_cndmask_b32_e32 v3, v10, v12, vcc
	s_brev_b32 s16, 1
	v_and_or_b32 v3, v8, s16, v3
	v_cvt_u32_f32_e32 v3, v3
.LBB348_1907:
	s_mov_b64 s[16:17], 0
	s_mov_b64 s[18:19], -1
.LBB348_1908:
	s_andn2_b64 vcc, exec, s[16:17]
	s_mov_b64 s[16:17], 0
	s_cbranch_vccnz .LBB348_1919
; %bb.1909:
	s_cmp_gt_i32 s24, 14
	s_cbranch_scc0 .LBB348_1912
; %bb.1910:
	s_cmp_eq_u32 s24, 15
	s_cbranch_scc0 .LBB348_1915
; %bb.1911:
	global_load_ushort v3, v[16:17], off
	s_mov_b64 s[6:7], 0
	s_mov_b64 s[18:19], -1
	s_waitcnt vmcnt(0)
	v_lshlrev_b32_e32 v3, 16, v3
	v_cvt_u32_f32_e32 v3, v3
	s_branch .LBB348_1916
.LBB348_1912:
	s_mov_b64 s[20:21], -1
                                        ; implicit-def: $vgpr3
	s_branch .LBB348_1917
.LBB348_1913:
	s_andn2_saveexec_b64 s[16:17], s[16:17]
	s_cbranch_execz .LBB348_1894
.LBB348_1914:
	v_cmp_ne_u16_e32 vcc, 0, v8
	s_andn2_b64 s[18:19], s[18:19], exec
	s_and_b64 s[20:21], vcc, exec
	s_or_b64 s[18:19], s[18:19], s[20:21]
	s_or_b64 exec, exec, s[16:17]
	v_mov_b32_e32 v3, 0
	s_and_saveexec_b64 s[16:17], s[18:19]
	s_cbranch_execnz .LBB348_1895
	s_branch .LBB348_1896
.LBB348_1915:
	s_mov_b64 s[6:7], -1
                                        ; implicit-def: $vgpr3
.LBB348_1916:
	s_mov_b64 s[20:21], 0
.LBB348_1917:
	s_and_b64 vcc, exec, s[20:21]
	s_cbranch_vccz .LBB348_1919
; %bb.1918:
	s_cmp_lg_u32 s24, 11
	s_mov_b64 s[16:17], -1
	s_cselect_b64 s[6:7], -1, 0
.LBB348_1919:
	s_and_b64 vcc, exec, s[6:7]
	s_cbranch_vccnz .LBB348_1982
; %bb.1920:
	s_andn2_b64 vcc, exec, s[16:17]
	s_cbranch_vccnz .LBB348_1922
.LBB348_1921:
	global_load_ubyte v3, v[16:17], off
	s_mov_b64 s[18:19], -1
	s_waitcnt vmcnt(0)
	v_cmp_ne_u16_e32 vcc, 0, v3
	v_cndmask_b32_e64 v3, 0, 1, vcc
.LBB348_1922:
	s_branch .LBB348_1854
.LBB348_1923:
	s_and_b32 s16, 0xffff, s22
	s_cmp_lt_i32 s16, 5
	s_cbranch_scc1 .LBB348_1928
; %bb.1924:
	s_cmp_lt_i32 s16, 8
	s_cbranch_scc1 .LBB348_1929
; %bb.1925:
	;; [unrolled: 3-line block ×3, first 2 shown]
	s_cmp_gt_i32 s16, 9
	s_cbranch_scc0 .LBB348_1931
; %bb.1927:
	global_load_dwordx2 v[18:19], v[16:17], off
	s_mov_b64 s[6:7], 0
	s_waitcnt vmcnt(0)
	v_cvt_u32_f64_e32 v3, v[18:19]
	s_branch .LBB348_1932
.LBB348_1928:
	s_mov_b64 s[6:7], -1
                                        ; implicit-def: $vgpr3
	s_branch .LBB348_1950
.LBB348_1929:
	s_mov_b64 s[6:7], -1
                                        ; implicit-def: $vgpr3
	s_branch .LBB348_1938
.LBB348_1930:
	s_mov_b64 s[6:7], -1
                                        ; implicit-def: $vgpr3
	s_branch .LBB348_1935
.LBB348_1931:
	s_mov_b64 s[6:7], -1
                                        ; implicit-def: $vgpr3
.LBB348_1932:
	s_andn2_b64 vcc, exec, s[6:7]
	s_cbranch_vccnz .LBB348_1934
; %bb.1933:
	global_load_dword v3, v[16:17], off
	s_waitcnt vmcnt(0)
	v_cvt_u32_f32_e32 v3, v3
.LBB348_1934:
	s_mov_b64 s[6:7], 0
.LBB348_1935:
	s_andn2_b64 vcc, exec, s[6:7]
	s_cbranch_vccnz .LBB348_1937
; %bb.1936:
	global_load_dword v3, v[16:17], off
	s_waitcnt vmcnt(0)
	v_cvt_f32_f16_e32 v3, v3
	v_cvt_u32_f32_e32 v3, v3
.LBB348_1937:
	s_mov_b64 s[6:7], 0
.LBB348_1938:
	s_andn2_b64 vcc, exec, s[6:7]
	s_cbranch_vccnz .LBB348_1949
; %bb.1939:
	s_cmp_lt_i32 s16, 6
	s_cbranch_scc1 .LBB348_1942
; %bb.1940:
	s_cmp_gt_i32 s16, 6
	s_cbranch_scc0 .LBB348_1943
; %bb.1941:
	global_load_dwordx2 v[18:19], v[16:17], off
	s_mov_b64 s[6:7], 0
	s_waitcnt vmcnt(0)
	v_cvt_u32_f64_e32 v3, v[18:19]
	s_branch .LBB348_1944
.LBB348_1942:
	s_mov_b64 s[6:7], -1
                                        ; implicit-def: $vgpr3
	s_branch .LBB348_1947
.LBB348_1943:
	s_mov_b64 s[6:7], -1
                                        ; implicit-def: $vgpr3
.LBB348_1944:
	s_andn2_b64 vcc, exec, s[6:7]
	s_cbranch_vccnz .LBB348_1946
; %bb.1945:
	global_load_dword v3, v[16:17], off
	s_waitcnt vmcnt(0)
	v_cvt_u32_f32_e32 v3, v3
.LBB348_1946:
	s_mov_b64 s[6:7], 0
.LBB348_1947:
	s_andn2_b64 vcc, exec, s[6:7]
	s_cbranch_vccnz .LBB348_1949
; %bb.1948:
	global_load_ushort v3, v[16:17], off
	s_waitcnt vmcnt(0)
	v_cvt_f32_f16_e32 v3, v3
	v_cvt_u32_f32_e32 v3, v3
.LBB348_1949:
	s_mov_b64 s[6:7], 0
.LBB348_1950:
	s_andn2_b64 vcc, exec, s[6:7]
	s_cbranch_vccnz .LBB348_1970
; %bb.1951:
	s_cmp_lt_i32 s16, 2
	s_cbranch_scc1 .LBB348_1955
; %bb.1952:
	s_cmp_lt_i32 s16, 3
	s_cbranch_scc1 .LBB348_1956
; %bb.1953:
	s_cmp_gt_i32 s16, 3
	s_cbranch_scc0 .LBB348_1957
; %bb.1954:
	global_load_dword v3, v[16:17], off
	s_mov_b64 s[6:7], 0
	s_branch .LBB348_1958
.LBB348_1955:
	s_mov_b64 s[6:7], -1
                                        ; implicit-def: $vgpr3
	s_branch .LBB348_1964
.LBB348_1956:
	s_mov_b64 s[6:7], -1
                                        ; implicit-def: $vgpr3
	s_branch .LBB348_1961
.LBB348_1957:
	s_mov_b64 s[6:7], -1
                                        ; implicit-def: $vgpr3
.LBB348_1958:
	s_andn2_b64 vcc, exec, s[6:7]
	s_cbranch_vccnz .LBB348_1960
; %bb.1959:
	global_load_dword v3, v[16:17], off
.LBB348_1960:
	s_mov_b64 s[6:7], 0
.LBB348_1961:
	s_andn2_b64 vcc, exec, s[6:7]
	s_cbranch_vccnz .LBB348_1963
; %bb.1962:
	global_load_sshort v3, v[16:17], off
.LBB348_1963:
	s_mov_b64 s[6:7], 0
.LBB348_1964:
	s_andn2_b64 vcc, exec, s[6:7]
	s_cbranch_vccnz .LBB348_1970
; %bb.1965:
	s_cmp_gt_i32 s16, 0
	s_cbranch_scc0 .LBB348_1967
; %bb.1966:
	global_load_sbyte v3, v[16:17], off
	s_mov_b64 s[6:7], 0
	s_branch .LBB348_1968
.LBB348_1967:
	s_mov_b64 s[6:7], -1
                                        ; implicit-def: $vgpr3
.LBB348_1968:
	s_andn2_b64 vcc, exec, s[6:7]
	s_cbranch_vccnz .LBB348_1970
; %bb.1969:
	global_load_ubyte v3, v[16:17], off
.LBB348_1970:
.LBB348_1971:
	s_lshr_b32 s6, s23, 16
	v_mov_b32_e32 v8, s1
	s_and_b32 s23, s6, 0xff
	v_add_co_u32_e32 v14, vcc, s0, v15
	s_cmp_lt_i32 s23, 11
	v_addc_co_u32_e32 v15, vcc, 0, v8, vcc
	s_cbranch_scc1 .LBB348_1978
; %bb.1972:
	s_and_b32 s24, 0xffff, s23
	s_cmp_gt_i32 s24, 25
	s_mov_b64 s[16:17], 0
	s_cbranch_scc0 .LBB348_1979
; %bb.1973:
	s_cmp_gt_i32 s24, 28
	s_cbranch_scc0 .LBB348_1980
; %bb.1974:
	s_cmp_gt_i32 s24, 43
	;; [unrolled: 3-line block ×3, first 2 shown]
	s_cbranch_scc0 .LBB348_1983
; %bb.1976:
	s_cmp_eq_u32 s24, 46
	s_mov_b64 s[20:21], 0
	s_cbranch_scc0 .LBB348_1984
; %bb.1977:
	global_load_dword v8, v[14:15], off
	s_mov_b64 s[6:7], 0
	s_mov_b64 s[18:19], -1
	s_waitcnt vmcnt(0)
	v_lshlrev_b32_e32 v8, 16, v8
	v_cvt_u32_f32_e32 v16, v8
	s_branch .LBB348_1985
.LBB348_1978:
	s_mov_b64 s[6:7], -1
	s_mov_b64 s[18:19], 0
                                        ; implicit-def: $vgpr16
	s_branch .LBB348_2047
.LBB348_1979:
	s_mov_b64 s[20:21], -1
	s_mov_b64 s[18:19], 0
	s_mov_b64 s[6:7], 0
                                        ; implicit-def: $vgpr16
	s_branch .LBB348_2012
.LBB348_1980:
	s_mov_b64 s[20:21], -1
	s_mov_b64 s[18:19], 0
	s_mov_b64 s[6:7], 0
                                        ; implicit-def: $vgpr16
	s_branch .LBB348_1995
.LBB348_1981:
	s_mov_b64 s[20:21], -1
	s_mov_b64 s[18:19], 0
	s_mov_b64 s[6:7], 0
                                        ; implicit-def: $vgpr16
	s_branch .LBB348_1990
.LBB348_1982:
	s_trap 2
	s_or_b64 s[4:5], s[4:5], exec
	s_cbranch_execz .LBB348_1921
	s_branch .LBB348_1922
.LBB348_1983:
	s_mov_b64 s[20:21], -1
	s_mov_b64 s[18:19], 0
	s_mov_b64 s[6:7], 0
                                        ; implicit-def: $vgpr16
	s_branch .LBB348_1985
.LBB348_1984:
	s_mov_b64 s[6:7], -1
                                        ; implicit-def: $vgpr16
	s_mov_b64 s[18:19], 0
.LBB348_1985:
	s_and_b64 vcc, exec, s[20:21]
	s_cbranch_vccz .LBB348_1989
; %bb.1986:
	s_cmp_eq_u32 s24, 44
	s_cbranch_scc0 .LBB348_1988
; %bb.1987:
	global_load_ubyte v8, v[14:15], off
	s_mov_b64 s[6:7], 0
	s_mov_b64 s[18:19], -1
	s_waitcnt vmcnt(0)
	v_lshlrev_b32_e32 v10, 23, v8
	v_cvt_u32_f32_e32 v10, v10
	v_cmp_ne_u32_e32 vcc, 0, v8
	v_cndmask_b32_e32 v16, 0, v10, vcc
	s_branch .LBB348_1989
.LBB348_1988:
	s_mov_b64 s[6:7], -1
                                        ; implicit-def: $vgpr16
.LBB348_1989:
	s_mov_b64 s[20:21], 0
.LBB348_1990:
	s_and_b64 vcc, exec, s[20:21]
	s_cbranch_vccz .LBB348_1994
; %bb.1991:
	s_cmp_eq_u32 s24, 29
	s_cbranch_scc0 .LBB348_1993
; %bb.1992:
	global_load_dword v16, v[14:15], off
	s_mov_b64 s[6:7], 0
	s_mov_b64 s[18:19], -1
	s_branch .LBB348_1994
.LBB348_1993:
	s_mov_b64 s[6:7], -1
                                        ; implicit-def: $vgpr16
.LBB348_1994:
	s_mov_b64 s[20:21], 0
.LBB348_1995:
	s_and_b64 vcc, exec, s[20:21]
	s_cbranch_vccz .LBB348_2011
; %bb.1996:
	s_cmp_lt_i32 s24, 27
	s_cbranch_scc1 .LBB348_1999
; %bb.1997:
	s_cmp_gt_i32 s24, 27
	s_cbranch_scc0 .LBB348_2000
; %bb.1998:
	global_load_dword v16, v[14:15], off
	s_mov_b64 s[18:19], 0
	s_branch .LBB348_2001
.LBB348_1999:
	s_mov_b64 s[18:19], -1
                                        ; implicit-def: $vgpr16
	s_branch .LBB348_2004
.LBB348_2000:
	s_mov_b64 s[18:19], -1
                                        ; implicit-def: $vgpr16
.LBB348_2001:
	s_andn2_b64 vcc, exec, s[18:19]
	s_cbranch_vccnz .LBB348_2003
; %bb.2002:
	global_load_ushort v16, v[14:15], off
.LBB348_2003:
	s_mov_b64 s[18:19], 0
.LBB348_2004:
	s_andn2_b64 vcc, exec, s[18:19]
	s_cbranch_vccnz .LBB348_2010
; %bb.2005:
	global_load_ubyte v8, v[14:15], off
	s_movk_i32 s18, 0x7f
	s_mov_b64 s[20:21], 0
	s_waitcnt vmcnt(0)
	v_cmp_lt_i16_e32 vcc, s18, v8
	s_and_saveexec_b64 s[18:19], vcc
	s_xor_b64 s[18:19], exec, s[18:19]
	s_cbranch_execz .LBB348_2022
; %bb.2006:
	s_movk_i32 s20, 0x80
	v_cmp_ne_u16_e32 vcc, s20, v8
	s_and_b64 s[20:21], vcc, exec
	s_andn2_saveexec_b64 s[18:19], s[18:19]
	s_cbranch_execnz .LBB348_2023
.LBB348_2007:
	s_or_b64 exec, exec, s[18:19]
	v_mov_b32_e32 v16, 0
	s_and_saveexec_b64 s[18:19], s[20:21]
	s_cbranch_execz .LBB348_2009
.LBB348_2008:
	v_lshlrev_b32_e32 v10, 24, v8
	v_and_b32_e32 v8, 0xffff, v8
	v_and_b32_e32 v12, 7, v8
	v_ffbh_u32_e32 v17, v12
	v_min_u32_e32 v17, 32, v17
	v_subrev_u32_e32 v18, 28, v17
	v_bfe_u32 v16, v8, 3, 4
	v_lshlrev_b32_e32 v8, v18, v8
	v_sub_u32_e32 v17, 29, v17
	v_and_b32_e32 v8, 7, v8
	v_cmp_eq_u32_e32 vcc, 0, v16
	v_cndmask_b32_e32 v16, v16, v17, vcc
	v_cndmask_b32_e32 v8, v12, v8, vcc
	v_mov_b32_e32 v12, 0x3b800000
	v_lshlrev_b32_e32 v8, 20, v8
	v_and_b32_e32 v10, 0x80000000, v10
	v_lshl_add_u32 v12, v16, 23, v12
	v_or3_b32 v8, v10, v12, v8
	v_cvt_u32_f32_e32 v16, v8
.LBB348_2009:
	s_or_b64 exec, exec, s[18:19]
.LBB348_2010:
	s_mov_b64 s[18:19], -1
.LBB348_2011:
	s_mov_b64 s[20:21], 0
.LBB348_2012:
	s_and_b64 vcc, exec, s[20:21]
	s_cbranch_vccz .LBB348_2043
; %bb.2013:
	s_cmp_gt_i32 s24, 22
	s_cbranch_scc0 .LBB348_2021
; %bb.2014:
	s_cmp_lt_i32 s24, 24
	s_cbranch_scc1 .LBB348_2024
; %bb.2015:
	s_cmp_gt_i32 s24, 24
	s_cbranch_scc0 .LBB348_2025
; %bb.2016:
	global_load_ubyte v8, v[14:15], off
	s_movk_i32 s16, 0x7f
	s_mov_b64 s[18:19], 0
	s_waitcnt vmcnt(0)
	v_cmp_lt_i16_e32 vcc, s16, v8
	s_and_saveexec_b64 s[16:17], vcc
	s_xor_b64 s[16:17], exec, s[16:17]
	s_cbranch_execz .LBB348_2037
; %bb.2017:
	s_movk_i32 s18, 0x80
	v_cmp_ne_u16_e32 vcc, s18, v8
	s_and_b64 s[18:19], vcc, exec
	s_andn2_saveexec_b64 s[16:17], s[16:17]
	s_cbranch_execnz .LBB348_2038
.LBB348_2018:
	s_or_b64 exec, exec, s[16:17]
	v_mov_b32_e32 v16, 0
	s_and_saveexec_b64 s[16:17], s[18:19]
	s_cbranch_execz .LBB348_2020
.LBB348_2019:
	v_lshlrev_b32_e32 v10, 24, v8
	v_and_b32_e32 v8, 0xffff, v8
	v_and_b32_e32 v12, 3, v8
	v_ffbh_u32_e32 v17, v12
	v_min_u32_e32 v17, 32, v17
	v_subrev_u32_e32 v18, 29, v17
	v_bfe_u32 v16, v8, 2, 5
	v_lshlrev_b32_e32 v8, v18, v8
	v_sub_u32_e32 v17, 30, v17
	v_and_b32_e32 v8, 3, v8
	v_cmp_eq_u32_e32 vcc, 0, v16
	v_cndmask_b32_e32 v16, v16, v17, vcc
	v_cndmask_b32_e32 v8, v12, v8, vcc
	v_mov_b32_e32 v12, 0x37800000
	v_lshlrev_b32_e32 v8, 21, v8
	v_and_b32_e32 v10, 0x80000000, v10
	v_lshl_add_u32 v12, v16, 23, v12
	v_or3_b32 v8, v10, v12, v8
	v_cvt_u32_f32_e32 v16, v8
.LBB348_2020:
	s_or_b64 exec, exec, s[16:17]
	s_mov_b64 s[16:17], 0
	s_branch .LBB348_2026
.LBB348_2021:
	s_mov_b64 s[16:17], -1
                                        ; implicit-def: $vgpr16
	s_branch .LBB348_2032
.LBB348_2022:
	s_andn2_saveexec_b64 s[18:19], s[18:19]
	s_cbranch_execz .LBB348_2007
.LBB348_2023:
	v_cmp_ne_u16_e32 vcc, 0, v8
	s_andn2_b64 s[20:21], s[20:21], exec
	s_and_b64 s[26:27], vcc, exec
	s_or_b64 s[20:21], s[20:21], s[26:27]
	s_or_b64 exec, exec, s[18:19]
	v_mov_b32_e32 v16, 0
	s_and_saveexec_b64 s[18:19], s[20:21]
	s_cbranch_execnz .LBB348_2008
	s_branch .LBB348_2009
.LBB348_2024:
	s_mov_b64 s[16:17], -1
                                        ; implicit-def: $vgpr16
	s_branch .LBB348_2029
.LBB348_2025:
	s_mov_b64 s[16:17], -1
                                        ; implicit-def: $vgpr16
.LBB348_2026:
	s_and_b64 vcc, exec, s[16:17]
	s_cbranch_vccz .LBB348_2028
; %bb.2027:
	global_load_ubyte v8, v[14:15], off
	s_mov_b32 s16, 0x7f800000
	s_waitcnt vmcnt(0)
	v_lshlrev_b32_e32 v8, 24, v8
	v_and_b32_e32 v10, 0x7f000000, v8
	v_ffbh_u32_e32 v12, v10
	v_min_u32_e32 v12, 32, v12
	v_sub_u32_e64 v12, v12, 4 clamp
	v_lshlrev_b32_e32 v17, v12, v10
	v_lshlrev_b32_e32 v12, 23, v12
	v_lshrrev_b32_e32 v17, 4, v17
	v_add_u32_e32 v16, 0x1000000, v10
	v_sub_u32_e32 v12, v17, v12
	v_ashrrev_i32_e32 v16, 8, v16
	v_add_u32_e32 v12, 0x3c000000, v12
	v_and_or_b32 v12, v16, s16, v12
	v_cmp_ne_u32_e32 vcc, 0, v10
	v_cndmask_b32_e32 v10, 0, v12, vcc
	s_brev_b32 s16, 1
	v_and_or_b32 v8, v8, s16, v10
	v_cvt_u32_f32_e32 v16, v8
.LBB348_2028:
	s_mov_b64 s[16:17], 0
.LBB348_2029:
	s_andn2_b64 vcc, exec, s[16:17]
	s_cbranch_vccnz .LBB348_2031
; %bb.2030:
	global_load_ubyte v8, v[14:15], off
	s_movk_i32 s16, 0x7f00
	s_brev_b32 s17, 16
	s_waitcnt vmcnt(0)
	v_lshlrev_b16_e32 v10, 8, v8
	v_lshlrev_b32_e32 v8, 25, v8
	v_lshrrev_b32_e32 v12, 4, v8
	v_and_or_b32 v16, v10, s16, 0.5
	v_or_b32_e32 v12, 0x70000000, v12
	v_add_f32_e32 v16, -0.5, v16
	v_mul_f32_e32 v12, 0x7800000, v12
	v_cmp_gt_u32_e32 vcc, s17, v8
	v_bfe_i32 v10, v10, 0, 16
	v_cndmask_b32_e32 v8, v12, v16, vcc
	s_brev_b32 s16, 1
	v_and_or_b32 v8, v10, s16, v8
	v_cvt_u32_f32_e32 v16, v8
.LBB348_2031:
	s_mov_b64 s[16:17], 0
	s_mov_b64 s[18:19], -1
.LBB348_2032:
	s_andn2_b64 vcc, exec, s[16:17]
	s_mov_b64 s[16:17], 0
	s_cbranch_vccnz .LBB348_2043
; %bb.2033:
	s_cmp_gt_i32 s24, 14
	s_cbranch_scc0 .LBB348_2036
; %bb.2034:
	s_cmp_eq_u32 s24, 15
	s_cbranch_scc0 .LBB348_2039
; %bb.2035:
	global_load_ushort v8, v[14:15], off
	s_mov_b64 s[6:7], 0
	s_mov_b64 s[18:19], -1
	s_waitcnt vmcnt(0)
	v_lshlrev_b32_e32 v8, 16, v8
	v_cvt_u32_f32_e32 v16, v8
	s_branch .LBB348_2040
.LBB348_2036:
	s_mov_b64 s[20:21], -1
                                        ; implicit-def: $vgpr16
	s_branch .LBB348_2041
.LBB348_2037:
	s_andn2_saveexec_b64 s[16:17], s[16:17]
	s_cbranch_execz .LBB348_2018
.LBB348_2038:
	v_cmp_ne_u16_e32 vcc, 0, v8
	s_andn2_b64 s[18:19], s[18:19], exec
	s_and_b64 s[20:21], vcc, exec
	s_or_b64 s[18:19], s[18:19], s[20:21]
	s_or_b64 exec, exec, s[16:17]
	v_mov_b32_e32 v16, 0
	s_and_saveexec_b64 s[16:17], s[18:19]
	s_cbranch_execnz .LBB348_2019
	s_branch .LBB348_2020
.LBB348_2039:
	s_mov_b64 s[6:7], -1
                                        ; implicit-def: $vgpr16
.LBB348_2040:
	s_mov_b64 s[20:21], 0
.LBB348_2041:
	s_and_b64 vcc, exec, s[20:21]
	s_cbranch_vccz .LBB348_2043
; %bb.2042:
	s_cmp_lg_u32 s24, 11
	s_mov_b64 s[16:17], -1
	s_cselect_b64 s[6:7], -1, 0
.LBB348_2043:
	s_and_b64 vcc, exec, s[6:7]
	s_cbranch_vccnz .LBB348_2108
; %bb.2044:
	s_andn2_b64 vcc, exec, s[16:17]
	s_cbranch_vccnz .LBB348_2046
.LBB348_2045:
	global_load_ubyte v8, v[14:15], off
	s_mov_b64 s[18:19], -1
	s_waitcnt vmcnt(0)
	v_cmp_ne_u16_e32 vcc, 0, v8
	v_cndmask_b32_e64 v16, 0, 1, vcc
.LBB348_2046:
	s_mov_b64 s[6:7], 0
.LBB348_2047:
	s_and_b64 vcc, exec, s[6:7]
	s_cbranch_vccz .LBB348_2096
; %bb.2048:
	s_and_b32 s16, 0xffff, s23
	s_cmp_lt_i32 s16, 5
	s_cbranch_scc1 .LBB348_2053
; %bb.2049:
	s_cmp_lt_i32 s16, 8
	s_cbranch_scc1 .LBB348_2054
; %bb.2050:
	;; [unrolled: 3-line block ×3, first 2 shown]
	s_cmp_gt_i32 s16, 9
	s_cbranch_scc0 .LBB348_2056
; %bb.2052:
	global_load_dwordx2 v[16:17], v[14:15], off
	s_mov_b64 s[6:7], 0
	s_waitcnt vmcnt(0)
	v_cvt_u32_f64_e32 v16, v[16:17]
	s_branch .LBB348_2057
.LBB348_2053:
	s_mov_b64 s[6:7], -1
                                        ; implicit-def: $vgpr16
	s_branch .LBB348_2075
.LBB348_2054:
	s_mov_b64 s[6:7], -1
                                        ; implicit-def: $vgpr16
	s_branch .LBB348_2063
.LBB348_2055:
	s_mov_b64 s[6:7], -1
                                        ; implicit-def: $vgpr16
	s_branch .LBB348_2060
.LBB348_2056:
	s_mov_b64 s[6:7], -1
                                        ; implicit-def: $vgpr16
.LBB348_2057:
	s_andn2_b64 vcc, exec, s[6:7]
	s_cbranch_vccnz .LBB348_2059
; %bb.2058:
	global_load_dword v8, v[14:15], off
	s_waitcnt vmcnt(0)
	v_cvt_u32_f32_e32 v16, v8
.LBB348_2059:
	s_mov_b64 s[6:7], 0
.LBB348_2060:
	s_andn2_b64 vcc, exec, s[6:7]
	s_cbranch_vccnz .LBB348_2062
; %bb.2061:
	global_load_dword v8, v[14:15], off
	s_waitcnt vmcnt(0)
	v_cvt_f32_f16_e32 v8, v8
	v_cvt_u32_f32_e32 v16, v8
.LBB348_2062:
	s_mov_b64 s[6:7], 0
.LBB348_2063:
	s_andn2_b64 vcc, exec, s[6:7]
	s_cbranch_vccnz .LBB348_2074
; %bb.2064:
	s_cmp_lt_i32 s16, 6
	s_cbranch_scc1 .LBB348_2067
; %bb.2065:
	s_cmp_gt_i32 s16, 6
	s_cbranch_scc0 .LBB348_2068
; %bb.2066:
	global_load_dwordx2 v[16:17], v[14:15], off
	s_mov_b64 s[6:7], 0
	s_waitcnt vmcnt(0)
	v_cvt_u32_f64_e32 v16, v[16:17]
	s_branch .LBB348_2069
.LBB348_2067:
	s_mov_b64 s[6:7], -1
                                        ; implicit-def: $vgpr16
	s_branch .LBB348_2072
.LBB348_2068:
	s_mov_b64 s[6:7], -1
                                        ; implicit-def: $vgpr16
.LBB348_2069:
	s_andn2_b64 vcc, exec, s[6:7]
	s_cbranch_vccnz .LBB348_2071
; %bb.2070:
	global_load_dword v8, v[14:15], off
	s_waitcnt vmcnt(0)
	v_cvt_u32_f32_e32 v16, v8
.LBB348_2071:
	s_mov_b64 s[6:7], 0
.LBB348_2072:
	s_andn2_b64 vcc, exec, s[6:7]
	s_cbranch_vccnz .LBB348_2074
; %bb.2073:
	global_load_ushort v8, v[14:15], off
	s_waitcnt vmcnt(0)
	v_cvt_f32_f16_e32 v8, v8
	v_cvt_u32_f32_e32 v16, v8
.LBB348_2074:
	s_mov_b64 s[6:7], 0
.LBB348_2075:
	s_andn2_b64 vcc, exec, s[6:7]
	s_cbranch_vccnz .LBB348_2095
; %bb.2076:
	s_cmp_lt_i32 s16, 2
	s_cbranch_scc1 .LBB348_2080
; %bb.2077:
	s_cmp_lt_i32 s16, 3
	s_cbranch_scc1 .LBB348_2081
; %bb.2078:
	s_cmp_gt_i32 s16, 3
	s_cbranch_scc0 .LBB348_2082
; %bb.2079:
	global_load_dword v16, v[14:15], off
	s_mov_b64 s[6:7], 0
	s_branch .LBB348_2083
.LBB348_2080:
	s_mov_b64 s[6:7], -1
                                        ; implicit-def: $vgpr16
	s_branch .LBB348_2089
.LBB348_2081:
	s_mov_b64 s[6:7], -1
                                        ; implicit-def: $vgpr16
	s_branch .LBB348_2086
.LBB348_2082:
	s_mov_b64 s[6:7], -1
                                        ; implicit-def: $vgpr16
.LBB348_2083:
	s_andn2_b64 vcc, exec, s[6:7]
	s_cbranch_vccnz .LBB348_2085
; %bb.2084:
	global_load_dword v16, v[14:15], off
.LBB348_2085:
	s_mov_b64 s[6:7], 0
.LBB348_2086:
	s_andn2_b64 vcc, exec, s[6:7]
	s_cbranch_vccnz .LBB348_2088
; %bb.2087:
	global_load_sshort v16, v[14:15], off
.LBB348_2088:
	s_mov_b64 s[6:7], 0
.LBB348_2089:
	s_andn2_b64 vcc, exec, s[6:7]
	s_cbranch_vccnz .LBB348_2095
; %bb.2090:
	s_cmp_gt_i32 s16, 0
	s_cbranch_scc0 .LBB348_2092
; %bb.2091:
	global_load_sbyte v16, v[14:15], off
	s_mov_b64 s[6:7], 0
	s_branch .LBB348_2093
.LBB348_2092:
	s_mov_b64 s[6:7], -1
                                        ; implicit-def: $vgpr16
.LBB348_2093:
	s_andn2_b64 vcc, exec, s[6:7]
	s_cbranch_vccnz .LBB348_2095
; %bb.2094:
	global_load_ubyte v16, v[14:15], off
.LBB348_2095:
	s_mov_b64 s[18:19], -1
.LBB348_2096:
	s_andn2_b64 vcc, exec, s[18:19]
	s_cbranch_vccnz .LBB348_3036
; %bb.2097:
	v_mov_b32_e32 v8, s11
	v_add_co_u32_e32 v12, vcc, s10, v13
	s_cmp_lt_i32 s22, 11
	v_addc_co_u32_e32 v13, vcc, 0, v8, vcc
	s_cbranch_scc1 .LBB348_2104
; %bb.2098:
	s_and_b32 s24, 0xffff, s22
	s_cmp_gt_i32 s24, 25
	s_mov_b64 s[16:17], 0
	s_cbranch_scc0 .LBB348_2105
; %bb.2099:
	s_cmp_gt_i32 s24, 28
	s_cbranch_scc0 .LBB348_2106
; %bb.2100:
	s_cmp_gt_i32 s24, 43
	;; [unrolled: 3-line block ×3, first 2 shown]
	s_cbranch_scc0 .LBB348_2109
; %bb.2102:
	s_cmp_eq_u32 s24, 46
	s_mov_b64 s[20:21], 0
	s_cbranch_scc0 .LBB348_2110
; %bb.2103:
	global_load_dword v8, v[12:13], off
	s_mov_b64 s[6:7], 0
	s_mov_b64 s[18:19], -1
	s_waitcnt vmcnt(0)
	v_lshlrev_b32_e32 v8, 16, v8
	v_cvt_u32_f32_e32 v14, v8
	s_branch .LBB348_2111
.LBB348_2104:
	s_mov_b64 s[6:7], -1
	s_mov_b64 s[18:19], 0
                                        ; implicit-def: $vgpr14
	s_branch .LBB348_2173
.LBB348_2105:
	s_mov_b64 s[20:21], -1
	s_mov_b64 s[18:19], 0
	s_mov_b64 s[6:7], 0
                                        ; implicit-def: $vgpr14
	s_branch .LBB348_2138
.LBB348_2106:
	s_mov_b64 s[20:21], -1
	s_mov_b64 s[18:19], 0
	s_mov_b64 s[6:7], 0
                                        ; implicit-def: $vgpr14
	s_branch .LBB348_2121
.LBB348_2107:
	s_mov_b64 s[20:21], -1
	s_mov_b64 s[18:19], 0
	s_mov_b64 s[6:7], 0
                                        ; implicit-def: $vgpr14
	s_branch .LBB348_2116
.LBB348_2108:
	s_trap 2
	s_or_b64 s[4:5], s[4:5], exec
	s_cbranch_execz .LBB348_2045
	s_branch .LBB348_2046
.LBB348_2109:
	s_mov_b64 s[20:21], -1
	s_mov_b64 s[18:19], 0
	s_mov_b64 s[6:7], 0
                                        ; implicit-def: $vgpr14
	s_branch .LBB348_2111
.LBB348_2110:
	s_mov_b64 s[6:7], -1
                                        ; implicit-def: $vgpr14
	s_mov_b64 s[18:19], 0
.LBB348_2111:
	s_and_b64 vcc, exec, s[20:21]
	s_cbranch_vccz .LBB348_2115
; %bb.2112:
	s_cmp_eq_u32 s24, 44
	s_cbranch_scc0 .LBB348_2114
; %bb.2113:
	global_load_ubyte v8, v[12:13], off
	s_mov_b64 s[6:7], 0
	s_mov_b64 s[18:19], -1
	s_waitcnt vmcnt(0)
	v_lshlrev_b32_e32 v10, 23, v8
	v_cvt_u32_f32_e32 v10, v10
	v_cmp_ne_u32_e32 vcc, 0, v8
	v_cndmask_b32_e32 v14, 0, v10, vcc
	s_branch .LBB348_2115
.LBB348_2114:
	s_mov_b64 s[6:7], -1
                                        ; implicit-def: $vgpr14
.LBB348_2115:
	s_mov_b64 s[20:21], 0
.LBB348_2116:
	s_and_b64 vcc, exec, s[20:21]
	s_cbranch_vccz .LBB348_2120
; %bb.2117:
	s_cmp_eq_u32 s24, 29
	s_cbranch_scc0 .LBB348_2119
; %bb.2118:
	global_load_dword v14, v[12:13], off
	s_mov_b64 s[6:7], 0
	s_mov_b64 s[18:19], -1
	s_branch .LBB348_2120
.LBB348_2119:
	s_mov_b64 s[6:7], -1
                                        ; implicit-def: $vgpr14
.LBB348_2120:
	s_mov_b64 s[20:21], 0
.LBB348_2121:
	s_and_b64 vcc, exec, s[20:21]
	s_cbranch_vccz .LBB348_2137
; %bb.2122:
	s_cmp_lt_i32 s24, 27
	s_cbranch_scc1 .LBB348_2125
; %bb.2123:
	s_cmp_gt_i32 s24, 27
	s_cbranch_scc0 .LBB348_2126
; %bb.2124:
	global_load_dword v14, v[12:13], off
	s_mov_b64 s[18:19], 0
	s_branch .LBB348_2127
.LBB348_2125:
	s_mov_b64 s[18:19], -1
                                        ; implicit-def: $vgpr14
	s_branch .LBB348_2130
.LBB348_2126:
	s_mov_b64 s[18:19], -1
                                        ; implicit-def: $vgpr14
.LBB348_2127:
	s_andn2_b64 vcc, exec, s[18:19]
	s_cbranch_vccnz .LBB348_2129
; %bb.2128:
	global_load_ushort v14, v[12:13], off
.LBB348_2129:
	s_mov_b64 s[18:19], 0
.LBB348_2130:
	s_andn2_b64 vcc, exec, s[18:19]
	s_cbranch_vccnz .LBB348_2136
; %bb.2131:
	global_load_ubyte v8, v[12:13], off
	s_movk_i32 s18, 0x7f
	s_mov_b64 s[20:21], 0
	s_waitcnt vmcnt(0)
	v_cmp_lt_i16_e32 vcc, s18, v8
	s_and_saveexec_b64 s[18:19], vcc
	s_xor_b64 s[18:19], exec, s[18:19]
	s_cbranch_execz .LBB348_2148
; %bb.2132:
	s_movk_i32 s20, 0x80
	v_cmp_ne_u16_e32 vcc, s20, v8
	s_and_b64 s[20:21], vcc, exec
	s_andn2_saveexec_b64 s[18:19], s[18:19]
	s_cbranch_execnz .LBB348_2149
.LBB348_2133:
	s_or_b64 exec, exec, s[18:19]
	v_mov_b32_e32 v14, 0
	s_and_saveexec_b64 s[18:19], s[20:21]
	s_cbranch_execz .LBB348_2135
.LBB348_2134:
	v_lshlrev_b32_e32 v10, 24, v8
	v_and_b32_e32 v8, 0xffff, v8
	v_and_b32_e32 v14, 7, v8
	v_ffbh_u32_e32 v17, v14
	v_min_u32_e32 v17, 32, v17
	v_subrev_u32_e32 v18, 28, v17
	v_bfe_u32 v15, v8, 3, 4
	v_lshlrev_b32_e32 v8, v18, v8
	v_sub_u32_e32 v17, 29, v17
	v_and_b32_e32 v8, 7, v8
	v_cmp_eq_u32_e32 vcc, 0, v15
	v_cndmask_b32_e32 v15, v15, v17, vcc
	v_cndmask_b32_e32 v8, v14, v8, vcc
	v_mov_b32_e32 v14, 0x3b800000
	v_lshlrev_b32_e32 v8, 20, v8
	v_and_b32_e32 v10, 0x80000000, v10
	v_lshl_add_u32 v14, v15, 23, v14
	v_or3_b32 v8, v10, v14, v8
	v_cvt_u32_f32_e32 v14, v8
.LBB348_2135:
	s_or_b64 exec, exec, s[18:19]
.LBB348_2136:
	s_mov_b64 s[18:19], -1
.LBB348_2137:
	s_mov_b64 s[20:21], 0
.LBB348_2138:
	s_and_b64 vcc, exec, s[20:21]
	s_cbranch_vccz .LBB348_2169
; %bb.2139:
	s_cmp_gt_i32 s24, 22
	s_cbranch_scc0 .LBB348_2147
; %bb.2140:
	s_cmp_lt_i32 s24, 24
	s_cbranch_scc1 .LBB348_2150
; %bb.2141:
	s_cmp_gt_i32 s24, 24
	s_cbranch_scc0 .LBB348_2151
; %bb.2142:
	global_load_ubyte v8, v[12:13], off
	s_movk_i32 s16, 0x7f
	s_mov_b64 s[18:19], 0
	s_waitcnt vmcnt(0)
	v_cmp_lt_i16_e32 vcc, s16, v8
	s_and_saveexec_b64 s[16:17], vcc
	s_xor_b64 s[16:17], exec, s[16:17]
	s_cbranch_execz .LBB348_2163
; %bb.2143:
	s_movk_i32 s18, 0x80
	v_cmp_ne_u16_e32 vcc, s18, v8
	s_and_b64 s[18:19], vcc, exec
	s_andn2_saveexec_b64 s[16:17], s[16:17]
	s_cbranch_execnz .LBB348_2164
.LBB348_2144:
	s_or_b64 exec, exec, s[16:17]
	v_mov_b32_e32 v14, 0
	s_and_saveexec_b64 s[16:17], s[18:19]
	s_cbranch_execz .LBB348_2146
.LBB348_2145:
	v_lshlrev_b32_e32 v10, 24, v8
	v_and_b32_e32 v8, 0xffff, v8
	v_and_b32_e32 v14, 3, v8
	v_ffbh_u32_e32 v17, v14
	v_min_u32_e32 v17, 32, v17
	v_subrev_u32_e32 v18, 29, v17
	v_bfe_u32 v15, v8, 2, 5
	v_lshlrev_b32_e32 v8, v18, v8
	v_sub_u32_e32 v17, 30, v17
	v_and_b32_e32 v8, 3, v8
	v_cmp_eq_u32_e32 vcc, 0, v15
	v_cndmask_b32_e32 v15, v15, v17, vcc
	v_cndmask_b32_e32 v8, v14, v8, vcc
	v_mov_b32_e32 v14, 0x37800000
	v_lshlrev_b32_e32 v8, 21, v8
	v_and_b32_e32 v10, 0x80000000, v10
	v_lshl_add_u32 v14, v15, 23, v14
	v_or3_b32 v8, v10, v14, v8
	v_cvt_u32_f32_e32 v14, v8
.LBB348_2146:
	s_or_b64 exec, exec, s[16:17]
	s_mov_b64 s[16:17], 0
	s_branch .LBB348_2152
.LBB348_2147:
	s_mov_b64 s[16:17], -1
                                        ; implicit-def: $vgpr14
	s_branch .LBB348_2158
.LBB348_2148:
	s_andn2_saveexec_b64 s[18:19], s[18:19]
	s_cbranch_execz .LBB348_2133
.LBB348_2149:
	v_cmp_ne_u16_e32 vcc, 0, v8
	s_andn2_b64 s[20:21], s[20:21], exec
	s_and_b64 s[26:27], vcc, exec
	s_or_b64 s[20:21], s[20:21], s[26:27]
	s_or_b64 exec, exec, s[18:19]
	v_mov_b32_e32 v14, 0
	s_and_saveexec_b64 s[18:19], s[20:21]
	s_cbranch_execnz .LBB348_2134
	s_branch .LBB348_2135
.LBB348_2150:
	s_mov_b64 s[16:17], -1
                                        ; implicit-def: $vgpr14
	s_branch .LBB348_2155
.LBB348_2151:
	s_mov_b64 s[16:17], -1
                                        ; implicit-def: $vgpr14
.LBB348_2152:
	s_and_b64 vcc, exec, s[16:17]
	s_cbranch_vccz .LBB348_2154
; %bb.2153:
	global_load_ubyte v8, v[12:13], off
	s_mov_b32 s16, 0x7f800000
	s_waitcnt vmcnt(0)
	v_lshlrev_b32_e32 v8, 24, v8
	v_and_b32_e32 v10, 0x7f000000, v8
	v_ffbh_u32_e32 v14, v10
	v_min_u32_e32 v14, 32, v14
	v_sub_u32_e64 v14, v14, 4 clamp
	v_lshlrev_b32_e32 v17, v14, v10
	v_lshlrev_b32_e32 v14, 23, v14
	v_lshrrev_b32_e32 v17, 4, v17
	v_add_u32_e32 v15, 0x1000000, v10
	v_sub_u32_e32 v14, v17, v14
	v_ashrrev_i32_e32 v15, 8, v15
	v_add_u32_e32 v14, 0x3c000000, v14
	v_and_or_b32 v14, v15, s16, v14
	v_cmp_ne_u32_e32 vcc, 0, v10
	v_cndmask_b32_e32 v10, 0, v14, vcc
	s_brev_b32 s16, 1
	v_and_or_b32 v8, v8, s16, v10
	v_cvt_u32_f32_e32 v14, v8
.LBB348_2154:
	s_mov_b64 s[16:17], 0
.LBB348_2155:
	s_andn2_b64 vcc, exec, s[16:17]
	s_cbranch_vccnz .LBB348_2157
; %bb.2156:
	global_load_ubyte v8, v[12:13], off
	s_movk_i32 s16, 0x7f00
	s_brev_b32 s17, 16
	s_waitcnt vmcnt(0)
	v_lshlrev_b16_e32 v10, 8, v8
	v_lshlrev_b32_e32 v8, 25, v8
	v_lshrrev_b32_e32 v14, 4, v8
	v_and_or_b32 v15, v10, s16, 0.5
	v_or_b32_e32 v14, 0x70000000, v14
	v_add_f32_e32 v15, -0.5, v15
	v_mul_f32_e32 v14, 0x7800000, v14
	v_cmp_gt_u32_e32 vcc, s17, v8
	v_bfe_i32 v10, v10, 0, 16
	v_cndmask_b32_e32 v8, v14, v15, vcc
	s_brev_b32 s16, 1
	v_and_or_b32 v8, v10, s16, v8
	v_cvt_u32_f32_e32 v14, v8
.LBB348_2157:
	s_mov_b64 s[16:17], 0
	s_mov_b64 s[18:19], -1
.LBB348_2158:
	s_andn2_b64 vcc, exec, s[16:17]
	s_mov_b64 s[16:17], 0
	s_cbranch_vccnz .LBB348_2169
; %bb.2159:
	s_cmp_gt_i32 s24, 14
	s_cbranch_scc0 .LBB348_2162
; %bb.2160:
	s_cmp_eq_u32 s24, 15
	s_cbranch_scc0 .LBB348_2165
; %bb.2161:
	global_load_ushort v8, v[12:13], off
	s_mov_b64 s[6:7], 0
	s_mov_b64 s[18:19], -1
	s_waitcnt vmcnt(0)
	v_lshlrev_b32_e32 v8, 16, v8
	v_cvt_u32_f32_e32 v14, v8
	s_branch .LBB348_2166
.LBB348_2162:
	s_mov_b64 s[20:21], -1
                                        ; implicit-def: $vgpr14
	s_branch .LBB348_2167
.LBB348_2163:
	s_andn2_saveexec_b64 s[16:17], s[16:17]
	s_cbranch_execz .LBB348_2144
.LBB348_2164:
	v_cmp_ne_u16_e32 vcc, 0, v8
	s_andn2_b64 s[18:19], s[18:19], exec
	s_and_b64 s[20:21], vcc, exec
	s_or_b64 s[18:19], s[18:19], s[20:21]
	s_or_b64 exec, exec, s[16:17]
	v_mov_b32_e32 v14, 0
	s_and_saveexec_b64 s[16:17], s[18:19]
	s_cbranch_execnz .LBB348_2145
	s_branch .LBB348_2146
.LBB348_2165:
	s_mov_b64 s[6:7], -1
                                        ; implicit-def: $vgpr14
.LBB348_2166:
	s_mov_b64 s[20:21], 0
.LBB348_2167:
	s_and_b64 vcc, exec, s[20:21]
	s_cbranch_vccz .LBB348_2169
; %bb.2168:
	s_cmp_lg_u32 s24, 11
	s_mov_b64 s[16:17], -1
	s_cselect_b64 s[6:7], -1, 0
.LBB348_2169:
	s_and_b64 vcc, exec, s[6:7]
	s_cbranch_vccnz .LBB348_2234
; %bb.2170:
	s_andn2_b64 vcc, exec, s[16:17]
	s_cbranch_vccnz .LBB348_2172
.LBB348_2171:
	global_load_ubyte v8, v[12:13], off
	s_mov_b64 s[18:19], -1
	s_waitcnt vmcnt(0)
	v_cmp_ne_u16_e32 vcc, 0, v8
	v_cndmask_b32_e64 v14, 0, 1, vcc
.LBB348_2172:
	s_mov_b64 s[6:7], 0
.LBB348_2173:
	s_and_b64 vcc, exec, s[6:7]
	s_cbranch_vccz .LBB348_2222
; %bb.2174:
	s_and_b32 s16, 0xffff, s22
	s_cmp_lt_i32 s16, 5
	s_cbranch_scc1 .LBB348_2179
; %bb.2175:
	s_cmp_lt_i32 s16, 8
	s_cbranch_scc1 .LBB348_2180
; %bb.2176:
	;; [unrolled: 3-line block ×3, first 2 shown]
	s_cmp_gt_i32 s16, 9
	s_cbranch_scc0 .LBB348_2182
; %bb.2178:
	global_load_dwordx2 v[14:15], v[12:13], off
	s_mov_b64 s[6:7], 0
	s_waitcnt vmcnt(0)
	v_cvt_u32_f64_e32 v14, v[14:15]
	s_branch .LBB348_2183
.LBB348_2179:
	s_mov_b64 s[6:7], -1
                                        ; implicit-def: $vgpr14
	s_branch .LBB348_2201
.LBB348_2180:
	s_mov_b64 s[6:7], -1
                                        ; implicit-def: $vgpr14
	s_branch .LBB348_2189
.LBB348_2181:
	s_mov_b64 s[6:7], -1
                                        ; implicit-def: $vgpr14
	s_branch .LBB348_2186
.LBB348_2182:
	s_mov_b64 s[6:7], -1
                                        ; implicit-def: $vgpr14
.LBB348_2183:
	s_andn2_b64 vcc, exec, s[6:7]
	s_cbranch_vccnz .LBB348_2185
; %bb.2184:
	global_load_dword v8, v[12:13], off
	s_waitcnt vmcnt(0)
	v_cvt_u32_f32_e32 v14, v8
.LBB348_2185:
	s_mov_b64 s[6:7], 0
.LBB348_2186:
	s_andn2_b64 vcc, exec, s[6:7]
	s_cbranch_vccnz .LBB348_2188
; %bb.2187:
	global_load_dword v8, v[12:13], off
	s_waitcnt vmcnt(0)
	v_cvt_f32_f16_e32 v8, v8
	v_cvt_u32_f32_e32 v14, v8
.LBB348_2188:
	s_mov_b64 s[6:7], 0
.LBB348_2189:
	s_andn2_b64 vcc, exec, s[6:7]
	s_cbranch_vccnz .LBB348_2200
; %bb.2190:
	s_cmp_lt_i32 s16, 6
	s_cbranch_scc1 .LBB348_2193
; %bb.2191:
	s_cmp_gt_i32 s16, 6
	s_cbranch_scc0 .LBB348_2194
; %bb.2192:
	global_load_dwordx2 v[14:15], v[12:13], off
	s_mov_b64 s[6:7], 0
	s_waitcnt vmcnt(0)
	v_cvt_u32_f64_e32 v14, v[14:15]
	s_branch .LBB348_2195
.LBB348_2193:
	s_mov_b64 s[6:7], -1
                                        ; implicit-def: $vgpr14
	s_branch .LBB348_2198
.LBB348_2194:
	s_mov_b64 s[6:7], -1
                                        ; implicit-def: $vgpr14
.LBB348_2195:
	s_andn2_b64 vcc, exec, s[6:7]
	s_cbranch_vccnz .LBB348_2197
; %bb.2196:
	global_load_dword v8, v[12:13], off
	s_waitcnt vmcnt(0)
	v_cvt_u32_f32_e32 v14, v8
.LBB348_2197:
	s_mov_b64 s[6:7], 0
.LBB348_2198:
	s_andn2_b64 vcc, exec, s[6:7]
	s_cbranch_vccnz .LBB348_2200
; %bb.2199:
	global_load_ushort v8, v[12:13], off
	s_waitcnt vmcnt(0)
	v_cvt_f32_f16_e32 v8, v8
	v_cvt_u32_f32_e32 v14, v8
.LBB348_2200:
	s_mov_b64 s[6:7], 0
.LBB348_2201:
	s_andn2_b64 vcc, exec, s[6:7]
	s_cbranch_vccnz .LBB348_2221
; %bb.2202:
	s_cmp_lt_i32 s16, 2
	s_cbranch_scc1 .LBB348_2206
; %bb.2203:
	s_cmp_lt_i32 s16, 3
	s_cbranch_scc1 .LBB348_2207
; %bb.2204:
	s_cmp_gt_i32 s16, 3
	s_cbranch_scc0 .LBB348_2208
; %bb.2205:
	global_load_dword v14, v[12:13], off
	s_mov_b64 s[6:7], 0
	s_branch .LBB348_2209
.LBB348_2206:
	s_mov_b64 s[6:7], -1
                                        ; implicit-def: $vgpr14
	s_branch .LBB348_2215
.LBB348_2207:
	s_mov_b64 s[6:7], -1
                                        ; implicit-def: $vgpr14
	s_branch .LBB348_2212
.LBB348_2208:
	s_mov_b64 s[6:7], -1
                                        ; implicit-def: $vgpr14
.LBB348_2209:
	s_andn2_b64 vcc, exec, s[6:7]
	s_cbranch_vccnz .LBB348_2211
; %bb.2210:
	global_load_dword v14, v[12:13], off
.LBB348_2211:
	s_mov_b64 s[6:7], 0
.LBB348_2212:
	s_andn2_b64 vcc, exec, s[6:7]
	s_cbranch_vccnz .LBB348_2214
; %bb.2213:
	global_load_sshort v14, v[12:13], off
.LBB348_2214:
	s_mov_b64 s[6:7], 0
.LBB348_2215:
	s_andn2_b64 vcc, exec, s[6:7]
	s_cbranch_vccnz .LBB348_2221
; %bb.2216:
	s_cmp_gt_i32 s16, 0
	s_cbranch_scc0 .LBB348_2218
; %bb.2217:
	global_load_sbyte v14, v[12:13], off
	s_mov_b64 s[6:7], 0
	s_branch .LBB348_2219
.LBB348_2218:
	s_mov_b64 s[6:7], -1
                                        ; implicit-def: $vgpr14
.LBB348_2219:
	s_andn2_b64 vcc, exec, s[6:7]
	s_cbranch_vccnz .LBB348_2221
; %bb.2220:
	global_load_ubyte v14, v[12:13], off
.LBB348_2221:
	s_mov_b64 s[18:19], -1
.LBB348_2222:
	s_andn2_b64 vcc, exec, s[18:19]
	s_cbranch_vccnz .LBB348_3036
; %bb.2223:
	v_mov_b32_e32 v8, s1
	v_add_co_u32_e32 v10, vcc, s0, v11
	s_cmp_lt_i32 s23, 11
	v_addc_co_u32_e32 v11, vcc, 0, v8, vcc
	s_cbranch_scc1 .LBB348_2230
; %bb.2224:
	s_and_b32 s24, 0xffff, s23
	s_cmp_gt_i32 s24, 25
	s_mov_b64 s[16:17], 0
	s_cbranch_scc0 .LBB348_2231
; %bb.2225:
	s_cmp_gt_i32 s24, 28
	s_cbranch_scc0 .LBB348_2232
; %bb.2226:
	s_cmp_gt_i32 s24, 43
	s_cbranch_scc0 .LBB348_2233
; %bb.2227:
	s_cmp_gt_i32 s24, 45
	s_cbranch_scc0 .LBB348_2235
; %bb.2228:
	s_cmp_eq_u32 s24, 46
	s_mov_b64 s[20:21], 0
	s_cbranch_scc0 .LBB348_2238
; %bb.2229:
	global_load_dword v8, v[10:11], off
	s_mov_b64 s[6:7], 0
	s_mov_b64 s[18:19], -1
	s_waitcnt vmcnt(0)
	v_lshlrev_b32_e32 v8, 16, v8
	v_cvt_u32_f32_e32 v12, v8
	s_branch .LBB348_2239
.LBB348_2230:
	s_mov_b64 s[6:7], -1
	s_mov_b64 s[18:19], 0
                                        ; implicit-def: $vgpr12
	s_branch .LBB348_2301
.LBB348_2231:
	s_mov_b64 s[20:21], -1
	s_mov_b64 s[18:19], 0
	s_mov_b64 s[6:7], 0
                                        ; implicit-def: $vgpr12
	s_branch .LBB348_2266
.LBB348_2232:
	s_mov_b64 s[20:21], -1
	s_mov_b64 s[18:19], 0
	s_mov_b64 s[6:7], 0
                                        ; implicit-def: $vgpr12
	s_branch .LBB348_2249
.LBB348_2233:
	s_mov_b64 s[20:21], -1
	s_mov_b64 s[18:19], 0
	s_mov_b64 s[6:7], 0
                                        ; implicit-def: $vgpr12
	s_branch .LBB348_2244
.LBB348_2234:
	s_trap 2
	s_or_b64 s[4:5], s[4:5], exec
	s_cbranch_execz .LBB348_2171
	s_branch .LBB348_2172
.LBB348_2235:
	s_mov_b64 s[20:21], -1
	s_mov_b64 s[18:19], 0
	s_mov_b64 s[6:7], 0
                                        ; implicit-def: $vgpr12
	s_branch .LBB348_2239
.LBB348_2236:
	s_andn2_saveexec_b64 s[68:69], s[68:69]
	s_cbranch_execz .LBB348_1095
.LBB348_2237:
	v_add_f32_e32 v2, 0x42800000, v3
	v_and_b32_e32 v2, 0xff, v2
	v_cmp_ne_u32_e32 vcc, 0, v2
	s_andn2_b64 s[66:67], s[66:67], exec
	s_and_b64 s[76:77], vcc, exec
	s_or_b64 s[66:67], s[66:67], s[76:77]
	s_or_b64 exec, exec, s[68:69]
	v_mov_b32_e32 v4, 0
	s_and_saveexec_b64 s[68:69], s[66:67]
	s_cbranch_execnz .LBB348_1096
	s_branch .LBB348_1097
.LBB348_2238:
	s_mov_b64 s[6:7], -1
                                        ; implicit-def: $vgpr12
	s_mov_b64 s[18:19], 0
.LBB348_2239:
	s_and_b64 vcc, exec, s[20:21]
	s_cbranch_vccz .LBB348_2243
; %bb.2240:
	s_cmp_eq_u32 s24, 44
	s_cbranch_scc0 .LBB348_2242
; %bb.2241:
	global_load_ubyte v8, v[10:11], off
	s_mov_b64 s[6:7], 0
	s_mov_b64 s[18:19], -1
	s_waitcnt vmcnt(0)
	v_lshlrev_b32_e32 v12, 23, v8
	v_cvt_u32_f32_e32 v12, v12
	v_cmp_ne_u32_e32 vcc, 0, v8
	v_cndmask_b32_e32 v12, 0, v12, vcc
	s_branch .LBB348_2243
.LBB348_2242:
	s_mov_b64 s[6:7], -1
                                        ; implicit-def: $vgpr12
.LBB348_2243:
	s_mov_b64 s[20:21], 0
.LBB348_2244:
	s_and_b64 vcc, exec, s[20:21]
	s_cbranch_vccz .LBB348_2248
; %bb.2245:
	s_cmp_eq_u32 s24, 29
	s_cbranch_scc0 .LBB348_2247
; %bb.2246:
	global_load_dword v12, v[10:11], off
	s_mov_b64 s[6:7], 0
	s_mov_b64 s[18:19], -1
	s_branch .LBB348_2248
.LBB348_2247:
	s_mov_b64 s[6:7], -1
                                        ; implicit-def: $vgpr12
.LBB348_2248:
	s_mov_b64 s[20:21], 0
.LBB348_2249:
	s_and_b64 vcc, exec, s[20:21]
	s_cbranch_vccz .LBB348_2265
; %bb.2250:
	s_cmp_lt_i32 s24, 27
	s_cbranch_scc1 .LBB348_2253
; %bb.2251:
	s_cmp_gt_i32 s24, 27
	s_cbranch_scc0 .LBB348_2254
; %bb.2252:
	global_load_dword v12, v[10:11], off
	s_mov_b64 s[18:19], 0
	s_branch .LBB348_2255
.LBB348_2253:
	s_mov_b64 s[18:19], -1
                                        ; implicit-def: $vgpr12
	s_branch .LBB348_2258
.LBB348_2254:
	s_mov_b64 s[18:19], -1
                                        ; implicit-def: $vgpr12
.LBB348_2255:
	s_andn2_b64 vcc, exec, s[18:19]
	s_cbranch_vccnz .LBB348_2257
; %bb.2256:
	global_load_ushort v12, v[10:11], off
.LBB348_2257:
	s_mov_b64 s[18:19], 0
.LBB348_2258:
	s_andn2_b64 vcc, exec, s[18:19]
	s_cbranch_vccnz .LBB348_2264
; %bb.2259:
	global_load_ubyte v8, v[10:11], off
	s_movk_i32 s18, 0x7f
	s_mov_b64 s[20:21], 0
	s_waitcnt vmcnt(0)
	v_cmp_lt_i16_e32 vcc, s18, v8
	s_and_saveexec_b64 s[18:19], vcc
	s_xor_b64 s[18:19], exec, s[18:19]
	s_cbranch_execz .LBB348_2276
; %bb.2260:
	s_movk_i32 s20, 0x80
	v_cmp_ne_u16_e32 vcc, s20, v8
	s_and_b64 s[20:21], vcc, exec
	s_andn2_saveexec_b64 s[18:19], s[18:19]
	s_cbranch_execnz .LBB348_2277
.LBB348_2261:
	s_or_b64 exec, exec, s[18:19]
	v_mov_b32_e32 v12, 0
	s_and_saveexec_b64 s[18:19], s[20:21]
	s_cbranch_execz .LBB348_2263
.LBB348_2262:
	v_lshlrev_b32_e32 v12, 24, v8
	v_and_b32_e32 v8, 0xffff, v8
	v_and_b32_e32 v13, 7, v8
	v_ffbh_u32_e32 v17, v13
	v_min_u32_e32 v17, 32, v17
	v_subrev_u32_e32 v18, 28, v17
	v_bfe_u32 v15, v8, 3, 4
	v_lshlrev_b32_e32 v8, v18, v8
	v_sub_u32_e32 v17, 29, v17
	v_and_b32_e32 v8, 7, v8
	v_cmp_eq_u32_e32 vcc, 0, v15
	v_cndmask_b32_e32 v15, v15, v17, vcc
	v_cndmask_b32_e32 v8, v13, v8, vcc
	v_mov_b32_e32 v13, 0x3b800000
	v_lshlrev_b32_e32 v8, 20, v8
	v_and_b32_e32 v12, 0x80000000, v12
	v_lshl_add_u32 v13, v15, 23, v13
	v_or3_b32 v8, v12, v13, v8
	v_cvt_u32_f32_e32 v12, v8
.LBB348_2263:
	s_or_b64 exec, exec, s[18:19]
.LBB348_2264:
	s_mov_b64 s[18:19], -1
.LBB348_2265:
	s_mov_b64 s[20:21], 0
.LBB348_2266:
	s_and_b64 vcc, exec, s[20:21]
	s_cbranch_vccz .LBB348_2297
; %bb.2267:
	s_cmp_gt_i32 s24, 22
	s_cbranch_scc0 .LBB348_2275
; %bb.2268:
	s_cmp_lt_i32 s24, 24
	s_cbranch_scc1 .LBB348_2278
; %bb.2269:
	s_cmp_gt_i32 s24, 24
	s_cbranch_scc0 .LBB348_2279
; %bb.2270:
	global_load_ubyte v8, v[10:11], off
	s_movk_i32 s16, 0x7f
	s_mov_b64 s[18:19], 0
	s_waitcnt vmcnt(0)
	v_cmp_lt_i16_e32 vcc, s16, v8
	s_and_saveexec_b64 s[16:17], vcc
	s_xor_b64 s[16:17], exec, s[16:17]
	s_cbranch_execz .LBB348_2291
; %bb.2271:
	s_movk_i32 s18, 0x80
	v_cmp_ne_u16_e32 vcc, s18, v8
	s_and_b64 s[18:19], vcc, exec
	s_andn2_saveexec_b64 s[16:17], s[16:17]
	s_cbranch_execnz .LBB348_2292
.LBB348_2272:
	s_or_b64 exec, exec, s[16:17]
	v_mov_b32_e32 v12, 0
	s_and_saveexec_b64 s[16:17], s[18:19]
	s_cbranch_execz .LBB348_2274
.LBB348_2273:
	v_lshlrev_b32_e32 v12, 24, v8
	v_and_b32_e32 v8, 0xffff, v8
	v_and_b32_e32 v13, 3, v8
	v_ffbh_u32_e32 v17, v13
	v_min_u32_e32 v17, 32, v17
	v_subrev_u32_e32 v18, 29, v17
	v_bfe_u32 v15, v8, 2, 5
	v_lshlrev_b32_e32 v8, v18, v8
	v_sub_u32_e32 v17, 30, v17
	v_and_b32_e32 v8, 3, v8
	v_cmp_eq_u32_e32 vcc, 0, v15
	v_cndmask_b32_e32 v15, v15, v17, vcc
	v_cndmask_b32_e32 v8, v13, v8, vcc
	v_mov_b32_e32 v13, 0x37800000
	v_lshlrev_b32_e32 v8, 21, v8
	v_and_b32_e32 v12, 0x80000000, v12
	v_lshl_add_u32 v13, v15, 23, v13
	v_or3_b32 v8, v12, v13, v8
	v_cvt_u32_f32_e32 v12, v8
.LBB348_2274:
	s_or_b64 exec, exec, s[16:17]
	s_mov_b64 s[16:17], 0
	s_branch .LBB348_2280
.LBB348_2275:
	s_mov_b64 s[16:17], -1
                                        ; implicit-def: $vgpr12
	s_branch .LBB348_2286
.LBB348_2276:
	s_andn2_saveexec_b64 s[18:19], s[18:19]
	s_cbranch_execz .LBB348_2261
.LBB348_2277:
	v_cmp_ne_u16_e32 vcc, 0, v8
	s_andn2_b64 s[20:21], s[20:21], exec
	s_and_b64 s[26:27], vcc, exec
	s_or_b64 s[20:21], s[20:21], s[26:27]
	s_or_b64 exec, exec, s[18:19]
	v_mov_b32_e32 v12, 0
	s_and_saveexec_b64 s[18:19], s[20:21]
	s_cbranch_execnz .LBB348_2262
	s_branch .LBB348_2263
.LBB348_2278:
	s_mov_b64 s[16:17], -1
                                        ; implicit-def: $vgpr12
	s_branch .LBB348_2283
.LBB348_2279:
	s_mov_b64 s[16:17], -1
                                        ; implicit-def: $vgpr12
.LBB348_2280:
	s_and_b64 vcc, exec, s[16:17]
	s_cbranch_vccz .LBB348_2282
; %bb.2281:
	global_load_ubyte v8, v[10:11], off
	s_mov_b32 s16, 0x7f800000
	s_waitcnt vmcnt(0)
	v_lshlrev_b32_e32 v8, 24, v8
	v_and_b32_e32 v12, 0x7f000000, v8
	v_ffbh_u32_e32 v13, v12
	v_min_u32_e32 v13, 32, v13
	v_sub_u32_e64 v13, v13, 4 clamp
	v_lshlrev_b32_e32 v17, v13, v12
	v_lshlrev_b32_e32 v13, 23, v13
	v_lshrrev_b32_e32 v17, 4, v17
	v_add_u32_e32 v15, 0x1000000, v12
	v_sub_u32_e32 v13, v17, v13
	v_ashrrev_i32_e32 v15, 8, v15
	v_add_u32_e32 v13, 0x3c000000, v13
	v_and_or_b32 v13, v15, s16, v13
	v_cmp_ne_u32_e32 vcc, 0, v12
	v_cndmask_b32_e32 v12, 0, v13, vcc
	s_brev_b32 s16, 1
	v_and_or_b32 v8, v8, s16, v12
	v_cvt_u32_f32_e32 v12, v8
.LBB348_2282:
	s_mov_b64 s[16:17], 0
.LBB348_2283:
	s_andn2_b64 vcc, exec, s[16:17]
	s_cbranch_vccnz .LBB348_2285
; %bb.2284:
	global_load_ubyte v8, v[10:11], off
	s_movk_i32 s16, 0x7f00
	s_brev_b32 s17, 16
	s_waitcnt vmcnt(0)
	v_lshlrev_b16_e32 v12, 8, v8
	v_lshlrev_b32_e32 v8, 25, v8
	v_lshrrev_b32_e32 v13, 4, v8
	v_and_or_b32 v15, v12, s16, 0.5
	v_or_b32_e32 v13, 0x70000000, v13
	v_add_f32_e32 v15, -0.5, v15
	v_mul_f32_e32 v13, 0x7800000, v13
	v_cmp_gt_u32_e32 vcc, s17, v8
	v_bfe_i32 v12, v12, 0, 16
	v_cndmask_b32_e32 v8, v13, v15, vcc
	s_brev_b32 s16, 1
	v_and_or_b32 v8, v12, s16, v8
	v_cvt_u32_f32_e32 v12, v8
.LBB348_2285:
	s_mov_b64 s[16:17], 0
	s_mov_b64 s[18:19], -1
.LBB348_2286:
	s_andn2_b64 vcc, exec, s[16:17]
	s_mov_b64 s[16:17], 0
	s_cbranch_vccnz .LBB348_2297
; %bb.2287:
	s_cmp_gt_i32 s24, 14
	s_cbranch_scc0 .LBB348_2290
; %bb.2288:
	s_cmp_eq_u32 s24, 15
	s_cbranch_scc0 .LBB348_2293
; %bb.2289:
	global_load_ushort v8, v[10:11], off
	s_mov_b64 s[6:7], 0
	s_mov_b64 s[18:19], -1
	s_waitcnt vmcnt(0)
	v_lshlrev_b32_e32 v8, 16, v8
	v_cvt_u32_f32_e32 v12, v8
	s_branch .LBB348_2294
.LBB348_2290:
	s_mov_b64 s[20:21], -1
                                        ; implicit-def: $vgpr12
	s_branch .LBB348_2295
.LBB348_2291:
	s_andn2_saveexec_b64 s[16:17], s[16:17]
	s_cbranch_execz .LBB348_2272
.LBB348_2292:
	v_cmp_ne_u16_e32 vcc, 0, v8
	s_andn2_b64 s[18:19], s[18:19], exec
	s_and_b64 s[20:21], vcc, exec
	s_or_b64 s[18:19], s[18:19], s[20:21]
	s_or_b64 exec, exec, s[16:17]
	v_mov_b32_e32 v12, 0
	s_and_saveexec_b64 s[16:17], s[18:19]
	s_cbranch_execnz .LBB348_2273
	s_branch .LBB348_2274
.LBB348_2293:
	s_mov_b64 s[6:7], -1
                                        ; implicit-def: $vgpr12
.LBB348_2294:
	s_mov_b64 s[20:21], 0
.LBB348_2295:
	s_and_b64 vcc, exec, s[20:21]
	s_cbranch_vccz .LBB348_2297
; %bb.2296:
	s_cmp_lg_u32 s24, 11
	s_mov_b64 s[16:17], -1
	s_cselect_b64 s[6:7], -1, 0
.LBB348_2297:
	s_and_b64 vcc, exec, s[6:7]
	s_cbranch_vccnz .LBB348_2362
; %bb.2298:
	s_andn2_b64 vcc, exec, s[16:17]
	s_cbranch_vccnz .LBB348_2300
.LBB348_2299:
	global_load_ubyte v8, v[10:11], off
	s_mov_b64 s[18:19], -1
	s_waitcnt vmcnt(0)
	v_cmp_ne_u16_e32 vcc, 0, v8
	v_cndmask_b32_e64 v12, 0, 1, vcc
.LBB348_2300:
	s_mov_b64 s[6:7], 0
.LBB348_2301:
	s_and_b64 vcc, exec, s[6:7]
	s_cbranch_vccz .LBB348_2350
; %bb.2302:
	s_and_b32 s16, 0xffff, s23
	s_cmp_lt_i32 s16, 5
	s_cbranch_scc1 .LBB348_2307
; %bb.2303:
	s_cmp_lt_i32 s16, 8
	s_cbranch_scc1 .LBB348_2308
; %bb.2304:
	;; [unrolled: 3-line block ×3, first 2 shown]
	s_cmp_gt_i32 s16, 9
	s_cbranch_scc0 .LBB348_2310
; %bb.2306:
	global_load_dwordx2 v[12:13], v[10:11], off
	s_mov_b64 s[6:7], 0
	s_waitcnt vmcnt(0)
	v_cvt_u32_f64_e32 v12, v[12:13]
	s_branch .LBB348_2311
.LBB348_2307:
	s_mov_b64 s[6:7], -1
                                        ; implicit-def: $vgpr12
	s_branch .LBB348_2329
.LBB348_2308:
	s_mov_b64 s[6:7], -1
                                        ; implicit-def: $vgpr12
	s_branch .LBB348_2317
.LBB348_2309:
	s_mov_b64 s[6:7], -1
                                        ; implicit-def: $vgpr12
	s_branch .LBB348_2314
.LBB348_2310:
	s_mov_b64 s[6:7], -1
                                        ; implicit-def: $vgpr12
.LBB348_2311:
	s_andn2_b64 vcc, exec, s[6:7]
	s_cbranch_vccnz .LBB348_2313
; %bb.2312:
	global_load_dword v8, v[10:11], off
	s_waitcnt vmcnt(0)
	v_cvt_u32_f32_e32 v12, v8
.LBB348_2313:
	s_mov_b64 s[6:7], 0
.LBB348_2314:
	s_andn2_b64 vcc, exec, s[6:7]
	s_cbranch_vccnz .LBB348_2316
; %bb.2315:
	global_load_dword v8, v[10:11], off
	s_waitcnt vmcnt(0)
	v_cvt_f32_f16_e32 v8, v8
	v_cvt_u32_f32_e32 v12, v8
.LBB348_2316:
	s_mov_b64 s[6:7], 0
.LBB348_2317:
	s_andn2_b64 vcc, exec, s[6:7]
	s_cbranch_vccnz .LBB348_2328
; %bb.2318:
	s_cmp_lt_i32 s16, 6
	s_cbranch_scc1 .LBB348_2321
; %bb.2319:
	s_cmp_gt_i32 s16, 6
	s_cbranch_scc0 .LBB348_2322
; %bb.2320:
	global_load_dwordx2 v[12:13], v[10:11], off
	s_mov_b64 s[6:7], 0
	s_waitcnt vmcnt(0)
	v_cvt_u32_f64_e32 v12, v[12:13]
	s_branch .LBB348_2323
.LBB348_2321:
	s_mov_b64 s[6:7], -1
                                        ; implicit-def: $vgpr12
	s_branch .LBB348_2326
.LBB348_2322:
	s_mov_b64 s[6:7], -1
                                        ; implicit-def: $vgpr12
.LBB348_2323:
	s_andn2_b64 vcc, exec, s[6:7]
	s_cbranch_vccnz .LBB348_2325
; %bb.2324:
	global_load_dword v8, v[10:11], off
	s_waitcnt vmcnt(0)
	v_cvt_u32_f32_e32 v12, v8
.LBB348_2325:
	s_mov_b64 s[6:7], 0
.LBB348_2326:
	s_andn2_b64 vcc, exec, s[6:7]
	s_cbranch_vccnz .LBB348_2328
; %bb.2327:
	global_load_ushort v8, v[10:11], off
	s_waitcnt vmcnt(0)
	v_cvt_f32_f16_e32 v8, v8
	v_cvt_u32_f32_e32 v12, v8
.LBB348_2328:
	s_mov_b64 s[6:7], 0
.LBB348_2329:
	s_andn2_b64 vcc, exec, s[6:7]
	s_cbranch_vccnz .LBB348_2349
; %bb.2330:
	s_cmp_lt_i32 s16, 2
	s_cbranch_scc1 .LBB348_2334
; %bb.2331:
	s_cmp_lt_i32 s16, 3
	s_cbranch_scc1 .LBB348_2335
; %bb.2332:
	s_cmp_gt_i32 s16, 3
	s_cbranch_scc0 .LBB348_2336
; %bb.2333:
	global_load_dword v12, v[10:11], off
	s_mov_b64 s[6:7], 0
	s_branch .LBB348_2337
.LBB348_2334:
	s_mov_b64 s[6:7], -1
                                        ; implicit-def: $vgpr12
	s_branch .LBB348_2343
.LBB348_2335:
	s_mov_b64 s[6:7], -1
                                        ; implicit-def: $vgpr12
	s_branch .LBB348_2340
.LBB348_2336:
	s_mov_b64 s[6:7], -1
                                        ; implicit-def: $vgpr12
.LBB348_2337:
	s_andn2_b64 vcc, exec, s[6:7]
	s_cbranch_vccnz .LBB348_2339
; %bb.2338:
	global_load_dword v12, v[10:11], off
.LBB348_2339:
	s_mov_b64 s[6:7], 0
.LBB348_2340:
	s_andn2_b64 vcc, exec, s[6:7]
	s_cbranch_vccnz .LBB348_2342
; %bb.2341:
	global_load_sshort v12, v[10:11], off
.LBB348_2342:
	s_mov_b64 s[6:7], 0
.LBB348_2343:
	s_andn2_b64 vcc, exec, s[6:7]
	s_cbranch_vccnz .LBB348_2349
; %bb.2344:
	s_cmp_gt_i32 s16, 0
	s_cbranch_scc0 .LBB348_2346
; %bb.2345:
	global_load_sbyte v12, v[10:11], off
	s_mov_b64 s[6:7], 0
	s_branch .LBB348_2347
.LBB348_2346:
	s_mov_b64 s[6:7], -1
                                        ; implicit-def: $vgpr12
.LBB348_2347:
	s_andn2_b64 vcc, exec, s[6:7]
	s_cbranch_vccnz .LBB348_2349
; %bb.2348:
	global_load_ubyte v12, v[10:11], off
.LBB348_2349:
	s_mov_b64 s[18:19], -1
.LBB348_2350:
	s_andn2_b64 vcc, exec, s[18:19]
	s_cbranch_vccnz .LBB348_3036
; %bb.2351:
	v_mov_b32_e32 v10, s11
	v_add_co_u32_e32 v8, vcc, s10, v9
	s_cmp_lt_i32 s22, 11
	v_addc_co_u32_e32 v9, vcc, 0, v10, vcc
	s_cbranch_scc1 .LBB348_2358
; %bb.2352:
	s_and_b32 s20, 0xffff, s22
	s_cmp_gt_i32 s20, 25
	s_mov_b64 s[10:11], 0
	s_cbranch_scc0 .LBB348_2359
; %bb.2353:
	s_cmp_gt_i32 s20, 28
	s_cbranch_scc0 .LBB348_2360
; %bb.2354:
	s_cmp_gt_i32 s20, 43
	;; [unrolled: 3-line block ×3, first 2 shown]
	s_cbranch_scc0 .LBB348_2363
; %bb.2356:
	s_cmp_eq_u32 s20, 46
	s_mov_b64 s[18:19], 0
	s_cbranch_scc0 .LBB348_2364
; %bb.2357:
	global_load_dword v10, v[8:9], off
	s_mov_b64 s[6:7], 0
	s_mov_b64 s[16:17], -1
	s_waitcnt vmcnt(0)
	v_lshlrev_b32_e32 v10, 16, v10
	v_cvt_u32_f32_e32 v10, v10
	s_branch .LBB348_2365
.LBB348_2358:
	s_mov_b64 s[6:7], -1
	s_mov_b64 s[16:17], 0
                                        ; implicit-def: $vgpr10
	s_branch .LBB348_2427
.LBB348_2359:
	s_mov_b64 s[18:19], -1
	s_mov_b64 s[16:17], 0
	s_mov_b64 s[6:7], 0
                                        ; implicit-def: $vgpr10
	s_branch .LBB348_2392
.LBB348_2360:
	s_mov_b64 s[18:19], -1
	s_mov_b64 s[16:17], 0
	s_mov_b64 s[6:7], 0
                                        ; implicit-def: $vgpr10
	s_branch .LBB348_2375
.LBB348_2361:
	s_mov_b64 s[18:19], -1
	s_mov_b64 s[16:17], 0
	s_mov_b64 s[6:7], 0
                                        ; implicit-def: $vgpr10
	s_branch .LBB348_2370
.LBB348_2362:
	s_trap 2
	s_or_b64 s[4:5], s[4:5], exec
	s_cbranch_execz .LBB348_2299
	s_branch .LBB348_2300
.LBB348_2363:
	s_mov_b64 s[18:19], -1
	s_mov_b64 s[16:17], 0
	s_mov_b64 s[6:7], 0
                                        ; implicit-def: $vgpr10
	s_branch .LBB348_2365
.LBB348_2364:
	s_mov_b64 s[6:7], -1
                                        ; implicit-def: $vgpr10
	s_mov_b64 s[16:17], 0
.LBB348_2365:
	s_and_b64 vcc, exec, s[18:19]
	s_cbranch_vccz .LBB348_2369
; %bb.2366:
	s_cmp_eq_u32 s20, 44
	s_cbranch_scc0 .LBB348_2368
; %bb.2367:
	global_load_ubyte v10, v[8:9], off
	s_mov_b64 s[6:7], 0
	s_mov_b64 s[16:17], -1
	s_waitcnt vmcnt(0)
	v_lshlrev_b32_e32 v11, 23, v10
	v_cvt_u32_f32_e32 v11, v11
	v_cmp_ne_u32_e32 vcc, 0, v10
	v_cndmask_b32_e32 v10, 0, v11, vcc
	s_branch .LBB348_2369
.LBB348_2368:
	s_mov_b64 s[6:7], -1
                                        ; implicit-def: $vgpr10
.LBB348_2369:
	s_mov_b64 s[18:19], 0
.LBB348_2370:
	s_and_b64 vcc, exec, s[18:19]
	s_cbranch_vccz .LBB348_2374
; %bb.2371:
	s_cmp_eq_u32 s20, 29
	s_cbranch_scc0 .LBB348_2373
; %bb.2372:
	global_load_dword v10, v[8:9], off
	s_mov_b64 s[6:7], 0
	s_mov_b64 s[16:17], -1
	s_branch .LBB348_2374
.LBB348_2373:
	s_mov_b64 s[6:7], -1
                                        ; implicit-def: $vgpr10
.LBB348_2374:
	s_mov_b64 s[18:19], 0
.LBB348_2375:
	s_and_b64 vcc, exec, s[18:19]
	s_cbranch_vccz .LBB348_2391
; %bb.2376:
	s_cmp_lt_i32 s20, 27
	s_cbranch_scc1 .LBB348_2379
; %bb.2377:
	s_cmp_gt_i32 s20, 27
	s_cbranch_scc0 .LBB348_2380
; %bb.2378:
	global_load_dword v10, v[8:9], off
	s_mov_b64 s[16:17], 0
	s_branch .LBB348_2381
.LBB348_2379:
	s_mov_b64 s[16:17], -1
                                        ; implicit-def: $vgpr10
	s_branch .LBB348_2384
.LBB348_2380:
	s_mov_b64 s[16:17], -1
                                        ; implicit-def: $vgpr10
.LBB348_2381:
	s_andn2_b64 vcc, exec, s[16:17]
	s_cbranch_vccnz .LBB348_2383
; %bb.2382:
	global_load_ushort v10, v[8:9], off
.LBB348_2383:
	s_mov_b64 s[16:17], 0
.LBB348_2384:
	s_andn2_b64 vcc, exec, s[16:17]
	s_cbranch_vccnz .LBB348_2390
; %bb.2385:
	global_load_ubyte v11, v[8:9], off
	s_movk_i32 s16, 0x7f
	s_mov_b64 s[18:19], 0
	s_waitcnt vmcnt(0)
	v_cmp_lt_i16_e32 vcc, s16, v11
	s_and_saveexec_b64 s[16:17], vcc
	s_xor_b64 s[16:17], exec, s[16:17]
	s_cbranch_execz .LBB348_2402
; %bb.2386:
	s_movk_i32 s18, 0x80
	v_cmp_ne_u16_e32 vcc, s18, v11
	s_and_b64 s[18:19], vcc, exec
	s_andn2_saveexec_b64 s[16:17], s[16:17]
	s_cbranch_execnz .LBB348_2403
.LBB348_2387:
	s_or_b64 exec, exec, s[16:17]
	v_mov_b32_e32 v10, 0
	s_and_saveexec_b64 s[16:17], s[18:19]
	s_cbranch_execz .LBB348_2389
.LBB348_2388:
	v_lshlrev_b32_e32 v10, 24, v11
	v_and_b32_e32 v11, 0xffff, v11
	v_and_b32_e32 v13, 7, v11
	v_ffbh_u32_e32 v17, v13
	v_min_u32_e32 v17, 32, v17
	v_subrev_u32_e32 v18, 28, v17
	v_bfe_u32 v15, v11, 3, 4
	v_lshlrev_b32_e32 v11, v18, v11
	v_sub_u32_e32 v17, 29, v17
	v_and_b32_e32 v11, 7, v11
	v_cmp_eq_u32_e32 vcc, 0, v15
	v_cndmask_b32_e32 v15, v15, v17, vcc
	v_cndmask_b32_e32 v11, v13, v11, vcc
	v_mov_b32_e32 v13, 0x3b800000
	v_lshlrev_b32_e32 v11, 20, v11
	v_and_b32_e32 v10, 0x80000000, v10
	v_lshl_add_u32 v13, v15, 23, v13
	v_or3_b32 v10, v10, v13, v11
	v_cvt_u32_f32_e32 v10, v10
.LBB348_2389:
	s_or_b64 exec, exec, s[16:17]
.LBB348_2390:
	s_mov_b64 s[16:17], -1
.LBB348_2391:
	s_mov_b64 s[18:19], 0
.LBB348_2392:
	s_and_b64 vcc, exec, s[18:19]
	s_cbranch_vccz .LBB348_2423
; %bb.2393:
	s_cmp_gt_i32 s20, 22
	s_cbranch_scc0 .LBB348_2401
; %bb.2394:
	s_cmp_lt_i32 s20, 24
	s_cbranch_scc1 .LBB348_2404
; %bb.2395:
	s_cmp_gt_i32 s20, 24
	s_cbranch_scc0 .LBB348_2405
; %bb.2396:
	global_load_ubyte v11, v[8:9], off
	s_movk_i32 s10, 0x7f
	s_mov_b64 s[16:17], 0
	s_waitcnt vmcnt(0)
	v_cmp_lt_i16_e32 vcc, s10, v11
	s_and_saveexec_b64 s[10:11], vcc
	s_xor_b64 s[10:11], exec, s[10:11]
	s_cbranch_execz .LBB348_2417
; %bb.2397:
	s_movk_i32 s16, 0x80
	v_cmp_ne_u16_e32 vcc, s16, v11
	s_and_b64 s[16:17], vcc, exec
	s_andn2_saveexec_b64 s[10:11], s[10:11]
	s_cbranch_execnz .LBB348_2418
.LBB348_2398:
	s_or_b64 exec, exec, s[10:11]
	v_mov_b32_e32 v10, 0
	s_and_saveexec_b64 s[10:11], s[16:17]
	s_cbranch_execz .LBB348_2400
.LBB348_2399:
	v_lshlrev_b32_e32 v10, 24, v11
	v_and_b32_e32 v11, 0xffff, v11
	v_and_b32_e32 v13, 3, v11
	v_ffbh_u32_e32 v17, v13
	v_min_u32_e32 v17, 32, v17
	v_subrev_u32_e32 v18, 29, v17
	v_bfe_u32 v15, v11, 2, 5
	v_lshlrev_b32_e32 v11, v18, v11
	v_sub_u32_e32 v17, 30, v17
	v_and_b32_e32 v11, 3, v11
	v_cmp_eq_u32_e32 vcc, 0, v15
	v_cndmask_b32_e32 v15, v15, v17, vcc
	v_cndmask_b32_e32 v11, v13, v11, vcc
	v_mov_b32_e32 v13, 0x37800000
	v_lshlrev_b32_e32 v11, 21, v11
	v_and_b32_e32 v10, 0x80000000, v10
	v_lshl_add_u32 v13, v15, 23, v13
	v_or3_b32 v10, v10, v13, v11
	v_cvt_u32_f32_e32 v10, v10
.LBB348_2400:
	s_or_b64 exec, exec, s[10:11]
	s_mov_b64 s[10:11], 0
	s_branch .LBB348_2406
.LBB348_2401:
	s_mov_b64 s[10:11], -1
                                        ; implicit-def: $vgpr10
	s_branch .LBB348_2412
.LBB348_2402:
	s_andn2_saveexec_b64 s[16:17], s[16:17]
	s_cbranch_execz .LBB348_2387
.LBB348_2403:
	v_cmp_ne_u16_e32 vcc, 0, v11
	s_andn2_b64 s[18:19], s[18:19], exec
	s_and_b64 s[24:25], vcc, exec
	s_or_b64 s[18:19], s[18:19], s[24:25]
	s_or_b64 exec, exec, s[16:17]
	v_mov_b32_e32 v10, 0
	s_and_saveexec_b64 s[16:17], s[18:19]
	s_cbranch_execnz .LBB348_2388
	s_branch .LBB348_2389
.LBB348_2404:
	s_mov_b64 s[10:11], -1
                                        ; implicit-def: $vgpr10
	s_branch .LBB348_2409
.LBB348_2405:
	s_mov_b64 s[10:11], -1
                                        ; implicit-def: $vgpr10
.LBB348_2406:
	s_and_b64 vcc, exec, s[10:11]
	s_cbranch_vccz .LBB348_2408
; %bb.2407:
	global_load_ubyte v10, v[8:9], off
	s_mov_b32 s10, 0x7f800000
	s_waitcnt vmcnt(0)
	v_lshlrev_b32_e32 v10, 24, v10
	v_and_b32_e32 v11, 0x7f000000, v10
	v_ffbh_u32_e32 v13, v11
	v_min_u32_e32 v13, 32, v13
	v_sub_u32_e64 v13, v13, 4 clamp
	v_lshlrev_b32_e32 v17, v13, v11
	v_lshlrev_b32_e32 v13, 23, v13
	v_lshrrev_b32_e32 v17, 4, v17
	v_add_u32_e32 v15, 0x1000000, v11
	v_sub_u32_e32 v13, v17, v13
	v_ashrrev_i32_e32 v15, 8, v15
	v_add_u32_e32 v13, 0x3c000000, v13
	v_and_or_b32 v13, v15, s10, v13
	v_cmp_ne_u32_e32 vcc, 0, v11
	v_cndmask_b32_e32 v11, 0, v13, vcc
	s_brev_b32 s10, 1
	v_and_or_b32 v10, v10, s10, v11
	v_cvt_u32_f32_e32 v10, v10
.LBB348_2408:
	s_mov_b64 s[10:11], 0
.LBB348_2409:
	s_andn2_b64 vcc, exec, s[10:11]
	s_cbranch_vccnz .LBB348_2411
; %bb.2410:
	global_load_ubyte v10, v[8:9], off
	s_movk_i32 s10, 0x7f00
	s_brev_b32 s11, 16
	s_waitcnt vmcnt(0)
	v_lshlrev_b16_e32 v11, 8, v10
	v_lshlrev_b32_e32 v10, 25, v10
	v_lshrrev_b32_e32 v13, 4, v10
	v_and_or_b32 v15, v11, s10, 0.5
	v_or_b32_e32 v13, 0x70000000, v13
	v_add_f32_e32 v15, -0.5, v15
	v_mul_f32_e32 v13, 0x7800000, v13
	v_cmp_gt_u32_e32 vcc, s11, v10
	v_bfe_i32 v11, v11, 0, 16
	v_cndmask_b32_e32 v10, v13, v15, vcc
	s_brev_b32 s10, 1
	v_and_or_b32 v10, v11, s10, v10
	v_cvt_u32_f32_e32 v10, v10
.LBB348_2411:
	s_mov_b64 s[10:11], 0
	s_mov_b64 s[16:17], -1
.LBB348_2412:
	s_andn2_b64 vcc, exec, s[10:11]
	s_mov_b64 s[10:11], 0
	s_cbranch_vccnz .LBB348_2423
; %bb.2413:
	s_cmp_gt_i32 s20, 14
	s_cbranch_scc0 .LBB348_2416
; %bb.2414:
	s_cmp_eq_u32 s20, 15
	s_cbranch_scc0 .LBB348_2419
; %bb.2415:
	global_load_ushort v10, v[8:9], off
	s_mov_b64 s[6:7], 0
	s_mov_b64 s[16:17], -1
	s_waitcnt vmcnt(0)
	v_lshlrev_b32_e32 v10, 16, v10
	v_cvt_u32_f32_e32 v10, v10
	s_branch .LBB348_2420
.LBB348_2416:
	s_mov_b64 s[18:19], -1
                                        ; implicit-def: $vgpr10
	s_branch .LBB348_2421
.LBB348_2417:
	s_andn2_saveexec_b64 s[10:11], s[10:11]
	s_cbranch_execz .LBB348_2398
.LBB348_2418:
	v_cmp_ne_u16_e32 vcc, 0, v11
	s_andn2_b64 s[16:17], s[16:17], exec
	s_and_b64 s[18:19], vcc, exec
	s_or_b64 s[16:17], s[16:17], s[18:19]
	s_or_b64 exec, exec, s[10:11]
	v_mov_b32_e32 v10, 0
	s_and_saveexec_b64 s[10:11], s[16:17]
	s_cbranch_execnz .LBB348_2399
	s_branch .LBB348_2400
.LBB348_2419:
	s_mov_b64 s[6:7], -1
                                        ; implicit-def: $vgpr10
.LBB348_2420:
	s_mov_b64 s[18:19], 0
.LBB348_2421:
	s_and_b64 vcc, exec, s[18:19]
	s_cbranch_vccz .LBB348_2423
; %bb.2422:
	s_cmp_lg_u32 s20, 11
	s_mov_b64 s[10:11], -1
	s_cselect_b64 s[6:7], -1, 0
.LBB348_2423:
	s_and_b64 vcc, exec, s[6:7]
	s_cbranch_vccnz .LBB348_2488
; %bb.2424:
	s_andn2_b64 vcc, exec, s[10:11]
	s_cbranch_vccnz .LBB348_2426
.LBB348_2425:
	global_load_ubyte v10, v[8:9], off
	s_mov_b64 s[16:17], -1
	s_waitcnt vmcnt(0)
	v_cmp_ne_u16_e32 vcc, 0, v10
	v_cndmask_b32_e64 v10, 0, 1, vcc
.LBB348_2426:
	s_mov_b64 s[6:7], 0
.LBB348_2427:
	s_and_b64 vcc, exec, s[6:7]
	s_cbranch_vccz .LBB348_2476
; %bb.2428:
	s_and_b32 s10, 0xffff, s22
	s_cmp_lt_i32 s10, 5
	s_cbranch_scc1 .LBB348_2433
; %bb.2429:
	s_cmp_lt_i32 s10, 8
	s_cbranch_scc1 .LBB348_2434
; %bb.2430:
	;; [unrolled: 3-line block ×3, first 2 shown]
	s_cmp_gt_i32 s10, 9
	s_cbranch_scc0 .LBB348_2436
; %bb.2432:
	global_load_dwordx2 v[10:11], v[8:9], off
	s_mov_b64 s[6:7], 0
	s_waitcnt vmcnt(0)
	v_cvt_u32_f64_e32 v10, v[10:11]
	s_branch .LBB348_2437
.LBB348_2433:
	s_mov_b64 s[6:7], -1
                                        ; implicit-def: $vgpr10
	s_branch .LBB348_2455
.LBB348_2434:
	s_mov_b64 s[6:7], -1
                                        ; implicit-def: $vgpr10
	s_branch .LBB348_2443
.LBB348_2435:
	s_mov_b64 s[6:7], -1
                                        ; implicit-def: $vgpr10
	s_branch .LBB348_2440
.LBB348_2436:
	s_mov_b64 s[6:7], -1
                                        ; implicit-def: $vgpr10
.LBB348_2437:
	s_andn2_b64 vcc, exec, s[6:7]
	s_cbranch_vccnz .LBB348_2439
; %bb.2438:
	global_load_dword v10, v[8:9], off
	s_waitcnt vmcnt(0)
	v_cvt_u32_f32_e32 v10, v10
.LBB348_2439:
	s_mov_b64 s[6:7], 0
.LBB348_2440:
	s_andn2_b64 vcc, exec, s[6:7]
	s_cbranch_vccnz .LBB348_2442
; %bb.2441:
	global_load_dword v10, v[8:9], off
	s_waitcnt vmcnt(0)
	v_cvt_f32_f16_e32 v10, v10
	v_cvt_u32_f32_e32 v10, v10
.LBB348_2442:
	s_mov_b64 s[6:7], 0
.LBB348_2443:
	s_andn2_b64 vcc, exec, s[6:7]
	s_cbranch_vccnz .LBB348_2454
; %bb.2444:
	s_cmp_lt_i32 s10, 6
	s_cbranch_scc1 .LBB348_2447
; %bb.2445:
	s_cmp_gt_i32 s10, 6
	s_cbranch_scc0 .LBB348_2448
; %bb.2446:
	global_load_dwordx2 v[10:11], v[8:9], off
	s_mov_b64 s[6:7], 0
	s_waitcnt vmcnt(0)
	v_cvt_u32_f64_e32 v10, v[10:11]
	s_branch .LBB348_2449
.LBB348_2447:
	s_mov_b64 s[6:7], -1
                                        ; implicit-def: $vgpr10
	s_branch .LBB348_2452
.LBB348_2448:
	s_mov_b64 s[6:7], -1
                                        ; implicit-def: $vgpr10
.LBB348_2449:
	s_andn2_b64 vcc, exec, s[6:7]
	s_cbranch_vccnz .LBB348_2451
; %bb.2450:
	global_load_dword v10, v[8:9], off
	s_waitcnt vmcnt(0)
	v_cvt_u32_f32_e32 v10, v10
.LBB348_2451:
	s_mov_b64 s[6:7], 0
.LBB348_2452:
	s_andn2_b64 vcc, exec, s[6:7]
	s_cbranch_vccnz .LBB348_2454
; %bb.2453:
	global_load_ushort v10, v[8:9], off
	s_waitcnt vmcnt(0)
	v_cvt_f32_f16_e32 v10, v10
	v_cvt_u32_f32_e32 v10, v10
.LBB348_2454:
	s_mov_b64 s[6:7], 0
.LBB348_2455:
	s_andn2_b64 vcc, exec, s[6:7]
	s_cbranch_vccnz .LBB348_2475
; %bb.2456:
	s_cmp_lt_i32 s10, 2
	s_cbranch_scc1 .LBB348_2460
; %bb.2457:
	s_cmp_lt_i32 s10, 3
	s_cbranch_scc1 .LBB348_2461
; %bb.2458:
	s_cmp_gt_i32 s10, 3
	s_cbranch_scc0 .LBB348_2462
; %bb.2459:
	global_load_dword v10, v[8:9], off
	s_mov_b64 s[6:7], 0
	s_branch .LBB348_2463
.LBB348_2460:
	s_mov_b64 s[6:7], -1
                                        ; implicit-def: $vgpr10
	s_branch .LBB348_2469
.LBB348_2461:
	s_mov_b64 s[6:7], -1
                                        ; implicit-def: $vgpr10
	s_branch .LBB348_2466
.LBB348_2462:
	s_mov_b64 s[6:7], -1
                                        ; implicit-def: $vgpr10
.LBB348_2463:
	s_andn2_b64 vcc, exec, s[6:7]
	s_cbranch_vccnz .LBB348_2465
; %bb.2464:
	global_load_dword v10, v[8:9], off
.LBB348_2465:
	s_mov_b64 s[6:7], 0
.LBB348_2466:
	s_andn2_b64 vcc, exec, s[6:7]
	s_cbranch_vccnz .LBB348_2468
; %bb.2467:
	global_load_sshort v10, v[8:9], off
.LBB348_2468:
	s_mov_b64 s[6:7], 0
.LBB348_2469:
	s_andn2_b64 vcc, exec, s[6:7]
	s_cbranch_vccnz .LBB348_2475
; %bb.2470:
	s_cmp_gt_i32 s10, 0
	s_cbranch_scc0 .LBB348_2472
; %bb.2471:
	global_load_sbyte v10, v[8:9], off
	s_mov_b64 s[6:7], 0
	s_branch .LBB348_2473
.LBB348_2472:
	s_mov_b64 s[6:7], -1
                                        ; implicit-def: $vgpr10
.LBB348_2473:
	s_andn2_b64 vcc, exec, s[6:7]
	s_cbranch_vccnz .LBB348_2475
; %bb.2474:
	global_load_ubyte v10, v[8:9], off
.LBB348_2475:
	s_mov_b64 s[16:17], -1
.LBB348_2476:
	s_andn2_b64 vcc, exec, s[16:17]
	s_cbranch_vccnz .LBB348_3036
; %bb.2477:
	v_mov_b32_e32 v8, s1
	v_add_co_u32_e32 v7, vcc, s0, v7
	s_cmp_lt_i32 s23, 11
	v_addc_co_u32_e32 v8, vcc, 0, v8, vcc
	s_cbranch_scc1 .LBB348_2484
; %bb.2478:
	s_and_b32 s18, 0xffff, s23
	s_cmp_gt_i32 s18, 25
	s_mov_b64 s[6:7], 0
	s_cbranch_scc0 .LBB348_2485
; %bb.2479:
	s_cmp_gt_i32 s18, 28
	s_cbranch_scc0 .LBB348_2486
; %bb.2480:
	s_cmp_gt_i32 s18, 43
	;; [unrolled: 3-line block ×3, first 2 shown]
	s_cbranch_scc0 .LBB348_2489
; %bb.2482:
	s_cmp_eq_u32 s18, 46
	s_mov_b64 s[16:17], 0
	s_cbranch_scc0 .LBB348_2490
; %bb.2483:
	global_load_dword v9, v[7:8], off
	s_mov_b64 s[0:1], 0
	s_mov_b64 s[10:11], -1
	s_waitcnt vmcnt(0)
	v_lshlrev_b32_e32 v9, 16, v9
	v_cvt_u32_f32_e32 v9, v9
	s_branch .LBB348_2491
.LBB348_2484:
	s_mov_b64 s[0:1], -1
	s_mov_b64 s[10:11], 0
                                        ; implicit-def: $vgpr9
	s_branch .LBB348_2553
.LBB348_2485:
	s_mov_b64 s[16:17], -1
	s_mov_b64 s[10:11], 0
	s_mov_b64 s[0:1], 0
                                        ; implicit-def: $vgpr9
	s_branch .LBB348_2518
.LBB348_2486:
	s_mov_b64 s[16:17], -1
	s_mov_b64 s[10:11], 0
	s_mov_b64 s[0:1], 0
                                        ; implicit-def: $vgpr9
	s_branch .LBB348_2501
.LBB348_2487:
	s_mov_b64 s[16:17], -1
	s_mov_b64 s[10:11], 0
	s_mov_b64 s[0:1], 0
                                        ; implicit-def: $vgpr9
	s_branch .LBB348_2496
.LBB348_2488:
	s_trap 2
	s_or_b64 s[4:5], s[4:5], exec
	s_cbranch_execz .LBB348_2425
	s_branch .LBB348_2426
.LBB348_2489:
	s_mov_b64 s[16:17], -1
	s_mov_b64 s[10:11], 0
	s_mov_b64 s[0:1], 0
                                        ; implicit-def: $vgpr9
	s_branch .LBB348_2491
.LBB348_2490:
	s_mov_b64 s[0:1], -1
                                        ; implicit-def: $vgpr9
	s_mov_b64 s[10:11], 0
.LBB348_2491:
	s_and_b64 vcc, exec, s[16:17]
	s_cbranch_vccz .LBB348_2495
; %bb.2492:
	s_cmp_eq_u32 s18, 44
	s_cbranch_scc0 .LBB348_2494
; %bb.2493:
	global_load_ubyte v9, v[7:8], off
	s_mov_b64 s[0:1], 0
	s_mov_b64 s[10:11], -1
	s_waitcnt vmcnt(0)
	v_lshlrev_b32_e32 v11, 23, v9
	v_cvt_u32_f32_e32 v11, v11
	v_cmp_ne_u32_e32 vcc, 0, v9
	v_cndmask_b32_e32 v9, 0, v11, vcc
	s_branch .LBB348_2495
.LBB348_2494:
	s_mov_b64 s[0:1], -1
                                        ; implicit-def: $vgpr9
.LBB348_2495:
	s_mov_b64 s[16:17], 0
.LBB348_2496:
	s_and_b64 vcc, exec, s[16:17]
	s_cbranch_vccz .LBB348_2500
; %bb.2497:
	s_cmp_eq_u32 s18, 29
	s_cbranch_scc0 .LBB348_2499
; %bb.2498:
	global_load_dword v9, v[7:8], off
	s_mov_b64 s[0:1], 0
	s_mov_b64 s[10:11], -1
	s_branch .LBB348_2500
.LBB348_2499:
	s_mov_b64 s[0:1], -1
                                        ; implicit-def: $vgpr9
.LBB348_2500:
	s_mov_b64 s[16:17], 0
.LBB348_2501:
	s_and_b64 vcc, exec, s[16:17]
	s_cbranch_vccz .LBB348_2517
; %bb.2502:
	s_cmp_lt_i32 s18, 27
	s_cbranch_scc1 .LBB348_2505
; %bb.2503:
	s_cmp_gt_i32 s18, 27
	s_cbranch_scc0 .LBB348_2506
; %bb.2504:
	global_load_dword v9, v[7:8], off
	s_mov_b64 s[10:11], 0
	s_branch .LBB348_2507
.LBB348_2505:
	s_mov_b64 s[10:11], -1
                                        ; implicit-def: $vgpr9
	s_branch .LBB348_2510
.LBB348_2506:
	s_mov_b64 s[10:11], -1
                                        ; implicit-def: $vgpr9
.LBB348_2507:
	s_andn2_b64 vcc, exec, s[10:11]
	s_cbranch_vccnz .LBB348_2509
; %bb.2508:
	global_load_ushort v9, v[7:8], off
.LBB348_2509:
	s_mov_b64 s[10:11], 0
.LBB348_2510:
	s_andn2_b64 vcc, exec, s[10:11]
	s_cbranch_vccnz .LBB348_2516
; %bb.2511:
	global_load_ubyte v11, v[7:8], off
	s_movk_i32 s10, 0x7f
	s_mov_b64 s[16:17], 0
	s_waitcnt vmcnt(0)
	v_cmp_lt_i16_e32 vcc, s10, v11
	s_and_saveexec_b64 s[10:11], vcc
	s_xor_b64 s[10:11], exec, s[10:11]
	s_cbranch_execz .LBB348_2528
; %bb.2512:
	s_movk_i32 s16, 0x80
	v_cmp_ne_u16_e32 vcc, s16, v11
	s_and_b64 s[16:17], vcc, exec
	s_andn2_saveexec_b64 s[10:11], s[10:11]
	s_cbranch_execnz .LBB348_2529
.LBB348_2513:
	s_or_b64 exec, exec, s[10:11]
	v_mov_b32_e32 v9, 0
	s_and_saveexec_b64 s[10:11], s[16:17]
	s_cbranch_execz .LBB348_2515
.LBB348_2514:
	v_lshlrev_b32_e32 v9, 24, v11
	v_and_b32_e32 v11, 0xffff, v11
	v_and_b32_e32 v13, 7, v11
	v_ffbh_u32_e32 v17, v13
	v_min_u32_e32 v17, 32, v17
	v_subrev_u32_e32 v18, 28, v17
	v_bfe_u32 v15, v11, 3, 4
	v_lshlrev_b32_e32 v11, v18, v11
	v_sub_u32_e32 v17, 29, v17
	v_and_b32_e32 v11, 7, v11
	v_cmp_eq_u32_e32 vcc, 0, v15
	v_cndmask_b32_e32 v15, v15, v17, vcc
	v_cndmask_b32_e32 v11, v13, v11, vcc
	v_mov_b32_e32 v13, 0x3b800000
	v_lshlrev_b32_e32 v11, 20, v11
	v_and_b32_e32 v9, 0x80000000, v9
	v_lshl_add_u32 v13, v15, 23, v13
	v_or3_b32 v9, v9, v13, v11
	v_cvt_u32_f32_e32 v9, v9
.LBB348_2515:
	s_or_b64 exec, exec, s[10:11]
.LBB348_2516:
	s_mov_b64 s[10:11], -1
.LBB348_2517:
	s_mov_b64 s[16:17], 0
.LBB348_2518:
	s_and_b64 vcc, exec, s[16:17]
	s_cbranch_vccz .LBB348_2549
; %bb.2519:
	s_cmp_gt_i32 s18, 22
	s_cbranch_scc0 .LBB348_2527
; %bb.2520:
	s_cmp_lt_i32 s18, 24
	s_cbranch_scc1 .LBB348_2530
; %bb.2521:
	s_cmp_gt_i32 s18, 24
	s_cbranch_scc0 .LBB348_2531
; %bb.2522:
	global_load_ubyte v11, v[7:8], off
	s_movk_i32 s6, 0x7f
	s_mov_b64 s[10:11], 0
	s_waitcnt vmcnt(0)
	v_cmp_lt_i16_e32 vcc, s6, v11
	s_and_saveexec_b64 s[6:7], vcc
	s_xor_b64 s[6:7], exec, s[6:7]
	s_cbranch_execz .LBB348_2543
; %bb.2523:
	s_movk_i32 s10, 0x80
	v_cmp_ne_u16_e32 vcc, s10, v11
	s_and_b64 s[10:11], vcc, exec
	s_andn2_saveexec_b64 s[6:7], s[6:7]
	s_cbranch_execnz .LBB348_2544
.LBB348_2524:
	s_or_b64 exec, exec, s[6:7]
	v_mov_b32_e32 v9, 0
	s_and_saveexec_b64 s[6:7], s[10:11]
	s_cbranch_execz .LBB348_2526
.LBB348_2525:
	v_lshlrev_b32_e32 v9, 24, v11
	v_and_b32_e32 v11, 0xffff, v11
	v_and_b32_e32 v13, 3, v11
	v_ffbh_u32_e32 v17, v13
	v_min_u32_e32 v17, 32, v17
	v_subrev_u32_e32 v18, 29, v17
	v_bfe_u32 v15, v11, 2, 5
	v_lshlrev_b32_e32 v11, v18, v11
	v_sub_u32_e32 v17, 30, v17
	v_and_b32_e32 v11, 3, v11
	v_cmp_eq_u32_e32 vcc, 0, v15
	v_cndmask_b32_e32 v15, v15, v17, vcc
	v_cndmask_b32_e32 v11, v13, v11, vcc
	v_mov_b32_e32 v13, 0x37800000
	v_lshlrev_b32_e32 v11, 21, v11
	v_and_b32_e32 v9, 0x80000000, v9
	v_lshl_add_u32 v13, v15, 23, v13
	v_or3_b32 v9, v9, v13, v11
	v_cvt_u32_f32_e32 v9, v9
.LBB348_2526:
	s_or_b64 exec, exec, s[6:7]
	s_mov_b64 s[6:7], 0
	s_branch .LBB348_2532
.LBB348_2527:
	s_mov_b64 s[6:7], -1
                                        ; implicit-def: $vgpr9
	s_branch .LBB348_2538
.LBB348_2528:
	s_andn2_saveexec_b64 s[10:11], s[10:11]
	s_cbranch_execz .LBB348_2513
.LBB348_2529:
	v_cmp_ne_u16_e32 vcc, 0, v11
	s_andn2_b64 s[16:17], s[16:17], exec
	s_and_b64 s[20:21], vcc, exec
	s_or_b64 s[16:17], s[16:17], s[20:21]
	s_or_b64 exec, exec, s[10:11]
	v_mov_b32_e32 v9, 0
	s_and_saveexec_b64 s[10:11], s[16:17]
	s_cbranch_execnz .LBB348_2514
	s_branch .LBB348_2515
.LBB348_2530:
	s_mov_b64 s[6:7], -1
                                        ; implicit-def: $vgpr9
	s_branch .LBB348_2535
.LBB348_2531:
	s_mov_b64 s[6:7], -1
                                        ; implicit-def: $vgpr9
.LBB348_2532:
	s_and_b64 vcc, exec, s[6:7]
	s_cbranch_vccz .LBB348_2534
; %bb.2533:
	global_load_ubyte v9, v[7:8], off
	s_mov_b32 s6, 0x7f800000
	s_waitcnt vmcnt(0)
	v_lshlrev_b32_e32 v9, 24, v9
	v_and_b32_e32 v11, 0x7f000000, v9
	v_ffbh_u32_e32 v13, v11
	v_min_u32_e32 v13, 32, v13
	v_sub_u32_e64 v13, v13, 4 clamp
	v_lshlrev_b32_e32 v17, v13, v11
	v_lshlrev_b32_e32 v13, 23, v13
	v_lshrrev_b32_e32 v17, 4, v17
	v_add_u32_e32 v15, 0x1000000, v11
	v_sub_u32_e32 v13, v17, v13
	v_ashrrev_i32_e32 v15, 8, v15
	v_add_u32_e32 v13, 0x3c000000, v13
	v_and_or_b32 v13, v15, s6, v13
	v_cmp_ne_u32_e32 vcc, 0, v11
	v_cndmask_b32_e32 v11, 0, v13, vcc
	s_brev_b32 s6, 1
	v_and_or_b32 v9, v9, s6, v11
	v_cvt_u32_f32_e32 v9, v9
.LBB348_2534:
	s_mov_b64 s[6:7], 0
.LBB348_2535:
	s_andn2_b64 vcc, exec, s[6:7]
	s_cbranch_vccnz .LBB348_2537
; %bb.2536:
	global_load_ubyte v9, v[7:8], off
	s_movk_i32 s6, 0x7f00
	s_brev_b32 s7, 16
	s_waitcnt vmcnt(0)
	v_lshlrev_b16_e32 v11, 8, v9
	v_lshlrev_b32_e32 v9, 25, v9
	v_lshrrev_b32_e32 v13, 4, v9
	v_and_or_b32 v15, v11, s6, 0.5
	v_or_b32_e32 v13, 0x70000000, v13
	v_add_f32_e32 v15, -0.5, v15
	v_mul_f32_e32 v13, 0x7800000, v13
	v_cmp_gt_u32_e32 vcc, s7, v9
	v_bfe_i32 v11, v11, 0, 16
	v_cndmask_b32_e32 v9, v13, v15, vcc
	s_brev_b32 s6, 1
	v_and_or_b32 v9, v11, s6, v9
	v_cvt_u32_f32_e32 v9, v9
.LBB348_2537:
	s_mov_b64 s[6:7], 0
	s_mov_b64 s[10:11], -1
.LBB348_2538:
	s_andn2_b64 vcc, exec, s[6:7]
	s_mov_b64 s[6:7], 0
	s_cbranch_vccnz .LBB348_2549
; %bb.2539:
	s_cmp_gt_i32 s18, 14
	s_cbranch_scc0 .LBB348_2542
; %bb.2540:
	s_cmp_eq_u32 s18, 15
	s_cbranch_scc0 .LBB348_2545
; %bb.2541:
	global_load_ushort v9, v[7:8], off
	s_mov_b64 s[0:1], 0
	s_mov_b64 s[10:11], -1
	s_waitcnt vmcnt(0)
	v_lshlrev_b32_e32 v9, 16, v9
	v_cvt_u32_f32_e32 v9, v9
	s_branch .LBB348_2546
.LBB348_2542:
	s_mov_b64 s[16:17], -1
                                        ; implicit-def: $vgpr9
	s_branch .LBB348_2547
.LBB348_2543:
	s_andn2_saveexec_b64 s[6:7], s[6:7]
	s_cbranch_execz .LBB348_2524
.LBB348_2544:
	v_cmp_ne_u16_e32 vcc, 0, v11
	s_andn2_b64 s[10:11], s[10:11], exec
	s_and_b64 s[16:17], vcc, exec
	s_or_b64 s[10:11], s[10:11], s[16:17]
	s_or_b64 exec, exec, s[6:7]
	v_mov_b32_e32 v9, 0
	s_and_saveexec_b64 s[6:7], s[10:11]
	s_cbranch_execnz .LBB348_2525
	s_branch .LBB348_2526
.LBB348_2545:
	s_mov_b64 s[0:1], -1
                                        ; implicit-def: $vgpr9
.LBB348_2546:
	s_mov_b64 s[16:17], 0
.LBB348_2547:
	s_and_b64 vcc, exec, s[16:17]
	s_cbranch_vccz .LBB348_2549
; %bb.2548:
	s_cmp_lg_u32 s18, 11
	s_mov_b64 s[6:7], -1
	s_cselect_b64 s[0:1], -1, 0
.LBB348_2549:
	s_and_b64 vcc, exec, s[0:1]
	s_cbranch_vccnz .LBB348_3082
; %bb.2550:
	s_andn2_b64 vcc, exec, s[6:7]
	s_cbranch_vccnz .LBB348_2552
.LBB348_2551:
	global_load_ubyte v9, v[7:8], off
	s_mov_b64 s[10:11], -1
	s_waitcnt vmcnt(0)
	v_cmp_ne_u16_e32 vcc, 0, v9
	v_cndmask_b32_e64 v9, 0, 1, vcc
.LBB348_2552:
	s_mov_b64 s[0:1], 0
.LBB348_2553:
	s_and_b64 vcc, exec, s[0:1]
	s_cbranch_vccz .LBB348_2602
; %bb.2554:
	s_and_b32 s6, 0xffff, s23
	s_cmp_lt_i32 s6, 5
	s_cbranch_scc1 .LBB348_2559
; %bb.2555:
	s_cmp_lt_i32 s6, 8
	s_cbranch_scc1 .LBB348_2560
; %bb.2556:
	;; [unrolled: 3-line block ×3, first 2 shown]
	s_cmp_gt_i32 s6, 9
	s_cbranch_scc0 .LBB348_2562
; %bb.2558:
	global_load_dwordx2 v[17:18], v[7:8], off
	s_mov_b64 s[0:1], 0
	s_waitcnt vmcnt(0)
	v_cvt_u32_f64_e32 v9, v[17:18]
	s_branch .LBB348_2563
.LBB348_2559:
	s_mov_b64 s[0:1], -1
                                        ; implicit-def: $vgpr9
	s_branch .LBB348_2581
.LBB348_2560:
	s_mov_b64 s[0:1], -1
                                        ; implicit-def: $vgpr9
	s_branch .LBB348_2569
.LBB348_2561:
	s_mov_b64 s[0:1], -1
                                        ; implicit-def: $vgpr9
	s_branch .LBB348_2566
.LBB348_2562:
	s_mov_b64 s[0:1], -1
                                        ; implicit-def: $vgpr9
.LBB348_2563:
	s_andn2_b64 vcc, exec, s[0:1]
	s_cbranch_vccnz .LBB348_2565
; %bb.2564:
	global_load_dword v9, v[7:8], off
	s_waitcnt vmcnt(0)
	v_cvt_u32_f32_e32 v9, v9
.LBB348_2565:
	s_mov_b64 s[0:1], 0
.LBB348_2566:
	s_andn2_b64 vcc, exec, s[0:1]
	s_cbranch_vccnz .LBB348_2568
; %bb.2567:
	global_load_dword v9, v[7:8], off
	s_waitcnt vmcnt(0)
	v_cvt_f32_f16_e32 v9, v9
	v_cvt_u32_f32_e32 v9, v9
.LBB348_2568:
	s_mov_b64 s[0:1], 0
.LBB348_2569:
	s_andn2_b64 vcc, exec, s[0:1]
	s_cbranch_vccnz .LBB348_2580
; %bb.2570:
	s_cmp_lt_i32 s6, 6
	s_cbranch_scc1 .LBB348_2573
; %bb.2571:
	s_cmp_gt_i32 s6, 6
	s_cbranch_scc0 .LBB348_2574
; %bb.2572:
	global_load_dwordx2 v[17:18], v[7:8], off
	s_mov_b64 s[0:1], 0
	s_waitcnt vmcnt(0)
	v_cvt_u32_f64_e32 v9, v[17:18]
	s_branch .LBB348_2575
.LBB348_2573:
	s_mov_b64 s[0:1], -1
                                        ; implicit-def: $vgpr9
	s_branch .LBB348_2578
.LBB348_2574:
	s_mov_b64 s[0:1], -1
                                        ; implicit-def: $vgpr9
.LBB348_2575:
	s_andn2_b64 vcc, exec, s[0:1]
	s_cbranch_vccnz .LBB348_2577
; %bb.2576:
	global_load_dword v9, v[7:8], off
	s_waitcnt vmcnt(0)
	v_cvt_u32_f32_e32 v9, v9
.LBB348_2577:
	s_mov_b64 s[0:1], 0
.LBB348_2578:
	s_andn2_b64 vcc, exec, s[0:1]
	s_cbranch_vccnz .LBB348_2580
; %bb.2579:
	global_load_ushort v9, v[7:8], off
	s_waitcnt vmcnt(0)
	v_cvt_f32_f16_e32 v9, v9
	v_cvt_u32_f32_e32 v9, v9
.LBB348_2580:
	s_mov_b64 s[0:1], 0
.LBB348_2581:
	s_andn2_b64 vcc, exec, s[0:1]
	s_cbranch_vccnz .LBB348_2601
; %bb.2582:
	s_cmp_lt_i32 s6, 2
	s_cbranch_scc1 .LBB348_2586
; %bb.2583:
	s_cmp_lt_i32 s6, 3
	s_cbranch_scc1 .LBB348_2587
; %bb.2584:
	s_cmp_gt_i32 s6, 3
	s_cbranch_scc0 .LBB348_2588
; %bb.2585:
	global_load_dword v9, v[7:8], off
	s_mov_b64 s[0:1], 0
	s_branch .LBB348_2589
.LBB348_2586:
	s_mov_b64 s[0:1], -1
                                        ; implicit-def: $vgpr9
	s_branch .LBB348_2595
.LBB348_2587:
	s_mov_b64 s[0:1], -1
                                        ; implicit-def: $vgpr9
	s_branch .LBB348_2592
.LBB348_2588:
	s_mov_b64 s[0:1], -1
                                        ; implicit-def: $vgpr9
.LBB348_2589:
	s_andn2_b64 vcc, exec, s[0:1]
	s_cbranch_vccnz .LBB348_2591
; %bb.2590:
	global_load_dword v9, v[7:8], off
.LBB348_2591:
	s_mov_b64 s[0:1], 0
.LBB348_2592:
	s_andn2_b64 vcc, exec, s[0:1]
	s_cbranch_vccnz .LBB348_2594
; %bb.2593:
	global_load_sshort v9, v[7:8], off
.LBB348_2594:
	s_mov_b64 s[0:1], 0
.LBB348_2595:
	s_andn2_b64 vcc, exec, s[0:1]
	s_cbranch_vccnz .LBB348_2601
; %bb.2596:
	s_cmp_gt_i32 s6, 0
	s_cbranch_scc0 .LBB348_2598
; %bb.2597:
	global_load_sbyte v9, v[7:8], off
	s_mov_b64 s[0:1], 0
	s_branch .LBB348_2599
.LBB348_2598:
	s_mov_b64 s[0:1], -1
                                        ; implicit-def: $vgpr9
.LBB348_2599:
	s_andn2_b64 vcc, exec, s[0:1]
	s_cbranch_vccnz .LBB348_2601
; %bb.2600:
	global_load_ubyte v9, v[7:8], off
.LBB348_2601:
	s_mov_b64 s[10:11], -1
.LBB348_2602:
	s_andn2_b64 vcc, exec, s[10:11]
	s_cbranch_vccnz .LBB348_3036
; %bb.2603:
	s_load_dwordx2 s[0:1], s[2:3], 0x1a0
	s_waitcnt vmcnt(0)
	v_cmp_ne_u32_e32 vcc, v1, v5
	v_mov_b32_e32 v1, s9
	s_waitcnt lgkmcnt(0)
	s_cmp_eq_u32 s0, 0
	s_cselect_b64 s[2:3], -1, 0
	s_and_b32 s22, s1, 0xff
	s_xor_b64 s[6:7], s[2:3], vcc
	v_add_co_u32_e32 v5, vcc, s8, v6
	s_cmp_lt_i32 s22, 11
	v_addc_co_u32_e32 v6, vcc, 0, v1, vcc
	s_cbranch_scc1 .LBB348_2681
; %bb.2604:
	s_and_b32 s23, 0xffff, s22
	s_mov_b64 s[18:19], -1
	s_mov_b64 s[10:11], 0
	s_cmp_gt_i32 s23, 25
	s_mov_b64 s[16:17], 0
	s_mov_b64 s[0:1], 0
	s_cbranch_scc0 .LBB348_2637
; %bb.2605:
	s_cmp_gt_i32 s23, 28
	s_cbranch_scc0 .LBB348_2620
; %bb.2606:
	s_cmp_gt_i32 s23, 43
	;; [unrolled: 3-line block ×3, first 2 shown]
	s_cbranch_scc0 .LBB348_2610
; %bb.2608:
	s_mov_b64 s[0:1], -1
	s_mov_b64 s[18:19], 0
	s_cmp_eq_u32 s23, 46
	s_cbranch_scc0 .LBB348_2610
; %bb.2609:
	v_cndmask_b32_e64 v1, 0, 1.0, s[6:7]
	v_bfe_u32 v7, v1, 16, 1
	s_movk_i32 s0, 0x7fff
	v_add3_u32 v1, v1, v7, s0
	v_lshrrev_b32_e32 v1, 16, v1
	global_store_dword v[5:6], v1, off
	s_mov_b64 s[0:1], 0
	s_mov_b64 s[16:17], -1
.LBB348_2610:
	s_and_b64 vcc, exec, s[18:19]
	s_cbranch_vccz .LBB348_2615
; %bb.2611:
	s_cmp_eq_u32 s23, 44
	s_mov_b64 s[0:1], -1
	s_cbranch_scc0 .LBB348_2615
; %bb.2612:
	v_cndmask_b32_e64 v7, 0, 1.0, s[6:7]
	v_lshrrev_b32_e32 v1, 23, v7
	s_movk_i32 s0, 0xff
	v_cmp_ne_u32_e32 vcc, s0, v1
	v_mov_b32_e32 v8, 0xff
	s_and_saveexec_b64 s[16:17], vcc
; %bb.2613:
	s_mov_b32 s0, 0x3fffff
	v_and_b32_e32 v8, 0x400000, v7
	v_and_or_b32 v7, v7, s0, v1
	v_cmp_ne_u32_e32 vcc, 0, v8
	v_cmp_ne_u32_e64 s[0:1], 0, v7
	s_and_b64 s[0:1], vcc, s[0:1]
	v_cndmask_b32_e64 v7, 0, 1, s[0:1]
	v_add_u32_e32 v8, v1, v7
; %bb.2614:
	s_or_b64 exec, exec, s[16:17]
	s_mov_b64 s[0:1], 0
	s_mov_b64 s[16:17], -1
	global_store_byte v[5:6], v8, off
.LBB348_2615:
	s_mov_b64 s[18:19], 0
.LBB348_2616:
	s_and_b64 vcc, exec, s[18:19]
	s_cbranch_vccz .LBB348_2619
; %bb.2617:
	s_cmp_eq_u32 s23, 29
	s_mov_b64 s[0:1], -1
	s_cbranch_scc0 .LBB348_2619
; %bb.2618:
	s_mov_b32 s0, 0
	v_cndmask_b32_e64 v7, 0, 1, s[6:7]
	v_mov_b32_e32 v8, s0
	global_store_dwordx2 v[5:6], v[7:8], off
	s_mov_b64 s[0:1], 0
	s_mov_b64 s[16:17], -1
.LBB348_2619:
	s_mov_b64 s[18:19], 0
.LBB348_2620:
	s_and_b64 vcc, exec, s[18:19]
	s_cbranch_vccz .LBB348_2636
; %bb.2621:
	s_cmp_lt_i32 s23, 27
	s_mov_b64 s[16:17], -1
	s_cbranch_scc1 .LBB348_2627
; %bb.2622:
	s_cmp_gt_i32 s23, 27
	s_cbranch_scc0 .LBB348_2624
; %bb.2623:
	v_cndmask_b32_e64 v1, 0, 1, s[6:7]
	s_mov_b64 s[16:17], 0
	global_store_dword v[5:6], v1, off
.LBB348_2624:
	s_andn2_b64 vcc, exec, s[16:17]
	s_cbranch_vccnz .LBB348_2626
; %bb.2625:
	v_cndmask_b32_e64 v1, 0, 1, s[6:7]
	global_store_short v[5:6], v1, off
.LBB348_2626:
	s_mov_b64 s[16:17], 0
.LBB348_2627:
	s_andn2_b64 vcc, exec, s[16:17]
	s_cbranch_vccnz .LBB348_2635
; %bb.2628:
	v_cndmask_b32_e64 v7, 0, 1.0, s[6:7]
	s_mov_b32 s16, 0x43800000
	v_cmp_gt_u32_e32 vcc, s16, v7
	v_mov_b32_e32 v8, 0x80
	s_and_saveexec_b64 s[16:17], vcc
	s_cbranch_execz .LBB348_2634
; %bb.2629:
	s_mov_b32 s18, 0x3bffffff
	v_cmp_lt_u32_e32 vcc, s18, v7
	s_mov_b64 s[18:19], 0
                                        ; implicit-def: $vgpr1
	s_and_saveexec_b64 s[20:21], vcc
	s_xor_b64 s[20:21], exec, s[20:21]
	s_cbranch_execz .LBB348_3083
; %bb.2630:
	v_bfe_u32 v1, v7, 20, 1
	s_mov_b32 s24, 0x487ffff
	v_add3_u32 v1, v7, v1, s24
	s_mov_b64 s[18:19], exec
	v_lshrrev_b32_e32 v1, 20, v1
                                        ; implicit-def: $vgpr7
	s_andn2_saveexec_b64 s[20:21], s[20:21]
	s_cbranch_execnz .LBB348_3084
.LBB348_2631:
	s_or_b64 exec, exec, s[20:21]
	v_mov_b32_e32 v8, 0
	s_and_saveexec_b64 s[20:21], s[18:19]
.LBB348_2632:
	v_mov_b32_e32 v8, v1
.LBB348_2633:
	s_or_b64 exec, exec, s[20:21]
.LBB348_2634:
	s_or_b64 exec, exec, s[16:17]
	global_store_byte v[5:6], v8, off
.LBB348_2635:
	s_mov_b64 s[16:17], -1
.LBB348_2636:
	s_mov_b64 s[18:19], 0
.LBB348_2637:
	s_and_b64 vcc, exec, s[18:19]
	s_cbranch_vccz .LBB348_2677
; %bb.2638:
	s_cmp_gt_i32 s23, 22
	s_mov_b64 s[10:11], -1
	s_cbranch_scc0 .LBB348_2670
; %bb.2639:
	s_cmp_lt_i32 s23, 24
	s_cbranch_scc1 .LBB348_2659
; %bb.2640:
	s_cmp_gt_i32 s23, 24
	s_cbranch_scc0 .LBB348_2648
; %bb.2641:
	v_cndmask_b32_e64 v7, 0, 1.0, s[6:7]
	s_mov_b32 s10, 0x47800000
	v_cmp_gt_u32_e32 vcc, s10, v7
	v_mov_b32_e32 v8, 0x80
	s_and_saveexec_b64 s[10:11], vcc
	s_cbranch_execz .LBB348_2647
; %bb.2642:
	s_mov_b32 s16, 0x37ffffff
	v_cmp_lt_u32_e32 vcc, s16, v7
	s_mov_b64 s[16:17], 0
                                        ; implicit-def: $vgpr1
	s_and_saveexec_b64 s[18:19], vcc
	s_xor_b64 s[18:19], exec, s[18:19]
	s_cbranch_execz .LBB348_3086
; %bb.2643:
	v_bfe_u32 v1, v7, 21, 1
	s_mov_b32 s20, 0x88fffff
	v_add3_u32 v1, v7, v1, s20
	s_mov_b64 s[16:17], exec
	v_lshrrev_b32_e32 v1, 21, v1
                                        ; implicit-def: $vgpr7
	s_andn2_saveexec_b64 s[18:19], s[18:19]
	s_cbranch_execnz .LBB348_3087
.LBB348_2644:
	s_or_b64 exec, exec, s[18:19]
	v_mov_b32_e32 v8, 0
	s_and_saveexec_b64 s[18:19], s[16:17]
.LBB348_2645:
	v_mov_b32_e32 v8, v1
.LBB348_2646:
	s_or_b64 exec, exec, s[18:19]
.LBB348_2647:
	s_or_b64 exec, exec, s[10:11]
	s_mov_b64 s[10:11], 0
	global_store_byte v[5:6], v8, off
.LBB348_2648:
	s_and_b64 vcc, exec, s[10:11]
	s_cbranch_vccz .LBB348_2658
; %bb.2649:
	v_cndmask_b32_e64 v1, 0, 1.0, s[6:7]
	s_mov_b32 s10, 0x43f00000
	v_cmp_gt_u32_e32 vcc, s10, v1
                                        ; implicit-def: $vgpr7
	s_and_saveexec_b64 s[10:11], vcc
	s_xor_b64 s[10:11], exec, s[10:11]
	s_cbranch_execz .LBB348_2655
; %bb.2650:
	s_mov_b32 s16, 0x3c7fffff
	v_cmp_lt_u32_e32 vcc, s16, v1
                                        ; implicit-def: $vgpr7
	s_and_saveexec_b64 s[16:17], vcc
	s_xor_b64 s[16:17], exec, s[16:17]
; %bb.2651:
	v_bfe_u32 v7, v1, 20, 1
	s_mov_b32 s18, 0x407ffff
	v_add3_u32 v1, v1, v7, s18
	v_lshrrev_b32_e32 v7, 20, v1
	v_and_b32_e32 v1, 0xff00000, v1
	s_mov_b32 s18, 0x7f00000
	v_mov_b32_e32 v8, 0x7e
	v_cmp_ne_u32_e32 vcc, s18, v1
	v_cndmask_b32_e32 v7, v8, v7, vcc
                                        ; implicit-def: $vgpr1
; %bb.2652:
	s_andn2_saveexec_b64 s[16:17], s[16:17]
; %bb.2653:
	v_add_f32_e32 v7, 0x46800000, v1
; %bb.2654:
	s_or_b64 exec, exec, s[16:17]
                                        ; implicit-def: $vgpr1
.LBB348_2655:
	s_andn2_saveexec_b64 s[10:11], s[10:11]
; %bb.2656:
	s_mov_b32 s16, 0x7f800000
	v_mov_b32_e32 v7, 0x7e
	v_mov_b32_e32 v8, 0x7f
	v_cmp_lt_u32_e32 vcc, s16, v1
	v_cndmask_b32_e32 v7, v7, v8, vcc
; %bb.2657:
	s_or_b64 exec, exec, s[10:11]
	global_store_byte v[5:6], v7, off
.LBB348_2658:
	s_mov_b64 s[10:11], 0
.LBB348_2659:
	s_andn2_b64 vcc, exec, s[10:11]
	s_cbranch_vccnz .LBB348_2669
; %bb.2660:
	v_cndmask_b32_e64 v1, 0, 1.0, s[6:7]
	s_mov_b32 s10, 0x47800000
	v_cmp_gt_u32_e32 vcc, s10, v1
                                        ; implicit-def: $vgpr7
	s_and_saveexec_b64 s[10:11], vcc
	s_xor_b64 s[10:11], exec, s[10:11]
	s_cbranch_execz .LBB348_2666
; %bb.2661:
	s_mov_b32 s16, 0x387fffff
	v_cmp_lt_u32_e32 vcc, s16, v1
                                        ; implicit-def: $vgpr7
	s_and_saveexec_b64 s[16:17], vcc
	s_xor_b64 s[16:17], exec, s[16:17]
; %bb.2662:
	v_bfe_u32 v7, v1, 21, 1
	s_mov_b32 s18, 0x80fffff
	v_add3_u32 v1, v1, v7, s18
	v_lshrrev_b32_e32 v7, 21, v1
                                        ; implicit-def: $vgpr1
; %bb.2663:
	s_andn2_saveexec_b64 s[16:17], s[16:17]
; %bb.2664:
	v_add_f32_e32 v7, 0x43000000, v1
; %bb.2665:
	s_or_b64 exec, exec, s[16:17]
                                        ; implicit-def: $vgpr1
.LBB348_2666:
	s_andn2_saveexec_b64 s[10:11], s[10:11]
; %bb.2667:
	s_mov_b32 s16, 0x7f800000
	v_mov_b32_e32 v7, 0x7c
	v_mov_b32_e32 v8, 0x7f
	v_cmp_lt_u32_e32 vcc, s16, v1
	v_cndmask_b32_e32 v7, v7, v8, vcc
; %bb.2668:
	s_or_b64 exec, exec, s[10:11]
	global_store_byte v[5:6], v7, off
.LBB348_2669:
	s_mov_b64 s[10:11], 0
	s_mov_b64 s[16:17], -1
.LBB348_2670:
	s_andn2_b64 vcc, exec, s[10:11]
	s_mov_b64 s[10:11], 0
	s_cbranch_vccnz .LBB348_2677
; %bb.2671:
	s_cmp_gt_i32 s23, 14
	s_mov_b64 s[18:19], -1
	s_cbranch_scc0 .LBB348_2675
; %bb.2672:
	s_cmp_eq_u32 s23, 15
	s_mov_b64 s[0:1], -1
	s_cbranch_scc0 .LBB348_2674
; %bb.2673:
	v_cndmask_b32_e64 v1, 0, 1.0, s[6:7]
	v_bfe_u32 v7, v1, 16, 1
	s_movk_i32 s0, 0x7fff
	v_add3_u32 v1, v1, v7, s0
	global_store_short_d16_hi v[5:6], v1, off
	s_mov_b64 s[0:1], 0
	s_mov_b64 s[16:17], -1
.LBB348_2674:
	s_mov_b64 s[18:19], 0
.LBB348_2675:
	s_and_b64 vcc, exec, s[18:19]
	s_cbranch_vccz .LBB348_2677
; %bb.2676:
	s_cmp_lg_u32 s23, 11
	s_mov_b64 s[10:11], -1
	s_cselect_b64 s[0:1], -1, 0
.LBB348_2677:
	s_and_b64 vcc, exec, s[0:1]
	s_cbranch_vccnz .LBB348_3085
; %bb.2678:
	s_andn2_b64 vcc, exec, s[10:11]
	s_cbranch_vccnz .LBB348_2680
.LBB348_2679:
	v_cndmask_b32_e64 v1, 0, 1, s[6:7]
	s_mov_b64 s[16:17], -1
	global_store_byte v[5:6], v1, off
.LBB348_2680:
	s_mov_b64 s[0:1], 0
	s_branch .LBB348_2682
.LBB348_2681:
	s_mov_b64 s[0:1], -1
	s_mov_b64 s[16:17], 0
.LBB348_2682:
	s_and_b64 vcc, exec, s[0:1]
	s_cbranch_vccz .LBB348_2721
; %bb.2683:
	s_and_b32 s10, 0xffff, s22
	s_cmp_lt_i32 s10, 5
	s_mov_b64 s[0:1], -1
	s_cbranch_scc1 .LBB348_2704
; %bb.2684:
	s_cmp_lt_i32 s10, 8
	s_cbranch_scc1 .LBB348_2694
; %bb.2685:
	s_cmp_lt_i32 s10, 9
	s_cbranch_scc1 .LBB348_2691
; %bb.2686:
	s_cmp_gt_i32 s10, 9
	s_cbranch_scc0 .LBB348_2688
; %bb.2687:
	v_cndmask_b32_e64 v1, 0, 1, s[6:7]
	v_cvt_f64_u32_e32 v[17:18], v1
	v_mov_b32_e32 v19, 0
	v_mov_b32_e32 v20, v19
	s_mov_b64 s[0:1], 0
	global_store_dwordx4 v[5:6], v[17:20], off
.LBB348_2688:
	s_andn2_b64 vcc, exec, s[0:1]
	s_cbranch_vccnz .LBB348_2690
; %bb.2689:
	v_cndmask_b32_e64 v7, 0, 1.0, s[6:7]
	v_mov_b32_e32 v8, 0
	global_store_dwordx2 v[5:6], v[7:8], off
.LBB348_2690:
	s_mov_b64 s[0:1], 0
.LBB348_2691:
	s_andn2_b64 vcc, exec, s[0:1]
	s_cbranch_vccnz .LBB348_2693
; %bb.2692:
	v_cndmask_b32_e64 v1, 0, 1.0, s[6:7]
	v_cvt_f16_f32_e32 v1, v1
	global_store_dword v[5:6], v1, off
.LBB348_2693:
	s_mov_b64 s[0:1], 0
.LBB348_2694:
	s_andn2_b64 vcc, exec, s[0:1]
	s_cbranch_vccnz .LBB348_2703
; %bb.2695:
	s_cmp_lt_i32 s10, 6
	s_mov_b64 s[0:1], -1
	s_cbranch_scc1 .LBB348_2701
; %bb.2696:
	s_cmp_gt_i32 s10, 6
	s_cbranch_scc0 .LBB348_2698
; %bb.2697:
	v_cndmask_b32_e64 v1, 0, 1, s[6:7]
	v_cvt_f64_u32_e32 v[7:8], v1
	s_mov_b64 s[0:1], 0
	global_store_dwordx2 v[5:6], v[7:8], off
.LBB348_2698:
	s_andn2_b64 vcc, exec, s[0:1]
	s_cbranch_vccnz .LBB348_2700
; %bb.2699:
	v_cndmask_b32_e64 v1, 0, 1.0, s[6:7]
	global_store_dword v[5:6], v1, off
.LBB348_2700:
	s_mov_b64 s[0:1], 0
.LBB348_2701:
	s_andn2_b64 vcc, exec, s[0:1]
	s_cbranch_vccnz .LBB348_2703
; %bb.2702:
	v_cndmask_b32_e64 v1, 0, 1.0, s[6:7]
	v_cvt_f16_f32_e32 v1, v1
	global_store_short v[5:6], v1, off
.LBB348_2703:
	s_mov_b64 s[0:1], 0
.LBB348_2704:
	s_andn2_b64 vcc, exec, s[0:1]
	s_cbranch_vccnz .LBB348_2720
; %bb.2705:
	s_cmp_lt_i32 s10, 2
	s_mov_b64 s[0:1], -1
	s_cbranch_scc1 .LBB348_2715
; %bb.2706:
	s_cmp_lt_i32 s10, 3
	s_cbranch_scc1 .LBB348_2712
; %bb.2707:
	s_cmp_gt_i32 s10, 3
	s_cbranch_scc0 .LBB348_2709
; %bb.2708:
	s_mov_b32 s0, 0
	v_cndmask_b32_e64 v7, 0, 1, s[6:7]
	v_mov_b32_e32 v8, s0
	global_store_dwordx2 v[5:6], v[7:8], off
	s_mov_b64 s[0:1], 0
.LBB348_2709:
	s_andn2_b64 vcc, exec, s[0:1]
	s_cbranch_vccnz .LBB348_2711
; %bb.2710:
	v_cndmask_b32_e64 v1, 0, 1, s[6:7]
	global_store_dword v[5:6], v1, off
.LBB348_2711:
	s_mov_b64 s[0:1], 0
.LBB348_2712:
	s_andn2_b64 vcc, exec, s[0:1]
	s_cbranch_vccnz .LBB348_2714
; %bb.2713:
	v_cndmask_b32_e64 v1, 0, 1, s[6:7]
	global_store_short v[5:6], v1, off
.LBB348_2714:
	s_mov_b64 s[0:1], 0
.LBB348_2715:
	s_andn2_b64 vcc, exec, s[0:1]
	s_cbranch_vccnz .LBB348_2720
; %bb.2716:
	s_mov_b64 s[0:1], -1
	s_cmp_gt_i32 s10, 0
	v_cndmask_b32_e64 v1, 0, 1, s[6:7]
	s_cbranch_scc0 .LBB348_2718
; %bb.2717:
	global_store_byte v[5:6], v1, off
	s_mov_b64 s[0:1], 0
.LBB348_2718:
	s_andn2_b64 vcc, exec, s[0:1]
	s_cbranch_vccnz .LBB348_2720
; %bb.2719:
	global_store_byte v[5:6], v1, off
.LBB348_2720:
	s_mov_b64 s[16:17], -1
.LBB348_2721:
	s_andn2_b64 vcc, exec, s[16:17]
	s_cbranch_vccnz .LBB348_3036
; %bb.2722:
	v_cmp_ne_u32_e32 vcc, v3, v16
	s_xor_b64 s[6:7], s[2:3], vcc
	v_mov_b32_e32 v1, s9
	s_and_b32 s23, 0xffff, s22
	v_add_co_u32_e32 v3, vcc, s8, v4
	s_cmp_lt_i32 s23, 11
	v_addc_co_u32_e32 v4, vcc, 0, v1, vcc
	s_cbranch_scc1 .LBB348_2800
; %bb.2723:
	s_mov_b64 s[18:19], -1
	s_mov_b64 s[10:11], 0
	s_cmp_gt_i32 s23, 25
	s_mov_b64 s[16:17], 0
	s_mov_b64 s[0:1], 0
	s_cbranch_scc0 .LBB348_2756
; %bb.2724:
	s_cmp_gt_i32 s23, 28
	s_cbranch_scc0 .LBB348_2739
; %bb.2725:
	s_cmp_gt_i32 s23, 43
	;; [unrolled: 3-line block ×3, first 2 shown]
	s_cbranch_scc0 .LBB348_2729
; %bb.2727:
	s_mov_b64 s[0:1], -1
	s_mov_b64 s[18:19], 0
	s_cmp_eq_u32 s23, 46
	s_cbranch_scc0 .LBB348_2729
; %bb.2728:
	v_cndmask_b32_e64 v1, 0, 1.0, s[6:7]
	v_bfe_u32 v5, v1, 16, 1
	s_movk_i32 s0, 0x7fff
	v_add3_u32 v1, v1, v5, s0
	v_lshrrev_b32_e32 v1, 16, v1
	global_store_dword v[3:4], v1, off
	s_mov_b64 s[0:1], 0
	s_mov_b64 s[16:17], -1
.LBB348_2729:
	s_and_b64 vcc, exec, s[18:19]
	s_cbranch_vccz .LBB348_2734
; %bb.2730:
	s_cmp_eq_u32 s23, 44
	s_mov_b64 s[0:1], -1
	s_cbranch_scc0 .LBB348_2734
; %bb.2731:
	v_cndmask_b32_e64 v5, 0, 1.0, s[6:7]
	v_lshrrev_b32_e32 v1, 23, v5
	s_movk_i32 s0, 0xff
	v_cmp_ne_u32_e32 vcc, s0, v1
	v_mov_b32_e32 v6, 0xff
	s_and_saveexec_b64 s[16:17], vcc
; %bb.2732:
	s_mov_b32 s0, 0x3fffff
	v_and_b32_e32 v6, 0x400000, v5
	v_and_or_b32 v5, v5, s0, v1
	v_cmp_ne_u32_e32 vcc, 0, v6
	v_cmp_ne_u32_e64 s[0:1], 0, v5
	s_and_b64 s[0:1], vcc, s[0:1]
	v_cndmask_b32_e64 v5, 0, 1, s[0:1]
	v_add_u32_e32 v6, v1, v5
; %bb.2733:
	s_or_b64 exec, exec, s[16:17]
	s_mov_b64 s[0:1], 0
	s_mov_b64 s[16:17], -1
	global_store_byte v[3:4], v6, off
.LBB348_2734:
	s_mov_b64 s[18:19], 0
.LBB348_2735:
	s_and_b64 vcc, exec, s[18:19]
	s_cbranch_vccz .LBB348_2738
; %bb.2736:
	s_cmp_eq_u32 s23, 29
	s_mov_b64 s[0:1], -1
	s_cbranch_scc0 .LBB348_2738
; %bb.2737:
	s_mov_b32 s0, 0
	v_cndmask_b32_e64 v5, 0, 1, s[6:7]
	v_mov_b32_e32 v6, s0
	global_store_dwordx2 v[3:4], v[5:6], off
	s_mov_b64 s[0:1], 0
	s_mov_b64 s[16:17], -1
.LBB348_2738:
	s_mov_b64 s[18:19], 0
.LBB348_2739:
	s_and_b64 vcc, exec, s[18:19]
	s_cbranch_vccz .LBB348_2755
; %bb.2740:
	s_cmp_lt_i32 s23, 27
	s_mov_b64 s[16:17], -1
	s_cbranch_scc1 .LBB348_2746
; %bb.2741:
	s_cmp_gt_i32 s23, 27
	s_cbranch_scc0 .LBB348_2743
; %bb.2742:
	v_cndmask_b32_e64 v1, 0, 1, s[6:7]
	s_mov_b64 s[16:17], 0
	global_store_dword v[3:4], v1, off
.LBB348_2743:
	s_andn2_b64 vcc, exec, s[16:17]
	s_cbranch_vccnz .LBB348_2745
; %bb.2744:
	v_cndmask_b32_e64 v1, 0, 1, s[6:7]
	global_store_short v[3:4], v1, off
.LBB348_2745:
	s_mov_b64 s[16:17], 0
.LBB348_2746:
	s_andn2_b64 vcc, exec, s[16:17]
	s_cbranch_vccnz .LBB348_2754
; %bb.2747:
	v_cndmask_b32_e64 v5, 0, 1.0, s[6:7]
	s_mov_b32 s16, 0x43800000
	v_cmp_gt_u32_e32 vcc, s16, v5
	v_mov_b32_e32 v6, 0x80
	s_and_saveexec_b64 s[16:17], vcc
	s_cbranch_execz .LBB348_2753
; %bb.2748:
	s_mov_b32 s18, 0x3bffffff
	v_cmp_lt_u32_e32 vcc, s18, v5
	s_mov_b64 s[18:19], 0
                                        ; implicit-def: $vgpr1
	s_and_saveexec_b64 s[20:21], vcc
	s_xor_b64 s[20:21], exec, s[20:21]
	s_cbranch_execz .LBB348_3088
; %bb.2749:
	v_bfe_u32 v1, v5, 20, 1
	s_mov_b32 s24, 0x487ffff
	v_add3_u32 v1, v5, v1, s24
	s_mov_b64 s[18:19], exec
	v_lshrrev_b32_e32 v1, 20, v1
                                        ; implicit-def: $vgpr5
	s_andn2_saveexec_b64 s[20:21], s[20:21]
	s_cbranch_execnz .LBB348_3089
.LBB348_2750:
	s_or_b64 exec, exec, s[20:21]
	v_mov_b32_e32 v6, 0
	s_and_saveexec_b64 s[20:21], s[18:19]
.LBB348_2751:
	v_mov_b32_e32 v6, v1
.LBB348_2752:
	s_or_b64 exec, exec, s[20:21]
.LBB348_2753:
	s_or_b64 exec, exec, s[16:17]
	global_store_byte v[3:4], v6, off
.LBB348_2754:
	s_mov_b64 s[16:17], -1
.LBB348_2755:
	s_mov_b64 s[18:19], 0
.LBB348_2756:
	s_and_b64 vcc, exec, s[18:19]
	s_cbranch_vccz .LBB348_2796
; %bb.2757:
	s_cmp_gt_i32 s23, 22
	s_mov_b64 s[10:11], -1
	s_cbranch_scc0 .LBB348_2789
; %bb.2758:
	s_cmp_lt_i32 s23, 24
	s_cbranch_scc1 .LBB348_2778
; %bb.2759:
	s_cmp_gt_i32 s23, 24
	s_cbranch_scc0 .LBB348_2767
; %bb.2760:
	v_cndmask_b32_e64 v5, 0, 1.0, s[6:7]
	s_mov_b32 s10, 0x47800000
	v_cmp_gt_u32_e32 vcc, s10, v5
	v_mov_b32_e32 v6, 0x80
	s_and_saveexec_b64 s[10:11], vcc
	s_cbranch_execz .LBB348_2766
; %bb.2761:
	s_mov_b32 s16, 0x37ffffff
	v_cmp_lt_u32_e32 vcc, s16, v5
	s_mov_b64 s[16:17], 0
                                        ; implicit-def: $vgpr1
	s_and_saveexec_b64 s[18:19], vcc
	s_xor_b64 s[18:19], exec, s[18:19]
	s_cbranch_execz .LBB348_3091
; %bb.2762:
	v_bfe_u32 v1, v5, 21, 1
	s_mov_b32 s20, 0x88fffff
	v_add3_u32 v1, v5, v1, s20
	s_mov_b64 s[16:17], exec
	v_lshrrev_b32_e32 v1, 21, v1
                                        ; implicit-def: $vgpr5
	s_andn2_saveexec_b64 s[18:19], s[18:19]
	s_cbranch_execnz .LBB348_3092
.LBB348_2763:
	s_or_b64 exec, exec, s[18:19]
	v_mov_b32_e32 v6, 0
	s_and_saveexec_b64 s[18:19], s[16:17]
.LBB348_2764:
	v_mov_b32_e32 v6, v1
.LBB348_2765:
	s_or_b64 exec, exec, s[18:19]
.LBB348_2766:
	s_or_b64 exec, exec, s[10:11]
	s_mov_b64 s[10:11], 0
	global_store_byte v[3:4], v6, off
.LBB348_2767:
	s_and_b64 vcc, exec, s[10:11]
	s_cbranch_vccz .LBB348_2777
; %bb.2768:
	v_cndmask_b32_e64 v1, 0, 1.0, s[6:7]
	s_mov_b32 s10, 0x43f00000
	v_cmp_gt_u32_e32 vcc, s10, v1
                                        ; implicit-def: $vgpr5
	s_and_saveexec_b64 s[10:11], vcc
	s_xor_b64 s[10:11], exec, s[10:11]
	s_cbranch_execz .LBB348_2774
; %bb.2769:
	s_mov_b32 s16, 0x3c7fffff
	v_cmp_lt_u32_e32 vcc, s16, v1
                                        ; implicit-def: $vgpr5
	s_and_saveexec_b64 s[16:17], vcc
	s_xor_b64 s[16:17], exec, s[16:17]
; %bb.2770:
	v_bfe_u32 v5, v1, 20, 1
	s_mov_b32 s18, 0x407ffff
	v_add3_u32 v1, v1, v5, s18
	v_lshrrev_b32_e32 v5, 20, v1
	v_and_b32_e32 v1, 0xff00000, v1
	s_mov_b32 s18, 0x7f00000
	v_mov_b32_e32 v6, 0x7e
	v_cmp_ne_u32_e32 vcc, s18, v1
	v_cndmask_b32_e32 v5, v6, v5, vcc
                                        ; implicit-def: $vgpr1
; %bb.2771:
	s_andn2_saveexec_b64 s[16:17], s[16:17]
; %bb.2772:
	v_add_f32_e32 v5, 0x46800000, v1
; %bb.2773:
	s_or_b64 exec, exec, s[16:17]
                                        ; implicit-def: $vgpr1
.LBB348_2774:
	s_andn2_saveexec_b64 s[10:11], s[10:11]
; %bb.2775:
	s_mov_b32 s16, 0x7f800000
	v_mov_b32_e32 v5, 0x7e
	v_mov_b32_e32 v6, 0x7f
	v_cmp_lt_u32_e32 vcc, s16, v1
	v_cndmask_b32_e32 v5, v5, v6, vcc
; %bb.2776:
	s_or_b64 exec, exec, s[10:11]
	global_store_byte v[3:4], v5, off
.LBB348_2777:
	s_mov_b64 s[10:11], 0
.LBB348_2778:
	s_andn2_b64 vcc, exec, s[10:11]
	s_cbranch_vccnz .LBB348_2788
; %bb.2779:
	v_cndmask_b32_e64 v1, 0, 1.0, s[6:7]
	s_mov_b32 s10, 0x47800000
	v_cmp_gt_u32_e32 vcc, s10, v1
                                        ; implicit-def: $vgpr5
	s_and_saveexec_b64 s[10:11], vcc
	s_xor_b64 s[10:11], exec, s[10:11]
	s_cbranch_execz .LBB348_2785
; %bb.2780:
	s_mov_b32 s16, 0x387fffff
	v_cmp_lt_u32_e32 vcc, s16, v1
                                        ; implicit-def: $vgpr5
	s_and_saveexec_b64 s[16:17], vcc
	s_xor_b64 s[16:17], exec, s[16:17]
; %bb.2781:
	v_bfe_u32 v5, v1, 21, 1
	s_mov_b32 s18, 0x80fffff
	v_add3_u32 v1, v1, v5, s18
	v_lshrrev_b32_e32 v5, 21, v1
                                        ; implicit-def: $vgpr1
; %bb.2782:
	s_andn2_saveexec_b64 s[16:17], s[16:17]
; %bb.2783:
	v_add_f32_e32 v5, 0x43000000, v1
; %bb.2784:
	s_or_b64 exec, exec, s[16:17]
                                        ; implicit-def: $vgpr1
.LBB348_2785:
	s_andn2_saveexec_b64 s[10:11], s[10:11]
; %bb.2786:
	s_mov_b32 s16, 0x7f800000
	v_mov_b32_e32 v5, 0x7c
	v_mov_b32_e32 v6, 0x7f
	v_cmp_lt_u32_e32 vcc, s16, v1
	v_cndmask_b32_e32 v5, v5, v6, vcc
; %bb.2787:
	s_or_b64 exec, exec, s[10:11]
	global_store_byte v[3:4], v5, off
.LBB348_2788:
	s_mov_b64 s[10:11], 0
	s_mov_b64 s[16:17], -1
.LBB348_2789:
	s_andn2_b64 vcc, exec, s[10:11]
	s_mov_b64 s[10:11], 0
	s_cbranch_vccnz .LBB348_2796
; %bb.2790:
	s_cmp_gt_i32 s23, 14
	s_mov_b64 s[18:19], -1
	s_cbranch_scc0 .LBB348_2794
; %bb.2791:
	s_cmp_eq_u32 s23, 15
	s_mov_b64 s[0:1], -1
	s_cbranch_scc0 .LBB348_2793
; %bb.2792:
	v_cndmask_b32_e64 v1, 0, 1.0, s[6:7]
	v_bfe_u32 v5, v1, 16, 1
	s_movk_i32 s0, 0x7fff
	v_add3_u32 v1, v1, v5, s0
	global_store_short_d16_hi v[3:4], v1, off
	s_mov_b64 s[0:1], 0
	s_mov_b64 s[16:17], -1
.LBB348_2793:
	s_mov_b64 s[18:19], 0
.LBB348_2794:
	s_and_b64 vcc, exec, s[18:19]
	s_cbranch_vccz .LBB348_2796
; %bb.2795:
	s_cmp_lg_u32 s23, 11
	s_mov_b64 s[10:11], -1
	s_cselect_b64 s[0:1], -1, 0
.LBB348_2796:
	s_and_b64 vcc, exec, s[0:1]
	s_cbranch_vccnz .LBB348_3090
; %bb.2797:
	s_andn2_b64 vcc, exec, s[10:11]
	s_cbranch_vccnz .LBB348_2799
.LBB348_2798:
	v_cndmask_b32_e64 v1, 0, 1, s[6:7]
	s_mov_b64 s[16:17], -1
	global_store_byte v[3:4], v1, off
.LBB348_2799:
	s_mov_b64 s[0:1], 0
	s_branch .LBB348_2801
.LBB348_2800:
	s_mov_b64 s[0:1], -1
	s_mov_b64 s[16:17], 0
.LBB348_2801:
	s_and_b64 vcc, exec, s[0:1]
	s_cbranch_vccz .LBB348_2840
; %bb.2802:
	s_cmp_lt_i32 s23, 5
	s_mov_b64 s[0:1], -1
	s_cbranch_scc1 .LBB348_2823
; %bb.2803:
	s_cmp_lt_i32 s23, 8
	s_cbranch_scc1 .LBB348_2813
; %bb.2804:
	s_cmp_lt_i32 s23, 9
	s_cbranch_scc1 .LBB348_2810
; %bb.2805:
	s_cmp_gt_i32 s23, 9
	s_cbranch_scc0 .LBB348_2807
; %bb.2806:
	v_cndmask_b32_e64 v1, 0, 1, s[6:7]
	v_cvt_f64_u32_e32 v[5:6], v1
	v_mov_b32_e32 v7, 0
	v_mov_b32_e32 v8, v7
	s_mov_b64 s[0:1], 0
	global_store_dwordx4 v[3:4], v[5:8], off
.LBB348_2807:
	s_andn2_b64 vcc, exec, s[0:1]
	s_cbranch_vccnz .LBB348_2809
; %bb.2808:
	v_cndmask_b32_e64 v5, 0, 1.0, s[6:7]
	v_mov_b32_e32 v6, 0
	global_store_dwordx2 v[3:4], v[5:6], off
.LBB348_2809:
	s_mov_b64 s[0:1], 0
.LBB348_2810:
	s_andn2_b64 vcc, exec, s[0:1]
	s_cbranch_vccnz .LBB348_2812
; %bb.2811:
	v_cndmask_b32_e64 v1, 0, 1.0, s[6:7]
	v_cvt_f16_f32_e32 v1, v1
	global_store_dword v[3:4], v1, off
.LBB348_2812:
	s_mov_b64 s[0:1], 0
.LBB348_2813:
	s_andn2_b64 vcc, exec, s[0:1]
	s_cbranch_vccnz .LBB348_2822
; %bb.2814:
	s_cmp_lt_i32 s23, 6
	s_mov_b64 s[0:1], -1
	s_cbranch_scc1 .LBB348_2820
; %bb.2815:
	s_cmp_gt_i32 s23, 6
	s_cbranch_scc0 .LBB348_2817
; %bb.2816:
	v_cndmask_b32_e64 v1, 0, 1, s[6:7]
	v_cvt_f64_u32_e32 v[5:6], v1
	s_mov_b64 s[0:1], 0
	global_store_dwordx2 v[3:4], v[5:6], off
.LBB348_2817:
	s_andn2_b64 vcc, exec, s[0:1]
	s_cbranch_vccnz .LBB348_2819
; %bb.2818:
	v_cndmask_b32_e64 v1, 0, 1.0, s[6:7]
	global_store_dword v[3:4], v1, off
.LBB348_2819:
	s_mov_b64 s[0:1], 0
.LBB348_2820:
	s_andn2_b64 vcc, exec, s[0:1]
	s_cbranch_vccnz .LBB348_2822
; %bb.2821:
	v_cndmask_b32_e64 v1, 0, 1.0, s[6:7]
	v_cvt_f16_f32_e32 v1, v1
	global_store_short v[3:4], v1, off
.LBB348_2822:
	s_mov_b64 s[0:1], 0
.LBB348_2823:
	s_andn2_b64 vcc, exec, s[0:1]
	s_cbranch_vccnz .LBB348_2839
; %bb.2824:
	s_cmp_lt_i32 s23, 2
	s_mov_b64 s[0:1], -1
	s_cbranch_scc1 .LBB348_2834
; %bb.2825:
	s_cmp_lt_i32 s23, 3
	s_cbranch_scc1 .LBB348_2831
; %bb.2826:
	s_cmp_gt_i32 s23, 3
	s_cbranch_scc0 .LBB348_2828
; %bb.2827:
	s_mov_b32 s0, 0
	v_cndmask_b32_e64 v5, 0, 1, s[6:7]
	v_mov_b32_e32 v6, s0
	global_store_dwordx2 v[3:4], v[5:6], off
	s_mov_b64 s[0:1], 0
.LBB348_2828:
	s_andn2_b64 vcc, exec, s[0:1]
	s_cbranch_vccnz .LBB348_2830
; %bb.2829:
	v_cndmask_b32_e64 v1, 0, 1, s[6:7]
	global_store_dword v[3:4], v1, off
.LBB348_2830:
	s_mov_b64 s[0:1], 0
.LBB348_2831:
	s_andn2_b64 vcc, exec, s[0:1]
	s_cbranch_vccnz .LBB348_2833
; %bb.2832:
	v_cndmask_b32_e64 v1, 0, 1, s[6:7]
	global_store_short v[3:4], v1, off
.LBB348_2833:
	s_mov_b64 s[0:1], 0
.LBB348_2834:
	s_andn2_b64 vcc, exec, s[0:1]
	s_cbranch_vccnz .LBB348_2839
; %bb.2835:
	s_mov_b64 s[0:1], -1
	s_cmp_gt_i32 s23, 0
	v_cndmask_b32_e64 v1, 0, 1, s[6:7]
	s_cbranch_scc0 .LBB348_2837
; %bb.2836:
	global_store_byte v[3:4], v1, off
	s_mov_b64 s[0:1], 0
.LBB348_2837:
	s_andn2_b64 vcc, exec, s[0:1]
	s_cbranch_vccnz .LBB348_2839
; %bb.2838:
	global_store_byte v[3:4], v1, off
.LBB348_2839:
	s_mov_b64 s[16:17], -1
.LBB348_2840:
	s_andn2_b64 vcc, exec, s[16:17]
	s_cbranch_vccnz .LBB348_3036
; %bb.2841:
	v_cmp_ne_u32_e32 vcc, v14, v12
	s_xor_b64 s[6:7], s[2:3], vcc
	v_mov_b32_e32 v3, s9
	v_add_co_u32_e32 v1, vcc, s8, v2
	s_cmp_lt_i32 s23, 11
	v_addc_co_u32_e32 v2, vcc, 0, v3, vcc
	s_cbranch_scc1 .LBB348_2919
; %bb.2842:
	s_mov_b64 s[18:19], -1
	s_mov_b64 s[10:11], 0
	s_cmp_gt_i32 s23, 25
	s_mov_b64 s[16:17], 0
	s_mov_b64 s[0:1], 0
	s_cbranch_scc0 .LBB348_2875
; %bb.2843:
	s_cmp_gt_i32 s23, 28
	s_cbranch_scc0 .LBB348_2858
; %bb.2844:
	s_cmp_gt_i32 s23, 43
	;; [unrolled: 3-line block ×3, first 2 shown]
	s_cbranch_scc0 .LBB348_2848
; %bb.2846:
	s_mov_b64 s[0:1], -1
	s_mov_b64 s[18:19], 0
	s_cmp_eq_u32 s23, 46
	s_cbranch_scc0 .LBB348_2848
; %bb.2847:
	v_cndmask_b32_e64 v3, 0, 1.0, s[6:7]
	v_bfe_u32 v4, v3, 16, 1
	s_movk_i32 s0, 0x7fff
	v_add3_u32 v3, v3, v4, s0
	v_lshrrev_b32_e32 v3, 16, v3
	global_store_dword v[1:2], v3, off
	s_mov_b64 s[0:1], 0
	s_mov_b64 s[16:17], -1
.LBB348_2848:
	s_and_b64 vcc, exec, s[18:19]
	s_cbranch_vccz .LBB348_2853
; %bb.2849:
	s_cmp_eq_u32 s23, 44
	s_mov_b64 s[0:1], -1
	s_cbranch_scc0 .LBB348_2853
; %bb.2850:
	v_cndmask_b32_e64 v4, 0, 1.0, s[6:7]
	v_lshrrev_b32_e32 v3, 23, v4
	s_movk_i32 s0, 0xff
	v_cmp_ne_u32_e32 vcc, s0, v3
	v_mov_b32_e32 v5, 0xff
	s_and_saveexec_b64 s[16:17], vcc
; %bb.2851:
	s_mov_b32 s0, 0x3fffff
	v_and_b32_e32 v5, 0x400000, v4
	v_and_or_b32 v4, v4, s0, v3
	v_cmp_ne_u32_e32 vcc, 0, v5
	v_cmp_ne_u32_e64 s[0:1], 0, v4
	s_and_b64 s[0:1], vcc, s[0:1]
	v_cndmask_b32_e64 v4, 0, 1, s[0:1]
	v_add_u32_e32 v5, v3, v4
; %bb.2852:
	s_or_b64 exec, exec, s[16:17]
	s_mov_b64 s[0:1], 0
	s_mov_b64 s[16:17], -1
	global_store_byte v[1:2], v5, off
.LBB348_2853:
	s_mov_b64 s[18:19], 0
.LBB348_2854:
	s_and_b64 vcc, exec, s[18:19]
	s_cbranch_vccz .LBB348_2857
; %bb.2855:
	s_cmp_eq_u32 s23, 29
	s_mov_b64 s[0:1], -1
	s_cbranch_scc0 .LBB348_2857
; %bb.2856:
	s_mov_b32 s0, 0
	v_cndmask_b32_e64 v3, 0, 1, s[6:7]
	v_mov_b32_e32 v4, s0
	global_store_dwordx2 v[1:2], v[3:4], off
	s_mov_b64 s[0:1], 0
	s_mov_b64 s[16:17], -1
.LBB348_2857:
	s_mov_b64 s[18:19], 0
.LBB348_2858:
	s_and_b64 vcc, exec, s[18:19]
	s_cbranch_vccz .LBB348_2874
; %bb.2859:
	s_cmp_lt_i32 s23, 27
	s_mov_b64 s[16:17], -1
	s_cbranch_scc1 .LBB348_2865
; %bb.2860:
	s_cmp_gt_i32 s23, 27
	s_cbranch_scc0 .LBB348_2862
; %bb.2861:
	v_cndmask_b32_e64 v3, 0, 1, s[6:7]
	s_mov_b64 s[16:17], 0
	global_store_dword v[1:2], v3, off
.LBB348_2862:
	s_andn2_b64 vcc, exec, s[16:17]
	s_cbranch_vccnz .LBB348_2864
; %bb.2863:
	v_cndmask_b32_e64 v3, 0, 1, s[6:7]
	global_store_short v[1:2], v3, off
.LBB348_2864:
	s_mov_b64 s[16:17], 0
.LBB348_2865:
	s_andn2_b64 vcc, exec, s[16:17]
	s_cbranch_vccnz .LBB348_2873
; %bb.2866:
	v_cndmask_b32_e64 v4, 0, 1.0, s[6:7]
	s_mov_b32 s16, 0x43800000
	v_cmp_gt_u32_e32 vcc, s16, v4
	v_mov_b32_e32 v5, 0x80
	s_and_saveexec_b64 s[16:17], vcc
	s_cbranch_execz .LBB348_2872
; %bb.2867:
	s_mov_b32 s18, 0x3bffffff
	v_cmp_lt_u32_e32 vcc, s18, v4
	s_mov_b64 s[18:19], 0
                                        ; implicit-def: $vgpr3
	s_and_saveexec_b64 s[20:21], vcc
	s_xor_b64 s[20:21], exec, s[20:21]
	s_cbranch_execz .LBB348_3093
; %bb.2868:
	v_bfe_u32 v3, v4, 20, 1
	s_mov_b32 s24, 0x487ffff
	v_add3_u32 v3, v4, v3, s24
	s_mov_b64 s[18:19], exec
	v_lshrrev_b32_e32 v3, 20, v3
                                        ; implicit-def: $vgpr4
	s_andn2_saveexec_b64 s[20:21], s[20:21]
	s_cbranch_execnz .LBB348_3094
.LBB348_2869:
	s_or_b64 exec, exec, s[20:21]
	v_mov_b32_e32 v5, 0
	s_and_saveexec_b64 s[20:21], s[18:19]
.LBB348_2870:
	v_mov_b32_e32 v5, v3
.LBB348_2871:
	s_or_b64 exec, exec, s[20:21]
.LBB348_2872:
	s_or_b64 exec, exec, s[16:17]
	global_store_byte v[1:2], v5, off
.LBB348_2873:
	s_mov_b64 s[16:17], -1
.LBB348_2874:
	s_mov_b64 s[18:19], 0
.LBB348_2875:
	s_and_b64 vcc, exec, s[18:19]
	s_cbranch_vccz .LBB348_2915
; %bb.2876:
	s_cmp_gt_i32 s23, 22
	s_mov_b64 s[10:11], -1
	s_cbranch_scc0 .LBB348_2908
; %bb.2877:
	s_cmp_lt_i32 s23, 24
	s_cbranch_scc1 .LBB348_2897
; %bb.2878:
	s_cmp_gt_i32 s23, 24
	s_cbranch_scc0 .LBB348_2886
; %bb.2879:
	v_cndmask_b32_e64 v4, 0, 1.0, s[6:7]
	s_mov_b32 s10, 0x47800000
	v_cmp_gt_u32_e32 vcc, s10, v4
	v_mov_b32_e32 v5, 0x80
	s_and_saveexec_b64 s[10:11], vcc
	s_cbranch_execz .LBB348_2885
; %bb.2880:
	s_mov_b32 s16, 0x37ffffff
	v_cmp_lt_u32_e32 vcc, s16, v4
	s_mov_b64 s[16:17], 0
                                        ; implicit-def: $vgpr3
	s_and_saveexec_b64 s[18:19], vcc
	s_xor_b64 s[18:19], exec, s[18:19]
	s_cbranch_execz .LBB348_3096
; %bb.2881:
	v_bfe_u32 v3, v4, 21, 1
	s_mov_b32 s20, 0x88fffff
	v_add3_u32 v3, v4, v3, s20
	s_mov_b64 s[16:17], exec
	v_lshrrev_b32_e32 v3, 21, v3
                                        ; implicit-def: $vgpr4
	s_andn2_saveexec_b64 s[18:19], s[18:19]
	s_cbranch_execnz .LBB348_3097
.LBB348_2882:
	s_or_b64 exec, exec, s[18:19]
	v_mov_b32_e32 v5, 0
	s_and_saveexec_b64 s[18:19], s[16:17]
.LBB348_2883:
	v_mov_b32_e32 v5, v3
.LBB348_2884:
	s_or_b64 exec, exec, s[18:19]
.LBB348_2885:
	s_or_b64 exec, exec, s[10:11]
	s_mov_b64 s[10:11], 0
	global_store_byte v[1:2], v5, off
.LBB348_2886:
	s_and_b64 vcc, exec, s[10:11]
	s_cbranch_vccz .LBB348_2896
; %bb.2887:
	v_cndmask_b32_e64 v3, 0, 1.0, s[6:7]
	s_mov_b32 s10, 0x43f00000
	v_cmp_gt_u32_e32 vcc, s10, v3
                                        ; implicit-def: $vgpr4
	s_and_saveexec_b64 s[10:11], vcc
	s_xor_b64 s[10:11], exec, s[10:11]
	s_cbranch_execz .LBB348_2893
; %bb.2888:
	s_mov_b32 s16, 0x3c7fffff
	v_cmp_lt_u32_e32 vcc, s16, v3
                                        ; implicit-def: $vgpr4
	s_and_saveexec_b64 s[16:17], vcc
	s_xor_b64 s[16:17], exec, s[16:17]
; %bb.2889:
	v_bfe_u32 v4, v3, 20, 1
	s_mov_b32 s18, 0x407ffff
	v_add3_u32 v3, v3, v4, s18
	v_lshrrev_b32_e32 v4, 20, v3
	v_and_b32_e32 v3, 0xff00000, v3
	s_mov_b32 s18, 0x7f00000
	v_mov_b32_e32 v5, 0x7e
	v_cmp_ne_u32_e32 vcc, s18, v3
	v_cndmask_b32_e32 v4, v5, v4, vcc
                                        ; implicit-def: $vgpr3
; %bb.2890:
	s_andn2_saveexec_b64 s[16:17], s[16:17]
; %bb.2891:
	v_add_f32_e32 v4, 0x46800000, v3
; %bb.2892:
	s_or_b64 exec, exec, s[16:17]
                                        ; implicit-def: $vgpr3
.LBB348_2893:
	s_andn2_saveexec_b64 s[10:11], s[10:11]
; %bb.2894:
	s_mov_b32 s16, 0x7f800000
	v_mov_b32_e32 v4, 0x7e
	v_mov_b32_e32 v5, 0x7f
	v_cmp_lt_u32_e32 vcc, s16, v3
	v_cndmask_b32_e32 v4, v4, v5, vcc
; %bb.2895:
	s_or_b64 exec, exec, s[10:11]
	global_store_byte v[1:2], v4, off
.LBB348_2896:
	s_mov_b64 s[10:11], 0
.LBB348_2897:
	s_andn2_b64 vcc, exec, s[10:11]
	s_cbranch_vccnz .LBB348_2907
; %bb.2898:
	v_cndmask_b32_e64 v3, 0, 1.0, s[6:7]
	s_mov_b32 s10, 0x47800000
	v_cmp_gt_u32_e32 vcc, s10, v3
                                        ; implicit-def: $vgpr4
	s_and_saveexec_b64 s[10:11], vcc
	s_xor_b64 s[10:11], exec, s[10:11]
	s_cbranch_execz .LBB348_2904
; %bb.2899:
	s_mov_b32 s16, 0x387fffff
	v_cmp_lt_u32_e32 vcc, s16, v3
                                        ; implicit-def: $vgpr4
	s_and_saveexec_b64 s[16:17], vcc
	s_xor_b64 s[16:17], exec, s[16:17]
; %bb.2900:
	v_bfe_u32 v4, v3, 21, 1
	s_mov_b32 s18, 0x80fffff
	v_add3_u32 v3, v3, v4, s18
	v_lshrrev_b32_e32 v4, 21, v3
                                        ; implicit-def: $vgpr3
; %bb.2901:
	s_andn2_saveexec_b64 s[16:17], s[16:17]
; %bb.2902:
	v_add_f32_e32 v4, 0x43000000, v3
; %bb.2903:
	s_or_b64 exec, exec, s[16:17]
                                        ; implicit-def: $vgpr3
.LBB348_2904:
	s_andn2_saveexec_b64 s[10:11], s[10:11]
; %bb.2905:
	s_mov_b32 s16, 0x7f800000
	v_mov_b32_e32 v4, 0x7c
	v_mov_b32_e32 v5, 0x7f
	v_cmp_lt_u32_e32 vcc, s16, v3
	v_cndmask_b32_e32 v4, v4, v5, vcc
; %bb.2906:
	s_or_b64 exec, exec, s[10:11]
	global_store_byte v[1:2], v4, off
.LBB348_2907:
	s_mov_b64 s[10:11], 0
	s_mov_b64 s[16:17], -1
.LBB348_2908:
	s_andn2_b64 vcc, exec, s[10:11]
	s_mov_b64 s[10:11], 0
	s_cbranch_vccnz .LBB348_2915
; %bb.2909:
	s_cmp_gt_i32 s23, 14
	s_mov_b64 s[18:19], -1
	s_cbranch_scc0 .LBB348_2913
; %bb.2910:
	s_cmp_eq_u32 s23, 15
	s_mov_b64 s[0:1], -1
	s_cbranch_scc0 .LBB348_2912
; %bb.2911:
	v_cndmask_b32_e64 v3, 0, 1.0, s[6:7]
	v_bfe_u32 v4, v3, 16, 1
	s_movk_i32 s0, 0x7fff
	v_add3_u32 v3, v3, v4, s0
	global_store_short_d16_hi v[1:2], v3, off
	s_mov_b64 s[0:1], 0
	s_mov_b64 s[16:17], -1
.LBB348_2912:
	s_mov_b64 s[18:19], 0
.LBB348_2913:
	s_and_b64 vcc, exec, s[18:19]
	s_cbranch_vccz .LBB348_2915
; %bb.2914:
	s_cmp_lg_u32 s23, 11
	s_mov_b64 s[10:11], -1
	s_cselect_b64 s[0:1], -1, 0
.LBB348_2915:
	s_and_b64 vcc, exec, s[0:1]
	s_cbranch_vccnz .LBB348_3095
; %bb.2916:
	s_andn2_b64 vcc, exec, s[10:11]
	s_cbranch_vccnz .LBB348_2918
.LBB348_2917:
	v_cndmask_b32_e64 v3, 0, 1, s[6:7]
	s_mov_b64 s[16:17], -1
	global_store_byte v[1:2], v3, off
.LBB348_2918:
	s_mov_b64 s[0:1], 0
	s_branch .LBB348_2920
.LBB348_2919:
	s_mov_b64 s[0:1], -1
	s_mov_b64 s[16:17], 0
.LBB348_2920:
	s_and_b64 vcc, exec, s[0:1]
	s_cbranch_vccz .LBB348_2959
; %bb.2921:
	s_cmp_lt_i32 s23, 5
	s_mov_b64 s[0:1], -1
	s_cbranch_scc1 .LBB348_2942
; %bb.2922:
	s_cmp_lt_i32 s23, 8
	s_cbranch_scc1 .LBB348_2932
; %bb.2923:
	s_cmp_lt_i32 s23, 9
	s_cbranch_scc1 .LBB348_2929
; %bb.2924:
	s_cmp_gt_i32 s23, 9
	s_cbranch_scc0 .LBB348_2926
; %bb.2925:
	v_cndmask_b32_e64 v3, 0, 1, s[6:7]
	v_cvt_f64_u32_e32 v[3:4], v3
	v_mov_b32_e32 v5, 0
	v_mov_b32_e32 v6, v5
	s_mov_b64 s[0:1], 0
	global_store_dwordx4 v[1:2], v[3:6], off
.LBB348_2926:
	s_andn2_b64 vcc, exec, s[0:1]
	s_cbranch_vccnz .LBB348_2928
; %bb.2927:
	v_cndmask_b32_e64 v3, 0, 1.0, s[6:7]
	v_mov_b32_e32 v4, 0
	global_store_dwordx2 v[1:2], v[3:4], off
.LBB348_2928:
	s_mov_b64 s[0:1], 0
.LBB348_2929:
	s_andn2_b64 vcc, exec, s[0:1]
	s_cbranch_vccnz .LBB348_2931
; %bb.2930:
	v_cndmask_b32_e64 v3, 0, 1.0, s[6:7]
	v_cvt_f16_f32_e32 v3, v3
	global_store_dword v[1:2], v3, off
.LBB348_2931:
	s_mov_b64 s[0:1], 0
.LBB348_2932:
	s_andn2_b64 vcc, exec, s[0:1]
	s_cbranch_vccnz .LBB348_2941
; %bb.2933:
	s_cmp_lt_i32 s23, 6
	s_mov_b64 s[0:1], -1
	s_cbranch_scc1 .LBB348_2939
; %bb.2934:
	s_cmp_gt_i32 s23, 6
	s_cbranch_scc0 .LBB348_2936
; %bb.2935:
	v_cndmask_b32_e64 v3, 0, 1, s[6:7]
	v_cvt_f64_u32_e32 v[3:4], v3
	s_mov_b64 s[0:1], 0
	global_store_dwordx2 v[1:2], v[3:4], off
.LBB348_2936:
	s_andn2_b64 vcc, exec, s[0:1]
	s_cbranch_vccnz .LBB348_2938
; %bb.2937:
	v_cndmask_b32_e64 v3, 0, 1.0, s[6:7]
	global_store_dword v[1:2], v3, off
.LBB348_2938:
	s_mov_b64 s[0:1], 0
.LBB348_2939:
	s_andn2_b64 vcc, exec, s[0:1]
	s_cbranch_vccnz .LBB348_2941
; %bb.2940:
	v_cndmask_b32_e64 v3, 0, 1.0, s[6:7]
	v_cvt_f16_f32_e32 v3, v3
	global_store_short v[1:2], v3, off
.LBB348_2941:
	s_mov_b64 s[0:1], 0
.LBB348_2942:
	s_andn2_b64 vcc, exec, s[0:1]
	s_cbranch_vccnz .LBB348_2958
; %bb.2943:
	s_cmp_lt_i32 s23, 2
	s_mov_b64 s[0:1], -1
	s_cbranch_scc1 .LBB348_2953
; %bb.2944:
	s_cmp_lt_i32 s23, 3
	s_cbranch_scc1 .LBB348_2950
; %bb.2945:
	s_cmp_gt_i32 s23, 3
	s_cbranch_scc0 .LBB348_2947
; %bb.2946:
	s_mov_b32 s0, 0
	v_cndmask_b32_e64 v3, 0, 1, s[6:7]
	v_mov_b32_e32 v4, s0
	global_store_dwordx2 v[1:2], v[3:4], off
	s_mov_b64 s[0:1], 0
.LBB348_2947:
	s_andn2_b64 vcc, exec, s[0:1]
	s_cbranch_vccnz .LBB348_2949
; %bb.2948:
	v_cndmask_b32_e64 v3, 0, 1, s[6:7]
	global_store_dword v[1:2], v3, off
.LBB348_2949:
	s_mov_b64 s[0:1], 0
.LBB348_2950:
	s_andn2_b64 vcc, exec, s[0:1]
	s_cbranch_vccnz .LBB348_2952
; %bb.2951:
	v_cndmask_b32_e64 v3, 0, 1, s[6:7]
	global_store_short v[1:2], v3, off
.LBB348_2952:
	s_mov_b64 s[0:1], 0
.LBB348_2953:
	s_andn2_b64 vcc, exec, s[0:1]
	s_cbranch_vccnz .LBB348_2958
; %bb.2954:
	s_cmp_gt_i32 s23, 0
	s_mov_b64 s[0:1], -1
	s_cbranch_scc0 .LBB348_2956
; %bb.2955:
	v_cndmask_b32_e64 v3, 0, 1, s[6:7]
	global_store_byte v[1:2], v3, off
	s_mov_b64 s[0:1], 0
.LBB348_2956:
	s_andn2_b64 vcc, exec, s[0:1]
	s_cbranch_vccnz .LBB348_2958
; %bb.2957:
	v_cndmask_b32_e64 v3, 0, 1, s[6:7]
	global_store_byte v[1:2], v3, off
.LBB348_2958:
	s_mov_b64 s[16:17], -1
.LBB348_2959:
	s_andn2_b64 vcc, exec, s[16:17]
	s_cbranch_vccnz .LBB348_3036
; %bb.2960:
	v_cmp_ne_u32_e32 vcc, v10, v9
	s_xor_b64 s[10:11], s[2:3], vcc
	v_mov_b32_e32 v1, s9
	v_add_co_u32_e32 v0, vcc, s8, v0
	s_cmp_lt_i32 s23, 11
	v_addc_co_u32_e32 v1, vcc, 0, v1, vcc
	s_cbranch_scc1 .LBB348_3081
; %bb.2961:
	s_mov_b64 s[6:7], -1
	s_mov_b64 s[2:3], 0
	s_cmp_gt_i32 s23, 25
	s_mov_b64 s[0:1], 0
	s_cbranch_scc0 .LBB348_2994
; %bb.2962:
	s_cmp_gt_i32 s23, 28
	s_cbranch_scc0 .LBB348_2978
; %bb.2963:
	s_cmp_gt_i32 s23, 43
	;; [unrolled: 3-line block ×3, first 2 shown]
	s_cbranch_scc0 .LBB348_2968
; %bb.2965:
	s_cmp_eq_u32 s23, 46
	s_mov_b64 s[0:1], -1
	s_cbranch_scc0 .LBB348_2967
; %bb.2966:
	v_cndmask_b32_e64 v2, 0, 1.0, s[10:11]
	v_bfe_u32 v3, v2, 16, 1
	s_movk_i32 s0, 0x7fff
	v_add3_u32 v2, v2, v3, s0
	v_lshrrev_b32_e32 v2, 16, v2
	global_store_dword v[0:1], v2, off
	s_mov_b64 s[0:1], 0
.LBB348_2967:
	s_mov_b64 s[6:7], 0
.LBB348_2968:
	s_and_b64 vcc, exec, s[6:7]
	s_cbranch_vccz .LBB348_2973
; %bb.2969:
	s_cmp_eq_u32 s23, 44
	s_mov_b64 s[0:1], -1
	s_cbranch_scc0 .LBB348_2973
; %bb.2970:
	v_cndmask_b32_e64 v3, 0, 1.0, s[10:11]
	v_lshrrev_b32_e32 v2, 23, v3
	s_movk_i32 s0, 0xff
	v_cmp_ne_u32_e32 vcc, s0, v2
	v_mov_b32_e32 v4, 0xff
	s_and_saveexec_b64 s[6:7], vcc
; %bb.2971:
	s_mov_b32 s0, 0x3fffff
	v_and_b32_e32 v4, 0x400000, v3
	v_and_or_b32 v3, v3, s0, v2
	v_cmp_ne_u32_e32 vcc, 0, v4
	v_cmp_ne_u32_e64 s[0:1], 0, v3
	s_and_b64 s[0:1], vcc, s[0:1]
	v_cndmask_b32_e64 v3, 0, 1, s[0:1]
	v_add_u32_e32 v4, v2, v3
; %bb.2972:
	s_or_b64 exec, exec, s[6:7]
	s_mov_b64 s[0:1], 0
	global_store_byte v[0:1], v4, off
.LBB348_2973:
	s_mov_b64 s[6:7], 0
.LBB348_2974:
	s_and_b64 vcc, exec, s[6:7]
	s_cbranch_vccz .LBB348_2977
; %bb.2975:
	s_cmp_eq_u32 s23, 29
	s_mov_b64 s[0:1], -1
	s_cbranch_scc0 .LBB348_2977
; %bb.2976:
	s_mov_b32 s0, 0
	v_cndmask_b32_e64 v2, 0, 1, s[10:11]
	v_mov_b32_e32 v3, s0
	global_store_dwordx2 v[0:1], v[2:3], off
	s_mov_b64 s[0:1], 0
.LBB348_2977:
	s_mov_b64 s[6:7], 0
.LBB348_2978:
	s_and_b64 vcc, exec, s[6:7]
	s_cbranch_vccz .LBB348_2993
; %bb.2979:
	s_cmp_lt_i32 s23, 27
	s_mov_b64 s[6:7], -1
	s_cbranch_scc1 .LBB348_2985
; %bb.2980:
	s_cmp_gt_i32 s23, 27
	v_cndmask_b32_e64 v2, 0, 1, s[10:11]
	s_cbranch_scc0 .LBB348_2982
; %bb.2981:
	global_store_dword v[0:1], v2, off
	s_mov_b64 s[6:7], 0
.LBB348_2982:
	s_andn2_b64 vcc, exec, s[6:7]
	s_cbranch_vccnz .LBB348_2984
; %bb.2983:
	global_store_short v[0:1], v2, off
.LBB348_2984:
	s_mov_b64 s[6:7], 0
.LBB348_2985:
	s_andn2_b64 vcc, exec, s[6:7]
	s_cbranch_vccnz .LBB348_2993
; %bb.2986:
	v_cndmask_b32_e64 v3, 0, 1.0, s[10:11]
	s_mov_b32 s6, 0x43800000
	v_cmp_gt_u32_e32 vcc, s6, v3
	v_mov_b32_e32 v4, 0x80
	s_and_saveexec_b64 s[6:7], vcc
	s_cbranch_execz .LBB348_2992
; %bb.2987:
	s_mov_b32 s8, 0x3bffffff
	v_cmp_lt_u32_e32 vcc, s8, v3
	s_mov_b64 s[8:9], 0
                                        ; implicit-def: $vgpr2
	s_and_saveexec_b64 s[16:17], vcc
	s_xor_b64 s[16:17], exec, s[16:17]
	s_cbranch_execz .LBB348_3098
; %bb.2988:
	v_bfe_u32 v2, v3, 20, 1
	s_mov_b32 s18, 0x487ffff
	v_add3_u32 v2, v3, v2, s18
	s_mov_b64 s[8:9], exec
	v_lshrrev_b32_e32 v2, 20, v2
                                        ; implicit-def: $vgpr3
	s_andn2_saveexec_b64 s[16:17], s[16:17]
	s_cbranch_execnz .LBB348_3099
.LBB348_2989:
	s_or_b64 exec, exec, s[16:17]
	v_mov_b32_e32 v4, 0
	s_and_saveexec_b64 s[16:17], s[8:9]
.LBB348_2990:
	v_mov_b32_e32 v4, v2
.LBB348_2991:
	s_or_b64 exec, exec, s[16:17]
.LBB348_2992:
	s_or_b64 exec, exec, s[6:7]
	global_store_byte v[0:1], v4, off
.LBB348_2993:
	s_mov_b64 s[6:7], 0
.LBB348_2994:
	s_and_b64 vcc, exec, s[6:7]
	s_cbranch_vccz .LBB348_3034
; %bb.2995:
	s_cmp_gt_i32 s23, 22
	s_mov_b64 s[2:3], -1
	s_cbranch_scc0 .LBB348_3027
; %bb.2996:
	s_cmp_lt_i32 s23, 24
	s_cbranch_scc1 .LBB348_3016
; %bb.2997:
	s_cmp_gt_i32 s23, 24
	s_cbranch_scc0 .LBB348_3005
; %bb.2998:
	v_cndmask_b32_e64 v3, 0, 1.0, s[10:11]
	s_mov_b32 s2, 0x47800000
	v_cmp_gt_u32_e32 vcc, s2, v3
	v_mov_b32_e32 v4, 0x80
	s_and_saveexec_b64 s[2:3], vcc
	s_cbranch_execz .LBB348_3004
; %bb.2999:
	s_mov_b32 s6, 0x37ffffff
	v_cmp_lt_u32_e32 vcc, s6, v3
	s_mov_b64 s[6:7], 0
                                        ; implicit-def: $vgpr2
	s_and_saveexec_b64 s[8:9], vcc
	s_xor_b64 s[8:9], exec, s[8:9]
	s_cbranch_execz .LBB348_3101
; %bb.3000:
	v_bfe_u32 v2, v3, 21, 1
	s_mov_b32 s16, 0x88fffff
	v_add3_u32 v2, v3, v2, s16
	s_mov_b64 s[6:7], exec
	v_lshrrev_b32_e32 v2, 21, v2
                                        ; implicit-def: $vgpr3
	s_andn2_saveexec_b64 s[8:9], s[8:9]
	s_cbranch_execnz .LBB348_3102
.LBB348_3001:
	s_or_b64 exec, exec, s[8:9]
	v_mov_b32_e32 v4, 0
	s_and_saveexec_b64 s[8:9], s[6:7]
.LBB348_3002:
	v_mov_b32_e32 v4, v2
.LBB348_3003:
	s_or_b64 exec, exec, s[8:9]
.LBB348_3004:
	s_or_b64 exec, exec, s[2:3]
	s_mov_b64 s[2:3], 0
	global_store_byte v[0:1], v4, off
.LBB348_3005:
	s_and_b64 vcc, exec, s[2:3]
	s_cbranch_vccz .LBB348_3015
; %bb.3006:
	v_cndmask_b32_e64 v2, 0, 1.0, s[10:11]
	s_mov_b32 s2, 0x43f00000
	v_cmp_gt_u32_e32 vcc, s2, v2
                                        ; implicit-def: $vgpr3
	s_and_saveexec_b64 s[2:3], vcc
	s_xor_b64 s[2:3], exec, s[2:3]
	s_cbranch_execz .LBB348_3012
; %bb.3007:
	s_mov_b32 s6, 0x3c7fffff
	v_cmp_lt_u32_e32 vcc, s6, v2
                                        ; implicit-def: $vgpr3
	s_and_saveexec_b64 s[6:7], vcc
	s_xor_b64 s[6:7], exec, s[6:7]
; %bb.3008:
	v_bfe_u32 v3, v2, 20, 1
	s_mov_b32 s8, 0x407ffff
	v_add3_u32 v2, v2, v3, s8
	v_lshrrev_b32_e32 v3, 20, v2
	v_and_b32_e32 v2, 0xff00000, v2
	s_mov_b32 s8, 0x7f00000
	v_mov_b32_e32 v4, 0x7e
	v_cmp_ne_u32_e32 vcc, s8, v2
	v_cndmask_b32_e32 v3, v4, v3, vcc
                                        ; implicit-def: $vgpr2
; %bb.3009:
	s_andn2_saveexec_b64 s[6:7], s[6:7]
; %bb.3010:
	v_add_f32_e32 v3, 0x46800000, v2
; %bb.3011:
	s_or_b64 exec, exec, s[6:7]
                                        ; implicit-def: $vgpr2
.LBB348_3012:
	s_andn2_saveexec_b64 s[2:3], s[2:3]
; %bb.3013:
	s_mov_b32 s6, 0x7f800000
	v_mov_b32_e32 v3, 0x7e
	v_mov_b32_e32 v4, 0x7f
	v_cmp_lt_u32_e32 vcc, s6, v2
	v_cndmask_b32_e32 v3, v3, v4, vcc
; %bb.3014:
	s_or_b64 exec, exec, s[2:3]
	global_store_byte v[0:1], v3, off
.LBB348_3015:
	s_mov_b64 s[2:3], 0
.LBB348_3016:
	s_andn2_b64 vcc, exec, s[2:3]
	s_cbranch_vccnz .LBB348_3026
; %bb.3017:
	v_cndmask_b32_e64 v2, 0, 1.0, s[10:11]
	s_mov_b32 s2, 0x47800000
	v_cmp_gt_u32_e32 vcc, s2, v2
                                        ; implicit-def: $vgpr3
	s_and_saveexec_b64 s[2:3], vcc
	s_xor_b64 s[2:3], exec, s[2:3]
	s_cbranch_execz .LBB348_3023
; %bb.3018:
	s_mov_b32 s6, 0x387fffff
	v_cmp_lt_u32_e32 vcc, s6, v2
                                        ; implicit-def: $vgpr3
	s_and_saveexec_b64 s[6:7], vcc
	s_xor_b64 s[6:7], exec, s[6:7]
; %bb.3019:
	v_bfe_u32 v3, v2, 21, 1
	s_mov_b32 s8, 0x80fffff
	v_add3_u32 v2, v2, v3, s8
	v_lshrrev_b32_e32 v3, 21, v2
                                        ; implicit-def: $vgpr2
; %bb.3020:
	s_andn2_saveexec_b64 s[6:7], s[6:7]
; %bb.3021:
	v_add_f32_e32 v3, 0x43000000, v2
; %bb.3022:
	s_or_b64 exec, exec, s[6:7]
                                        ; implicit-def: $vgpr2
.LBB348_3023:
	s_andn2_saveexec_b64 s[2:3], s[2:3]
; %bb.3024:
	s_mov_b32 s6, 0x7f800000
	v_mov_b32_e32 v3, 0x7c
	v_mov_b32_e32 v4, 0x7f
	v_cmp_lt_u32_e32 vcc, s6, v2
	v_cndmask_b32_e32 v3, v3, v4, vcc
; %bb.3025:
	s_or_b64 exec, exec, s[2:3]
	global_store_byte v[0:1], v3, off
.LBB348_3026:
	s_mov_b64 s[2:3], 0
.LBB348_3027:
	s_andn2_b64 vcc, exec, s[2:3]
	s_mov_b64 s[2:3], 0
	s_cbranch_vccnz .LBB348_3034
; %bb.3028:
	s_cmp_gt_i32 s23, 14
	s_mov_b64 s[6:7], -1
	s_cbranch_scc0 .LBB348_3032
; %bb.3029:
	s_cmp_eq_u32 s23, 15
	s_mov_b64 s[0:1], -1
	s_cbranch_scc0 .LBB348_3031
; %bb.3030:
	v_cndmask_b32_e64 v2, 0, 1.0, s[10:11]
	v_bfe_u32 v3, v2, 16, 1
	s_movk_i32 s0, 0x7fff
	v_add3_u32 v2, v2, v3, s0
	global_store_short_d16_hi v[0:1], v2, off
	s_mov_b64 s[0:1], 0
.LBB348_3031:
	s_mov_b64 s[6:7], 0
.LBB348_3032:
	s_and_b64 vcc, exec, s[6:7]
	s_cbranch_vccz .LBB348_3034
; %bb.3033:
	s_cmp_lg_u32 s23, 11
	s_mov_b64 s[2:3], -1
	s_cselect_b64 s[0:1], -1, 0
.LBB348_3034:
	s_and_b64 vcc, exec, s[0:1]
	s_cbranch_vccnz .LBB348_3100
.LBB348_3035:
	s_mov_b64 s[0:1], 0
	s_branch .LBB348_3037
.LBB348_3036:
	s_mov_b64 s[0:1], 0
	s_mov_b64 s[2:3], 0
                                        ; implicit-def: $sgpr10_sgpr11
                                        ; implicit-def: $vgpr0_vgpr1
                                        ; implicit-def: $sgpr22
.LBB348_3037:
	s_and_b64 s[6:7], s[2:3], exec
	s_andn2_b64 s[2:3], s[12:13], exec
	s_and_b64 s[4:5], s[4:5], exec
	s_and_b64 s[0:1], s[0:1], exec
	s_or_b64 s[12:13], s[2:3], s[4:5]
.LBB348_3038:
	s_or_b64 exec, exec, s[14:15]
	s_and_saveexec_b64 s[2:3], s[12:13]
	s_cbranch_execz .LBB348_3041
; %bb.3039:
	; divergent unreachable
	s_or_b64 exec, exec, s[2:3]
	s_and_saveexec_b64 s[2:3], s[6:7]
	s_xor_b64 s[2:3], exec, s[2:3]
	s_cbranch_execnz .LBB348_3042
.LBB348_3040:
	s_or_b64 exec, exec, s[2:3]
	s_and_saveexec_b64 s[2:3], s[0:1]
	s_cbranch_execnz .LBB348_3043
	s_branch .LBB348_3080
.LBB348_3041:
	s_or_b64 exec, exec, s[2:3]
	s_and_saveexec_b64 s[2:3], s[6:7]
	s_xor_b64 s[2:3], exec, s[2:3]
	s_cbranch_execz .LBB348_3040
.LBB348_3042:
	v_cndmask_b32_e64 v2, 0, 1, s[10:11]
	s_waitcnt vmcnt(0)
	global_store_byte v[0:1], v2, off
	s_or_b64 exec, exec, s[2:3]
	s_and_saveexec_b64 s[2:3], s[0:1]
	s_cbranch_execz .LBB348_3080
.LBB348_3043:
	s_sext_i32_i16 s2, s22
	s_cmp_lt_i32 s2, 5
	s_mov_b64 s[0:1], -1
	s_cbranch_scc1 .LBB348_3064
; %bb.3044:
	s_cmp_lt_i32 s2, 8
	s_cbranch_scc1 .LBB348_3054
; %bb.3045:
	s_cmp_lt_i32 s2, 9
	s_cbranch_scc1 .LBB348_3051
; %bb.3046:
	s_cmp_gt_i32 s2, 9
	s_cbranch_scc0 .LBB348_3048
; %bb.3047:
	v_cndmask_b32_e64 v2, 0, 1, s[10:11]
	s_waitcnt vmcnt(0)
	v_cvt_f64_u32_e32 v[2:3], v2
	v_mov_b32_e32 v4, 0
	v_mov_b32_e32 v5, v4
	s_mov_b64 s[0:1], 0
	global_store_dwordx4 v[0:1], v[2:5], off
.LBB348_3048:
	s_andn2_b64 vcc, exec, s[0:1]
	s_cbranch_vccnz .LBB348_3050
; %bb.3049:
	v_cndmask_b32_e64 v2, 0, 1.0, s[10:11]
	s_waitcnt vmcnt(0)
	v_mov_b32_e32 v3, 0
	global_store_dwordx2 v[0:1], v[2:3], off
.LBB348_3050:
	s_mov_b64 s[0:1], 0
.LBB348_3051:
	s_andn2_b64 vcc, exec, s[0:1]
	s_cbranch_vccnz .LBB348_3053
; %bb.3052:
	v_cndmask_b32_e64 v2, 0, 1.0, s[10:11]
	v_cvt_f16_f32_e32 v2, v2
	s_waitcnt vmcnt(0)
	global_store_dword v[0:1], v2, off
.LBB348_3053:
	s_mov_b64 s[0:1], 0
.LBB348_3054:
	s_andn2_b64 vcc, exec, s[0:1]
	s_cbranch_vccnz .LBB348_3063
; %bb.3055:
	s_sext_i32_i16 s2, s22
	s_cmp_lt_i32 s2, 6
	s_mov_b64 s[0:1], -1
	s_cbranch_scc1 .LBB348_3061
; %bb.3056:
	s_cmp_gt_i32 s2, 6
	s_cbranch_scc0 .LBB348_3058
; %bb.3057:
	v_cndmask_b32_e64 v2, 0, 1, s[10:11]
	s_waitcnt vmcnt(0)
	v_cvt_f64_u32_e32 v[2:3], v2
	s_mov_b64 s[0:1], 0
	global_store_dwordx2 v[0:1], v[2:3], off
.LBB348_3058:
	s_andn2_b64 vcc, exec, s[0:1]
	s_cbranch_vccnz .LBB348_3060
; %bb.3059:
	v_cndmask_b32_e64 v2, 0, 1.0, s[10:11]
	s_waitcnt vmcnt(0)
	global_store_dword v[0:1], v2, off
.LBB348_3060:
	s_mov_b64 s[0:1], 0
.LBB348_3061:
	s_andn2_b64 vcc, exec, s[0:1]
	s_cbranch_vccnz .LBB348_3063
; %bb.3062:
	v_cndmask_b32_e64 v2, 0, 1.0, s[10:11]
	v_cvt_f16_f32_e32 v2, v2
	s_waitcnt vmcnt(0)
	global_store_short v[0:1], v2, off
.LBB348_3063:
	s_mov_b64 s[0:1], 0
.LBB348_3064:
	s_andn2_b64 vcc, exec, s[0:1]
	s_cbranch_vccnz .LBB348_3080
; %bb.3065:
	s_sext_i32_i16 s2, s22
	s_cmp_lt_i32 s2, 2
	s_mov_b64 s[0:1], -1
	s_cbranch_scc1 .LBB348_3075
; %bb.3066:
	s_cmp_lt_i32 s2, 3
	s_cbranch_scc1 .LBB348_3072
; %bb.3067:
	s_cmp_gt_i32 s2, 3
	s_cbranch_scc0 .LBB348_3069
; %bb.3068:
	s_mov_b32 s0, 0
	v_cndmask_b32_e64 v2, 0, 1, s[10:11]
	s_waitcnt vmcnt(0)
	v_mov_b32_e32 v3, s0
	global_store_dwordx2 v[0:1], v[2:3], off
	s_mov_b64 s[0:1], 0
.LBB348_3069:
	s_andn2_b64 vcc, exec, s[0:1]
	s_cbranch_vccnz .LBB348_3071
; %bb.3070:
	v_cndmask_b32_e64 v2, 0, 1, s[10:11]
	s_waitcnt vmcnt(0)
	global_store_dword v[0:1], v2, off
.LBB348_3071:
	s_mov_b64 s[0:1], 0
.LBB348_3072:
	s_andn2_b64 vcc, exec, s[0:1]
	s_cbranch_vccnz .LBB348_3074
; %bb.3073:
	v_cndmask_b32_e64 v2, 0, 1, s[10:11]
	s_waitcnt vmcnt(0)
	global_store_short v[0:1], v2, off
.LBB348_3074:
	s_mov_b64 s[0:1], 0
.LBB348_3075:
	s_andn2_b64 vcc, exec, s[0:1]
	s_cbranch_vccnz .LBB348_3080
; %bb.3076:
	s_sext_i32_i16 s0, s22
	s_cmp_gt_i32 s0, 0
	s_mov_b64 s[0:1], -1
	s_cbranch_scc0 .LBB348_3078
; %bb.3077:
	v_cndmask_b32_e64 v2, 0, 1, s[10:11]
	s_waitcnt vmcnt(0)
	global_store_byte v[0:1], v2, off
	s_mov_b64 s[0:1], 0
.LBB348_3078:
	s_andn2_b64 vcc, exec, s[0:1]
	s_cbranch_vccnz .LBB348_3080
; %bb.3079:
	v_cndmask_b32_e64 v2, 0, 1, s[10:11]
	s_waitcnt vmcnt(0)
	global_store_byte v[0:1], v2, off
	s_endpgm
.LBB348_3080:
	s_endpgm
.LBB348_3081:
	s_mov_b64 s[2:3], 0
	s_mov_b64 s[0:1], -1
	s_branch .LBB348_3037
.LBB348_3082:
	s_trap 2
	s_or_b64 s[4:5], s[4:5], exec
	s_cbranch_execz .LBB348_2551
	s_branch .LBB348_2552
.LBB348_3083:
	s_andn2_saveexec_b64 s[20:21], s[20:21]
	s_cbranch_execz .LBB348_2631
.LBB348_3084:
	v_add_f32_e32 v1, 0x46000000, v7
	v_and_b32_e32 v1, 0xff, v1
	v_cmp_ne_u32_e32 vcc, 0, v1
	s_andn2_b64 s[18:19], s[18:19], exec
	s_and_b64 s[24:25], vcc, exec
	s_or_b64 s[18:19], s[18:19], s[24:25]
	s_or_b64 exec, exec, s[20:21]
	v_mov_b32_e32 v8, 0
	s_and_saveexec_b64 s[20:21], s[18:19]
	s_cbranch_execnz .LBB348_2632
	s_branch .LBB348_2633
.LBB348_3085:
	s_trap 2
	s_or_b64 s[4:5], s[4:5], exec
	s_cbranch_execz .LBB348_2679
	s_branch .LBB348_2680
.LBB348_3086:
	s_andn2_saveexec_b64 s[18:19], s[18:19]
	s_cbranch_execz .LBB348_2644
.LBB348_3087:
	v_add_f32_e32 v1, 0x42800000, v7
	v_and_b32_e32 v1, 0xff, v1
	v_cmp_ne_u32_e32 vcc, 0, v1
	s_andn2_b64 s[16:17], s[16:17], exec
	s_and_b64 s[20:21], vcc, exec
	s_or_b64 s[16:17], s[16:17], s[20:21]
	s_or_b64 exec, exec, s[18:19]
	v_mov_b32_e32 v8, 0
	s_and_saveexec_b64 s[18:19], s[16:17]
	s_cbranch_execnz .LBB348_2645
	s_branch .LBB348_2646
.LBB348_3088:
	s_andn2_saveexec_b64 s[20:21], s[20:21]
	s_cbranch_execz .LBB348_2750
.LBB348_3089:
	v_add_f32_e32 v1, 0x46000000, v5
	v_and_b32_e32 v1, 0xff, v1
	v_cmp_ne_u32_e32 vcc, 0, v1
	s_andn2_b64 s[18:19], s[18:19], exec
	s_and_b64 s[24:25], vcc, exec
	s_or_b64 s[18:19], s[18:19], s[24:25]
	s_or_b64 exec, exec, s[20:21]
	v_mov_b32_e32 v6, 0
	s_and_saveexec_b64 s[20:21], s[18:19]
	s_cbranch_execnz .LBB348_2751
	s_branch .LBB348_2752
.LBB348_3090:
	s_trap 2
	s_or_b64 s[4:5], s[4:5], exec
	s_cbranch_execz .LBB348_2798
	s_branch .LBB348_2799
.LBB348_3091:
	s_andn2_saveexec_b64 s[18:19], s[18:19]
	s_cbranch_execz .LBB348_2763
.LBB348_3092:
	v_add_f32_e32 v1, 0x42800000, v5
	v_and_b32_e32 v1, 0xff, v1
	v_cmp_ne_u32_e32 vcc, 0, v1
	s_andn2_b64 s[16:17], s[16:17], exec
	s_and_b64 s[20:21], vcc, exec
	s_or_b64 s[16:17], s[16:17], s[20:21]
	s_or_b64 exec, exec, s[18:19]
	v_mov_b32_e32 v6, 0
	s_and_saveexec_b64 s[18:19], s[16:17]
	s_cbranch_execnz .LBB348_2764
	s_branch .LBB348_2765
.LBB348_3093:
	s_andn2_saveexec_b64 s[20:21], s[20:21]
	s_cbranch_execz .LBB348_2869
.LBB348_3094:
	v_add_f32_e32 v3, 0x46000000, v4
	v_and_b32_e32 v3, 0xff, v3
	v_cmp_ne_u32_e32 vcc, 0, v3
	s_andn2_b64 s[18:19], s[18:19], exec
	s_and_b64 s[24:25], vcc, exec
	s_or_b64 s[18:19], s[18:19], s[24:25]
	s_or_b64 exec, exec, s[20:21]
	v_mov_b32_e32 v5, 0
	s_and_saveexec_b64 s[20:21], s[18:19]
	s_cbranch_execnz .LBB348_2870
	s_branch .LBB348_2871
.LBB348_3095:
	s_trap 2
	s_or_b64 s[4:5], s[4:5], exec
	s_cbranch_execz .LBB348_2917
	s_branch .LBB348_2918
.LBB348_3096:
	s_andn2_saveexec_b64 s[18:19], s[18:19]
	s_cbranch_execz .LBB348_2882
.LBB348_3097:
	v_add_f32_e32 v3, 0x42800000, v4
	v_and_b32_e32 v3, 0xff, v3
	v_cmp_ne_u32_e32 vcc, 0, v3
	s_andn2_b64 s[16:17], s[16:17], exec
	s_and_b64 s[20:21], vcc, exec
	s_or_b64 s[16:17], s[16:17], s[20:21]
	s_or_b64 exec, exec, s[18:19]
	v_mov_b32_e32 v5, 0
	s_and_saveexec_b64 s[18:19], s[16:17]
	s_cbranch_execnz .LBB348_2883
	s_branch .LBB348_2884
.LBB348_3098:
	s_andn2_saveexec_b64 s[16:17], s[16:17]
	s_cbranch_execz .LBB348_2989
.LBB348_3099:
	v_add_f32_e32 v2, 0x46000000, v3
	v_and_b32_e32 v2, 0xff, v2
	v_cmp_ne_u32_e32 vcc, 0, v2
	s_andn2_b64 s[8:9], s[8:9], exec
	s_and_b64 s[18:19], vcc, exec
	s_or_b64 s[8:9], s[8:9], s[18:19]
	s_or_b64 exec, exec, s[16:17]
	v_mov_b32_e32 v4, 0
	s_and_saveexec_b64 s[16:17], s[8:9]
	s_cbranch_execnz .LBB348_2990
	s_branch .LBB348_2991
.LBB348_3100:
	s_mov_b64 s[2:3], 0
	s_or_b64 s[4:5], s[4:5], exec
	s_trap 2
	s_branch .LBB348_3035
.LBB348_3101:
	s_andn2_saveexec_b64 s[8:9], s[8:9]
	s_cbranch_execz .LBB348_3001
.LBB348_3102:
	v_add_f32_e32 v2, 0x42800000, v3
	v_and_b32_e32 v2, 0xff, v2
	v_cmp_ne_u32_e32 vcc, 0, v2
	s_andn2_b64 s[6:7], s[6:7], exec
	s_and_b64 s[16:17], vcc, exec
	s_or_b64 s[6:7], s[6:7], s[16:17]
	s_or_b64 exec, exec, s[8:9]
	v_mov_b32_e32 v4, 0
	s_and_saveexec_b64 s[8:9], s[6:7]
	s_cbranch_execnz .LBB348_3002
	s_branch .LBB348_3003
	.section	.rodata,"a",@progbits
	.p2align	6, 0x0
	.amdhsa_kernel _ZN2at6native32elementwise_kernel_manual_unrollILi128ELi4EZNS0_15gpu_kernel_implINS0_13BinaryFunctorIjjbNS0_12_GLOBAL__N_116CompareEqFunctorIjEEEEEEvRNS_18TensorIteratorBaseERKT_EUlibE0_EEviT1_
		.amdhsa_group_segment_fixed_size 0
		.amdhsa_private_segment_fixed_size 0
		.amdhsa_kernarg_size 432
		.amdhsa_user_sgpr_count 6
		.amdhsa_user_sgpr_private_segment_buffer 1
		.amdhsa_user_sgpr_dispatch_ptr 0
		.amdhsa_user_sgpr_queue_ptr 0
		.amdhsa_user_sgpr_kernarg_segment_ptr 1
		.amdhsa_user_sgpr_dispatch_id 0
		.amdhsa_user_sgpr_flat_scratch_init 0
		.amdhsa_user_sgpr_private_segment_size 0
		.amdhsa_uses_dynamic_stack 0
		.amdhsa_system_sgpr_private_segment_wavefront_offset 0
		.amdhsa_system_sgpr_workgroup_id_x 1
		.amdhsa_system_sgpr_workgroup_id_y 0
		.amdhsa_system_sgpr_workgroup_id_z 0
		.amdhsa_system_sgpr_workgroup_info 0
		.amdhsa_system_vgpr_workitem_id 0
		.amdhsa_next_free_vgpr 24
		.amdhsa_next_free_sgpr 80
		.amdhsa_reserve_vcc 1
		.amdhsa_reserve_flat_scratch 0
		.amdhsa_float_round_mode_32 0
		.amdhsa_float_round_mode_16_64 0
		.amdhsa_float_denorm_mode_32 3
		.amdhsa_float_denorm_mode_16_64 3
		.amdhsa_dx10_clamp 1
		.amdhsa_ieee_mode 1
		.amdhsa_fp16_overflow 0
		.amdhsa_exception_fp_ieee_invalid_op 0
		.amdhsa_exception_fp_denorm_src 0
		.amdhsa_exception_fp_ieee_div_zero 0
		.amdhsa_exception_fp_ieee_overflow 0
		.amdhsa_exception_fp_ieee_underflow 0
		.amdhsa_exception_fp_ieee_inexact 0
		.amdhsa_exception_int_div_zero 0
	.end_amdhsa_kernel
	.section	.text._ZN2at6native32elementwise_kernel_manual_unrollILi128ELi4EZNS0_15gpu_kernel_implINS0_13BinaryFunctorIjjbNS0_12_GLOBAL__N_116CompareEqFunctorIjEEEEEEvRNS_18TensorIteratorBaseERKT_EUlibE0_EEviT1_,"axG",@progbits,_ZN2at6native32elementwise_kernel_manual_unrollILi128ELi4EZNS0_15gpu_kernel_implINS0_13BinaryFunctorIjjbNS0_12_GLOBAL__N_116CompareEqFunctorIjEEEEEEvRNS_18TensorIteratorBaseERKT_EUlibE0_EEviT1_,comdat
.Lfunc_end348:
	.size	_ZN2at6native32elementwise_kernel_manual_unrollILi128ELi4EZNS0_15gpu_kernel_implINS0_13BinaryFunctorIjjbNS0_12_GLOBAL__N_116CompareEqFunctorIjEEEEEEvRNS_18TensorIteratorBaseERKT_EUlibE0_EEviT1_, .Lfunc_end348-_ZN2at6native32elementwise_kernel_manual_unrollILi128ELi4EZNS0_15gpu_kernel_implINS0_13BinaryFunctorIjjbNS0_12_GLOBAL__N_116CompareEqFunctorIjEEEEEEvRNS_18TensorIteratorBaseERKT_EUlibE0_EEviT1_
                                        ; -- End function
	.set _ZN2at6native32elementwise_kernel_manual_unrollILi128ELi4EZNS0_15gpu_kernel_implINS0_13BinaryFunctorIjjbNS0_12_GLOBAL__N_116CompareEqFunctorIjEEEEEEvRNS_18TensorIteratorBaseERKT_EUlibE0_EEviT1_.num_vgpr, 24
	.set _ZN2at6native32elementwise_kernel_manual_unrollILi128ELi4EZNS0_15gpu_kernel_implINS0_13BinaryFunctorIjjbNS0_12_GLOBAL__N_116CompareEqFunctorIjEEEEEEvRNS_18TensorIteratorBaseERKT_EUlibE0_EEviT1_.num_agpr, 0
	.set _ZN2at6native32elementwise_kernel_manual_unrollILi128ELi4EZNS0_15gpu_kernel_implINS0_13BinaryFunctorIjjbNS0_12_GLOBAL__N_116CompareEqFunctorIjEEEEEEvRNS_18TensorIteratorBaseERKT_EUlibE0_EEviT1_.numbered_sgpr, 80
	.set _ZN2at6native32elementwise_kernel_manual_unrollILi128ELi4EZNS0_15gpu_kernel_implINS0_13BinaryFunctorIjjbNS0_12_GLOBAL__N_116CompareEqFunctorIjEEEEEEvRNS_18TensorIteratorBaseERKT_EUlibE0_EEviT1_.num_named_barrier, 0
	.set _ZN2at6native32elementwise_kernel_manual_unrollILi128ELi4EZNS0_15gpu_kernel_implINS0_13BinaryFunctorIjjbNS0_12_GLOBAL__N_116CompareEqFunctorIjEEEEEEvRNS_18TensorIteratorBaseERKT_EUlibE0_EEviT1_.private_seg_size, 0
	.set _ZN2at6native32elementwise_kernel_manual_unrollILi128ELi4EZNS0_15gpu_kernel_implINS0_13BinaryFunctorIjjbNS0_12_GLOBAL__N_116CompareEqFunctorIjEEEEEEvRNS_18TensorIteratorBaseERKT_EUlibE0_EEviT1_.uses_vcc, 1
	.set _ZN2at6native32elementwise_kernel_manual_unrollILi128ELi4EZNS0_15gpu_kernel_implINS0_13BinaryFunctorIjjbNS0_12_GLOBAL__N_116CompareEqFunctorIjEEEEEEvRNS_18TensorIteratorBaseERKT_EUlibE0_EEviT1_.uses_flat_scratch, 0
	.set _ZN2at6native32elementwise_kernel_manual_unrollILi128ELi4EZNS0_15gpu_kernel_implINS0_13BinaryFunctorIjjbNS0_12_GLOBAL__N_116CompareEqFunctorIjEEEEEEvRNS_18TensorIteratorBaseERKT_EUlibE0_EEviT1_.has_dyn_sized_stack, 0
	.set _ZN2at6native32elementwise_kernel_manual_unrollILi128ELi4EZNS0_15gpu_kernel_implINS0_13BinaryFunctorIjjbNS0_12_GLOBAL__N_116CompareEqFunctorIjEEEEEEvRNS_18TensorIteratorBaseERKT_EUlibE0_EEviT1_.has_recursion, 0
	.set _ZN2at6native32elementwise_kernel_manual_unrollILi128ELi4EZNS0_15gpu_kernel_implINS0_13BinaryFunctorIjjbNS0_12_GLOBAL__N_116CompareEqFunctorIjEEEEEEvRNS_18TensorIteratorBaseERKT_EUlibE0_EEviT1_.has_indirect_call, 0
	.section	.AMDGPU.csdata,"",@progbits
; Kernel info:
; codeLenInByte = 47632
; TotalNumSgprs: 84
; NumVgprs: 24
; ScratchSize: 0
; MemoryBound: 1
; FloatMode: 240
; IeeeMode: 1
; LDSByteSize: 0 bytes/workgroup (compile time only)
; SGPRBlocks: 10
; VGPRBlocks: 5
; NumSGPRsForWavesPerEU: 84
; NumVGPRsForWavesPerEU: 24
; Occupancy: 9
; WaveLimiterHint : 1
; COMPUTE_PGM_RSRC2:SCRATCH_EN: 0
; COMPUTE_PGM_RSRC2:USER_SGPR: 6
; COMPUTE_PGM_RSRC2:TRAP_HANDLER: 0
; COMPUTE_PGM_RSRC2:TGID_X_EN: 1
; COMPUTE_PGM_RSRC2:TGID_Y_EN: 0
; COMPUTE_PGM_RSRC2:TGID_Z_EN: 0
; COMPUTE_PGM_RSRC2:TIDIG_COMP_CNT: 0
	.section	.text._ZN2at6native29vectorized_elementwise_kernelILi16ENS0_13AUnaryFunctorIjjbNS0_12_GLOBAL__N_116CompareEqFunctorIjEEEESt5arrayIPcLm2EEEEviT0_T1_,"axG",@progbits,_ZN2at6native29vectorized_elementwise_kernelILi16ENS0_13AUnaryFunctorIjjbNS0_12_GLOBAL__N_116CompareEqFunctorIjEEEESt5arrayIPcLm2EEEEviT0_T1_,comdat
	.globl	_ZN2at6native29vectorized_elementwise_kernelILi16ENS0_13AUnaryFunctorIjjbNS0_12_GLOBAL__N_116CompareEqFunctorIjEEEESt5arrayIPcLm2EEEEviT0_T1_ ; -- Begin function _ZN2at6native29vectorized_elementwise_kernelILi16ENS0_13AUnaryFunctorIjjbNS0_12_GLOBAL__N_116CompareEqFunctorIjEEEESt5arrayIPcLm2EEEEviT0_T1_
	.p2align	8
	.type	_ZN2at6native29vectorized_elementwise_kernelILi16ENS0_13AUnaryFunctorIjjbNS0_12_GLOBAL__N_116CompareEqFunctorIjEEEESt5arrayIPcLm2EEEEviT0_T1_,@function
_ZN2at6native29vectorized_elementwise_kernelILi16ENS0_13AUnaryFunctorIjjbNS0_12_GLOBAL__N_116CompareEqFunctorIjEEEESt5arrayIPcLm2EEEEviT0_T1_: ; @_ZN2at6native29vectorized_elementwise_kernelILi16ENS0_13AUnaryFunctorIjjbNS0_12_GLOBAL__N_116CompareEqFunctorIjEEEESt5arrayIPcLm2EEEEviT0_T1_
; %bb.0:
	s_load_dwordx8 s[36:43], s[4:5], 0x0
	s_lshl_b32 s30, s6, 12
	s_mov_b64 s[0:1], -1
	s_waitcnt lgkmcnt(0)
	s_sub_i32 s33, s36, s30
	s_cmpk_gt_i32 s33, 0xfff
	s_cbranch_scc0 .LBB349_2
; %bb.1:
	s_ashr_i32 s31, s30, 31
	s_lshl_b64 s[0:1], s[30:31], 2
	s_add_u32 s0, s42, s0
	s_addc_u32 s1, s43, s1
	v_lshlrev_b32_e32 v17, 6, v0
	global_load_dwordx4 v[1:4], v17, s[0:1]
	global_load_dwordx4 v[5:8], v17, s[0:1] offset:16
	global_load_dwordx4 v[9:12], v17, s[0:1] offset:32
	;; [unrolled: 1-line block ×3, first 2 shown]
	s_cmp_eq_u32 s37, 0
	s_cselect_b64 s[44:45], -1, 0
	s_add_u32 s34, s40, s30
	s_addc_u32 s35, s41, s31
	v_lshlrev_b32_e32 v17, 4, v0
	s_waitcnt vmcnt(3)
	v_cmp_ne_u32_e64 s[0:1], s38, v1
	v_cmp_ne_u32_e64 s[2:3], s38, v4
	s_xor_b64 s[0:1], s[44:45], s[0:1]
	v_cmp_ne_u32_e32 vcc, s38, v2
	v_cmp_ne_u32_e64 s[4:5], s38, v3
	v_cndmask_b32_e64 v2, 0, 1, s[0:1]
	s_xor_b64 s[0:1], s[44:45], s[2:3]
	s_waitcnt vmcnt(2)
	v_cmp_ne_u32_e64 s[6:7], s38, v6
	v_cndmask_b32_e64 v3, 0, 1, s[0:1]
	s_xor_b64 s[0:1], s[44:45], s[4:5]
	v_cmp_ne_u32_e64 s[8:9], s38, v5
	v_cndmask_b32_e64 v4, 0, 1, s[0:1]
	s_xor_b64 s[0:1], s[44:45], s[6:7]
	v_cmp_ne_u32_e64 s[10:11], s38, v8
	v_cndmask_b32_e64 v5, 0, 1, s[0:1]
	s_xor_b64 s[0:1], s[44:45], s[8:9]
	v_cmp_ne_u32_e64 s[12:13], s38, v7
	v_cndmask_b32_e64 v6, 0, 1, s[0:1]
	s_xor_b64 s[0:1], s[44:45], s[10:11]
	s_waitcnt vmcnt(1)
	v_cmp_ne_u32_e64 s[14:15], s38, v10
	v_cndmask_b32_e64 v7, 0, 1, s[0:1]
	s_xor_b64 s[0:1], s[44:45], s[12:13]
	v_cmp_ne_u32_e64 s[16:17], s38, v9
	v_cndmask_b32_e64 v8, 0, 1, s[0:1]
	s_xor_b64 s[0:1], s[44:45], s[14:15]
	v_cmp_ne_u32_e64 s[18:19], s38, v12
	v_cndmask_b32_e64 v9, 0, 1, s[0:1]
	s_xor_b64 s[0:1], s[44:45], s[16:17]
	;; [unrolled: 13-line block ×3, first 2 shown]
	v_cmp_ne_u32_e64 s[28:29], s38, v15
	s_xor_b64 s[46:47], s[44:45], vcc
	v_cndmask_b32_e64 v14, 0, 1, s[0:1]
	s_xor_b64 s[0:1], s[44:45], s[26:27]
	v_cndmask_b32_e64 v1, 0, 1, s[46:47]
	v_cndmask_b32_e64 v15, 0, 1, s[0:1]
	s_xor_b64 s[0:1], s[44:45], s[28:29]
	v_cndmask_b32_e64 v16, 0, 1, s[0:1]
	v_lshlrev_b16_e32 v1, 8, v1
	v_lshlrev_b16_e32 v3, 8, v3
	;; [unrolled: 1-line block ×8, first 2 shown]
	v_or_b32_e32 v1, v2, v1
	v_or_b32_sdwa v2, v4, v3 dst_sel:WORD_1 dst_unused:UNUSED_PAD src0_sel:DWORD src1_sel:DWORD
	v_or_b32_e32 v3, v6, v5
	v_or_b32_sdwa v4, v8, v7 dst_sel:WORD_1 dst_unused:UNUSED_PAD src0_sel:DWORD src1_sel:DWORD
	v_or_b32_e32 v5, v10, v9
	v_or_b32_sdwa v6, v12, v11 dst_sel:WORD_1 dst_unused:UNUSED_PAD src0_sel:DWORD src1_sel:DWORD
	v_or_b32_e32 v7, v14, v13
	v_or_b32_sdwa v8, v16, v15 dst_sel:WORD_1 dst_unused:UNUSED_PAD src0_sel:DWORD src1_sel:DWORD
	v_or_b32_sdwa v1, v1, v2 dst_sel:DWORD dst_unused:UNUSED_PAD src0_sel:WORD_0 src1_sel:DWORD
	v_or_b32_sdwa v2, v3, v4 dst_sel:DWORD dst_unused:UNUSED_PAD src0_sel:WORD_0 src1_sel:DWORD
	;; [unrolled: 1-line block ×4, first 2 shown]
	global_store_dwordx4 v17, v[1:4], s[34:35]
	s_mov_b64 s[0:1], 0
.LBB349_2:
	s_andn2_b64 vcc, exec, s[0:1]
	s_cbranch_vccnz .LBB349_52
; %bb.3:
	v_cmp_gt_i32_e32 vcc, s33, v0
	v_or_b32_e32 v19, 0x100, v0
	v_mov_b32_e32 v16, 0
	v_or_b32_e32 v1, s30, v0
	v_mov_b32_e32 v15, 0
	v_mov_b32_e32 v14, 0
	;; [unrolled: 1-line block ×15, first 2 shown]
	s_and_saveexec_b64 s[2:3], vcc
	s_cbranch_execz .LBB349_35
; %bb.4:
	v_mov_b32_e32 v2, 0
	v_lshlrev_b64 v[3:4], 2, v[1:2]
	v_mov_b32_e32 v5, s43
	v_add_co_u32_e64 v3, s[0:1], s42, v3
	v_addc_co_u32_e64 v4, s[0:1], v5, v4, s[0:1]
	global_load_dword v21, v[3:4], off
	v_cmp_gt_u32_e64 s[0:1], s33, v19
	v_mov_b32_e32 v9, v2
	v_mov_b32_e32 v20, v2
	v_mov_b32_e32 v3, v2
	v_mov_b32_e32 v4, v2
	v_mov_b32_e32 v5, v2
	v_mov_b32_e32 v6, v2
	v_mov_b32_e32 v7, v2
	v_mov_b32_e32 v8, v2
	v_mov_b32_e32 v11, v2
	v_mov_b32_e32 v12, v2
	v_mov_b32_e32 v13, v2
	v_mov_b32_e32 v14, v2
	v_mov_b32_e32 v15, v2
	v_mov_b32_e32 v16, v2
	s_and_saveexec_b64 s[4:5], s[0:1]
	s_cbranch_execz .LBB349_34
; %bb.5:
	v_add_u32_e32 v8, s30, v0
	v_mov_b32_e32 v9, 0
	v_lshlrev_b64 v[2:3], 2, v[8:9]
	v_mov_b32_e32 v4, s43
	v_add_co_u32_e64 v17, s[0:1], s42, v2
	v_addc_co_u32_e64 v18, s[0:1], v4, v3, s[0:1]
	global_load_dword v2, v[17:18], off offset:1024
	v_or_b32_e32 v3, 0x200, v0
	v_cmp_gt_u32_e64 s[0:1], s33, v3
	v_mov_b32_e32 v20, v9
	v_mov_b32_e32 v3, v9
	v_mov_b32_e32 v4, v9
	v_mov_b32_e32 v5, v9
	v_mov_b32_e32 v6, v9
	v_mov_b32_e32 v7, v9
	v_mov_b32_e32 v8, v9
	v_mov_b32_e32 v11, v9
	v_mov_b32_e32 v12, v9
	v_mov_b32_e32 v13, v9
	v_mov_b32_e32 v14, v9
	v_mov_b32_e32 v15, v9
	v_mov_b32_e32 v16, v9
	s_and_saveexec_b64 s[6:7], s[0:1]
	s_cbranch_execz .LBB349_33
; %bb.6:
	global_load_dword v9, v[17:18], off offset:2048
	v_or_b32_e32 v3, 0x300, v0
	v_cmp_gt_u32_e64 s[0:1], s33, v3
	v_mov_b32_e32 v20, 0
	v_mov_b32_e32 v3, 0
	;; [unrolled: 1-line block ×13, first 2 shown]
	s_and_saveexec_b64 s[8:9], s[0:1]
	s_cbranch_execz .LBB349_32
; %bb.7:
	global_load_dword v20, v[17:18], off offset:3072
	v_or_b32_e32 v10, 0x400, v0
	v_cmp_gt_u32_e64 s[0:1], s33, v10
	v_mov_b32_e32 v3, 0
	v_mov_b32_e32 v4, 0
	;; [unrolled: 1-line block ×12, first 2 shown]
	s_and_saveexec_b64 s[10:11], s[0:1]
	s_cbranch_execz .LBB349_31
; %bb.8:
	v_or_b32_e32 v3, s30, v10
	v_mov_b32_e32 v4, 0
	v_lshlrev_b64 v[5:6], 2, v[3:4]
	v_mov_b32_e32 v3, s43
	v_add_co_u32_e64 v5, s[0:1], s42, v5
	v_addc_co_u32_e64 v6, s[0:1], v3, v6, s[0:1]
	global_load_dword v3, v[5:6], off
	v_or_b32_e32 v10, 0x500, v0
	v_cmp_gt_u32_e64 s[0:1], s33, v10
	v_mov_b32_e32 v5, v4
	v_mov_b32_e32 v6, v4
	;; [unrolled: 1-line block ×10, first 2 shown]
	s_and_saveexec_b64 s[12:13], s[0:1]
	s_cbranch_execz .LBB349_30
; %bb.9:
	v_or_b32_e32 v4, s30, v10
	v_mov_b32_e32 v5, 0
	v_lshlrev_b64 v[6:7], 2, v[4:5]
	v_mov_b32_e32 v4, s43
	v_add_co_u32_e64 v6, s[0:1], s42, v6
	v_addc_co_u32_e64 v7, s[0:1], v4, v7, s[0:1]
	global_load_dword v4, v[6:7], off
	v_or_b32_e32 v10, 0x600, v0
	v_cmp_gt_u32_e64 s[0:1], s33, v10
	v_mov_b32_e32 v6, v5
	v_mov_b32_e32 v7, v5
	;; [unrolled: 1-line block ×9, first 2 shown]
	s_and_saveexec_b64 s[14:15], s[0:1]
	s_cbranch_execz .LBB349_29
; %bb.10:
	v_or_b32_e32 v5, s30, v10
	v_mov_b32_e32 v6, 0
	v_lshlrev_b64 v[7:8], 2, v[5:6]
	v_mov_b32_e32 v5, s43
	v_add_co_u32_e64 v7, s[0:1], s42, v7
	v_addc_co_u32_e64 v8, s[0:1], v5, v8, s[0:1]
	global_load_dword v5, v[7:8], off
	v_or_b32_e32 v10, 0x700, v0
	v_cmp_gt_u32_e64 s[0:1], s33, v10
	v_mov_b32_e32 v7, v6
	v_mov_b32_e32 v8, v6
	;; [unrolled: 1-line block ×8, first 2 shown]
	s_and_saveexec_b64 s[16:17], s[0:1]
	s_cbranch_execz .LBB349_28
; %bb.11:
	v_or_b32_e32 v6, s30, v10
	v_mov_b32_e32 v7, 0
	v_lshlrev_b64 v[10:11], 2, v[6:7]
	v_mov_b32_e32 v6, s43
	v_add_co_u32_e64 v10, s[0:1], s42, v10
	v_addc_co_u32_e64 v11, s[0:1], v6, v11, s[0:1]
	global_load_dword v6, v[10:11], off
	v_or_b32_e32 v10, 0x800, v0
	v_cmp_gt_u32_e64 s[0:1], s33, v10
	v_mov_b32_e32 v8, v7
	v_mov_b32_e32 v11, v7
	v_mov_b32_e32 v12, v7
	v_mov_b32_e32 v13, v7
	v_mov_b32_e32 v14, v7
	v_mov_b32_e32 v15, v7
	v_mov_b32_e32 v16, v7
	s_and_saveexec_b64 s[18:19], s[0:1]
	s_cbranch_execz .LBB349_27
; %bb.12:
	v_or_b32_e32 v7, s30, v10
	v_mov_b32_e32 v8, 0
	v_lshlrev_b64 v[10:11], 2, v[7:8]
	v_mov_b32_e32 v7, s43
	v_add_co_u32_e64 v10, s[0:1], s42, v10
	v_addc_co_u32_e64 v11, s[0:1], v7, v11, s[0:1]
	global_load_dword v7, v[10:11], off
	v_or_b32_e32 v10, 0x900, v0
	v_cmp_gt_u32_e64 s[0:1], s33, v10
	v_mov_b32_e32 v11, v8
	v_mov_b32_e32 v12, v8
	;; [unrolled: 1-line block ×6, first 2 shown]
	s_and_saveexec_b64 s[20:21], s[0:1]
	s_cbranch_execz .LBB349_26
; %bb.13:
	v_or_b32_e32 v10, s30, v10
	v_mov_b32_e32 v11, 0
	v_lshlrev_b64 v[12:13], 2, v[10:11]
	v_mov_b32_e32 v8, s43
	v_add_co_u32_e64 v12, s[0:1], s42, v12
	v_addc_co_u32_e64 v13, s[0:1], v8, v13, s[0:1]
	global_load_dword v8, v[12:13], off
	v_or_b32_e32 v10, 0xa00, v0
	v_cmp_gt_u32_e64 s[0:1], s33, v10
	v_mov_b32_e32 v12, v11
	v_mov_b32_e32 v13, v11
	;; [unrolled: 1-line block ×5, first 2 shown]
	s_and_saveexec_b64 s[22:23], s[0:1]
	s_cbranch_execz .LBB349_25
; %bb.14:
	v_or_b32_e32 v11, s30, v10
	v_mov_b32_e32 v12, 0
	v_lshlrev_b64 v[10:11], 2, v[11:12]
	v_mov_b32_e32 v13, s43
	v_add_co_u32_e64 v10, s[0:1], s42, v10
	v_addc_co_u32_e64 v11, s[0:1], v13, v11, s[0:1]
	global_load_dword v11, v[10:11], off
	v_or_b32_e32 v10, 0xb00, v0
	v_cmp_gt_u32_e64 s[0:1], s33, v10
	v_mov_b32_e32 v13, v12
	v_mov_b32_e32 v14, v12
	v_mov_b32_e32 v15, v12
	v_mov_b32_e32 v16, v12
	s_and_saveexec_b64 s[24:25], s[0:1]
	s_cbranch_execz .LBB349_24
; %bb.15:
	v_or_b32_e32 v12, s30, v10
	v_mov_b32_e32 v13, 0
	v_lshlrev_b64 v[14:15], 2, v[12:13]
	v_mov_b32_e32 v10, s43
	v_add_co_u32_e64 v14, s[0:1], s42, v14
	v_addc_co_u32_e64 v15, s[0:1], v10, v15, s[0:1]
	global_load_dword v12, v[14:15], off
	v_or_b32_e32 v10, 0xc00, v0
	v_cmp_gt_u32_e64 s[0:1], s33, v10
	v_mov_b32_e32 v14, v13
	v_mov_b32_e32 v15, v13
	;; [unrolled: 1-line block ×3, first 2 shown]
	s_and_saveexec_b64 s[26:27], s[0:1]
	s_cbranch_execz .LBB349_23
; %bb.16:
	v_or_b32_e32 v13, s30, v10
	v_mov_b32_e32 v14, 0
	v_lshlrev_b64 v[15:16], 2, v[13:14]
	v_mov_b32_e32 v10, s43
	v_add_co_u32_e64 v15, s[0:1], s42, v15
	v_addc_co_u32_e64 v16, s[0:1], v10, v16, s[0:1]
	global_load_dword v13, v[15:16], off
	v_or_b32_e32 v10, 0xd00, v0
	v_cmp_gt_u32_e64 s[0:1], s33, v10
	v_mov_b32_e32 v15, v14
	v_mov_b32_e32 v16, v14
	s_and_saveexec_b64 s[28:29], s[0:1]
	s_cbranch_execz .LBB349_22
; %bb.17:
	v_add_u32_e32 v14, s30, v10
	v_mov_b32_e32 v15, 0
	v_lshlrev_b64 v[16:17], 2, v[14:15]
	v_mov_b32_e32 v10, s43
	v_add_co_u32_e64 v16, s[0:1], s42, v16
	v_addc_co_u32_e64 v17, s[0:1], v10, v17, s[0:1]
	global_load_dword v14, v[16:17], off
	v_or_b32_e32 v10, 0xe00, v0
	v_cmp_gt_u32_e64 s[0:1], s33, v10
	v_mov_b32_e32 v16, v15
	s_and_saveexec_b64 s[34:35], s[0:1]
	s_cbranch_execz .LBB349_21
; %bb.18:
	v_add_u32_e32 v15, s30, v10
	v_mov_b32_e32 v16, 0
	v_lshlrev_b64 v[17:18], 2, v[15:16]
	v_mov_b32_e32 v10, s43
	v_add_co_u32_e64 v17, s[0:1], s42, v17
	v_addc_co_u32_e64 v18, s[0:1], v10, v18, s[0:1]
	global_load_dword v15, v[17:18], off
	v_or_b32_e32 v10, 0xf00, v0
	v_cmp_gt_u32_e64 s[0:1], s33, v10
	s_and_saveexec_b64 s[44:45], s[0:1]
	s_cbranch_execz .LBB349_20
; %bb.19:
	v_add_u32_e32 v16, s30, v10
	v_mov_b32_e32 v17, 0
	v_lshlrev_b64 v[16:17], 2, v[16:17]
	v_mov_b32_e32 v10, s43
	v_add_co_u32_e64 v16, s[0:1], s42, v16
	v_addc_co_u32_e64 v17, s[0:1], v10, v17, s[0:1]
	global_load_dword v16, v[16:17], off
.LBB349_20:
	s_or_b64 exec, exec, s[44:45]
.LBB349_21:
	s_or_b64 exec, exec, s[34:35]
.LBB349_22:
	s_or_b64 exec, exec, s[28:29]
.LBB349_23:
	s_or_b64 exec, exec, s[26:27]
.LBB349_24:
	s_or_b64 exec, exec, s[24:25]
.LBB349_25:
	s_or_b64 exec, exec, s[22:23]
.LBB349_26:
	s_or_b64 exec, exec, s[20:21]
.LBB349_27:
	s_or_b64 exec, exec, s[18:19]
.LBB349_28:
	s_or_b64 exec, exec, s[16:17]
.LBB349_29:
	s_or_b64 exec, exec, s[14:15]
.LBB349_30:
	s_or_b64 exec, exec, s[12:13]
.LBB349_31:
	s_or_b64 exec, exec, s[10:11]
.LBB349_32:
	s_or_b64 exec, exec, s[8:9]
.LBB349_33:
	s_or_b64 exec, exec, s[6:7]
.LBB349_34:
	s_or_b64 exec, exec, s[4:5]
.LBB349_35:
	s_or_b64 exec, exec, s[2:3]
	s_cmp_eq_u32 s37, 0
	s_cselect_b64 s[0:1], -1, 0
	s_and_saveexec_b64 s[2:3], vcc
	s_cbranch_execnz .LBB349_53
; %bb.36:
	s_or_b64 exec, exec, s[2:3]
	v_cmp_gt_i32_e32 vcc, s33, v0
	s_and_saveexec_b64 s[2:3], vcc
	s_cbranch_execnz .LBB349_54
.LBB349_37:
	s_or_b64 exec, exec, s[2:3]
	v_cmp_gt_i32_e32 vcc, s33, v0
	s_and_saveexec_b64 s[2:3], vcc
	s_cbranch_execnz .LBB349_55
.LBB349_38:
	s_or_b64 exec, exec, s[2:3]
	v_cmp_gt_i32_e32 vcc, s33, v0
	s_and_saveexec_b64 s[2:3], vcc
	s_cbranch_execnz .LBB349_56
.LBB349_39:
	s_or_b64 exec, exec, s[2:3]
	v_cmp_gt_i32_e32 vcc, s33, v0
	s_and_saveexec_b64 s[2:3], vcc
	s_cbranch_execnz .LBB349_57
.LBB349_40:
	s_or_b64 exec, exec, s[2:3]
	v_cmp_gt_i32_e32 vcc, s33, v0
	s_and_saveexec_b64 s[2:3], vcc
	s_cbranch_execnz .LBB349_58
.LBB349_41:
	s_or_b64 exec, exec, s[2:3]
	v_cmp_gt_i32_e32 vcc, s33, v0
	s_and_saveexec_b64 s[2:3], vcc
	s_cbranch_execnz .LBB349_59
.LBB349_42:
	s_or_b64 exec, exec, s[2:3]
	v_cmp_gt_i32_e32 vcc, s33, v0
	s_and_saveexec_b64 s[2:3], vcc
	s_cbranch_execnz .LBB349_60
.LBB349_43:
	s_or_b64 exec, exec, s[2:3]
	v_cmp_gt_i32_e32 vcc, s33, v0
	s_and_saveexec_b64 s[2:3], vcc
	s_cbranch_execnz .LBB349_61
.LBB349_44:
	s_or_b64 exec, exec, s[2:3]
	v_cmp_gt_i32_e32 vcc, s33, v0
	s_and_saveexec_b64 s[2:3], vcc
	s_cbranch_execnz .LBB349_62
.LBB349_45:
	s_or_b64 exec, exec, s[2:3]
	v_cmp_gt_i32_e32 vcc, s33, v0
	s_and_saveexec_b64 s[2:3], vcc
	s_cbranch_execnz .LBB349_63
.LBB349_46:
	s_or_b64 exec, exec, s[2:3]
	v_cmp_gt_i32_e32 vcc, s33, v0
	s_and_saveexec_b64 s[2:3], vcc
	s_cbranch_execnz .LBB349_64
.LBB349_47:
	s_or_b64 exec, exec, s[2:3]
	v_cmp_gt_i32_e32 vcc, s33, v0
	s_and_saveexec_b64 s[2:3], vcc
	s_cbranch_execnz .LBB349_65
.LBB349_48:
	s_or_b64 exec, exec, s[2:3]
	v_cmp_gt_i32_e32 vcc, s33, v0
	s_and_saveexec_b64 s[2:3], vcc
	s_cbranch_execnz .LBB349_66
.LBB349_49:
	s_or_b64 exec, exec, s[2:3]
	v_cmp_gt_i32_e32 vcc, s33, v0
	s_and_saveexec_b64 s[2:3], vcc
	s_cbranch_execnz .LBB349_67
.LBB349_50:
	s_or_b64 exec, exec, s[2:3]
	v_cmp_gt_i32_e32 vcc, s33, v0
	s_and_saveexec_b64 s[2:3], vcc
	s_cbranch_execz .LBB349_52
.LBB349_51:
	s_waitcnt vmcnt(0)
	v_cmp_ne_u32_e32 vcc, s38, v16
	s_xor_b64 s[0:1], s[0:1], vcc
	v_cndmask_b32_e64 v1, 0, 1, s[0:1]
	v_add_u32_e32 v0, s30, v0
	global_store_byte v0, v1, s[40:41]
.LBB349_52:
	s_endpgm
.LBB349_53:
	s_waitcnt vmcnt(0)
	v_cmp_ne_u32_e32 vcc, s38, v21
	s_xor_b64 s[4:5], s[0:1], vcc
	v_cndmask_b32_e64 v0, 0, 1, s[4:5]
	global_store_byte v1, v0, s[40:41]
	v_mov_b32_e32 v0, v19
	s_or_b64 exec, exec, s[2:3]
	v_cmp_gt_i32_e32 vcc, s33, v0
	s_and_saveexec_b64 s[2:3], vcc
	s_cbranch_execz .LBB349_37
.LBB349_54:
	s_waitcnt vmcnt(0)
	v_cmp_ne_u32_e32 vcc, s38, v2
	s_xor_b64 s[4:5], s[0:1], vcc
	v_cndmask_b32_e64 v1, 0, 1, s[4:5]
	v_add_u32_e32 v2, s30, v0
	v_add_u32_e32 v0, 0x100, v0
	global_store_byte v2, v1, s[40:41]
	s_or_b64 exec, exec, s[2:3]
	v_cmp_gt_i32_e32 vcc, s33, v0
	s_and_saveexec_b64 s[2:3], vcc
	s_cbranch_execz .LBB349_38
.LBB349_55:
	s_waitcnt vmcnt(0)
	v_cmp_ne_u32_e32 vcc, s38, v9
	s_xor_b64 s[4:5], s[0:1], vcc
	v_cndmask_b32_e64 v1, 0, 1, s[4:5]
	v_add_u32_e32 v2, s30, v0
	v_add_u32_e32 v0, 0x100, v0
	global_store_byte v2, v1, s[40:41]
	s_or_b64 exec, exec, s[2:3]
	v_cmp_gt_i32_e32 vcc, s33, v0
	s_and_saveexec_b64 s[2:3], vcc
	s_cbranch_execz .LBB349_39
.LBB349_56:
	s_waitcnt vmcnt(0)
	v_cmp_ne_u32_e32 vcc, s38, v20
	s_xor_b64 s[4:5], s[0:1], vcc
	v_cndmask_b32_e64 v1, 0, 1, s[4:5]
	v_add_u32_e32 v2, s30, v0
	v_add_u32_e32 v0, 0x100, v0
	global_store_byte v2, v1, s[40:41]
	s_or_b64 exec, exec, s[2:3]
	v_cmp_gt_i32_e32 vcc, s33, v0
	s_and_saveexec_b64 s[2:3], vcc
	s_cbranch_execz .LBB349_40
.LBB349_57:
	s_waitcnt vmcnt(0)
	v_cmp_ne_u32_e32 vcc, s38, v3
	s_xor_b64 s[4:5], s[0:1], vcc
	v_cndmask_b32_e64 v1, 0, 1, s[4:5]
	v_add_u32_e32 v2, s30, v0
	v_add_u32_e32 v0, 0x100, v0
	global_store_byte v2, v1, s[40:41]
	s_or_b64 exec, exec, s[2:3]
	v_cmp_gt_i32_e32 vcc, s33, v0
	s_and_saveexec_b64 s[2:3], vcc
	s_cbranch_execz .LBB349_41
.LBB349_58:
	s_waitcnt vmcnt(0)
	v_cmp_ne_u32_e32 vcc, s38, v4
	s_xor_b64 s[4:5], s[0:1], vcc
	v_cndmask_b32_e64 v1, 0, 1, s[4:5]
	v_add_u32_e32 v2, s30, v0
	v_add_u32_e32 v0, 0x100, v0
	global_store_byte v2, v1, s[40:41]
	s_or_b64 exec, exec, s[2:3]
	v_cmp_gt_i32_e32 vcc, s33, v0
	s_and_saveexec_b64 s[2:3], vcc
	s_cbranch_execz .LBB349_42
.LBB349_59:
	s_waitcnt vmcnt(0)
	v_cmp_ne_u32_e32 vcc, s38, v5
	s_xor_b64 s[4:5], s[0:1], vcc
	v_cndmask_b32_e64 v1, 0, 1, s[4:5]
	v_add_u32_e32 v2, s30, v0
	v_add_u32_e32 v0, 0x100, v0
	global_store_byte v2, v1, s[40:41]
	s_or_b64 exec, exec, s[2:3]
	v_cmp_gt_i32_e32 vcc, s33, v0
	s_and_saveexec_b64 s[2:3], vcc
	s_cbranch_execz .LBB349_43
.LBB349_60:
	s_waitcnt vmcnt(0)
	v_cmp_ne_u32_e32 vcc, s38, v6
	s_xor_b64 s[4:5], s[0:1], vcc
	v_cndmask_b32_e64 v1, 0, 1, s[4:5]
	v_add_u32_e32 v2, s30, v0
	v_add_u32_e32 v0, 0x100, v0
	global_store_byte v2, v1, s[40:41]
	s_or_b64 exec, exec, s[2:3]
	v_cmp_gt_i32_e32 vcc, s33, v0
	s_and_saveexec_b64 s[2:3], vcc
	s_cbranch_execz .LBB349_44
.LBB349_61:
	s_waitcnt vmcnt(0)
	v_cmp_ne_u32_e32 vcc, s38, v7
	s_xor_b64 s[4:5], s[0:1], vcc
	v_cndmask_b32_e64 v1, 0, 1, s[4:5]
	v_add_u32_e32 v2, s30, v0
	v_add_u32_e32 v0, 0x100, v0
	global_store_byte v2, v1, s[40:41]
	s_or_b64 exec, exec, s[2:3]
	v_cmp_gt_i32_e32 vcc, s33, v0
	s_and_saveexec_b64 s[2:3], vcc
	s_cbranch_execz .LBB349_45
.LBB349_62:
	s_waitcnt vmcnt(0)
	v_cmp_ne_u32_e32 vcc, s38, v8
	s_xor_b64 s[4:5], s[0:1], vcc
	v_cndmask_b32_e64 v1, 0, 1, s[4:5]
	v_add_u32_e32 v2, s30, v0
	v_add_u32_e32 v0, 0x100, v0
	global_store_byte v2, v1, s[40:41]
	s_or_b64 exec, exec, s[2:3]
	v_cmp_gt_i32_e32 vcc, s33, v0
	s_and_saveexec_b64 s[2:3], vcc
	s_cbranch_execz .LBB349_46
.LBB349_63:
	s_waitcnt vmcnt(0)
	v_cmp_ne_u32_e32 vcc, s38, v11
	s_xor_b64 s[4:5], s[0:1], vcc
	v_cndmask_b32_e64 v1, 0, 1, s[4:5]
	v_add_u32_e32 v2, s30, v0
	v_add_u32_e32 v0, 0x100, v0
	global_store_byte v2, v1, s[40:41]
	s_or_b64 exec, exec, s[2:3]
	v_cmp_gt_i32_e32 vcc, s33, v0
	s_and_saveexec_b64 s[2:3], vcc
	s_cbranch_execz .LBB349_47
.LBB349_64:
	s_waitcnt vmcnt(0)
	v_cmp_ne_u32_e32 vcc, s38, v12
	s_xor_b64 s[4:5], s[0:1], vcc
	v_cndmask_b32_e64 v1, 0, 1, s[4:5]
	v_add_u32_e32 v2, s30, v0
	v_add_u32_e32 v0, 0x100, v0
	global_store_byte v2, v1, s[40:41]
	s_or_b64 exec, exec, s[2:3]
	v_cmp_gt_i32_e32 vcc, s33, v0
	s_and_saveexec_b64 s[2:3], vcc
	s_cbranch_execz .LBB349_48
.LBB349_65:
	s_waitcnt vmcnt(0)
	v_cmp_ne_u32_e32 vcc, s38, v13
	s_xor_b64 s[4:5], s[0:1], vcc
	v_cndmask_b32_e64 v1, 0, 1, s[4:5]
	v_add_u32_e32 v2, s30, v0
	v_add_u32_e32 v0, 0x100, v0
	global_store_byte v2, v1, s[40:41]
	s_or_b64 exec, exec, s[2:3]
	v_cmp_gt_i32_e32 vcc, s33, v0
	s_and_saveexec_b64 s[2:3], vcc
	s_cbranch_execz .LBB349_49
.LBB349_66:
	s_waitcnt vmcnt(0)
	v_cmp_ne_u32_e32 vcc, s38, v14
	s_xor_b64 s[4:5], s[0:1], vcc
	v_cndmask_b32_e64 v1, 0, 1, s[4:5]
	v_add_u32_e32 v2, s30, v0
	v_add_u32_e32 v0, 0x100, v0
	global_store_byte v2, v1, s[40:41]
	s_or_b64 exec, exec, s[2:3]
	v_cmp_gt_i32_e32 vcc, s33, v0
	s_and_saveexec_b64 s[2:3], vcc
	s_cbranch_execz .LBB349_50
.LBB349_67:
	s_waitcnt vmcnt(0)
	v_cmp_ne_u32_e32 vcc, s38, v15
	s_xor_b64 s[4:5], s[0:1], vcc
	v_cndmask_b32_e64 v1, 0, 1, s[4:5]
	v_add_u32_e32 v2, s30, v0
	v_add_u32_e32 v0, 0x100, v0
	global_store_byte v2, v1, s[40:41]
	s_or_b64 exec, exec, s[2:3]
	v_cmp_gt_i32_e32 vcc, s33, v0
	s_and_saveexec_b64 s[2:3], vcc
	s_cbranch_execnz .LBB349_51
	s_branch .LBB349_52
	.section	.rodata,"a",@progbits
	.p2align	6, 0x0
	.amdhsa_kernel _ZN2at6native29vectorized_elementwise_kernelILi16ENS0_13AUnaryFunctorIjjbNS0_12_GLOBAL__N_116CompareEqFunctorIjEEEESt5arrayIPcLm2EEEEviT0_T1_
		.amdhsa_group_segment_fixed_size 0
		.amdhsa_private_segment_fixed_size 0
		.amdhsa_kernarg_size 32
		.amdhsa_user_sgpr_count 6
		.amdhsa_user_sgpr_private_segment_buffer 1
		.amdhsa_user_sgpr_dispatch_ptr 0
		.amdhsa_user_sgpr_queue_ptr 0
		.amdhsa_user_sgpr_kernarg_segment_ptr 1
		.amdhsa_user_sgpr_dispatch_id 0
		.amdhsa_user_sgpr_flat_scratch_init 0
		.amdhsa_user_sgpr_private_segment_size 0
		.amdhsa_uses_dynamic_stack 0
		.amdhsa_system_sgpr_private_segment_wavefront_offset 0
		.amdhsa_system_sgpr_workgroup_id_x 1
		.amdhsa_system_sgpr_workgroup_id_y 0
		.amdhsa_system_sgpr_workgroup_id_z 0
		.amdhsa_system_sgpr_workgroup_info 0
		.amdhsa_system_vgpr_workitem_id 0
		.amdhsa_next_free_vgpr 22
		.amdhsa_next_free_sgpr 48
		.amdhsa_reserve_vcc 1
		.amdhsa_reserve_flat_scratch 0
		.amdhsa_float_round_mode_32 0
		.amdhsa_float_round_mode_16_64 0
		.amdhsa_float_denorm_mode_32 3
		.amdhsa_float_denorm_mode_16_64 3
		.amdhsa_dx10_clamp 1
		.amdhsa_ieee_mode 1
		.amdhsa_fp16_overflow 0
		.amdhsa_exception_fp_ieee_invalid_op 0
		.amdhsa_exception_fp_denorm_src 0
		.amdhsa_exception_fp_ieee_div_zero 0
		.amdhsa_exception_fp_ieee_overflow 0
		.amdhsa_exception_fp_ieee_underflow 0
		.amdhsa_exception_fp_ieee_inexact 0
		.amdhsa_exception_int_div_zero 0
	.end_amdhsa_kernel
	.section	.text._ZN2at6native29vectorized_elementwise_kernelILi16ENS0_13AUnaryFunctorIjjbNS0_12_GLOBAL__N_116CompareEqFunctorIjEEEESt5arrayIPcLm2EEEEviT0_T1_,"axG",@progbits,_ZN2at6native29vectorized_elementwise_kernelILi16ENS0_13AUnaryFunctorIjjbNS0_12_GLOBAL__N_116CompareEqFunctorIjEEEESt5arrayIPcLm2EEEEviT0_T1_,comdat
.Lfunc_end349:
	.size	_ZN2at6native29vectorized_elementwise_kernelILi16ENS0_13AUnaryFunctorIjjbNS0_12_GLOBAL__N_116CompareEqFunctorIjEEEESt5arrayIPcLm2EEEEviT0_T1_, .Lfunc_end349-_ZN2at6native29vectorized_elementwise_kernelILi16ENS0_13AUnaryFunctorIjjbNS0_12_GLOBAL__N_116CompareEqFunctorIjEEEESt5arrayIPcLm2EEEEviT0_T1_
                                        ; -- End function
	.set _ZN2at6native29vectorized_elementwise_kernelILi16ENS0_13AUnaryFunctorIjjbNS0_12_GLOBAL__N_116CompareEqFunctorIjEEEESt5arrayIPcLm2EEEEviT0_T1_.num_vgpr, 22
	.set _ZN2at6native29vectorized_elementwise_kernelILi16ENS0_13AUnaryFunctorIjjbNS0_12_GLOBAL__N_116CompareEqFunctorIjEEEESt5arrayIPcLm2EEEEviT0_T1_.num_agpr, 0
	.set _ZN2at6native29vectorized_elementwise_kernelILi16ENS0_13AUnaryFunctorIjjbNS0_12_GLOBAL__N_116CompareEqFunctorIjEEEESt5arrayIPcLm2EEEEviT0_T1_.numbered_sgpr, 48
	.set _ZN2at6native29vectorized_elementwise_kernelILi16ENS0_13AUnaryFunctorIjjbNS0_12_GLOBAL__N_116CompareEqFunctorIjEEEESt5arrayIPcLm2EEEEviT0_T1_.num_named_barrier, 0
	.set _ZN2at6native29vectorized_elementwise_kernelILi16ENS0_13AUnaryFunctorIjjbNS0_12_GLOBAL__N_116CompareEqFunctorIjEEEESt5arrayIPcLm2EEEEviT0_T1_.private_seg_size, 0
	.set _ZN2at6native29vectorized_elementwise_kernelILi16ENS0_13AUnaryFunctorIjjbNS0_12_GLOBAL__N_116CompareEqFunctorIjEEEESt5arrayIPcLm2EEEEviT0_T1_.uses_vcc, 1
	.set _ZN2at6native29vectorized_elementwise_kernelILi16ENS0_13AUnaryFunctorIjjbNS0_12_GLOBAL__N_116CompareEqFunctorIjEEEESt5arrayIPcLm2EEEEviT0_T1_.uses_flat_scratch, 0
	.set _ZN2at6native29vectorized_elementwise_kernelILi16ENS0_13AUnaryFunctorIjjbNS0_12_GLOBAL__N_116CompareEqFunctorIjEEEESt5arrayIPcLm2EEEEviT0_T1_.has_dyn_sized_stack, 0
	.set _ZN2at6native29vectorized_elementwise_kernelILi16ENS0_13AUnaryFunctorIjjbNS0_12_GLOBAL__N_116CompareEqFunctorIjEEEESt5arrayIPcLm2EEEEviT0_T1_.has_recursion, 0
	.set _ZN2at6native29vectorized_elementwise_kernelILi16ENS0_13AUnaryFunctorIjjbNS0_12_GLOBAL__N_116CompareEqFunctorIjEEEESt5arrayIPcLm2EEEEviT0_T1_.has_indirect_call, 0
	.section	.AMDGPU.csdata,"",@progbits
; Kernel info:
; codeLenInByte = 3256
; TotalNumSgprs: 52
; NumVgprs: 22
; ScratchSize: 0
; MemoryBound: 0
; FloatMode: 240
; IeeeMode: 1
; LDSByteSize: 0 bytes/workgroup (compile time only)
; SGPRBlocks: 6
; VGPRBlocks: 5
; NumSGPRsForWavesPerEU: 52
; NumVGPRsForWavesPerEU: 22
; Occupancy: 10
; WaveLimiterHint : 0
; COMPUTE_PGM_RSRC2:SCRATCH_EN: 0
; COMPUTE_PGM_RSRC2:USER_SGPR: 6
; COMPUTE_PGM_RSRC2:TRAP_HANDLER: 0
; COMPUTE_PGM_RSRC2:TGID_X_EN: 1
; COMPUTE_PGM_RSRC2:TGID_Y_EN: 0
; COMPUTE_PGM_RSRC2:TGID_Z_EN: 0
; COMPUTE_PGM_RSRC2:TIDIG_COMP_CNT: 0
	.section	.text._ZN2at6native29vectorized_elementwise_kernelILi8ENS0_13AUnaryFunctorIjjbNS0_12_GLOBAL__N_116CompareEqFunctorIjEEEESt5arrayIPcLm2EEEEviT0_T1_,"axG",@progbits,_ZN2at6native29vectorized_elementwise_kernelILi8ENS0_13AUnaryFunctorIjjbNS0_12_GLOBAL__N_116CompareEqFunctorIjEEEESt5arrayIPcLm2EEEEviT0_T1_,comdat
	.globl	_ZN2at6native29vectorized_elementwise_kernelILi8ENS0_13AUnaryFunctorIjjbNS0_12_GLOBAL__N_116CompareEqFunctorIjEEEESt5arrayIPcLm2EEEEviT0_T1_ ; -- Begin function _ZN2at6native29vectorized_elementwise_kernelILi8ENS0_13AUnaryFunctorIjjbNS0_12_GLOBAL__N_116CompareEqFunctorIjEEEESt5arrayIPcLm2EEEEviT0_T1_
	.p2align	8
	.type	_ZN2at6native29vectorized_elementwise_kernelILi8ENS0_13AUnaryFunctorIjjbNS0_12_GLOBAL__N_116CompareEqFunctorIjEEEESt5arrayIPcLm2EEEEviT0_T1_,@function
_ZN2at6native29vectorized_elementwise_kernelILi8ENS0_13AUnaryFunctorIjjbNS0_12_GLOBAL__N_116CompareEqFunctorIjEEEESt5arrayIPcLm2EEEEviT0_T1_: ; @_ZN2at6native29vectorized_elementwise_kernelILi8ENS0_13AUnaryFunctorIjjbNS0_12_GLOBAL__N_116CompareEqFunctorIjEEEESt5arrayIPcLm2EEEEviT0_T1_
; %bb.0:
	s_load_dwordx8 s[16:23], s[4:5], 0x0
	s_lshl_b32 s14, s6, 12
	s_mov_b64 s[0:1], -1
	s_waitcnt lgkmcnt(0)
	s_sub_i32 s16, s16, s14
	s_cmpk_gt_i32 s16, 0xfff
	s_cbranch_scc0 .LBB350_2
; %bb.1:
	s_ashr_i32 s15, s14, 31
	s_lshl_b64 s[0:1], s[14:15], 2
	s_add_u32 s0, s22, s0
	s_addc_u32 s1, s23, s1
	v_lshlrev_b32_e32 v9, 5, v0
	global_load_dwordx4 v[1:4], v9, s[0:1]
	global_load_dwordx4 v[5:8], v9, s[0:1] offset:16
	v_mov_b32_e32 v10, s1
	v_add_co_u32_e32 v9, vcc, s0, v9
	v_addc_co_u32_e32 v14, vcc, 0, v10, vcc
	v_add_co_u32_e32 v13, vcc, 0x2000, v9
	v_addc_co_u32_e64 v10, s[0:1], 0, v14, vcc
	v_mov_b32_e32 v9, v13
	global_load_dwordx4 v[9:12], v[9:10], off
	v_addc_co_u32_e32 v14, vcc, 0, v14, vcc
	global_load_dwordx4 v[13:16], v[13:14], off offset:16
	s_cmp_eq_u32 s17, 0
	s_cselect_b64 s[24:25], -1, 0
	v_mov_b32_e32 v17, 0x100
	v_mov_b32_e32 v18, 0x10000
	;; [unrolled: 1-line block ×3, first 2 shown]
	s_waitcnt vmcnt(3)
	v_cmp_ne_u32_e32 vcc, s18, v1
	v_cmp_ne_u32_e64 s[0:1], s18, v2
	v_cmp_ne_u32_e64 s[2:3], s18, v3
	s_xor_b64 s[26:27], s[24:25], vcc
	s_xor_b64 vcc, s[24:25], s[0:1]
	v_cmp_ne_u32_e64 s[4:5], s18, v4
	v_cndmask_b32_e32 v2, 0, v17, vcc
	s_xor_b64 vcc, s[24:25], s[2:3]
	s_waitcnt vmcnt(2)
	v_cmp_ne_u32_e64 s[6:7], s18, v5
	v_cmp_ne_u32_e64 s[8:9], s18, v6
	v_cndmask_b32_e32 v5, 0, v18, vcc
	s_xor_b64 vcc, s[24:25], s[4:5]
	v_cmp_ne_u32_e64 s[10:11], s18, v7
	v_cndmask_b32_e32 v6, 0, v19, vcc
	s_xor_b64 vcc, s[24:25], s[8:9]
	v_cmp_ne_u32_e64 s[12:13], s18, v8
	v_cndmask_b32_e64 v1, 0, 1, s[26:27]
	s_xor_b64 s[0:1], s[24:25], s[6:7]
	v_cndmask_b32_e32 v8, 0, v17, vcc
	s_xor_b64 vcc, s[24:25], s[10:11]
	v_or3_b32 v3, 0, 0, 0
	v_cndmask_b32_e64 v7, 0, 1, s[0:1]
	v_or_b32_e32 v1, v2, v1
	v_cndmask_b32_e32 v2, 0, v18, vcc
	s_xor_b64 vcc, s[24:25], s[12:13]
	v_or3_b32 v7, v3, v7, v8
	v_cndmask_b32_e32 v8, 0, v19, vcc
	s_waitcnt vmcnt(1)
	v_cmp_ne_u32_e32 vcc, s18, v9
	v_cmp_ne_u32_e64 s[0:1], s18, v10
	v_cmp_ne_u32_e64 s[2:3], s18, v11
	s_xor_b64 s[26:27], s[24:25], vcc
	s_xor_b64 vcc, s[24:25], s[0:1]
	v_or3_b32 v1, v1, v5, v6
	v_cmp_ne_u32_e64 s[4:5], s18, v12
	v_cndmask_b32_e32 v6, 0, v17, vcc
	s_xor_b64 vcc, s[24:25], s[2:3]
	v_or3_b32 v2, v7, v2, v8
	s_waitcnt vmcnt(0)
	v_cmp_ne_u32_e64 s[8:9], s18, v14
	v_cndmask_b32_e32 v7, 0, v18, vcc
	s_xor_b64 vcc, s[24:25], s[4:5]
	v_cmp_ne_u32_e64 s[10:11], s18, v15
	v_cndmask_b32_e32 v8, 0, v19, vcc
	s_xor_b64 vcc, s[24:25], s[8:9]
	v_cmp_ne_u32_e64 s[6:7], s18, v13
	v_cmp_ne_u32_e64 s[12:13], s18, v16
	v_cndmask_b32_e64 v5, 0, 1, s[26:27]
	v_cndmask_b32_e32 v10, 0, v17, vcc
	s_xor_b64 vcc, s[24:25], s[10:11]
	s_xor_b64 s[0:1], s[24:25], s[6:7]
	v_cndmask_b32_e32 v11, 0, v18, vcc
	s_xor_b64 vcc, s[24:25], s[12:13]
	v_or_b32_e32 v5, v6, v5
	v_or3_b32 v1, v1, 0, 0
	v_cndmask_b32_e64 v9, 0, 1, s[0:1]
	s_add_u32 s0, s20, s14
	v_or3_b32 v5, v5, v7, v8
	v_lshlrev_b32_e32 v4, 3, v0
	v_cndmask_b32_e32 v12, 0, v19, vcc
	v_or3_b32 v1, v1, 0, 0
	v_or3_b32 v3, v3, v9, v10
	s_addc_u32 s1, s21, s15
	v_or3_b32 v5, v5, 0, 0
	v_or3_b32 v3, v3, v11, v12
	global_store_dwordx2 v4, v[1:2], s[0:1]
	v_or3_b32 v2, v5, 0, 0
	global_store_dwordx2 v4, v[2:3], s[0:1] offset:2048
	s_mov_b64 s[0:1], 0
.LBB350_2:
	s_andn2_b64 vcc, exec, s[0:1]
	s_cbranch_vccnz .LBB350_52
; %bb.3:
	v_cmp_gt_i32_e32 vcc, s16, v0
	v_or_b32_e32 v19, 0x100, v0
	v_mov_b32_e32 v16, 0
	v_or_b32_e32 v1, s14, v0
	v_mov_b32_e32 v15, 0
	v_mov_b32_e32 v14, 0
	;; [unrolled: 1-line block ×15, first 2 shown]
	s_and_saveexec_b64 s[2:3], vcc
	s_cbranch_execz .LBB350_35
; %bb.4:
	v_mov_b32_e32 v2, 0
	v_lshlrev_b64 v[3:4], 2, v[1:2]
	v_mov_b32_e32 v5, s23
	v_add_co_u32_e64 v3, s[0:1], s22, v3
	v_addc_co_u32_e64 v4, s[0:1], v5, v4, s[0:1]
	global_load_dword v21, v[3:4], off
	v_cmp_gt_u32_e64 s[0:1], s16, v19
	v_mov_b32_e32 v9, v2
	v_mov_b32_e32 v20, v2
	v_mov_b32_e32 v3, v2
	v_mov_b32_e32 v4, v2
	v_mov_b32_e32 v5, v2
	v_mov_b32_e32 v6, v2
	v_mov_b32_e32 v7, v2
	v_mov_b32_e32 v8, v2
	v_mov_b32_e32 v11, v2
	v_mov_b32_e32 v12, v2
	v_mov_b32_e32 v13, v2
	v_mov_b32_e32 v14, v2
	v_mov_b32_e32 v15, v2
	v_mov_b32_e32 v16, v2
	s_and_saveexec_b64 s[4:5], s[0:1]
	s_cbranch_execz .LBB350_34
; %bb.5:
	v_add_u32_e32 v8, s14, v0
	v_mov_b32_e32 v9, 0
	v_lshlrev_b64 v[2:3], 2, v[8:9]
	v_mov_b32_e32 v4, s23
	v_add_co_u32_e64 v17, s[0:1], s22, v2
	v_addc_co_u32_e64 v18, s[0:1], v4, v3, s[0:1]
	global_load_dword v2, v[17:18], off offset:1024
	v_or_b32_e32 v3, 0x200, v0
	v_cmp_gt_u32_e64 s[0:1], s16, v3
	v_mov_b32_e32 v20, v9
	v_mov_b32_e32 v3, v9
	;; [unrolled: 1-line block ×13, first 2 shown]
	s_and_saveexec_b64 s[6:7], s[0:1]
	s_cbranch_execz .LBB350_33
; %bb.6:
	global_load_dword v9, v[17:18], off offset:2048
	v_or_b32_e32 v3, 0x300, v0
	v_cmp_gt_u32_e64 s[0:1], s16, v3
	v_mov_b32_e32 v20, 0
	v_mov_b32_e32 v3, 0
	;; [unrolled: 1-line block ×13, first 2 shown]
	s_and_saveexec_b64 s[8:9], s[0:1]
	s_cbranch_execz .LBB350_32
; %bb.7:
	global_load_dword v20, v[17:18], off offset:3072
	v_or_b32_e32 v10, 0x400, v0
	v_cmp_gt_u32_e64 s[0:1], s16, v10
	v_mov_b32_e32 v3, 0
	v_mov_b32_e32 v4, 0
	;; [unrolled: 1-line block ×12, first 2 shown]
	s_and_saveexec_b64 s[10:11], s[0:1]
	s_cbranch_execz .LBB350_31
; %bb.8:
	v_or_b32_e32 v3, s14, v10
	v_mov_b32_e32 v4, 0
	v_lshlrev_b64 v[5:6], 2, v[3:4]
	v_mov_b32_e32 v3, s23
	v_add_co_u32_e64 v5, s[0:1], s22, v5
	v_addc_co_u32_e64 v6, s[0:1], v3, v6, s[0:1]
	global_load_dword v3, v[5:6], off
	v_or_b32_e32 v10, 0x500, v0
	v_cmp_gt_u32_e64 s[0:1], s16, v10
	v_mov_b32_e32 v5, v4
	v_mov_b32_e32 v6, v4
	;; [unrolled: 1-line block ×10, first 2 shown]
	s_and_saveexec_b64 s[12:13], s[0:1]
	s_cbranch_execz .LBB350_30
; %bb.9:
	v_or_b32_e32 v4, s14, v10
	v_mov_b32_e32 v5, 0
	v_lshlrev_b64 v[6:7], 2, v[4:5]
	v_mov_b32_e32 v4, s23
	v_add_co_u32_e64 v6, s[0:1], s22, v6
	v_addc_co_u32_e64 v7, s[0:1], v4, v7, s[0:1]
	global_load_dword v4, v[6:7], off
	v_or_b32_e32 v10, 0x600, v0
	v_cmp_gt_u32_e64 s[0:1], s16, v10
	v_mov_b32_e32 v6, v5
	v_mov_b32_e32 v7, v5
	;; [unrolled: 1-line block ×9, first 2 shown]
	s_and_saveexec_b64 s[24:25], s[0:1]
	s_cbranch_execz .LBB350_29
; %bb.10:
	v_or_b32_e32 v5, s14, v10
	v_mov_b32_e32 v6, 0
	v_lshlrev_b64 v[7:8], 2, v[5:6]
	v_mov_b32_e32 v5, s23
	v_add_co_u32_e64 v7, s[0:1], s22, v7
	v_addc_co_u32_e64 v8, s[0:1], v5, v8, s[0:1]
	global_load_dword v5, v[7:8], off
	v_or_b32_e32 v10, 0x700, v0
	v_cmp_gt_u32_e64 s[0:1], s16, v10
	v_mov_b32_e32 v7, v6
	v_mov_b32_e32 v8, v6
	;; [unrolled: 1-line block ×8, first 2 shown]
	s_and_saveexec_b64 s[26:27], s[0:1]
	s_cbranch_execz .LBB350_28
; %bb.11:
	v_or_b32_e32 v6, s14, v10
	v_mov_b32_e32 v7, 0
	v_lshlrev_b64 v[10:11], 2, v[6:7]
	v_mov_b32_e32 v6, s23
	v_add_co_u32_e64 v10, s[0:1], s22, v10
	v_addc_co_u32_e64 v11, s[0:1], v6, v11, s[0:1]
	global_load_dword v6, v[10:11], off
	v_or_b32_e32 v10, 0x800, v0
	v_cmp_gt_u32_e64 s[0:1], s16, v10
	v_mov_b32_e32 v8, v7
	v_mov_b32_e32 v11, v7
	;; [unrolled: 1-line block ×7, first 2 shown]
	s_and_saveexec_b64 s[28:29], s[0:1]
	s_cbranch_execz .LBB350_27
; %bb.12:
	v_or_b32_e32 v7, s14, v10
	v_mov_b32_e32 v8, 0
	v_lshlrev_b64 v[10:11], 2, v[7:8]
	v_mov_b32_e32 v7, s23
	v_add_co_u32_e64 v10, s[0:1], s22, v10
	v_addc_co_u32_e64 v11, s[0:1], v7, v11, s[0:1]
	global_load_dword v7, v[10:11], off
	v_or_b32_e32 v10, 0x900, v0
	v_cmp_gt_u32_e64 s[0:1], s16, v10
	v_mov_b32_e32 v11, v8
	v_mov_b32_e32 v12, v8
	;; [unrolled: 1-line block ×6, first 2 shown]
	s_and_saveexec_b64 s[30:31], s[0:1]
	s_cbranch_execz .LBB350_26
; %bb.13:
	v_or_b32_e32 v10, s14, v10
	v_mov_b32_e32 v11, 0
	v_lshlrev_b64 v[12:13], 2, v[10:11]
	v_mov_b32_e32 v8, s23
	v_add_co_u32_e64 v12, s[0:1], s22, v12
	v_addc_co_u32_e64 v13, s[0:1], v8, v13, s[0:1]
	global_load_dword v8, v[12:13], off
	v_or_b32_e32 v10, 0xa00, v0
	v_cmp_gt_u32_e64 s[0:1], s16, v10
	v_mov_b32_e32 v12, v11
	v_mov_b32_e32 v13, v11
	;; [unrolled: 1-line block ×5, first 2 shown]
	s_and_saveexec_b64 s[34:35], s[0:1]
	s_cbranch_execz .LBB350_25
; %bb.14:
	v_or_b32_e32 v11, s14, v10
	v_mov_b32_e32 v12, 0
	v_lshlrev_b64 v[10:11], 2, v[11:12]
	v_mov_b32_e32 v13, s23
	v_add_co_u32_e64 v10, s[0:1], s22, v10
	v_addc_co_u32_e64 v11, s[0:1], v13, v11, s[0:1]
	global_load_dword v11, v[10:11], off
	v_or_b32_e32 v10, 0xb00, v0
	v_cmp_gt_u32_e64 s[0:1], s16, v10
	v_mov_b32_e32 v13, v12
	v_mov_b32_e32 v14, v12
	;; [unrolled: 1-line block ×4, first 2 shown]
	s_and_saveexec_b64 s[36:37], s[0:1]
	s_cbranch_execz .LBB350_24
; %bb.15:
	v_or_b32_e32 v12, s14, v10
	v_mov_b32_e32 v13, 0
	v_lshlrev_b64 v[14:15], 2, v[12:13]
	v_mov_b32_e32 v10, s23
	v_add_co_u32_e64 v14, s[0:1], s22, v14
	v_addc_co_u32_e64 v15, s[0:1], v10, v15, s[0:1]
	global_load_dword v12, v[14:15], off
	v_or_b32_e32 v10, 0xc00, v0
	v_cmp_gt_u32_e64 s[0:1], s16, v10
	v_mov_b32_e32 v14, v13
	v_mov_b32_e32 v15, v13
	;; [unrolled: 1-line block ×3, first 2 shown]
	s_and_saveexec_b64 s[38:39], s[0:1]
	s_cbranch_execz .LBB350_23
; %bb.16:
	v_or_b32_e32 v13, s14, v10
	v_mov_b32_e32 v14, 0
	v_lshlrev_b64 v[15:16], 2, v[13:14]
	v_mov_b32_e32 v10, s23
	v_add_co_u32_e64 v15, s[0:1], s22, v15
	v_addc_co_u32_e64 v16, s[0:1], v10, v16, s[0:1]
	global_load_dword v13, v[15:16], off
	v_or_b32_e32 v10, 0xd00, v0
	v_cmp_gt_u32_e64 s[0:1], s16, v10
	v_mov_b32_e32 v15, v14
	v_mov_b32_e32 v16, v14
	s_and_saveexec_b64 s[40:41], s[0:1]
	s_cbranch_execz .LBB350_22
; %bb.17:
	v_add_u32_e32 v14, s14, v10
	v_mov_b32_e32 v15, 0
	v_lshlrev_b64 v[16:17], 2, v[14:15]
	v_mov_b32_e32 v10, s23
	v_add_co_u32_e64 v16, s[0:1], s22, v16
	v_addc_co_u32_e64 v17, s[0:1], v10, v17, s[0:1]
	global_load_dword v14, v[16:17], off
	v_or_b32_e32 v10, 0xe00, v0
	v_cmp_gt_u32_e64 s[0:1], s16, v10
	v_mov_b32_e32 v16, v15
	s_and_saveexec_b64 s[42:43], s[0:1]
	s_cbranch_execz .LBB350_21
; %bb.18:
	v_add_u32_e32 v15, s14, v10
	v_mov_b32_e32 v16, 0
	v_lshlrev_b64 v[17:18], 2, v[15:16]
	v_mov_b32_e32 v10, s23
	v_add_co_u32_e64 v17, s[0:1], s22, v17
	v_addc_co_u32_e64 v18, s[0:1], v10, v18, s[0:1]
	global_load_dword v15, v[17:18], off
	v_or_b32_e32 v10, 0xf00, v0
	v_cmp_gt_u32_e64 s[0:1], s16, v10
	s_and_saveexec_b64 s[44:45], s[0:1]
	s_cbranch_execz .LBB350_20
; %bb.19:
	v_add_u32_e32 v16, s14, v10
	v_mov_b32_e32 v17, 0
	v_lshlrev_b64 v[16:17], 2, v[16:17]
	v_mov_b32_e32 v10, s23
	v_add_co_u32_e64 v16, s[0:1], s22, v16
	v_addc_co_u32_e64 v17, s[0:1], v10, v17, s[0:1]
	global_load_dword v16, v[16:17], off
.LBB350_20:
	s_or_b64 exec, exec, s[44:45]
.LBB350_21:
	s_or_b64 exec, exec, s[42:43]
.LBB350_22:
	s_or_b64 exec, exec, s[40:41]
.LBB350_23:
	s_or_b64 exec, exec, s[38:39]
.LBB350_24:
	s_or_b64 exec, exec, s[36:37]
.LBB350_25:
	s_or_b64 exec, exec, s[34:35]
.LBB350_26:
	s_or_b64 exec, exec, s[30:31]
.LBB350_27:
	s_or_b64 exec, exec, s[28:29]
.LBB350_28:
	s_or_b64 exec, exec, s[26:27]
.LBB350_29:
	s_or_b64 exec, exec, s[24:25]
.LBB350_30:
	s_or_b64 exec, exec, s[12:13]
.LBB350_31:
	s_or_b64 exec, exec, s[10:11]
.LBB350_32:
	s_or_b64 exec, exec, s[8:9]
.LBB350_33:
	s_or_b64 exec, exec, s[6:7]
.LBB350_34:
	s_or_b64 exec, exec, s[4:5]
.LBB350_35:
	s_or_b64 exec, exec, s[2:3]
	s_cmp_eq_u32 s17, 0
	s_cselect_b64 s[0:1], -1, 0
	s_and_saveexec_b64 s[2:3], vcc
	s_cbranch_execnz .LBB350_53
; %bb.36:
	s_or_b64 exec, exec, s[2:3]
	v_cmp_gt_i32_e32 vcc, s16, v0
	s_and_saveexec_b64 s[2:3], vcc
	s_cbranch_execnz .LBB350_54
.LBB350_37:
	s_or_b64 exec, exec, s[2:3]
	v_cmp_gt_i32_e32 vcc, s16, v0
	s_and_saveexec_b64 s[2:3], vcc
	s_cbranch_execnz .LBB350_55
.LBB350_38:
	s_or_b64 exec, exec, s[2:3]
	v_cmp_gt_i32_e32 vcc, s16, v0
	s_and_saveexec_b64 s[2:3], vcc
	s_cbranch_execnz .LBB350_56
.LBB350_39:
	s_or_b64 exec, exec, s[2:3]
	v_cmp_gt_i32_e32 vcc, s16, v0
	s_and_saveexec_b64 s[2:3], vcc
	s_cbranch_execnz .LBB350_57
.LBB350_40:
	s_or_b64 exec, exec, s[2:3]
	v_cmp_gt_i32_e32 vcc, s16, v0
	s_and_saveexec_b64 s[2:3], vcc
	s_cbranch_execnz .LBB350_58
.LBB350_41:
	s_or_b64 exec, exec, s[2:3]
	v_cmp_gt_i32_e32 vcc, s16, v0
	s_and_saveexec_b64 s[2:3], vcc
	s_cbranch_execnz .LBB350_59
.LBB350_42:
	s_or_b64 exec, exec, s[2:3]
	v_cmp_gt_i32_e32 vcc, s16, v0
	s_and_saveexec_b64 s[2:3], vcc
	s_cbranch_execnz .LBB350_60
.LBB350_43:
	s_or_b64 exec, exec, s[2:3]
	v_cmp_gt_i32_e32 vcc, s16, v0
	s_and_saveexec_b64 s[2:3], vcc
	s_cbranch_execnz .LBB350_61
.LBB350_44:
	s_or_b64 exec, exec, s[2:3]
	v_cmp_gt_i32_e32 vcc, s16, v0
	s_and_saveexec_b64 s[2:3], vcc
	s_cbranch_execnz .LBB350_62
.LBB350_45:
	s_or_b64 exec, exec, s[2:3]
	v_cmp_gt_i32_e32 vcc, s16, v0
	s_and_saveexec_b64 s[2:3], vcc
	s_cbranch_execnz .LBB350_63
.LBB350_46:
	s_or_b64 exec, exec, s[2:3]
	v_cmp_gt_i32_e32 vcc, s16, v0
	s_and_saveexec_b64 s[2:3], vcc
	s_cbranch_execnz .LBB350_64
.LBB350_47:
	s_or_b64 exec, exec, s[2:3]
	v_cmp_gt_i32_e32 vcc, s16, v0
	s_and_saveexec_b64 s[2:3], vcc
	s_cbranch_execnz .LBB350_65
.LBB350_48:
	s_or_b64 exec, exec, s[2:3]
	v_cmp_gt_i32_e32 vcc, s16, v0
	s_and_saveexec_b64 s[2:3], vcc
	s_cbranch_execnz .LBB350_66
.LBB350_49:
	s_or_b64 exec, exec, s[2:3]
	v_cmp_gt_i32_e32 vcc, s16, v0
	s_and_saveexec_b64 s[2:3], vcc
	s_cbranch_execnz .LBB350_67
.LBB350_50:
	s_or_b64 exec, exec, s[2:3]
	v_cmp_gt_i32_e32 vcc, s16, v0
	s_and_saveexec_b64 s[2:3], vcc
	s_cbranch_execz .LBB350_52
.LBB350_51:
	s_waitcnt vmcnt(0)
	v_cmp_ne_u32_e32 vcc, s18, v16
	s_xor_b64 s[0:1], s[0:1], vcc
	v_cndmask_b32_e64 v1, 0, 1, s[0:1]
	v_add_u32_e32 v0, s14, v0
	global_store_byte v0, v1, s[20:21]
.LBB350_52:
	s_endpgm
.LBB350_53:
	s_waitcnt vmcnt(0)
	v_cmp_ne_u32_e32 vcc, s18, v21
	s_xor_b64 s[4:5], s[0:1], vcc
	v_cndmask_b32_e64 v0, 0, 1, s[4:5]
	global_store_byte v1, v0, s[20:21]
	v_mov_b32_e32 v0, v19
	s_or_b64 exec, exec, s[2:3]
	v_cmp_gt_i32_e32 vcc, s16, v0
	s_and_saveexec_b64 s[2:3], vcc
	s_cbranch_execz .LBB350_37
.LBB350_54:
	s_waitcnt vmcnt(0)
	v_cmp_ne_u32_e32 vcc, s18, v2
	s_xor_b64 s[4:5], s[0:1], vcc
	v_cndmask_b32_e64 v1, 0, 1, s[4:5]
	v_add_u32_e32 v2, s14, v0
	v_add_u32_e32 v0, 0x100, v0
	global_store_byte v2, v1, s[20:21]
	s_or_b64 exec, exec, s[2:3]
	v_cmp_gt_i32_e32 vcc, s16, v0
	s_and_saveexec_b64 s[2:3], vcc
	s_cbranch_execz .LBB350_38
.LBB350_55:
	s_waitcnt vmcnt(0)
	v_cmp_ne_u32_e32 vcc, s18, v9
	s_xor_b64 s[4:5], s[0:1], vcc
	v_cndmask_b32_e64 v1, 0, 1, s[4:5]
	v_add_u32_e32 v2, s14, v0
	v_add_u32_e32 v0, 0x100, v0
	global_store_byte v2, v1, s[20:21]
	s_or_b64 exec, exec, s[2:3]
	v_cmp_gt_i32_e32 vcc, s16, v0
	s_and_saveexec_b64 s[2:3], vcc
	s_cbranch_execz .LBB350_39
.LBB350_56:
	s_waitcnt vmcnt(0)
	v_cmp_ne_u32_e32 vcc, s18, v20
	s_xor_b64 s[4:5], s[0:1], vcc
	v_cndmask_b32_e64 v1, 0, 1, s[4:5]
	v_add_u32_e32 v2, s14, v0
	v_add_u32_e32 v0, 0x100, v0
	global_store_byte v2, v1, s[20:21]
	s_or_b64 exec, exec, s[2:3]
	v_cmp_gt_i32_e32 vcc, s16, v0
	s_and_saveexec_b64 s[2:3], vcc
	s_cbranch_execz .LBB350_40
.LBB350_57:
	s_waitcnt vmcnt(0)
	v_cmp_ne_u32_e32 vcc, s18, v3
	s_xor_b64 s[4:5], s[0:1], vcc
	v_cndmask_b32_e64 v1, 0, 1, s[4:5]
	v_add_u32_e32 v2, s14, v0
	v_add_u32_e32 v0, 0x100, v0
	global_store_byte v2, v1, s[20:21]
	s_or_b64 exec, exec, s[2:3]
	v_cmp_gt_i32_e32 vcc, s16, v0
	s_and_saveexec_b64 s[2:3], vcc
	s_cbranch_execz .LBB350_41
.LBB350_58:
	s_waitcnt vmcnt(0)
	v_cmp_ne_u32_e32 vcc, s18, v4
	s_xor_b64 s[4:5], s[0:1], vcc
	v_cndmask_b32_e64 v1, 0, 1, s[4:5]
	v_add_u32_e32 v2, s14, v0
	v_add_u32_e32 v0, 0x100, v0
	global_store_byte v2, v1, s[20:21]
	s_or_b64 exec, exec, s[2:3]
	v_cmp_gt_i32_e32 vcc, s16, v0
	s_and_saveexec_b64 s[2:3], vcc
	s_cbranch_execz .LBB350_42
.LBB350_59:
	s_waitcnt vmcnt(0)
	v_cmp_ne_u32_e32 vcc, s18, v5
	s_xor_b64 s[4:5], s[0:1], vcc
	v_cndmask_b32_e64 v1, 0, 1, s[4:5]
	v_add_u32_e32 v2, s14, v0
	v_add_u32_e32 v0, 0x100, v0
	global_store_byte v2, v1, s[20:21]
	s_or_b64 exec, exec, s[2:3]
	v_cmp_gt_i32_e32 vcc, s16, v0
	s_and_saveexec_b64 s[2:3], vcc
	s_cbranch_execz .LBB350_43
.LBB350_60:
	s_waitcnt vmcnt(0)
	v_cmp_ne_u32_e32 vcc, s18, v6
	s_xor_b64 s[4:5], s[0:1], vcc
	v_cndmask_b32_e64 v1, 0, 1, s[4:5]
	v_add_u32_e32 v2, s14, v0
	v_add_u32_e32 v0, 0x100, v0
	global_store_byte v2, v1, s[20:21]
	s_or_b64 exec, exec, s[2:3]
	v_cmp_gt_i32_e32 vcc, s16, v0
	s_and_saveexec_b64 s[2:3], vcc
	s_cbranch_execz .LBB350_44
.LBB350_61:
	s_waitcnt vmcnt(0)
	v_cmp_ne_u32_e32 vcc, s18, v7
	s_xor_b64 s[4:5], s[0:1], vcc
	v_cndmask_b32_e64 v1, 0, 1, s[4:5]
	v_add_u32_e32 v2, s14, v0
	v_add_u32_e32 v0, 0x100, v0
	global_store_byte v2, v1, s[20:21]
	s_or_b64 exec, exec, s[2:3]
	v_cmp_gt_i32_e32 vcc, s16, v0
	s_and_saveexec_b64 s[2:3], vcc
	s_cbranch_execz .LBB350_45
.LBB350_62:
	s_waitcnt vmcnt(0)
	v_cmp_ne_u32_e32 vcc, s18, v8
	s_xor_b64 s[4:5], s[0:1], vcc
	v_cndmask_b32_e64 v1, 0, 1, s[4:5]
	v_add_u32_e32 v2, s14, v0
	v_add_u32_e32 v0, 0x100, v0
	global_store_byte v2, v1, s[20:21]
	s_or_b64 exec, exec, s[2:3]
	v_cmp_gt_i32_e32 vcc, s16, v0
	s_and_saveexec_b64 s[2:3], vcc
	s_cbranch_execz .LBB350_46
.LBB350_63:
	s_waitcnt vmcnt(0)
	v_cmp_ne_u32_e32 vcc, s18, v11
	s_xor_b64 s[4:5], s[0:1], vcc
	v_cndmask_b32_e64 v1, 0, 1, s[4:5]
	v_add_u32_e32 v2, s14, v0
	v_add_u32_e32 v0, 0x100, v0
	global_store_byte v2, v1, s[20:21]
	s_or_b64 exec, exec, s[2:3]
	v_cmp_gt_i32_e32 vcc, s16, v0
	s_and_saveexec_b64 s[2:3], vcc
	s_cbranch_execz .LBB350_47
.LBB350_64:
	s_waitcnt vmcnt(0)
	v_cmp_ne_u32_e32 vcc, s18, v12
	s_xor_b64 s[4:5], s[0:1], vcc
	v_cndmask_b32_e64 v1, 0, 1, s[4:5]
	v_add_u32_e32 v2, s14, v0
	v_add_u32_e32 v0, 0x100, v0
	global_store_byte v2, v1, s[20:21]
	s_or_b64 exec, exec, s[2:3]
	v_cmp_gt_i32_e32 vcc, s16, v0
	s_and_saveexec_b64 s[2:3], vcc
	s_cbranch_execz .LBB350_48
.LBB350_65:
	s_waitcnt vmcnt(0)
	v_cmp_ne_u32_e32 vcc, s18, v13
	s_xor_b64 s[4:5], s[0:1], vcc
	v_cndmask_b32_e64 v1, 0, 1, s[4:5]
	v_add_u32_e32 v2, s14, v0
	v_add_u32_e32 v0, 0x100, v0
	global_store_byte v2, v1, s[20:21]
	s_or_b64 exec, exec, s[2:3]
	v_cmp_gt_i32_e32 vcc, s16, v0
	s_and_saveexec_b64 s[2:3], vcc
	s_cbranch_execz .LBB350_49
.LBB350_66:
	s_waitcnt vmcnt(0)
	v_cmp_ne_u32_e32 vcc, s18, v14
	s_xor_b64 s[4:5], s[0:1], vcc
	v_cndmask_b32_e64 v1, 0, 1, s[4:5]
	v_add_u32_e32 v2, s14, v0
	v_add_u32_e32 v0, 0x100, v0
	global_store_byte v2, v1, s[20:21]
	s_or_b64 exec, exec, s[2:3]
	v_cmp_gt_i32_e32 vcc, s16, v0
	s_and_saveexec_b64 s[2:3], vcc
	s_cbranch_execz .LBB350_50
.LBB350_67:
	s_waitcnt vmcnt(0)
	v_cmp_ne_u32_e32 vcc, s18, v15
	s_xor_b64 s[4:5], s[0:1], vcc
	v_cndmask_b32_e64 v1, 0, 1, s[4:5]
	v_add_u32_e32 v2, s14, v0
	v_add_u32_e32 v0, 0x100, v0
	global_store_byte v2, v1, s[20:21]
	s_or_b64 exec, exec, s[2:3]
	v_cmp_gt_i32_e32 vcc, s16, v0
	s_and_saveexec_b64 s[2:3], vcc
	s_cbranch_execnz .LBB350_51
	s_branch .LBB350_52
	.section	.rodata,"a",@progbits
	.p2align	6, 0x0
	.amdhsa_kernel _ZN2at6native29vectorized_elementwise_kernelILi8ENS0_13AUnaryFunctorIjjbNS0_12_GLOBAL__N_116CompareEqFunctorIjEEEESt5arrayIPcLm2EEEEviT0_T1_
		.amdhsa_group_segment_fixed_size 0
		.amdhsa_private_segment_fixed_size 0
		.amdhsa_kernarg_size 32
		.amdhsa_user_sgpr_count 6
		.amdhsa_user_sgpr_private_segment_buffer 1
		.amdhsa_user_sgpr_dispatch_ptr 0
		.amdhsa_user_sgpr_queue_ptr 0
		.amdhsa_user_sgpr_kernarg_segment_ptr 1
		.amdhsa_user_sgpr_dispatch_id 0
		.amdhsa_user_sgpr_flat_scratch_init 0
		.amdhsa_user_sgpr_private_segment_size 0
		.amdhsa_uses_dynamic_stack 0
		.amdhsa_system_sgpr_private_segment_wavefront_offset 0
		.amdhsa_system_sgpr_workgroup_id_x 1
		.amdhsa_system_sgpr_workgroup_id_y 0
		.amdhsa_system_sgpr_workgroup_id_z 0
		.amdhsa_system_sgpr_workgroup_info 0
		.amdhsa_system_vgpr_workitem_id 0
		.amdhsa_next_free_vgpr 22
		.amdhsa_next_free_sgpr 46
		.amdhsa_reserve_vcc 1
		.amdhsa_reserve_flat_scratch 0
		.amdhsa_float_round_mode_32 0
		.amdhsa_float_round_mode_16_64 0
		.amdhsa_float_denorm_mode_32 3
		.amdhsa_float_denorm_mode_16_64 3
		.amdhsa_dx10_clamp 1
		.amdhsa_ieee_mode 1
		.amdhsa_fp16_overflow 0
		.amdhsa_exception_fp_ieee_invalid_op 0
		.amdhsa_exception_fp_denorm_src 0
		.amdhsa_exception_fp_ieee_div_zero 0
		.amdhsa_exception_fp_ieee_overflow 0
		.amdhsa_exception_fp_ieee_underflow 0
		.amdhsa_exception_fp_ieee_inexact 0
		.amdhsa_exception_int_div_zero 0
	.end_amdhsa_kernel
	.section	.text._ZN2at6native29vectorized_elementwise_kernelILi8ENS0_13AUnaryFunctorIjjbNS0_12_GLOBAL__N_116CompareEqFunctorIjEEEESt5arrayIPcLm2EEEEviT0_T1_,"axG",@progbits,_ZN2at6native29vectorized_elementwise_kernelILi8ENS0_13AUnaryFunctorIjjbNS0_12_GLOBAL__N_116CompareEqFunctorIjEEEESt5arrayIPcLm2EEEEviT0_T1_,comdat
.Lfunc_end350:
	.size	_ZN2at6native29vectorized_elementwise_kernelILi8ENS0_13AUnaryFunctorIjjbNS0_12_GLOBAL__N_116CompareEqFunctorIjEEEESt5arrayIPcLm2EEEEviT0_T1_, .Lfunc_end350-_ZN2at6native29vectorized_elementwise_kernelILi8ENS0_13AUnaryFunctorIjjbNS0_12_GLOBAL__N_116CompareEqFunctorIjEEEESt5arrayIPcLm2EEEEviT0_T1_
                                        ; -- End function
	.set _ZN2at6native29vectorized_elementwise_kernelILi8ENS0_13AUnaryFunctorIjjbNS0_12_GLOBAL__N_116CompareEqFunctorIjEEEESt5arrayIPcLm2EEEEviT0_T1_.num_vgpr, 22
	.set _ZN2at6native29vectorized_elementwise_kernelILi8ENS0_13AUnaryFunctorIjjbNS0_12_GLOBAL__N_116CompareEqFunctorIjEEEESt5arrayIPcLm2EEEEviT0_T1_.num_agpr, 0
	.set _ZN2at6native29vectorized_elementwise_kernelILi8ENS0_13AUnaryFunctorIjjbNS0_12_GLOBAL__N_116CompareEqFunctorIjEEEESt5arrayIPcLm2EEEEviT0_T1_.numbered_sgpr, 46
	.set _ZN2at6native29vectorized_elementwise_kernelILi8ENS0_13AUnaryFunctorIjjbNS0_12_GLOBAL__N_116CompareEqFunctorIjEEEESt5arrayIPcLm2EEEEviT0_T1_.num_named_barrier, 0
	.set _ZN2at6native29vectorized_elementwise_kernelILi8ENS0_13AUnaryFunctorIjjbNS0_12_GLOBAL__N_116CompareEqFunctorIjEEEESt5arrayIPcLm2EEEEviT0_T1_.private_seg_size, 0
	.set _ZN2at6native29vectorized_elementwise_kernelILi8ENS0_13AUnaryFunctorIjjbNS0_12_GLOBAL__N_116CompareEqFunctorIjEEEESt5arrayIPcLm2EEEEviT0_T1_.uses_vcc, 1
	.set _ZN2at6native29vectorized_elementwise_kernelILi8ENS0_13AUnaryFunctorIjjbNS0_12_GLOBAL__N_116CompareEqFunctorIjEEEESt5arrayIPcLm2EEEEviT0_T1_.uses_flat_scratch, 0
	.set _ZN2at6native29vectorized_elementwise_kernelILi8ENS0_13AUnaryFunctorIjjbNS0_12_GLOBAL__N_116CompareEqFunctorIjEEEESt5arrayIPcLm2EEEEviT0_T1_.has_dyn_sized_stack, 0
	.set _ZN2at6native29vectorized_elementwise_kernelILi8ENS0_13AUnaryFunctorIjjbNS0_12_GLOBAL__N_116CompareEqFunctorIjEEEESt5arrayIPcLm2EEEEviT0_T1_.has_recursion, 0
	.set _ZN2at6native29vectorized_elementwise_kernelILi8ENS0_13AUnaryFunctorIjjbNS0_12_GLOBAL__N_116CompareEqFunctorIjEEEESt5arrayIPcLm2EEEEviT0_T1_.has_indirect_call, 0
	.section	.AMDGPU.csdata,"",@progbits
; Kernel info:
; codeLenInByte = 3256
; TotalNumSgprs: 50
; NumVgprs: 22
; ScratchSize: 0
; MemoryBound: 0
; FloatMode: 240
; IeeeMode: 1
; LDSByteSize: 0 bytes/workgroup (compile time only)
; SGPRBlocks: 6
; VGPRBlocks: 5
; NumSGPRsForWavesPerEU: 50
; NumVGPRsForWavesPerEU: 22
; Occupancy: 10
; WaveLimiterHint : 1
; COMPUTE_PGM_RSRC2:SCRATCH_EN: 0
; COMPUTE_PGM_RSRC2:USER_SGPR: 6
; COMPUTE_PGM_RSRC2:TRAP_HANDLER: 0
; COMPUTE_PGM_RSRC2:TGID_X_EN: 1
; COMPUTE_PGM_RSRC2:TGID_Y_EN: 0
; COMPUTE_PGM_RSRC2:TGID_Z_EN: 0
; COMPUTE_PGM_RSRC2:TIDIG_COMP_CNT: 0
	.section	.text._ZN2at6native29vectorized_elementwise_kernelILi4ENS0_13AUnaryFunctorIjjbNS0_12_GLOBAL__N_116CompareEqFunctorIjEEEESt5arrayIPcLm2EEEEviT0_T1_,"axG",@progbits,_ZN2at6native29vectorized_elementwise_kernelILi4ENS0_13AUnaryFunctorIjjbNS0_12_GLOBAL__N_116CompareEqFunctorIjEEEESt5arrayIPcLm2EEEEviT0_T1_,comdat
	.globl	_ZN2at6native29vectorized_elementwise_kernelILi4ENS0_13AUnaryFunctorIjjbNS0_12_GLOBAL__N_116CompareEqFunctorIjEEEESt5arrayIPcLm2EEEEviT0_T1_ ; -- Begin function _ZN2at6native29vectorized_elementwise_kernelILi4ENS0_13AUnaryFunctorIjjbNS0_12_GLOBAL__N_116CompareEqFunctorIjEEEESt5arrayIPcLm2EEEEviT0_T1_
	.p2align	8
	.type	_ZN2at6native29vectorized_elementwise_kernelILi4ENS0_13AUnaryFunctorIjjbNS0_12_GLOBAL__N_116CompareEqFunctorIjEEEESt5arrayIPcLm2EEEEviT0_T1_,@function
_ZN2at6native29vectorized_elementwise_kernelILi4ENS0_13AUnaryFunctorIjjbNS0_12_GLOBAL__N_116CompareEqFunctorIjEEEESt5arrayIPcLm2EEEEviT0_T1_: ; @_ZN2at6native29vectorized_elementwise_kernelILi4ENS0_13AUnaryFunctorIjjbNS0_12_GLOBAL__N_116CompareEqFunctorIjEEEESt5arrayIPcLm2EEEEviT0_T1_
; %bb.0:
	s_load_dwordx8 s[8:15], s[4:5], 0x0
	s_lshl_b32 s6, s6, 12
	s_mov_b64 s[0:1], -1
	s_waitcnt lgkmcnt(0)
	s_sub_i32 s8, s8, s6
	s_cmpk_gt_i32 s8, 0xfff
	s_cbranch_scc0 .LBB351_2
; %bb.1:
	s_ashr_i32 s7, s6, 31
	s_lshl_b64 s[0:1], s[6:7], 2
	s_add_u32 s0, s14, s0
	s_addc_u32 s1, s15, s1
	v_lshlrev_b32_e32 v5, 4, v0
	global_load_dwordx4 v[1:4], v5, s[0:1]
	v_mov_b32_e32 v6, s1
	v_add_co_u32_e32 v13, vcc, s0, v5
	v_addc_co_u32_e32 v14, vcc, 0, v6, vcc
	v_add_co_u32_e32 v5, vcc, 0x1000, v13
	v_addc_co_u32_e32 v6, vcc, 0, v14, vcc
	global_load_dwordx4 v[5:8], v[5:6], off
	v_add_co_u32_e32 v9, vcc, 0x2000, v13
	v_addc_co_u32_e32 v10, vcc, 0, v14, vcc
	global_load_dwordx4 v[9:12], v[9:10], off
	;; [unrolled: 3-line block ×3, first 2 shown]
	s_cmp_eq_u32 s9, 0
	s_cselect_b64 s[16:17], -1, 0
	v_mov_b32_e32 v17, 0x100
	v_mov_b32_e32 v18, 0x10000
	;; [unrolled: 1-line block ×3, first 2 shown]
	s_waitcnt vmcnt(3)
	v_cmp_ne_u32_e32 vcc, s10, v1
	v_cmp_ne_u32_e64 s[0:1], s10, v2
	v_cmp_ne_u32_e64 s[2:3], s10, v3
	s_xor_b64 s[18:19], s[16:17], vcc
	s_xor_b64 vcc, s[16:17], s[0:1]
	v_cmp_ne_u32_e64 s[4:5], s10, v4
	v_cndmask_b32_e32 v3, 0, v17, vcc
	s_xor_b64 vcc, s[16:17], s[2:3]
	v_cndmask_b32_e64 v2, 0, 1, s[18:19]
	v_cndmask_b32_e32 v4, 0, v18, vcc
	s_xor_b64 vcc, s[16:17], s[4:5]
	v_or_b32_e32 v2, v3, v2
	v_cndmask_b32_e32 v3, 0, v19, vcc
	s_waitcnt vmcnt(2)
	v_cmp_ne_u32_e32 vcc, s10, v5
	v_cmp_ne_u32_e64 s[0:1], s10, v6
	v_cmp_ne_u32_e64 s[2:3], s10, v7
	s_xor_b64 s[18:19], s[16:17], vcc
	s_xor_b64 vcc, s[16:17], s[0:1]
	v_or3_b32 v2, v2, v4, v3
	v_cmp_ne_u32_e64 s[4:5], s10, v8
	v_cndmask_b32_e32 v4, 0, v17, vcc
	s_xor_b64 vcc, s[16:17], s[2:3]
	v_cndmask_b32_e32 v5, 0, v18, vcc
	s_xor_b64 vcc, s[16:17], s[4:5]
	v_cndmask_b32_e32 v6, 0, v19, vcc
	s_waitcnt vmcnt(1)
	v_cmp_ne_u32_e32 vcc, s10, v9
	v_cmp_ne_u32_e64 s[0:1], s10, v10
	v_cndmask_b32_e64 v3, 0, 1, s[18:19]
	v_cmp_ne_u32_e64 s[2:3], s10, v11
	s_xor_b64 s[18:19], s[16:17], vcc
	s_xor_b64 vcc, s[16:17], s[0:1]
	v_cmp_ne_u32_e64 s[4:5], s10, v12
	v_cndmask_b32_e32 v7, 0, v17, vcc
	s_xor_b64 vcc, s[16:17], s[2:3]
	v_cndmask_b32_e32 v8, 0, v18, vcc
	s_xor_b64 vcc, s[16:17], s[4:5]
	v_cndmask_b32_e32 v9, 0, v19, vcc
	s_waitcnt vmcnt(0)
	v_cmp_ne_u32_e32 vcc, s10, v13
	v_cmp_ne_u32_e64 s[0:1], s10, v14
	v_or_b32_e32 v3, v4, v3
	v_cndmask_b32_e64 v4, 0, 1, s[18:19]
	v_cmp_ne_u32_e64 s[2:3], s10, v15
	s_xor_b64 s[18:19], s[16:17], vcc
	s_xor_b64 vcc, s[16:17], s[0:1]
	v_cmp_ne_u32_e64 s[4:5], s10, v16
	v_or3_b32 v3, v3, v5, v6
	v_cndmask_b32_e32 v6, 0, v17, vcc
	s_xor_b64 vcc, s[16:17], s[2:3]
	v_or_b32_e32 v4, v7, v4
	v_cndmask_b32_e32 v7, 0, v18, vcc
	s_xor_b64 vcc, s[16:17], s[4:5]
	v_cndmask_b32_e64 v5, 0, 1, s[18:19]
	s_add_u32 s0, s12, s6
	v_lshlrev_b32_e32 v1, 2, v0
	v_cndmask_b32_e32 v10, 0, v19, vcc
	v_or_b32_e32 v5, v6, v5
	s_addc_u32 s1, s13, s7
	v_or3_b32 v4, v4, v8, v9
	v_or3_b32 v5, v5, v7, v10
	global_store_dword v1, v2, s[0:1]
	global_store_dword v1, v3, s[0:1] offset:1024
	global_store_dword v1, v4, s[0:1] offset:2048
	global_store_dword v1, v5, s[0:1] offset:3072
	s_mov_b64 s[0:1], 0
.LBB351_2:
	s_andn2_b64 vcc, exec, s[0:1]
	s_cbranch_vccnz .LBB351_52
; %bb.3:
	v_cmp_gt_i32_e32 vcc, s8, v0
	v_or_b32_e32 v19, 0x100, v0
	v_mov_b32_e32 v16, 0
	v_or_b32_e32 v1, s6, v0
	v_mov_b32_e32 v15, 0
	v_mov_b32_e32 v14, 0
	;; [unrolled: 1-line block ×15, first 2 shown]
	s_and_saveexec_b64 s[2:3], vcc
	s_cbranch_execz .LBB351_35
; %bb.4:
	v_mov_b32_e32 v2, 0
	v_lshlrev_b64 v[3:4], 2, v[1:2]
	v_mov_b32_e32 v5, s15
	v_add_co_u32_e64 v3, s[0:1], s14, v3
	v_addc_co_u32_e64 v4, s[0:1], v5, v4, s[0:1]
	global_load_dword v21, v[3:4], off
	v_cmp_gt_u32_e64 s[0:1], s8, v19
	v_mov_b32_e32 v9, v2
	v_mov_b32_e32 v20, v2
	v_mov_b32_e32 v3, v2
	v_mov_b32_e32 v4, v2
	v_mov_b32_e32 v5, v2
	v_mov_b32_e32 v6, v2
	v_mov_b32_e32 v7, v2
	v_mov_b32_e32 v8, v2
	v_mov_b32_e32 v11, v2
	v_mov_b32_e32 v12, v2
	v_mov_b32_e32 v13, v2
	v_mov_b32_e32 v14, v2
	v_mov_b32_e32 v15, v2
	v_mov_b32_e32 v16, v2
	s_and_saveexec_b64 s[4:5], s[0:1]
	s_cbranch_execz .LBB351_34
; %bb.5:
	v_add_u32_e32 v8, s6, v0
	v_mov_b32_e32 v9, 0
	v_lshlrev_b64 v[2:3], 2, v[8:9]
	v_mov_b32_e32 v4, s15
	v_add_co_u32_e64 v17, s[0:1], s14, v2
	v_addc_co_u32_e64 v18, s[0:1], v4, v3, s[0:1]
	global_load_dword v2, v[17:18], off offset:1024
	v_or_b32_e32 v3, 0x200, v0
	v_cmp_gt_u32_e64 s[0:1], s8, v3
	v_mov_b32_e32 v20, v9
	v_mov_b32_e32 v3, v9
	;; [unrolled: 1-line block ×13, first 2 shown]
	s_and_saveexec_b64 s[16:17], s[0:1]
	s_cbranch_execz .LBB351_33
; %bb.6:
	global_load_dword v9, v[17:18], off offset:2048
	v_or_b32_e32 v3, 0x300, v0
	v_cmp_gt_u32_e64 s[0:1], s8, v3
	v_mov_b32_e32 v20, 0
	v_mov_b32_e32 v3, 0
	v_mov_b32_e32 v4, 0
	v_mov_b32_e32 v5, 0
	v_mov_b32_e32 v6, 0
	v_mov_b32_e32 v7, 0
	v_mov_b32_e32 v8, 0
	v_mov_b32_e32 v11, 0
	v_mov_b32_e32 v12, 0
	v_mov_b32_e32 v13, 0
	v_mov_b32_e32 v14, 0
	v_mov_b32_e32 v15, 0
	v_mov_b32_e32 v16, 0
	s_and_saveexec_b64 s[18:19], s[0:1]
	s_cbranch_execz .LBB351_32
; %bb.7:
	global_load_dword v20, v[17:18], off offset:3072
	v_or_b32_e32 v10, 0x400, v0
	v_cmp_gt_u32_e64 s[0:1], s8, v10
	v_mov_b32_e32 v3, 0
	v_mov_b32_e32 v4, 0
	;; [unrolled: 1-line block ×12, first 2 shown]
	s_and_saveexec_b64 s[20:21], s[0:1]
	s_cbranch_execz .LBB351_31
; %bb.8:
	v_or_b32_e32 v3, s6, v10
	v_mov_b32_e32 v4, 0
	v_lshlrev_b64 v[5:6], 2, v[3:4]
	v_mov_b32_e32 v3, s15
	v_add_co_u32_e64 v5, s[0:1], s14, v5
	v_addc_co_u32_e64 v6, s[0:1], v3, v6, s[0:1]
	global_load_dword v3, v[5:6], off
	v_or_b32_e32 v10, 0x500, v0
	v_cmp_gt_u32_e64 s[0:1], s8, v10
	v_mov_b32_e32 v5, v4
	v_mov_b32_e32 v6, v4
	;; [unrolled: 1-line block ×10, first 2 shown]
	s_and_saveexec_b64 s[22:23], s[0:1]
	s_cbranch_execz .LBB351_30
; %bb.9:
	v_or_b32_e32 v4, s6, v10
	v_mov_b32_e32 v5, 0
	v_lshlrev_b64 v[6:7], 2, v[4:5]
	v_mov_b32_e32 v4, s15
	v_add_co_u32_e64 v6, s[0:1], s14, v6
	v_addc_co_u32_e64 v7, s[0:1], v4, v7, s[0:1]
	global_load_dword v4, v[6:7], off
	v_or_b32_e32 v10, 0x600, v0
	v_cmp_gt_u32_e64 s[0:1], s8, v10
	v_mov_b32_e32 v6, v5
	v_mov_b32_e32 v7, v5
	;; [unrolled: 1-line block ×9, first 2 shown]
	s_and_saveexec_b64 s[24:25], s[0:1]
	s_cbranch_execz .LBB351_29
; %bb.10:
	v_or_b32_e32 v5, s6, v10
	v_mov_b32_e32 v6, 0
	v_lshlrev_b64 v[7:8], 2, v[5:6]
	v_mov_b32_e32 v5, s15
	v_add_co_u32_e64 v7, s[0:1], s14, v7
	v_addc_co_u32_e64 v8, s[0:1], v5, v8, s[0:1]
	global_load_dword v5, v[7:8], off
	v_or_b32_e32 v10, 0x700, v0
	v_cmp_gt_u32_e64 s[0:1], s8, v10
	v_mov_b32_e32 v7, v6
	v_mov_b32_e32 v8, v6
	;; [unrolled: 1-line block ×8, first 2 shown]
	s_and_saveexec_b64 s[26:27], s[0:1]
	s_cbranch_execz .LBB351_28
; %bb.11:
	v_or_b32_e32 v6, s6, v10
	v_mov_b32_e32 v7, 0
	v_lshlrev_b64 v[10:11], 2, v[6:7]
	v_mov_b32_e32 v6, s15
	v_add_co_u32_e64 v10, s[0:1], s14, v10
	v_addc_co_u32_e64 v11, s[0:1], v6, v11, s[0:1]
	global_load_dword v6, v[10:11], off
	v_or_b32_e32 v10, 0x800, v0
	v_cmp_gt_u32_e64 s[0:1], s8, v10
	v_mov_b32_e32 v8, v7
	v_mov_b32_e32 v11, v7
	;; [unrolled: 1-line block ×7, first 2 shown]
	s_and_saveexec_b64 s[28:29], s[0:1]
	s_cbranch_execz .LBB351_27
; %bb.12:
	v_or_b32_e32 v7, s6, v10
	v_mov_b32_e32 v8, 0
	v_lshlrev_b64 v[10:11], 2, v[7:8]
	v_mov_b32_e32 v7, s15
	v_add_co_u32_e64 v10, s[0:1], s14, v10
	v_addc_co_u32_e64 v11, s[0:1], v7, v11, s[0:1]
	global_load_dword v7, v[10:11], off
	v_or_b32_e32 v10, 0x900, v0
	v_cmp_gt_u32_e64 s[0:1], s8, v10
	v_mov_b32_e32 v11, v8
	v_mov_b32_e32 v12, v8
	;; [unrolled: 1-line block ×6, first 2 shown]
	s_and_saveexec_b64 s[30:31], s[0:1]
	s_cbranch_execz .LBB351_26
; %bb.13:
	v_or_b32_e32 v10, s6, v10
	v_mov_b32_e32 v11, 0
	v_lshlrev_b64 v[12:13], 2, v[10:11]
	v_mov_b32_e32 v8, s15
	v_add_co_u32_e64 v12, s[0:1], s14, v12
	v_addc_co_u32_e64 v13, s[0:1], v8, v13, s[0:1]
	global_load_dword v8, v[12:13], off
	v_or_b32_e32 v10, 0xa00, v0
	v_cmp_gt_u32_e64 s[0:1], s8, v10
	v_mov_b32_e32 v12, v11
	v_mov_b32_e32 v13, v11
	;; [unrolled: 1-line block ×5, first 2 shown]
	s_and_saveexec_b64 s[34:35], s[0:1]
	s_cbranch_execz .LBB351_25
; %bb.14:
	v_or_b32_e32 v11, s6, v10
	v_mov_b32_e32 v12, 0
	v_lshlrev_b64 v[10:11], 2, v[11:12]
	v_mov_b32_e32 v13, s15
	v_add_co_u32_e64 v10, s[0:1], s14, v10
	v_addc_co_u32_e64 v11, s[0:1], v13, v11, s[0:1]
	global_load_dword v11, v[10:11], off
	v_or_b32_e32 v10, 0xb00, v0
	v_cmp_gt_u32_e64 s[0:1], s8, v10
	v_mov_b32_e32 v13, v12
	v_mov_b32_e32 v14, v12
	;; [unrolled: 1-line block ×4, first 2 shown]
	s_and_saveexec_b64 s[36:37], s[0:1]
	s_cbranch_execz .LBB351_24
; %bb.15:
	v_or_b32_e32 v12, s6, v10
	v_mov_b32_e32 v13, 0
	v_lshlrev_b64 v[14:15], 2, v[12:13]
	v_mov_b32_e32 v10, s15
	v_add_co_u32_e64 v14, s[0:1], s14, v14
	v_addc_co_u32_e64 v15, s[0:1], v10, v15, s[0:1]
	global_load_dword v12, v[14:15], off
	v_or_b32_e32 v10, 0xc00, v0
	v_cmp_gt_u32_e64 s[0:1], s8, v10
	v_mov_b32_e32 v14, v13
	v_mov_b32_e32 v15, v13
	v_mov_b32_e32 v16, v13
	s_and_saveexec_b64 s[38:39], s[0:1]
	s_cbranch_execz .LBB351_23
; %bb.16:
	v_or_b32_e32 v13, s6, v10
	v_mov_b32_e32 v14, 0
	v_lshlrev_b64 v[15:16], 2, v[13:14]
	v_mov_b32_e32 v10, s15
	v_add_co_u32_e64 v15, s[0:1], s14, v15
	v_addc_co_u32_e64 v16, s[0:1], v10, v16, s[0:1]
	global_load_dword v13, v[15:16], off
	v_or_b32_e32 v10, 0xd00, v0
	v_cmp_gt_u32_e64 s[0:1], s8, v10
	v_mov_b32_e32 v15, v14
	v_mov_b32_e32 v16, v14
	s_and_saveexec_b64 s[40:41], s[0:1]
	s_cbranch_execz .LBB351_22
; %bb.17:
	v_add_u32_e32 v14, s6, v10
	v_mov_b32_e32 v15, 0
	v_lshlrev_b64 v[16:17], 2, v[14:15]
	v_mov_b32_e32 v10, s15
	v_add_co_u32_e64 v16, s[0:1], s14, v16
	v_addc_co_u32_e64 v17, s[0:1], v10, v17, s[0:1]
	global_load_dword v14, v[16:17], off
	v_or_b32_e32 v10, 0xe00, v0
	v_cmp_gt_u32_e64 s[0:1], s8, v10
	v_mov_b32_e32 v16, v15
	s_and_saveexec_b64 s[42:43], s[0:1]
	s_cbranch_execz .LBB351_21
; %bb.18:
	v_add_u32_e32 v15, s6, v10
	v_mov_b32_e32 v16, 0
	v_lshlrev_b64 v[17:18], 2, v[15:16]
	v_mov_b32_e32 v10, s15
	v_add_co_u32_e64 v17, s[0:1], s14, v17
	v_addc_co_u32_e64 v18, s[0:1], v10, v18, s[0:1]
	global_load_dword v15, v[17:18], off
	v_or_b32_e32 v10, 0xf00, v0
	v_cmp_gt_u32_e64 s[0:1], s8, v10
	s_and_saveexec_b64 s[44:45], s[0:1]
	s_cbranch_execz .LBB351_20
; %bb.19:
	v_add_u32_e32 v16, s6, v10
	v_mov_b32_e32 v17, 0
	v_lshlrev_b64 v[16:17], 2, v[16:17]
	v_mov_b32_e32 v10, s15
	v_add_co_u32_e64 v16, s[0:1], s14, v16
	v_addc_co_u32_e64 v17, s[0:1], v10, v17, s[0:1]
	global_load_dword v16, v[16:17], off
.LBB351_20:
	s_or_b64 exec, exec, s[44:45]
.LBB351_21:
	s_or_b64 exec, exec, s[42:43]
.LBB351_22:
	s_or_b64 exec, exec, s[40:41]
.LBB351_23:
	s_or_b64 exec, exec, s[38:39]
.LBB351_24:
	s_or_b64 exec, exec, s[36:37]
.LBB351_25:
	s_or_b64 exec, exec, s[34:35]
.LBB351_26:
	s_or_b64 exec, exec, s[30:31]
.LBB351_27:
	s_or_b64 exec, exec, s[28:29]
.LBB351_28:
	s_or_b64 exec, exec, s[26:27]
.LBB351_29:
	s_or_b64 exec, exec, s[24:25]
.LBB351_30:
	s_or_b64 exec, exec, s[22:23]
.LBB351_31:
	s_or_b64 exec, exec, s[20:21]
.LBB351_32:
	s_or_b64 exec, exec, s[18:19]
.LBB351_33:
	s_or_b64 exec, exec, s[16:17]
.LBB351_34:
	s_or_b64 exec, exec, s[4:5]
.LBB351_35:
	s_or_b64 exec, exec, s[2:3]
	s_cmp_eq_u32 s9, 0
	s_cselect_b64 s[0:1], -1, 0
	s_and_saveexec_b64 s[2:3], vcc
	s_cbranch_execnz .LBB351_53
; %bb.36:
	s_or_b64 exec, exec, s[2:3]
	v_cmp_gt_i32_e32 vcc, s8, v0
	s_and_saveexec_b64 s[2:3], vcc
	s_cbranch_execnz .LBB351_54
.LBB351_37:
	s_or_b64 exec, exec, s[2:3]
	v_cmp_gt_i32_e32 vcc, s8, v0
	s_and_saveexec_b64 s[2:3], vcc
	s_cbranch_execnz .LBB351_55
.LBB351_38:
	s_or_b64 exec, exec, s[2:3]
	v_cmp_gt_i32_e32 vcc, s8, v0
	s_and_saveexec_b64 s[2:3], vcc
	s_cbranch_execnz .LBB351_56
.LBB351_39:
	s_or_b64 exec, exec, s[2:3]
	v_cmp_gt_i32_e32 vcc, s8, v0
	s_and_saveexec_b64 s[2:3], vcc
	s_cbranch_execnz .LBB351_57
.LBB351_40:
	s_or_b64 exec, exec, s[2:3]
	v_cmp_gt_i32_e32 vcc, s8, v0
	s_and_saveexec_b64 s[2:3], vcc
	s_cbranch_execnz .LBB351_58
.LBB351_41:
	s_or_b64 exec, exec, s[2:3]
	v_cmp_gt_i32_e32 vcc, s8, v0
	s_and_saveexec_b64 s[2:3], vcc
	s_cbranch_execnz .LBB351_59
.LBB351_42:
	s_or_b64 exec, exec, s[2:3]
	v_cmp_gt_i32_e32 vcc, s8, v0
	s_and_saveexec_b64 s[2:3], vcc
	s_cbranch_execnz .LBB351_60
.LBB351_43:
	s_or_b64 exec, exec, s[2:3]
	v_cmp_gt_i32_e32 vcc, s8, v0
	s_and_saveexec_b64 s[2:3], vcc
	s_cbranch_execnz .LBB351_61
.LBB351_44:
	s_or_b64 exec, exec, s[2:3]
	v_cmp_gt_i32_e32 vcc, s8, v0
	s_and_saveexec_b64 s[2:3], vcc
	s_cbranch_execnz .LBB351_62
.LBB351_45:
	s_or_b64 exec, exec, s[2:3]
	v_cmp_gt_i32_e32 vcc, s8, v0
	s_and_saveexec_b64 s[2:3], vcc
	s_cbranch_execnz .LBB351_63
.LBB351_46:
	s_or_b64 exec, exec, s[2:3]
	v_cmp_gt_i32_e32 vcc, s8, v0
	s_and_saveexec_b64 s[2:3], vcc
	s_cbranch_execnz .LBB351_64
.LBB351_47:
	s_or_b64 exec, exec, s[2:3]
	v_cmp_gt_i32_e32 vcc, s8, v0
	s_and_saveexec_b64 s[2:3], vcc
	s_cbranch_execnz .LBB351_65
.LBB351_48:
	s_or_b64 exec, exec, s[2:3]
	v_cmp_gt_i32_e32 vcc, s8, v0
	s_and_saveexec_b64 s[2:3], vcc
	s_cbranch_execnz .LBB351_66
.LBB351_49:
	s_or_b64 exec, exec, s[2:3]
	v_cmp_gt_i32_e32 vcc, s8, v0
	s_and_saveexec_b64 s[2:3], vcc
	s_cbranch_execnz .LBB351_67
.LBB351_50:
	s_or_b64 exec, exec, s[2:3]
	v_cmp_gt_i32_e32 vcc, s8, v0
	s_and_saveexec_b64 s[2:3], vcc
	s_cbranch_execz .LBB351_52
.LBB351_51:
	s_waitcnt vmcnt(0)
	v_cmp_ne_u32_e32 vcc, s10, v16
	s_xor_b64 s[0:1], s[0:1], vcc
	v_cndmask_b32_e64 v1, 0, 1, s[0:1]
	v_add_u32_e32 v0, s6, v0
	global_store_byte v0, v1, s[12:13]
.LBB351_52:
	s_endpgm
.LBB351_53:
	s_waitcnt vmcnt(0)
	v_cmp_ne_u32_e32 vcc, s10, v21
	s_xor_b64 s[4:5], s[0:1], vcc
	v_cndmask_b32_e64 v0, 0, 1, s[4:5]
	global_store_byte v1, v0, s[12:13]
	v_mov_b32_e32 v0, v19
	s_or_b64 exec, exec, s[2:3]
	v_cmp_gt_i32_e32 vcc, s8, v0
	s_and_saveexec_b64 s[2:3], vcc
	s_cbranch_execz .LBB351_37
.LBB351_54:
	s_waitcnt vmcnt(0)
	v_cmp_ne_u32_e32 vcc, s10, v2
	s_xor_b64 s[4:5], s[0:1], vcc
	v_cndmask_b32_e64 v1, 0, 1, s[4:5]
	v_add_u32_e32 v2, s6, v0
	v_add_u32_e32 v0, 0x100, v0
	global_store_byte v2, v1, s[12:13]
	s_or_b64 exec, exec, s[2:3]
	v_cmp_gt_i32_e32 vcc, s8, v0
	s_and_saveexec_b64 s[2:3], vcc
	s_cbranch_execz .LBB351_38
.LBB351_55:
	s_waitcnt vmcnt(0)
	v_cmp_ne_u32_e32 vcc, s10, v9
	s_xor_b64 s[4:5], s[0:1], vcc
	v_cndmask_b32_e64 v1, 0, 1, s[4:5]
	v_add_u32_e32 v2, s6, v0
	v_add_u32_e32 v0, 0x100, v0
	global_store_byte v2, v1, s[12:13]
	s_or_b64 exec, exec, s[2:3]
	v_cmp_gt_i32_e32 vcc, s8, v0
	s_and_saveexec_b64 s[2:3], vcc
	s_cbranch_execz .LBB351_39
.LBB351_56:
	s_waitcnt vmcnt(0)
	v_cmp_ne_u32_e32 vcc, s10, v20
	s_xor_b64 s[4:5], s[0:1], vcc
	v_cndmask_b32_e64 v1, 0, 1, s[4:5]
	v_add_u32_e32 v2, s6, v0
	v_add_u32_e32 v0, 0x100, v0
	global_store_byte v2, v1, s[12:13]
	s_or_b64 exec, exec, s[2:3]
	v_cmp_gt_i32_e32 vcc, s8, v0
	s_and_saveexec_b64 s[2:3], vcc
	s_cbranch_execz .LBB351_40
.LBB351_57:
	s_waitcnt vmcnt(0)
	v_cmp_ne_u32_e32 vcc, s10, v3
	s_xor_b64 s[4:5], s[0:1], vcc
	v_cndmask_b32_e64 v1, 0, 1, s[4:5]
	v_add_u32_e32 v2, s6, v0
	v_add_u32_e32 v0, 0x100, v0
	global_store_byte v2, v1, s[12:13]
	s_or_b64 exec, exec, s[2:3]
	v_cmp_gt_i32_e32 vcc, s8, v0
	s_and_saveexec_b64 s[2:3], vcc
	s_cbranch_execz .LBB351_41
.LBB351_58:
	s_waitcnt vmcnt(0)
	v_cmp_ne_u32_e32 vcc, s10, v4
	s_xor_b64 s[4:5], s[0:1], vcc
	v_cndmask_b32_e64 v1, 0, 1, s[4:5]
	v_add_u32_e32 v2, s6, v0
	v_add_u32_e32 v0, 0x100, v0
	global_store_byte v2, v1, s[12:13]
	s_or_b64 exec, exec, s[2:3]
	v_cmp_gt_i32_e32 vcc, s8, v0
	s_and_saveexec_b64 s[2:3], vcc
	s_cbranch_execz .LBB351_42
.LBB351_59:
	s_waitcnt vmcnt(0)
	v_cmp_ne_u32_e32 vcc, s10, v5
	s_xor_b64 s[4:5], s[0:1], vcc
	v_cndmask_b32_e64 v1, 0, 1, s[4:5]
	v_add_u32_e32 v2, s6, v0
	v_add_u32_e32 v0, 0x100, v0
	global_store_byte v2, v1, s[12:13]
	s_or_b64 exec, exec, s[2:3]
	v_cmp_gt_i32_e32 vcc, s8, v0
	s_and_saveexec_b64 s[2:3], vcc
	s_cbranch_execz .LBB351_43
.LBB351_60:
	s_waitcnt vmcnt(0)
	v_cmp_ne_u32_e32 vcc, s10, v6
	s_xor_b64 s[4:5], s[0:1], vcc
	v_cndmask_b32_e64 v1, 0, 1, s[4:5]
	v_add_u32_e32 v2, s6, v0
	v_add_u32_e32 v0, 0x100, v0
	global_store_byte v2, v1, s[12:13]
	s_or_b64 exec, exec, s[2:3]
	v_cmp_gt_i32_e32 vcc, s8, v0
	s_and_saveexec_b64 s[2:3], vcc
	s_cbranch_execz .LBB351_44
.LBB351_61:
	s_waitcnt vmcnt(0)
	v_cmp_ne_u32_e32 vcc, s10, v7
	s_xor_b64 s[4:5], s[0:1], vcc
	v_cndmask_b32_e64 v1, 0, 1, s[4:5]
	v_add_u32_e32 v2, s6, v0
	v_add_u32_e32 v0, 0x100, v0
	global_store_byte v2, v1, s[12:13]
	s_or_b64 exec, exec, s[2:3]
	v_cmp_gt_i32_e32 vcc, s8, v0
	s_and_saveexec_b64 s[2:3], vcc
	s_cbranch_execz .LBB351_45
.LBB351_62:
	s_waitcnt vmcnt(0)
	v_cmp_ne_u32_e32 vcc, s10, v8
	s_xor_b64 s[4:5], s[0:1], vcc
	v_cndmask_b32_e64 v1, 0, 1, s[4:5]
	v_add_u32_e32 v2, s6, v0
	v_add_u32_e32 v0, 0x100, v0
	global_store_byte v2, v1, s[12:13]
	s_or_b64 exec, exec, s[2:3]
	v_cmp_gt_i32_e32 vcc, s8, v0
	s_and_saveexec_b64 s[2:3], vcc
	s_cbranch_execz .LBB351_46
.LBB351_63:
	s_waitcnt vmcnt(0)
	v_cmp_ne_u32_e32 vcc, s10, v11
	s_xor_b64 s[4:5], s[0:1], vcc
	v_cndmask_b32_e64 v1, 0, 1, s[4:5]
	v_add_u32_e32 v2, s6, v0
	v_add_u32_e32 v0, 0x100, v0
	global_store_byte v2, v1, s[12:13]
	s_or_b64 exec, exec, s[2:3]
	v_cmp_gt_i32_e32 vcc, s8, v0
	s_and_saveexec_b64 s[2:3], vcc
	s_cbranch_execz .LBB351_47
.LBB351_64:
	s_waitcnt vmcnt(0)
	v_cmp_ne_u32_e32 vcc, s10, v12
	s_xor_b64 s[4:5], s[0:1], vcc
	v_cndmask_b32_e64 v1, 0, 1, s[4:5]
	v_add_u32_e32 v2, s6, v0
	v_add_u32_e32 v0, 0x100, v0
	global_store_byte v2, v1, s[12:13]
	s_or_b64 exec, exec, s[2:3]
	v_cmp_gt_i32_e32 vcc, s8, v0
	s_and_saveexec_b64 s[2:3], vcc
	s_cbranch_execz .LBB351_48
.LBB351_65:
	s_waitcnt vmcnt(0)
	v_cmp_ne_u32_e32 vcc, s10, v13
	s_xor_b64 s[4:5], s[0:1], vcc
	v_cndmask_b32_e64 v1, 0, 1, s[4:5]
	v_add_u32_e32 v2, s6, v0
	v_add_u32_e32 v0, 0x100, v0
	global_store_byte v2, v1, s[12:13]
	s_or_b64 exec, exec, s[2:3]
	v_cmp_gt_i32_e32 vcc, s8, v0
	s_and_saveexec_b64 s[2:3], vcc
	s_cbranch_execz .LBB351_49
.LBB351_66:
	s_waitcnt vmcnt(0)
	v_cmp_ne_u32_e32 vcc, s10, v14
	s_xor_b64 s[4:5], s[0:1], vcc
	v_cndmask_b32_e64 v1, 0, 1, s[4:5]
	v_add_u32_e32 v2, s6, v0
	v_add_u32_e32 v0, 0x100, v0
	global_store_byte v2, v1, s[12:13]
	s_or_b64 exec, exec, s[2:3]
	v_cmp_gt_i32_e32 vcc, s8, v0
	s_and_saveexec_b64 s[2:3], vcc
	s_cbranch_execz .LBB351_50
.LBB351_67:
	s_waitcnt vmcnt(0)
	v_cmp_ne_u32_e32 vcc, s10, v15
	s_xor_b64 s[4:5], s[0:1], vcc
	v_cndmask_b32_e64 v1, 0, 1, s[4:5]
	v_add_u32_e32 v2, s6, v0
	v_add_u32_e32 v0, 0x100, v0
	global_store_byte v2, v1, s[12:13]
	s_or_b64 exec, exec, s[2:3]
	v_cmp_gt_i32_e32 vcc, s8, v0
	s_and_saveexec_b64 s[2:3], vcc
	s_cbranch_execnz .LBB351_51
	s_branch .LBB351_52
	.section	.rodata,"a",@progbits
	.p2align	6, 0x0
	.amdhsa_kernel _ZN2at6native29vectorized_elementwise_kernelILi4ENS0_13AUnaryFunctorIjjbNS0_12_GLOBAL__N_116CompareEqFunctorIjEEEESt5arrayIPcLm2EEEEviT0_T1_
		.amdhsa_group_segment_fixed_size 0
		.amdhsa_private_segment_fixed_size 0
		.amdhsa_kernarg_size 32
		.amdhsa_user_sgpr_count 6
		.amdhsa_user_sgpr_private_segment_buffer 1
		.amdhsa_user_sgpr_dispatch_ptr 0
		.amdhsa_user_sgpr_queue_ptr 0
		.amdhsa_user_sgpr_kernarg_segment_ptr 1
		.amdhsa_user_sgpr_dispatch_id 0
		.amdhsa_user_sgpr_flat_scratch_init 0
		.amdhsa_user_sgpr_private_segment_size 0
		.amdhsa_uses_dynamic_stack 0
		.amdhsa_system_sgpr_private_segment_wavefront_offset 0
		.amdhsa_system_sgpr_workgroup_id_x 1
		.amdhsa_system_sgpr_workgroup_id_y 0
		.amdhsa_system_sgpr_workgroup_id_z 0
		.amdhsa_system_sgpr_workgroup_info 0
		.amdhsa_system_vgpr_workitem_id 0
		.amdhsa_next_free_vgpr 22
		.amdhsa_next_free_sgpr 46
		.amdhsa_reserve_vcc 1
		.amdhsa_reserve_flat_scratch 0
		.amdhsa_float_round_mode_32 0
		.amdhsa_float_round_mode_16_64 0
		.amdhsa_float_denorm_mode_32 3
		.amdhsa_float_denorm_mode_16_64 3
		.amdhsa_dx10_clamp 1
		.amdhsa_ieee_mode 1
		.amdhsa_fp16_overflow 0
		.amdhsa_exception_fp_ieee_invalid_op 0
		.amdhsa_exception_fp_denorm_src 0
		.amdhsa_exception_fp_ieee_div_zero 0
		.amdhsa_exception_fp_ieee_overflow 0
		.amdhsa_exception_fp_ieee_underflow 0
		.amdhsa_exception_fp_ieee_inexact 0
		.amdhsa_exception_int_div_zero 0
	.end_amdhsa_kernel
	.section	.text._ZN2at6native29vectorized_elementwise_kernelILi4ENS0_13AUnaryFunctorIjjbNS0_12_GLOBAL__N_116CompareEqFunctorIjEEEESt5arrayIPcLm2EEEEviT0_T1_,"axG",@progbits,_ZN2at6native29vectorized_elementwise_kernelILi4ENS0_13AUnaryFunctorIjjbNS0_12_GLOBAL__N_116CompareEqFunctorIjEEEESt5arrayIPcLm2EEEEviT0_T1_,comdat
.Lfunc_end351:
	.size	_ZN2at6native29vectorized_elementwise_kernelILi4ENS0_13AUnaryFunctorIjjbNS0_12_GLOBAL__N_116CompareEqFunctorIjEEEESt5arrayIPcLm2EEEEviT0_T1_, .Lfunc_end351-_ZN2at6native29vectorized_elementwise_kernelILi4ENS0_13AUnaryFunctorIjjbNS0_12_GLOBAL__N_116CompareEqFunctorIjEEEESt5arrayIPcLm2EEEEviT0_T1_
                                        ; -- End function
	.set _ZN2at6native29vectorized_elementwise_kernelILi4ENS0_13AUnaryFunctorIjjbNS0_12_GLOBAL__N_116CompareEqFunctorIjEEEESt5arrayIPcLm2EEEEviT0_T1_.num_vgpr, 22
	.set _ZN2at6native29vectorized_elementwise_kernelILi4ENS0_13AUnaryFunctorIjjbNS0_12_GLOBAL__N_116CompareEqFunctorIjEEEESt5arrayIPcLm2EEEEviT0_T1_.num_agpr, 0
	.set _ZN2at6native29vectorized_elementwise_kernelILi4ENS0_13AUnaryFunctorIjjbNS0_12_GLOBAL__N_116CompareEqFunctorIjEEEESt5arrayIPcLm2EEEEviT0_T1_.numbered_sgpr, 46
	.set _ZN2at6native29vectorized_elementwise_kernelILi4ENS0_13AUnaryFunctorIjjbNS0_12_GLOBAL__N_116CompareEqFunctorIjEEEESt5arrayIPcLm2EEEEviT0_T1_.num_named_barrier, 0
	.set _ZN2at6native29vectorized_elementwise_kernelILi4ENS0_13AUnaryFunctorIjjbNS0_12_GLOBAL__N_116CompareEqFunctorIjEEEESt5arrayIPcLm2EEEEviT0_T1_.private_seg_size, 0
	.set _ZN2at6native29vectorized_elementwise_kernelILi4ENS0_13AUnaryFunctorIjjbNS0_12_GLOBAL__N_116CompareEqFunctorIjEEEESt5arrayIPcLm2EEEEviT0_T1_.uses_vcc, 1
	.set _ZN2at6native29vectorized_elementwise_kernelILi4ENS0_13AUnaryFunctorIjjbNS0_12_GLOBAL__N_116CompareEqFunctorIjEEEESt5arrayIPcLm2EEEEviT0_T1_.uses_flat_scratch, 0
	.set _ZN2at6native29vectorized_elementwise_kernelILi4ENS0_13AUnaryFunctorIjjbNS0_12_GLOBAL__N_116CompareEqFunctorIjEEEESt5arrayIPcLm2EEEEviT0_T1_.has_dyn_sized_stack, 0
	.set _ZN2at6native29vectorized_elementwise_kernelILi4ENS0_13AUnaryFunctorIjjbNS0_12_GLOBAL__N_116CompareEqFunctorIjEEEESt5arrayIPcLm2EEEEviT0_T1_.has_recursion, 0
	.set _ZN2at6native29vectorized_elementwise_kernelILi4ENS0_13AUnaryFunctorIjjbNS0_12_GLOBAL__N_116CompareEqFunctorIjEEEESt5arrayIPcLm2EEEEviT0_T1_.has_indirect_call, 0
	.section	.AMDGPU.csdata,"",@progbits
; Kernel info:
; codeLenInByte = 3228
; TotalNumSgprs: 50
; NumVgprs: 22
; ScratchSize: 0
; MemoryBound: 0
; FloatMode: 240
; IeeeMode: 1
; LDSByteSize: 0 bytes/workgroup (compile time only)
; SGPRBlocks: 6
; VGPRBlocks: 5
; NumSGPRsForWavesPerEU: 50
; NumVGPRsForWavesPerEU: 22
; Occupancy: 10
; WaveLimiterHint : 1
; COMPUTE_PGM_RSRC2:SCRATCH_EN: 0
; COMPUTE_PGM_RSRC2:USER_SGPR: 6
; COMPUTE_PGM_RSRC2:TRAP_HANDLER: 0
; COMPUTE_PGM_RSRC2:TGID_X_EN: 1
; COMPUTE_PGM_RSRC2:TGID_Y_EN: 0
; COMPUTE_PGM_RSRC2:TGID_Z_EN: 0
; COMPUTE_PGM_RSRC2:TIDIG_COMP_CNT: 0
	.section	.text._ZN2at6native29vectorized_elementwise_kernelILi2ENS0_13AUnaryFunctorIjjbNS0_12_GLOBAL__N_116CompareEqFunctorIjEEEESt5arrayIPcLm2EEEEviT0_T1_,"axG",@progbits,_ZN2at6native29vectorized_elementwise_kernelILi2ENS0_13AUnaryFunctorIjjbNS0_12_GLOBAL__N_116CompareEqFunctorIjEEEESt5arrayIPcLm2EEEEviT0_T1_,comdat
	.globl	_ZN2at6native29vectorized_elementwise_kernelILi2ENS0_13AUnaryFunctorIjjbNS0_12_GLOBAL__N_116CompareEqFunctorIjEEEESt5arrayIPcLm2EEEEviT0_T1_ ; -- Begin function _ZN2at6native29vectorized_elementwise_kernelILi2ENS0_13AUnaryFunctorIjjbNS0_12_GLOBAL__N_116CompareEqFunctorIjEEEESt5arrayIPcLm2EEEEviT0_T1_
	.p2align	8
	.type	_ZN2at6native29vectorized_elementwise_kernelILi2ENS0_13AUnaryFunctorIjjbNS0_12_GLOBAL__N_116CompareEqFunctorIjEEEESt5arrayIPcLm2EEEEviT0_T1_,@function
_ZN2at6native29vectorized_elementwise_kernelILi2ENS0_13AUnaryFunctorIjjbNS0_12_GLOBAL__N_116CompareEqFunctorIjEEEESt5arrayIPcLm2EEEEviT0_T1_: ; @_ZN2at6native29vectorized_elementwise_kernelILi2ENS0_13AUnaryFunctorIjjbNS0_12_GLOBAL__N_116CompareEqFunctorIjEEEESt5arrayIPcLm2EEEEviT0_T1_
; %bb.0:
	s_load_dwordx8 s[8:15], s[4:5], 0x0
	s_lshl_b32 s6, s6, 12
	s_mov_b64 s[0:1], -1
	s_waitcnt lgkmcnt(0)
	s_sub_i32 s8, s8, s6
	s_cmpk_gt_i32 s8, 0xfff
	s_cbranch_scc0 .LBB352_2
; %bb.1:
	s_ashr_i32 s7, s6, 31
	s_lshl_b64 s[0:1], s[6:7], 2
	s_add_u32 s0, s14, s0
	s_addc_u32 s1, s15, s1
	v_lshlrev_b32_e32 v5, 3, v0
	v_mov_b32_e32 v6, s1
	v_add_co_u32_e32 v15, vcc, s0, v5
	global_load_dwordx2 v[1:2], v5, s[0:1]
	global_load_dwordx2 v[3:4], v5, s[0:1] offset:2048
	v_addc_co_u32_e32 v16, vcc, 0, v6, vcc
	v_add_co_u32_e32 v5, vcc, 0x1000, v15
	v_addc_co_u32_e32 v6, vcc, 0, v16, vcc
	global_load_dwordx2 v[7:8], v[5:6], off
	global_load_dwordx2 v[9:10], v[5:6], off offset:2048
	v_add_co_u32_e32 v5, vcc, 0x2000, v15
	v_addc_co_u32_e32 v6, vcc, 0, v16, vcc
	global_load_dwordx2 v[11:12], v[5:6], off
	global_load_dwordx2 v[13:14], v[5:6], off offset:2048
	;; [unrolled: 4-line block ×3, first 2 shown]
	s_cmp_eq_u32 s9, 0
	s_cselect_b64 s[16:17], -1, 0
	v_mov_b32_e32 v5, 0x100
	s_waitcnt vmcnt(7)
	v_cmp_ne_u32_e32 vcc, s10, v1
	v_cmp_ne_u32_e64 s[0:1], s10, v2
	s_waitcnt vmcnt(6)
	v_cmp_ne_u32_e64 s[2:3], s10, v3
	v_cmp_ne_u32_e64 s[4:5], s10, v4
	s_xor_b64 s[18:19], s[16:17], vcc
	s_xor_b64 vcc, s[16:17], s[0:1]
	v_cndmask_b32_e32 v2, 0, v5, vcc
	s_xor_b64 s[0:1], s[16:17], s[2:3]
	s_xor_b64 vcc, s[16:17], s[4:5]
	v_cndmask_b32_e64 v3, 0, 1, s[0:1]
	v_cndmask_b32_e32 v4, 0, v5, vcc
	s_waitcnt vmcnt(5)
	v_cmp_ne_u32_e32 vcc, s10, v7
	v_cmp_ne_u32_e64 s[0:1], s10, v8
	v_cndmask_b32_e64 v1, 0, 1, s[18:19]
	s_waitcnt vmcnt(4)
	v_cmp_ne_u32_e64 s[2:3], s10, v9
	v_cmp_ne_u32_e64 s[4:5], s10, v10
	s_xor_b64 s[18:19], s[16:17], vcc
	s_xor_b64 vcc, s[16:17], s[0:1]
	v_or_b32_e32 v1, v2, v1
	v_or_b32_e32 v2, v4, v3
	v_cndmask_b32_e32 v4, 0, v5, vcc
	s_xor_b64 s[0:1], s[16:17], s[2:3]
	s_xor_b64 vcc, s[16:17], s[4:5]
	v_cndmask_b32_e64 v6, 0, 1, s[0:1]
	v_cndmask_b32_e32 v7, 0, v5, vcc
	s_waitcnt vmcnt(3)
	v_cmp_ne_u32_e32 vcc, s10, v11
	v_cmp_ne_u32_e64 s[0:1], s10, v12
	v_cndmask_b32_e64 v3, 0, 1, s[18:19]
	s_waitcnt vmcnt(2)
	v_cmp_ne_u32_e64 s[2:3], s10, v13
	v_cmp_ne_u32_e64 s[4:5], s10, v14
	s_xor_b64 s[18:19], s[16:17], vcc
	s_xor_b64 vcc, s[16:17], s[0:1]
	v_or_b32_e32 v3, v4, v3
	v_or_b32_e32 v4, v7, v6
	;; [unrolled: 16-line block ×3, first 2 shown]
	v_cndmask_b32_e32 v9, 0, v5, vcc
	s_xor_b64 s[0:1], s[16:17], s[2:3]
	s_xor_b64 vcc, s[16:17], s[4:5]
	v_cndmask_b32_e64 v8, 0, 1, s[18:19]
	v_cndmask_b32_e64 v10, 0, 1, s[0:1]
	s_add_u32 s0, s12, s6
	v_cndmask_b32_e32 v5, 0, v5, vcc
	v_or_b32_e32 v8, v9, v8
	s_addc_u32 s1, s13, s7
	v_lshlrev_b32_e32 v9, 1, v0
	v_or_b32_e32 v5, v5, v10
	global_store_short v9, v1, s[0:1]
	global_store_short v9, v2, s[0:1] offset:512
	global_store_short v9, v3, s[0:1] offset:1024
	;; [unrolled: 1-line block ×7, first 2 shown]
	s_mov_b64 s[0:1], 0
.LBB352_2:
	s_andn2_b64 vcc, exec, s[0:1]
	s_cbranch_vccnz .LBB352_52
; %bb.3:
	v_cmp_gt_i32_e32 vcc, s8, v0
	v_or_b32_e32 v19, 0x100, v0
	v_mov_b32_e32 v16, 0
	v_or_b32_e32 v1, s6, v0
	v_mov_b32_e32 v15, 0
	v_mov_b32_e32 v14, 0
	;; [unrolled: 1-line block ×15, first 2 shown]
	s_and_saveexec_b64 s[2:3], vcc
	s_cbranch_execz .LBB352_35
; %bb.4:
	v_mov_b32_e32 v2, 0
	v_lshlrev_b64 v[3:4], 2, v[1:2]
	v_mov_b32_e32 v5, s15
	v_add_co_u32_e64 v3, s[0:1], s14, v3
	v_addc_co_u32_e64 v4, s[0:1], v5, v4, s[0:1]
	global_load_dword v21, v[3:4], off
	v_cmp_gt_u32_e64 s[0:1], s8, v19
	v_mov_b32_e32 v9, v2
	v_mov_b32_e32 v20, v2
	;; [unrolled: 1-line block ×14, first 2 shown]
	s_and_saveexec_b64 s[4:5], s[0:1]
	s_cbranch_execz .LBB352_34
; %bb.5:
	v_add_u32_e32 v8, s6, v0
	v_mov_b32_e32 v9, 0
	v_lshlrev_b64 v[2:3], 2, v[8:9]
	v_mov_b32_e32 v4, s15
	v_add_co_u32_e64 v17, s[0:1], s14, v2
	v_addc_co_u32_e64 v18, s[0:1], v4, v3, s[0:1]
	global_load_dword v2, v[17:18], off offset:1024
	v_or_b32_e32 v3, 0x200, v0
	v_cmp_gt_u32_e64 s[0:1], s8, v3
	v_mov_b32_e32 v20, v9
	v_mov_b32_e32 v3, v9
	;; [unrolled: 1-line block ×13, first 2 shown]
	s_and_saveexec_b64 s[16:17], s[0:1]
	s_cbranch_execz .LBB352_33
; %bb.6:
	global_load_dword v9, v[17:18], off offset:2048
	v_or_b32_e32 v3, 0x300, v0
	v_cmp_gt_u32_e64 s[0:1], s8, v3
	v_mov_b32_e32 v20, 0
	v_mov_b32_e32 v3, 0
	;; [unrolled: 1-line block ×13, first 2 shown]
	s_and_saveexec_b64 s[18:19], s[0:1]
	s_cbranch_execz .LBB352_32
; %bb.7:
	global_load_dword v20, v[17:18], off offset:3072
	v_or_b32_e32 v10, 0x400, v0
	v_cmp_gt_u32_e64 s[0:1], s8, v10
	v_mov_b32_e32 v3, 0
	v_mov_b32_e32 v4, 0
	;; [unrolled: 1-line block ×12, first 2 shown]
	s_and_saveexec_b64 s[20:21], s[0:1]
	s_cbranch_execz .LBB352_31
; %bb.8:
	v_or_b32_e32 v3, s6, v10
	v_mov_b32_e32 v4, 0
	v_lshlrev_b64 v[5:6], 2, v[3:4]
	v_mov_b32_e32 v3, s15
	v_add_co_u32_e64 v5, s[0:1], s14, v5
	v_addc_co_u32_e64 v6, s[0:1], v3, v6, s[0:1]
	global_load_dword v3, v[5:6], off
	v_or_b32_e32 v10, 0x500, v0
	v_cmp_gt_u32_e64 s[0:1], s8, v10
	v_mov_b32_e32 v5, v4
	v_mov_b32_e32 v6, v4
	;; [unrolled: 1-line block ×10, first 2 shown]
	s_and_saveexec_b64 s[22:23], s[0:1]
	s_cbranch_execz .LBB352_30
; %bb.9:
	v_or_b32_e32 v4, s6, v10
	v_mov_b32_e32 v5, 0
	v_lshlrev_b64 v[6:7], 2, v[4:5]
	v_mov_b32_e32 v4, s15
	v_add_co_u32_e64 v6, s[0:1], s14, v6
	v_addc_co_u32_e64 v7, s[0:1], v4, v7, s[0:1]
	global_load_dword v4, v[6:7], off
	v_or_b32_e32 v10, 0x600, v0
	v_cmp_gt_u32_e64 s[0:1], s8, v10
	v_mov_b32_e32 v6, v5
	v_mov_b32_e32 v7, v5
	;; [unrolled: 1-line block ×9, first 2 shown]
	s_and_saveexec_b64 s[24:25], s[0:1]
	s_cbranch_execz .LBB352_29
; %bb.10:
	v_or_b32_e32 v5, s6, v10
	v_mov_b32_e32 v6, 0
	v_lshlrev_b64 v[7:8], 2, v[5:6]
	v_mov_b32_e32 v5, s15
	v_add_co_u32_e64 v7, s[0:1], s14, v7
	v_addc_co_u32_e64 v8, s[0:1], v5, v8, s[0:1]
	global_load_dword v5, v[7:8], off
	v_or_b32_e32 v10, 0x700, v0
	v_cmp_gt_u32_e64 s[0:1], s8, v10
	v_mov_b32_e32 v7, v6
	v_mov_b32_e32 v8, v6
	v_mov_b32_e32 v11, v6
	v_mov_b32_e32 v12, v6
	v_mov_b32_e32 v13, v6
	v_mov_b32_e32 v14, v6
	v_mov_b32_e32 v15, v6
	v_mov_b32_e32 v16, v6
	s_and_saveexec_b64 s[26:27], s[0:1]
	s_cbranch_execz .LBB352_28
; %bb.11:
	v_or_b32_e32 v6, s6, v10
	v_mov_b32_e32 v7, 0
	v_lshlrev_b64 v[10:11], 2, v[6:7]
	v_mov_b32_e32 v6, s15
	v_add_co_u32_e64 v10, s[0:1], s14, v10
	v_addc_co_u32_e64 v11, s[0:1], v6, v11, s[0:1]
	global_load_dword v6, v[10:11], off
	v_or_b32_e32 v10, 0x800, v0
	v_cmp_gt_u32_e64 s[0:1], s8, v10
	v_mov_b32_e32 v8, v7
	v_mov_b32_e32 v11, v7
	;; [unrolled: 1-line block ×7, first 2 shown]
	s_and_saveexec_b64 s[28:29], s[0:1]
	s_cbranch_execz .LBB352_27
; %bb.12:
	v_or_b32_e32 v7, s6, v10
	v_mov_b32_e32 v8, 0
	v_lshlrev_b64 v[10:11], 2, v[7:8]
	v_mov_b32_e32 v7, s15
	v_add_co_u32_e64 v10, s[0:1], s14, v10
	v_addc_co_u32_e64 v11, s[0:1], v7, v11, s[0:1]
	global_load_dword v7, v[10:11], off
	v_or_b32_e32 v10, 0x900, v0
	v_cmp_gt_u32_e64 s[0:1], s8, v10
	v_mov_b32_e32 v11, v8
	v_mov_b32_e32 v12, v8
	;; [unrolled: 1-line block ×6, first 2 shown]
	s_and_saveexec_b64 s[30:31], s[0:1]
	s_cbranch_execz .LBB352_26
; %bb.13:
	v_or_b32_e32 v10, s6, v10
	v_mov_b32_e32 v11, 0
	v_lshlrev_b64 v[12:13], 2, v[10:11]
	v_mov_b32_e32 v8, s15
	v_add_co_u32_e64 v12, s[0:1], s14, v12
	v_addc_co_u32_e64 v13, s[0:1], v8, v13, s[0:1]
	global_load_dword v8, v[12:13], off
	v_or_b32_e32 v10, 0xa00, v0
	v_cmp_gt_u32_e64 s[0:1], s8, v10
	v_mov_b32_e32 v12, v11
	v_mov_b32_e32 v13, v11
	v_mov_b32_e32 v14, v11
	v_mov_b32_e32 v15, v11
	v_mov_b32_e32 v16, v11
	s_and_saveexec_b64 s[34:35], s[0:1]
	s_cbranch_execz .LBB352_25
; %bb.14:
	v_or_b32_e32 v11, s6, v10
	v_mov_b32_e32 v12, 0
	v_lshlrev_b64 v[10:11], 2, v[11:12]
	v_mov_b32_e32 v13, s15
	v_add_co_u32_e64 v10, s[0:1], s14, v10
	v_addc_co_u32_e64 v11, s[0:1], v13, v11, s[0:1]
	global_load_dword v11, v[10:11], off
	v_or_b32_e32 v10, 0xb00, v0
	v_cmp_gt_u32_e64 s[0:1], s8, v10
	v_mov_b32_e32 v13, v12
	v_mov_b32_e32 v14, v12
	;; [unrolled: 1-line block ×4, first 2 shown]
	s_and_saveexec_b64 s[36:37], s[0:1]
	s_cbranch_execz .LBB352_24
; %bb.15:
	v_or_b32_e32 v12, s6, v10
	v_mov_b32_e32 v13, 0
	v_lshlrev_b64 v[14:15], 2, v[12:13]
	v_mov_b32_e32 v10, s15
	v_add_co_u32_e64 v14, s[0:1], s14, v14
	v_addc_co_u32_e64 v15, s[0:1], v10, v15, s[0:1]
	global_load_dword v12, v[14:15], off
	v_or_b32_e32 v10, 0xc00, v0
	v_cmp_gt_u32_e64 s[0:1], s8, v10
	v_mov_b32_e32 v14, v13
	v_mov_b32_e32 v15, v13
	;; [unrolled: 1-line block ×3, first 2 shown]
	s_and_saveexec_b64 s[38:39], s[0:1]
	s_cbranch_execz .LBB352_23
; %bb.16:
	v_or_b32_e32 v13, s6, v10
	v_mov_b32_e32 v14, 0
	v_lshlrev_b64 v[15:16], 2, v[13:14]
	v_mov_b32_e32 v10, s15
	v_add_co_u32_e64 v15, s[0:1], s14, v15
	v_addc_co_u32_e64 v16, s[0:1], v10, v16, s[0:1]
	global_load_dword v13, v[15:16], off
	v_or_b32_e32 v10, 0xd00, v0
	v_cmp_gt_u32_e64 s[0:1], s8, v10
	v_mov_b32_e32 v15, v14
	v_mov_b32_e32 v16, v14
	s_and_saveexec_b64 s[40:41], s[0:1]
	s_cbranch_execz .LBB352_22
; %bb.17:
	v_add_u32_e32 v14, s6, v10
	v_mov_b32_e32 v15, 0
	v_lshlrev_b64 v[16:17], 2, v[14:15]
	v_mov_b32_e32 v10, s15
	v_add_co_u32_e64 v16, s[0:1], s14, v16
	v_addc_co_u32_e64 v17, s[0:1], v10, v17, s[0:1]
	global_load_dword v14, v[16:17], off
	v_or_b32_e32 v10, 0xe00, v0
	v_cmp_gt_u32_e64 s[0:1], s8, v10
	v_mov_b32_e32 v16, v15
	s_and_saveexec_b64 s[42:43], s[0:1]
	s_cbranch_execz .LBB352_21
; %bb.18:
	v_add_u32_e32 v15, s6, v10
	v_mov_b32_e32 v16, 0
	v_lshlrev_b64 v[17:18], 2, v[15:16]
	v_mov_b32_e32 v10, s15
	v_add_co_u32_e64 v17, s[0:1], s14, v17
	v_addc_co_u32_e64 v18, s[0:1], v10, v18, s[0:1]
	global_load_dword v15, v[17:18], off
	v_or_b32_e32 v10, 0xf00, v0
	v_cmp_gt_u32_e64 s[0:1], s8, v10
	s_and_saveexec_b64 s[44:45], s[0:1]
	s_cbranch_execz .LBB352_20
; %bb.19:
	v_add_u32_e32 v16, s6, v10
	v_mov_b32_e32 v17, 0
	v_lshlrev_b64 v[16:17], 2, v[16:17]
	v_mov_b32_e32 v10, s15
	v_add_co_u32_e64 v16, s[0:1], s14, v16
	v_addc_co_u32_e64 v17, s[0:1], v10, v17, s[0:1]
	global_load_dword v16, v[16:17], off
.LBB352_20:
	s_or_b64 exec, exec, s[44:45]
.LBB352_21:
	s_or_b64 exec, exec, s[42:43]
.LBB352_22:
	s_or_b64 exec, exec, s[40:41]
.LBB352_23:
	s_or_b64 exec, exec, s[38:39]
.LBB352_24:
	s_or_b64 exec, exec, s[36:37]
.LBB352_25:
	s_or_b64 exec, exec, s[34:35]
.LBB352_26:
	s_or_b64 exec, exec, s[30:31]
.LBB352_27:
	s_or_b64 exec, exec, s[28:29]
.LBB352_28:
	s_or_b64 exec, exec, s[26:27]
.LBB352_29:
	s_or_b64 exec, exec, s[24:25]
.LBB352_30:
	s_or_b64 exec, exec, s[22:23]
.LBB352_31:
	s_or_b64 exec, exec, s[20:21]
.LBB352_32:
	s_or_b64 exec, exec, s[18:19]
.LBB352_33:
	s_or_b64 exec, exec, s[16:17]
.LBB352_34:
	s_or_b64 exec, exec, s[4:5]
.LBB352_35:
	s_or_b64 exec, exec, s[2:3]
	s_cmp_eq_u32 s9, 0
	s_cselect_b64 s[0:1], -1, 0
	s_and_saveexec_b64 s[2:3], vcc
	s_cbranch_execnz .LBB352_53
; %bb.36:
	s_or_b64 exec, exec, s[2:3]
	v_cmp_gt_i32_e32 vcc, s8, v0
	s_and_saveexec_b64 s[2:3], vcc
	s_cbranch_execnz .LBB352_54
.LBB352_37:
	s_or_b64 exec, exec, s[2:3]
	v_cmp_gt_i32_e32 vcc, s8, v0
	s_and_saveexec_b64 s[2:3], vcc
	s_cbranch_execnz .LBB352_55
.LBB352_38:
	s_or_b64 exec, exec, s[2:3]
	v_cmp_gt_i32_e32 vcc, s8, v0
	s_and_saveexec_b64 s[2:3], vcc
	s_cbranch_execnz .LBB352_56
.LBB352_39:
	s_or_b64 exec, exec, s[2:3]
	v_cmp_gt_i32_e32 vcc, s8, v0
	s_and_saveexec_b64 s[2:3], vcc
	s_cbranch_execnz .LBB352_57
.LBB352_40:
	s_or_b64 exec, exec, s[2:3]
	v_cmp_gt_i32_e32 vcc, s8, v0
	s_and_saveexec_b64 s[2:3], vcc
	s_cbranch_execnz .LBB352_58
.LBB352_41:
	s_or_b64 exec, exec, s[2:3]
	v_cmp_gt_i32_e32 vcc, s8, v0
	s_and_saveexec_b64 s[2:3], vcc
	s_cbranch_execnz .LBB352_59
.LBB352_42:
	s_or_b64 exec, exec, s[2:3]
	v_cmp_gt_i32_e32 vcc, s8, v0
	s_and_saveexec_b64 s[2:3], vcc
	s_cbranch_execnz .LBB352_60
.LBB352_43:
	s_or_b64 exec, exec, s[2:3]
	v_cmp_gt_i32_e32 vcc, s8, v0
	s_and_saveexec_b64 s[2:3], vcc
	s_cbranch_execnz .LBB352_61
.LBB352_44:
	s_or_b64 exec, exec, s[2:3]
	v_cmp_gt_i32_e32 vcc, s8, v0
	s_and_saveexec_b64 s[2:3], vcc
	s_cbranch_execnz .LBB352_62
.LBB352_45:
	s_or_b64 exec, exec, s[2:3]
	v_cmp_gt_i32_e32 vcc, s8, v0
	s_and_saveexec_b64 s[2:3], vcc
	s_cbranch_execnz .LBB352_63
.LBB352_46:
	s_or_b64 exec, exec, s[2:3]
	v_cmp_gt_i32_e32 vcc, s8, v0
	s_and_saveexec_b64 s[2:3], vcc
	s_cbranch_execnz .LBB352_64
.LBB352_47:
	s_or_b64 exec, exec, s[2:3]
	v_cmp_gt_i32_e32 vcc, s8, v0
	s_and_saveexec_b64 s[2:3], vcc
	s_cbranch_execnz .LBB352_65
.LBB352_48:
	s_or_b64 exec, exec, s[2:3]
	v_cmp_gt_i32_e32 vcc, s8, v0
	s_and_saveexec_b64 s[2:3], vcc
	s_cbranch_execnz .LBB352_66
.LBB352_49:
	s_or_b64 exec, exec, s[2:3]
	v_cmp_gt_i32_e32 vcc, s8, v0
	s_and_saveexec_b64 s[2:3], vcc
	s_cbranch_execnz .LBB352_67
.LBB352_50:
	s_or_b64 exec, exec, s[2:3]
	v_cmp_gt_i32_e32 vcc, s8, v0
	s_and_saveexec_b64 s[2:3], vcc
	s_cbranch_execz .LBB352_52
.LBB352_51:
	s_waitcnt vmcnt(0)
	v_cmp_ne_u32_e32 vcc, s10, v16
	s_xor_b64 s[0:1], s[0:1], vcc
	v_cndmask_b32_e64 v1, 0, 1, s[0:1]
	v_add_u32_e32 v0, s6, v0
	global_store_byte v0, v1, s[12:13]
.LBB352_52:
	s_endpgm
.LBB352_53:
	s_waitcnt vmcnt(0)
	v_cmp_ne_u32_e32 vcc, s10, v21
	s_xor_b64 s[4:5], s[0:1], vcc
	v_cndmask_b32_e64 v0, 0, 1, s[4:5]
	global_store_byte v1, v0, s[12:13]
	v_mov_b32_e32 v0, v19
	s_or_b64 exec, exec, s[2:3]
	v_cmp_gt_i32_e32 vcc, s8, v0
	s_and_saveexec_b64 s[2:3], vcc
	s_cbranch_execz .LBB352_37
.LBB352_54:
	s_waitcnt vmcnt(0)
	v_cmp_ne_u32_e32 vcc, s10, v2
	s_xor_b64 s[4:5], s[0:1], vcc
	v_cndmask_b32_e64 v1, 0, 1, s[4:5]
	v_add_u32_e32 v2, s6, v0
	v_add_u32_e32 v0, 0x100, v0
	global_store_byte v2, v1, s[12:13]
	s_or_b64 exec, exec, s[2:3]
	v_cmp_gt_i32_e32 vcc, s8, v0
	s_and_saveexec_b64 s[2:3], vcc
	s_cbranch_execz .LBB352_38
.LBB352_55:
	s_waitcnt vmcnt(0)
	v_cmp_ne_u32_e32 vcc, s10, v9
	s_xor_b64 s[4:5], s[0:1], vcc
	v_cndmask_b32_e64 v1, 0, 1, s[4:5]
	v_add_u32_e32 v2, s6, v0
	v_add_u32_e32 v0, 0x100, v0
	global_store_byte v2, v1, s[12:13]
	s_or_b64 exec, exec, s[2:3]
	v_cmp_gt_i32_e32 vcc, s8, v0
	s_and_saveexec_b64 s[2:3], vcc
	s_cbranch_execz .LBB352_39
.LBB352_56:
	s_waitcnt vmcnt(0)
	v_cmp_ne_u32_e32 vcc, s10, v20
	s_xor_b64 s[4:5], s[0:1], vcc
	v_cndmask_b32_e64 v1, 0, 1, s[4:5]
	v_add_u32_e32 v2, s6, v0
	v_add_u32_e32 v0, 0x100, v0
	global_store_byte v2, v1, s[12:13]
	s_or_b64 exec, exec, s[2:3]
	v_cmp_gt_i32_e32 vcc, s8, v0
	s_and_saveexec_b64 s[2:3], vcc
	s_cbranch_execz .LBB352_40
.LBB352_57:
	s_waitcnt vmcnt(0)
	v_cmp_ne_u32_e32 vcc, s10, v3
	s_xor_b64 s[4:5], s[0:1], vcc
	v_cndmask_b32_e64 v1, 0, 1, s[4:5]
	v_add_u32_e32 v2, s6, v0
	v_add_u32_e32 v0, 0x100, v0
	global_store_byte v2, v1, s[12:13]
	s_or_b64 exec, exec, s[2:3]
	v_cmp_gt_i32_e32 vcc, s8, v0
	s_and_saveexec_b64 s[2:3], vcc
	s_cbranch_execz .LBB352_41
.LBB352_58:
	s_waitcnt vmcnt(0)
	v_cmp_ne_u32_e32 vcc, s10, v4
	s_xor_b64 s[4:5], s[0:1], vcc
	v_cndmask_b32_e64 v1, 0, 1, s[4:5]
	v_add_u32_e32 v2, s6, v0
	v_add_u32_e32 v0, 0x100, v0
	global_store_byte v2, v1, s[12:13]
	s_or_b64 exec, exec, s[2:3]
	v_cmp_gt_i32_e32 vcc, s8, v0
	s_and_saveexec_b64 s[2:3], vcc
	s_cbranch_execz .LBB352_42
.LBB352_59:
	s_waitcnt vmcnt(0)
	v_cmp_ne_u32_e32 vcc, s10, v5
	s_xor_b64 s[4:5], s[0:1], vcc
	v_cndmask_b32_e64 v1, 0, 1, s[4:5]
	v_add_u32_e32 v2, s6, v0
	v_add_u32_e32 v0, 0x100, v0
	global_store_byte v2, v1, s[12:13]
	s_or_b64 exec, exec, s[2:3]
	v_cmp_gt_i32_e32 vcc, s8, v0
	s_and_saveexec_b64 s[2:3], vcc
	s_cbranch_execz .LBB352_43
.LBB352_60:
	s_waitcnt vmcnt(0)
	v_cmp_ne_u32_e32 vcc, s10, v6
	s_xor_b64 s[4:5], s[0:1], vcc
	v_cndmask_b32_e64 v1, 0, 1, s[4:5]
	v_add_u32_e32 v2, s6, v0
	v_add_u32_e32 v0, 0x100, v0
	global_store_byte v2, v1, s[12:13]
	s_or_b64 exec, exec, s[2:3]
	v_cmp_gt_i32_e32 vcc, s8, v0
	s_and_saveexec_b64 s[2:3], vcc
	s_cbranch_execz .LBB352_44
.LBB352_61:
	s_waitcnt vmcnt(0)
	v_cmp_ne_u32_e32 vcc, s10, v7
	s_xor_b64 s[4:5], s[0:1], vcc
	v_cndmask_b32_e64 v1, 0, 1, s[4:5]
	v_add_u32_e32 v2, s6, v0
	v_add_u32_e32 v0, 0x100, v0
	global_store_byte v2, v1, s[12:13]
	s_or_b64 exec, exec, s[2:3]
	v_cmp_gt_i32_e32 vcc, s8, v0
	s_and_saveexec_b64 s[2:3], vcc
	s_cbranch_execz .LBB352_45
.LBB352_62:
	s_waitcnt vmcnt(0)
	v_cmp_ne_u32_e32 vcc, s10, v8
	s_xor_b64 s[4:5], s[0:1], vcc
	v_cndmask_b32_e64 v1, 0, 1, s[4:5]
	v_add_u32_e32 v2, s6, v0
	v_add_u32_e32 v0, 0x100, v0
	global_store_byte v2, v1, s[12:13]
	s_or_b64 exec, exec, s[2:3]
	v_cmp_gt_i32_e32 vcc, s8, v0
	s_and_saveexec_b64 s[2:3], vcc
	s_cbranch_execz .LBB352_46
.LBB352_63:
	s_waitcnt vmcnt(0)
	v_cmp_ne_u32_e32 vcc, s10, v11
	s_xor_b64 s[4:5], s[0:1], vcc
	v_cndmask_b32_e64 v1, 0, 1, s[4:5]
	v_add_u32_e32 v2, s6, v0
	v_add_u32_e32 v0, 0x100, v0
	global_store_byte v2, v1, s[12:13]
	s_or_b64 exec, exec, s[2:3]
	v_cmp_gt_i32_e32 vcc, s8, v0
	s_and_saveexec_b64 s[2:3], vcc
	s_cbranch_execz .LBB352_47
.LBB352_64:
	s_waitcnt vmcnt(0)
	v_cmp_ne_u32_e32 vcc, s10, v12
	s_xor_b64 s[4:5], s[0:1], vcc
	v_cndmask_b32_e64 v1, 0, 1, s[4:5]
	v_add_u32_e32 v2, s6, v0
	v_add_u32_e32 v0, 0x100, v0
	global_store_byte v2, v1, s[12:13]
	s_or_b64 exec, exec, s[2:3]
	v_cmp_gt_i32_e32 vcc, s8, v0
	s_and_saveexec_b64 s[2:3], vcc
	s_cbranch_execz .LBB352_48
.LBB352_65:
	s_waitcnt vmcnt(0)
	v_cmp_ne_u32_e32 vcc, s10, v13
	s_xor_b64 s[4:5], s[0:1], vcc
	v_cndmask_b32_e64 v1, 0, 1, s[4:5]
	v_add_u32_e32 v2, s6, v0
	v_add_u32_e32 v0, 0x100, v0
	global_store_byte v2, v1, s[12:13]
	s_or_b64 exec, exec, s[2:3]
	v_cmp_gt_i32_e32 vcc, s8, v0
	s_and_saveexec_b64 s[2:3], vcc
	s_cbranch_execz .LBB352_49
.LBB352_66:
	s_waitcnt vmcnt(0)
	v_cmp_ne_u32_e32 vcc, s10, v14
	s_xor_b64 s[4:5], s[0:1], vcc
	v_cndmask_b32_e64 v1, 0, 1, s[4:5]
	v_add_u32_e32 v2, s6, v0
	v_add_u32_e32 v0, 0x100, v0
	global_store_byte v2, v1, s[12:13]
	s_or_b64 exec, exec, s[2:3]
	v_cmp_gt_i32_e32 vcc, s8, v0
	s_and_saveexec_b64 s[2:3], vcc
	s_cbranch_execz .LBB352_50
.LBB352_67:
	s_waitcnt vmcnt(0)
	v_cmp_ne_u32_e32 vcc, s10, v15
	s_xor_b64 s[4:5], s[0:1], vcc
	v_cndmask_b32_e64 v1, 0, 1, s[4:5]
	v_add_u32_e32 v2, s6, v0
	v_add_u32_e32 v0, 0x100, v0
	global_store_byte v2, v1, s[12:13]
	s_or_b64 exec, exec, s[2:3]
	v_cmp_gt_i32_e32 vcc, s8, v0
	s_and_saveexec_b64 s[2:3], vcc
	s_cbranch_execnz .LBB352_51
	s_branch .LBB352_52
	.section	.rodata,"a",@progbits
	.p2align	6, 0x0
	.amdhsa_kernel _ZN2at6native29vectorized_elementwise_kernelILi2ENS0_13AUnaryFunctorIjjbNS0_12_GLOBAL__N_116CompareEqFunctorIjEEEESt5arrayIPcLm2EEEEviT0_T1_
		.amdhsa_group_segment_fixed_size 0
		.amdhsa_private_segment_fixed_size 0
		.amdhsa_kernarg_size 32
		.amdhsa_user_sgpr_count 6
		.amdhsa_user_sgpr_private_segment_buffer 1
		.amdhsa_user_sgpr_dispatch_ptr 0
		.amdhsa_user_sgpr_queue_ptr 0
		.amdhsa_user_sgpr_kernarg_segment_ptr 1
		.amdhsa_user_sgpr_dispatch_id 0
		.amdhsa_user_sgpr_flat_scratch_init 0
		.amdhsa_user_sgpr_private_segment_size 0
		.amdhsa_uses_dynamic_stack 0
		.amdhsa_system_sgpr_private_segment_wavefront_offset 0
		.amdhsa_system_sgpr_workgroup_id_x 1
		.amdhsa_system_sgpr_workgroup_id_y 0
		.amdhsa_system_sgpr_workgroup_id_z 0
		.amdhsa_system_sgpr_workgroup_info 0
		.amdhsa_system_vgpr_workitem_id 0
		.amdhsa_next_free_vgpr 22
		.amdhsa_next_free_sgpr 46
		.amdhsa_reserve_vcc 1
		.amdhsa_reserve_flat_scratch 0
		.amdhsa_float_round_mode_32 0
		.amdhsa_float_round_mode_16_64 0
		.amdhsa_float_denorm_mode_32 3
		.amdhsa_float_denorm_mode_16_64 3
		.amdhsa_dx10_clamp 1
		.amdhsa_ieee_mode 1
		.amdhsa_fp16_overflow 0
		.amdhsa_exception_fp_ieee_invalid_op 0
		.amdhsa_exception_fp_denorm_src 0
		.amdhsa_exception_fp_ieee_div_zero 0
		.amdhsa_exception_fp_ieee_overflow 0
		.amdhsa_exception_fp_ieee_underflow 0
		.amdhsa_exception_fp_ieee_inexact 0
		.amdhsa_exception_int_div_zero 0
	.end_amdhsa_kernel
	.section	.text._ZN2at6native29vectorized_elementwise_kernelILi2ENS0_13AUnaryFunctorIjjbNS0_12_GLOBAL__N_116CompareEqFunctorIjEEEESt5arrayIPcLm2EEEEviT0_T1_,"axG",@progbits,_ZN2at6native29vectorized_elementwise_kernelILi2ENS0_13AUnaryFunctorIjjbNS0_12_GLOBAL__N_116CompareEqFunctorIjEEEESt5arrayIPcLm2EEEEviT0_T1_,comdat
.Lfunc_end352:
	.size	_ZN2at6native29vectorized_elementwise_kernelILi2ENS0_13AUnaryFunctorIjjbNS0_12_GLOBAL__N_116CompareEqFunctorIjEEEESt5arrayIPcLm2EEEEviT0_T1_, .Lfunc_end352-_ZN2at6native29vectorized_elementwise_kernelILi2ENS0_13AUnaryFunctorIjjbNS0_12_GLOBAL__N_116CompareEqFunctorIjEEEESt5arrayIPcLm2EEEEviT0_T1_
                                        ; -- End function
	.set _ZN2at6native29vectorized_elementwise_kernelILi2ENS0_13AUnaryFunctorIjjbNS0_12_GLOBAL__N_116CompareEqFunctorIjEEEESt5arrayIPcLm2EEEEviT0_T1_.num_vgpr, 22
	.set _ZN2at6native29vectorized_elementwise_kernelILi2ENS0_13AUnaryFunctorIjjbNS0_12_GLOBAL__N_116CompareEqFunctorIjEEEESt5arrayIPcLm2EEEEviT0_T1_.num_agpr, 0
	.set _ZN2at6native29vectorized_elementwise_kernelILi2ENS0_13AUnaryFunctorIjjbNS0_12_GLOBAL__N_116CompareEqFunctorIjEEEESt5arrayIPcLm2EEEEviT0_T1_.numbered_sgpr, 46
	.set _ZN2at6native29vectorized_elementwise_kernelILi2ENS0_13AUnaryFunctorIjjbNS0_12_GLOBAL__N_116CompareEqFunctorIjEEEESt5arrayIPcLm2EEEEviT0_T1_.num_named_barrier, 0
	.set _ZN2at6native29vectorized_elementwise_kernelILi2ENS0_13AUnaryFunctorIjjbNS0_12_GLOBAL__N_116CompareEqFunctorIjEEEESt5arrayIPcLm2EEEEviT0_T1_.private_seg_size, 0
	.set _ZN2at6native29vectorized_elementwise_kernelILi2ENS0_13AUnaryFunctorIjjbNS0_12_GLOBAL__N_116CompareEqFunctorIjEEEESt5arrayIPcLm2EEEEviT0_T1_.uses_vcc, 1
	.set _ZN2at6native29vectorized_elementwise_kernelILi2ENS0_13AUnaryFunctorIjjbNS0_12_GLOBAL__N_116CompareEqFunctorIjEEEESt5arrayIPcLm2EEEEviT0_T1_.uses_flat_scratch, 0
	.set _ZN2at6native29vectorized_elementwise_kernelILi2ENS0_13AUnaryFunctorIjjbNS0_12_GLOBAL__N_116CompareEqFunctorIjEEEESt5arrayIPcLm2EEEEviT0_T1_.has_dyn_sized_stack, 0
	.set _ZN2at6native29vectorized_elementwise_kernelILi2ENS0_13AUnaryFunctorIjjbNS0_12_GLOBAL__N_116CompareEqFunctorIjEEEESt5arrayIPcLm2EEEEviT0_T1_.has_recursion, 0
	.set _ZN2at6native29vectorized_elementwise_kernelILi2ENS0_13AUnaryFunctorIjjbNS0_12_GLOBAL__N_116CompareEqFunctorIjEEEESt5arrayIPcLm2EEEEviT0_T1_.has_indirect_call, 0
	.section	.AMDGPU.csdata,"",@progbits
; Kernel info:
; codeLenInByte = 3292
; TotalNumSgprs: 50
; NumVgprs: 22
; ScratchSize: 0
; MemoryBound: 0
; FloatMode: 240
; IeeeMode: 1
; LDSByteSize: 0 bytes/workgroup (compile time only)
; SGPRBlocks: 6
; VGPRBlocks: 5
; NumSGPRsForWavesPerEU: 50
; NumVGPRsForWavesPerEU: 22
; Occupancy: 10
; WaveLimiterHint : 1
; COMPUTE_PGM_RSRC2:SCRATCH_EN: 0
; COMPUTE_PGM_RSRC2:USER_SGPR: 6
; COMPUTE_PGM_RSRC2:TRAP_HANDLER: 0
; COMPUTE_PGM_RSRC2:TGID_X_EN: 1
; COMPUTE_PGM_RSRC2:TGID_Y_EN: 0
; COMPUTE_PGM_RSRC2:TGID_Z_EN: 0
; COMPUTE_PGM_RSRC2:TIDIG_COMP_CNT: 0
	.section	.text._ZN2at6native27unrolled_elementwise_kernelINS0_13AUnaryFunctorIjjbNS0_12_GLOBAL__N_116CompareEqFunctorIjEEEESt5arrayIPcLm2EELi4E23TrivialOffsetCalculatorILi1EjESB_NS0_6memory15LoadWithoutCastENSC_16StoreWithoutCastEEEviT_T0_T2_T3_T4_T5_,"axG",@progbits,_ZN2at6native27unrolled_elementwise_kernelINS0_13AUnaryFunctorIjjbNS0_12_GLOBAL__N_116CompareEqFunctorIjEEEESt5arrayIPcLm2EELi4E23TrivialOffsetCalculatorILi1EjESB_NS0_6memory15LoadWithoutCastENSC_16StoreWithoutCastEEEviT_T0_T2_T3_T4_T5_,comdat
	.globl	_ZN2at6native27unrolled_elementwise_kernelINS0_13AUnaryFunctorIjjbNS0_12_GLOBAL__N_116CompareEqFunctorIjEEEESt5arrayIPcLm2EELi4E23TrivialOffsetCalculatorILi1EjESB_NS0_6memory15LoadWithoutCastENSC_16StoreWithoutCastEEEviT_T0_T2_T3_T4_T5_ ; -- Begin function _ZN2at6native27unrolled_elementwise_kernelINS0_13AUnaryFunctorIjjbNS0_12_GLOBAL__N_116CompareEqFunctorIjEEEESt5arrayIPcLm2EELi4E23TrivialOffsetCalculatorILi1EjESB_NS0_6memory15LoadWithoutCastENSC_16StoreWithoutCastEEEviT_T0_T2_T3_T4_T5_
	.p2align	8
	.type	_ZN2at6native27unrolled_elementwise_kernelINS0_13AUnaryFunctorIjjbNS0_12_GLOBAL__N_116CompareEqFunctorIjEEEESt5arrayIPcLm2EELi4E23TrivialOffsetCalculatorILi1EjESB_NS0_6memory15LoadWithoutCastENSC_16StoreWithoutCastEEEviT_T0_T2_T3_T4_T5_,@function
_ZN2at6native27unrolled_elementwise_kernelINS0_13AUnaryFunctorIjjbNS0_12_GLOBAL__N_116CompareEqFunctorIjEEEESt5arrayIPcLm2EELi4E23TrivialOffsetCalculatorILi1EjESB_NS0_6memory15LoadWithoutCastENSC_16StoreWithoutCastEEEviT_T0_T2_T3_T4_T5_: ; @_ZN2at6native27unrolled_elementwise_kernelINS0_13AUnaryFunctorIjjbNS0_12_GLOBAL__N_116CompareEqFunctorIjEEEESt5arrayIPcLm2EELi4E23TrivialOffsetCalculatorILi1EjESB_NS0_6memory15LoadWithoutCastENSC_16StoreWithoutCastEEEviT_T0_T2_T3_T4_T5_
; %bb.0:
	s_load_dwordx8 s[8:15], s[4:5], 0x0
	s_waitcnt lgkmcnt(0)
	s_lshl_b32 s11, s6, 10
	v_mov_b32_e32 v4, 0
	v_or_b32_e32 v5, 0x100, v0
	v_or_b32_e32 v1, s11, v0
	s_sub_i32 s8, s8, s11
	v_cmp_gt_i32_e32 vcc, s8, v0
	v_mov_b32_e32 v3, 0
	v_mov_b32_e32 v2, v4
	;; [unrolled: 1-line block ×3, first 2 shown]
	s_and_saveexec_b64 s[2:3], vcc
	s_cbranch_execz .LBB353_8
; %bb.1:
	v_mov_b32_e32 v2, 0
	v_lshlrev_b64 v[3:4], 2, v[1:2]
	v_mov_b32_e32 v6, s15
	v_add_co_u32_e64 v3, s[0:1], s14, v3
	v_addc_co_u32_e64 v4, s[0:1], v6, v4, s[0:1]
	global_load_dword v6, v[3:4], off
	v_cmp_gt_u32_e64 s[0:1], s8, v5
	v_mov_b32_e32 v3, v2
	v_mov_b32_e32 v4, v2
	s_and_saveexec_b64 s[4:5], s[0:1]
	s_cbranch_execz .LBB353_7
; %bb.2:
	v_add_u32_e32 v2, s11, v5
	v_mov_b32_e32 v3, 0
	v_lshlrev_b64 v[7:8], 2, v[2:3]
	v_mov_b32_e32 v2, s15
	v_add_co_u32_e64 v7, s[0:1], s14, v7
	v_addc_co_u32_e64 v8, s[0:1], v2, v8, s[0:1]
	global_load_dword v2, v[7:8], off
	v_or_b32_e32 v7, 0x200, v0
	v_cmp_gt_u32_e64 s[0:1], s8, v7
	v_mov_b32_e32 v4, v3
	s_and_saveexec_b64 s[6:7], s[0:1]
	s_cbranch_execz .LBB353_6
; %bb.3:
	v_add_u32_e32 v3, s11, v7
	v_mov_b32_e32 v4, 0
	v_lshlrev_b64 v[7:8], 2, v[3:4]
	v_mov_b32_e32 v3, s15
	v_add_co_u32_e64 v7, s[0:1], s14, v7
	v_addc_co_u32_e64 v8, s[0:1], v3, v8, s[0:1]
	global_load_dword v3, v[7:8], off
	v_or_b32_e32 v7, 0x300, v0
	v_cmp_gt_u32_e64 s[0:1], s8, v7
	s_and_saveexec_b64 s[16:17], s[0:1]
	s_cbranch_execz .LBB353_5
; %bb.4:
	v_add_u32_e32 v7, s11, v7
	v_mov_b32_e32 v8, 0
	v_lshlrev_b64 v[7:8], 2, v[7:8]
	v_mov_b32_e32 v4, s15
	v_add_co_u32_e64 v7, s[0:1], s14, v7
	v_addc_co_u32_e64 v8, s[0:1], v4, v8, s[0:1]
	global_load_dword v4, v[7:8], off
.LBB353_5:
	s_or_b64 exec, exec, s[16:17]
.LBB353_6:
	s_or_b64 exec, exec, s[6:7]
.LBB353_7:
	s_or_b64 exec, exec, s[4:5]
.LBB353_8:
	s_or_b64 exec, exec, s[2:3]
	s_cmp_eq_u32 s9, 0
	s_cselect_b64 s[2:3], -1, 0
	s_waitcnt vmcnt(0)
	v_cmp_ne_u32_e64 s[0:1], s10, v6
	s_xor_b64 s[0:1], s[2:3], s[0:1]
	v_cndmask_b32_e64 v6, 0, 1, s[0:1]
	v_cmp_ne_u32_e64 s[0:1], s10, v2
	s_xor_b64 s[0:1], s[2:3], s[0:1]
	v_cndmask_b32_e64 v2, 0, 1, s[0:1]
	v_cndmask_b32_e32 v6, 0, v6, vcc
	v_lshlrev_b16_e32 v2, 8, v2
	v_or_b32_e32 v2, v6, v2
	v_and_b32_e32 v2, 0xffff, v2
	v_cmp_gt_i32_e64 s[0:1], s8, v5
	v_cndmask_b32_e64 v2, v6, v2, s[0:1]
	v_cmp_ne_u32_e64 s[0:1], s10, v3
	s_xor_b64 s[0:1], s[2:3], s[0:1]
	v_cndmask_b32_e64 v3, 0, 1, s[0:1]
	v_or_b32_e32 v6, 0x200, v0
	v_lshlrev_b32_e32 v3, 16, v3
	v_or_b32_e32 v3, v2, v3
	v_cmp_gt_i32_e64 s[0:1], s8, v6
	v_cndmask_b32_e64 v2, v2, v3, s[0:1]
	s_movk_i32 s0, 0xff
	v_and_b32_sdwa v3, v2, s0 dst_sel:DWORD dst_unused:UNUSED_PAD src0_sel:WORD_1 src1_sel:DWORD
	v_cmp_ne_u32_e64 s[0:1], s10, v4
	s_xor_b64 s[0:1], s[2:3], s[0:1]
	v_cndmask_b32_e64 v4, 0, 1, s[0:1]
	v_lshlrev_b16_e32 v4, 8, v4
	s_mov_b32 s4, 0xffff
	v_or_b32_e32 v6, 0x300, v0
	v_or_b32_sdwa v3, v3, v4 dst_sel:WORD_1 dst_unused:UNUSED_PAD src0_sel:DWORD src1_sel:DWORD
	v_and_or_b32 v3, v2, s4, v3
	v_cmp_gt_i32_e64 s[0:1], s8, v6
	v_cndmask_b32_e64 v2, v2, v3, s[0:1]
	s_and_saveexec_b64 s[0:1], vcc
	s_cbranch_execnz .LBB353_13
; %bb.9:
	s_or_b64 exec, exec, s[0:1]
	v_cmp_gt_i32_e32 vcc, s8, v0
	s_and_saveexec_b64 s[0:1], vcc
	s_cbranch_execnz .LBB353_14
.LBB353_10:
	s_or_b64 exec, exec, s[0:1]
	v_cmp_gt_i32_e32 vcc, s8, v0
	s_and_saveexec_b64 s[0:1], vcc
	s_cbranch_execnz .LBB353_15
.LBB353_11:
	s_or_b64 exec, exec, s[0:1]
	v_cmp_gt_i32_e32 vcc, s8, v0
	s_and_saveexec_b64 s[0:1], vcc
	s_cbranch_execnz .LBB353_16
.LBB353_12:
	s_endpgm
.LBB353_13:
	v_mov_b32_e32 v0, v5
	global_store_byte v1, v2, s[12:13]
	s_or_b64 exec, exec, s[0:1]
	v_cmp_gt_i32_e32 vcc, s8, v0
	s_and_saveexec_b64 s[0:1], vcc
	s_cbranch_execz .LBB353_10
.LBB353_14:
	v_add_u32_e32 v1, 0x100, v0
	v_add_u32_e32 v0, s11, v0
	v_lshrrev_b32_e32 v3, 8, v2
	global_store_byte v0, v3, s[12:13]
	v_mov_b32_e32 v0, v1
	s_or_b64 exec, exec, s[0:1]
	v_cmp_gt_i32_e32 vcc, s8, v0
	s_and_saveexec_b64 s[0:1], vcc
	s_cbranch_execz .LBB353_11
.LBB353_15:
	v_add_u32_e32 v1, 0x100, v0
	v_add_u32_e32 v0, s11, v0
	global_store_byte_d16_hi v0, v2, s[12:13]
	v_mov_b32_e32 v0, v1
	s_or_b64 exec, exec, s[0:1]
	v_cmp_gt_i32_e32 vcc, s8, v0
	s_and_saveexec_b64 s[0:1], vcc
	s_cbranch_execz .LBB353_12
.LBB353_16:
	v_add_u32_e32 v0, s11, v0
	v_lshrrev_b32_e32 v1, 24, v2
	global_store_byte v0, v1, s[12:13]
	s_endpgm
	.section	.rodata,"a",@progbits
	.p2align	6, 0x0
	.amdhsa_kernel _ZN2at6native27unrolled_elementwise_kernelINS0_13AUnaryFunctorIjjbNS0_12_GLOBAL__N_116CompareEqFunctorIjEEEESt5arrayIPcLm2EELi4E23TrivialOffsetCalculatorILi1EjESB_NS0_6memory15LoadWithoutCastENSC_16StoreWithoutCastEEEviT_T0_T2_T3_T4_T5_
		.amdhsa_group_segment_fixed_size 0
		.amdhsa_private_segment_fixed_size 0
		.amdhsa_kernarg_size 36
		.amdhsa_user_sgpr_count 6
		.amdhsa_user_sgpr_private_segment_buffer 1
		.amdhsa_user_sgpr_dispatch_ptr 0
		.amdhsa_user_sgpr_queue_ptr 0
		.amdhsa_user_sgpr_kernarg_segment_ptr 1
		.amdhsa_user_sgpr_dispatch_id 0
		.amdhsa_user_sgpr_flat_scratch_init 0
		.amdhsa_user_sgpr_private_segment_size 0
		.amdhsa_uses_dynamic_stack 0
		.amdhsa_system_sgpr_private_segment_wavefront_offset 0
		.amdhsa_system_sgpr_workgroup_id_x 1
		.amdhsa_system_sgpr_workgroup_id_y 0
		.amdhsa_system_sgpr_workgroup_id_z 0
		.amdhsa_system_sgpr_workgroup_info 0
		.amdhsa_system_vgpr_workitem_id 0
		.amdhsa_next_free_vgpr 9
		.amdhsa_next_free_sgpr 18
		.amdhsa_reserve_vcc 1
		.amdhsa_reserve_flat_scratch 0
		.amdhsa_float_round_mode_32 0
		.amdhsa_float_round_mode_16_64 0
		.amdhsa_float_denorm_mode_32 3
		.amdhsa_float_denorm_mode_16_64 3
		.amdhsa_dx10_clamp 1
		.amdhsa_ieee_mode 1
		.amdhsa_fp16_overflow 0
		.amdhsa_exception_fp_ieee_invalid_op 0
		.amdhsa_exception_fp_denorm_src 0
		.amdhsa_exception_fp_ieee_div_zero 0
		.amdhsa_exception_fp_ieee_overflow 0
		.amdhsa_exception_fp_ieee_underflow 0
		.amdhsa_exception_fp_ieee_inexact 0
		.amdhsa_exception_int_div_zero 0
	.end_amdhsa_kernel
	.section	.text._ZN2at6native27unrolled_elementwise_kernelINS0_13AUnaryFunctorIjjbNS0_12_GLOBAL__N_116CompareEqFunctorIjEEEESt5arrayIPcLm2EELi4E23TrivialOffsetCalculatorILi1EjESB_NS0_6memory15LoadWithoutCastENSC_16StoreWithoutCastEEEviT_T0_T2_T3_T4_T5_,"axG",@progbits,_ZN2at6native27unrolled_elementwise_kernelINS0_13AUnaryFunctorIjjbNS0_12_GLOBAL__N_116CompareEqFunctorIjEEEESt5arrayIPcLm2EELi4E23TrivialOffsetCalculatorILi1EjESB_NS0_6memory15LoadWithoutCastENSC_16StoreWithoutCastEEEviT_T0_T2_T3_T4_T5_,comdat
.Lfunc_end353:
	.size	_ZN2at6native27unrolled_elementwise_kernelINS0_13AUnaryFunctorIjjbNS0_12_GLOBAL__N_116CompareEqFunctorIjEEEESt5arrayIPcLm2EELi4E23TrivialOffsetCalculatorILi1EjESB_NS0_6memory15LoadWithoutCastENSC_16StoreWithoutCastEEEviT_T0_T2_T3_T4_T5_, .Lfunc_end353-_ZN2at6native27unrolled_elementwise_kernelINS0_13AUnaryFunctorIjjbNS0_12_GLOBAL__N_116CompareEqFunctorIjEEEESt5arrayIPcLm2EELi4E23TrivialOffsetCalculatorILi1EjESB_NS0_6memory15LoadWithoutCastENSC_16StoreWithoutCastEEEviT_T0_T2_T3_T4_T5_
                                        ; -- End function
	.set _ZN2at6native27unrolled_elementwise_kernelINS0_13AUnaryFunctorIjjbNS0_12_GLOBAL__N_116CompareEqFunctorIjEEEESt5arrayIPcLm2EELi4E23TrivialOffsetCalculatorILi1EjESB_NS0_6memory15LoadWithoutCastENSC_16StoreWithoutCastEEEviT_T0_T2_T3_T4_T5_.num_vgpr, 9
	.set _ZN2at6native27unrolled_elementwise_kernelINS0_13AUnaryFunctorIjjbNS0_12_GLOBAL__N_116CompareEqFunctorIjEEEESt5arrayIPcLm2EELi4E23TrivialOffsetCalculatorILi1EjESB_NS0_6memory15LoadWithoutCastENSC_16StoreWithoutCastEEEviT_T0_T2_T3_T4_T5_.num_agpr, 0
	.set _ZN2at6native27unrolled_elementwise_kernelINS0_13AUnaryFunctorIjjbNS0_12_GLOBAL__N_116CompareEqFunctorIjEEEESt5arrayIPcLm2EELi4E23TrivialOffsetCalculatorILi1EjESB_NS0_6memory15LoadWithoutCastENSC_16StoreWithoutCastEEEviT_T0_T2_T3_T4_T5_.numbered_sgpr, 18
	.set _ZN2at6native27unrolled_elementwise_kernelINS0_13AUnaryFunctorIjjbNS0_12_GLOBAL__N_116CompareEqFunctorIjEEEESt5arrayIPcLm2EELi4E23TrivialOffsetCalculatorILi1EjESB_NS0_6memory15LoadWithoutCastENSC_16StoreWithoutCastEEEviT_T0_T2_T3_T4_T5_.num_named_barrier, 0
	.set _ZN2at6native27unrolled_elementwise_kernelINS0_13AUnaryFunctorIjjbNS0_12_GLOBAL__N_116CompareEqFunctorIjEEEESt5arrayIPcLm2EELi4E23TrivialOffsetCalculatorILi1EjESB_NS0_6memory15LoadWithoutCastENSC_16StoreWithoutCastEEEviT_T0_T2_T3_T4_T5_.private_seg_size, 0
	.set _ZN2at6native27unrolled_elementwise_kernelINS0_13AUnaryFunctorIjjbNS0_12_GLOBAL__N_116CompareEqFunctorIjEEEESt5arrayIPcLm2EELi4E23TrivialOffsetCalculatorILi1EjESB_NS0_6memory15LoadWithoutCastENSC_16StoreWithoutCastEEEviT_T0_T2_T3_T4_T5_.uses_vcc, 1
	.set _ZN2at6native27unrolled_elementwise_kernelINS0_13AUnaryFunctorIjjbNS0_12_GLOBAL__N_116CompareEqFunctorIjEEEESt5arrayIPcLm2EELi4E23TrivialOffsetCalculatorILi1EjESB_NS0_6memory15LoadWithoutCastENSC_16StoreWithoutCastEEEviT_T0_T2_T3_T4_T5_.uses_flat_scratch, 0
	.set _ZN2at6native27unrolled_elementwise_kernelINS0_13AUnaryFunctorIjjbNS0_12_GLOBAL__N_116CompareEqFunctorIjEEEESt5arrayIPcLm2EELi4E23TrivialOffsetCalculatorILi1EjESB_NS0_6memory15LoadWithoutCastENSC_16StoreWithoutCastEEEviT_T0_T2_T3_T4_T5_.has_dyn_sized_stack, 0
	.set _ZN2at6native27unrolled_elementwise_kernelINS0_13AUnaryFunctorIjjbNS0_12_GLOBAL__N_116CompareEqFunctorIjEEEESt5arrayIPcLm2EELi4E23TrivialOffsetCalculatorILi1EjESB_NS0_6memory15LoadWithoutCastENSC_16StoreWithoutCastEEEviT_T0_T2_T3_T4_T5_.has_recursion, 0
	.set _ZN2at6native27unrolled_elementwise_kernelINS0_13AUnaryFunctorIjjbNS0_12_GLOBAL__N_116CompareEqFunctorIjEEEESt5arrayIPcLm2EELi4E23TrivialOffsetCalculatorILi1EjESB_NS0_6memory15LoadWithoutCastENSC_16StoreWithoutCastEEEviT_T0_T2_T3_T4_T5_.has_indirect_call, 0
	.section	.AMDGPU.csdata,"",@progbits
; Kernel info:
; codeLenInByte = 740
; TotalNumSgprs: 22
; NumVgprs: 9
; ScratchSize: 0
; MemoryBound: 0
; FloatMode: 240
; IeeeMode: 1
; LDSByteSize: 0 bytes/workgroup (compile time only)
; SGPRBlocks: 2
; VGPRBlocks: 2
; NumSGPRsForWavesPerEU: 22
; NumVGPRsForWavesPerEU: 9
; Occupancy: 10
; WaveLimiterHint : 0
; COMPUTE_PGM_RSRC2:SCRATCH_EN: 0
; COMPUTE_PGM_RSRC2:USER_SGPR: 6
; COMPUTE_PGM_RSRC2:TRAP_HANDLER: 0
; COMPUTE_PGM_RSRC2:TGID_X_EN: 1
; COMPUTE_PGM_RSRC2:TGID_Y_EN: 0
; COMPUTE_PGM_RSRC2:TGID_Z_EN: 0
; COMPUTE_PGM_RSRC2:TIDIG_COMP_CNT: 0
	.section	.text._ZN2at6native32elementwise_kernel_manual_unrollILi128ELi8EZNS0_22gpu_kernel_impl_nocastINS0_13AUnaryFunctorIjjbNS0_12_GLOBAL__N_116CompareEqFunctorIjEEEEEEvRNS_18TensorIteratorBaseERKT_EUlibE_EEviT1_,"axG",@progbits,_ZN2at6native32elementwise_kernel_manual_unrollILi128ELi8EZNS0_22gpu_kernel_impl_nocastINS0_13AUnaryFunctorIjjbNS0_12_GLOBAL__N_116CompareEqFunctorIjEEEEEEvRNS_18TensorIteratorBaseERKT_EUlibE_EEviT1_,comdat
	.globl	_ZN2at6native32elementwise_kernel_manual_unrollILi128ELi8EZNS0_22gpu_kernel_impl_nocastINS0_13AUnaryFunctorIjjbNS0_12_GLOBAL__N_116CompareEqFunctorIjEEEEEEvRNS_18TensorIteratorBaseERKT_EUlibE_EEviT1_ ; -- Begin function _ZN2at6native32elementwise_kernel_manual_unrollILi128ELi8EZNS0_22gpu_kernel_impl_nocastINS0_13AUnaryFunctorIjjbNS0_12_GLOBAL__N_116CompareEqFunctorIjEEEEEEvRNS_18TensorIteratorBaseERKT_EUlibE_EEviT1_
	.p2align	8
	.type	_ZN2at6native32elementwise_kernel_manual_unrollILi128ELi8EZNS0_22gpu_kernel_impl_nocastINS0_13AUnaryFunctorIjjbNS0_12_GLOBAL__N_116CompareEqFunctorIjEEEEEEvRNS_18TensorIteratorBaseERKT_EUlibE_EEviT1_,@function
_ZN2at6native32elementwise_kernel_manual_unrollILi128ELi8EZNS0_22gpu_kernel_impl_nocastINS0_13AUnaryFunctorIjjbNS0_12_GLOBAL__N_116CompareEqFunctorIjEEEEEEvRNS_18TensorIteratorBaseERKT_EUlibE_EEviT1_: ; @_ZN2at6native32elementwise_kernel_manual_unrollILi128ELi8EZNS0_22gpu_kernel_impl_nocastINS0_13AUnaryFunctorIjjbNS0_12_GLOBAL__N_116CompareEqFunctorIjEEEEEEvRNS_18TensorIteratorBaseERKT_EUlibE_EEviT1_
; %bb.0:
	s_load_dword s59, s[4:5], 0x0
	s_load_dword s33, s[4:5], 0x8
	s_add_u32 s34, s4, 8
	s_addc_u32 s35, s5, 0
	v_lshl_or_b32 v19, s6, 10, v0
	v_or_b32_e32 v25, 0x380, v19
	s_waitcnt lgkmcnt(0)
	s_add_i32 s58, s33, -1
	s_cmp_gt_u32 s58, 1
	v_cmp_le_i32_e32 vcc, s59, v25
	s_cselect_b64 s[36:37], -1, 0
	s_and_saveexec_b64 s[0:1], vcc
	s_xor_b64 s[38:39], exec, s[0:1]
	s_cbranch_execz .LBB354_7
; %bb.1:
	s_load_dwordx4 s[20:23], s[34:35], 0x4
	s_load_dwordx2 s[44:45], s[34:35], 0x14
	s_load_dwordx2 s[40:41], s[34:35], 0x158
	s_cmp_lg_u32 s33, 0
	s_cselect_b64 s[50:51], -1, 0
	s_add_u32 s48, s34, 0xc4
	s_load_dwordx4 s[24:27], s[34:35], 0xc4
	s_load_dwordx4 s[16:19], s[34:35], 0x148
	s_addc_u32 s49, s35, 0
	s_min_u32 s60, s58, 15
	s_cmp_gt_u32 s33, 1
	s_cselect_b64 s[46:47], -1, 0
	s_waitcnt lgkmcnt(0)
	s_cmp_eq_u32 s40, 0
	s_cselect_b64 s[42:43], -1, 0
	v_cmp_gt_i32_e32 vcc, s59, v19
	s_and_saveexec_b64 s[52:53], vcc
	s_cbranch_execz .LBB354_14
; %bb.2:
	s_andn2_b64 vcc, exec, s[36:37]
	s_cbranch_vccnz .LBB354_21
; %bb.3:
	s_andn2_b64 vcc, exec, s[50:51]
	s_cbranch_vccnz .LBB354_129
; %bb.4:
	s_add_i32 s61, s60, 1
	s_cmp_eq_u32 s58, 2
	s_cbranch_scc1 .LBB354_131
; %bb.5:
	s_and_b32 s40, s61, 28
	v_mov_b32_e32 v2, 0
	s_mov_b32 s62, 0
	s_mov_b64 s[54:55], s[34:35]
	s_mov_b64 s[56:57], s[48:49]
	v_mov_b32_e32 v0, 0
	v_mov_b32_e32 v1, v19
.LBB354_6:                              ; =>This Inner Loop Header: Depth=1
	s_load_dwordx8 s[8:15], s[54:55], 0x4
	s_load_dwordx4 s[28:31], s[54:55], 0x24
	s_load_dwordx8 s[0:7], s[56:57], 0x0
	s_add_u32 s54, s54, 48
	s_addc_u32 s55, s55, 0
	s_waitcnt lgkmcnt(0)
	v_mul_hi_u32 v3, s9, v1
	s_add_i32 s62, s62, 4
	s_add_u32 s56, s56, 32
	s_addc_u32 s57, s57, 0
	v_add_u32_e32 v3, v1, v3
	v_lshrrev_b32_e32 v3, s10, v3
	v_mul_lo_u32 v4, v3, s8
	v_mul_hi_u32 v5, s12, v3
	s_cmp_lg_u32 s40, s62
	v_sub_u32_e32 v1, v1, v4
	v_add_u32_e32 v4, v3, v5
	v_mul_lo_u32 v5, v1, s0
	v_mul_lo_u32 v6, v1, s1
	v_lshrrev_b32_e32 v1, s13, v4
	v_mul_lo_u32 v4, v1, s11
	v_mul_hi_u32 v7, s15, v1
	v_sub_u32_e32 v3, v3, v4
	v_add_u32_e32 v4, v1, v7
	v_lshrrev_b32_e32 v4, s28, v4
	v_mul_hi_u32 v8, s30, v4
	v_mul_lo_u32 v9, v4, s14
	v_mul_lo_u32 v7, v3, s2
	;; [unrolled: 1-line block ×3, first 2 shown]
	v_sub_u32_e32 v9, v1, v9
	v_add_u32_e32 v1, v4, v8
	v_lshrrev_b32_e32 v1, s31, v1
	v_mul_lo_u32 v8, v1, s29
	v_mul_lo_u32 v10, v9, s4
	;; [unrolled: 1-line block ×3, first 2 shown]
	v_add3_u32 v0, v5, v0, v7
	v_sub_u32_e32 v4, v4, v8
	v_mul_lo_u32 v8, v4, s6
	v_mul_lo_u32 v4, v4, s7
	v_add3_u32 v2, v6, v2, v3
	v_add3_u32 v0, v10, v0, v8
	;; [unrolled: 1-line block ×3, first 2 shown]
	s_cbranch_scc1 .LBB354_6
	s_branch .LBB354_132
.LBB354_7:
	s_andn2_saveexec_b64 s[0:1], s[38:39]
	s_cbranch_execz .LBB354_221
.LBB354_8:
	v_cndmask_b32_e64 v0, 0, 1, s[36:37]
	v_cmp_ne_u32_e64 s[0:1], 1, v0
	s_andn2_b64 vcc, exec, s[36:37]
	s_cbranch_vccnz .LBB354_20
; %bb.9:
	s_cmp_lg_u32 s33, 0
	s_mov_b32 s26, 0
	s_cbranch_scc0 .LBB354_23
; %bb.10:
	s_min_u32 s27, s58, 15
	s_add_i32 s27, s27, 1
	s_cmp_eq_u32 s58, 2
	s_cbranch_scc1 .LBB354_24
; %bb.11:
	s_and_b32 s26, s27, 28
	s_add_u32 s2, s34, 0xc4
	s_addc_u32 s3, s35, 0
	v_mov_b32_e32 v2, 0
	s_mov_b32 s28, 0
	s_mov_b64 s[24:25], s[34:35]
	v_mov_b32_e32 v0, 0
	v_mov_b32_e32 v1, v19
.LBB354_12:                             ; =>This Inner Loop Header: Depth=1
	s_load_dwordx8 s[12:19], s[24:25], 0x4
	s_load_dwordx4 s[20:23], s[24:25], 0x24
	s_load_dwordx8 s[4:11], s[2:3], 0x0
	s_add_u32 s24, s24, 48
	s_addc_u32 s25, s25, 0
	s_waitcnt lgkmcnt(0)
	v_mul_hi_u32 v3, s13, v1
	s_add_i32 s28, s28, 4
	s_add_u32 s2, s2, 32
	s_addc_u32 s3, s3, 0
	v_add_u32_e32 v3, v1, v3
	v_lshrrev_b32_e32 v3, s14, v3
	v_mul_lo_u32 v4, v3, s12
	v_mul_hi_u32 v5, s16, v3
	s_cmp_lg_u32 s26, s28
	v_sub_u32_e32 v1, v1, v4
	v_add_u32_e32 v4, v3, v5
	v_mul_lo_u32 v5, v1, s4
	v_mul_lo_u32 v6, v1, s5
	v_lshrrev_b32_e32 v1, s17, v4
	v_mul_lo_u32 v4, v1, s15
	v_mul_hi_u32 v7, s19, v1
	v_sub_u32_e32 v3, v3, v4
	v_add_u32_e32 v4, v1, v7
	v_lshrrev_b32_e32 v4, s20, v4
	v_mul_hi_u32 v8, s22, v4
	v_mul_lo_u32 v9, v4, s18
	v_mul_lo_u32 v7, v3, s6
	;; [unrolled: 1-line block ×3, first 2 shown]
	v_sub_u32_e32 v9, v1, v9
	v_add_u32_e32 v1, v4, v8
	v_lshrrev_b32_e32 v1, s23, v1
	v_mul_lo_u32 v8, v1, s21
	v_mul_lo_u32 v10, v9, s8
	v_mul_lo_u32 v9, v9, s9
	v_add3_u32 v0, v5, v0, v7
	v_sub_u32_e32 v4, v4, v8
	v_mul_lo_u32 v8, v4, s10
	v_mul_lo_u32 v4, v4, s11
	v_add3_u32 v2, v6, v2, v3
	v_add3_u32 v0, v10, v0, v8
	;; [unrolled: 1-line block ×3, first 2 shown]
	s_cbranch_scc1 .LBB354_12
; %bb.13:
	s_and_b32 s6, s27, 3
	s_cmp_eq_u32 s6, 0
	s_cbranch_scc0 .LBB354_25
	s_branch .LBB354_27
.LBB354_14:
	s_or_b64 exec, exec, s[52:53]
	v_cmp_gt_i32_e32 vcc, s59, v19
	s_and_saveexec_b64 s[52:53], vcc
	s_cbranch_execz .LBB354_139
.LBB354_15:
	s_andn2_b64 vcc, exec, s[36:37]
	s_cbranch_vccnz .LBB354_22
; %bb.16:
	s_andn2_b64 vcc, exec, s[50:51]
	s_cbranch_vccnz .LBB354_130
; %bb.17:
	s_add_i32 s61, s60, 1
	s_cmp_eq_u32 s58, 2
	s_cbranch_scc1 .LBB354_147
; %bb.18:
	s_and_b32 s40, s61, 28
	v_mov_b32_e32 v2, 0
	s_mov_b32 s62, 0
	s_mov_b64 s[54:55], s[34:35]
	s_mov_b64 s[56:57], s[48:49]
	v_mov_b32_e32 v0, 0
	v_mov_b32_e32 v1, v19
.LBB354_19:                             ; =>This Inner Loop Header: Depth=1
	s_load_dwordx8 s[8:15], s[54:55], 0x4
	s_load_dwordx4 s[28:31], s[54:55], 0x24
	s_load_dwordx8 s[0:7], s[56:57], 0x0
	s_add_u32 s54, s54, 48
	s_addc_u32 s55, s55, 0
	s_waitcnt lgkmcnt(0)
	v_mul_hi_u32 v3, s9, v1
	s_add_i32 s62, s62, 4
	s_add_u32 s56, s56, 32
	s_addc_u32 s57, s57, 0
	v_add_u32_e32 v3, v1, v3
	v_lshrrev_b32_e32 v3, s10, v3
	v_mul_lo_u32 v4, v3, s8
	v_mul_hi_u32 v5, s12, v3
	s_cmp_eq_u32 s40, s62
	v_sub_u32_e32 v1, v1, v4
	v_add_u32_e32 v4, v3, v5
	v_mul_lo_u32 v5, v1, s0
	v_mul_lo_u32 v6, v1, s1
	v_lshrrev_b32_e32 v1, s13, v4
	v_mul_lo_u32 v4, v1, s11
	v_mul_hi_u32 v7, s15, v1
	v_sub_u32_e32 v3, v3, v4
	v_add_u32_e32 v4, v1, v7
	v_lshrrev_b32_e32 v4, s28, v4
	v_mul_hi_u32 v8, s30, v4
	v_mul_lo_u32 v9, v4, s14
	v_mul_lo_u32 v7, v3, s2
	;; [unrolled: 1-line block ×3, first 2 shown]
	v_sub_u32_e32 v9, v1, v9
	v_add_u32_e32 v1, v4, v8
	v_lshrrev_b32_e32 v1, s31, v1
	v_mul_lo_u32 v8, v1, s29
	v_mul_lo_u32 v10, v9, s4
	v_mul_lo_u32 v9, v9, s5
	v_add3_u32 v0, v5, v0, v7
	v_sub_u32_e32 v4, v4, v8
	v_mul_lo_u32 v8, v4, s6
	v_mul_lo_u32 v4, v4, s7
	v_add3_u32 v2, v6, v2, v3
	v_add3_u32 v0, v10, v0, v8
	;; [unrolled: 1-line block ×3, first 2 shown]
	s_cbranch_scc0 .LBB354_19
	s_branch .LBB354_148
.LBB354_20:
                                        ; implicit-def: $vgpr0
                                        ; implicit-def: $vgpr2
	s_branch .LBB354_28
.LBB354_21:
                                        ; implicit-def: $vgpr0
                                        ; implicit-def: $vgpr2
	s_branch .LBB354_136
.LBB354_22:
                                        ; implicit-def: $vgpr0
                                        ; implicit-def: $vgpr2
	s_branch .LBB354_152
.LBB354_23:
	v_mov_b32_e32 v0, 0
	v_mov_b32_e32 v2, 0
	s_branch .LBB354_27
.LBB354_24:
	v_mov_b32_e32 v0, 0
	v_mov_b32_e32 v2, 0
	;; [unrolled: 1-line block ×3, first 2 shown]
	s_and_b32 s6, s27, 3
	s_cmp_eq_u32 s6, 0
	s_cbranch_scc1 .LBB354_27
.LBB354_25:
	s_lshl_b32 s2, s26, 3
	s_add_u32 s2, s34, s2
	s_addc_u32 s3, s35, 0
	s_add_u32 s2, s2, 0xc4
	s_addc_u32 s3, s3, 0
	s_mul_i32 s4, s26, 12
	s_add_u32 s4, s34, s4
	s_addc_u32 s5, s35, 0
.LBB354_26:                             ; =>This Inner Loop Header: Depth=1
	s_load_dwordx2 s[8:9], s[4:5], 0x4
	s_load_dword s7, s[4:5], 0xc
	s_load_dwordx2 s[10:11], s[2:3], 0x0
	s_add_u32 s4, s4, 12
	s_addc_u32 s5, s5, 0
	s_waitcnt lgkmcnt(0)
	v_mul_hi_u32 v4, s9, v1
	s_add_u32 s2, s2, 8
	s_addc_u32 s3, s3, 0
	s_add_i32 s6, s6, -1
	v_add_u32_e32 v4, v1, v4
	v_lshrrev_b32_e32 v4, s7, v4
	v_mul_lo_u32 v5, v4, s8
	s_cmp_lg_u32 s6, 0
	v_sub_u32_e32 v5, v1, v5
	v_mad_u64_u32 v[0:1], s[8:9], v5, s10, v[0:1]
	v_mad_u64_u32 v[2:3], s[8:9], v5, s11, v[2:3]
	v_mov_b32_e32 v1, v4
	s_cbranch_scc1 .LBB354_26
.LBB354_27:
	s_cbranch_execnz .LBB354_30
.LBB354_28:
	s_load_dwordx4 s[4:7], s[34:35], 0x4
	s_load_dwordx2 s[2:3], s[34:35], 0xc4
	s_cmp_lt_u32 s33, 2
	s_waitcnt lgkmcnt(0)
	v_mul_hi_u32 v0, s5, v19
	v_add_u32_e32 v0, v19, v0
	v_lshrrev_b32_e32 v1, s6, v0
	v_mul_lo_u32 v0, v1, s4
	v_sub_u32_e32 v2, v19, v0
	v_mul_lo_u32 v0, v2, s2
	v_mul_lo_u32 v2, v2, s3
	s_cbranch_scc1 .LBB354_30
; %bb.29:
	s_load_dwordx4 s[4:7], s[34:35], 0x10
	s_load_dwordx2 s[2:3], s[34:35], 0xcc
	s_waitcnt lgkmcnt(0)
	v_mul_hi_u32 v3, s5, v1
	v_add_u32_e32 v3, v1, v3
	v_lshrrev_b32_e32 v3, s6, v3
	v_mul_lo_u32 v3, v3, s4
	v_sub_u32_e32 v3, v1, v3
	v_mad_u64_u32 v[0:1], s[4:5], v3, s2, v[0:1]
	v_mad_u64_u32 v[2:3], s[2:3], v3, s3, v[2:3]
.LBB354_30:
	s_and_b64 vcc, exec, s[0:1]
	v_add_u32_e32 v1, 0x80, v19
	s_cbranch_vccnz .LBB354_36
; %bb.31:
	s_cmp_lg_u32 s33, 0
	s_mov_b32 s26, 0
	s_cbranch_scc0 .LBB354_37
; %bb.32:
	s_min_u32 s27, s58, 15
	s_add_i32 s27, s27, 1
	s_cmp_eq_u32 s58, 2
	s_cbranch_scc1 .LBB354_38
; %bb.33:
	s_and_b32 s26, s27, 28
	s_add_u32 s2, s34, 0xc4
	s_addc_u32 s3, s35, 0
	v_mov_b32_e32 v5, 0
	s_mov_b32 s28, 0
	s_mov_b64 s[24:25], s[34:35]
	v_mov_b32_e32 v3, 0
	v_mov_b32_e32 v4, v1
.LBB354_34:                             ; =>This Inner Loop Header: Depth=1
	s_load_dwordx8 s[12:19], s[24:25], 0x4
	s_load_dwordx4 s[20:23], s[24:25], 0x24
	s_load_dwordx8 s[4:11], s[2:3], 0x0
	s_add_u32 s24, s24, 48
	s_addc_u32 s25, s25, 0
	s_waitcnt lgkmcnt(0)
	v_mul_hi_u32 v6, s13, v4
	s_add_i32 s28, s28, 4
	s_add_u32 s2, s2, 32
	s_addc_u32 s3, s3, 0
	v_add_u32_e32 v6, v4, v6
	v_lshrrev_b32_e32 v6, s14, v6
	v_mul_lo_u32 v7, v6, s12
	v_mul_hi_u32 v8, s16, v6
	s_cmp_lg_u32 s26, s28
	v_sub_u32_e32 v4, v4, v7
	v_add_u32_e32 v7, v6, v8
	v_mul_lo_u32 v8, v4, s4
	v_mul_lo_u32 v9, v4, s5
	v_lshrrev_b32_e32 v4, s17, v7
	v_mul_lo_u32 v7, v4, s15
	v_mul_hi_u32 v10, s19, v4
	v_sub_u32_e32 v6, v6, v7
	v_add_u32_e32 v7, v4, v10
	v_lshrrev_b32_e32 v7, s20, v7
	v_mul_hi_u32 v11, s22, v7
	v_mul_lo_u32 v12, v7, s18
	v_mul_lo_u32 v10, v6, s6
	;; [unrolled: 1-line block ×3, first 2 shown]
	v_sub_u32_e32 v12, v4, v12
	v_add_u32_e32 v4, v7, v11
	v_lshrrev_b32_e32 v4, s23, v4
	v_mul_lo_u32 v11, v4, s21
	v_mul_lo_u32 v13, v12, s8
	;; [unrolled: 1-line block ×3, first 2 shown]
	v_add3_u32 v3, v8, v3, v10
	v_sub_u32_e32 v7, v7, v11
	v_mul_lo_u32 v11, v7, s10
	v_mul_lo_u32 v7, v7, s11
	v_add3_u32 v5, v9, v5, v6
	v_add3_u32 v3, v13, v3, v11
	;; [unrolled: 1-line block ×3, first 2 shown]
	s_cbranch_scc1 .LBB354_34
; %bb.35:
	s_and_b32 s6, s27, 3
	s_cmp_eq_u32 s6, 0
	s_cbranch_scc0 .LBB354_39
	s_branch .LBB354_41
.LBB354_36:
                                        ; implicit-def: $vgpr3
                                        ; implicit-def: $vgpr5
	s_branch .LBB354_42
.LBB354_37:
	v_mov_b32_e32 v3, 0
	v_mov_b32_e32 v5, 0
	s_branch .LBB354_41
.LBB354_38:
	v_mov_b32_e32 v3, 0
	v_mov_b32_e32 v5, 0
	v_mov_b32_e32 v4, v1
	s_and_b32 s6, s27, 3
	s_cmp_eq_u32 s6, 0
	s_cbranch_scc1 .LBB354_41
.LBB354_39:
	s_lshl_b32 s2, s26, 3
	s_add_u32 s2, s34, s2
	s_addc_u32 s3, s35, 0
	s_add_u32 s2, s2, 0xc4
	s_addc_u32 s3, s3, 0
	s_mul_i32 s4, s26, 12
	s_add_u32 s4, s34, s4
	s_addc_u32 s5, s35, 0
.LBB354_40:                             ; =>This Inner Loop Header: Depth=1
	s_load_dwordx2 s[8:9], s[4:5], 0x4
	s_load_dword s7, s[4:5], 0xc
	s_load_dwordx2 s[10:11], s[2:3], 0x0
	s_add_u32 s4, s4, 12
	s_addc_u32 s5, s5, 0
	s_waitcnt lgkmcnt(0)
	v_mul_hi_u32 v7, s9, v4
	s_add_u32 s2, s2, 8
	s_addc_u32 s3, s3, 0
	s_add_i32 s6, s6, -1
	v_add_u32_e32 v7, v4, v7
	v_lshrrev_b32_e32 v7, s7, v7
	v_mul_lo_u32 v8, v7, s8
	s_cmp_lg_u32 s6, 0
	v_sub_u32_e32 v8, v4, v8
	v_mad_u64_u32 v[3:4], s[8:9], v8, s10, v[3:4]
	v_mad_u64_u32 v[5:6], s[8:9], v8, s11, v[5:6]
	v_mov_b32_e32 v4, v7
	s_cbranch_scc1 .LBB354_40
.LBB354_41:
	s_cbranch_execnz .LBB354_44
.LBB354_42:
	s_load_dwordx4 s[4:7], s[34:35], 0x4
	s_load_dwordx2 s[2:3], s[34:35], 0xc4
	s_cmp_lt_u32 s33, 2
	s_waitcnt lgkmcnt(0)
	v_mul_hi_u32 v3, s5, v1
	v_add_u32_e32 v3, v1, v3
	v_lshrrev_b32_e32 v4, s6, v3
	v_mul_lo_u32 v3, v4, s4
	v_sub_u32_e32 v1, v1, v3
	v_mul_lo_u32 v3, v1, s2
	v_mul_lo_u32 v5, v1, s3
	s_cbranch_scc1 .LBB354_44
; %bb.43:
	s_load_dwordx4 s[4:7], s[34:35], 0x10
	s_load_dwordx2 s[2:3], s[34:35], 0xcc
	s_waitcnt lgkmcnt(0)
	v_mul_hi_u32 v1, s5, v4
	v_add_u32_e32 v1, v4, v1
	v_lshrrev_b32_e32 v1, s6, v1
	v_mul_lo_u32 v1, v1, s4
	v_sub_u32_e32 v1, v4, v1
	v_mad_u64_u32 v[3:4], s[4:5], v1, s2, v[3:4]
	v_mad_u64_u32 v[5:6], s[2:3], v1, s3, v[5:6]
.LBB354_44:
	s_and_b64 vcc, exec, s[0:1]
	v_add_u32_e32 v1, 0x100, v19
	s_cbranch_vccnz .LBB354_50
; %bb.45:
	s_cmp_lg_u32 s33, 0
	s_mov_b32 s26, 0
	s_cbranch_scc0 .LBB354_51
; %bb.46:
	s_min_u32 s27, s58, 15
	s_add_i32 s27, s27, 1
	s_cmp_eq_u32 s58, 2
	s_cbranch_scc1 .LBB354_52
; %bb.47:
	s_and_b32 s26, s27, 28
	s_add_u32 s2, s34, 0xc4
	s_addc_u32 s3, s35, 0
	v_mov_b32_e32 v8, 0
	s_mov_b32 s28, 0
	s_mov_b64 s[24:25], s[34:35]
	v_mov_b32_e32 v6, 0
	v_mov_b32_e32 v4, v1
.LBB354_48:                             ; =>This Inner Loop Header: Depth=1
	s_load_dwordx8 s[12:19], s[24:25], 0x4
	s_load_dwordx4 s[20:23], s[24:25], 0x24
	s_load_dwordx8 s[4:11], s[2:3], 0x0
	s_add_u32 s24, s24, 48
	s_addc_u32 s25, s25, 0
	s_waitcnt lgkmcnt(0)
	v_mul_hi_u32 v7, s13, v4
	s_add_i32 s28, s28, 4
	s_add_u32 s2, s2, 32
	s_addc_u32 s3, s3, 0
	v_add_u32_e32 v7, v4, v7
	v_lshrrev_b32_e32 v7, s14, v7
	v_mul_lo_u32 v9, v7, s12
	v_mul_hi_u32 v10, s16, v7
	s_cmp_lg_u32 s26, s28
	v_sub_u32_e32 v4, v4, v9
	v_add_u32_e32 v9, v7, v10
	v_mul_lo_u32 v10, v4, s4
	v_mul_lo_u32 v11, v4, s5
	v_lshrrev_b32_e32 v4, s17, v9
	v_mul_lo_u32 v9, v4, s15
	v_mul_hi_u32 v12, s19, v4
	v_sub_u32_e32 v7, v7, v9
	v_add_u32_e32 v9, v4, v12
	v_lshrrev_b32_e32 v9, s20, v9
	v_mul_hi_u32 v13, s22, v9
	v_mul_lo_u32 v14, v9, s18
	v_mul_lo_u32 v12, v7, s6
	;; [unrolled: 1-line block ×3, first 2 shown]
	v_sub_u32_e32 v14, v4, v14
	v_add_u32_e32 v4, v9, v13
	v_lshrrev_b32_e32 v4, s23, v4
	v_mul_lo_u32 v13, v4, s21
	v_mul_lo_u32 v15, v14, s8
	;; [unrolled: 1-line block ×3, first 2 shown]
	v_add3_u32 v6, v10, v6, v12
	v_sub_u32_e32 v9, v9, v13
	v_mul_lo_u32 v13, v9, s10
	v_mul_lo_u32 v9, v9, s11
	v_add3_u32 v7, v11, v8, v7
	v_add3_u32 v6, v15, v6, v13
	;; [unrolled: 1-line block ×3, first 2 shown]
	s_cbranch_scc1 .LBB354_48
; %bb.49:
	s_and_b32 s6, s27, 3
	s_cmp_eq_u32 s6, 0
	s_cbranch_scc0 .LBB354_53
	s_branch .LBB354_55
.LBB354_50:
                                        ; implicit-def: $vgpr6
                                        ; implicit-def: $vgpr8
	s_branch .LBB354_56
.LBB354_51:
	v_mov_b32_e32 v6, 0
	v_mov_b32_e32 v8, 0
	s_branch .LBB354_55
.LBB354_52:
	v_mov_b32_e32 v6, 0
	v_mov_b32_e32 v8, 0
	;; [unrolled: 1-line block ×3, first 2 shown]
	s_and_b32 s6, s27, 3
	s_cmp_eq_u32 s6, 0
	s_cbranch_scc1 .LBB354_55
.LBB354_53:
	s_lshl_b32 s2, s26, 3
	s_add_u32 s2, s34, s2
	s_addc_u32 s3, s35, 0
	s_add_u32 s2, s2, 0xc4
	s_addc_u32 s3, s3, 0
	s_mul_i32 s4, s26, 12
	s_add_u32 s4, s34, s4
	s_addc_u32 s5, s35, 0
.LBB354_54:                             ; =>This Inner Loop Header: Depth=1
	s_load_dwordx2 s[8:9], s[4:5], 0x4
	s_load_dword s7, s[4:5], 0xc
	s_load_dwordx2 s[10:11], s[2:3], 0x0
	s_add_u32 s4, s4, 12
	s_addc_u32 s5, s5, 0
	s_waitcnt lgkmcnt(0)
	v_mul_hi_u32 v7, s9, v4
	s_add_u32 s2, s2, 8
	s_addc_u32 s3, s3, 0
	s_add_i32 s6, s6, -1
	v_add_u32_e32 v7, v4, v7
	v_lshrrev_b32_e32 v10, s7, v7
	v_mul_lo_u32 v7, v10, s8
	s_cmp_lg_u32 s6, 0
	v_sub_u32_e32 v4, v4, v7
	v_mad_u64_u32 v[6:7], s[8:9], v4, s10, v[6:7]
	v_mad_u64_u32 v[8:9], s[8:9], v4, s11, v[8:9]
	v_mov_b32_e32 v4, v10
	s_cbranch_scc1 .LBB354_54
.LBB354_55:
	s_cbranch_execnz .LBB354_58
.LBB354_56:
	s_load_dwordx4 s[4:7], s[34:35], 0x4
	s_load_dwordx2 s[2:3], s[34:35], 0xc4
	s_cmp_lt_u32 s33, 2
	s_waitcnt lgkmcnt(0)
	v_mul_hi_u32 v4, s5, v1
	v_add_u32_e32 v4, v1, v4
	v_lshrrev_b32_e32 v4, s6, v4
	v_mul_lo_u32 v6, v4, s4
	v_sub_u32_e32 v1, v1, v6
	v_mul_lo_u32 v6, v1, s2
	v_mul_lo_u32 v8, v1, s3
	s_cbranch_scc1 .LBB354_58
; %bb.57:
	s_load_dwordx4 s[4:7], s[34:35], 0x10
	s_load_dwordx2 s[2:3], s[34:35], 0xcc
	s_waitcnt lgkmcnt(0)
	v_mul_hi_u32 v1, s5, v4
	v_add_u32_e32 v1, v4, v1
	v_lshrrev_b32_e32 v1, s6, v1
	v_mul_lo_u32 v1, v1, s4
	v_sub_u32_e32 v1, v4, v1
	v_mad_u64_u32 v[6:7], s[4:5], v1, s2, v[6:7]
	v_mad_u64_u32 v[8:9], s[2:3], v1, s3, v[8:9]
.LBB354_58:
	s_and_b64 vcc, exec, s[0:1]
	v_add_u32_e32 v1, 0x180, v19
	s_cbranch_vccnz .LBB354_64
; %bb.59:
	s_cmp_lg_u32 s33, 0
	s_mov_b32 s26, 0
	s_cbranch_scc0 .LBB354_65
; %bb.60:
	s_min_u32 s27, s58, 15
	s_add_i32 s27, s27, 1
	s_cmp_eq_u32 s58, 2
	s_cbranch_scc1 .LBB354_66
; %bb.61:
	s_and_b32 s26, s27, 28
	s_add_u32 s2, s34, 0xc4
	s_addc_u32 s3, s35, 0
	v_mov_b32_e32 v11, 0
	s_mov_b32 s28, 0
	s_mov_b64 s[24:25], s[34:35]
	v_mov_b32_e32 v9, 0
	v_mov_b32_e32 v4, v1
.LBB354_62:                             ; =>This Inner Loop Header: Depth=1
	s_load_dwordx8 s[12:19], s[24:25], 0x4
	s_load_dwordx4 s[20:23], s[24:25], 0x24
	s_load_dwordx8 s[4:11], s[2:3], 0x0
	s_add_u32 s24, s24, 48
	s_addc_u32 s25, s25, 0
	s_waitcnt lgkmcnt(0)
	v_mul_hi_u32 v7, s13, v4
	s_add_i32 s28, s28, 4
	s_add_u32 s2, s2, 32
	s_addc_u32 s3, s3, 0
	v_add_u32_e32 v7, v4, v7
	v_lshrrev_b32_e32 v7, s14, v7
	v_mul_lo_u32 v10, v7, s12
	v_mul_hi_u32 v12, s16, v7
	s_cmp_lg_u32 s26, s28
	v_sub_u32_e32 v4, v4, v10
	v_add_u32_e32 v10, v7, v12
	v_mul_lo_u32 v12, v4, s4
	v_mul_lo_u32 v13, v4, s5
	v_lshrrev_b32_e32 v4, s17, v10
	v_mul_lo_u32 v10, v4, s15
	v_mul_hi_u32 v14, s19, v4
	v_sub_u32_e32 v7, v7, v10
	v_add_u32_e32 v10, v4, v14
	v_lshrrev_b32_e32 v10, s20, v10
	v_mul_hi_u32 v15, s22, v10
	v_mul_lo_u32 v16, v10, s18
	v_mul_lo_u32 v14, v7, s6
	;; [unrolled: 1-line block ×3, first 2 shown]
	v_sub_u32_e32 v16, v4, v16
	v_add_u32_e32 v4, v10, v15
	v_lshrrev_b32_e32 v4, s23, v4
	v_mul_lo_u32 v15, v4, s21
	v_mul_lo_u32 v17, v16, s8
	;; [unrolled: 1-line block ×3, first 2 shown]
	v_add3_u32 v9, v12, v9, v14
	v_sub_u32_e32 v10, v10, v15
	v_mul_lo_u32 v15, v10, s10
	v_mul_lo_u32 v10, v10, s11
	v_add3_u32 v7, v13, v11, v7
	v_add3_u32 v9, v17, v9, v15
	v_add3_u32 v11, v16, v7, v10
	s_cbranch_scc1 .LBB354_62
; %bb.63:
	s_and_b32 s6, s27, 3
	s_cmp_eq_u32 s6, 0
	s_cbranch_scc0 .LBB354_67
	s_branch .LBB354_69
.LBB354_64:
                                        ; implicit-def: $vgpr9
                                        ; implicit-def: $vgpr11
	s_branch .LBB354_70
.LBB354_65:
	v_mov_b32_e32 v9, 0
	v_mov_b32_e32 v11, 0
	s_branch .LBB354_69
.LBB354_66:
	v_mov_b32_e32 v9, 0
	v_mov_b32_e32 v11, 0
	;; [unrolled: 1-line block ×3, first 2 shown]
	s_and_b32 s6, s27, 3
	s_cmp_eq_u32 s6, 0
	s_cbranch_scc1 .LBB354_69
.LBB354_67:
	s_lshl_b32 s2, s26, 3
	s_add_u32 s2, s34, s2
	s_addc_u32 s3, s35, 0
	s_add_u32 s2, s2, 0xc4
	s_addc_u32 s3, s3, 0
	s_mul_i32 s4, s26, 12
	s_add_u32 s4, s34, s4
	s_addc_u32 s5, s35, 0
.LBB354_68:                             ; =>This Inner Loop Header: Depth=1
	s_load_dwordx2 s[8:9], s[4:5], 0x4
	s_load_dword s7, s[4:5], 0xc
	s_load_dwordx2 s[10:11], s[2:3], 0x0
	s_add_u32 s4, s4, 12
	s_addc_u32 s5, s5, 0
	s_waitcnt lgkmcnt(0)
	v_mul_hi_u32 v7, s9, v4
	s_add_u32 s2, s2, 8
	s_addc_u32 s3, s3, 0
	s_add_i32 s6, s6, -1
	v_add_u32_e32 v7, v4, v7
	v_lshrrev_b32_e32 v7, s7, v7
	v_mul_lo_u32 v10, v7, s8
	s_cmp_lg_u32 s6, 0
	v_sub_u32_e32 v4, v4, v10
	v_mad_u64_u32 v[9:10], s[8:9], v4, s10, v[9:10]
	v_mad_u64_u32 v[11:12], s[8:9], v4, s11, v[11:12]
	v_mov_b32_e32 v4, v7
	s_cbranch_scc1 .LBB354_68
.LBB354_69:
	s_cbranch_execnz .LBB354_72
.LBB354_70:
	s_load_dwordx4 s[4:7], s[34:35], 0x4
	s_load_dwordx2 s[2:3], s[34:35], 0xc4
	s_cmp_lt_u32 s33, 2
	s_waitcnt lgkmcnt(0)
	v_mul_hi_u32 v4, s5, v1
	v_add_u32_e32 v4, v1, v4
	v_lshrrev_b32_e32 v4, s6, v4
	v_mul_lo_u32 v7, v4, s4
	v_sub_u32_e32 v1, v1, v7
	v_mul_lo_u32 v9, v1, s2
	v_mul_lo_u32 v11, v1, s3
	s_cbranch_scc1 .LBB354_72
; %bb.71:
	s_load_dwordx4 s[4:7], s[34:35], 0x10
	s_load_dwordx2 s[2:3], s[34:35], 0xcc
	s_waitcnt lgkmcnt(0)
	v_mul_hi_u32 v1, s5, v4
	v_add_u32_e32 v1, v4, v1
	v_lshrrev_b32_e32 v1, s6, v1
	v_mul_lo_u32 v1, v1, s4
	v_sub_u32_e32 v1, v4, v1
	v_mad_u64_u32 v[9:10], s[4:5], v1, s2, v[9:10]
	v_mad_u64_u32 v[11:12], s[2:3], v1, s3, v[11:12]
.LBB354_72:
	s_and_b64 vcc, exec, s[0:1]
	v_add_u32_e32 v1, 0x200, v19
	s_cbranch_vccnz .LBB354_78
; %bb.73:
	s_cmp_lg_u32 s33, 0
	s_mov_b32 s26, 0
	s_cbranch_scc0 .LBB354_79
; %bb.74:
	s_min_u32 s27, s58, 15
	s_add_i32 s27, s27, 1
	s_cmp_eq_u32 s58, 2
	s_cbranch_scc1 .LBB354_80
; %bb.75:
	s_and_b32 s26, s27, 28
	s_add_u32 s2, s34, 0xc4
	s_addc_u32 s3, s35, 0
	v_mov_b32_e32 v14, 0
	s_mov_b32 s28, 0
	s_mov_b64 s[24:25], s[34:35]
	v_mov_b32_e32 v12, 0
	v_mov_b32_e32 v4, v1
.LBB354_76:                             ; =>This Inner Loop Header: Depth=1
	s_load_dwordx8 s[12:19], s[24:25], 0x4
	s_load_dwordx4 s[20:23], s[24:25], 0x24
	s_load_dwordx8 s[4:11], s[2:3], 0x0
	s_add_u32 s24, s24, 48
	s_addc_u32 s25, s25, 0
	s_waitcnt lgkmcnt(0)
	v_mul_hi_u32 v7, s13, v4
	s_add_i32 s28, s28, 4
	s_add_u32 s2, s2, 32
	s_addc_u32 s3, s3, 0
	v_add_u32_e32 v7, v4, v7
	v_lshrrev_b32_e32 v7, s14, v7
	v_mul_lo_u32 v10, v7, s12
	v_mul_hi_u32 v13, s16, v7
	s_cmp_lg_u32 s26, s28
	v_sub_u32_e32 v4, v4, v10
	v_add_u32_e32 v10, v7, v13
	v_mul_lo_u32 v13, v4, s4
	v_mul_lo_u32 v15, v4, s5
	v_lshrrev_b32_e32 v4, s17, v10
	v_mul_lo_u32 v10, v4, s15
	v_mul_hi_u32 v16, s19, v4
	v_sub_u32_e32 v7, v7, v10
	v_add_u32_e32 v10, v4, v16
	v_lshrrev_b32_e32 v10, s20, v10
	v_mul_hi_u32 v17, s22, v10
	v_mul_lo_u32 v18, v10, s18
	v_mul_lo_u32 v16, v7, s6
	;; [unrolled: 1-line block ×3, first 2 shown]
	v_sub_u32_e32 v18, v4, v18
	v_add_u32_e32 v4, v10, v17
	v_lshrrev_b32_e32 v4, s23, v4
	v_mul_lo_u32 v17, v4, s21
	v_mul_lo_u32 v20, v18, s8
	;; [unrolled: 1-line block ×3, first 2 shown]
	v_add3_u32 v12, v13, v12, v16
	v_sub_u32_e32 v10, v10, v17
	v_mul_lo_u32 v17, v10, s10
	v_mul_lo_u32 v10, v10, s11
	v_add3_u32 v7, v15, v14, v7
	v_add3_u32 v12, v20, v12, v17
	;; [unrolled: 1-line block ×3, first 2 shown]
	s_cbranch_scc1 .LBB354_76
; %bb.77:
	s_and_b32 s6, s27, 3
	s_cmp_eq_u32 s6, 0
	s_cbranch_scc0 .LBB354_81
	s_branch .LBB354_83
.LBB354_78:
                                        ; implicit-def: $vgpr12
                                        ; implicit-def: $vgpr14
	s_branch .LBB354_84
.LBB354_79:
	v_mov_b32_e32 v12, 0
	v_mov_b32_e32 v14, 0
	s_branch .LBB354_83
.LBB354_80:
	v_mov_b32_e32 v12, 0
	v_mov_b32_e32 v14, 0
	;; [unrolled: 1-line block ×3, first 2 shown]
	s_and_b32 s6, s27, 3
	s_cmp_eq_u32 s6, 0
	s_cbranch_scc1 .LBB354_83
.LBB354_81:
	s_lshl_b32 s2, s26, 3
	s_add_u32 s2, s34, s2
	s_addc_u32 s3, s35, 0
	s_add_u32 s2, s2, 0xc4
	s_addc_u32 s3, s3, 0
	s_mul_i32 s4, s26, 12
	s_add_u32 s4, s34, s4
	s_addc_u32 s5, s35, 0
.LBB354_82:                             ; =>This Inner Loop Header: Depth=1
	s_load_dwordx2 s[8:9], s[4:5], 0x4
	s_load_dword s7, s[4:5], 0xc
	s_load_dwordx2 s[10:11], s[2:3], 0x0
	s_add_u32 s4, s4, 12
	s_addc_u32 s5, s5, 0
	s_waitcnt lgkmcnt(0)
	v_mul_hi_u32 v7, s9, v4
	s_add_u32 s2, s2, 8
	s_addc_u32 s3, s3, 0
	s_add_i32 s6, s6, -1
	v_add_u32_e32 v7, v4, v7
	v_lshrrev_b32_e32 v7, s7, v7
	v_mul_lo_u32 v10, v7, s8
	s_cmp_lg_u32 s6, 0
	v_sub_u32_e32 v4, v4, v10
	v_mad_u64_u32 v[12:13], s[8:9], v4, s10, v[12:13]
	v_mad_u64_u32 v[14:15], s[8:9], v4, s11, v[14:15]
	v_mov_b32_e32 v4, v7
	s_cbranch_scc1 .LBB354_82
.LBB354_83:
	s_cbranch_execnz .LBB354_86
.LBB354_84:
	s_load_dwordx4 s[4:7], s[34:35], 0x4
	s_load_dwordx2 s[2:3], s[34:35], 0xc4
	s_cmp_lt_u32 s33, 2
	s_waitcnt lgkmcnt(0)
	v_mul_hi_u32 v4, s5, v1
	v_add_u32_e32 v4, v1, v4
	v_lshrrev_b32_e32 v4, s6, v4
	v_mul_lo_u32 v7, v4, s4
	v_sub_u32_e32 v1, v1, v7
	v_mul_lo_u32 v12, v1, s2
	v_mul_lo_u32 v14, v1, s3
	s_cbranch_scc1 .LBB354_86
; %bb.85:
	s_load_dwordx4 s[4:7], s[34:35], 0x10
	s_load_dwordx2 s[2:3], s[34:35], 0xcc
	s_waitcnt lgkmcnt(0)
	v_mul_hi_u32 v1, s5, v4
	v_add_u32_e32 v1, v4, v1
	v_lshrrev_b32_e32 v1, s6, v1
	v_mul_lo_u32 v1, v1, s4
	v_sub_u32_e32 v1, v4, v1
	v_mad_u64_u32 v[12:13], s[4:5], v1, s2, v[12:13]
	v_mad_u64_u32 v[14:15], s[2:3], v1, s3, v[14:15]
.LBB354_86:
	s_and_b64 vcc, exec, s[0:1]
	v_add_u32_e32 v1, 0x280, v19
	s_cbranch_vccnz .LBB354_92
; %bb.87:
	s_cmp_lg_u32 s33, 0
	s_mov_b32 s26, 0
	s_cbranch_scc0 .LBB354_93
; %bb.88:
	s_min_u32 s27, s58, 15
	s_add_i32 s27, s27, 1
	s_cmp_eq_u32 s58, 2
	s_cbranch_scc1 .LBB354_94
; %bb.89:
	s_and_b32 s26, s27, 28
	s_add_u32 s2, s34, 0xc4
	s_addc_u32 s3, s35, 0
	v_mov_b32_e32 v17, 0
	s_mov_b32 s28, 0
	s_mov_b64 s[24:25], s[34:35]
	v_mov_b32_e32 v15, 0
	v_mov_b32_e32 v4, v1
.LBB354_90:                             ; =>This Inner Loop Header: Depth=1
	s_load_dwordx8 s[12:19], s[24:25], 0x4
	s_load_dwordx4 s[20:23], s[24:25], 0x24
	s_load_dwordx8 s[4:11], s[2:3], 0x0
	s_add_u32 s24, s24, 48
	s_addc_u32 s25, s25, 0
	s_waitcnt lgkmcnt(0)
	v_mul_hi_u32 v7, s13, v4
	s_add_i32 s28, s28, 4
	s_add_u32 s2, s2, 32
	s_addc_u32 s3, s3, 0
	v_add_u32_e32 v7, v4, v7
	v_lshrrev_b32_e32 v7, s14, v7
	v_mul_lo_u32 v10, v7, s12
	v_mul_hi_u32 v13, s16, v7
	s_cmp_lg_u32 s26, s28
	v_sub_u32_e32 v4, v4, v10
	v_add_u32_e32 v10, v7, v13
	v_mul_lo_u32 v13, v4, s4
	v_mul_lo_u32 v16, v4, s5
	v_lshrrev_b32_e32 v4, s17, v10
	v_mul_lo_u32 v10, v4, s15
	v_mul_hi_u32 v18, s19, v4
	v_sub_u32_e32 v7, v7, v10
	v_add_u32_e32 v10, v4, v18
	v_lshrrev_b32_e32 v10, s20, v10
	v_mul_hi_u32 v20, s22, v10
	v_mul_lo_u32 v21, v10, s18
	v_mul_lo_u32 v18, v7, s6
	;; [unrolled: 1-line block ×3, first 2 shown]
	v_sub_u32_e32 v21, v4, v21
	v_add_u32_e32 v4, v10, v20
	v_lshrrev_b32_e32 v4, s23, v4
	v_mul_lo_u32 v20, v4, s21
	v_mul_lo_u32 v22, v21, s8
	;; [unrolled: 1-line block ×3, first 2 shown]
	v_add3_u32 v13, v13, v15, v18
	v_sub_u32_e32 v10, v10, v20
	v_mul_lo_u32 v20, v10, s10
	v_mul_lo_u32 v10, v10, s11
	v_add3_u32 v7, v16, v17, v7
	v_add3_u32 v15, v22, v13, v20
	;; [unrolled: 1-line block ×3, first 2 shown]
	s_cbranch_scc1 .LBB354_90
; %bb.91:
	s_and_b32 s6, s27, 3
	s_cmp_eq_u32 s6, 0
	s_cbranch_scc0 .LBB354_95
	s_branch .LBB354_97
.LBB354_92:
                                        ; implicit-def: $vgpr15
                                        ; implicit-def: $vgpr17
	s_branch .LBB354_98
.LBB354_93:
	v_mov_b32_e32 v15, 0
	v_mov_b32_e32 v17, 0
	s_branch .LBB354_97
.LBB354_94:
	v_mov_b32_e32 v15, 0
	v_mov_b32_e32 v17, 0
	;; [unrolled: 1-line block ×3, first 2 shown]
	s_and_b32 s6, s27, 3
	s_cmp_eq_u32 s6, 0
	s_cbranch_scc1 .LBB354_97
.LBB354_95:
	s_lshl_b32 s2, s26, 3
	s_add_u32 s2, s34, s2
	s_addc_u32 s3, s35, 0
	s_add_u32 s2, s2, 0xc4
	s_addc_u32 s3, s3, 0
	s_mul_i32 s4, s26, 12
	s_add_u32 s4, s34, s4
	s_addc_u32 s5, s35, 0
.LBB354_96:                             ; =>This Inner Loop Header: Depth=1
	s_load_dwordx2 s[8:9], s[4:5], 0x4
	s_load_dword s7, s[4:5], 0xc
	s_load_dwordx2 s[10:11], s[2:3], 0x0
	s_add_u32 s4, s4, 12
	s_addc_u32 s5, s5, 0
	s_waitcnt lgkmcnt(0)
	v_mul_hi_u32 v7, s9, v4
	s_add_u32 s2, s2, 8
	s_addc_u32 s3, s3, 0
	s_add_i32 s6, s6, -1
	v_add_u32_e32 v7, v4, v7
	v_lshrrev_b32_e32 v7, s7, v7
	v_mul_lo_u32 v10, v7, s8
	s_cmp_lg_u32 s6, 0
	v_sub_u32_e32 v4, v4, v10
	v_mad_u64_u32 v[15:16], s[8:9], v4, s10, v[15:16]
	v_mad_u64_u32 v[17:18], s[8:9], v4, s11, v[17:18]
	v_mov_b32_e32 v4, v7
	s_cbranch_scc1 .LBB354_96
.LBB354_97:
	s_cbranch_execnz .LBB354_100
.LBB354_98:
	s_load_dwordx4 s[4:7], s[34:35], 0x4
	s_load_dwordx2 s[2:3], s[34:35], 0xc4
	s_cmp_lt_u32 s33, 2
	s_waitcnt lgkmcnt(0)
	v_mul_hi_u32 v4, s5, v1
	v_add_u32_e32 v4, v1, v4
	v_lshrrev_b32_e32 v4, s6, v4
	v_mul_lo_u32 v7, v4, s4
	v_sub_u32_e32 v1, v1, v7
	v_mul_lo_u32 v15, v1, s2
	v_mul_lo_u32 v17, v1, s3
	s_cbranch_scc1 .LBB354_100
; %bb.99:
	s_load_dwordx4 s[4:7], s[34:35], 0x10
	s_load_dwordx2 s[2:3], s[34:35], 0xcc
	s_waitcnt lgkmcnt(0)
	v_mul_hi_u32 v1, s5, v4
	v_add_u32_e32 v1, v4, v1
	v_lshrrev_b32_e32 v1, s6, v1
	v_mul_lo_u32 v1, v1, s4
	v_sub_u32_e32 v1, v4, v1
	v_mad_u64_u32 v[15:16], s[4:5], v1, s2, v[15:16]
	v_mad_u64_u32 v[17:18], s[2:3], v1, s3, v[17:18]
.LBB354_100:
	s_and_b64 vcc, exec, s[0:1]
	v_add_u32_e32 v1, 0x300, v19
	s_cbranch_vccnz .LBB354_106
; %bb.101:
	s_cmp_lg_u32 s33, 0
	s_mov_b32 s26, 0
	s_cbranch_scc0 .LBB354_107
; %bb.102:
	s_min_u32 s27, s58, 15
	s_add_i32 s27, s27, 1
	s_cmp_eq_u32 s58, 2
	s_cbranch_scc1 .LBB354_108
; %bb.103:
	s_and_b32 s26, s27, 28
	s_add_u32 s2, s34, 0xc4
	s_addc_u32 s3, s35, 0
	v_mov_b32_e32 v20, 0
	s_mov_b32 s28, 0
	s_mov_b64 s[24:25], s[34:35]
	v_mov_b32_e32 v18, 0
	v_mov_b32_e32 v4, v1
.LBB354_104:                            ; =>This Inner Loop Header: Depth=1
	s_load_dwordx8 s[12:19], s[24:25], 0x4
	s_load_dwordx4 s[20:23], s[24:25], 0x24
	s_load_dwordx8 s[4:11], s[2:3], 0x0
	s_add_u32 s24, s24, 48
	s_addc_u32 s25, s25, 0
	s_waitcnt lgkmcnt(0)
	v_mul_hi_u32 v7, s13, v4
	s_add_i32 s28, s28, 4
	s_add_u32 s2, s2, 32
	s_addc_u32 s3, s3, 0
	v_add_u32_e32 v7, v4, v7
	v_lshrrev_b32_e32 v7, s14, v7
	v_mul_lo_u32 v10, v7, s12
	v_mul_hi_u32 v13, s16, v7
	s_cmp_lg_u32 s26, s28
	v_sub_u32_e32 v4, v4, v10
	v_add_u32_e32 v10, v7, v13
	v_mul_lo_u32 v13, v4, s4
	v_mul_lo_u32 v16, v4, s5
	v_lshrrev_b32_e32 v4, s17, v10
	v_mul_lo_u32 v10, v4, s15
	v_mul_hi_u32 v19, s19, v4
	v_sub_u32_e32 v7, v7, v10
	v_add_u32_e32 v10, v4, v19
	v_lshrrev_b32_e32 v10, s20, v10
	v_mul_hi_u32 v21, s22, v10
	v_mul_lo_u32 v22, v10, s18
	v_mul_lo_u32 v19, v7, s6
	;; [unrolled: 1-line block ×3, first 2 shown]
	v_sub_u32_e32 v22, v4, v22
	v_add_u32_e32 v4, v10, v21
	v_lshrrev_b32_e32 v4, s23, v4
	v_mul_lo_u32 v21, v4, s21
	v_mul_lo_u32 v23, v22, s8
	;; [unrolled: 1-line block ×3, first 2 shown]
	v_add3_u32 v13, v13, v18, v19
	v_sub_u32_e32 v10, v10, v21
	v_mul_lo_u32 v21, v10, s10
	v_mul_lo_u32 v10, v10, s11
	v_add3_u32 v7, v16, v20, v7
	v_add3_u32 v18, v23, v13, v21
	;; [unrolled: 1-line block ×3, first 2 shown]
	s_cbranch_scc1 .LBB354_104
; %bb.105:
	s_and_b32 s6, s27, 3
	s_cmp_eq_u32 s6, 0
	s_cbranch_scc0 .LBB354_109
	s_branch .LBB354_111
.LBB354_106:
                                        ; implicit-def: $vgpr18
                                        ; implicit-def: $vgpr20
	s_branch .LBB354_112
.LBB354_107:
	v_mov_b32_e32 v18, 0
	v_mov_b32_e32 v20, 0
	s_branch .LBB354_111
.LBB354_108:
	v_mov_b32_e32 v18, 0
	v_mov_b32_e32 v20, 0
	;; [unrolled: 1-line block ×3, first 2 shown]
	s_and_b32 s6, s27, 3
	s_cmp_eq_u32 s6, 0
	s_cbranch_scc1 .LBB354_111
.LBB354_109:
	s_lshl_b32 s2, s26, 3
	s_add_u32 s2, s34, s2
	s_addc_u32 s3, s35, 0
	s_add_u32 s2, s2, 0xc4
	s_addc_u32 s3, s3, 0
	s_mul_i32 s4, s26, 12
	s_add_u32 s4, s34, s4
	s_addc_u32 s5, s35, 0
.LBB354_110:                            ; =>This Inner Loop Header: Depth=1
	s_load_dwordx2 s[8:9], s[4:5], 0x4
	s_load_dword s7, s[4:5], 0xc
	s_load_dwordx2 s[10:11], s[2:3], 0x0
	s_add_u32 s4, s4, 12
	s_addc_u32 s5, s5, 0
	s_waitcnt lgkmcnt(0)
	v_mul_hi_u32 v7, s9, v4
	s_add_u32 s2, s2, 8
	s_addc_u32 s3, s3, 0
	s_add_i32 s6, s6, -1
	v_add_u32_e32 v7, v4, v7
	v_lshrrev_b32_e32 v7, s7, v7
	v_mul_lo_u32 v10, v7, s8
	s_cmp_lg_u32 s6, 0
	v_sub_u32_e32 v4, v4, v10
	v_mad_u64_u32 v[18:19], s[8:9], v4, s10, v[18:19]
	v_mad_u64_u32 v[20:21], s[8:9], v4, s11, v[20:21]
	v_mov_b32_e32 v4, v7
	s_cbranch_scc1 .LBB354_110
.LBB354_111:
	s_cbranch_execnz .LBB354_114
.LBB354_112:
	s_load_dwordx4 s[4:7], s[34:35], 0x4
	s_load_dwordx2 s[2:3], s[34:35], 0xc4
	s_cmp_lt_u32 s33, 2
	s_waitcnt lgkmcnt(0)
	v_mul_hi_u32 v4, s5, v1
	v_add_u32_e32 v4, v1, v4
	v_lshrrev_b32_e32 v4, s6, v4
	v_mul_lo_u32 v7, v4, s4
	v_sub_u32_e32 v1, v1, v7
	v_mul_lo_u32 v18, v1, s2
	v_mul_lo_u32 v20, v1, s3
	s_cbranch_scc1 .LBB354_114
; %bb.113:
	s_load_dwordx4 s[4:7], s[34:35], 0x10
	s_load_dwordx2 s[2:3], s[34:35], 0xcc
	s_waitcnt lgkmcnt(0)
	v_mul_hi_u32 v1, s5, v4
	v_add_u32_e32 v1, v4, v1
	v_lshrrev_b32_e32 v1, s6, v1
	v_mul_lo_u32 v1, v1, s4
	v_sub_u32_e32 v1, v4, v1
	v_mad_u64_u32 v[18:19], s[4:5], v1, s2, v[18:19]
	v_mad_u64_u32 v[20:21], s[2:3], v1, s3, v[20:21]
.LBB354_114:
	s_and_b64 vcc, exec, s[0:1]
	s_cbranch_vccnz .LBB354_120
; %bb.115:
	s_cmp_lg_u32 s33, 0
	s_mov_b32 s24, 0
	s_cbranch_scc0 .LBB354_121
; %bb.116:
	s_min_u32 s25, s58, 15
	s_add_i32 s25, s25, 1
	s_cmp_eq_u32 s58, 2
	s_cbranch_scc1 .LBB354_122
; %bb.117:
	s_and_b32 s24, s25, 28
	s_add_u32 s20, s34, 0xc4
	s_addc_u32 s21, s35, 0
	v_mov_b32_e32 v23, 0
	s_mov_b32 s26, 0
	s_mov_b64 s[22:23], s[34:35]
	v_mov_b32_e32 v21, 0
	v_mov_b32_e32 v1, v25
.LBB354_118:                            ; =>This Inner Loop Header: Depth=1
	s_load_dwordx8 s[8:15], s[22:23], 0x4
	s_load_dwordx4 s[16:19], s[22:23], 0x24
	s_load_dwordx8 s[0:7], s[20:21], 0x0
	s_add_u32 s22, s22, 48
	s_addc_u32 s23, s23, 0
	s_waitcnt lgkmcnt(0)
	v_mul_hi_u32 v4, s9, v1
	s_add_i32 s26, s26, 4
	s_add_u32 s20, s20, 32
	s_addc_u32 s21, s21, 0
	v_add_u32_e32 v4, v1, v4
	v_lshrrev_b32_e32 v4, s10, v4
	v_mul_lo_u32 v7, v4, s8
	v_mul_hi_u32 v10, s12, v4
	s_cmp_lg_u32 s24, s26
	v_sub_u32_e32 v1, v1, v7
	v_add_u32_e32 v7, v4, v10
	v_mul_lo_u32 v10, v1, s0
	v_mul_lo_u32 v13, v1, s1
	v_lshrrev_b32_e32 v1, s13, v7
	v_mul_lo_u32 v7, v1, s11
	v_mul_hi_u32 v16, s15, v1
	v_sub_u32_e32 v4, v4, v7
	v_add_u32_e32 v7, v1, v16
	v_lshrrev_b32_e32 v7, s16, v7
	v_mul_hi_u32 v19, s18, v7
	v_mul_lo_u32 v22, v7, s14
	v_mul_lo_u32 v16, v4, s2
	;; [unrolled: 1-line block ×3, first 2 shown]
	v_sub_u32_e32 v22, v1, v22
	v_add_u32_e32 v1, v7, v19
	v_lshrrev_b32_e32 v1, s19, v1
	v_mul_lo_u32 v19, v1, s17
	v_mul_lo_u32 v24, v22, s4
	;; [unrolled: 1-line block ×3, first 2 shown]
	v_add3_u32 v10, v10, v21, v16
	v_sub_u32_e32 v7, v7, v19
	v_mul_lo_u32 v19, v7, s6
	v_mul_lo_u32 v7, v7, s7
	v_add3_u32 v4, v13, v23, v4
	v_add3_u32 v21, v24, v10, v19
	;; [unrolled: 1-line block ×3, first 2 shown]
	s_cbranch_scc1 .LBB354_118
; %bb.119:
	s_and_b32 s4, s25, 3
	s_cmp_eq_u32 s4, 0
	s_cbranch_scc0 .LBB354_123
	s_branch .LBB354_125
.LBB354_120:
                                        ; implicit-def: $vgpr21
                                        ; implicit-def: $vgpr23
	s_branch .LBB354_126
.LBB354_121:
	v_mov_b32_e32 v21, 0
	v_mov_b32_e32 v23, 0
	s_branch .LBB354_125
.LBB354_122:
	v_mov_b32_e32 v21, 0
	v_mov_b32_e32 v23, 0
	;; [unrolled: 1-line block ×3, first 2 shown]
	s_and_b32 s4, s25, 3
	s_cmp_eq_u32 s4, 0
	s_cbranch_scc1 .LBB354_125
.LBB354_123:
	s_lshl_b32 s0, s24, 3
	s_add_u32 s0, s34, s0
	s_addc_u32 s1, s35, 0
	s_add_u32 s0, s0, 0xc4
	s_addc_u32 s1, s1, 0
	s_mul_i32 s2, s24, 12
	s_add_u32 s2, s34, s2
	s_addc_u32 s3, s35, 0
.LBB354_124:                            ; =>This Inner Loop Header: Depth=1
	s_load_dwordx2 s[6:7], s[2:3], 0x4
	s_load_dword s5, s[2:3], 0xc
	s_load_dwordx2 s[8:9], s[0:1], 0x0
	s_add_u32 s2, s2, 12
	s_addc_u32 s3, s3, 0
	s_waitcnt lgkmcnt(0)
	v_mul_hi_u32 v4, s7, v1
	s_add_u32 s0, s0, 8
	s_addc_u32 s1, s1, 0
	s_add_i32 s4, s4, -1
	v_add_u32_e32 v4, v1, v4
	v_lshrrev_b32_e32 v4, s5, v4
	v_mul_lo_u32 v7, v4, s6
	s_cmp_lg_u32 s4, 0
	v_sub_u32_e32 v1, v1, v7
	v_mad_u64_u32 v[21:22], s[6:7], v1, s8, v[21:22]
	v_mad_u64_u32 v[23:24], s[6:7], v1, s9, v[23:24]
	v_mov_b32_e32 v1, v4
	s_cbranch_scc1 .LBB354_124
.LBB354_125:
	s_cbranch_execnz .LBB354_128
.LBB354_126:
	s_load_dwordx4 s[0:3], s[34:35], 0x4
	s_load_dwordx2 s[4:5], s[34:35], 0xc4
	s_cmp_lt_u32 s33, 2
	s_waitcnt lgkmcnt(0)
	v_mul_hi_u32 v1, s1, v25
	v_add_u32_e32 v1, v25, v1
	v_lshrrev_b32_e32 v1, s2, v1
	v_mul_lo_u32 v4, v1, s0
	v_sub_u32_e32 v4, v25, v4
	v_mul_lo_u32 v21, v4, s4
	v_mul_lo_u32 v23, v4, s5
	s_cbranch_scc1 .LBB354_128
; %bb.127:
	s_load_dwordx4 s[0:3], s[34:35], 0x10
	s_load_dwordx2 s[4:5], s[34:35], 0xcc
	s_waitcnt lgkmcnt(0)
	v_mul_hi_u32 v4, s1, v1
	v_add_u32_e32 v4, v1, v4
	v_lshrrev_b32_e32 v4, s2, v4
	v_mul_lo_u32 v4, v4, s0
	v_sub_u32_e32 v1, v1, v4
	v_mad_u64_u32 v[21:22], s[0:1], v1, s4, v[21:22]
	v_mad_u64_u32 v[23:24], s[0:1], v1, s5, v[23:24]
.LBB354_128:
	s_load_dwordx4 s[16:19], s[34:35], 0x148
	s_load_dwordx2 s[12:13], s[34:35], 0x158
	s_waitcnt lgkmcnt(0)
	global_load_dword v1, v2, s[18:19]
	global_load_dword v4, v5, s[18:19]
	;; [unrolled: 1-line block ×8, first 2 shown]
	s_cmp_eq_u32 s12, 0
	s_cselect_b64 s[14:15], -1, 0
	s_waitcnt vmcnt(7)
	v_cmp_ne_u32_e32 vcc, s13, v1
	s_waitcnt vmcnt(6)
	v_cmp_ne_u32_e64 s[0:1], s13, v4
	s_waitcnt vmcnt(5)
	v_cmp_ne_u32_e64 s[2:3], s13, v7
	s_xor_b64 s[0:1], s[14:15], s[0:1]
	s_waitcnt vmcnt(4)
	v_cmp_ne_u32_e64 s[4:5], s13, v10
	v_cndmask_b32_e64 v2, 0, 1, s[0:1]
	s_xor_b64 s[0:1], s[14:15], s[2:3]
	s_waitcnt vmcnt(3)
	v_cmp_ne_u32_e64 s[6:7], s13, v13
	v_cndmask_b32_e64 v4, 0, 1, s[0:1]
	;; [unrolled: 4-line block ×4, first 2 shown]
	s_xor_b64 s[0:1], s[14:15], s[8:9]
	s_waitcnt vmcnt(0)
	v_cmp_ne_u32_e64 s[12:13], s13, v22
	s_xor_b64 s[18:19], s[14:15], vcc
	v_cndmask_b32_e64 v8, 0, 1, s[0:1]
	s_xor_b64 s[0:1], s[14:15], s[10:11]
	v_cndmask_b32_e64 v1, 0, 1, s[18:19]
	v_cndmask_b32_e64 v10, 0, 1, s[0:1]
	s_xor_b64 s[0:1], s[14:15], s[12:13]
	v_cndmask_b32_e64 v11, 0, 1, s[0:1]
	global_store_byte v0, v1, s[16:17]
	global_store_byte v3, v2, s[16:17]
	;; [unrolled: 1-line block ×8, first 2 shown]
	s_endpgm
.LBB354_129:
	v_mov_b32_e32 v0, 0
	v_mov_b32_e32 v2, 0
	s_branch .LBB354_135
.LBB354_130:
	v_mov_b32_e32 v0, 0
	v_mov_b32_e32 v2, 0
	s_branch .LBB354_151
.LBB354_131:
	s_mov_b32 s40, 0
	v_mov_b32_e32 v0, 0
	v_mov_b32_e32 v2, 0
	;; [unrolled: 1-line block ×3, first 2 shown]
.LBB354_132:
	s_and_b32 s4, s61, 3
	s_cmp_eq_u32 s4, 0
	s_cbranch_scc1 .LBB354_135
; %bb.133:
	s_lshl_b32 s0, s40, 3
	s_add_u32 s0, s34, s0
	s_addc_u32 s1, s35, 0
	s_add_u32 s0, s0, 0xc4
	s_addc_u32 s1, s1, 0
	s_mul_i32 s2, s40, 12
	s_add_u32 s2, s34, s2
	s_addc_u32 s3, s35, 0
.LBB354_134:                            ; =>This Inner Loop Header: Depth=1
	s_load_dwordx2 s[6:7], s[2:3], 0x4
	s_load_dword s5, s[2:3], 0xc
	s_load_dwordx2 s[8:9], s[0:1], 0x0
	s_add_u32 s2, s2, 12
	s_addc_u32 s3, s3, 0
	s_waitcnt lgkmcnt(0)
	v_mul_hi_u32 v3, s7, v1
	s_add_u32 s0, s0, 8
	s_addc_u32 s1, s1, 0
	s_add_i32 s4, s4, -1
	v_add_u32_e32 v3, v1, v3
	v_lshrrev_b32_e32 v4, s5, v3
	v_mul_lo_u32 v3, v4, s6
	s_cmp_lg_u32 s4, 0
	v_sub_u32_e32 v3, v1, v3
	v_mad_u64_u32 v[0:1], s[6:7], v3, s8, v[0:1]
	v_mad_u64_u32 v[2:3], s[6:7], v3, s9, v[2:3]
	v_mov_b32_e32 v1, v4
	s_cbranch_scc1 .LBB354_134
.LBB354_135:
	s_cbranch_execnz .LBB354_138
.LBB354_136:
	v_mul_hi_u32 v0, s21, v19
	s_andn2_b64 vcc, exec, s[46:47]
	v_add_u32_e32 v0, v19, v0
	v_lshrrev_b32_e32 v1, s22, v0
	v_mul_lo_u32 v0, v1, s20
	v_sub_u32_e32 v2, v19, v0
	v_mul_lo_u32 v0, v2, s24
	v_mul_lo_u32 v2, v2, s25
	s_cbranch_vccnz .LBB354_138
; %bb.137:
	v_mul_hi_u32 v3, s44, v1
	v_add_u32_e32 v3, v1, v3
	v_lshrrev_b32_e32 v3, s45, v3
	v_mul_lo_u32 v3, v3, s23
	v_sub_u32_e32 v3, v1, v3
	v_mad_u64_u32 v[0:1], s[0:1], v3, s26, v[0:1]
	v_mad_u64_u32 v[2:3], s[0:1], v3, s27, v[2:3]
.LBB354_138:
	global_load_dword v1, v2, s[18:19]
	v_add_u32_e32 v19, 0x80, v19
	s_waitcnt vmcnt(0)
	v_cmp_ne_u32_e32 vcc, s41, v1
	s_xor_b64 s[0:1], s[42:43], vcc
	v_cndmask_b32_e64 v1, 0, 1, s[0:1]
	global_store_byte v0, v1, s[16:17]
	s_or_b64 exec, exec, s[52:53]
	v_cmp_gt_i32_e32 vcc, s59, v19
	s_and_saveexec_b64 s[52:53], vcc
	s_cbranch_execnz .LBB354_15
.LBB354_139:
	s_or_b64 exec, exec, s[52:53]
	v_cmp_gt_i32_e32 vcc, s59, v19
	s_and_saveexec_b64 s[52:53], vcc
	s_cbranch_execz .LBB354_155
.LBB354_140:
	s_andn2_b64 vcc, exec, s[36:37]
	s_cbranch_vccnz .LBB354_145
; %bb.141:
	s_andn2_b64 vcc, exec, s[50:51]
	s_cbranch_vccnz .LBB354_146
; %bb.142:
	s_add_i32 s61, s60, 1
	s_cmp_eq_u32 s58, 2
	s_cbranch_scc1 .LBB354_163
; %bb.143:
	s_and_b32 s40, s61, 28
	v_mov_b32_e32 v2, 0
	s_mov_b32 s62, 0
	s_mov_b64 s[54:55], s[34:35]
	s_mov_b64 s[56:57], s[48:49]
	v_mov_b32_e32 v0, 0
	v_mov_b32_e32 v1, v19
.LBB354_144:                            ; =>This Inner Loop Header: Depth=1
	s_load_dwordx8 s[8:15], s[54:55], 0x4
	s_load_dwordx4 s[28:31], s[54:55], 0x24
	s_load_dwordx8 s[0:7], s[56:57], 0x0
	s_add_u32 s54, s54, 48
	s_addc_u32 s55, s55, 0
	s_waitcnt lgkmcnt(0)
	v_mul_hi_u32 v3, s9, v1
	s_add_i32 s62, s62, 4
	s_add_u32 s56, s56, 32
	s_addc_u32 s57, s57, 0
	v_add_u32_e32 v3, v1, v3
	v_lshrrev_b32_e32 v3, s10, v3
	v_mul_lo_u32 v4, v3, s8
	v_mul_hi_u32 v5, s12, v3
	s_cmp_eq_u32 s40, s62
	v_sub_u32_e32 v1, v1, v4
	v_add_u32_e32 v4, v3, v5
	v_mul_lo_u32 v5, v1, s0
	v_mul_lo_u32 v6, v1, s1
	v_lshrrev_b32_e32 v1, s13, v4
	v_mul_lo_u32 v4, v1, s11
	v_mul_hi_u32 v7, s15, v1
	v_sub_u32_e32 v3, v3, v4
	v_add_u32_e32 v4, v1, v7
	v_lshrrev_b32_e32 v4, s28, v4
	v_mul_hi_u32 v8, s30, v4
	v_mul_lo_u32 v9, v4, s14
	v_mul_lo_u32 v7, v3, s2
	;; [unrolled: 1-line block ×3, first 2 shown]
	v_sub_u32_e32 v9, v1, v9
	v_add_u32_e32 v1, v4, v8
	v_lshrrev_b32_e32 v1, s31, v1
	v_mul_lo_u32 v8, v1, s29
	v_mul_lo_u32 v10, v9, s4
	;; [unrolled: 1-line block ×3, first 2 shown]
	v_add3_u32 v0, v5, v0, v7
	v_sub_u32_e32 v4, v4, v8
	v_mul_lo_u32 v8, v4, s6
	v_mul_lo_u32 v4, v4, s7
	v_add3_u32 v2, v6, v2, v3
	v_add3_u32 v0, v10, v0, v8
	;; [unrolled: 1-line block ×3, first 2 shown]
	s_cbranch_scc0 .LBB354_144
	s_branch .LBB354_164
.LBB354_145:
                                        ; implicit-def: $vgpr0
                                        ; implicit-def: $vgpr2
	s_branch .LBB354_168
.LBB354_146:
	v_mov_b32_e32 v0, 0
	v_mov_b32_e32 v2, 0
	s_branch .LBB354_167
.LBB354_147:
	s_mov_b32 s40, 0
	v_mov_b32_e32 v0, 0
	v_mov_b32_e32 v2, 0
	;; [unrolled: 1-line block ×3, first 2 shown]
.LBB354_148:
	s_and_b32 s4, s61, 3
	s_cmp_eq_u32 s4, 0
	s_cbranch_scc1 .LBB354_151
; %bb.149:
	s_lshl_b32 s0, s40, 3
	s_add_u32 s0, s34, s0
	s_addc_u32 s1, s35, 0
	s_add_u32 s0, s0, 0xc4
	s_addc_u32 s1, s1, 0
	s_mul_i32 s2, s40, 12
	s_add_u32 s2, s34, s2
	s_addc_u32 s3, s35, 0
.LBB354_150:                            ; =>This Inner Loop Header: Depth=1
	s_load_dwordx2 s[6:7], s[2:3], 0x4
	s_load_dword s5, s[2:3], 0xc
	s_load_dwordx2 s[8:9], s[0:1], 0x0
	s_add_u32 s2, s2, 12
	s_addc_u32 s3, s3, 0
	s_waitcnt lgkmcnt(0)
	v_mul_hi_u32 v3, s7, v1
	s_add_u32 s0, s0, 8
	s_addc_u32 s1, s1, 0
	s_add_i32 s4, s4, -1
	v_add_u32_e32 v3, v1, v3
	v_lshrrev_b32_e32 v4, s5, v3
	v_mul_lo_u32 v3, v4, s6
	s_cmp_lg_u32 s4, 0
	v_sub_u32_e32 v3, v1, v3
	v_mad_u64_u32 v[0:1], s[6:7], v3, s8, v[0:1]
	v_mad_u64_u32 v[2:3], s[6:7], v3, s9, v[2:3]
	v_mov_b32_e32 v1, v4
	s_cbranch_scc1 .LBB354_150
.LBB354_151:
	s_cbranch_execnz .LBB354_154
.LBB354_152:
	v_mul_hi_u32 v0, s21, v19
	s_andn2_b64 vcc, exec, s[46:47]
	v_add_u32_e32 v0, v19, v0
	v_lshrrev_b32_e32 v1, s22, v0
	v_mul_lo_u32 v0, v1, s20
	v_sub_u32_e32 v2, v19, v0
	v_mul_lo_u32 v0, v2, s24
	v_mul_lo_u32 v2, v2, s25
	s_cbranch_vccnz .LBB354_154
; %bb.153:
	v_mul_hi_u32 v3, s44, v1
	v_add_u32_e32 v3, v1, v3
	v_lshrrev_b32_e32 v3, s45, v3
	v_mul_lo_u32 v3, v3, s23
	v_sub_u32_e32 v3, v1, v3
	v_mad_u64_u32 v[0:1], s[0:1], v3, s26, v[0:1]
	v_mad_u64_u32 v[2:3], s[0:1], v3, s27, v[2:3]
.LBB354_154:
	global_load_dword v1, v2, s[18:19]
	v_add_u32_e32 v19, 0x80, v19
	s_waitcnt vmcnt(0)
	v_cmp_ne_u32_e32 vcc, s41, v1
	s_xor_b64 s[0:1], s[42:43], vcc
	v_cndmask_b32_e64 v1, 0, 1, s[0:1]
	global_store_byte v0, v1, s[16:17]
	s_or_b64 exec, exec, s[52:53]
	v_cmp_gt_i32_e32 vcc, s59, v19
	s_and_saveexec_b64 s[52:53], vcc
	s_cbranch_execnz .LBB354_140
.LBB354_155:
	s_or_b64 exec, exec, s[52:53]
	v_cmp_gt_i32_e32 vcc, s59, v19
	s_and_saveexec_b64 s[52:53], vcc
	s_cbranch_execz .LBB354_171
.LBB354_156:
	s_andn2_b64 vcc, exec, s[36:37]
	s_cbranch_vccnz .LBB354_161
; %bb.157:
	s_andn2_b64 vcc, exec, s[50:51]
	s_cbranch_vccnz .LBB354_162
; %bb.158:
	s_add_i32 s61, s60, 1
	s_cmp_eq_u32 s58, 2
	s_cbranch_scc1 .LBB354_179
; %bb.159:
	s_and_b32 s40, s61, 28
	v_mov_b32_e32 v2, 0
	s_mov_b32 s62, 0
	s_mov_b64 s[54:55], s[34:35]
	s_mov_b64 s[56:57], s[48:49]
	v_mov_b32_e32 v0, 0
	v_mov_b32_e32 v1, v19
.LBB354_160:                            ; =>This Inner Loop Header: Depth=1
	s_load_dwordx8 s[8:15], s[54:55], 0x4
	s_load_dwordx4 s[28:31], s[54:55], 0x24
	s_load_dwordx8 s[0:7], s[56:57], 0x0
	s_add_u32 s54, s54, 48
	s_addc_u32 s55, s55, 0
	s_waitcnt lgkmcnt(0)
	v_mul_hi_u32 v3, s9, v1
	s_add_i32 s62, s62, 4
	s_add_u32 s56, s56, 32
	s_addc_u32 s57, s57, 0
	v_add_u32_e32 v3, v1, v3
	v_lshrrev_b32_e32 v3, s10, v3
	v_mul_lo_u32 v4, v3, s8
	v_mul_hi_u32 v5, s12, v3
	s_cmp_eq_u32 s40, s62
	v_sub_u32_e32 v1, v1, v4
	v_add_u32_e32 v4, v3, v5
	v_mul_lo_u32 v5, v1, s0
	v_mul_lo_u32 v6, v1, s1
	v_lshrrev_b32_e32 v1, s13, v4
	v_mul_lo_u32 v4, v1, s11
	v_mul_hi_u32 v7, s15, v1
	v_sub_u32_e32 v3, v3, v4
	v_add_u32_e32 v4, v1, v7
	v_lshrrev_b32_e32 v4, s28, v4
	v_mul_hi_u32 v8, s30, v4
	v_mul_lo_u32 v9, v4, s14
	v_mul_lo_u32 v7, v3, s2
	;; [unrolled: 1-line block ×3, first 2 shown]
	v_sub_u32_e32 v9, v1, v9
	v_add_u32_e32 v1, v4, v8
	v_lshrrev_b32_e32 v1, s31, v1
	v_mul_lo_u32 v8, v1, s29
	v_mul_lo_u32 v10, v9, s4
	;; [unrolled: 1-line block ×3, first 2 shown]
	v_add3_u32 v0, v5, v0, v7
	v_sub_u32_e32 v4, v4, v8
	v_mul_lo_u32 v8, v4, s6
	v_mul_lo_u32 v4, v4, s7
	v_add3_u32 v2, v6, v2, v3
	v_add3_u32 v0, v10, v0, v8
	;; [unrolled: 1-line block ×3, first 2 shown]
	s_cbranch_scc0 .LBB354_160
	s_branch .LBB354_180
.LBB354_161:
                                        ; implicit-def: $vgpr0
                                        ; implicit-def: $vgpr2
	s_branch .LBB354_184
.LBB354_162:
	v_mov_b32_e32 v0, 0
	v_mov_b32_e32 v2, 0
	s_branch .LBB354_183
.LBB354_163:
	s_mov_b32 s40, 0
	v_mov_b32_e32 v0, 0
	v_mov_b32_e32 v2, 0
	;; [unrolled: 1-line block ×3, first 2 shown]
.LBB354_164:
	s_and_b32 s4, s61, 3
	s_cmp_eq_u32 s4, 0
	s_cbranch_scc1 .LBB354_167
; %bb.165:
	s_lshl_b32 s0, s40, 3
	s_add_u32 s0, s34, s0
	s_addc_u32 s1, s35, 0
	s_add_u32 s0, s0, 0xc4
	s_addc_u32 s1, s1, 0
	s_mul_i32 s2, s40, 12
	s_add_u32 s2, s34, s2
	s_addc_u32 s3, s35, 0
.LBB354_166:                            ; =>This Inner Loop Header: Depth=1
	s_load_dwordx2 s[6:7], s[2:3], 0x4
	s_load_dword s5, s[2:3], 0xc
	s_load_dwordx2 s[8:9], s[0:1], 0x0
	s_add_u32 s2, s2, 12
	s_addc_u32 s3, s3, 0
	s_waitcnt lgkmcnt(0)
	v_mul_hi_u32 v3, s7, v1
	s_add_u32 s0, s0, 8
	s_addc_u32 s1, s1, 0
	s_add_i32 s4, s4, -1
	v_add_u32_e32 v3, v1, v3
	v_lshrrev_b32_e32 v4, s5, v3
	v_mul_lo_u32 v3, v4, s6
	s_cmp_lg_u32 s4, 0
	v_sub_u32_e32 v3, v1, v3
	v_mad_u64_u32 v[0:1], s[6:7], v3, s8, v[0:1]
	v_mad_u64_u32 v[2:3], s[6:7], v3, s9, v[2:3]
	v_mov_b32_e32 v1, v4
	s_cbranch_scc1 .LBB354_166
.LBB354_167:
	s_cbranch_execnz .LBB354_170
.LBB354_168:
	v_mul_hi_u32 v0, s21, v19
	s_andn2_b64 vcc, exec, s[46:47]
	v_add_u32_e32 v0, v19, v0
	v_lshrrev_b32_e32 v1, s22, v0
	v_mul_lo_u32 v0, v1, s20
	v_sub_u32_e32 v2, v19, v0
	v_mul_lo_u32 v0, v2, s24
	v_mul_lo_u32 v2, v2, s25
	s_cbranch_vccnz .LBB354_170
; %bb.169:
	v_mul_hi_u32 v3, s44, v1
	v_add_u32_e32 v3, v1, v3
	v_lshrrev_b32_e32 v3, s45, v3
	v_mul_lo_u32 v3, v3, s23
	v_sub_u32_e32 v3, v1, v3
	v_mad_u64_u32 v[0:1], s[0:1], v3, s26, v[0:1]
	v_mad_u64_u32 v[2:3], s[0:1], v3, s27, v[2:3]
.LBB354_170:
	global_load_dword v1, v2, s[18:19]
	v_add_u32_e32 v19, 0x80, v19
	s_waitcnt vmcnt(0)
	v_cmp_ne_u32_e32 vcc, s41, v1
	s_xor_b64 s[0:1], s[42:43], vcc
	v_cndmask_b32_e64 v1, 0, 1, s[0:1]
	global_store_byte v0, v1, s[16:17]
	s_or_b64 exec, exec, s[52:53]
	v_cmp_gt_i32_e32 vcc, s59, v19
	s_and_saveexec_b64 s[52:53], vcc
	s_cbranch_execnz .LBB354_156
.LBB354_171:
	s_or_b64 exec, exec, s[52:53]
	v_cmp_gt_i32_e32 vcc, s59, v19
	s_and_saveexec_b64 s[52:53], vcc
	s_cbranch_execz .LBB354_187
.LBB354_172:
	s_andn2_b64 vcc, exec, s[36:37]
	s_cbranch_vccnz .LBB354_177
; %bb.173:
	s_andn2_b64 vcc, exec, s[50:51]
	s_cbranch_vccnz .LBB354_178
; %bb.174:
	s_add_i32 s61, s60, 1
	s_cmp_eq_u32 s58, 2
	s_cbranch_scc1 .LBB354_195
; %bb.175:
	s_and_b32 s40, s61, 28
	v_mov_b32_e32 v2, 0
	s_mov_b32 s62, 0
	s_mov_b64 s[54:55], s[34:35]
	s_mov_b64 s[56:57], s[48:49]
	v_mov_b32_e32 v0, 0
	v_mov_b32_e32 v1, v19
.LBB354_176:                            ; =>This Inner Loop Header: Depth=1
	s_load_dwordx8 s[8:15], s[54:55], 0x4
	s_load_dwordx4 s[28:31], s[54:55], 0x24
	s_load_dwordx8 s[0:7], s[56:57], 0x0
	s_add_u32 s54, s54, 48
	s_addc_u32 s55, s55, 0
	s_waitcnt lgkmcnt(0)
	v_mul_hi_u32 v3, s9, v1
	s_add_i32 s62, s62, 4
	s_add_u32 s56, s56, 32
	s_addc_u32 s57, s57, 0
	v_add_u32_e32 v3, v1, v3
	v_lshrrev_b32_e32 v3, s10, v3
	v_mul_lo_u32 v4, v3, s8
	v_mul_hi_u32 v5, s12, v3
	s_cmp_eq_u32 s40, s62
	v_sub_u32_e32 v1, v1, v4
	v_add_u32_e32 v4, v3, v5
	v_mul_lo_u32 v5, v1, s0
	v_mul_lo_u32 v6, v1, s1
	v_lshrrev_b32_e32 v1, s13, v4
	v_mul_lo_u32 v4, v1, s11
	v_mul_hi_u32 v7, s15, v1
	v_sub_u32_e32 v3, v3, v4
	v_add_u32_e32 v4, v1, v7
	v_lshrrev_b32_e32 v4, s28, v4
	v_mul_hi_u32 v8, s30, v4
	v_mul_lo_u32 v9, v4, s14
	v_mul_lo_u32 v7, v3, s2
	;; [unrolled: 1-line block ×3, first 2 shown]
	v_sub_u32_e32 v9, v1, v9
	v_add_u32_e32 v1, v4, v8
	v_lshrrev_b32_e32 v1, s31, v1
	v_mul_lo_u32 v8, v1, s29
	v_mul_lo_u32 v10, v9, s4
	;; [unrolled: 1-line block ×3, first 2 shown]
	v_add3_u32 v0, v5, v0, v7
	v_sub_u32_e32 v4, v4, v8
	v_mul_lo_u32 v8, v4, s6
	v_mul_lo_u32 v4, v4, s7
	v_add3_u32 v2, v6, v2, v3
	v_add3_u32 v0, v10, v0, v8
	;; [unrolled: 1-line block ×3, first 2 shown]
	s_cbranch_scc0 .LBB354_176
	s_branch .LBB354_196
.LBB354_177:
                                        ; implicit-def: $vgpr0
                                        ; implicit-def: $vgpr2
	s_branch .LBB354_200
.LBB354_178:
	v_mov_b32_e32 v0, 0
	v_mov_b32_e32 v2, 0
	s_branch .LBB354_199
.LBB354_179:
	s_mov_b32 s40, 0
	v_mov_b32_e32 v0, 0
	v_mov_b32_e32 v2, 0
	;; [unrolled: 1-line block ×3, first 2 shown]
.LBB354_180:
	s_and_b32 s4, s61, 3
	s_cmp_eq_u32 s4, 0
	s_cbranch_scc1 .LBB354_183
; %bb.181:
	s_lshl_b32 s0, s40, 3
	s_add_u32 s0, s34, s0
	s_addc_u32 s1, s35, 0
	s_add_u32 s0, s0, 0xc4
	s_addc_u32 s1, s1, 0
	s_mul_i32 s2, s40, 12
	s_add_u32 s2, s34, s2
	s_addc_u32 s3, s35, 0
.LBB354_182:                            ; =>This Inner Loop Header: Depth=1
	s_load_dwordx2 s[6:7], s[2:3], 0x4
	s_load_dword s5, s[2:3], 0xc
	s_load_dwordx2 s[8:9], s[0:1], 0x0
	s_add_u32 s2, s2, 12
	s_addc_u32 s3, s3, 0
	s_waitcnt lgkmcnt(0)
	v_mul_hi_u32 v3, s7, v1
	s_add_u32 s0, s0, 8
	s_addc_u32 s1, s1, 0
	s_add_i32 s4, s4, -1
	v_add_u32_e32 v3, v1, v3
	v_lshrrev_b32_e32 v4, s5, v3
	v_mul_lo_u32 v3, v4, s6
	s_cmp_lg_u32 s4, 0
	v_sub_u32_e32 v3, v1, v3
	v_mad_u64_u32 v[0:1], s[6:7], v3, s8, v[0:1]
	v_mad_u64_u32 v[2:3], s[6:7], v3, s9, v[2:3]
	v_mov_b32_e32 v1, v4
	s_cbranch_scc1 .LBB354_182
.LBB354_183:
	s_cbranch_execnz .LBB354_186
.LBB354_184:
	v_mul_hi_u32 v0, s21, v19
	s_andn2_b64 vcc, exec, s[46:47]
	v_add_u32_e32 v0, v19, v0
	v_lshrrev_b32_e32 v1, s22, v0
	v_mul_lo_u32 v0, v1, s20
	v_sub_u32_e32 v2, v19, v0
	v_mul_lo_u32 v0, v2, s24
	v_mul_lo_u32 v2, v2, s25
	s_cbranch_vccnz .LBB354_186
; %bb.185:
	v_mul_hi_u32 v3, s44, v1
	v_add_u32_e32 v3, v1, v3
	v_lshrrev_b32_e32 v3, s45, v3
	v_mul_lo_u32 v3, v3, s23
	v_sub_u32_e32 v3, v1, v3
	v_mad_u64_u32 v[0:1], s[0:1], v3, s26, v[0:1]
	v_mad_u64_u32 v[2:3], s[0:1], v3, s27, v[2:3]
.LBB354_186:
	global_load_dword v1, v2, s[18:19]
	v_add_u32_e32 v19, 0x80, v19
	s_waitcnt vmcnt(0)
	v_cmp_ne_u32_e32 vcc, s41, v1
	s_xor_b64 s[0:1], s[42:43], vcc
	v_cndmask_b32_e64 v1, 0, 1, s[0:1]
	global_store_byte v0, v1, s[16:17]
	s_or_b64 exec, exec, s[52:53]
	v_cmp_gt_i32_e32 vcc, s59, v19
	s_and_saveexec_b64 s[52:53], vcc
	s_cbranch_execnz .LBB354_172
.LBB354_187:
	s_or_b64 exec, exec, s[52:53]
	v_cmp_gt_i32_e32 vcc, s59, v19
	s_and_saveexec_b64 s[52:53], vcc
	s_cbranch_execz .LBB354_203
.LBB354_188:
	s_andn2_b64 vcc, exec, s[36:37]
	s_cbranch_vccnz .LBB354_193
; %bb.189:
	s_andn2_b64 vcc, exec, s[50:51]
	s_cbranch_vccnz .LBB354_194
; %bb.190:
	s_add_i32 s61, s60, 1
	s_cmp_eq_u32 s58, 2
	s_cbranch_scc1 .LBB354_211
; %bb.191:
	s_and_b32 s40, s61, 28
	v_mov_b32_e32 v2, 0
	s_mov_b32 s62, 0
	s_mov_b64 s[54:55], s[34:35]
	s_mov_b64 s[56:57], s[48:49]
	v_mov_b32_e32 v0, 0
	v_mov_b32_e32 v1, v19
.LBB354_192:                            ; =>This Inner Loop Header: Depth=1
	s_load_dwordx8 s[8:15], s[54:55], 0x4
	s_load_dwordx4 s[28:31], s[54:55], 0x24
	s_load_dwordx8 s[0:7], s[56:57], 0x0
	s_add_u32 s54, s54, 48
	s_addc_u32 s55, s55, 0
	s_waitcnt lgkmcnt(0)
	v_mul_hi_u32 v3, s9, v1
	s_add_i32 s62, s62, 4
	s_add_u32 s56, s56, 32
	s_addc_u32 s57, s57, 0
	v_add_u32_e32 v3, v1, v3
	v_lshrrev_b32_e32 v3, s10, v3
	v_mul_lo_u32 v4, v3, s8
	v_mul_hi_u32 v5, s12, v3
	s_cmp_eq_u32 s40, s62
	v_sub_u32_e32 v1, v1, v4
	v_add_u32_e32 v4, v3, v5
	v_mul_lo_u32 v5, v1, s0
	v_mul_lo_u32 v6, v1, s1
	v_lshrrev_b32_e32 v1, s13, v4
	v_mul_lo_u32 v4, v1, s11
	v_mul_hi_u32 v7, s15, v1
	v_sub_u32_e32 v3, v3, v4
	v_add_u32_e32 v4, v1, v7
	v_lshrrev_b32_e32 v4, s28, v4
	v_mul_hi_u32 v8, s30, v4
	v_mul_lo_u32 v9, v4, s14
	v_mul_lo_u32 v7, v3, s2
	;; [unrolled: 1-line block ×3, first 2 shown]
	v_sub_u32_e32 v9, v1, v9
	v_add_u32_e32 v1, v4, v8
	v_lshrrev_b32_e32 v1, s31, v1
	v_mul_lo_u32 v8, v1, s29
	v_mul_lo_u32 v10, v9, s4
	;; [unrolled: 1-line block ×3, first 2 shown]
	v_add3_u32 v0, v5, v0, v7
	v_sub_u32_e32 v4, v4, v8
	v_mul_lo_u32 v8, v4, s6
	v_mul_lo_u32 v4, v4, s7
	v_add3_u32 v2, v6, v2, v3
	v_add3_u32 v0, v10, v0, v8
	;; [unrolled: 1-line block ×3, first 2 shown]
	s_cbranch_scc0 .LBB354_192
	s_branch .LBB354_212
.LBB354_193:
                                        ; implicit-def: $vgpr0
                                        ; implicit-def: $vgpr2
	s_branch .LBB354_216
.LBB354_194:
	v_mov_b32_e32 v0, 0
	v_mov_b32_e32 v2, 0
	s_branch .LBB354_215
.LBB354_195:
	s_mov_b32 s40, 0
	v_mov_b32_e32 v0, 0
	v_mov_b32_e32 v2, 0
	;; [unrolled: 1-line block ×3, first 2 shown]
.LBB354_196:
	s_and_b32 s4, s61, 3
	s_cmp_eq_u32 s4, 0
	s_cbranch_scc1 .LBB354_199
; %bb.197:
	s_lshl_b32 s0, s40, 3
	s_add_u32 s0, s34, s0
	s_addc_u32 s1, s35, 0
	s_add_u32 s0, s0, 0xc4
	s_addc_u32 s1, s1, 0
	s_mul_i32 s2, s40, 12
	s_add_u32 s2, s34, s2
	s_addc_u32 s3, s35, 0
.LBB354_198:                            ; =>This Inner Loop Header: Depth=1
	s_load_dwordx2 s[6:7], s[2:3], 0x4
	s_load_dword s5, s[2:3], 0xc
	s_load_dwordx2 s[8:9], s[0:1], 0x0
	s_add_u32 s2, s2, 12
	s_addc_u32 s3, s3, 0
	s_waitcnt lgkmcnt(0)
	v_mul_hi_u32 v3, s7, v1
	s_add_u32 s0, s0, 8
	s_addc_u32 s1, s1, 0
	s_add_i32 s4, s4, -1
	v_add_u32_e32 v3, v1, v3
	v_lshrrev_b32_e32 v4, s5, v3
	v_mul_lo_u32 v3, v4, s6
	s_cmp_lg_u32 s4, 0
	v_sub_u32_e32 v3, v1, v3
	v_mad_u64_u32 v[0:1], s[6:7], v3, s8, v[0:1]
	v_mad_u64_u32 v[2:3], s[6:7], v3, s9, v[2:3]
	v_mov_b32_e32 v1, v4
	s_cbranch_scc1 .LBB354_198
.LBB354_199:
	s_cbranch_execnz .LBB354_202
.LBB354_200:
	v_mul_hi_u32 v0, s21, v19
	s_andn2_b64 vcc, exec, s[46:47]
	v_add_u32_e32 v0, v19, v0
	v_lshrrev_b32_e32 v1, s22, v0
	v_mul_lo_u32 v0, v1, s20
	v_sub_u32_e32 v2, v19, v0
	v_mul_lo_u32 v0, v2, s24
	v_mul_lo_u32 v2, v2, s25
	s_cbranch_vccnz .LBB354_202
; %bb.201:
	v_mul_hi_u32 v3, s44, v1
	v_add_u32_e32 v3, v1, v3
	v_lshrrev_b32_e32 v3, s45, v3
	v_mul_lo_u32 v3, v3, s23
	v_sub_u32_e32 v3, v1, v3
	v_mad_u64_u32 v[0:1], s[0:1], v3, s26, v[0:1]
	v_mad_u64_u32 v[2:3], s[0:1], v3, s27, v[2:3]
.LBB354_202:
	global_load_dword v1, v2, s[18:19]
	v_add_u32_e32 v19, 0x80, v19
	s_waitcnt vmcnt(0)
	v_cmp_ne_u32_e32 vcc, s41, v1
	s_xor_b64 s[0:1], s[42:43], vcc
	v_cndmask_b32_e64 v1, 0, 1, s[0:1]
	global_store_byte v0, v1, s[16:17]
	s_or_b64 exec, exec, s[52:53]
	v_cmp_gt_i32_e32 vcc, s59, v19
	s_and_saveexec_b64 s[52:53], vcc
	s_cbranch_execnz .LBB354_188
.LBB354_203:
	s_or_b64 exec, exec, s[52:53]
	v_cmp_gt_i32_e32 vcc, s59, v19
	s_and_saveexec_b64 s[52:53], vcc
	s_cbranch_execz .LBB354_219
.LBB354_204:
	s_andn2_b64 vcc, exec, s[36:37]
	s_cbranch_vccnz .LBB354_209
; %bb.205:
	s_andn2_b64 vcc, exec, s[50:51]
	s_cbranch_vccnz .LBB354_210
; %bb.206:
	s_add_i32 s61, s60, 1
	s_cmp_eq_u32 s58, 2
	s_cbranch_scc1 .LBB354_222
; %bb.207:
	s_and_b32 s40, s61, 28
	v_mov_b32_e32 v2, 0
	s_mov_b32 s62, 0
	s_mov_b64 s[54:55], s[34:35]
	s_mov_b64 s[56:57], s[48:49]
	v_mov_b32_e32 v0, 0
	v_mov_b32_e32 v1, v19
.LBB354_208:                            ; =>This Inner Loop Header: Depth=1
	s_load_dwordx8 s[8:15], s[54:55], 0x4
	s_load_dwordx4 s[28:31], s[54:55], 0x24
	s_load_dwordx8 s[0:7], s[56:57], 0x0
	s_add_u32 s54, s54, 48
	s_addc_u32 s55, s55, 0
	s_waitcnt lgkmcnt(0)
	v_mul_hi_u32 v3, s9, v1
	s_add_i32 s62, s62, 4
	s_add_u32 s56, s56, 32
	s_addc_u32 s57, s57, 0
	v_add_u32_e32 v3, v1, v3
	v_lshrrev_b32_e32 v3, s10, v3
	v_mul_lo_u32 v4, v3, s8
	v_mul_hi_u32 v5, s12, v3
	s_cmp_eq_u32 s40, s62
	v_sub_u32_e32 v1, v1, v4
	v_add_u32_e32 v4, v3, v5
	v_mul_lo_u32 v5, v1, s0
	v_mul_lo_u32 v6, v1, s1
	v_lshrrev_b32_e32 v1, s13, v4
	v_mul_lo_u32 v4, v1, s11
	v_mul_hi_u32 v7, s15, v1
	v_sub_u32_e32 v3, v3, v4
	v_add_u32_e32 v4, v1, v7
	v_lshrrev_b32_e32 v4, s28, v4
	v_mul_hi_u32 v8, s30, v4
	v_mul_lo_u32 v9, v4, s14
	v_mul_lo_u32 v7, v3, s2
	v_mul_lo_u32 v3, v3, s3
	v_sub_u32_e32 v9, v1, v9
	v_add_u32_e32 v1, v4, v8
	v_lshrrev_b32_e32 v1, s31, v1
	v_mul_lo_u32 v8, v1, s29
	v_mul_lo_u32 v10, v9, s4
	;; [unrolled: 1-line block ×3, first 2 shown]
	v_add3_u32 v0, v5, v0, v7
	v_sub_u32_e32 v4, v4, v8
	v_mul_lo_u32 v8, v4, s6
	v_mul_lo_u32 v4, v4, s7
	v_add3_u32 v2, v6, v2, v3
	v_add3_u32 v0, v10, v0, v8
	;; [unrolled: 1-line block ×3, first 2 shown]
	s_cbranch_scc0 .LBB354_208
	s_branch .LBB354_223
.LBB354_209:
                                        ; implicit-def: $vgpr0
                                        ; implicit-def: $vgpr2
	s_branch .LBB354_227
.LBB354_210:
	v_mov_b32_e32 v0, 0
	v_mov_b32_e32 v2, 0
	s_branch .LBB354_226
.LBB354_211:
	s_mov_b32 s40, 0
	v_mov_b32_e32 v0, 0
	v_mov_b32_e32 v2, 0
	;; [unrolled: 1-line block ×3, first 2 shown]
.LBB354_212:
	s_and_b32 s4, s61, 3
	s_cmp_eq_u32 s4, 0
	s_cbranch_scc1 .LBB354_215
; %bb.213:
	s_lshl_b32 s0, s40, 3
	s_add_u32 s0, s34, s0
	s_addc_u32 s1, s35, 0
	s_add_u32 s0, s0, 0xc4
	s_addc_u32 s1, s1, 0
	s_mul_i32 s2, s40, 12
	s_add_u32 s2, s34, s2
	s_addc_u32 s3, s35, 0
.LBB354_214:                            ; =>This Inner Loop Header: Depth=1
	s_load_dwordx2 s[6:7], s[2:3], 0x4
	s_load_dword s5, s[2:3], 0xc
	s_load_dwordx2 s[8:9], s[0:1], 0x0
	s_add_u32 s2, s2, 12
	s_addc_u32 s3, s3, 0
	s_waitcnt lgkmcnt(0)
	v_mul_hi_u32 v3, s7, v1
	s_add_u32 s0, s0, 8
	s_addc_u32 s1, s1, 0
	s_add_i32 s4, s4, -1
	v_add_u32_e32 v3, v1, v3
	v_lshrrev_b32_e32 v4, s5, v3
	v_mul_lo_u32 v3, v4, s6
	s_cmp_lg_u32 s4, 0
	v_sub_u32_e32 v3, v1, v3
	v_mad_u64_u32 v[0:1], s[6:7], v3, s8, v[0:1]
	v_mad_u64_u32 v[2:3], s[6:7], v3, s9, v[2:3]
	v_mov_b32_e32 v1, v4
	s_cbranch_scc1 .LBB354_214
.LBB354_215:
	s_cbranch_execnz .LBB354_218
.LBB354_216:
	v_mul_hi_u32 v0, s21, v19
	s_andn2_b64 vcc, exec, s[46:47]
	v_add_u32_e32 v0, v19, v0
	v_lshrrev_b32_e32 v1, s22, v0
	v_mul_lo_u32 v0, v1, s20
	v_sub_u32_e32 v2, v19, v0
	v_mul_lo_u32 v0, v2, s24
	v_mul_lo_u32 v2, v2, s25
	s_cbranch_vccnz .LBB354_218
; %bb.217:
	v_mul_hi_u32 v3, s44, v1
	v_add_u32_e32 v3, v1, v3
	v_lshrrev_b32_e32 v3, s45, v3
	v_mul_lo_u32 v3, v3, s23
	v_sub_u32_e32 v3, v1, v3
	v_mad_u64_u32 v[0:1], s[0:1], v3, s26, v[0:1]
	v_mad_u64_u32 v[2:3], s[0:1], v3, s27, v[2:3]
.LBB354_218:
	global_load_dword v1, v2, s[18:19]
	v_add_u32_e32 v19, 0x80, v19
	s_waitcnt vmcnt(0)
	v_cmp_ne_u32_e32 vcc, s41, v1
	s_xor_b64 s[0:1], s[42:43], vcc
	v_cndmask_b32_e64 v1, 0, 1, s[0:1]
	global_store_byte v0, v1, s[16:17]
	s_or_b64 exec, exec, s[52:53]
	v_cmp_gt_i32_e32 vcc, s59, v19
	s_and_saveexec_b64 s[52:53], vcc
	s_cbranch_execnz .LBB354_204
.LBB354_219:
	s_or_b64 exec, exec, s[52:53]
	v_cmp_gt_i32_e32 vcc, s59, v19
	s_and_saveexec_b64 s[52:53], vcc
	s_cbranch_execnz .LBB354_230
.LBB354_220:
	s_or_b64 exec, exec, s[52:53]
                                        ; implicit-def: $vgpr25
                                        ; implicit-def: $vgpr19
	s_andn2_saveexec_b64 s[0:1], s[38:39]
	s_cbranch_execnz .LBB354_8
.LBB354_221:
	s_endpgm
.LBB354_222:
	s_mov_b32 s40, 0
	v_mov_b32_e32 v0, 0
	v_mov_b32_e32 v2, 0
	;; [unrolled: 1-line block ×3, first 2 shown]
.LBB354_223:
	s_and_b32 s4, s61, 3
	s_cmp_eq_u32 s4, 0
	s_cbranch_scc1 .LBB354_226
; %bb.224:
	s_lshl_b32 s0, s40, 3
	s_add_u32 s0, s34, s0
	s_addc_u32 s1, s35, 0
	s_add_u32 s0, s0, 0xc4
	s_addc_u32 s1, s1, 0
	s_mul_i32 s2, s40, 12
	s_add_u32 s2, s34, s2
	s_addc_u32 s3, s35, 0
.LBB354_225:                            ; =>This Inner Loop Header: Depth=1
	s_load_dwordx2 s[6:7], s[2:3], 0x4
	s_load_dword s5, s[2:3], 0xc
	s_load_dwordx2 s[8:9], s[0:1], 0x0
	s_add_u32 s2, s2, 12
	s_addc_u32 s3, s3, 0
	s_waitcnt lgkmcnt(0)
	v_mul_hi_u32 v3, s7, v1
	s_add_u32 s0, s0, 8
	s_addc_u32 s1, s1, 0
	s_add_i32 s4, s4, -1
	v_add_u32_e32 v3, v1, v3
	v_lshrrev_b32_e32 v4, s5, v3
	v_mul_lo_u32 v3, v4, s6
	s_cmp_lg_u32 s4, 0
	v_sub_u32_e32 v3, v1, v3
	v_mad_u64_u32 v[0:1], s[6:7], v3, s8, v[0:1]
	v_mad_u64_u32 v[2:3], s[6:7], v3, s9, v[2:3]
	v_mov_b32_e32 v1, v4
	s_cbranch_scc1 .LBB354_225
.LBB354_226:
	s_cbranch_execnz .LBB354_229
.LBB354_227:
	v_mul_hi_u32 v0, s21, v19
	s_andn2_b64 vcc, exec, s[46:47]
	v_add_u32_e32 v0, v19, v0
	v_lshrrev_b32_e32 v1, s22, v0
	v_mul_lo_u32 v0, v1, s20
	v_sub_u32_e32 v2, v19, v0
	v_mul_lo_u32 v0, v2, s24
	v_mul_lo_u32 v2, v2, s25
	s_cbranch_vccnz .LBB354_229
; %bb.228:
	v_mul_hi_u32 v3, s44, v1
	v_add_u32_e32 v3, v1, v3
	v_lshrrev_b32_e32 v3, s45, v3
	v_mul_lo_u32 v3, v3, s23
	v_sub_u32_e32 v3, v1, v3
	v_mad_u64_u32 v[0:1], s[0:1], v3, s26, v[0:1]
	v_mad_u64_u32 v[2:3], s[0:1], v3, s27, v[2:3]
.LBB354_229:
	global_load_dword v1, v2, s[18:19]
	v_add_u32_e32 v19, 0x80, v19
	s_waitcnt vmcnt(0)
	v_cmp_ne_u32_e32 vcc, s41, v1
	s_xor_b64 s[0:1], s[42:43], vcc
	v_cndmask_b32_e64 v1, 0, 1, s[0:1]
	global_store_byte v0, v1, s[16:17]
	s_or_b64 exec, exec, s[52:53]
	v_cmp_gt_i32_e32 vcc, s59, v19
	s_and_saveexec_b64 s[52:53], vcc
	s_cbranch_execz .LBB354_220
.LBB354_230:
	s_andn2_b64 vcc, exec, s[36:37]
	s_cbranch_vccnz .LBB354_235
; %bb.231:
	s_andn2_b64 vcc, exec, s[50:51]
	s_cbranch_vccnz .LBB354_236
; %bb.232:
	s_add_i32 s60, s60, 1
	s_cmp_eq_u32 s58, 2
	s_cbranch_scc1 .LBB354_237
; %bb.233:
	s_and_b32 s40, s60, 28
	v_mov_b32_e32 v2, 0
	s_mov_b32 s54, 0
	s_mov_b64 s[50:51], s[34:35]
	v_mov_b32_e32 v0, 0
	v_mov_b32_e32 v1, v19
.LBB354_234:                            ; =>This Inner Loop Header: Depth=1
	s_load_dwordx8 s[8:15], s[50:51], 0x4
	s_load_dwordx4 s[28:31], s[50:51], 0x24
	s_load_dwordx8 s[0:7], s[48:49], 0x0
	s_add_u32 s50, s50, 48
	s_addc_u32 s51, s51, 0
	s_waitcnt lgkmcnt(0)
	v_mul_hi_u32 v3, s9, v1
	s_add_i32 s54, s54, 4
	s_add_u32 s48, s48, 32
	s_addc_u32 s49, s49, 0
	v_add_u32_e32 v3, v1, v3
	v_lshrrev_b32_e32 v3, s10, v3
	v_mul_lo_u32 v4, v3, s8
	v_mul_hi_u32 v5, s12, v3
	s_cmp_eq_u32 s40, s54
	v_sub_u32_e32 v1, v1, v4
	v_add_u32_e32 v4, v3, v5
	v_mul_lo_u32 v5, v1, s0
	v_mul_lo_u32 v6, v1, s1
	v_lshrrev_b32_e32 v1, s13, v4
	v_mul_lo_u32 v4, v1, s11
	v_mul_hi_u32 v7, s15, v1
	v_sub_u32_e32 v3, v3, v4
	v_add_u32_e32 v4, v1, v7
	v_lshrrev_b32_e32 v4, s28, v4
	v_mul_hi_u32 v8, s30, v4
	v_mul_lo_u32 v9, v4, s14
	v_mul_lo_u32 v7, v3, s2
	;; [unrolled: 1-line block ×3, first 2 shown]
	v_sub_u32_e32 v9, v1, v9
	v_add_u32_e32 v1, v4, v8
	v_lshrrev_b32_e32 v1, s31, v1
	v_mul_lo_u32 v8, v1, s29
	v_mul_lo_u32 v10, v9, s4
	v_mul_lo_u32 v9, v9, s5
	v_add3_u32 v0, v5, v0, v7
	v_sub_u32_e32 v4, v4, v8
	v_mul_lo_u32 v8, v4, s6
	v_mul_lo_u32 v4, v4, s7
	v_add3_u32 v2, v6, v2, v3
	v_add3_u32 v0, v10, v0, v8
	;; [unrolled: 1-line block ×3, first 2 shown]
	s_cbranch_scc0 .LBB354_234
	s_branch .LBB354_238
.LBB354_235:
                                        ; implicit-def: $vgpr0
                                        ; implicit-def: $vgpr2
	s_branch .LBB354_242
.LBB354_236:
	v_mov_b32_e32 v0, 0
	v_mov_b32_e32 v2, 0
	s_branch .LBB354_241
.LBB354_237:
	s_mov_b32 s40, 0
	v_mov_b32_e32 v0, 0
	v_mov_b32_e32 v2, 0
	;; [unrolled: 1-line block ×3, first 2 shown]
.LBB354_238:
	s_and_b32 s4, s60, 3
	s_cmp_eq_u32 s4, 0
	s_cbranch_scc1 .LBB354_241
; %bb.239:
	s_lshl_b32 s0, s40, 3
	s_add_u32 s0, s34, s0
	s_addc_u32 s1, s35, 0
	s_add_u32 s0, s0, 0xc4
	s_addc_u32 s1, s1, 0
	s_mul_i32 s2, s40, 12
	s_add_u32 s2, s34, s2
	s_addc_u32 s3, s35, 0
.LBB354_240:                            ; =>This Inner Loop Header: Depth=1
	s_load_dwordx2 s[6:7], s[2:3], 0x4
	s_load_dword s5, s[2:3], 0xc
	s_load_dwordx2 s[8:9], s[0:1], 0x0
	s_add_u32 s2, s2, 12
	s_addc_u32 s3, s3, 0
	s_waitcnt lgkmcnt(0)
	v_mul_hi_u32 v3, s7, v1
	s_add_u32 s0, s0, 8
	s_addc_u32 s1, s1, 0
	s_add_i32 s4, s4, -1
	v_add_u32_e32 v3, v1, v3
	v_lshrrev_b32_e32 v4, s5, v3
	v_mul_lo_u32 v3, v4, s6
	s_cmp_lg_u32 s4, 0
	v_sub_u32_e32 v3, v1, v3
	v_mad_u64_u32 v[0:1], s[6:7], v3, s8, v[0:1]
	v_mad_u64_u32 v[2:3], s[6:7], v3, s9, v[2:3]
	v_mov_b32_e32 v1, v4
	s_cbranch_scc1 .LBB354_240
.LBB354_241:
	s_cbranch_execnz .LBB354_244
.LBB354_242:
	v_mul_hi_u32 v0, s21, v19
	s_andn2_b64 vcc, exec, s[46:47]
	v_add_u32_e32 v0, v19, v0
	v_lshrrev_b32_e32 v1, s22, v0
	v_mul_lo_u32 v0, v1, s20
	v_sub_u32_e32 v2, v19, v0
	v_mul_lo_u32 v0, v2, s24
	v_mul_lo_u32 v2, v2, s25
	s_cbranch_vccnz .LBB354_244
; %bb.243:
	v_mul_hi_u32 v3, s44, v1
	v_add_u32_e32 v3, v1, v3
	v_lshrrev_b32_e32 v3, s45, v3
	v_mul_lo_u32 v3, v3, s23
	v_sub_u32_e32 v3, v1, v3
	v_mad_u64_u32 v[0:1], s[0:1], v3, s26, v[0:1]
	v_mad_u64_u32 v[2:3], s[0:1], v3, s27, v[2:3]
.LBB354_244:
	global_load_dword v1, v2, s[18:19]
	s_waitcnt vmcnt(0)
	v_cmp_ne_u32_e32 vcc, s41, v1
	s_xor_b64 s[0:1], s[42:43], vcc
	v_cndmask_b32_e64 v1, 0, 1, s[0:1]
	global_store_byte v0, v1, s[16:17]
	s_or_b64 exec, exec, s[52:53]
                                        ; implicit-def: $vgpr25
                                        ; implicit-def: $vgpr19
	s_andn2_saveexec_b64 s[0:1], s[38:39]
	s_cbranch_execz .LBB354_221
	s_branch .LBB354_8
	.section	.rodata,"a",@progbits
	.p2align	6, 0x0
	.amdhsa_kernel _ZN2at6native32elementwise_kernel_manual_unrollILi128ELi8EZNS0_22gpu_kernel_impl_nocastINS0_13AUnaryFunctorIjjbNS0_12_GLOBAL__N_116CompareEqFunctorIjEEEEEEvRNS_18TensorIteratorBaseERKT_EUlibE_EEviT1_
		.amdhsa_group_segment_fixed_size 0
		.amdhsa_private_segment_fixed_size 0
		.amdhsa_kernarg_size 360
		.amdhsa_user_sgpr_count 6
		.amdhsa_user_sgpr_private_segment_buffer 1
		.amdhsa_user_sgpr_dispatch_ptr 0
		.amdhsa_user_sgpr_queue_ptr 0
		.amdhsa_user_sgpr_kernarg_segment_ptr 1
		.amdhsa_user_sgpr_dispatch_id 0
		.amdhsa_user_sgpr_flat_scratch_init 0
		.amdhsa_user_sgpr_private_segment_size 0
		.amdhsa_uses_dynamic_stack 0
		.amdhsa_system_sgpr_private_segment_wavefront_offset 0
		.amdhsa_system_sgpr_workgroup_id_x 1
		.amdhsa_system_sgpr_workgroup_id_y 0
		.amdhsa_system_sgpr_workgroup_id_z 0
		.amdhsa_system_sgpr_workgroup_info 0
		.amdhsa_system_vgpr_workitem_id 0
		.amdhsa_next_free_vgpr 26
		.amdhsa_next_free_sgpr 63
		.amdhsa_reserve_vcc 1
		.amdhsa_reserve_flat_scratch 0
		.amdhsa_float_round_mode_32 0
		.amdhsa_float_round_mode_16_64 0
		.amdhsa_float_denorm_mode_32 3
		.amdhsa_float_denorm_mode_16_64 3
		.amdhsa_dx10_clamp 1
		.amdhsa_ieee_mode 1
		.amdhsa_fp16_overflow 0
		.amdhsa_exception_fp_ieee_invalid_op 0
		.amdhsa_exception_fp_denorm_src 0
		.amdhsa_exception_fp_ieee_div_zero 0
		.amdhsa_exception_fp_ieee_overflow 0
		.amdhsa_exception_fp_ieee_underflow 0
		.amdhsa_exception_fp_ieee_inexact 0
		.amdhsa_exception_int_div_zero 0
	.end_amdhsa_kernel
	.section	.text._ZN2at6native32elementwise_kernel_manual_unrollILi128ELi8EZNS0_22gpu_kernel_impl_nocastINS0_13AUnaryFunctorIjjbNS0_12_GLOBAL__N_116CompareEqFunctorIjEEEEEEvRNS_18TensorIteratorBaseERKT_EUlibE_EEviT1_,"axG",@progbits,_ZN2at6native32elementwise_kernel_manual_unrollILi128ELi8EZNS0_22gpu_kernel_impl_nocastINS0_13AUnaryFunctorIjjbNS0_12_GLOBAL__N_116CompareEqFunctorIjEEEEEEvRNS_18TensorIteratorBaseERKT_EUlibE_EEviT1_,comdat
.Lfunc_end354:
	.size	_ZN2at6native32elementwise_kernel_manual_unrollILi128ELi8EZNS0_22gpu_kernel_impl_nocastINS0_13AUnaryFunctorIjjbNS0_12_GLOBAL__N_116CompareEqFunctorIjEEEEEEvRNS_18TensorIteratorBaseERKT_EUlibE_EEviT1_, .Lfunc_end354-_ZN2at6native32elementwise_kernel_manual_unrollILi128ELi8EZNS0_22gpu_kernel_impl_nocastINS0_13AUnaryFunctorIjjbNS0_12_GLOBAL__N_116CompareEqFunctorIjEEEEEEvRNS_18TensorIteratorBaseERKT_EUlibE_EEviT1_
                                        ; -- End function
	.set _ZN2at6native32elementwise_kernel_manual_unrollILi128ELi8EZNS0_22gpu_kernel_impl_nocastINS0_13AUnaryFunctorIjjbNS0_12_GLOBAL__N_116CompareEqFunctorIjEEEEEEvRNS_18TensorIteratorBaseERKT_EUlibE_EEviT1_.num_vgpr, 26
	.set _ZN2at6native32elementwise_kernel_manual_unrollILi128ELi8EZNS0_22gpu_kernel_impl_nocastINS0_13AUnaryFunctorIjjbNS0_12_GLOBAL__N_116CompareEqFunctorIjEEEEEEvRNS_18TensorIteratorBaseERKT_EUlibE_EEviT1_.num_agpr, 0
	.set _ZN2at6native32elementwise_kernel_manual_unrollILi128ELi8EZNS0_22gpu_kernel_impl_nocastINS0_13AUnaryFunctorIjjbNS0_12_GLOBAL__N_116CompareEqFunctorIjEEEEEEvRNS_18TensorIteratorBaseERKT_EUlibE_EEviT1_.numbered_sgpr, 63
	.set _ZN2at6native32elementwise_kernel_manual_unrollILi128ELi8EZNS0_22gpu_kernel_impl_nocastINS0_13AUnaryFunctorIjjbNS0_12_GLOBAL__N_116CompareEqFunctorIjEEEEEEvRNS_18TensorIteratorBaseERKT_EUlibE_EEviT1_.num_named_barrier, 0
	.set _ZN2at6native32elementwise_kernel_manual_unrollILi128ELi8EZNS0_22gpu_kernel_impl_nocastINS0_13AUnaryFunctorIjjbNS0_12_GLOBAL__N_116CompareEqFunctorIjEEEEEEvRNS_18TensorIteratorBaseERKT_EUlibE_EEviT1_.private_seg_size, 0
	.set _ZN2at6native32elementwise_kernel_manual_unrollILi128ELi8EZNS0_22gpu_kernel_impl_nocastINS0_13AUnaryFunctorIjjbNS0_12_GLOBAL__N_116CompareEqFunctorIjEEEEEEvRNS_18TensorIteratorBaseERKT_EUlibE_EEviT1_.uses_vcc, 1
	.set _ZN2at6native32elementwise_kernel_manual_unrollILi128ELi8EZNS0_22gpu_kernel_impl_nocastINS0_13AUnaryFunctorIjjbNS0_12_GLOBAL__N_116CompareEqFunctorIjEEEEEEvRNS_18TensorIteratorBaseERKT_EUlibE_EEviT1_.uses_flat_scratch, 0
	.set _ZN2at6native32elementwise_kernel_manual_unrollILi128ELi8EZNS0_22gpu_kernel_impl_nocastINS0_13AUnaryFunctorIjjbNS0_12_GLOBAL__N_116CompareEqFunctorIjEEEEEEvRNS_18TensorIteratorBaseERKT_EUlibE_EEviT1_.has_dyn_sized_stack, 0
	.set _ZN2at6native32elementwise_kernel_manual_unrollILi128ELi8EZNS0_22gpu_kernel_impl_nocastINS0_13AUnaryFunctorIjjbNS0_12_GLOBAL__N_116CompareEqFunctorIjEEEEEEvRNS_18TensorIteratorBaseERKT_EUlibE_EEviT1_.has_recursion, 0
	.set _ZN2at6native32elementwise_kernel_manual_unrollILi128ELi8EZNS0_22gpu_kernel_impl_nocastINS0_13AUnaryFunctorIjjbNS0_12_GLOBAL__N_116CompareEqFunctorIjEEEEEEvRNS_18TensorIteratorBaseERKT_EUlibE_EEviT1_.has_indirect_call, 0
	.section	.AMDGPU.csdata,"",@progbits
; Kernel info:
; codeLenInByte = 11424
; TotalNumSgprs: 67
; NumVgprs: 26
; ScratchSize: 0
; MemoryBound: 0
; FloatMode: 240
; IeeeMode: 1
; LDSByteSize: 0 bytes/workgroup (compile time only)
; SGPRBlocks: 8
; VGPRBlocks: 6
; NumSGPRsForWavesPerEU: 67
; NumVGPRsForWavesPerEU: 26
; Occupancy: 9
; WaveLimiterHint : 1
; COMPUTE_PGM_RSRC2:SCRATCH_EN: 0
; COMPUTE_PGM_RSRC2:USER_SGPR: 6
; COMPUTE_PGM_RSRC2:TRAP_HANDLER: 0
; COMPUTE_PGM_RSRC2:TGID_X_EN: 1
; COMPUTE_PGM_RSRC2:TGID_Y_EN: 0
; COMPUTE_PGM_RSRC2:TGID_Z_EN: 0
; COMPUTE_PGM_RSRC2:TIDIG_COMP_CNT: 0
	.section	.text._ZN2at6native32elementwise_kernel_manual_unrollILi128ELi4EZNS0_15gpu_kernel_implINS0_13AUnaryFunctorIjjbNS0_12_GLOBAL__N_116CompareEqFunctorIjEEEEEEvRNS_18TensorIteratorBaseERKT_EUlibE_EEviT1_,"axG",@progbits,_ZN2at6native32elementwise_kernel_manual_unrollILi128ELi4EZNS0_15gpu_kernel_implINS0_13AUnaryFunctorIjjbNS0_12_GLOBAL__N_116CompareEqFunctorIjEEEEEEvRNS_18TensorIteratorBaseERKT_EUlibE_EEviT1_,comdat
	.globl	_ZN2at6native32elementwise_kernel_manual_unrollILi128ELi4EZNS0_15gpu_kernel_implINS0_13AUnaryFunctorIjjbNS0_12_GLOBAL__N_116CompareEqFunctorIjEEEEEEvRNS_18TensorIteratorBaseERKT_EUlibE_EEviT1_ ; -- Begin function _ZN2at6native32elementwise_kernel_manual_unrollILi128ELi4EZNS0_15gpu_kernel_implINS0_13AUnaryFunctorIjjbNS0_12_GLOBAL__N_116CompareEqFunctorIjEEEEEEvRNS_18TensorIteratorBaseERKT_EUlibE_EEviT1_
	.p2align	8
	.type	_ZN2at6native32elementwise_kernel_manual_unrollILi128ELi4EZNS0_15gpu_kernel_implINS0_13AUnaryFunctorIjjbNS0_12_GLOBAL__N_116CompareEqFunctorIjEEEEEEvRNS_18TensorIteratorBaseERKT_EUlibE_EEviT1_,@function
_ZN2at6native32elementwise_kernel_manual_unrollILi128ELi4EZNS0_15gpu_kernel_implINS0_13AUnaryFunctorIjjbNS0_12_GLOBAL__N_116CompareEqFunctorIjEEEEEEvRNS_18TensorIteratorBaseERKT_EUlibE_EEviT1_: ; @_ZN2at6native32elementwise_kernel_manual_unrollILi128ELi4EZNS0_15gpu_kernel_implINS0_13AUnaryFunctorIjjbNS0_12_GLOBAL__N_116CompareEqFunctorIjEEEEEEvRNS_18TensorIteratorBaseERKT_EUlibE_EEviT1_
; %bb.0:
	s_load_dword s33, s[4:5], 0x28
	s_load_dword s42, s[4:5], 0x0
	s_load_dwordx8 s[8:15], s[4:5], 0x8
	v_lshl_or_b32 v2, s6, 9, v0
	v_or_b32_e32 v0, 0x180, v2
	s_waitcnt lgkmcnt(0)
	s_bfe_u32 s46, s33, 0x80008
	v_cmp_le_i32_e32 vcc, s42, v0
	s_mov_b64 s[2:3], 0
	s_mov_b64 s[6:7], 0
	s_and_saveexec_b64 s[0:1], vcc
	s_xor_b64 s[4:5], exec, s[0:1]
	s_cbranch_execz .LBB355_1011
; %bb.1:
	s_cmp_eq_u32 s14, 0
	s_cselect_b64 s[6:7], -1, 0
	v_cmp_gt_i32_e32 vcc, s42, v2
	s_mov_b64 s[22:23], -1
	s_mov_b64 s[24:25], 0
	s_mov_b64 s[18:19], 0
	s_mov_b64 s[16:17], 0
	s_and_saveexec_b64 s[20:21], vcc
	s_cbranch_execz .LBB355_248
; %bb.2:
	v_mul_lo_u32 v0, v2, s13
	v_mov_b32_e32 v1, s11
	s_and_b32 s22, 0xffff, s46
	s_cmp_lt_i32 s22, 11
	v_ashrrev_i32_e32 v3, 31, v0
	v_add_co_u32_e32 v0, vcc, s10, v0
	v_addc_co_u32_e32 v1, vcc, v1, v3, vcc
	s_cbranch_scc1 .LBB355_9
; %bb.3:
	s_cmp_gt_i32 s22, 25
	s_cbranch_scc0 .LBB355_18
; %bb.4:
	s_cmp_gt_i32 s22, 28
	s_cbranch_scc0 .LBB355_22
	;; [unrolled: 3-line block ×4, first 2 shown]
; %bb.7:
	s_cmp_eq_u32 s22, 46
	s_cbranch_scc0 .LBB355_28
; %bb.8:
	global_load_dword v3, v[0:1], off
	s_mov_b64 s[0:1], -1
	s_waitcnt vmcnt(0)
	v_lshlrev_b32_e32 v3, 16, v3
	v_cvt_u32_f32_e32 v3, v3
	s_branch .LBB355_30
.LBB355_9:
                                        ; implicit-def: $vgpr3
	s_mov_b64 s[0:1], 0
	s_cbranch_execnz .LBB355_199
.LBB355_10:
	s_andn2_b64 vcc, exec, s[0:1]
	s_cbranch_vccnz .LBB355_246
.LBB355_11:
	v_mul_lo_u32 v0, v2, s12
	s_waitcnt vmcnt(0)
	v_cmp_ne_u32_e32 vcc, s15, v3
	v_mov_b32_e32 v1, s9
	s_xor_b64 s[16:17], s[6:7], vcc
	v_ashrrev_i32_e32 v3, 31, v0
	s_and_b32 s30, s33, 0xff
	v_add_co_u32_e32 v0, vcc, s8, v0
	s_cmp_lt_i32 s30, 11
	v_addc_co_u32_e32 v1, vcc, v1, v3, vcc
	s_cbranch_scc1 .LBB355_19
; %bb.12:
	s_and_b32 s31, 0xffff, s30
	s_cmp_gt_i32 s31, 25
	s_cbranch_scc0 .LBB355_23
; %bb.13:
	s_cmp_gt_i32 s31, 28
	s_cbranch_scc0 .LBB355_25
; %bb.14:
	;; [unrolled: 3-line block ×4, first 2 shown]
	s_mov_b64 s[26:27], 0
	s_mov_b64 s[0:1], -1
	s_cmp_eq_u32 s31, 46
	s_mov_b64 s[22:23], 0
	s_cbranch_scc0 .LBB355_34
; %bb.17:
	v_cndmask_b32_e64 v3, 0, 1.0, s[16:17]
	v_bfe_u32 v4, v3, 16, 1
	s_movk_i32 s0, 0x7fff
	v_add3_u32 v3, v3, v4, s0
	v_lshrrev_b32_e32 v3, 16, v3
	global_store_dword v[0:1], v3, off
	s_mov_b64 s[22:23], -1
	s_mov_b64 s[0:1], 0
	s_branch .LBB355_34
.LBB355_18:
	s_mov_b64 s[0:1], 0
                                        ; implicit-def: $vgpr3
	s_cbranch_execnz .LBB355_166
	s_branch .LBB355_198
.LBB355_19:
	s_mov_b64 s[0:1], 0
	s_mov_b64 s[22:23], 0
	s_cbranch_execnz .LBB355_103
.LBB355_20:
	s_andn2_b64 vcc, exec, s[22:23]
	s_cbranch_vccnz .LBB355_141
.LBB355_21:
	v_add_u32_e32 v2, 0x80, v2
	s_mov_b64 s[22:23], -1
	s_branch .LBB355_247
.LBB355_22:
	s_mov_b64 s[16:17], -1
	s_mov_b64 s[0:1], 0
                                        ; implicit-def: $vgpr3
	s_branch .LBB355_149
.LBB355_23:
	s_mov_b64 s[26:27], -1
	s_mov_b64 s[0:1], 0
	s_mov_b64 s[22:23], 0
	s_branch .LBB355_61
.LBB355_24:
	s_mov_b64 s[16:17], -1
	s_mov_b64 s[0:1], 0
                                        ; implicit-def: $vgpr3
	s_branch .LBB355_144
.LBB355_25:
	s_mov_b64 s[26:27], -1
	s_mov_b64 s[0:1], 0
	s_mov_b64 s[22:23], 0
	s_branch .LBB355_44
.LBB355_26:
	s_mov_b64 s[16:17], -1
	s_branch .LBB355_29
.LBB355_27:
	s_mov_b64 s[26:27], -1
	s_mov_b64 s[0:1], 0
	s_mov_b64 s[22:23], 0
	s_branch .LBB355_40
.LBB355_28:
	s_mov_b64 s[18:19], -1
.LBB355_29:
	s_mov_b64 s[0:1], 0
                                        ; implicit-def: $vgpr3
.LBB355_30:
	s_and_b64 vcc, exec, s[16:17]
	s_cbranch_vccz .LBB355_143
; %bb.31:
	s_cmp_eq_u32 s22, 44
	s_cbranch_scc0 .LBB355_142
; %bb.32:
	global_load_ubyte v3, v[0:1], off
	s_mov_b64 s[0:1], -1
	s_mov_b64 s[18:19], 0
	s_waitcnt vmcnt(0)
	v_lshlrev_b32_e32 v4, 23, v3
	v_cvt_u32_f32_e32 v4, v4
	v_cmp_ne_u32_e32 vcc, 0, v3
	v_cndmask_b32_e32 v3, 0, v4, vcc
	s_branch .LBB355_143
.LBB355_33:
	s_mov_b64 s[26:27], -1
	s_mov_b64 s[0:1], 0
	s_mov_b64 s[22:23], 0
.LBB355_34:
	s_and_b64 vcc, exec, s[26:27]
	s_cbranch_vccz .LBB355_39
; %bb.35:
	s_cmp_eq_u32 s31, 44
	s_mov_b64 s[0:1], -1
	s_cbranch_scc0 .LBB355_39
; %bb.36:
	v_cndmask_b32_e64 v4, 0, 1.0, s[16:17]
	v_lshrrev_b32_e32 v3, 23, v4
	s_movk_i32 s0, 0xff
	v_cmp_ne_u32_e32 vcc, s0, v3
	v_mov_b32_e32 v5, 0xff
	s_and_saveexec_b64 s[22:23], vcc
; %bb.37:
	s_mov_b32 s0, 0x3fffff
	v_and_b32_e32 v5, 0x400000, v4
	v_and_or_b32 v4, v4, s0, v3
	v_cmp_ne_u32_e32 vcc, 0, v5
	v_cmp_ne_u32_e64 s[0:1], 0, v4
	s_and_b64 s[0:1], vcc, s[0:1]
	v_cndmask_b32_e64 v4, 0, 1, s[0:1]
	v_add_u32_e32 v5, v3, v4
; %bb.38:
	s_or_b64 exec, exec, s[22:23]
	s_mov_b64 s[22:23], -1
	s_mov_b64 s[0:1], 0
	global_store_byte v[0:1], v5, off
.LBB355_39:
	s_mov_b64 s[26:27], 0
.LBB355_40:
	s_and_b64 vcc, exec, s[26:27]
	s_cbranch_vccz .LBB355_43
; %bb.41:
	s_cmp_eq_u32 s31, 29
	s_mov_b64 s[0:1], -1
	s_cbranch_scc0 .LBB355_43
; %bb.42:
	s_mov_b32 s0, 0
	v_cndmask_b32_e64 v3, 0, 1, s[16:17]
	v_mov_b32_e32 v4, s0
	global_store_dwordx2 v[0:1], v[3:4], off
	s_mov_b64 s[22:23], -1
	s_mov_b64 s[0:1], 0
.LBB355_43:
	s_mov_b64 s[26:27], 0
.LBB355_44:
	s_and_b64 vcc, exec, s[26:27]
	s_cbranch_vccz .LBB355_60
; %bb.45:
	s_cmp_lt_i32 s31, 27
	s_mov_b64 s[22:23], -1
	s_cbranch_scc1 .LBB355_51
; %bb.46:
	s_cmp_gt_i32 s31, 27
	s_cbranch_scc0 .LBB355_48
; %bb.47:
	v_cndmask_b32_e64 v3, 0, 1, s[16:17]
	s_mov_b64 s[22:23], 0
	global_store_dword v[0:1], v3, off
.LBB355_48:
	s_andn2_b64 vcc, exec, s[22:23]
	s_cbranch_vccnz .LBB355_50
; %bb.49:
	v_cndmask_b32_e64 v3, 0, 1, s[16:17]
	global_store_short v[0:1], v3, off
.LBB355_50:
	s_mov_b64 s[22:23], 0
.LBB355_51:
	s_andn2_b64 vcc, exec, s[22:23]
	s_cbranch_vccnz .LBB355_59
; %bb.52:
	v_cndmask_b32_e64 v4, 0, 1.0, s[16:17]
	s_mov_b32 s22, 0x43800000
	v_cmp_gt_u32_e32 vcc, s22, v4
	v_mov_b32_e32 v5, 0x80
	s_and_saveexec_b64 s[22:23], vcc
	s_cbranch_execz .LBB355_58
; %bb.53:
	s_mov_b32 s26, 0x3bffffff
	v_cmp_lt_u32_e32 vcc, s26, v4
	s_mov_b64 s[26:27], 0
                                        ; implicit-def: $vgpr3
	s_and_saveexec_b64 s[28:29], vcc
	s_xor_b64 s[28:29], exec, s[28:29]
	s_cbranch_execz .LBB355_275
; %bb.54:
	v_bfe_u32 v3, v4, 20, 1
	s_mov_b32 s34, 0x487ffff
	v_add3_u32 v3, v4, v3, s34
	s_mov_b64 s[26:27], exec
	v_lshrrev_b32_e32 v3, 20, v3
                                        ; implicit-def: $vgpr4
	s_andn2_saveexec_b64 s[28:29], s[28:29]
	s_cbranch_execnz .LBB355_276
.LBB355_55:
	s_or_b64 exec, exec, s[28:29]
	v_mov_b32_e32 v5, 0
	s_and_saveexec_b64 s[28:29], s[26:27]
.LBB355_56:
	v_mov_b32_e32 v5, v3
.LBB355_57:
	s_or_b64 exec, exec, s[28:29]
.LBB355_58:
	s_or_b64 exec, exec, s[22:23]
	global_store_byte v[0:1], v5, off
.LBB355_59:
	s_mov_b64 s[22:23], -1
.LBB355_60:
	s_mov_b64 s[26:27], 0
.LBB355_61:
	s_and_b64 vcc, exec, s[26:27]
	s_cbranch_vccz .LBB355_102
; %bb.62:
	s_cmp_gt_i32 s31, 22
	s_mov_b64 s[26:27], -1
	s_cbranch_scc0 .LBB355_94
; %bb.63:
	s_cmp_lt_i32 s31, 24
	s_mov_b64 s[22:23], -1
	s_cbranch_scc1 .LBB355_83
; %bb.64:
	s_cmp_gt_i32 s31, 24
	s_cbranch_scc0 .LBB355_72
; %bb.65:
	v_cndmask_b32_e64 v4, 0, 1.0, s[16:17]
	s_mov_b32 s22, 0x47800000
	v_cmp_gt_u32_e32 vcc, s22, v4
	v_mov_b32_e32 v5, 0x80
	s_and_saveexec_b64 s[22:23], vcc
	s_cbranch_execz .LBB355_71
; %bb.66:
	s_mov_b32 s26, 0x37ffffff
	v_cmp_lt_u32_e32 vcc, s26, v4
	s_mov_b64 s[26:27], 0
                                        ; implicit-def: $vgpr3
	s_and_saveexec_b64 s[28:29], vcc
	s_xor_b64 s[28:29], exec, s[28:29]
	s_cbranch_execz .LBB355_279
; %bb.67:
	v_bfe_u32 v3, v4, 21, 1
	s_mov_b32 s34, 0x88fffff
	v_add3_u32 v3, v4, v3, s34
	s_mov_b64 s[26:27], exec
	v_lshrrev_b32_e32 v3, 21, v3
                                        ; implicit-def: $vgpr4
	s_andn2_saveexec_b64 s[28:29], s[28:29]
	s_cbranch_execnz .LBB355_280
.LBB355_68:
	s_or_b64 exec, exec, s[28:29]
	v_mov_b32_e32 v5, 0
	s_and_saveexec_b64 s[28:29], s[26:27]
.LBB355_69:
	v_mov_b32_e32 v5, v3
.LBB355_70:
	s_or_b64 exec, exec, s[28:29]
.LBB355_71:
	s_or_b64 exec, exec, s[22:23]
	s_mov_b64 s[22:23], 0
	global_store_byte v[0:1], v5, off
.LBB355_72:
	s_and_b64 vcc, exec, s[22:23]
	s_cbranch_vccz .LBB355_82
; %bb.73:
	v_cndmask_b32_e64 v3, 0, 1.0, s[16:17]
	s_mov_b32 s22, 0x43f00000
	v_cmp_gt_u32_e32 vcc, s22, v3
                                        ; implicit-def: $vgpr4
	s_and_saveexec_b64 s[22:23], vcc
	s_xor_b64 s[22:23], exec, s[22:23]
	s_cbranch_execz .LBB355_79
; %bb.74:
	s_mov_b32 s26, 0x3c7fffff
	v_cmp_lt_u32_e32 vcc, s26, v3
                                        ; implicit-def: $vgpr4
	s_and_saveexec_b64 s[26:27], vcc
	s_xor_b64 s[26:27], exec, s[26:27]
; %bb.75:
	v_bfe_u32 v4, v3, 20, 1
	s_mov_b32 s28, 0x407ffff
	v_add3_u32 v3, v3, v4, s28
	v_lshrrev_b32_e32 v4, 20, v3
	v_and_b32_e32 v3, 0xff00000, v3
	s_mov_b32 s28, 0x7f00000
	v_mov_b32_e32 v5, 0x7e
	v_cmp_ne_u32_e32 vcc, s28, v3
	v_cndmask_b32_e32 v4, v5, v4, vcc
                                        ; implicit-def: $vgpr3
; %bb.76:
	s_andn2_saveexec_b64 s[26:27], s[26:27]
; %bb.77:
	v_add_f32_e32 v4, 0x46800000, v3
; %bb.78:
	s_or_b64 exec, exec, s[26:27]
                                        ; implicit-def: $vgpr3
.LBB355_79:
	s_andn2_saveexec_b64 s[22:23], s[22:23]
; %bb.80:
	s_mov_b32 s26, 0x7f800000
	v_mov_b32_e32 v4, 0x7e
	v_mov_b32_e32 v5, 0x7f
	v_cmp_lt_u32_e32 vcc, s26, v3
	v_cndmask_b32_e32 v4, v4, v5, vcc
; %bb.81:
	s_or_b64 exec, exec, s[22:23]
	global_store_byte v[0:1], v4, off
.LBB355_82:
	s_mov_b64 s[22:23], 0
.LBB355_83:
	s_andn2_b64 vcc, exec, s[22:23]
	s_cbranch_vccnz .LBB355_93
; %bb.84:
	v_cndmask_b32_e64 v3, 0, 1.0, s[16:17]
	s_mov_b32 s22, 0x47800000
	v_cmp_gt_u32_e32 vcc, s22, v3
                                        ; implicit-def: $vgpr4
	s_and_saveexec_b64 s[22:23], vcc
	s_xor_b64 s[22:23], exec, s[22:23]
	s_cbranch_execz .LBB355_90
; %bb.85:
	s_mov_b32 s26, 0x387fffff
	v_cmp_lt_u32_e32 vcc, s26, v3
                                        ; implicit-def: $vgpr4
	s_and_saveexec_b64 s[26:27], vcc
	s_xor_b64 s[26:27], exec, s[26:27]
; %bb.86:
	v_bfe_u32 v4, v3, 21, 1
	s_mov_b32 s28, 0x80fffff
	v_add3_u32 v3, v3, v4, s28
	v_lshrrev_b32_e32 v4, 21, v3
                                        ; implicit-def: $vgpr3
; %bb.87:
	s_andn2_saveexec_b64 s[26:27], s[26:27]
; %bb.88:
	v_add_f32_e32 v4, 0x43000000, v3
; %bb.89:
	s_or_b64 exec, exec, s[26:27]
                                        ; implicit-def: $vgpr3
.LBB355_90:
	s_andn2_saveexec_b64 s[22:23], s[22:23]
; %bb.91:
	s_mov_b32 s26, 0x7f800000
	v_mov_b32_e32 v4, 0x7c
	v_mov_b32_e32 v5, 0x7f
	v_cmp_lt_u32_e32 vcc, s26, v3
	v_cndmask_b32_e32 v4, v4, v5, vcc
; %bb.92:
	s_or_b64 exec, exec, s[22:23]
	global_store_byte v[0:1], v4, off
.LBB355_93:
	s_mov_b64 s[26:27], 0
	s_mov_b64 s[22:23], -1
.LBB355_94:
	s_andn2_b64 vcc, exec, s[26:27]
	s_cbranch_vccnz .LBB355_102
; %bb.95:
	s_cmp_gt_i32 s31, 14
	s_mov_b64 s[26:27], -1
	s_cbranch_scc0 .LBB355_99
; %bb.96:
	s_cmp_eq_u32 s31, 15
	s_mov_b64 s[0:1], -1
	s_cbranch_scc0 .LBB355_98
; %bb.97:
	v_cndmask_b32_e64 v3, 0, 1.0, s[16:17]
	v_bfe_u32 v4, v3, 16, 1
	s_movk_i32 s0, 0x7fff
	v_add3_u32 v3, v3, v4, s0
	global_store_short_d16_hi v[0:1], v3, off
	s_mov_b64 s[22:23], -1
	s_mov_b64 s[0:1], 0
.LBB355_98:
	s_mov_b64 s[26:27], 0
.LBB355_99:
	s_and_b64 vcc, exec, s[26:27]
	s_cbranch_vccz .LBB355_102
; %bb.100:
	s_cmp_eq_u32 s31, 11
	s_mov_b64 s[0:1], -1
	s_cbranch_scc0 .LBB355_102
; %bb.101:
	v_cndmask_b32_e64 v3, 0, 1, s[16:17]
	s_mov_b64 s[22:23], -1
	s_mov_b64 s[0:1], 0
	global_store_byte v[0:1], v3, off
.LBB355_102:
	s_branch .LBB355_20
.LBB355_103:
	s_and_b32 s26, 0xffff, s30
	s_cmp_lt_i32 s26, 5
	s_mov_b64 s[22:23], -1
	s_cbranch_scc1 .LBB355_124
; %bb.104:
	s_cmp_lt_i32 s26, 8
	s_cbranch_scc1 .LBB355_114
; %bb.105:
	s_cmp_lt_i32 s26, 9
	s_cbranch_scc1 .LBB355_111
; %bb.106:
	s_cmp_gt_i32 s26, 9
	s_cbranch_scc0 .LBB355_108
; %bb.107:
	v_cndmask_b32_e64 v3, 0, 1, s[16:17]
	v_cvt_f64_u32_e32 v[3:4], v3
	v_mov_b32_e32 v5, 0
	v_mov_b32_e32 v6, v5
	s_mov_b64 s[22:23], 0
	global_store_dwordx4 v[0:1], v[3:6], off
.LBB355_108:
	s_andn2_b64 vcc, exec, s[22:23]
	s_cbranch_vccnz .LBB355_110
; %bb.109:
	v_cndmask_b32_e64 v3, 0, 1.0, s[16:17]
	v_mov_b32_e32 v4, 0
	global_store_dwordx2 v[0:1], v[3:4], off
.LBB355_110:
	s_mov_b64 s[22:23], 0
.LBB355_111:
	s_andn2_b64 vcc, exec, s[22:23]
	s_cbranch_vccnz .LBB355_113
; %bb.112:
	v_cndmask_b32_e64 v3, 0, 1.0, s[16:17]
	v_cvt_f16_f32_e32 v3, v3
	global_store_dword v[0:1], v3, off
.LBB355_113:
	s_mov_b64 s[22:23], 0
.LBB355_114:
	s_andn2_b64 vcc, exec, s[22:23]
	s_cbranch_vccnz .LBB355_123
; %bb.115:
	s_cmp_lt_i32 s26, 6
	s_mov_b64 s[22:23], -1
	s_cbranch_scc1 .LBB355_121
; %bb.116:
	s_cmp_gt_i32 s26, 6
	s_cbranch_scc0 .LBB355_118
; %bb.117:
	v_cndmask_b32_e64 v3, 0, 1, s[16:17]
	v_cvt_f64_u32_e32 v[3:4], v3
	s_mov_b64 s[22:23], 0
	global_store_dwordx2 v[0:1], v[3:4], off
.LBB355_118:
	s_andn2_b64 vcc, exec, s[22:23]
	s_cbranch_vccnz .LBB355_120
; %bb.119:
	v_cndmask_b32_e64 v3, 0, 1.0, s[16:17]
	global_store_dword v[0:1], v3, off
.LBB355_120:
	s_mov_b64 s[22:23], 0
.LBB355_121:
	s_andn2_b64 vcc, exec, s[22:23]
	s_cbranch_vccnz .LBB355_123
; %bb.122:
	v_cndmask_b32_e64 v3, 0, 1.0, s[16:17]
	v_cvt_f16_f32_e32 v3, v3
	global_store_short v[0:1], v3, off
.LBB355_123:
	s_mov_b64 s[22:23], 0
.LBB355_124:
	s_andn2_b64 vcc, exec, s[22:23]
	s_cbranch_vccnz .LBB355_140
; %bb.125:
	s_cmp_lt_i32 s26, 2
	s_mov_b64 s[22:23], -1
	s_cbranch_scc1 .LBB355_135
; %bb.126:
	s_cmp_lt_i32 s26, 3
	s_cbranch_scc1 .LBB355_132
; %bb.127:
	s_cmp_gt_i32 s26, 3
	s_cbranch_scc0 .LBB355_129
; %bb.128:
	s_mov_b32 s22, 0
	v_cndmask_b32_e64 v3, 0, 1, s[16:17]
	v_mov_b32_e32 v4, s22
	global_store_dwordx2 v[0:1], v[3:4], off
	s_mov_b64 s[22:23], 0
.LBB355_129:
	s_andn2_b64 vcc, exec, s[22:23]
	s_cbranch_vccnz .LBB355_131
; %bb.130:
	v_cndmask_b32_e64 v3, 0, 1, s[16:17]
	global_store_dword v[0:1], v3, off
.LBB355_131:
	s_mov_b64 s[22:23], 0
.LBB355_132:
	s_andn2_b64 vcc, exec, s[22:23]
	s_cbranch_vccnz .LBB355_134
; %bb.133:
	v_cndmask_b32_e64 v3, 0, 1, s[16:17]
	global_store_short v[0:1], v3, off
.LBB355_134:
	s_mov_b64 s[22:23], 0
.LBB355_135:
	s_andn2_b64 vcc, exec, s[22:23]
	s_cbranch_vccnz .LBB355_140
; %bb.136:
	s_mov_b64 s[22:23], -1
	s_cmp_gt_i32 s26, 0
	v_cndmask_b32_e64 v3, 0, 1, s[16:17]
	s_cbranch_scc0 .LBB355_138
; %bb.137:
	global_store_byte v[0:1], v3, off
	s_mov_b64 s[22:23], 0
.LBB355_138:
	s_andn2_b64 vcc, exec, s[22:23]
	s_cbranch_vccnz .LBB355_140
; %bb.139:
	global_store_byte v[0:1], v3, off
.LBB355_140:
	s_branch .LBB355_21
.LBB355_141:
	s_mov_b64 s[22:23], 0
                                        ; implicit-def: $vgpr2
	s_branch .LBB355_247
.LBB355_142:
	s_mov_b64 s[18:19], -1
                                        ; implicit-def: $vgpr3
.LBB355_143:
	s_mov_b64 s[16:17], 0
.LBB355_144:
	s_and_b64 vcc, exec, s[16:17]
	s_cbranch_vccz .LBB355_148
; %bb.145:
	s_cmp_eq_u32 s22, 29
	s_cbranch_scc0 .LBB355_147
; %bb.146:
	global_load_dword v3, v[0:1], off
	s_mov_b64 s[0:1], -1
	s_mov_b64 s[18:19], 0
	s_branch .LBB355_148
.LBB355_147:
	s_mov_b64 s[18:19], -1
                                        ; implicit-def: $vgpr3
.LBB355_148:
	s_mov_b64 s[16:17], 0
.LBB355_149:
	s_and_b64 vcc, exec, s[16:17]
	s_cbranch_vccz .LBB355_165
; %bb.150:
	s_cmp_lt_i32 s22, 27
	s_cbranch_scc1 .LBB355_153
; %bb.151:
	s_cmp_gt_i32 s22, 27
	s_cbranch_scc0 .LBB355_154
; %bb.152:
	global_load_dword v3, v[0:1], off
	s_mov_b64 s[0:1], 0
	s_branch .LBB355_155
.LBB355_153:
	s_mov_b64 s[0:1], -1
                                        ; implicit-def: $vgpr3
	s_branch .LBB355_158
.LBB355_154:
	s_mov_b64 s[0:1], -1
                                        ; implicit-def: $vgpr3
.LBB355_155:
	s_andn2_b64 vcc, exec, s[0:1]
	s_cbranch_vccnz .LBB355_157
; %bb.156:
	global_load_ushort v3, v[0:1], off
.LBB355_157:
	s_mov_b64 s[0:1], 0
.LBB355_158:
	s_andn2_b64 vcc, exec, s[0:1]
	s_cbranch_vccnz .LBB355_164
; %bb.159:
	global_load_ubyte v4, v[0:1], off
	s_movk_i32 s0, 0x7f
	s_mov_b64 s[16:17], 0
	s_waitcnt vmcnt(0)
	v_cmp_lt_i16_e32 vcc, s0, v4
	s_and_saveexec_b64 s[0:1], vcc
	s_xor_b64 s[0:1], exec, s[0:1]
	s_cbranch_execz .LBB355_175
; %bb.160:
	s_movk_i32 s16, 0x80
	v_cmp_ne_u16_e32 vcc, s16, v4
	s_and_b64 s[16:17], vcc, exec
	s_andn2_saveexec_b64 s[0:1], s[0:1]
	s_cbranch_execnz .LBB355_176
.LBB355_161:
	s_or_b64 exec, exec, s[0:1]
	v_mov_b32_e32 v3, 0
	s_and_saveexec_b64 s[0:1], s[16:17]
	s_cbranch_execz .LBB355_163
.LBB355_162:
	v_lshlrev_b32_e32 v3, 24, v4
	v_and_b32_e32 v4, 0xffff, v4
	v_and_b32_e32 v5, 7, v4
	v_ffbh_u32_e32 v7, v5
	v_min_u32_e32 v7, 32, v7
	v_subrev_u32_e32 v8, 28, v7
	v_bfe_u32 v6, v4, 3, 4
	v_lshlrev_b32_e32 v4, v8, v4
	v_sub_u32_e32 v7, 29, v7
	v_and_b32_e32 v4, 7, v4
	v_cmp_eq_u32_e32 vcc, 0, v6
	v_cndmask_b32_e32 v6, v6, v7, vcc
	v_cndmask_b32_e32 v4, v5, v4, vcc
	v_mov_b32_e32 v5, 0x3b800000
	v_lshlrev_b32_e32 v4, 20, v4
	v_and_b32_e32 v3, 0x80000000, v3
	v_lshl_add_u32 v5, v6, 23, v5
	v_or3_b32 v3, v3, v5, v4
	v_cvt_u32_f32_e32 v3, v3
.LBB355_163:
	s_or_b64 exec, exec, s[0:1]
.LBB355_164:
	s_mov_b64 s[0:1], -1
.LBB355_165:
	s_branch .LBB355_198
.LBB355_166:
	s_cmp_gt_i32 s22, 22
	s_cbranch_scc0 .LBB355_174
; %bb.167:
	s_cmp_lt_i32 s22, 24
	s_cbranch_scc1 .LBB355_177
; %bb.168:
	s_cmp_gt_i32 s22, 24
	s_cbranch_scc0 .LBB355_178
; %bb.169:
	global_load_ubyte v4, v[0:1], off
	s_movk_i32 s0, 0x7f
	s_mov_b64 s[16:17], 0
	s_waitcnt vmcnt(0)
	v_cmp_lt_i16_e32 vcc, s0, v4
	s_and_saveexec_b64 s[0:1], vcc
	s_xor_b64 s[0:1], exec, s[0:1]
	s_cbranch_execz .LBB355_190
; %bb.170:
	s_movk_i32 s16, 0x80
	v_cmp_ne_u16_e32 vcc, s16, v4
	s_and_b64 s[16:17], vcc, exec
	s_andn2_saveexec_b64 s[0:1], s[0:1]
	s_cbranch_execnz .LBB355_191
.LBB355_171:
	s_or_b64 exec, exec, s[0:1]
	v_mov_b32_e32 v3, 0
	s_and_saveexec_b64 s[0:1], s[16:17]
	s_cbranch_execz .LBB355_173
.LBB355_172:
	v_lshlrev_b32_e32 v3, 24, v4
	v_and_b32_e32 v4, 0xffff, v4
	v_and_b32_e32 v5, 3, v4
	v_ffbh_u32_e32 v7, v5
	v_min_u32_e32 v7, 32, v7
	v_subrev_u32_e32 v8, 29, v7
	v_bfe_u32 v6, v4, 2, 5
	v_lshlrev_b32_e32 v4, v8, v4
	v_sub_u32_e32 v7, 30, v7
	v_and_b32_e32 v4, 3, v4
	v_cmp_eq_u32_e32 vcc, 0, v6
	v_cndmask_b32_e32 v6, v6, v7, vcc
	v_cndmask_b32_e32 v4, v5, v4, vcc
	v_mov_b32_e32 v5, 0x37800000
	v_lshlrev_b32_e32 v4, 21, v4
	v_and_b32_e32 v3, 0x80000000, v3
	v_lshl_add_u32 v5, v6, 23, v5
	v_or3_b32 v3, v3, v5, v4
	v_cvt_u32_f32_e32 v3, v3
.LBB355_173:
	s_or_b64 exec, exec, s[0:1]
	s_mov_b64 s[0:1], 0
	s_branch .LBB355_179
.LBB355_174:
	s_mov_b64 s[16:17], -1
                                        ; implicit-def: $vgpr3
	s_branch .LBB355_185
.LBB355_175:
	s_andn2_saveexec_b64 s[0:1], s[0:1]
	s_cbranch_execz .LBB355_161
.LBB355_176:
	v_cmp_ne_u16_e32 vcc, 0, v4
	s_andn2_b64 s[16:17], s[16:17], exec
	s_and_b64 s[26:27], vcc, exec
	s_or_b64 s[16:17], s[16:17], s[26:27]
	s_or_b64 exec, exec, s[0:1]
	v_mov_b32_e32 v3, 0
	s_and_saveexec_b64 s[0:1], s[16:17]
	s_cbranch_execnz .LBB355_162
	s_branch .LBB355_163
.LBB355_177:
	s_mov_b64 s[0:1], -1
                                        ; implicit-def: $vgpr3
	s_branch .LBB355_182
.LBB355_178:
	s_mov_b64 s[0:1], -1
                                        ; implicit-def: $vgpr3
.LBB355_179:
	s_and_b64 vcc, exec, s[0:1]
	s_cbranch_vccz .LBB355_181
; %bb.180:
	global_load_ubyte v3, v[0:1], off
	s_mov_b32 s0, 0x7f800000
	s_waitcnt vmcnt(0)
	v_lshlrev_b32_e32 v3, 24, v3
	v_and_b32_e32 v4, 0x7f000000, v3
	v_ffbh_u32_e32 v5, v4
	v_min_u32_e32 v5, 32, v5
	v_sub_u32_e64 v5, v5, 4 clamp
	v_lshlrev_b32_e32 v7, v5, v4
	v_lshlrev_b32_e32 v5, 23, v5
	v_lshrrev_b32_e32 v7, 4, v7
	v_add_u32_e32 v6, 0x1000000, v4
	v_sub_u32_e32 v5, v7, v5
	v_ashrrev_i32_e32 v6, 8, v6
	v_add_u32_e32 v5, 0x3c000000, v5
	v_and_or_b32 v5, v6, s0, v5
	v_cmp_ne_u32_e32 vcc, 0, v4
	v_cndmask_b32_e32 v4, 0, v5, vcc
	s_brev_b32 s0, 1
	v_and_or_b32 v3, v3, s0, v4
	v_cvt_u32_f32_e32 v3, v3
.LBB355_181:
	s_mov_b64 s[0:1], 0
.LBB355_182:
	s_andn2_b64 vcc, exec, s[0:1]
	s_cbranch_vccnz .LBB355_184
; %bb.183:
	global_load_ubyte v3, v[0:1], off
	s_movk_i32 s0, 0x7f00
	s_brev_b32 s1, 16
	s_waitcnt vmcnt(0)
	v_lshlrev_b16_e32 v4, 8, v3
	v_lshlrev_b32_e32 v3, 25, v3
	v_lshrrev_b32_e32 v5, 4, v3
	v_and_or_b32 v6, v4, s0, 0.5
	v_or_b32_e32 v5, 0x70000000, v5
	v_add_f32_e32 v6, -0.5, v6
	v_mul_f32_e32 v5, 0x7800000, v5
	v_cmp_gt_u32_e32 vcc, s1, v3
	v_bfe_i32 v4, v4, 0, 16
	v_cndmask_b32_e32 v3, v5, v6, vcc
	s_brev_b32 s0, 1
	v_and_or_b32 v3, v4, s0, v3
	v_cvt_u32_f32_e32 v3, v3
.LBB355_184:
	s_mov_b64 s[16:17], 0
	s_mov_b64 s[0:1], -1
.LBB355_185:
	s_andn2_b64 vcc, exec, s[16:17]
	s_cbranch_vccnz .LBB355_198
; %bb.186:
	s_cmp_gt_i32 s22, 14
	s_cbranch_scc0 .LBB355_189
; %bb.187:
	s_cmp_eq_u32 s22, 15
	s_cbranch_scc0 .LBB355_192
; %bb.188:
	global_load_ushort v3, v[0:1], off
	s_mov_b64 s[0:1], -1
	s_mov_b64 s[18:19], 0
	s_waitcnt vmcnt(0)
	v_lshlrev_b32_e32 v3, 16, v3
	v_cvt_u32_f32_e32 v3, v3
	s_branch .LBB355_193
.LBB355_189:
	s_mov_b64 s[16:17], -1
                                        ; implicit-def: $vgpr3
	s_branch .LBB355_194
.LBB355_190:
	s_andn2_saveexec_b64 s[0:1], s[0:1]
	s_cbranch_execz .LBB355_171
.LBB355_191:
	v_cmp_ne_u16_e32 vcc, 0, v4
	s_andn2_b64 s[16:17], s[16:17], exec
	s_and_b64 s[26:27], vcc, exec
	s_or_b64 s[16:17], s[16:17], s[26:27]
	s_or_b64 exec, exec, s[0:1]
	v_mov_b32_e32 v3, 0
	s_and_saveexec_b64 s[0:1], s[16:17]
	s_cbranch_execnz .LBB355_172
	s_branch .LBB355_173
.LBB355_192:
	s_mov_b64 s[18:19], -1
                                        ; implicit-def: $vgpr3
.LBB355_193:
	s_mov_b64 s[16:17], 0
.LBB355_194:
	s_and_b64 vcc, exec, s[16:17]
	s_cbranch_vccz .LBB355_198
; %bb.195:
	s_cmp_eq_u32 s22, 11
	s_cbranch_scc0 .LBB355_197
; %bb.196:
	global_load_ubyte v3, v[0:1], off
	s_mov_b64 s[0:1], -1
	s_mov_b64 s[18:19], 0
	s_waitcnt vmcnt(0)
	v_cmp_ne_u16_e32 vcc, 0, v3
	v_cndmask_b32_e64 v3, 0, 1, vcc
	s_branch .LBB355_198
.LBB355_197:
	s_mov_b64 s[18:19], -1
                                        ; implicit-def: $vgpr3
.LBB355_198:
	s_branch .LBB355_10
.LBB355_199:
	s_cmp_lt_i32 s22, 5
	s_cbranch_scc1 .LBB355_204
; %bb.200:
	s_cmp_lt_i32 s22, 8
	s_cbranch_scc1 .LBB355_205
; %bb.201:
	;; [unrolled: 3-line block ×3, first 2 shown]
	s_cmp_gt_i32 s22, 9
	s_cbranch_scc0 .LBB355_207
; %bb.203:
	global_load_dwordx2 v[3:4], v[0:1], off
	s_mov_b64 s[0:1], 0
	s_waitcnt vmcnt(0)
	v_cvt_u32_f64_e32 v3, v[3:4]
	s_branch .LBB355_208
.LBB355_204:
                                        ; implicit-def: $vgpr3
	s_branch .LBB355_226
.LBB355_205:
	s_mov_b64 s[0:1], -1
                                        ; implicit-def: $vgpr3
	s_branch .LBB355_214
.LBB355_206:
	s_mov_b64 s[0:1], -1
                                        ; implicit-def: $vgpr3
	s_branch .LBB355_211
.LBB355_207:
	s_mov_b64 s[0:1], -1
                                        ; implicit-def: $vgpr3
.LBB355_208:
	s_andn2_b64 vcc, exec, s[0:1]
	s_cbranch_vccnz .LBB355_210
; %bb.209:
	global_load_dword v3, v[0:1], off
	s_waitcnt vmcnt(0)
	v_cvt_u32_f32_e32 v3, v3
.LBB355_210:
	s_mov_b64 s[0:1], 0
.LBB355_211:
	s_andn2_b64 vcc, exec, s[0:1]
	s_cbranch_vccnz .LBB355_213
; %bb.212:
	global_load_dword v3, v[0:1], off
	s_waitcnt vmcnt(0)
	v_cvt_f32_f16_e32 v3, v3
	v_cvt_u32_f32_e32 v3, v3
.LBB355_213:
	s_mov_b64 s[0:1], 0
.LBB355_214:
	s_andn2_b64 vcc, exec, s[0:1]
	s_cbranch_vccnz .LBB355_225
; %bb.215:
	s_cmp_lt_i32 s22, 6
	s_cbranch_scc1 .LBB355_218
; %bb.216:
	s_cmp_gt_i32 s22, 6
	s_cbranch_scc0 .LBB355_219
; %bb.217:
	global_load_dwordx2 v[3:4], v[0:1], off
	s_mov_b64 s[0:1], 0
	s_waitcnt vmcnt(0)
	v_cvt_u32_f64_e32 v3, v[3:4]
	s_branch .LBB355_220
.LBB355_218:
	s_mov_b64 s[0:1], -1
                                        ; implicit-def: $vgpr3
	s_branch .LBB355_223
.LBB355_219:
	s_mov_b64 s[0:1], -1
                                        ; implicit-def: $vgpr3
.LBB355_220:
	s_andn2_b64 vcc, exec, s[0:1]
	s_cbranch_vccnz .LBB355_222
; %bb.221:
	global_load_dword v3, v[0:1], off
	s_waitcnt vmcnt(0)
	v_cvt_u32_f32_e32 v3, v3
.LBB355_222:
	s_mov_b64 s[0:1], 0
.LBB355_223:
	s_andn2_b64 vcc, exec, s[0:1]
	s_cbranch_vccnz .LBB355_225
; %bb.224:
	global_load_ushort v3, v[0:1], off
	s_waitcnt vmcnt(0)
	v_cvt_f32_f16_e32 v3, v3
	v_cvt_u32_f32_e32 v3, v3
.LBB355_225:
	s_cbranch_execnz .LBB355_245
.LBB355_226:
	s_cmp_lt_i32 s22, 2
	s_cbranch_scc1 .LBB355_230
; %bb.227:
	s_cmp_lt_i32 s22, 3
	s_cbranch_scc1 .LBB355_231
; %bb.228:
	s_cmp_gt_i32 s22, 3
	s_cbranch_scc0 .LBB355_232
; %bb.229:
	global_load_dword v3, v[0:1], off
	s_mov_b64 s[0:1], 0
	s_branch .LBB355_233
.LBB355_230:
	s_mov_b64 s[0:1], -1
                                        ; implicit-def: $vgpr3
	s_branch .LBB355_239
.LBB355_231:
	s_mov_b64 s[0:1], -1
                                        ; implicit-def: $vgpr3
	s_branch .LBB355_236
.LBB355_232:
	s_mov_b64 s[0:1], -1
                                        ; implicit-def: $vgpr3
.LBB355_233:
	s_andn2_b64 vcc, exec, s[0:1]
	s_cbranch_vccnz .LBB355_235
; %bb.234:
	global_load_dword v3, v[0:1], off
.LBB355_235:
	s_mov_b64 s[0:1], 0
.LBB355_236:
	s_andn2_b64 vcc, exec, s[0:1]
	s_cbranch_vccnz .LBB355_238
; %bb.237:
	global_load_sshort v3, v[0:1], off
.LBB355_238:
	s_mov_b64 s[0:1], 0
.LBB355_239:
	s_andn2_b64 vcc, exec, s[0:1]
	s_cbranch_vccnz .LBB355_245
; %bb.240:
	s_cmp_gt_i32 s22, 0
	s_cbranch_scc0 .LBB355_242
; %bb.241:
	global_load_sbyte v3, v[0:1], off
	s_mov_b64 s[0:1], 0
	s_branch .LBB355_243
.LBB355_242:
	s_mov_b64 s[0:1], -1
                                        ; implicit-def: $vgpr3
.LBB355_243:
	s_andn2_b64 vcc, exec, s[0:1]
	s_cbranch_vccnz .LBB355_245
; %bb.244:
	global_load_ubyte v3, v[0:1], off
.LBB355_245:
	s_branch .LBB355_11
.LBB355_246:
	s_mov_b64 s[0:1], 0
                                        ; implicit-def: $vgpr2
	s_mov_b64 s[22:23], 0
.LBB355_247:
	s_and_b64 s[16:17], s[0:1], exec
	s_and_b64 s[18:19], s[18:19], exec
	s_orn2_b64 s[22:23], s[22:23], exec
.LBB355_248:
	s_or_b64 exec, exec, s[20:21]
	s_mov_b64 s[26:27], 0
	s_mov_b64 s[0:1], 0
                                        ; implicit-def: $vgpr0_vgpr1
                                        ; implicit-def: $vgpr3
	s_and_saveexec_b64 s[20:21], s[22:23]
	s_cbranch_execz .LBB355_257
; %bb.249:
	v_cmp_gt_i32_e32 vcc, s42, v2
	s_mov_b64 s[0:1], -1
	s_mov_b64 s[22:23], s[18:19]
	s_mov_b64 s[24:25], s[16:17]
	s_and_saveexec_b64 s[26:27], vcc
	s_cbranch_execz .LBB355_505
; %bb.250:
	v_mul_lo_u32 v0, v2, s13
	v_mov_b32_e32 v1, s11
	s_and_b32 s28, 0xffff, s46
	s_cmp_lt_i32 s28, 11
	s_waitcnt vmcnt(0)
	v_ashrrev_i32_e32 v3, 31, v0
	v_add_co_u32_e32 v0, vcc, s10, v0
	v_addc_co_u32_e32 v1, vcc, v1, v3, vcc
	s_cbranch_scc1 .LBB355_260
; %bb.251:
	s_cmp_gt_i32 s28, 25
	s_cbranch_scc0 .LBB355_269
; %bb.252:
	s_cmp_gt_i32 s28, 28
	s_cbranch_scc0 .LBB355_271
	;; [unrolled: 3-line block ×4, first 2 shown]
; %bb.255:
	s_cmp_eq_u32 s28, 46
	s_mov_b64 s[24:25], 0
	s_cbranch_scc0 .LBB355_281
; %bb.256:
	global_load_dword v3, v[0:1], off
	s_mov_b64 s[22:23], 0
	s_waitcnt vmcnt(0)
	v_lshlrev_b32_e32 v3, 16, v3
	v_cvt_u32_f32_e32 v3, v3
	s_branch .LBB355_282
.LBB355_257:
	s_or_b64 exec, exec, s[20:21]
	s_mov_b64 s[20:21], 0
	s_and_saveexec_b64 s[22:23], s[18:19]
	s_cbranch_execnz .LBB355_843
.LBB355_258:
	s_or_b64 exec, exec, s[22:23]
	s_and_saveexec_b64 s[18:19], s[24:25]
	s_xor_b64 s[18:19], exec, s[18:19]
	s_cbranch_execz .LBB355_844
.LBB355_259:
	global_load_ubyte v3, v[0:1], off
	s_or_b64 s[0:1], s[0:1], exec
	s_waitcnt vmcnt(0)
	v_cmp_ne_u16_e32 vcc, 0, v3
	v_cndmask_b32_e64 v3, 0, 1, vcc
	s_or_b64 exec, exec, s[18:19]
	s_and_saveexec_b64 s[18:19], s[26:27]
	s_cbranch_execz .LBB355_890
	s_branch .LBB355_845
.LBB355_260:
	s_mov_b64 s[0:1], 0
                                        ; implicit-def: $vgpr3
	s_mov_b64 s[22:23], s[18:19]
	s_cbranch_execnz .LBB355_455
.LBB355_261:
	s_andn2_b64 vcc, exec, s[0:1]
	s_cbranch_vccnz .LBB355_503
.LBB355_262:
	v_mul_lo_u32 v0, v2, s12
	s_waitcnt vmcnt(0)
	v_cmp_ne_u32_e32 vcc, s15, v3
	v_mov_b32_e32 v1, s9
	s_xor_b64 s[24:25], s[6:7], vcc
	v_ashrrev_i32_e32 v3, 31, v0
	s_and_b32 s36, s33, 0xff
	v_add_co_u32_e32 v0, vcc, s8, v0
	s_cmp_lt_i32 s36, 11
	v_addc_co_u32_e32 v1, vcc, v1, v3, vcc
	s_cbranch_scc1 .LBB355_270
; %bb.263:
	s_and_b32 s37, 0xffff, s36
	s_cmp_gt_i32 s37, 25
	s_cbranch_scc0 .LBB355_272
; %bb.264:
	s_cmp_gt_i32 s37, 28
	s_cbranch_scc0 .LBB355_274
; %bb.265:
	;; [unrolled: 3-line block ×4, first 2 shown]
	s_mov_b64 s[30:31], 0
	s_mov_b64 s[0:1], -1
	s_cmp_eq_u32 s37, 46
	s_mov_b64 s[28:29], 0
	s_cbranch_scc0 .LBB355_286
; %bb.268:
	v_cndmask_b32_e64 v3, 0, 1.0, s[24:25]
	v_bfe_u32 v4, v3, 16, 1
	s_movk_i32 s0, 0x7fff
	v_add3_u32 v3, v3, v4, s0
	v_lshrrev_b32_e32 v3, 16, v3
	global_store_dword v[0:1], v3, off
	s_mov_b64 s[28:29], -1
	s_mov_b64 s[0:1], 0
	s_branch .LBB355_286
.LBB355_269:
	s_mov_b64 s[24:25], -1
	s_mov_b64 s[0:1], 0
	s_mov_b64 s[22:23], s[18:19]
                                        ; implicit-def: $vgpr3
	s_branch .LBB355_421
.LBB355_270:
	s_mov_b64 s[30:31], -1
	s_mov_b64 s[28:29], 0
	s_mov_b64 s[0:1], s[16:17]
	s_branch .LBB355_355
.LBB355_271:
	s_mov_b64 s[24:25], -1
	s_mov_b64 s[0:1], 0
	s_mov_b64 s[22:23], s[18:19]
                                        ; implicit-def: $vgpr3
	s_branch .LBB355_404
.LBB355_272:
	s_mov_b64 s[30:31], -1
	s_mov_b64 s[28:29], 0
	s_mov_b64 s[0:1], s[16:17]
	s_branch .LBB355_313
.LBB355_273:
	s_mov_b64 s[24:25], -1
	s_mov_b64 s[0:1], 0
	s_mov_b64 s[22:23], s[18:19]
                                        ; implicit-def: $vgpr3
	s_branch .LBB355_399
.LBB355_274:
	s_mov_b64 s[30:31], -1
	s_mov_b64 s[28:29], 0
	s_mov_b64 s[0:1], s[16:17]
	s_branch .LBB355_296
.LBB355_275:
	s_andn2_saveexec_b64 s[28:29], s[28:29]
	s_cbranch_execz .LBB355_55
.LBB355_276:
	v_add_f32_e32 v3, 0x46000000, v4
	v_and_b32_e32 v3, 0xff, v3
	v_cmp_ne_u32_e32 vcc, 0, v3
	s_andn2_b64 s[26:27], s[26:27], exec
	s_and_b64 s[34:35], vcc, exec
	s_or_b64 s[26:27], s[26:27], s[34:35]
	s_or_b64 exec, exec, s[28:29]
	v_mov_b32_e32 v5, 0
	s_and_saveexec_b64 s[28:29], s[26:27]
	s_cbranch_execnz .LBB355_56
	s_branch .LBB355_57
.LBB355_277:
	s_mov_b64 s[24:25], -1
	s_mov_b64 s[0:1], 0
	s_mov_b64 s[22:23], s[18:19]
                                        ; implicit-def: $vgpr3
	s_branch .LBB355_282
.LBB355_278:
	s_mov_b64 s[30:31], -1
	s_mov_b64 s[28:29], 0
	s_mov_b64 s[0:1], s[16:17]
	s_branch .LBB355_292
.LBB355_279:
	s_andn2_saveexec_b64 s[28:29], s[28:29]
	s_cbranch_execz .LBB355_68
.LBB355_280:
	v_add_f32_e32 v3, 0x42800000, v4
	v_and_b32_e32 v3, 0xff, v3
	v_cmp_ne_u32_e32 vcc, 0, v3
	s_andn2_b64 s[26:27], s[26:27], exec
	s_and_b64 s[34:35], vcc, exec
	s_or_b64 s[26:27], s[26:27], s[34:35]
	s_or_b64 exec, exec, s[28:29]
	v_mov_b32_e32 v5, 0
	s_and_saveexec_b64 s[28:29], s[26:27]
	s_cbranch_execnz .LBB355_69
	s_branch .LBB355_70
.LBB355_281:
	s_mov_b64 s[22:23], -1
                                        ; implicit-def: $vgpr3
	s_mov_b64 s[0:1], 0
.LBB355_282:
	s_and_b64 vcc, exec, s[24:25]
	s_cbranch_vccz .LBB355_398
; %bb.283:
	s_cmp_eq_u32 s28, 44
	s_cbranch_scc0 .LBB355_397
; %bb.284:
	global_load_ubyte v3, v[0:1], off
	s_mov_b64 s[0:1], -1
	s_mov_b64 s[22:23], 0
	s_waitcnt vmcnt(0)
	v_lshlrev_b32_e32 v4, 23, v3
	v_cvt_u32_f32_e32 v4, v4
	v_cmp_ne_u32_e32 vcc, 0, v3
	v_cndmask_b32_e32 v3, 0, v4, vcc
	s_branch .LBB355_398
.LBB355_285:
	s_mov_b64 s[30:31], -1
	s_mov_b64 s[28:29], 0
	s_mov_b64 s[0:1], s[16:17]
.LBB355_286:
	s_and_b64 vcc, exec, s[30:31]
	s_cbranch_vccz .LBB355_291
; %bb.287:
	s_cmp_eq_u32 s37, 44
	s_mov_b64 s[0:1], -1
	s_cbranch_scc0 .LBB355_291
; %bb.288:
	v_cndmask_b32_e64 v4, 0, 1.0, s[24:25]
	v_lshrrev_b32_e32 v3, 23, v4
	s_movk_i32 s0, 0xff
	v_cmp_ne_u32_e32 vcc, s0, v3
	v_mov_b32_e32 v5, 0xff
	s_and_saveexec_b64 s[28:29], vcc
; %bb.289:
	s_mov_b32 s0, 0x3fffff
	v_and_b32_e32 v5, 0x400000, v4
	v_and_or_b32 v4, v4, s0, v3
	v_cmp_ne_u32_e32 vcc, 0, v5
	v_cmp_ne_u32_e64 s[0:1], 0, v4
	s_and_b64 s[0:1], vcc, s[0:1]
	v_cndmask_b32_e64 v4, 0, 1, s[0:1]
	v_add_u32_e32 v5, v3, v4
; %bb.290:
	s_or_b64 exec, exec, s[28:29]
	s_mov_b64 s[28:29], -1
	s_mov_b64 s[0:1], 0
	global_store_byte v[0:1], v5, off
.LBB355_291:
	s_mov_b64 s[30:31], 0
.LBB355_292:
	s_and_b64 vcc, exec, s[30:31]
	s_cbranch_vccz .LBB355_295
; %bb.293:
	s_cmp_eq_u32 s37, 29
	s_mov_b64 s[0:1], -1
	s_cbranch_scc0 .LBB355_295
; %bb.294:
	s_mov_b32 s0, 0
	v_cndmask_b32_e64 v3, 0, 1, s[24:25]
	v_mov_b32_e32 v4, s0
	global_store_dwordx2 v[0:1], v[3:4], off
	s_mov_b64 s[28:29], -1
	s_mov_b64 s[0:1], 0
.LBB355_295:
	s_mov_b64 s[30:31], 0
.LBB355_296:
	s_and_b64 vcc, exec, s[30:31]
	s_cbranch_vccz .LBB355_312
; %bb.297:
	s_cmp_lt_i32 s37, 27
	s_mov_b64 s[28:29], -1
	s_cbranch_scc1 .LBB355_303
; %bb.298:
	s_cmp_gt_i32 s37, 27
	s_cbranch_scc0 .LBB355_300
; %bb.299:
	v_cndmask_b32_e64 v3, 0, 1, s[24:25]
	s_mov_b64 s[28:29], 0
	global_store_dword v[0:1], v3, off
.LBB355_300:
	s_andn2_b64 vcc, exec, s[28:29]
	s_cbranch_vccnz .LBB355_302
; %bb.301:
	v_cndmask_b32_e64 v3, 0, 1, s[24:25]
	global_store_short v[0:1], v3, off
.LBB355_302:
	s_mov_b64 s[28:29], 0
.LBB355_303:
	s_andn2_b64 vcc, exec, s[28:29]
	s_cbranch_vccnz .LBB355_311
; %bb.304:
	v_cndmask_b32_e64 v4, 0, 1.0, s[24:25]
	s_mov_b32 s28, 0x43800000
	v_cmp_gt_u32_e32 vcc, s28, v4
	v_mov_b32_e32 v5, 0x80
	s_and_saveexec_b64 s[28:29], vcc
	s_cbranch_execz .LBB355_310
; %bb.305:
	s_mov_b32 s30, 0x3bffffff
	v_cmp_lt_u32_e32 vcc, s30, v4
	s_mov_b64 s[30:31], 0
                                        ; implicit-def: $vgpr3
	s_and_saveexec_b64 s[34:35], vcc
	s_xor_b64 s[34:35], exec, s[34:35]
	s_cbranch_execz .LBB355_518
; %bb.306:
	v_bfe_u32 v3, v4, 20, 1
	s_mov_b32 s38, 0x487ffff
	v_add3_u32 v3, v4, v3, s38
	s_mov_b64 s[30:31], exec
	v_lshrrev_b32_e32 v3, 20, v3
                                        ; implicit-def: $vgpr4
	s_andn2_saveexec_b64 s[34:35], s[34:35]
	s_cbranch_execnz .LBB355_519
.LBB355_307:
	s_or_b64 exec, exec, s[34:35]
	v_mov_b32_e32 v5, 0
	s_and_saveexec_b64 s[34:35], s[30:31]
.LBB355_308:
	v_mov_b32_e32 v5, v3
.LBB355_309:
	s_or_b64 exec, exec, s[34:35]
.LBB355_310:
	s_or_b64 exec, exec, s[28:29]
	global_store_byte v[0:1], v5, off
.LBB355_311:
	s_mov_b64 s[28:29], -1
.LBB355_312:
	s_mov_b64 s[30:31], 0
.LBB355_313:
	s_and_b64 vcc, exec, s[30:31]
	s_cbranch_vccz .LBB355_354
; %bb.314:
	s_cmp_gt_i32 s37, 22
	s_mov_b64 s[30:31], -1
	s_cbranch_scc0 .LBB355_346
; %bb.315:
	s_cmp_lt_i32 s37, 24
	s_mov_b64 s[28:29], -1
	s_cbranch_scc1 .LBB355_335
; %bb.316:
	s_cmp_gt_i32 s37, 24
	s_cbranch_scc0 .LBB355_324
; %bb.317:
	v_cndmask_b32_e64 v4, 0, 1.0, s[24:25]
	s_mov_b32 s28, 0x47800000
	v_cmp_gt_u32_e32 vcc, s28, v4
	v_mov_b32_e32 v5, 0x80
	s_and_saveexec_b64 s[28:29], vcc
	s_cbranch_execz .LBB355_323
; %bb.318:
	s_mov_b32 s30, 0x37ffffff
	v_cmp_lt_u32_e32 vcc, s30, v4
	s_mov_b64 s[30:31], 0
                                        ; implicit-def: $vgpr3
	s_and_saveexec_b64 s[34:35], vcc
	s_xor_b64 s[34:35], exec, s[34:35]
	s_cbranch_execz .LBB355_521
; %bb.319:
	v_bfe_u32 v3, v4, 21, 1
	s_mov_b32 s38, 0x88fffff
	v_add3_u32 v3, v4, v3, s38
	s_mov_b64 s[30:31], exec
	v_lshrrev_b32_e32 v3, 21, v3
                                        ; implicit-def: $vgpr4
	s_andn2_saveexec_b64 s[34:35], s[34:35]
	s_cbranch_execnz .LBB355_522
.LBB355_320:
	s_or_b64 exec, exec, s[34:35]
	v_mov_b32_e32 v5, 0
	s_and_saveexec_b64 s[34:35], s[30:31]
.LBB355_321:
	v_mov_b32_e32 v5, v3
.LBB355_322:
	s_or_b64 exec, exec, s[34:35]
.LBB355_323:
	s_or_b64 exec, exec, s[28:29]
	s_mov_b64 s[28:29], 0
	global_store_byte v[0:1], v5, off
.LBB355_324:
	s_and_b64 vcc, exec, s[28:29]
	s_cbranch_vccz .LBB355_334
; %bb.325:
	v_cndmask_b32_e64 v3, 0, 1.0, s[24:25]
	s_mov_b32 s28, 0x43f00000
	v_cmp_gt_u32_e32 vcc, s28, v3
                                        ; implicit-def: $vgpr4
	s_and_saveexec_b64 s[28:29], vcc
	s_xor_b64 s[28:29], exec, s[28:29]
	s_cbranch_execz .LBB355_331
; %bb.326:
	s_mov_b32 s30, 0x3c7fffff
	v_cmp_lt_u32_e32 vcc, s30, v3
                                        ; implicit-def: $vgpr4
	s_and_saveexec_b64 s[30:31], vcc
	s_xor_b64 s[30:31], exec, s[30:31]
; %bb.327:
	v_bfe_u32 v4, v3, 20, 1
	s_mov_b32 s34, 0x407ffff
	v_add3_u32 v3, v3, v4, s34
	v_lshrrev_b32_e32 v4, 20, v3
	v_and_b32_e32 v3, 0xff00000, v3
	s_mov_b32 s34, 0x7f00000
	v_mov_b32_e32 v5, 0x7e
	v_cmp_ne_u32_e32 vcc, s34, v3
	v_cndmask_b32_e32 v4, v5, v4, vcc
                                        ; implicit-def: $vgpr3
; %bb.328:
	s_andn2_saveexec_b64 s[30:31], s[30:31]
; %bb.329:
	v_add_f32_e32 v4, 0x46800000, v3
; %bb.330:
	s_or_b64 exec, exec, s[30:31]
                                        ; implicit-def: $vgpr3
.LBB355_331:
	s_andn2_saveexec_b64 s[28:29], s[28:29]
; %bb.332:
	s_mov_b32 s30, 0x7f800000
	v_mov_b32_e32 v4, 0x7e
	v_mov_b32_e32 v5, 0x7f
	v_cmp_lt_u32_e32 vcc, s30, v3
	v_cndmask_b32_e32 v4, v4, v5, vcc
; %bb.333:
	s_or_b64 exec, exec, s[28:29]
	global_store_byte v[0:1], v4, off
.LBB355_334:
	s_mov_b64 s[28:29], 0
.LBB355_335:
	s_andn2_b64 vcc, exec, s[28:29]
	s_cbranch_vccnz .LBB355_345
; %bb.336:
	v_cndmask_b32_e64 v3, 0, 1.0, s[24:25]
	s_mov_b32 s28, 0x47800000
	v_cmp_gt_u32_e32 vcc, s28, v3
                                        ; implicit-def: $vgpr4
	s_and_saveexec_b64 s[28:29], vcc
	s_xor_b64 s[28:29], exec, s[28:29]
	s_cbranch_execz .LBB355_342
; %bb.337:
	s_mov_b32 s30, 0x387fffff
	v_cmp_lt_u32_e32 vcc, s30, v3
                                        ; implicit-def: $vgpr4
	s_and_saveexec_b64 s[30:31], vcc
	s_xor_b64 s[30:31], exec, s[30:31]
; %bb.338:
	v_bfe_u32 v4, v3, 21, 1
	s_mov_b32 s34, 0x80fffff
	v_add3_u32 v3, v3, v4, s34
	v_lshrrev_b32_e32 v4, 21, v3
                                        ; implicit-def: $vgpr3
; %bb.339:
	s_andn2_saveexec_b64 s[30:31], s[30:31]
; %bb.340:
	v_add_f32_e32 v4, 0x43000000, v3
; %bb.341:
	s_or_b64 exec, exec, s[30:31]
                                        ; implicit-def: $vgpr3
.LBB355_342:
	s_andn2_saveexec_b64 s[28:29], s[28:29]
; %bb.343:
	s_mov_b32 s30, 0x7f800000
	v_mov_b32_e32 v4, 0x7c
	v_mov_b32_e32 v5, 0x7f
	v_cmp_lt_u32_e32 vcc, s30, v3
	v_cndmask_b32_e32 v4, v4, v5, vcc
; %bb.344:
	s_or_b64 exec, exec, s[28:29]
	global_store_byte v[0:1], v4, off
.LBB355_345:
	s_mov_b64 s[30:31], 0
	s_mov_b64 s[28:29], -1
.LBB355_346:
	s_andn2_b64 vcc, exec, s[30:31]
	s_cbranch_vccnz .LBB355_354
; %bb.347:
	s_cmp_gt_i32 s37, 14
	s_mov_b64 s[30:31], -1
	s_cbranch_scc0 .LBB355_351
; %bb.348:
	s_cmp_eq_u32 s37, 15
	s_mov_b64 s[0:1], -1
	s_cbranch_scc0 .LBB355_350
; %bb.349:
	v_cndmask_b32_e64 v3, 0, 1.0, s[24:25]
	v_bfe_u32 v4, v3, 16, 1
	s_movk_i32 s0, 0x7fff
	v_add3_u32 v3, v3, v4, s0
	global_store_short_d16_hi v[0:1], v3, off
	s_mov_b64 s[28:29], -1
	s_mov_b64 s[0:1], 0
.LBB355_350:
	s_mov_b64 s[30:31], 0
.LBB355_351:
	s_and_b64 vcc, exec, s[30:31]
	s_cbranch_vccz .LBB355_354
; %bb.352:
	s_cmp_eq_u32 s37, 11
	s_mov_b64 s[0:1], -1
	s_cbranch_scc0 .LBB355_354
; %bb.353:
	v_cndmask_b32_e64 v3, 0, 1, s[24:25]
	s_mov_b64 s[28:29], -1
	s_mov_b64 s[0:1], 0
	global_store_byte v[0:1], v3, off
.LBB355_354:
	s_mov_b64 s[30:31], 0
.LBB355_355:
	s_and_b64 vcc, exec, s[30:31]
	s_cbranch_vccz .LBB355_394
; %bb.356:
	s_and_b32 s30, 0xffff, s36
	s_cmp_lt_i32 s30, 5
	s_mov_b64 s[28:29], -1
	s_cbranch_scc1 .LBB355_377
; %bb.357:
	s_cmp_lt_i32 s30, 8
	s_cbranch_scc1 .LBB355_367
; %bb.358:
	s_cmp_lt_i32 s30, 9
	s_cbranch_scc1 .LBB355_364
; %bb.359:
	s_cmp_gt_i32 s30, 9
	s_cbranch_scc0 .LBB355_361
; %bb.360:
	v_cndmask_b32_e64 v3, 0, 1, s[24:25]
	v_cvt_f64_u32_e32 v[3:4], v3
	v_mov_b32_e32 v5, 0
	v_mov_b32_e32 v6, v5
	s_mov_b64 s[28:29], 0
	global_store_dwordx4 v[0:1], v[3:6], off
.LBB355_361:
	s_andn2_b64 vcc, exec, s[28:29]
	s_cbranch_vccnz .LBB355_363
; %bb.362:
	v_cndmask_b32_e64 v3, 0, 1.0, s[24:25]
	v_mov_b32_e32 v4, 0
	global_store_dwordx2 v[0:1], v[3:4], off
.LBB355_363:
	s_mov_b64 s[28:29], 0
.LBB355_364:
	s_andn2_b64 vcc, exec, s[28:29]
	s_cbranch_vccnz .LBB355_366
; %bb.365:
	v_cndmask_b32_e64 v3, 0, 1.0, s[24:25]
	v_cvt_f16_f32_e32 v3, v3
	global_store_dword v[0:1], v3, off
.LBB355_366:
	s_mov_b64 s[28:29], 0
.LBB355_367:
	s_andn2_b64 vcc, exec, s[28:29]
	s_cbranch_vccnz .LBB355_376
; %bb.368:
	s_cmp_lt_i32 s30, 6
	s_mov_b64 s[28:29], -1
	s_cbranch_scc1 .LBB355_374
; %bb.369:
	s_cmp_gt_i32 s30, 6
	s_cbranch_scc0 .LBB355_371
; %bb.370:
	v_cndmask_b32_e64 v3, 0, 1, s[24:25]
	v_cvt_f64_u32_e32 v[3:4], v3
	s_mov_b64 s[28:29], 0
	global_store_dwordx2 v[0:1], v[3:4], off
.LBB355_371:
	s_andn2_b64 vcc, exec, s[28:29]
	s_cbranch_vccnz .LBB355_373
; %bb.372:
	v_cndmask_b32_e64 v3, 0, 1.0, s[24:25]
	global_store_dword v[0:1], v3, off
.LBB355_373:
	s_mov_b64 s[28:29], 0
.LBB355_374:
	s_andn2_b64 vcc, exec, s[28:29]
	s_cbranch_vccnz .LBB355_376
; %bb.375:
	v_cndmask_b32_e64 v3, 0, 1.0, s[24:25]
	v_cvt_f16_f32_e32 v3, v3
	global_store_short v[0:1], v3, off
.LBB355_376:
	s_mov_b64 s[28:29], 0
.LBB355_377:
	s_andn2_b64 vcc, exec, s[28:29]
	s_cbranch_vccnz .LBB355_393
; %bb.378:
	s_cmp_lt_i32 s30, 2
	s_mov_b64 s[28:29], -1
	s_cbranch_scc1 .LBB355_388
; %bb.379:
	s_cmp_lt_i32 s30, 3
	s_cbranch_scc1 .LBB355_385
; %bb.380:
	s_cmp_gt_i32 s30, 3
	s_cbranch_scc0 .LBB355_382
; %bb.381:
	s_mov_b32 s28, 0
	v_cndmask_b32_e64 v3, 0, 1, s[24:25]
	v_mov_b32_e32 v4, s28
	s_mov_b64 s[28:29], 0
	global_store_dwordx2 v[0:1], v[3:4], off
.LBB355_382:
	s_andn2_b64 vcc, exec, s[28:29]
	s_cbranch_vccnz .LBB355_384
; %bb.383:
	v_cndmask_b32_e64 v3, 0, 1, s[24:25]
	global_store_dword v[0:1], v3, off
.LBB355_384:
	s_mov_b64 s[28:29], 0
.LBB355_385:
	s_andn2_b64 vcc, exec, s[28:29]
	s_cbranch_vccnz .LBB355_387
; %bb.386:
	v_cndmask_b32_e64 v3, 0, 1, s[24:25]
	global_store_short v[0:1], v3, off
.LBB355_387:
	s_mov_b64 s[28:29], 0
.LBB355_388:
	s_andn2_b64 vcc, exec, s[28:29]
	s_cbranch_vccnz .LBB355_393
; %bb.389:
	s_mov_b64 s[28:29], -1
	s_cmp_gt_i32 s30, 0
	v_cndmask_b32_e64 v3, 0, 1, s[24:25]
	s_cbranch_scc0 .LBB355_391
; %bb.390:
	s_mov_b64 s[28:29], 0
	global_store_byte v[0:1], v3, off
.LBB355_391:
	s_andn2_b64 vcc, exec, s[28:29]
	s_cbranch_vccnz .LBB355_393
; %bb.392:
	global_store_byte v[0:1], v3, off
.LBB355_393:
	s_mov_b64 s[28:29], -1
.LBB355_394:
	s_andn2_b64 vcc, exec, s[28:29]
	s_cbranch_vccnz .LBB355_396
; %bb.395:
	v_add_u32_e32 v2, 0x80, v2
	s_mov_b64 s[28:29], -1
	s_branch .LBB355_504
.LBB355_396:
	s_mov_b64 s[28:29], 0
                                        ; implicit-def: $vgpr2
	s_branch .LBB355_504
.LBB355_397:
	s_mov_b64 s[22:23], -1
                                        ; implicit-def: $vgpr3
.LBB355_398:
	s_mov_b64 s[24:25], 0
.LBB355_399:
	s_and_b64 vcc, exec, s[24:25]
	s_cbranch_vccz .LBB355_403
; %bb.400:
	s_cmp_eq_u32 s28, 29
	s_cbranch_scc0 .LBB355_402
; %bb.401:
	global_load_dword v3, v[0:1], off
	s_mov_b64 s[0:1], -1
	s_mov_b64 s[22:23], 0
	s_branch .LBB355_403
.LBB355_402:
	s_mov_b64 s[22:23], -1
                                        ; implicit-def: $vgpr3
.LBB355_403:
	s_mov_b64 s[24:25], 0
.LBB355_404:
	s_and_b64 vcc, exec, s[24:25]
	s_cbranch_vccz .LBB355_420
; %bb.405:
	s_cmp_lt_i32 s28, 27
	s_cbranch_scc1 .LBB355_408
; %bb.406:
	s_cmp_gt_i32 s28, 27
	s_cbranch_scc0 .LBB355_409
; %bb.407:
	global_load_dword v3, v[0:1], off
	s_mov_b64 s[0:1], 0
	s_branch .LBB355_410
.LBB355_408:
	s_mov_b64 s[0:1], -1
                                        ; implicit-def: $vgpr3
	s_branch .LBB355_413
.LBB355_409:
	s_mov_b64 s[0:1], -1
                                        ; implicit-def: $vgpr3
.LBB355_410:
	s_andn2_b64 vcc, exec, s[0:1]
	s_cbranch_vccnz .LBB355_412
; %bb.411:
	global_load_ushort v3, v[0:1], off
.LBB355_412:
	s_mov_b64 s[0:1], 0
.LBB355_413:
	s_andn2_b64 vcc, exec, s[0:1]
	s_cbranch_vccnz .LBB355_419
; %bb.414:
	global_load_ubyte v4, v[0:1], off
	s_movk_i32 s0, 0x7f
	s_mov_b64 s[24:25], 0
	s_waitcnt vmcnt(0)
	v_cmp_lt_i16_e32 vcc, s0, v4
	s_and_saveexec_b64 s[0:1], vcc
	s_xor_b64 s[0:1], exec, s[0:1]
	s_cbranch_execz .LBB355_431
; %bb.415:
	s_movk_i32 s24, 0x80
	v_cmp_ne_u16_e32 vcc, s24, v4
	s_and_b64 s[24:25], vcc, exec
	s_andn2_saveexec_b64 s[0:1], s[0:1]
	s_cbranch_execnz .LBB355_432
.LBB355_416:
	s_or_b64 exec, exec, s[0:1]
	v_mov_b32_e32 v3, 0
	s_and_saveexec_b64 s[0:1], s[24:25]
	s_cbranch_execz .LBB355_418
.LBB355_417:
	v_lshlrev_b32_e32 v3, 24, v4
	v_and_b32_e32 v4, 0xffff, v4
	v_and_b32_e32 v5, 7, v4
	v_ffbh_u32_e32 v7, v5
	v_min_u32_e32 v7, 32, v7
	v_subrev_u32_e32 v8, 28, v7
	v_bfe_u32 v6, v4, 3, 4
	v_lshlrev_b32_e32 v4, v8, v4
	v_sub_u32_e32 v7, 29, v7
	v_and_b32_e32 v4, 7, v4
	v_cmp_eq_u32_e32 vcc, 0, v6
	v_cndmask_b32_e32 v6, v6, v7, vcc
	v_cndmask_b32_e32 v4, v5, v4, vcc
	v_mov_b32_e32 v5, 0x3b800000
	v_lshlrev_b32_e32 v4, 20, v4
	v_and_b32_e32 v3, 0x80000000, v3
	v_lshl_add_u32 v5, v6, 23, v5
	v_or3_b32 v3, v3, v5, v4
	v_cvt_u32_f32_e32 v3, v3
.LBB355_418:
	s_or_b64 exec, exec, s[0:1]
.LBB355_419:
	s_mov_b64 s[0:1], -1
.LBB355_420:
	s_mov_b64 s[24:25], 0
.LBB355_421:
	s_and_b64 vcc, exec, s[24:25]
	s_cbranch_vccz .LBB355_454
; %bb.422:
	s_cmp_gt_i32 s28, 22
	s_cbranch_scc0 .LBB355_430
; %bb.423:
	s_cmp_lt_i32 s28, 24
	s_cbranch_scc1 .LBB355_433
; %bb.424:
	s_cmp_gt_i32 s28, 24
	s_cbranch_scc0 .LBB355_434
; %bb.425:
	global_load_ubyte v4, v[0:1], off
	s_movk_i32 s0, 0x7f
	s_mov_b64 s[24:25], 0
	s_waitcnt vmcnt(0)
	v_cmp_lt_i16_e32 vcc, s0, v4
	s_and_saveexec_b64 s[0:1], vcc
	s_xor_b64 s[0:1], exec, s[0:1]
	s_cbranch_execz .LBB355_446
; %bb.426:
	s_movk_i32 s24, 0x80
	v_cmp_ne_u16_e32 vcc, s24, v4
	s_and_b64 s[24:25], vcc, exec
	s_andn2_saveexec_b64 s[0:1], s[0:1]
	s_cbranch_execnz .LBB355_447
.LBB355_427:
	s_or_b64 exec, exec, s[0:1]
	v_mov_b32_e32 v3, 0
	s_and_saveexec_b64 s[0:1], s[24:25]
	s_cbranch_execz .LBB355_429
.LBB355_428:
	v_lshlrev_b32_e32 v3, 24, v4
	v_and_b32_e32 v4, 0xffff, v4
	v_and_b32_e32 v5, 3, v4
	v_ffbh_u32_e32 v7, v5
	v_min_u32_e32 v7, 32, v7
	v_subrev_u32_e32 v8, 29, v7
	v_bfe_u32 v6, v4, 2, 5
	v_lshlrev_b32_e32 v4, v8, v4
	v_sub_u32_e32 v7, 30, v7
	v_and_b32_e32 v4, 3, v4
	v_cmp_eq_u32_e32 vcc, 0, v6
	v_cndmask_b32_e32 v6, v6, v7, vcc
	v_cndmask_b32_e32 v4, v5, v4, vcc
	v_mov_b32_e32 v5, 0x37800000
	v_lshlrev_b32_e32 v4, 21, v4
	v_and_b32_e32 v3, 0x80000000, v3
	v_lshl_add_u32 v5, v6, 23, v5
	v_or3_b32 v3, v3, v5, v4
	v_cvt_u32_f32_e32 v3, v3
.LBB355_429:
	s_or_b64 exec, exec, s[0:1]
	s_mov_b64 s[0:1], 0
	s_branch .LBB355_435
.LBB355_430:
	s_mov_b64 s[24:25], -1
                                        ; implicit-def: $vgpr3
	s_branch .LBB355_441
.LBB355_431:
	s_andn2_saveexec_b64 s[0:1], s[0:1]
	s_cbranch_execz .LBB355_416
.LBB355_432:
	v_cmp_ne_u16_e32 vcc, 0, v4
	s_andn2_b64 s[24:25], s[24:25], exec
	s_and_b64 s[30:31], vcc, exec
	s_or_b64 s[24:25], s[24:25], s[30:31]
	s_or_b64 exec, exec, s[0:1]
	v_mov_b32_e32 v3, 0
	s_and_saveexec_b64 s[0:1], s[24:25]
	s_cbranch_execnz .LBB355_417
	s_branch .LBB355_418
.LBB355_433:
	s_mov_b64 s[0:1], -1
                                        ; implicit-def: $vgpr3
	s_branch .LBB355_438
.LBB355_434:
	s_mov_b64 s[0:1], -1
                                        ; implicit-def: $vgpr3
.LBB355_435:
	s_and_b64 vcc, exec, s[0:1]
	s_cbranch_vccz .LBB355_437
; %bb.436:
	global_load_ubyte v3, v[0:1], off
	s_mov_b32 s0, 0x7f800000
	s_waitcnt vmcnt(0)
	v_lshlrev_b32_e32 v3, 24, v3
	v_and_b32_e32 v4, 0x7f000000, v3
	v_ffbh_u32_e32 v5, v4
	v_min_u32_e32 v5, 32, v5
	v_sub_u32_e64 v5, v5, 4 clamp
	v_lshlrev_b32_e32 v7, v5, v4
	v_lshlrev_b32_e32 v5, 23, v5
	v_lshrrev_b32_e32 v7, 4, v7
	v_add_u32_e32 v6, 0x1000000, v4
	v_sub_u32_e32 v5, v7, v5
	v_ashrrev_i32_e32 v6, 8, v6
	v_add_u32_e32 v5, 0x3c000000, v5
	v_and_or_b32 v5, v6, s0, v5
	v_cmp_ne_u32_e32 vcc, 0, v4
	v_cndmask_b32_e32 v4, 0, v5, vcc
	s_brev_b32 s0, 1
	v_and_or_b32 v3, v3, s0, v4
	v_cvt_u32_f32_e32 v3, v3
.LBB355_437:
	s_mov_b64 s[0:1], 0
.LBB355_438:
	s_andn2_b64 vcc, exec, s[0:1]
	s_cbranch_vccnz .LBB355_440
; %bb.439:
	global_load_ubyte v3, v[0:1], off
	s_movk_i32 s0, 0x7f00
	s_brev_b32 s1, 16
	s_waitcnt vmcnt(0)
	v_lshlrev_b16_e32 v4, 8, v3
	v_lshlrev_b32_e32 v3, 25, v3
	v_lshrrev_b32_e32 v5, 4, v3
	v_and_or_b32 v6, v4, s0, 0.5
	v_or_b32_e32 v5, 0x70000000, v5
	v_add_f32_e32 v6, -0.5, v6
	v_mul_f32_e32 v5, 0x7800000, v5
	v_cmp_gt_u32_e32 vcc, s1, v3
	v_bfe_i32 v4, v4, 0, 16
	v_cndmask_b32_e32 v3, v5, v6, vcc
	s_brev_b32 s0, 1
	v_and_or_b32 v3, v4, s0, v3
	v_cvt_u32_f32_e32 v3, v3
.LBB355_440:
	s_mov_b64 s[24:25], 0
	s_mov_b64 s[0:1], -1
.LBB355_441:
	s_andn2_b64 vcc, exec, s[24:25]
	s_cbranch_vccnz .LBB355_454
; %bb.442:
	s_cmp_gt_i32 s28, 14
	s_cbranch_scc0 .LBB355_445
; %bb.443:
	s_cmp_eq_u32 s28, 15
	s_cbranch_scc0 .LBB355_448
; %bb.444:
	global_load_ushort v3, v[0:1], off
	s_mov_b64 s[0:1], -1
	s_mov_b64 s[22:23], 0
	s_waitcnt vmcnt(0)
	v_lshlrev_b32_e32 v3, 16, v3
	v_cvt_u32_f32_e32 v3, v3
	s_branch .LBB355_449
.LBB355_445:
	s_mov_b64 s[24:25], -1
                                        ; implicit-def: $vgpr3
	s_branch .LBB355_450
.LBB355_446:
	s_andn2_saveexec_b64 s[0:1], s[0:1]
	s_cbranch_execz .LBB355_427
.LBB355_447:
	v_cmp_ne_u16_e32 vcc, 0, v4
	s_andn2_b64 s[24:25], s[24:25], exec
	s_and_b64 s[30:31], vcc, exec
	s_or_b64 s[24:25], s[24:25], s[30:31]
	s_or_b64 exec, exec, s[0:1]
	v_mov_b32_e32 v3, 0
	s_and_saveexec_b64 s[0:1], s[24:25]
	s_cbranch_execnz .LBB355_428
	s_branch .LBB355_429
.LBB355_448:
	s_mov_b64 s[22:23], -1
                                        ; implicit-def: $vgpr3
.LBB355_449:
	s_mov_b64 s[24:25], 0
.LBB355_450:
	s_and_b64 vcc, exec, s[24:25]
	s_cbranch_vccz .LBB355_454
; %bb.451:
	s_cmp_eq_u32 s28, 11
	s_cbranch_scc0 .LBB355_453
; %bb.452:
	global_load_ubyte v3, v[0:1], off
	s_mov_b64 s[0:1], -1
	s_mov_b64 s[22:23], 0
	s_waitcnt vmcnt(0)
	v_cmp_ne_u16_e32 vcc, 0, v3
	v_cndmask_b32_e64 v3, 0, 1, vcc
	s_branch .LBB355_454
.LBB355_453:
	s_mov_b64 s[22:23], -1
                                        ; implicit-def: $vgpr3
.LBB355_454:
	s_branch .LBB355_261
.LBB355_455:
	s_cmp_lt_i32 s28, 5
	s_cbranch_scc1 .LBB355_460
; %bb.456:
	s_cmp_lt_i32 s28, 8
	s_cbranch_scc1 .LBB355_461
; %bb.457:
	;; [unrolled: 3-line block ×3, first 2 shown]
	s_cmp_gt_i32 s28, 9
	s_cbranch_scc0 .LBB355_463
; %bb.459:
	global_load_dwordx2 v[3:4], v[0:1], off
	s_mov_b64 s[0:1], 0
	s_waitcnt vmcnt(0)
	v_cvt_u32_f64_e32 v3, v[3:4]
	s_branch .LBB355_464
.LBB355_460:
	s_mov_b64 s[0:1], -1
                                        ; implicit-def: $vgpr3
	s_branch .LBB355_482
.LBB355_461:
	s_mov_b64 s[0:1], -1
                                        ; implicit-def: $vgpr3
	s_branch .LBB355_470
.LBB355_462:
	s_mov_b64 s[0:1], -1
                                        ; implicit-def: $vgpr3
	s_branch .LBB355_467
.LBB355_463:
	s_mov_b64 s[0:1], -1
                                        ; implicit-def: $vgpr3
.LBB355_464:
	s_andn2_b64 vcc, exec, s[0:1]
	s_cbranch_vccnz .LBB355_466
; %bb.465:
	global_load_dword v3, v[0:1], off
	s_waitcnt vmcnt(0)
	v_cvt_u32_f32_e32 v3, v3
.LBB355_466:
	s_mov_b64 s[0:1], 0
.LBB355_467:
	s_andn2_b64 vcc, exec, s[0:1]
	s_cbranch_vccnz .LBB355_469
; %bb.468:
	global_load_dword v3, v[0:1], off
	s_waitcnt vmcnt(0)
	v_cvt_f32_f16_e32 v3, v3
	v_cvt_u32_f32_e32 v3, v3
.LBB355_469:
	s_mov_b64 s[0:1], 0
.LBB355_470:
	s_andn2_b64 vcc, exec, s[0:1]
	s_cbranch_vccnz .LBB355_481
; %bb.471:
	s_cmp_lt_i32 s28, 6
	s_cbranch_scc1 .LBB355_474
; %bb.472:
	s_cmp_gt_i32 s28, 6
	s_cbranch_scc0 .LBB355_475
; %bb.473:
	global_load_dwordx2 v[3:4], v[0:1], off
	s_mov_b64 s[0:1], 0
	s_waitcnt vmcnt(0)
	v_cvt_u32_f64_e32 v3, v[3:4]
	s_branch .LBB355_476
.LBB355_474:
	s_mov_b64 s[0:1], -1
                                        ; implicit-def: $vgpr3
	s_branch .LBB355_479
.LBB355_475:
	s_mov_b64 s[0:1], -1
                                        ; implicit-def: $vgpr3
.LBB355_476:
	s_andn2_b64 vcc, exec, s[0:1]
	s_cbranch_vccnz .LBB355_478
; %bb.477:
	global_load_dword v3, v[0:1], off
	s_waitcnt vmcnt(0)
	v_cvt_u32_f32_e32 v3, v3
.LBB355_478:
	s_mov_b64 s[0:1], 0
.LBB355_479:
	s_andn2_b64 vcc, exec, s[0:1]
	s_cbranch_vccnz .LBB355_481
; %bb.480:
	global_load_ushort v3, v[0:1], off
	s_waitcnt vmcnt(0)
	v_cvt_f32_f16_e32 v3, v3
	v_cvt_u32_f32_e32 v3, v3
.LBB355_481:
	s_mov_b64 s[0:1], 0
.LBB355_482:
	s_andn2_b64 vcc, exec, s[0:1]
	s_cbranch_vccnz .LBB355_502
; %bb.483:
	s_cmp_lt_i32 s28, 2
	s_cbranch_scc1 .LBB355_487
; %bb.484:
	s_cmp_lt_i32 s28, 3
	s_cbranch_scc1 .LBB355_488
; %bb.485:
	s_cmp_gt_i32 s28, 3
	s_cbranch_scc0 .LBB355_489
; %bb.486:
	global_load_dword v3, v[0:1], off
	s_mov_b64 s[0:1], 0
	s_branch .LBB355_490
.LBB355_487:
	s_mov_b64 s[0:1], -1
                                        ; implicit-def: $vgpr3
	s_branch .LBB355_496
.LBB355_488:
	s_mov_b64 s[0:1], -1
                                        ; implicit-def: $vgpr3
	s_branch .LBB355_493
.LBB355_489:
	s_mov_b64 s[0:1], -1
                                        ; implicit-def: $vgpr3
.LBB355_490:
	s_andn2_b64 vcc, exec, s[0:1]
	s_cbranch_vccnz .LBB355_492
; %bb.491:
	global_load_dword v3, v[0:1], off
.LBB355_492:
	s_mov_b64 s[0:1], 0
.LBB355_493:
	s_andn2_b64 vcc, exec, s[0:1]
	s_cbranch_vccnz .LBB355_495
; %bb.494:
	global_load_sshort v3, v[0:1], off
.LBB355_495:
	s_mov_b64 s[0:1], 0
.LBB355_496:
	s_andn2_b64 vcc, exec, s[0:1]
	s_cbranch_vccnz .LBB355_502
; %bb.497:
	s_cmp_gt_i32 s28, 0
	s_cbranch_scc0 .LBB355_499
; %bb.498:
	global_load_sbyte v3, v[0:1], off
	s_mov_b64 s[0:1], 0
	s_branch .LBB355_500
.LBB355_499:
	s_mov_b64 s[0:1], -1
                                        ; implicit-def: $vgpr3
.LBB355_500:
	s_andn2_b64 vcc, exec, s[0:1]
	s_cbranch_vccnz .LBB355_502
; %bb.501:
	global_load_ubyte v3, v[0:1], off
.LBB355_502:
	s_branch .LBB355_262
.LBB355_503:
	s_mov_b64 s[28:29], 0
                                        ; implicit-def: $vgpr2
	s_mov_b64 s[0:1], s[16:17]
.LBB355_504:
	s_andn2_b64 s[24:25], s[16:17], exec
	s_and_b64 s[0:1], s[0:1], exec
	s_or_b64 s[24:25], s[24:25], s[0:1]
	s_andn2_b64 s[0:1], s[18:19], exec
	s_and_b64 s[22:23], s[22:23], exec
	s_or_b64 s[22:23], s[0:1], s[22:23]
	s_orn2_b64 s[0:1], s[28:29], exec
.LBB355_505:
	s_or_b64 exec, exec, s[26:27]
	s_mov_b64 s[28:29], 0
	s_mov_b64 s[30:31], 0
	s_mov_b64 s[34:35], 0
                                        ; implicit-def: $vgpr0_vgpr1
                                        ; implicit-def: $vgpr3
	s_and_saveexec_b64 s[26:27], s[0:1]
	s_cbranch_execz .LBB355_842
; %bb.506:
	v_cmp_gt_i32_e32 vcc, s42, v2
	s_mov_b64 s[38:39], -1
	s_mov_b64 s[0:1], s[22:23]
	s_mov_b64 s[34:35], s[24:25]
	s_and_saveexec_b64 s[28:29], vcc
	s_cbranch_execz .LBB355_760
; %bb.507:
	v_mul_lo_u32 v0, v2, s13
	v_mov_b32_e32 v1, s11
	s_and_b32 s36, 0xffff, s46
	s_cmp_lt_i32 s36, 11
	s_waitcnt vmcnt(0)
	v_ashrrev_i32_e32 v3, 31, v0
	v_add_co_u32_e32 v0, vcc, s10, v0
	v_addc_co_u32_e32 v1, vcc, v1, v3, vcc
	s_cbranch_scc1 .LBB355_514
; %bb.508:
	s_cmp_gt_i32 s36, 25
	s_cbranch_scc0 .LBB355_515
; %bb.509:
	s_cmp_gt_i32 s36, 28
	s_cbranch_scc0 .LBB355_516
; %bb.510:
	s_cmp_gt_i32 s36, 43
	s_cbranch_scc0 .LBB355_517
; %bb.511:
	s_cmp_gt_i32 s36, 45
	s_cbranch_scc0 .LBB355_520
; %bb.512:
	s_cmp_eq_u32 s36, 46
	s_mov_b64 s[34:35], 0
	s_cbranch_scc0 .LBB355_523
; %bb.513:
	global_load_dword v3, v[0:1], off
	s_mov_b64 s[0:1], -1
	s_waitcnt vmcnt(0)
	v_lshlrev_b32_e32 v3, 16, v3
	v_cvt_u32_f32_e32 v3, v3
	s_branch .LBB355_524
.LBB355_514:
	s_mov_b64 s[34:35], -1
	s_mov_b64 s[0:1], 0
                                        ; implicit-def: $vgpr3
	s_mov_b64 s[30:31], s[22:23]
	s_branch .LBB355_585
.LBB355_515:
	s_mov_b64 s[34:35], -1
	s_mov_b64 s[0:1], 0
	s_mov_b64 s[30:31], s[22:23]
                                        ; implicit-def: $vgpr3
	s_branch .LBB355_551
.LBB355_516:
	s_mov_b64 s[34:35], -1
	s_mov_b64 s[0:1], 0
	s_mov_b64 s[30:31], s[22:23]
                                        ; implicit-def: $vgpr3
	s_branch .LBB355_534
.LBB355_517:
	s_mov_b64 s[34:35], -1
	s_mov_b64 s[0:1], 0
	s_mov_b64 s[30:31], s[22:23]
                                        ; implicit-def: $vgpr3
	s_branch .LBB355_529
.LBB355_518:
	s_andn2_saveexec_b64 s[34:35], s[34:35]
	s_cbranch_execz .LBB355_307
.LBB355_519:
	v_add_f32_e32 v3, 0x46000000, v4
	v_and_b32_e32 v3, 0xff, v3
	v_cmp_ne_u32_e32 vcc, 0, v3
	s_andn2_b64 s[30:31], s[30:31], exec
	s_and_b64 s[38:39], vcc, exec
	s_or_b64 s[30:31], s[30:31], s[38:39]
	s_or_b64 exec, exec, s[34:35]
	v_mov_b32_e32 v5, 0
	s_and_saveexec_b64 s[34:35], s[30:31]
	s_cbranch_execnz .LBB355_308
	s_branch .LBB355_309
.LBB355_520:
	s_mov_b64 s[34:35], -1
	s_mov_b64 s[0:1], 0
	s_mov_b64 s[30:31], s[22:23]
                                        ; implicit-def: $vgpr3
	s_branch .LBB355_524
.LBB355_521:
	s_andn2_saveexec_b64 s[34:35], s[34:35]
	s_cbranch_execz .LBB355_320
.LBB355_522:
	v_add_f32_e32 v3, 0x42800000, v4
	v_and_b32_e32 v3, 0xff, v3
	v_cmp_ne_u32_e32 vcc, 0, v3
	s_andn2_b64 s[30:31], s[30:31], exec
	s_and_b64 s[38:39], vcc, exec
	s_or_b64 s[30:31], s[30:31], s[38:39]
	s_or_b64 exec, exec, s[34:35]
	v_mov_b32_e32 v5, 0
	s_and_saveexec_b64 s[34:35], s[30:31]
	s_cbranch_execnz .LBB355_321
	s_branch .LBB355_322
.LBB355_523:
	s_mov_b64 s[30:31], -1
                                        ; implicit-def: $vgpr3
	s_mov_b64 s[0:1], 0
.LBB355_524:
	s_and_b64 vcc, exec, s[34:35]
	s_cbranch_vccz .LBB355_528
; %bb.525:
	s_cmp_eq_u32 s36, 44
	s_cbranch_scc0 .LBB355_527
; %bb.526:
	global_load_ubyte v3, v[0:1], off
	s_mov_b64 s[0:1], -1
	s_mov_b64 s[30:31], 0
	s_waitcnt vmcnt(0)
	v_lshlrev_b32_e32 v4, 23, v3
	v_cvt_u32_f32_e32 v4, v4
	v_cmp_ne_u32_e32 vcc, 0, v3
	v_cndmask_b32_e32 v3, 0, v4, vcc
	s_branch .LBB355_528
.LBB355_527:
	s_mov_b64 s[30:31], -1
                                        ; implicit-def: $vgpr3
.LBB355_528:
	s_mov_b64 s[34:35], 0
.LBB355_529:
	s_and_b64 vcc, exec, s[34:35]
	s_cbranch_vccz .LBB355_533
; %bb.530:
	s_cmp_eq_u32 s36, 29
	s_cbranch_scc0 .LBB355_532
; %bb.531:
	global_load_dword v3, v[0:1], off
	s_mov_b64 s[0:1], -1
	s_mov_b64 s[30:31], 0
	s_branch .LBB355_533
.LBB355_532:
	s_mov_b64 s[30:31], -1
                                        ; implicit-def: $vgpr3
.LBB355_533:
	s_mov_b64 s[34:35], 0
.LBB355_534:
	s_and_b64 vcc, exec, s[34:35]
	s_cbranch_vccz .LBB355_550
; %bb.535:
	s_cmp_lt_i32 s36, 27
	s_cbranch_scc1 .LBB355_538
; %bb.536:
	s_cmp_gt_i32 s36, 27
	s_cbranch_scc0 .LBB355_539
; %bb.537:
	global_load_dword v3, v[0:1], off
	s_mov_b64 s[0:1], 0
	s_branch .LBB355_540
.LBB355_538:
	s_mov_b64 s[0:1], -1
                                        ; implicit-def: $vgpr3
	s_branch .LBB355_543
.LBB355_539:
	s_mov_b64 s[0:1], -1
                                        ; implicit-def: $vgpr3
.LBB355_540:
	s_andn2_b64 vcc, exec, s[0:1]
	s_cbranch_vccnz .LBB355_542
; %bb.541:
	global_load_ushort v3, v[0:1], off
.LBB355_542:
	s_mov_b64 s[0:1], 0
.LBB355_543:
	s_andn2_b64 vcc, exec, s[0:1]
	s_cbranch_vccnz .LBB355_549
; %bb.544:
	global_load_ubyte v4, v[0:1], off
	s_movk_i32 s0, 0x7f
	s_mov_b64 s[34:35], 0
	s_waitcnt vmcnt(0)
	v_cmp_lt_i16_e32 vcc, s0, v4
	s_and_saveexec_b64 s[0:1], vcc
	s_xor_b64 s[0:1], exec, s[0:1]
	s_cbranch_execz .LBB355_561
; %bb.545:
	s_movk_i32 s34, 0x80
	v_cmp_ne_u16_e32 vcc, s34, v4
	s_and_b64 s[34:35], vcc, exec
	s_andn2_saveexec_b64 s[0:1], s[0:1]
	s_cbranch_execnz .LBB355_562
.LBB355_546:
	s_or_b64 exec, exec, s[0:1]
	v_mov_b32_e32 v3, 0
	s_and_saveexec_b64 s[0:1], s[34:35]
	s_cbranch_execz .LBB355_548
.LBB355_547:
	v_lshlrev_b32_e32 v3, 24, v4
	v_and_b32_e32 v4, 0xffff, v4
	v_and_b32_e32 v5, 7, v4
	v_ffbh_u32_e32 v7, v5
	v_min_u32_e32 v7, 32, v7
	v_subrev_u32_e32 v8, 28, v7
	v_bfe_u32 v6, v4, 3, 4
	v_lshlrev_b32_e32 v4, v8, v4
	v_sub_u32_e32 v7, 29, v7
	v_and_b32_e32 v4, 7, v4
	v_cmp_eq_u32_e32 vcc, 0, v6
	v_cndmask_b32_e32 v6, v6, v7, vcc
	v_cndmask_b32_e32 v4, v5, v4, vcc
	v_mov_b32_e32 v5, 0x3b800000
	v_lshlrev_b32_e32 v4, 20, v4
	v_and_b32_e32 v3, 0x80000000, v3
	v_lshl_add_u32 v5, v6, 23, v5
	v_or3_b32 v3, v3, v5, v4
	v_cvt_u32_f32_e32 v3, v3
.LBB355_548:
	s_or_b64 exec, exec, s[0:1]
.LBB355_549:
	s_mov_b64 s[0:1], -1
.LBB355_550:
	s_mov_b64 s[34:35], 0
.LBB355_551:
	s_and_b64 vcc, exec, s[34:35]
	s_cbranch_vccz .LBB355_584
; %bb.552:
	s_cmp_gt_i32 s36, 22
	s_cbranch_scc0 .LBB355_560
; %bb.553:
	s_cmp_lt_i32 s36, 24
	s_cbranch_scc1 .LBB355_563
; %bb.554:
	s_cmp_gt_i32 s36, 24
	s_cbranch_scc0 .LBB355_564
; %bb.555:
	global_load_ubyte v4, v[0:1], off
	s_movk_i32 s0, 0x7f
	s_mov_b64 s[34:35], 0
	s_waitcnt vmcnt(0)
	v_cmp_lt_i16_e32 vcc, s0, v4
	s_and_saveexec_b64 s[0:1], vcc
	s_xor_b64 s[0:1], exec, s[0:1]
	s_cbranch_execz .LBB355_576
; %bb.556:
	s_movk_i32 s34, 0x80
	v_cmp_ne_u16_e32 vcc, s34, v4
	s_and_b64 s[34:35], vcc, exec
	s_andn2_saveexec_b64 s[0:1], s[0:1]
	s_cbranch_execnz .LBB355_577
.LBB355_557:
	s_or_b64 exec, exec, s[0:1]
	v_mov_b32_e32 v3, 0
	s_and_saveexec_b64 s[0:1], s[34:35]
	s_cbranch_execz .LBB355_559
.LBB355_558:
	v_lshlrev_b32_e32 v3, 24, v4
	v_and_b32_e32 v4, 0xffff, v4
	v_and_b32_e32 v5, 3, v4
	v_ffbh_u32_e32 v7, v5
	v_min_u32_e32 v7, 32, v7
	v_subrev_u32_e32 v8, 29, v7
	v_bfe_u32 v6, v4, 2, 5
	v_lshlrev_b32_e32 v4, v8, v4
	v_sub_u32_e32 v7, 30, v7
	v_and_b32_e32 v4, 3, v4
	v_cmp_eq_u32_e32 vcc, 0, v6
	v_cndmask_b32_e32 v6, v6, v7, vcc
	v_cndmask_b32_e32 v4, v5, v4, vcc
	v_mov_b32_e32 v5, 0x37800000
	v_lshlrev_b32_e32 v4, 21, v4
	v_and_b32_e32 v3, 0x80000000, v3
	v_lshl_add_u32 v5, v6, 23, v5
	v_or3_b32 v3, v3, v5, v4
	v_cvt_u32_f32_e32 v3, v3
.LBB355_559:
	s_or_b64 exec, exec, s[0:1]
	s_mov_b64 s[0:1], 0
	s_branch .LBB355_565
.LBB355_560:
	s_mov_b64 s[34:35], -1
                                        ; implicit-def: $vgpr3
	s_branch .LBB355_571
.LBB355_561:
	s_andn2_saveexec_b64 s[0:1], s[0:1]
	s_cbranch_execz .LBB355_546
.LBB355_562:
	v_cmp_ne_u16_e32 vcc, 0, v4
	s_andn2_b64 s[34:35], s[34:35], exec
	s_and_b64 s[38:39], vcc, exec
	s_or_b64 s[34:35], s[34:35], s[38:39]
	s_or_b64 exec, exec, s[0:1]
	v_mov_b32_e32 v3, 0
	s_and_saveexec_b64 s[0:1], s[34:35]
	s_cbranch_execnz .LBB355_547
	s_branch .LBB355_548
.LBB355_563:
	s_mov_b64 s[0:1], -1
                                        ; implicit-def: $vgpr3
	s_branch .LBB355_568
.LBB355_564:
	s_mov_b64 s[0:1], -1
                                        ; implicit-def: $vgpr3
.LBB355_565:
	s_and_b64 vcc, exec, s[0:1]
	s_cbranch_vccz .LBB355_567
; %bb.566:
	global_load_ubyte v3, v[0:1], off
	s_mov_b32 s0, 0x7f800000
	s_waitcnt vmcnt(0)
	v_lshlrev_b32_e32 v3, 24, v3
	v_and_b32_e32 v4, 0x7f000000, v3
	v_ffbh_u32_e32 v5, v4
	v_min_u32_e32 v5, 32, v5
	v_sub_u32_e64 v5, v5, 4 clamp
	v_lshlrev_b32_e32 v7, v5, v4
	v_lshlrev_b32_e32 v5, 23, v5
	v_lshrrev_b32_e32 v7, 4, v7
	v_add_u32_e32 v6, 0x1000000, v4
	v_sub_u32_e32 v5, v7, v5
	v_ashrrev_i32_e32 v6, 8, v6
	v_add_u32_e32 v5, 0x3c000000, v5
	v_and_or_b32 v5, v6, s0, v5
	v_cmp_ne_u32_e32 vcc, 0, v4
	v_cndmask_b32_e32 v4, 0, v5, vcc
	s_brev_b32 s0, 1
	v_and_or_b32 v3, v3, s0, v4
	v_cvt_u32_f32_e32 v3, v3
.LBB355_567:
	s_mov_b64 s[0:1], 0
.LBB355_568:
	s_andn2_b64 vcc, exec, s[0:1]
	s_cbranch_vccnz .LBB355_570
; %bb.569:
	global_load_ubyte v3, v[0:1], off
	s_movk_i32 s0, 0x7f00
	s_brev_b32 s1, 16
	s_waitcnt vmcnt(0)
	v_lshlrev_b16_e32 v4, 8, v3
	v_lshlrev_b32_e32 v3, 25, v3
	v_lshrrev_b32_e32 v5, 4, v3
	v_and_or_b32 v6, v4, s0, 0.5
	v_or_b32_e32 v5, 0x70000000, v5
	v_add_f32_e32 v6, -0.5, v6
	v_mul_f32_e32 v5, 0x7800000, v5
	v_cmp_gt_u32_e32 vcc, s1, v3
	v_bfe_i32 v4, v4, 0, 16
	v_cndmask_b32_e32 v3, v5, v6, vcc
	s_brev_b32 s0, 1
	v_and_or_b32 v3, v4, s0, v3
	v_cvt_u32_f32_e32 v3, v3
.LBB355_570:
	s_mov_b64 s[34:35], 0
	s_mov_b64 s[0:1], -1
.LBB355_571:
	s_andn2_b64 vcc, exec, s[34:35]
	s_cbranch_vccnz .LBB355_584
; %bb.572:
	s_cmp_gt_i32 s36, 14
	s_cbranch_scc0 .LBB355_575
; %bb.573:
	s_cmp_eq_u32 s36, 15
	s_cbranch_scc0 .LBB355_578
; %bb.574:
	global_load_ushort v3, v[0:1], off
	s_mov_b64 s[0:1], -1
	s_mov_b64 s[30:31], 0
	s_waitcnt vmcnt(0)
	v_lshlrev_b32_e32 v3, 16, v3
	v_cvt_u32_f32_e32 v3, v3
	s_branch .LBB355_579
.LBB355_575:
	s_mov_b64 s[34:35], -1
                                        ; implicit-def: $vgpr3
	s_branch .LBB355_580
.LBB355_576:
	s_andn2_saveexec_b64 s[0:1], s[0:1]
	s_cbranch_execz .LBB355_557
.LBB355_577:
	v_cmp_ne_u16_e32 vcc, 0, v4
	s_andn2_b64 s[34:35], s[34:35], exec
	s_and_b64 s[38:39], vcc, exec
	s_or_b64 s[34:35], s[34:35], s[38:39]
	s_or_b64 exec, exec, s[0:1]
	v_mov_b32_e32 v3, 0
	s_and_saveexec_b64 s[0:1], s[34:35]
	s_cbranch_execnz .LBB355_558
	s_branch .LBB355_559
.LBB355_578:
	s_mov_b64 s[30:31], -1
                                        ; implicit-def: $vgpr3
.LBB355_579:
	s_mov_b64 s[34:35], 0
.LBB355_580:
	s_and_b64 vcc, exec, s[34:35]
	s_cbranch_vccz .LBB355_584
; %bb.581:
	s_cmp_eq_u32 s36, 11
	s_cbranch_scc0 .LBB355_583
; %bb.582:
	global_load_ubyte v3, v[0:1], off
	s_mov_b64 s[0:1], -1
	s_mov_b64 s[30:31], 0
	s_waitcnt vmcnt(0)
	v_cmp_ne_u16_e32 vcc, 0, v3
	v_cndmask_b32_e64 v3, 0, 1, vcc
	s_branch .LBB355_584
.LBB355_583:
	s_mov_b64 s[30:31], -1
                                        ; implicit-def: $vgpr3
.LBB355_584:
	s_mov_b64 s[34:35], 0
.LBB355_585:
	s_and_b64 vcc, exec, s[34:35]
	s_cbranch_vccz .LBB355_634
; %bb.586:
	s_cmp_lt_i32 s36, 5
	s_cbranch_scc1 .LBB355_591
; %bb.587:
	s_cmp_lt_i32 s36, 8
	s_cbranch_scc1 .LBB355_592
	;; [unrolled: 3-line block ×3, first 2 shown]
; %bb.589:
	s_cmp_gt_i32 s36, 9
	s_cbranch_scc0 .LBB355_594
; %bb.590:
	global_load_dwordx2 v[3:4], v[0:1], off
	s_mov_b64 s[0:1], 0
	s_waitcnt vmcnt(0)
	v_cvt_u32_f64_e32 v3, v[3:4]
	s_branch .LBB355_595
.LBB355_591:
	s_mov_b64 s[0:1], -1
                                        ; implicit-def: $vgpr3
	s_branch .LBB355_613
.LBB355_592:
	s_mov_b64 s[0:1], -1
                                        ; implicit-def: $vgpr3
	s_branch .LBB355_601
.LBB355_593:
	s_mov_b64 s[0:1], -1
                                        ; implicit-def: $vgpr3
	s_branch .LBB355_598
.LBB355_594:
	s_mov_b64 s[0:1], -1
                                        ; implicit-def: $vgpr3
.LBB355_595:
	s_andn2_b64 vcc, exec, s[0:1]
	s_cbranch_vccnz .LBB355_597
; %bb.596:
	global_load_dword v3, v[0:1], off
	s_waitcnt vmcnt(0)
	v_cvt_u32_f32_e32 v3, v3
.LBB355_597:
	s_mov_b64 s[0:1], 0
.LBB355_598:
	s_andn2_b64 vcc, exec, s[0:1]
	s_cbranch_vccnz .LBB355_600
; %bb.599:
	global_load_dword v3, v[0:1], off
	s_waitcnt vmcnt(0)
	v_cvt_f32_f16_e32 v3, v3
	v_cvt_u32_f32_e32 v3, v3
.LBB355_600:
	s_mov_b64 s[0:1], 0
.LBB355_601:
	s_andn2_b64 vcc, exec, s[0:1]
	s_cbranch_vccnz .LBB355_612
; %bb.602:
	s_cmp_lt_i32 s36, 6
	s_cbranch_scc1 .LBB355_605
; %bb.603:
	s_cmp_gt_i32 s36, 6
	s_cbranch_scc0 .LBB355_606
; %bb.604:
	global_load_dwordx2 v[3:4], v[0:1], off
	s_mov_b64 s[0:1], 0
	s_waitcnt vmcnt(0)
	v_cvt_u32_f64_e32 v3, v[3:4]
	s_branch .LBB355_607
.LBB355_605:
	s_mov_b64 s[0:1], -1
                                        ; implicit-def: $vgpr3
	s_branch .LBB355_610
.LBB355_606:
	s_mov_b64 s[0:1], -1
                                        ; implicit-def: $vgpr3
.LBB355_607:
	s_andn2_b64 vcc, exec, s[0:1]
	s_cbranch_vccnz .LBB355_609
; %bb.608:
	global_load_dword v3, v[0:1], off
	s_waitcnt vmcnt(0)
	v_cvt_u32_f32_e32 v3, v3
.LBB355_609:
	s_mov_b64 s[0:1], 0
.LBB355_610:
	s_andn2_b64 vcc, exec, s[0:1]
	s_cbranch_vccnz .LBB355_612
; %bb.611:
	global_load_ushort v3, v[0:1], off
	s_waitcnt vmcnt(0)
	v_cvt_f32_f16_e32 v3, v3
	v_cvt_u32_f32_e32 v3, v3
.LBB355_612:
	s_mov_b64 s[0:1], 0
.LBB355_613:
	s_andn2_b64 vcc, exec, s[0:1]
	s_cbranch_vccnz .LBB355_633
; %bb.614:
	s_cmp_lt_i32 s36, 2
	s_cbranch_scc1 .LBB355_618
; %bb.615:
	s_cmp_lt_i32 s36, 3
	s_cbranch_scc1 .LBB355_619
; %bb.616:
	s_cmp_gt_i32 s36, 3
	s_cbranch_scc0 .LBB355_620
; %bb.617:
	global_load_dword v3, v[0:1], off
	s_mov_b64 s[0:1], 0
	s_branch .LBB355_621
.LBB355_618:
	s_mov_b64 s[0:1], -1
                                        ; implicit-def: $vgpr3
	s_branch .LBB355_627
.LBB355_619:
	s_mov_b64 s[0:1], -1
                                        ; implicit-def: $vgpr3
	s_branch .LBB355_624
.LBB355_620:
	s_mov_b64 s[0:1], -1
                                        ; implicit-def: $vgpr3
.LBB355_621:
	s_andn2_b64 vcc, exec, s[0:1]
	s_cbranch_vccnz .LBB355_623
; %bb.622:
	global_load_dword v3, v[0:1], off
.LBB355_623:
	s_mov_b64 s[0:1], 0
.LBB355_624:
	s_andn2_b64 vcc, exec, s[0:1]
	s_cbranch_vccnz .LBB355_626
; %bb.625:
	global_load_sshort v3, v[0:1], off
.LBB355_626:
	s_mov_b64 s[0:1], 0
.LBB355_627:
	s_andn2_b64 vcc, exec, s[0:1]
	s_cbranch_vccnz .LBB355_633
; %bb.628:
	s_cmp_gt_i32 s36, 0
	s_cbranch_scc0 .LBB355_630
; %bb.629:
	global_load_sbyte v3, v[0:1], off
	s_mov_b64 s[0:1], 0
	s_branch .LBB355_631
.LBB355_630:
	s_mov_b64 s[0:1], -1
                                        ; implicit-def: $vgpr3
.LBB355_631:
	s_andn2_b64 vcc, exec, s[0:1]
	s_cbranch_vccnz .LBB355_633
; %bb.632:
	global_load_ubyte v3, v[0:1], off
.LBB355_633:
	s_mov_b64 s[0:1], -1
.LBB355_634:
	s_andn2_b64 vcc, exec, s[0:1]
	s_cbranch_vccnz .LBB355_642
; %bb.635:
	v_mul_lo_u32 v0, v2, s12
	s_waitcnt vmcnt(0)
	v_cmp_ne_u32_e32 vcc, s15, v3
	v_mov_b32_e32 v1, s9
	s_xor_b64 s[34:35], s[6:7], vcc
	v_ashrrev_i32_e32 v3, 31, v0
	s_and_b32 s43, s33, 0xff
	v_add_co_u32_e32 v0, vcc, s8, v0
	s_cmp_lt_i32 s43, 11
	v_addc_co_u32_e32 v1, vcc, v1, v3, vcc
	s_cbranch_scc1 .LBB355_643
; %bb.636:
	s_and_b32 s44, 0xffff, s43
	s_cmp_gt_i32 s44, 25
	s_cbranch_scc0 .LBB355_644
; %bb.637:
	s_cmp_gt_i32 s44, 28
	s_cbranch_scc0 .LBB355_645
; %bb.638:
	;; [unrolled: 3-line block ×4, first 2 shown]
	s_mov_b64 s[38:39], 0
	s_mov_b64 s[0:1], -1
	s_cmp_eq_u32 s44, 46
	s_mov_b64 s[36:37], 0
	s_cbranch_scc0 .LBB355_648
; %bb.641:
	v_cndmask_b32_e64 v3, 0, 1.0, s[34:35]
	v_bfe_u32 v4, v3, 16, 1
	s_movk_i32 s0, 0x7fff
	v_add3_u32 v3, v3, v4, s0
	v_lshrrev_b32_e32 v3, 16, v3
	global_store_dword v[0:1], v3, off
	s_mov_b64 s[36:37], -1
	s_mov_b64 s[0:1], 0
	s_branch .LBB355_648
.LBB355_642:
	s_mov_b64 s[36:37], 0
                                        ; implicit-def: $vgpr2
	s_mov_b64 s[0:1], s[24:25]
	s_branch .LBB355_759
.LBB355_643:
	s_mov_b64 s[38:39], -1
	s_mov_b64 s[36:37], 0
	s_mov_b64 s[0:1], s[24:25]
	s_branch .LBB355_717
.LBB355_644:
	s_mov_b64 s[38:39], -1
	s_mov_b64 s[36:37], 0
	s_mov_b64 s[0:1], s[24:25]
	s_branch .LBB355_675
.LBB355_645:
	s_mov_b64 s[38:39], -1
	s_mov_b64 s[36:37], 0
	s_mov_b64 s[0:1], s[24:25]
	s_branch .LBB355_658
.LBB355_646:
	s_mov_b64 s[38:39], -1
	s_mov_b64 s[36:37], 0
	s_mov_b64 s[0:1], s[24:25]
	s_branch .LBB355_654
.LBB355_647:
	s_mov_b64 s[38:39], -1
	s_mov_b64 s[36:37], 0
	s_mov_b64 s[0:1], s[24:25]
.LBB355_648:
	s_and_b64 vcc, exec, s[38:39]
	s_cbranch_vccz .LBB355_653
; %bb.649:
	s_cmp_eq_u32 s44, 44
	s_mov_b64 s[0:1], -1
	s_cbranch_scc0 .LBB355_653
; %bb.650:
	v_cndmask_b32_e64 v4, 0, 1.0, s[34:35]
	v_lshrrev_b32_e32 v3, 23, v4
	s_movk_i32 s0, 0xff
	v_cmp_ne_u32_e32 vcc, s0, v3
	v_mov_b32_e32 v5, 0xff
	s_and_saveexec_b64 s[36:37], vcc
; %bb.651:
	s_mov_b32 s0, 0x3fffff
	v_and_b32_e32 v5, 0x400000, v4
	v_and_or_b32 v4, v4, s0, v3
	v_cmp_ne_u32_e32 vcc, 0, v5
	v_cmp_ne_u32_e64 s[0:1], 0, v4
	s_and_b64 s[0:1], vcc, s[0:1]
	v_cndmask_b32_e64 v4, 0, 1, s[0:1]
	v_add_u32_e32 v5, v3, v4
; %bb.652:
	s_or_b64 exec, exec, s[36:37]
	s_mov_b64 s[36:37], -1
	s_mov_b64 s[0:1], 0
	global_store_byte v[0:1], v5, off
.LBB355_653:
	s_mov_b64 s[38:39], 0
.LBB355_654:
	s_and_b64 vcc, exec, s[38:39]
	s_cbranch_vccz .LBB355_657
; %bb.655:
	s_cmp_eq_u32 s44, 29
	s_mov_b64 s[0:1], -1
	s_cbranch_scc0 .LBB355_657
; %bb.656:
	s_mov_b32 s0, 0
	v_cndmask_b32_e64 v3, 0, 1, s[34:35]
	v_mov_b32_e32 v4, s0
	global_store_dwordx2 v[0:1], v[3:4], off
	s_mov_b64 s[36:37], -1
	s_mov_b64 s[0:1], 0
.LBB355_657:
	s_mov_b64 s[38:39], 0
.LBB355_658:
	s_and_b64 vcc, exec, s[38:39]
	s_cbranch_vccz .LBB355_674
; %bb.659:
	s_cmp_lt_i32 s44, 27
	s_mov_b64 s[36:37], -1
	s_cbranch_scc1 .LBB355_665
; %bb.660:
	s_cmp_gt_i32 s44, 27
	s_cbranch_scc0 .LBB355_662
; %bb.661:
	v_cndmask_b32_e64 v3, 0, 1, s[34:35]
	s_mov_b64 s[36:37], 0
	global_store_dword v[0:1], v3, off
.LBB355_662:
	s_andn2_b64 vcc, exec, s[36:37]
	s_cbranch_vccnz .LBB355_664
; %bb.663:
	v_cndmask_b32_e64 v3, 0, 1, s[34:35]
	global_store_short v[0:1], v3, off
.LBB355_664:
	s_mov_b64 s[36:37], 0
.LBB355_665:
	s_andn2_b64 vcc, exec, s[36:37]
	s_cbranch_vccnz .LBB355_673
; %bb.666:
	v_cndmask_b32_e64 v4, 0, 1.0, s[34:35]
	s_mov_b32 s36, 0x43800000
	v_cmp_gt_u32_e32 vcc, s36, v4
	v_mov_b32_e32 v5, 0x80
	s_and_saveexec_b64 s[36:37], vcc
	s_cbranch_execz .LBB355_672
; %bb.667:
	s_mov_b32 s38, 0x3bffffff
	v_cmp_lt_u32_e32 vcc, s38, v4
	s_mov_b64 s[38:39], 0
                                        ; implicit-def: $vgpr3
	s_and_saveexec_b64 s[40:41], vcc
	s_xor_b64 s[40:41], exec, s[40:41]
	s_cbranch_execz .LBB355_773
; %bb.668:
	v_bfe_u32 v3, v4, 20, 1
	s_mov_b32 s45, 0x487ffff
	v_add3_u32 v3, v4, v3, s45
	s_mov_b64 s[38:39], exec
	v_lshrrev_b32_e32 v3, 20, v3
                                        ; implicit-def: $vgpr4
	s_andn2_saveexec_b64 s[40:41], s[40:41]
	s_cbranch_execnz .LBB355_774
.LBB355_669:
	s_or_b64 exec, exec, s[40:41]
	v_mov_b32_e32 v5, 0
	s_and_saveexec_b64 s[40:41], s[38:39]
.LBB355_670:
	v_mov_b32_e32 v5, v3
.LBB355_671:
	s_or_b64 exec, exec, s[40:41]
.LBB355_672:
	s_or_b64 exec, exec, s[36:37]
	global_store_byte v[0:1], v5, off
.LBB355_673:
	s_mov_b64 s[36:37], -1
.LBB355_674:
	s_mov_b64 s[38:39], 0
.LBB355_675:
	s_and_b64 vcc, exec, s[38:39]
	s_cbranch_vccz .LBB355_716
; %bb.676:
	s_cmp_gt_i32 s44, 22
	s_mov_b64 s[38:39], -1
	s_cbranch_scc0 .LBB355_708
; %bb.677:
	s_cmp_lt_i32 s44, 24
	s_mov_b64 s[36:37], -1
	s_cbranch_scc1 .LBB355_697
; %bb.678:
	s_cmp_gt_i32 s44, 24
	s_cbranch_scc0 .LBB355_686
; %bb.679:
	v_cndmask_b32_e64 v4, 0, 1.0, s[34:35]
	s_mov_b32 s36, 0x47800000
	v_cmp_gt_u32_e32 vcc, s36, v4
	v_mov_b32_e32 v5, 0x80
	s_and_saveexec_b64 s[36:37], vcc
	s_cbranch_execz .LBB355_685
; %bb.680:
	s_mov_b32 s38, 0x37ffffff
	v_cmp_lt_u32_e32 vcc, s38, v4
	s_mov_b64 s[38:39], 0
                                        ; implicit-def: $vgpr3
	s_and_saveexec_b64 s[40:41], vcc
	s_xor_b64 s[40:41], exec, s[40:41]
	s_cbranch_execz .LBB355_776
; %bb.681:
	v_bfe_u32 v3, v4, 21, 1
	s_mov_b32 s45, 0x88fffff
	v_add3_u32 v3, v4, v3, s45
	s_mov_b64 s[38:39], exec
	v_lshrrev_b32_e32 v3, 21, v3
                                        ; implicit-def: $vgpr4
	s_andn2_saveexec_b64 s[40:41], s[40:41]
	s_cbranch_execnz .LBB355_777
.LBB355_682:
	s_or_b64 exec, exec, s[40:41]
	v_mov_b32_e32 v5, 0
	s_and_saveexec_b64 s[40:41], s[38:39]
.LBB355_683:
	v_mov_b32_e32 v5, v3
.LBB355_684:
	s_or_b64 exec, exec, s[40:41]
.LBB355_685:
	s_or_b64 exec, exec, s[36:37]
	s_mov_b64 s[36:37], 0
	global_store_byte v[0:1], v5, off
.LBB355_686:
	s_and_b64 vcc, exec, s[36:37]
	s_cbranch_vccz .LBB355_696
; %bb.687:
	v_cndmask_b32_e64 v3, 0, 1.0, s[34:35]
	s_mov_b32 s36, 0x43f00000
	v_cmp_gt_u32_e32 vcc, s36, v3
                                        ; implicit-def: $vgpr4
	s_and_saveexec_b64 s[36:37], vcc
	s_xor_b64 s[36:37], exec, s[36:37]
	s_cbranch_execz .LBB355_693
; %bb.688:
	s_mov_b32 s38, 0x3c7fffff
	v_cmp_lt_u32_e32 vcc, s38, v3
                                        ; implicit-def: $vgpr4
	s_and_saveexec_b64 s[38:39], vcc
	s_xor_b64 s[38:39], exec, s[38:39]
; %bb.689:
	v_bfe_u32 v4, v3, 20, 1
	s_mov_b32 s40, 0x407ffff
	v_add3_u32 v3, v3, v4, s40
	v_lshrrev_b32_e32 v4, 20, v3
	v_and_b32_e32 v3, 0xff00000, v3
	s_mov_b32 s40, 0x7f00000
	v_mov_b32_e32 v5, 0x7e
	v_cmp_ne_u32_e32 vcc, s40, v3
	v_cndmask_b32_e32 v4, v5, v4, vcc
                                        ; implicit-def: $vgpr3
; %bb.690:
	s_andn2_saveexec_b64 s[38:39], s[38:39]
; %bb.691:
	v_add_f32_e32 v4, 0x46800000, v3
; %bb.692:
	s_or_b64 exec, exec, s[38:39]
                                        ; implicit-def: $vgpr3
.LBB355_693:
	s_andn2_saveexec_b64 s[36:37], s[36:37]
; %bb.694:
	s_mov_b32 s38, 0x7f800000
	v_mov_b32_e32 v4, 0x7e
	v_mov_b32_e32 v5, 0x7f
	v_cmp_lt_u32_e32 vcc, s38, v3
	v_cndmask_b32_e32 v4, v4, v5, vcc
; %bb.695:
	s_or_b64 exec, exec, s[36:37]
	global_store_byte v[0:1], v4, off
.LBB355_696:
	s_mov_b64 s[36:37], 0
.LBB355_697:
	s_andn2_b64 vcc, exec, s[36:37]
	s_cbranch_vccnz .LBB355_707
; %bb.698:
	v_cndmask_b32_e64 v3, 0, 1.0, s[34:35]
	s_mov_b32 s36, 0x47800000
	v_cmp_gt_u32_e32 vcc, s36, v3
                                        ; implicit-def: $vgpr4
	s_and_saveexec_b64 s[36:37], vcc
	s_xor_b64 s[36:37], exec, s[36:37]
	s_cbranch_execz .LBB355_704
; %bb.699:
	s_mov_b32 s38, 0x387fffff
	v_cmp_lt_u32_e32 vcc, s38, v3
                                        ; implicit-def: $vgpr4
	s_and_saveexec_b64 s[38:39], vcc
	s_xor_b64 s[38:39], exec, s[38:39]
; %bb.700:
	v_bfe_u32 v4, v3, 21, 1
	s_mov_b32 s40, 0x80fffff
	v_add3_u32 v3, v3, v4, s40
	v_lshrrev_b32_e32 v4, 21, v3
                                        ; implicit-def: $vgpr3
; %bb.701:
	s_andn2_saveexec_b64 s[38:39], s[38:39]
; %bb.702:
	v_add_f32_e32 v4, 0x43000000, v3
; %bb.703:
	s_or_b64 exec, exec, s[38:39]
                                        ; implicit-def: $vgpr3
.LBB355_704:
	s_andn2_saveexec_b64 s[36:37], s[36:37]
; %bb.705:
	s_mov_b32 s38, 0x7f800000
	v_mov_b32_e32 v4, 0x7c
	v_mov_b32_e32 v5, 0x7f
	v_cmp_lt_u32_e32 vcc, s38, v3
	v_cndmask_b32_e32 v4, v4, v5, vcc
; %bb.706:
	s_or_b64 exec, exec, s[36:37]
	global_store_byte v[0:1], v4, off
.LBB355_707:
	s_mov_b64 s[38:39], 0
	s_mov_b64 s[36:37], -1
.LBB355_708:
	s_andn2_b64 vcc, exec, s[38:39]
	s_cbranch_vccnz .LBB355_716
; %bb.709:
	s_cmp_gt_i32 s44, 14
	s_mov_b64 s[38:39], -1
	s_cbranch_scc0 .LBB355_713
; %bb.710:
	s_cmp_eq_u32 s44, 15
	s_mov_b64 s[0:1], -1
	s_cbranch_scc0 .LBB355_712
; %bb.711:
	v_cndmask_b32_e64 v3, 0, 1.0, s[34:35]
	v_bfe_u32 v4, v3, 16, 1
	s_movk_i32 s0, 0x7fff
	v_add3_u32 v3, v3, v4, s0
	global_store_short_d16_hi v[0:1], v3, off
	s_mov_b64 s[36:37], -1
	s_mov_b64 s[0:1], 0
.LBB355_712:
	s_mov_b64 s[38:39], 0
.LBB355_713:
	s_and_b64 vcc, exec, s[38:39]
	s_cbranch_vccz .LBB355_716
; %bb.714:
	s_cmp_eq_u32 s44, 11
	s_mov_b64 s[0:1], -1
	s_cbranch_scc0 .LBB355_716
; %bb.715:
	v_cndmask_b32_e64 v3, 0, 1, s[34:35]
	s_mov_b64 s[36:37], -1
	s_mov_b64 s[0:1], 0
	global_store_byte v[0:1], v3, off
.LBB355_716:
	s_mov_b64 s[38:39], 0
.LBB355_717:
	s_and_b64 vcc, exec, s[38:39]
	s_cbranch_vccz .LBB355_756
; %bb.718:
	s_and_b32 s38, 0xffff, s43
	s_cmp_lt_i32 s38, 5
	s_mov_b64 s[36:37], -1
	s_cbranch_scc1 .LBB355_739
; %bb.719:
	s_cmp_lt_i32 s38, 8
	s_cbranch_scc1 .LBB355_729
; %bb.720:
	s_cmp_lt_i32 s38, 9
	s_cbranch_scc1 .LBB355_726
; %bb.721:
	s_cmp_gt_i32 s38, 9
	s_cbranch_scc0 .LBB355_723
; %bb.722:
	v_cndmask_b32_e64 v3, 0, 1, s[34:35]
	v_cvt_f64_u32_e32 v[3:4], v3
	v_mov_b32_e32 v5, 0
	v_mov_b32_e32 v6, v5
	s_mov_b64 s[36:37], 0
	global_store_dwordx4 v[0:1], v[3:6], off
.LBB355_723:
	s_andn2_b64 vcc, exec, s[36:37]
	s_cbranch_vccnz .LBB355_725
; %bb.724:
	v_cndmask_b32_e64 v3, 0, 1.0, s[34:35]
	v_mov_b32_e32 v4, 0
	global_store_dwordx2 v[0:1], v[3:4], off
.LBB355_725:
	s_mov_b64 s[36:37], 0
.LBB355_726:
	s_andn2_b64 vcc, exec, s[36:37]
	s_cbranch_vccnz .LBB355_728
; %bb.727:
	v_cndmask_b32_e64 v3, 0, 1.0, s[34:35]
	v_cvt_f16_f32_e32 v3, v3
	global_store_dword v[0:1], v3, off
.LBB355_728:
	s_mov_b64 s[36:37], 0
.LBB355_729:
	s_andn2_b64 vcc, exec, s[36:37]
	s_cbranch_vccnz .LBB355_738
; %bb.730:
	s_cmp_lt_i32 s38, 6
	s_mov_b64 s[36:37], -1
	s_cbranch_scc1 .LBB355_736
; %bb.731:
	s_cmp_gt_i32 s38, 6
	s_cbranch_scc0 .LBB355_733
; %bb.732:
	v_cndmask_b32_e64 v3, 0, 1, s[34:35]
	v_cvt_f64_u32_e32 v[3:4], v3
	s_mov_b64 s[36:37], 0
	global_store_dwordx2 v[0:1], v[3:4], off
.LBB355_733:
	s_andn2_b64 vcc, exec, s[36:37]
	s_cbranch_vccnz .LBB355_735
; %bb.734:
	v_cndmask_b32_e64 v3, 0, 1.0, s[34:35]
	global_store_dword v[0:1], v3, off
.LBB355_735:
	s_mov_b64 s[36:37], 0
.LBB355_736:
	s_andn2_b64 vcc, exec, s[36:37]
	s_cbranch_vccnz .LBB355_738
; %bb.737:
	v_cndmask_b32_e64 v3, 0, 1.0, s[34:35]
	v_cvt_f16_f32_e32 v3, v3
	global_store_short v[0:1], v3, off
.LBB355_738:
	s_mov_b64 s[36:37], 0
.LBB355_739:
	s_andn2_b64 vcc, exec, s[36:37]
	s_cbranch_vccnz .LBB355_755
; %bb.740:
	s_cmp_lt_i32 s38, 2
	s_mov_b64 s[36:37], -1
	s_cbranch_scc1 .LBB355_750
; %bb.741:
	s_cmp_lt_i32 s38, 3
	s_cbranch_scc1 .LBB355_747
; %bb.742:
	s_cmp_gt_i32 s38, 3
	s_cbranch_scc0 .LBB355_744
; %bb.743:
	s_mov_b32 s36, 0
	v_cndmask_b32_e64 v3, 0, 1, s[34:35]
	v_mov_b32_e32 v4, s36
	s_mov_b64 s[36:37], 0
	global_store_dwordx2 v[0:1], v[3:4], off
.LBB355_744:
	s_andn2_b64 vcc, exec, s[36:37]
	s_cbranch_vccnz .LBB355_746
; %bb.745:
	v_cndmask_b32_e64 v3, 0, 1, s[34:35]
	global_store_dword v[0:1], v3, off
.LBB355_746:
	s_mov_b64 s[36:37], 0
.LBB355_747:
	s_andn2_b64 vcc, exec, s[36:37]
	s_cbranch_vccnz .LBB355_749
; %bb.748:
	v_cndmask_b32_e64 v3, 0, 1, s[34:35]
	global_store_short v[0:1], v3, off
.LBB355_749:
	s_mov_b64 s[36:37], 0
.LBB355_750:
	s_andn2_b64 vcc, exec, s[36:37]
	s_cbranch_vccnz .LBB355_755
; %bb.751:
	s_mov_b64 s[36:37], -1
	s_cmp_gt_i32 s38, 0
	v_cndmask_b32_e64 v3, 0, 1, s[34:35]
	s_cbranch_scc0 .LBB355_753
; %bb.752:
	s_mov_b64 s[36:37], 0
	global_store_byte v[0:1], v3, off
.LBB355_753:
	s_andn2_b64 vcc, exec, s[36:37]
	s_cbranch_vccnz .LBB355_755
; %bb.754:
	global_store_byte v[0:1], v3, off
.LBB355_755:
	s_mov_b64 s[36:37], -1
.LBB355_756:
	s_andn2_b64 vcc, exec, s[36:37]
	s_cbranch_vccnz .LBB355_758
; %bb.757:
	v_add_u32_e32 v2, 0x80, v2
	s_mov_b64 s[36:37], -1
	s_branch .LBB355_759
.LBB355_758:
	s_mov_b64 s[36:37], 0
                                        ; implicit-def: $vgpr2
.LBB355_759:
	s_andn2_b64 s[34:35], s[24:25], exec
	s_and_b64 s[0:1], s[0:1], exec
	s_or_b64 s[34:35], s[34:35], s[0:1]
	s_andn2_b64 s[0:1], s[22:23], exec
	s_and_b64 s[30:31], s[30:31], exec
	s_or_b64 s[0:1], s[0:1], s[30:31]
	s_orn2_b64 s[38:39], s[36:37], exec
.LBB355_760:
	s_or_b64 exec, exec, s[28:29]
	s_mov_b64 s[36:37], 0
	s_mov_b64 s[30:31], 0
	;; [unrolled: 1-line block ×3, first 2 shown]
                                        ; implicit-def: $vgpr0_vgpr1
                                        ; implicit-def: $vgpr3
	s_and_saveexec_b64 s[28:29], s[38:39]
	s_cbranch_execz .LBB355_841
; %bb.761:
	v_cmp_gt_i32_e32 vcc, s42, v2
	s_mov_b64 s[38:39], 0
	s_mov_b64 s[42:43], s[0:1]
	;; [unrolled: 1-line block ×3, first 2 shown]
                                        ; implicit-def: $vgpr0_vgpr1
                                        ; implicit-def: $vgpr3
	s_and_saveexec_b64 s[30:31], vcc
	s_cbranch_execz .LBB355_840
; %bb.762:
	v_mul_lo_u32 v0, v2, s13
	v_mov_b32_e32 v1, s11
	s_and_b32 s44, 0xffff, s46
	s_cmp_lt_i32 s44, 11
	s_waitcnt vmcnt(0)
	v_ashrrev_i32_e32 v3, 31, v0
	v_add_co_u32_e32 v0, vcc, s10, v0
	v_addc_co_u32_e32 v1, vcc, v1, v3, vcc
	s_cbranch_scc1 .LBB355_769
; %bb.763:
	s_cmp_gt_i32 s44, 25
	s_cbranch_scc0 .LBB355_770
; %bb.764:
	s_cmp_gt_i32 s44, 28
	s_cbranch_scc0 .LBB355_771
	;; [unrolled: 3-line block ×4, first 2 shown]
; %bb.767:
	s_cmp_eq_u32 s44, 46
	s_mov_b64 s[42:43], 0
	s_cbranch_scc0 .LBB355_778
; %bb.768:
	global_load_dword v3, v[0:1], off
	s_mov_b64 s[40:41], -1
	s_waitcnt vmcnt(0)
	v_lshlrev_b32_e32 v3, 16, v3
	v_cvt_u32_f32_e32 v3, v3
	s_branch .LBB355_780
.LBB355_769:
	s_mov_b64 s[42:43], -1
                                        ; implicit-def: $vgpr3
	s_mov_b64 s[36:37], s[0:1]
	s_branch .LBB355_839
.LBB355_770:
	s_mov_b64 s[42:43], -1
	s_mov_b64 s[36:37], s[0:1]
                                        ; implicit-def: $vgpr3
	s_branch .LBB355_807
.LBB355_771:
	s_mov_b64 s[42:43], -1
	s_mov_b64 s[36:37], s[0:1]
                                        ; implicit-def: $vgpr3
	s_branch .LBB355_790
.LBB355_772:
	s_mov_b64 s[42:43], -1
	s_mov_b64 s[36:37], s[0:1]
                                        ; implicit-def: $vgpr3
	s_branch .LBB355_785
.LBB355_773:
	s_andn2_saveexec_b64 s[40:41], s[40:41]
	s_cbranch_execz .LBB355_669
.LBB355_774:
	v_add_f32_e32 v3, 0x46000000, v4
	v_and_b32_e32 v3, 0xff, v3
	v_cmp_ne_u32_e32 vcc, 0, v3
	s_andn2_b64 s[38:39], s[38:39], exec
	s_and_b64 s[48:49], vcc, exec
	s_or_b64 s[38:39], s[38:39], s[48:49]
	s_or_b64 exec, exec, s[40:41]
	v_mov_b32_e32 v5, 0
	s_and_saveexec_b64 s[40:41], s[38:39]
	s_cbranch_execnz .LBB355_670
	s_branch .LBB355_671
.LBB355_775:
	s_mov_b64 s[42:43], -1
	s_mov_b64 s[36:37], s[0:1]
	s_branch .LBB355_779
.LBB355_776:
	s_andn2_saveexec_b64 s[40:41], s[40:41]
	s_cbranch_execz .LBB355_682
.LBB355_777:
	v_add_f32_e32 v3, 0x42800000, v4
	v_and_b32_e32 v3, 0xff, v3
	v_cmp_ne_u32_e32 vcc, 0, v3
	s_andn2_b64 s[38:39], s[38:39], exec
	s_and_b64 s[48:49], vcc, exec
	s_or_b64 s[38:39], s[38:39], s[48:49]
	s_or_b64 exec, exec, s[40:41]
	v_mov_b32_e32 v5, 0
	s_and_saveexec_b64 s[40:41], s[38:39]
	s_cbranch_execnz .LBB355_683
	s_branch .LBB355_684
.LBB355_778:
	s_mov_b64 s[36:37], -1
.LBB355_779:
                                        ; implicit-def: $vgpr3
.LBB355_780:
	s_and_b64 vcc, exec, s[42:43]
	s_cbranch_vccz .LBB355_784
; %bb.781:
	s_cmp_eq_u32 s44, 44
	s_cbranch_scc0 .LBB355_783
; %bb.782:
	global_load_ubyte v3, v[0:1], off
	s_mov_b64 s[36:37], 0
	s_mov_b64 s[40:41], -1
	s_waitcnt vmcnt(0)
	v_lshlrev_b32_e32 v4, 23, v3
	v_cvt_u32_f32_e32 v4, v4
	v_cmp_ne_u32_e32 vcc, 0, v3
	v_cndmask_b32_e32 v3, 0, v4, vcc
	s_branch .LBB355_784
.LBB355_783:
	s_mov_b64 s[36:37], -1
                                        ; implicit-def: $vgpr3
.LBB355_784:
	s_mov_b64 s[42:43], 0
.LBB355_785:
	s_and_b64 vcc, exec, s[42:43]
	s_cbranch_vccz .LBB355_789
; %bb.786:
	s_cmp_eq_u32 s44, 29
	s_cbranch_scc0 .LBB355_788
; %bb.787:
	global_load_dword v3, v[0:1], off
	s_mov_b64 s[36:37], 0
	s_mov_b64 s[40:41], -1
	s_branch .LBB355_789
.LBB355_788:
	s_mov_b64 s[36:37], -1
                                        ; implicit-def: $vgpr3
.LBB355_789:
	s_mov_b64 s[42:43], 0
.LBB355_790:
	s_and_b64 vcc, exec, s[42:43]
	s_cbranch_vccz .LBB355_806
; %bb.791:
	s_cmp_lt_i32 s44, 27
	s_cbranch_scc1 .LBB355_794
; %bb.792:
	s_cmp_gt_i32 s44, 27
	s_cbranch_scc0 .LBB355_795
; %bb.793:
	global_load_dword v3, v[0:1], off
	s_mov_b64 s[40:41], 0
	s_branch .LBB355_796
.LBB355_794:
	s_mov_b64 s[40:41], -1
                                        ; implicit-def: $vgpr3
	s_branch .LBB355_799
.LBB355_795:
	s_mov_b64 s[40:41], -1
                                        ; implicit-def: $vgpr3
.LBB355_796:
	s_andn2_b64 vcc, exec, s[40:41]
	s_cbranch_vccnz .LBB355_798
; %bb.797:
	global_load_ushort v3, v[0:1], off
.LBB355_798:
	s_mov_b64 s[40:41], 0
.LBB355_799:
	s_andn2_b64 vcc, exec, s[40:41]
	s_cbranch_vccnz .LBB355_805
; %bb.800:
	global_load_ubyte v4, v[0:1], off
	s_movk_i32 s40, 0x7f
	s_mov_b64 s[42:43], 0
	s_waitcnt vmcnt(0)
	v_cmp_lt_i16_e32 vcc, s40, v4
	s_and_saveexec_b64 s[40:41], vcc
	s_xor_b64 s[40:41], exec, s[40:41]
	s_cbranch_execz .LBB355_817
; %bb.801:
	s_movk_i32 s42, 0x80
	v_cmp_ne_u16_e32 vcc, s42, v4
	s_and_b64 s[42:43], vcc, exec
	s_andn2_saveexec_b64 s[40:41], s[40:41]
	s_cbranch_execnz .LBB355_818
.LBB355_802:
	s_or_b64 exec, exec, s[40:41]
	v_mov_b32_e32 v3, 0
	s_and_saveexec_b64 s[40:41], s[42:43]
	s_cbranch_execz .LBB355_804
.LBB355_803:
	v_lshlrev_b32_e32 v3, 24, v4
	v_and_b32_e32 v4, 0xffff, v4
	v_and_b32_e32 v5, 7, v4
	v_ffbh_u32_e32 v7, v5
	v_min_u32_e32 v7, 32, v7
	v_subrev_u32_e32 v8, 28, v7
	v_bfe_u32 v6, v4, 3, 4
	v_lshlrev_b32_e32 v4, v8, v4
	v_sub_u32_e32 v7, 29, v7
	v_and_b32_e32 v4, 7, v4
	v_cmp_eq_u32_e32 vcc, 0, v6
	v_cndmask_b32_e32 v6, v6, v7, vcc
	v_cndmask_b32_e32 v4, v5, v4, vcc
	v_mov_b32_e32 v5, 0x3b800000
	v_lshlrev_b32_e32 v4, 20, v4
	v_and_b32_e32 v3, 0x80000000, v3
	v_lshl_add_u32 v5, v6, 23, v5
	v_or3_b32 v3, v3, v5, v4
	v_cvt_u32_f32_e32 v3, v3
.LBB355_804:
	s_or_b64 exec, exec, s[40:41]
.LBB355_805:
	s_mov_b64 s[40:41], -1
.LBB355_806:
	s_mov_b64 s[42:43], 0
.LBB355_807:
	s_and_b64 vcc, exec, s[42:43]
	s_cbranch_vccz .LBB355_838
; %bb.808:
	s_cmp_gt_i32 s44, 22
	s_cbranch_scc0 .LBB355_816
; %bb.809:
	s_cmp_lt_i32 s44, 24
	s_cbranch_scc1 .LBB355_819
; %bb.810:
	s_cmp_gt_i32 s44, 24
	s_cbranch_scc0 .LBB355_820
; %bb.811:
	global_load_ubyte v4, v[0:1], off
	s_movk_i32 s38, 0x7f
	s_mov_b64 s[40:41], 0
	s_waitcnt vmcnt(0)
	v_cmp_lt_i16_e32 vcc, s38, v4
	s_and_saveexec_b64 s[38:39], vcc
	s_xor_b64 s[38:39], exec, s[38:39]
	s_cbranch_execz .LBB355_832
; %bb.812:
	s_movk_i32 s40, 0x80
	v_cmp_ne_u16_e32 vcc, s40, v4
	s_and_b64 s[40:41], vcc, exec
	s_andn2_saveexec_b64 s[38:39], s[38:39]
	s_cbranch_execnz .LBB355_833
.LBB355_813:
	s_or_b64 exec, exec, s[38:39]
	v_mov_b32_e32 v3, 0
	s_and_saveexec_b64 s[38:39], s[40:41]
	s_cbranch_execz .LBB355_815
.LBB355_814:
	v_lshlrev_b32_e32 v3, 24, v4
	v_and_b32_e32 v4, 0xffff, v4
	v_and_b32_e32 v5, 3, v4
	v_ffbh_u32_e32 v7, v5
	v_min_u32_e32 v7, 32, v7
	v_subrev_u32_e32 v8, 29, v7
	v_bfe_u32 v6, v4, 2, 5
	v_lshlrev_b32_e32 v4, v8, v4
	v_sub_u32_e32 v7, 30, v7
	v_and_b32_e32 v4, 3, v4
	v_cmp_eq_u32_e32 vcc, 0, v6
	v_cndmask_b32_e32 v6, v6, v7, vcc
	v_cndmask_b32_e32 v4, v5, v4, vcc
	v_mov_b32_e32 v5, 0x37800000
	v_lshlrev_b32_e32 v4, 21, v4
	v_and_b32_e32 v3, 0x80000000, v3
	v_lshl_add_u32 v5, v6, 23, v5
	v_or3_b32 v3, v3, v5, v4
	v_cvt_u32_f32_e32 v3, v3
.LBB355_815:
	s_or_b64 exec, exec, s[38:39]
	s_mov_b64 s[38:39], 0
	s_branch .LBB355_821
.LBB355_816:
	s_mov_b64 s[38:39], -1
                                        ; implicit-def: $vgpr3
	s_branch .LBB355_827
.LBB355_817:
	s_andn2_saveexec_b64 s[40:41], s[40:41]
	s_cbranch_execz .LBB355_802
.LBB355_818:
	v_cmp_ne_u16_e32 vcc, 0, v4
	s_andn2_b64 s[42:43], s[42:43], exec
	s_and_b64 s[48:49], vcc, exec
	s_or_b64 s[42:43], s[42:43], s[48:49]
	s_or_b64 exec, exec, s[40:41]
	v_mov_b32_e32 v3, 0
	s_and_saveexec_b64 s[40:41], s[42:43]
	s_cbranch_execnz .LBB355_803
	s_branch .LBB355_804
.LBB355_819:
	s_mov_b64 s[38:39], -1
                                        ; implicit-def: $vgpr3
	s_branch .LBB355_824
.LBB355_820:
	s_mov_b64 s[38:39], -1
                                        ; implicit-def: $vgpr3
.LBB355_821:
	s_and_b64 vcc, exec, s[38:39]
	s_cbranch_vccz .LBB355_823
; %bb.822:
	global_load_ubyte v3, v[0:1], off
	s_mov_b32 s38, 0x7f800000
	s_waitcnt vmcnt(0)
	v_lshlrev_b32_e32 v3, 24, v3
	v_and_b32_e32 v4, 0x7f000000, v3
	v_ffbh_u32_e32 v5, v4
	v_min_u32_e32 v5, 32, v5
	v_sub_u32_e64 v5, v5, 4 clamp
	v_lshlrev_b32_e32 v7, v5, v4
	v_lshlrev_b32_e32 v5, 23, v5
	v_lshrrev_b32_e32 v7, 4, v7
	v_add_u32_e32 v6, 0x1000000, v4
	v_sub_u32_e32 v5, v7, v5
	v_ashrrev_i32_e32 v6, 8, v6
	v_add_u32_e32 v5, 0x3c000000, v5
	v_and_or_b32 v5, v6, s38, v5
	v_cmp_ne_u32_e32 vcc, 0, v4
	v_cndmask_b32_e32 v4, 0, v5, vcc
	s_brev_b32 s38, 1
	v_and_or_b32 v3, v3, s38, v4
	v_cvt_u32_f32_e32 v3, v3
.LBB355_823:
	s_mov_b64 s[38:39], 0
.LBB355_824:
	s_andn2_b64 vcc, exec, s[38:39]
	s_cbranch_vccnz .LBB355_826
; %bb.825:
	global_load_ubyte v3, v[0:1], off
	s_movk_i32 s38, 0x7f00
	s_brev_b32 s39, 16
	s_waitcnt vmcnt(0)
	v_lshlrev_b16_e32 v4, 8, v3
	v_lshlrev_b32_e32 v3, 25, v3
	v_lshrrev_b32_e32 v5, 4, v3
	v_and_or_b32 v6, v4, s38, 0.5
	v_or_b32_e32 v5, 0x70000000, v5
	v_add_f32_e32 v6, -0.5, v6
	v_mul_f32_e32 v5, 0x7800000, v5
	v_cmp_gt_u32_e32 vcc, s39, v3
	v_bfe_i32 v4, v4, 0, 16
	v_cndmask_b32_e32 v3, v5, v6, vcc
	s_brev_b32 s38, 1
	v_and_or_b32 v3, v4, s38, v3
	v_cvt_u32_f32_e32 v3, v3
.LBB355_826:
	s_mov_b64 s[38:39], 0
	s_mov_b64 s[40:41], -1
.LBB355_827:
	s_andn2_b64 vcc, exec, s[38:39]
	s_mov_b64 s[38:39], 0
	s_cbranch_vccnz .LBB355_838
; %bb.828:
	s_cmp_gt_i32 s44, 14
	s_cbranch_scc0 .LBB355_831
; %bb.829:
	s_cmp_eq_u32 s44, 15
	s_cbranch_scc0 .LBB355_834
; %bb.830:
	global_load_ushort v3, v[0:1], off
	s_mov_b64 s[36:37], 0
	s_mov_b64 s[40:41], -1
	s_waitcnt vmcnt(0)
	v_lshlrev_b32_e32 v3, 16, v3
	v_cvt_u32_f32_e32 v3, v3
	s_branch .LBB355_835
.LBB355_831:
	s_mov_b64 s[42:43], -1
                                        ; implicit-def: $vgpr3
	s_branch .LBB355_836
.LBB355_832:
	s_andn2_saveexec_b64 s[38:39], s[38:39]
	s_cbranch_execz .LBB355_813
.LBB355_833:
	v_cmp_ne_u16_e32 vcc, 0, v4
	s_andn2_b64 s[40:41], s[40:41], exec
	s_and_b64 s[42:43], vcc, exec
	s_or_b64 s[40:41], s[40:41], s[42:43]
	s_or_b64 exec, exec, s[38:39]
	v_mov_b32_e32 v3, 0
	s_and_saveexec_b64 s[38:39], s[40:41]
	s_cbranch_execnz .LBB355_814
	s_branch .LBB355_815
.LBB355_834:
	s_mov_b64 s[36:37], -1
                                        ; implicit-def: $vgpr3
.LBB355_835:
	s_mov_b64 s[42:43], 0
.LBB355_836:
	s_and_b64 vcc, exec, s[42:43]
	s_cbranch_vccz .LBB355_838
; %bb.837:
	s_cmp_lg_u32 s44, 11
	s_cselect_b64 s[42:43], -1, 0
	s_andn2_b64 s[36:37], s[36:37], exec
	s_and_b64 s[42:43], s[42:43], exec
	s_mov_b64 s[38:39], -1
	s_or_b64 s[36:37], s[36:37], s[42:43]
.LBB355_838:
	s_mov_b64 s[42:43], 0
.LBB355_839:
	s_and_b64 s[44:45], s[42:43], exec
	s_andn2_b64 s[42:43], s[0:1], exec
	s_and_b64 s[36:37], s[36:37], exec
	s_and_b64 s[40:41], s[40:41], exec
	;; [unrolled: 1-line block ×3, first 2 shown]
	s_or_b64 s[42:43], s[42:43], s[36:37]
.LBB355_840:
	s_or_b64 exec, exec, s[30:31]
	s_and_b64 s[36:37], s[38:39], exec
	s_andn2_b64 s[0:1], s[0:1], exec
	s_and_b64 s[38:39], s[42:43], exec
	s_and_b64 s[40:41], s[40:41], exec
	;; [unrolled: 1-line block ×3, first 2 shown]
	s_or_b64 s[0:1], s[0:1], s[38:39]
.LBB355_841:
	s_or_b64 exec, exec, s[28:29]
	s_andn2_b64 s[24:25], s[24:25], exec
	s_and_b64 s[28:29], s[34:35], exec
	s_andn2_b64 s[22:23], s[22:23], exec
	s_and_b64 s[0:1], s[0:1], exec
	s_or_b64 s[24:25], s[24:25], s[28:29]
	s_and_b64 s[34:35], s[40:41], exec
	s_and_b64 s[30:31], s[30:31], exec
	s_and_b64 s[28:29], s[36:37], exec
	s_or_b64 s[22:23], s[22:23], s[0:1]
.LBB355_842:
	s_or_b64 exec, exec, s[26:27]
	s_andn2_b64 s[0:1], s[16:17], exec
	s_and_b64 s[16:17], s[24:25], exec
	s_andn2_b64 s[18:19], s[18:19], exec
	s_and_b64 s[22:23], s[22:23], exec
	s_or_b64 s[16:17], s[0:1], s[16:17]
	s_and_b64 s[0:1], s[34:35], exec
	s_and_b64 s[26:27], s[30:31], exec
	;; [unrolled: 1-line block ×3, first 2 shown]
	s_or_b64 s[18:19], s[18:19], s[22:23]
	s_or_b64 exec, exec, s[20:21]
	s_mov_b64 s[20:21], 0
	s_and_saveexec_b64 s[22:23], s[18:19]
	s_cbranch_execz .LBB355_258
.LBB355_843:
	s_mov_b64 s[20:21], exec
	s_andn2_b64 s[24:25], s[24:25], exec
	s_trap 2
	s_or_b64 exec, exec, s[22:23]
	s_and_saveexec_b64 s[18:19], s[24:25]
	s_xor_b64 s[18:19], exec, s[18:19]
	s_cbranch_execnz .LBB355_259
.LBB355_844:
	s_or_b64 exec, exec, s[18:19]
	s_and_saveexec_b64 s[18:19], s[26:27]
	s_cbranch_execz .LBB355_890
.LBB355_845:
	s_sext_i32_i16 s22, s46
	s_cmp_lt_i32 s22, 5
	s_cbranch_scc1 .LBB355_850
; %bb.846:
	s_cmp_lt_i32 s22, 8
	s_cbranch_scc1 .LBB355_851
; %bb.847:
	;; [unrolled: 3-line block ×3, first 2 shown]
	s_cmp_gt_i32 s22, 9
	s_cbranch_scc0 .LBB355_853
; %bb.849:
	global_load_dwordx2 v[3:4], v[0:1], off
	s_mov_b64 s[22:23], 0
	s_waitcnt vmcnt(0)
	v_cvt_u32_f64_e32 v3, v[3:4]
	s_branch .LBB355_854
.LBB355_850:
                                        ; implicit-def: $vgpr3
	s_branch .LBB355_871
.LBB355_851:
                                        ; implicit-def: $vgpr3
	s_branch .LBB355_860
.LBB355_852:
	s_mov_b64 s[22:23], -1
                                        ; implicit-def: $vgpr3
	s_branch .LBB355_857
.LBB355_853:
	s_mov_b64 s[22:23], -1
                                        ; implicit-def: $vgpr3
.LBB355_854:
	s_andn2_b64 vcc, exec, s[22:23]
	s_cbranch_vccnz .LBB355_856
; %bb.855:
	global_load_dword v3, v[0:1], off
	s_waitcnt vmcnt(0)
	v_cvt_u32_f32_e32 v3, v3
.LBB355_856:
	s_mov_b64 s[22:23], 0
.LBB355_857:
	s_andn2_b64 vcc, exec, s[22:23]
	s_cbranch_vccnz .LBB355_859
; %bb.858:
	global_load_dword v3, v[0:1], off
	s_waitcnt vmcnt(0)
	v_cvt_f32_f16_e32 v3, v3
	v_cvt_u32_f32_e32 v3, v3
.LBB355_859:
	s_cbranch_execnz .LBB355_870
.LBB355_860:
	s_sext_i32_i16 s22, s46
	s_cmp_lt_i32 s22, 6
	s_cbranch_scc1 .LBB355_863
; %bb.861:
	s_cmp_gt_i32 s22, 6
	s_cbranch_scc0 .LBB355_864
; %bb.862:
	global_load_dwordx2 v[3:4], v[0:1], off
	s_mov_b64 s[22:23], 0
	s_waitcnt vmcnt(0)
	v_cvt_u32_f64_e32 v3, v[3:4]
	s_branch .LBB355_865
.LBB355_863:
	s_mov_b64 s[22:23], -1
                                        ; implicit-def: $vgpr3
	s_branch .LBB355_868
.LBB355_864:
	s_mov_b64 s[22:23], -1
                                        ; implicit-def: $vgpr3
.LBB355_865:
	s_andn2_b64 vcc, exec, s[22:23]
	s_cbranch_vccnz .LBB355_867
; %bb.866:
	global_load_dword v3, v[0:1], off
	s_waitcnt vmcnt(0)
	v_cvt_u32_f32_e32 v3, v3
.LBB355_867:
	s_mov_b64 s[22:23], 0
.LBB355_868:
	s_andn2_b64 vcc, exec, s[22:23]
	s_cbranch_vccnz .LBB355_870
; %bb.869:
	global_load_ushort v3, v[0:1], off
	s_waitcnt vmcnt(0)
	v_cvt_f32_f16_e32 v3, v3
	v_cvt_u32_f32_e32 v3, v3
.LBB355_870:
	s_cbranch_execnz .LBB355_889
.LBB355_871:
	s_sext_i32_i16 s22, s46
	s_cmp_lt_i32 s22, 2
	s_cbranch_scc1 .LBB355_875
; %bb.872:
	s_cmp_lt_i32 s22, 3
	s_cbranch_scc1 .LBB355_876
; %bb.873:
	s_cmp_gt_i32 s22, 3
	s_cbranch_scc0 .LBB355_877
; %bb.874:
	global_load_dword v3, v[0:1], off
	s_mov_b64 s[22:23], 0
	s_branch .LBB355_878
.LBB355_875:
                                        ; implicit-def: $vgpr3
	s_branch .LBB355_884
.LBB355_876:
	s_mov_b64 s[22:23], -1
                                        ; implicit-def: $vgpr3
	s_branch .LBB355_881
.LBB355_877:
	s_mov_b64 s[22:23], -1
                                        ; implicit-def: $vgpr3
.LBB355_878:
	s_andn2_b64 vcc, exec, s[22:23]
	s_cbranch_vccnz .LBB355_880
; %bb.879:
	global_load_dword v3, v[0:1], off
.LBB355_880:
	s_mov_b64 s[22:23], 0
.LBB355_881:
	s_andn2_b64 vcc, exec, s[22:23]
	s_cbranch_vccnz .LBB355_883
; %bb.882:
	global_load_sshort v3, v[0:1], off
.LBB355_883:
	s_cbranch_execnz .LBB355_889
.LBB355_884:
	s_sext_i32_i16 s22, s46
	s_cmp_gt_i32 s22, 0
	s_cbranch_scc0 .LBB355_886
; %bb.885:
	global_load_sbyte v3, v[0:1], off
	s_mov_b64 s[22:23], 0
	s_branch .LBB355_887
.LBB355_886:
	s_mov_b64 s[22:23], -1
                                        ; implicit-def: $vgpr3
.LBB355_887:
	s_andn2_b64 vcc, exec, s[22:23]
	s_cbranch_vccnz .LBB355_889
; %bb.888:
	global_load_ubyte v3, v[0:1], off
.LBB355_889:
	s_or_b64 s[0:1], s[0:1], exec
.LBB355_890:
	s_or_b64 exec, exec, s[18:19]
	s_mov_b64 s[26:27], 0
	s_mov_b64 s[24:25], 0
                                        ; implicit-def: $sgpr18_sgpr19
                                        ; implicit-def: $sgpr30
                                        ; implicit-def: $vgpr0_vgpr1
	s_and_saveexec_b64 s[22:23], s[0:1]
	s_cbranch_execz .LBB355_965
; %bb.891:
	v_mul_lo_u32 v0, v2, s12
	s_waitcnt vmcnt(0)
	v_cmp_ne_u32_e32 vcc, s15, v3
	v_mov_b32_e32 v1, s9
	s_xor_b64 s[18:19], s[6:7], vcc
	v_ashrrev_i32_e32 v2, 31, v0
	s_and_b32 s30, s33, 0xff
	v_add_co_u32_e32 v0, vcc, s8, v0
	s_cmp_lt_i32 s30, 11
	v_addc_co_u32_e32 v1, vcc, v1, v2, vcc
	s_cbranch_scc1 .LBB355_968
; %bb.892:
	s_and_b32 s31, 0xffff, s30
	s_mov_b64 s[24:25], -1
	s_cmp_gt_i32 s31, 25
	s_mov_b64 s[0:1], s[16:17]
	s_cbranch_scc0 .LBB355_925
; %bb.893:
	s_mov_b64 s[6:7], -1
	s_cmp_gt_i32 s31, 28
	s_mov_b64 s[0:1], s[16:17]
	s_cbranch_scc0 .LBB355_909
; %bb.894:
	s_cmp_gt_i32 s31, 43
	s_mov_b64 s[0:1], s[16:17]
	s_cbranch_scc0 .LBB355_905
; %bb.895:
	;; [unrolled: 4-line block ×3, first 2 shown]
	s_cmp_eq_u32 s31, 46
	s_mov_b64 s[0:1], -1
	s_cbranch_scc0 .LBB355_898
; %bb.897:
	v_cndmask_b32_e64 v2, 0, 1.0, s[18:19]
	v_bfe_u32 v3, v2, 16, 1
	s_movk_i32 s0, 0x7fff
	v_add3_u32 v2, v2, v3, s0
	v_lshrrev_b32_e32 v2, 16, v2
	global_store_dword v[0:1], v2, off
	s_mov_b64 s[0:1], 0
.LBB355_898:
	s_mov_b64 s[6:7], 0
.LBB355_899:
	s_and_b64 vcc, exec, s[6:7]
	s_cbranch_vccz .LBB355_904
; %bb.900:
	s_cmp_eq_u32 s31, 44
	s_mov_b64 s[0:1], -1
	s_cbranch_scc0 .LBB355_904
; %bb.901:
	v_cndmask_b32_e64 v3, 0, 1.0, s[18:19]
	v_lshrrev_b32_e32 v2, 23, v3
	s_movk_i32 s0, 0xff
	v_cmp_ne_u32_e32 vcc, s0, v2
	v_mov_b32_e32 v4, 0xff
	s_and_saveexec_b64 s[6:7], vcc
; %bb.902:
	s_mov_b32 s0, 0x3fffff
	v_and_b32_e32 v4, 0x400000, v3
	v_and_or_b32 v3, v3, s0, v2
	v_cmp_ne_u32_e32 vcc, 0, v4
	v_cmp_ne_u32_e64 s[0:1], 0, v3
	s_and_b64 s[0:1], vcc, s[0:1]
	v_cndmask_b32_e64 v3, 0, 1, s[0:1]
	v_add_u32_e32 v4, v2, v3
; %bb.903:
	s_or_b64 exec, exec, s[6:7]
	s_mov_b64 s[0:1], 0
	global_store_byte v[0:1], v4, off
.LBB355_904:
	s_mov_b64 s[6:7], 0
.LBB355_905:
	s_and_b64 vcc, exec, s[6:7]
	s_cbranch_vccz .LBB355_908
; %bb.906:
	s_cmp_eq_u32 s31, 29
	s_mov_b64 s[0:1], -1
	s_cbranch_scc0 .LBB355_908
; %bb.907:
	s_mov_b32 s0, 0
	v_cndmask_b32_e64 v2, 0, 1, s[18:19]
	v_mov_b32_e32 v3, s0
	global_store_dwordx2 v[0:1], v[2:3], off
	s_mov_b64 s[0:1], 0
.LBB355_908:
	s_mov_b64 s[6:7], 0
.LBB355_909:
	s_and_b64 vcc, exec, s[6:7]
	s_cbranch_vccz .LBB355_924
; %bb.910:
	s_cmp_lt_i32 s31, 27
	s_mov_b64 s[6:7], -1
	s_cbranch_scc1 .LBB355_916
; %bb.911:
	s_cmp_gt_i32 s31, 27
	v_cndmask_b32_e64 v2, 0, 1, s[18:19]
	s_cbranch_scc0 .LBB355_913
; %bb.912:
	s_mov_b64 s[6:7], 0
	global_store_dword v[0:1], v2, off
.LBB355_913:
	s_andn2_b64 vcc, exec, s[6:7]
	s_cbranch_vccnz .LBB355_915
; %bb.914:
	global_store_short v[0:1], v2, off
.LBB355_915:
	s_mov_b64 s[6:7], 0
.LBB355_916:
	s_andn2_b64 vcc, exec, s[6:7]
	s_cbranch_vccnz .LBB355_924
; %bb.917:
	v_cndmask_b32_e64 v3, 0, 1.0, s[18:19]
	s_mov_b32 s6, 0x43800000
	v_cmp_gt_u32_e32 vcc, s6, v3
	v_mov_b32_e32 v4, 0x80
	s_and_saveexec_b64 s[6:7], vcc
	s_cbranch_execz .LBB355_923
; %bb.918:
	s_mov_b32 s24, 0x3bffffff
	v_cmp_lt_u32_e32 vcc, s24, v3
	s_mov_b64 s[24:25], 0
                                        ; implicit-def: $vgpr2
	s_and_saveexec_b64 s[26:27], vcc
	s_xor_b64 s[26:27], exec, s[26:27]
	s_cbranch_execz .LBB355_1025
; %bb.919:
	v_bfe_u32 v2, v3, 20, 1
	s_mov_b32 s28, 0x487ffff
	v_add3_u32 v2, v3, v2, s28
	s_mov_b64 s[24:25], exec
	v_lshrrev_b32_e32 v2, 20, v2
                                        ; implicit-def: $vgpr3
	s_andn2_saveexec_b64 s[26:27], s[26:27]
	s_cbranch_execnz .LBB355_1026
.LBB355_920:
	s_or_b64 exec, exec, s[26:27]
	v_mov_b32_e32 v4, 0
	s_and_saveexec_b64 s[26:27], s[24:25]
.LBB355_921:
	v_mov_b32_e32 v4, v2
.LBB355_922:
	s_or_b64 exec, exec, s[26:27]
.LBB355_923:
	s_or_b64 exec, exec, s[6:7]
	global_store_byte v[0:1], v4, off
.LBB355_924:
	s_mov_b64 s[24:25], 0
.LBB355_925:
	s_mov_b64 s[6:7], 0
	s_and_b64 vcc, exec, s[24:25]
	s_cbranch_vccz .LBB355_969
; %bb.926:
	s_cmp_gt_i32 s31, 22
	s_mov_b64 s[24:25], -1
	s_cbranch_scc0 .LBB355_958
; %bb.927:
	s_cmp_lt_i32 s31, 24
	s_cbranch_scc1 .LBB355_947
; %bb.928:
	s_cmp_gt_i32 s31, 24
	s_cbranch_scc0 .LBB355_936
; %bb.929:
	v_cndmask_b32_e64 v3, 0, 1.0, s[18:19]
	s_mov_b32 s24, 0x47800000
	v_cmp_gt_u32_e32 vcc, s24, v3
	v_mov_b32_e32 v4, 0x80
	s_and_saveexec_b64 s[24:25], vcc
	s_cbranch_execz .LBB355_935
; %bb.930:
	s_mov_b32 s26, 0x37ffffff
	v_cmp_lt_u32_e32 vcc, s26, v3
	s_mov_b64 s[26:27], 0
                                        ; implicit-def: $vgpr2
	s_and_saveexec_b64 s[28:29], vcc
	s_xor_b64 s[28:29], exec, s[28:29]
	s_cbranch_execz .LBB355_1145
; %bb.931:
	v_bfe_u32 v2, v3, 21, 1
	s_mov_b32 s34, 0x88fffff
	v_add3_u32 v2, v3, v2, s34
	s_mov_b64 s[26:27], exec
	v_lshrrev_b32_e32 v2, 21, v2
                                        ; implicit-def: $vgpr3
	s_andn2_saveexec_b64 s[28:29], s[28:29]
	s_cbranch_execnz .LBB355_1146
.LBB355_932:
	s_or_b64 exec, exec, s[28:29]
	v_mov_b32_e32 v4, 0
	s_and_saveexec_b64 s[28:29], s[26:27]
.LBB355_933:
	v_mov_b32_e32 v4, v2
.LBB355_934:
	s_or_b64 exec, exec, s[28:29]
.LBB355_935:
	s_or_b64 exec, exec, s[24:25]
	s_mov_b64 s[24:25], 0
	global_store_byte v[0:1], v4, off
.LBB355_936:
	s_and_b64 vcc, exec, s[24:25]
	s_cbranch_vccz .LBB355_946
; %bb.937:
	v_cndmask_b32_e64 v2, 0, 1.0, s[18:19]
	s_mov_b32 s24, 0x43f00000
	v_cmp_gt_u32_e32 vcc, s24, v2
                                        ; implicit-def: $vgpr3
	s_and_saveexec_b64 s[24:25], vcc
	s_xor_b64 s[24:25], exec, s[24:25]
	s_cbranch_execz .LBB355_943
; %bb.938:
	s_mov_b32 s26, 0x3c7fffff
	v_cmp_lt_u32_e32 vcc, s26, v2
                                        ; implicit-def: $vgpr3
	s_and_saveexec_b64 s[26:27], vcc
	s_xor_b64 s[26:27], exec, s[26:27]
; %bb.939:
	v_bfe_u32 v3, v2, 20, 1
	s_mov_b32 s28, 0x407ffff
	v_add3_u32 v2, v2, v3, s28
	v_lshrrev_b32_e32 v3, 20, v2
	v_and_b32_e32 v2, 0xff00000, v2
	s_mov_b32 s28, 0x7f00000
	v_mov_b32_e32 v4, 0x7e
	v_cmp_ne_u32_e32 vcc, s28, v2
	v_cndmask_b32_e32 v3, v4, v3, vcc
                                        ; implicit-def: $vgpr2
; %bb.940:
	s_andn2_saveexec_b64 s[26:27], s[26:27]
; %bb.941:
	v_add_f32_e32 v3, 0x46800000, v2
; %bb.942:
	s_or_b64 exec, exec, s[26:27]
                                        ; implicit-def: $vgpr2
.LBB355_943:
	s_andn2_saveexec_b64 s[24:25], s[24:25]
; %bb.944:
	s_mov_b32 s26, 0x7f800000
	v_mov_b32_e32 v3, 0x7e
	v_mov_b32_e32 v4, 0x7f
	v_cmp_lt_u32_e32 vcc, s26, v2
	v_cndmask_b32_e32 v3, v3, v4, vcc
; %bb.945:
	s_or_b64 exec, exec, s[24:25]
	global_store_byte v[0:1], v3, off
.LBB355_946:
	s_mov_b64 s[24:25], 0
.LBB355_947:
	s_andn2_b64 vcc, exec, s[24:25]
	s_cbranch_vccnz .LBB355_957
; %bb.948:
	v_cndmask_b32_e64 v2, 0, 1.0, s[18:19]
	s_mov_b32 s24, 0x47800000
	v_cmp_gt_u32_e32 vcc, s24, v2
                                        ; implicit-def: $vgpr3
	s_and_saveexec_b64 s[24:25], vcc
	s_xor_b64 s[24:25], exec, s[24:25]
	s_cbranch_execz .LBB355_954
; %bb.949:
	s_mov_b32 s26, 0x387fffff
	v_cmp_lt_u32_e32 vcc, s26, v2
                                        ; implicit-def: $vgpr3
	s_and_saveexec_b64 s[26:27], vcc
	s_xor_b64 s[26:27], exec, s[26:27]
; %bb.950:
	v_bfe_u32 v3, v2, 21, 1
	s_mov_b32 s28, 0x80fffff
	v_add3_u32 v2, v2, v3, s28
	v_lshrrev_b32_e32 v3, 21, v2
                                        ; implicit-def: $vgpr2
; %bb.951:
	s_andn2_saveexec_b64 s[26:27], s[26:27]
; %bb.952:
	v_add_f32_e32 v3, 0x43000000, v2
; %bb.953:
	s_or_b64 exec, exec, s[26:27]
                                        ; implicit-def: $vgpr2
.LBB355_954:
	s_andn2_saveexec_b64 s[24:25], s[24:25]
; %bb.955:
	s_mov_b32 s26, 0x7f800000
	v_mov_b32_e32 v3, 0x7c
	v_mov_b32_e32 v4, 0x7f
	v_cmp_lt_u32_e32 vcc, s26, v2
	v_cndmask_b32_e32 v3, v3, v4, vcc
; %bb.956:
	s_or_b64 exec, exec, s[24:25]
	global_store_byte v[0:1], v3, off
.LBB355_957:
	s_mov_b64 s[24:25], 0
.LBB355_958:
	s_andn2_b64 vcc, exec, s[24:25]
	s_mov_b64 s[26:27], 0
	s_cbranch_vccnz .LBB355_970
; %bb.959:
	s_cmp_gt_i32 s31, 14
	s_mov_b64 s[24:25], -1
	s_cbranch_scc0 .LBB355_963
; %bb.960:
	s_cmp_eq_u32 s31, 15
	s_mov_b64 s[0:1], -1
	s_cbranch_scc0 .LBB355_962
; %bb.961:
	v_cndmask_b32_e64 v2, 0, 1.0, s[18:19]
	v_bfe_u32 v3, v2, 16, 1
	s_movk_i32 s0, 0x7fff
	v_add3_u32 v2, v2, v3, s0
	global_store_short_d16_hi v[0:1], v2, off
	s_mov_b64 s[0:1], 0
.LBB355_962:
	s_mov_b64 s[24:25], 0
.LBB355_963:
	s_and_b64 vcc, exec, s[24:25]
	s_cbranch_vccz .LBB355_970
; %bb.964:
	s_cmp_lg_u32 s31, 11
	s_cselect_b64 s[24:25], -1, 0
	s_andn2_b64 s[0:1], s[0:1], exec
	s_and_b64 s[24:25], s[24:25], exec
	s_mov_b64 s[26:27], -1
	s_or_b64 s[0:1], s[0:1], s[24:25]
	s_branch .LBB355_970
.LBB355_965:
	s_or_b64 exec, exec, s[22:23]
	s_and_saveexec_b64 s[0:1], s[16:17]
	s_cbranch_execnz .LBB355_971
.LBB355_966:
	s_or_b64 exec, exec, s[0:1]
	s_and_saveexec_b64 s[0:1], s[26:27]
	s_xor_b64 s[0:1], exec, s[0:1]
	s_cbranch_execz .LBB355_972
.LBB355_967:
	v_cndmask_b32_e64 v2, 0, 1, s[18:19]
	global_store_byte v[0:1], v2, off
	s_or_b64 exec, exec, s[0:1]
	s_and_saveexec_b64 s[0:1], s[24:25]
	s_xor_b64 s[0:1], exec, s[0:1]
	s_cbranch_execz .LBB355_1010
	s_branch .LBB355_973
.LBB355_968:
	s_mov_b64 s[6:7], -1
	s_mov_b64 s[0:1], s[16:17]
	s_branch .LBB355_970
.LBB355_969:
	s_mov_b64 s[26:27], 0
.LBB355_970:
	s_and_b64 s[24:25], s[6:7], exec
	s_andn2_b64 s[6:7], s[16:17], exec
	s_and_b64 s[0:1], s[0:1], exec
	s_and_b64 s[26:27], s[26:27], exec
	s_or_b64 s[16:17], s[6:7], s[0:1]
	s_or_b64 exec, exec, s[22:23]
	s_and_saveexec_b64 s[0:1], s[16:17]
	s_cbranch_execz .LBB355_966
.LBB355_971:
	s_or_b64 s[20:21], s[20:21], exec
	s_andn2_b64 s[26:27], s[26:27], exec
	s_trap 2
	s_or_b64 exec, exec, s[0:1]
	s_and_saveexec_b64 s[0:1], s[26:27]
	s_xor_b64 s[0:1], exec, s[0:1]
	s_cbranch_execnz .LBB355_967
.LBB355_972:
	s_or_b64 exec, exec, s[0:1]
	s_and_saveexec_b64 s[0:1], s[24:25]
	s_xor_b64 s[0:1], exec, s[0:1]
	s_cbranch_execz .LBB355_1010
.LBB355_973:
	s_sext_i32_i16 s16, s30
	s_cmp_lt_i32 s16, 5
	s_mov_b64 s[6:7], -1
	s_cbranch_scc1 .LBB355_994
; %bb.974:
	s_cmp_lt_i32 s16, 8
	s_cbranch_scc1 .LBB355_984
; %bb.975:
	s_cmp_lt_i32 s16, 9
	s_cbranch_scc1 .LBB355_981
; %bb.976:
	s_cmp_gt_i32 s16, 9
	s_cbranch_scc0 .LBB355_978
; %bb.977:
	v_cndmask_b32_e64 v2, 0, 1, s[18:19]
	s_waitcnt vmcnt(0)
	v_cvt_f64_u32_e32 v[2:3], v2
	v_mov_b32_e32 v4, 0
	v_mov_b32_e32 v5, v4
	s_mov_b64 s[6:7], 0
	global_store_dwordx4 v[0:1], v[2:5], off
.LBB355_978:
	s_andn2_b64 vcc, exec, s[6:7]
	s_cbranch_vccnz .LBB355_980
; %bb.979:
	v_cndmask_b32_e64 v2, 0, 1.0, s[18:19]
	s_waitcnt vmcnt(0)
	v_mov_b32_e32 v3, 0
	global_store_dwordx2 v[0:1], v[2:3], off
.LBB355_980:
	s_mov_b64 s[6:7], 0
.LBB355_981:
	s_andn2_b64 vcc, exec, s[6:7]
	s_cbranch_vccnz .LBB355_983
; %bb.982:
	v_cndmask_b32_e64 v2, 0, 1.0, s[18:19]
	v_cvt_f16_f32_e32 v2, v2
	global_store_dword v[0:1], v2, off
.LBB355_983:
	s_mov_b64 s[6:7], 0
.LBB355_984:
	s_andn2_b64 vcc, exec, s[6:7]
	s_cbranch_vccnz .LBB355_993
; %bb.985:
	s_sext_i32_i16 s16, s30
	s_cmp_lt_i32 s16, 6
	s_mov_b64 s[6:7], -1
	s_cbranch_scc1 .LBB355_991
; %bb.986:
	s_cmp_gt_i32 s16, 6
	s_cbranch_scc0 .LBB355_988
; %bb.987:
	v_cndmask_b32_e64 v2, 0, 1, s[18:19]
	s_waitcnt vmcnt(0)
	v_cvt_f64_u32_e32 v[2:3], v2
	s_mov_b64 s[6:7], 0
	global_store_dwordx2 v[0:1], v[2:3], off
.LBB355_988:
	s_andn2_b64 vcc, exec, s[6:7]
	s_cbranch_vccnz .LBB355_990
; %bb.989:
	v_cndmask_b32_e64 v2, 0, 1.0, s[18:19]
	global_store_dword v[0:1], v2, off
.LBB355_990:
	s_mov_b64 s[6:7], 0
.LBB355_991:
	s_andn2_b64 vcc, exec, s[6:7]
	s_cbranch_vccnz .LBB355_993
; %bb.992:
	v_cndmask_b32_e64 v2, 0, 1.0, s[18:19]
	v_cvt_f16_f32_e32 v2, v2
	global_store_short v[0:1], v2, off
.LBB355_993:
	s_mov_b64 s[6:7], 0
.LBB355_994:
	s_andn2_b64 vcc, exec, s[6:7]
	s_cbranch_vccnz .LBB355_1010
; %bb.995:
	s_sext_i32_i16 s16, s30
	s_cmp_lt_i32 s16, 2
	s_mov_b64 s[6:7], -1
	s_cbranch_scc1 .LBB355_1005
; %bb.996:
	s_cmp_lt_i32 s16, 3
	s_cbranch_scc1 .LBB355_1002
; %bb.997:
	s_cmp_gt_i32 s16, 3
	s_cbranch_scc0 .LBB355_999
; %bb.998:
	s_mov_b32 s6, 0
	v_cndmask_b32_e64 v2, 0, 1, s[18:19]
	s_waitcnt vmcnt(0)
	v_mov_b32_e32 v3, s6
	s_mov_b64 s[6:7], 0
	global_store_dwordx2 v[0:1], v[2:3], off
.LBB355_999:
	s_andn2_b64 vcc, exec, s[6:7]
	s_cbranch_vccnz .LBB355_1001
; %bb.1000:
	v_cndmask_b32_e64 v2, 0, 1, s[18:19]
	global_store_dword v[0:1], v2, off
.LBB355_1001:
	s_mov_b64 s[6:7], 0
.LBB355_1002:
	s_andn2_b64 vcc, exec, s[6:7]
	s_cbranch_vccnz .LBB355_1004
; %bb.1003:
	v_cndmask_b32_e64 v2, 0, 1, s[18:19]
	global_store_short v[0:1], v2, off
.LBB355_1004:
	s_mov_b64 s[6:7], 0
.LBB355_1005:
	s_andn2_b64 vcc, exec, s[6:7]
	s_cbranch_vccnz .LBB355_1010
; %bb.1006:
	s_sext_i32_i16 s16, s30
	s_mov_b64 s[6:7], -1
	s_cmp_gt_i32 s16, 0
	v_cndmask_b32_e64 v2, 0, 1, s[18:19]
	s_cbranch_scc0 .LBB355_1008
; %bb.1007:
	s_mov_b64 s[6:7], 0
	global_store_byte v[0:1], v2, off
.LBB355_1008:
	s_andn2_b64 vcc, exec, s[6:7]
	s_cbranch_vccnz .LBB355_1010
; %bb.1009:
	global_store_byte v[0:1], v2, off
.LBB355_1010:
	s_or_b64 exec, exec, s[0:1]
	s_and_b64 s[6:7], s[20:21], exec
                                        ; implicit-def: $vgpr2
.LBB355_1011:
	s_or_saveexec_b64 s[4:5], s[4:5]
	s_mov_b64 s[0:1], 0
                                        ; implicit-def: $sgpr18_sgpr19
                                        ; implicit-def: $sgpr26
                                        ; implicit-def: $vgpr0_vgpr1
	s_xor_b64 exec, exec, s[4:5]
	s_cbranch_execz .LBB355_1942
; %bb.1012:
	s_waitcnt vmcnt(0)
	v_mul_lo_u32 v3, s13, v2
	v_mov_b32_e32 v1, s11
	s_and_b32 s22, 0xffff, s46
	s_cmp_lt_i32 s22, 11
	v_ashrrev_i32_e32 v4, 31, v3
	v_add_co_u32_e32 v0, vcc, s10, v3
	v_addc_co_u32_e32 v1, vcc, v1, v4, vcc
	s_cbranch_scc1 .LBB355_1019
; %bb.1013:
	s_cmp_gt_i32 s22, 25
	s_cbranch_scc0 .LBB355_1021
; %bb.1014:
	s_cmp_gt_i32 s22, 28
	s_cbranch_scc0 .LBB355_1022
	;; [unrolled: 3-line block ×4, first 2 shown]
; %bb.1017:
	s_cmp_eq_u32 s22, 46
	s_mov_b64 s[16:17], 0
	s_cbranch_scc0 .LBB355_1027
; %bb.1018:
	global_load_dword v4, v[0:1], off
	s_mov_b64 s[18:19], -1
	s_waitcnt vmcnt(0)
	v_lshlrev_b32_e32 v4, 16, v4
	v_cvt_u32_f32_e32 v6, v4
	s_branch .LBB355_1028
.LBB355_1019:
	s_mov_b64 s[18:19], 0
                                        ; implicit-def: $vgpr6
	s_mov_b64 s[16:17], s[6:7]
	s_cbranch_execnz .LBB355_1086
.LBB355_1020:
	s_andn2_b64 vcc, exec, s[18:19]
	s_cbranch_vccz .LBB355_1131
	s_branch .LBB355_1940
.LBB355_1021:
	s_mov_b64 s[18:19], 0
                                        ; implicit-def: $vgpr6
	s_cbranch_execnz .LBB355_1053
	s_branch .LBB355_1082
.LBB355_1022:
	s_mov_b64 s[18:19], 0
                                        ; implicit-def: $vgpr6
	s_cbranch_execz .LBB355_1052
	s_branch .LBB355_1037
.LBB355_1023:
	s_mov_b64 s[18:19], 0
                                        ; implicit-def: $vgpr6
	s_cbranch_execnz .LBB355_1033
	s_branch .LBB355_1036
.LBB355_1024:
	s_mov_b64 s[16:17], -1
	s_mov_b64 s[18:19], 0
                                        ; implicit-def: $vgpr6
	s_branch .LBB355_1028
.LBB355_1025:
	s_andn2_saveexec_b64 s[26:27], s[26:27]
	s_cbranch_execz .LBB355_920
.LBB355_1026:
	v_add_f32_e32 v2, 0x46000000, v3
	v_and_b32_e32 v2, 0xff, v2
	v_cmp_ne_u32_e32 vcc, 0, v2
	s_andn2_b64 s[24:25], s[24:25], exec
	s_and_b64 s[28:29], vcc, exec
	s_or_b64 s[24:25], s[24:25], s[28:29]
	s_or_b64 exec, exec, s[26:27]
	v_mov_b32_e32 v4, 0
	s_and_saveexec_b64 s[26:27], s[24:25]
	s_cbranch_execnz .LBB355_921
	s_branch .LBB355_922
.LBB355_1027:
	s_mov_b64 s[0:1], -1
                                        ; implicit-def: $vgpr6
	s_mov_b64 s[18:19], 0
.LBB355_1028:
	s_and_b64 vcc, exec, s[16:17]
	s_cbranch_vccz .LBB355_1031
; %bb.1029:
	s_cmp_eq_u32 s22, 44
	s_cbranch_scc0 .LBB355_1032
; %bb.1030:
	global_load_ubyte v4, v[0:1], off
	s_mov_b64 s[0:1], 0
	s_mov_b64 s[18:19], -1
	s_waitcnt vmcnt(0)
	v_lshlrev_b32_e32 v5, 23, v4
	v_cvt_u32_f32_e32 v5, v5
	v_cmp_ne_u32_e32 vcc, 0, v4
	v_cndmask_b32_e32 v6, 0, v5, vcc
.LBB355_1031:
	s_branch .LBB355_1036
.LBB355_1032:
	s_mov_b64 s[0:1], -1
                                        ; implicit-def: $vgpr6
	s_branch .LBB355_1036
.LBB355_1033:
	s_cmp_eq_u32 s22, 29
	s_cbranch_scc0 .LBB355_1035
; %bb.1034:
	global_load_dword v6, v[0:1], off
	s_mov_b64 s[0:1], 0
	s_mov_b64 s[18:19], -1
	s_branch .LBB355_1036
.LBB355_1035:
	s_mov_b64 s[0:1], -1
                                        ; implicit-def: $vgpr6
.LBB355_1036:
	s_branch .LBB355_1052
.LBB355_1037:
	s_cmp_lt_i32 s22, 27
	s_cbranch_scc1 .LBB355_1040
; %bb.1038:
	s_cmp_gt_i32 s22, 27
	s_cbranch_scc0 .LBB355_1041
; %bb.1039:
	global_load_dword v6, v[0:1], off
	s_mov_b64 s[16:17], 0
	s_branch .LBB355_1042
.LBB355_1040:
	s_mov_b64 s[16:17], -1
                                        ; implicit-def: $vgpr6
	s_branch .LBB355_1045
.LBB355_1041:
	s_mov_b64 s[16:17], -1
                                        ; implicit-def: $vgpr6
.LBB355_1042:
	s_andn2_b64 vcc, exec, s[16:17]
	s_cbranch_vccnz .LBB355_1044
; %bb.1043:
	global_load_ushort v6, v[0:1], off
.LBB355_1044:
	s_mov_b64 s[16:17], 0
.LBB355_1045:
	s_andn2_b64 vcc, exec, s[16:17]
	s_cbranch_vccnz .LBB355_1051
; %bb.1046:
	global_load_ubyte v4, v[0:1], off
	s_movk_i32 s16, 0x7f
	s_mov_b64 s[18:19], 0
	s_waitcnt vmcnt(0)
	v_cmp_lt_i16_e32 vcc, s16, v4
	s_and_saveexec_b64 s[16:17], vcc
	s_xor_b64 s[16:17], exec, s[16:17]
	s_cbranch_execz .LBB355_1062
; %bb.1047:
	s_movk_i32 s18, 0x80
	v_cmp_ne_u16_e32 vcc, s18, v4
	s_and_b64 s[18:19], vcc, exec
	s_andn2_saveexec_b64 s[16:17], s[16:17]
	s_cbranch_execnz .LBB355_1063
.LBB355_1048:
	s_or_b64 exec, exec, s[16:17]
	v_mov_b32_e32 v6, 0
	s_and_saveexec_b64 s[16:17], s[18:19]
	s_cbranch_execz .LBB355_1050
.LBB355_1049:
	v_lshlrev_b32_e32 v5, 24, v4
	v_and_b32_e32 v4, 0xffff, v4
	v_and_b32_e32 v6, 7, v4
	v_ffbh_u32_e32 v8, v6
	v_min_u32_e32 v8, 32, v8
	v_subrev_u32_e32 v9, 28, v8
	v_bfe_u32 v7, v4, 3, 4
	v_lshlrev_b32_e32 v4, v9, v4
	v_sub_u32_e32 v8, 29, v8
	v_and_b32_e32 v4, 7, v4
	v_cmp_eq_u32_e32 vcc, 0, v7
	v_cndmask_b32_e32 v7, v7, v8, vcc
	v_cndmask_b32_e32 v4, v6, v4, vcc
	v_mov_b32_e32 v6, 0x3b800000
	v_lshlrev_b32_e32 v4, 20, v4
	v_and_b32_e32 v5, 0x80000000, v5
	v_lshl_add_u32 v6, v7, 23, v6
	v_or3_b32 v4, v5, v6, v4
	v_cvt_u32_f32_e32 v6, v4
.LBB355_1050:
	s_or_b64 exec, exec, s[16:17]
.LBB355_1051:
	s_mov_b64 s[18:19], -1
.LBB355_1052:
	s_branch .LBB355_1082
.LBB355_1053:
	s_cmp_gt_i32 s22, 22
	s_cbranch_scc0 .LBB355_1061
; %bb.1054:
	s_cmp_lt_i32 s22, 24
	s_cbranch_scc1 .LBB355_1064
; %bb.1055:
	s_cmp_gt_i32 s22, 24
	s_cbranch_scc0 .LBB355_1065
; %bb.1056:
	global_load_ubyte v4, v[0:1], off
	s_movk_i32 s2, 0x7f
	s_mov_b64 s[16:17], 0
	s_waitcnt vmcnt(0)
	v_cmp_lt_i16_e32 vcc, s2, v4
	s_and_saveexec_b64 s[2:3], vcc
	s_xor_b64 s[2:3], exec, s[2:3]
	s_cbranch_execz .LBB355_1076
; %bb.1057:
	s_movk_i32 s16, 0x80
	v_cmp_ne_u16_e32 vcc, s16, v4
	s_and_b64 s[16:17], vcc, exec
	s_andn2_saveexec_b64 s[2:3], s[2:3]
	s_cbranch_execnz .LBB355_1077
.LBB355_1058:
	s_or_b64 exec, exec, s[2:3]
	v_mov_b32_e32 v6, 0
	s_and_saveexec_b64 s[2:3], s[16:17]
	s_cbranch_execz .LBB355_1060
.LBB355_1059:
	v_lshlrev_b32_e32 v5, 24, v4
	v_and_b32_e32 v4, 0xffff, v4
	v_and_b32_e32 v6, 3, v4
	v_ffbh_u32_e32 v8, v6
	v_min_u32_e32 v8, 32, v8
	v_subrev_u32_e32 v9, 29, v8
	v_bfe_u32 v7, v4, 2, 5
	v_lshlrev_b32_e32 v4, v9, v4
	v_sub_u32_e32 v8, 30, v8
	v_and_b32_e32 v4, 3, v4
	v_cmp_eq_u32_e32 vcc, 0, v7
	v_cndmask_b32_e32 v7, v7, v8, vcc
	v_cndmask_b32_e32 v4, v6, v4, vcc
	v_mov_b32_e32 v6, 0x37800000
	v_lshlrev_b32_e32 v4, 21, v4
	v_and_b32_e32 v5, 0x80000000, v5
	v_lshl_add_u32 v6, v7, 23, v6
	v_or3_b32 v4, v5, v6, v4
	v_cvt_u32_f32_e32 v6, v4
.LBB355_1060:
	s_or_b64 exec, exec, s[2:3]
	s_mov_b64 s[2:3], 0
	s_branch .LBB355_1066
.LBB355_1061:
                                        ; implicit-def: $vgpr6
	s_mov_b64 s[2:3], 0
	s_branch .LBB355_1072
.LBB355_1062:
	s_andn2_saveexec_b64 s[16:17], s[16:17]
	s_cbranch_execz .LBB355_1048
.LBB355_1063:
	v_cmp_ne_u16_e32 vcc, 0, v4
	s_andn2_b64 s[18:19], s[18:19], exec
	s_and_b64 s[20:21], vcc, exec
	s_or_b64 s[18:19], s[18:19], s[20:21]
	s_or_b64 exec, exec, s[16:17]
	v_mov_b32_e32 v6, 0
	s_and_saveexec_b64 s[16:17], s[18:19]
	s_cbranch_execnz .LBB355_1049
	s_branch .LBB355_1050
.LBB355_1064:
	s_mov_b64 s[2:3], -1
                                        ; implicit-def: $vgpr6
	s_branch .LBB355_1069
.LBB355_1065:
	s_mov_b64 s[2:3], -1
                                        ; implicit-def: $vgpr6
.LBB355_1066:
	s_and_b64 vcc, exec, s[2:3]
	s_cbranch_vccz .LBB355_1068
; %bb.1067:
	global_load_ubyte v4, v[0:1], off
	s_mov_b32 s2, 0x7f800000
	s_waitcnt vmcnt(0)
	v_lshlrev_b32_e32 v4, 24, v4
	v_and_b32_e32 v5, 0x7f000000, v4
	v_ffbh_u32_e32 v6, v5
	v_min_u32_e32 v6, 32, v6
	v_sub_u32_e64 v6, v6, 4 clamp
	v_lshlrev_b32_e32 v8, v6, v5
	v_lshlrev_b32_e32 v6, 23, v6
	v_lshrrev_b32_e32 v8, 4, v8
	v_add_u32_e32 v7, 0x1000000, v5
	v_sub_u32_e32 v6, v8, v6
	v_ashrrev_i32_e32 v7, 8, v7
	v_add_u32_e32 v6, 0x3c000000, v6
	v_and_or_b32 v6, v7, s2, v6
	v_cmp_ne_u32_e32 vcc, 0, v5
	v_cndmask_b32_e32 v5, 0, v6, vcc
	s_brev_b32 s2, 1
	v_and_or_b32 v4, v4, s2, v5
	v_cvt_u32_f32_e32 v6, v4
.LBB355_1068:
	s_mov_b64 s[2:3], 0
.LBB355_1069:
	s_andn2_b64 vcc, exec, s[2:3]
	s_cbranch_vccnz .LBB355_1071
; %bb.1070:
	global_load_ubyte v4, v[0:1], off
	s_movk_i32 s2, 0x7f00
	s_brev_b32 s3, 16
	s_waitcnt vmcnt(0)
	v_lshlrev_b16_e32 v5, 8, v4
	v_lshlrev_b32_e32 v4, 25, v4
	v_lshrrev_b32_e32 v6, 4, v4
	v_and_or_b32 v7, v5, s2, 0.5
	v_or_b32_e32 v6, 0x70000000, v6
	v_add_f32_e32 v7, -0.5, v7
	v_mul_f32_e32 v6, 0x7800000, v6
	v_cmp_gt_u32_e32 vcc, s3, v4
	v_bfe_i32 v5, v5, 0, 16
	v_cndmask_b32_e32 v4, v6, v7, vcc
	s_brev_b32 s2, 1
	v_and_or_b32 v4, v5, s2, v4
	v_cvt_u32_f32_e32 v6, v4
.LBB355_1071:
	s_mov_b64 s[18:19], -1
	s_mov_b64 s[2:3], 0
	s_cbranch_execnz .LBB355_1082
.LBB355_1072:
	s_cmp_gt_i32 s22, 14
	s_cbranch_scc0 .LBB355_1075
; %bb.1073:
	s_cmp_eq_u32 s22, 15
	s_cbranch_scc0 .LBB355_1078
; %bb.1074:
	global_load_ushort v4, v[0:1], off
	s_mov_b64 s[0:1], 0
	s_mov_b64 s[18:19], -1
	s_waitcnt vmcnt(0)
	v_lshlrev_b32_e32 v4, 16, v4
	v_cvt_u32_f32_e32 v6, v4
	s_branch .LBB355_1079
.LBB355_1075:
	s_mov_b64 s[16:17], -1
                                        ; implicit-def: $vgpr6
	s_branch .LBB355_1080
.LBB355_1076:
	s_andn2_saveexec_b64 s[2:3], s[2:3]
	s_cbranch_execz .LBB355_1058
.LBB355_1077:
	v_cmp_ne_u16_e32 vcc, 0, v4
	s_andn2_b64 s[16:17], s[16:17], exec
	s_and_b64 s[18:19], vcc, exec
	s_or_b64 s[16:17], s[16:17], s[18:19]
	s_or_b64 exec, exec, s[2:3]
	v_mov_b32_e32 v6, 0
	s_and_saveexec_b64 s[2:3], s[16:17]
	s_cbranch_execnz .LBB355_1059
	s_branch .LBB355_1060
.LBB355_1078:
	s_mov_b64 s[0:1], -1
                                        ; implicit-def: $vgpr6
.LBB355_1079:
	s_mov_b64 s[16:17], 0
.LBB355_1080:
	s_and_b64 vcc, exec, s[16:17]
	s_cbranch_vccz .LBB355_1082
; %bb.1081:
	s_cmp_lg_u32 s22, 11
	s_mov_b64 s[2:3], -1
	s_cselect_b64 s[0:1], -1, 0
.LBB355_1082:
	s_and_b64 vcc, exec, s[0:1]
	s_mov_b64 s[16:17], s[6:7]
	s_cbranch_vccnz .LBB355_1143
; %bb.1083:
	s_andn2_b64 vcc, exec, s[2:3]
	s_cbranch_vccnz .LBB355_1085
.LBB355_1084:
	global_load_ubyte v4, v[0:1], off
	s_mov_b64 s[18:19], -1
	s_waitcnt vmcnt(0)
	v_cmp_ne_u16_e32 vcc, 0, v4
	v_cndmask_b32_e64 v6, 0, 1, vcc
.LBB355_1085:
	s_branch .LBB355_1020
.LBB355_1086:
	s_cmp_lt_i32 s22, 5
	s_cbranch_scc1 .LBB355_1091
; %bb.1087:
	s_cmp_lt_i32 s22, 8
	s_cbranch_scc1 .LBB355_1092
; %bb.1088:
	;; [unrolled: 3-line block ×3, first 2 shown]
	s_cmp_gt_i32 s22, 9
	s_cbranch_scc0 .LBB355_1094
; %bb.1090:
	global_load_dwordx2 v[4:5], v[0:1], off
	s_mov_b64 s[0:1], 0
	s_waitcnt vmcnt(0)
	v_cvt_u32_f64_e32 v6, v[4:5]
	s_branch .LBB355_1095
.LBB355_1091:
                                        ; implicit-def: $vgpr6
	s_branch .LBB355_1112
.LBB355_1092:
                                        ; implicit-def: $vgpr6
	s_branch .LBB355_1101
.LBB355_1093:
	s_mov_b64 s[0:1], -1
                                        ; implicit-def: $vgpr6
	s_branch .LBB355_1098
.LBB355_1094:
	s_mov_b64 s[0:1], -1
                                        ; implicit-def: $vgpr6
.LBB355_1095:
	s_andn2_b64 vcc, exec, s[0:1]
	s_cbranch_vccnz .LBB355_1097
; %bb.1096:
	global_load_dword v4, v[0:1], off
	s_waitcnt vmcnt(0)
	v_cvt_u32_f32_e32 v6, v4
.LBB355_1097:
	s_mov_b64 s[0:1], 0
.LBB355_1098:
	s_andn2_b64 vcc, exec, s[0:1]
	s_cbranch_vccnz .LBB355_1100
; %bb.1099:
	global_load_dword v4, v[0:1], off
	s_waitcnt vmcnt(0)
	v_cvt_f32_f16_e32 v4, v4
	v_cvt_u32_f32_e32 v6, v4
.LBB355_1100:
	s_cbranch_execnz .LBB355_1111
.LBB355_1101:
	s_cmp_lt_i32 s22, 6
	s_cbranch_scc1 .LBB355_1104
; %bb.1102:
	s_cmp_gt_i32 s22, 6
	s_cbranch_scc0 .LBB355_1105
; %bb.1103:
	global_load_dwordx2 v[4:5], v[0:1], off
	s_mov_b64 s[0:1], 0
	s_waitcnt vmcnt(0)
	v_cvt_u32_f64_e32 v6, v[4:5]
	s_branch .LBB355_1106
.LBB355_1104:
	s_mov_b64 s[0:1], -1
                                        ; implicit-def: $vgpr6
	s_branch .LBB355_1109
.LBB355_1105:
	s_mov_b64 s[0:1], -1
                                        ; implicit-def: $vgpr6
.LBB355_1106:
	s_andn2_b64 vcc, exec, s[0:1]
	s_cbranch_vccnz .LBB355_1108
; %bb.1107:
	global_load_dword v4, v[0:1], off
	s_waitcnt vmcnt(0)
	v_cvt_u32_f32_e32 v6, v4
.LBB355_1108:
	s_mov_b64 s[0:1], 0
.LBB355_1109:
	s_andn2_b64 vcc, exec, s[0:1]
	s_cbranch_vccnz .LBB355_1111
; %bb.1110:
	global_load_ushort v4, v[0:1], off
	s_waitcnt vmcnt(0)
	v_cvt_f32_f16_e32 v4, v4
	v_cvt_u32_f32_e32 v6, v4
.LBB355_1111:
	s_cbranch_execnz .LBB355_1130
.LBB355_1112:
	s_cmp_lt_i32 s22, 2
	s_cbranch_scc1 .LBB355_1116
; %bb.1113:
	s_cmp_lt_i32 s22, 3
	s_cbranch_scc1 .LBB355_1117
; %bb.1114:
	s_cmp_gt_i32 s22, 3
	s_cbranch_scc0 .LBB355_1118
; %bb.1115:
	global_load_dword v6, v[0:1], off
	s_mov_b64 s[0:1], 0
	s_branch .LBB355_1119
.LBB355_1116:
                                        ; implicit-def: $vgpr6
	s_branch .LBB355_1125
.LBB355_1117:
	s_mov_b64 s[0:1], -1
                                        ; implicit-def: $vgpr6
	s_branch .LBB355_1122
.LBB355_1118:
	s_mov_b64 s[0:1], -1
                                        ; implicit-def: $vgpr6
.LBB355_1119:
	s_andn2_b64 vcc, exec, s[0:1]
	s_cbranch_vccnz .LBB355_1121
; %bb.1120:
	global_load_dword v6, v[0:1], off
.LBB355_1121:
	s_mov_b64 s[0:1], 0
.LBB355_1122:
	s_andn2_b64 vcc, exec, s[0:1]
	s_cbranch_vccnz .LBB355_1124
; %bb.1123:
	global_load_sshort v6, v[0:1], off
.LBB355_1124:
	s_cbranch_execnz .LBB355_1130
.LBB355_1125:
	s_cmp_gt_i32 s22, 0
	s_cbranch_scc0 .LBB355_1127
; %bb.1126:
	global_load_sbyte v6, v[0:1], off
	s_mov_b64 s[0:1], 0
	s_branch .LBB355_1128
.LBB355_1127:
	s_mov_b64 s[0:1], -1
                                        ; implicit-def: $vgpr6
.LBB355_1128:
	s_andn2_b64 vcc, exec, s[0:1]
	s_cbranch_vccnz .LBB355_1130
; %bb.1129:
	global_load_ubyte v6, v[0:1], off
.LBB355_1130:
.LBB355_1131:
	s_lshl_b32 s13, s13, 7
	v_add_u32_e32 v3, s13, v3
	v_ashrrev_i32_e32 v1, 31, v3
	v_mov_b32_e32 v4, s11
	v_add_co_u32_e32 v0, vcc, s10, v3
	s_cmp_lt_i32 s22, 11
	v_addc_co_u32_e32 v1, vcc, v4, v1, vcc
	s_cbranch_scc1 .LBB355_1138
; %bb.1132:
	s_cmp_gt_i32 s22, 25
	s_mov_b64 s[2:3], 0
	s_cbranch_scc0 .LBB355_1140
; %bb.1133:
	s_cmp_gt_i32 s22, 28
	s_cbranch_scc0 .LBB355_1141
; %bb.1134:
	s_cmp_gt_i32 s22, 43
	;; [unrolled: 3-line block ×3, first 2 shown]
	s_cbranch_scc0 .LBB355_1144
; %bb.1136:
	s_cmp_eq_u32 s22, 46
	s_mov_b64 s[20:21], 0
	s_cbranch_scc0 .LBB355_1147
; %bb.1137:
	global_load_dword v4, v[0:1], off
	s_mov_b64 s[0:1], 0
	s_mov_b64 s[18:19], -1
	s_waitcnt vmcnt(0)
	v_lshlrev_b32_e32 v4, 16, v4
	v_cvt_u32_f32_e32 v5, v4
	s_branch .LBB355_1148
.LBB355_1138:
	s_mov_b64 s[18:19], 0
                                        ; implicit-def: $vgpr5
	s_cbranch_execnz .LBB355_1209
.LBB355_1139:
	s_andn2_b64 vcc, exec, s[18:19]
	s_cbranch_vccnz .LBB355_1940
	s_branch .LBB355_1256
.LBB355_1140:
	s_mov_b64 s[18:19], 0
	s_mov_b64 s[0:1], 0
                                        ; implicit-def: $vgpr5
	s_cbranch_execnz .LBB355_1175
	s_branch .LBB355_1205
.LBB355_1141:
	s_mov_b64 s[20:21], -1
	s_mov_b64 s[18:19], 0
	s_mov_b64 s[0:1], 0
                                        ; implicit-def: $vgpr5
	s_branch .LBB355_1158
.LBB355_1142:
	s_mov_b64 s[20:21], -1
	s_mov_b64 s[18:19], 0
	s_mov_b64 s[0:1], 0
                                        ; implicit-def: $vgpr5
	s_branch .LBB355_1153
.LBB355_1143:
	s_or_b64 s[16:17], s[6:7], exec
	s_trap 2
	s_cbranch_execz .LBB355_1084
	s_branch .LBB355_1085
.LBB355_1144:
	s_mov_b64 s[20:21], -1
	s_mov_b64 s[18:19], 0
	s_mov_b64 s[0:1], 0
                                        ; implicit-def: $vgpr5
	s_branch .LBB355_1148
.LBB355_1145:
	s_andn2_saveexec_b64 s[28:29], s[28:29]
	s_cbranch_execz .LBB355_932
.LBB355_1146:
	v_add_f32_e32 v2, 0x42800000, v3
	v_and_b32_e32 v2, 0xff, v2
	v_cmp_ne_u32_e32 vcc, 0, v2
	s_andn2_b64 s[26:27], s[26:27], exec
	s_and_b64 s[34:35], vcc, exec
	s_or_b64 s[26:27], s[26:27], s[34:35]
	s_or_b64 exec, exec, s[28:29]
	v_mov_b32_e32 v4, 0
	s_and_saveexec_b64 s[28:29], s[26:27]
	s_cbranch_execnz .LBB355_933
	s_branch .LBB355_934
.LBB355_1147:
	s_mov_b64 s[0:1], -1
                                        ; implicit-def: $vgpr5
	s_mov_b64 s[18:19], 0
.LBB355_1148:
	s_and_b64 vcc, exec, s[20:21]
	s_cbranch_vccz .LBB355_1152
; %bb.1149:
	s_cmp_eq_u32 s22, 44
	s_cbranch_scc0 .LBB355_1151
; %bb.1150:
	global_load_ubyte v4, v[0:1], off
	s_mov_b64 s[0:1], 0
	s_mov_b64 s[18:19], -1
	s_waitcnt vmcnt(0)
	v_lshlrev_b32_e32 v5, 23, v4
	v_cvt_u32_f32_e32 v5, v5
	v_cmp_ne_u32_e32 vcc, 0, v4
	v_cndmask_b32_e32 v5, 0, v5, vcc
	s_branch .LBB355_1152
.LBB355_1151:
	s_mov_b64 s[0:1], -1
                                        ; implicit-def: $vgpr5
.LBB355_1152:
	s_mov_b64 s[20:21], 0
.LBB355_1153:
	s_and_b64 vcc, exec, s[20:21]
	s_cbranch_vccz .LBB355_1157
; %bb.1154:
	s_cmp_eq_u32 s22, 29
	s_cbranch_scc0 .LBB355_1156
; %bb.1155:
	global_load_dword v5, v[0:1], off
	s_mov_b64 s[0:1], 0
	s_mov_b64 s[18:19], -1
	s_branch .LBB355_1157
.LBB355_1156:
	s_mov_b64 s[0:1], -1
                                        ; implicit-def: $vgpr5
.LBB355_1157:
	s_mov_b64 s[20:21], 0
.LBB355_1158:
	s_and_b64 vcc, exec, s[20:21]
	s_cbranch_vccz .LBB355_1174
; %bb.1159:
	s_cmp_lt_i32 s22, 27
	s_cbranch_scc1 .LBB355_1162
; %bb.1160:
	s_cmp_gt_i32 s22, 27
	s_cbranch_scc0 .LBB355_1163
; %bb.1161:
	global_load_dword v5, v[0:1], off
	s_mov_b64 s[18:19], 0
	s_branch .LBB355_1164
.LBB355_1162:
	s_mov_b64 s[18:19], -1
                                        ; implicit-def: $vgpr5
	s_branch .LBB355_1167
.LBB355_1163:
	s_mov_b64 s[18:19], -1
                                        ; implicit-def: $vgpr5
.LBB355_1164:
	s_andn2_b64 vcc, exec, s[18:19]
	s_cbranch_vccnz .LBB355_1166
; %bb.1165:
	global_load_ushort v5, v[0:1], off
.LBB355_1166:
	s_mov_b64 s[18:19], 0
.LBB355_1167:
	s_andn2_b64 vcc, exec, s[18:19]
	s_cbranch_vccnz .LBB355_1173
; %bb.1168:
	global_load_ubyte v4, v[0:1], off
	s_movk_i32 s18, 0x7f
	s_mov_b64 s[20:21], 0
	s_waitcnt vmcnt(0)
	v_cmp_lt_i16_e32 vcc, s18, v4
	s_and_saveexec_b64 s[18:19], vcc
	s_xor_b64 s[18:19], exec, s[18:19]
	s_cbranch_execz .LBB355_1184
; %bb.1169:
	s_movk_i32 s20, 0x80
	v_cmp_ne_u16_e32 vcc, s20, v4
	s_and_b64 s[20:21], vcc, exec
	s_andn2_saveexec_b64 s[18:19], s[18:19]
	s_cbranch_execnz .LBB355_1185
.LBB355_1170:
	s_or_b64 exec, exec, s[18:19]
	v_mov_b32_e32 v5, 0
	s_and_saveexec_b64 s[18:19], s[20:21]
	s_cbranch_execz .LBB355_1172
.LBB355_1171:
	v_lshlrev_b32_e32 v5, 24, v4
	v_and_b32_e32 v4, 0xffff, v4
	v_and_b32_e32 v7, 7, v4
	v_ffbh_u32_e32 v9, v7
	v_min_u32_e32 v9, 32, v9
	v_subrev_u32_e32 v10, 28, v9
	v_bfe_u32 v8, v4, 3, 4
	v_lshlrev_b32_e32 v4, v10, v4
	v_sub_u32_e32 v9, 29, v9
	v_and_b32_e32 v4, 7, v4
	v_cmp_eq_u32_e32 vcc, 0, v8
	v_cndmask_b32_e32 v8, v8, v9, vcc
	v_cndmask_b32_e32 v4, v7, v4, vcc
	v_mov_b32_e32 v7, 0x3b800000
	v_lshlrev_b32_e32 v4, 20, v4
	v_and_b32_e32 v5, 0x80000000, v5
	v_lshl_add_u32 v7, v8, 23, v7
	v_or3_b32 v4, v5, v7, v4
	v_cvt_u32_f32_e32 v5, v4
.LBB355_1172:
	s_or_b64 exec, exec, s[18:19]
.LBB355_1173:
	s_mov_b64 s[18:19], -1
.LBB355_1174:
	s_branch .LBB355_1205
.LBB355_1175:
	s_cmp_gt_i32 s22, 22
	s_cbranch_scc0 .LBB355_1183
; %bb.1176:
	s_cmp_lt_i32 s22, 24
	s_cbranch_scc1 .LBB355_1186
; %bb.1177:
	s_cmp_gt_i32 s22, 24
	s_cbranch_scc0 .LBB355_1187
; %bb.1178:
	global_load_ubyte v4, v[0:1], off
	s_movk_i32 s2, 0x7f
	s_mov_b64 s[18:19], 0
	s_waitcnt vmcnt(0)
	v_cmp_lt_i16_e32 vcc, s2, v4
	s_and_saveexec_b64 s[2:3], vcc
	s_xor_b64 s[2:3], exec, s[2:3]
	s_cbranch_execz .LBB355_1199
; %bb.1179:
	s_movk_i32 s18, 0x80
	v_cmp_ne_u16_e32 vcc, s18, v4
	s_and_b64 s[18:19], vcc, exec
	s_andn2_saveexec_b64 s[2:3], s[2:3]
	s_cbranch_execnz .LBB355_1200
.LBB355_1180:
	s_or_b64 exec, exec, s[2:3]
	v_mov_b32_e32 v5, 0
	s_and_saveexec_b64 s[2:3], s[18:19]
	s_cbranch_execz .LBB355_1182
.LBB355_1181:
	v_lshlrev_b32_e32 v5, 24, v4
	v_and_b32_e32 v4, 0xffff, v4
	v_and_b32_e32 v7, 3, v4
	v_ffbh_u32_e32 v9, v7
	v_min_u32_e32 v9, 32, v9
	v_subrev_u32_e32 v10, 29, v9
	v_bfe_u32 v8, v4, 2, 5
	v_lshlrev_b32_e32 v4, v10, v4
	v_sub_u32_e32 v9, 30, v9
	v_and_b32_e32 v4, 3, v4
	v_cmp_eq_u32_e32 vcc, 0, v8
	v_cndmask_b32_e32 v8, v8, v9, vcc
	v_cndmask_b32_e32 v4, v7, v4, vcc
	v_mov_b32_e32 v7, 0x37800000
	v_lshlrev_b32_e32 v4, 21, v4
	v_and_b32_e32 v5, 0x80000000, v5
	v_lshl_add_u32 v7, v8, 23, v7
	v_or3_b32 v4, v5, v7, v4
	v_cvt_u32_f32_e32 v5, v4
.LBB355_1182:
	s_or_b64 exec, exec, s[2:3]
	s_mov_b64 s[2:3], 0
	s_branch .LBB355_1188
.LBB355_1183:
	s_mov_b64 s[2:3], -1
                                        ; implicit-def: $vgpr5
	s_branch .LBB355_1194
.LBB355_1184:
	s_andn2_saveexec_b64 s[18:19], s[18:19]
	s_cbranch_execz .LBB355_1170
.LBB355_1185:
	v_cmp_ne_u16_e32 vcc, 0, v4
	s_andn2_b64 s[20:21], s[20:21], exec
	s_and_b64 s[24:25], vcc, exec
	s_or_b64 s[20:21], s[20:21], s[24:25]
	s_or_b64 exec, exec, s[18:19]
	v_mov_b32_e32 v5, 0
	s_and_saveexec_b64 s[18:19], s[20:21]
	s_cbranch_execnz .LBB355_1171
	s_branch .LBB355_1172
.LBB355_1186:
	s_mov_b64 s[2:3], -1
                                        ; implicit-def: $vgpr5
	s_branch .LBB355_1191
.LBB355_1187:
	s_mov_b64 s[2:3], -1
                                        ; implicit-def: $vgpr5
.LBB355_1188:
	s_and_b64 vcc, exec, s[2:3]
	s_cbranch_vccz .LBB355_1190
; %bb.1189:
	global_load_ubyte v4, v[0:1], off
	s_mov_b32 s2, 0x7f800000
	s_waitcnt vmcnt(0)
	v_lshlrev_b32_e32 v4, 24, v4
	v_and_b32_e32 v5, 0x7f000000, v4
	v_ffbh_u32_e32 v7, v5
	v_min_u32_e32 v7, 32, v7
	v_sub_u32_e64 v7, v7, 4 clamp
	v_lshlrev_b32_e32 v9, v7, v5
	v_lshlrev_b32_e32 v7, 23, v7
	v_lshrrev_b32_e32 v9, 4, v9
	v_add_u32_e32 v8, 0x1000000, v5
	v_sub_u32_e32 v7, v9, v7
	v_ashrrev_i32_e32 v8, 8, v8
	v_add_u32_e32 v7, 0x3c000000, v7
	v_and_or_b32 v7, v8, s2, v7
	v_cmp_ne_u32_e32 vcc, 0, v5
	v_cndmask_b32_e32 v5, 0, v7, vcc
	s_brev_b32 s2, 1
	v_and_or_b32 v4, v4, s2, v5
	v_cvt_u32_f32_e32 v5, v4
.LBB355_1190:
	s_mov_b64 s[2:3], 0
.LBB355_1191:
	s_andn2_b64 vcc, exec, s[2:3]
	s_cbranch_vccnz .LBB355_1193
; %bb.1192:
	global_load_ubyte v4, v[0:1], off
	s_movk_i32 s2, 0x7f00
	s_brev_b32 s3, 16
	s_waitcnt vmcnt(0)
	v_lshlrev_b16_e32 v5, 8, v4
	v_lshlrev_b32_e32 v4, 25, v4
	v_lshrrev_b32_e32 v7, 4, v4
	v_and_or_b32 v8, v5, s2, 0.5
	v_or_b32_e32 v7, 0x70000000, v7
	v_add_f32_e32 v8, -0.5, v8
	v_mul_f32_e32 v7, 0x7800000, v7
	v_cmp_gt_u32_e32 vcc, s3, v4
	v_bfe_i32 v5, v5, 0, 16
	v_cndmask_b32_e32 v4, v7, v8, vcc
	s_brev_b32 s2, 1
	v_and_or_b32 v4, v5, s2, v4
	v_cvt_u32_f32_e32 v5, v4
.LBB355_1193:
	s_mov_b64 s[2:3], 0
	s_mov_b64 s[18:19], -1
.LBB355_1194:
	s_andn2_b64 vcc, exec, s[2:3]
	s_mov_b64 s[2:3], 0
	s_cbranch_vccnz .LBB355_1205
; %bb.1195:
	s_cmp_gt_i32 s22, 14
	s_cbranch_scc0 .LBB355_1198
; %bb.1196:
	s_cmp_eq_u32 s22, 15
	s_cbranch_scc0 .LBB355_1201
; %bb.1197:
	global_load_ushort v4, v[0:1], off
	s_mov_b64 s[0:1], 0
	s_mov_b64 s[18:19], -1
	s_waitcnt vmcnt(0)
	v_lshlrev_b32_e32 v4, 16, v4
	v_cvt_u32_f32_e32 v5, v4
	s_branch .LBB355_1202
.LBB355_1198:
	s_mov_b64 s[20:21], -1
                                        ; implicit-def: $vgpr5
	s_branch .LBB355_1203
.LBB355_1199:
	s_andn2_saveexec_b64 s[2:3], s[2:3]
	s_cbranch_execz .LBB355_1180
.LBB355_1200:
	v_cmp_ne_u16_e32 vcc, 0, v4
	s_andn2_b64 s[18:19], s[18:19], exec
	s_and_b64 s[20:21], vcc, exec
	s_or_b64 s[18:19], s[18:19], s[20:21]
	s_or_b64 exec, exec, s[2:3]
	v_mov_b32_e32 v5, 0
	s_and_saveexec_b64 s[2:3], s[18:19]
	s_cbranch_execnz .LBB355_1181
	s_branch .LBB355_1182
.LBB355_1201:
	s_mov_b64 s[0:1], -1
                                        ; implicit-def: $vgpr5
.LBB355_1202:
	s_mov_b64 s[20:21], 0
.LBB355_1203:
	s_and_b64 vcc, exec, s[20:21]
	s_cbranch_vccz .LBB355_1205
; %bb.1204:
	s_cmp_lg_u32 s22, 11
	s_mov_b64 s[2:3], -1
	s_cselect_b64 s[0:1], -1, 0
.LBB355_1205:
	s_and_b64 vcc, exec, s[0:1]
	s_cbranch_vccnz .LBB355_1268
; %bb.1206:
	s_andn2_b64 vcc, exec, s[2:3]
	s_cbranch_vccnz .LBB355_1208
.LBB355_1207:
	global_load_ubyte v4, v[0:1], off
	s_mov_b64 s[18:19], -1
	s_waitcnt vmcnt(0)
	v_cmp_ne_u16_e32 vcc, 0, v4
	v_cndmask_b32_e64 v5, 0, 1, vcc
.LBB355_1208:
	s_branch .LBB355_1139
.LBB355_1209:
	s_cmp_lt_i32 s22, 5
	s_cbranch_scc1 .LBB355_1214
; %bb.1210:
	s_cmp_lt_i32 s22, 8
	s_cbranch_scc1 .LBB355_1215
; %bb.1211:
	;; [unrolled: 3-line block ×3, first 2 shown]
	s_cmp_gt_i32 s22, 9
	s_cbranch_scc0 .LBB355_1217
; %bb.1213:
	global_load_dwordx2 v[4:5], v[0:1], off
	s_mov_b64 s[0:1], 0
	s_waitcnt vmcnt(0)
	v_cvt_u32_f64_e32 v5, v[4:5]
	s_branch .LBB355_1218
.LBB355_1214:
                                        ; implicit-def: $vgpr5
	s_branch .LBB355_1236
.LBB355_1215:
	s_mov_b64 s[0:1], -1
                                        ; implicit-def: $vgpr5
	s_branch .LBB355_1224
.LBB355_1216:
	s_mov_b64 s[0:1], -1
                                        ; implicit-def: $vgpr5
	s_branch .LBB355_1221
.LBB355_1217:
	s_mov_b64 s[0:1], -1
                                        ; implicit-def: $vgpr5
.LBB355_1218:
	s_andn2_b64 vcc, exec, s[0:1]
	s_cbranch_vccnz .LBB355_1220
; %bb.1219:
	global_load_dword v4, v[0:1], off
	s_waitcnt vmcnt(0)
	v_cvt_u32_f32_e32 v5, v4
.LBB355_1220:
	s_mov_b64 s[0:1], 0
.LBB355_1221:
	s_andn2_b64 vcc, exec, s[0:1]
	s_cbranch_vccnz .LBB355_1223
; %bb.1222:
	global_load_dword v4, v[0:1], off
	s_waitcnt vmcnt(0)
	v_cvt_f32_f16_e32 v4, v4
	v_cvt_u32_f32_e32 v5, v4
.LBB355_1223:
	s_mov_b64 s[0:1], 0
.LBB355_1224:
	s_andn2_b64 vcc, exec, s[0:1]
	s_cbranch_vccnz .LBB355_1235
; %bb.1225:
	s_cmp_lt_i32 s22, 6
	s_cbranch_scc1 .LBB355_1228
; %bb.1226:
	s_cmp_gt_i32 s22, 6
	s_cbranch_scc0 .LBB355_1229
; %bb.1227:
	global_load_dwordx2 v[4:5], v[0:1], off
	s_mov_b64 s[0:1], 0
	s_waitcnt vmcnt(0)
	v_cvt_u32_f64_e32 v5, v[4:5]
	s_branch .LBB355_1230
.LBB355_1228:
	s_mov_b64 s[0:1], -1
                                        ; implicit-def: $vgpr5
	s_branch .LBB355_1233
.LBB355_1229:
	s_mov_b64 s[0:1], -1
                                        ; implicit-def: $vgpr5
.LBB355_1230:
	s_andn2_b64 vcc, exec, s[0:1]
	s_cbranch_vccnz .LBB355_1232
; %bb.1231:
	global_load_dword v4, v[0:1], off
	s_waitcnt vmcnt(0)
	v_cvt_u32_f32_e32 v5, v4
.LBB355_1232:
	s_mov_b64 s[0:1], 0
.LBB355_1233:
	s_andn2_b64 vcc, exec, s[0:1]
	s_cbranch_vccnz .LBB355_1235
; %bb.1234:
	global_load_ushort v4, v[0:1], off
	s_waitcnt vmcnt(0)
	v_cvt_f32_f16_e32 v4, v4
	v_cvt_u32_f32_e32 v5, v4
.LBB355_1235:
	s_cbranch_execnz .LBB355_1255
.LBB355_1236:
	s_cmp_lt_i32 s22, 2
	s_cbranch_scc1 .LBB355_1240
; %bb.1237:
	s_cmp_lt_i32 s22, 3
	s_cbranch_scc1 .LBB355_1241
; %bb.1238:
	s_cmp_gt_i32 s22, 3
	s_cbranch_scc0 .LBB355_1242
; %bb.1239:
	global_load_dword v5, v[0:1], off
	s_mov_b64 s[0:1], 0
	s_branch .LBB355_1243
.LBB355_1240:
	s_mov_b64 s[0:1], -1
                                        ; implicit-def: $vgpr5
	s_branch .LBB355_1249
.LBB355_1241:
	s_mov_b64 s[0:1], -1
                                        ; implicit-def: $vgpr5
	s_branch .LBB355_1246
.LBB355_1242:
	s_mov_b64 s[0:1], -1
                                        ; implicit-def: $vgpr5
.LBB355_1243:
	s_andn2_b64 vcc, exec, s[0:1]
	s_cbranch_vccnz .LBB355_1245
; %bb.1244:
	global_load_dword v5, v[0:1], off
.LBB355_1245:
	s_mov_b64 s[0:1], 0
.LBB355_1246:
	s_andn2_b64 vcc, exec, s[0:1]
	s_cbranch_vccnz .LBB355_1248
; %bb.1247:
	global_load_sshort v5, v[0:1], off
.LBB355_1248:
	s_mov_b64 s[0:1], 0
.LBB355_1249:
	s_andn2_b64 vcc, exec, s[0:1]
	s_cbranch_vccnz .LBB355_1255
; %bb.1250:
	s_cmp_gt_i32 s22, 0
	s_cbranch_scc0 .LBB355_1252
; %bb.1251:
	global_load_sbyte v5, v[0:1], off
	s_mov_b64 s[0:1], 0
	s_branch .LBB355_1253
.LBB355_1252:
	s_mov_b64 s[0:1], -1
                                        ; implicit-def: $vgpr5
.LBB355_1253:
	s_andn2_b64 vcc, exec, s[0:1]
	s_cbranch_vccnz .LBB355_1255
; %bb.1254:
	global_load_ubyte v5, v[0:1], off
.LBB355_1255:
.LBB355_1256:
	v_add_u32_e32 v3, s13, v3
	v_ashrrev_i32_e32 v1, 31, v3
	v_mov_b32_e32 v4, s11
	v_add_co_u32_e32 v0, vcc, s10, v3
	s_cmp_lt_i32 s22, 11
	v_addc_co_u32_e32 v1, vcc, v4, v1, vcc
	s_cbranch_scc1 .LBB355_1263
; %bb.1257:
	s_cmp_gt_i32 s22, 25
	s_mov_b64 s[2:3], 0
	s_cbranch_scc0 .LBB355_1265
; %bb.1258:
	s_cmp_gt_i32 s22, 28
	s_cbranch_scc0 .LBB355_1266
; %bb.1259:
	s_cmp_gt_i32 s22, 43
	;; [unrolled: 3-line block ×3, first 2 shown]
	s_cbranch_scc0 .LBB355_1269
; %bb.1261:
	s_cmp_eq_u32 s22, 46
	s_mov_b64 s[20:21], 0
	s_cbranch_scc0 .LBB355_1270
; %bb.1262:
	global_load_dword v4, v[0:1], off
	s_mov_b64 s[0:1], 0
	s_mov_b64 s[18:19], -1
	s_waitcnt vmcnt(0)
	v_lshlrev_b32_e32 v4, 16, v4
	v_cvt_u32_f32_e32 v4, v4
	s_branch .LBB355_1271
.LBB355_1263:
	s_mov_b64 s[18:19], 0
                                        ; implicit-def: $vgpr4
	s_cbranch_execnz .LBB355_1333
.LBB355_1264:
	s_andn2_b64 vcc, exec, s[18:19]
	s_cbranch_vccnz .LBB355_1940
	s_branch .LBB355_1381
.LBB355_1265:
	s_mov_b64 s[20:21], -1
	s_mov_b64 s[18:19], 0
	s_mov_b64 s[0:1], 0
                                        ; implicit-def: $vgpr4
	s_branch .LBB355_1298
.LBB355_1266:
	s_mov_b64 s[20:21], -1
	s_mov_b64 s[18:19], 0
	s_mov_b64 s[0:1], 0
                                        ; implicit-def: $vgpr4
	s_branch .LBB355_1281
.LBB355_1267:
	s_mov_b64 s[20:21], -1
	s_mov_b64 s[18:19], 0
	s_mov_b64 s[0:1], 0
                                        ; implicit-def: $vgpr4
	s_branch .LBB355_1276
.LBB355_1268:
	s_trap 2
	s_or_b64 s[16:17], s[16:17], exec
	s_cbranch_execz .LBB355_1207
	s_branch .LBB355_1208
.LBB355_1269:
	s_mov_b64 s[20:21], -1
	s_mov_b64 s[18:19], 0
	s_mov_b64 s[0:1], 0
                                        ; implicit-def: $vgpr4
	s_branch .LBB355_1271
.LBB355_1270:
	s_mov_b64 s[0:1], -1
                                        ; implicit-def: $vgpr4
	s_mov_b64 s[18:19], 0
.LBB355_1271:
	s_and_b64 vcc, exec, s[20:21]
	s_cbranch_vccz .LBB355_1275
; %bb.1272:
	s_cmp_eq_u32 s22, 44
	s_cbranch_scc0 .LBB355_1274
; %bb.1273:
	global_load_ubyte v4, v[0:1], off
	s_mov_b64 s[0:1], 0
	s_mov_b64 s[18:19], -1
	s_waitcnt vmcnt(0)
	v_lshlrev_b32_e32 v7, 23, v4
	v_cvt_u32_f32_e32 v7, v7
	v_cmp_ne_u32_e32 vcc, 0, v4
	v_cndmask_b32_e32 v4, 0, v7, vcc
	s_branch .LBB355_1275
.LBB355_1274:
	s_mov_b64 s[0:1], -1
                                        ; implicit-def: $vgpr4
.LBB355_1275:
	s_mov_b64 s[20:21], 0
.LBB355_1276:
	s_and_b64 vcc, exec, s[20:21]
	s_cbranch_vccz .LBB355_1280
; %bb.1277:
	s_cmp_eq_u32 s22, 29
	s_cbranch_scc0 .LBB355_1279
; %bb.1278:
	global_load_dword v4, v[0:1], off
	s_mov_b64 s[0:1], 0
	s_mov_b64 s[18:19], -1
	s_branch .LBB355_1280
.LBB355_1279:
	s_mov_b64 s[0:1], -1
                                        ; implicit-def: $vgpr4
.LBB355_1280:
	s_mov_b64 s[20:21], 0
.LBB355_1281:
	s_and_b64 vcc, exec, s[20:21]
	s_cbranch_vccz .LBB355_1297
; %bb.1282:
	s_cmp_lt_i32 s22, 27
	s_cbranch_scc1 .LBB355_1285
; %bb.1283:
	s_cmp_gt_i32 s22, 27
	s_cbranch_scc0 .LBB355_1286
; %bb.1284:
	global_load_dword v4, v[0:1], off
	s_mov_b64 s[18:19], 0
	s_branch .LBB355_1287
.LBB355_1285:
	s_mov_b64 s[18:19], -1
                                        ; implicit-def: $vgpr4
	s_branch .LBB355_1290
.LBB355_1286:
	s_mov_b64 s[18:19], -1
                                        ; implicit-def: $vgpr4
.LBB355_1287:
	s_andn2_b64 vcc, exec, s[18:19]
	s_cbranch_vccnz .LBB355_1289
; %bb.1288:
	global_load_ushort v4, v[0:1], off
.LBB355_1289:
	s_mov_b64 s[18:19], 0
.LBB355_1290:
	s_andn2_b64 vcc, exec, s[18:19]
	s_cbranch_vccnz .LBB355_1296
; %bb.1291:
	global_load_ubyte v7, v[0:1], off
	s_movk_i32 s18, 0x7f
	s_mov_b64 s[20:21], 0
	s_waitcnt vmcnt(0)
	v_cmp_lt_i16_e32 vcc, s18, v7
	s_and_saveexec_b64 s[18:19], vcc
	s_xor_b64 s[18:19], exec, s[18:19]
	s_cbranch_execz .LBB355_1308
; %bb.1292:
	s_movk_i32 s20, 0x80
	v_cmp_ne_u16_e32 vcc, s20, v7
	s_and_b64 s[20:21], vcc, exec
	s_andn2_saveexec_b64 s[18:19], s[18:19]
	s_cbranch_execnz .LBB355_1309
.LBB355_1293:
	s_or_b64 exec, exec, s[18:19]
	v_mov_b32_e32 v4, 0
	s_and_saveexec_b64 s[18:19], s[20:21]
	s_cbranch_execz .LBB355_1295
.LBB355_1294:
	v_lshlrev_b32_e32 v4, 24, v7
	v_and_b32_e32 v7, 0xffff, v7
	v_and_b32_e32 v8, 7, v7
	v_ffbh_u32_e32 v10, v8
	v_min_u32_e32 v10, 32, v10
	v_subrev_u32_e32 v11, 28, v10
	v_bfe_u32 v9, v7, 3, 4
	v_lshlrev_b32_e32 v7, v11, v7
	v_sub_u32_e32 v10, 29, v10
	v_and_b32_e32 v7, 7, v7
	v_cmp_eq_u32_e32 vcc, 0, v9
	v_cndmask_b32_e32 v9, v9, v10, vcc
	v_cndmask_b32_e32 v7, v8, v7, vcc
	v_mov_b32_e32 v8, 0x3b800000
	v_lshlrev_b32_e32 v7, 20, v7
	v_and_b32_e32 v4, 0x80000000, v4
	v_lshl_add_u32 v8, v9, 23, v8
	v_or3_b32 v4, v4, v8, v7
	v_cvt_u32_f32_e32 v4, v4
.LBB355_1295:
	s_or_b64 exec, exec, s[18:19]
.LBB355_1296:
	s_mov_b64 s[18:19], -1
.LBB355_1297:
	s_mov_b64 s[20:21], 0
.LBB355_1298:
	s_and_b64 vcc, exec, s[20:21]
	s_cbranch_vccz .LBB355_1329
; %bb.1299:
	s_cmp_gt_i32 s22, 22
	s_cbranch_scc0 .LBB355_1307
; %bb.1300:
	s_cmp_lt_i32 s22, 24
	s_cbranch_scc1 .LBB355_1310
; %bb.1301:
	s_cmp_gt_i32 s22, 24
	s_cbranch_scc0 .LBB355_1311
; %bb.1302:
	global_load_ubyte v7, v[0:1], off
	s_movk_i32 s2, 0x7f
	s_mov_b64 s[18:19], 0
	s_waitcnt vmcnt(0)
	v_cmp_lt_i16_e32 vcc, s2, v7
	s_and_saveexec_b64 s[2:3], vcc
	s_xor_b64 s[2:3], exec, s[2:3]
	s_cbranch_execz .LBB355_1323
; %bb.1303:
	s_movk_i32 s18, 0x80
	v_cmp_ne_u16_e32 vcc, s18, v7
	s_and_b64 s[18:19], vcc, exec
	s_andn2_saveexec_b64 s[2:3], s[2:3]
	s_cbranch_execnz .LBB355_1324
.LBB355_1304:
	s_or_b64 exec, exec, s[2:3]
	v_mov_b32_e32 v4, 0
	s_and_saveexec_b64 s[2:3], s[18:19]
	s_cbranch_execz .LBB355_1306
.LBB355_1305:
	v_lshlrev_b32_e32 v4, 24, v7
	v_and_b32_e32 v7, 0xffff, v7
	v_and_b32_e32 v8, 3, v7
	v_ffbh_u32_e32 v10, v8
	v_min_u32_e32 v10, 32, v10
	v_subrev_u32_e32 v11, 29, v10
	v_bfe_u32 v9, v7, 2, 5
	v_lshlrev_b32_e32 v7, v11, v7
	v_sub_u32_e32 v10, 30, v10
	v_and_b32_e32 v7, 3, v7
	v_cmp_eq_u32_e32 vcc, 0, v9
	v_cndmask_b32_e32 v9, v9, v10, vcc
	v_cndmask_b32_e32 v7, v8, v7, vcc
	v_mov_b32_e32 v8, 0x37800000
	v_lshlrev_b32_e32 v7, 21, v7
	v_and_b32_e32 v4, 0x80000000, v4
	v_lshl_add_u32 v8, v9, 23, v8
	v_or3_b32 v4, v4, v8, v7
	v_cvt_u32_f32_e32 v4, v4
.LBB355_1306:
	s_or_b64 exec, exec, s[2:3]
	s_mov_b64 s[2:3], 0
	s_branch .LBB355_1312
.LBB355_1307:
	s_mov_b64 s[2:3], -1
                                        ; implicit-def: $vgpr4
	s_branch .LBB355_1318
.LBB355_1308:
	s_andn2_saveexec_b64 s[18:19], s[18:19]
	s_cbranch_execz .LBB355_1293
.LBB355_1309:
	v_cmp_ne_u16_e32 vcc, 0, v7
	s_andn2_b64 s[20:21], s[20:21], exec
	s_and_b64 s[24:25], vcc, exec
	s_or_b64 s[20:21], s[20:21], s[24:25]
	s_or_b64 exec, exec, s[18:19]
	v_mov_b32_e32 v4, 0
	s_and_saveexec_b64 s[18:19], s[20:21]
	s_cbranch_execnz .LBB355_1294
	s_branch .LBB355_1295
.LBB355_1310:
	s_mov_b64 s[2:3], -1
                                        ; implicit-def: $vgpr4
	s_branch .LBB355_1315
.LBB355_1311:
	s_mov_b64 s[2:3], -1
                                        ; implicit-def: $vgpr4
.LBB355_1312:
	s_and_b64 vcc, exec, s[2:3]
	s_cbranch_vccz .LBB355_1314
; %bb.1313:
	global_load_ubyte v4, v[0:1], off
	s_mov_b32 s2, 0x7f800000
	s_waitcnt vmcnt(0)
	v_lshlrev_b32_e32 v4, 24, v4
	v_and_b32_e32 v7, 0x7f000000, v4
	v_ffbh_u32_e32 v8, v7
	v_min_u32_e32 v8, 32, v8
	v_sub_u32_e64 v8, v8, 4 clamp
	v_lshlrev_b32_e32 v10, v8, v7
	v_lshlrev_b32_e32 v8, 23, v8
	v_lshrrev_b32_e32 v10, 4, v10
	v_add_u32_e32 v9, 0x1000000, v7
	v_sub_u32_e32 v8, v10, v8
	v_ashrrev_i32_e32 v9, 8, v9
	v_add_u32_e32 v8, 0x3c000000, v8
	v_and_or_b32 v8, v9, s2, v8
	v_cmp_ne_u32_e32 vcc, 0, v7
	v_cndmask_b32_e32 v7, 0, v8, vcc
	s_brev_b32 s2, 1
	v_and_or_b32 v4, v4, s2, v7
	v_cvt_u32_f32_e32 v4, v4
.LBB355_1314:
	s_mov_b64 s[2:3], 0
.LBB355_1315:
	s_andn2_b64 vcc, exec, s[2:3]
	s_cbranch_vccnz .LBB355_1317
; %bb.1316:
	global_load_ubyte v4, v[0:1], off
	s_movk_i32 s2, 0x7f00
	s_brev_b32 s3, 16
	s_waitcnt vmcnt(0)
	v_lshlrev_b16_e32 v7, 8, v4
	v_lshlrev_b32_e32 v4, 25, v4
	v_lshrrev_b32_e32 v8, 4, v4
	v_and_or_b32 v9, v7, s2, 0.5
	v_or_b32_e32 v8, 0x70000000, v8
	v_add_f32_e32 v9, -0.5, v9
	v_mul_f32_e32 v8, 0x7800000, v8
	v_cmp_gt_u32_e32 vcc, s3, v4
	v_bfe_i32 v7, v7, 0, 16
	v_cndmask_b32_e32 v4, v8, v9, vcc
	s_brev_b32 s2, 1
	v_and_or_b32 v4, v7, s2, v4
	v_cvt_u32_f32_e32 v4, v4
.LBB355_1317:
	s_mov_b64 s[2:3], 0
	s_mov_b64 s[18:19], -1
.LBB355_1318:
	s_andn2_b64 vcc, exec, s[2:3]
	s_mov_b64 s[2:3], 0
	s_cbranch_vccnz .LBB355_1329
; %bb.1319:
	s_cmp_gt_i32 s22, 14
	s_cbranch_scc0 .LBB355_1322
; %bb.1320:
	s_cmp_eq_u32 s22, 15
	s_cbranch_scc0 .LBB355_1325
; %bb.1321:
	global_load_ushort v4, v[0:1], off
	s_mov_b64 s[0:1], 0
	s_mov_b64 s[18:19], -1
	s_waitcnt vmcnt(0)
	v_lshlrev_b32_e32 v4, 16, v4
	v_cvt_u32_f32_e32 v4, v4
	s_branch .LBB355_1326
.LBB355_1322:
	s_mov_b64 s[20:21], -1
                                        ; implicit-def: $vgpr4
	s_branch .LBB355_1327
.LBB355_1323:
	s_andn2_saveexec_b64 s[2:3], s[2:3]
	s_cbranch_execz .LBB355_1304
.LBB355_1324:
	v_cmp_ne_u16_e32 vcc, 0, v7
	s_andn2_b64 s[18:19], s[18:19], exec
	s_and_b64 s[20:21], vcc, exec
	s_or_b64 s[18:19], s[18:19], s[20:21]
	s_or_b64 exec, exec, s[2:3]
	v_mov_b32_e32 v4, 0
	s_and_saveexec_b64 s[2:3], s[18:19]
	s_cbranch_execnz .LBB355_1305
	s_branch .LBB355_1306
.LBB355_1325:
	s_mov_b64 s[0:1], -1
                                        ; implicit-def: $vgpr4
.LBB355_1326:
	s_mov_b64 s[20:21], 0
.LBB355_1327:
	s_and_b64 vcc, exec, s[20:21]
	s_cbranch_vccz .LBB355_1329
; %bb.1328:
	s_cmp_lg_u32 s22, 11
	s_mov_b64 s[2:3], -1
	s_cselect_b64 s[0:1], -1, 0
.LBB355_1329:
	s_and_b64 vcc, exec, s[0:1]
	s_cbranch_vccnz .LBB355_1392
; %bb.1330:
	s_andn2_b64 vcc, exec, s[2:3]
	s_cbranch_vccnz .LBB355_1332
.LBB355_1331:
	global_load_ubyte v4, v[0:1], off
	s_mov_b64 s[18:19], -1
	s_waitcnt vmcnt(0)
	v_cmp_ne_u16_e32 vcc, 0, v4
	v_cndmask_b32_e64 v4, 0, 1, vcc
.LBB355_1332:
	s_branch .LBB355_1264
.LBB355_1333:
	s_cmp_lt_i32 s22, 5
	s_cbranch_scc1 .LBB355_1338
; %bb.1334:
	s_cmp_lt_i32 s22, 8
	s_cbranch_scc1 .LBB355_1339
; %bb.1335:
	;; [unrolled: 3-line block ×3, first 2 shown]
	s_cmp_gt_i32 s22, 9
	s_cbranch_scc0 .LBB355_1341
; %bb.1337:
	global_load_dwordx2 v[7:8], v[0:1], off
	s_mov_b64 s[0:1], 0
	s_waitcnt vmcnt(0)
	v_cvt_u32_f64_e32 v4, v[7:8]
	s_branch .LBB355_1342
.LBB355_1338:
	s_mov_b64 s[0:1], -1
                                        ; implicit-def: $vgpr4
	s_branch .LBB355_1360
.LBB355_1339:
	s_mov_b64 s[0:1], -1
                                        ; implicit-def: $vgpr4
	s_branch .LBB355_1348
.LBB355_1340:
	s_mov_b64 s[0:1], -1
                                        ; implicit-def: $vgpr4
	s_branch .LBB355_1345
.LBB355_1341:
	s_mov_b64 s[0:1], -1
                                        ; implicit-def: $vgpr4
.LBB355_1342:
	s_andn2_b64 vcc, exec, s[0:1]
	s_cbranch_vccnz .LBB355_1344
; %bb.1343:
	global_load_dword v4, v[0:1], off
	s_waitcnt vmcnt(0)
	v_cvt_u32_f32_e32 v4, v4
.LBB355_1344:
	s_mov_b64 s[0:1], 0
.LBB355_1345:
	s_andn2_b64 vcc, exec, s[0:1]
	s_cbranch_vccnz .LBB355_1347
; %bb.1346:
	global_load_dword v4, v[0:1], off
	s_waitcnt vmcnt(0)
	v_cvt_f32_f16_e32 v4, v4
	v_cvt_u32_f32_e32 v4, v4
.LBB355_1347:
	s_mov_b64 s[0:1], 0
.LBB355_1348:
	s_andn2_b64 vcc, exec, s[0:1]
	s_cbranch_vccnz .LBB355_1359
; %bb.1349:
	s_cmp_lt_i32 s22, 6
	s_cbranch_scc1 .LBB355_1352
; %bb.1350:
	s_cmp_gt_i32 s22, 6
	s_cbranch_scc0 .LBB355_1353
; %bb.1351:
	global_load_dwordx2 v[7:8], v[0:1], off
	s_mov_b64 s[0:1], 0
	s_waitcnt vmcnt(0)
	v_cvt_u32_f64_e32 v4, v[7:8]
	s_branch .LBB355_1354
.LBB355_1352:
	s_mov_b64 s[0:1], -1
                                        ; implicit-def: $vgpr4
	s_branch .LBB355_1357
.LBB355_1353:
	s_mov_b64 s[0:1], -1
                                        ; implicit-def: $vgpr4
.LBB355_1354:
	s_andn2_b64 vcc, exec, s[0:1]
	s_cbranch_vccnz .LBB355_1356
; %bb.1355:
	global_load_dword v4, v[0:1], off
	s_waitcnt vmcnt(0)
	v_cvt_u32_f32_e32 v4, v4
.LBB355_1356:
	s_mov_b64 s[0:1], 0
.LBB355_1357:
	s_andn2_b64 vcc, exec, s[0:1]
	s_cbranch_vccnz .LBB355_1359
; %bb.1358:
	global_load_ushort v4, v[0:1], off
	s_waitcnt vmcnt(0)
	v_cvt_f32_f16_e32 v4, v4
	v_cvt_u32_f32_e32 v4, v4
.LBB355_1359:
	s_mov_b64 s[0:1], 0
.LBB355_1360:
	s_andn2_b64 vcc, exec, s[0:1]
	s_cbranch_vccnz .LBB355_1380
; %bb.1361:
	s_cmp_lt_i32 s22, 2
	s_cbranch_scc1 .LBB355_1365
; %bb.1362:
	s_cmp_lt_i32 s22, 3
	s_cbranch_scc1 .LBB355_1366
; %bb.1363:
	s_cmp_gt_i32 s22, 3
	s_cbranch_scc0 .LBB355_1367
; %bb.1364:
	global_load_dword v4, v[0:1], off
	s_mov_b64 s[0:1], 0
	s_branch .LBB355_1368
.LBB355_1365:
	s_mov_b64 s[0:1], -1
                                        ; implicit-def: $vgpr4
	s_branch .LBB355_1374
.LBB355_1366:
	s_mov_b64 s[0:1], -1
                                        ; implicit-def: $vgpr4
	s_branch .LBB355_1371
.LBB355_1367:
	s_mov_b64 s[0:1], -1
                                        ; implicit-def: $vgpr4
.LBB355_1368:
	s_andn2_b64 vcc, exec, s[0:1]
	s_cbranch_vccnz .LBB355_1370
; %bb.1369:
	global_load_dword v4, v[0:1], off
.LBB355_1370:
	s_mov_b64 s[0:1], 0
.LBB355_1371:
	s_andn2_b64 vcc, exec, s[0:1]
	s_cbranch_vccnz .LBB355_1373
; %bb.1372:
	global_load_sshort v4, v[0:1], off
.LBB355_1373:
	s_mov_b64 s[0:1], 0
.LBB355_1374:
	s_andn2_b64 vcc, exec, s[0:1]
	s_cbranch_vccnz .LBB355_1380
; %bb.1375:
	s_cmp_gt_i32 s22, 0
	s_cbranch_scc0 .LBB355_1377
; %bb.1376:
	global_load_sbyte v4, v[0:1], off
	s_mov_b64 s[0:1], 0
	s_branch .LBB355_1378
.LBB355_1377:
	s_mov_b64 s[0:1], -1
                                        ; implicit-def: $vgpr4
.LBB355_1378:
	s_andn2_b64 vcc, exec, s[0:1]
	s_cbranch_vccnz .LBB355_1380
; %bb.1379:
	global_load_ubyte v4, v[0:1], off
.LBB355_1380:
.LBB355_1381:
	v_add_u32_e32 v0, s13, v3
	v_ashrrev_i32_e32 v1, 31, v0
	v_mov_b32_e32 v3, s11
	v_add_co_u32_e32 v0, vcc, s10, v0
	s_cmp_lt_i32 s22, 11
	v_addc_co_u32_e32 v1, vcc, v3, v1, vcc
	s_cbranch_scc1 .LBB355_1388
; %bb.1382:
	s_cmp_gt_i32 s22, 25
	s_mov_b64 s[2:3], 0
	s_cbranch_scc0 .LBB355_1389
; %bb.1383:
	s_cmp_gt_i32 s22, 28
	s_cbranch_scc0 .LBB355_1390
; %bb.1384:
	s_cmp_gt_i32 s22, 43
	;; [unrolled: 3-line block ×3, first 2 shown]
	s_cbranch_scc0 .LBB355_1393
; %bb.1386:
	s_cmp_eq_u32 s22, 46
	s_mov_b64 s[18:19], 0
	s_cbranch_scc0 .LBB355_1394
; %bb.1387:
	global_load_dword v3, v[0:1], off
	s_mov_b64 s[0:1], 0
	s_mov_b64 s[10:11], -1
	s_waitcnt vmcnt(0)
	v_lshlrev_b32_e32 v3, 16, v3
	v_cvt_u32_f32_e32 v3, v3
	s_branch .LBB355_1395
.LBB355_1388:
	s_mov_b64 s[0:1], -1
	s_mov_b64 s[10:11], 0
                                        ; implicit-def: $vgpr3
	s_branch .LBB355_1457
.LBB355_1389:
	s_mov_b64 s[18:19], -1
	s_mov_b64 s[10:11], 0
	s_mov_b64 s[0:1], 0
                                        ; implicit-def: $vgpr3
	s_branch .LBB355_1422
.LBB355_1390:
	s_mov_b64 s[18:19], -1
	s_mov_b64 s[10:11], 0
	s_mov_b64 s[0:1], 0
                                        ; implicit-def: $vgpr3
	s_branch .LBB355_1405
.LBB355_1391:
	s_mov_b64 s[18:19], -1
	s_mov_b64 s[10:11], 0
	s_mov_b64 s[0:1], 0
                                        ; implicit-def: $vgpr3
	s_branch .LBB355_1400
.LBB355_1392:
	s_trap 2
	s_or_b64 s[16:17], s[16:17], exec
	s_cbranch_execz .LBB355_1331
	s_branch .LBB355_1332
.LBB355_1393:
	s_mov_b64 s[18:19], -1
	s_mov_b64 s[10:11], 0
	s_mov_b64 s[0:1], 0
                                        ; implicit-def: $vgpr3
	s_branch .LBB355_1395
.LBB355_1394:
	s_mov_b64 s[0:1], -1
                                        ; implicit-def: $vgpr3
	s_mov_b64 s[10:11], 0
.LBB355_1395:
	s_and_b64 vcc, exec, s[18:19]
	s_cbranch_vccz .LBB355_1399
; %bb.1396:
	s_cmp_eq_u32 s22, 44
	s_cbranch_scc0 .LBB355_1398
; %bb.1397:
	global_load_ubyte v3, v[0:1], off
	s_mov_b64 s[0:1], 0
	s_mov_b64 s[10:11], -1
	s_waitcnt vmcnt(0)
	v_lshlrev_b32_e32 v7, 23, v3
	v_cvt_u32_f32_e32 v7, v7
	v_cmp_ne_u32_e32 vcc, 0, v3
	v_cndmask_b32_e32 v3, 0, v7, vcc
	s_branch .LBB355_1399
.LBB355_1398:
	s_mov_b64 s[0:1], -1
                                        ; implicit-def: $vgpr3
.LBB355_1399:
	s_mov_b64 s[18:19], 0
.LBB355_1400:
	s_and_b64 vcc, exec, s[18:19]
	s_cbranch_vccz .LBB355_1404
; %bb.1401:
	s_cmp_eq_u32 s22, 29
	s_cbranch_scc0 .LBB355_1403
; %bb.1402:
	global_load_dword v3, v[0:1], off
	s_mov_b64 s[0:1], 0
	s_mov_b64 s[10:11], -1
	s_branch .LBB355_1404
.LBB355_1403:
	s_mov_b64 s[0:1], -1
                                        ; implicit-def: $vgpr3
.LBB355_1404:
	s_mov_b64 s[18:19], 0
.LBB355_1405:
	s_and_b64 vcc, exec, s[18:19]
	s_cbranch_vccz .LBB355_1421
; %bb.1406:
	s_cmp_lt_i32 s22, 27
	s_cbranch_scc1 .LBB355_1409
; %bb.1407:
	s_cmp_gt_i32 s22, 27
	s_cbranch_scc0 .LBB355_1410
; %bb.1408:
	global_load_dword v3, v[0:1], off
	s_mov_b64 s[10:11], 0
	s_branch .LBB355_1411
.LBB355_1409:
	s_mov_b64 s[10:11], -1
                                        ; implicit-def: $vgpr3
	s_branch .LBB355_1414
.LBB355_1410:
	s_mov_b64 s[10:11], -1
                                        ; implicit-def: $vgpr3
.LBB355_1411:
	s_andn2_b64 vcc, exec, s[10:11]
	s_cbranch_vccnz .LBB355_1413
; %bb.1412:
	global_load_ushort v3, v[0:1], off
.LBB355_1413:
	s_mov_b64 s[10:11], 0
.LBB355_1414:
	s_andn2_b64 vcc, exec, s[10:11]
	s_cbranch_vccnz .LBB355_1420
; %bb.1415:
	global_load_ubyte v7, v[0:1], off
	s_movk_i32 s10, 0x7f
	s_mov_b64 s[18:19], 0
	s_waitcnt vmcnt(0)
	v_cmp_lt_i16_e32 vcc, s10, v7
	s_and_saveexec_b64 s[10:11], vcc
	s_xor_b64 s[10:11], exec, s[10:11]
	s_cbranch_execz .LBB355_1432
; %bb.1416:
	s_movk_i32 s13, 0x80
	v_cmp_ne_u16_e32 vcc, s13, v7
	s_and_b64 s[18:19], vcc, exec
	s_andn2_saveexec_b64 s[10:11], s[10:11]
	s_cbranch_execnz .LBB355_1433
.LBB355_1417:
	s_or_b64 exec, exec, s[10:11]
	v_mov_b32_e32 v3, 0
	s_and_saveexec_b64 s[10:11], s[18:19]
	s_cbranch_execz .LBB355_1419
.LBB355_1418:
	v_lshlrev_b32_e32 v3, 24, v7
	v_and_b32_e32 v7, 0xffff, v7
	v_and_b32_e32 v8, 7, v7
	v_ffbh_u32_e32 v10, v8
	v_min_u32_e32 v10, 32, v10
	v_subrev_u32_e32 v11, 28, v10
	v_bfe_u32 v9, v7, 3, 4
	v_lshlrev_b32_e32 v7, v11, v7
	v_sub_u32_e32 v10, 29, v10
	v_and_b32_e32 v7, 7, v7
	v_cmp_eq_u32_e32 vcc, 0, v9
	v_cndmask_b32_e32 v9, v9, v10, vcc
	v_cndmask_b32_e32 v7, v8, v7, vcc
	v_mov_b32_e32 v8, 0x3b800000
	v_lshlrev_b32_e32 v7, 20, v7
	v_and_b32_e32 v3, 0x80000000, v3
	v_lshl_add_u32 v8, v9, 23, v8
	v_or3_b32 v3, v3, v8, v7
	v_cvt_u32_f32_e32 v3, v3
.LBB355_1419:
	s_or_b64 exec, exec, s[10:11]
.LBB355_1420:
	s_mov_b64 s[10:11], -1
.LBB355_1421:
	s_mov_b64 s[18:19], 0
.LBB355_1422:
	s_and_b64 vcc, exec, s[18:19]
	s_cbranch_vccz .LBB355_1453
; %bb.1423:
	s_cmp_gt_i32 s22, 22
	s_cbranch_scc0 .LBB355_1431
; %bb.1424:
	s_cmp_lt_i32 s22, 24
	s_cbranch_scc1 .LBB355_1434
; %bb.1425:
	s_cmp_gt_i32 s22, 24
	s_cbranch_scc0 .LBB355_1435
; %bb.1426:
	global_load_ubyte v7, v[0:1], off
	s_movk_i32 s2, 0x7f
	s_mov_b64 s[10:11], 0
	s_waitcnt vmcnt(0)
	v_cmp_lt_i16_e32 vcc, s2, v7
	s_and_saveexec_b64 s[2:3], vcc
	s_xor_b64 s[2:3], exec, s[2:3]
	s_cbranch_execz .LBB355_1447
; %bb.1427:
	s_movk_i32 s10, 0x80
	v_cmp_ne_u16_e32 vcc, s10, v7
	s_and_b64 s[10:11], vcc, exec
	s_andn2_saveexec_b64 s[2:3], s[2:3]
	s_cbranch_execnz .LBB355_1448
.LBB355_1428:
	s_or_b64 exec, exec, s[2:3]
	v_mov_b32_e32 v3, 0
	s_and_saveexec_b64 s[2:3], s[10:11]
	s_cbranch_execz .LBB355_1430
.LBB355_1429:
	v_lshlrev_b32_e32 v3, 24, v7
	v_and_b32_e32 v7, 0xffff, v7
	v_and_b32_e32 v8, 3, v7
	v_ffbh_u32_e32 v10, v8
	v_min_u32_e32 v10, 32, v10
	v_subrev_u32_e32 v11, 29, v10
	v_bfe_u32 v9, v7, 2, 5
	v_lshlrev_b32_e32 v7, v11, v7
	v_sub_u32_e32 v10, 30, v10
	v_and_b32_e32 v7, 3, v7
	v_cmp_eq_u32_e32 vcc, 0, v9
	v_cndmask_b32_e32 v9, v9, v10, vcc
	v_cndmask_b32_e32 v7, v8, v7, vcc
	v_mov_b32_e32 v8, 0x37800000
	v_lshlrev_b32_e32 v7, 21, v7
	v_and_b32_e32 v3, 0x80000000, v3
	v_lshl_add_u32 v8, v9, 23, v8
	v_or3_b32 v3, v3, v8, v7
	v_cvt_u32_f32_e32 v3, v3
.LBB355_1430:
	s_or_b64 exec, exec, s[2:3]
	s_mov_b64 s[2:3], 0
	s_branch .LBB355_1436
.LBB355_1431:
	s_mov_b64 s[2:3], -1
                                        ; implicit-def: $vgpr3
	s_branch .LBB355_1442
.LBB355_1432:
	s_andn2_saveexec_b64 s[10:11], s[10:11]
	s_cbranch_execz .LBB355_1417
.LBB355_1433:
	v_cmp_ne_u16_e32 vcc, 0, v7
	s_andn2_b64 s[18:19], s[18:19], exec
	s_and_b64 s[20:21], vcc, exec
	s_or_b64 s[18:19], s[18:19], s[20:21]
	s_or_b64 exec, exec, s[10:11]
	v_mov_b32_e32 v3, 0
	s_and_saveexec_b64 s[10:11], s[18:19]
	s_cbranch_execnz .LBB355_1418
	s_branch .LBB355_1419
.LBB355_1434:
	s_mov_b64 s[2:3], -1
                                        ; implicit-def: $vgpr3
	s_branch .LBB355_1439
.LBB355_1435:
	s_mov_b64 s[2:3], -1
                                        ; implicit-def: $vgpr3
.LBB355_1436:
	s_and_b64 vcc, exec, s[2:3]
	s_cbranch_vccz .LBB355_1438
; %bb.1437:
	global_load_ubyte v3, v[0:1], off
	s_mov_b32 s2, 0x7f800000
	s_waitcnt vmcnt(0)
	v_lshlrev_b32_e32 v3, 24, v3
	v_and_b32_e32 v7, 0x7f000000, v3
	v_ffbh_u32_e32 v8, v7
	v_min_u32_e32 v8, 32, v8
	v_sub_u32_e64 v8, v8, 4 clamp
	v_lshlrev_b32_e32 v10, v8, v7
	v_lshlrev_b32_e32 v8, 23, v8
	v_lshrrev_b32_e32 v10, 4, v10
	v_add_u32_e32 v9, 0x1000000, v7
	v_sub_u32_e32 v8, v10, v8
	v_ashrrev_i32_e32 v9, 8, v9
	v_add_u32_e32 v8, 0x3c000000, v8
	v_and_or_b32 v8, v9, s2, v8
	v_cmp_ne_u32_e32 vcc, 0, v7
	v_cndmask_b32_e32 v7, 0, v8, vcc
	s_brev_b32 s2, 1
	v_and_or_b32 v3, v3, s2, v7
	v_cvt_u32_f32_e32 v3, v3
.LBB355_1438:
	s_mov_b64 s[2:3], 0
.LBB355_1439:
	s_andn2_b64 vcc, exec, s[2:3]
	s_cbranch_vccnz .LBB355_1441
; %bb.1440:
	global_load_ubyte v3, v[0:1], off
	s_movk_i32 s2, 0x7f00
	s_brev_b32 s3, 16
	s_waitcnt vmcnt(0)
	v_lshlrev_b16_e32 v7, 8, v3
	v_lshlrev_b32_e32 v3, 25, v3
	v_lshrrev_b32_e32 v8, 4, v3
	v_and_or_b32 v9, v7, s2, 0.5
	v_or_b32_e32 v8, 0x70000000, v8
	v_add_f32_e32 v9, -0.5, v9
	v_mul_f32_e32 v8, 0x7800000, v8
	v_cmp_gt_u32_e32 vcc, s3, v3
	v_bfe_i32 v7, v7, 0, 16
	v_cndmask_b32_e32 v3, v8, v9, vcc
	s_brev_b32 s2, 1
	v_and_or_b32 v3, v7, s2, v3
	v_cvt_u32_f32_e32 v3, v3
.LBB355_1441:
	s_mov_b64 s[2:3], 0
	s_mov_b64 s[10:11], -1
.LBB355_1442:
	s_andn2_b64 vcc, exec, s[2:3]
	s_mov_b64 s[2:3], 0
	s_cbranch_vccnz .LBB355_1453
; %bb.1443:
	s_cmp_gt_i32 s22, 14
	s_cbranch_scc0 .LBB355_1446
; %bb.1444:
	s_cmp_eq_u32 s22, 15
	s_cbranch_scc0 .LBB355_1449
; %bb.1445:
	global_load_ushort v3, v[0:1], off
	s_mov_b64 s[0:1], 0
	s_mov_b64 s[10:11], -1
	s_waitcnt vmcnt(0)
	v_lshlrev_b32_e32 v3, 16, v3
	v_cvt_u32_f32_e32 v3, v3
	s_branch .LBB355_1450
.LBB355_1446:
	s_mov_b64 s[18:19], -1
                                        ; implicit-def: $vgpr3
	s_branch .LBB355_1451
.LBB355_1447:
	s_andn2_saveexec_b64 s[2:3], s[2:3]
	s_cbranch_execz .LBB355_1428
.LBB355_1448:
	v_cmp_ne_u16_e32 vcc, 0, v7
	s_andn2_b64 s[10:11], s[10:11], exec
	s_and_b64 s[18:19], vcc, exec
	s_or_b64 s[10:11], s[10:11], s[18:19]
	s_or_b64 exec, exec, s[2:3]
	v_mov_b32_e32 v3, 0
	s_and_saveexec_b64 s[2:3], s[10:11]
	s_cbranch_execnz .LBB355_1429
	s_branch .LBB355_1430
.LBB355_1449:
	s_mov_b64 s[0:1], -1
                                        ; implicit-def: $vgpr3
.LBB355_1450:
	s_mov_b64 s[18:19], 0
.LBB355_1451:
	s_and_b64 vcc, exec, s[18:19]
	s_cbranch_vccz .LBB355_1453
; %bb.1452:
	s_cmp_lg_u32 s22, 11
	s_mov_b64 s[2:3], -1
	s_cselect_b64 s[0:1], -1, 0
.LBB355_1453:
	s_and_b64 vcc, exec, s[0:1]
	s_cbranch_vccnz .LBB355_1986
; %bb.1454:
	s_andn2_b64 vcc, exec, s[2:3]
	s_cbranch_vccnz .LBB355_1456
.LBB355_1455:
	global_load_ubyte v3, v[0:1], off
	s_mov_b64 s[10:11], -1
	s_waitcnt vmcnt(0)
	v_cmp_ne_u16_e32 vcc, 0, v3
	v_cndmask_b32_e64 v3, 0, 1, vcc
.LBB355_1456:
	s_mov_b64 s[0:1], 0
.LBB355_1457:
	s_and_b64 vcc, exec, s[0:1]
	s_cbranch_vccz .LBB355_1506
; %bb.1458:
	s_cmp_lt_i32 s22, 5
	s_cbranch_scc1 .LBB355_1463
; %bb.1459:
	s_cmp_lt_i32 s22, 8
	s_cbranch_scc1 .LBB355_1464
	;; [unrolled: 3-line block ×3, first 2 shown]
; %bb.1461:
	s_cmp_gt_i32 s22, 9
	s_cbranch_scc0 .LBB355_1466
; %bb.1462:
	global_load_dwordx2 v[7:8], v[0:1], off
	s_mov_b64 s[0:1], 0
	s_waitcnt vmcnt(0)
	v_cvt_u32_f64_e32 v3, v[7:8]
	s_branch .LBB355_1467
.LBB355_1463:
	s_mov_b64 s[0:1], -1
                                        ; implicit-def: $vgpr3
	s_branch .LBB355_1485
.LBB355_1464:
	s_mov_b64 s[0:1], -1
                                        ; implicit-def: $vgpr3
	s_branch .LBB355_1473
.LBB355_1465:
	s_mov_b64 s[0:1], -1
                                        ; implicit-def: $vgpr3
	s_branch .LBB355_1470
.LBB355_1466:
	s_mov_b64 s[0:1], -1
                                        ; implicit-def: $vgpr3
.LBB355_1467:
	s_andn2_b64 vcc, exec, s[0:1]
	s_cbranch_vccnz .LBB355_1469
; %bb.1468:
	global_load_dword v3, v[0:1], off
	s_waitcnt vmcnt(0)
	v_cvt_u32_f32_e32 v3, v3
.LBB355_1469:
	s_mov_b64 s[0:1], 0
.LBB355_1470:
	s_andn2_b64 vcc, exec, s[0:1]
	s_cbranch_vccnz .LBB355_1472
; %bb.1471:
	global_load_dword v3, v[0:1], off
	s_waitcnt vmcnt(0)
	v_cvt_f32_f16_e32 v3, v3
	v_cvt_u32_f32_e32 v3, v3
.LBB355_1472:
	s_mov_b64 s[0:1], 0
.LBB355_1473:
	s_andn2_b64 vcc, exec, s[0:1]
	s_cbranch_vccnz .LBB355_1484
; %bb.1474:
	s_cmp_lt_i32 s22, 6
	s_cbranch_scc1 .LBB355_1477
; %bb.1475:
	s_cmp_gt_i32 s22, 6
	s_cbranch_scc0 .LBB355_1478
; %bb.1476:
	global_load_dwordx2 v[7:8], v[0:1], off
	s_mov_b64 s[0:1], 0
	s_waitcnt vmcnt(0)
	v_cvt_u32_f64_e32 v3, v[7:8]
	s_branch .LBB355_1479
.LBB355_1477:
	s_mov_b64 s[0:1], -1
                                        ; implicit-def: $vgpr3
	s_branch .LBB355_1482
.LBB355_1478:
	s_mov_b64 s[0:1], -1
                                        ; implicit-def: $vgpr3
.LBB355_1479:
	s_andn2_b64 vcc, exec, s[0:1]
	s_cbranch_vccnz .LBB355_1481
; %bb.1480:
	global_load_dword v3, v[0:1], off
	s_waitcnt vmcnt(0)
	v_cvt_u32_f32_e32 v3, v3
.LBB355_1481:
	s_mov_b64 s[0:1], 0
.LBB355_1482:
	s_andn2_b64 vcc, exec, s[0:1]
	s_cbranch_vccnz .LBB355_1484
; %bb.1483:
	global_load_ushort v3, v[0:1], off
	s_waitcnt vmcnt(0)
	v_cvt_f32_f16_e32 v3, v3
	v_cvt_u32_f32_e32 v3, v3
.LBB355_1484:
	s_mov_b64 s[0:1], 0
.LBB355_1485:
	s_andn2_b64 vcc, exec, s[0:1]
	s_cbranch_vccnz .LBB355_1505
; %bb.1486:
	s_cmp_lt_i32 s22, 2
	s_cbranch_scc1 .LBB355_1490
; %bb.1487:
	s_cmp_lt_i32 s22, 3
	s_cbranch_scc1 .LBB355_1491
; %bb.1488:
	s_cmp_gt_i32 s22, 3
	s_cbranch_scc0 .LBB355_1492
; %bb.1489:
	global_load_dword v3, v[0:1], off
	s_mov_b64 s[0:1], 0
	s_branch .LBB355_1493
.LBB355_1490:
	s_mov_b64 s[0:1], -1
                                        ; implicit-def: $vgpr3
	s_branch .LBB355_1499
.LBB355_1491:
	s_mov_b64 s[0:1], -1
                                        ; implicit-def: $vgpr3
	s_branch .LBB355_1496
.LBB355_1492:
	s_mov_b64 s[0:1], -1
                                        ; implicit-def: $vgpr3
.LBB355_1493:
	s_andn2_b64 vcc, exec, s[0:1]
	s_cbranch_vccnz .LBB355_1495
; %bb.1494:
	global_load_dword v3, v[0:1], off
.LBB355_1495:
	s_mov_b64 s[0:1], 0
.LBB355_1496:
	s_andn2_b64 vcc, exec, s[0:1]
	s_cbranch_vccnz .LBB355_1498
; %bb.1497:
	global_load_sshort v3, v[0:1], off
.LBB355_1498:
	s_mov_b64 s[0:1], 0
.LBB355_1499:
	s_andn2_b64 vcc, exec, s[0:1]
	s_cbranch_vccnz .LBB355_1505
; %bb.1500:
	s_cmp_gt_i32 s22, 0
	s_cbranch_scc0 .LBB355_1502
; %bb.1501:
	global_load_sbyte v3, v[0:1], off
	s_mov_b64 s[0:1], 0
	s_branch .LBB355_1503
.LBB355_1502:
	s_mov_b64 s[0:1], -1
                                        ; implicit-def: $vgpr3
.LBB355_1503:
	s_andn2_b64 vcc, exec, s[0:1]
	s_cbranch_vccnz .LBB355_1505
; %bb.1504:
	global_load_ubyte v3, v[0:1], off
.LBB355_1505:
	s_mov_b64 s[10:11], -1
.LBB355_1506:
	s_andn2_b64 vcc, exec, s[10:11]
	s_cbranch_vccnz .LBB355_1940
; %bb.1507:
	v_mul_lo_u32 v2, s12, v2
	s_cmp_eq_u32 s14, 0
	s_cselect_b64 s[2:3], -1, 0
	s_waitcnt vmcnt(0)
	v_cmp_ne_u32_e32 vcc, s15, v6
	s_xor_b64 s[10:11], s[2:3], vcc
	v_ashrrev_i32_e32 v1, 31, v2
	v_mov_b32_e32 v6, s9
	s_and_b32 s26, s33, 0xff
	v_add_co_u32_e32 v0, vcc, s8, v2
	s_cmp_lt_i32 s26, 11
	v_addc_co_u32_e32 v1, vcc, v6, v1, vcc
	s_cbranch_scc1 .LBB355_1585
; %bb.1508:
	s_and_b32 s13, 0xffff, s26
	s_mov_b64 s[22:23], -1
	s_mov_b64 s[18:19], 0
	s_cmp_gt_i32 s13, 25
	s_mov_b64 s[20:21], 0
	s_mov_b64 s[0:1], 0
	s_cbranch_scc0 .LBB355_1541
; %bb.1509:
	s_cmp_gt_i32 s13, 28
	s_cbranch_scc0 .LBB355_1524
; %bb.1510:
	s_cmp_gt_i32 s13, 43
	;; [unrolled: 3-line block ×3, first 2 shown]
	s_cbranch_scc0 .LBB355_1514
; %bb.1512:
	s_mov_b64 s[0:1], -1
	s_mov_b64 s[22:23], 0
	s_cmp_eq_u32 s13, 46
	s_cbranch_scc0 .LBB355_1514
; %bb.1513:
	v_cndmask_b32_e64 v6, 0, 1.0, s[10:11]
	v_bfe_u32 v7, v6, 16, 1
	s_movk_i32 s0, 0x7fff
	v_add3_u32 v6, v6, v7, s0
	v_lshrrev_b32_e32 v6, 16, v6
	global_store_dword v[0:1], v6, off
	s_mov_b64 s[0:1], 0
	s_mov_b64 s[20:21], -1
.LBB355_1514:
	s_and_b64 vcc, exec, s[22:23]
	s_cbranch_vccz .LBB355_1519
; %bb.1515:
	s_cmp_eq_u32 s13, 44
	s_mov_b64 s[0:1], -1
	s_cbranch_scc0 .LBB355_1519
; %bb.1516:
	v_cndmask_b32_e64 v7, 0, 1.0, s[10:11]
	v_lshrrev_b32_e32 v6, 23, v7
	s_movk_i32 s0, 0xff
	v_cmp_ne_u32_e32 vcc, s0, v6
	v_mov_b32_e32 v8, 0xff
	s_and_saveexec_b64 s[20:21], vcc
; %bb.1517:
	s_mov_b32 s0, 0x3fffff
	v_and_b32_e32 v8, 0x400000, v7
	v_and_or_b32 v7, v7, s0, v6
	v_cmp_ne_u32_e32 vcc, 0, v8
	v_cmp_ne_u32_e64 s[0:1], 0, v7
	s_and_b64 s[0:1], vcc, s[0:1]
	v_cndmask_b32_e64 v7, 0, 1, s[0:1]
	v_add_u32_e32 v8, v6, v7
; %bb.1518:
	s_or_b64 exec, exec, s[20:21]
	s_mov_b64 s[0:1], 0
	s_mov_b64 s[20:21], -1
	global_store_byte v[0:1], v8, off
.LBB355_1519:
	s_mov_b64 s[22:23], 0
.LBB355_1520:
	s_and_b64 vcc, exec, s[22:23]
	s_cbranch_vccz .LBB355_1523
; %bb.1521:
	s_cmp_eq_u32 s13, 29
	s_mov_b64 s[0:1], -1
	s_cbranch_scc0 .LBB355_1523
; %bb.1522:
	s_mov_b32 s0, 0
	v_cndmask_b32_e64 v6, 0, 1, s[10:11]
	v_mov_b32_e32 v7, s0
	global_store_dwordx2 v[0:1], v[6:7], off
	s_mov_b64 s[0:1], 0
	s_mov_b64 s[20:21], -1
.LBB355_1523:
	s_mov_b64 s[22:23], 0
.LBB355_1524:
	s_and_b64 vcc, exec, s[22:23]
	s_cbranch_vccz .LBB355_1540
; %bb.1525:
	s_cmp_lt_i32 s13, 27
	s_mov_b64 s[20:21], -1
	s_cbranch_scc1 .LBB355_1531
; %bb.1526:
	s_cmp_gt_i32 s13, 27
	s_cbranch_scc0 .LBB355_1528
; %bb.1527:
	v_cndmask_b32_e64 v6, 0, 1, s[10:11]
	s_mov_b64 s[20:21], 0
	global_store_dword v[0:1], v6, off
.LBB355_1528:
	s_andn2_b64 vcc, exec, s[20:21]
	s_cbranch_vccnz .LBB355_1530
; %bb.1529:
	v_cndmask_b32_e64 v6, 0, 1, s[10:11]
	global_store_short v[0:1], v6, off
.LBB355_1530:
	s_mov_b64 s[20:21], 0
.LBB355_1531:
	s_andn2_b64 vcc, exec, s[20:21]
	s_cbranch_vccnz .LBB355_1539
; %bb.1532:
	v_cndmask_b32_e64 v7, 0, 1.0, s[10:11]
	s_mov_b32 s14, 0x43800000
	v_cmp_gt_u32_e32 vcc, s14, v7
	v_mov_b32_e32 v8, 0x80
	s_and_saveexec_b64 s[20:21], vcc
	s_cbranch_execz .LBB355_1538
; %bb.1533:
	s_mov_b32 s14, 0x3bffffff
	v_cmp_lt_u32_e32 vcc, s14, v7
	s_mov_b64 s[22:23], 0
                                        ; implicit-def: $vgpr6
	s_and_saveexec_b64 s[24:25], vcc
	s_xor_b64 s[24:25], exec, s[24:25]
	s_cbranch_execz .LBB355_1987
; %bb.1534:
	v_bfe_u32 v6, v7, 20, 1
	s_mov_b32 s14, 0x487ffff
	v_add3_u32 v6, v7, v6, s14
	s_mov_b64 s[22:23], exec
	v_lshrrev_b32_e32 v6, 20, v6
                                        ; implicit-def: $vgpr7
	s_andn2_saveexec_b64 s[24:25], s[24:25]
	s_cbranch_execnz .LBB355_1988
.LBB355_1535:
	s_or_b64 exec, exec, s[24:25]
	v_mov_b32_e32 v8, 0
	s_and_saveexec_b64 s[24:25], s[22:23]
.LBB355_1536:
	v_mov_b32_e32 v8, v6
.LBB355_1537:
	s_or_b64 exec, exec, s[24:25]
.LBB355_1538:
	s_or_b64 exec, exec, s[20:21]
	global_store_byte v[0:1], v8, off
.LBB355_1539:
	s_mov_b64 s[20:21], -1
.LBB355_1540:
	s_mov_b64 s[22:23], 0
.LBB355_1541:
	s_and_b64 vcc, exec, s[22:23]
	s_cbranch_vccz .LBB355_1581
; %bb.1542:
	s_cmp_gt_i32 s13, 22
	s_mov_b64 s[18:19], -1
	s_cbranch_scc0 .LBB355_1574
; %bb.1543:
	s_cmp_lt_i32 s13, 24
	s_cbranch_scc1 .LBB355_1563
; %bb.1544:
	s_cmp_gt_i32 s13, 24
	s_cbranch_scc0 .LBB355_1552
; %bb.1545:
	v_cndmask_b32_e64 v7, 0, 1.0, s[10:11]
	s_mov_b32 s14, 0x47800000
	v_cmp_gt_u32_e32 vcc, s14, v7
	v_mov_b32_e32 v8, 0x80
	s_and_saveexec_b64 s[18:19], vcc
	s_cbranch_execz .LBB355_1551
; %bb.1546:
	s_mov_b32 s14, 0x37ffffff
	v_cmp_lt_u32_e32 vcc, s14, v7
	s_mov_b64 s[20:21], 0
                                        ; implicit-def: $vgpr6
	s_and_saveexec_b64 s[22:23], vcc
	s_xor_b64 s[22:23], exec, s[22:23]
	s_cbranch_execz .LBB355_1990
; %bb.1547:
	v_bfe_u32 v6, v7, 21, 1
	s_mov_b32 s14, 0x88fffff
	v_add3_u32 v6, v7, v6, s14
	s_mov_b64 s[20:21], exec
	v_lshrrev_b32_e32 v6, 21, v6
                                        ; implicit-def: $vgpr7
	s_andn2_saveexec_b64 s[22:23], s[22:23]
	s_cbranch_execnz .LBB355_1991
.LBB355_1548:
	s_or_b64 exec, exec, s[22:23]
	v_mov_b32_e32 v8, 0
	s_and_saveexec_b64 s[22:23], s[20:21]
.LBB355_1549:
	v_mov_b32_e32 v8, v6
.LBB355_1550:
	s_or_b64 exec, exec, s[22:23]
.LBB355_1551:
	s_or_b64 exec, exec, s[18:19]
	s_mov_b64 s[18:19], 0
	global_store_byte v[0:1], v8, off
.LBB355_1552:
	s_and_b64 vcc, exec, s[18:19]
	s_cbranch_vccz .LBB355_1562
; %bb.1553:
	v_cndmask_b32_e64 v6, 0, 1.0, s[10:11]
	s_mov_b32 s14, 0x43f00000
	v_cmp_gt_u32_e32 vcc, s14, v6
                                        ; implicit-def: $vgpr7
	s_and_saveexec_b64 s[18:19], vcc
	s_xor_b64 s[18:19], exec, s[18:19]
	s_cbranch_execz .LBB355_1559
; %bb.1554:
	s_mov_b32 s14, 0x3c7fffff
	v_cmp_lt_u32_e32 vcc, s14, v6
                                        ; implicit-def: $vgpr7
	s_and_saveexec_b64 s[20:21], vcc
	s_xor_b64 s[20:21], exec, s[20:21]
; %bb.1555:
	v_bfe_u32 v7, v6, 20, 1
	s_mov_b32 s14, 0x407ffff
	v_add3_u32 v6, v6, v7, s14
	v_lshrrev_b32_e32 v7, 20, v6
	v_and_b32_e32 v6, 0xff00000, v6
	s_mov_b32 s14, 0x7f00000
	v_mov_b32_e32 v8, 0x7e
	v_cmp_ne_u32_e32 vcc, s14, v6
	v_cndmask_b32_e32 v7, v8, v7, vcc
                                        ; implicit-def: $vgpr6
; %bb.1556:
	s_andn2_saveexec_b64 s[20:21], s[20:21]
; %bb.1557:
	v_add_f32_e32 v7, 0x46800000, v6
; %bb.1558:
	s_or_b64 exec, exec, s[20:21]
                                        ; implicit-def: $vgpr6
.LBB355_1559:
	s_andn2_saveexec_b64 s[18:19], s[18:19]
; %bb.1560:
	s_mov_b32 s14, 0x7f800000
	v_mov_b32_e32 v7, 0x7e
	v_mov_b32_e32 v8, 0x7f
	v_cmp_lt_u32_e32 vcc, s14, v6
	v_cndmask_b32_e32 v7, v7, v8, vcc
; %bb.1561:
	s_or_b64 exec, exec, s[18:19]
	global_store_byte v[0:1], v7, off
.LBB355_1562:
	s_mov_b64 s[18:19], 0
.LBB355_1563:
	s_andn2_b64 vcc, exec, s[18:19]
	s_cbranch_vccnz .LBB355_1573
; %bb.1564:
	v_cndmask_b32_e64 v6, 0, 1.0, s[10:11]
	s_mov_b32 s14, 0x47800000
	v_cmp_gt_u32_e32 vcc, s14, v6
                                        ; implicit-def: $vgpr7
	s_and_saveexec_b64 s[18:19], vcc
	s_xor_b64 s[18:19], exec, s[18:19]
	s_cbranch_execz .LBB355_1570
; %bb.1565:
	s_mov_b32 s14, 0x387fffff
	v_cmp_lt_u32_e32 vcc, s14, v6
                                        ; implicit-def: $vgpr7
	s_and_saveexec_b64 s[20:21], vcc
	s_xor_b64 s[20:21], exec, s[20:21]
; %bb.1566:
	v_bfe_u32 v7, v6, 21, 1
	s_mov_b32 s14, 0x80fffff
	v_add3_u32 v6, v6, v7, s14
	v_lshrrev_b32_e32 v7, 21, v6
                                        ; implicit-def: $vgpr6
; %bb.1567:
	s_andn2_saveexec_b64 s[20:21], s[20:21]
; %bb.1568:
	v_add_f32_e32 v7, 0x43000000, v6
; %bb.1569:
	s_or_b64 exec, exec, s[20:21]
                                        ; implicit-def: $vgpr6
.LBB355_1570:
	s_andn2_saveexec_b64 s[18:19], s[18:19]
; %bb.1571:
	s_mov_b32 s14, 0x7f800000
	v_mov_b32_e32 v7, 0x7c
	v_mov_b32_e32 v8, 0x7f
	v_cmp_lt_u32_e32 vcc, s14, v6
	v_cndmask_b32_e32 v7, v7, v8, vcc
; %bb.1572:
	s_or_b64 exec, exec, s[18:19]
	global_store_byte v[0:1], v7, off
.LBB355_1573:
	s_mov_b64 s[18:19], 0
	s_mov_b64 s[20:21], -1
.LBB355_1574:
	s_andn2_b64 vcc, exec, s[18:19]
	s_mov_b64 s[18:19], 0
	s_cbranch_vccnz .LBB355_1581
; %bb.1575:
	s_cmp_gt_i32 s13, 14
	s_mov_b64 s[22:23], -1
	s_cbranch_scc0 .LBB355_1579
; %bb.1576:
	s_cmp_eq_u32 s13, 15
	s_mov_b64 s[0:1], -1
	s_cbranch_scc0 .LBB355_1578
; %bb.1577:
	v_cndmask_b32_e64 v6, 0, 1.0, s[10:11]
	v_bfe_u32 v7, v6, 16, 1
	s_movk_i32 s0, 0x7fff
	v_add3_u32 v6, v6, v7, s0
	global_store_short_d16_hi v[0:1], v6, off
	s_mov_b64 s[0:1], 0
	s_mov_b64 s[20:21], -1
.LBB355_1578:
	s_mov_b64 s[22:23], 0
.LBB355_1579:
	s_and_b64 vcc, exec, s[22:23]
	s_cbranch_vccz .LBB355_1581
; %bb.1580:
	s_cmp_lg_u32 s13, 11
	s_mov_b64 s[18:19], -1
	s_cselect_b64 s[0:1], -1, 0
.LBB355_1581:
	s_and_b64 vcc, exec, s[0:1]
	s_cbranch_vccnz .LBB355_1989
; %bb.1582:
	s_andn2_b64 vcc, exec, s[18:19]
	s_cbranch_vccnz .LBB355_1584
.LBB355_1583:
	v_cndmask_b32_e64 v6, 0, 1, s[10:11]
	s_mov_b64 s[20:21], -1
	global_store_byte v[0:1], v6, off
.LBB355_1584:
	s_mov_b64 s[0:1], 0
	s_branch .LBB355_1586
.LBB355_1585:
	s_mov_b64 s[0:1], -1
	s_mov_b64 s[20:21], 0
.LBB355_1586:
	s_and_b64 vcc, exec, s[0:1]
	s_cbranch_vccz .LBB355_1625
; %bb.1587:
	s_and_b32 s13, 0xffff, s26
	s_cmp_lt_i32 s13, 5
	s_mov_b64 s[0:1], -1
	s_cbranch_scc1 .LBB355_1608
; %bb.1588:
	s_cmp_lt_i32 s13, 8
	s_cbranch_scc1 .LBB355_1598
; %bb.1589:
	s_cmp_lt_i32 s13, 9
	s_cbranch_scc1 .LBB355_1595
; %bb.1590:
	s_cmp_gt_i32 s13, 9
	s_cbranch_scc0 .LBB355_1592
; %bb.1591:
	v_cndmask_b32_e64 v6, 0, 1, s[10:11]
	v_cvt_f64_u32_e32 v[6:7], v6
	v_mov_b32_e32 v8, 0
	v_mov_b32_e32 v9, v8
	s_mov_b64 s[0:1], 0
	global_store_dwordx4 v[0:1], v[6:9], off
.LBB355_1592:
	s_andn2_b64 vcc, exec, s[0:1]
	s_cbranch_vccnz .LBB355_1594
; %bb.1593:
	v_cndmask_b32_e64 v6, 0, 1.0, s[10:11]
	v_mov_b32_e32 v7, 0
	global_store_dwordx2 v[0:1], v[6:7], off
.LBB355_1594:
	s_mov_b64 s[0:1], 0
.LBB355_1595:
	s_andn2_b64 vcc, exec, s[0:1]
	s_cbranch_vccnz .LBB355_1597
; %bb.1596:
	v_cndmask_b32_e64 v6, 0, 1.0, s[10:11]
	v_cvt_f16_f32_e32 v6, v6
	global_store_dword v[0:1], v6, off
.LBB355_1597:
	s_mov_b64 s[0:1], 0
.LBB355_1598:
	s_andn2_b64 vcc, exec, s[0:1]
	s_cbranch_vccnz .LBB355_1607
; %bb.1599:
	s_cmp_lt_i32 s13, 6
	s_mov_b64 s[0:1], -1
	s_cbranch_scc1 .LBB355_1605
; %bb.1600:
	s_cmp_gt_i32 s13, 6
	s_cbranch_scc0 .LBB355_1602
; %bb.1601:
	v_cndmask_b32_e64 v6, 0, 1, s[10:11]
	v_cvt_f64_u32_e32 v[6:7], v6
	s_mov_b64 s[0:1], 0
	global_store_dwordx2 v[0:1], v[6:7], off
.LBB355_1602:
	s_andn2_b64 vcc, exec, s[0:1]
	s_cbranch_vccnz .LBB355_1604
; %bb.1603:
	v_cndmask_b32_e64 v6, 0, 1.0, s[10:11]
	global_store_dword v[0:1], v6, off
.LBB355_1604:
	s_mov_b64 s[0:1], 0
.LBB355_1605:
	s_andn2_b64 vcc, exec, s[0:1]
	s_cbranch_vccnz .LBB355_1607
; %bb.1606:
	v_cndmask_b32_e64 v6, 0, 1.0, s[10:11]
	v_cvt_f16_f32_e32 v6, v6
	global_store_short v[0:1], v6, off
.LBB355_1607:
	s_mov_b64 s[0:1], 0
.LBB355_1608:
	s_andn2_b64 vcc, exec, s[0:1]
	s_cbranch_vccnz .LBB355_1624
; %bb.1609:
	s_cmp_lt_i32 s13, 2
	s_mov_b64 s[0:1], -1
	s_cbranch_scc1 .LBB355_1619
; %bb.1610:
	s_cmp_lt_i32 s13, 3
	s_cbranch_scc1 .LBB355_1616
; %bb.1611:
	s_cmp_gt_i32 s13, 3
	s_cbranch_scc0 .LBB355_1613
; %bb.1612:
	s_mov_b32 s0, 0
	v_cndmask_b32_e64 v6, 0, 1, s[10:11]
	v_mov_b32_e32 v7, s0
	global_store_dwordx2 v[0:1], v[6:7], off
	s_mov_b64 s[0:1], 0
.LBB355_1613:
	s_andn2_b64 vcc, exec, s[0:1]
	s_cbranch_vccnz .LBB355_1615
; %bb.1614:
	v_cndmask_b32_e64 v6, 0, 1, s[10:11]
	global_store_dword v[0:1], v6, off
.LBB355_1615:
	s_mov_b64 s[0:1], 0
.LBB355_1616:
	s_andn2_b64 vcc, exec, s[0:1]
	s_cbranch_vccnz .LBB355_1618
; %bb.1617:
	v_cndmask_b32_e64 v6, 0, 1, s[10:11]
	global_store_short v[0:1], v6, off
.LBB355_1618:
	s_mov_b64 s[0:1], 0
.LBB355_1619:
	s_andn2_b64 vcc, exec, s[0:1]
	s_cbranch_vccnz .LBB355_1624
; %bb.1620:
	s_mov_b64 s[0:1], -1
	s_cmp_gt_i32 s13, 0
	v_cndmask_b32_e64 v6, 0, 1, s[10:11]
	s_cbranch_scc0 .LBB355_1622
; %bb.1621:
	global_store_byte v[0:1], v6, off
	s_mov_b64 s[0:1], 0
.LBB355_1622:
	s_andn2_b64 vcc, exec, s[0:1]
	s_cbranch_vccnz .LBB355_1624
; %bb.1623:
	global_store_byte v[0:1], v6, off
.LBB355_1624:
	s_mov_b64 s[20:21], -1
.LBB355_1625:
	s_andn2_b64 vcc, exec, s[20:21]
	s_cbranch_vccnz .LBB355_1940
; %bb.1626:
	s_lshl_b32 s14, s12, 7
	v_cmp_ne_u32_e32 vcc, s15, v5
	v_add_u32_e32 v2, s14, v2
	s_xor_b64 s[10:11], s[2:3], vcc
	v_ashrrev_i32_e32 v1, 31, v2
	v_mov_b32_e32 v5, s9
	v_add_co_u32_e32 v0, vcc, s8, v2
	s_cmp_lt_i32 s26, 11
	v_addc_co_u32_e32 v1, vcc, v5, v1, vcc
	s_cbranch_scc1 .LBB355_1704
; %bb.1627:
	s_and_b32 s24, 0xffff, s26
	s_mov_b64 s[20:21], -1
	s_mov_b64 s[12:13], 0
	s_cmp_gt_i32 s24, 25
	s_mov_b64 s[18:19], 0
	s_mov_b64 s[0:1], 0
	s_cbranch_scc0 .LBB355_1660
; %bb.1628:
	s_cmp_gt_i32 s24, 28
	s_cbranch_scc0 .LBB355_1643
; %bb.1629:
	s_cmp_gt_i32 s24, 43
	;; [unrolled: 3-line block ×3, first 2 shown]
	s_cbranch_scc0 .LBB355_1633
; %bb.1631:
	s_mov_b64 s[0:1], -1
	s_mov_b64 s[20:21], 0
	s_cmp_eq_u32 s24, 46
	s_cbranch_scc0 .LBB355_1633
; %bb.1632:
	v_cndmask_b32_e64 v5, 0, 1.0, s[10:11]
	v_bfe_u32 v6, v5, 16, 1
	s_movk_i32 s0, 0x7fff
	v_add3_u32 v5, v5, v6, s0
	v_lshrrev_b32_e32 v5, 16, v5
	global_store_dword v[0:1], v5, off
	s_mov_b64 s[0:1], 0
	s_mov_b64 s[18:19], -1
.LBB355_1633:
	s_and_b64 vcc, exec, s[20:21]
	s_cbranch_vccz .LBB355_1638
; %bb.1634:
	s_cmp_eq_u32 s24, 44
	s_mov_b64 s[0:1], -1
	s_cbranch_scc0 .LBB355_1638
; %bb.1635:
	v_cndmask_b32_e64 v6, 0, 1.0, s[10:11]
	v_lshrrev_b32_e32 v5, 23, v6
	s_movk_i32 s0, 0xff
	v_cmp_ne_u32_e32 vcc, s0, v5
	v_mov_b32_e32 v7, 0xff
	s_and_saveexec_b64 s[18:19], vcc
; %bb.1636:
	s_mov_b32 s0, 0x3fffff
	v_and_b32_e32 v7, 0x400000, v6
	v_and_or_b32 v6, v6, s0, v5
	v_cmp_ne_u32_e32 vcc, 0, v7
	v_cmp_ne_u32_e64 s[0:1], 0, v6
	s_and_b64 s[0:1], vcc, s[0:1]
	v_cndmask_b32_e64 v6, 0, 1, s[0:1]
	v_add_u32_e32 v7, v5, v6
; %bb.1637:
	s_or_b64 exec, exec, s[18:19]
	s_mov_b64 s[0:1], 0
	s_mov_b64 s[18:19], -1
	global_store_byte v[0:1], v7, off
.LBB355_1638:
	s_mov_b64 s[20:21], 0
.LBB355_1639:
	s_and_b64 vcc, exec, s[20:21]
	s_cbranch_vccz .LBB355_1642
; %bb.1640:
	s_cmp_eq_u32 s24, 29
	s_mov_b64 s[0:1], -1
	s_cbranch_scc0 .LBB355_1642
; %bb.1641:
	s_mov_b32 s0, 0
	v_cndmask_b32_e64 v5, 0, 1, s[10:11]
	v_mov_b32_e32 v6, s0
	global_store_dwordx2 v[0:1], v[5:6], off
	s_mov_b64 s[0:1], 0
	s_mov_b64 s[18:19], -1
.LBB355_1642:
	s_mov_b64 s[20:21], 0
.LBB355_1643:
	s_and_b64 vcc, exec, s[20:21]
	s_cbranch_vccz .LBB355_1659
; %bb.1644:
	s_cmp_lt_i32 s24, 27
	s_mov_b64 s[18:19], -1
	s_cbranch_scc1 .LBB355_1650
; %bb.1645:
	s_cmp_gt_i32 s24, 27
	s_cbranch_scc0 .LBB355_1647
; %bb.1646:
	v_cndmask_b32_e64 v5, 0, 1, s[10:11]
	s_mov_b64 s[18:19], 0
	global_store_dword v[0:1], v5, off
.LBB355_1647:
	s_andn2_b64 vcc, exec, s[18:19]
	s_cbranch_vccnz .LBB355_1649
; %bb.1648:
	v_cndmask_b32_e64 v5, 0, 1, s[10:11]
	global_store_short v[0:1], v5, off
.LBB355_1649:
	s_mov_b64 s[18:19], 0
.LBB355_1650:
	s_andn2_b64 vcc, exec, s[18:19]
	s_cbranch_vccnz .LBB355_1658
; %bb.1651:
	v_cndmask_b32_e64 v6, 0, 1.0, s[10:11]
	s_mov_b32 s18, 0x43800000
	v_cmp_gt_u32_e32 vcc, s18, v6
	v_mov_b32_e32 v7, 0x80
	s_and_saveexec_b64 s[18:19], vcc
	s_cbranch_execz .LBB355_1657
; %bb.1652:
	s_mov_b32 s20, 0x3bffffff
	v_cmp_lt_u32_e32 vcc, s20, v6
	s_mov_b64 s[20:21], 0
                                        ; implicit-def: $vgpr5
	s_and_saveexec_b64 s[22:23], vcc
	s_xor_b64 s[22:23], exec, s[22:23]
	s_cbranch_execz .LBB355_1992
; %bb.1653:
	v_bfe_u32 v5, v6, 20, 1
	s_mov_b32 s25, 0x487ffff
	v_add3_u32 v5, v6, v5, s25
	s_mov_b64 s[20:21], exec
	v_lshrrev_b32_e32 v5, 20, v5
                                        ; implicit-def: $vgpr6
	s_andn2_saveexec_b64 s[22:23], s[22:23]
	s_cbranch_execnz .LBB355_1993
.LBB355_1654:
	s_or_b64 exec, exec, s[22:23]
	v_mov_b32_e32 v7, 0
	s_and_saveexec_b64 s[22:23], s[20:21]
.LBB355_1655:
	v_mov_b32_e32 v7, v5
.LBB355_1656:
	s_or_b64 exec, exec, s[22:23]
.LBB355_1657:
	s_or_b64 exec, exec, s[18:19]
	global_store_byte v[0:1], v7, off
.LBB355_1658:
	s_mov_b64 s[18:19], -1
.LBB355_1659:
	s_mov_b64 s[20:21], 0
.LBB355_1660:
	s_and_b64 vcc, exec, s[20:21]
	s_cbranch_vccz .LBB355_1700
; %bb.1661:
	s_cmp_gt_i32 s24, 22
	s_mov_b64 s[12:13], -1
	s_cbranch_scc0 .LBB355_1693
; %bb.1662:
	s_cmp_lt_i32 s24, 24
	s_cbranch_scc1 .LBB355_1682
; %bb.1663:
	s_cmp_gt_i32 s24, 24
	s_cbranch_scc0 .LBB355_1671
; %bb.1664:
	v_cndmask_b32_e64 v6, 0, 1.0, s[10:11]
	s_mov_b32 s12, 0x47800000
	v_cmp_gt_u32_e32 vcc, s12, v6
	v_mov_b32_e32 v7, 0x80
	s_and_saveexec_b64 s[12:13], vcc
	s_cbranch_execz .LBB355_1670
; %bb.1665:
	s_mov_b32 s18, 0x37ffffff
	v_cmp_lt_u32_e32 vcc, s18, v6
	s_mov_b64 s[18:19], 0
                                        ; implicit-def: $vgpr5
	s_and_saveexec_b64 s[20:21], vcc
	s_xor_b64 s[20:21], exec, s[20:21]
	s_cbranch_execz .LBB355_1995
; %bb.1666:
	v_bfe_u32 v5, v6, 21, 1
	s_mov_b32 s22, 0x88fffff
	v_add3_u32 v5, v6, v5, s22
	s_mov_b64 s[18:19], exec
	v_lshrrev_b32_e32 v5, 21, v5
                                        ; implicit-def: $vgpr6
	s_andn2_saveexec_b64 s[20:21], s[20:21]
	s_cbranch_execnz .LBB355_1996
.LBB355_1667:
	s_or_b64 exec, exec, s[20:21]
	v_mov_b32_e32 v7, 0
	s_and_saveexec_b64 s[20:21], s[18:19]
.LBB355_1668:
	v_mov_b32_e32 v7, v5
.LBB355_1669:
	s_or_b64 exec, exec, s[20:21]
.LBB355_1670:
	s_or_b64 exec, exec, s[12:13]
	s_mov_b64 s[12:13], 0
	global_store_byte v[0:1], v7, off
.LBB355_1671:
	s_and_b64 vcc, exec, s[12:13]
	s_cbranch_vccz .LBB355_1681
; %bb.1672:
	v_cndmask_b32_e64 v5, 0, 1.0, s[10:11]
	s_mov_b32 s12, 0x43f00000
	v_cmp_gt_u32_e32 vcc, s12, v5
                                        ; implicit-def: $vgpr6
	s_and_saveexec_b64 s[12:13], vcc
	s_xor_b64 s[12:13], exec, s[12:13]
	s_cbranch_execz .LBB355_1678
; %bb.1673:
	s_mov_b32 s18, 0x3c7fffff
	v_cmp_lt_u32_e32 vcc, s18, v5
                                        ; implicit-def: $vgpr6
	s_and_saveexec_b64 s[18:19], vcc
	s_xor_b64 s[18:19], exec, s[18:19]
; %bb.1674:
	v_bfe_u32 v6, v5, 20, 1
	s_mov_b32 s20, 0x407ffff
	v_add3_u32 v5, v5, v6, s20
	v_lshrrev_b32_e32 v6, 20, v5
	v_and_b32_e32 v5, 0xff00000, v5
	s_mov_b32 s20, 0x7f00000
	v_mov_b32_e32 v7, 0x7e
	v_cmp_ne_u32_e32 vcc, s20, v5
	v_cndmask_b32_e32 v6, v7, v6, vcc
                                        ; implicit-def: $vgpr5
; %bb.1675:
	s_andn2_saveexec_b64 s[18:19], s[18:19]
; %bb.1676:
	v_add_f32_e32 v6, 0x46800000, v5
; %bb.1677:
	s_or_b64 exec, exec, s[18:19]
                                        ; implicit-def: $vgpr5
.LBB355_1678:
	s_andn2_saveexec_b64 s[12:13], s[12:13]
; %bb.1679:
	s_mov_b32 s18, 0x7f800000
	v_mov_b32_e32 v6, 0x7e
	v_mov_b32_e32 v7, 0x7f
	v_cmp_lt_u32_e32 vcc, s18, v5
	v_cndmask_b32_e32 v6, v6, v7, vcc
; %bb.1680:
	s_or_b64 exec, exec, s[12:13]
	global_store_byte v[0:1], v6, off
.LBB355_1681:
	s_mov_b64 s[12:13], 0
.LBB355_1682:
	s_andn2_b64 vcc, exec, s[12:13]
	s_cbranch_vccnz .LBB355_1692
; %bb.1683:
	v_cndmask_b32_e64 v5, 0, 1.0, s[10:11]
	s_mov_b32 s12, 0x47800000
	v_cmp_gt_u32_e32 vcc, s12, v5
                                        ; implicit-def: $vgpr6
	s_and_saveexec_b64 s[12:13], vcc
	s_xor_b64 s[12:13], exec, s[12:13]
	s_cbranch_execz .LBB355_1689
; %bb.1684:
	s_mov_b32 s18, 0x387fffff
	v_cmp_lt_u32_e32 vcc, s18, v5
                                        ; implicit-def: $vgpr6
	s_and_saveexec_b64 s[18:19], vcc
	s_xor_b64 s[18:19], exec, s[18:19]
; %bb.1685:
	v_bfe_u32 v6, v5, 21, 1
	s_mov_b32 s20, 0x80fffff
	v_add3_u32 v5, v5, v6, s20
	v_lshrrev_b32_e32 v6, 21, v5
                                        ; implicit-def: $vgpr5
; %bb.1686:
	s_andn2_saveexec_b64 s[18:19], s[18:19]
; %bb.1687:
	v_add_f32_e32 v6, 0x43000000, v5
; %bb.1688:
	s_or_b64 exec, exec, s[18:19]
                                        ; implicit-def: $vgpr5
.LBB355_1689:
	s_andn2_saveexec_b64 s[12:13], s[12:13]
; %bb.1690:
	s_mov_b32 s18, 0x7f800000
	v_mov_b32_e32 v6, 0x7c
	v_mov_b32_e32 v7, 0x7f
	v_cmp_lt_u32_e32 vcc, s18, v5
	v_cndmask_b32_e32 v6, v6, v7, vcc
; %bb.1691:
	s_or_b64 exec, exec, s[12:13]
	global_store_byte v[0:1], v6, off
.LBB355_1692:
	s_mov_b64 s[12:13], 0
	s_mov_b64 s[18:19], -1
.LBB355_1693:
	s_andn2_b64 vcc, exec, s[12:13]
	s_mov_b64 s[12:13], 0
	s_cbranch_vccnz .LBB355_1700
; %bb.1694:
	s_cmp_gt_i32 s24, 14
	s_mov_b64 s[20:21], -1
	s_cbranch_scc0 .LBB355_1698
; %bb.1695:
	s_cmp_eq_u32 s24, 15
	s_mov_b64 s[0:1], -1
	s_cbranch_scc0 .LBB355_1697
; %bb.1696:
	v_cndmask_b32_e64 v5, 0, 1.0, s[10:11]
	v_bfe_u32 v6, v5, 16, 1
	s_movk_i32 s0, 0x7fff
	v_add3_u32 v5, v5, v6, s0
	global_store_short_d16_hi v[0:1], v5, off
	s_mov_b64 s[0:1], 0
	s_mov_b64 s[18:19], -1
.LBB355_1697:
	s_mov_b64 s[20:21], 0
.LBB355_1698:
	s_and_b64 vcc, exec, s[20:21]
	s_cbranch_vccz .LBB355_1700
; %bb.1699:
	s_cmp_lg_u32 s24, 11
	s_mov_b64 s[12:13], -1
	s_cselect_b64 s[0:1], -1, 0
.LBB355_1700:
	s_and_b64 vcc, exec, s[0:1]
	s_cbranch_vccnz .LBB355_1994
; %bb.1701:
	s_andn2_b64 vcc, exec, s[12:13]
	s_cbranch_vccnz .LBB355_1703
.LBB355_1702:
	v_cndmask_b32_e64 v5, 0, 1, s[10:11]
	s_mov_b64 s[18:19], -1
	global_store_byte v[0:1], v5, off
.LBB355_1703:
	s_mov_b64 s[0:1], 0
	s_branch .LBB355_1705
.LBB355_1704:
	s_mov_b64 s[0:1], -1
	s_mov_b64 s[18:19], 0
.LBB355_1705:
	s_and_b64 vcc, exec, s[0:1]
	s_cbranch_vccz .LBB355_1744
; %bb.1706:
	s_and_b32 s12, 0xffff, s26
	s_cmp_lt_i32 s12, 5
	s_mov_b64 s[0:1], -1
	s_cbranch_scc1 .LBB355_1727
; %bb.1707:
	s_cmp_lt_i32 s12, 8
	s_cbranch_scc1 .LBB355_1717
; %bb.1708:
	s_cmp_lt_i32 s12, 9
	s_cbranch_scc1 .LBB355_1714
; %bb.1709:
	s_cmp_gt_i32 s12, 9
	s_cbranch_scc0 .LBB355_1711
; %bb.1710:
	v_cndmask_b32_e64 v5, 0, 1, s[10:11]
	v_cvt_f64_u32_e32 v[5:6], v5
	v_mov_b32_e32 v7, 0
	v_mov_b32_e32 v8, v7
	s_mov_b64 s[0:1], 0
	global_store_dwordx4 v[0:1], v[5:8], off
.LBB355_1711:
	s_andn2_b64 vcc, exec, s[0:1]
	s_cbranch_vccnz .LBB355_1713
; %bb.1712:
	v_cndmask_b32_e64 v5, 0, 1.0, s[10:11]
	v_mov_b32_e32 v6, 0
	global_store_dwordx2 v[0:1], v[5:6], off
.LBB355_1713:
	s_mov_b64 s[0:1], 0
.LBB355_1714:
	s_andn2_b64 vcc, exec, s[0:1]
	s_cbranch_vccnz .LBB355_1716
; %bb.1715:
	v_cndmask_b32_e64 v5, 0, 1.0, s[10:11]
	v_cvt_f16_f32_e32 v5, v5
	global_store_dword v[0:1], v5, off
.LBB355_1716:
	s_mov_b64 s[0:1], 0
.LBB355_1717:
	s_andn2_b64 vcc, exec, s[0:1]
	s_cbranch_vccnz .LBB355_1726
; %bb.1718:
	s_cmp_lt_i32 s12, 6
	s_mov_b64 s[0:1], -1
	s_cbranch_scc1 .LBB355_1724
; %bb.1719:
	s_cmp_gt_i32 s12, 6
	s_cbranch_scc0 .LBB355_1721
; %bb.1720:
	v_cndmask_b32_e64 v5, 0, 1, s[10:11]
	v_cvt_f64_u32_e32 v[5:6], v5
	s_mov_b64 s[0:1], 0
	global_store_dwordx2 v[0:1], v[5:6], off
.LBB355_1721:
	s_andn2_b64 vcc, exec, s[0:1]
	s_cbranch_vccnz .LBB355_1723
; %bb.1722:
	v_cndmask_b32_e64 v5, 0, 1.0, s[10:11]
	global_store_dword v[0:1], v5, off
.LBB355_1723:
	s_mov_b64 s[0:1], 0
.LBB355_1724:
	s_andn2_b64 vcc, exec, s[0:1]
	s_cbranch_vccnz .LBB355_1726
; %bb.1725:
	v_cndmask_b32_e64 v5, 0, 1.0, s[10:11]
	v_cvt_f16_f32_e32 v5, v5
	global_store_short v[0:1], v5, off
.LBB355_1726:
	s_mov_b64 s[0:1], 0
.LBB355_1727:
	s_andn2_b64 vcc, exec, s[0:1]
	s_cbranch_vccnz .LBB355_1743
; %bb.1728:
	s_cmp_lt_i32 s12, 2
	s_mov_b64 s[0:1], -1
	s_cbranch_scc1 .LBB355_1738
; %bb.1729:
	s_cmp_lt_i32 s12, 3
	s_cbranch_scc1 .LBB355_1735
; %bb.1730:
	s_cmp_gt_i32 s12, 3
	s_cbranch_scc0 .LBB355_1732
; %bb.1731:
	s_mov_b32 s0, 0
	v_cndmask_b32_e64 v5, 0, 1, s[10:11]
	v_mov_b32_e32 v6, s0
	global_store_dwordx2 v[0:1], v[5:6], off
	s_mov_b64 s[0:1], 0
.LBB355_1732:
	s_andn2_b64 vcc, exec, s[0:1]
	s_cbranch_vccnz .LBB355_1734
; %bb.1733:
	v_cndmask_b32_e64 v5, 0, 1, s[10:11]
	global_store_dword v[0:1], v5, off
.LBB355_1734:
	s_mov_b64 s[0:1], 0
.LBB355_1735:
	s_andn2_b64 vcc, exec, s[0:1]
	s_cbranch_vccnz .LBB355_1737
; %bb.1736:
	v_cndmask_b32_e64 v5, 0, 1, s[10:11]
	global_store_short v[0:1], v5, off
.LBB355_1737:
	s_mov_b64 s[0:1], 0
.LBB355_1738:
	s_andn2_b64 vcc, exec, s[0:1]
	s_cbranch_vccnz .LBB355_1743
; %bb.1739:
	s_mov_b64 s[0:1], -1
	s_cmp_gt_i32 s12, 0
	v_cndmask_b32_e64 v5, 0, 1, s[10:11]
	s_cbranch_scc0 .LBB355_1741
; %bb.1740:
	global_store_byte v[0:1], v5, off
	s_mov_b64 s[0:1], 0
.LBB355_1741:
	s_andn2_b64 vcc, exec, s[0:1]
	s_cbranch_vccnz .LBB355_1743
; %bb.1742:
	global_store_byte v[0:1], v5, off
.LBB355_1743:
	s_mov_b64 s[18:19], -1
.LBB355_1744:
	s_andn2_b64 vcc, exec, s[18:19]
	s_cbranch_vccnz .LBB355_1940
; %bb.1745:
	v_cmp_ne_u32_e32 vcc, s15, v4
	v_add_u32_e32 v2, s14, v2
	s_xor_b64 s[10:11], s[2:3], vcc
	v_ashrrev_i32_e32 v1, 31, v2
	v_mov_b32_e32 v4, s9
	v_add_co_u32_e32 v0, vcc, s8, v2
	s_cmp_lt_i32 s26, 11
	v_addc_co_u32_e32 v1, vcc, v4, v1, vcc
	s_cbranch_scc1 .LBB355_1823
; %bb.1746:
	s_and_b32 s24, 0xffff, s26
	s_mov_b64 s[20:21], -1
	s_mov_b64 s[12:13], 0
	s_cmp_gt_i32 s24, 25
	s_mov_b64 s[18:19], 0
	s_mov_b64 s[0:1], 0
	s_cbranch_scc0 .LBB355_1779
; %bb.1747:
	s_cmp_gt_i32 s24, 28
	s_cbranch_scc0 .LBB355_1762
; %bb.1748:
	s_cmp_gt_i32 s24, 43
	;; [unrolled: 3-line block ×3, first 2 shown]
	s_cbranch_scc0 .LBB355_1752
; %bb.1750:
	s_mov_b64 s[0:1], -1
	s_mov_b64 s[20:21], 0
	s_cmp_eq_u32 s24, 46
	s_cbranch_scc0 .LBB355_1752
; %bb.1751:
	v_cndmask_b32_e64 v4, 0, 1.0, s[10:11]
	v_bfe_u32 v5, v4, 16, 1
	s_movk_i32 s0, 0x7fff
	v_add3_u32 v4, v4, v5, s0
	v_lshrrev_b32_e32 v4, 16, v4
	global_store_dword v[0:1], v4, off
	s_mov_b64 s[0:1], 0
	s_mov_b64 s[18:19], -1
.LBB355_1752:
	s_and_b64 vcc, exec, s[20:21]
	s_cbranch_vccz .LBB355_1757
; %bb.1753:
	s_cmp_eq_u32 s24, 44
	s_mov_b64 s[0:1], -1
	s_cbranch_scc0 .LBB355_1757
; %bb.1754:
	v_cndmask_b32_e64 v5, 0, 1.0, s[10:11]
	v_lshrrev_b32_e32 v4, 23, v5
	s_movk_i32 s0, 0xff
	v_cmp_ne_u32_e32 vcc, s0, v4
	v_mov_b32_e32 v6, 0xff
	s_and_saveexec_b64 s[18:19], vcc
; %bb.1755:
	s_mov_b32 s0, 0x3fffff
	v_and_b32_e32 v6, 0x400000, v5
	v_and_or_b32 v5, v5, s0, v4
	v_cmp_ne_u32_e32 vcc, 0, v6
	v_cmp_ne_u32_e64 s[0:1], 0, v5
	s_and_b64 s[0:1], vcc, s[0:1]
	v_cndmask_b32_e64 v5, 0, 1, s[0:1]
	v_add_u32_e32 v6, v4, v5
; %bb.1756:
	s_or_b64 exec, exec, s[18:19]
	s_mov_b64 s[0:1], 0
	s_mov_b64 s[18:19], -1
	global_store_byte v[0:1], v6, off
.LBB355_1757:
	s_mov_b64 s[20:21], 0
.LBB355_1758:
	s_and_b64 vcc, exec, s[20:21]
	s_cbranch_vccz .LBB355_1761
; %bb.1759:
	s_cmp_eq_u32 s24, 29
	s_mov_b64 s[0:1], -1
	s_cbranch_scc0 .LBB355_1761
; %bb.1760:
	s_mov_b32 s0, 0
	v_cndmask_b32_e64 v4, 0, 1, s[10:11]
	v_mov_b32_e32 v5, s0
	global_store_dwordx2 v[0:1], v[4:5], off
	s_mov_b64 s[0:1], 0
	s_mov_b64 s[18:19], -1
.LBB355_1761:
	s_mov_b64 s[20:21], 0
.LBB355_1762:
	s_and_b64 vcc, exec, s[20:21]
	s_cbranch_vccz .LBB355_1778
; %bb.1763:
	s_cmp_lt_i32 s24, 27
	s_mov_b64 s[18:19], -1
	s_cbranch_scc1 .LBB355_1769
; %bb.1764:
	s_cmp_gt_i32 s24, 27
	s_cbranch_scc0 .LBB355_1766
; %bb.1765:
	v_cndmask_b32_e64 v4, 0, 1, s[10:11]
	s_mov_b64 s[18:19], 0
	global_store_dword v[0:1], v4, off
.LBB355_1766:
	s_andn2_b64 vcc, exec, s[18:19]
	s_cbranch_vccnz .LBB355_1768
; %bb.1767:
	v_cndmask_b32_e64 v4, 0, 1, s[10:11]
	global_store_short v[0:1], v4, off
.LBB355_1768:
	s_mov_b64 s[18:19], 0
.LBB355_1769:
	s_andn2_b64 vcc, exec, s[18:19]
	s_cbranch_vccnz .LBB355_1777
; %bb.1770:
	v_cndmask_b32_e64 v5, 0, 1.0, s[10:11]
	s_mov_b32 s18, 0x43800000
	v_cmp_gt_u32_e32 vcc, s18, v5
	v_mov_b32_e32 v6, 0x80
	s_and_saveexec_b64 s[18:19], vcc
	s_cbranch_execz .LBB355_1776
; %bb.1771:
	s_mov_b32 s20, 0x3bffffff
	v_cmp_lt_u32_e32 vcc, s20, v5
	s_mov_b64 s[20:21], 0
                                        ; implicit-def: $vgpr4
	s_and_saveexec_b64 s[22:23], vcc
	s_xor_b64 s[22:23], exec, s[22:23]
	s_cbranch_execz .LBB355_1997
; %bb.1772:
	v_bfe_u32 v4, v5, 20, 1
	s_mov_b32 s25, 0x487ffff
	v_add3_u32 v4, v5, v4, s25
	s_mov_b64 s[20:21], exec
	v_lshrrev_b32_e32 v4, 20, v4
                                        ; implicit-def: $vgpr5
	s_andn2_saveexec_b64 s[22:23], s[22:23]
	s_cbranch_execnz .LBB355_1998
.LBB355_1773:
	s_or_b64 exec, exec, s[22:23]
	v_mov_b32_e32 v6, 0
	s_and_saveexec_b64 s[22:23], s[20:21]
.LBB355_1774:
	v_mov_b32_e32 v6, v4
.LBB355_1775:
	s_or_b64 exec, exec, s[22:23]
.LBB355_1776:
	s_or_b64 exec, exec, s[18:19]
	global_store_byte v[0:1], v6, off
.LBB355_1777:
	s_mov_b64 s[18:19], -1
.LBB355_1778:
	s_mov_b64 s[20:21], 0
.LBB355_1779:
	s_and_b64 vcc, exec, s[20:21]
	s_cbranch_vccz .LBB355_1819
; %bb.1780:
	s_cmp_gt_i32 s24, 22
	s_mov_b64 s[12:13], -1
	s_cbranch_scc0 .LBB355_1812
; %bb.1781:
	s_cmp_lt_i32 s24, 24
	s_cbranch_scc1 .LBB355_1801
; %bb.1782:
	s_cmp_gt_i32 s24, 24
	s_cbranch_scc0 .LBB355_1790
; %bb.1783:
	v_cndmask_b32_e64 v5, 0, 1.0, s[10:11]
	s_mov_b32 s12, 0x47800000
	v_cmp_gt_u32_e32 vcc, s12, v5
	v_mov_b32_e32 v6, 0x80
	s_and_saveexec_b64 s[12:13], vcc
	s_cbranch_execz .LBB355_1789
; %bb.1784:
	s_mov_b32 s18, 0x37ffffff
	v_cmp_lt_u32_e32 vcc, s18, v5
	s_mov_b64 s[18:19], 0
                                        ; implicit-def: $vgpr4
	s_and_saveexec_b64 s[20:21], vcc
	s_xor_b64 s[20:21], exec, s[20:21]
	s_cbranch_execz .LBB355_2000
; %bb.1785:
	v_bfe_u32 v4, v5, 21, 1
	s_mov_b32 s22, 0x88fffff
	v_add3_u32 v4, v5, v4, s22
	s_mov_b64 s[18:19], exec
	v_lshrrev_b32_e32 v4, 21, v4
                                        ; implicit-def: $vgpr5
	s_andn2_saveexec_b64 s[20:21], s[20:21]
	s_cbranch_execnz .LBB355_2001
.LBB355_1786:
	s_or_b64 exec, exec, s[20:21]
	v_mov_b32_e32 v6, 0
	s_and_saveexec_b64 s[20:21], s[18:19]
.LBB355_1787:
	v_mov_b32_e32 v6, v4
.LBB355_1788:
	s_or_b64 exec, exec, s[20:21]
.LBB355_1789:
	s_or_b64 exec, exec, s[12:13]
	s_mov_b64 s[12:13], 0
	global_store_byte v[0:1], v6, off
.LBB355_1790:
	s_and_b64 vcc, exec, s[12:13]
	s_cbranch_vccz .LBB355_1800
; %bb.1791:
	v_cndmask_b32_e64 v4, 0, 1.0, s[10:11]
	s_mov_b32 s12, 0x43f00000
	v_cmp_gt_u32_e32 vcc, s12, v4
                                        ; implicit-def: $vgpr5
	s_and_saveexec_b64 s[12:13], vcc
	s_xor_b64 s[12:13], exec, s[12:13]
	s_cbranch_execz .LBB355_1797
; %bb.1792:
	s_mov_b32 s18, 0x3c7fffff
	v_cmp_lt_u32_e32 vcc, s18, v4
                                        ; implicit-def: $vgpr5
	s_and_saveexec_b64 s[18:19], vcc
	s_xor_b64 s[18:19], exec, s[18:19]
; %bb.1793:
	v_bfe_u32 v5, v4, 20, 1
	s_mov_b32 s20, 0x407ffff
	v_add3_u32 v4, v4, v5, s20
	v_lshrrev_b32_e32 v5, 20, v4
	v_and_b32_e32 v4, 0xff00000, v4
	s_mov_b32 s20, 0x7f00000
	v_mov_b32_e32 v6, 0x7e
	v_cmp_ne_u32_e32 vcc, s20, v4
	v_cndmask_b32_e32 v5, v6, v5, vcc
                                        ; implicit-def: $vgpr4
; %bb.1794:
	s_andn2_saveexec_b64 s[18:19], s[18:19]
; %bb.1795:
	v_add_f32_e32 v5, 0x46800000, v4
; %bb.1796:
	s_or_b64 exec, exec, s[18:19]
                                        ; implicit-def: $vgpr4
.LBB355_1797:
	s_andn2_saveexec_b64 s[12:13], s[12:13]
; %bb.1798:
	s_mov_b32 s18, 0x7f800000
	v_mov_b32_e32 v5, 0x7e
	v_mov_b32_e32 v6, 0x7f
	v_cmp_lt_u32_e32 vcc, s18, v4
	v_cndmask_b32_e32 v5, v5, v6, vcc
; %bb.1799:
	s_or_b64 exec, exec, s[12:13]
	global_store_byte v[0:1], v5, off
.LBB355_1800:
	s_mov_b64 s[12:13], 0
.LBB355_1801:
	s_andn2_b64 vcc, exec, s[12:13]
	s_cbranch_vccnz .LBB355_1811
; %bb.1802:
	v_cndmask_b32_e64 v4, 0, 1.0, s[10:11]
	s_mov_b32 s12, 0x47800000
	v_cmp_gt_u32_e32 vcc, s12, v4
                                        ; implicit-def: $vgpr5
	s_and_saveexec_b64 s[12:13], vcc
	s_xor_b64 s[12:13], exec, s[12:13]
	s_cbranch_execz .LBB355_1808
; %bb.1803:
	s_mov_b32 s18, 0x387fffff
	v_cmp_lt_u32_e32 vcc, s18, v4
                                        ; implicit-def: $vgpr5
	s_and_saveexec_b64 s[18:19], vcc
	s_xor_b64 s[18:19], exec, s[18:19]
; %bb.1804:
	v_bfe_u32 v5, v4, 21, 1
	s_mov_b32 s20, 0x80fffff
	v_add3_u32 v4, v4, v5, s20
	v_lshrrev_b32_e32 v5, 21, v4
                                        ; implicit-def: $vgpr4
; %bb.1805:
	s_andn2_saveexec_b64 s[18:19], s[18:19]
; %bb.1806:
	v_add_f32_e32 v5, 0x43000000, v4
; %bb.1807:
	s_or_b64 exec, exec, s[18:19]
                                        ; implicit-def: $vgpr4
.LBB355_1808:
	s_andn2_saveexec_b64 s[12:13], s[12:13]
; %bb.1809:
	s_mov_b32 s18, 0x7f800000
	v_mov_b32_e32 v5, 0x7c
	v_mov_b32_e32 v6, 0x7f
	v_cmp_lt_u32_e32 vcc, s18, v4
	v_cndmask_b32_e32 v5, v5, v6, vcc
; %bb.1810:
	s_or_b64 exec, exec, s[12:13]
	global_store_byte v[0:1], v5, off
.LBB355_1811:
	s_mov_b64 s[12:13], 0
	s_mov_b64 s[18:19], -1
.LBB355_1812:
	s_andn2_b64 vcc, exec, s[12:13]
	s_mov_b64 s[12:13], 0
	s_cbranch_vccnz .LBB355_1819
; %bb.1813:
	s_cmp_gt_i32 s24, 14
	s_mov_b64 s[20:21], -1
	s_cbranch_scc0 .LBB355_1817
; %bb.1814:
	s_cmp_eq_u32 s24, 15
	s_mov_b64 s[0:1], -1
	s_cbranch_scc0 .LBB355_1816
; %bb.1815:
	v_cndmask_b32_e64 v4, 0, 1.0, s[10:11]
	v_bfe_u32 v5, v4, 16, 1
	s_movk_i32 s0, 0x7fff
	v_add3_u32 v4, v4, v5, s0
	global_store_short_d16_hi v[0:1], v4, off
	s_mov_b64 s[0:1], 0
	s_mov_b64 s[18:19], -1
.LBB355_1816:
	s_mov_b64 s[20:21], 0
.LBB355_1817:
	s_and_b64 vcc, exec, s[20:21]
	s_cbranch_vccz .LBB355_1819
; %bb.1818:
	s_cmp_lg_u32 s24, 11
	s_mov_b64 s[12:13], -1
	s_cselect_b64 s[0:1], -1, 0
.LBB355_1819:
	s_and_b64 vcc, exec, s[0:1]
	s_cbranch_vccnz .LBB355_1999
; %bb.1820:
	s_andn2_b64 vcc, exec, s[12:13]
	s_cbranch_vccnz .LBB355_1822
.LBB355_1821:
	v_cndmask_b32_e64 v4, 0, 1, s[10:11]
	s_mov_b64 s[18:19], -1
	global_store_byte v[0:1], v4, off
.LBB355_1822:
	s_mov_b64 s[0:1], 0
	s_branch .LBB355_1824
.LBB355_1823:
	s_mov_b64 s[0:1], -1
	s_mov_b64 s[18:19], 0
.LBB355_1824:
	s_and_b64 vcc, exec, s[0:1]
	s_cbranch_vccz .LBB355_1863
; %bb.1825:
	s_and_b32 s12, 0xffff, s26
	s_cmp_lt_i32 s12, 5
	s_mov_b64 s[0:1], -1
	s_cbranch_scc1 .LBB355_1846
; %bb.1826:
	s_cmp_lt_i32 s12, 8
	s_cbranch_scc1 .LBB355_1836
; %bb.1827:
	s_cmp_lt_i32 s12, 9
	s_cbranch_scc1 .LBB355_1833
; %bb.1828:
	s_cmp_gt_i32 s12, 9
	s_cbranch_scc0 .LBB355_1830
; %bb.1829:
	v_cndmask_b32_e64 v4, 0, 1, s[10:11]
	v_cvt_f64_u32_e32 v[4:5], v4
	v_mov_b32_e32 v6, 0
	v_mov_b32_e32 v7, v6
	s_mov_b64 s[0:1], 0
	global_store_dwordx4 v[0:1], v[4:7], off
.LBB355_1830:
	s_andn2_b64 vcc, exec, s[0:1]
	s_cbranch_vccnz .LBB355_1832
; %bb.1831:
	v_cndmask_b32_e64 v4, 0, 1.0, s[10:11]
	v_mov_b32_e32 v5, 0
	global_store_dwordx2 v[0:1], v[4:5], off
.LBB355_1832:
	s_mov_b64 s[0:1], 0
.LBB355_1833:
	s_andn2_b64 vcc, exec, s[0:1]
	s_cbranch_vccnz .LBB355_1835
; %bb.1834:
	v_cndmask_b32_e64 v4, 0, 1.0, s[10:11]
	v_cvt_f16_f32_e32 v4, v4
	global_store_dword v[0:1], v4, off
.LBB355_1835:
	s_mov_b64 s[0:1], 0
.LBB355_1836:
	s_andn2_b64 vcc, exec, s[0:1]
	s_cbranch_vccnz .LBB355_1845
; %bb.1837:
	s_cmp_lt_i32 s12, 6
	s_mov_b64 s[0:1], -1
	s_cbranch_scc1 .LBB355_1843
; %bb.1838:
	s_cmp_gt_i32 s12, 6
	s_cbranch_scc0 .LBB355_1840
; %bb.1839:
	v_cndmask_b32_e64 v4, 0, 1, s[10:11]
	v_cvt_f64_u32_e32 v[4:5], v4
	s_mov_b64 s[0:1], 0
	global_store_dwordx2 v[0:1], v[4:5], off
.LBB355_1840:
	s_andn2_b64 vcc, exec, s[0:1]
	s_cbranch_vccnz .LBB355_1842
; %bb.1841:
	v_cndmask_b32_e64 v4, 0, 1.0, s[10:11]
	global_store_dword v[0:1], v4, off
.LBB355_1842:
	s_mov_b64 s[0:1], 0
.LBB355_1843:
	s_andn2_b64 vcc, exec, s[0:1]
	s_cbranch_vccnz .LBB355_1845
; %bb.1844:
	v_cndmask_b32_e64 v4, 0, 1.0, s[10:11]
	v_cvt_f16_f32_e32 v4, v4
	global_store_short v[0:1], v4, off
.LBB355_1845:
	s_mov_b64 s[0:1], 0
.LBB355_1846:
	s_andn2_b64 vcc, exec, s[0:1]
	s_cbranch_vccnz .LBB355_1862
; %bb.1847:
	s_cmp_lt_i32 s12, 2
	s_mov_b64 s[0:1], -1
	s_cbranch_scc1 .LBB355_1857
; %bb.1848:
	s_cmp_lt_i32 s12, 3
	s_cbranch_scc1 .LBB355_1854
; %bb.1849:
	s_cmp_gt_i32 s12, 3
	s_cbranch_scc0 .LBB355_1851
; %bb.1850:
	s_mov_b32 s0, 0
	v_cndmask_b32_e64 v4, 0, 1, s[10:11]
	v_mov_b32_e32 v5, s0
	global_store_dwordx2 v[0:1], v[4:5], off
	s_mov_b64 s[0:1], 0
.LBB355_1851:
	s_andn2_b64 vcc, exec, s[0:1]
	s_cbranch_vccnz .LBB355_1853
; %bb.1852:
	v_cndmask_b32_e64 v4, 0, 1, s[10:11]
	global_store_dword v[0:1], v4, off
.LBB355_1853:
	s_mov_b64 s[0:1], 0
.LBB355_1854:
	s_andn2_b64 vcc, exec, s[0:1]
	s_cbranch_vccnz .LBB355_1856
; %bb.1855:
	v_cndmask_b32_e64 v4, 0, 1, s[10:11]
	global_store_short v[0:1], v4, off
.LBB355_1856:
	s_mov_b64 s[0:1], 0
.LBB355_1857:
	s_andn2_b64 vcc, exec, s[0:1]
	s_cbranch_vccnz .LBB355_1862
; %bb.1858:
	s_mov_b64 s[0:1], -1
	s_cmp_gt_i32 s12, 0
	v_cndmask_b32_e64 v4, 0, 1, s[10:11]
	s_cbranch_scc0 .LBB355_1860
; %bb.1859:
	global_store_byte v[0:1], v4, off
	s_mov_b64 s[0:1], 0
.LBB355_1860:
	s_andn2_b64 vcc, exec, s[0:1]
	s_cbranch_vccnz .LBB355_1862
; %bb.1861:
	global_store_byte v[0:1], v4, off
.LBB355_1862:
	s_mov_b64 s[18:19], -1
.LBB355_1863:
	s_andn2_b64 vcc, exec, s[18:19]
	s_cbranch_vccnz .LBB355_1940
; %bb.1864:
	v_cmp_ne_u32_e32 vcc, s15, v3
	v_add_u32_e32 v0, s14, v2
	s_xor_b64 s[18:19], s[2:3], vcc
	v_ashrrev_i32_e32 v1, 31, v0
	v_mov_b32_e32 v2, s9
	v_add_co_u32_e32 v0, vcc, s8, v0
	s_cmp_lt_i32 s26, 11
	v_addc_co_u32_e32 v1, vcc, v2, v1, vcc
	s_cbranch_scc1 .LBB355_1985
; %bb.1865:
	s_and_b32 s14, 0xffff, s26
	s_mov_b64 s[8:9], -1
	s_mov_b64 s[2:3], 0
	s_cmp_gt_i32 s14, 25
	s_mov_b64 s[0:1], 0
	s_cbranch_scc0 .LBB355_1898
; %bb.1866:
	s_cmp_gt_i32 s14, 28
	s_cbranch_scc0 .LBB355_1882
; %bb.1867:
	s_cmp_gt_i32 s14, 43
	s_cbranch_scc0 .LBB355_1878
; %bb.1868:
	s_cmp_gt_i32 s14, 45
	s_cbranch_scc0 .LBB355_1872
; %bb.1869:
	s_cmp_eq_u32 s14, 46
	s_mov_b64 s[0:1], -1
	s_cbranch_scc0 .LBB355_1871
; %bb.1870:
	v_cndmask_b32_e64 v2, 0, 1.0, s[18:19]
	v_bfe_u32 v3, v2, 16, 1
	s_movk_i32 s0, 0x7fff
	v_add3_u32 v2, v2, v3, s0
	v_lshrrev_b32_e32 v2, 16, v2
	global_store_dword v[0:1], v2, off
	s_mov_b64 s[0:1], 0
.LBB355_1871:
	s_mov_b64 s[8:9], 0
.LBB355_1872:
	s_and_b64 vcc, exec, s[8:9]
	s_cbranch_vccz .LBB355_1877
; %bb.1873:
	s_cmp_eq_u32 s14, 44
	s_mov_b64 s[0:1], -1
	s_cbranch_scc0 .LBB355_1877
; %bb.1874:
	v_cndmask_b32_e64 v3, 0, 1.0, s[18:19]
	v_lshrrev_b32_e32 v2, 23, v3
	s_movk_i32 s0, 0xff
	v_cmp_ne_u32_e32 vcc, s0, v2
	v_mov_b32_e32 v4, 0xff
	s_and_saveexec_b64 s[8:9], vcc
; %bb.1875:
	s_mov_b32 s0, 0x3fffff
	v_and_b32_e32 v4, 0x400000, v3
	v_and_or_b32 v3, v3, s0, v2
	v_cmp_ne_u32_e32 vcc, 0, v4
	v_cmp_ne_u32_e64 s[0:1], 0, v3
	s_and_b64 s[0:1], vcc, s[0:1]
	v_cndmask_b32_e64 v3, 0, 1, s[0:1]
	v_add_u32_e32 v4, v2, v3
; %bb.1876:
	s_or_b64 exec, exec, s[8:9]
	s_mov_b64 s[0:1], 0
	global_store_byte v[0:1], v4, off
.LBB355_1877:
	s_mov_b64 s[8:9], 0
.LBB355_1878:
	s_and_b64 vcc, exec, s[8:9]
	s_cbranch_vccz .LBB355_1881
; %bb.1879:
	s_cmp_eq_u32 s14, 29
	s_mov_b64 s[0:1], -1
	s_cbranch_scc0 .LBB355_1881
; %bb.1880:
	s_mov_b32 s0, 0
	v_cndmask_b32_e64 v2, 0, 1, s[18:19]
	v_mov_b32_e32 v3, s0
	global_store_dwordx2 v[0:1], v[2:3], off
	s_mov_b64 s[0:1], 0
.LBB355_1881:
	s_mov_b64 s[8:9], 0
.LBB355_1882:
	s_and_b64 vcc, exec, s[8:9]
	s_cbranch_vccz .LBB355_1897
; %bb.1883:
	s_cmp_lt_i32 s14, 27
	s_mov_b64 s[8:9], -1
	s_cbranch_scc1 .LBB355_1889
; %bb.1884:
	s_cmp_gt_i32 s14, 27
	v_cndmask_b32_e64 v2, 0, 1, s[18:19]
	s_cbranch_scc0 .LBB355_1886
; %bb.1885:
	global_store_dword v[0:1], v2, off
	s_mov_b64 s[8:9], 0
.LBB355_1886:
	s_andn2_b64 vcc, exec, s[8:9]
	s_cbranch_vccnz .LBB355_1888
; %bb.1887:
	global_store_short v[0:1], v2, off
.LBB355_1888:
	s_mov_b64 s[8:9], 0
.LBB355_1889:
	s_andn2_b64 vcc, exec, s[8:9]
	s_cbranch_vccnz .LBB355_1897
; %bb.1890:
	v_cndmask_b32_e64 v3, 0, 1.0, s[18:19]
	s_mov_b32 s8, 0x43800000
	v_cmp_gt_u32_e32 vcc, s8, v3
	v_mov_b32_e32 v4, 0x80
	s_and_saveexec_b64 s[8:9], vcc
	s_cbranch_execz .LBB355_1896
; %bb.1891:
	s_mov_b32 s10, 0x3bffffff
	v_cmp_lt_u32_e32 vcc, s10, v3
	s_mov_b64 s[10:11], 0
                                        ; implicit-def: $vgpr2
	s_and_saveexec_b64 s[12:13], vcc
	s_xor_b64 s[12:13], exec, s[12:13]
	s_cbranch_execz .LBB355_2002
; %bb.1892:
	v_bfe_u32 v2, v3, 20, 1
	s_mov_b32 s15, 0x487ffff
	v_add3_u32 v2, v3, v2, s15
	s_mov_b64 s[10:11], exec
	v_lshrrev_b32_e32 v2, 20, v2
                                        ; implicit-def: $vgpr3
	s_andn2_saveexec_b64 s[12:13], s[12:13]
	s_cbranch_execnz .LBB355_2003
.LBB355_1893:
	s_or_b64 exec, exec, s[12:13]
	v_mov_b32_e32 v4, 0
	s_and_saveexec_b64 s[12:13], s[10:11]
.LBB355_1894:
	v_mov_b32_e32 v4, v2
.LBB355_1895:
	s_or_b64 exec, exec, s[12:13]
.LBB355_1896:
	s_or_b64 exec, exec, s[8:9]
	global_store_byte v[0:1], v4, off
.LBB355_1897:
	s_mov_b64 s[8:9], 0
.LBB355_1898:
	s_and_b64 vcc, exec, s[8:9]
	s_cbranch_vccz .LBB355_1938
; %bb.1899:
	s_cmp_gt_i32 s14, 22
	s_mov_b64 s[2:3], -1
	s_cbranch_scc0 .LBB355_1931
; %bb.1900:
	s_cmp_lt_i32 s14, 24
	s_cbranch_scc1 .LBB355_1920
; %bb.1901:
	s_cmp_gt_i32 s14, 24
	s_cbranch_scc0 .LBB355_1909
; %bb.1902:
	v_cndmask_b32_e64 v3, 0, 1.0, s[18:19]
	s_mov_b32 s2, 0x47800000
	v_cmp_gt_u32_e32 vcc, s2, v3
	v_mov_b32_e32 v4, 0x80
	s_and_saveexec_b64 s[2:3], vcc
	s_cbranch_execz .LBB355_1908
; %bb.1903:
	s_mov_b32 s8, 0x37ffffff
	v_cmp_lt_u32_e32 vcc, s8, v3
	s_mov_b64 s[8:9], 0
                                        ; implicit-def: $vgpr2
	s_and_saveexec_b64 s[10:11], vcc
	s_xor_b64 s[10:11], exec, s[10:11]
	s_cbranch_execz .LBB355_2005
; %bb.1904:
	v_bfe_u32 v2, v3, 21, 1
	s_mov_b32 s12, 0x88fffff
	v_add3_u32 v2, v3, v2, s12
	s_mov_b64 s[8:9], exec
	v_lshrrev_b32_e32 v2, 21, v2
                                        ; implicit-def: $vgpr3
	s_andn2_saveexec_b64 s[10:11], s[10:11]
	s_cbranch_execnz .LBB355_2006
.LBB355_1905:
	s_or_b64 exec, exec, s[10:11]
	v_mov_b32_e32 v4, 0
	s_and_saveexec_b64 s[10:11], s[8:9]
.LBB355_1906:
	v_mov_b32_e32 v4, v2
.LBB355_1907:
	s_or_b64 exec, exec, s[10:11]
.LBB355_1908:
	s_or_b64 exec, exec, s[2:3]
	s_mov_b64 s[2:3], 0
	global_store_byte v[0:1], v4, off
.LBB355_1909:
	s_and_b64 vcc, exec, s[2:3]
	s_cbranch_vccz .LBB355_1919
; %bb.1910:
	v_cndmask_b32_e64 v2, 0, 1.0, s[18:19]
	s_mov_b32 s2, 0x43f00000
	v_cmp_gt_u32_e32 vcc, s2, v2
                                        ; implicit-def: $vgpr3
	s_and_saveexec_b64 s[2:3], vcc
	s_xor_b64 s[2:3], exec, s[2:3]
	s_cbranch_execz .LBB355_1916
; %bb.1911:
	s_mov_b32 s8, 0x3c7fffff
	v_cmp_lt_u32_e32 vcc, s8, v2
                                        ; implicit-def: $vgpr3
	s_and_saveexec_b64 s[8:9], vcc
	s_xor_b64 s[8:9], exec, s[8:9]
; %bb.1912:
	v_bfe_u32 v3, v2, 20, 1
	s_mov_b32 s10, 0x407ffff
	v_add3_u32 v2, v2, v3, s10
	v_lshrrev_b32_e32 v3, 20, v2
	v_and_b32_e32 v2, 0xff00000, v2
	s_mov_b32 s10, 0x7f00000
	v_mov_b32_e32 v4, 0x7e
	v_cmp_ne_u32_e32 vcc, s10, v2
	v_cndmask_b32_e32 v3, v4, v3, vcc
                                        ; implicit-def: $vgpr2
; %bb.1913:
	s_andn2_saveexec_b64 s[8:9], s[8:9]
; %bb.1914:
	v_add_f32_e32 v3, 0x46800000, v2
; %bb.1915:
	s_or_b64 exec, exec, s[8:9]
                                        ; implicit-def: $vgpr2
.LBB355_1916:
	s_andn2_saveexec_b64 s[2:3], s[2:3]
; %bb.1917:
	s_mov_b32 s8, 0x7f800000
	v_mov_b32_e32 v3, 0x7e
	v_mov_b32_e32 v4, 0x7f
	v_cmp_lt_u32_e32 vcc, s8, v2
	v_cndmask_b32_e32 v3, v3, v4, vcc
; %bb.1918:
	s_or_b64 exec, exec, s[2:3]
	global_store_byte v[0:1], v3, off
.LBB355_1919:
	s_mov_b64 s[2:3], 0
.LBB355_1920:
	s_andn2_b64 vcc, exec, s[2:3]
	s_cbranch_vccnz .LBB355_1930
; %bb.1921:
	v_cndmask_b32_e64 v2, 0, 1.0, s[18:19]
	s_mov_b32 s2, 0x47800000
	v_cmp_gt_u32_e32 vcc, s2, v2
                                        ; implicit-def: $vgpr3
	s_and_saveexec_b64 s[2:3], vcc
	s_xor_b64 s[2:3], exec, s[2:3]
	s_cbranch_execz .LBB355_1927
; %bb.1922:
	s_mov_b32 s8, 0x387fffff
	v_cmp_lt_u32_e32 vcc, s8, v2
                                        ; implicit-def: $vgpr3
	s_and_saveexec_b64 s[8:9], vcc
	s_xor_b64 s[8:9], exec, s[8:9]
; %bb.1923:
	v_bfe_u32 v3, v2, 21, 1
	s_mov_b32 s10, 0x80fffff
	v_add3_u32 v2, v2, v3, s10
	v_lshrrev_b32_e32 v3, 21, v2
                                        ; implicit-def: $vgpr2
; %bb.1924:
	s_andn2_saveexec_b64 s[8:9], s[8:9]
; %bb.1925:
	v_add_f32_e32 v3, 0x43000000, v2
; %bb.1926:
	s_or_b64 exec, exec, s[8:9]
                                        ; implicit-def: $vgpr2
.LBB355_1927:
	s_andn2_saveexec_b64 s[2:3], s[2:3]
; %bb.1928:
	s_mov_b32 s8, 0x7f800000
	v_mov_b32_e32 v3, 0x7c
	v_mov_b32_e32 v4, 0x7f
	v_cmp_lt_u32_e32 vcc, s8, v2
	v_cndmask_b32_e32 v3, v3, v4, vcc
; %bb.1929:
	s_or_b64 exec, exec, s[2:3]
	global_store_byte v[0:1], v3, off
.LBB355_1930:
	s_mov_b64 s[2:3], 0
.LBB355_1931:
	s_andn2_b64 vcc, exec, s[2:3]
	s_mov_b64 s[2:3], 0
	s_cbranch_vccnz .LBB355_1938
; %bb.1932:
	s_cmp_gt_i32 s14, 14
	s_mov_b64 s[8:9], -1
	s_cbranch_scc0 .LBB355_1936
; %bb.1933:
	s_cmp_eq_u32 s14, 15
	s_mov_b64 s[0:1], -1
	s_cbranch_scc0 .LBB355_1935
; %bb.1934:
	v_cndmask_b32_e64 v2, 0, 1.0, s[18:19]
	v_bfe_u32 v3, v2, 16, 1
	s_movk_i32 s0, 0x7fff
	v_add3_u32 v2, v2, v3, s0
	global_store_short_d16_hi v[0:1], v2, off
	s_mov_b64 s[0:1], 0
.LBB355_1935:
	s_mov_b64 s[8:9], 0
.LBB355_1936:
	s_and_b64 vcc, exec, s[8:9]
	s_cbranch_vccz .LBB355_1938
; %bb.1937:
	s_cmp_lg_u32 s14, 11
	s_mov_b64 s[2:3], -1
	s_cselect_b64 s[0:1], -1, 0
.LBB355_1938:
	s_and_b64 vcc, exec, s[0:1]
	s_cbranch_vccnz .LBB355_2004
.LBB355_1939:
	s_mov_b64 s[0:1], 0
	s_branch .LBB355_1941
.LBB355_1940:
	s_mov_b64 s[0:1], 0
	s_mov_b64 s[2:3], 0
                                        ; implicit-def: $sgpr18_sgpr19
                                        ; implicit-def: $sgpr26
                                        ; implicit-def: $vgpr0_vgpr1
.LBB355_1941:
	s_andn2_b64 s[6:7], s[6:7], exec
	s_and_b64 s[8:9], s[16:17], exec
	s_and_b64 s[0:1], s[0:1], exec
	;; [unrolled: 1-line block ×3, first 2 shown]
	s_or_b64 s[6:7], s[6:7], s[8:9]
.LBB355_1942:
	s_or_b64 exec, exec, s[4:5]
	s_and_saveexec_b64 s[4:5], s[6:7]
	s_cbranch_execz .LBB355_1945
; %bb.1943:
	; divergent unreachable
	s_or_b64 exec, exec, s[4:5]
	s_and_saveexec_b64 s[4:5], s[2:3]
	s_xor_b64 s[2:3], exec, s[4:5]
	s_cbranch_execnz .LBB355_1946
.LBB355_1944:
	s_or_b64 exec, exec, s[2:3]
	s_and_saveexec_b64 s[2:3], s[0:1]
	s_cbranch_execnz .LBB355_1947
	s_branch .LBB355_1984
.LBB355_1945:
	s_or_b64 exec, exec, s[4:5]
	s_and_saveexec_b64 s[4:5], s[2:3]
	s_xor_b64 s[2:3], exec, s[4:5]
	s_cbranch_execz .LBB355_1944
.LBB355_1946:
	v_cndmask_b32_e64 v2, 0, 1, s[18:19]
	global_store_byte v[0:1], v2, off
	s_or_b64 exec, exec, s[2:3]
	s_and_saveexec_b64 s[2:3], s[0:1]
	s_cbranch_execz .LBB355_1984
.LBB355_1947:
	s_sext_i32_i16 s2, s26
	s_cmp_lt_i32 s2, 5
	s_mov_b64 s[0:1], -1
	s_cbranch_scc1 .LBB355_1968
; %bb.1948:
	s_cmp_lt_i32 s2, 8
	s_cbranch_scc1 .LBB355_1958
; %bb.1949:
	s_cmp_lt_i32 s2, 9
	s_cbranch_scc1 .LBB355_1955
; %bb.1950:
	s_cmp_gt_i32 s2, 9
	s_cbranch_scc0 .LBB355_1952
; %bb.1951:
	v_cndmask_b32_e64 v2, 0, 1, s[18:19]
	s_waitcnt vmcnt(0)
	v_cvt_f64_u32_e32 v[2:3], v2
	v_mov_b32_e32 v4, 0
	v_mov_b32_e32 v5, v4
	s_mov_b64 s[0:1], 0
	global_store_dwordx4 v[0:1], v[2:5], off
.LBB355_1952:
	s_andn2_b64 vcc, exec, s[0:1]
	s_cbranch_vccnz .LBB355_1954
; %bb.1953:
	v_cndmask_b32_e64 v2, 0, 1.0, s[18:19]
	s_waitcnt vmcnt(0)
	v_mov_b32_e32 v3, 0
	global_store_dwordx2 v[0:1], v[2:3], off
.LBB355_1954:
	s_mov_b64 s[0:1], 0
.LBB355_1955:
	s_andn2_b64 vcc, exec, s[0:1]
	s_cbranch_vccnz .LBB355_1957
; %bb.1956:
	v_cndmask_b32_e64 v2, 0, 1.0, s[18:19]
	v_cvt_f16_f32_e32 v2, v2
	global_store_dword v[0:1], v2, off
.LBB355_1957:
	s_mov_b64 s[0:1], 0
.LBB355_1958:
	s_andn2_b64 vcc, exec, s[0:1]
	s_cbranch_vccnz .LBB355_1967
; %bb.1959:
	s_sext_i32_i16 s2, s26
	s_cmp_lt_i32 s2, 6
	s_mov_b64 s[0:1], -1
	s_cbranch_scc1 .LBB355_1965
; %bb.1960:
	s_cmp_gt_i32 s2, 6
	s_cbranch_scc0 .LBB355_1962
; %bb.1961:
	v_cndmask_b32_e64 v2, 0, 1, s[18:19]
	s_waitcnt vmcnt(0)
	v_cvt_f64_u32_e32 v[2:3], v2
	s_mov_b64 s[0:1], 0
	global_store_dwordx2 v[0:1], v[2:3], off
.LBB355_1962:
	s_andn2_b64 vcc, exec, s[0:1]
	s_cbranch_vccnz .LBB355_1964
; %bb.1963:
	v_cndmask_b32_e64 v2, 0, 1.0, s[18:19]
	global_store_dword v[0:1], v2, off
.LBB355_1964:
	s_mov_b64 s[0:1], 0
.LBB355_1965:
	s_andn2_b64 vcc, exec, s[0:1]
	s_cbranch_vccnz .LBB355_1967
; %bb.1966:
	v_cndmask_b32_e64 v2, 0, 1.0, s[18:19]
	v_cvt_f16_f32_e32 v2, v2
	global_store_short v[0:1], v2, off
.LBB355_1967:
	s_mov_b64 s[0:1], 0
.LBB355_1968:
	s_andn2_b64 vcc, exec, s[0:1]
	s_cbranch_vccnz .LBB355_1984
; %bb.1969:
	s_sext_i32_i16 s2, s26
	s_cmp_lt_i32 s2, 2
	s_mov_b64 s[0:1], -1
	s_cbranch_scc1 .LBB355_1979
; %bb.1970:
	s_cmp_lt_i32 s2, 3
	s_cbranch_scc1 .LBB355_1976
; %bb.1971:
	s_cmp_gt_i32 s2, 3
	s_cbranch_scc0 .LBB355_1973
; %bb.1972:
	s_mov_b32 s0, 0
	v_cndmask_b32_e64 v2, 0, 1, s[18:19]
	s_waitcnt vmcnt(0)
	v_mov_b32_e32 v3, s0
	global_store_dwordx2 v[0:1], v[2:3], off
	s_mov_b64 s[0:1], 0
.LBB355_1973:
	s_andn2_b64 vcc, exec, s[0:1]
	s_cbranch_vccnz .LBB355_1975
; %bb.1974:
	v_cndmask_b32_e64 v2, 0, 1, s[18:19]
	global_store_dword v[0:1], v2, off
.LBB355_1975:
	s_mov_b64 s[0:1], 0
.LBB355_1976:
	s_andn2_b64 vcc, exec, s[0:1]
	s_cbranch_vccnz .LBB355_1978
; %bb.1977:
	v_cndmask_b32_e64 v2, 0, 1, s[18:19]
	global_store_short v[0:1], v2, off
.LBB355_1978:
	s_mov_b64 s[0:1], 0
.LBB355_1979:
	s_andn2_b64 vcc, exec, s[0:1]
	s_cbranch_vccnz .LBB355_1984
; %bb.1980:
	s_sext_i32_i16 s2, s26
	s_mov_b64 s[0:1], -1
	s_cmp_gt_i32 s2, 0
	v_cndmask_b32_e64 v2, 0, 1, s[18:19]
	s_cbranch_scc0 .LBB355_1982
; %bb.1981:
	global_store_byte v[0:1], v2, off
	s_mov_b64 s[0:1], 0
.LBB355_1982:
	s_andn2_b64 vcc, exec, s[0:1]
	s_cbranch_vccnz .LBB355_1984
; %bb.1983:
	global_store_byte v[0:1], v2, off
	s_endpgm
.LBB355_1984:
	s_endpgm
.LBB355_1985:
	s_mov_b64 s[2:3], 0
	s_mov_b64 s[0:1], -1
	s_branch .LBB355_1941
.LBB355_1986:
	s_trap 2
	s_or_b64 s[16:17], s[16:17], exec
	s_cbranch_execz .LBB355_1455
	s_branch .LBB355_1456
.LBB355_1987:
	s_andn2_saveexec_b64 s[24:25], s[24:25]
	s_cbranch_execz .LBB355_1535
.LBB355_1988:
	v_add_f32_e32 v6, 0x46000000, v7
	v_and_b32_e32 v6, 0xff, v6
	v_cmp_ne_u32_e32 vcc, 0, v6
	s_andn2_b64 s[22:23], s[22:23], exec
	s_and_b64 s[28:29], vcc, exec
	s_or_b64 s[22:23], s[22:23], s[28:29]
	s_or_b64 exec, exec, s[24:25]
	v_mov_b32_e32 v8, 0
	s_and_saveexec_b64 s[24:25], s[22:23]
	s_cbranch_execnz .LBB355_1536
	s_branch .LBB355_1537
.LBB355_1989:
	s_trap 2
	s_or_b64 s[16:17], s[16:17], exec
	s_cbranch_execz .LBB355_1583
	s_branch .LBB355_1584
.LBB355_1990:
	s_andn2_saveexec_b64 s[22:23], s[22:23]
	s_cbranch_execz .LBB355_1548
.LBB355_1991:
	v_add_f32_e32 v6, 0x42800000, v7
	v_and_b32_e32 v6, 0xff, v6
	v_cmp_ne_u32_e32 vcc, 0, v6
	s_andn2_b64 s[20:21], s[20:21], exec
	s_and_b64 s[24:25], vcc, exec
	s_or_b64 s[20:21], s[20:21], s[24:25]
	s_or_b64 exec, exec, s[22:23]
	v_mov_b32_e32 v8, 0
	s_and_saveexec_b64 s[22:23], s[20:21]
	s_cbranch_execnz .LBB355_1549
	s_branch .LBB355_1550
.LBB355_1992:
	s_andn2_saveexec_b64 s[22:23], s[22:23]
	s_cbranch_execz .LBB355_1654
.LBB355_1993:
	v_add_f32_e32 v5, 0x46000000, v6
	v_and_b32_e32 v5, 0xff, v5
	v_cmp_ne_u32_e32 vcc, 0, v5
	s_andn2_b64 s[20:21], s[20:21], exec
	s_and_b64 s[28:29], vcc, exec
	s_or_b64 s[20:21], s[20:21], s[28:29]
	s_or_b64 exec, exec, s[22:23]
	v_mov_b32_e32 v7, 0
	s_and_saveexec_b64 s[22:23], s[20:21]
	s_cbranch_execnz .LBB355_1655
	s_branch .LBB355_1656
.LBB355_1994:
	s_trap 2
	s_or_b64 s[16:17], s[16:17], exec
	s_cbranch_execz .LBB355_1702
	s_branch .LBB355_1703
.LBB355_1995:
	s_andn2_saveexec_b64 s[20:21], s[20:21]
	s_cbranch_execz .LBB355_1667
.LBB355_1996:
	v_add_f32_e32 v5, 0x42800000, v6
	v_and_b32_e32 v5, 0xff, v5
	v_cmp_ne_u32_e32 vcc, 0, v5
	s_andn2_b64 s[18:19], s[18:19], exec
	s_and_b64 s[22:23], vcc, exec
	s_or_b64 s[18:19], s[18:19], s[22:23]
	s_or_b64 exec, exec, s[20:21]
	v_mov_b32_e32 v7, 0
	s_and_saveexec_b64 s[20:21], s[18:19]
	s_cbranch_execnz .LBB355_1668
	s_branch .LBB355_1669
.LBB355_1997:
	s_andn2_saveexec_b64 s[22:23], s[22:23]
	s_cbranch_execz .LBB355_1773
.LBB355_1998:
	v_add_f32_e32 v4, 0x46000000, v5
	v_and_b32_e32 v4, 0xff, v4
	v_cmp_ne_u32_e32 vcc, 0, v4
	s_andn2_b64 s[20:21], s[20:21], exec
	s_and_b64 s[28:29], vcc, exec
	s_or_b64 s[20:21], s[20:21], s[28:29]
	s_or_b64 exec, exec, s[22:23]
	v_mov_b32_e32 v6, 0
	s_and_saveexec_b64 s[22:23], s[20:21]
	s_cbranch_execnz .LBB355_1774
	s_branch .LBB355_1775
.LBB355_1999:
	s_trap 2
	s_or_b64 s[16:17], s[16:17], exec
	s_cbranch_execz .LBB355_1821
	s_branch .LBB355_1822
.LBB355_2000:
	s_andn2_saveexec_b64 s[20:21], s[20:21]
	s_cbranch_execz .LBB355_1786
.LBB355_2001:
	v_add_f32_e32 v4, 0x42800000, v5
	v_and_b32_e32 v4, 0xff, v4
	v_cmp_ne_u32_e32 vcc, 0, v4
	s_andn2_b64 s[18:19], s[18:19], exec
	s_and_b64 s[22:23], vcc, exec
	s_or_b64 s[18:19], s[18:19], s[22:23]
	s_or_b64 exec, exec, s[20:21]
	v_mov_b32_e32 v6, 0
	s_and_saveexec_b64 s[20:21], s[18:19]
	s_cbranch_execnz .LBB355_1787
	s_branch .LBB355_1788
.LBB355_2002:
	s_andn2_saveexec_b64 s[12:13], s[12:13]
	s_cbranch_execz .LBB355_1893
.LBB355_2003:
	v_add_f32_e32 v2, 0x46000000, v3
	v_and_b32_e32 v2, 0xff, v2
	v_cmp_ne_u32_e32 vcc, 0, v2
	s_andn2_b64 s[10:11], s[10:11], exec
	s_and_b64 s[20:21], vcc, exec
	s_or_b64 s[10:11], s[10:11], s[20:21]
	s_or_b64 exec, exec, s[12:13]
	v_mov_b32_e32 v4, 0
	s_and_saveexec_b64 s[12:13], s[10:11]
	s_cbranch_execnz .LBB355_1894
	s_branch .LBB355_1895
.LBB355_2004:
	s_mov_b64 s[2:3], 0
	s_or_b64 s[16:17], s[16:17], exec
	s_trap 2
	s_branch .LBB355_1939
.LBB355_2005:
	s_andn2_saveexec_b64 s[10:11], s[10:11]
	s_cbranch_execz .LBB355_1905
.LBB355_2006:
	v_add_f32_e32 v2, 0x42800000, v3
	v_and_b32_e32 v2, 0xff, v2
	v_cmp_ne_u32_e32 vcc, 0, v2
	s_andn2_b64 s[8:9], s[8:9], exec
	s_and_b64 s[12:13], vcc, exec
	s_or_b64 s[8:9], s[8:9], s[12:13]
	s_or_b64 exec, exec, s[10:11]
	v_mov_b32_e32 v4, 0
	s_and_saveexec_b64 s[10:11], s[8:9]
	s_cbranch_execnz .LBB355_1906
	s_branch .LBB355_1907
	.section	.rodata,"a",@progbits
	.p2align	6, 0x0
	.amdhsa_kernel _ZN2at6native32elementwise_kernel_manual_unrollILi128ELi4EZNS0_15gpu_kernel_implINS0_13AUnaryFunctorIjjbNS0_12_GLOBAL__N_116CompareEqFunctorIjEEEEEEvRNS_18TensorIteratorBaseERKT_EUlibE_EEviT1_
		.amdhsa_group_segment_fixed_size 0
		.amdhsa_private_segment_fixed_size 0
		.amdhsa_kernarg_size 48
		.amdhsa_user_sgpr_count 6
		.amdhsa_user_sgpr_private_segment_buffer 1
		.amdhsa_user_sgpr_dispatch_ptr 0
		.amdhsa_user_sgpr_queue_ptr 0
		.amdhsa_user_sgpr_kernarg_segment_ptr 1
		.amdhsa_user_sgpr_dispatch_id 0
		.amdhsa_user_sgpr_flat_scratch_init 0
		.amdhsa_user_sgpr_private_segment_size 0
		.amdhsa_uses_dynamic_stack 0
		.amdhsa_system_sgpr_private_segment_wavefront_offset 0
		.amdhsa_system_sgpr_workgroup_id_x 1
		.amdhsa_system_sgpr_workgroup_id_y 0
		.amdhsa_system_sgpr_workgroup_id_z 0
		.amdhsa_system_sgpr_workgroup_info 0
		.amdhsa_system_vgpr_workitem_id 0
		.amdhsa_next_free_vgpr 12
		.amdhsa_next_free_sgpr 50
		.amdhsa_reserve_vcc 1
		.amdhsa_reserve_flat_scratch 0
		.amdhsa_float_round_mode_32 0
		.amdhsa_float_round_mode_16_64 0
		.amdhsa_float_denorm_mode_32 3
		.amdhsa_float_denorm_mode_16_64 3
		.amdhsa_dx10_clamp 1
		.amdhsa_ieee_mode 1
		.amdhsa_fp16_overflow 0
		.amdhsa_exception_fp_ieee_invalid_op 0
		.amdhsa_exception_fp_denorm_src 0
		.amdhsa_exception_fp_ieee_div_zero 0
		.amdhsa_exception_fp_ieee_overflow 0
		.amdhsa_exception_fp_ieee_underflow 0
		.amdhsa_exception_fp_ieee_inexact 0
		.amdhsa_exception_int_div_zero 0
	.end_amdhsa_kernel
	.section	.text._ZN2at6native32elementwise_kernel_manual_unrollILi128ELi4EZNS0_15gpu_kernel_implINS0_13AUnaryFunctorIjjbNS0_12_GLOBAL__N_116CompareEqFunctorIjEEEEEEvRNS_18TensorIteratorBaseERKT_EUlibE_EEviT1_,"axG",@progbits,_ZN2at6native32elementwise_kernel_manual_unrollILi128ELi4EZNS0_15gpu_kernel_implINS0_13AUnaryFunctorIjjbNS0_12_GLOBAL__N_116CompareEqFunctorIjEEEEEEvRNS_18TensorIteratorBaseERKT_EUlibE_EEviT1_,comdat
.Lfunc_end355:
	.size	_ZN2at6native32elementwise_kernel_manual_unrollILi128ELi4EZNS0_15gpu_kernel_implINS0_13AUnaryFunctorIjjbNS0_12_GLOBAL__N_116CompareEqFunctorIjEEEEEEvRNS_18TensorIteratorBaseERKT_EUlibE_EEviT1_, .Lfunc_end355-_ZN2at6native32elementwise_kernel_manual_unrollILi128ELi4EZNS0_15gpu_kernel_implINS0_13AUnaryFunctorIjjbNS0_12_GLOBAL__N_116CompareEqFunctorIjEEEEEEvRNS_18TensorIteratorBaseERKT_EUlibE_EEviT1_
                                        ; -- End function
	.set _ZN2at6native32elementwise_kernel_manual_unrollILi128ELi4EZNS0_15gpu_kernel_implINS0_13AUnaryFunctorIjjbNS0_12_GLOBAL__N_116CompareEqFunctorIjEEEEEEvRNS_18TensorIteratorBaseERKT_EUlibE_EEviT1_.num_vgpr, 12
	.set _ZN2at6native32elementwise_kernel_manual_unrollILi128ELi4EZNS0_15gpu_kernel_implINS0_13AUnaryFunctorIjjbNS0_12_GLOBAL__N_116CompareEqFunctorIjEEEEEEvRNS_18TensorIteratorBaseERKT_EUlibE_EEviT1_.num_agpr, 0
	.set _ZN2at6native32elementwise_kernel_manual_unrollILi128ELi4EZNS0_15gpu_kernel_implINS0_13AUnaryFunctorIjjbNS0_12_GLOBAL__N_116CompareEqFunctorIjEEEEEEvRNS_18TensorIteratorBaseERKT_EUlibE_EEviT1_.numbered_sgpr, 50
	.set _ZN2at6native32elementwise_kernel_manual_unrollILi128ELi4EZNS0_15gpu_kernel_implINS0_13AUnaryFunctorIjjbNS0_12_GLOBAL__N_116CompareEqFunctorIjEEEEEEvRNS_18TensorIteratorBaseERKT_EUlibE_EEviT1_.num_named_barrier, 0
	.set _ZN2at6native32elementwise_kernel_manual_unrollILi128ELi4EZNS0_15gpu_kernel_implINS0_13AUnaryFunctorIjjbNS0_12_GLOBAL__N_116CompareEqFunctorIjEEEEEEvRNS_18TensorIteratorBaseERKT_EUlibE_EEviT1_.private_seg_size, 0
	.set _ZN2at6native32elementwise_kernel_manual_unrollILi128ELi4EZNS0_15gpu_kernel_implINS0_13AUnaryFunctorIjjbNS0_12_GLOBAL__N_116CompareEqFunctorIjEEEEEEvRNS_18TensorIteratorBaseERKT_EUlibE_EEviT1_.uses_vcc, 1
	.set _ZN2at6native32elementwise_kernel_manual_unrollILi128ELi4EZNS0_15gpu_kernel_implINS0_13AUnaryFunctorIjjbNS0_12_GLOBAL__N_116CompareEqFunctorIjEEEEEEvRNS_18TensorIteratorBaseERKT_EUlibE_EEviT1_.uses_flat_scratch, 0
	.set _ZN2at6native32elementwise_kernel_manual_unrollILi128ELi4EZNS0_15gpu_kernel_implINS0_13AUnaryFunctorIjjbNS0_12_GLOBAL__N_116CompareEqFunctorIjEEEEEEvRNS_18TensorIteratorBaseERKT_EUlibE_EEviT1_.has_dyn_sized_stack, 0
	.set _ZN2at6native32elementwise_kernel_manual_unrollILi128ELi4EZNS0_15gpu_kernel_implINS0_13AUnaryFunctorIjjbNS0_12_GLOBAL__N_116CompareEqFunctorIjEEEEEEvRNS_18TensorIteratorBaseERKT_EUlibE_EEviT1_.has_recursion, 0
	.set _ZN2at6native32elementwise_kernel_manual_unrollILi128ELi4EZNS0_15gpu_kernel_implINS0_13AUnaryFunctorIjjbNS0_12_GLOBAL__N_116CompareEqFunctorIjEEEEEEvRNS_18TensorIteratorBaseERKT_EUlibE_EEviT1_.has_indirect_call, 0
	.section	.AMDGPU.csdata,"",@progbits
; Kernel info:
; codeLenInByte = 29184
; TotalNumSgprs: 54
; NumVgprs: 12
; ScratchSize: 0
; MemoryBound: 1
; FloatMode: 240
; IeeeMode: 1
; LDSByteSize: 0 bytes/workgroup (compile time only)
; SGPRBlocks: 6
; VGPRBlocks: 2
; NumSGPRsForWavesPerEU: 54
; NumVGPRsForWavesPerEU: 12
; Occupancy: 10
; WaveLimiterHint : 0
; COMPUTE_PGM_RSRC2:SCRATCH_EN: 0
; COMPUTE_PGM_RSRC2:USER_SGPR: 6
; COMPUTE_PGM_RSRC2:TRAP_HANDLER: 0
; COMPUTE_PGM_RSRC2:TGID_X_EN: 1
; COMPUTE_PGM_RSRC2:TGID_Y_EN: 0
; COMPUTE_PGM_RSRC2:TGID_Z_EN: 0
; COMPUTE_PGM_RSRC2:TIDIG_COMP_CNT: 0
	.section	.text._ZN2at6native32elementwise_kernel_manual_unrollILi128ELi4EZNS0_15gpu_kernel_implINS0_13AUnaryFunctorIjjbNS0_12_GLOBAL__N_116CompareEqFunctorIjEEEEEEvRNS_18TensorIteratorBaseERKT_EUlibE0_EEviT1_,"axG",@progbits,_ZN2at6native32elementwise_kernel_manual_unrollILi128ELi4EZNS0_15gpu_kernel_implINS0_13AUnaryFunctorIjjbNS0_12_GLOBAL__N_116CompareEqFunctorIjEEEEEEvRNS_18TensorIteratorBaseERKT_EUlibE0_EEviT1_,comdat
	.globl	_ZN2at6native32elementwise_kernel_manual_unrollILi128ELi4EZNS0_15gpu_kernel_implINS0_13AUnaryFunctorIjjbNS0_12_GLOBAL__N_116CompareEqFunctorIjEEEEEEvRNS_18TensorIteratorBaseERKT_EUlibE0_EEviT1_ ; -- Begin function _ZN2at6native32elementwise_kernel_manual_unrollILi128ELi4EZNS0_15gpu_kernel_implINS0_13AUnaryFunctorIjjbNS0_12_GLOBAL__N_116CompareEqFunctorIjEEEEEEvRNS_18TensorIteratorBaseERKT_EUlibE0_EEviT1_
	.p2align	8
	.type	_ZN2at6native32elementwise_kernel_manual_unrollILi128ELi4EZNS0_15gpu_kernel_implINS0_13AUnaryFunctorIjjbNS0_12_GLOBAL__N_116CompareEqFunctorIjEEEEEEvRNS_18TensorIteratorBaseERKT_EUlibE0_EEviT1_,@function
_ZN2at6native32elementwise_kernel_manual_unrollILi128ELi4EZNS0_15gpu_kernel_implINS0_13AUnaryFunctorIjjbNS0_12_GLOBAL__N_116CompareEqFunctorIjEEEEEEvRNS_18TensorIteratorBaseERKT_EUlibE0_EEviT1_: ; @_ZN2at6native32elementwise_kernel_manual_unrollILi128ELi4EZNS0_15gpu_kernel_implINS0_13AUnaryFunctorIjjbNS0_12_GLOBAL__N_116CompareEqFunctorIjEEEEEEvRNS_18TensorIteratorBaseERKT_EUlibE0_EEviT1_
; %bb.0:
	s_load_dword s74, s[4:5], 0x0
	s_load_dword s33, s[4:5], 0x8
	s_add_u32 s34, s4, 8
	s_addc_u32 s35, s5, 0
	v_lshl_or_b32 v8, s6, 9, v0
	v_or_b32_e32 v15, 0x180, v8
	s_waitcnt lgkmcnt(0)
	s_add_i32 s76, s33, -1
	s_cmp_gt_u32 s76, 1
	v_cmp_le_i32_e32 vcc, s74, v15
	s_cselect_b64 s[40:41], -1, 0
	s_mov_b64 s[6:7], 0
	s_mov_b64 s[28:29], 0
	s_and_saveexec_b64 s[0:1], vcc
	s_xor_b64 s[42:43], exec, s[0:1]
	s_cbranch_execz .LBB356_1070
; %bb.1:
	s_load_dwordx4 s[28:31], s[34:35], 0x4
	s_load_dwordx2 s[48:49], s[34:35], 0x14
	s_load_dwordx2 s[44:45], s[34:35], 0x158
	s_load_dword s77, s[34:35], 0x160
	s_cmp_lg_u32 s33, 0
	s_cselect_b64 s[54:55], -1, 0
	s_add_u32 s52, s34, 0xc4
	s_addc_u32 s53, s35, 0
	s_min_u32 s79, s76, 15
	s_load_dwordx4 s[36:39], s[34:35], 0xc4
	s_load_dwordx4 s[24:27], s[34:35], 0x148
	s_cmp_gt_u32 s33, 1
	s_cselect_b64 s[50:51], -1, 0
	s_waitcnt lgkmcnt(0)
	s_bfe_u32 s78, s77, 0x80008
	s_cmp_eq_u32 s44, 0
	s_cselect_b64 s[46:47], -1, 0
	v_cmp_gt_i32_e32 vcc, s74, v8
	s_mov_b64 s[2:3], -1
	s_mov_b64 s[64:65], 0
	s_mov_b64 s[58:59], 0
	;; [unrolled: 1-line block ×3, first 2 shown]
	s_and_saveexec_b64 s[60:61], vcc
	s_cbranch_execz .LBB356_262
; %bb.2:
	s_andn2_b64 vcc, exec, s[40:41]
	s_cbranch_vccnz .LBB356_7
; %bb.3:
	s_andn2_b64 vcc, exec, s[54:55]
	s_cbranch_vccnz .LBB356_8
; %bb.4:
	s_add_i32 s62, s79, 1
	s_cmp_eq_u32 s76, 2
	s_cbranch_scc1 .LBB356_9
; %bb.5:
	s_and_b32 s44, s62, 28
	v_mov_b32_e32 v2, 0
	s_mov_b32 s63, 0
	s_mov_b64 s[56:57], s[34:35]
	s_mov_b64 s[58:59], s[52:53]
	v_mov_b32_e32 v0, 0
	v_mov_b32_e32 v1, v8
.LBB356_6:                              ; =>This Inner Loop Header: Depth=1
	s_load_dwordx8 s[16:23], s[56:57], 0x4
	s_load_dwordx4 s[0:3], s[56:57], 0x24
	s_load_dwordx8 s[8:15], s[58:59], 0x0
	s_add_u32 s56, s56, 48
	s_addc_u32 s57, s57, 0
	s_waitcnt lgkmcnt(0)
	v_mul_hi_u32 v3, s17, v1
	s_add_i32 s63, s63, 4
	s_add_u32 s58, s58, 32
	s_addc_u32 s59, s59, 0
	v_add_u32_e32 v3, v1, v3
	v_lshrrev_b32_e32 v3, s18, v3
	v_mul_lo_u32 v4, v3, s16
	v_mul_hi_u32 v5, s20, v3
	s_cmp_lg_u32 s44, s63
	v_sub_u32_e32 v1, v1, v4
	v_add_u32_e32 v4, v3, v5
	v_mul_lo_u32 v5, v1, s8
	v_mul_lo_u32 v6, v1, s9
	v_lshrrev_b32_e32 v1, s21, v4
	v_mul_lo_u32 v4, v1, s19
	v_mul_hi_u32 v7, s23, v1
	v_sub_u32_e32 v3, v3, v4
	v_add_u32_e32 v4, v1, v7
	v_lshrrev_b32_e32 v4, s0, v4
	v_mul_hi_u32 v9, s2, v4
	v_mul_lo_u32 v10, v4, s22
	v_mul_lo_u32 v7, v3, s10
	;; [unrolled: 1-line block ×3, first 2 shown]
	v_sub_u32_e32 v10, v1, v10
	v_add_u32_e32 v1, v4, v9
	v_lshrrev_b32_e32 v1, s3, v1
	v_mul_lo_u32 v9, v1, s1
	v_mul_lo_u32 v11, v10, s12
	;; [unrolled: 1-line block ×3, first 2 shown]
	v_add3_u32 v0, v5, v0, v7
	v_sub_u32_e32 v4, v4, v9
	v_mul_lo_u32 v9, v4, s14
	v_mul_lo_u32 v4, v4, s15
	v_add3_u32 v2, v6, v2, v3
	v_add3_u32 v0, v11, v0, v9
	;; [unrolled: 1-line block ×3, first 2 shown]
	s_cbranch_scc1 .LBB356_6
	s_branch .LBB356_10
.LBB356_7:
                                        ; implicit-def: $vgpr0
                                        ; implicit-def: $vgpr2
	s_branch .LBB356_14
.LBB356_8:
	v_mov_b32_e32 v0, 0
	v_mov_b32_e32 v2, 0
	s_branch .LBB356_13
.LBB356_9:
	s_mov_b32 s44, 0
	v_mov_b32_e32 v0, 0
	v_mov_b32_e32 v2, 0
	;; [unrolled: 1-line block ×3, first 2 shown]
.LBB356_10:
	s_and_b32 s8, s62, 3
	s_cmp_eq_u32 s8, 0
	s_cbranch_scc1 .LBB356_13
; %bb.11:
	s_lshl_b32 s0, s44, 3
	s_add_u32 s0, s34, s0
	s_addc_u32 s1, s35, 0
	s_add_u32 s0, s0, 0xc4
	s_addc_u32 s1, s1, 0
	s_mul_i32 s2, s44, 12
	s_add_u32 s2, s34, s2
	s_addc_u32 s3, s35, 0
.LBB356_12:                             ; =>This Inner Loop Header: Depth=1
	s_load_dwordx2 s[10:11], s[2:3], 0x4
	s_load_dword s9, s[2:3], 0xc
	s_load_dwordx2 s[12:13], s[0:1], 0x0
	s_add_u32 s2, s2, 12
	s_addc_u32 s3, s3, 0
	s_waitcnt lgkmcnt(0)
	v_mul_hi_u32 v3, s11, v1
	s_add_u32 s0, s0, 8
	s_addc_u32 s1, s1, 0
	s_add_i32 s8, s8, -1
	v_add_u32_e32 v3, v1, v3
	v_lshrrev_b32_e32 v4, s9, v3
	v_mul_lo_u32 v3, v4, s10
	s_cmp_lg_u32 s8, 0
	v_sub_u32_e32 v3, v1, v3
	v_mad_u64_u32 v[0:1], s[10:11], v3, s12, v[0:1]
	v_mad_u64_u32 v[2:3], s[10:11], v3, s13, v[2:3]
	v_mov_b32_e32 v1, v4
	s_cbranch_scc1 .LBB356_12
.LBB356_13:
	s_cbranch_execnz .LBB356_16
.LBB356_14:
	v_mul_hi_u32 v0, s29, v8
	s_andn2_b64 vcc, exec, s[50:51]
	v_add_u32_e32 v0, v8, v0
	v_lshrrev_b32_e32 v1, s30, v0
	v_mul_lo_u32 v0, v1, s28
	v_sub_u32_e32 v2, v8, v0
	v_mul_lo_u32 v0, v2, s36
	v_mul_lo_u32 v2, v2, s37
	s_cbranch_vccnz .LBB356_16
; %bb.15:
	v_mul_hi_u32 v3, s48, v1
	v_add_u32_e32 v3, v1, v3
	v_lshrrev_b32_e32 v3, s49, v3
	v_mul_lo_u32 v3, v3, s31
	v_sub_u32_e32 v3, v1, v3
	v_mad_u64_u32 v[0:1], s[0:1], v3, s38, v[0:1]
	v_mad_u64_u32 v[2:3], s[0:1], v3, s39, v[2:3]
.LBB356_16:
	v_mov_b32_e32 v3, s27
	s_and_b32 s10, 0xffff, s78
	v_add_co_u32_e32 v1, vcc, s26, v2
	s_cmp_lt_i32 s10, 11
	v_addc_co_u32_e32 v2, vcc, 0, v3, vcc
	s_cbranch_scc1 .LBB356_23
; %bb.17:
	s_cmp_gt_i32 s10, 25
	s_cbranch_scc0 .LBB356_32
; %bb.18:
	s_cmp_gt_i32 s10, 28
	s_cbranch_scc0 .LBB356_35
	;; [unrolled: 3-line block ×4, first 2 shown]
; %bb.21:
	s_cmp_eq_u32 s10, 46
	s_mov_b64 s[8:9], 0
	s_cbranch_scc0 .LBB356_41
; %bb.22:
	global_load_dword v3, v[1:2], off
	s_mov_b64 s[0:1], -1
	s_mov_b64 s[2:3], 0
	s_waitcnt vmcnt(0)
	v_lshlrev_b32_e32 v3, 16, v3
	v_cvt_u32_f32_e32 v3, v3
	s_branch .LBB356_43
.LBB356_23:
	s_mov_b64 s[2:3], 0
                                        ; implicit-def: $vgpr3
	s_mov_b64 s[0:1], 0
	s_cbranch_execnz .LBB356_212
.LBB356_24:
	s_andn2_b64 vcc, exec, s[0:1]
	s_cbranch_vccnz .LBB356_259
.LBB356_25:
	s_waitcnt vmcnt(0)
	v_cmp_ne_u32_e32 vcc, s45, v3
	s_xor_b64 s[8:9], s[46:47], vcc
	v_mov_b32_e32 v1, s25
	s_and_b32 s16, s77, 0xff
	v_add_co_u32_e32 v0, vcc, s24, v0
	s_cmp_lt_i32 s16, 11
	v_addc_co_u32_e32 v1, vcc, 0, v1, vcc
	s_cbranch_scc1 .LBB356_33
; %bb.26:
	s_and_b32 s17, 0xffff, s16
	s_cmp_gt_i32 s17, 25
	s_cbranch_scc0 .LBB356_36
; %bb.27:
	s_cmp_gt_i32 s17, 28
	s_cbranch_scc0 .LBB356_38
; %bb.28:
	;; [unrolled: 3-line block ×4, first 2 shown]
	s_mov_b64 s[12:13], 0
	s_mov_b64 s[0:1], -1
	s_cmp_eq_u32 s17, 46
	s_mov_b64 s[10:11], 0
	s_cbranch_scc0 .LBB356_47
; %bb.31:
	v_cndmask_b32_e64 v2, 0, 1.0, s[8:9]
	v_bfe_u32 v3, v2, 16, 1
	s_movk_i32 s0, 0x7fff
	v_add3_u32 v2, v2, v3, s0
	v_lshrrev_b32_e32 v2, 16, v2
	global_store_dword v[0:1], v2, off
	s_mov_b64 s[10:11], -1
	s_mov_b64 s[0:1], 0
	s_branch .LBB356_47
.LBB356_32:
	s_mov_b64 s[2:3], 0
	s_mov_b64 s[0:1], 0
                                        ; implicit-def: $vgpr3
	s_cbranch_execnz .LBB356_179
	s_branch .LBB356_211
.LBB356_33:
	s_mov_b64 s[0:1], 0
	s_mov_b64 s[10:11], 0
	s_cbranch_execnz .LBB356_116
.LBB356_34:
	s_andn2_b64 vcc, exec, s[10:11]
	s_cbranch_vccnz .LBB356_260
	s_branch .LBB356_154
.LBB356_35:
	s_mov_b64 s[8:9], -1
	s_mov_b64 s[2:3], 0
	s_mov_b64 s[0:1], 0
                                        ; implicit-def: $vgpr3
	s_branch .LBB356_162
.LBB356_36:
	s_mov_b64 s[12:13], -1
	s_mov_b64 s[0:1], 0
	s_mov_b64 s[10:11], 0
	s_branch .LBB356_74
.LBB356_37:
	s_mov_b64 s[8:9], -1
	s_mov_b64 s[2:3], 0
	s_mov_b64 s[0:1], 0
                                        ; implicit-def: $vgpr3
	s_branch .LBB356_157
.LBB356_38:
	s_mov_b64 s[12:13], -1
	s_mov_b64 s[0:1], 0
	s_mov_b64 s[10:11], 0
	s_branch .LBB356_57
.LBB356_39:
	s_mov_b64 s[8:9], -1
	s_mov_b64 s[2:3], 0
	s_branch .LBB356_42
.LBB356_40:
	s_mov_b64 s[12:13], -1
	s_mov_b64 s[0:1], 0
	s_mov_b64 s[10:11], 0
	s_branch .LBB356_53
.LBB356_41:
	s_mov_b64 s[2:3], -1
.LBB356_42:
	s_mov_b64 s[0:1], 0
                                        ; implicit-def: $vgpr3
.LBB356_43:
	s_and_b64 vcc, exec, s[8:9]
	s_cbranch_vccz .LBB356_156
; %bb.44:
	s_cmp_eq_u32 s10, 44
	s_cbranch_scc0 .LBB356_155
; %bb.45:
	global_load_ubyte v3, v[1:2], off
	s_mov_b64 s[0:1], -1
	s_mov_b64 s[2:3], 0
	s_waitcnt vmcnt(0)
	v_lshlrev_b32_e32 v4, 23, v3
	v_cvt_u32_f32_e32 v4, v4
	v_cmp_ne_u32_e32 vcc, 0, v3
	v_cndmask_b32_e32 v3, 0, v4, vcc
	s_branch .LBB356_156
.LBB356_46:
	s_mov_b64 s[12:13], -1
	s_mov_b64 s[0:1], 0
	s_mov_b64 s[10:11], 0
.LBB356_47:
	s_and_b64 vcc, exec, s[12:13]
	s_cbranch_vccz .LBB356_52
; %bb.48:
	s_cmp_eq_u32 s17, 44
	s_mov_b64 s[0:1], -1
	s_cbranch_scc0 .LBB356_52
; %bb.49:
	v_cndmask_b32_e64 v3, 0, 1.0, s[8:9]
	v_lshrrev_b32_e32 v2, 23, v3
	s_movk_i32 s0, 0xff
	v_cmp_ne_u32_e32 vcc, s0, v2
	v_mov_b32_e32 v4, 0xff
	s_and_saveexec_b64 s[10:11], vcc
; %bb.50:
	s_mov_b32 s0, 0x3fffff
	v_and_b32_e32 v4, 0x400000, v3
	v_and_or_b32 v3, v3, s0, v2
	v_cmp_ne_u32_e32 vcc, 0, v4
	v_cmp_ne_u32_e64 s[0:1], 0, v3
	s_and_b64 s[0:1], vcc, s[0:1]
	v_cndmask_b32_e64 v3, 0, 1, s[0:1]
	v_add_u32_e32 v4, v2, v3
; %bb.51:
	s_or_b64 exec, exec, s[10:11]
	s_mov_b64 s[10:11], -1
	s_mov_b64 s[0:1], 0
	global_store_byte v[0:1], v4, off
.LBB356_52:
	s_mov_b64 s[12:13], 0
.LBB356_53:
	s_and_b64 vcc, exec, s[12:13]
	s_cbranch_vccz .LBB356_56
; %bb.54:
	s_cmp_eq_u32 s17, 29
	s_mov_b64 s[0:1], -1
	s_cbranch_scc0 .LBB356_56
; %bb.55:
	s_mov_b32 s0, 0
	v_cndmask_b32_e64 v2, 0, 1, s[8:9]
	v_mov_b32_e32 v3, s0
	global_store_dwordx2 v[0:1], v[2:3], off
	s_mov_b64 s[10:11], -1
	s_mov_b64 s[0:1], 0
.LBB356_56:
	s_mov_b64 s[12:13], 0
.LBB356_57:
	s_and_b64 vcc, exec, s[12:13]
	s_cbranch_vccz .LBB356_73
; %bb.58:
	s_cmp_lt_i32 s17, 27
	s_mov_b64 s[10:11], -1
	s_cbranch_scc1 .LBB356_64
; %bb.59:
	s_cmp_gt_i32 s17, 27
	s_cbranch_scc0 .LBB356_61
; %bb.60:
	v_cndmask_b32_e64 v2, 0, 1, s[8:9]
	s_mov_b64 s[10:11], 0
	global_store_dword v[0:1], v2, off
.LBB356_61:
	s_andn2_b64 vcc, exec, s[10:11]
	s_cbranch_vccnz .LBB356_63
; %bb.62:
	v_cndmask_b32_e64 v2, 0, 1, s[8:9]
	global_store_short v[0:1], v2, off
.LBB356_63:
	s_mov_b64 s[10:11], 0
.LBB356_64:
	s_andn2_b64 vcc, exec, s[10:11]
	s_cbranch_vccnz .LBB356_72
; %bb.65:
	v_cndmask_b32_e64 v3, 0, 1.0, s[8:9]
	s_mov_b32 s10, 0x43800000
	v_cmp_gt_u32_e32 vcc, s10, v3
	v_mov_b32_e32 v4, 0x80
	s_and_saveexec_b64 s[10:11], vcc
	s_cbranch_execz .LBB356_71
; %bb.66:
	s_mov_b32 s12, 0x3bffffff
	v_cmp_lt_u32_e32 vcc, s12, v3
	s_mov_b64 s[12:13], 0
                                        ; implicit-def: $vgpr2
	s_and_saveexec_b64 s[14:15], vcc
	s_xor_b64 s[14:15], exec, s[14:15]
	s_cbranch_execz .LBB356_303
; %bb.67:
	v_bfe_u32 v2, v3, 20, 1
	s_mov_b32 s18, 0x487ffff
	v_add3_u32 v2, v3, v2, s18
	s_mov_b64 s[12:13], exec
	v_lshrrev_b32_e32 v2, 20, v2
                                        ; implicit-def: $vgpr3
	s_andn2_saveexec_b64 s[14:15], s[14:15]
	s_cbranch_execnz .LBB356_304
.LBB356_68:
	s_or_b64 exec, exec, s[14:15]
	v_mov_b32_e32 v4, 0
	s_and_saveexec_b64 s[14:15], s[12:13]
.LBB356_69:
	v_mov_b32_e32 v4, v2
.LBB356_70:
	s_or_b64 exec, exec, s[14:15]
.LBB356_71:
	s_or_b64 exec, exec, s[10:11]
	global_store_byte v[0:1], v4, off
.LBB356_72:
	s_mov_b64 s[10:11], -1
.LBB356_73:
	s_mov_b64 s[12:13], 0
.LBB356_74:
	s_and_b64 vcc, exec, s[12:13]
	s_cbranch_vccz .LBB356_115
; %bb.75:
	s_cmp_gt_i32 s17, 22
	s_mov_b64 s[12:13], -1
	s_cbranch_scc0 .LBB356_107
; %bb.76:
	s_cmp_lt_i32 s17, 24
	s_mov_b64 s[10:11], -1
	s_cbranch_scc1 .LBB356_96
; %bb.77:
	s_cmp_gt_i32 s17, 24
	s_cbranch_scc0 .LBB356_85
; %bb.78:
	v_cndmask_b32_e64 v3, 0, 1.0, s[8:9]
	s_mov_b32 s10, 0x47800000
	v_cmp_gt_u32_e32 vcc, s10, v3
	v_mov_b32_e32 v4, 0x80
	s_and_saveexec_b64 s[10:11], vcc
	s_cbranch_execz .LBB356_84
; %bb.79:
	s_mov_b32 s12, 0x37ffffff
	v_cmp_lt_u32_e32 vcc, s12, v3
	s_mov_b64 s[12:13], 0
                                        ; implicit-def: $vgpr2
	s_and_saveexec_b64 s[14:15], vcc
	s_xor_b64 s[14:15], exec, s[14:15]
	s_cbranch_execz .LBB356_307
; %bb.80:
	v_bfe_u32 v2, v3, 21, 1
	s_mov_b32 s18, 0x88fffff
	v_add3_u32 v2, v3, v2, s18
	s_mov_b64 s[12:13], exec
	v_lshrrev_b32_e32 v2, 21, v2
                                        ; implicit-def: $vgpr3
	s_andn2_saveexec_b64 s[14:15], s[14:15]
	s_cbranch_execnz .LBB356_308
.LBB356_81:
	s_or_b64 exec, exec, s[14:15]
	v_mov_b32_e32 v4, 0
	s_and_saveexec_b64 s[14:15], s[12:13]
.LBB356_82:
	v_mov_b32_e32 v4, v2
.LBB356_83:
	s_or_b64 exec, exec, s[14:15]
.LBB356_84:
	s_or_b64 exec, exec, s[10:11]
	s_mov_b64 s[10:11], 0
	global_store_byte v[0:1], v4, off
.LBB356_85:
	s_and_b64 vcc, exec, s[10:11]
	s_cbranch_vccz .LBB356_95
; %bb.86:
	v_cndmask_b32_e64 v2, 0, 1.0, s[8:9]
	s_mov_b32 s10, 0x43f00000
	v_cmp_gt_u32_e32 vcc, s10, v2
                                        ; implicit-def: $vgpr3
	s_and_saveexec_b64 s[10:11], vcc
	s_xor_b64 s[10:11], exec, s[10:11]
	s_cbranch_execz .LBB356_92
; %bb.87:
	s_mov_b32 s12, 0x3c7fffff
	v_cmp_lt_u32_e32 vcc, s12, v2
                                        ; implicit-def: $vgpr3
	s_and_saveexec_b64 s[12:13], vcc
	s_xor_b64 s[12:13], exec, s[12:13]
; %bb.88:
	v_bfe_u32 v3, v2, 20, 1
	s_mov_b32 s14, 0x407ffff
	v_add3_u32 v2, v2, v3, s14
	v_lshrrev_b32_e32 v3, 20, v2
	v_and_b32_e32 v2, 0xff00000, v2
	s_mov_b32 s14, 0x7f00000
	v_mov_b32_e32 v4, 0x7e
	v_cmp_ne_u32_e32 vcc, s14, v2
	v_cndmask_b32_e32 v3, v4, v3, vcc
                                        ; implicit-def: $vgpr2
; %bb.89:
	s_andn2_saveexec_b64 s[12:13], s[12:13]
; %bb.90:
	v_add_f32_e32 v3, 0x46800000, v2
; %bb.91:
	s_or_b64 exec, exec, s[12:13]
                                        ; implicit-def: $vgpr2
.LBB356_92:
	s_andn2_saveexec_b64 s[10:11], s[10:11]
; %bb.93:
	s_mov_b32 s12, 0x7f800000
	v_mov_b32_e32 v3, 0x7e
	v_mov_b32_e32 v4, 0x7f
	v_cmp_lt_u32_e32 vcc, s12, v2
	v_cndmask_b32_e32 v3, v3, v4, vcc
; %bb.94:
	s_or_b64 exec, exec, s[10:11]
	global_store_byte v[0:1], v3, off
.LBB356_95:
	s_mov_b64 s[10:11], 0
.LBB356_96:
	s_andn2_b64 vcc, exec, s[10:11]
	s_cbranch_vccnz .LBB356_106
; %bb.97:
	v_cndmask_b32_e64 v2, 0, 1.0, s[8:9]
	s_mov_b32 s10, 0x47800000
	v_cmp_gt_u32_e32 vcc, s10, v2
                                        ; implicit-def: $vgpr3
	s_and_saveexec_b64 s[10:11], vcc
	s_xor_b64 s[10:11], exec, s[10:11]
	s_cbranch_execz .LBB356_103
; %bb.98:
	s_mov_b32 s12, 0x387fffff
	v_cmp_lt_u32_e32 vcc, s12, v2
                                        ; implicit-def: $vgpr3
	s_and_saveexec_b64 s[12:13], vcc
	s_xor_b64 s[12:13], exec, s[12:13]
; %bb.99:
	v_bfe_u32 v3, v2, 21, 1
	s_mov_b32 s14, 0x80fffff
	v_add3_u32 v2, v2, v3, s14
	v_lshrrev_b32_e32 v3, 21, v2
                                        ; implicit-def: $vgpr2
; %bb.100:
	s_andn2_saveexec_b64 s[12:13], s[12:13]
; %bb.101:
	v_add_f32_e32 v3, 0x43000000, v2
; %bb.102:
	s_or_b64 exec, exec, s[12:13]
                                        ; implicit-def: $vgpr2
.LBB356_103:
	s_andn2_saveexec_b64 s[10:11], s[10:11]
; %bb.104:
	s_mov_b32 s12, 0x7f800000
	v_mov_b32_e32 v3, 0x7c
	v_mov_b32_e32 v4, 0x7f
	v_cmp_lt_u32_e32 vcc, s12, v2
	v_cndmask_b32_e32 v3, v3, v4, vcc
; %bb.105:
	s_or_b64 exec, exec, s[10:11]
	global_store_byte v[0:1], v3, off
.LBB356_106:
	s_mov_b64 s[12:13], 0
	s_mov_b64 s[10:11], -1
.LBB356_107:
	s_andn2_b64 vcc, exec, s[12:13]
	s_cbranch_vccnz .LBB356_115
; %bb.108:
	s_cmp_gt_i32 s17, 14
	s_mov_b64 s[12:13], -1
	s_cbranch_scc0 .LBB356_112
; %bb.109:
	s_cmp_eq_u32 s17, 15
	s_mov_b64 s[0:1], -1
	s_cbranch_scc0 .LBB356_111
; %bb.110:
	v_cndmask_b32_e64 v2, 0, 1.0, s[8:9]
	v_bfe_u32 v3, v2, 16, 1
	s_movk_i32 s0, 0x7fff
	v_add3_u32 v2, v2, v3, s0
	global_store_short_d16_hi v[0:1], v2, off
	s_mov_b64 s[10:11], -1
	s_mov_b64 s[0:1], 0
.LBB356_111:
	s_mov_b64 s[12:13], 0
.LBB356_112:
	s_and_b64 vcc, exec, s[12:13]
	s_cbranch_vccz .LBB356_115
; %bb.113:
	s_cmp_eq_u32 s17, 11
	s_mov_b64 s[0:1], -1
	s_cbranch_scc0 .LBB356_115
; %bb.114:
	v_cndmask_b32_e64 v2, 0, 1, s[8:9]
	s_mov_b64 s[10:11], -1
	s_mov_b64 s[0:1], 0
	global_store_byte v[0:1], v2, off
.LBB356_115:
	s_branch .LBB356_34
.LBB356_116:
	s_and_b32 s12, 0xffff, s16
	s_cmp_lt_i32 s12, 5
	s_mov_b64 s[10:11], -1
	s_cbranch_scc1 .LBB356_137
; %bb.117:
	s_cmp_lt_i32 s12, 8
	s_cbranch_scc1 .LBB356_127
; %bb.118:
	s_cmp_lt_i32 s12, 9
	s_cbranch_scc1 .LBB356_124
; %bb.119:
	s_cmp_gt_i32 s12, 9
	s_cbranch_scc0 .LBB356_121
; %bb.120:
	v_cndmask_b32_e64 v2, 0, 1, s[8:9]
	v_cvt_f64_u32_e32 v[2:3], v2
	v_mov_b32_e32 v4, 0
	v_mov_b32_e32 v5, v4
	s_mov_b64 s[10:11], 0
	global_store_dwordx4 v[0:1], v[2:5], off
.LBB356_121:
	s_andn2_b64 vcc, exec, s[10:11]
	s_cbranch_vccnz .LBB356_123
; %bb.122:
	v_cndmask_b32_e64 v2, 0, 1.0, s[8:9]
	v_mov_b32_e32 v3, 0
	global_store_dwordx2 v[0:1], v[2:3], off
.LBB356_123:
	s_mov_b64 s[10:11], 0
.LBB356_124:
	s_andn2_b64 vcc, exec, s[10:11]
	s_cbranch_vccnz .LBB356_126
; %bb.125:
	v_cndmask_b32_e64 v2, 0, 1.0, s[8:9]
	v_cvt_f16_f32_e32 v2, v2
	global_store_dword v[0:1], v2, off
.LBB356_126:
	s_mov_b64 s[10:11], 0
.LBB356_127:
	s_andn2_b64 vcc, exec, s[10:11]
	s_cbranch_vccnz .LBB356_136
; %bb.128:
	s_cmp_lt_i32 s12, 6
	s_mov_b64 s[10:11], -1
	s_cbranch_scc1 .LBB356_134
; %bb.129:
	s_cmp_gt_i32 s12, 6
	s_cbranch_scc0 .LBB356_131
; %bb.130:
	v_cndmask_b32_e64 v2, 0, 1, s[8:9]
	v_cvt_f64_u32_e32 v[2:3], v2
	s_mov_b64 s[10:11], 0
	global_store_dwordx2 v[0:1], v[2:3], off
.LBB356_131:
	s_andn2_b64 vcc, exec, s[10:11]
	s_cbranch_vccnz .LBB356_133
; %bb.132:
	v_cndmask_b32_e64 v2, 0, 1.0, s[8:9]
	global_store_dword v[0:1], v2, off
.LBB356_133:
	s_mov_b64 s[10:11], 0
.LBB356_134:
	s_andn2_b64 vcc, exec, s[10:11]
	s_cbranch_vccnz .LBB356_136
; %bb.135:
	v_cndmask_b32_e64 v2, 0, 1.0, s[8:9]
	v_cvt_f16_f32_e32 v2, v2
	global_store_short v[0:1], v2, off
.LBB356_136:
	s_mov_b64 s[10:11], 0
.LBB356_137:
	s_andn2_b64 vcc, exec, s[10:11]
	s_cbranch_vccnz .LBB356_153
; %bb.138:
	s_cmp_lt_i32 s12, 2
	s_mov_b64 s[10:11], -1
	s_cbranch_scc1 .LBB356_148
; %bb.139:
	s_cmp_lt_i32 s12, 3
	s_cbranch_scc1 .LBB356_145
; %bb.140:
	s_cmp_gt_i32 s12, 3
	s_cbranch_scc0 .LBB356_142
; %bb.141:
	s_mov_b32 s10, 0
	v_cndmask_b32_e64 v2, 0, 1, s[8:9]
	v_mov_b32_e32 v3, s10
	global_store_dwordx2 v[0:1], v[2:3], off
	s_mov_b64 s[10:11], 0
.LBB356_142:
	s_andn2_b64 vcc, exec, s[10:11]
	s_cbranch_vccnz .LBB356_144
; %bb.143:
	v_cndmask_b32_e64 v2, 0, 1, s[8:9]
	global_store_dword v[0:1], v2, off
.LBB356_144:
	s_mov_b64 s[10:11], 0
.LBB356_145:
	s_andn2_b64 vcc, exec, s[10:11]
	s_cbranch_vccnz .LBB356_147
; %bb.146:
	v_cndmask_b32_e64 v2, 0, 1, s[8:9]
	global_store_short v[0:1], v2, off
.LBB356_147:
	s_mov_b64 s[10:11], 0
.LBB356_148:
	s_andn2_b64 vcc, exec, s[10:11]
	s_cbranch_vccnz .LBB356_153
; %bb.149:
	s_cmp_gt_i32 s12, 0
	s_mov_b64 s[10:11], -1
	s_cbranch_scc0 .LBB356_151
; %bb.150:
	v_cndmask_b32_e64 v2, 0, 1, s[8:9]
	global_store_byte v[0:1], v2, off
	s_mov_b64 s[10:11], 0
.LBB356_151:
	s_andn2_b64 vcc, exec, s[10:11]
	s_cbranch_vccnz .LBB356_153
; %bb.152:
	v_cndmask_b32_e64 v2, 0, 1, s[8:9]
	global_store_byte v[0:1], v2, off
.LBB356_153:
.LBB356_154:
	v_add_u32_e32 v8, 0x80, v8
	s_mov_b64 s[8:9], -1
	s_branch .LBB356_261
.LBB356_155:
	s_mov_b64 s[2:3], -1
                                        ; implicit-def: $vgpr3
.LBB356_156:
	s_mov_b64 s[8:9], 0
.LBB356_157:
	s_and_b64 vcc, exec, s[8:9]
	s_cbranch_vccz .LBB356_161
; %bb.158:
	s_cmp_eq_u32 s10, 29
	s_cbranch_scc0 .LBB356_160
; %bb.159:
	global_load_dword v3, v[1:2], off
	s_mov_b64 s[0:1], -1
	s_mov_b64 s[2:3], 0
	s_branch .LBB356_161
.LBB356_160:
	s_mov_b64 s[2:3], -1
                                        ; implicit-def: $vgpr3
.LBB356_161:
	s_mov_b64 s[8:9], 0
.LBB356_162:
	s_and_b64 vcc, exec, s[8:9]
	s_cbranch_vccz .LBB356_178
; %bb.163:
	s_cmp_lt_i32 s10, 27
	s_cbranch_scc1 .LBB356_166
; %bb.164:
	s_cmp_gt_i32 s10, 27
	s_cbranch_scc0 .LBB356_167
; %bb.165:
	global_load_dword v3, v[1:2], off
	s_mov_b64 s[0:1], 0
	s_branch .LBB356_168
.LBB356_166:
	s_mov_b64 s[0:1], -1
                                        ; implicit-def: $vgpr3
	s_branch .LBB356_171
.LBB356_167:
	s_mov_b64 s[0:1], -1
                                        ; implicit-def: $vgpr3
.LBB356_168:
	s_andn2_b64 vcc, exec, s[0:1]
	s_cbranch_vccnz .LBB356_170
; %bb.169:
	global_load_ushort v3, v[1:2], off
.LBB356_170:
	s_mov_b64 s[0:1], 0
.LBB356_171:
	s_andn2_b64 vcc, exec, s[0:1]
	s_cbranch_vccnz .LBB356_177
; %bb.172:
	global_load_ubyte v4, v[1:2], off
	s_movk_i32 s0, 0x7f
	s_mov_b64 s[8:9], 0
	s_waitcnt vmcnt(0)
	v_cmp_lt_i16_e32 vcc, s0, v4
	s_and_saveexec_b64 s[0:1], vcc
	s_xor_b64 s[0:1], exec, s[0:1]
	s_cbranch_execz .LBB356_188
; %bb.173:
	s_movk_i32 s8, 0x80
	v_cmp_ne_u16_e32 vcc, s8, v4
	s_and_b64 s[8:9], vcc, exec
	s_andn2_saveexec_b64 s[0:1], s[0:1]
	s_cbranch_execnz .LBB356_189
.LBB356_174:
	s_or_b64 exec, exec, s[0:1]
	v_mov_b32_e32 v3, 0
	s_and_saveexec_b64 s[0:1], s[8:9]
	s_cbranch_execz .LBB356_176
.LBB356_175:
	v_lshlrev_b32_e32 v3, 24, v4
	v_and_b32_e32 v4, 0xffff, v4
	v_and_b32_e32 v5, 7, v4
	v_ffbh_u32_e32 v7, v5
	v_min_u32_e32 v7, 32, v7
	v_subrev_u32_e32 v9, 28, v7
	v_bfe_u32 v6, v4, 3, 4
	v_lshlrev_b32_e32 v4, v9, v4
	v_sub_u32_e32 v7, 29, v7
	v_and_b32_e32 v4, 7, v4
	v_cmp_eq_u32_e32 vcc, 0, v6
	v_cndmask_b32_e32 v6, v6, v7, vcc
	v_cndmask_b32_e32 v4, v5, v4, vcc
	v_mov_b32_e32 v5, 0x3b800000
	v_lshlrev_b32_e32 v4, 20, v4
	v_and_b32_e32 v3, 0x80000000, v3
	v_lshl_add_u32 v5, v6, 23, v5
	v_or3_b32 v3, v3, v5, v4
	v_cvt_u32_f32_e32 v3, v3
.LBB356_176:
	s_or_b64 exec, exec, s[0:1]
.LBB356_177:
	s_mov_b64 s[0:1], -1
.LBB356_178:
	s_branch .LBB356_211
.LBB356_179:
	s_cmp_gt_i32 s10, 22
	s_cbranch_scc0 .LBB356_187
; %bb.180:
	s_cmp_lt_i32 s10, 24
	s_cbranch_scc1 .LBB356_190
; %bb.181:
	s_cmp_gt_i32 s10, 24
	s_cbranch_scc0 .LBB356_191
; %bb.182:
	global_load_ubyte v4, v[1:2], off
	s_movk_i32 s0, 0x7f
	s_mov_b64 s[8:9], 0
	s_waitcnt vmcnt(0)
	v_cmp_lt_i16_e32 vcc, s0, v4
	s_and_saveexec_b64 s[0:1], vcc
	s_xor_b64 s[0:1], exec, s[0:1]
	s_cbranch_execz .LBB356_203
; %bb.183:
	s_movk_i32 s8, 0x80
	v_cmp_ne_u16_e32 vcc, s8, v4
	s_and_b64 s[8:9], vcc, exec
	s_andn2_saveexec_b64 s[0:1], s[0:1]
	s_cbranch_execnz .LBB356_204
.LBB356_184:
	s_or_b64 exec, exec, s[0:1]
	v_mov_b32_e32 v3, 0
	s_and_saveexec_b64 s[0:1], s[8:9]
	s_cbranch_execz .LBB356_186
.LBB356_185:
	v_lshlrev_b32_e32 v3, 24, v4
	v_and_b32_e32 v4, 0xffff, v4
	v_and_b32_e32 v5, 3, v4
	v_ffbh_u32_e32 v7, v5
	v_min_u32_e32 v7, 32, v7
	v_subrev_u32_e32 v9, 29, v7
	v_bfe_u32 v6, v4, 2, 5
	v_lshlrev_b32_e32 v4, v9, v4
	v_sub_u32_e32 v7, 30, v7
	v_and_b32_e32 v4, 3, v4
	v_cmp_eq_u32_e32 vcc, 0, v6
	v_cndmask_b32_e32 v6, v6, v7, vcc
	v_cndmask_b32_e32 v4, v5, v4, vcc
	v_mov_b32_e32 v5, 0x37800000
	v_lshlrev_b32_e32 v4, 21, v4
	v_and_b32_e32 v3, 0x80000000, v3
	v_lshl_add_u32 v5, v6, 23, v5
	v_or3_b32 v3, v3, v5, v4
	v_cvt_u32_f32_e32 v3, v3
.LBB356_186:
	s_or_b64 exec, exec, s[0:1]
	s_mov_b64 s[0:1], 0
	s_branch .LBB356_192
.LBB356_187:
	s_mov_b64 s[8:9], -1
                                        ; implicit-def: $vgpr3
	s_branch .LBB356_198
.LBB356_188:
	s_andn2_saveexec_b64 s[0:1], s[0:1]
	s_cbranch_execz .LBB356_174
.LBB356_189:
	v_cmp_ne_u16_e32 vcc, 0, v4
	s_andn2_b64 s[8:9], s[8:9], exec
	s_and_b64 s[12:13], vcc, exec
	s_or_b64 s[8:9], s[8:9], s[12:13]
	s_or_b64 exec, exec, s[0:1]
	v_mov_b32_e32 v3, 0
	s_and_saveexec_b64 s[0:1], s[8:9]
	s_cbranch_execnz .LBB356_175
	s_branch .LBB356_176
.LBB356_190:
	s_mov_b64 s[0:1], -1
                                        ; implicit-def: $vgpr3
	s_branch .LBB356_195
.LBB356_191:
	s_mov_b64 s[0:1], -1
                                        ; implicit-def: $vgpr3
.LBB356_192:
	s_and_b64 vcc, exec, s[0:1]
	s_cbranch_vccz .LBB356_194
; %bb.193:
	global_load_ubyte v3, v[1:2], off
	s_mov_b32 s0, 0x7f800000
	s_waitcnt vmcnt(0)
	v_lshlrev_b32_e32 v3, 24, v3
	v_and_b32_e32 v4, 0x7f000000, v3
	v_ffbh_u32_e32 v5, v4
	v_min_u32_e32 v5, 32, v5
	v_sub_u32_e64 v5, v5, 4 clamp
	v_lshlrev_b32_e32 v7, v5, v4
	v_lshlrev_b32_e32 v5, 23, v5
	v_lshrrev_b32_e32 v7, 4, v7
	v_add_u32_e32 v6, 0x1000000, v4
	v_sub_u32_e32 v5, v7, v5
	v_ashrrev_i32_e32 v6, 8, v6
	v_add_u32_e32 v5, 0x3c000000, v5
	v_and_or_b32 v5, v6, s0, v5
	v_cmp_ne_u32_e32 vcc, 0, v4
	v_cndmask_b32_e32 v4, 0, v5, vcc
	s_brev_b32 s0, 1
	v_and_or_b32 v3, v3, s0, v4
	v_cvt_u32_f32_e32 v3, v3
.LBB356_194:
	s_mov_b64 s[0:1], 0
.LBB356_195:
	s_andn2_b64 vcc, exec, s[0:1]
	s_cbranch_vccnz .LBB356_197
; %bb.196:
	global_load_ubyte v3, v[1:2], off
	s_movk_i32 s0, 0x7f00
	s_brev_b32 s1, 16
	s_waitcnt vmcnt(0)
	v_lshlrev_b16_e32 v4, 8, v3
	v_lshlrev_b32_e32 v3, 25, v3
	v_lshrrev_b32_e32 v5, 4, v3
	v_and_or_b32 v6, v4, s0, 0.5
	v_or_b32_e32 v5, 0x70000000, v5
	v_add_f32_e32 v6, -0.5, v6
	v_mul_f32_e32 v5, 0x7800000, v5
	v_cmp_gt_u32_e32 vcc, s1, v3
	v_bfe_i32 v4, v4, 0, 16
	v_cndmask_b32_e32 v3, v5, v6, vcc
	s_brev_b32 s0, 1
	v_and_or_b32 v3, v4, s0, v3
	v_cvt_u32_f32_e32 v3, v3
.LBB356_197:
	s_mov_b64 s[8:9], 0
	s_mov_b64 s[0:1], -1
.LBB356_198:
	s_andn2_b64 vcc, exec, s[8:9]
	s_cbranch_vccnz .LBB356_211
; %bb.199:
	s_cmp_gt_i32 s10, 14
	s_cbranch_scc0 .LBB356_202
; %bb.200:
	s_cmp_eq_u32 s10, 15
	s_cbranch_scc0 .LBB356_205
; %bb.201:
	global_load_ushort v3, v[1:2], off
	s_mov_b64 s[0:1], -1
	s_mov_b64 s[2:3], 0
	s_waitcnt vmcnt(0)
	v_lshlrev_b32_e32 v3, 16, v3
	v_cvt_u32_f32_e32 v3, v3
	s_branch .LBB356_206
.LBB356_202:
	s_mov_b64 s[8:9], -1
                                        ; implicit-def: $vgpr3
	s_branch .LBB356_207
.LBB356_203:
	s_andn2_saveexec_b64 s[0:1], s[0:1]
	s_cbranch_execz .LBB356_184
.LBB356_204:
	v_cmp_ne_u16_e32 vcc, 0, v4
	s_andn2_b64 s[8:9], s[8:9], exec
	s_and_b64 s[12:13], vcc, exec
	s_or_b64 s[8:9], s[8:9], s[12:13]
	s_or_b64 exec, exec, s[0:1]
	v_mov_b32_e32 v3, 0
	s_and_saveexec_b64 s[0:1], s[8:9]
	s_cbranch_execnz .LBB356_185
	s_branch .LBB356_186
.LBB356_205:
	s_mov_b64 s[2:3], -1
                                        ; implicit-def: $vgpr3
.LBB356_206:
	s_mov_b64 s[8:9], 0
.LBB356_207:
	s_and_b64 vcc, exec, s[8:9]
	s_cbranch_vccz .LBB356_211
; %bb.208:
	s_cmp_eq_u32 s10, 11
	s_cbranch_scc0 .LBB356_210
; %bb.209:
	global_load_ubyte v3, v[1:2], off
	s_mov_b64 s[0:1], -1
	s_mov_b64 s[2:3], 0
	s_waitcnt vmcnt(0)
	v_cmp_ne_u16_e32 vcc, 0, v3
	v_cndmask_b32_e64 v3, 0, 1, vcc
	s_branch .LBB356_211
.LBB356_210:
	s_mov_b64 s[2:3], -1
                                        ; implicit-def: $vgpr3
.LBB356_211:
	s_branch .LBB356_24
.LBB356_212:
	s_cmp_lt_i32 s10, 5
	s_cbranch_scc1 .LBB356_217
; %bb.213:
	s_cmp_lt_i32 s10, 8
	s_cbranch_scc1 .LBB356_218
; %bb.214:
	;; [unrolled: 3-line block ×3, first 2 shown]
	s_cmp_gt_i32 s10, 9
	s_cbranch_scc0 .LBB356_220
; %bb.216:
	global_load_dwordx2 v[3:4], v[1:2], off
	s_mov_b64 s[0:1], 0
	s_waitcnt vmcnt(0)
	v_cvt_u32_f64_e32 v3, v[3:4]
	s_branch .LBB356_221
.LBB356_217:
                                        ; implicit-def: $vgpr3
	s_branch .LBB356_239
.LBB356_218:
	s_mov_b64 s[0:1], -1
                                        ; implicit-def: $vgpr3
	s_branch .LBB356_227
.LBB356_219:
	s_mov_b64 s[0:1], -1
                                        ; implicit-def: $vgpr3
	s_branch .LBB356_224
.LBB356_220:
	s_mov_b64 s[0:1], -1
                                        ; implicit-def: $vgpr3
.LBB356_221:
	s_andn2_b64 vcc, exec, s[0:1]
	s_cbranch_vccnz .LBB356_223
; %bb.222:
	global_load_dword v3, v[1:2], off
	s_waitcnt vmcnt(0)
	v_cvt_u32_f32_e32 v3, v3
.LBB356_223:
	s_mov_b64 s[0:1], 0
.LBB356_224:
	s_andn2_b64 vcc, exec, s[0:1]
	s_cbranch_vccnz .LBB356_226
; %bb.225:
	global_load_dword v3, v[1:2], off
	s_waitcnt vmcnt(0)
	v_cvt_f32_f16_e32 v3, v3
	v_cvt_u32_f32_e32 v3, v3
.LBB356_226:
	s_mov_b64 s[0:1], 0
.LBB356_227:
	s_andn2_b64 vcc, exec, s[0:1]
	s_cbranch_vccnz .LBB356_238
; %bb.228:
	s_cmp_lt_i32 s10, 6
	s_cbranch_scc1 .LBB356_231
; %bb.229:
	s_cmp_gt_i32 s10, 6
	s_cbranch_scc0 .LBB356_232
; %bb.230:
	global_load_dwordx2 v[3:4], v[1:2], off
	s_mov_b64 s[0:1], 0
	s_waitcnt vmcnt(0)
	v_cvt_u32_f64_e32 v3, v[3:4]
	s_branch .LBB356_233
.LBB356_231:
	s_mov_b64 s[0:1], -1
                                        ; implicit-def: $vgpr3
	s_branch .LBB356_236
.LBB356_232:
	s_mov_b64 s[0:1], -1
                                        ; implicit-def: $vgpr3
.LBB356_233:
	s_andn2_b64 vcc, exec, s[0:1]
	s_cbranch_vccnz .LBB356_235
; %bb.234:
	global_load_dword v3, v[1:2], off
	s_waitcnt vmcnt(0)
	v_cvt_u32_f32_e32 v3, v3
.LBB356_235:
	s_mov_b64 s[0:1], 0
.LBB356_236:
	s_andn2_b64 vcc, exec, s[0:1]
	s_cbranch_vccnz .LBB356_238
; %bb.237:
	global_load_ushort v3, v[1:2], off
	s_waitcnt vmcnt(0)
	v_cvt_f32_f16_e32 v3, v3
	v_cvt_u32_f32_e32 v3, v3
.LBB356_238:
	s_cbranch_execnz .LBB356_258
.LBB356_239:
	s_cmp_lt_i32 s10, 2
	s_cbranch_scc1 .LBB356_243
; %bb.240:
	s_cmp_lt_i32 s10, 3
	s_cbranch_scc1 .LBB356_244
; %bb.241:
	s_cmp_gt_i32 s10, 3
	s_cbranch_scc0 .LBB356_245
; %bb.242:
	global_load_dword v3, v[1:2], off
	s_mov_b64 s[0:1], 0
	s_branch .LBB356_246
.LBB356_243:
	s_mov_b64 s[0:1], -1
                                        ; implicit-def: $vgpr3
	s_branch .LBB356_252
.LBB356_244:
	s_mov_b64 s[0:1], -1
                                        ; implicit-def: $vgpr3
	s_branch .LBB356_249
.LBB356_245:
	s_mov_b64 s[0:1], -1
                                        ; implicit-def: $vgpr3
.LBB356_246:
	s_andn2_b64 vcc, exec, s[0:1]
	s_cbranch_vccnz .LBB356_248
; %bb.247:
	global_load_dword v3, v[1:2], off
.LBB356_248:
	s_mov_b64 s[0:1], 0
.LBB356_249:
	s_andn2_b64 vcc, exec, s[0:1]
	s_cbranch_vccnz .LBB356_251
; %bb.250:
	global_load_sshort v3, v[1:2], off
.LBB356_251:
	s_mov_b64 s[0:1], 0
.LBB356_252:
	s_andn2_b64 vcc, exec, s[0:1]
	s_cbranch_vccnz .LBB356_258
; %bb.253:
	s_cmp_gt_i32 s10, 0
	s_cbranch_scc0 .LBB356_255
; %bb.254:
	global_load_sbyte v3, v[1:2], off
	s_mov_b64 s[0:1], 0
	s_branch .LBB356_256
.LBB356_255:
	s_mov_b64 s[0:1], -1
                                        ; implicit-def: $vgpr3
.LBB356_256:
	s_andn2_b64 vcc, exec, s[0:1]
	s_cbranch_vccnz .LBB356_258
; %bb.257:
	global_load_ubyte v3, v[1:2], off
.LBB356_258:
	s_branch .LBB356_25
.LBB356_259:
	s_mov_b64 s[0:1], 0
.LBB356_260:
	s_mov_b64 s[8:9], 0
                                        ; implicit-def: $vgpr8
.LBB356_261:
	s_and_b64 s[56:57], s[0:1], exec
	s_and_b64 s[58:59], s[2:3], exec
	s_orn2_b64 s[2:3], s[8:9], exec
.LBB356_262:
	s_or_b64 exec, exec, s[60:61]
	s_mov_b64 s[10:11], 0
	s_mov_b64 s[0:1], 0
                                        ; implicit-def: $vgpr1_vgpr2
                                        ; implicit-def: $vgpr0
                                        ; implicit-def: $vgpr3
	s_and_saveexec_b64 s[60:61], s[2:3]
	s_cbranch_execz .LBB356_269
; %bb.263:
	v_cmp_gt_i32_e32 vcc, s74, v8
	s_mov_b64 s[0:1], -1
	s_mov_b64 s[62:63], s[58:59]
	s_mov_b64 s[64:65], s[56:57]
	s_and_saveexec_b64 s[66:67], vcc
	s_cbranch_execz .LBB356_534
; %bb.264:
	s_andn2_b64 vcc, exec, s[40:41]
	s_cbranch_vccnz .LBB356_272
; %bb.265:
	s_andn2_b64 vcc, exec, s[54:55]
	s_cbranch_vccnz .LBB356_273
; %bb.266:
	s_add_i32 s68, s79, 1
	s_cmp_eq_u32 s76, 2
	s_cbranch_scc1 .LBB356_274
; %bb.267:
	s_and_b32 s44, s68, 28
	v_mov_b32_e32 v2, 0
	s_mov_b32 s69, 0
	s_mov_b64 s[62:63], s[34:35]
	s_mov_b64 s[64:65], s[52:53]
	v_mov_b32_e32 v0, 0
	v_mov_b32_e32 v1, v8
.LBB356_268:                            ; =>This Inner Loop Header: Depth=1
	s_load_dwordx8 s[16:23], s[62:63], 0x4
	s_load_dwordx4 s[0:3], s[62:63], 0x24
	s_load_dwordx8 s[8:15], s[64:65], 0x0
	s_add_u32 s62, s62, 48
	s_addc_u32 s63, s63, 0
	s_waitcnt vmcnt(0) lgkmcnt(0)
	v_mul_hi_u32 v3, s17, v1
	s_add_i32 s69, s69, 4
	s_add_u32 s64, s64, 32
	s_addc_u32 s65, s65, 0
	v_add_u32_e32 v3, v1, v3
	v_lshrrev_b32_e32 v3, s18, v3
	v_mul_lo_u32 v4, v3, s16
	v_mul_hi_u32 v5, s20, v3
	s_cmp_eq_u32 s44, s69
	v_sub_u32_e32 v1, v1, v4
	v_add_u32_e32 v4, v3, v5
	v_mul_lo_u32 v5, v1, s8
	v_mul_lo_u32 v6, v1, s9
	v_lshrrev_b32_e32 v1, s21, v4
	v_mul_lo_u32 v4, v1, s19
	v_mul_hi_u32 v7, s23, v1
	v_sub_u32_e32 v3, v3, v4
	v_add_u32_e32 v4, v1, v7
	v_lshrrev_b32_e32 v4, s0, v4
	v_mul_hi_u32 v9, s2, v4
	v_mul_lo_u32 v10, v4, s22
	v_mul_lo_u32 v7, v3, s10
	;; [unrolled: 1-line block ×3, first 2 shown]
	v_sub_u32_e32 v10, v1, v10
	v_add_u32_e32 v1, v4, v9
	v_lshrrev_b32_e32 v1, s3, v1
	v_mul_lo_u32 v9, v1, s1
	v_mul_lo_u32 v11, v10, s12
	;; [unrolled: 1-line block ×3, first 2 shown]
	v_add3_u32 v0, v5, v0, v7
	v_sub_u32_e32 v4, v4, v9
	v_mul_lo_u32 v9, v4, s14
	v_mul_lo_u32 v4, v4, s15
	v_add3_u32 v2, v6, v2, v3
	v_add3_u32 v0, v11, v0, v9
	;; [unrolled: 1-line block ×3, first 2 shown]
	s_cbranch_scc0 .LBB356_268
	s_branch .LBB356_275
.LBB356_269:
	s_or_b64 exec, exec, s[60:61]
	s_mov_b64 s[2:3], 0
	s_and_saveexec_b64 s[8:9], s[58:59]
	s_cbranch_execnz .LBB356_902
.LBB356_270:
	s_or_b64 exec, exec, s[8:9]
	s_and_saveexec_b64 s[8:9], s[64:65]
	s_xor_b64 s[8:9], exec, s[8:9]
	s_cbranch_execz .LBB356_903
.LBB356_271:
	global_load_ubyte v3, v[1:2], off
	s_or_b64 s[0:1], s[0:1], exec
	s_waitcnt vmcnt(0)
	v_cmp_ne_u16_e32 vcc, 0, v3
	v_cndmask_b32_e64 v3, 0, 1, vcc
	s_or_b64 exec, exec, s[8:9]
	s_and_saveexec_b64 s[8:9], s[10:11]
	s_cbranch_execz .LBB356_949
	s_branch .LBB356_904
.LBB356_272:
                                        ; implicit-def: $vgpr0
                                        ; implicit-def: $vgpr2
	s_andn2_b64 vcc, exec, s[0:1]
	s_cbranch_vccz .LBB356_279
	s_branch .LBB356_281
.LBB356_273:
	v_mov_b32_e32 v0, 0
	v_mov_b32_e32 v2, 0
	s_branch .LBB356_278
.LBB356_274:
	s_mov_b32 s44, 0
	v_mov_b32_e32 v0, 0
	v_mov_b32_e32 v2, 0
	;; [unrolled: 1-line block ×3, first 2 shown]
.LBB356_275:
	s_and_b32 s8, s68, 3
	s_cmp_eq_u32 s8, 0
	s_cbranch_scc1 .LBB356_278
; %bb.276:
	s_lshl_b32 s0, s44, 3
	s_add_u32 s0, s34, s0
	s_addc_u32 s1, s35, 0
	s_add_u32 s0, s0, 0xc4
	s_addc_u32 s1, s1, 0
	s_mul_i32 s2, s44, 12
	s_add_u32 s2, s34, s2
	s_addc_u32 s3, s35, 0
.LBB356_277:                            ; =>This Inner Loop Header: Depth=1
	s_load_dwordx2 s[10:11], s[2:3], 0x4
	s_load_dword s9, s[2:3], 0xc
	s_load_dwordx2 s[12:13], s[0:1], 0x0
	s_add_u32 s2, s2, 12
	s_addc_u32 s3, s3, 0
	s_waitcnt vmcnt(0) lgkmcnt(0)
	v_mul_hi_u32 v3, s11, v1
	s_add_u32 s0, s0, 8
	s_addc_u32 s1, s1, 0
	s_add_i32 s8, s8, -1
	v_add_u32_e32 v3, v1, v3
	v_lshrrev_b32_e32 v4, s9, v3
	v_mul_lo_u32 v3, v4, s10
	s_cmp_lg_u32 s8, 0
	v_sub_u32_e32 v3, v1, v3
	v_mad_u64_u32 v[0:1], s[10:11], v3, s12, v[0:1]
	v_mad_u64_u32 v[2:3], s[10:11], v3, s13, v[2:3]
	v_mov_b32_e32 v1, v4
	s_cbranch_scc1 .LBB356_277
.LBB356_278:
	s_cbranch_execnz .LBB356_281
.LBB356_279:
	v_mul_hi_u32 v0, s29, v8
	s_andn2_b64 vcc, exec, s[50:51]
	v_add_u32_e32 v0, v8, v0
	v_lshrrev_b32_e32 v1, s30, v0
	v_mul_lo_u32 v0, v1, s28
	v_sub_u32_e32 v2, v8, v0
	v_mul_lo_u32 v0, v2, s36
	v_mul_lo_u32 v2, v2, s37
	s_cbranch_vccnz .LBB356_281
; %bb.280:
	s_waitcnt vmcnt(0)
	v_mul_hi_u32 v3, s48, v1
	v_add_u32_e32 v3, v1, v3
	v_lshrrev_b32_e32 v3, s49, v3
	v_mul_lo_u32 v3, v3, s31
	v_sub_u32_e32 v3, v1, v3
	v_mad_u64_u32 v[0:1], s[0:1], v3, s38, v[0:1]
	v_mad_u64_u32 v[2:3], s[0:1], v3, s39, v[2:3]
.LBB356_281:
	s_waitcnt vmcnt(0)
	v_mov_b32_e32 v3, s27
	s_and_b32 s10, 0xffff, s78
	v_add_co_u32_e32 v1, vcc, s26, v2
	s_cmp_lt_i32 s10, 11
	v_addc_co_u32_e32 v2, vcc, 0, v3, vcc
	s_cbranch_scc1 .LBB356_288
; %bb.282:
	s_cmp_gt_i32 s10, 25
	s_cbranch_scc0 .LBB356_297
; %bb.283:
	s_cmp_gt_i32 s10, 28
	s_cbranch_scc0 .LBB356_299
	;; [unrolled: 3-line block ×4, first 2 shown]
; %bb.286:
	s_cmp_eq_u32 s10, 46
	s_mov_b64 s[8:9], 0
	s_cbranch_scc0 .LBB356_309
; %bb.287:
	global_load_dword v3, v[1:2], off
	s_mov_b64 s[0:1], -1
	s_mov_b64 s[2:3], 0
	s_waitcnt vmcnt(0)
	v_lshlrev_b32_e32 v3, 16, v3
	v_cvt_u32_f32_e32 v3, v3
	s_branch .LBB356_310
.LBB356_288:
	s_mov_b64 s[0:1], 0
                                        ; implicit-def: $vgpr3
	s_mov_b64 s[2:3], s[58:59]
	s_cbranch_execnz .LBB356_483
.LBB356_289:
	s_andn2_b64 vcc, exec, s[0:1]
	s_cbranch_vccnz .LBB356_531
.LBB356_290:
	s_waitcnt vmcnt(0)
	v_cmp_ne_u32_e32 vcc, s45, v3
	s_xor_b64 s[8:9], s[46:47], vcc
	v_mov_b32_e32 v1, s25
	s_and_b32 s16, s77, 0xff
	v_add_co_u32_e32 v0, vcc, s24, v0
	s_cmp_lt_i32 s16, 11
	v_addc_co_u32_e32 v1, vcc, 0, v1, vcc
	s_cbranch_scc1 .LBB356_298
; %bb.291:
	s_and_b32 s17, 0xffff, s16
	s_cmp_gt_i32 s17, 25
	s_cbranch_scc0 .LBB356_300
; %bb.292:
	s_cmp_gt_i32 s17, 28
	s_cbranch_scc0 .LBB356_302
; %bb.293:
	;; [unrolled: 3-line block ×4, first 2 shown]
	s_mov_b64 s[12:13], 0
	s_mov_b64 s[0:1], -1
	s_cmp_eq_u32 s17, 46
	s_mov_b64 s[10:11], 0
	s_cbranch_scc0 .LBB356_314
; %bb.296:
	v_cndmask_b32_e64 v2, 0, 1.0, s[8:9]
	v_bfe_u32 v3, v2, 16, 1
	s_movk_i32 s0, 0x7fff
	v_add3_u32 v2, v2, v3, s0
	v_lshrrev_b32_e32 v2, 16, v2
	global_store_dword v[0:1], v2, off
	s_mov_b64 s[10:11], -1
	s_mov_b64 s[0:1], 0
	s_branch .LBB356_314
.LBB356_297:
	s_mov_b64 s[8:9], -1
	s_mov_b64 s[0:1], 0
	s_mov_b64 s[2:3], s[58:59]
                                        ; implicit-def: $vgpr3
	s_branch .LBB356_449
.LBB356_298:
	s_mov_b64 s[12:13], -1
	s_mov_b64 s[10:11], 0
	s_mov_b64 s[0:1], s[56:57]
	s_branch .LBB356_383
.LBB356_299:
	s_mov_b64 s[8:9], -1
	s_mov_b64 s[0:1], 0
	s_mov_b64 s[2:3], s[58:59]
                                        ; implicit-def: $vgpr3
	s_branch .LBB356_432
.LBB356_300:
	s_mov_b64 s[12:13], -1
	s_mov_b64 s[10:11], 0
	s_mov_b64 s[0:1], s[56:57]
	s_branch .LBB356_341
.LBB356_301:
	s_mov_b64 s[8:9], -1
	s_mov_b64 s[0:1], 0
	s_mov_b64 s[2:3], s[58:59]
                                        ; implicit-def: $vgpr3
	s_branch .LBB356_427
.LBB356_302:
	s_mov_b64 s[12:13], -1
	s_mov_b64 s[10:11], 0
	s_mov_b64 s[0:1], s[56:57]
	s_branch .LBB356_324
.LBB356_303:
	s_andn2_saveexec_b64 s[14:15], s[14:15]
	s_cbranch_execz .LBB356_68
.LBB356_304:
	v_add_f32_e32 v2, 0x46000000, v3
	v_and_b32_e32 v2, 0xff, v2
	v_cmp_ne_u32_e32 vcc, 0, v2
	s_andn2_b64 s[12:13], s[12:13], exec
	s_and_b64 s[18:19], vcc, exec
	s_or_b64 s[12:13], s[12:13], s[18:19]
	s_or_b64 exec, exec, s[14:15]
	v_mov_b32_e32 v4, 0
	s_and_saveexec_b64 s[14:15], s[12:13]
	s_cbranch_execnz .LBB356_69
	s_branch .LBB356_70
.LBB356_305:
	s_mov_b64 s[8:9], -1
	s_mov_b64 s[0:1], 0
	s_mov_b64 s[2:3], s[58:59]
                                        ; implicit-def: $vgpr3
	s_branch .LBB356_310
.LBB356_306:
	s_mov_b64 s[12:13], -1
	s_mov_b64 s[10:11], 0
	s_mov_b64 s[0:1], s[56:57]
	s_branch .LBB356_320
.LBB356_307:
	s_andn2_saveexec_b64 s[14:15], s[14:15]
	s_cbranch_execz .LBB356_81
.LBB356_308:
	v_add_f32_e32 v2, 0x42800000, v3
	v_and_b32_e32 v2, 0xff, v2
	v_cmp_ne_u32_e32 vcc, 0, v2
	s_andn2_b64 s[12:13], s[12:13], exec
	s_and_b64 s[18:19], vcc, exec
	s_or_b64 s[12:13], s[12:13], s[18:19]
	s_or_b64 exec, exec, s[14:15]
	v_mov_b32_e32 v4, 0
	s_and_saveexec_b64 s[14:15], s[12:13]
	s_cbranch_execnz .LBB356_82
	s_branch .LBB356_83
.LBB356_309:
	s_mov_b64 s[2:3], -1
                                        ; implicit-def: $vgpr3
	s_mov_b64 s[0:1], 0
.LBB356_310:
	s_and_b64 vcc, exec, s[8:9]
	s_cbranch_vccz .LBB356_426
; %bb.311:
	s_cmp_eq_u32 s10, 44
	s_cbranch_scc0 .LBB356_425
; %bb.312:
	global_load_ubyte v3, v[1:2], off
	s_mov_b64 s[0:1], -1
	s_mov_b64 s[2:3], 0
	s_waitcnt vmcnt(0)
	v_lshlrev_b32_e32 v4, 23, v3
	v_cvt_u32_f32_e32 v4, v4
	v_cmp_ne_u32_e32 vcc, 0, v3
	v_cndmask_b32_e32 v3, 0, v4, vcc
	s_branch .LBB356_426
.LBB356_313:
	s_mov_b64 s[12:13], -1
	s_mov_b64 s[10:11], 0
	s_mov_b64 s[0:1], s[56:57]
.LBB356_314:
	s_and_b64 vcc, exec, s[12:13]
	s_cbranch_vccz .LBB356_319
; %bb.315:
	s_cmp_eq_u32 s17, 44
	s_mov_b64 s[0:1], -1
	s_cbranch_scc0 .LBB356_319
; %bb.316:
	v_cndmask_b32_e64 v3, 0, 1.0, s[8:9]
	v_lshrrev_b32_e32 v2, 23, v3
	s_movk_i32 s0, 0xff
	v_cmp_ne_u32_e32 vcc, s0, v2
	v_mov_b32_e32 v4, 0xff
	s_and_saveexec_b64 s[10:11], vcc
; %bb.317:
	s_mov_b32 s0, 0x3fffff
	v_and_b32_e32 v4, 0x400000, v3
	v_and_or_b32 v3, v3, s0, v2
	v_cmp_ne_u32_e32 vcc, 0, v4
	v_cmp_ne_u32_e64 s[0:1], 0, v3
	s_and_b64 s[0:1], vcc, s[0:1]
	v_cndmask_b32_e64 v3, 0, 1, s[0:1]
	v_add_u32_e32 v4, v2, v3
; %bb.318:
	s_or_b64 exec, exec, s[10:11]
	s_mov_b64 s[10:11], -1
	s_mov_b64 s[0:1], 0
	global_store_byte v[0:1], v4, off
.LBB356_319:
	s_mov_b64 s[12:13], 0
.LBB356_320:
	s_and_b64 vcc, exec, s[12:13]
	s_cbranch_vccz .LBB356_323
; %bb.321:
	s_cmp_eq_u32 s17, 29
	s_mov_b64 s[0:1], -1
	s_cbranch_scc0 .LBB356_323
; %bb.322:
	s_mov_b32 s0, 0
	v_cndmask_b32_e64 v2, 0, 1, s[8:9]
	v_mov_b32_e32 v3, s0
	global_store_dwordx2 v[0:1], v[2:3], off
	s_mov_b64 s[10:11], -1
	s_mov_b64 s[0:1], 0
.LBB356_323:
	s_mov_b64 s[12:13], 0
.LBB356_324:
	s_and_b64 vcc, exec, s[12:13]
	s_cbranch_vccz .LBB356_340
; %bb.325:
	s_cmp_lt_i32 s17, 27
	s_mov_b64 s[10:11], -1
	s_cbranch_scc1 .LBB356_331
; %bb.326:
	s_cmp_gt_i32 s17, 27
	s_cbranch_scc0 .LBB356_328
; %bb.327:
	v_cndmask_b32_e64 v2, 0, 1, s[8:9]
	s_mov_b64 s[10:11], 0
	global_store_dword v[0:1], v2, off
.LBB356_328:
	s_andn2_b64 vcc, exec, s[10:11]
	s_cbranch_vccnz .LBB356_330
; %bb.329:
	v_cndmask_b32_e64 v2, 0, 1, s[8:9]
	global_store_short v[0:1], v2, off
.LBB356_330:
	s_mov_b64 s[10:11], 0
.LBB356_331:
	s_andn2_b64 vcc, exec, s[10:11]
	s_cbranch_vccnz .LBB356_339
; %bb.332:
	v_cndmask_b32_e64 v3, 0, 1.0, s[8:9]
	s_mov_b32 s10, 0x43800000
	v_cmp_gt_u32_e32 vcc, s10, v3
	v_mov_b32_e32 v4, 0x80
	s_and_saveexec_b64 s[10:11], vcc
	s_cbranch_execz .LBB356_338
; %bb.333:
	s_mov_b32 s12, 0x3bffffff
	v_cmp_lt_u32_e32 vcc, s12, v3
	s_mov_b64 s[12:13], 0
                                        ; implicit-def: $vgpr2
	s_and_saveexec_b64 s[14:15], vcc
	s_xor_b64 s[14:15], exec, s[14:15]
	s_cbranch_execz .LBB356_562
; %bb.334:
	v_bfe_u32 v2, v3, 20, 1
	s_mov_b32 s18, 0x487ffff
	v_add3_u32 v2, v3, v2, s18
	s_mov_b64 s[12:13], exec
	v_lshrrev_b32_e32 v2, 20, v2
                                        ; implicit-def: $vgpr3
	s_andn2_saveexec_b64 s[14:15], s[14:15]
	s_cbranch_execnz .LBB356_563
.LBB356_335:
	s_or_b64 exec, exec, s[14:15]
	v_mov_b32_e32 v4, 0
	s_and_saveexec_b64 s[14:15], s[12:13]
.LBB356_336:
	v_mov_b32_e32 v4, v2
.LBB356_337:
	s_or_b64 exec, exec, s[14:15]
.LBB356_338:
	s_or_b64 exec, exec, s[10:11]
	global_store_byte v[0:1], v4, off
.LBB356_339:
	s_mov_b64 s[10:11], -1
.LBB356_340:
	s_mov_b64 s[12:13], 0
.LBB356_341:
	s_and_b64 vcc, exec, s[12:13]
	s_cbranch_vccz .LBB356_382
; %bb.342:
	s_cmp_gt_i32 s17, 22
	s_mov_b64 s[12:13], -1
	s_cbranch_scc0 .LBB356_374
; %bb.343:
	s_cmp_lt_i32 s17, 24
	s_mov_b64 s[10:11], -1
	s_cbranch_scc1 .LBB356_363
; %bb.344:
	s_cmp_gt_i32 s17, 24
	s_cbranch_scc0 .LBB356_352
; %bb.345:
	v_cndmask_b32_e64 v3, 0, 1.0, s[8:9]
	s_mov_b32 s10, 0x47800000
	v_cmp_gt_u32_e32 vcc, s10, v3
	v_mov_b32_e32 v4, 0x80
	s_and_saveexec_b64 s[10:11], vcc
	s_cbranch_execz .LBB356_351
; %bb.346:
	s_mov_b32 s12, 0x37ffffff
	v_cmp_lt_u32_e32 vcc, s12, v3
	s_mov_b64 s[12:13], 0
                                        ; implicit-def: $vgpr2
	s_and_saveexec_b64 s[14:15], vcc
	s_xor_b64 s[14:15], exec, s[14:15]
	s_cbranch_execz .LBB356_565
; %bb.347:
	v_bfe_u32 v2, v3, 21, 1
	s_mov_b32 s18, 0x88fffff
	v_add3_u32 v2, v3, v2, s18
	s_mov_b64 s[12:13], exec
	v_lshrrev_b32_e32 v2, 21, v2
                                        ; implicit-def: $vgpr3
	s_andn2_saveexec_b64 s[14:15], s[14:15]
	s_cbranch_execnz .LBB356_566
.LBB356_348:
	s_or_b64 exec, exec, s[14:15]
	v_mov_b32_e32 v4, 0
	s_and_saveexec_b64 s[14:15], s[12:13]
.LBB356_349:
	v_mov_b32_e32 v4, v2
.LBB356_350:
	s_or_b64 exec, exec, s[14:15]
.LBB356_351:
	s_or_b64 exec, exec, s[10:11]
	s_mov_b64 s[10:11], 0
	global_store_byte v[0:1], v4, off
.LBB356_352:
	s_and_b64 vcc, exec, s[10:11]
	s_cbranch_vccz .LBB356_362
; %bb.353:
	v_cndmask_b32_e64 v2, 0, 1.0, s[8:9]
	s_mov_b32 s10, 0x43f00000
	v_cmp_gt_u32_e32 vcc, s10, v2
                                        ; implicit-def: $vgpr3
	s_and_saveexec_b64 s[10:11], vcc
	s_xor_b64 s[10:11], exec, s[10:11]
	s_cbranch_execz .LBB356_359
; %bb.354:
	s_mov_b32 s12, 0x3c7fffff
	v_cmp_lt_u32_e32 vcc, s12, v2
                                        ; implicit-def: $vgpr3
	s_and_saveexec_b64 s[12:13], vcc
	s_xor_b64 s[12:13], exec, s[12:13]
; %bb.355:
	v_bfe_u32 v3, v2, 20, 1
	s_mov_b32 s14, 0x407ffff
	v_add3_u32 v2, v2, v3, s14
	v_lshrrev_b32_e32 v3, 20, v2
	v_and_b32_e32 v2, 0xff00000, v2
	s_mov_b32 s14, 0x7f00000
	v_mov_b32_e32 v4, 0x7e
	v_cmp_ne_u32_e32 vcc, s14, v2
	v_cndmask_b32_e32 v3, v4, v3, vcc
                                        ; implicit-def: $vgpr2
; %bb.356:
	s_andn2_saveexec_b64 s[12:13], s[12:13]
; %bb.357:
	v_add_f32_e32 v3, 0x46800000, v2
; %bb.358:
	s_or_b64 exec, exec, s[12:13]
                                        ; implicit-def: $vgpr2
.LBB356_359:
	s_andn2_saveexec_b64 s[10:11], s[10:11]
; %bb.360:
	s_mov_b32 s12, 0x7f800000
	v_mov_b32_e32 v3, 0x7e
	v_mov_b32_e32 v4, 0x7f
	v_cmp_lt_u32_e32 vcc, s12, v2
	v_cndmask_b32_e32 v3, v3, v4, vcc
; %bb.361:
	s_or_b64 exec, exec, s[10:11]
	global_store_byte v[0:1], v3, off
.LBB356_362:
	s_mov_b64 s[10:11], 0
.LBB356_363:
	s_andn2_b64 vcc, exec, s[10:11]
	s_cbranch_vccnz .LBB356_373
; %bb.364:
	v_cndmask_b32_e64 v2, 0, 1.0, s[8:9]
	s_mov_b32 s10, 0x47800000
	v_cmp_gt_u32_e32 vcc, s10, v2
                                        ; implicit-def: $vgpr3
	s_and_saveexec_b64 s[10:11], vcc
	s_xor_b64 s[10:11], exec, s[10:11]
	s_cbranch_execz .LBB356_370
; %bb.365:
	s_mov_b32 s12, 0x387fffff
	v_cmp_lt_u32_e32 vcc, s12, v2
                                        ; implicit-def: $vgpr3
	s_and_saveexec_b64 s[12:13], vcc
	s_xor_b64 s[12:13], exec, s[12:13]
; %bb.366:
	v_bfe_u32 v3, v2, 21, 1
	s_mov_b32 s14, 0x80fffff
	v_add3_u32 v2, v2, v3, s14
	v_lshrrev_b32_e32 v3, 21, v2
                                        ; implicit-def: $vgpr2
; %bb.367:
	s_andn2_saveexec_b64 s[12:13], s[12:13]
; %bb.368:
	v_add_f32_e32 v3, 0x43000000, v2
; %bb.369:
	s_or_b64 exec, exec, s[12:13]
                                        ; implicit-def: $vgpr2
.LBB356_370:
	s_andn2_saveexec_b64 s[10:11], s[10:11]
; %bb.371:
	s_mov_b32 s12, 0x7f800000
	v_mov_b32_e32 v3, 0x7c
	v_mov_b32_e32 v4, 0x7f
	v_cmp_lt_u32_e32 vcc, s12, v2
	v_cndmask_b32_e32 v3, v3, v4, vcc
; %bb.372:
	s_or_b64 exec, exec, s[10:11]
	global_store_byte v[0:1], v3, off
.LBB356_373:
	s_mov_b64 s[12:13], 0
	s_mov_b64 s[10:11], -1
.LBB356_374:
	s_andn2_b64 vcc, exec, s[12:13]
	s_cbranch_vccnz .LBB356_382
; %bb.375:
	s_cmp_gt_i32 s17, 14
	s_mov_b64 s[12:13], -1
	s_cbranch_scc0 .LBB356_379
; %bb.376:
	s_cmp_eq_u32 s17, 15
	s_mov_b64 s[0:1], -1
	s_cbranch_scc0 .LBB356_378
; %bb.377:
	v_cndmask_b32_e64 v2, 0, 1.0, s[8:9]
	v_bfe_u32 v3, v2, 16, 1
	s_movk_i32 s0, 0x7fff
	v_add3_u32 v2, v2, v3, s0
	global_store_short_d16_hi v[0:1], v2, off
	s_mov_b64 s[10:11], -1
	s_mov_b64 s[0:1], 0
.LBB356_378:
	s_mov_b64 s[12:13], 0
.LBB356_379:
	s_and_b64 vcc, exec, s[12:13]
	s_cbranch_vccz .LBB356_382
; %bb.380:
	s_cmp_eq_u32 s17, 11
	s_mov_b64 s[0:1], -1
	s_cbranch_scc0 .LBB356_382
; %bb.381:
	v_cndmask_b32_e64 v2, 0, 1, s[8:9]
	s_mov_b64 s[10:11], -1
	s_mov_b64 s[0:1], 0
	global_store_byte v[0:1], v2, off
.LBB356_382:
	s_mov_b64 s[12:13], 0
.LBB356_383:
	s_and_b64 vcc, exec, s[12:13]
	s_cbranch_vccz .LBB356_422
; %bb.384:
	s_and_b32 s12, 0xffff, s16
	s_cmp_lt_i32 s12, 5
	s_mov_b64 s[10:11], -1
	s_cbranch_scc1 .LBB356_405
; %bb.385:
	s_cmp_lt_i32 s12, 8
	s_cbranch_scc1 .LBB356_395
; %bb.386:
	s_cmp_lt_i32 s12, 9
	s_cbranch_scc1 .LBB356_392
; %bb.387:
	s_cmp_gt_i32 s12, 9
	s_cbranch_scc0 .LBB356_389
; %bb.388:
	v_cndmask_b32_e64 v2, 0, 1, s[8:9]
	v_cvt_f64_u32_e32 v[2:3], v2
	v_mov_b32_e32 v4, 0
	v_mov_b32_e32 v5, v4
	s_mov_b64 s[10:11], 0
	global_store_dwordx4 v[0:1], v[2:5], off
.LBB356_389:
	s_andn2_b64 vcc, exec, s[10:11]
	s_cbranch_vccnz .LBB356_391
; %bb.390:
	v_cndmask_b32_e64 v2, 0, 1.0, s[8:9]
	v_mov_b32_e32 v3, 0
	global_store_dwordx2 v[0:1], v[2:3], off
.LBB356_391:
	s_mov_b64 s[10:11], 0
.LBB356_392:
	s_andn2_b64 vcc, exec, s[10:11]
	s_cbranch_vccnz .LBB356_394
; %bb.393:
	v_cndmask_b32_e64 v2, 0, 1.0, s[8:9]
	v_cvt_f16_f32_e32 v2, v2
	global_store_dword v[0:1], v2, off
.LBB356_394:
	s_mov_b64 s[10:11], 0
.LBB356_395:
	s_andn2_b64 vcc, exec, s[10:11]
	s_cbranch_vccnz .LBB356_404
; %bb.396:
	s_cmp_lt_i32 s12, 6
	s_mov_b64 s[10:11], -1
	s_cbranch_scc1 .LBB356_402
; %bb.397:
	s_cmp_gt_i32 s12, 6
	s_cbranch_scc0 .LBB356_399
; %bb.398:
	v_cndmask_b32_e64 v2, 0, 1, s[8:9]
	v_cvt_f64_u32_e32 v[2:3], v2
	s_mov_b64 s[10:11], 0
	global_store_dwordx2 v[0:1], v[2:3], off
.LBB356_399:
	s_andn2_b64 vcc, exec, s[10:11]
	s_cbranch_vccnz .LBB356_401
; %bb.400:
	v_cndmask_b32_e64 v2, 0, 1.0, s[8:9]
	global_store_dword v[0:1], v2, off
.LBB356_401:
	s_mov_b64 s[10:11], 0
.LBB356_402:
	s_andn2_b64 vcc, exec, s[10:11]
	s_cbranch_vccnz .LBB356_404
; %bb.403:
	v_cndmask_b32_e64 v2, 0, 1.0, s[8:9]
	v_cvt_f16_f32_e32 v2, v2
	global_store_short v[0:1], v2, off
.LBB356_404:
	s_mov_b64 s[10:11], 0
.LBB356_405:
	s_andn2_b64 vcc, exec, s[10:11]
	s_cbranch_vccnz .LBB356_421
; %bb.406:
	s_cmp_lt_i32 s12, 2
	s_mov_b64 s[10:11], -1
	s_cbranch_scc1 .LBB356_416
; %bb.407:
	s_cmp_lt_i32 s12, 3
	s_cbranch_scc1 .LBB356_413
; %bb.408:
	s_cmp_gt_i32 s12, 3
	s_cbranch_scc0 .LBB356_410
; %bb.409:
	s_mov_b32 s10, 0
	v_cndmask_b32_e64 v2, 0, 1, s[8:9]
	v_mov_b32_e32 v3, s10
	s_mov_b64 s[10:11], 0
	global_store_dwordx2 v[0:1], v[2:3], off
.LBB356_410:
	s_andn2_b64 vcc, exec, s[10:11]
	s_cbranch_vccnz .LBB356_412
; %bb.411:
	v_cndmask_b32_e64 v2, 0, 1, s[8:9]
	global_store_dword v[0:1], v2, off
.LBB356_412:
	s_mov_b64 s[10:11], 0
.LBB356_413:
	s_andn2_b64 vcc, exec, s[10:11]
	s_cbranch_vccnz .LBB356_415
; %bb.414:
	v_cndmask_b32_e64 v2, 0, 1, s[8:9]
	global_store_short v[0:1], v2, off
.LBB356_415:
	s_mov_b64 s[10:11], 0
.LBB356_416:
	s_andn2_b64 vcc, exec, s[10:11]
	s_cbranch_vccnz .LBB356_421
; %bb.417:
	s_mov_b64 s[10:11], -1
	s_cmp_gt_i32 s12, 0
	v_cndmask_b32_e64 v2, 0, 1, s[8:9]
	s_cbranch_scc0 .LBB356_419
; %bb.418:
	s_mov_b64 s[10:11], 0
	global_store_byte v[0:1], v2, off
.LBB356_419:
	s_andn2_b64 vcc, exec, s[10:11]
	s_cbranch_vccnz .LBB356_421
; %bb.420:
	global_store_byte v[0:1], v2, off
.LBB356_421:
	s_mov_b64 s[10:11], -1
.LBB356_422:
	s_andn2_b64 vcc, exec, s[10:11]
	s_cbranch_vccnz .LBB356_424
; %bb.423:
	v_add_u32_e32 v8, 0x80, v8
	s_mov_b64 s[8:9], -1
	s_branch .LBB356_533
.LBB356_424:
	s_mov_b64 s[8:9], 0
	s_branch .LBB356_532
.LBB356_425:
	s_mov_b64 s[2:3], -1
                                        ; implicit-def: $vgpr3
.LBB356_426:
	s_mov_b64 s[8:9], 0
.LBB356_427:
	s_and_b64 vcc, exec, s[8:9]
	s_cbranch_vccz .LBB356_431
; %bb.428:
	s_cmp_eq_u32 s10, 29
	s_cbranch_scc0 .LBB356_430
; %bb.429:
	global_load_dword v3, v[1:2], off
	s_mov_b64 s[0:1], -1
	s_mov_b64 s[2:3], 0
	s_branch .LBB356_431
.LBB356_430:
	s_mov_b64 s[2:3], -1
                                        ; implicit-def: $vgpr3
.LBB356_431:
	s_mov_b64 s[8:9], 0
.LBB356_432:
	s_and_b64 vcc, exec, s[8:9]
	s_cbranch_vccz .LBB356_448
; %bb.433:
	s_cmp_lt_i32 s10, 27
	s_cbranch_scc1 .LBB356_436
; %bb.434:
	s_cmp_gt_i32 s10, 27
	s_cbranch_scc0 .LBB356_437
; %bb.435:
	global_load_dword v3, v[1:2], off
	s_mov_b64 s[0:1], 0
	s_branch .LBB356_438
.LBB356_436:
	s_mov_b64 s[0:1], -1
                                        ; implicit-def: $vgpr3
	s_branch .LBB356_441
.LBB356_437:
	s_mov_b64 s[0:1], -1
                                        ; implicit-def: $vgpr3
.LBB356_438:
	s_andn2_b64 vcc, exec, s[0:1]
	s_cbranch_vccnz .LBB356_440
; %bb.439:
	global_load_ushort v3, v[1:2], off
.LBB356_440:
	s_mov_b64 s[0:1], 0
.LBB356_441:
	s_andn2_b64 vcc, exec, s[0:1]
	s_cbranch_vccnz .LBB356_447
; %bb.442:
	global_load_ubyte v4, v[1:2], off
	s_movk_i32 s0, 0x7f
	s_mov_b64 s[8:9], 0
	s_waitcnt vmcnt(0)
	v_cmp_lt_i16_e32 vcc, s0, v4
	s_and_saveexec_b64 s[0:1], vcc
	s_xor_b64 s[0:1], exec, s[0:1]
	s_cbranch_execz .LBB356_459
; %bb.443:
	s_movk_i32 s8, 0x80
	v_cmp_ne_u16_e32 vcc, s8, v4
	s_and_b64 s[8:9], vcc, exec
	s_andn2_saveexec_b64 s[0:1], s[0:1]
	s_cbranch_execnz .LBB356_460
.LBB356_444:
	s_or_b64 exec, exec, s[0:1]
	v_mov_b32_e32 v3, 0
	s_and_saveexec_b64 s[0:1], s[8:9]
	s_cbranch_execz .LBB356_446
.LBB356_445:
	v_lshlrev_b32_e32 v3, 24, v4
	v_and_b32_e32 v4, 0xffff, v4
	v_and_b32_e32 v5, 7, v4
	v_ffbh_u32_e32 v7, v5
	v_min_u32_e32 v7, 32, v7
	v_subrev_u32_e32 v9, 28, v7
	v_bfe_u32 v6, v4, 3, 4
	v_lshlrev_b32_e32 v4, v9, v4
	v_sub_u32_e32 v7, 29, v7
	v_and_b32_e32 v4, 7, v4
	v_cmp_eq_u32_e32 vcc, 0, v6
	v_cndmask_b32_e32 v6, v6, v7, vcc
	v_cndmask_b32_e32 v4, v5, v4, vcc
	v_mov_b32_e32 v5, 0x3b800000
	v_lshlrev_b32_e32 v4, 20, v4
	v_and_b32_e32 v3, 0x80000000, v3
	v_lshl_add_u32 v5, v6, 23, v5
	v_or3_b32 v3, v3, v5, v4
	v_cvt_u32_f32_e32 v3, v3
.LBB356_446:
	s_or_b64 exec, exec, s[0:1]
.LBB356_447:
	s_mov_b64 s[0:1], -1
.LBB356_448:
	s_mov_b64 s[8:9], 0
.LBB356_449:
	s_and_b64 vcc, exec, s[8:9]
	s_cbranch_vccz .LBB356_482
; %bb.450:
	s_cmp_gt_i32 s10, 22
	s_cbranch_scc0 .LBB356_458
; %bb.451:
	s_cmp_lt_i32 s10, 24
	s_cbranch_scc1 .LBB356_461
; %bb.452:
	s_cmp_gt_i32 s10, 24
	s_cbranch_scc0 .LBB356_462
; %bb.453:
	global_load_ubyte v4, v[1:2], off
	s_movk_i32 s0, 0x7f
	s_mov_b64 s[8:9], 0
	s_waitcnt vmcnt(0)
	v_cmp_lt_i16_e32 vcc, s0, v4
	s_and_saveexec_b64 s[0:1], vcc
	s_xor_b64 s[0:1], exec, s[0:1]
	s_cbranch_execz .LBB356_474
; %bb.454:
	s_movk_i32 s8, 0x80
	v_cmp_ne_u16_e32 vcc, s8, v4
	s_and_b64 s[8:9], vcc, exec
	s_andn2_saveexec_b64 s[0:1], s[0:1]
	s_cbranch_execnz .LBB356_475
.LBB356_455:
	s_or_b64 exec, exec, s[0:1]
	v_mov_b32_e32 v3, 0
	s_and_saveexec_b64 s[0:1], s[8:9]
	s_cbranch_execz .LBB356_457
.LBB356_456:
	v_lshlrev_b32_e32 v3, 24, v4
	v_and_b32_e32 v4, 0xffff, v4
	v_and_b32_e32 v5, 3, v4
	v_ffbh_u32_e32 v7, v5
	v_min_u32_e32 v7, 32, v7
	v_subrev_u32_e32 v9, 29, v7
	v_bfe_u32 v6, v4, 2, 5
	v_lshlrev_b32_e32 v4, v9, v4
	v_sub_u32_e32 v7, 30, v7
	v_and_b32_e32 v4, 3, v4
	v_cmp_eq_u32_e32 vcc, 0, v6
	v_cndmask_b32_e32 v6, v6, v7, vcc
	v_cndmask_b32_e32 v4, v5, v4, vcc
	v_mov_b32_e32 v5, 0x37800000
	v_lshlrev_b32_e32 v4, 21, v4
	v_and_b32_e32 v3, 0x80000000, v3
	v_lshl_add_u32 v5, v6, 23, v5
	v_or3_b32 v3, v3, v5, v4
	v_cvt_u32_f32_e32 v3, v3
.LBB356_457:
	s_or_b64 exec, exec, s[0:1]
	s_mov_b64 s[0:1], 0
	s_branch .LBB356_463
.LBB356_458:
	s_mov_b64 s[8:9], -1
                                        ; implicit-def: $vgpr3
	s_branch .LBB356_469
.LBB356_459:
	s_andn2_saveexec_b64 s[0:1], s[0:1]
	s_cbranch_execz .LBB356_444
.LBB356_460:
	v_cmp_ne_u16_e32 vcc, 0, v4
	s_andn2_b64 s[8:9], s[8:9], exec
	s_and_b64 s[12:13], vcc, exec
	s_or_b64 s[8:9], s[8:9], s[12:13]
	s_or_b64 exec, exec, s[0:1]
	v_mov_b32_e32 v3, 0
	s_and_saveexec_b64 s[0:1], s[8:9]
	s_cbranch_execnz .LBB356_445
	s_branch .LBB356_446
.LBB356_461:
	s_mov_b64 s[0:1], -1
                                        ; implicit-def: $vgpr3
	s_branch .LBB356_466
.LBB356_462:
	s_mov_b64 s[0:1], -1
                                        ; implicit-def: $vgpr3
.LBB356_463:
	s_and_b64 vcc, exec, s[0:1]
	s_cbranch_vccz .LBB356_465
; %bb.464:
	global_load_ubyte v3, v[1:2], off
	s_mov_b32 s0, 0x7f800000
	s_waitcnt vmcnt(0)
	v_lshlrev_b32_e32 v3, 24, v3
	v_and_b32_e32 v4, 0x7f000000, v3
	v_ffbh_u32_e32 v5, v4
	v_min_u32_e32 v5, 32, v5
	v_sub_u32_e64 v5, v5, 4 clamp
	v_lshlrev_b32_e32 v7, v5, v4
	v_lshlrev_b32_e32 v5, 23, v5
	v_lshrrev_b32_e32 v7, 4, v7
	v_add_u32_e32 v6, 0x1000000, v4
	v_sub_u32_e32 v5, v7, v5
	v_ashrrev_i32_e32 v6, 8, v6
	v_add_u32_e32 v5, 0x3c000000, v5
	v_and_or_b32 v5, v6, s0, v5
	v_cmp_ne_u32_e32 vcc, 0, v4
	v_cndmask_b32_e32 v4, 0, v5, vcc
	s_brev_b32 s0, 1
	v_and_or_b32 v3, v3, s0, v4
	v_cvt_u32_f32_e32 v3, v3
.LBB356_465:
	s_mov_b64 s[0:1], 0
.LBB356_466:
	s_andn2_b64 vcc, exec, s[0:1]
	s_cbranch_vccnz .LBB356_468
; %bb.467:
	global_load_ubyte v3, v[1:2], off
	s_movk_i32 s0, 0x7f00
	s_brev_b32 s1, 16
	s_waitcnt vmcnt(0)
	v_lshlrev_b16_e32 v4, 8, v3
	v_lshlrev_b32_e32 v3, 25, v3
	v_lshrrev_b32_e32 v5, 4, v3
	v_and_or_b32 v6, v4, s0, 0.5
	v_or_b32_e32 v5, 0x70000000, v5
	v_add_f32_e32 v6, -0.5, v6
	v_mul_f32_e32 v5, 0x7800000, v5
	v_cmp_gt_u32_e32 vcc, s1, v3
	v_bfe_i32 v4, v4, 0, 16
	v_cndmask_b32_e32 v3, v5, v6, vcc
	s_brev_b32 s0, 1
	v_and_or_b32 v3, v4, s0, v3
	v_cvt_u32_f32_e32 v3, v3
.LBB356_468:
	s_mov_b64 s[8:9], 0
	s_mov_b64 s[0:1], -1
.LBB356_469:
	s_andn2_b64 vcc, exec, s[8:9]
	s_cbranch_vccnz .LBB356_482
; %bb.470:
	s_cmp_gt_i32 s10, 14
	s_cbranch_scc0 .LBB356_473
; %bb.471:
	s_cmp_eq_u32 s10, 15
	s_cbranch_scc0 .LBB356_476
; %bb.472:
	global_load_ushort v3, v[1:2], off
	s_mov_b64 s[0:1], -1
	s_mov_b64 s[2:3], 0
	s_waitcnt vmcnt(0)
	v_lshlrev_b32_e32 v3, 16, v3
	v_cvt_u32_f32_e32 v3, v3
	s_branch .LBB356_477
.LBB356_473:
	s_mov_b64 s[8:9], -1
                                        ; implicit-def: $vgpr3
	s_branch .LBB356_478
.LBB356_474:
	s_andn2_saveexec_b64 s[0:1], s[0:1]
	s_cbranch_execz .LBB356_455
.LBB356_475:
	v_cmp_ne_u16_e32 vcc, 0, v4
	s_andn2_b64 s[8:9], s[8:9], exec
	s_and_b64 s[12:13], vcc, exec
	s_or_b64 s[8:9], s[8:9], s[12:13]
	s_or_b64 exec, exec, s[0:1]
	v_mov_b32_e32 v3, 0
	s_and_saveexec_b64 s[0:1], s[8:9]
	s_cbranch_execnz .LBB356_456
	s_branch .LBB356_457
.LBB356_476:
	s_mov_b64 s[2:3], -1
                                        ; implicit-def: $vgpr3
.LBB356_477:
	s_mov_b64 s[8:9], 0
.LBB356_478:
	s_and_b64 vcc, exec, s[8:9]
	s_cbranch_vccz .LBB356_482
; %bb.479:
	s_cmp_eq_u32 s10, 11
	s_cbranch_scc0 .LBB356_481
; %bb.480:
	global_load_ubyte v3, v[1:2], off
	s_mov_b64 s[0:1], -1
	s_mov_b64 s[2:3], 0
	s_waitcnt vmcnt(0)
	v_cmp_ne_u16_e32 vcc, 0, v3
	v_cndmask_b32_e64 v3, 0, 1, vcc
	s_branch .LBB356_482
.LBB356_481:
	s_mov_b64 s[2:3], -1
                                        ; implicit-def: $vgpr3
.LBB356_482:
	s_branch .LBB356_289
.LBB356_483:
	s_cmp_lt_i32 s10, 5
	s_cbranch_scc1 .LBB356_488
; %bb.484:
	s_cmp_lt_i32 s10, 8
	s_cbranch_scc1 .LBB356_489
; %bb.485:
	;; [unrolled: 3-line block ×3, first 2 shown]
	s_cmp_gt_i32 s10, 9
	s_cbranch_scc0 .LBB356_491
; %bb.487:
	global_load_dwordx2 v[3:4], v[1:2], off
	s_mov_b64 s[0:1], 0
	s_waitcnt vmcnt(0)
	v_cvt_u32_f64_e32 v3, v[3:4]
	s_branch .LBB356_492
.LBB356_488:
	s_mov_b64 s[0:1], -1
                                        ; implicit-def: $vgpr3
	s_branch .LBB356_510
.LBB356_489:
	s_mov_b64 s[0:1], -1
                                        ; implicit-def: $vgpr3
	s_branch .LBB356_498
.LBB356_490:
	s_mov_b64 s[0:1], -1
                                        ; implicit-def: $vgpr3
	s_branch .LBB356_495
.LBB356_491:
	s_mov_b64 s[0:1], -1
                                        ; implicit-def: $vgpr3
.LBB356_492:
	s_andn2_b64 vcc, exec, s[0:1]
	s_cbranch_vccnz .LBB356_494
; %bb.493:
	global_load_dword v3, v[1:2], off
	s_waitcnt vmcnt(0)
	v_cvt_u32_f32_e32 v3, v3
.LBB356_494:
	s_mov_b64 s[0:1], 0
.LBB356_495:
	s_andn2_b64 vcc, exec, s[0:1]
	s_cbranch_vccnz .LBB356_497
; %bb.496:
	global_load_dword v3, v[1:2], off
	s_waitcnt vmcnt(0)
	v_cvt_f32_f16_e32 v3, v3
	v_cvt_u32_f32_e32 v3, v3
.LBB356_497:
	s_mov_b64 s[0:1], 0
.LBB356_498:
	s_andn2_b64 vcc, exec, s[0:1]
	s_cbranch_vccnz .LBB356_509
; %bb.499:
	s_cmp_lt_i32 s10, 6
	s_cbranch_scc1 .LBB356_502
; %bb.500:
	s_cmp_gt_i32 s10, 6
	s_cbranch_scc0 .LBB356_503
; %bb.501:
	global_load_dwordx2 v[3:4], v[1:2], off
	s_mov_b64 s[0:1], 0
	s_waitcnt vmcnt(0)
	v_cvt_u32_f64_e32 v3, v[3:4]
	s_branch .LBB356_504
.LBB356_502:
	s_mov_b64 s[0:1], -1
                                        ; implicit-def: $vgpr3
	s_branch .LBB356_507
.LBB356_503:
	s_mov_b64 s[0:1], -1
                                        ; implicit-def: $vgpr3
.LBB356_504:
	s_andn2_b64 vcc, exec, s[0:1]
	s_cbranch_vccnz .LBB356_506
; %bb.505:
	global_load_dword v3, v[1:2], off
	s_waitcnt vmcnt(0)
	v_cvt_u32_f32_e32 v3, v3
.LBB356_506:
	s_mov_b64 s[0:1], 0
.LBB356_507:
	s_andn2_b64 vcc, exec, s[0:1]
	s_cbranch_vccnz .LBB356_509
; %bb.508:
	global_load_ushort v3, v[1:2], off
	s_waitcnt vmcnt(0)
	v_cvt_f32_f16_e32 v3, v3
	v_cvt_u32_f32_e32 v3, v3
.LBB356_509:
	s_mov_b64 s[0:1], 0
.LBB356_510:
	s_andn2_b64 vcc, exec, s[0:1]
	s_cbranch_vccnz .LBB356_530
; %bb.511:
	s_cmp_lt_i32 s10, 2
	s_cbranch_scc1 .LBB356_515
; %bb.512:
	s_cmp_lt_i32 s10, 3
	s_cbranch_scc1 .LBB356_516
; %bb.513:
	s_cmp_gt_i32 s10, 3
	s_cbranch_scc0 .LBB356_517
; %bb.514:
	global_load_dword v3, v[1:2], off
	s_mov_b64 s[0:1], 0
	s_branch .LBB356_518
.LBB356_515:
	s_mov_b64 s[0:1], -1
                                        ; implicit-def: $vgpr3
	s_branch .LBB356_524
.LBB356_516:
	s_mov_b64 s[0:1], -1
                                        ; implicit-def: $vgpr3
	s_branch .LBB356_521
.LBB356_517:
	s_mov_b64 s[0:1], -1
                                        ; implicit-def: $vgpr3
.LBB356_518:
	s_andn2_b64 vcc, exec, s[0:1]
	s_cbranch_vccnz .LBB356_520
; %bb.519:
	global_load_dword v3, v[1:2], off
.LBB356_520:
	s_mov_b64 s[0:1], 0
.LBB356_521:
	s_andn2_b64 vcc, exec, s[0:1]
	s_cbranch_vccnz .LBB356_523
; %bb.522:
	global_load_sshort v3, v[1:2], off
.LBB356_523:
	s_mov_b64 s[0:1], 0
.LBB356_524:
	s_andn2_b64 vcc, exec, s[0:1]
	s_cbranch_vccnz .LBB356_530
; %bb.525:
	s_cmp_gt_i32 s10, 0
	s_cbranch_scc0 .LBB356_527
; %bb.526:
	global_load_sbyte v3, v[1:2], off
	s_mov_b64 s[0:1], 0
	s_branch .LBB356_528
.LBB356_527:
	s_mov_b64 s[0:1], -1
                                        ; implicit-def: $vgpr3
.LBB356_528:
	s_andn2_b64 vcc, exec, s[0:1]
	s_cbranch_vccnz .LBB356_530
; %bb.529:
	global_load_ubyte v3, v[1:2], off
.LBB356_530:
	s_branch .LBB356_290
.LBB356_531:
	s_mov_b64 s[8:9], 0
	s_mov_b64 s[0:1], s[56:57]
.LBB356_532:
                                        ; implicit-def: $vgpr8
.LBB356_533:
	s_andn2_b64 s[10:11], s[56:57], exec
	s_and_b64 s[0:1], s[0:1], exec
	s_or_b64 s[64:65], s[10:11], s[0:1]
	s_andn2_b64 s[0:1], s[58:59], exec
	s_and_b64 s[2:3], s[2:3], exec
	s_or_b64 s[62:63], s[0:1], s[2:3]
	s_orn2_b64 s[0:1], s[8:9], exec
.LBB356_534:
	s_or_b64 exec, exec, s[66:67]
	s_mov_b64 s[2:3], 0
	s_mov_b64 s[8:9], 0
	;; [unrolled: 1-line block ×3, first 2 shown]
                                        ; implicit-def: $vgpr1_vgpr2
                                        ; implicit-def: $vgpr0
                                        ; implicit-def: $vgpr3
	s_and_saveexec_b64 s[66:67], s[0:1]
	s_cbranch_execz .LBB356_901
; %bb.535:
	v_cmp_gt_i32_e32 vcc, s74, v8
	s_mov_b64 s[2:3], -1
	s_mov_b64 s[70:71], s[62:63]
	s_mov_b64 s[72:73], s[64:65]
	s_and_saveexec_b64 s[68:69], vcc
	s_cbranch_execz .LBB356_805
; %bb.536:
	s_andn2_b64 vcc, exec, s[40:41]
	s_cbranch_vccnz .LBB356_541
; %bb.537:
	s_andn2_b64 vcc, exec, s[54:55]
	s_cbranch_vccnz .LBB356_542
; %bb.538:
	s_add_i32 s75, s79, 1
	s_cmp_eq_u32 s76, 2
	s_cbranch_scc1 .LBB356_543
; %bb.539:
	s_and_b32 s44, s75, 28
	v_mov_b32_e32 v2, 0
	s_mov_b32 s80, 0
	s_mov_b64 s[70:71], s[34:35]
	s_mov_b64 s[72:73], s[52:53]
	v_mov_b32_e32 v0, 0
	v_mov_b32_e32 v1, v8
.LBB356_540:                            ; =>This Inner Loop Header: Depth=1
	s_load_dwordx8 s[16:23], s[70:71], 0x4
	s_load_dwordx4 s[0:3], s[70:71], 0x24
	s_load_dwordx8 s[8:15], s[72:73], 0x0
	s_add_u32 s70, s70, 48
	s_addc_u32 s71, s71, 0
	s_waitcnt vmcnt(0) lgkmcnt(0)
	v_mul_hi_u32 v3, s17, v1
	s_add_i32 s80, s80, 4
	s_add_u32 s72, s72, 32
	s_addc_u32 s73, s73, 0
	v_add_u32_e32 v3, v1, v3
	v_lshrrev_b32_e32 v3, s18, v3
	v_mul_lo_u32 v4, v3, s16
	v_mul_hi_u32 v5, s20, v3
	s_cmp_eq_u32 s44, s80
	v_sub_u32_e32 v1, v1, v4
	v_add_u32_e32 v4, v3, v5
	v_mul_lo_u32 v5, v1, s8
	v_mul_lo_u32 v6, v1, s9
	v_lshrrev_b32_e32 v1, s21, v4
	v_mul_lo_u32 v4, v1, s19
	v_mul_hi_u32 v7, s23, v1
	v_sub_u32_e32 v3, v3, v4
	v_add_u32_e32 v4, v1, v7
	v_lshrrev_b32_e32 v4, s0, v4
	v_mul_hi_u32 v9, s2, v4
	v_mul_lo_u32 v10, v4, s22
	v_mul_lo_u32 v7, v3, s10
	;; [unrolled: 1-line block ×3, first 2 shown]
	v_sub_u32_e32 v10, v1, v10
	v_add_u32_e32 v1, v4, v9
	v_lshrrev_b32_e32 v1, s3, v1
	v_mul_lo_u32 v9, v1, s1
	v_mul_lo_u32 v11, v10, s12
	;; [unrolled: 1-line block ×3, first 2 shown]
	v_add3_u32 v0, v5, v0, v7
	v_sub_u32_e32 v4, v4, v9
	v_mul_lo_u32 v9, v4, s14
	v_mul_lo_u32 v4, v4, s15
	v_add3_u32 v2, v6, v2, v3
	v_add3_u32 v0, v11, v0, v9
	;; [unrolled: 1-line block ×3, first 2 shown]
	s_cbranch_scc0 .LBB356_540
	s_branch .LBB356_544
.LBB356_541:
	s_mov_b64 s[0:1], -1
                                        ; implicit-def: $vgpr0
                                        ; implicit-def: $vgpr2
	s_branch .LBB356_548
.LBB356_542:
	v_mov_b32_e32 v0, 0
	v_mov_b32_e32 v2, 0
	s_branch .LBB356_547
.LBB356_543:
	s_mov_b32 s44, 0
	v_mov_b32_e32 v0, 0
	v_mov_b32_e32 v2, 0
	;; [unrolled: 1-line block ×3, first 2 shown]
.LBB356_544:
	s_and_b32 s8, s75, 3
	s_cmp_eq_u32 s8, 0
	s_cbranch_scc1 .LBB356_547
; %bb.545:
	s_lshl_b32 s0, s44, 3
	s_add_u32 s0, s34, s0
	s_addc_u32 s1, s35, 0
	s_add_u32 s0, s0, 0xc4
	s_addc_u32 s1, s1, 0
	s_mul_i32 s2, s44, 12
	s_add_u32 s2, s34, s2
	s_addc_u32 s3, s35, 0
.LBB356_546:                            ; =>This Inner Loop Header: Depth=1
	s_load_dwordx2 s[10:11], s[2:3], 0x4
	s_load_dword s9, s[2:3], 0xc
	s_load_dwordx2 s[12:13], s[0:1], 0x0
	s_add_u32 s2, s2, 12
	s_addc_u32 s3, s3, 0
	s_waitcnt vmcnt(0) lgkmcnt(0)
	v_mul_hi_u32 v3, s11, v1
	s_add_u32 s0, s0, 8
	s_addc_u32 s1, s1, 0
	s_add_i32 s8, s8, -1
	v_add_u32_e32 v3, v1, v3
	v_lshrrev_b32_e32 v4, s9, v3
	v_mul_lo_u32 v3, v4, s10
	s_cmp_lg_u32 s8, 0
	v_sub_u32_e32 v3, v1, v3
	v_mad_u64_u32 v[0:1], s[10:11], v3, s12, v[0:1]
	v_mad_u64_u32 v[2:3], s[10:11], v3, s13, v[2:3]
	v_mov_b32_e32 v1, v4
	s_cbranch_scc1 .LBB356_546
.LBB356_547:
	s_mov_b64 s[0:1], 0
.LBB356_548:
	s_andn2_b64 vcc, exec, s[0:1]
	s_cbranch_vccnz .LBB356_551
; %bb.549:
	v_mul_hi_u32 v0, s29, v8
	s_andn2_b64 vcc, exec, s[50:51]
	v_add_u32_e32 v0, v8, v0
	v_lshrrev_b32_e32 v1, s30, v0
	v_mul_lo_u32 v0, v1, s28
	v_sub_u32_e32 v2, v8, v0
	v_mul_lo_u32 v0, v2, s36
	v_mul_lo_u32 v2, v2, s37
	s_cbranch_vccnz .LBB356_551
; %bb.550:
	s_waitcnt vmcnt(0)
	v_mul_hi_u32 v3, s48, v1
	v_add_u32_e32 v3, v1, v3
	v_lshrrev_b32_e32 v3, s49, v3
	v_mul_lo_u32 v3, v3, s31
	v_sub_u32_e32 v3, v1, v3
	v_mad_u64_u32 v[0:1], s[0:1], v3, s38, v[0:1]
	v_mad_u64_u32 v[2:3], s[0:1], v3, s39, v[2:3]
.LBB356_551:
	s_waitcnt vmcnt(0)
	v_mov_b32_e32 v3, s27
	s_and_b32 s10, 0xffff, s78
	v_add_co_u32_e32 v1, vcc, s26, v2
	s_cmp_lt_i32 s10, 11
	v_addc_co_u32_e32 v2, vcc, 0, v3, vcc
	s_cbranch_scc1 .LBB356_558
; %bb.552:
	s_cmp_gt_i32 s10, 25
	s_cbranch_scc0 .LBB356_559
; %bb.553:
	s_cmp_gt_i32 s10, 28
	s_cbranch_scc0 .LBB356_560
	;; [unrolled: 3-line block ×4, first 2 shown]
; %bb.556:
	s_cmp_eq_u32 s10, 46
	s_mov_b64 s[8:9], 0
	s_cbranch_scc0 .LBB356_567
; %bb.557:
	global_load_dword v3, v[1:2], off
	s_mov_b64 s[0:1], -1
	s_mov_b64 s[2:3], 0
	s_waitcnt vmcnt(0)
	v_lshlrev_b32_e32 v3, 16, v3
	v_cvt_u32_f32_e32 v3, v3
	s_branch .LBB356_568
.LBB356_558:
	s_mov_b64 s[8:9], -1
	s_mov_b64 s[0:1], 0
                                        ; implicit-def: $vgpr3
	s_mov_b64 s[2:3], s[62:63]
	s_branch .LBB356_629
.LBB356_559:
	s_mov_b64 s[8:9], -1
	s_mov_b64 s[0:1], 0
	s_mov_b64 s[2:3], s[62:63]
                                        ; implicit-def: $vgpr3
	s_branch .LBB356_595
.LBB356_560:
	s_mov_b64 s[8:9], -1
	s_mov_b64 s[0:1], 0
	s_mov_b64 s[2:3], s[62:63]
                                        ; implicit-def: $vgpr3
	s_branch .LBB356_578
.LBB356_561:
	s_mov_b64 s[8:9], -1
	s_mov_b64 s[0:1], 0
	s_mov_b64 s[2:3], s[62:63]
                                        ; implicit-def: $vgpr3
	s_branch .LBB356_573
.LBB356_562:
	s_andn2_saveexec_b64 s[14:15], s[14:15]
	s_cbranch_execz .LBB356_335
.LBB356_563:
	v_add_f32_e32 v2, 0x46000000, v3
	v_and_b32_e32 v2, 0xff, v2
	v_cmp_ne_u32_e32 vcc, 0, v2
	s_andn2_b64 s[12:13], s[12:13], exec
	s_and_b64 s[18:19], vcc, exec
	s_or_b64 s[12:13], s[12:13], s[18:19]
	s_or_b64 exec, exec, s[14:15]
	v_mov_b32_e32 v4, 0
	s_and_saveexec_b64 s[14:15], s[12:13]
	s_cbranch_execnz .LBB356_336
	s_branch .LBB356_337
.LBB356_564:
	s_mov_b64 s[8:9], -1
	s_mov_b64 s[0:1], 0
	s_mov_b64 s[2:3], s[62:63]
                                        ; implicit-def: $vgpr3
	s_branch .LBB356_568
.LBB356_565:
	s_andn2_saveexec_b64 s[14:15], s[14:15]
	s_cbranch_execz .LBB356_348
.LBB356_566:
	v_add_f32_e32 v2, 0x42800000, v3
	v_and_b32_e32 v2, 0xff, v2
	v_cmp_ne_u32_e32 vcc, 0, v2
	s_andn2_b64 s[12:13], s[12:13], exec
	s_and_b64 s[18:19], vcc, exec
	s_or_b64 s[12:13], s[12:13], s[18:19]
	s_or_b64 exec, exec, s[14:15]
	v_mov_b32_e32 v4, 0
	s_and_saveexec_b64 s[14:15], s[12:13]
	s_cbranch_execnz .LBB356_349
	s_branch .LBB356_350
.LBB356_567:
	s_mov_b64 s[2:3], -1
                                        ; implicit-def: $vgpr3
	s_mov_b64 s[0:1], 0
.LBB356_568:
	s_and_b64 vcc, exec, s[8:9]
	s_cbranch_vccz .LBB356_572
; %bb.569:
	s_cmp_eq_u32 s10, 44
	s_cbranch_scc0 .LBB356_571
; %bb.570:
	global_load_ubyte v3, v[1:2], off
	s_mov_b64 s[0:1], -1
	s_mov_b64 s[2:3], 0
	s_waitcnt vmcnt(0)
	v_lshlrev_b32_e32 v4, 23, v3
	v_cvt_u32_f32_e32 v4, v4
	v_cmp_ne_u32_e32 vcc, 0, v3
	v_cndmask_b32_e32 v3, 0, v4, vcc
	s_branch .LBB356_572
.LBB356_571:
	s_mov_b64 s[2:3], -1
                                        ; implicit-def: $vgpr3
.LBB356_572:
	s_mov_b64 s[8:9], 0
.LBB356_573:
	s_and_b64 vcc, exec, s[8:9]
	s_cbranch_vccz .LBB356_577
; %bb.574:
	s_cmp_eq_u32 s10, 29
	s_cbranch_scc0 .LBB356_576
; %bb.575:
	global_load_dword v3, v[1:2], off
	s_mov_b64 s[0:1], -1
	s_mov_b64 s[2:3], 0
	s_branch .LBB356_577
.LBB356_576:
	s_mov_b64 s[2:3], -1
                                        ; implicit-def: $vgpr3
.LBB356_577:
	s_mov_b64 s[8:9], 0
.LBB356_578:
	s_and_b64 vcc, exec, s[8:9]
	s_cbranch_vccz .LBB356_594
; %bb.579:
	s_cmp_lt_i32 s10, 27
	s_cbranch_scc1 .LBB356_582
; %bb.580:
	s_cmp_gt_i32 s10, 27
	s_cbranch_scc0 .LBB356_583
; %bb.581:
	global_load_dword v3, v[1:2], off
	s_mov_b64 s[0:1], 0
	s_branch .LBB356_584
.LBB356_582:
	s_mov_b64 s[0:1], -1
                                        ; implicit-def: $vgpr3
	s_branch .LBB356_587
.LBB356_583:
	s_mov_b64 s[0:1], -1
                                        ; implicit-def: $vgpr3
.LBB356_584:
	s_andn2_b64 vcc, exec, s[0:1]
	s_cbranch_vccnz .LBB356_586
; %bb.585:
	global_load_ushort v3, v[1:2], off
.LBB356_586:
	s_mov_b64 s[0:1], 0
.LBB356_587:
	s_andn2_b64 vcc, exec, s[0:1]
	s_cbranch_vccnz .LBB356_593
; %bb.588:
	global_load_ubyte v4, v[1:2], off
	s_movk_i32 s0, 0x7f
	s_mov_b64 s[8:9], 0
	s_waitcnt vmcnt(0)
	v_cmp_lt_i16_e32 vcc, s0, v4
	s_and_saveexec_b64 s[0:1], vcc
	s_xor_b64 s[0:1], exec, s[0:1]
	s_cbranch_execz .LBB356_605
; %bb.589:
	s_movk_i32 s8, 0x80
	v_cmp_ne_u16_e32 vcc, s8, v4
	s_and_b64 s[8:9], vcc, exec
	s_andn2_saveexec_b64 s[0:1], s[0:1]
	s_cbranch_execnz .LBB356_606
.LBB356_590:
	s_or_b64 exec, exec, s[0:1]
	v_mov_b32_e32 v3, 0
	s_and_saveexec_b64 s[0:1], s[8:9]
	s_cbranch_execz .LBB356_592
.LBB356_591:
	v_lshlrev_b32_e32 v3, 24, v4
	v_and_b32_e32 v4, 0xffff, v4
	v_and_b32_e32 v5, 7, v4
	v_ffbh_u32_e32 v7, v5
	v_min_u32_e32 v7, 32, v7
	v_subrev_u32_e32 v9, 28, v7
	v_bfe_u32 v6, v4, 3, 4
	v_lshlrev_b32_e32 v4, v9, v4
	v_sub_u32_e32 v7, 29, v7
	v_and_b32_e32 v4, 7, v4
	v_cmp_eq_u32_e32 vcc, 0, v6
	v_cndmask_b32_e32 v6, v6, v7, vcc
	v_cndmask_b32_e32 v4, v5, v4, vcc
	v_mov_b32_e32 v5, 0x3b800000
	v_lshlrev_b32_e32 v4, 20, v4
	v_and_b32_e32 v3, 0x80000000, v3
	v_lshl_add_u32 v5, v6, 23, v5
	v_or3_b32 v3, v3, v5, v4
	v_cvt_u32_f32_e32 v3, v3
.LBB356_592:
	s_or_b64 exec, exec, s[0:1]
.LBB356_593:
	s_mov_b64 s[0:1], -1
.LBB356_594:
	s_mov_b64 s[8:9], 0
.LBB356_595:
	s_and_b64 vcc, exec, s[8:9]
	s_cbranch_vccz .LBB356_628
; %bb.596:
	s_cmp_gt_i32 s10, 22
	s_cbranch_scc0 .LBB356_604
; %bb.597:
	s_cmp_lt_i32 s10, 24
	s_cbranch_scc1 .LBB356_607
; %bb.598:
	s_cmp_gt_i32 s10, 24
	s_cbranch_scc0 .LBB356_608
; %bb.599:
	global_load_ubyte v4, v[1:2], off
	s_movk_i32 s0, 0x7f
	s_mov_b64 s[8:9], 0
	s_waitcnt vmcnt(0)
	v_cmp_lt_i16_e32 vcc, s0, v4
	s_and_saveexec_b64 s[0:1], vcc
	s_xor_b64 s[0:1], exec, s[0:1]
	s_cbranch_execz .LBB356_620
; %bb.600:
	s_movk_i32 s8, 0x80
	v_cmp_ne_u16_e32 vcc, s8, v4
	s_and_b64 s[8:9], vcc, exec
	s_andn2_saveexec_b64 s[0:1], s[0:1]
	s_cbranch_execnz .LBB356_621
.LBB356_601:
	s_or_b64 exec, exec, s[0:1]
	v_mov_b32_e32 v3, 0
	s_and_saveexec_b64 s[0:1], s[8:9]
	s_cbranch_execz .LBB356_603
.LBB356_602:
	v_lshlrev_b32_e32 v3, 24, v4
	v_and_b32_e32 v4, 0xffff, v4
	v_and_b32_e32 v5, 3, v4
	v_ffbh_u32_e32 v7, v5
	v_min_u32_e32 v7, 32, v7
	v_subrev_u32_e32 v9, 29, v7
	v_bfe_u32 v6, v4, 2, 5
	v_lshlrev_b32_e32 v4, v9, v4
	v_sub_u32_e32 v7, 30, v7
	v_and_b32_e32 v4, 3, v4
	v_cmp_eq_u32_e32 vcc, 0, v6
	v_cndmask_b32_e32 v6, v6, v7, vcc
	v_cndmask_b32_e32 v4, v5, v4, vcc
	v_mov_b32_e32 v5, 0x37800000
	v_lshlrev_b32_e32 v4, 21, v4
	v_and_b32_e32 v3, 0x80000000, v3
	v_lshl_add_u32 v5, v6, 23, v5
	v_or3_b32 v3, v3, v5, v4
	v_cvt_u32_f32_e32 v3, v3
.LBB356_603:
	s_or_b64 exec, exec, s[0:1]
	s_mov_b64 s[0:1], 0
	s_branch .LBB356_609
.LBB356_604:
	s_mov_b64 s[8:9], -1
                                        ; implicit-def: $vgpr3
	s_branch .LBB356_615
.LBB356_605:
	s_andn2_saveexec_b64 s[0:1], s[0:1]
	s_cbranch_execz .LBB356_590
.LBB356_606:
	v_cmp_ne_u16_e32 vcc, 0, v4
	s_andn2_b64 s[8:9], s[8:9], exec
	s_and_b64 s[12:13], vcc, exec
	s_or_b64 s[8:9], s[8:9], s[12:13]
	s_or_b64 exec, exec, s[0:1]
	v_mov_b32_e32 v3, 0
	s_and_saveexec_b64 s[0:1], s[8:9]
	s_cbranch_execnz .LBB356_591
	s_branch .LBB356_592
.LBB356_607:
	s_mov_b64 s[0:1], -1
                                        ; implicit-def: $vgpr3
	s_branch .LBB356_612
.LBB356_608:
	s_mov_b64 s[0:1], -1
                                        ; implicit-def: $vgpr3
.LBB356_609:
	s_and_b64 vcc, exec, s[0:1]
	s_cbranch_vccz .LBB356_611
; %bb.610:
	global_load_ubyte v3, v[1:2], off
	s_mov_b32 s0, 0x7f800000
	s_waitcnt vmcnt(0)
	v_lshlrev_b32_e32 v3, 24, v3
	v_and_b32_e32 v4, 0x7f000000, v3
	v_ffbh_u32_e32 v5, v4
	v_min_u32_e32 v5, 32, v5
	v_sub_u32_e64 v5, v5, 4 clamp
	v_lshlrev_b32_e32 v7, v5, v4
	v_lshlrev_b32_e32 v5, 23, v5
	v_lshrrev_b32_e32 v7, 4, v7
	v_add_u32_e32 v6, 0x1000000, v4
	v_sub_u32_e32 v5, v7, v5
	v_ashrrev_i32_e32 v6, 8, v6
	v_add_u32_e32 v5, 0x3c000000, v5
	v_and_or_b32 v5, v6, s0, v5
	v_cmp_ne_u32_e32 vcc, 0, v4
	v_cndmask_b32_e32 v4, 0, v5, vcc
	s_brev_b32 s0, 1
	v_and_or_b32 v3, v3, s0, v4
	v_cvt_u32_f32_e32 v3, v3
.LBB356_611:
	s_mov_b64 s[0:1], 0
.LBB356_612:
	s_andn2_b64 vcc, exec, s[0:1]
	s_cbranch_vccnz .LBB356_614
; %bb.613:
	global_load_ubyte v3, v[1:2], off
	s_movk_i32 s0, 0x7f00
	s_brev_b32 s1, 16
	s_waitcnt vmcnt(0)
	v_lshlrev_b16_e32 v4, 8, v3
	v_lshlrev_b32_e32 v3, 25, v3
	v_lshrrev_b32_e32 v5, 4, v3
	v_and_or_b32 v6, v4, s0, 0.5
	v_or_b32_e32 v5, 0x70000000, v5
	v_add_f32_e32 v6, -0.5, v6
	v_mul_f32_e32 v5, 0x7800000, v5
	v_cmp_gt_u32_e32 vcc, s1, v3
	v_bfe_i32 v4, v4, 0, 16
	v_cndmask_b32_e32 v3, v5, v6, vcc
	s_brev_b32 s0, 1
	v_and_or_b32 v3, v4, s0, v3
	v_cvt_u32_f32_e32 v3, v3
.LBB356_614:
	s_mov_b64 s[8:9], 0
	s_mov_b64 s[0:1], -1
.LBB356_615:
	s_andn2_b64 vcc, exec, s[8:9]
	s_cbranch_vccnz .LBB356_628
; %bb.616:
	s_cmp_gt_i32 s10, 14
	s_cbranch_scc0 .LBB356_619
; %bb.617:
	s_cmp_eq_u32 s10, 15
	s_cbranch_scc0 .LBB356_622
; %bb.618:
	global_load_ushort v3, v[1:2], off
	s_mov_b64 s[0:1], -1
	s_mov_b64 s[2:3], 0
	s_waitcnt vmcnt(0)
	v_lshlrev_b32_e32 v3, 16, v3
	v_cvt_u32_f32_e32 v3, v3
	s_branch .LBB356_623
.LBB356_619:
	s_mov_b64 s[8:9], -1
                                        ; implicit-def: $vgpr3
	s_branch .LBB356_624
.LBB356_620:
	s_andn2_saveexec_b64 s[0:1], s[0:1]
	s_cbranch_execz .LBB356_601
.LBB356_621:
	v_cmp_ne_u16_e32 vcc, 0, v4
	s_andn2_b64 s[8:9], s[8:9], exec
	s_and_b64 s[12:13], vcc, exec
	s_or_b64 s[8:9], s[8:9], s[12:13]
	s_or_b64 exec, exec, s[0:1]
	v_mov_b32_e32 v3, 0
	s_and_saveexec_b64 s[0:1], s[8:9]
	s_cbranch_execnz .LBB356_602
	s_branch .LBB356_603
.LBB356_622:
	s_mov_b64 s[2:3], -1
                                        ; implicit-def: $vgpr3
.LBB356_623:
	s_mov_b64 s[8:9], 0
.LBB356_624:
	s_and_b64 vcc, exec, s[8:9]
	s_cbranch_vccz .LBB356_628
; %bb.625:
	s_cmp_eq_u32 s10, 11
	s_cbranch_scc0 .LBB356_627
; %bb.626:
	global_load_ubyte v3, v[1:2], off
	s_mov_b64 s[0:1], -1
	s_mov_b64 s[2:3], 0
	s_waitcnt vmcnt(0)
	v_cmp_ne_u16_e32 vcc, 0, v3
	v_cndmask_b32_e64 v3, 0, 1, vcc
	s_branch .LBB356_628
.LBB356_627:
	s_mov_b64 s[2:3], -1
                                        ; implicit-def: $vgpr3
.LBB356_628:
	s_mov_b64 s[8:9], 0
.LBB356_629:
	s_and_b64 vcc, exec, s[8:9]
	s_cbranch_vccz .LBB356_678
; %bb.630:
	s_cmp_lt_i32 s10, 5
	s_cbranch_scc1 .LBB356_635
; %bb.631:
	s_cmp_lt_i32 s10, 8
	s_cbranch_scc1 .LBB356_636
	;; [unrolled: 3-line block ×3, first 2 shown]
; %bb.633:
	s_cmp_gt_i32 s10, 9
	s_cbranch_scc0 .LBB356_638
; %bb.634:
	global_load_dwordx2 v[3:4], v[1:2], off
	s_mov_b64 s[0:1], 0
	s_waitcnt vmcnt(0)
	v_cvt_u32_f64_e32 v3, v[3:4]
	s_branch .LBB356_639
.LBB356_635:
	s_mov_b64 s[0:1], -1
                                        ; implicit-def: $vgpr3
	s_branch .LBB356_657
.LBB356_636:
	s_mov_b64 s[0:1], -1
                                        ; implicit-def: $vgpr3
	s_branch .LBB356_645
.LBB356_637:
	s_mov_b64 s[0:1], -1
                                        ; implicit-def: $vgpr3
	s_branch .LBB356_642
.LBB356_638:
	s_mov_b64 s[0:1], -1
                                        ; implicit-def: $vgpr3
.LBB356_639:
	s_andn2_b64 vcc, exec, s[0:1]
	s_cbranch_vccnz .LBB356_641
; %bb.640:
	global_load_dword v3, v[1:2], off
	s_waitcnt vmcnt(0)
	v_cvt_u32_f32_e32 v3, v3
.LBB356_641:
	s_mov_b64 s[0:1], 0
.LBB356_642:
	s_andn2_b64 vcc, exec, s[0:1]
	s_cbranch_vccnz .LBB356_644
; %bb.643:
	global_load_dword v3, v[1:2], off
	s_waitcnt vmcnt(0)
	v_cvt_f32_f16_e32 v3, v3
	v_cvt_u32_f32_e32 v3, v3
.LBB356_644:
	s_mov_b64 s[0:1], 0
.LBB356_645:
	s_andn2_b64 vcc, exec, s[0:1]
	s_cbranch_vccnz .LBB356_656
; %bb.646:
	s_cmp_lt_i32 s10, 6
	s_cbranch_scc1 .LBB356_649
; %bb.647:
	s_cmp_gt_i32 s10, 6
	s_cbranch_scc0 .LBB356_650
; %bb.648:
	global_load_dwordx2 v[3:4], v[1:2], off
	s_mov_b64 s[0:1], 0
	s_waitcnt vmcnt(0)
	v_cvt_u32_f64_e32 v3, v[3:4]
	s_branch .LBB356_651
.LBB356_649:
	s_mov_b64 s[0:1], -1
                                        ; implicit-def: $vgpr3
	s_branch .LBB356_654
.LBB356_650:
	s_mov_b64 s[0:1], -1
                                        ; implicit-def: $vgpr3
.LBB356_651:
	s_andn2_b64 vcc, exec, s[0:1]
	s_cbranch_vccnz .LBB356_653
; %bb.652:
	global_load_dword v3, v[1:2], off
	s_waitcnt vmcnt(0)
	v_cvt_u32_f32_e32 v3, v3
.LBB356_653:
	s_mov_b64 s[0:1], 0
.LBB356_654:
	s_andn2_b64 vcc, exec, s[0:1]
	s_cbranch_vccnz .LBB356_656
; %bb.655:
	global_load_ushort v3, v[1:2], off
	s_waitcnt vmcnt(0)
	v_cvt_f32_f16_e32 v3, v3
	v_cvt_u32_f32_e32 v3, v3
.LBB356_656:
	s_mov_b64 s[0:1], 0
.LBB356_657:
	s_andn2_b64 vcc, exec, s[0:1]
	s_cbranch_vccnz .LBB356_677
; %bb.658:
	s_cmp_lt_i32 s10, 2
	s_cbranch_scc1 .LBB356_662
; %bb.659:
	s_cmp_lt_i32 s10, 3
	s_cbranch_scc1 .LBB356_663
; %bb.660:
	s_cmp_gt_i32 s10, 3
	s_cbranch_scc0 .LBB356_664
; %bb.661:
	global_load_dword v3, v[1:2], off
	s_mov_b64 s[0:1], 0
	s_branch .LBB356_665
.LBB356_662:
	s_mov_b64 s[0:1], -1
                                        ; implicit-def: $vgpr3
	s_branch .LBB356_671
.LBB356_663:
	s_mov_b64 s[0:1], -1
                                        ; implicit-def: $vgpr3
	s_branch .LBB356_668
.LBB356_664:
	s_mov_b64 s[0:1], -1
                                        ; implicit-def: $vgpr3
.LBB356_665:
	s_andn2_b64 vcc, exec, s[0:1]
	s_cbranch_vccnz .LBB356_667
; %bb.666:
	global_load_dword v3, v[1:2], off
.LBB356_667:
	s_mov_b64 s[0:1], 0
.LBB356_668:
	s_andn2_b64 vcc, exec, s[0:1]
	s_cbranch_vccnz .LBB356_670
; %bb.669:
	global_load_sshort v3, v[1:2], off
.LBB356_670:
	s_mov_b64 s[0:1], 0
.LBB356_671:
	s_andn2_b64 vcc, exec, s[0:1]
	s_cbranch_vccnz .LBB356_677
; %bb.672:
	s_cmp_gt_i32 s10, 0
	s_cbranch_scc0 .LBB356_674
; %bb.673:
	global_load_sbyte v3, v[1:2], off
	s_mov_b64 s[0:1], 0
	s_branch .LBB356_675
.LBB356_674:
	s_mov_b64 s[0:1], -1
                                        ; implicit-def: $vgpr3
.LBB356_675:
	s_andn2_b64 vcc, exec, s[0:1]
	s_cbranch_vccnz .LBB356_677
; %bb.676:
	global_load_ubyte v3, v[1:2], off
.LBB356_677:
	s_mov_b64 s[0:1], -1
.LBB356_678:
	s_andn2_b64 vcc, exec, s[0:1]
	s_cbranch_vccnz .LBB356_686
; %bb.679:
	s_waitcnt vmcnt(0)
	v_cmp_ne_u32_e32 vcc, s45, v3
	s_xor_b64 s[8:9], s[46:47], vcc
	v_mov_b32_e32 v1, s25
	s_and_b32 s16, s77, 0xff
	v_add_co_u32_e32 v0, vcc, s24, v0
	s_cmp_lt_i32 s16, 11
	v_addc_co_u32_e32 v1, vcc, 0, v1, vcc
	s_cbranch_scc1 .LBB356_687
; %bb.680:
	s_and_b32 s17, 0xffff, s16
	s_cmp_gt_i32 s17, 25
	s_cbranch_scc0 .LBB356_688
; %bb.681:
	s_cmp_gt_i32 s17, 28
	s_cbranch_scc0 .LBB356_689
; %bb.682:
	s_cmp_gt_i32 s17, 43
	s_cbranch_scc0 .LBB356_690
; %bb.683:
	s_cmp_gt_i32 s17, 45
	s_cbranch_scc0 .LBB356_691
; %bb.684:
	s_mov_b64 s[12:13], 0
	s_mov_b64 s[0:1], -1
	s_cmp_eq_u32 s17, 46
	s_mov_b64 s[10:11], 0
	s_cbranch_scc0 .LBB356_692
; %bb.685:
	v_cndmask_b32_e64 v2, 0, 1.0, s[8:9]
	v_bfe_u32 v3, v2, 16, 1
	s_movk_i32 s0, 0x7fff
	v_add3_u32 v2, v2, v3, s0
	v_lshrrev_b32_e32 v2, 16, v2
	global_store_dword v[0:1], v2, off
	s_mov_b64 s[10:11], -1
	s_mov_b64 s[0:1], 0
	s_branch .LBB356_692
.LBB356_686:
	s_mov_b64 s[8:9], 0
	s_mov_b64 s[0:1], s[64:65]
	s_branch .LBB356_803
.LBB356_687:
	s_mov_b64 s[12:13], -1
	s_mov_b64 s[10:11], 0
	s_mov_b64 s[0:1], s[64:65]
	s_branch .LBB356_761
.LBB356_688:
	s_mov_b64 s[12:13], -1
	s_mov_b64 s[10:11], 0
	s_mov_b64 s[0:1], s[64:65]
	s_branch .LBB356_719
.LBB356_689:
	s_mov_b64 s[12:13], -1
	s_mov_b64 s[10:11], 0
	s_mov_b64 s[0:1], s[64:65]
	s_branch .LBB356_702
.LBB356_690:
	s_mov_b64 s[12:13], -1
	s_mov_b64 s[10:11], 0
	s_mov_b64 s[0:1], s[64:65]
	s_branch .LBB356_698
.LBB356_691:
	s_mov_b64 s[12:13], -1
	s_mov_b64 s[10:11], 0
	s_mov_b64 s[0:1], s[64:65]
.LBB356_692:
	s_and_b64 vcc, exec, s[12:13]
	s_cbranch_vccz .LBB356_697
; %bb.693:
	s_cmp_eq_u32 s17, 44
	s_mov_b64 s[0:1], -1
	s_cbranch_scc0 .LBB356_697
; %bb.694:
	v_cndmask_b32_e64 v3, 0, 1.0, s[8:9]
	v_lshrrev_b32_e32 v2, 23, v3
	s_movk_i32 s0, 0xff
	v_cmp_ne_u32_e32 vcc, s0, v2
	v_mov_b32_e32 v4, 0xff
	s_and_saveexec_b64 s[10:11], vcc
; %bb.695:
	s_mov_b32 s0, 0x3fffff
	v_and_b32_e32 v4, 0x400000, v3
	v_and_or_b32 v3, v3, s0, v2
	v_cmp_ne_u32_e32 vcc, 0, v4
	v_cmp_ne_u32_e64 s[0:1], 0, v3
	s_and_b64 s[0:1], vcc, s[0:1]
	v_cndmask_b32_e64 v3, 0, 1, s[0:1]
	v_add_u32_e32 v4, v2, v3
; %bb.696:
	s_or_b64 exec, exec, s[10:11]
	s_mov_b64 s[10:11], -1
	s_mov_b64 s[0:1], 0
	global_store_byte v[0:1], v4, off
.LBB356_697:
	s_mov_b64 s[12:13], 0
.LBB356_698:
	s_and_b64 vcc, exec, s[12:13]
	s_cbranch_vccz .LBB356_701
; %bb.699:
	s_cmp_eq_u32 s17, 29
	s_mov_b64 s[0:1], -1
	s_cbranch_scc0 .LBB356_701
; %bb.700:
	s_mov_b32 s0, 0
	v_cndmask_b32_e64 v2, 0, 1, s[8:9]
	v_mov_b32_e32 v3, s0
	global_store_dwordx2 v[0:1], v[2:3], off
	s_mov_b64 s[10:11], -1
	s_mov_b64 s[0:1], 0
.LBB356_701:
	s_mov_b64 s[12:13], 0
.LBB356_702:
	s_and_b64 vcc, exec, s[12:13]
	s_cbranch_vccz .LBB356_718
; %bb.703:
	s_cmp_lt_i32 s17, 27
	s_mov_b64 s[10:11], -1
	s_cbranch_scc1 .LBB356_709
; %bb.704:
	s_cmp_gt_i32 s17, 27
	s_cbranch_scc0 .LBB356_706
; %bb.705:
	v_cndmask_b32_e64 v2, 0, 1, s[8:9]
	s_mov_b64 s[10:11], 0
	global_store_dword v[0:1], v2, off
.LBB356_706:
	s_andn2_b64 vcc, exec, s[10:11]
	s_cbranch_vccnz .LBB356_708
; %bb.707:
	v_cndmask_b32_e64 v2, 0, 1, s[8:9]
	global_store_short v[0:1], v2, off
.LBB356_708:
	s_mov_b64 s[10:11], 0
.LBB356_709:
	s_andn2_b64 vcc, exec, s[10:11]
	s_cbranch_vccnz .LBB356_717
; %bb.710:
	v_cndmask_b32_e64 v3, 0, 1.0, s[8:9]
	s_mov_b32 s10, 0x43800000
	v_cmp_gt_u32_e32 vcc, s10, v3
	v_mov_b32_e32 v4, 0x80
	s_and_saveexec_b64 s[10:11], vcc
	s_cbranch_execz .LBB356_716
; %bb.711:
	s_mov_b32 s12, 0x3bffffff
	v_cmp_lt_u32_e32 vcc, s12, v3
	s_mov_b64 s[12:13], 0
                                        ; implicit-def: $vgpr2
	s_and_saveexec_b64 s[14:15], vcc
	s_xor_b64 s[14:15], exec, s[14:15]
	s_cbranch_execz .LBB356_833
; %bb.712:
	v_bfe_u32 v2, v3, 20, 1
	s_mov_b32 s18, 0x487ffff
	v_add3_u32 v2, v3, v2, s18
	s_mov_b64 s[12:13], exec
	v_lshrrev_b32_e32 v2, 20, v2
                                        ; implicit-def: $vgpr3
	s_andn2_saveexec_b64 s[14:15], s[14:15]
	s_cbranch_execnz .LBB356_834
.LBB356_713:
	s_or_b64 exec, exec, s[14:15]
	v_mov_b32_e32 v4, 0
	s_and_saveexec_b64 s[14:15], s[12:13]
.LBB356_714:
	v_mov_b32_e32 v4, v2
.LBB356_715:
	s_or_b64 exec, exec, s[14:15]
.LBB356_716:
	s_or_b64 exec, exec, s[10:11]
	global_store_byte v[0:1], v4, off
.LBB356_717:
	s_mov_b64 s[10:11], -1
.LBB356_718:
	s_mov_b64 s[12:13], 0
.LBB356_719:
	s_and_b64 vcc, exec, s[12:13]
	s_cbranch_vccz .LBB356_760
; %bb.720:
	s_cmp_gt_i32 s17, 22
	s_mov_b64 s[12:13], -1
	s_cbranch_scc0 .LBB356_752
; %bb.721:
	s_cmp_lt_i32 s17, 24
	s_mov_b64 s[10:11], -1
	s_cbranch_scc1 .LBB356_741
; %bb.722:
	s_cmp_gt_i32 s17, 24
	s_cbranch_scc0 .LBB356_730
; %bb.723:
	v_cndmask_b32_e64 v3, 0, 1.0, s[8:9]
	s_mov_b32 s10, 0x47800000
	v_cmp_gt_u32_e32 vcc, s10, v3
	v_mov_b32_e32 v4, 0x80
	s_and_saveexec_b64 s[10:11], vcc
	s_cbranch_execz .LBB356_729
; %bb.724:
	s_mov_b32 s12, 0x37ffffff
	v_cmp_lt_u32_e32 vcc, s12, v3
	s_mov_b64 s[12:13], 0
                                        ; implicit-def: $vgpr2
	s_and_saveexec_b64 s[14:15], vcc
	s_xor_b64 s[14:15], exec, s[14:15]
	s_cbranch_execz .LBB356_836
; %bb.725:
	v_bfe_u32 v2, v3, 21, 1
	s_mov_b32 s18, 0x88fffff
	v_add3_u32 v2, v3, v2, s18
	s_mov_b64 s[12:13], exec
	v_lshrrev_b32_e32 v2, 21, v2
                                        ; implicit-def: $vgpr3
	s_andn2_saveexec_b64 s[14:15], s[14:15]
	s_cbranch_execnz .LBB356_837
.LBB356_726:
	s_or_b64 exec, exec, s[14:15]
	v_mov_b32_e32 v4, 0
	s_and_saveexec_b64 s[14:15], s[12:13]
.LBB356_727:
	v_mov_b32_e32 v4, v2
.LBB356_728:
	s_or_b64 exec, exec, s[14:15]
.LBB356_729:
	s_or_b64 exec, exec, s[10:11]
	s_mov_b64 s[10:11], 0
	global_store_byte v[0:1], v4, off
.LBB356_730:
	s_and_b64 vcc, exec, s[10:11]
	s_cbranch_vccz .LBB356_740
; %bb.731:
	v_cndmask_b32_e64 v2, 0, 1.0, s[8:9]
	s_mov_b32 s10, 0x43f00000
	v_cmp_gt_u32_e32 vcc, s10, v2
                                        ; implicit-def: $vgpr3
	s_and_saveexec_b64 s[10:11], vcc
	s_xor_b64 s[10:11], exec, s[10:11]
	s_cbranch_execz .LBB356_737
; %bb.732:
	s_mov_b32 s12, 0x3c7fffff
	v_cmp_lt_u32_e32 vcc, s12, v2
                                        ; implicit-def: $vgpr3
	s_and_saveexec_b64 s[12:13], vcc
	s_xor_b64 s[12:13], exec, s[12:13]
; %bb.733:
	v_bfe_u32 v3, v2, 20, 1
	s_mov_b32 s14, 0x407ffff
	v_add3_u32 v2, v2, v3, s14
	v_lshrrev_b32_e32 v3, 20, v2
	v_and_b32_e32 v2, 0xff00000, v2
	s_mov_b32 s14, 0x7f00000
	v_mov_b32_e32 v4, 0x7e
	v_cmp_ne_u32_e32 vcc, s14, v2
	v_cndmask_b32_e32 v3, v4, v3, vcc
                                        ; implicit-def: $vgpr2
; %bb.734:
	s_andn2_saveexec_b64 s[12:13], s[12:13]
; %bb.735:
	v_add_f32_e32 v3, 0x46800000, v2
; %bb.736:
	s_or_b64 exec, exec, s[12:13]
                                        ; implicit-def: $vgpr2
.LBB356_737:
	s_andn2_saveexec_b64 s[10:11], s[10:11]
; %bb.738:
	s_mov_b32 s12, 0x7f800000
	v_mov_b32_e32 v3, 0x7e
	v_mov_b32_e32 v4, 0x7f
	v_cmp_lt_u32_e32 vcc, s12, v2
	v_cndmask_b32_e32 v3, v3, v4, vcc
; %bb.739:
	s_or_b64 exec, exec, s[10:11]
	global_store_byte v[0:1], v3, off
.LBB356_740:
	s_mov_b64 s[10:11], 0
.LBB356_741:
	s_andn2_b64 vcc, exec, s[10:11]
	s_cbranch_vccnz .LBB356_751
; %bb.742:
	v_cndmask_b32_e64 v2, 0, 1.0, s[8:9]
	s_mov_b32 s10, 0x47800000
	v_cmp_gt_u32_e32 vcc, s10, v2
                                        ; implicit-def: $vgpr3
	s_and_saveexec_b64 s[10:11], vcc
	s_xor_b64 s[10:11], exec, s[10:11]
	s_cbranch_execz .LBB356_748
; %bb.743:
	s_mov_b32 s12, 0x387fffff
	v_cmp_lt_u32_e32 vcc, s12, v2
                                        ; implicit-def: $vgpr3
	s_and_saveexec_b64 s[12:13], vcc
	s_xor_b64 s[12:13], exec, s[12:13]
; %bb.744:
	v_bfe_u32 v3, v2, 21, 1
	s_mov_b32 s14, 0x80fffff
	v_add3_u32 v2, v2, v3, s14
	v_lshrrev_b32_e32 v3, 21, v2
                                        ; implicit-def: $vgpr2
; %bb.745:
	s_andn2_saveexec_b64 s[12:13], s[12:13]
; %bb.746:
	v_add_f32_e32 v3, 0x43000000, v2
; %bb.747:
	s_or_b64 exec, exec, s[12:13]
                                        ; implicit-def: $vgpr2
.LBB356_748:
	s_andn2_saveexec_b64 s[10:11], s[10:11]
; %bb.749:
	s_mov_b32 s12, 0x7f800000
	v_mov_b32_e32 v3, 0x7c
	v_mov_b32_e32 v4, 0x7f
	v_cmp_lt_u32_e32 vcc, s12, v2
	v_cndmask_b32_e32 v3, v3, v4, vcc
; %bb.750:
	s_or_b64 exec, exec, s[10:11]
	global_store_byte v[0:1], v3, off
.LBB356_751:
	s_mov_b64 s[12:13], 0
	s_mov_b64 s[10:11], -1
.LBB356_752:
	s_andn2_b64 vcc, exec, s[12:13]
	s_cbranch_vccnz .LBB356_760
; %bb.753:
	s_cmp_gt_i32 s17, 14
	s_mov_b64 s[12:13], -1
	s_cbranch_scc0 .LBB356_757
; %bb.754:
	s_cmp_eq_u32 s17, 15
	s_mov_b64 s[0:1], -1
	s_cbranch_scc0 .LBB356_756
; %bb.755:
	v_cndmask_b32_e64 v2, 0, 1.0, s[8:9]
	v_bfe_u32 v3, v2, 16, 1
	s_movk_i32 s0, 0x7fff
	v_add3_u32 v2, v2, v3, s0
	global_store_short_d16_hi v[0:1], v2, off
	s_mov_b64 s[10:11], -1
	s_mov_b64 s[0:1], 0
.LBB356_756:
	s_mov_b64 s[12:13], 0
.LBB356_757:
	s_and_b64 vcc, exec, s[12:13]
	s_cbranch_vccz .LBB356_760
; %bb.758:
	s_cmp_eq_u32 s17, 11
	s_mov_b64 s[0:1], -1
	s_cbranch_scc0 .LBB356_760
; %bb.759:
	v_cndmask_b32_e64 v2, 0, 1, s[8:9]
	s_mov_b64 s[10:11], -1
	s_mov_b64 s[0:1], 0
	global_store_byte v[0:1], v2, off
.LBB356_760:
	s_mov_b64 s[12:13], 0
.LBB356_761:
	s_and_b64 vcc, exec, s[12:13]
	s_cbranch_vccz .LBB356_800
; %bb.762:
	s_and_b32 s12, 0xffff, s16
	s_cmp_lt_i32 s12, 5
	s_mov_b64 s[10:11], -1
	s_cbranch_scc1 .LBB356_783
; %bb.763:
	s_cmp_lt_i32 s12, 8
	s_cbranch_scc1 .LBB356_773
; %bb.764:
	s_cmp_lt_i32 s12, 9
	s_cbranch_scc1 .LBB356_770
; %bb.765:
	s_cmp_gt_i32 s12, 9
	s_cbranch_scc0 .LBB356_767
; %bb.766:
	v_cndmask_b32_e64 v2, 0, 1, s[8:9]
	v_cvt_f64_u32_e32 v[2:3], v2
	v_mov_b32_e32 v4, 0
	v_mov_b32_e32 v5, v4
	s_mov_b64 s[10:11], 0
	global_store_dwordx4 v[0:1], v[2:5], off
.LBB356_767:
	s_andn2_b64 vcc, exec, s[10:11]
	s_cbranch_vccnz .LBB356_769
; %bb.768:
	v_cndmask_b32_e64 v2, 0, 1.0, s[8:9]
	v_mov_b32_e32 v3, 0
	global_store_dwordx2 v[0:1], v[2:3], off
.LBB356_769:
	s_mov_b64 s[10:11], 0
.LBB356_770:
	s_andn2_b64 vcc, exec, s[10:11]
	s_cbranch_vccnz .LBB356_772
; %bb.771:
	v_cndmask_b32_e64 v2, 0, 1.0, s[8:9]
	v_cvt_f16_f32_e32 v2, v2
	global_store_dword v[0:1], v2, off
.LBB356_772:
	s_mov_b64 s[10:11], 0
.LBB356_773:
	s_andn2_b64 vcc, exec, s[10:11]
	s_cbranch_vccnz .LBB356_782
; %bb.774:
	s_cmp_lt_i32 s12, 6
	s_mov_b64 s[10:11], -1
	s_cbranch_scc1 .LBB356_780
; %bb.775:
	s_cmp_gt_i32 s12, 6
	s_cbranch_scc0 .LBB356_777
; %bb.776:
	v_cndmask_b32_e64 v2, 0, 1, s[8:9]
	v_cvt_f64_u32_e32 v[2:3], v2
	s_mov_b64 s[10:11], 0
	global_store_dwordx2 v[0:1], v[2:3], off
.LBB356_777:
	s_andn2_b64 vcc, exec, s[10:11]
	s_cbranch_vccnz .LBB356_779
; %bb.778:
	v_cndmask_b32_e64 v2, 0, 1.0, s[8:9]
	global_store_dword v[0:1], v2, off
.LBB356_779:
	s_mov_b64 s[10:11], 0
.LBB356_780:
	s_andn2_b64 vcc, exec, s[10:11]
	s_cbranch_vccnz .LBB356_782
; %bb.781:
	v_cndmask_b32_e64 v2, 0, 1.0, s[8:9]
	v_cvt_f16_f32_e32 v2, v2
	global_store_short v[0:1], v2, off
.LBB356_782:
	s_mov_b64 s[10:11], 0
.LBB356_783:
	s_andn2_b64 vcc, exec, s[10:11]
	s_cbranch_vccnz .LBB356_799
; %bb.784:
	s_cmp_lt_i32 s12, 2
	s_mov_b64 s[10:11], -1
	s_cbranch_scc1 .LBB356_794
; %bb.785:
	s_cmp_lt_i32 s12, 3
	s_cbranch_scc1 .LBB356_791
; %bb.786:
	s_cmp_gt_i32 s12, 3
	s_cbranch_scc0 .LBB356_788
; %bb.787:
	s_mov_b32 s10, 0
	v_cndmask_b32_e64 v2, 0, 1, s[8:9]
	v_mov_b32_e32 v3, s10
	s_mov_b64 s[10:11], 0
	global_store_dwordx2 v[0:1], v[2:3], off
.LBB356_788:
	s_andn2_b64 vcc, exec, s[10:11]
	s_cbranch_vccnz .LBB356_790
; %bb.789:
	v_cndmask_b32_e64 v2, 0, 1, s[8:9]
	global_store_dword v[0:1], v2, off
.LBB356_790:
	s_mov_b64 s[10:11], 0
.LBB356_791:
	s_andn2_b64 vcc, exec, s[10:11]
	s_cbranch_vccnz .LBB356_793
; %bb.792:
	v_cndmask_b32_e64 v2, 0, 1, s[8:9]
	global_store_short v[0:1], v2, off
.LBB356_793:
	s_mov_b64 s[10:11], 0
.LBB356_794:
	s_andn2_b64 vcc, exec, s[10:11]
	s_cbranch_vccnz .LBB356_799
; %bb.795:
	s_mov_b64 s[10:11], -1
	s_cmp_gt_i32 s12, 0
	v_cndmask_b32_e64 v2, 0, 1, s[8:9]
	s_cbranch_scc0 .LBB356_797
; %bb.796:
	s_mov_b64 s[10:11], 0
	global_store_byte v[0:1], v2, off
.LBB356_797:
	s_andn2_b64 vcc, exec, s[10:11]
	s_cbranch_vccnz .LBB356_799
; %bb.798:
	global_store_byte v[0:1], v2, off
.LBB356_799:
	s_mov_b64 s[10:11], -1
.LBB356_800:
	s_andn2_b64 vcc, exec, s[10:11]
	s_cbranch_vccnz .LBB356_802
; %bb.801:
	v_add_u32_e32 v8, 0x80, v8
	s_mov_b64 s[8:9], -1
	s_branch .LBB356_804
.LBB356_802:
	s_mov_b64 s[8:9], 0
.LBB356_803:
                                        ; implicit-def: $vgpr8
.LBB356_804:
	s_andn2_b64 s[10:11], s[64:65], exec
	s_and_b64 s[0:1], s[0:1], exec
	s_or_b64 s[72:73], s[10:11], s[0:1]
	s_andn2_b64 s[0:1], s[62:63], exec
	s_and_b64 s[2:3], s[2:3], exec
	s_or_b64 s[70:71], s[0:1], s[2:3]
	s_orn2_b64 s[2:3], s[8:9], exec
.LBB356_805:
	s_or_b64 exec, exec, s[68:69]
	s_mov_b64 s[0:1], 0
	s_mov_b64 s[8:9], 0
	;; [unrolled: 1-line block ×3, first 2 shown]
                                        ; implicit-def: $vgpr1_vgpr2
                                        ; implicit-def: $vgpr0
                                        ; implicit-def: $vgpr3
	s_and_saveexec_b64 s[68:69], s[2:3]
	s_cbranch_execz .LBB356_900
; %bb.806:
	v_cmp_gt_i32_e32 vcc, s74, v8
	s_mov_b64 s[2:3], 0
	s_mov_b64 s[12:13], s[70:71]
                                        ; implicit-def: $vgpr1_vgpr2
                                        ; implicit-def: $vgpr0
                                        ; implicit-def: $vgpr3
	s_and_saveexec_b64 s[74:75], vcc
	s_cbranch_execz .LBB356_899
; %bb.807:
	s_andn2_b64 vcc, exec, s[40:41]
	s_cbranch_vccnz .LBB356_812
; %bb.808:
	s_andn2_b64 vcc, exec, s[54:55]
	s_cbranch_vccnz .LBB356_813
; %bb.809:
	s_add_i32 s79, s79, 1
	s_cmp_eq_u32 s76, 2
	s_cbranch_scc1 .LBB356_814
; %bb.810:
	s_and_b32 s44, s79, 28
	v_mov_b32_e32 v2, 0
	s_mov_b32 s80, 0
	s_mov_b64 s[54:55], s[34:35]
	v_mov_b32_e32 v0, 0
	v_mov_b32_e32 v1, v8
.LBB356_811:                            ; =>This Inner Loop Header: Depth=1
	s_load_dwordx8 s[16:23], s[54:55], 0x4
	s_load_dwordx4 s[0:3], s[54:55], 0x24
	s_load_dwordx8 s[8:15], s[52:53], 0x0
	s_add_u32 s54, s54, 48
	s_addc_u32 s55, s55, 0
	s_waitcnt vmcnt(0) lgkmcnt(0)
	v_mul_hi_u32 v3, s17, v1
	s_add_i32 s80, s80, 4
	s_add_u32 s52, s52, 32
	s_addc_u32 s53, s53, 0
	v_add_u32_e32 v3, v1, v3
	v_lshrrev_b32_e32 v3, s18, v3
	v_mul_lo_u32 v4, v3, s16
	v_mul_hi_u32 v5, s20, v3
	s_cmp_eq_u32 s44, s80
	v_sub_u32_e32 v1, v1, v4
	v_add_u32_e32 v4, v3, v5
	v_mul_lo_u32 v5, v1, s8
	v_mul_lo_u32 v6, v1, s9
	v_lshrrev_b32_e32 v1, s21, v4
	v_mul_lo_u32 v4, v1, s19
	v_mul_hi_u32 v7, s23, v1
	v_sub_u32_e32 v3, v3, v4
	v_add_u32_e32 v4, v1, v7
	v_lshrrev_b32_e32 v4, s0, v4
	v_mul_hi_u32 v9, s2, v4
	v_mul_lo_u32 v10, v4, s22
	v_mul_lo_u32 v7, v3, s10
	;; [unrolled: 1-line block ×3, first 2 shown]
	v_sub_u32_e32 v10, v1, v10
	v_add_u32_e32 v1, v4, v9
	v_lshrrev_b32_e32 v1, s3, v1
	v_mul_lo_u32 v9, v1, s1
	v_mul_lo_u32 v11, v10, s12
	;; [unrolled: 1-line block ×3, first 2 shown]
	v_add3_u32 v0, v5, v0, v7
	v_sub_u32_e32 v4, v4, v9
	v_mul_lo_u32 v9, v4, s14
	v_mul_lo_u32 v4, v4, s15
	v_add3_u32 v2, v6, v2, v3
	v_add3_u32 v0, v11, v0, v9
	;; [unrolled: 1-line block ×3, first 2 shown]
	s_cbranch_scc0 .LBB356_811
	s_branch .LBB356_815
.LBB356_812:
	s_mov_b64 s[0:1], -1
                                        ; implicit-def: $vgpr0
                                        ; implicit-def: $vgpr2
	s_branch .LBB356_819
.LBB356_813:
	v_mov_b32_e32 v0, 0
	v_mov_b32_e32 v2, 0
	s_branch .LBB356_818
.LBB356_814:
	s_mov_b32 s44, 0
	v_mov_b32_e32 v0, 0
	v_mov_b32_e32 v2, 0
	;; [unrolled: 1-line block ×3, first 2 shown]
.LBB356_815:
	s_and_b32 s8, s79, 3
	s_cmp_eq_u32 s8, 0
	s_cbranch_scc1 .LBB356_818
; %bb.816:
	s_lshl_b32 s0, s44, 3
	s_add_u32 s0, s34, s0
	s_addc_u32 s1, s35, 0
	s_add_u32 s0, s0, 0xc4
	s_addc_u32 s1, s1, 0
	s_mul_i32 s2, s44, 12
	s_add_u32 s2, s34, s2
	s_addc_u32 s3, s35, 0
.LBB356_817:                            ; =>This Inner Loop Header: Depth=1
	s_load_dwordx2 s[10:11], s[2:3], 0x4
	s_load_dword s9, s[2:3], 0xc
	s_load_dwordx2 s[12:13], s[0:1], 0x0
	s_add_u32 s2, s2, 12
	s_addc_u32 s3, s3, 0
	s_waitcnt vmcnt(0) lgkmcnt(0)
	v_mul_hi_u32 v3, s11, v1
	s_add_u32 s0, s0, 8
	s_addc_u32 s1, s1, 0
	s_add_i32 s8, s8, -1
	v_add_u32_e32 v3, v1, v3
	v_lshrrev_b32_e32 v4, s9, v3
	v_mul_lo_u32 v3, v4, s10
	s_cmp_lg_u32 s8, 0
	v_sub_u32_e32 v3, v1, v3
	v_mad_u64_u32 v[0:1], s[10:11], v3, s12, v[0:1]
	v_mad_u64_u32 v[2:3], s[10:11], v3, s13, v[2:3]
	v_mov_b32_e32 v1, v4
	s_cbranch_scc1 .LBB356_817
.LBB356_818:
	s_mov_b64 s[0:1], 0
.LBB356_819:
	s_andn2_b64 vcc, exec, s[0:1]
	s_cbranch_vccnz .LBB356_822
; %bb.820:
	v_mul_hi_u32 v0, s29, v8
	s_andn2_b64 vcc, exec, s[50:51]
	v_add_u32_e32 v0, v8, v0
	v_lshrrev_b32_e32 v1, s30, v0
	v_mul_lo_u32 v0, v1, s28
	v_sub_u32_e32 v2, v8, v0
	v_mul_lo_u32 v0, v2, s36
	v_mul_lo_u32 v2, v2, s37
	s_cbranch_vccnz .LBB356_822
; %bb.821:
	s_waitcnt vmcnt(0)
	v_mul_hi_u32 v3, s48, v1
	v_add_u32_e32 v3, v1, v3
	v_lshrrev_b32_e32 v3, s49, v3
	v_mul_lo_u32 v3, v3, s31
	v_sub_u32_e32 v3, v1, v3
	v_mad_u64_u32 v[0:1], s[0:1], v3, s38, v[0:1]
	v_mad_u64_u32 v[2:3], s[0:1], v3, s39, v[2:3]
.LBB356_822:
	s_waitcnt vmcnt(0)
	v_mov_b32_e32 v3, s27
	s_and_b32 s12, 0xffff, s78
	v_add_co_u32_e32 v1, vcc, s26, v2
	s_cmp_lt_i32 s12, 11
	v_addc_co_u32_e32 v2, vcc, 0, v3, vcc
	s_cbranch_scc1 .LBB356_829
; %bb.823:
	s_cmp_gt_i32 s12, 25
	s_mov_b64 s[2:3], 0
	s_cbranch_scc0 .LBB356_830
; %bb.824:
	s_cmp_gt_i32 s12, 28
	s_cbranch_scc0 .LBB356_831
; %bb.825:
	s_cmp_gt_i32 s12, 43
	;; [unrolled: 3-line block ×3, first 2 shown]
	s_cbranch_scc0 .LBB356_835
; %bb.827:
	s_cmp_eq_u32 s12, 46
	s_mov_b64 s[10:11], 0
	s_cbranch_scc0 .LBB356_838
; %bb.828:
	global_load_dword v3, v[1:2], off
	s_mov_b64 s[0:1], 0
	s_mov_b64 s[8:9], -1
	s_waitcnt vmcnt(0)
	v_lshlrev_b32_e32 v3, 16, v3
	v_cvt_u32_f32_e32 v3, v3
	s_branch .LBB356_839
.LBB356_829:
	s_mov_b64 s[12:13], -1
	s_mov_b64 s[8:9], 0
	s_mov_b64 s[2:3], 0
	;; [unrolled: 1-line block ×3, first 2 shown]
                                        ; implicit-def: $vgpr3
	s_branch .LBB356_898
.LBB356_830:
	s_mov_b64 s[10:11], -1
	s_mov_b64 s[8:9], 0
	s_mov_b64 s[0:1], s[70:71]
                                        ; implicit-def: $vgpr3
	s_branch .LBB356_866
.LBB356_831:
	s_mov_b64 s[10:11], -1
	s_mov_b64 s[8:9], 0
	s_mov_b64 s[0:1], s[70:71]
                                        ; implicit-def: $vgpr3
	s_branch .LBB356_849
.LBB356_832:
	s_mov_b64 s[10:11], -1
	s_mov_b64 s[8:9], 0
	s_mov_b64 s[0:1], s[70:71]
                                        ; implicit-def: $vgpr3
	s_branch .LBB356_844
.LBB356_833:
	s_andn2_saveexec_b64 s[14:15], s[14:15]
	s_cbranch_execz .LBB356_713
.LBB356_834:
	v_add_f32_e32 v2, 0x46000000, v3
	v_and_b32_e32 v2, 0xff, v2
	v_cmp_ne_u32_e32 vcc, 0, v2
	s_andn2_b64 s[12:13], s[12:13], exec
	s_and_b64 s[18:19], vcc, exec
	s_or_b64 s[12:13], s[12:13], s[18:19]
	s_or_b64 exec, exec, s[14:15]
	v_mov_b32_e32 v4, 0
	s_and_saveexec_b64 s[14:15], s[12:13]
	s_cbranch_execnz .LBB356_714
	s_branch .LBB356_715
.LBB356_835:
	s_mov_b64 s[10:11], -1
	s_mov_b64 s[8:9], 0
	s_mov_b64 s[0:1], s[70:71]
                                        ; implicit-def: $vgpr3
	s_branch .LBB356_839
.LBB356_836:
	s_andn2_saveexec_b64 s[14:15], s[14:15]
	s_cbranch_execz .LBB356_726
.LBB356_837:
	v_add_f32_e32 v2, 0x42800000, v3
	v_and_b32_e32 v2, 0xff, v2
	v_cmp_ne_u32_e32 vcc, 0, v2
	s_andn2_b64 s[12:13], s[12:13], exec
	s_and_b64 s[18:19], vcc, exec
	s_or_b64 s[12:13], s[12:13], s[18:19]
	s_or_b64 exec, exec, s[14:15]
	v_mov_b32_e32 v4, 0
	s_and_saveexec_b64 s[14:15], s[12:13]
	s_cbranch_execnz .LBB356_727
	s_branch .LBB356_728
.LBB356_838:
	s_mov_b64 s[0:1], -1
                                        ; implicit-def: $vgpr3
	s_mov_b64 s[8:9], 0
.LBB356_839:
	s_and_b64 vcc, exec, s[10:11]
	s_cbranch_vccz .LBB356_843
; %bb.840:
	s_cmp_eq_u32 s12, 44
	s_cbranch_scc0 .LBB356_842
; %bb.841:
	global_load_ubyte v3, v[1:2], off
	s_mov_b64 s[0:1], 0
	s_mov_b64 s[8:9], -1
	s_waitcnt vmcnt(0)
	v_lshlrev_b32_e32 v4, 23, v3
	v_cvt_u32_f32_e32 v4, v4
	v_cmp_ne_u32_e32 vcc, 0, v3
	v_cndmask_b32_e32 v3, 0, v4, vcc
	s_branch .LBB356_843
.LBB356_842:
	s_mov_b64 s[0:1], -1
                                        ; implicit-def: $vgpr3
.LBB356_843:
	s_mov_b64 s[10:11], 0
.LBB356_844:
	s_and_b64 vcc, exec, s[10:11]
	s_cbranch_vccz .LBB356_848
; %bb.845:
	s_cmp_eq_u32 s12, 29
	s_cbranch_scc0 .LBB356_847
; %bb.846:
	global_load_dword v3, v[1:2], off
	s_mov_b64 s[0:1], 0
	s_mov_b64 s[8:9], -1
	s_branch .LBB356_848
.LBB356_847:
	s_mov_b64 s[0:1], -1
                                        ; implicit-def: $vgpr3
.LBB356_848:
	s_mov_b64 s[10:11], 0
.LBB356_849:
	s_and_b64 vcc, exec, s[10:11]
	s_cbranch_vccz .LBB356_865
; %bb.850:
	s_cmp_lt_i32 s12, 27
	s_cbranch_scc1 .LBB356_853
; %bb.851:
	s_cmp_gt_i32 s12, 27
	s_cbranch_scc0 .LBB356_854
; %bb.852:
	global_load_dword v3, v[1:2], off
	s_mov_b64 s[8:9], 0
	s_branch .LBB356_855
.LBB356_853:
	s_mov_b64 s[8:9], -1
                                        ; implicit-def: $vgpr3
	s_branch .LBB356_858
.LBB356_854:
	s_mov_b64 s[8:9], -1
                                        ; implicit-def: $vgpr3
.LBB356_855:
	s_andn2_b64 vcc, exec, s[8:9]
	s_cbranch_vccnz .LBB356_857
; %bb.856:
	global_load_ushort v3, v[1:2], off
.LBB356_857:
	s_mov_b64 s[8:9], 0
.LBB356_858:
	s_andn2_b64 vcc, exec, s[8:9]
	s_cbranch_vccnz .LBB356_864
; %bb.859:
	global_load_ubyte v4, v[1:2], off
	s_movk_i32 s8, 0x7f
	s_mov_b64 s[10:11], 0
	s_waitcnt vmcnt(0)
	v_cmp_lt_i16_e32 vcc, s8, v4
	s_and_saveexec_b64 s[8:9], vcc
	s_xor_b64 s[8:9], exec, s[8:9]
	s_cbranch_execz .LBB356_876
; %bb.860:
	s_movk_i32 s10, 0x80
	v_cmp_ne_u16_e32 vcc, s10, v4
	s_and_b64 s[10:11], vcc, exec
	s_andn2_saveexec_b64 s[8:9], s[8:9]
	s_cbranch_execnz .LBB356_877
.LBB356_861:
	s_or_b64 exec, exec, s[8:9]
	v_mov_b32_e32 v3, 0
	s_and_saveexec_b64 s[8:9], s[10:11]
	s_cbranch_execz .LBB356_863
.LBB356_862:
	v_lshlrev_b32_e32 v3, 24, v4
	v_and_b32_e32 v4, 0xffff, v4
	v_and_b32_e32 v5, 7, v4
	v_ffbh_u32_e32 v7, v5
	v_min_u32_e32 v7, 32, v7
	v_subrev_u32_e32 v8, 28, v7
	v_bfe_u32 v6, v4, 3, 4
	v_lshlrev_b32_e32 v4, v8, v4
	v_sub_u32_e32 v7, 29, v7
	v_and_b32_e32 v4, 7, v4
	v_cmp_eq_u32_e32 vcc, 0, v6
	v_cndmask_b32_e32 v6, v6, v7, vcc
	v_cndmask_b32_e32 v4, v5, v4, vcc
	v_mov_b32_e32 v5, 0x3b800000
	v_lshlrev_b32_e32 v4, 20, v4
	v_and_b32_e32 v3, 0x80000000, v3
	v_lshl_add_u32 v5, v6, 23, v5
	v_or3_b32 v3, v3, v5, v4
	v_cvt_u32_f32_e32 v3, v3
.LBB356_863:
	s_or_b64 exec, exec, s[8:9]
.LBB356_864:
	s_mov_b64 s[8:9], -1
.LBB356_865:
	s_mov_b64 s[10:11], 0
.LBB356_866:
	s_and_b64 vcc, exec, s[10:11]
	s_cbranch_vccz .LBB356_897
; %bb.867:
	s_cmp_gt_i32 s12, 22
	s_cbranch_scc0 .LBB356_875
; %bb.868:
	s_cmp_lt_i32 s12, 24
	s_cbranch_scc1 .LBB356_878
; %bb.869:
	s_cmp_gt_i32 s12, 24
	s_cbranch_scc0 .LBB356_879
; %bb.870:
	global_load_ubyte v4, v[1:2], off
	s_movk_i32 s2, 0x7f
	s_mov_b64 s[8:9], 0
	s_waitcnt vmcnt(0)
	v_cmp_lt_i16_e32 vcc, s2, v4
	s_and_saveexec_b64 s[2:3], vcc
	s_xor_b64 s[2:3], exec, s[2:3]
	s_cbranch_execz .LBB356_891
; %bb.871:
	s_movk_i32 s8, 0x80
	v_cmp_ne_u16_e32 vcc, s8, v4
	s_and_b64 s[8:9], vcc, exec
	s_andn2_saveexec_b64 s[2:3], s[2:3]
	s_cbranch_execnz .LBB356_892
.LBB356_872:
	s_or_b64 exec, exec, s[2:3]
	v_mov_b32_e32 v3, 0
	s_and_saveexec_b64 s[2:3], s[8:9]
	s_cbranch_execz .LBB356_874
.LBB356_873:
	v_lshlrev_b32_e32 v3, 24, v4
	v_and_b32_e32 v4, 0xffff, v4
	v_and_b32_e32 v5, 3, v4
	v_ffbh_u32_e32 v7, v5
	v_min_u32_e32 v7, 32, v7
	v_subrev_u32_e32 v8, 29, v7
	v_bfe_u32 v6, v4, 2, 5
	v_lshlrev_b32_e32 v4, v8, v4
	v_sub_u32_e32 v7, 30, v7
	v_and_b32_e32 v4, 3, v4
	v_cmp_eq_u32_e32 vcc, 0, v6
	v_cndmask_b32_e32 v6, v6, v7, vcc
	v_cndmask_b32_e32 v4, v5, v4, vcc
	v_mov_b32_e32 v5, 0x37800000
	v_lshlrev_b32_e32 v4, 21, v4
	v_and_b32_e32 v3, 0x80000000, v3
	v_lshl_add_u32 v5, v6, 23, v5
	v_or3_b32 v3, v3, v5, v4
	v_cvt_u32_f32_e32 v3, v3
.LBB356_874:
	s_or_b64 exec, exec, s[2:3]
	s_mov_b64 s[2:3], 0
	s_branch .LBB356_880
.LBB356_875:
	s_mov_b64 s[2:3], -1
                                        ; implicit-def: $vgpr3
	s_branch .LBB356_886
.LBB356_876:
	s_andn2_saveexec_b64 s[8:9], s[8:9]
	s_cbranch_execz .LBB356_861
.LBB356_877:
	v_cmp_ne_u16_e32 vcc, 0, v4
	s_andn2_b64 s[10:11], s[10:11], exec
	s_and_b64 s[14:15], vcc, exec
	s_or_b64 s[10:11], s[10:11], s[14:15]
	s_or_b64 exec, exec, s[8:9]
	v_mov_b32_e32 v3, 0
	s_and_saveexec_b64 s[8:9], s[10:11]
	s_cbranch_execnz .LBB356_862
	s_branch .LBB356_863
.LBB356_878:
	s_mov_b64 s[2:3], -1
                                        ; implicit-def: $vgpr3
	s_branch .LBB356_883
.LBB356_879:
	s_mov_b64 s[2:3], -1
                                        ; implicit-def: $vgpr3
.LBB356_880:
	s_and_b64 vcc, exec, s[2:3]
	s_cbranch_vccz .LBB356_882
; %bb.881:
	global_load_ubyte v3, v[1:2], off
	s_mov_b32 s2, 0x7f800000
	s_waitcnt vmcnt(0)
	v_lshlrev_b32_e32 v3, 24, v3
	v_and_b32_e32 v4, 0x7f000000, v3
	v_ffbh_u32_e32 v5, v4
	v_min_u32_e32 v5, 32, v5
	v_sub_u32_e64 v5, v5, 4 clamp
	v_lshlrev_b32_e32 v7, v5, v4
	v_lshlrev_b32_e32 v5, 23, v5
	v_lshrrev_b32_e32 v7, 4, v7
	v_add_u32_e32 v6, 0x1000000, v4
	v_sub_u32_e32 v5, v7, v5
	v_ashrrev_i32_e32 v6, 8, v6
	v_add_u32_e32 v5, 0x3c000000, v5
	v_and_or_b32 v5, v6, s2, v5
	v_cmp_ne_u32_e32 vcc, 0, v4
	v_cndmask_b32_e32 v4, 0, v5, vcc
	s_brev_b32 s2, 1
	v_and_or_b32 v3, v3, s2, v4
	v_cvt_u32_f32_e32 v3, v3
.LBB356_882:
	s_mov_b64 s[2:3], 0
.LBB356_883:
	s_andn2_b64 vcc, exec, s[2:3]
	s_cbranch_vccnz .LBB356_885
; %bb.884:
	global_load_ubyte v3, v[1:2], off
	s_movk_i32 s2, 0x7f00
	s_brev_b32 s3, 16
	s_waitcnt vmcnt(0)
	v_lshlrev_b16_e32 v4, 8, v3
	v_lshlrev_b32_e32 v3, 25, v3
	v_lshrrev_b32_e32 v5, 4, v3
	v_and_or_b32 v6, v4, s2, 0.5
	v_or_b32_e32 v5, 0x70000000, v5
	v_add_f32_e32 v6, -0.5, v6
	v_mul_f32_e32 v5, 0x7800000, v5
	v_cmp_gt_u32_e32 vcc, s3, v3
	v_bfe_i32 v4, v4, 0, 16
	v_cndmask_b32_e32 v3, v5, v6, vcc
	s_brev_b32 s2, 1
	v_and_or_b32 v3, v4, s2, v3
	v_cvt_u32_f32_e32 v3, v3
.LBB356_885:
	s_mov_b64 s[2:3], 0
	s_mov_b64 s[8:9], -1
.LBB356_886:
	s_andn2_b64 vcc, exec, s[2:3]
	s_mov_b64 s[2:3], 0
	s_cbranch_vccnz .LBB356_897
; %bb.887:
	s_cmp_gt_i32 s12, 14
	s_cbranch_scc0 .LBB356_890
; %bb.888:
	s_cmp_eq_u32 s12, 15
	s_cbranch_scc0 .LBB356_893
; %bb.889:
	global_load_ushort v3, v[1:2], off
	s_mov_b64 s[0:1], 0
	s_mov_b64 s[8:9], -1
	s_waitcnt vmcnt(0)
	v_lshlrev_b32_e32 v3, 16, v3
	v_cvt_u32_f32_e32 v3, v3
	s_branch .LBB356_894
.LBB356_890:
	s_mov_b64 s[10:11], -1
                                        ; implicit-def: $vgpr3
	s_branch .LBB356_895
.LBB356_891:
	s_andn2_saveexec_b64 s[2:3], s[2:3]
	s_cbranch_execz .LBB356_872
.LBB356_892:
	v_cmp_ne_u16_e32 vcc, 0, v4
	s_andn2_b64 s[8:9], s[8:9], exec
	s_and_b64 s[10:11], vcc, exec
	s_or_b64 s[8:9], s[8:9], s[10:11]
	s_or_b64 exec, exec, s[2:3]
	v_mov_b32_e32 v3, 0
	s_and_saveexec_b64 s[2:3], s[8:9]
	s_cbranch_execnz .LBB356_873
	s_branch .LBB356_874
.LBB356_893:
	s_mov_b64 s[0:1], -1
                                        ; implicit-def: $vgpr3
.LBB356_894:
	s_mov_b64 s[10:11], 0
.LBB356_895:
	s_and_b64 vcc, exec, s[10:11]
	s_cbranch_vccz .LBB356_897
; %bb.896:
	s_cmp_lg_u32 s12, 11
	s_cselect_b64 s[10:11], -1, 0
	s_andn2_b64 s[0:1], s[0:1], exec
	s_and_b64 s[10:11], s[10:11], exec
	s_mov_b64 s[2:3], -1
	s_or_b64 s[0:1], s[0:1], s[10:11]
.LBB356_897:
	s_mov_b64 s[12:13], 0
.LBB356_898:
	s_and_b64 s[10:11], s[8:9], exec
	s_and_b64 s[8:9], s[12:13], exec
	s_andn2_b64 s[12:13], s[70:71], exec
	s_and_b64 s[0:1], s[0:1], exec
	s_and_b64 s[2:3], s[2:3], exec
	s_or_b64 s[12:13], s[12:13], s[0:1]
.LBB356_899:
	s_or_b64 exec, exec, s[74:75]
	s_and_b64 s[0:1], s[2:3], exec
	s_andn2_b64 s[2:3], s[70:71], exec
	s_and_b64 s[12:13], s[12:13], exec
	s_and_b64 s[10:11], s[10:11], exec
	;; [unrolled: 1-line block ×3, first 2 shown]
	s_or_b64 s[70:71], s[2:3], s[12:13]
.LBB356_900:
	s_or_b64 exec, exec, s[68:69]
	s_andn2_b64 s[2:3], s[64:65], exec
	s_and_b64 s[12:13], s[72:73], exec
	s_or_b64 s[64:65], s[2:3], s[12:13]
	s_and_b64 s[2:3], s[0:1], exec
	s_andn2_b64 s[0:1], s[62:63], exec
	s_and_b64 s[12:13], s[70:71], exec
	s_and_b64 s[10:11], s[10:11], exec
	;; [unrolled: 1-line block ×3, first 2 shown]
	s_or_b64 s[62:63], s[0:1], s[12:13]
.LBB356_901:
	s_or_b64 exec, exec, s[66:67]
	s_andn2_b64 s[0:1], s[56:57], exec
	s_and_b64 s[12:13], s[64:65], exec
	s_or_b64 s[56:57], s[0:1], s[12:13]
	s_and_b64 s[0:1], s[10:11], exec
	s_and_b64 s[10:11], s[8:9], exec
	;; [unrolled: 1-line block ×3, first 2 shown]
	s_andn2_b64 s[2:3], s[58:59], exec
	s_and_b64 s[8:9], s[62:63], exec
	s_or_b64 s[58:59], s[2:3], s[8:9]
	s_or_b64 exec, exec, s[60:61]
	s_mov_b64 s[2:3], 0
	s_and_saveexec_b64 s[8:9], s[58:59]
	s_cbranch_execz .LBB356_270
.LBB356_902:
	s_mov_b64 s[2:3], exec
	s_andn2_b64 s[64:65], s[64:65], exec
	s_trap 2
	s_or_b64 exec, exec, s[8:9]
	s_and_saveexec_b64 s[8:9], s[64:65]
	s_xor_b64 s[8:9], exec, s[8:9]
	s_cbranch_execnz .LBB356_271
.LBB356_903:
	s_or_b64 exec, exec, s[8:9]
	s_and_saveexec_b64 s[8:9], s[10:11]
	s_cbranch_execz .LBB356_949
.LBB356_904:
	s_sext_i32_i16 s10, s78
	s_cmp_lt_i32 s10, 5
	s_cbranch_scc1 .LBB356_909
; %bb.905:
	s_cmp_lt_i32 s10, 8
	s_cbranch_scc1 .LBB356_910
; %bb.906:
	;; [unrolled: 3-line block ×3, first 2 shown]
	s_cmp_gt_i32 s10, 9
	s_cbranch_scc0 .LBB356_912
; %bb.908:
	global_load_dwordx2 v[3:4], v[1:2], off
	s_mov_b64 s[10:11], 0
	s_waitcnt vmcnt(0)
	v_cvt_u32_f64_e32 v3, v[3:4]
	s_branch .LBB356_913
.LBB356_909:
                                        ; implicit-def: $vgpr3
	s_branch .LBB356_930
.LBB356_910:
                                        ; implicit-def: $vgpr3
	s_branch .LBB356_919
.LBB356_911:
	s_mov_b64 s[10:11], -1
                                        ; implicit-def: $vgpr3
	s_branch .LBB356_916
.LBB356_912:
	s_mov_b64 s[10:11], -1
                                        ; implicit-def: $vgpr3
.LBB356_913:
	s_andn2_b64 vcc, exec, s[10:11]
	s_cbranch_vccnz .LBB356_915
; %bb.914:
	global_load_dword v3, v[1:2], off
	s_waitcnt vmcnt(0)
	v_cvt_u32_f32_e32 v3, v3
.LBB356_915:
	s_mov_b64 s[10:11], 0
.LBB356_916:
	s_andn2_b64 vcc, exec, s[10:11]
	s_cbranch_vccnz .LBB356_918
; %bb.917:
	global_load_dword v3, v[1:2], off
	s_waitcnt vmcnt(0)
	v_cvt_f32_f16_e32 v3, v3
	v_cvt_u32_f32_e32 v3, v3
.LBB356_918:
	s_cbranch_execnz .LBB356_929
.LBB356_919:
	s_sext_i32_i16 s10, s78
	s_cmp_lt_i32 s10, 6
	s_cbranch_scc1 .LBB356_922
; %bb.920:
	s_cmp_gt_i32 s10, 6
	s_cbranch_scc0 .LBB356_923
; %bb.921:
	global_load_dwordx2 v[3:4], v[1:2], off
	s_mov_b64 s[10:11], 0
	s_waitcnt vmcnt(0)
	v_cvt_u32_f64_e32 v3, v[3:4]
	s_branch .LBB356_924
.LBB356_922:
	s_mov_b64 s[10:11], -1
                                        ; implicit-def: $vgpr3
	s_branch .LBB356_927
.LBB356_923:
	s_mov_b64 s[10:11], -1
                                        ; implicit-def: $vgpr3
.LBB356_924:
	s_andn2_b64 vcc, exec, s[10:11]
	s_cbranch_vccnz .LBB356_926
; %bb.925:
	global_load_dword v3, v[1:2], off
	s_waitcnt vmcnt(0)
	v_cvt_u32_f32_e32 v3, v3
.LBB356_926:
	s_mov_b64 s[10:11], 0
.LBB356_927:
	s_andn2_b64 vcc, exec, s[10:11]
	s_cbranch_vccnz .LBB356_929
; %bb.928:
	global_load_ushort v3, v[1:2], off
	s_waitcnt vmcnt(0)
	v_cvt_f32_f16_e32 v3, v3
	v_cvt_u32_f32_e32 v3, v3
.LBB356_929:
	s_cbranch_execnz .LBB356_948
.LBB356_930:
	s_sext_i32_i16 s10, s78
	s_cmp_lt_i32 s10, 2
	s_cbranch_scc1 .LBB356_934
; %bb.931:
	s_cmp_lt_i32 s10, 3
	s_cbranch_scc1 .LBB356_935
; %bb.932:
	s_cmp_gt_i32 s10, 3
	s_cbranch_scc0 .LBB356_936
; %bb.933:
	global_load_dword v3, v[1:2], off
	s_mov_b64 s[10:11], 0
	s_branch .LBB356_937
.LBB356_934:
                                        ; implicit-def: $vgpr3
	s_branch .LBB356_943
.LBB356_935:
	s_mov_b64 s[10:11], -1
                                        ; implicit-def: $vgpr3
	s_branch .LBB356_940
.LBB356_936:
	s_mov_b64 s[10:11], -1
                                        ; implicit-def: $vgpr3
.LBB356_937:
	s_andn2_b64 vcc, exec, s[10:11]
	s_cbranch_vccnz .LBB356_939
; %bb.938:
	global_load_dword v3, v[1:2], off
.LBB356_939:
	s_mov_b64 s[10:11], 0
.LBB356_940:
	s_andn2_b64 vcc, exec, s[10:11]
	s_cbranch_vccnz .LBB356_942
; %bb.941:
	global_load_sshort v3, v[1:2], off
.LBB356_942:
	s_cbranch_execnz .LBB356_948
.LBB356_943:
	s_sext_i32_i16 s10, s78
	s_cmp_gt_i32 s10, 0
	s_cbranch_scc0 .LBB356_945
; %bb.944:
	global_load_sbyte v3, v[1:2], off
	s_mov_b64 s[10:11], 0
	s_branch .LBB356_946
.LBB356_945:
	s_mov_b64 s[10:11], -1
                                        ; implicit-def: $vgpr3
.LBB356_946:
	s_andn2_b64 vcc, exec, s[10:11]
	s_cbranch_vccnz .LBB356_948
; %bb.947:
	global_load_ubyte v3, v[1:2], off
.LBB356_948:
	s_or_b64 s[0:1], s[0:1], exec
.LBB356_949:
	s_or_b64 exec, exec, s[8:9]
	s_mov_b64 s[14:15], 0
	s_mov_b64 s[12:13], 0
                                        ; implicit-def: $sgpr8_sgpr9
                                        ; implicit-def: $sgpr20
                                        ; implicit-def: $vgpr1_vgpr2
	s_and_saveexec_b64 s[10:11], s[0:1]
	s_cbranch_execz .LBB356_1024
; %bb.950:
	s_waitcnt vmcnt(0)
	v_cmp_ne_u32_e32 vcc, s45, v3
	s_xor_b64 s[8:9], s[46:47], vcc
	v_mov_b32_e32 v2, s25
	s_and_b32 s20, s77, 0xff
	v_add_co_u32_e32 v1, vcc, s24, v0
	s_cmp_lt_i32 s20, 11
	v_addc_co_u32_e32 v2, vcc, 0, v2, vcc
	s_cbranch_scc1 .LBB356_1027
; %bb.951:
	s_and_b32 s21, 0xffff, s20
	s_mov_b64 s[14:15], -1
	s_cmp_gt_i32 s21, 25
	s_mov_b64 s[0:1], s[56:57]
	s_cbranch_scc0 .LBB356_984
; %bb.952:
	s_mov_b64 s[12:13], -1
	s_cmp_gt_i32 s21, 28
	s_mov_b64 s[0:1], s[56:57]
	s_cbranch_scc0 .LBB356_968
; %bb.953:
	s_cmp_gt_i32 s21, 43
	s_mov_b64 s[0:1], s[56:57]
	s_cbranch_scc0 .LBB356_964
; %bb.954:
	;; [unrolled: 4-line block ×3, first 2 shown]
	s_cmp_eq_u32 s21, 46
	s_mov_b64 s[0:1], -1
	s_cbranch_scc0 .LBB356_957
; %bb.956:
	v_cndmask_b32_e64 v0, 0, 1.0, s[8:9]
	v_bfe_u32 v3, v0, 16, 1
	s_movk_i32 s0, 0x7fff
	v_add3_u32 v0, v0, v3, s0
	v_lshrrev_b32_e32 v0, 16, v0
	global_store_dword v[1:2], v0, off
	s_mov_b64 s[0:1], 0
.LBB356_957:
	s_mov_b64 s[12:13], 0
.LBB356_958:
	s_and_b64 vcc, exec, s[12:13]
	s_cbranch_vccz .LBB356_963
; %bb.959:
	s_cmp_eq_u32 s21, 44
	s_mov_b64 s[0:1], -1
	s_cbranch_scc0 .LBB356_963
; %bb.960:
	v_cndmask_b32_e64 v3, 0, 1.0, s[8:9]
	v_lshrrev_b32_e32 v0, 23, v3
	s_movk_i32 s0, 0xff
	v_cmp_ne_u32_e32 vcc, s0, v0
	v_mov_b32_e32 v4, 0xff
	s_and_saveexec_b64 s[12:13], vcc
; %bb.961:
	s_mov_b32 s0, 0x3fffff
	v_and_b32_e32 v4, 0x400000, v3
	v_and_or_b32 v3, v3, s0, v0
	v_cmp_ne_u32_e32 vcc, 0, v4
	v_cmp_ne_u32_e64 s[0:1], 0, v3
	s_and_b64 s[0:1], vcc, s[0:1]
	v_cndmask_b32_e64 v3, 0, 1, s[0:1]
	v_add_u32_e32 v4, v0, v3
; %bb.962:
	s_or_b64 exec, exec, s[12:13]
	s_mov_b64 s[0:1], 0
	global_store_byte v[1:2], v4, off
.LBB356_963:
	s_mov_b64 s[12:13], 0
.LBB356_964:
	s_and_b64 vcc, exec, s[12:13]
	s_cbranch_vccz .LBB356_967
; %bb.965:
	s_cmp_eq_u32 s21, 29
	s_mov_b64 s[0:1], -1
	s_cbranch_scc0 .LBB356_967
; %bb.966:
	s_mov_b32 s0, 0
	v_cndmask_b32_e64 v3, 0, 1, s[8:9]
	v_mov_b32_e32 v4, s0
	global_store_dwordx2 v[1:2], v[3:4], off
	s_mov_b64 s[0:1], 0
.LBB356_967:
	s_mov_b64 s[12:13], 0
.LBB356_968:
	s_and_b64 vcc, exec, s[12:13]
	s_cbranch_vccz .LBB356_983
; %bb.969:
	s_cmp_lt_i32 s21, 27
	s_mov_b64 s[12:13], -1
	s_cbranch_scc1 .LBB356_975
; %bb.970:
	s_cmp_gt_i32 s21, 27
	s_cbranch_scc0 .LBB356_972
; %bb.971:
	v_cndmask_b32_e64 v0, 0, 1, s[8:9]
	s_mov_b64 s[12:13], 0
	global_store_dword v[1:2], v0, off
.LBB356_972:
	s_andn2_b64 vcc, exec, s[12:13]
	s_cbranch_vccnz .LBB356_974
; %bb.973:
	v_cndmask_b32_e64 v0, 0, 1, s[8:9]
	global_store_short v[1:2], v0, off
.LBB356_974:
	s_mov_b64 s[12:13], 0
.LBB356_975:
	s_andn2_b64 vcc, exec, s[12:13]
	s_cbranch_vccnz .LBB356_983
; %bb.976:
	v_cndmask_b32_e64 v3, 0, 1.0, s[8:9]
	s_mov_b32 s12, 0x43800000
	v_cmp_gt_u32_e32 vcc, s12, v3
	v_mov_b32_e32 v4, 0x80
	s_and_saveexec_b64 s[12:13], vcc
	s_cbranch_execz .LBB356_982
; %bb.977:
	s_mov_b32 s14, 0x3bffffff
	v_cmp_lt_u32_e32 vcc, s14, v3
	s_mov_b64 s[14:15], 0
                                        ; implicit-def: $vgpr0
	s_and_saveexec_b64 s[16:17], vcc
	s_xor_b64 s[16:17], exec, s[16:17]
	s_cbranch_execz .LBB356_1140
; %bb.978:
	v_bfe_u32 v0, v3, 20, 1
	s_mov_b32 s18, 0x487ffff
	v_add3_u32 v0, v3, v0, s18
	s_mov_b64 s[14:15], exec
	v_lshrrev_b32_e32 v0, 20, v0
                                        ; implicit-def: $vgpr3
	s_andn2_saveexec_b64 s[16:17], s[16:17]
	s_cbranch_execnz .LBB356_1141
.LBB356_979:
	s_or_b64 exec, exec, s[16:17]
	v_mov_b32_e32 v4, 0
	s_and_saveexec_b64 s[16:17], s[14:15]
.LBB356_980:
	v_mov_b32_e32 v4, v0
.LBB356_981:
	s_or_b64 exec, exec, s[16:17]
.LBB356_982:
	s_or_b64 exec, exec, s[12:13]
	global_store_byte v[1:2], v4, off
.LBB356_983:
	s_mov_b64 s[14:15], 0
.LBB356_984:
	s_mov_b64 s[12:13], 0
	s_and_b64 vcc, exec, s[14:15]
	s_cbranch_vccz .LBB356_1028
; %bb.985:
	s_cmp_gt_i32 s21, 22
	s_mov_b64 s[14:15], -1
	s_cbranch_scc0 .LBB356_1017
; %bb.986:
	s_cmp_lt_i32 s21, 24
	s_cbranch_scc1 .LBB356_1006
; %bb.987:
	s_cmp_gt_i32 s21, 24
	s_cbranch_scc0 .LBB356_995
; %bb.988:
	v_cndmask_b32_e64 v3, 0, 1.0, s[8:9]
	s_mov_b32 s14, 0x47800000
	v_cmp_gt_u32_e32 vcc, s14, v3
	v_mov_b32_e32 v4, 0x80
	s_and_saveexec_b64 s[14:15], vcc
	s_cbranch_execz .LBB356_994
; %bb.989:
	s_mov_b32 s16, 0x37ffffff
	v_cmp_lt_u32_e32 vcc, s16, v3
	s_mov_b64 s[16:17], 0
                                        ; implicit-def: $vgpr0
	s_and_saveexec_b64 s[18:19], vcc
	s_xor_b64 s[18:19], exec, s[18:19]
	s_cbranch_execz .LBB356_1260
; %bb.990:
	v_bfe_u32 v0, v3, 21, 1
	s_mov_b32 s22, 0x88fffff
	v_add3_u32 v0, v3, v0, s22
	s_mov_b64 s[16:17], exec
	v_lshrrev_b32_e32 v0, 21, v0
                                        ; implicit-def: $vgpr3
	s_andn2_saveexec_b64 s[18:19], s[18:19]
	s_cbranch_execnz .LBB356_1261
.LBB356_991:
	s_or_b64 exec, exec, s[18:19]
	v_mov_b32_e32 v4, 0
	s_and_saveexec_b64 s[18:19], s[16:17]
.LBB356_992:
	v_mov_b32_e32 v4, v0
.LBB356_993:
	s_or_b64 exec, exec, s[18:19]
.LBB356_994:
	s_or_b64 exec, exec, s[14:15]
	s_mov_b64 s[14:15], 0
	global_store_byte v[1:2], v4, off
.LBB356_995:
	s_and_b64 vcc, exec, s[14:15]
	s_cbranch_vccz .LBB356_1005
; %bb.996:
	v_cndmask_b32_e64 v0, 0, 1.0, s[8:9]
	s_mov_b32 s14, 0x43f00000
	v_cmp_gt_u32_e32 vcc, s14, v0
                                        ; implicit-def: $vgpr3
	s_and_saveexec_b64 s[14:15], vcc
	s_xor_b64 s[14:15], exec, s[14:15]
	s_cbranch_execz .LBB356_1002
; %bb.997:
	s_mov_b32 s16, 0x3c7fffff
	v_cmp_lt_u32_e32 vcc, s16, v0
                                        ; implicit-def: $vgpr3
	s_and_saveexec_b64 s[16:17], vcc
	s_xor_b64 s[16:17], exec, s[16:17]
; %bb.998:
	v_bfe_u32 v3, v0, 20, 1
	s_mov_b32 s18, 0x407ffff
	v_add3_u32 v0, v0, v3, s18
	v_lshrrev_b32_e32 v3, 20, v0
	v_and_b32_e32 v0, 0xff00000, v0
	s_mov_b32 s18, 0x7f00000
	v_mov_b32_e32 v4, 0x7e
	v_cmp_ne_u32_e32 vcc, s18, v0
	v_cndmask_b32_e32 v3, v4, v3, vcc
                                        ; implicit-def: $vgpr0
; %bb.999:
	s_andn2_saveexec_b64 s[16:17], s[16:17]
; %bb.1000:
	v_add_f32_e32 v3, 0x46800000, v0
; %bb.1001:
	s_or_b64 exec, exec, s[16:17]
                                        ; implicit-def: $vgpr0
.LBB356_1002:
	s_andn2_saveexec_b64 s[14:15], s[14:15]
; %bb.1003:
	s_mov_b32 s16, 0x7f800000
	v_mov_b32_e32 v3, 0x7e
	v_mov_b32_e32 v4, 0x7f
	v_cmp_lt_u32_e32 vcc, s16, v0
	v_cndmask_b32_e32 v3, v3, v4, vcc
; %bb.1004:
	s_or_b64 exec, exec, s[14:15]
	global_store_byte v[1:2], v3, off
.LBB356_1005:
	s_mov_b64 s[14:15], 0
.LBB356_1006:
	s_andn2_b64 vcc, exec, s[14:15]
	s_cbranch_vccnz .LBB356_1016
; %bb.1007:
	v_cndmask_b32_e64 v0, 0, 1.0, s[8:9]
	s_mov_b32 s14, 0x47800000
	v_cmp_gt_u32_e32 vcc, s14, v0
                                        ; implicit-def: $vgpr3
	s_and_saveexec_b64 s[14:15], vcc
	s_xor_b64 s[14:15], exec, s[14:15]
	s_cbranch_execz .LBB356_1013
; %bb.1008:
	s_mov_b32 s16, 0x387fffff
	v_cmp_lt_u32_e32 vcc, s16, v0
                                        ; implicit-def: $vgpr3
	s_and_saveexec_b64 s[16:17], vcc
	s_xor_b64 s[16:17], exec, s[16:17]
; %bb.1009:
	v_bfe_u32 v3, v0, 21, 1
	s_mov_b32 s18, 0x80fffff
	v_add3_u32 v0, v0, v3, s18
	v_lshrrev_b32_e32 v3, 21, v0
                                        ; implicit-def: $vgpr0
; %bb.1010:
	s_andn2_saveexec_b64 s[16:17], s[16:17]
; %bb.1011:
	v_add_f32_e32 v3, 0x43000000, v0
; %bb.1012:
	s_or_b64 exec, exec, s[16:17]
                                        ; implicit-def: $vgpr0
.LBB356_1013:
	s_andn2_saveexec_b64 s[14:15], s[14:15]
; %bb.1014:
	s_mov_b32 s16, 0x7f800000
	v_mov_b32_e32 v3, 0x7c
	v_mov_b32_e32 v4, 0x7f
	v_cmp_lt_u32_e32 vcc, s16, v0
	v_cndmask_b32_e32 v3, v3, v4, vcc
; %bb.1015:
	s_or_b64 exec, exec, s[14:15]
	global_store_byte v[1:2], v3, off
.LBB356_1016:
	s_mov_b64 s[14:15], 0
.LBB356_1017:
	s_andn2_b64 vcc, exec, s[14:15]
	s_mov_b64 s[14:15], 0
	s_cbranch_vccnz .LBB356_1029
; %bb.1018:
	s_cmp_gt_i32 s21, 14
	s_mov_b64 s[16:17], -1
	s_cbranch_scc0 .LBB356_1022
; %bb.1019:
	s_cmp_eq_u32 s21, 15
	s_mov_b64 s[0:1], -1
	s_cbranch_scc0 .LBB356_1021
; %bb.1020:
	v_cndmask_b32_e64 v0, 0, 1.0, s[8:9]
	v_bfe_u32 v3, v0, 16, 1
	s_movk_i32 s0, 0x7fff
	v_add3_u32 v0, v0, v3, s0
	global_store_short_d16_hi v[1:2], v0, off
	s_mov_b64 s[0:1], 0
.LBB356_1021:
	s_mov_b64 s[16:17], 0
.LBB356_1022:
	s_and_b64 vcc, exec, s[16:17]
	s_cbranch_vccz .LBB356_1029
; %bb.1023:
	s_cmp_lg_u32 s21, 11
	s_cselect_b64 s[16:17], -1, 0
	s_andn2_b64 s[0:1], s[0:1], exec
	s_and_b64 s[16:17], s[16:17], exec
	s_mov_b64 s[14:15], -1
	s_or_b64 s[0:1], s[0:1], s[16:17]
	s_branch .LBB356_1029
.LBB356_1024:
	s_or_b64 exec, exec, s[10:11]
	s_and_saveexec_b64 s[0:1], s[56:57]
	s_cbranch_execnz .LBB356_1030
.LBB356_1025:
	s_or_b64 exec, exec, s[0:1]
	s_and_saveexec_b64 s[0:1], s[14:15]
	s_xor_b64 s[0:1], exec, s[0:1]
	s_cbranch_execz .LBB356_1031
.LBB356_1026:
	v_cndmask_b32_e64 v0, 0, 1, s[8:9]
	global_store_byte v[1:2], v0, off
	s_or_b64 exec, exec, s[0:1]
	s_and_saveexec_b64 s[0:1], s[12:13]
	s_xor_b64 s[0:1], exec, s[0:1]
	s_cbranch_execz .LBB356_1069
	s_branch .LBB356_1032
.LBB356_1027:
	s_mov_b64 s[12:13], -1
	s_mov_b64 s[0:1], s[56:57]
	s_branch .LBB356_1029
.LBB356_1028:
	s_mov_b64 s[14:15], 0
.LBB356_1029:
	s_andn2_b64 s[16:17], s[56:57], exec
	s_and_b64 s[0:1], s[0:1], exec
	s_and_b64 s[12:13], s[12:13], exec
	;; [unrolled: 1-line block ×3, first 2 shown]
	s_or_b64 s[56:57], s[16:17], s[0:1]
	s_or_b64 exec, exec, s[10:11]
	s_and_saveexec_b64 s[0:1], s[56:57]
	s_cbranch_execz .LBB356_1025
.LBB356_1030:
	s_or_b64 s[2:3], s[2:3], exec
	s_andn2_b64 s[14:15], s[14:15], exec
	s_trap 2
	s_or_b64 exec, exec, s[0:1]
	s_and_saveexec_b64 s[0:1], s[14:15]
	s_xor_b64 s[0:1], exec, s[0:1]
	s_cbranch_execnz .LBB356_1026
.LBB356_1031:
	s_or_b64 exec, exec, s[0:1]
	s_and_saveexec_b64 s[0:1], s[12:13]
	s_xor_b64 s[0:1], exec, s[0:1]
	s_cbranch_execz .LBB356_1069
.LBB356_1032:
	s_sext_i32_i16 s12, s20
	s_cmp_lt_i32 s12, 5
	s_mov_b64 s[10:11], -1
	s_cbranch_scc1 .LBB356_1053
; %bb.1033:
	s_cmp_lt_i32 s12, 8
	s_cbranch_scc1 .LBB356_1043
; %bb.1034:
	s_cmp_lt_i32 s12, 9
	s_cbranch_scc1 .LBB356_1040
; %bb.1035:
	s_cmp_gt_i32 s12, 9
	s_cbranch_scc0 .LBB356_1037
; %bb.1036:
	v_cndmask_b32_e64 v0, 0, 1, s[8:9]
	s_waitcnt vmcnt(0)
	v_cvt_f64_u32_e32 v[3:4], v0
	v_mov_b32_e32 v5, 0
	v_mov_b32_e32 v6, v5
	s_mov_b64 s[10:11], 0
	global_store_dwordx4 v[1:2], v[3:6], off
.LBB356_1037:
	s_andn2_b64 vcc, exec, s[10:11]
	s_cbranch_vccnz .LBB356_1039
; %bb.1038:
	s_waitcnt vmcnt(0)
	v_cndmask_b32_e64 v3, 0, 1.0, s[8:9]
	v_mov_b32_e32 v4, 0
	global_store_dwordx2 v[1:2], v[3:4], off
.LBB356_1039:
	s_mov_b64 s[10:11], 0
.LBB356_1040:
	s_andn2_b64 vcc, exec, s[10:11]
	s_cbranch_vccnz .LBB356_1042
; %bb.1041:
	v_cndmask_b32_e64 v0, 0, 1.0, s[8:9]
	v_cvt_f16_f32_e32 v0, v0
	global_store_dword v[1:2], v0, off
.LBB356_1042:
	s_mov_b64 s[10:11], 0
.LBB356_1043:
	s_andn2_b64 vcc, exec, s[10:11]
	s_cbranch_vccnz .LBB356_1052
; %bb.1044:
	s_sext_i32_i16 s12, s20
	s_cmp_lt_i32 s12, 6
	s_mov_b64 s[10:11], -1
	s_cbranch_scc1 .LBB356_1050
; %bb.1045:
	s_cmp_gt_i32 s12, 6
	s_cbranch_scc0 .LBB356_1047
; %bb.1046:
	v_cndmask_b32_e64 v0, 0, 1, s[8:9]
	s_waitcnt vmcnt(0)
	v_cvt_f64_u32_e32 v[3:4], v0
	s_mov_b64 s[10:11], 0
	global_store_dwordx2 v[1:2], v[3:4], off
.LBB356_1047:
	s_andn2_b64 vcc, exec, s[10:11]
	s_cbranch_vccnz .LBB356_1049
; %bb.1048:
	v_cndmask_b32_e64 v0, 0, 1.0, s[8:9]
	global_store_dword v[1:2], v0, off
.LBB356_1049:
	s_mov_b64 s[10:11], 0
.LBB356_1050:
	s_andn2_b64 vcc, exec, s[10:11]
	s_cbranch_vccnz .LBB356_1052
; %bb.1051:
	v_cndmask_b32_e64 v0, 0, 1.0, s[8:9]
	v_cvt_f16_f32_e32 v0, v0
	global_store_short v[1:2], v0, off
.LBB356_1052:
	s_mov_b64 s[10:11], 0
.LBB356_1053:
	s_andn2_b64 vcc, exec, s[10:11]
	s_cbranch_vccnz .LBB356_1069
; %bb.1054:
	s_sext_i32_i16 s12, s20
	s_cmp_lt_i32 s12, 2
	s_mov_b64 s[10:11], -1
	s_cbranch_scc1 .LBB356_1064
; %bb.1055:
	s_cmp_lt_i32 s12, 3
	s_cbranch_scc1 .LBB356_1061
; %bb.1056:
	s_cmp_gt_i32 s12, 3
	s_cbranch_scc0 .LBB356_1058
; %bb.1057:
	s_mov_b32 s10, 0
	s_waitcnt vmcnt(0)
	v_cndmask_b32_e64 v3, 0, 1, s[8:9]
	v_mov_b32_e32 v4, s10
	s_mov_b64 s[10:11], 0
	global_store_dwordx2 v[1:2], v[3:4], off
.LBB356_1058:
	s_andn2_b64 vcc, exec, s[10:11]
	s_cbranch_vccnz .LBB356_1060
; %bb.1059:
	v_cndmask_b32_e64 v0, 0, 1, s[8:9]
	global_store_dword v[1:2], v0, off
.LBB356_1060:
	s_mov_b64 s[10:11], 0
.LBB356_1061:
	s_andn2_b64 vcc, exec, s[10:11]
	s_cbranch_vccnz .LBB356_1063
; %bb.1062:
	v_cndmask_b32_e64 v0, 0, 1, s[8:9]
	global_store_short v[1:2], v0, off
.LBB356_1063:
	s_mov_b64 s[10:11], 0
.LBB356_1064:
	s_andn2_b64 vcc, exec, s[10:11]
	s_cbranch_vccnz .LBB356_1069
; %bb.1065:
	s_sext_i32_i16 s10, s20
	s_cmp_gt_i32 s10, 0
	s_mov_b64 s[10:11], -1
	s_cbranch_scc0 .LBB356_1067
; %bb.1066:
	v_cndmask_b32_e64 v0, 0, 1, s[8:9]
	s_mov_b64 s[10:11], 0
	global_store_byte v[1:2], v0, off
.LBB356_1067:
	s_andn2_b64 vcc, exec, s[10:11]
	s_cbranch_vccnz .LBB356_1069
; %bb.1068:
	v_cndmask_b32_e64 v0, 0, 1, s[8:9]
	global_store_byte v[1:2], v0, off
.LBB356_1069:
	s_or_b64 exec, exec, s[0:1]
	s_and_b64 s[28:29], s[2:3], exec
                                        ; implicit-def: $vgpr15
                                        ; implicit-def: $vgpr8
.LBB356_1070:
	s_or_saveexec_b64 s[30:31], s[42:43]
	s_mov_b64 s[0:1], 0
                                        ; implicit-def: $sgpr10_sgpr11
                                        ; implicit-def: $vgpr0_vgpr1
                                        ; implicit-def: $sgpr20
	s_xor_b64 exec, exec, s[30:31]
	s_cbranch_execz .LBB356_2057
; %bb.1071:
	v_cndmask_b32_e64 v0, 0, 1, s[40:41]
	v_cmp_ne_u32_e64 s[0:1], 1, v0
	s_andn2_b64 vcc, exec, s[40:41]
	s_cbranch_vccnz .LBB356_1077
; %bb.1072:
	s_cmp_lg_u32 s33, 0
	s_mov_b32 s36, 0
	s_cbranch_scc0 .LBB356_1078
; %bb.1073:
	s_min_u32 s37, s76, 15
	s_add_i32 s37, s37, 1
	s_cmp_eq_u32 s76, 2
	s_cbranch_scc1 .LBB356_1079
; %bb.1074:
	s_and_b32 s36, s37, 28
	s_add_u32 s2, s34, 0xc4
	s_addc_u32 s3, s35, 0
	v_mov_b32_e32 v13, 0
	s_mov_b32 s38, 0
	s_mov_b64 s[6:7], s[34:35]
	v_mov_b32_e32 v6, 0
	v_mov_b32_e32 v0, v8
.LBB356_1075:                           ; =>This Inner Loop Header: Depth=1
	s_load_dwordx8 s[16:23], s[6:7], 0x4
	s_load_dwordx4 s[24:27], s[6:7], 0x24
	s_load_dwordx8 s[8:15], s[2:3], 0x0
	s_add_u32 s6, s6, 48
	s_addc_u32 s7, s7, 0
	s_waitcnt lgkmcnt(0)
	v_mul_hi_u32 v1, s17, v0
	s_add_i32 s38, s38, 4
	s_add_u32 s2, s2, 32
	s_addc_u32 s3, s3, 0
	v_add_u32_e32 v1, v0, v1
	v_lshrrev_b32_e32 v1, s18, v1
	v_mul_lo_u32 v2, v1, s16
	s_waitcnt vmcnt(0)
	v_mul_hi_u32 v3, s20, v1
	s_cmp_lg_u32 s36, s38
	v_sub_u32_e32 v0, v0, v2
	v_add_u32_e32 v2, v1, v3
	v_mul_lo_u32 v3, v0, s8
	v_mul_lo_u32 v4, v0, s9
	v_lshrrev_b32_e32 v0, s21, v2
	v_mul_lo_u32 v2, v0, s19
	v_mul_hi_u32 v5, s23, v0
	v_sub_u32_e32 v1, v1, v2
	v_add_u32_e32 v2, v0, v5
	v_lshrrev_b32_e32 v2, s24, v2
	v_mul_hi_u32 v7, s26, v2
	v_mul_lo_u32 v9, v2, s22
	v_mul_lo_u32 v5, v1, s10
	;; [unrolled: 1-line block ×3, first 2 shown]
	v_sub_u32_e32 v9, v0, v9
	v_add_u32_e32 v0, v2, v7
	v_lshrrev_b32_e32 v0, s27, v0
	v_mul_lo_u32 v7, v0, s25
	v_mul_lo_u32 v10, v9, s12
	;; [unrolled: 1-line block ×3, first 2 shown]
	v_add3_u32 v3, v3, v6, v5
	v_sub_u32_e32 v2, v2, v7
	v_mul_lo_u32 v7, v2, s14
	v_mul_lo_u32 v2, v2, s15
	v_add3_u32 v1, v4, v13, v1
	v_add3_u32 v6, v10, v3, v7
	;; [unrolled: 1-line block ×3, first 2 shown]
	s_cbranch_scc1 .LBB356_1075
; %bb.1076:
	s_and_b32 s8, s37, 3
	s_cmp_eq_u32 s8, 0
	s_cbranch_scc0 .LBB356_1080
	s_branch .LBB356_1082
.LBB356_1077:
                                        ; implicit-def: $vgpr6
                                        ; implicit-def: $vgpr13
	s_branch .LBB356_1083
.LBB356_1078:
	v_mov_b32_e32 v6, 0
	v_mov_b32_e32 v13, 0
	s_branch .LBB356_1082
.LBB356_1079:
	v_mov_b32_e32 v6, 0
	v_mov_b32_e32 v13, 0
	;; [unrolled: 1-line block ×3, first 2 shown]
	s_and_b32 s8, s37, 3
	s_cmp_eq_u32 s8, 0
	s_cbranch_scc1 .LBB356_1082
.LBB356_1080:
	s_lshl_b32 s2, s36, 3
	s_add_u32 s2, s34, s2
	s_addc_u32 s3, s35, 0
	s_add_u32 s2, s2, 0xc4
	s_addc_u32 s3, s3, 0
	s_mul_i32 s6, s36, 12
	s_add_u32 s6, s34, s6
	s_addc_u32 s7, s35, 0
.LBB356_1081:                           ; =>This Inner Loop Header: Depth=1
	s_load_dwordx2 s[10:11], s[6:7], 0x4
	s_load_dword s9, s[6:7], 0xc
	s_load_dwordx2 s[12:13], s[2:3], 0x0
	s_add_u32 s6, s6, 12
	s_addc_u32 s7, s7, 0
	s_waitcnt lgkmcnt(0)
	v_mul_hi_u32 v1, s11, v0
	s_add_u32 s2, s2, 8
	s_addc_u32 s3, s3, 0
	s_add_i32 s8, s8, -1
	v_add_u32_e32 v1, v0, v1
	v_lshrrev_b32_e32 v1, s9, v1
	v_mul_lo_u32 v2, v1, s10
	s_cmp_lg_u32 s8, 0
	v_sub_u32_e32 v0, v0, v2
	v_mad_u64_u32 v[6:7], s[10:11], v0, s12, v[6:7]
	v_mad_u64_u32 v[13:14], s[10:11], v0, s13, v[13:14]
	v_mov_b32_e32 v0, v1
	s_cbranch_scc1 .LBB356_1081
.LBB356_1082:
	s_cbranch_execnz .LBB356_1085
.LBB356_1083:
	s_load_dwordx4 s[8:11], s[34:35], 0x4
	s_load_dwordx2 s[2:3], s[34:35], 0xc4
	s_cmp_lt_u32 s33, 2
	s_waitcnt lgkmcnt(0)
	v_mul_hi_u32 v0, s9, v8
	v_add_u32_e32 v0, v8, v0
	v_lshrrev_b32_e32 v0, s10, v0
	v_mul_lo_u32 v1, v0, s8
	v_sub_u32_e32 v1, v8, v1
	v_mul_lo_u32 v6, v1, s2
	v_mul_lo_u32 v13, v1, s3
	s_cbranch_scc1 .LBB356_1085
; %bb.1084:
	s_load_dwordx4 s[8:11], s[34:35], 0x10
	s_load_dwordx2 s[2:3], s[34:35], 0xcc
	s_waitcnt lgkmcnt(0)
	v_mul_hi_u32 v1, s9, v0
	v_add_u32_e32 v1, v0, v1
	v_lshrrev_b32_e32 v1, s10, v1
	v_mul_lo_u32 v1, v1, s8
	v_sub_u32_e32 v0, v0, v1
	v_mad_u64_u32 v[6:7], s[6:7], v0, s2, v[6:7]
	v_mad_u64_u32 v[13:14], s[2:3], v0, s3, v[13:14]
.LBB356_1085:
	s_and_b64 vcc, exec, s[0:1]
	v_add_u32_e32 v0, 0x80, v8
	s_cbranch_vccnz .LBB356_1091
; %bb.1086:
	s_cmp_lg_u32 s33, 0
	s_mov_b32 s36, 0
	s_cbranch_scc0 .LBB356_1092
; %bb.1087:
	s_min_u32 s37, s76, 15
	s_add_i32 s37, s37, 1
	s_cmp_eq_u32 s76, 2
	s_cbranch_scc1 .LBB356_1093
; %bb.1088:
	s_and_b32 s36, s37, 28
	s_add_u32 s2, s34, 0xc4
	s_addc_u32 s3, s35, 0
	v_mov_b32_e32 v11, 0
	s_mov_b32 s38, 0
	s_mov_b64 s[6:7], s[34:35]
	v_mov_b32_e32 v4, 0
	v_mov_b32_e32 v1, v0
.LBB356_1089:                           ; =>This Inner Loop Header: Depth=1
	s_load_dwordx8 s[16:23], s[6:7], 0x4
	s_load_dwordx4 s[24:27], s[6:7], 0x24
	s_load_dwordx8 s[8:15], s[2:3], 0x0
	s_add_u32 s6, s6, 48
	s_addc_u32 s7, s7, 0
	s_waitcnt lgkmcnt(0)
	v_mul_hi_u32 v2, s17, v1
	s_add_i32 s38, s38, 4
	s_add_u32 s2, s2, 32
	s_addc_u32 s3, s3, 0
	v_add_u32_e32 v2, v1, v2
	v_lshrrev_b32_e32 v2, s18, v2
	s_waitcnt vmcnt(0)
	v_mul_lo_u32 v3, v2, s16
	v_mul_hi_u32 v5, s20, v2
	s_cmp_lg_u32 s36, s38
	v_sub_u32_e32 v1, v1, v3
	v_add_u32_e32 v3, v2, v5
	v_mul_lo_u32 v5, v1, s8
	v_mul_lo_u32 v7, v1, s9
	v_lshrrev_b32_e32 v1, s21, v3
	v_mul_lo_u32 v3, v1, s19
	v_mul_hi_u32 v9, s23, v1
	v_sub_u32_e32 v2, v2, v3
	v_add_u32_e32 v3, v1, v9
	v_lshrrev_b32_e32 v3, s24, v3
	v_mul_hi_u32 v10, s26, v3
	v_mul_lo_u32 v12, v3, s22
	v_mul_lo_u32 v9, v2, s10
	;; [unrolled: 1-line block ×3, first 2 shown]
	v_sub_u32_e32 v12, v1, v12
	v_add_u32_e32 v1, v3, v10
	v_lshrrev_b32_e32 v1, s27, v1
	v_mul_lo_u32 v10, v1, s25
	v_mul_lo_u32 v14, v12, s12
	;; [unrolled: 1-line block ×3, first 2 shown]
	v_add3_u32 v4, v5, v4, v9
	v_sub_u32_e32 v3, v3, v10
	v_mul_lo_u32 v10, v3, s14
	v_mul_lo_u32 v3, v3, s15
	v_add3_u32 v2, v7, v11, v2
	v_add3_u32 v4, v14, v4, v10
	;; [unrolled: 1-line block ×3, first 2 shown]
	s_cbranch_scc1 .LBB356_1089
; %bb.1090:
	s_and_b32 s8, s37, 3
	s_cmp_eq_u32 s8, 0
	s_cbranch_scc0 .LBB356_1094
	s_branch .LBB356_1096
.LBB356_1091:
                                        ; implicit-def: $vgpr4
                                        ; implicit-def: $vgpr11
	s_branch .LBB356_1097
.LBB356_1092:
	v_mov_b32_e32 v4, 0
	v_mov_b32_e32 v11, 0
	s_branch .LBB356_1096
.LBB356_1093:
	v_mov_b32_e32 v4, 0
	v_mov_b32_e32 v11, 0
	;; [unrolled: 1-line block ×3, first 2 shown]
	s_and_b32 s8, s37, 3
	s_cmp_eq_u32 s8, 0
	s_cbranch_scc1 .LBB356_1096
.LBB356_1094:
	s_lshl_b32 s2, s36, 3
	s_add_u32 s2, s34, s2
	s_addc_u32 s3, s35, 0
	s_add_u32 s2, s2, 0xc4
	s_addc_u32 s3, s3, 0
	s_mul_i32 s6, s36, 12
	s_add_u32 s6, s34, s6
	s_addc_u32 s7, s35, 0
.LBB356_1095:                           ; =>This Inner Loop Header: Depth=1
	s_load_dwordx2 s[10:11], s[6:7], 0x4
	s_load_dword s9, s[6:7], 0xc
	s_load_dwordx2 s[12:13], s[2:3], 0x0
	s_add_u32 s6, s6, 12
	s_addc_u32 s7, s7, 0
	s_waitcnt lgkmcnt(0)
	v_mul_hi_u32 v2, s11, v1
	s_add_u32 s2, s2, 8
	s_addc_u32 s3, s3, 0
	s_add_i32 s8, s8, -1
	v_add_u32_e32 v2, v1, v2
	v_lshrrev_b32_e32 v2, s9, v2
	s_waitcnt vmcnt(0)
	v_mul_lo_u32 v3, v2, s10
	s_cmp_lg_u32 s8, 0
	v_sub_u32_e32 v1, v1, v3
	v_mad_u64_u32 v[4:5], s[10:11], v1, s12, v[4:5]
	v_mad_u64_u32 v[11:12], s[10:11], v1, s13, v[11:12]
	v_mov_b32_e32 v1, v2
	s_cbranch_scc1 .LBB356_1095
.LBB356_1096:
	s_cbranch_execnz .LBB356_1099
.LBB356_1097:
	s_load_dwordx4 s[8:11], s[34:35], 0x4
	s_load_dwordx2 s[2:3], s[34:35], 0xc4
	s_cmp_lt_u32 s33, 2
	s_waitcnt lgkmcnt(0)
	v_mul_hi_u32 v1, s9, v0
	v_add_u32_e32 v1, v0, v1
	v_lshrrev_b32_e32 v1, s10, v1
	v_mul_lo_u32 v2, v1, s8
	v_sub_u32_e32 v0, v0, v2
	v_mul_lo_u32 v4, v0, s2
	v_mul_lo_u32 v11, v0, s3
	s_cbranch_scc1 .LBB356_1099
; %bb.1098:
	s_load_dwordx4 s[8:11], s[34:35], 0x10
	s_load_dwordx2 s[2:3], s[34:35], 0xcc
	s_waitcnt lgkmcnt(0)
	v_mul_hi_u32 v0, s9, v1
	v_add_u32_e32 v0, v1, v0
	v_lshrrev_b32_e32 v0, s10, v0
	v_mul_lo_u32 v0, v0, s8
	v_sub_u32_e32 v0, v1, v0
	v_mad_u64_u32 v[4:5], s[6:7], v0, s2, v[4:5]
	v_mad_u64_u32 v[11:12], s[2:3], v0, s3, v[11:12]
.LBB356_1099:
	s_and_b64 vcc, exec, s[0:1]
	v_add_u32_e32 v0, 0x100, v8
	s_cbranch_vccnz .LBB356_1105
; %bb.1100:
	s_cmp_lg_u32 s33, 0
	s_mov_b32 s36, 0
	s_cbranch_scc0 .LBB356_1106
; %bb.1101:
	s_min_u32 s37, s76, 15
	s_add_i32 s37, s37, 1
	s_cmp_eq_u32 s76, 2
	s_cbranch_scc1 .LBB356_1107
; %bb.1102:
	s_and_b32 s36, s37, 28
	s_add_u32 s2, s34, 0xc4
	s_addc_u32 s3, s35, 0
	v_mov_b32_e32 v9, 0
	s_mov_b32 s38, 0
	s_mov_b64 s[6:7], s[34:35]
	v_mov_b32_e32 v2, 0
	v_mov_b32_e32 v1, v0
.LBB356_1103:                           ; =>This Inner Loop Header: Depth=1
	s_load_dwordx8 s[16:23], s[6:7], 0x4
	s_load_dwordx4 s[24:27], s[6:7], 0x24
	s_load_dwordx8 s[8:15], s[2:3], 0x0
	s_add_u32 s6, s6, 48
	s_addc_u32 s7, s7, 0
	s_waitcnt vmcnt(0) lgkmcnt(0)
	v_mul_hi_u32 v3, s17, v1
	s_add_i32 s38, s38, 4
	s_add_u32 s2, s2, 32
	s_addc_u32 s3, s3, 0
	v_add_u32_e32 v3, v1, v3
	v_lshrrev_b32_e32 v3, s18, v3
	v_mul_lo_u32 v5, v3, s16
	v_mul_hi_u32 v7, s20, v3
	s_cmp_lg_u32 s36, s38
	v_sub_u32_e32 v1, v1, v5
	v_add_u32_e32 v5, v3, v7
	v_mul_lo_u32 v7, v1, s8
	v_mul_lo_u32 v8, v1, s9
	v_lshrrev_b32_e32 v1, s21, v5
	v_mul_lo_u32 v5, v1, s19
	v_mul_hi_u32 v10, s23, v1
	v_sub_u32_e32 v3, v3, v5
	v_add_u32_e32 v5, v1, v10
	v_lshrrev_b32_e32 v5, s24, v5
	v_mul_hi_u32 v12, s26, v5
	v_mul_lo_u32 v14, v5, s22
	v_mul_lo_u32 v10, v3, s10
	;; [unrolled: 1-line block ×3, first 2 shown]
	v_sub_u32_e32 v14, v1, v14
	v_add_u32_e32 v1, v5, v12
	v_lshrrev_b32_e32 v1, s27, v1
	v_mul_lo_u32 v12, v1, s25
	v_mul_lo_u32 v16, v14, s12
	;; [unrolled: 1-line block ×3, first 2 shown]
	v_add3_u32 v2, v7, v2, v10
	v_sub_u32_e32 v5, v5, v12
	v_mul_lo_u32 v12, v5, s14
	v_mul_lo_u32 v5, v5, s15
	v_add3_u32 v3, v8, v9, v3
	v_add3_u32 v2, v16, v2, v12
	v_add3_u32 v9, v14, v3, v5
	s_cbranch_scc1 .LBB356_1103
; %bb.1104:
	s_and_b32 s8, s37, 3
	s_cmp_eq_u32 s8, 0
	s_cbranch_scc0 .LBB356_1108
	s_branch .LBB356_1110
.LBB356_1105:
                                        ; implicit-def: $vgpr2
                                        ; implicit-def: $vgpr9
	s_branch .LBB356_1111
.LBB356_1106:
	v_mov_b32_e32 v2, 0
	v_mov_b32_e32 v9, 0
	s_branch .LBB356_1110
.LBB356_1107:
	v_mov_b32_e32 v2, 0
	v_mov_b32_e32 v9, 0
	;; [unrolled: 1-line block ×3, first 2 shown]
	s_and_b32 s8, s37, 3
	s_cmp_eq_u32 s8, 0
	s_cbranch_scc1 .LBB356_1110
.LBB356_1108:
	s_lshl_b32 s2, s36, 3
	s_add_u32 s2, s34, s2
	s_addc_u32 s3, s35, 0
	s_add_u32 s2, s2, 0xc4
	s_addc_u32 s3, s3, 0
	s_mul_i32 s6, s36, 12
	s_add_u32 s6, s34, s6
	s_addc_u32 s7, s35, 0
.LBB356_1109:                           ; =>This Inner Loop Header: Depth=1
	s_load_dwordx2 s[10:11], s[6:7], 0x4
	s_load_dword s9, s[6:7], 0xc
	s_load_dwordx2 s[12:13], s[2:3], 0x0
	s_add_u32 s6, s6, 12
	s_addc_u32 s7, s7, 0
	s_waitcnt vmcnt(0) lgkmcnt(0)
	v_mul_hi_u32 v3, s11, v1
	s_add_u32 s2, s2, 8
	s_addc_u32 s3, s3, 0
	s_add_i32 s8, s8, -1
	v_add_u32_e32 v3, v1, v3
	v_lshrrev_b32_e32 v5, s9, v3
	v_mul_lo_u32 v3, v5, s10
	s_cmp_lg_u32 s8, 0
	v_sub_u32_e32 v1, v1, v3
	v_mad_u64_u32 v[2:3], s[10:11], v1, s12, v[2:3]
	v_mad_u64_u32 v[9:10], s[10:11], v1, s13, v[9:10]
	v_mov_b32_e32 v1, v5
	s_cbranch_scc1 .LBB356_1109
.LBB356_1110:
	s_cbranch_execnz .LBB356_1113
.LBB356_1111:
	s_load_dwordx4 s[8:11], s[34:35], 0x4
	s_load_dwordx2 s[2:3], s[34:35], 0xc4
	s_cmp_lt_u32 s33, 2
	s_waitcnt lgkmcnt(0)
	v_mul_hi_u32 v1, s9, v0
	v_add_u32_e32 v1, v0, v1
	v_lshrrev_b32_e32 v1, s10, v1
	v_mul_lo_u32 v2, v1, s8
	v_sub_u32_e32 v0, v0, v2
	v_mul_lo_u32 v2, v0, s2
	v_mul_lo_u32 v9, v0, s3
	s_cbranch_scc1 .LBB356_1113
; %bb.1112:
	s_load_dwordx4 s[8:11], s[34:35], 0x10
	s_load_dwordx2 s[2:3], s[34:35], 0xcc
	s_waitcnt lgkmcnt(0)
	v_mul_hi_u32 v0, s9, v1
	v_add_u32_e32 v0, v1, v0
	v_lshrrev_b32_e32 v0, s10, v0
	v_mul_lo_u32 v0, v0, s8
	v_sub_u32_e32 v0, v1, v0
	s_waitcnt vmcnt(0)
	v_mad_u64_u32 v[2:3], s[6:7], v0, s2, v[2:3]
	v_mad_u64_u32 v[9:10], s[2:3], v0, s3, v[9:10]
.LBB356_1113:
	s_and_b64 vcc, exec, s[0:1]
	s_cbranch_vccnz .LBB356_1119
; %bb.1114:
	s_cmp_lg_u32 s33, 0
	s_mov_b32 s26, 0
	s_cbranch_scc0 .LBB356_1120
; %bb.1115:
	s_min_u32 s27, s76, 15
	s_add_i32 s27, s27, 1
	s_cmp_eq_u32 s76, 2
	s_cbranch_scc1 .LBB356_1121
; %bb.1116:
	s_and_b32 s26, s27, 28
	s_add_u32 s6, s34, 0xc4
	s_addc_u32 s7, s35, 0
	v_mov_b32_e32 v7, 0
	s_mov_b32 s36, 0
	s_mov_b64 s[24:25], s[34:35]
	v_mov_b32_e32 v0, 0
	v_mov_b32_e32 v1, v15
.LBB356_1117:                           ; =>This Inner Loop Header: Depth=1
	s_load_dwordx8 s[16:23], s[24:25], 0x4
	s_load_dwordx4 s[0:3], s[24:25], 0x24
	s_load_dwordx8 s[8:15], s[6:7], 0x0
	s_add_u32 s24, s24, 48
	s_addc_u32 s25, s25, 0
	s_waitcnt vmcnt(0) lgkmcnt(0)
	v_mul_hi_u32 v3, s17, v1
	s_add_i32 s36, s36, 4
	s_add_u32 s6, s6, 32
	s_addc_u32 s7, s7, 0
	v_add_u32_e32 v3, v1, v3
	v_lshrrev_b32_e32 v3, s18, v3
	v_mul_lo_u32 v5, v3, s16
	v_mul_hi_u32 v8, s20, v3
	s_cmp_lg_u32 s26, s36
	v_sub_u32_e32 v1, v1, v5
	v_add_u32_e32 v5, v3, v8
	v_mul_lo_u32 v8, v1, s8
	v_mul_lo_u32 v10, v1, s9
	v_lshrrev_b32_e32 v1, s21, v5
	v_mul_lo_u32 v5, v1, s19
	v_mul_hi_u32 v12, s23, v1
	v_sub_u32_e32 v3, v3, v5
	v_add_u32_e32 v5, v1, v12
	v_lshrrev_b32_e32 v5, s0, v5
	v_mul_hi_u32 v14, s2, v5
	v_mul_lo_u32 v16, v5, s22
	v_mul_lo_u32 v12, v3, s10
	;; [unrolled: 1-line block ×3, first 2 shown]
	v_sub_u32_e32 v16, v1, v16
	v_add_u32_e32 v1, v5, v14
	v_lshrrev_b32_e32 v1, s3, v1
	v_mul_lo_u32 v14, v1, s1
	v_mul_lo_u32 v17, v16, s12
	;; [unrolled: 1-line block ×3, first 2 shown]
	v_add3_u32 v0, v8, v0, v12
	v_sub_u32_e32 v5, v5, v14
	v_mul_lo_u32 v14, v5, s14
	v_mul_lo_u32 v5, v5, s15
	v_add3_u32 v3, v10, v7, v3
	v_add3_u32 v0, v17, v0, v14
	;; [unrolled: 1-line block ×3, first 2 shown]
	s_cbranch_scc1 .LBB356_1117
; %bb.1118:
	s_and_b32 s6, s27, 3
	s_cmp_eq_u32 s6, 0
	s_cbranch_scc0 .LBB356_1122
	s_branch .LBB356_1124
.LBB356_1119:
                                        ; implicit-def: $vgpr0
                                        ; implicit-def: $vgpr7
	s_branch .LBB356_1125
.LBB356_1120:
	v_mov_b32_e32 v0, 0
	v_mov_b32_e32 v7, 0
	s_branch .LBB356_1124
.LBB356_1121:
	v_mov_b32_e32 v0, 0
	v_mov_b32_e32 v7, 0
	;; [unrolled: 1-line block ×3, first 2 shown]
	s_and_b32 s6, s27, 3
	s_cmp_eq_u32 s6, 0
	s_cbranch_scc1 .LBB356_1124
.LBB356_1122:
	s_lshl_b32 s0, s26, 3
	s_add_u32 s0, s34, s0
	s_addc_u32 s1, s35, 0
	s_add_u32 s0, s0, 0xc4
	s_addc_u32 s1, s1, 0
	s_mul_i32 s2, s26, 12
	s_add_u32 s2, s34, s2
	s_addc_u32 s3, s35, 0
.LBB356_1123:                           ; =>This Inner Loop Header: Depth=1
	s_load_dwordx2 s[8:9], s[2:3], 0x4
	s_load_dword s7, s[2:3], 0xc
	s_load_dwordx2 s[10:11], s[0:1], 0x0
	s_add_u32 s2, s2, 12
	s_addc_u32 s3, s3, 0
	s_waitcnt vmcnt(0) lgkmcnt(0)
	v_mul_hi_u32 v3, s9, v1
	s_add_u32 s0, s0, 8
	s_addc_u32 s1, s1, 0
	s_add_i32 s6, s6, -1
	v_add_u32_e32 v3, v1, v3
	v_lshrrev_b32_e32 v3, s7, v3
	v_mul_lo_u32 v5, v3, s8
	s_cmp_lg_u32 s6, 0
	v_sub_u32_e32 v5, v1, v5
	v_mad_u64_u32 v[0:1], s[8:9], v5, s10, v[0:1]
	v_mad_u64_u32 v[7:8], s[8:9], v5, s11, v[7:8]
	v_mov_b32_e32 v1, v3
	s_cbranch_scc1 .LBB356_1123
.LBB356_1124:
	s_cbranch_execnz .LBB356_1127
.LBB356_1125:
	s_load_dwordx4 s[0:3], s[34:35], 0x4
	s_load_dwordx2 s[6:7], s[34:35], 0xc4
	s_cmp_lt_u32 s33, 2
	s_waitcnt lgkmcnt(0)
	v_mul_hi_u32 v0, s1, v15
	v_add_u32_e32 v0, v15, v0
	v_lshrrev_b32_e32 v1, s2, v0
	v_mul_lo_u32 v0, v1, s0
	s_waitcnt vmcnt(0)
	v_sub_u32_e32 v3, v15, v0
	v_mul_lo_u32 v0, v3, s6
	v_mul_lo_u32 v7, v3, s7
	s_cbranch_scc1 .LBB356_1127
; %bb.1126:
	s_load_dwordx4 s[0:3], s[34:35], 0x10
	s_load_dwordx2 s[6:7], s[34:35], 0xcc
	s_waitcnt lgkmcnt(0)
	v_mul_hi_u32 v3, s1, v1
	v_add_u32_e32 v3, v1, v3
	v_lshrrev_b32_e32 v3, s2, v3
	v_mul_lo_u32 v3, v3, s0
	v_sub_u32_e32 v3, v1, v3
	v_mad_u64_u32 v[0:1], s[0:1], v3, s6, v[0:1]
	v_mad_u64_u32 v[7:8], s[0:1], v3, s7, v[7:8]
.LBB356_1127:
	s_load_dwordx4 s[8:11], s[34:35], 0x148
	s_load_dword s12, s[4:5], 0x168
	s_waitcnt lgkmcnt(0)
	v_mov_b32_e32 v1, s11
	s_bfe_u32 s13, s12, 0x80008
	v_add_co_u32_e32 v12, vcc, s10, v13
	s_cmp_lt_i32 s13, 11
	v_addc_co_u32_e32 v13, vcc, 0, v1, vcc
	s_cbranch_scc1 .LBB356_1134
; %bb.1128:
	s_and_b32 s14, 0xffff, s13
	s_cmp_gt_i32 s14, 25
	s_mov_b64 s[4:5], 0
	s_cbranch_scc0 .LBB356_1136
; %bb.1129:
	s_cmp_gt_i32 s14, 28
	s_cbranch_scc0 .LBB356_1137
; %bb.1130:
	s_cmp_gt_i32 s14, 43
	s_cbranch_scc0 .LBB356_1138
; %bb.1131:
	s_cmp_gt_i32 s14, 45
	s_cbranch_scc0 .LBB356_1139
; %bb.1132:
	s_cmp_eq_u32 s14, 46
	s_mov_b64 s[2:3], 0
	s_cbranch_scc0 .LBB356_1142
; %bb.1133:
	global_load_dword v1, v[12:13], off
	s_mov_b64 s[0:1], 0
	s_mov_b64 s[6:7], -1
	s_waitcnt vmcnt(0)
	v_lshlrev_b32_e32 v1, 16, v1
	v_cvt_u32_f32_e32 v5, v1
	s_branch .LBB356_1143
.LBB356_1134:
	s_mov_b64 s[6:7], 0
                                        ; implicit-def: $vgpr5
	s_mov_b64 s[2:3], s[28:29]
	s_cbranch_execnz .LBB356_1201
.LBB356_1135:
	s_andn2_b64 vcc, exec, s[6:7]
	s_cbranch_vccz .LBB356_1246
	s_branch .LBB356_2055
.LBB356_1136:
	s_mov_b64 s[6:7], 0
	s_mov_b64 s[0:1], 0
                                        ; implicit-def: $vgpr5
	s_cbranch_execnz .LBB356_1168
	s_branch .LBB356_1197
.LBB356_1137:
	s_mov_b64 s[6:7], 0
	s_mov_b64 s[0:1], 0
                                        ; implicit-def: $vgpr5
	s_cbranch_execz .LBB356_1167
	s_branch .LBB356_1152
.LBB356_1138:
	s_mov_b64 s[6:7], 0
	s_mov_b64 s[0:1], 0
                                        ; implicit-def: $vgpr5
	s_cbranch_execnz .LBB356_1148
	s_branch .LBB356_1151
.LBB356_1139:
	s_mov_b64 s[2:3], -1
	s_mov_b64 s[6:7], 0
	s_mov_b64 s[0:1], 0
                                        ; implicit-def: $vgpr5
	s_branch .LBB356_1143
.LBB356_1140:
	s_andn2_saveexec_b64 s[16:17], s[16:17]
	s_cbranch_execz .LBB356_979
.LBB356_1141:
	v_add_f32_e32 v0, 0x46000000, v3
	v_and_b32_e32 v0, 0xff, v0
	v_cmp_ne_u32_e32 vcc, 0, v0
	s_andn2_b64 s[14:15], s[14:15], exec
	s_and_b64 s[18:19], vcc, exec
	s_or_b64 s[14:15], s[14:15], s[18:19]
	s_or_b64 exec, exec, s[16:17]
	v_mov_b32_e32 v4, 0
	s_and_saveexec_b64 s[16:17], s[14:15]
	s_cbranch_execnz .LBB356_980
	s_branch .LBB356_981
.LBB356_1142:
	s_mov_b64 s[0:1], -1
                                        ; implicit-def: $vgpr5
	s_mov_b64 s[6:7], 0
.LBB356_1143:
	s_and_b64 vcc, exec, s[2:3]
	s_cbranch_vccz .LBB356_1146
; %bb.1144:
	s_cmp_eq_u32 s14, 44
	s_cbranch_scc0 .LBB356_1147
; %bb.1145:
	global_load_ubyte v1, v[12:13], off
	s_mov_b64 s[0:1], 0
	s_mov_b64 s[6:7], -1
	s_waitcnt vmcnt(0)
	v_lshlrev_b32_e32 v3, 23, v1
	v_cvt_u32_f32_e32 v3, v3
	v_cmp_ne_u32_e32 vcc, 0, v1
	v_cndmask_b32_e32 v5, 0, v3, vcc
.LBB356_1146:
	s_branch .LBB356_1151
.LBB356_1147:
	s_mov_b64 s[0:1], -1
                                        ; implicit-def: $vgpr5
	s_branch .LBB356_1151
.LBB356_1148:
	s_cmp_eq_u32 s14, 29
	s_cbranch_scc0 .LBB356_1150
; %bb.1149:
	global_load_dword v5, v[12:13], off
	s_mov_b64 s[0:1], 0
	s_mov_b64 s[6:7], -1
	s_branch .LBB356_1151
.LBB356_1150:
	s_mov_b64 s[0:1], -1
                                        ; implicit-def: $vgpr5
.LBB356_1151:
	s_branch .LBB356_1167
.LBB356_1152:
	s_cmp_lt_i32 s14, 27
	s_cbranch_scc1 .LBB356_1155
; %bb.1153:
	s_cmp_gt_i32 s14, 27
	s_cbranch_scc0 .LBB356_1156
; %bb.1154:
	global_load_dword v5, v[12:13], off
	s_mov_b64 s[2:3], 0
	s_branch .LBB356_1157
.LBB356_1155:
	s_mov_b64 s[2:3], -1
                                        ; implicit-def: $vgpr5
	s_branch .LBB356_1160
.LBB356_1156:
	s_mov_b64 s[2:3], -1
                                        ; implicit-def: $vgpr5
.LBB356_1157:
	s_andn2_b64 vcc, exec, s[2:3]
	s_cbranch_vccnz .LBB356_1159
; %bb.1158:
	global_load_ushort v5, v[12:13], off
.LBB356_1159:
	s_mov_b64 s[2:3], 0
.LBB356_1160:
	s_andn2_b64 vcc, exec, s[2:3]
	s_cbranch_vccnz .LBB356_1166
; %bb.1161:
	global_load_ubyte v1, v[12:13], off
	s_movk_i32 s2, 0x7f
	s_mov_b64 s[6:7], 0
	s_waitcnt vmcnt(0)
	v_cmp_lt_i16_e32 vcc, s2, v1
	s_and_saveexec_b64 s[2:3], vcc
	s_xor_b64 s[2:3], exec, s[2:3]
	s_cbranch_execz .LBB356_1177
; %bb.1162:
	s_movk_i32 s6, 0x80
	v_cmp_ne_u16_e32 vcc, s6, v1
	s_and_b64 s[6:7], vcc, exec
	s_andn2_saveexec_b64 s[2:3], s[2:3]
	s_cbranch_execnz .LBB356_1178
.LBB356_1163:
	s_or_b64 exec, exec, s[2:3]
	v_mov_b32_e32 v5, 0
	s_and_saveexec_b64 s[2:3], s[6:7]
	s_cbranch_execz .LBB356_1165
.LBB356_1164:
	v_lshlrev_b32_e32 v3, 24, v1
	v_and_b32_e32 v1, 0xffff, v1
	v_and_b32_e32 v5, 7, v1
	v_ffbh_u32_e32 v10, v5
	v_min_u32_e32 v10, 32, v10
	v_subrev_u32_e32 v14, 28, v10
	v_bfe_u32 v8, v1, 3, 4
	v_lshlrev_b32_e32 v1, v14, v1
	v_sub_u32_e32 v10, 29, v10
	v_and_b32_e32 v1, 7, v1
	v_cmp_eq_u32_e32 vcc, 0, v8
	v_cndmask_b32_e32 v8, v8, v10, vcc
	v_cndmask_b32_e32 v1, v5, v1, vcc
	v_mov_b32_e32 v5, 0x3b800000
	v_lshlrev_b32_e32 v1, 20, v1
	v_and_b32_e32 v3, 0x80000000, v3
	v_lshl_add_u32 v5, v8, 23, v5
	v_or3_b32 v1, v3, v5, v1
	v_cvt_u32_f32_e32 v5, v1
.LBB356_1165:
	s_or_b64 exec, exec, s[2:3]
.LBB356_1166:
	s_mov_b64 s[6:7], -1
.LBB356_1167:
	s_branch .LBB356_1197
.LBB356_1168:
	s_cmp_gt_i32 s14, 22
	s_cbranch_scc0 .LBB356_1176
; %bb.1169:
	s_cmp_lt_i32 s14, 24
	s_cbranch_scc1 .LBB356_1179
; %bb.1170:
	s_cmp_gt_i32 s14, 24
	s_cbranch_scc0 .LBB356_1180
; %bb.1171:
	global_load_ubyte v1, v[12:13], off
	s_movk_i32 s2, 0x7f
	s_waitcnt vmcnt(0)
	v_cmp_lt_i16_e32 vcc, s2, v1
	s_and_saveexec_b64 s[2:3], vcc
	s_xor_b64 s[2:3], exec, s[2:3]
	s_cbranch_execz .LBB356_1191
; %bb.1172:
	s_movk_i32 s4, 0x80
	v_cmp_ne_u16_e32 vcc, s4, v1
	s_and_b64 s[4:5], vcc, exec
	s_andn2_saveexec_b64 s[2:3], s[2:3]
	s_cbranch_execnz .LBB356_1192
.LBB356_1173:
	s_or_b64 exec, exec, s[2:3]
	v_mov_b32_e32 v5, 0
	s_and_saveexec_b64 s[2:3], s[4:5]
	s_cbranch_execz .LBB356_1175
.LBB356_1174:
	v_lshlrev_b32_e32 v3, 24, v1
	v_and_b32_e32 v1, 0xffff, v1
	v_and_b32_e32 v5, 3, v1
	v_ffbh_u32_e32 v10, v5
	v_min_u32_e32 v10, 32, v10
	v_subrev_u32_e32 v14, 29, v10
	v_bfe_u32 v8, v1, 2, 5
	v_lshlrev_b32_e32 v1, v14, v1
	v_sub_u32_e32 v10, 30, v10
	v_and_b32_e32 v1, 3, v1
	v_cmp_eq_u32_e32 vcc, 0, v8
	v_cndmask_b32_e32 v8, v8, v10, vcc
	v_cndmask_b32_e32 v1, v5, v1, vcc
	v_mov_b32_e32 v5, 0x37800000
	v_lshlrev_b32_e32 v1, 21, v1
	v_and_b32_e32 v3, 0x80000000, v3
	v_lshl_add_u32 v5, v8, 23, v5
	v_or3_b32 v1, v3, v5, v1
	v_cvt_u32_f32_e32 v5, v1
.LBB356_1175:
	s_or_b64 exec, exec, s[2:3]
	s_mov_b64 s[2:3], 0
	s_branch .LBB356_1181
.LBB356_1176:
                                        ; implicit-def: $vgpr5
	s_mov_b64 s[4:5], 0
	s_branch .LBB356_1187
.LBB356_1177:
	s_andn2_saveexec_b64 s[2:3], s[2:3]
	s_cbranch_execz .LBB356_1163
.LBB356_1178:
	v_cmp_ne_u16_e32 vcc, 0, v1
	s_andn2_b64 s[6:7], s[6:7], exec
	s_and_b64 s[16:17], vcc, exec
	s_or_b64 s[6:7], s[6:7], s[16:17]
	s_or_b64 exec, exec, s[2:3]
	v_mov_b32_e32 v5, 0
	s_and_saveexec_b64 s[2:3], s[6:7]
	s_cbranch_execnz .LBB356_1164
	s_branch .LBB356_1165
.LBB356_1179:
	s_mov_b64 s[2:3], -1
                                        ; implicit-def: $vgpr5
	s_branch .LBB356_1184
.LBB356_1180:
	s_mov_b64 s[2:3], -1
                                        ; implicit-def: $vgpr5
.LBB356_1181:
	s_and_b64 vcc, exec, s[2:3]
	s_cbranch_vccz .LBB356_1183
; %bb.1182:
	global_load_ubyte v1, v[12:13], off
	s_mov_b32 s2, 0x7f800000
	s_waitcnt vmcnt(0)
	v_lshlrev_b32_e32 v1, 24, v1
	v_and_b32_e32 v3, 0x7f000000, v1
	v_ffbh_u32_e32 v5, v3
	v_min_u32_e32 v5, 32, v5
	v_sub_u32_e64 v5, v5, 4 clamp
	v_lshlrev_b32_e32 v10, v5, v3
	v_lshlrev_b32_e32 v5, 23, v5
	v_lshrrev_b32_e32 v10, 4, v10
	v_add_u32_e32 v8, 0x1000000, v3
	v_sub_u32_e32 v5, v10, v5
	v_ashrrev_i32_e32 v8, 8, v8
	v_add_u32_e32 v5, 0x3c000000, v5
	v_and_or_b32 v5, v8, s2, v5
	v_cmp_ne_u32_e32 vcc, 0, v3
	v_cndmask_b32_e32 v3, 0, v5, vcc
	s_brev_b32 s2, 1
	v_and_or_b32 v1, v1, s2, v3
	v_cvt_u32_f32_e32 v5, v1
.LBB356_1183:
	s_mov_b64 s[2:3], 0
.LBB356_1184:
	s_andn2_b64 vcc, exec, s[2:3]
	s_cbranch_vccnz .LBB356_1186
; %bb.1185:
	global_load_ubyte v1, v[12:13], off
	s_movk_i32 s2, 0x7f00
	s_brev_b32 s3, 16
	s_waitcnt vmcnt(0)
	v_lshlrev_b16_e32 v3, 8, v1
	v_lshlrev_b32_e32 v1, 25, v1
	v_lshrrev_b32_e32 v5, 4, v1
	v_and_or_b32 v8, v3, s2, 0.5
	v_or_b32_e32 v5, 0x70000000, v5
	v_add_f32_e32 v8, -0.5, v8
	v_mul_f32_e32 v5, 0x7800000, v5
	v_cmp_gt_u32_e32 vcc, s3, v1
	v_bfe_i32 v3, v3, 0, 16
	v_cndmask_b32_e32 v1, v5, v8, vcc
	s_brev_b32 s2, 1
	v_and_or_b32 v1, v3, s2, v1
	v_cvt_u32_f32_e32 v5, v1
.LBB356_1186:
	s_mov_b64 s[6:7], -1
	s_mov_b64 s[4:5], 0
	s_cbranch_execnz .LBB356_1197
.LBB356_1187:
	s_cmp_gt_i32 s14, 14
	s_cbranch_scc0 .LBB356_1190
; %bb.1188:
	s_cmp_eq_u32 s14, 15
	s_cbranch_scc0 .LBB356_1193
; %bb.1189:
	global_load_ushort v1, v[12:13], off
	s_mov_b64 s[0:1], 0
	s_mov_b64 s[6:7], -1
	s_waitcnt vmcnt(0)
	v_lshlrev_b32_e32 v1, 16, v1
	v_cvt_u32_f32_e32 v5, v1
	s_branch .LBB356_1194
.LBB356_1190:
	s_mov_b64 s[2:3], -1
                                        ; implicit-def: $vgpr5
	s_branch .LBB356_1195
.LBB356_1191:
	s_andn2_saveexec_b64 s[2:3], s[2:3]
	s_cbranch_execz .LBB356_1173
.LBB356_1192:
	v_cmp_ne_u16_e32 vcc, 0, v1
	s_andn2_b64 s[4:5], s[4:5], exec
	s_and_b64 s[6:7], vcc, exec
	s_or_b64 s[4:5], s[4:5], s[6:7]
	s_or_b64 exec, exec, s[2:3]
	v_mov_b32_e32 v5, 0
	s_and_saveexec_b64 s[2:3], s[4:5]
	s_cbranch_execnz .LBB356_1174
	s_branch .LBB356_1175
.LBB356_1193:
	s_mov_b64 s[0:1], -1
                                        ; implicit-def: $vgpr5
.LBB356_1194:
	s_mov_b64 s[2:3], 0
.LBB356_1195:
	s_and_b64 vcc, exec, s[2:3]
	s_cbranch_vccz .LBB356_1197
; %bb.1196:
	s_cmp_lg_u32 s14, 11
	s_mov_b64 s[4:5], -1
	s_cselect_b64 s[0:1], -1, 0
.LBB356_1197:
	s_and_b64 vcc, exec, s[0:1]
	s_mov_b64 s[2:3], s[28:29]
	s_cbranch_vccnz .LBB356_1258
; %bb.1198:
	s_andn2_b64 vcc, exec, s[4:5]
	s_cbranch_vccnz .LBB356_1200
.LBB356_1199:
	global_load_ubyte v1, v[12:13], off
	s_mov_b64 s[6:7], -1
	s_waitcnt vmcnt(0)
	v_cmp_ne_u16_e32 vcc, 0, v1
	v_cndmask_b32_e64 v5, 0, 1, vcc
.LBB356_1200:
	s_branch .LBB356_1135
.LBB356_1201:
	s_and_b32 s4, 0xffff, s13
	s_cmp_lt_i32 s4, 5
	s_cbranch_scc1 .LBB356_1206
; %bb.1202:
	s_cmp_lt_i32 s4, 8
	s_cbranch_scc1 .LBB356_1207
; %bb.1203:
	;; [unrolled: 3-line block ×3, first 2 shown]
	s_cmp_gt_i32 s4, 9
	s_cbranch_scc0 .LBB356_1209
; %bb.1205:
	global_load_dwordx2 v[14:15], v[12:13], off
	s_mov_b64 s[0:1], 0
	s_waitcnt vmcnt(0)
	v_cvt_u32_f64_e32 v5, v[14:15]
	s_branch .LBB356_1210
.LBB356_1206:
                                        ; implicit-def: $vgpr5
	s_branch .LBB356_1227
.LBB356_1207:
                                        ; implicit-def: $vgpr5
	s_branch .LBB356_1216
.LBB356_1208:
	s_mov_b64 s[0:1], -1
                                        ; implicit-def: $vgpr5
	s_branch .LBB356_1213
.LBB356_1209:
	s_mov_b64 s[0:1], -1
                                        ; implicit-def: $vgpr5
.LBB356_1210:
	s_andn2_b64 vcc, exec, s[0:1]
	s_cbranch_vccnz .LBB356_1212
; %bb.1211:
	global_load_dword v1, v[12:13], off
	s_waitcnt vmcnt(0)
	v_cvt_u32_f32_e32 v5, v1
.LBB356_1212:
	s_mov_b64 s[0:1], 0
.LBB356_1213:
	s_andn2_b64 vcc, exec, s[0:1]
	s_cbranch_vccnz .LBB356_1215
; %bb.1214:
	global_load_dword v1, v[12:13], off
	s_waitcnt vmcnt(0)
	v_cvt_f32_f16_e32 v1, v1
	v_cvt_u32_f32_e32 v5, v1
.LBB356_1215:
	s_cbranch_execnz .LBB356_1226
.LBB356_1216:
	s_cmp_lt_i32 s4, 6
	s_cbranch_scc1 .LBB356_1219
; %bb.1217:
	s_cmp_gt_i32 s4, 6
	s_cbranch_scc0 .LBB356_1220
; %bb.1218:
	global_load_dwordx2 v[14:15], v[12:13], off
	s_mov_b64 s[0:1], 0
	s_waitcnt vmcnt(0)
	v_cvt_u32_f64_e32 v5, v[14:15]
	s_branch .LBB356_1221
.LBB356_1219:
	s_mov_b64 s[0:1], -1
                                        ; implicit-def: $vgpr5
	s_branch .LBB356_1224
.LBB356_1220:
	s_mov_b64 s[0:1], -1
                                        ; implicit-def: $vgpr5
.LBB356_1221:
	s_andn2_b64 vcc, exec, s[0:1]
	s_cbranch_vccnz .LBB356_1223
; %bb.1222:
	global_load_dword v1, v[12:13], off
	s_waitcnt vmcnt(0)
	v_cvt_u32_f32_e32 v5, v1
.LBB356_1223:
	s_mov_b64 s[0:1], 0
.LBB356_1224:
	s_andn2_b64 vcc, exec, s[0:1]
	s_cbranch_vccnz .LBB356_1226
; %bb.1225:
	global_load_ushort v1, v[12:13], off
	s_waitcnt vmcnt(0)
	v_cvt_f32_f16_e32 v1, v1
	v_cvt_u32_f32_e32 v5, v1
.LBB356_1226:
	s_cbranch_execnz .LBB356_1245
.LBB356_1227:
	s_cmp_lt_i32 s4, 2
	s_cbranch_scc1 .LBB356_1231
; %bb.1228:
	s_cmp_lt_i32 s4, 3
	s_cbranch_scc1 .LBB356_1232
; %bb.1229:
	s_cmp_gt_i32 s4, 3
	s_cbranch_scc0 .LBB356_1233
; %bb.1230:
	global_load_dword v5, v[12:13], off
	s_mov_b64 s[0:1], 0
	s_branch .LBB356_1234
.LBB356_1231:
                                        ; implicit-def: $vgpr5
	s_branch .LBB356_1240
.LBB356_1232:
	s_mov_b64 s[0:1], -1
                                        ; implicit-def: $vgpr5
	s_branch .LBB356_1237
.LBB356_1233:
	s_mov_b64 s[0:1], -1
                                        ; implicit-def: $vgpr5
.LBB356_1234:
	s_andn2_b64 vcc, exec, s[0:1]
	s_cbranch_vccnz .LBB356_1236
; %bb.1235:
	global_load_dword v5, v[12:13], off
.LBB356_1236:
	s_mov_b64 s[0:1], 0
.LBB356_1237:
	s_andn2_b64 vcc, exec, s[0:1]
	s_cbranch_vccnz .LBB356_1239
; %bb.1238:
	global_load_sshort v5, v[12:13], off
.LBB356_1239:
	s_cbranch_execnz .LBB356_1245
.LBB356_1240:
	s_cmp_gt_i32 s4, 0
	s_cbranch_scc0 .LBB356_1242
; %bb.1241:
	global_load_sbyte v5, v[12:13], off
	s_mov_b64 s[0:1], 0
	s_branch .LBB356_1243
.LBB356_1242:
	s_mov_b64 s[0:1], -1
                                        ; implicit-def: $vgpr5
.LBB356_1243:
	s_andn2_b64 vcc, exec, s[0:1]
	s_cbranch_vccnz .LBB356_1245
; %bb.1244:
	global_load_ubyte v5, v[12:13], off
.LBB356_1245:
.LBB356_1246:
	s_lshr_b32 s0, s12, 8
	v_mov_b32_e32 v1, s11
	s_and_b32 s14, s0, 0xff
	v_add_co_u32_e32 v10, vcc, s10, v11
	s_cmp_lt_i32 s14, 11
	v_addc_co_u32_e32 v11, vcc, 0, v1, vcc
	s_cbranch_scc1 .LBB356_1253
; %bb.1247:
	s_and_b32 s15, 0xffff, s14
	s_cmp_gt_i32 s15, 25
	s_mov_b64 s[4:5], 0
	s_cbranch_scc0 .LBB356_1255
; %bb.1248:
	s_cmp_gt_i32 s15, 28
	s_cbranch_scc0 .LBB356_1256
; %bb.1249:
	s_cmp_gt_i32 s15, 43
	;; [unrolled: 3-line block ×3, first 2 shown]
	s_cbranch_scc0 .LBB356_1259
; %bb.1251:
	s_cmp_eq_u32 s15, 46
	s_mov_b64 s[12:13], 0
	s_cbranch_scc0 .LBB356_1262
; %bb.1252:
	global_load_dword v1, v[10:11], off
	s_mov_b64 s[0:1], 0
	s_mov_b64 s[6:7], -1
	s_waitcnt vmcnt(0)
	v_lshlrev_b32_e32 v1, 16, v1
	v_cvt_u32_f32_e32 v3, v1
	s_branch .LBB356_1263
.LBB356_1253:
	s_mov_b64 s[6:7], 0
                                        ; implicit-def: $vgpr3
	s_cbranch_execnz .LBB356_1324
.LBB356_1254:
	s_andn2_b64 vcc, exec, s[6:7]
	s_cbranch_vccnz .LBB356_2055
	s_branch .LBB356_1371
.LBB356_1255:
	s_mov_b64 s[6:7], 0
	s_mov_b64 s[0:1], 0
                                        ; implicit-def: $vgpr3
	s_cbranch_execnz .LBB356_1290
	s_branch .LBB356_1320
.LBB356_1256:
	s_mov_b64 s[12:13], -1
	s_mov_b64 s[6:7], 0
	s_mov_b64 s[0:1], 0
                                        ; implicit-def: $vgpr3
	s_branch .LBB356_1273
.LBB356_1257:
	s_mov_b64 s[12:13], -1
	s_mov_b64 s[6:7], 0
	s_mov_b64 s[0:1], 0
                                        ; implicit-def: $vgpr3
	s_branch .LBB356_1268
.LBB356_1258:
	s_or_b64 s[2:3], s[28:29], exec
	s_trap 2
	s_cbranch_execz .LBB356_1199
	s_branch .LBB356_1200
.LBB356_1259:
	s_mov_b64 s[12:13], -1
	s_mov_b64 s[6:7], 0
	s_mov_b64 s[0:1], 0
                                        ; implicit-def: $vgpr3
	s_branch .LBB356_1263
.LBB356_1260:
	s_andn2_saveexec_b64 s[18:19], s[18:19]
	s_cbranch_execz .LBB356_991
.LBB356_1261:
	v_add_f32_e32 v0, 0x42800000, v3
	v_and_b32_e32 v0, 0xff, v0
	v_cmp_ne_u32_e32 vcc, 0, v0
	s_andn2_b64 s[16:17], s[16:17], exec
	s_and_b64 s[22:23], vcc, exec
	s_or_b64 s[16:17], s[16:17], s[22:23]
	s_or_b64 exec, exec, s[18:19]
	v_mov_b32_e32 v4, 0
	s_and_saveexec_b64 s[18:19], s[16:17]
	s_cbranch_execnz .LBB356_992
	s_branch .LBB356_993
.LBB356_1262:
	s_mov_b64 s[0:1], -1
                                        ; implicit-def: $vgpr3
	s_mov_b64 s[6:7], 0
.LBB356_1263:
	s_and_b64 vcc, exec, s[12:13]
	s_cbranch_vccz .LBB356_1267
; %bb.1264:
	s_cmp_eq_u32 s15, 44
	s_cbranch_scc0 .LBB356_1266
; %bb.1265:
	global_load_ubyte v1, v[10:11], off
	s_mov_b64 s[0:1], 0
	s_mov_b64 s[6:7], -1
	s_waitcnt vmcnt(0)
	v_lshlrev_b32_e32 v3, 23, v1
	v_cvt_u32_f32_e32 v3, v3
	v_cmp_ne_u32_e32 vcc, 0, v1
	v_cndmask_b32_e32 v3, 0, v3, vcc
	s_branch .LBB356_1267
.LBB356_1266:
	s_mov_b64 s[0:1], -1
                                        ; implicit-def: $vgpr3
.LBB356_1267:
	s_mov_b64 s[12:13], 0
.LBB356_1268:
	s_and_b64 vcc, exec, s[12:13]
	s_cbranch_vccz .LBB356_1272
; %bb.1269:
	s_cmp_eq_u32 s15, 29
	s_cbranch_scc0 .LBB356_1271
; %bb.1270:
	global_load_dword v3, v[10:11], off
	s_mov_b64 s[0:1], 0
	s_mov_b64 s[6:7], -1
	s_branch .LBB356_1272
.LBB356_1271:
	s_mov_b64 s[0:1], -1
                                        ; implicit-def: $vgpr3
.LBB356_1272:
	s_mov_b64 s[12:13], 0
.LBB356_1273:
	s_and_b64 vcc, exec, s[12:13]
	s_cbranch_vccz .LBB356_1289
; %bb.1274:
	s_cmp_lt_i32 s15, 27
	s_cbranch_scc1 .LBB356_1277
; %bb.1275:
	s_cmp_gt_i32 s15, 27
	s_cbranch_scc0 .LBB356_1278
; %bb.1276:
	global_load_dword v3, v[10:11], off
	s_mov_b64 s[6:7], 0
	s_branch .LBB356_1279
.LBB356_1277:
	s_mov_b64 s[6:7], -1
                                        ; implicit-def: $vgpr3
	s_branch .LBB356_1282
.LBB356_1278:
	s_mov_b64 s[6:7], -1
                                        ; implicit-def: $vgpr3
.LBB356_1279:
	s_andn2_b64 vcc, exec, s[6:7]
	s_cbranch_vccnz .LBB356_1281
; %bb.1280:
	global_load_ushort v3, v[10:11], off
.LBB356_1281:
	s_mov_b64 s[6:7], 0
.LBB356_1282:
	s_andn2_b64 vcc, exec, s[6:7]
	s_cbranch_vccnz .LBB356_1288
; %bb.1283:
	global_load_ubyte v1, v[10:11], off
	s_movk_i32 s6, 0x7f
	s_mov_b64 s[12:13], 0
	s_waitcnt vmcnt(0)
	v_cmp_lt_i16_e32 vcc, s6, v1
	s_and_saveexec_b64 s[6:7], vcc
	s_xor_b64 s[6:7], exec, s[6:7]
	s_cbranch_execz .LBB356_1299
; %bb.1284:
	s_movk_i32 s12, 0x80
	v_cmp_ne_u16_e32 vcc, s12, v1
	s_and_b64 s[12:13], vcc, exec
	s_andn2_saveexec_b64 s[6:7], s[6:7]
	s_cbranch_execnz .LBB356_1300
.LBB356_1285:
	s_or_b64 exec, exec, s[6:7]
	v_mov_b32_e32 v3, 0
	s_and_saveexec_b64 s[6:7], s[12:13]
	s_cbranch_execz .LBB356_1287
.LBB356_1286:
	v_lshlrev_b32_e32 v3, 24, v1
	v_and_b32_e32 v1, 0xffff, v1
	v_and_b32_e32 v8, 7, v1
	v_ffbh_u32_e32 v13, v8
	v_min_u32_e32 v13, 32, v13
	v_subrev_u32_e32 v14, 28, v13
	v_bfe_u32 v12, v1, 3, 4
	v_lshlrev_b32_e32 v1, v14, v1
	v_sub_u32_e32 v13, 29, v13
	v_and_b32_e32 v1, 7, v1
	v_cmp_eq_u32_e32 vcc, 0, v12
	v_cndmask_b32_e32 v12, v12, v13, vcc
	v_cndmask_b32_e32 v1, v8, v1, vcc
	v_mov_b32_e32 v8, 0x3b800000
	v_lshlrev_b32_e32 v1, 20, v1
	v_and_b32_e32 v3, 0x80000000, v3
	v_lshl_add_u32 v8, v12, 23, v8
	v_or3_b32 v1, v3, v8, v1
	v_cvt_u32_f32_e32 v3, v1
.LBB356_1287:
	s_or_b64 exec, exec, s[6:7]
.LBB356_1288:
	s_mov_b64 s[6:7], -1
.LBB356_1289:
	s_branch .LBB356_1320
.LBB356_1290:
	s_cmp_gt_i32 s15, 22
	s_cbranch_scc0 .LBB356_1298
; %bb.1291:
	s_cmp_lt_i32 s15, 24
	s_cbranch_scc1 .LBB356_1301
; %bb.1292:
	s_cmp_gt_i32 s15, 24
	s_cbranch_scc0 .LBB356_1302
; %bb.1293:
	global_load_ubyte v1, v[10:11], off
	s_movk_i32 s4, 0x7f
	s_mov_b64 s[6:7], 0
	s_waitcnt vmcnt(0)
	v_cmp_lt_i16_e32 vcc, s4, v1
	s_and_saveexec_b64 s[4:5], vcc
	s_xor_b64 s[4:5], exec, s[4:5]
	s_cbranch_execz .LBB356_1314
; %bb.1294:
	s_movk_i32 s6, 0x80
	v_cmp_ne_u16_e32 vcc, s6, v1
	s_and_b64 s[6:7], vcc, exec
	s_andn2_saveexec_b64 s[4:5], s[4:5]
	s_cbranch_execnz .LBB356_1315
.LBB356_1295:
	s_or_b64 exec, exec, s[4:5]
	v_mov_b32_e32 v3, 0
	s_and_saveexec_b64 s[4:5], s[6:7]
	s_cbranch_execz .LBB356_1297
.LBB356_1296:
	v_lshlrev_b32_e32 v3, 24, v1
	v_and_b32_e32 v1, 0xffff, v1
	v_and_b32_e32 v8, 3, v1
	v_ffbh_u32_e32 v13, v8
	v_min_u32_e32 v13, 32, v13
	v_subrev_u32_e32 v14, 29, v13
	v_bfe_u32 v12, v1, 2, 5
	v_lshlrev_b32_e32 v1, v14, v1
	v_sub_u32_e32 v13, 30, v13
	v_and_b32_e32 v1, 3, v1
	v_cmp_eq_u32_e32 vcc, 0, v12
	v_cndmask_b32_e32 v12, v12, v13, vcc
	v_cndmask_b32_e32 v1, v8, v1, vcc
	v_mov_b32_e32 v8, 0x37800000
	v_lshlrev_b32_e32 v1, 21, v1
	v_and_b32_e32 v3, 0x80000000, v3
	v_lshl_add_u32 v8, v12, 23, v8
	v_or3_b32 v1, v3, v8, v1
	v_cvt_u32_f32_e32 v3, v1
.LBB356_1297:
	s_or_b64 exec, exec, s[4:5]
	s_mov_b64 s[4:5], 0
	s_branch .LBB356_1303
.LBB356_1298:
	s_mov_b64 s[4:5], -1
                                        ; implicit-def: $vgpr3
	s_branch .LBB356_1309
.LBB356_1299:
	s_andn2_saveexec_b64 s[6:7], s[6:7]
	s_cbranch_execz .LBB356_1285
.LBB356_1300:
	v_cmp_ne_u16_e32 vcc, 0, v1
	s_andn2_b64 s[12:13], s[12:13], exec
	s_and_b64 s[16:17], vcc, exec
	s_or_b64 s[12:13], s[12:13], s[16:17]
	s_or_b64 exec, exec, s[6:7]
	v_mov_b32_e32 v3, 0
	s_and_saveexec_b64 s[6:7], s[12:13]
	s_cbranch_execnz .LBB356_1286
	s_branch .LBB356_1287
.LBB356_1301:
	s_mov_b64 s[4:5], -1
                                        ; implicit-def: $vgpr3
	s_branch .LBB356_1306
.LBB356_1302:
	s_mov_b64 s[4:5], -1
                                        ; implicit-def: $vgpr3
.LBB356_1303:
	s_and_b64 vcc, exec, s[4:5]
	s_cbranch_vccz .LBB356_1305
; %bb.1304:
	global_load_ubyte v1, v[10:11], off
	s_mov_b32 s4, 0x7f800000
	s_waitcnt vmcnt(0)
	v_lshlrev_b32_e32 v1, 24, v1
	v_and_b32_e32 v3, 0x7f000000, v1
	v_ffbh_u32_e32 v8, v3
	v_min_u32_e32 v8, 32, v8
	v_sub_u32_e64 v8, v8, 4 clamp
	v_lshlrev_b32_e32 v13, v8, v3
	v_lshlrev_b32_e32 v8, 23, v8
	v_lshrrev_b32_e32 v13, 4, v13
	v_add_u32_e32 v12, 0x1000000, v3
	v_sub_u32_e32 v8, v13, v8
	v_ashrrev_i32_e32 v12, 8, v12
	v_add_u32_e32 v8, 0x3c000000, v8
	v_and_or_b32 v8, v12, s4, v8
	v_cmp_ne_u32_e32 vcc, 0, v3
	v_cndmask_b32_e32 v3, 0, v8, vcc
	s_brev_b32 s4, 1
	v_and_or_b32 v1, v1, s4, v3
	v_cvt_u32_f32_e32 v3, v1
.LBB356_1305:
	s_mov_b64 s[4:5], 0
.LBB356_1306:
	s_andn2_b64 vcc, exec, s[4:5]
	s_cbranch_vccnz .LBB356_1308
; %bb.1307:
	global_load_ubyte v1, v[10:11], off
	s_movk_i32 s4, 0x7f00
	s_brev_b32 s5, 16
	s_waitcnt vmcnt(0)
	v_lshlrev_b16_e32 v3, 8, v1
	v_lshlrev_b32_e32 v1, 25, v1
	v_lshrrev_b32_e32 v8, 4, v1
	v_and_or_b32 v12, v3, s4, 0.5
	v_or_b32_e32 v8, 0x70000000, v8
	v_add_f32_e32 v12, -0.5, v12
	v_mul_f32_e32 v8, 0x7800000, v8
	v_cmp_gt_u32_e32 vcc, s5, v1
	v_bfe_i32 v3, v3, 0, 16
	v_cndmask_b32_e32 v1, v8, v12, vcc
	s_brev_b32 s4, 1
	v_and_or_b32 v1, v3, s4, v1
	v_cvt_u32_f32_e32 v3, v1
.LBB356_1308:
	s_mov_b64 s[4:5], 0
	s_mov_b64 s[6:7], -1
.LBB356_1309:
	s_andn2_b64 vcc, exec, s[4:5]
	s_mov_b64 s[4:5], 0
	s_cbranch_vccnz .LBB356_1320
; %bb.1310:
	s_cmp_gt_i32 s15, 14
	s_cbranch_scc0 .LBB356_1313
; %bb.1311:
	s_cmp_eq_u32 s15, 15
	s_cbranch_scc0 .LBB356_1316
; %bb.1312:
	global_load_ushort v1, v[10:11], off
	s_mov_b64 s[0:1], 0
	s_mov_b64 s[6:7], -1
	s_waitcnt vmcnt(0)
	v_lshlrev_b32_e32 v1, 16, v1
	v_cvt_u32_f32_e32 v3, v1
	s_branch .LBB356_1317
.LBB356_1313:
	s_mov_b64 s[12:13], -1
                                        ; implicit-def: $vgpr3
	s_branch .LBB356_1318
.LBB356_1314:
	s_andn2_saveexec_b64 s[4:5], s[4:5]
	s_cbranch_execz .LBB356_1295
.LBB356_1315:
	v_cmp_ne_u16_e32 vcc, 0, v1
	s_andn2_b64 s[6:7], s[6:7], exec
	s_and_b64 s[12:13], vcc, exec
	s_or_b64 s[6:7], s[6:7], s[12:13]
	s_or_b64 exec, exec, s[4:5]
	v_mov_b32_e32 v3, 0
	s_and_saveexec_b64 s[4:5], s[6:7]
	s_cbranch_execnz .LBB356_1296
	s_branch .LBB356_1297
.LBB356_1316:
	s_mov_b64 s[0:1], -1
                                        ; implicit-def: $vgpr3
.LBB356_1317:
	s_mov_b64 s[12:13], 0
.LBB356_1318:
	s_and_b64 vcc, exec, s[12:13]
	s_cbranch_vccz .LBB356_1320
; %bb.1319:
	s_cmp_lg_u32 s15, 11
	s_mov_b64 s[4:5], -1
	s_cselect_b64 s[0:1], -1, 0
.LBB356_1320:
	s_and_b64 vcc, exec, s[0:1]
	s_cbranch_vccnz .LBB356_1383
; %bb.1321:
	s_andn2_b64 vcc, exec, s[4:5]
	s_cbranch_vccnz .LBB356_1323
.LBB356_1322:
	global_load_ubyte v1, v[10:11], off
	s_mov_b64 s[6:7], -1
	s_waitcnt vmcnt(0)
	v_cmp_ne_u16_e32 vcc, 0, v1
	v_cndmask_b32_e64 v3, 0, 1, vcc
.LBB356_1323:
	s_branch .LBB356_1254
.LBB356_1324:
	s_and_b32 s4, 0xffff, s14
	s_cmp_lt_i32 s4, 5
	s_cbranch_scc1 .LBB356_1329
; %bb.1325:
	s_cmp_lt_i32 s4, 8
	s_cbranch_scc1 .LBB356_1330
; %bb.1326:
	;; [unrolled: 3-line block ×3, first 2 shown]
	s_cmp_gt_i32 s4, 9
	s_cbranch_scc0 .LBB356_1332
; %bb.1328:
	global_load_dwordx2 v[12:13], v[10:11], off
	s_mov_b64 s[0:1], 0
	s_waitcnt vmcnt(0)
	v_cvt_u32_f64_e32 v3, v[12:13]
	s_branch .LBB356_1333
.LBB356_1329:
                                        ; implicit-def: $vgpr3
	s_branch .LBB356_1351
.LBB356_1330:
	s_mov_b64 s[0:1], -1
                                        ; implicit-def: $vgpr3
	s_branch .LBB356_1339
.LBB356_1331:
	s_mov_b64 s[0:1], -1
                                        ; implicit-def: $vgpr3
	s_branch .LBB356_1336
.LBB356_1332:
	s_mov_b64 s[0:1], -1
                                        ; implicit-def: $vgpr3
.LBB356_1333:
	s_andn2_b64 vcc, exec, s[0:1]
	s_cbranch_vccnz .LBB356_1335
; %bb.1334:
	global_load_dword v1, v[10:11], off
	s_waitcnt vmcnt(0)
	v_cvt_u32_f32_e32 v3, v1
.LBB356_1335:
	s_mov_b64 s[0:1], 0
.LBB356_1336:
	s_andn2_b64 vcc, exec, s[0:1]
	s_cbranch_vccnz .LBB356_1338
; %bb.1337:
	global_load_dword v1, v[10:11], off
	s_waitcnt vmcnt(0)
	v_cvt_f32_f16_e32 v1, v1
	v_cvt_u32_f32_e32 v3, v1
.LBB356_1338:
	s_mov_b64 s[0:1], 0
.LBB356_1339:
	s_andn2_b64 vcc, exec, s[0:1]
	s_cbranch_vccnz .LBB356_1350
; %bb.1340:
	s_cmp_lt_i32 s4, 6
	s_cbranch_scc1 .LBB356_1343
; %bb.1341:
	s_cmp_gt_i32 s4, 6
	s_cbranch_scc0 .LBB356_1344
; %bb.1342:
	global_load_dwordx2 v[12:13], v[10:11], off
	s_mov_b64 s[0:1], 0
	s_waitcnt vmcnt(0)
	v_cvt_u32_f64_e32 v3, v[12:13]
	s_branch .LBB356_1345
.LBB356_1343:
	s_mov_b64 s[0:1], -1
                                        ; implicit-def: $vgpr3
	s_branch .LBB356_1348
.LBB356_1344:
	s_mov_b64 s[0:1], -1
                                        ; implicit-def: $vgpr3
.LBB356_1345:
	s_andn2_b64 vcc, exec, s[0:1]
	s_cbranch_vccnz .LBB356_1347
; %bb.1346:
	global_load_dword v1, v[10:11], off
	s_waitcnt vmcnt(0)
	v_cvt_u32_f32_e32 v3, v1
.LBB356_1347:
	s_mov_b64 s[0:1], 0
.LBB356_1348:
	s_andn2_b64 vcc, exec, s[0:1]
	s_cbranch_vccnz .LBB356_1350
; %bb.1349:
	global_load_ushort v1, v[10:11], off
	s_waitcnt vmcnt(0)
	v_cvt_f32_f16_e32 v1, v1
	v_cvt_u32_f32_e32 v3, v1
.LBB356_1350:
	s_cbranch_execnz .LBB356_1370
.LBB356_1351:
	s_cmp_lt_i32 s4, 2
	s_cbranch_scc1 .LBB356_1355
; %bb.1352:
	s_cmp_lt_i32 s4, 3
	s_cbranch_scc1 .LBB356_1356
; %bb.1353:
	s_cmp_gt_i32 s4, 3
	s_cbranch_scc0 .LBB356_1357
; %bb.1354:
	global_load_dword v3, v[10:11], off
	s_mov_b64 s[0:1], 0
	s_branch .LBB356_1358
.LBB356_1355:
	s_mov_b64 s[0:1], -1
                                        ; implicit-def: $vgpr3
	s_branch .LBB356_1364
.LBB356_1356:
	s_mov_b64 s[0:1], -1
                                        ; implicit-def: $vgpr3
	s_branch .LBB356_1361
.LBB356_1357:
	s_mov_b64 s[0:1], -1
                                        ; implicit-def: $vgpr3
.LBB356_1358:
	s_andn2_b64 vcc, exec, s[0:1]
	s_cbranch_vccnz .LBB356_1360
; %bb.1359:
	global_load_dword v3, v[10:11], off
.LBB356_1360:
	s_mov_b64 s[0:1], 0
.LBB356_1361:
	s_andn2_b64 vcc, exec, s[0:1]
	s_cbranch_vccnz .LBB356_1363
; %bb.1362:
	global_load_sshort v3, v[10:11], off
.LBB356_1363:
	s_mov_b64 s[0:1], 0
.LBB356_1364:
	s_andn2_b64 vcc, exec, s[0:1]
	s_cbranch_vccnz .LBB356_1370
; %bb.1365:
	s_cmp_gt_i32 s4, 0
	s_cbranch_scc0 .LBB356_1367
; %bb.1366:
	global_load_sbyte v3, v[10:11], off
	s_mov_b64 s[0:1], 0
	s_branch .LBB356_1368
.LBB356_1367:
	s_mov_b64 s[0:1], -1
                                        ; implicit-def: $vgpr3
.LBB356_1368:
	s_andn2_b64 vcc, exec, s[0:1]
	s_cbranch_vccnz .LBB356_1370
; %bb.1369:
	global_load_ubyte v3, v[10:11], off
.LBB356_1370:
.LBB356_1371:
	v_mov_b32_e32 v1, s11
	v_add_co_u32_e32 v8, vcc, s10, v9
	s_cmp_lt_i32 s14, 11
	v_addc_co_u32_e32 v9, vcc, 0, v1, vcc
	s_cbranch_scc1 .LBB356_1378
; %bb.1372:
	s_and_b32 s15, 0xffff, s14
	s_cmp_gt_i32 s15, 25
	s_mov_b64 s[4:5], 0
	s_cbranch_scc0 .LBB356_1380
; %bb.1373:
	s_cmp_gt_i32 s15, 28
	s_cbranch_scc0 .LBB356_1381
; %bb.1374:
	s_cmp_gt_i32 s15, 43
	;; [unrolled: 3-line block ×3, first 2 shown]
	s_cbranch_scc0 .LBB356_1384
; %bb.1376:
	s_cmp_eq_u32 s15, 46
	s_mov_b64 s[12:13], 0
	s_cbranch_scc0 .LBB356_1385
; %bb.1377:
	global_load_dword v1, v[8:9], off
	s_mov_b64 s[0:1], 0
	s_mov_b64 s[6:7], -1
	s_waitcnt vmcnt(0)
	v_lshlrev_b32_e32 v1, 16, v1
	v_cvt_u32_f32_e32 v1, v1
	s_branch .LBB356_1386
.LBB356_1378:
	s_mov_b64 s[6:7], 0
                                        ; implicit-def: $vgpr1
	s_cbranch_execnz .LBB356_1448
.LBB356_1379:
	s_andn2_b64 vcc, exec, s[6:7]
	s_cbranch_vccnz .LBB356_2055
	s_branch .LBB356_1496
.LBB356_1380:
	s_mov_b64 s[12:13], -1
	s_mov_b64 s[6:7], 0
	s_mov_b64 s[0:1], 0
                                        ; implicit-def: $vgpr1
	s_branch .LBB356_1413
.LBB356_1381:
	s_mov_b64 s[12:13], -1
	s_mov_b64 s[6:7], 0
	s_mov_b64 s[0:1], 0
                                        ; implicit-def: $vgpr1
	s_branch .LBB356_1396
.LBB356_1382:
	s_mov_b64 s[12:13], -1
	s_mov_b64 s[6:7], 0
	s_mov_b64 s[0:1], 0
                                        ; implicit-def: $vgpr1
	s_branch .LBB356_1391
.LBB356_1383:
	s_trap 2
	s_or_b64 s[2:3], s[2:3], exec
	s_cbranch_execz .LBB356_1322
	s_branch .LBB356_1323
.LBB356_1384:
	s_mov_b64 s[12:13], -1
	s_mov_b64 s[6:7], 0
	s_mov_b64 s[0:1], 0
                                        ; implicit-def: $vgpr1
	s_branch .LBB356_1386
.LBB356_1385:
	s_mov_b64 s[0:1], -1
                                        ; implicit-def: $vgpr1
	s_mov_b64 s[6:7], 0
.LBB356_1386:
	s_and_b64 vcc, exec, s[12:13]
	s_cbranch_vccz .LBB356_1390
; %bb.1387:
	s_cmp_eq_u32 s15, 44
	s_cbranch_scc0 .LBB356_1389
; %bb.1388:
	global_load_ubyte v1, v[8:9], off
	s_mov_b64 s[0:1], 0
	s_mov_b64 s[6:7], -1
	s_waitcnt vmcnt(0)
	v_lshlrev_b32_e32 v10, 23, v1
	v_cvt_u32_f32_e32 v10, v10
	v_cmp_ne_u32_e32 vcc, 0, v1
	v_cndmask_b32_e32 v1, 0, v10, vcc
	s_branch .LBB356_1390
.LBB356_1389:
	s_mov_b64 s[0:1], -1
                                        ; implicit-def: $vgpr1
.LBB356_1390:
	s_mov_b64 s[12:13], 0
.LBB356_1391:
	s_and_b64 vcc, exec, s[12:13]
	s_cbranch_vccz .LBB356_1395
; %bb.1392:
	s_cmp_eq_u32 s15, 29
	s_cbranch_scc0 .LBB356_1394
; %bb.1393:
	global_load_dword v1, v[8:9], off
	s_mov_b64 s[0:1], 0
	s_mov_b64 s[6:7], -1
	s_branch .LBB356_1395
.LBB356_1394:
	s_mov_b64 s[0:1], -1
                                        ; implicit-def: $vgpr1
.LBB356_1395:
	s_mov_b64 s[12:13], 0
.LBB356_1396:
	s_and_b64 vcc, exec, s[12:13]
	s_cbranch_vccz .LBB356_1412
; %bb.1397:
	s_cmp_lt_i32 s15, 27
	s_cbranch_scc1 .LBB356_1400
; %bb.1398:
	s_cmp_gt_i32 s15, 27
	s_cbranch_scc0 .LBB356_1401
; %bb.1399:
	global_load_dword v1, v[8:9], off
	s_mov_b64 s[6:7], 0
	s_branch .LBB356_1402
.LBB356_1400:
	s_mov_b64 s[6:7], -1
                                        ; implicit-def: $vgpr1
	s_branch .LBB356_1405
.LBB356_1401:
	s_mov_b64 s[6:7], -1
                                        ; implicit-def: $vgpr1
.LBB356_1402:
	s_andn2_b64 vcc, exec, s[6:7]
	s_cbranch_vccnz .LBB356_1404
; %bb.1403:
	global_load_ushort v1, v[8:9], off
.LBB356_1404:
	s_mov_b64 s[6:7], 0
.LBB356_1405:
	s_andn2_b64 vcc, exec, s[6:7]
	s_cbranch_vccnz .LBB356_1411
; %bb.1406:
	global_load_ubyte v10, v[8:9], off
	s_movk_i32 s6, 0x7f
	s_mov_b64 s[12:13], 0
	s_waitcnt vmcnt(0)
	v_cmp_lt_i16_e32 vcc, s6, v10
	s_and_saveexec_b64 s[6:7], vcc
	s_xor_b64 s[6:7], exec, s[6:7]
	s_cbranch_execz .LBB356_1423
; %bb.1407:
	s_movk_i32 s12, 0x80
	v_cmp_ne_u16_e32 vcc, s12, v10
	s_and_b64 s[12:13], vcc, exec
	s_andn2_saveexec_b64 s[6:7], s[6:7]
	s_cbranch_execnz .LBB356_1424
.LBB356_1408:
	s_or_b64 exec, exec, s[6:7]
	v_mov_b32_e32 v1, 0
	s_and_saveexec_b64 s[6:7], s[12:13]
	s_cbranch_execz .LBB356_1410
.LBB356_1409:
	v_lshlrev_b32_e32 v1, 24, v10
	v_and_b32_e32 v10, 0xffff, v10
	v_and_b32_e32 v11, 7, v10
	v_ffbh_u32_e32 v13, v11
	v_min_u32_e32 v13, 32, v13
	v_subrev_u32_e32 v14, 28, v13
	v_bfe_u32 v12, v10, 3, 4
	v_lshlrev_b32_e32 v10, v14, v10
	v_sub_u32_e32 v13, 29, v13
	v_and_b32_e32 v10, 7, v10
	v_cmp_eq_u32_e32 vcc, 0, v12
	v_cndmask_b32_e32 v12, v12, v13, vcc
	v_cndmask_b32_e32 v10, v11, v10, vcc
	v_mov_b32_e32 v11, 0x3b800000
	v_lshlrev_b32_e32 v10, 20, v10
	v_and_b32_e32 v1, 0x80000000, v1
	v_lshl_add_u32 v11, v12, 23, v11
	v_or3_b32 v1, v1, v11, v10
	v_cvt_u32_f32_e32 v1, v1
.LBB356_1410:
	s_or_b64 exec, exec, s[6:7]
.LBB356_1411:
	s_mov_b64 s[6:7], -1
.LBB356_1412:
	s_mov_b64 s[12:13], 0
.LBB356_1413:
	s_and_b64 vcc, exec, s[12:13]
	s_cbranch_vccz .LBB356_1444
; %bb.1414:
	s_cmp_gt_i32 s15, 22
	s_cbranch_scc0 .LBB356_1422
; %bb.1415:
	s_cmp_lt_i32 s15, 24
	s_cbranch_scc1 .LBB356_1425
; %bb.1416:
	s_cmp_gt_i32 s15, 24
	s_cbranch_scc0 .LBB356_1426
; %bb.1417:
	global_load_ubyte v10, v[8:9], off
	s_movk_i32 s4, 0x7f
	s_mov_b64 s[6:7], 0
	s_waitcnt vmcnt(0)
	v_cmp_lt_i16_e32 vcc, s4, v10
	s_and_saveexec_b64 s[4:5], vcc
	s_xor_b64 s[4:5], exec, s[4:5]
	s_cbranch_execz .LBB356_1438
; %bb.1418:
	s_movk_i32 s6, 0x80
	v_cmp_ne_u16_e32 vcc, s6, v10
	s_and_b64 s[6:7], vcc, exec
	s_andn2_saveexec_b64 s[4:5], s[4:5]
	s_cbranch_execnz .LBB356_1439
.LBB356_1419:
	s_or_b64 exec, exec, s[4:5]
	v_mov_b32_e32 v1, 0
	s_and_saveexec_b64 s[4:5], s[6:7]
	s_cbranch_execz .LBB356_1421
.LBB356_1420:
	v_lshlrev_b32_e32 v1, 24, v10
	v_and_b32_e32 v10, 0xffff, v10
	v_and_b32_e32 v11, 3, v10
	v_ffbh_u32_e32 v13, v11
	v_min_u32_e32 v13, 32, v13
	v_subrev_u32_e32 v14, 29, v13
	v_bfe_u32 v12, v10, 2, 5
	v_lshlrev_b32_e32 v10, v14, v10
	v_sub_u32_e32 v13, 30, v13
	v_and_b32_e32 v10, 3, v10
	v_cmp_eq_u32_e32 vcc, 0, v12
	v_cndmask_b32_e32 v12, v12, v13, vcc
	v_cndmask_b32_e32 v10, v11, v10, vcc
	v_mov_b32_e32 v11, 0x37800000
	v_lshlrev_b32_e32 v10, 21, v10
	v_and_b32_e32 v1, 0x80000000, v1
	v_lshl_add_u32 v11, v12, 23, v11
	v_or3_b32 v1, v1, v11, v10
	v_cvt_u32_f32_e32 v1, v1
.LBB356_1421:
	s_or_b64 exec, exec, s[4:5]
	s_mov_b64 s[4:5], 0
	s_branch .LBB356_1427
.LBB356_1422:
	s_mov_b64 s[4:5], -1
                                        ; implicit-def: $vgpr1
	s_branch .LBB356_1433
.LBB356_1423:
	s_andn2_saveexec_b64 s[6:7], s[6:7]
	s_cbranch_execz .LBB356_1408
.LBB356_1424:
	v_cmp_ne_u16_e32 vcc, 0, v10
	s_andn2_b64 s[12:13], s[12:13], exec
	s_and_b64 s[16:17], vcc, exec
	s_or_b64 s[12:13], s[12:13], s[16:17]
	s_or_b64 exec, exec, s[6:7]
	v_mov_b32_e32 v1, 0
	s_and_saveexec_b64 s[6:7], s[12:13]
	s_cbranch_execnz .LBB356_1409
	s_branch .LBB356_1410
.LBB356_1425:
	s_mov_b64 s[4:5], -1
                                        ; implicit-def: $vgpr1
	s_branch .LBB356_1430
.LBB356_1426:
	s_mov_b64 s[4:5], -1
                                        ; implicit-def: $vgpr1
.LBB356_1427:
	s_and_b64 vcc, exec, s[4:5]
	s_cbranch_vccz .LBB356_1429
; %bb.1428:
	global_load_ubyte v1, v[8:9], off
	s_mov_b32 s4, 0x7f800000
	s_waitcnt vmcnt(0)
	v_lshlrev_b32_e32 v1, 24, v1
	v_and_b32_e32 v10, 0x7f000000, v1
	v_ffbh_u32_e32 v11, v10
	v_min_u32_e32 v11, 32, v11
	v_sub_u32_e64 v11, v11, 4 clamp
	v_lshlrev_b32_e32 v13, v11, v10
	v_lshlrev_b32_e32 v11, 23, v11
	v_lshrrev_b32_e32 v13, 4, v13
	v_add_u32_e32 v12, 0x1000000, v10
	v_sub_u32_e32 v11, v13, v11
	v_ashrrev_i32_e32 v12, 8, v12
	v_add_u32_e32 v11, 0x3c000000, v11
	v_and_or_b32 v11, v12, s4, v11
	v_cmp_ne_u32_e32 vcc, 0, v10
	v_cndmask_b32_e32 v10, 0, v11, vcc
	s_brev_b32 s4, 1
	v_and_or_b32 v1, v1, s4, v10
	v_cvt_u32_f32_e32 v1, v1
.LBB356_1429:
	s_mov_b64 s[4:5], 0
.LBB356_1430:
	s_andn2_b64 vcc, exec, s[4:5]
	s_cbranch_vccnz .LBB356_1432
; %bb.1431:
	global_load_ubyte v1, v[8:9], off
	s_movk_i32 s4, 0x7f00
	s_brev_b32 s5, 16
	s_waitcnt vmcnt(0)
	v_lshlrev_b16_e32 v10, 8, v1
	v_lshlrev_b32_e32 v1, 25, v1
	v_lshrrev_b32_e32 v11, 4, v1
	v_and_or_b32 v12, v10, s4, 0.5
	v_or_b32_e32 v11, 0x70000000, v11
	v_add_f32_e32 v12, -0.5, v12
	v_mul_f32_e32 v11, 0x7800000, v11
	v_cmp_gt_u32_e32 vcc, s5, v1
	v_bfe_i32 v10, v10, 0, 16
	v_cndmask_b32_e32 v1, v11, v12, vcc
	s_brev_b32 s4, 1
	v_and_or_b32 v1, v10, s4, v1
	v_cvt_u32_f32_e32 v1, v1
.LBB356_1432:
	s_mov_b64 s[4:5], 0
	s_mov_b64 s[6:7], -1
.LBB356_1433:
	s_andn2_b64 vcc, exec, s[4:5]
	s_mov_b64 s[4:5], 0
	s_cbranch_vccnz .LBB356_1444
; %bb.1434:
	s_cmp_gt_i32 s15, 14
	s_cbranch_scc0 .LBB356_1437
; %bb.1435:
	s_cmp_eq_u32 s15, 15
	s_cbranch_scc0 .LBB356_1440
; %bb.1436:
	global_load_ushort v1, v[8:9], off
	s_mov_b64 s[0:1], 0
	s_mov_b64 s[6:7], -1
	s_waitcnt vmcnt(0)
	v_lshlrev_b32_e32 v1, 16, v1
	v_cvt_u32_f32_e32 v1, v1
	s_branch .LBB356_1441
.LBB356_1437:
	s_mov_b64 s[12:13], -1
                                        ; implicit-def: $vgpr1
	s_branch .LBB356_1442
.LBB356_1438:
	s_andn2_saveexec_b64 s[4:5], s[4:5]
	s_cbranch_execz .LBB356_1419
.LBB356_1439:
	v_cmp_ne_u16_e32 vcc, 0, v10
	s_andn2_b64 s[6:7], s[6:7], exec
	s_and_b64 s[12:13], vcc, exec
	s_or_b64 s[6:7], s[6:7], s[12:13]
	s_or_b64 exec, exec, s[4:5]
	v_mov_b32_e32 v1, 0
	s_and_saveexec_b64 s[4:5], s[6:7]
	s_cbranch_execnz .LBB356_1420
	s_branch .LBB356_1421
.LBB356_1440:
	s_mov_b64 s[0:1], -1
                                        ; implicit-def: $vgpr1
.LBB356_1441:
	s_mov_b64 s[12:13], 0
.LBB356_1442:
	s_and_b64 vcc, exec, s[12:13]
	s_cbranch_vccz .LBB356_1444
; %bb.1443:
	s_cmp_lg_u32 s15, 11
	s_mov_b64 s[4:5], -1
	s_cselect_b64 s[0:1], -1, 0
.LBB356_1444:
	s_and_b64 vcc, exec, s[0:1]
	s_cbranch_vccnz .LBB356_1507
; %bb.1445:
	s_andn2_b64 vcc, exec, s[4:5]
	s_cbranch_vccnz .LBB356_1447
.LBB356_1446:
	global_load_ubyte v1, v[8:9], off
	s_mov_b64 s[6:7], -1
	s_waitcnt vmcnt(0)
	v_cmp_ne_u16_e32 vcc, 0, v1
	v_cndmask_b32_e64 v1, 0, 1, vcc
.LBB356_1447:
	s_branch .LBB356_1379
.LBB356_1448:
	s_and_b32 s4, 0xffff, s14
	s_cmp_lt_i32 s4, 5
	s_cbranch_scc1 .LBB356_1453
; %bb.1449:
	s_cmp_lt_i32 s4, 8
	s_cbranch_scc1 .LBB356_1454
; %bb.1450:
	;; [unrolled: 3-line block ×3, first 2 shown]
	s_cmp_gt_i32 s4, 9
	s_cbranch_scc0 .LBB356_1456
; %bb.1452:
	global_load_dwordx2 v[10:11], v[8:9], off
	s_mov_b64 s[0:1], 0
	s_waitcnt vmcnt(0)
	v_cvt_u32_f64_e32 v1, v[10:11]
	s_branch .LBB356_1457
.LBB356_1453:
	s_mov_b64 s[0:1], -1
                                        ; implicit-def: $vgpr1
	s_branch .LBB356_1475
.LBB356_1454:
	s_mov_b64 s[0:1], -1
                                        ; implicit-def: $vgpr1
	s_branch .LBB356_1463
.LBB356_1455:
	s_mov_b64 s[0:1], -1
                                        ; implicit-def: $vgpr1
	s_branch .LBB356_1460
.LBB356_1456:
	s_mov_b64 s[0:1], -1
                                        ; implicit-def: $vgpr1
.LBB356_1457:
	s_andn2_b64 vcc, exec, s[0:1]
	s_cbranch_vccnz .LBB356_1459
; %bb.1458:
	global_load_dword v1, v[8:9], off
	s_waitcnt vmcnt(0)
	v_cvt_u32_f32_e32 v1, v1
.LBB356_1459:
	s_mov_b64 s[0:1], 0
.LBB356_1460:
	s_andn2_b64 vcc, exec, s[0:1]
	s_cbranch_vccnz .LBB356_1462
; %bb.1461:
	global_load_dword v1, v[8:9], off
	s_waitcnt vmcnt(0)
	v_cvt_f32_f16_e32 v1, v1
	v_cvt_u32_f32_e32 v1, v1
.LBB356_1462:
	s_mov_b64 s[0:1], 0
.LBB356_1463:
	s_andn2_b64 vcc, exec, s[0:1]
	s_cbranch_vccnz .LBB356_1474
; %bb.1464:
	s_cmp_lt_i32 s4, 6
	s_cbranch_scc1 .LBB356_1467
; %bb.1465:
	s_cmp_gt_i32 s4, 6
	s_cbranch_scc0 .LBB356_1468
; %bb.1466:
	global_load_dwordx2 v[10:11], v[8:9], off
	s_mov_b64 s[0:1], 0
	s_waitcnt vmcnt(0)
	v_cvt_u32_f64_e32 v1, v[10:11]
	s_branch .LBB356_1469
.LBB356_1467:
	s_mov_b64 s[0:1], -1
                                        ; implicit-def: $vgpr1
	s_branch .LBB356_1472
.LBB356_1468:
	s_mov_b64 s[0:1], -1
                                        ; implicit-def: $vgpr1
.LBB356_1469:
	s_andn2_b64 vcc, exec, s[0:1]
	s_cbranch_vccnz .LBB356_1471
; %bb.1470:
	global_load_dword v1, v[8:9], off
	s_waitcnt vmcnt(0)
	v_cvt_u32_f32_e32 v1, v1
.LBB356_1471:
	s_mov_b64 s[0:1], 0
.LBB356_1472:
	s_andn2_b64 vcc, exec, s[0:1]
	s_cbranch_vccnz .LBB356_1474
; %bb.1473:
	global_load_ushort v1, v[8:9], off
	s_waitcnt vmcnt(0)
	v_cvt_f32_f16_e32 v1, v1
	v_cvt_u32_f32_e32 v1, v1
.LBB356_1474:
	s_mov_b64 s[0:1], 0
.LBB356_1475:
	s_andn2_b64 vcc, exec, s[0:1]
	s_cbranch_vccnz .LBB356_1495
; %bb.1476:
	s_cmp_lt_i32 s4, 2
	s_cbranch_scc1 .LBB356_1480
; %bb.1477:
	s_cmp_lt_i32 s4, 3
	s_cbranch_scc1 .LBB356_1481
; %bb.1478:
	s_cmp_gt_i32 s4, 3
	s_cbranch_scc0 .LBB356_1482
; %bb.1479:
	global_load_dword v1, v[8:9], off
	s_mov_b64 s[0:1], 0
	s_branch .LBB356_1483
.LBB356_1480:
	s_mov_b64 s[0:1], -1
                                        ; implicit-def: $vgpr1
	s_branch .LBB356_1489
.LBB356_1481:
	s_mov_b64 s[0:1], -1
                                        ; implicit-def: $vgpr1
	s_branch .LBB356_1486
.LBB356_1482:
	s_mov_b64 s[0:1], -1
                                        ; implicit-def: $vgpr1
.LBB356_1483:
	s_andn2_b64 vcc, exec, s[0:1]
	s_cbranch_vccnz .LBB356_1485
; %bb.1484:
	global_load_dword v1, v[8:9], off
.LBB356_1485:
	s_mov_b64 s[0:1], 0
.LBB356_1486:
	s_andn2_b64 vcc, exec, s[0:1]
	s_cbranch_vccnz .LBB356_1488
; %bb.1487:
	global_load_sshort v1, v[8:9], off
.LBB356_1488:
	s_mov_b64 s[0:1], 0
.LBB356_1489:
	s_andn2_b64 vcc, exec, s[0:1]
	s_cbranch_vccnz .LBB356_1495
; %bb.1490:
	s_cmp_gt_i32 s4, 0
	s_cbranch_scc0 .LBB356_1492
; %bb.1491:
	global_load_sbyte v1, v[8:9], off
	s_mov_b64 s[0:1], 0
	s_branch .LBB356_1493
.LBB356_1492:
	s_mov_b64 s[0:1], -1
                                        ; implicit-def: $vgpr1
.LBB356_1493:
	s_andn2_b64 vcc, exec, s[0:1]
	s_cbranch_vccnz .LBB356_1495
; %bb.1494:
	global_load_ubyte v1, v[8:9], off
.LBB356_1495:
.LBB356_1496:
	v_mov_b32_e32 v8, s11
	v_add_co_u32_e32 v7, vcc, s10, v7
	s_cmp_lt_i32 s14, 11
	v_addc_co_u32_e32 v8, vcc, 0, v8, vcc
	s_cbranch_scc1 .LBB356_1503
; %bb.1497:
	s_and_b32 s12, 0xffff, s14
	s_cmp_gt_i32 s12, 25
	s_mov_b64 s[4:5], 0
	s_cbranch_scc0 .LBB356_1504
; %bb.1498:
	s_cmp_gt_i32 s12, 28
	s_cbranch_scc0 .LBB356_1505
; %bb.1499:
	s_cmp_gt_i32 s12, 43
	;; [unrolled: 3-line block ×3, first 2 shown]
	s_cbranch_scc0 .LBB356_1508
; %bb.1501:
	s_cmp_eq_u32 s12, 46
	s_mov_b64 s[10:11], 0
	s_cbranch_scc0 .LBB356_1509
; %bb.1502:
	global_load_dword v9, v[7:8], off
	s_mov_b64 s[0:1], 0
	s_mov_b64 s[6:7], -1
	s_waitcnt vmcnt(0)
	v_lshlrev_b32_e32 v9, 16, v9
	v_cvt_u32_f32_e32 v9, v9
	s_branch .LBB356_1510
.LBB356_1503:
	s_mov_b64 s[0:1], -1
	s_mov_b64 s[6:7], 0
                                        ; implicit-def: $vgpr9
	s_branch .LBB356_1572
.LBB356_1504:
	s_mov_b64 s[10:11], -1
	s_mov_b64 s[6:7], 0
	s_mov_b64 s[0:1], 0
                                        ; implicit-def: $vgpr9
	s_branch .LBB356_1537
.LBB356_1505:
	s_mov_b64 s[10:11], -1
	s_mov_b64 s[6:7], 0
	s_mov_b64 s[0:1], 0
                                        ; implicit-def: $vgpr9
	s_branch .LBB356_1520
.LBB356_1506:
	s_mov_b64 s[10:11], -1
	s_mov_b64 s[6:7], 0
	s_mov_b64 s[0:1], 0
                                        ; implicit-def: $vgpr9
	s_branch .LBB356_1515
.LBB356_1507:
	s_trap 2
	s_or_b64 s[2:3], s[2:3], exec
	s_cbranch_execz .LBB356_1446
	s_branch .LBB356_1447
.LBB356_1508:
	s_mov_b64 s[10:11], -1
	s_mov_b64 s[6:7], 0
	s_mov_b64 s[0:1], 0
                                        ; implicit-def: $vgpr9
	s_branch .LBB356_1510
.LBB356_1509:
	s_mov_b64 s[0:1], -1
                                        ; implicit-def: $vgpr9
	s_mov_b64 s[6:7], 0
.LBB356_1510:
	s_and_b64 vcc, exec, s[10:11]
	s_cbranch_vccz .LBB356_1514
; %bb.1511:
	s_cmp_eq_u32 s12, 44
	s_cbranch_scc0 .LBB356_1513
; %bb.1512:
	global_load_ubyte v9, v[7:8], off
	s_mov_b64 s[0:1], 0
	s_mov_b64 s[6:7], -1
	s_waitcnt vmcnt(0)
	v_lshlrev_b32_e32 v10, 23, v9
	v_cvt_u32_f32_e32 v10, v10
	v_cmp_ne_u32_e32 vcc, 0, v9
	v_cndmask_b32_e32 v9, 0, v10, vcc
	s_branch .LBB356_1514
.LBB356_1513:
	s_mov_b64 s[0:1], -1
                                        ; implicit-def: $vgpr9
.LBB356_1514:
	s_mov_b64 s[10:11], 0
.LBB356_1515:
	s_and_b64 vcc, exec, s[10:11]
	s_cbranch_vccz .LBB356_1519
; %bb.1516:
	s_cmp_eq_u32 s12, 29
	s_cbranch_scc0 .LBB356_1518
; %bb.1517:
	global_load_dword v9, v[7:8], off
	s_mov_b64 s[0:1], 0
	s_mov_b64 s[6:7], -1
	s_branch .LBB356_1519
.LBB356_1518:
	s_mov_b64 s[0:1], -1
                                        ; implicit-def: $vgpr9
.LBB356_1519:
	s_mov_b64 s[10:11], 0
.LBB356_1520:
	s_and_b64 vcc, exec, s[10:11]
	s_cbranch_vccz .LBB356_1536
; %bb.1521:
	s_cmp_lt_i32 s12, 27
	s_cbranch_scc1 .LBB356_1524
; %bb.1522:
	s_cmp_gt_i32 s12, 27
	s_cbranch_scc0 .LBB356_1525
; %bb.1523:
	global_load_dword v9, v[7:8], off
	s_mov_b64 s[6:7], 0
	s_branch .LBB356_1526
.LBB356_1524:
	s_mov_b64 s[6:7], -1
                                        ; implicit-def: $vgpr9
	s_branch .LBB356_1529
.LBB356_1525:
	s_mov_b64 s[6:7], -1
                                        ; implicit-def: $vgpr9
.LBB356_1526:
	s_andn2_b64 vcc, exec, s[6:7]
	s_cbranch_vccnz .LBB356_1528
; %bb.1527:
	global_load_ushort v9, v[7:8], off
.LBB356_1528:
	s_mov_b64 s[6:7], 0
.LBB356_1529:
	s_andn2_b64 vcc, exec, s[6:7]
	s_cbranch_vccnz .LBB356_1535
; %bb.1530:
	global_load_ubyte v10, v[7:8], off
	s_movk_i32 s6, 0x7f
	s_mov_b64 s[10:11], 0
	s_waitcnt vmcnt(0)
	v_cmp_lt_i16_e32 vcc, s6, v10
	s_and_saveexec_b64 s[6:7], vcc
	s_xor_b64 s[6:7], exec, s[6:7]
	s_cbranch_execz .LBB356_1547
; %bb.1531:
	s_movk_i32 s10, 0x80
	v_cmp_ne_u16_e32 vcc, s10, v10
	s_and_b64 s[10:11], vcc, exec
	s_andn2_saveexec_b64 s[6:7], s[6:7]
	s_cbranch_execnz .LBB356_1548
.LBB356_1532:
	s_or_b64 exec, exec, s[6:7]
	v_mov_b32_e32 v9, 0
	s_and_saveexec_b64 s[6:7], s[10:11]
	s_cbranch_execz .LBB356_1534
.LBB356_1533:
	v_lshlrev_b32_e32 v9, 24, v10
	v_and_b32_e32 v10, 0xffff, v10
	v_and_b32_e32 v11, 7, v10
	v_ffbh_u32_e32 v13, v11
	v_min_u32_e32 v13, 32, v13
	v_subrev_u32_e32 v14, 28, v13
	v_bfe_u32 v12, v10, 3, 4
	v_lshlrev_b32_e32 v10, v14, v10
	v_sub_u32_e32 v13, 29, v13
	v_and_b32_e32 v10, 7, v10
	v_cmp_eq_u32_e32 vcc, 0, v12
	v_cndmask_b32_e32 v12, v12, v13, vcc
	v_cndmask_b32_e32 v10, v11, v10, vcc
	v_mov_b32_e32 v11, 0x3b800000
	v_lshlrev_b32_e32 v10, 20, v10
	v_and_b32_e32 v9, 0x80000000, v9
	v_lshl_add_u32 v11, v12, 23, v11
	v_or3_b32 v9, v9, v11, v10
	v_cvt_u32_f32_e32 v9, v9
.LBB356_1534:
	s_or_b64 exec, exec, s[6:7]
.LBB356_1535:
	s_mov_b64 s[6:7], -1
.LBB356_1536:
	s_mov_b64 s[10:11], 0
.LBB356_1537:
	s_and_b64 vcc, exec, s[10:11]
	s_cbranch_vccz .LBB356_1568
; %bb.1538:
	s_cmp_gt_i32 s12, 22
	s_cbranch_scc0 .LBB356_1546
; %bb.1539:
	s_cmp_lt_i32 s12, 24
	s_cbranch_scc1 .LBB356_1549
; %bb.1540:
	s_cmp_gt_i32 s12, 24
	s_cbranch_scc0 .LBB356_1550
; %bb.1541:
	global_load_ubyte v10, v[7:8], off
	s_movk_i32 s4, 0x7f
	s_mov_b64 s[6:7], 0
	s_waitcnt vmcnt(0)
	v_cmp_lt_i16_e32 vcc, s4, v10
	s_and_saveexec_b64 s[4:5], vcc
	s_xor_b64 s[4:5], exec, s[4:5]
	s_cbranch_execz .LBB356_1562
; %bb.1542:
	s_movk_i32 s6, 0x80
	v_cmp_ne_u16_e32 vcc, s6, v10
	s_and_b64 s[6:7], vcc, exec
	s_andn2_saveexec_b64 s[4:5], s[4:5]
	s_cbranch_execnz .LBB356_1563
.LBB356_1543:
	s_or_b64 exec, exec, s[4:5]
	v_mov_b32_e32 v9, 0
	s_and_saveexec_b64 s[4:5], s[6:7]
	s_cbranch_execz .LBB356_1545
.LBB356_1544:
	v_lshlrev_b32_e32 v9, 24, v10
	v_and_b32_e32 v10, 0xffff, v10
	v_and_b32_e32 v11, 3, v10
	v_ffbh_u32_e32 v13, v11
	v_min_u32_e32 v13, 32, v13
	v_subrev_u32_e32 v14, 29, v13
	v_bfe_u32 v12, v10, 2, 5
	v_lshlrev_b32_e32 v10, v14, v10
	v_sub_u32_e32 v13, 30, v13
	v_and_b32_e32 v10, 3, v10
	v_cmp_eq_u32_e32 vcc, 0, v12
	v_cndmask_b32_e32 v12, v12, v13, vcc
	v_cndmask_b32_e32 v10, v11, v10, vcc
	v_mov_b32_e32 v11, 0x37800000
	v_lshlrev_b32_e32 v10, 21, v10
	v_and_b32_e32 v9, 0x80000000, v9
	v_lshl_add_u32 v11, v12, 23, v11
	v_or3_b32 v9, v9, v11, v10
	v_cvt_u32_f32_e32 v9, v9
.LBB356_1545:
	s_or_b64 exec, exec, s[4:5]
	s_mov_b64 s[4:5], 0
	s_branch .LBB356_1551
.LBB356_1546:
	s_mov_b64 s[4:5], -1
                                        ; implicit-def: $vgpr9
	s_branch .LBB356_1557
.LBB356_1547:
	s_andn2_saveexec_b64 s[6:7], s[6:7]
	s_cbranch_execz .LBB356_1532
.LBB356_1548:
	v_cmp_ne_u16_e32 vcc, 0, v10
	s_andn2_b64 s[10:11], s[10:11], exec
	s_and_b64 s[16:17], vcc, exec
	s_or_b64 s[10:11], s[10:11], s[16:17]
	s_or_b64 exec, exec, s[6:7]
	v_mov_b32_e32 v9, 0
	s_and_saveexec_b64 s[6:7], s[10:11]
	s_cbranch_execnz .LBB356_1533
	s_branch .LBB356_1534
.LBB356_1549:
	s_mov_b64 s[4:5], -1
                                        ; implicit-def: $vgpr9
	s_branch .LBB356_1554
.LBB356_1550:
	s_mov_b64 s[4:5], -1
                                        ; implicit-def: $vgpr9
.LBB356_1551:
	s_and_b64 vcc, exec, s[4:5]
	s_cbranch_vccz .LBB356_1553
; %bb.1552:
	global_load_ubyte v9, v[7:8], off
	s_mov_b32 s4, 0x7f800000
	s_waitcnt vmcnt(0)
	v_lshlrev_b32_e32 v9, 24, v9
	v_and_b32_e32 v10, 0x7f000000, v9
	v_ffbh_u32_e32 v11, v10
	v_min_u32_e32 v11, 32, v11
	v_sub_u32_e64 v11, v11, 4 clamp
	v_lshlrev_b32_e32 v13, v11, v10
	v_lshlrev_b32_e32 v11, 23, v11
	v_lshrrev_b32_e32 v13, 4, v13
	v_add_u32_e32 v12, 0x1000000, v10
	v_sub_u32_e32 v11, v13, v11
	v_ashrrev_i32_e32 v12, 8, v12
	v_add_u32_e32 v11, 0x3c000000, v11
	v_and_or_b32 v11, v12, s4, v11
	v_cmp_ne_u32_e32 vcc, 0, v10
	v_cndmask_b32_e32 v10, 0, v11, vcc
	s_brev_b32 s4, 1
	v_and_or_b32 v9, v9, s4, v10
	v_cvt_u32_f32_e32 v9, v9
.LBB356_1553:
	s_mov_b64 s[4:5], 0
.LBB356_1554:
	s_andn2_b64 vcc, exec, s[4:5]
	s_cbranch_vccnz .LBB356_1556
; %bb.1555:
	global_load_ubyte v9, v[7:8], off
	s_movk_i32 s4, 0x7f00
	s_brev_b32 s5, 16
	s_waitcnt vmcnt(0)
	v_lshlrev_b16_e32 v10, 8, v9
	v_lshlrev_b32_e32 v9, 25, v9
	v_lshrrev_b32_e32 v11, 4, v9
	v_and_or_b32 v12, v10, s4, 0.5
	v_or_b32_e32 v11, 0x70000000, v11
	v_add_f32_e32 v12, -0.5, v12
	v_mul_f32_e32 v11, 0x7800000, v11
	v_cmp_gt_u32_e32 vcc, s5, v9
	v_bfe_i32 v10, v10, 0, 16
	v_cndmask_b32_e32 v9, v11, v12, vcc
	s_brev_b32 s4, 1
	v_and_or_b32 v9, v10, s4, v9
	v_cvt_u32_f32_e32 v9, v9
.LBB356_1556:
	s_mov_b64 s[4:5], 0
	s_mov_b64 s[6:7], -1
.LBB356_1557:
	s_andn2_b64 vcc, exec, s[4:5]
	s_mov_b64 s[4:5], 0
	s_cbranch_vccnz .LBB356_1568
; %bb.1558:
	s_cmp_gt_i32 s12, 14
	s_cbranch_scc0 .LBB356_1561
; %bb.1559:
	s_cmp_eq_u32 s12, 15
	s_cbranch_scc0 .LBB356_1564
; %bb.1560:
	global_load_ushort v9, v[7:8], off
	s_mov_b64 s[0:1], 0
	s_mov_b64 s[6:7], -1
	s_waitcnt vmcnt(0)
	v_lshlrev_b32_e32 v9, 16, v9
	v_cvt_u32_f32_e32 v9, v9
	s_branch .LBB356_1565
.LBB356_1561:
	s_mov_b64 s[10:11], -1
                                        ; implicit-def: $vgpr9
	s_branch .LBB356_1566
.LBB356_1562:
	s_andn2_saveexec_b64 s[4:5], s[4:5]
	s_cbranch_execz .LBB356_1543
.LBB356_1563:
	v_cmp_ne_u16_e32 vcc, 0, v10
	s_andn2_b64 s[6:7], s[6:7], exec
	s_and_b64 s[10:11], vcc, exec
	s_or_b64 s[6:7], s[6:7], s[10:11]
	s_or_b64 exec, exec, s[4:5]
	v_mov_b32_e32 v9, 0
	s_and_saveexec_b64 s[4:5], s[6:7]
	s_cbranch_execnz .LBB356_1544
	s_branch .LBB356_1545
.LBB356_1564:
	s_mov_b64 s[0:1], -1
                                        ; implicit-def: $vgpr9
.LBB356_1565:
	s_mov_b64 s[10:11], 0
.LBB356_1566:
	s_and_b64 vcc, exec, s[10:11]
	s_cbranch_vccz .LBB356_1568
; %bb.1567:
	s_cmp_lg_u32 s12, 11
	s_mov_b64 s[4:5], -1
	s_cselect_b64 s[0:1], -1, 0
.LBB356_1568:
	s_and_b64 vcc, exec, s[0:1]
	s_cbranch_vccnz .LBB356_2101
; %bb.1569:
	s_andn2_b64 vcc, exec, s[4:5]
	s_cbranch_vccnz .LBB356_1571
.LBB356_1570:
	global_load_ubyte v9, v[7:8], off
	s_mov_b64 s[6:7], -1
	s_waitcnt vmcnt(0)
	v_cmp_ne_u16_e32 vcc, 0, v9
	v_cndmask_b32_e64 v9, 0, 1, vcc
.LBB356_1571:
	s_mov_b64 s[0:1], 0
.LBB356_1572:
	s_and_b64 vcc, exec, s[0:1]
	s_cbranch_vccz .LBB356_1621
; %bb.1573:
	s_and_b32 s4, 0xffff, s14
	s_cmp_lt_i32 s4, 5
	s_cbranch_scc1 .LBB356_1578
; %bb.1574:
	s_cmp_lt_i32 s4, 8
	s_cbranch_scc1 .LBB356_1579
; %bb.1575:
	;; [unrolled: 3-line block ×3, first 2 shown]
	s_cmp_gt_i32 s4, 9
	s_cbranch_scc0 .LBB356_1581
; %bb.1577:
	global_load_dwordx2 v[9:10], v[7:8], off
	s_mov_b64 s[0:1], 0
	s_waitcnt vmcnt(0)
	v_cvt_u32_f64_e32 v9, v[9:10]
	s_branch .LBB356_1582
.LBB356_1578:
	s_mov_b64 s[0:1], -1
                                        ; implicit-def: $vgpr9
	s_branch .LBB356_1600
.LBB356_1579:
	s_mov_b64 s[0:1], -1
                                        ; implicit-def: $vgpr9
	s_branch .LBB356_1588
.LBB356_1580:
	s_mov_b64 s[0:1], -1
                                        ; implicit-def: $vgpr9
	s_branch .LBB356_1585
.LBB356_1581:
	s_mov_b64 s[0:1], -1
                                        ; implicit-def: $vgpr9
.LBB356_1582:
	s_andn2_b64 vcc, exec, s[0:1]
	s_cbranch_vccnz .LBB356_1584
; %bb.1583:
	global_load_dword v9, v[7:8], off
	s_waitcnt vmcnt(0)
	v_cvt_u32_f32_e32 v9, v9
.LBB356_1584:
	s_mov_b64 s[0:1], 0
.LBB356_1585:
	s_andn2_b64 vcc, exec, s[0:1]
	s_cbranch_vccnz .LBB356_1587
; %bb.1586:
	global_load_dword v9, v[7:8], off
	s_waitcnt vmcnt(0)
	v_cvt_f32_f16_e32 v9, v9
	v_cvt_u32_f32_e32 v9, v9
.LBB356_1587:
	s_mov_b64 s[0:1], 0
.LBB356_1588:
	s_andn2_b64 vcc, exec, s[0:1]
	s_cbranch_vccnz .LBB356_1599
; %bb.1589:
	s_cmp_lt_i32 s4, 6
	s_cbranch_scc1 .LBB356_1592
; %bb.1590:
	s_cmp_gt_i32 s4, 6
	s_cbranch_scc0 .LBB356_1593
; %bb.1591:
	global_load_dwordx2 v[9:10], v[7:8], off
	s_mov_b64 s[0:1], 0
	s_waitcnt vmcnt(0)
	v_cvt_u32_f64_e32 v9, v[9:10]
	s_branch .LBB356_1594
.LBB356_1592:
	s_mov_b64 s[0:1], -1
                                        ; implicit-def: $vgpr9
	s_branch .LBB356_1597
.LBB356_1593:
	s_mov_b64 s[0:1], -1
                                        ; implicit-def: $vgpr9
.LBB356_1594:
	s_andn2_b64 vcc, exec, s[0:1]
	s_cbranch_vccnz .LBB356_1596
; %bb.1595:
	global_load_dword v9, v[7:8], off
	s_waitcnt vmcnt(0)
	v_cvt_u32_f32_e32 v9, v9
.LBB356_1596:
	s_mov_b64 s[0:1], 0
.LBB356_1597:
	s_andn2_b64 vcc, exec, s[0:1]
	s_cbranch_vccnz .LBB356_1599
; %bb.1598:
	global_load_ushort v9, v[7:8], off
	s_waitcnt vmcnt(0)
	v_cvt_f32_f16_e32 v9, v9
	v_cvt_u32_f32_e32 v9, v9
.LBB356_1599:
	s_mov_b64 s[0:1], 0
.LBB356_1600:
	s_andn2_b64 vcc, exec, s[0:1]
	s_cbranch_vccnz .LBB356_1620
; %bb.1601:
	s_cmp_lt_i32 s4, 2
	s_cbranch_scc1 .LBB356_1605
; %bb.1602:
	s_cmp_lt_i32 s4, 3
	s_cbranch_scc1 .LBB356_1606
; %bb.1603:
	s_cmp_gt_i32 s4, 3
	s_cbranch_scc0 .LBB356_1607
; %bb.1604:
	global_load_dword v9, v[7:8], off
	s_mov_b64 s[0:1], 0
	s_branch .LBB356_1608
.LBB356_1605:
	s_mov_b64 s[0:1], -1
                                        ; implicit-def: $vgpr9
	s_branch .LBB356_1614
.LBB356_1606:
	s_mov_b64 s[0:1], -1
                                        ; implicit-def: $vgpr9
	s_branch .LBB356_1611
.LBB356_1607:
	s_mov_b64 s[0:1], -1
                                        ; implicit-def: $vgpr9
.LBB356_1608:
	s_andn2_b64 vcc, exec, s[0:1]
	s_cbranch_vccnz .LBB356_1610
; %bb.1609:
	global_load_dword v9, v[7:8], off
.LBB356_1610:
	s_mov_b64 s[0:1], 0
.LBB356_1611:
	s_andn2_b64 vcc, exec, s[0:1]
	s_cbranch_vccnz .LBB356_1613
; %bb.1612:
	global_load_sshort v9, v[7:8], off
.LBB356_1613:
	s_mov_b64 s[0:1], 0
.LBB356_1614:
	s_andn2_b64 vcc, exec, s[0:1]
	s_cbranch_vccnz .LBB356_1620
; %bb.1615:
	s_cmp_gt_i32 s4, 0
	s_cbranch_scc0 .LBB356_1617
; %bb.1616:
	global_load_sbyte v9, v[7:8], off
	s_mov_b64 s[0:1], 0
	s_branch .LBB356_1618
.LBB356_1617:
	s_mov_b64 s[0:1], -1
                                        ; implicit-def: $vgpr9
.LBB356_1618:
	s_andn2_b64 vcc, exec, s[0:1]
	s_cbranch_vccnz .LBB356_1620
; %bb.1619:
	global_load_ubyte v9, v[7:8], off
.LBB356_1620:
	s_mov_b64 s[6:7], -1
.LBB356_1621:
	s_andn2_b64 vcc, exec, s[6:7]
	s_cbranch_vccnz .LBB356_2055
; %bb.1622:
	s_load_dwordx2 s[4:5], s[34:35], 0x158
	s_load_dword s0, s[34:35], 0x160
	v_mov_b32_e32 v7, s9
	s_waitcnt lgkmcnt(0)
	s_cmp_eq_u32 s4, 0
	s_waitcnt vmcnt(0)
	v_cmp_ne_u32_e32 vcc, s5, v5
	s_cselect_b64 s[6:7], -1, 0
	s_and_b32 s20, s0, 0xff
	s_xor_b64 s[10:11], s[6:7], vcc
	v_add_co_u32_e32 v5, vcc, s8, v6
	s_cmp_lt_i32 s20, 11
	v_addc_co_u32_e32 v6, vcc, 0, v7, vcc
	s_cbranch_scc1 .LBB356_1700
; %bb.1623:
	s_and_b32 s4, 0xffff, s20
	s_mov_b64 s[16:17], -1
	s_mov_b64 s[12:13], 0
	s_cmp_gt_i32 s4, 25
	s_mov_b64 s[14:15], 0
	s_mov_b64 s[0:1], 0
	s_cbranch_scc0 .LBB356_1656
; %bb.1624:
	s_cmp_gt_i32 s4, 28
	s_cbranch_scc0 .LBB356_1639
; %bb.1625:
	s_cmp_gt_i32 s4, 43
	;; [unrolled: 3-line block ×3, first 2 shown]
	s_cbranch_scc0 .LBB356_1629
; %bb.1627:
	s_mov_b64 s[0:1], -1
	s_mov_b64 s[16:17], 0
	s_cmp_eq_u32 s4, 46
	s_cbranch_scc0 .LBB356_1629
; %bb.1628:
	v_cndmask_b32_e64 v7, 0, 1.0, s[10:11]
	v_bfe_u32 v8, v7, 16, 1
	s_movk_i32 s0, 0x7fff
	v_add3_u32 v7, v7, v8, s0
	v_lshrrev_b32_e32 v7, 16, v7
	global_store_dword v[5:6], v7, off
	s_mov_b64 s[0:1], 0
	s_mov_b64 s[14:15], -1
.LBB356_1629:
	s_and_b64 vcc, exec, s[16:17]
	s_cbranch_vccz .LBB356_1634
; %bb.1630:
	s_cmp_eq_u32 s4, 44
	s_mov_b64 s[0:1], -1
	s_cbranch_scc0 .LBB356_1634
; %bb.1631:
	v_cndmask_b32_e64 v8, 0, 1.0, s[10:11]
	v_lshrrev_b32_e32 v7, 23, v8
	s_movk_i32 s0, 0xff
	v_cmp_ne_u32_e32 vcc, s0, v7
	v_mov_b32_e32 v10, 0xff
	s_and_saveexec_b64 s[14:15], vcc
; %bb.1632:
	s_mov_b32 s0, 0x3fffff
	v_and_b32_e32 v10, 0x400000, v8
	v_and_or_b32 v8, v8, s0, v7
	v_cmp_ne_u32_e32 vcc, 0, v10
	v_cmp_ne_u32_e64 s[0:1], 0, v8
	s_and_b64 s[0:1], vcc, s[0:1]
	v_cndmask_b32_e64 v8, 0, 1, s[0:1]
	v_add_u32_e32 v10, v7, v8
; %bb.1633:
	s_or_b64 exec, exec, s[14:15]
	s_mov_b64 s[0:1], 0
	s_mov_b64 s[14:15], -1
	global_store_byte v[5:6], v10, off
.LBB356_1634:
	s_mov_b64 s[16:17], 0
.LBB356_1635:
	s_and_b64 vcc, exec, s[16:17]
	s_cbranch_vccz .LBB356_1638
; %bb.1636:
	s_cmp_eq_u32 s4, 29
	s_mov_b64 s[0:1], -1
	s_cbranch_scc0 .LBB356_1638
; %bb.1637:
	s_mov_b32 s0, 0
	v_cndmask_b32_e64 v7, 0, 1, s[10:11]
	v_mov_b32_e32 v8, s0
	global_store_dwordx2 v[5:6], v[7:8], off
	s_mov_b64 s[0:1], 0
	s_mov_b64 s[14:15], -1
.LBB356_1638:
	s_mov_b64 s[16:17], 0
.LBB356_1639:
	s_and_b64 vcc, exec, s[16:17]
	s_cbranch_vccz .LBB356_1655
; %bb.1640:
	s_cmp_lt_i32 s4, 27
	s_mov_b64 s[14:15], -1
	s_cbranch_scc1 .LBB356_1646
; %bb.1641:
	s_cmp_gt_i32 s4, 27
	s_cbranch_scc0 .LBB356_1643
; %bb.1642:
	v_cndmask_b32_e64 v7, 0, 1, s[10:11]
	s_mov_b64 s[14:15], 0
	global_store_dword v[5:6], v7, off
.LBB356_1643:
	s_andn2_b64 vcc, exec, s[14:15]
	s_cbranch_vccnz .LBB356_1645
; %bb.1644:
	v_cndmask_b32_e64 v7, 0, 1, s[10:11]
	global_store_short v[5:6], v7, off
.LBB356_1645:
	s_mov_b64 s[14:15], 0
.LBB356_1646:
	s_andn2_b64 vcc, exec, s[14:15]
	s_cbranch_vccnz .LBB356_1654
; %bb.1647:
	v_cndmask_b32_e64 v8, 0, 1.0, s[10:11]
	s_mov_b32 s14, 0x43800000
	v_cmp_gt_u32_e32 vcc, s14, v8
	v_mov_b32_e32 v10, 0x80
	s_and_saveexec_b64 s[14:15], vcc
	s_cbranch_execz .LBB356_1653
; %bb.1648:
	s_mov_b32 s16, 0x3bffffff
	v_cmp_lt_u32_e32 vcc, s16, v8
	s_mov_b64 s[16:17], 0
                                        ; implicit-def: $vgpr7
	s_and_saveexec_b64 s[18:19], vcc
	s_xor_b64 s[18:19], exec, s[18:19]
	s_cbranch_execz .LBB356_2102
; %bb.1649:
	v_bfe_u32 v7, v8, 20, 1
	s_mov_b32 s21, 0x487ffff
	v_add3_u32 v7, v8, v7, s21
	s_mov_b64 s[16:17], exec
	v_lshrrev_b32_e32 v7, 20, v7
                                        ; implicit-def: $vgpr8
	s_andn2_saveexec_b64 s[18:19], s[18:19]
	s_cbranch_execnz .LBB356_2103
.LBB356_1650:
	s_or_b64 exec, exec, s[18:19]
	v_mov_b32_e32 v10, 0
	s_and_saveexec_b64 s[18:19], s[16:17]
.LBB356_1651:
	v_mov_b32_e32 v10, v7
.LBB356_1652:
	s_or_b64 exec, exec, s[18:19]
.LBB356_1653:
	s_or_b64 exec, exec, s[14:15]
	global_store_byte v[5:6], v10, off
.LBB356_1654:
	s_mov_b64 s[14:15], -1
.LBB356_1655:
	s_mov_b64 s[16:17], 0
.LBB356_1656:
	s_and_b64 vcc, exec, s[16:17]
	s_cbranch_vccz .LBB356_1696
; %bb.1657:
	s_cmp_gt_i32 s4, 22
	s_mov_b64 s[12:13], -1
	s_cbranch_scc0 .LBB356_1689
; %bb.1658:
	s_cmp_lt_i32 s4, 24
	s_cbranch_scc1 .LBB356_1678
; %bb.1659:
	s_cmp_gt_i32 s4, 24
	s_cbranch_scc0 .LBB356_1667
; %bb.1660:
	v_cndmask_b32_e64 v8, 0, 1.0, s[10:11]
	s_mov_b32 s12, 0x47800000
	v_cmp_gt_u32_e32 vcc, s12, v8
	v_mov_b32_e32 v10, 0x80
	s_and_saveexec_b64 s[12:13], vcc
	s_cbranch_execz .LBB356_1666
; %bb.1661:
	s_mov_b32 s14, 0x37ffffff
	v_cmp_lt_u32_e32 vcc, s14, v8
	s_mov_b64 s[14:15], 0
                                        ; implicit-def: $vgpr7
	s_and_saveexec_b64 s[16:17], vcc
	s_xor_b64 s[16:17], exec, s[16:17]
	s_cbranch_execz .LBB356_2105
; %bb.1662:
	v_bfe_u32 v7, v8, 21, 1
	s_mov_b32 s18, 0x88fffff
	v_add3_u32 v7, v8, v7, s18
	s_mov_b64 s[14:15], exec
	v_lshrrev_b32_e32 v7, 21, v7
                                        ; implicit-def: $vgpr8
	s_andn2_saveexec_b64 s[16:17], s[16:17]
	s_cbranch_execnz .LBB356_2106
.LBB356_1663:
	s_or_b64 exec, exec, s[16:17]
	v_mov_b32_e32 v10, 0
	s_and_saveexec_b64 s[16:17], s[14:15]
.LBB356_1664:
	v_mov_b32_e32 v10, v7
.LBB356_1665:
	s_or_b64 exec, exec, s[16:17]
.LBB356_1666:
	s_or_b64 exec, exec, s[12:13]
	s_mov_b64 s[12:13], 0
	global_store_byte v[5:6], v10, off
.LBB356_1667:
	s_and_b64 vcc, exec, s[12:13]
	s_cbranch_vccz .LBB356_1677
; %bb.1668:
	v_cndmask_b32_e64 v7, 0, 1.0, s[10:11]
	s_mov_b32 s12, 0x43f00000
	v_cmp_gt_u32_e32 vcc, s12, v7
                                        ; implicit-def: $vgpr8
	s_and_saveexec_b64 s[12:13], vcc
	s_xor_b64 s[12:13], exec, s[12:13]
	s_cbranch_execz .LBB356_1674
; %bb.1669:
	s_mov_b32 s14, 0x3c7fffff
	v_cmp_lt_u32_e32 vcc, s14, v7
                                        ; implicit-def: $vgpr8
	s_and_saveexec_b64 s[14:15], vcc
	s_xor_b64 s[14:15], exec, s[14:15]
; %bb.1670:
	v_bfe_u32 v8, v7, 20, 1
	s_mov_b32 s16, 0x407ffff
	v_add3_u32 v7, v7, v8, s16
	v_lshrrev_b32_e32 v8, 20, v7
	v_and_b32_e32 v7, 0xff00000, v7
	s_mov_b32 s16, 0x7f00000
	v_mov_b32_e32 v10, 0x7e
	v_cmp_ne_u32_e32 vcc, s16, v7
	v_cndmask_b32_e32 v8, v10, v8, vcc
                                        ; implicit-def: $vgpr7
; %bb.1671:
	s_andn2_saveexec_b64 s[14:15], s[14:15]
; %bb.1672:
	v_add_f32_e32 v8, 0x46800000, v7
; %bb.1673:
	s_or_b64 exec, exec, s[14:15]
                                        ; implicit-def: $vgpr7
.LBB356_1674:
	s_andn2_saveexec_b64 s[12:13], s[12:13]
; %bb.1675:
	s_mov_b32 s14, 0x7f800000
	v_mov_b32_e32 v8, 0x7e
	v_mov_b32_e32 v10, 0x7f
	v_cmp_lt_u32_e32 vcc, s14, v7
	v_cndmask_b32_e32 v8, v8, v10, vcc
; %bb.1676:
	s_or_b64 exec, exec, s[12:13]
	global_store_byte v[5:6], v8, off
.LBB356_1677:
	s_mov_b64 s[12:13], 0
.LBB356_1678:
	s_andn2_b64 vcc, exec, s[12:13]
	s_cbranch_vccnz .LBB356_1688
; %bb.1679:
	v_cndmask_b32_e64 v7, 0, 1.0, s[10:11]
	s_mov_b32 s12, 0x47800000
	v_cmp_gt_u32_e32 vcc, s12, v7
                                        ; implicit-def: $vgpr8
	s_and_saveexec_b64 s[12:13], vcc
	s_xor_b64 s[12:13], exec, s[12:13]
	s_cbranch_execz .LBB356_1685
; %bb.1680:
	s_mov_b32 s14, 0x387fffff
	v_cmp_lt_u32_e32 vcc, s14, v7
                                        ; implicit-def: $vgpr8
	s_and_saveexec_b64 s[14:15], vcc
	s_xor_b64 s[14:15], exec, s[14:15]
; %bb.1681:
	v_bfe_u32 v8, v7, 21, 1
	s_mov_b32 s16, 0x80fffff
	v_add3_u32 v7, v7, v8, s16
	v_lshrrev_b32_e32 v8, 21, v7
                                        ; implicit-def: $vgpr7
; %bb.1682:
	s_andn2_saveexec_b64 s[14:15], s[14:15]
; %bb.1683:
	v_add_f32_e32 v8, 0x43000000, v7
; %bb.1684:
	s_or_b64 exec, exec, s[14:15]
                                        ; implicit-def: $vgpr7
.LBB356_1685:
	s_andn2_saveexec_b64 s[12:13], s[12:13]
; %bb.1686:
	s_mov_b32 s14, 0x7f800000
	v_mov_b32_e32 v8, 0x7c
	v_mov_b32_e32 v10, 0x7f
	v_cmp_lt_u32_e32 vcc, s14, v7
	v_cndmask_b32_e32 v8, v8, v10, vcc
; %bb.1687:
	s_or_b64 exec, exec, s[12:13]
	global_store_byte v[5:6], v8, off
.LBB356_1688:
	s_mov_b64 s[12:13], 0
	s_mov_b64 s[14:15], -1
.LBB356_1689:
	s_andn2_b64 vcc, exec, s[12:13]
	s_mov_b64 s[12:13], 0
	s_cbranch_vccnz .LBB356_1696
; %bb.1690:
	s_cmp_gt_i32 s4, 14
	s_mov_b64 s[16:17], -1
	s_cbranch_scc0 .LBB356_1694
; %bb.1691:
	s_cmp_eq_u32 s4, 15
	s_mov_b64 s[0:1], -1
	s_cbranch_scc0 .LBB356_1693
; %bb.1692:
	v_cndmask_b32_e64 v7, 0, 1.0, s[10:11]
	v_bfe_u32 v8, v7, 16, 1
	s_movk_i32 s0, 0x7fff
	v_add3_u32 v7, v7, v8, s0
	global_store_short_d16_hi v[5:6], v7, off
	s_mov_b64 s[0:1], 0
	s_mov_b64 s[14:15], -1
.LBB356_1693:
	s_mov_b64 s[16:17], 0
.LBB356_1694:
	s_and_b64 vcc, exec, s[16:17]
	s_cbranch_vccz .LBB356_1696
; %bb.1695:
	s_cmp_lg_u32 s4, 11
	s_mov_b64 s[12:13], -1
	s_cselect_b64 s[0:1], -1, 0
.LBB356_1696:
	s_and_b64 vcc, exec, s[0:1]
	s_cbranch_vccnz .LBB356_2104
; %bb.1697:
	s_andn2_b64 vcc, exec, s[12:13]
	s_cbranch_vccnz .LBB356_1699
.LBB356_1698:
	v_cndmask_b32_e64 v7, 0, 1, s[10:11]
	s_mov_b64 s[14:15], -1
	global_store_byte v[5:6], v7, off
.LBB356_1699:
	s_mov_b64 s[0:1], 0
	s_branch .LBB356_1701
.LBB356_1700:
	s_mov_b64 s[0:1], -1
	s_mov_b64 s[14:15], 0
.LBB356_1701:
	s_and_b64 vcc, exec, s[0:1]
	s_cbranch_vccz .LBB356_1740
; %bb.1702:
	s_and_b32 s4, 0xffff, s20
	s_cmp_lt_i32 s4, 5
	s_mov_b64 s[0:1], -1
	s_cbranch_scc1 .LBB356_1723
; %bb.1703:
	s_cmp_lt_i32 s4, 8
	s_cbranch_scc1 .LBB356_1713
; %bb.1704:
	s_cmp_lt_i32 s4, 9
	s_cbranch_scc1 .LBB356_1710
; %bb.1705:
	s_cmp_gt_i32 s4, 9
	s_cbranch_scc0 .LBB356_1707
; %bb.1706:
	v_cndmask_b32_e64 v7, 0, 1, s[10:11]
	v_cvt_f64_u32_e32 v[10:11], v7
	v_mov_b32_e32 v12, 0
	v_mov_b32_e32 v13, v12
	s_mov_b64 s[0:1], 0
	global_store_dwordx4 v[5:6], v[10:13], off
.LBB356_1707:
	s_andn2_b64 vcc, exec, s[0:1]
	s_cbranch_vccnz .LBB356_1709
; %bb.1708:
	v_cndmask_b32_e64 v7, 0, 1.0, s[10:11]
	v_mov_b32_e32 v8, 0
	global_store_dwordx2 v[5:6], v[7:8], off
.LBB356_1709:
	s_mov_b64 s[0:1], 0
.LBB356_1710:
	s_andn2_b64 vcc, exec, s[0:1]
	s_cbranch_vccnz .LBB356_1712
; %bb.1711:
	v_cndmask_b32_e64 v7, 0, 1.0, s[10:11]
	v_cvt_f16_f32_e32 v7, v7
	global_store_dword v[5:6], v7, off
.LBB356_1712:
	s_mov_b64 s[0:1], 0
.LBB356_1713:
	s_andn2_b64 vcc, exec, s[0:1]
	s_cbranch_vccnz .LBB356_1722
; %bb.1714:
	s_cmp_lt_i32 s4, 6
	s_mov_b64 s[0:1], -1
	s_cbranch_scc1 .LBB356_1720
; %bb.1715:
	s_cmp_gt_i32 s4, 6
	s_cbranch_scc0 .LBB356_1717
; %bb.1716:
	v_cndmask_b32_e64 v7, 0, 1, s[10:11]
	v_cvt_f64_u32_e32 v[7:8], v7
	s_mov_b64 s[0:1], 0
	global_store_dwordx2 v[5:6], v[7:8], off
.LBB356_1717:
	s_andn2_b64 vcc, exec, s[0:1]
	s_cbranch_vccnz .LBB356_1719
; %bb.1718:
	v_cndmask_b32_e64 v7, 0, 1.0, s[10:11]
	global_store_dword v[5:6], v7, off
.LBB356_1719:
	s_mov_b64 s[0:1], 0
.LBB356_1720:
	s_andn2_b64 vcc, exec, s[0:1]
	s_cbranch_vccnz .LBB356_1722
; %bb.1721:
	v_cndmask_b32_e64 v7, 0, 1.0, s[10:11]
	v_cvt_f16_f32_e32 v7, v7
	global_store_short v[5:6], v7, off
.LBB356_1722:
	s_mov_b64 s[0:1], 0
.LBB356_1723:
	s_andn2_b64 vcc, exec, s[0:1]
	s_cbranch_vccnz .LBB356_1739
; %bb.1724:
	s_cmp_lt_i32 s4, 2
	s_mov_b64 s[0:1], -1
	s_cbranch_scc1 .LBB356_1734
; %bb.1725:
	s_cmp_lt_i32 s4, 3
	s_cbranch_scc1 .LBB356_1731
; %bb.1726:
	s_cmp_gt_i32 s4, 3
	s_cbranch_scc0 .LBB356_1728
; %bb.1727:
	s_mov_b32 s0, 0
	v_cndmask_b32_e64 v7, 0, 1, s[10:11]
	v_mov_b32_e32 v8, s0
	global_store_dwordx2 v[5:6], v[7:8], off
	s_mov_b64 s[0:1], 0
.LBB356_1728:
	s_andn2_b64 vcc, exec, s[0:1]
	s_cbranch_vccnz .LBB356_1730
; %bb.1729:
	v_cndmask_b32_e64 v7, 0, 1, s[10:11]
	global_store_dword v[5:6], v7, off
.LBB356_1730:
	s_mov_b64 s[0:1], 0
.LBB356_1731:
	s_andn2_b64 vcc, exec, s[0:1]
	s_cbranch_vccnz .LBB356_1733
; %bb.1732:
	v_cndmask_b32_e64 v7, 0, 1, s[10:11]
	global_store_short v[5:6], v7, off
.LBB356_1733:
	s_mov_b64 s[0:1], 0
.LBB356_1734:
	s_andn2_b64 vcc, exec, s[0:1]
	s_cbranch_vccnz .LBB356_1739
; %bb.1735:
	s_mov_b64 s[0:1], -1
	s_cmp_gt_i32 s4, 0
	v_cndmask_b32_e64 v7, 0, 1, s[10:11]
	s_cbranch_scc0 .LBB356_1737
; %bb.1736:
	global_store_byte v[5:6], v7, off
	s_mov_b64 s[0:1], 0
.LBB356_1737:
	s_andn2_b64 vcc, exec, s[0:1]
	s_cbranch_vccnz .LBB356_1739
; %bb.1738:
	global_store_byte v[5:6], v7, off
.LBB356_1739:
	s_mov_b64 s[14:15], -1
.LBB356_1740:
	s_andn2_b64 vcc, exec, s[14:15]
	s_cbranch_vccnz .LBB356_2055
; %bb.1741:
	v_cmp_ne_u32_e32 vcc, s5, v3
	s_xor_b64 s[10:11], s[6:7], vcc
	v_mov_b32_e32 v5, s9
	s_and_b32 s21, 0xffff, s20
	v_add_co_u32_e32 v3, vcc, s8, v4
	s_cmp_lt_i32 s21, 11
	v_addc_co_u32_e32 v4, vcc, 0, v5, vcc
	s_cbranch_scc1 .LBB356_1819
; %bb.1742:
	s_mov_b64 s[16:17], -1
	s_mov_b64 s[12:13], 0
	s_cmp_gt_i32 s21, 25
	s_mov_b64 s[14:15], 0
	s_mov_b64 s[0:1], 0
	s_cbranch_scc0 .LBB356_1775
; %bb.1743:
	s_cmp_gt_i32 s21, 28
	s_cbranch_scc0 .LBB356_1758
; %bb.1744:
	s_cmp_gt_i32 s21, 43
	;; [unrolled: 3-line block ×3, first 2 shown]
	s_cbranch_scc0 .LBB356_1748
; %bb.1746:
	s_mov_b64 s[0:1], -1
	s_mov_b64 s[16:17], 0
	s_cmp_eq_u32 s21, 46
	s_cbranch_scc0 .LBB356_1748
; %bb.1747:
	v_cndmask_b32_e64 v5, 0, 1.0, s[10:11]
	v_bfe_u32 v6, v5, 16, 1
	s_movk_i32 s0, 0x7fff
	v_add3_u32 v5, v5, v6, s0
	v_lshrrev_b32_e32 v5, 16, v5
	global_store_dword v[3:4], v5, off
	s_mov_b64 s[0:1], 0
	s_mov_b64 s[14:15], -1
.LBB356_1748:
	s_and_b64 vcc, exec, s[16:17]
	s_cbranch_vccz .LBB356_1753
; %bb.1749:
	s_cmp_eq_u32 s21, 44
	s_mov_b64 s[0:1], -1
	s_cbranch_scc0 .LBB356_1753
; %bb.1750:
	v_cndmask_b32_e64 v6, 0, 1.0, s[10:11]
	v_lshrrev_b32_e32 v5, 23, v6
	s_movk_i32 s0, 0xff
	v_cmp_ne_u32_e32 vcc, s0, v5
	v_mov_b32_e32 v7, 0xff
	s_and_saveexec_b64 s[14:15], vcc
; %bb.1751:
	s_mov_b32 s0, 0x3fffff
	v_and_b32_e32 v7, 0x400000, v6
	v_and_or_b32 v6, v6, s0, v5
	v_cmp_ne_u32_e32 vcc, 0, v7
	v_cmp_ne_u32_e64 s[0:1], 0, v6
	s_and_b64 s[0:1], vcc, s[0:1]
	v_cndmask_b32_e64 v6, 0, 1, s[0:1]
	v_add_u32_e32 v7, v5, v6
; %bb.1752:
	s_or_b64 exec, exec, s[14:15]
	s_mov_b64 s[0:1], 0
	s_mov_b64 s[14:15], -1
	global_store_byte v[3:4], v7, off
.LBB356_1753:
	s_mov_b64 s[16:17], 0
.LBB356_1754:
	s_and_b64 vcc, exec, s[16:17]
	s_cbranch_vccz .LBB356_1757
; %bb.1755:
	s_cmp_eq_u32 s21, 29
	s_mov_b64 s[0:1], -1
	s_cbranch_scc0 .LBB356_1757
; %bb.1756:
	s_mov_b32 s0, 0
	v_cndmask_b32_e64 v5, 0, 1, s[10:11]
	v_mov_b32_e32 v6, s0
	global_store_dwordx2 v[3:4], v[5:6], off
	s_mov_b64 s[0:1], 0
	s_mov_b64 s[14:15], -1
.LBB356_1757:
	s_mov_b64 s[16:17], 0
.LBB356_1758:
	s_and_b64 vcc, exec, s[16:17]
	s_cbranch_vccz .LBB356_1774
; %bb.1759:
	s_cmp_lt_i32 s21, 27
	s_mov_b64 s[14:15], -1
	s_cbranch_scc1 .LBB356_1765
; %bb.1760:
	s_cmp_gt_i32 s21, 27
	s_cbranch_scc0 .LBB356_1762
; %bb.1761:
	v_cndmask_b32_e64 v5, 0, 1, s[10:11]
	s_mov_b64 s[14:15], 0
	global_store_dword v[3:4], v5, off
.LBB356_1762:
	s_andn2_b64 vcc, exec, s[14:15]
	s_cbranch_vccnz .LBB356_1764
; %bb.1763:
	v_cndmask_b32_e64 v5, 0, 1, s[10:11]
	global_store_short v[3:4], v5, off
.LBB356_1764:
	s_mov_b64 s[14:15], 0
.LBB356_1765:
	s_andn2_b64 vcc, exec, s[14:15]
	s_cbranch_vccnz .LBB356_1773
; %bb.1766:
	v_cndmask_b32_e64 v6, 0, 1.0, s[10:11]
	s_mov_b32 s4, 0x43800000
	v_cmp_gt_u32_e32 vcc, s4, v6
	v_mov_b32_e32 v7, 0x80
	s_and_saveexec_b64 s[14:15], vcc
	s_cbranch_execz .LBB356_1772
; %bb.1767:
	s_mov_b32 s4, 0x3bffffff
	v_cmp_lt_u32_e32 vcc, s4, v6
	s_mov_b64 s[16:17], 0
                                        ; implicit-def: $vgpr5
	s_and_saveexec_b64 s[18:19], vcc
	s_xor_b64 s[18:19], exec, s[18:19]
	s_cbranch_execz .LBB356_2107
; %bb.1768:
	v_bfe_u32 v5, v6, 20, 1
	s_mov_b32 s4, 0x487ffff
	v_add3_u32 v5, v6, v5, s4
	s_mov_b64 s[16:17], exec
	v_lshrrev_b32_e32 v5, 20, v5
                                        ; implicit-def: $vgpr6
	s_andn2_saveexec_b64 s[18:19], s[18:19]
	s_cbranch_execnz .LBB356_2108
.LBB356_1769:
	s_or_b64 exec, exec, s[18:19]
	v_mov_b32_e32 v7, 0
	s_and_saveexec_b64 s[18:19], s[16:17]
.LBB356_1770:
	v_mov_b32_e32 v7, v5
.LBB356_1771:
	s_or_b64 exec, exec, s[18:19]
.LBB356_1772:
	s_or_b64 exec, exec, s[14:15]
	global_store_byte v[3:4], v7, off
.LBB356_1773:
	s_mov_b64 s[14:15], -1
.LBB356_1774:
	s_mov_b64 s[16:17], 0
.LBB356_1775:
	s_and_b64 vcc, exec, s[16:17]
	s_cbranch_vccz .LBB356_1815
; %bb.1776:
	s_cmp_gt_i32 s21, 22
	s_mov_b64 s[12:13], -1
	s_cbranch_scc0 .LBB356_1808
; %bb.1777:
	s_cmp_lt_i32 s21, 24
	s_cbranch_scc1 .LBB356_1797
; %bb.1778:
	s_cmp_gt_i32 s21, 24
	s_cbranch_scc0 .LBB356_1786
; %bb.1779:
	v_cndmask_b32_e64 v6, 0, 1.0, s[10:11]
	s_mov_b32 s4, 0x47800000
	v_cmp_gt_u32_e32 vcc, s4, v6
	v_mov_b32_e32 v7, 0x80
	s_and_saveexec_b64 s[12:13], vcc
	s_cbranch_execz .LBB356_1785
; %bb.1780:
	s_mov_b32 s4, 0x37ffffff
	v_cmp_lt_u32_e32 vcc, s4, v6
	s_mov_b64 s[14:15], 0
                                        ; implicit-def: $vgpr5
	s_and_saveexec_b64 s[16:17], vcc
	s_xor_b64 s[16:17], exec, s[16:17]
	s_cbranch_execz .LBB356_2110
; %bb.1781:
	v_bfe_u32 v5, v6, 21, 1
	s_mov_b32 s4, 0x88fffff
	v_add3_u32 v5, v6, v5, s4
	s_mov_b64 s[14:15], exec
	v_lshrrev_b32_e32 v5, 21, v5
                                        ; implicit-def: $vgpr6
	s_andn2_saveexec_b64 s[16:17], s[16:17]
	s_cbranch_execnz .LBB356_2111
.LBB356_1782:
	s_or_b64 exec, exec, s[16:17]
	v_mov_b32_e32 v7, 0
	s_and_saveexec_b64 s[16:17], s[14:15]
.LBB356_1783:
	v_mov_b32_e32 v7, v5
.LBB356_1784:
	s_or_b64 exec, exec, s[16:17]
.LBB356_1785:
	s_or_b64 exec, exec, s[12:13]
	s_mov_b64 s[12:13], 0
	global_store_byte v[3:4], v7, off
.LBB356_1786:
	s_and_b64 vcc, exec, s[12:13]
	s_cbranch_vccz .LBB356_1796
; %bb.1787:
	v_cndmask_b32_e64 v5, 0, 1.0, s[10:11]
	s_mov_b32 s4, 0x43f00000
	v_cmp_gt_u32_e32 vcc, s4, v5
                                        ; implicit-def: $vgpr6
	s_and_saveexec_b64 s[12:13], vcc
	s_xor_b64 s[12:13], exec, s[12:13]
	s_cbranch_execz .LBB356_1793
; %bb.1788:
	s_mov_b32 s4, 0x3c7fffff
	v_cmp_lt_u32_e32 vcc, s4, v5
                                        ; implicit-def: $vgpr6
	s_and_saveexec_b64 s[14:15], vcc
	s_xor_b64 s[14:15], exec, s[14:15]
; %bb.1789:
	v_bfe_u32 v6, v5, 20, 1
	s_mov_b32 s4, 0x407ffff
	v_add3_u32 v5, v5, v6, s4
	v_lshrrev_b32_e32 v6, 20, v5
	v_and_b32_e32 v5, 0xff00000, v5
	s_mov_b32 s4, 0x7f00000
	v_mov_b32_e32 v7, 0x7e
	v_cmp_ne_u32_e32 vcc, s4, v5
	v_cndmask_b32_e32 v6, v7, v6, vcc
                                        ; implicit-def: $vgpr5
; %bb.1790:
	s_andn2_saveexec_b64 s[14:15], s[14:15]
; %bb.1791:
	v_add_f32_e32 v6, 0x46800000, v5
; %bb.1792:
	s_or_b64 exec, exec, s[14:15]
                                        ; implicit-def: $vgpr5
.LBB356_1793:
	s_andn2_saveexec_b64 s[12:13], s[12:13]
; %bb.1794:
	s_mov_b32 s4, 0x7f800000
	v_mov_b32_e32 v6, 0x7e
	v_mov_b32_e32 v7, 0x7f
	v_cmp_lt_u32_e32 vcc, s4, v5
	v_cndmask_b32_e32 v6, v6, v7, vcc
; %bb.1795:
	s_or_b64 exec, exec, s[12:13]
	global_store_byte v[3:4], v6, off
.LBB356_1796:
	s_mov_b64 s[12:13], 0
.LBB356_1797:
	s_andn2_b64 vcc, exec, s[12:13]
	s_cbranch_vccnz .LBB356_1807
; %bb.1798:
	v_cndmask_b32_e64 v5, 0, 1.0, s[10:11]
	s_mov_b32 s4, 0x47800000
	v_cmp_gt_u32_e32 vcc, s4, v5
                                        ; implicit-def: $vgpr6
	s_and_saveexec_b64 s[12:13], vcc
	s_xor_b64 s[12:13], exec, s[12:13]
	s_cbranch_execz .LBB356_1804
; %bb.1799:
	s_mov_b32 s4, 0x387fffff
	v_cmp_lt_u32_e32 vcc, s4, v5
                                        ; implicit-def: $vgpr6
	s_and_saveexec_b64 s[14:15], vcc
	s_xor_b64 s[14:15], exec, s[14:15]
; %bb.1800:
	v_bfe_u32 v6, v5, 21, 1
	s_mov_b32 s4, 0x80fffff
	v_add3_u32 v5, v5, v6, s4
	v_lshrrev_b32_e32 v6, 21, v5
                                        ; implicit-def: $vgpr5
; %bb.1801:
	s_andn2_saveexec_b64 s[14:15], s[14:15]
; %bb.1802:
	v_add_f32_e32 v6, 0x43000000, v5
; %bb.1803:
	s_or_b64 exec, exec, s[14:15]
                                        ; implicit-def: $vgpr5
.LBB356_1804:
	s_andn2_saveexec_b64 s[12:13], s[12:13]
; %bb.1805:
	s_mov_b32 s4, 0x7f800000
	v_mov_b32_e32 v6, 0x7c
	v_mov_b32_e32 v7, 0x7f
	v_cmp_lt_u32_e32 vcc, s4, v5
	v_cndmask_b32_e32 v6, v6, v7, vcc
; %bb.1806:
	s_or_b64 exec, exec, s[12:13]
	global_store_byte v[3:4], v6, off
.LBB356_1807:
	s_mov_b64 s[12:13], 0
	s_mov_b64 s[14:15], -1
.LBB356_1808:
	s_andn2_b64 vcc, exec, s[12:13]
	s_mov_b64 s[12:13], 0
	s_cbranch_vccnz .LBB356_1815
; %bb.1809:
	s_cmp_gt_i32 s21, 14
	s_mov_b64 s[16:17], -1
	s_cbranch_scc0 .LBB356_1813
; %bb.1810:
	s_cmp_eq_u32 s21, 15
	s_mov_b64 s[0:1], -1
	s_cbranch_scc0 .LBB356_1812
; %bb.1811:
	v_cndmask_b32_e64 v5, 0, 1.0, s[10:11]
	v_bfe_u32 v6, v5, 16, 1
	s_movk_i32 s0, 0x7fff
	v_add3_u32 v5, v5, v6, s0
	global_store_short_d16_hi v[3:4], v5, off
	s_mov_b64 s[0:1], 0
	s_mov_b64 s[14:15], -1
.LBB356_1812:
	s_mov_b64 s[16:17], 0
.LBB356_1813:
	s_and_b64 vcc, exec, s[16:17]
	s_cbranch_vccz .LBB356_1815
; %bb.1814:
	s_cmp_lg_u32 s21, 11
	s_mov_b64 s[12:13], -1
	s_cselect_b64 s[0:1], -1, 0
.LBB356_1815:
	s_and_b64 vcc, exec, s[0:1]
	s_cbranch_vccnz .LBB356_2109
; %bb.1816:
	s_andn2_b64 vcc, exec, s[12:13]
	s_cbranch_vccnz .LBB356_1818
.LBB356_1817:
	v_cndmask_b32_e64 v5, 0, 1, s[10:11]
	s_mov_b64 s[14:15], -1
	global_store_byte v[3:4], v5, off
.LBB356_1818:
	s_mov_b64 s[0:1], 0
	s_branch .LBB356_1820
.LBB356_1819:
	s_mov_b64 s[0:1], -1
	s_mov_b64 s[14:15], 0
.LBB356_1820:
	s_and_b64 vcc, exec, s[0:1]
	s_cbranch_vccz .LBB356_1859
; %bb.1821:
	s_cmp_lt_i32 s21, 5
	s_mov_b64 s[0:1], -1
	s_cbranch_scc1 .LBB356_1842
; %bb.1822:
	s_cmp_lt_i32 s21, 8
	s_cbranch_scc1 .LBB356_1832
; %bb.1823:
	s_cmp_lt_i32 s21, 9
	s_cbranch_scc1 .LBB356_1829
; %bb.1824:
	s_cmp_gt_i32 s21, 9
	s_cbranch_scc0 .LBB356_1826
; %bb.1825:
	v_cndmask_b32_e64 v5, 0, 1, s[10:11]
	v_cvt_f64_u32_e32 v[5:6], v5
	v_mov_b32_e32 v7, 0
	v_mov_b32_e32 v8, v7
	s_mov_b64 s[0:1], 0
	global_store_dwordx4 v[3:4], v[5:8], off
.LBB356_1826:
	s_andn2_b64 vcc, exec, s[0:1]
	s_cbranch_vccnz .LBB356_1828
; %bb.1827:
	v_cndmask_b32_e64 v5, 0, 1.0, s[10:11]
	v_mov_b32_e32 v6, 0
	global_store_dwordx2 v[3:4], v[5:6], off
.LBB356_1828:
	s_mov_b64 s[0:1], 0
.LBB356_1829:
	s_andn2_b64 vcc, exec, s[0:1]
	s_cbranch_vccnz .LBB356_1831
; %bb.1830:
	v_cndmask_b32_e64 v5, 0, 1.0, s[10:11]
	v_cvt_f16_f32_e32 v5, v5
	global_store_dword v[3:4], v5, off
.LBB356_1831:
	s_mov_b64 s[0:1], 0
.LBB356_1832:
	s_andn2_b64 vcc, exec, s[0:1]
	s_cbranch_vccnz .LBB356_1841
; %bb.1833:
	s_cmp_lt_i32 s21, 6
	s_mov_b64 s[0:1], -1
	s_cbranch_scc1 .LBB356_1839
; %bb.1834:
	s_cmp_gt_i32 s21, 6
	s_cbranch_scc0 .LBB356_1836
; %bb.1835:
	v_cndmask_b32_e64 v5, 0, 1, s[10:11]
	v_cvt_f64_u32_e32 v[5:6], v5
	s_mov_b64 s[0:1], 0
	global_store_dwordx2 v[3:4], v[5:6], off
.LBB356_1836:
	s_andn2_b64 vcc, exec, s[0:1]
	s_cbranch_vccnz .LBB356_1838
; %bb.1837:
	v_cndmask_b32_e64 v5, 0, 1.0, s[10:11]
	global_store_dword v[3:4], v5, off
.LBB356_1838:
	s_mov_b64 s[0:1], 0
.LBB356_1839:
	s_andn2_b64 vcc, exec, s[0:1]
	s_cbranch_vccnz .LBB356_1841
; %bb.1840:
	v_cndmask_b32_e64 v5, 0, 1.0, s[10:11]
	v_cvt_f16_f32_e32 v5, v5
	global_store_short v[3:4], v5, off
.LBB356_1841:
	s_mov_b64 s[0:1], 0
.LBB356_1842:
	s_andn2_b64 vcc, exec, s[0:1]
	s_cbranch_vccnz .LBB356_1858
; %bb.1843:
	s_cmp_lt_i32 s21, 2
	s_mov_b64 s[0:1], -1
	s_cbranch_scc1 .LBB356_1853
; %bb.1844:
	s_cmp_lt_i32 s21, 3
	s_cbranch_scc1 .LBB356_1850
; %bb.1845:
	s_cmp_gt_i32 s21, 3
	s_cbranch_scc0 .LBB356_1847
; %bb.1846:
	s_mov_b32 s0, 0
	v_cndmask_b32_e64 v5, 0, 1, s[10:11]
	v_mov_b32_e32 v6, s0
	global_store_dwordx2 v[3:4], v[5:6], off
	s_mov_b64 s[0:1], 0
.LBB356_1847:
	s_andn2_b64 vcc, exec, s[0:1]
	s_cbranch_vccnz .LBB356_1849
; %bb.1848:
	v_cndmask_b32_e64 v5, 0, 1, s[10:11]
	global_store_dword v[3:4], v5, off
.LBB356_1849:
	s_mov_b64 s[0:1], 0
.LBB356_1850:
	s_andn2_b64 vcc, exec, s[0:1]
	s_cbranch_vccnz .LBB356_1852
; %bb.1851:
	v_cndmask_b32_e64 v5, 0, 1, s[10:11]
	global_store_short v[3:4], v5, off
.LBB356_1852:
	s_mov_b64 s[0:1], 0
.LBB356_1853:
	s_andn2_b64 vcc, exec, s[0:1]
	s_cbranch_vccnz .LBB356_1858
; %bb.1854:
	s_mov_b64 s[0:1], -1
	s_cmp_gt_i32 s21, 0
	v_cndmask_b32_e64 v5, 0, 1, s[10:11]
	s_cbranch_scc0 .LBB356_1856
; %bb.1855:
	global_store_byte v[3:4], v5, off
	s_mov_b64 s[0:1], 0
.LBB356_1856:
	s_andn2_b64 vcc, exec, s[0:1]
	s_cbranch_vccnz .LBB356_1858
; %bb.1857:
	global_store_byte v[3:4], v5, off
.LBB356_1858:
	s_mov_b64 s[14:15], -1
.LBB356_1859:
	s_andn2_b64 vcc, exec, s[14:15]
	s_cbranch_vccnz .LBB356_2055
; %bb.1860:
	v_cmp_ne_u32_e32 vcc, s5, v1
	s_xor_b64 s[10:11], s[6:7], vcc
	v_mov_b32_e32 v3, s9
	v_add_co_u32_e32 v1, vcc, s8, v2
	s_cmp_lt_i32 s21, 11
	v_addc_co_u32_e32 v2, vcc, 0, v3, vcc
	s_cbranch_scc1 .LBB356_1938
; %bb.1861:
	s_mov_b64 s[16:17], -1
	s_mov_b64 s[12:13], 0
	s_cmp_gt_i32 s21, 25
	s_mov_b64 s[14:15], 0
	s_mov_b64 s[0:1], 0
	s_cbranch_scc0 .LBB356_1894
; %bb.1862:
	s_cmp_gt_i32 s21, 28
	s_cbranch_scc0 .LBB356_1877
; %bb.1863:
	s_cmp_gt_i32 s21, 43
	;; [unrolled: 3-line block ×3, first 2 shown]
	s_cbranch_scc0 .LBB356_1867
; %bb.1865:
	s_mov_b64 s[0:1], -1
	s_mov_b64 s[16:17], 0
	s_cmp_eq_u32 s21, 46
	s_cbranch_scc0 .LBB356_1867
; %bb.1866:
	v_cndmask_b32_e64 v3, 0, 1.0, s[10:11]
	v_bfe_u32 v4, v3, 16, 1
	s_movk_i32 s0, 0x7fff
	v_add3_u32 v3, v3, v4, s0
	v_lshrrev_b32_e32 v3, 16, v3
	global_store_dword v[1:2], v3, off
	s_mov_b64 s[0:1], 0
	s_mov_b64 s[14:15], -1
.LBB356_1867:
	s_and_b64 vcc, exec, s[16:17]
	s_cbranch_vccz .LBB356_1872
; %bb.1868:
	s_cmp_eq_u32 s21, 44
	s_mov_b64 s[0:1], -1
	s_cbranch_scc0 .LBB356_1872
; %bb.1869:
	v_cndmask_b32_e64 v4, 0, 1.0, s[10:11]
	v_lshrrev_b32_e32 v3, 23, v4
	s_movk_i32 s0, 0xff
	v_cmp_ne_u32_e32 vcc, s0, v3
	v_mov_b32_e32 v5, 0xff
	s_and_saveexec_b64 s[14:15], vcc
; %bb.1870:
	s_mov_b32 s0, 0x3fffff
	v_and_b32_e32 v5, 0x400000, v4
	v_and_or_b32 v4, v4, s0, v3
	v_cmp_ne_u32_e32 vcc, 0, v5
	v_cmp_ne_u32_e64 s[0:1], 0, v4
	s_and_b64 s[0:1], vcc, s[0:1]
	v_cndmask_b32_e64 v4, 0, 1, s[0:1]
	v_add_u32_e32 v5, v3, v4
; %bb.1871:
	s_or_b64 exec, exec, s[14:15]
	s_mov_b64 s[0:1], 0
	s_mov_b64 s[14:15], -1
	global_store_byte v[1:2], v5, off
.LBB356_1872:
	s_mov_b64 s[16:17], 0
.LBB356_1873:
	s_and_b64 vcc, exec, s[16:17]
	s_cbranch_vccz .LBB356_1876
; %bb.1874:
	s_cmp_eq_u32 s21, 29
	s_mov_b64 s[0:1], -1
	s_cbranch_scc0 .LBB356_1876
; %bb.1875:
	s_mov_b32 s0, 0
	v_cndmask_b32_e64 v3, 0, 1, s[10:11]
	v_mov_b32_e32 v4, s0
	global_store_dwordx2 v[1:2], v[3:4], off
	s_mov_b64 s[0:1], 0
	s_mov_b64 s[14:15], -1
.LBB356_1876:
	s_mov_b64 s[16:17], 0
.LBB356_1877:
	s_and_b64 vcc, exec, s[16:17]
	s_cbranch_vccz .LBB356_1893
; %bb.1878:
	s_cmp_lt_i32 s21, 27
	s_mov_b64 s[14:15], -1
	s_cbranch_scc1 .LBB356_1884
; %bb.1879:
	s_cmp_gt_i32 s21, 27
	s_cbranch_scc0 .LBB356_1881
; %bb.1880:
	v_cndmask_b32_e64 v3, 0, 1, s[10:11]
	s_mov_b64 s[14:15], 0
	global_store_dword v[1:2], v3, off
.LBB356_1881:
	s_andn2_b64 vcc, exec, s[14:15]
	s_cbranch_vccnz .LBB356_1883
; %bb.1882:
	v_cndmask_b32_e64 v3, 0, 1, s[10:11]
	global_store_short v[1:2], v3, off
.LBB356_1883:
	s_mov_b64 s[14:15], 0
.LBB356_1884:
	s_andn2_b64 vcc, exec, s[14:15]
	s_cbranch_vccnz .LBB356_1892
; %bb.1885:
	v_cndmask_b32_e64 v4, 0, 1.0, s[10:11]
	s_mov_b32 s4, 0x43800000
	v_cmp_gt_u32_e32 vcc, s4, v4
	v_mov_b32_e32 v5, 0x80
	s_and_saveexec_b64 s[14:15], vcc
	s_cbranch_execz .LBB356_1891
; %bb.1886:
	s_mov_b32 s4, 0x3bffffff
	v_cmp_lt_u32_e32 vcc, s4, v4
	s_mov_b64 s[16:17], 0
                                        ; implicit-def: $vgpr3
	s_and_saveexec_b64 s[18:19], vcc
	s_xor_b64 s[18:19], exec, s[18:19]
	s_cbranch_execz .LBB356_2112
; %bb.1887:
	v_bfe_u32 v3, v4, 20, 1
	s_mov_b32 s4, 0x487ffff
	v_add3_u32 v3, v4, v3, s4
	s_mov_b64 s[16:17], exec
	v_lshrrev_b32_e32 v3, 20, v3
                                        ; implicit-def: $vgpr4
	s_andn2_saveexec_b64 s[18:19], s[18:19]
	s_cbranch_execnz .LBB356_2113
.LBB356_1888:
	s_or_b64 exec, exec, s[18:19]
	v_mov_b32_e32 v5, 0
	s_and_saveexec_b64 s[18:19], s[16:17]
.LBB356_1889:
	v_mov_b32_e32 v5, v3
.LBB356_1890:
	s_or_b64 exec, exec, s[18:19]
.LBB356_1891:
	s_or_b64 exec, exec, s[14:15]
	global_store_byte v[1:2], v5, off
.LBB356_1892:
	s_mov_b64 s[14:15], -1
.LBB356_1893:
	s_mov_b64 s[16:17], 0
.LBB356_1894:
	s_and_b64 vcc, exec, s[16:17]
	s_cbranch_vccz .LBB356_1934
; %bb.1895:
	s_cmp_gt_i32 s21, 22
	s_mov_b64 s[12:13], -1
	s_cbranch_scc0 .LBB356_1927
; %bb.1896:
	s_cmp_lt_i32 s21, 24
	s_cbranch_scc1 .LBB356_1916
; %bb.1897:
	s_cmp_gt_i32 s21, 24
	s_cbranch_scc0 .LBB356_1905
; %bb.1898:
	v_cndmask_b32_e64 v4, 0, 1.0, s[10:11]
	s_mov_b32 s4, 0x47800000
	v_cmp_gt_u32_e32 vcc, s4, v4
	v_mov_b32_e32 v5, 0x80
	s_and_saveexec_b64 s[12:13], vcc
	s_cbranch_execz .LBB356_1904
; %bb.1899:
	s_mov_b32 s4, 0x37ffffff
	v_cmp_lt_u32_e32 vcc, s4, v4
	s_mov_b64 s[14:15], 0
                                        ; implicit-def: $vgpr3
	s_and_saveexec_b64 s[16:17], vcc
	s_xor_b64 s[16:17], exec, s[16:17]
	s_cbranch_execz .LBB356_2115
; %bb.1900:
	v_bfe_u32 v3, v4, 21, 1
	s_mov_b32 s4, 0x88fffff
	v_add3_u32 v3, v4, v3, s4
	s_mov_b64 s[14:15], exec
	v_lshrrev_b32_e32 v3, 21, v3
                                        ; implicit-def: $vgpr4
	s_andn2_saveexec_b64 s[16:17], s[16:17]
	s_cbranch_execnz .LBB356_2116
.LBB356_1901:
	s_or_b64 exec, exec, s[16:17]
	v_mov_b32_e32 v5, 0
	s_and_saveexec_b64 s[16:17], s[14:15]
.LBB356_1902:
	v_mov_b32_e32 v5, v3
.LBB356_1903:
	s_or_b64 exec, exec, s[16:17]
.LBB356_1904:
	s_or_b64 exec, exec, s[12:13]
	s_mov_b64 s[12:13], 0
	global_store_byte v[1:2], v5, off
.LBB356_1905:
	s_and_b64 vcc, exec, s[12:13]
	s_cbranch_vccz .LBB356_1915
; %bb.1906:
	v_cndmask_b32_e64 v3, 0, 1.0, s[10:11]
	s_mov_b32 s4, 0x43f00000
	v_cmp_gt_u32_e32 vcc, s4, v3
                                        ; implicit-def: $vgpr4
	s_and_saveexec_b64 s[12:13], vcc
	s_xor_b64 s[12:13], exec, s[12:13]
	s_cbranch_execz .LBB356_1912
; %bb.1907:
	s_mov_b32 s4, 0x3c7fffff
	v_cmp_lt_u32_e32 vcc, s4, v3
                                        ; implicit-def: $vgpr4
	s_and_saveexec_b64 s[14:15], vcc
	s_xor_b64 s[14:15], exec, s[14:15]
; %bb.1908:
	v_bfe_u32 v4, v3, 20, 1
	s_mov_b32 s4, 0x407ffff
	v_add3_u32 v3, v3, v4, s4
	v_lshrrev_b32_e32 v4, 20, v3
	v_and_b32_e32 v3, 0xff00000, v3
	s_mov_b32 s4, 0x7f00000
	v_mov_b32_e32 v5, 0x7e
	v_cmp_ne_u32_e32 vcc, s4, v3
	v_cndmask_b32_e32 v4, v5, v4, vcc
                                        ; implicit-def: $vgpr3
; %bb.1909:
	s_andn2_saveexec_b64 s[14:15], s[14:15]
; %bb.1910:
	v_add_f32_e32 v4, 0x46800000, v3
; %bb.1911:
	s_or_b64 exec, exec, s[14:15]
                                        ; implicit-def: $vgpr3
.LBB356_1912:
	s_andn2_saveexec_b64 s[12:13], s[12:13]
; %bb.1913:
	s_mov_b32 s4, 0x7f800000
	v_mov_b32_e32 v4, 0x7e
	v_mov_b32_e32 v5, 0x7f
	v_cmp_lt_u32_e32 vcc, s4, v3
	v_cndmask_b32_e32 v4, v4, v5, vcc
; %bb.1914:
	s_or_b64 exec, exec, s[12:13]
	global_store_byte v[1:2], v4, off
.LBB356_1915:
	s_mov_b64 s[12:13], 0
.LBB356_1916:
	s_andn2_b64 vcc, exec, s[12:13]
	s_cbranch_vccnz .LBB356_1926
; %bb.1917:
	v_cndmask_b32_e64 v3, 0, 1.0, s[10:11]
	s_mov_b32 s4, 0x47800000
	v_cmp_gt_u32_e32 vcc, s4, v3
                                        ; implicit-def: $vgpr4
	s_and_saveexec_b64 s[12:13], vcc
	s_xor_b64 s[12:13], exec, s[12:13]
	s_cbranch_execz .LBB356_1923
; %bb.1918:
	s_mov_b32 s4, 0x387fffff
	v_cmp_lt_u32_e32 vcc, s4, v3
                                        ; implicit-def: $vgpr4
	s_and_saveexec_b64 s[14:15], vcc
	s_xor_b64 s[14:15], exec, s[14:15]
; %bb.1919:
	v_bfe_u32 v4, v3, 21, 1
	s_mov_b32 s4, 0x80fffff
	v_add3_u32 v3, v3, v4, s4
	v_lshrrev_b32_e32 v4, 21, v3
                                        ; implicit-def: $vgpr3
; %bb.1920:
	s_andn2_saveexec_b64 s[14:15], s[14:15]
; %bb.1921:
	v_add_f32_e32 v4, 0x43000000, v3
; %bb.1922:
	s_or_b64 exec, exec, s[14:15]
                                        ; implicit-def: $vgpr3
.LBB356_1923:
	s_andn2_saveexec_b64 s[12:13], s[12:13]
; %bb.1924:
	s_mov_b32 s4, 0x7f800000
	v_mov_b32_e32 v4, 0x7c
	v_mov_b32_e32 v5, 0x7f
	v_cmp_lt_u32_e32 vcc, s4, v3
	v_cndmask_b32_e32 v4, v4, v5, vcc
; %bb.1925:
	s_or_b64 exec, exec, s[12:13]
	global_store_byte v[1:2], v4, off
.LBB356_1926:
	s_mov_b64 s[12:13], 0
	s_mov_b64 s[14:15], -1
.LBB356_1927:
	s_andn2_b64 vcc, exec, s[12:13]
	s_mov_b64 s[12:13], 0
	s_cbranch_vccnz .LBB356_1934
; %bb.1928:
	s_cmp_gt_i32 s21, 14
	s_mov_b64 s[16:17], -1
	s_cbranch_scc0 .LBB356_1932
; %bb.1929:
	s_cmp_eq_u32 s21, 15
	s_mov_b64 s[0:1], -1
	s_cbranch_scc0 .LBB356_1931
; %bb.1930:
	v_cndmask_b32_e64 v3, 0, 1.0, s[10:11]
	v_bfe_u32 v4, v3, 16, 1
	s_movk_i32 s0, 0x7fff
	v_add3_u32 v3, v3, v4, s0
	global_store_short_d16_hi v[1:2], v3, off
	s_mov_b64 s[0:1], 0
	s_mov_b64 s[14:15], -1
.LBB356_1931:
	s_mov_b64 s[16:17], 0
.LBB356_1932:
	s_and_b64 vcc, exec, s[16:17]
	s_cbranch_vccz .LBB356_1934
; %bb.1933:
	s_cmp_lg_u32 s21, 11
	s_mov_b64 s[12:13], -1
	s_cselect_b64 s[0:1], -1, 0
.LBB356_1934:
	s_and_b64 vcc, exec, s[0:1]
	s_cbranch_vccnz .LBB356_2114
; %bb.1935:
	s_andn2_b64 vcc, exec, s[12:13]
	s_cbranch_vccnz .LBB356_1937
.LBB356_1936:
	v_cndmask_b32_e64 v3, 0, 1, s[10:11]
	s_mov_b64 s[14:15], -1
	global_store_byte v[1:2], v3, off
.LBB356_1937:
	s_mov_b64 s[0:1], 0
	s_branch .LBB356_1939
.LBB356_1938:
	s_mov_b64 s[0:1], -1
	s_mov_b64 s[14:15], 0
.LBB356_1939:
	s_and_b64 vcc, exec, s[0:1]
	s_cbranch_vccz .LBB356_1978
; %bb.1940:
	s_cmp_lt_i32 s21, 5
	s_mov_b64 s[0:1], -1
	s_cbranch_scc1 .LBB356_1961
; %bb.1941:
	s_cmp_lt_i32 s21, 8
	s_cbranch_scc1 .LBB356_1951
; %bb.1942:
	s_cmp_lt_i32 s21, 9
	s_cbranch_scc1 .LBB356_1948
; %bb.1943:
	s_cmp_gt_i32 s21, 9
	s_cbranch_scc0 .LBB356_1945
; %bb.1944:
	v_cndmask_b32_e64 v3, 0, 1, s[10:11]
	v_cvt_f64_u32_e32 v[3:4], v3
	v_mov_b32_e32 v5, 0
	v_mov_b32_e32 v6, v5
	s_mov_b64 s[0:1], 0
	global_store_dwordx4 v[1:2], v[3:6], off
.LBB356_1945:
	s_andn2_b64 vcc, exec, s[0:1]
	s_cbranch_vccnz .LBB356_1947
; %bb.1946:
	v_cndmask_b32_e64 v3, 0, 1.0, s[10:11]
	v_mov_b32_e32 v4, 0
	global_store_dwordx2 v[1:2], v[3:4], off
.LBB356_1947:
	s_mov_b64 s[0:1], 0
.LBB356_1948:
	s_andn2_b64 vcc, exec, s[0:1]
	s_cbranch_vccnz .LBB356_1950
; %bb.1949:
	v_cndmask_b32_e64 v3, 0, 1.0, s[10:11]
	v_cvt_f16_f32_e32 v3, v3
	global_store_dword v[1:2], v3, off
.LBB356_1950:
	s_mov_b64 s[0:1], 0
.LBB356_1951:
	s_andn2_b64 vcc, exec, s[0:1]
	s_cbranch_vccnz .LBB356_1960
; %bb.1952:
	s_cmp_lt_i32 s21, 6
	s_mov_b64 s[0:1], -1
	s_cbranch_scc1 .LBB356_1958
; %bb.1953:
	s_cmp_gt_i32 s21, 6
	s_cbranch_scc0 .LBB356_1955
; %bb.1954:
	v_cndmask_b32_e64 v3, 0, 1, s[10:11]
	v_cvt_f64_u32_e32 v[3:4], v3
	s_mov_b64 s[0:1], 0
	global_store_dwordx2 v[1:2], v[3:4], off
.LBB356_1955:
	s_andn2_b64 vcc, exec, s[0:1]
	s_cbranch_vccnz .LBB356_1957
; %bb.1956:
	v_cndmask_b32_e64 v3, 0, 1.0, s[10:11]
	global_store_dword v[1:2], v3, off
.LBB356_1957:
	s_mov_b64 s[0:1], 0
.LBB356_1958:
	s_andn2_b64 vcc, exec, s[0:1]
	s_cbranch_vccnz .LBB356_1960
; %bb.1959:
	v_cndmask_b32_e64 v3, 0, 1.0, s[10:11]
	v_cvt_f16_f32_e32 v3, v3
	global_store_short v[1:2], v3, off
.LBB356_1960:
	s_mov_b64 s[0:1], 0
.LBB356_1961:
	s_andn2_b64 vcc, exec, s[0:1]
	s_cbranch_vccnz .LBB356_1977
; %bb.1962:
	s_cmp_lt_i32 s21, 2
	s_mov_b64 s[0:1], -1
	s_cbranch_scc1 .LBB356_1972
; %bb.1963:
	s_cmp_lt_i32 s21, 3
	s_cbranch_scc1 .LBB356_1969
; %bb.1964:
	s_cmp_gt_i32 s21, 3
	s_cbranch_scc0 .LBB356_1966
; %bb.1965:
	s_mov_b32 s0, 0
	v_cndmask_b32_e64 v3, 0, 1, s[10:11]
	v_mov_b32_e32 v4, s0
	global_store_dwordx2 v[1:2], v[3:4], off
	s_mov_b64 s[0:1], 0
.LBB356_1966:
	s_andn2_b64 vcc, exec, s[0:1]
	s_cbranch_vccnz .LBB356_1968
; %bb.1967:
	v_cndmask_b32_e64 v3, 0, 1, s[10:11]
	global_store_dword v[1:2], v3, off
.LBB356_1968:
	s_mov_b64 s[0:1], 0
.LBB356_1969:
	s_andn2_b64 vcc, exec, s[0:1]
	s_cbranch_vccnz .LBB356_1971
; %bb.1970:
	v_cndmask_b32_e64 v3, 0, 1, s[10:11]
	global_store_short v[1:2], v3, off
.LBB356_1971:
	s_mov_b64 s[0:1], 0
.LBB356_1972:
	s_andn2_b64 vcc, exec, s[0:1]
	s_cbranch_vccnz .LBB356_1977
; %bb.1973:
	s_cmp_gt_i32 s21, 0
	s_mov_b64 s[0:1], -1
	s_cbranch_scc0 .LBB356_1975
; %bb.1974:
	v_cndmask_b32_e64 v3, 0, 1, s[10:11]
	global_store_byte v[1:2], v3, off
	s_mov_b64 s[0:1], 0
.LBB356_1975:
	s_andn2_b64 vcc, exec, s[0:1]
	s_cbranch_vccnz .LBB356_1977
; %bb.1976:
	v_cndmask_b32_e64 v3, 0, 1, s[10:11]
	global_store_byte v[1:2], v3, off
.LBB356_1977:
	s_mov_b64 s[14:15], -1
.LBB356_1978:
	s_andn2_b64 vcc, exec, s[14:15]
	s_cbranch_vccnz .LBB356_2055
; %bb.1979:
	v_cmp_ne_u32_e32 vcc, s5, v9
	s_xor_b64 s[10:11], s[6:7], vcc
	v_mov_b32_e32 v1, s9
	v_add_co_u32_e32 v0, vcc, s8, v0
	s_cmp_lt_i32 s21, 11
	v_addc_co_u32_e32 v1, vcc, 0, v1, vcc
	s_cbranch_scc1 .LBB356_2100
; %bb.1980:
	s_mov_b64 s[6:7], -1
	s_mov_b64 s[4:5], 0
	s_cmp_gt_i32 s21, 25
	s_mov_b64 s[0:1], 0
	s_cbranch_scc0 .LBB356_2013
; %bb.1981:
	s_cmp_gt_i32 s21, 28
	s_cbranch_scc0 .LBB356_1997
; %bb.1982:
	s_cmp_gt_i32 s21, 43
	;; [unrolled: 3-line block ×3, first 2 shown]
	s_cbranch_scc0 .LBB356_1987
; %bb.1984:
	s_cmp_eq_u32 s21, 46
	s_mov_b64 s[0:1], -1
	s_cbranch_scc0 .LBB356_1986
; %bb.1985:
	v_cndmask_b32_e64 v2, 0, 1.0, s[10:11]
	v_bfe_u32 v3, v2, 16, 1
	s_movk_i32 s0, 0x7fff
	v_add3_u32 v2, v2, v3, s0
	v_lshrrev_b32_e32 v2, 16, v2
	global_store_dword v[0:1], v2, off
	s_mov_b64 s[0:1], 0
.LBB356_1986:
	s_mov_b64 s[6:7], 0
.LBB356_1987:
	s_and_b64 vcc, exec, s[6:7]
	s_cbranch_vccz .LBB356_1992
; %bb.1988:
	s_cmp_eq_u32 s21, 44
	s_mov_b64 s[0:1], -1
	s_cbranch_scc0 .LBB356_1992
; %bb.1989:
	v_cndmask_b32_e64 v3, 0, 1.0, s[10:11]
	v_lshrrev_b32_e32 v2, 23, v3
	s_movk_i32 s0, 0xff
	v_cmp_ne_u32_e32 vcc, s0, v2
	v_mov_b32_e32 v4, 0xff
	s_and_saveexec_b64 s[6:7], vcc
; %bb.1990:
	s_mov_b32 s0, 0x3fffff
	v_and_b32_e32 v4, 0x400000, v3
	v_and_or_b32 v3, v3, s0, v2
	v_cmp_ne_u32_e32 vcc, 0, v4
	v_cmp_ne_u32_e64 s[0:1], 0, v3
	s_and_b64 s[0:1], vcc, s[0:1]
	v_cndmask_b32_e64 v3, 0, 1, s[0:1]
	v_add_u32_e32 v4, v2, v3
; %bb.1991:
	s_or_b64 exec, exec, s[6:7]
	s_mov_b64 s[0:1], 0
	global_store_byte v[0:1], v4, off
.LBB356_1992:
	s_mov_b64 s[6:7], 0
.LBB356_1993:
	s_and_b64 vcc, exec, s[6:7]
	s_cbranch_vccz .LBB356_1996
; %bb.1994:
	s_cmp_eq_u32 s21, 29
	s_mov_b64 s[0:1], -1
	s_cbranch_scc0 .LBB356_1996
; %bb.1995:
	s_mov_b32 s0, 0
	v_cndmask_b32_e64 v2, 0, 1, s[10:11]
	v_mov_b32_e32 v3, s0
	global_store_dwordx2 v[0:1], v[2:3], off
	s_mov_b64 s[0:1], 0
.LBB356_1996:
	s_mov_b64 s[6:7], 0
.LBB356_1997:
	s_and_b64 vcc, exec, s[6:7]
	s_cbranch_vccz .LBB356_2012
; %bb.1998:
	s_cmp_lt_i32 s21, 27
	s_mov_b64 s[6:7], -1
	s_cbranch_scc1 .LBB356_2004
; %bb.1999:
	s_cmp_gt_i32 s21, 27
	s_cbranch_scc0 .LBB356_2001
; %bb.2000:
	v_cndmask_b32_e64 v2, 0, 1, s[10:11]
	global_store_dword v[0:1], v2, off
	s_mov_b64 s[6:7], 0
.LBB356_2001:
	s_andn2_b64 vcc, exec, s[6:7]
	s_cbranch_vccnz .LBB356_2003
; %bb.2002:
	v_cndmask_b32_e64 v2, 0, 1, s[10:11]
	global_store_short v[0:1], v2, off
.LBB356_2003:
	s_mov_b64 s[6:7], 0
.LBB356_2004:
	s_andn2_b64 vcc, exec, s[6:7]
	s_cbranch_vccnz .LBB356_2012
; %bb.2005:
	v_cndmask_b32_e64 v3, 0, 1.0, s[10:11]
	s_mov_b32 s6, 0x43800000
	v_cmp_gt_u32_e32 vcc, s6, v3
	v_mov_b32_e32 v4, 0x80
	s_and_saveexec_b64 s[6:7], vcc
	s_cbranch_execz .LBB356_2011
; %bb.2006:
	s_mov_b32 s8, 0x3bffffff
	v_cmp_lt_u32_e32 vcc, s8, v3
	s_mov_b64 s[8:9], 0
                                        ; implicit-def: $vgpr2
	s_and_saveexec_b64 s[12:13], vcc
	s_xor_b64 s[12:13], exec, s[12:13]
	s_cbranch_execz .LBB356_2117
; %bb.2007:
	v_bfe_u32 v2, v3, 20, 1
	s_mov_b32 s14, 0x487ffff
	v_add3_u32 v2, v3, v2, s14
	s_mov_b64 s[8:9], exec
	v_lshrrev_b32_e32 v2, 20, v2
                                        ; implicit-def: $vgpr3
	s_andn2_saveexec_b64 s[12:13], s[12:13]
	s_cbranch_execnz .LBB356_2118
.LBB356_2008:
	s_or_b64 exec, exec, s[12:13]
	v_mov_b32_e32 v4, 0
	s_and_saveexec_b64 s[12:13], s[8:9]
.LBB356_2009:
	v_mov_b32_e32 v4, v2
.LBB356_2010:
	s_or_b64 exec, exec, s[12:13]
.LBB356_2011:
	s_or_b64 exec, exec, s[6:7]
	global_store_byte v[0:1], v4, off
.LBB356_2012:
	s_mov_b64 s[6:7], 0
.LBB356_2013:
	s_and_b64 vcc, exec, s[6:7]
	s_cbranch_vccz .LBB356_2053
; %bb.2014:
	s_cmp_gt_i32 s21, 22
	s_mov_b64 s[4:5], -1
	s_cbranch_scc0 .LBB356_2046
; %bb.2015:
	s_cmp_lt_i32 s21, 24
	s_cbranch_scc1 .LBB356_2035
; %bb.2016:
	s_cmp_gt_i32 s21, 24
	s_cbranch_scc0 .LBB356_2024
; %bb.2017:
	v_cndmask_b32_e64 v3, 0, 1.0, s[10:11]
	s_mov_b32 s4, 0x47800000
	v_cmp_gt_u32_e32 vcc, s4, v3
	v_mov_b32_e32 v4, 0x80
	s_and_saveexec_b64 s[4:5], vcc
	s_cbranch_execz .LBB356_2023
; %bb.2018:
	s_mov_b32 s6, 0x37ffffff
	v_cmp_lt_u32_e32 vcc, s6, v3
	s_mov_b64 s[6:7], 0
                                        ; implicit-def: $vgpr2
	s_and_saveexec_b64 s[8:9], vcc
	s_xor_b64 s[8:9], exec, s[8:9]
	s_cbranch_execz .LBB356_2120
; %bb.2019:
	v_bfe_u32 v2, v3, 21, 1
	s_mov_b32 s12, 0x88fffff
	v_add3_u32 v2, v3, v2, s12
	s_mov_b64 s[6:7], exec
	v_lshrrev_b32_e32 v2, 21, v2
                                        ; implicit-def: $vgpr3
	s_andn2_saveexec_b64 s[8:9], s[8:9]
	s_cbranch_execnz .LBB356_2121
.LBB356_2020:
	s_or_b64 exec, exec, s[8:9]
	v_mov_b32_e32 v4, 0
	s_and_saveexec_b64 s[8:9], s[6:7]
.LBB356_2021:
	v_mov_b32_e32 v4, v2
.LBB356_2022:
	s_or_b64 exec, exec, s[8:9]
.LBB356_2023:
	s_or_b64 exec, exec, s[4:5]
	s_mov_b64 s[4:5], 0
	global_store_byte v[0:1], v4, off
.LBB356_2024:
	s_and_b64 vcc, exec, s[4:5]
	s_cbranch_vccz .LBB356_2034
; %bb.2025:
	v_cndmask_b32_e64 v2, 0, 1.0, s[10:11]
	s_mov_b32 s4, 0x43f00000
	v_cmp_gt_u32_e32 vcc, s4, v2
                                        ; implicit-def: $vgpr3
	s_and_saveexec_b64 s[4:5], vcc
	s_xor_b64 s[4:5], exec, s[4:5]
	s_cbranch_execz .LBB356_2031
; %bb.2026:
	s_mov_b32 s6, 0x3c7fffff
	v_cmp_lt_u32_e32 vcc, s6, v2
                                        ; implicit-def: $vgpr3
	s_and_saveexec_b64 s[6:7], vcc
	s_xor_b64 s[6:7], exec, s[6:7]
; %bb.2027:
	v_bfe_u32 v3, v2, 20, 1
	s_mov_b32 s8, 0x407ffff
	v_add3_u32 v2, v2, v3, s8
	v_lshrrev_b32_e32 v3, 20, v2
	v_and_b32_e32 v2, 0xff00000, v2
	s_mov_b32 s8, 0x7f00000
	v_mov_b32_e32 v4, 0x7e
	v_cmp_ne_u32_e32 vcc, s8, v2
	v_cndmask_b32_e32 v3, v4, v3, vcc
                                        ; implicit-def: $vgpr2
; %bb.2028:
	s_andn2_saveexec_b64 s[6:7], s[6:7]
; %bb.2029:
	v_add_f32_e32 v3, 0x46800000, v2
; %bb.2030:
	s_or_b64 exec, exec, s[6:7]
                                        ; implicit-def: $vgpr2
.LBB356_2031:
	s_andn2_saveexec_b64 s[4:5], s[4:5]
; %bb.2032:
	s_mov_b32 s6, 0x7f800000
	v_mov_b32_e32 v3, 0x7e
	v_mov_b32_e32 v4, 0x7f
	v_cmp_lt_u32_e32 vcc, s6, v2
	v_cndmask_b32_e32 v3, v3, v4, vcc
; %bb.2033:
	s_or_b64 exec, exec, s[4:5]
	global_store_byte v[0:1], v3, off
.LBB356_2034:
	s_mov_b64 s[4:5], 0
.LBB356_2035:
	s_andn2_b64 vcc, exec, s[4:5]
	s_cbranch_vccnz .LBB356_2045
; %bb.2036:
	v_cndmask_b32_e64 v2, 0, 1.0, s[10:11]
	s_mov_b32 s4, 0x47800000
	v_cmp_gt_u32_e32 vcc, s4, v2
                                        ; implicit-def: $vgpr3
	s_and_saveexec_b64 s[4:5], vcc
	s_xor_b64 s[4:5], exec, s[4:5]
	s_cbranch_execz .LBB356_2042
; %bb.2037:
	s_mov_b32 s6, 0x387fffff
	v_cmp_lt_u32_e32 vcc, s6, v2
                                        ; implicit-def: $vgpr3
	s_and_saveexec_b64 s[6:7], vcc
	s_xor_b64 s[6:7], exec, s[6:7]
; %bb.2038:
	v_bfe_u32 v3, v2, 21, 1
	s_mov_b32 s8, 0x80fffff
	v_add3_u32 v2, v2, v3, s8
	v_lshrrev_b32_e32 v3, 21, v2
                                        ; implicit-def: $vgpr2
; %bb.2039:
	s_andn2_saveexec_b64 s[6:7], s[6:7]
; %bb.2040:
	v_add_f32_e32 v3, 0x43000000, v2
; %bb.2041:
	s_or_b64 exec, exec, s[6:7]
                                        ; implicit-def: $vgpr2
.LBB356_2042:
	s_andn2_saveexec_b64 s[4:5], s[4:5]
; %bb.2043:
	s_mov_b32 s6, 0x7f800000
	v_mov_b32_e32 v3, 0x7c
	v_mov_b32_e32 v4, 0x7f
	v_cmp_lt_u32_e32 vcc, s6, v2
	v_cndmask_b32_e32 v3, v3, v4, vcc
; %bb.2044:
	s_or_b64 exec, exec, s[4:5]
	global_store_byte v[0:1], v3, off
.LBB356_2045:
	s_mov_b64 s[4:5], 0
.LBB356_2046:
	s_andn2_b64 vcc, exec, s[4:5]
	s_mov_b64 s[4:5], 0
	s_cbranch_vccnz .LBB356_2053
; %bb.2047:
	s_cmp_gt_i32 s21, 14
	s_mov_b64 s[6:7], -1
	s_cbranch_scc0 .LBB356_2051
; %bb.2048:
	s_cmp_eq_u32 s21, 15
	s_mov_b64 s[0:1], -1
	s_cbranch_scc0 .LBB356_2050
; %bb.2049:
	v_cndmask_b32_e64 v2, 0, 1.0, s[10:11]
	v_bfe_u32 v3, v2, 16, 1
	s_movk_i32 s0, 0x7fff
	v_add3_u32 v2, v2, v3, s0
	global_store_short_d16_hi v[0:1], v2, off
	s_mov_b64 s[0:1], 0
.LBB356_2050:
	s_mov_b64 s[6:7], 0
.LBB356_2051:
	s_and_b64 vcc, exec, s[6:7]
	s_cbranch_vccz .LBB356_2053
; %bb.2052:
	s_cmp_lg_u32 s21, 11
	s_mov_b64 s[4:5], -1
	s_cselect_b64 s[0:1], -1, 0
.LBB356_2053:
	s_and_b64 vcc, exec, s[0:1]
	s_cbranch_vccnz .LBB356_2119
.LBB356_2054:
	s_mov_b64 s[0:1], 0
	s_branch .LBB356_2056
.LBB356_2055:
	s_mov_b64 s[0:1], 0
	s_mov_b64 s[4:5], 0
                                        ; implicit-def: $sgpr10_sgpr11
                                        ; implicit-def: $vgpr0_vgpr1
                                        ; implicit-def: $sgpr20
.LBB356_2056:
	s_and_b64 s[6:7], s[4:5], exec
	s_andn2_b64 s[4:5], s[28:29], exec
	s_and_b64 s[2:3], s[2:3], exec
	s_and_b64 s[0:1], s[0:1], exec
	s_or_b64 s[28:29], s[4:5], s[2:3]
.LBB356_2057:
	s_or_b64 exec, exec, s[30:31]
	s_and_saveexec_b64 s[2:3], s[28:29]
	s_cbranch_execz .LBB356_2060
; %bb.2058:
	; divergent unreachable
	s_or_b64 exec, exec, s[2:3]
	s_and_saveexec_b64 s[2:3], s[6:7]
	s_xor_b64 s[2:3], exec, s[2:3]
	s_cbranch_execnz .LBB356_2061
.LBB356_2059:
	s_or_b64 exec, exec, s[2:3]
	s_and_saveexec_b64 s[2:3], s[0:1]
	s_cbranch_execnz .LBB356_2062
	s_branch .LBB356_2099
.LBB356_2060:
	s_or_b64 exec, exec, s[2:3]
	s_and_saveexec_b64 s[2:3], s[6:7]
	s_xor_b64 s[2:3], exec, s[2:3]
	s_cbranch_execz .LBB356_2059
.LBB356_2061:
	v_cndmask_b32_e64 v2, 0, 1, s[10:11]
	s_waitcnt vmcnt(0)
	global_store_byte v[0:1], v2, off
	s_or_b64 exec, exec, s[2:3]
	s_and_saveexec_b64 s[2:3], s[0:1]
	s_cbranch_execz .LBB356_2099
.LBB356_2062:
	s_sext_i32_i16 s2, s20
	s_cmp_lt_i32 s2, 5
	s_mov_b64 s[0:1], -1
	s_cbranch_scc1 .LBB356_2083
; %bb.2063:
	s_cmp_lt_i32 s2, 8
	s_cbranch_scc1 .LBB356_2073
; %bb.2064:
	s_cmp_lt_i32 s2, 9
	s_cbranch_scc1 .LBB356_2070
; %bb.2065:
	s_cmp_gt_i32 s2, 9
	s_cbranch_scc0 .LBB356_2067
; %bb.2066:
	v_cndmask_b32_e64 v2, 0, 1, s[10:11]
	s_waitcnt vmcnt(0)
	v_cvt_f64_u32_e32 v[2:3], v2
	v_mov_b32_e32 v4, 0
	v_mov_b32_e32 v5, v4
	s_mov_b64 s[0:1], 0
	global_store_dwordx4 v[0:1], v[2:5], off
.LBB356_2067:
	s_andn2_b64 vcc, exec, s[0:1]
	s_cbranch_vccnz .LBB356_2069
; %bb.2068:
	v_cndmask_b32_e64 v2, 0, 1.0, s[10:11]
	s_waitcnt vmcnt(0)
	v_mov_b32_e32 v3, 0
	global_store_dwordx2 v[0:1], v[2:3], off
.LBB356_2069:
	s_mov_b64 s[0:1], 0
.LBB356_2070:
	s_andn2_b64 vcc, exec, s[0:1]
	s_cbranch_vccnz .LBB356_2072
; %bb.2071:
	v_cndmask_b32_e64 v2, 0, 1.0, s[10:11]
	v_cvt_f16_f32_e32 v2, v2
	s_waitcnt vmcnt(0)
	global_store_dword v[0:1], v2, off
.LBB356_2072:
	s_mov_b64 s[0:1], 0
.LBB356_2073:
	s_andn2_b64 vcc, exec, s[0:1]
	s_cbranch_vccnz .LBB356_2082
; %bb.2074:
	s_sext_i32_i16 s2, s20
	s_cmp_lt_i32 s2, 6
	s_mov_b64 s[0:1], -1
	s_cbranch_scc1 .LBB356_2080
; %bb.2075:
	s_cmp_gt_i32 s2, 6
	s_cbranch_scc0 .LBB356_2077
; %bb.2076:
	v_cndmask_b32_e64 v2, 0, 1, s[10:11]
	s_waitcnt vmcnt(0)
	v_cvt_f64_u32_e32 v[2:3], v2
	s_mov_b64 s[0:1], 0
	global_store_dwordx2 v[0:1], v[2:3], off
.LBB356_2077:
	s_andn2_b64 vcc, exec, s[0:1]
	s_cbranch_vccnz .LBB356_2079
; %bb.2078:
	v_cndmask_b32_e64 v2, 0, 1.0, s[10:11]
	s_waitcnt vmcnt(0)
	global_store_dword v[0:1], v2, off
.LBB356_2079:
	s_mov_b64 s[0:1], 0
.LBB356_2080:
	s_andn2_b64 vcc, exec, s[0:1]
	s_cbranch_vccnz .LBB356_2082
; %bb.2081:
	v_cndmask_b32_e64 v2, 0, 1.0, s[10:11]
	v_cvt_f16_f32_e32 v2, v2
	s_waitcnt vmcnt(0)
	global_store_short v[0:1], v2, off
.LBB356_2082:
	s_mov_b64 s[0:1], 0
.LBB356_2083:
	s_andn2_b64 vcc, exec, s[0:1]
	s_cbranch_vccnz .LBB356_2099
; %bb.2084:
	s_sext_i32_i16 s2, s20
	s_cmp_lt_i32 s2, 2
	s_mov_b64 s[0:1], -1
	s_cbranch_scc1 .LBB356_2094
; %bb.2085:
	s_cmp_lt_i32 s2, 3
	s_cbranch_scc1 .LBB356_2091
; %bb.2086:
	s_cmp_gt_i32 s2, 3
	s_cbranch_scc0 .LBB356_2088
; %bb.2087:
	s_mov_b32 s0, 0
	v_cndmask_b32_e64 v2, 0, 1, s[10:11]
	s_waitcnt vmcnt(0)
	v_mov_b32_e32 v3, s0
	global_store_dwordx2 v[0:1], v[2:3], off
	s_mov_b64 s[0:1], 0
.LBB356_2088:
	s_andn2_b64 vcc, exec, s[0:1]
	s_cbranch_vccnz .LBB356_2090
; %bb.2089:
	v_cndmask_b32_e64 v2, 0, 1, s[10:11]
	s_waitcnt vmcnt(0)
	global_store_dword v[0:1], v2, off
.LBB356_2090:
	s_mov_b64 s[0:1], 0
.LBB356_2091:
	s_andn2_b64 vcc, exec, s[0:1]
	s_cbranch_vccnz .LBB356_2093
; %bb.2092:
	v_cndmask_b32_e64 v2, 0, 1, s[10:11]
	s_waitcnt vmcnt(0)
	global_store_short v[0:1], v2, off
.LBB356_2093:
	s_mov_b64 s[0:1], 0
.LBB356_2094:
	s_andn2_b64 vcc, exec, s[0:1]
	s_cbranch_vccnz .LBB356_2099
; %bb.2095:
	s_sext_i32_i16 s0, s20
	s_cmp_gt_i32 s0, 0
	s_mov_b64 s[0:1], -1
	s_cbranch_scc0 .LBB356_2097
; %bb.2096:
	v_cndmask_b32_e64 v2, 0, 1, s[10:11]
	s_waitcnt vmcnt(0)
	global_store_byte v[0:1], v2, off
	s_mov_b64 s[0:1], 0
.LBB356_2097:
	s_andn2_b64 vcc, exec, s[0:1]
	s_cbranch_vccnz .LBB356_2099
; %bb.2098:
	v_cndmask_b32_e64 v2, 0, 1, s[10:11]
	s_waitcnt vmcnt(0)
	global_store_byte v[0:1], v2, off
	s_endpgm
.LBB356_2099:
	s_endpgm
.LBB356_2100:
	s_mov_b64 s[4:5], 0
	s_mov_b64 s[0:1], -1
	s_branch .LBB356_2056
.LBB356_2101:
	s_trap 2
	s_or_b64 s[2:3], s[2:3], exec
	s_cbranch_execz .LBB356_1570
	s_branch .LBB356_1571
.LBB356_2102:
	s_andn2_saveexec_b64 s[18:19], s[18:19]
	s_cbranch_execz .LBB356_1650
.LBB356_2103:
	v_add_f32_e32 v7, 0x46000000, v8
	v_and_b32_e32 v7, 0xff, v7
	v_cmp_ne_u32_e32 vcc, 0, v7
	s_andn2_b64 s[16:17], s[16:17], exec
	s_and_b64 s[22:23], vcc, exec
	s_or_b64 s[16:17], s[16:17], s[22:23]
	s_or_b64 exec, exec, s[18:19]
	v_mov_b32_e32 v10, 0
	s_and_saveexec_b64 s[18:19], s[16:17]
	s_cbranch_execnz .LBB356_1651
	s_branch .LBB356_1652
.LBB356_2104:
	s_trap 2
	s_or_b64 s[2:3], s[2:3], exec
	s_cbranch_execz .LBB356_1698
	s_branch .LBB356_1699
.LBB356_2105:
	s_andn2_saveexec_b64 s[16:17], s[16:17]
	s_cbranch_execz .LBB356_1663
.LBB356_2106:
	v_add_f32_e32 v7, 0x42800000, v8
	v_and_b32_e32 v7, 0xff, v7
	v_cmp_ne_u32_e32 vcc, 0, v7
	s_andn2_b64 s[14:15], s[14:15], exec
	s_and_b64 s[18:19], vcc, exec
	s_or_b64 s[14:15], s[14:15], s[18:19]
	s_or_b64 exec, exec, s[16:17]
	v_mov_b32_e32 v10, 0
	s_and_saveexec_b64 s[16:17], s[14:15]
	s_cbranch_execnz .LBB356_1664
	s_branch .LBB356_1665
.LBB356_2107:
	s_andn2_saveexec_b64 s[18:19], s[18:19]
	s_cbranch_execz .LBB356_1769
.LBB356_2108:
	v_add_f32_e32 v5, 0x46000000, v6
	v_and_b32_e32 v5, 0xff, v5
	v_cmp_ne_u32_e32 vcc, 0, v5
	s_andn2_b64 s[16:17], s[16:17], exec
	s_and_b64 s[22:23], vcc, exec
	s_or_b64 s[16:17], s[16:17], s[22:23]
	s_or_b64 exec, exec, s[18:19]
	v_mov_b32_e32 v7, 0
	s_and_saveexec_b64 s[18:19], s[16:17]
	s_cbranch_execnz .LBB356_1770
	s_branch .LBB356_1771
.LBB356_2109:
	s_trap 2
	s_or_b64 s[2:3], s[2:3], exec
	s_cbranch_execz .LBB356_1817
	s_branch .LBB356_1818
.LBB356_2110:
	s_andn2_saveexec_b64 s[16:17], s[16:17]
	s_cbranch_execz .LBB356_1782
.LBB356_2111:
	v_add_f32_e32 v5, 0x42800000, v6
	v_and_b32_e32 v5, 0xff, v5
	v_cmp_ne_u32_e32 vcc, 0, v5
	s_andn2_b64 s[14:15], s[14:15], exec
	s_and_b64 s[18:19], vcc, exec
	s_or_b64 s[14:15], s[14:15], s[18:19]
	s_or_b64 exec, exec, s[16:17]
	v_mov_b32_e32 v7, 0
	s_and_saveexec_b64 s[16:17], s[14:15]
	s_cbranch_execnz .LBB356_1783
	s_branch .LBB356_1784
.LBB356_2112:
	s_andn2_saveexec_b64 s[18:19], s[18:19]
	s_cbranch_execz .LBB356_1888
.LBB356_2113:
	v_add_f32_e32 v3, 0x46000000, v4
	v_and_b32_e32 v3, 0xff, v3
	v_cmp_ne_u32_e32 vcc, 0, v3
	s_andn2_b64 s[16:17], s[16:17], exec
	s_and_b64 s[22:23], vcc, exec
	s_or_b64 s[16:17], s[16:17], s[22:23]
	s_or_b64 exec, exec, s[18:19]
	v_mov_b32_e32 v5, 0
	s_and_saveexec_b64 s[18:19], s[16:17]
	s_cbranch_execnz .LBB356_1889
	s_branch .LBB356_1890
.LBB356_2114:
	s_trap 2
	s_or_b64 s[2:3], s[2:3], exec
	s_cbranch_execz .LBB356_1936
	s_branch .LBB356_1937
.LBB356_2115:
	s_andn2_saveexec_b64 s[16:17], s[16:17]
	s_cbranch_execz .LBB356_1901
.LBB356_2116:
	v_add_f32_e32 v3, 0x42800000, v4
	v_and_b32_e32 v3, 0xff, v3
	v_cmp_ne_u32_e32 vcc, 0, v3
	s_andn2_b64 s[14:15], s[14:15], exec
	s_and_b64 s[18:19], vcc, exec
	s_or_b64 s[14:15], s[14:15], s[18:19]
	s_or_b64 exec, exec, s[16:17]
	v_mov_b32_e32 v5, 0
	s_and_saveexec_b64 s[16:17], s[14:15]
	s_cbranch_execnz .LBB356_1902
	s_branch .LBB356_1903
.LBB356_2117:
	s_andn2_saveexec_b64 s[12:13], s[12:13]
	s_cbranch_execz .LBB356_2008
.LBB356_2118:
	v_add_f32_e32 v2, 0x46000000, v3
	v_and_b32_e32 v2, 0xff, v2
	v_cmp_ne_u32_e32 vcc, 0, v2
	s_andn2_b64 s[8:9], s[8:9], exec
	s_and_b64 s[14:15], vcc, exec
	s_or_b64 s[8:9], s[8:9], s[14:15]
	s_or_b64 exec, exec, s[12:13]
	v_mov_b32_e32 v4, 0
	s_and_saveexec_b64 s[12:13], s[8:9]
	s_cbranch_execnz .LBB356_2009
	s_branch .LBB356_2010
.LBB356_2119:
	s_mov_b64 s[4:5], 0
	s_or_b64 s[2:3], s[2:3], exec
	s_trap 2
	s_branch .LBB356_2054
.LBB356_2120:
	s_andn2_saveexec_b64 s[8:9], s[8:9]
	s_cbranch_execz .LBB356_2020
.LBB356_2121:
	v_add_f32_e32 v2, 0x42800000, v3
	v_and_b32_e32 v2, 0xff, v2
	v_cmp_ne_u32_e32 vcc, 0, v2
	s_andn2_b64 s[6:7], s[6:7], exec
	s_and_b64 s[12:13], vcc, exec
	s_or_b64 s[6:7], s[6:7], s[12:13]
	s_or_b64 exec, exec, s[8:9]
	v_mov_b32_e32 v4, 0
	s_and_saveexec_b64 s[8:9], s[6:7]
	s_cbranch_execnz .LBB356_2021
	s_branch .LBB356_2022
	.section	.rodata,"a",@progbits
	.p2align	6, 0x0
	.amdhsa_kernel _ZN2at6native32elementwise_kernel_manual_unrollILi128ELi4EZNS0_15gpu_kernel_implINS0_13AUnaryFunctorIjjbNS0_12_GLOBAL__N_116CompareEqFunctorIjEEEEEEvRNS_18TensorIteratorBaseERKT_EUlibE0_EEviT1_
		.amdhsa_group_segment_fixed_size 0
		.amdhsa_private_segment_fixed_size 0
		.amdhsa_kernarg_size 368
		.amdhsa_user_sgpr_count 6
		.amdhsa_user_sgpr_private_segment_buffer 1
		.amdhsa_user_sgpr_dispatch_ptr 0
		.amdhsa_user_sgpr_queue_ptr 0
		.amdhsa_user_sgpr_kernarg_segment_ptr 1
		.amdhsa_user_sgpr_dispatch_id 0
		.amdhsa_user_sgpr_flat_scratch_init 0
		.amdhsa_user_sgpr_private_segment_size 0
		.amdhsa_uses_dynamic_stack 0
		.amdhsa_system_sgpr_private_segment_wavefront_offset 0
		.amdhsa_system_sgpr_workgroup_id_x 1
		.amdhsa_system_sgpr_workgroup_id_y 0
		.amdhsa_system_sgpr_workgroup_id_z 0
		.amdhsa_system_sgpr_workgroup_info 0
		.amdhsa_system_vgpr_workitem_id 0
		.amdhsa_next_free_vgpr 18
		.amdhsa_next_free_sgpr 81
		.amdhsa_reserve_vcc 1
		.amdhsa_reserve_flat_scratch 0
		.amdhsa_float_round_mode_32 0
		.amdhsa_float_round_mode_16_64 0
		.amdhsa_float_denorm_mode_32 3
		.amdhsa_float_denorm_mode_16_64 3
		.amdhsa_dx10_clamp 1
		.amdhsa_ieee_mode 1
		.amdhsa_fp16_overflow 0
		.amdhsa_exception_fp_ieee_invalid_op 0
		.amdhsa_exception_fp_denorm_src 0
		.amdhsa_exception_fp_ieee_div_zero 0
		.amdhsa_exception_fp_ieee_overflow 0
		.amdhsa_exception_fp_ieee_underflow 0
		.amdhsa_exception_fp_ieee_inexact 0
		.amdhsa_exception_int_div_zero 0
	.end_amdhsa_kernel
	.section	.text._ZN2at6native32elementwise_kernel_manual_unrollILi128ELi4EZNS0_15gpu_kernel_implINS0_13AUnaryFunctorIjjbNS0_12_GLOBAL__N_116CompareEqFunctorIjEEEEEEvRNS_18TensorIteratorBaseERKT_EUlibE0_EEviT1_,"axG",@progbits,_ZN2at6native32elementwise_kernel_manual_unrollILi128ELi4EZNS0_15gpu_kernel_implINS0_13AUnaryFunctorIjjbNS0_12_GLOBAL__N_116CompareEqFunctorIjEEEEEEvRNS_18TensorIteratorBaseERKT_EUlibE0_EEviT1_,comdat
.Lfunc_end356:
	.size	_ZN2at6native32elementwise_kernel_manual_unrollILi128ELi4EZNS0_15gpu_kernel_implINS0_13AUnaryFunctorIjjbNS0_12_GLOBAL__N_116CompareEqFunctorIjEEEEEEvRNS_18TensorIteratorBaseERKT_EUlibE0_EEviT1_, .Lfunc_end356-_ZN2at6native32elementwise_kernel_manual_unrollILi128ELi4EZNS0_15gpu_kernel_implINS0_13AUnaryFunctorIjjbNS0_12_GLOBAL__N_116CompareEqFunctorIjEEEEEEvRNS_18TensorIteratorBaseERKT_EUlibE0_EEviT1_
                                        ; -- End function
	.set _ZN2at6native32elementwise_kernel_manual_unrollILi128ELi4EZNS0_15gpu_kernel_implINS0_13AUnaryFunctorIjjbNS0_12_GLOBAL__N_116CompareEqFunctorIjEEEEEEvRNS_18TensorIteratorBaseERKT_EUlibE0_EEviT1_.num_vgpr, 18
	.set _ZN2at6native32elementwise_kernel_manual_unrollILi128ELi4EZNS0_15gpu_kernel_implINS0_13AUnaryFunctorIjjbNS0_12_GLOBAL__N_116CompareEqFunctorIjEEEEEEvRNS_18TensorIteratorBaseERKT_EUlibE0_EEviT1_.num_agpr, 0
	.set _ZN2at6native32elementwise_kernel_manual_unrollILi128ELi4EZNS0_15gpu_kernel_implINS0_13AUnaryFunctorIjjbNS0_12_GLOBAL__N_116CompareEqFunctorIjEEEEEEvRNS_18TensorIteratorBaseERKT_EUlibE0_EEviT1_.numbered_sgpr, 81
	.set _ZN2at6native32elementwise_kernel_manual_unrollILi128ELi4EZNS0_15gpu_kernel_implINS0_13AUnaryFunctorIjjbNS0_12_GLOBAL__N_116CompareEqFunctorIjEEEEEEvRNS_18TensorIteratorBaseERKT_EUlibE0_EEviT1_.num_named_barrier, 0
	.set _ZN2at6native32elementwise_kernel_manual_unrollILi128ELi4EZNS0_15gpu_kernel_implINS0_13AUnaryFunctorIjjbNS0_12_GLOBAL__N_116CompareEqFunctorIjEEEEEEvRNS_18TensorIteratorBaseERKT_EUlibE0_EEviT1_.private_seg_size, 0
	.set _ZN2at6native32elementwise_kernel_manual_unrollILi128ELi4EZNS0_15gpu_kernel_implINS0_13AUnaryFunctorIjjbNS0_12_GLOBAL__N_116CompareEqFunctorIjEEEEEEvRNS_18TensorIteratorBaseERKT_EUlibE0_EEviT1_.uses_vcc, 1
	.set _ZN2at6native32elementwise_kernel_manual_unrollILi128ELi4EZNS0_15gpu_kernel_implINS0_13AUnaryFunctorIjjbNS0_12_GLOBAL__N_116CompareEqFunctorIjEEEEEEvRNS_18TensorIteratorBaseERKT_EUlibE0_EEviT1_.uses_flat_scratch, 0
	.set _ZN2at6native32elementwise_kernel_manual_unrollILi128ELi4EZNS0_15gpu_kernel_implINS0_13AUnaryFunctorIjjbNS0_12_GLOBAL__N_116CompareEqFunctorIjEEEEEEvRNS_18TensorIteratorBaseERKT_EUlibE0_EEviT1_.has_dyn_sized_stack, 0
	.set _ZN2at6native32elementwise_kernel_manual_unrollILi128ELi4EZNS0_15gpu_kernel_implINS0_13AUnaryFunctorIjjbNS0_12_GLOBAL__N_116CompareEqFunctorIjEEEEEEvRNS_18TensorIteratorBaseERKT_EUlibE0_EEviT1_.has_recursion, 0
	.set _ZN2at6native32elementwise_kernel_manual_unrollILi128ELi4EZNS0_15gpu_kernel_implINS0_13AUnaryFunctorIjjbNS0_12_GLOBAL__N_116CompareEqFunctorIjEEEEEEvRNS_18TensorIteratorBaseERKT_EUlibE0_EEviT1_.has_indirect_call, 0
	.section	.AMDGPU.csdata,"",@progbits
; Kernel info:
; codeLenInByte = 34556
; TotalNumSgprs: 85
; NumVgprs: 18
; ScratchSize: 0
; MemoryBound: 1
; FloatMode: 240
; IeeeMode: 1
; LDSByteSize: 0 bytes/workgroup (compile time only)
; SGPRBlocks: 10
; VGPRBlocks: 4
; NumSGPRsForWavesPerEU: 85
; NumVGPRsForWavesPerEU: 18
; Occupancy: 9
; WaveLimiterHint : 1
; COMPUTE_PGM_RSRC2:SCRATCH_EN: 0
; COMPUTE_PGM_RSRC2:USER_SGPR: 6
; COMPUTE_PGM_RSRC2:TRAP_HANDLER: 0
; COMPUTE_PGM_RSRC2:TGID_X_EN: 1
; COMPUTE_PGM_RSRC2:TGID_Y_EN: 0
; COMPUTE_PGM_RSRC2:TGID_Z_EN: 0
; COMPUTE_PGM_RSRC2:TIDIG_COMP_CNT: 0
	.section	.text._ZN2at6native29vectorized_elementwise_kernelILi16ENS0_13BinaryFunctorImmbNS0_12_GLOBAL__N_116CompareEqFunctorImEEEESt5arrayIPcLm3EEEEviT0_T1_,"axG",@progbits,_ZN2at6native29vectorized_elementwise_kernelILi16ENS0_13BinaryFunctorImmbNS0_12_GLOBAL__N_116CompareEqFunctorImEEEESt5arrayIPcLm3EEEEviT0_T1_,comdat
	.globl	_ZN2at6native29vectorized_elementwise_kernelILi16ENS0_13BinaryFunctorImmbNS0_12_GLOBAL__N_116CompareEqFunctorImEEEESt5arrayIPcLm3EEEEviT0_T1_ ; -- Begin function _ZN2at6native29vectorized_elementwise_kernelILi16ENS0_13BinaryFunctorImmbNS0_12_GLOBAL__N_116CompareEqFunctorImEEEESt5arrayIPcLm3EEEEviT0_T1_
	.p2align	8
	.type	_ZN2at6native29vectorized_elementwise_kernelILi16ENS0_13BinaryFunctorImmbNS0_12_GLOBAL__N_116CompareEqFunctorImEEEESt5arrayIPcLm3EEEEviT0_T1_,@function
_ZN2at6native29vectorized_elementwise_kernelILi16ENS0_13BinaryFunctorImmbNS0_12_GLOBAL__N_116CompareEqFunctorImEEEESt5arrayIPcLm3EEEEviT0_T1_: ; @_ZN2at6native29vectorized_elementwise_kernelILi16ENS0_13BinaryFunctorImmbNS0_12_GLOBAL__N_116CompareEqFunctorImEEEESt5arrayIPcLm3EEEEviT0_T1_
; %bb.0:
	s_load_dwordx2 s[34:35], s[4:5], 0x0
	s_load_dwordx4 s[36:39], s[4:5], 0x8
	s_load_dwordx2 s[40:41], s[4:5], 0x18
	s_lshl_b32 s30, s6, 12
	s_mov_b64 s[0:1], -1
	s_waitcnt lgkmcnt(0)
	s_sub_i32 s33, s34, s30
	s_cmpk_gt_i32 s33, 0xfff
	s_cbranch_scc0 .LBB357_2
; %bb.1:
	s_ashr_i32 s31, s30, 31
	s_lshl_b64 s[0:1], s[30:31], 3
	s_add_u32 s22, s38, s0
	s_addc_u32 s23, s39, s1
	s_add_u32 s24, s40, s0
	v_lshlrev_b32_e32 v17, 7, v0
	s_addc_u32 s25, s41, s1
	global_load_dwordx4 v[1:4], v17, s[24:25]
	global_load_dwordx4 v[5:8], v17, s[22:23]
	global_load_dwordx4 v[9:12], v17, s[22:23] offset:16
	global_load_dwordx4 v[13:16], v17, s[24:25] offset:16
	s_cmp_eq_u32 s35, 0
	s_cselect_b64 s[42:43], -1, 0
	s_add_u32 s44, s36, s30
	s_addc_u32 s45, s37, s31
	s_waitcnt vmcnt(2)
	v_cmp_ne_u64_e32 vcc, v[7:8], v[3:4]
	v_cmp_ne_u64_e64 s[0:1], v[5:6], v[1:2]
	global_load_dwordx4 v[1:4], v17, s[22:23] offset:32
	global_load_dwordx4 v[5:8], v17, s[24:25] offset:32
	s_waitcnt vmcnt(2)
	v_cmp_ne_u64_e64 s[2:3], v[11:12], v[15:16]
	v_cmp_ne_u64_e64 s[4:5], v[9:10], v[13:14]
	global_load_dwordx4 v[9:12], v17, s[22:23] offset:48
	global_load_dwordx4 v[13:16], v17, s[24:25] offset:48
	s_xor_b64 s[0:1], s[42:43], s[0:1]
	s_xor_b64 s[46:47], s[42:43], vcc
	s_waitcnt vmcnt(2)
	v_cmp_ne_u64_e64 s[6:7], v[3:4], v[7:8]
	v_cmp_ne_u64_e64 s[8:9], v[1:2], v[5:6]
	global_load_dwordx4 v[1:4], v17, s[22:23] offset:64
	global_load_dwordx4 v[5:8], v17, s[24:25] offset:64
	s_waitcnt vmcnt(2)
	v_cmp_ne_u64_e64 s[10:11], v[11:12], v[15:16]
	v_cmp_ne_u64_e64 s[12:13], v[9:10], v[13:14]
	global_load_dwordx4 v[9:12], v17, s[22:23] offset:80
	global_load_dwordx4 v[13:16], v17, s[24:25] offset:80
	s_waitcnt vmcnt(2)
	v_cmp_ne_u64_e64 s[14:15], v[3:4], v[7:8]
	v_cmp_ne_u64_e64 s[16:17], v[1:2], v[5:6]
	global_load_dwordx4 v[1:4], v17, s[24:25] offset:96
	s_waitcnt vmcnt(1)
	v_cmp_ne_u64_e64 s[18:19], v[11:12], v[15:16]
	v_cmp_ne_u64_e64 s[20:21], v[9:10], v[13:14]
	global_load_dwordx4 v[5:8], v17, s[22:23] offset:96
	global_load_dwordx4 v[9:12], v17, s[22:23] offset:112
	;; [unrolled: 1-line block ×3, first 2 shown]
	v_lshlrev_b32_e32 v17, 4, v0
	s_waitcnt vmcnt(2)
	v_cmp_ne_u64_e64 s[24:25], v[5:6], v[1:2]
	v_cndmask_b32_e64 v2, 0, 1, s[0:1]
	s_xor_b64 s[0:1], s[42:43], s[2:3]
	v_cmp_ne_u64_e64 s[22:23], v[7:8], v[3:4]
	v_cndmask_b32_e64 v3, 0, 1, s[0:1]
	s_xor_b64 s[0:1], s[42:43], s[4:5]
	v_cndmask_b32_e64 v4, 0, 1, s[0:1]
	s_xor_b64 s[0:1], s[42:43], s[6:7]
	;; [unrolled: 2-line block ×6, first 2 shown]
	s_waitcnt vmcnt(0)
	v_cmp_ne_u64_e64 s[28:29], v[9:10], v[13:14]
	v_cndmask_b32_e64 v9, 0, 1, s[0:1]
	s_xor_b64 s[0:1], s[42:43], s[16:17]
	v_cndmask_b32_e64 v10, 0, 1, s[0:1]
	s_xor_b64 s[0:1], s[42:43], s[18:19]
	v_cmp_ne_u64_e64 s[26:27], v[11:12], v[15:16]
	v_cndmask_b32_e64 v11, 0, 1, s[0:1]
	s_xor_b64 s[0:1], s[42:43], s[20:21]
	v_cndmask_b32_e64 v12, 0, 1, s[0:1]
	s_xor_b64 s[0:1], s[42:43], s[22:23]
	v_cndmask_b32_e64 v1, 0, 1, s[46:47]
	v_cndmask_b32_e64 v13, 0, 1, s[0:1]
	s_xor_b64 s[0:1], s[42:43], s[24:25]
	v_cndmask_b32_e64 v14, 0, 1, s[0:1]
	s_xor_b64 s[0:1], s[42:43], s[26:27]
	v_lshlrev_b16_e32 v1, 8, v1
	v_lshlrev_b16_e32 v3, 8, v3
	;; [unrolled: 1-line block ×4, first 2 shown]
	v_cndmask_b32_e64 v15, 0, 1, s[0:1]
	v_or_b32_e32 v1, v2, v1
	v_or_b32_sdwa v2, v4, v3 dst_sel:WORD_1 dst_unused:UNUSED_PAD src0_sel:DWORD src1_sel:DWORD
	v_or_b32_e32 v3, v6, v5
	v_or_b32_sdwa v4, v8, v7 dst_sel:WORD_1 dst_unused:UNUSED_PAD src0_sel:DWORD src1_sel:DWORD
	s_xor_b64 s[0:1], s[42:43], s[28:29]
	v_lshlrev_b16_e32 v9, 8, v9
	v_lshlrev_b16_e32 v11, 8, v11
	;; [unrolled: 1-line block ×4, first 2 shown]
	v_or_b32_sdwa v1, v1, v2 dst_sel:DWORD dst_unused:UNUSED_PAD src0_sel:WORD_0 src1_sel:DWORD
	v_or_b32_sdwa v2, v3, v4 dst_sel:DWORD dst_unused:UNUSED_PAD src0_sel:WORD_0 src1_sel:DWORD
	v_cndmask_b32_e64 v4, 0, 1, s[0:1]
	v_or_b32_e32 v5, v10, v9
	v_or_b32_sdwa v6, v12, v11 dst_sel:WORD_1 dst_unused:UNUSED_PAD src0_sel:DWORD src1_sel:DWORD
	v_or_b32_e32 v7, v14, v13
	v_or_b32_sdwa v4, v4, v15 dst_sel:WORD_1 dst_unused:UNUSED_PAD src0_sel:DWORD src1_sel:DWORD
	v_or_b32_sdwa v3, v5, v6 dst_sel:DWORD dst_unused:UNUSED_PAD src0_sel:WORD_0 src1_sel:DWORD
	v_or_b32_sdwa v4, v7, v4 dst_sel:DWORD dst_unused:UNUSED_PAD src0_sel:WORD_0 src1_sel:DWORD
	global_store_dwordx4 v17, v[1:4], s[44:45]
	s_mov_b64 s[0:1], 0
.LBB357_2:
	s_andn2_b64 vcc, exec, s[0:1]
	s_cbranch_vccnz .LBB357_52
; %bb.3:
	v_cmp_gt_i32_e32 vcc, s33, v0
	s_mov_b64 s[2:3], 0
	v_or_b32_e32 v1, s30, v0
	s_mov_b64 s[4:5], 0
	v_mov_b32_e32 v2, v0
	s_and_saveexec_b64 s[6:7], vcc
	s_cbranch_execz .LBB357_5
; %bb.4:
	v_mov_b32_e32 v2, 0
	v_lshlrev_b64 v[2:3], 3, v[1:2]
	v_mov_b32_e32 v5, s41
	v_add_co_u32_e64 v4, s[0:1], s40, v2
	v_addc_co_u32_e64 v5, s[0:1], v5, v3, s[0:1]
	v_mov_b32_e32 v6, s39
	v_add_co_u32_e64 v2, s[0:1], s38, v2
	v_addc_co_u32_e64 v3, s[0:1], v6, v3, s[0:1]
	global_load_dwordx2 v[6:7], v[2:3], off
	global_load_dwordx2 v[8:9], v[4:5], off
	v_or_b32_e32 v2, 0x100, v0
	s_waitcnt vmcnt(0)
	v_cmp_ne_u64_e64 s[0:1], v[6:7], v[8:9]
	s_and_b64 s[4:5], s[0:1], exec
.LBB357_5:
	s_or_b64 exec, exec, s[6:7]
	v_cmp_gt_i32_e64 s[0:1], s33, v2
	s_and_saveexec_b64 s[6:7], s[0:1]
	s_cbranch_execz .LBB357_7
; %bb.6:
	v_add_u32_e32 v3, s30, v2
	v_mov_b32_e32 v4, 0
	v_lshlrev_b64 v[3:4], 3, v[3:4]
	v_mov_b32_e32 v6, s41
	v_add_co_u32_e64 v5, s[0:1], s40, v3
	v_addc_co_u32_e64 v6, s[0:1], v6, v4, s[0:1]
	v_mov_b32_e32 v7, s39
	v_add_co_u32_e64 v3, s[0:1], s38, v3
	v_addc_co_u32_e64 v4, s[0:1], v7, v4, s[0:1]
	global_load_dwordx2 v[7:8], v[3:4], off
	global_load_dwordx2 v[9:10], v[5:6], off
	v_add_u32_e32 v2, 0x100, v2
	s_waitcnt vmcnt(0)
	v_cmp_ne_u64_e64 s[0:1], v[7:8], v[9:10]
	s_and_b64 s[2:3], s[0:1], exec
.LBB357_7:
	s_or_b64 exec, exec, s[6:7]
	v_cmp_gt_i32_e64 s[0:1], s33, v2
	s_mov_b64 s[6:7], 0
	s_mov_b64 s[8:9], 0
	s_and_saveexec_b64 s[10:11], s[0:1]
	s_cbranch_execz .LBB357_9
; %bb.8:
	v_add_u32_e32 v3, s30, v2
	v_mov_b32_e32 v4, 0
	v_lshlrev_b64 v[3:4], 3, v[3:4]
	v_mov_b32_e32 v6, s41
	v_add_co_u32_e64 v5, s[0:1], s40, v3
	v_addc_co_u32_e64 v6, s[0:1], v6, v4, s[0:1]
	v_mov_b32_e32 v7, s39
	v_add_co_u32_e64 v3, s[0:1], s38, v3
	v_addc_co_u32_e64 v4, s[0:1], v7, v4, s[0:1]
	global_load_dwordx2 v[7:8], v[3:4], off
	global_load_dwordx2 v[9:10], v[5:6], off
	v_add_u32_e32 v2, 0x100, v2
	s_waitcnt vmcnt(0)
	v_cmp_ne_u64_e64 s[0:1], v[7:8], v[9:10]
	s_and_b64 s[8:9], s[0:1], exec
.LBB357_9:
	s_or_b64 exec, exec, s[10:11]
	v_cmp_gt_i32_e64 s[0:1], s33, v2
	s_and_saveexec_b64 s[10:11], s[0:1]
	s_cbranch_execz .LBB357_11
; %bb.10:
	v_add_u32_e32 v3, s30, v2
	v_mov_b32_e32 v4, 0
	v_lshlrev_b64 v[3:4], 3, v[3:4]
	v_mov_b32_e32 v6, s41
	v_add_co_u32_e64 v5, s[0:1], s40, v3
	v_addc_co_u32_e64 v6, s[0:1], v6, v4, s[0:1]
	v_mov_b32_e32 v7, s39
	v_add_co_u32_e64 v3, s[0:1], s38, v3
	v_addc_co_u32_e64 v4, s[0:1], v7, v4, s[0:1]
	global_load_dwordx2 v[7:8], v[3:4], off
	global_load_dwordx2 v[9:10], v[5:6], off
	v_add_u32_e32 v2, 0x100, v2
	s_waitcnt vmcnt(0)
	v_cmp_ne_u64_e64 s[0:1], v[7:8], v[9:10]
	s_and_b64 s[6:7], s[0:1], exec
.LBB357_11:
	s_or_b64 exec, exec, s[10:11]
	v_cmp_gt_i32_e64 s[0:1], s33, v2
	s_mov_b64 s[10:11], 0
	s_mov_b64 s[12:13], 0
	s_and_saveexec_b64 s[14:15], s[0:1]
	s_cbranch_execz .LBB357_13
; %bb.12:
	v_add_u32_e32 v3, s30, v2
	v_mov_b32_e32 v4, 0
	v_lshlrev_b64 v[3:4], 3, v[3:4]
	v_mov_b32_e32 v6, s41
	v_add_co_u32_e64 v5, s[0:1], s40, v3
	v_addc_co_u32_e64 v6, s[0:1], v6, v4, s[0:1]
	v_mov_b32_e32 v7, s39
	v_add_co_u32_e64 v3, s[0:1], s38, v3
	v_addc_co_u32_e64 v4, s[0:1], v7, v4, s[0:1]
	global_load_dwordx2 v[7:8], v[3:4], off
	global_load_dwordx2 v[9:10], v[5:6], off
	v_add_u32_e32 v2, 0x100, v2
	s_waitcnt vmcnt(0)
	v_cmp_ne_u64_e64 s[0:1], v[7:8], v[9:10]
	s_and_b64 s[12:13], s[0:1], exec
.LBB357_13:
	;; [unrolled: 44-line block ×7, first 2 shown]
	s_or_b64 exec, exec, s[46:47]
	v_cmp_gt_i32_e64 s[0:1], s33, v2
	s_and_saveexec_b64 s[46:47], s[0:1]
	s_cbranch_execz .LBB357_35
; %bb.34:
	v_add_u32_e32 v2, s30, v2
	v_mov_b32_e32 v3, 0
	v_lshlrev_b64 v[2:3], 3, v[2:3]
	v_mov_b32_e32 v5, s41
	v_add_co_u32_e64 v4, s[0:1], s40, v2
	v_addc_co_u32_e64 v5, s[0:1], v5, v3, s[0:1]
	v_mov_b32_e32 v6, s39
	v_add_co_u32_e64 v2, s[0:1], s38, v2
	v_addc_co_u32_e64 v3, s[0:1], v6, v3, s[0:1]
	global_load_dwordx2 v[6:7], v[2:3], off
	global_load_dwordx2 v[8:9], v[4:5], off
	s_waitcnt vmcnt(0)
	v_cmp_ne_u64_e64 s[0:1], v[6:7], v[8:9]
	s_and_b64 s[42:43], s[0:1], exec
.LBB357_35:
	s_or_b64 exec, exec, s[46:47]
	s_cmp_eq_u32 s35, 0
	s_cselect_b64 s[0:1], -1, 0
	s_and_saveexec_b64 s[34:35], vcc
	s_cbranch_execnz .LBB357_53
; %bb.36:
	s_or_b64 exec, exec, s[34:35]
	v_cmp_gt_i32_e32 vcc, s33, v0
	s_and_saveexec_b64 s[4:5], vcc
	s_cbranch_execnz .LBB357_54
.LBB357_37:
	s_or_b64 exec, exec, s[4:5]
	v_cmp_gt_i32_e32 vcc, s33, v0
	s_and_saveexec_b64 s[2:3], vcc
	s_cbranch_execnz .LBB357_55
.LBB357_38:
	s_or_b64 exec, exec, s[2:3]
	v_cmp_gt_i32_e32 vcc, s33, v0
	s_and_saveexec_b64 s[2:3], vcc
	s_cbranch_execnz .LBB357_56
.LBB357_39:
	s_or_b64 exec, exec, s[2:3]
	v_cmp_gt_i32_e32 vcc, s33, v0
	s_and_saveexec_b64 s[2:3], vcc
	s_cbranch_execnz .LBB357_57
.LBB357_40:
	s_or_b64 exec, exec, s[2:3]
	v_cmp_gt_i32_e32 vcc, s33, v0
	s_and_saveexec_b64 s[2:3], vcc
	s_cbranch_execnz .LBB357_58
.LBB357_41:
	s_or_b64 exec, exec, s[2:3]
	v_cmp_gt_i32_e32 vcc, s33, v0
	s_and_saveexec_b64 s[2:3], vcc
	s_cbranch_execnz .LBB357_59
.LBB357_42:
	s_or_b64 exec, exec, s[2:3]
	v_cmp_gt_i32_e32 vcc, s33, v0
	s_and_saveexec_b64 s[2:3], vcc
	s_cbranch_execnz .LBB357_60
.LBB357_43:
	s_or_b64 exec, exec, s[2:3]
	v_cmp_gt_i32_e32 vcc, s33, v0
	s_and_saveexec_b64 s[2:3], vcc
	s_cbranch_execnz .LBB357_61
.LBB357_44:
	s_or_b64 exec, exec, s[2:3]
	v_cmp_gt_i32_e32 vcc, s33, v0
	s_and_saveexec_b64 s[2:3], vcc
	s_cbranch_execnz .LBB357_62
.LBB357_45:
	s_or_b64 exec, exec, s[2:3]
	v_cmp_gt_i32_e32 vcc, s33, v0
	s_and_saveexec_b64 s[2:3], vcc
	s_cbranch_execnz .LBB357_63
.LBB357_46:
	s_or_b64 exec, exec, s[2:3]
	v_cmp_gt_i32_e32 vcc, s33, v0
	s_and_saveexec_b64 s[2:3], vcc
	s_cbranch_execnz .LBB357_64
.LBB357_47:
	s_or_b64 exec, exec, s[2:3]
	v_cmp_gt_i32_e32 vcc, s33, v0
	s_and_saveexec_b64 s[2:3], vcc
	s_cbranch_execnz .LBB357_65
.LBB357_48:
	s_or_b64 exec, exec, s[2:3]
	v_cmp_gt_i32_e32 vcc, s33, v0
	s_and_saveexec_b64 s[2:3], vcc
	s_cbranch_execnz .LBB357_66
.LBB357_49:
	s_or_b64 exec, exec, s[2:3]
	v_cmp_gt_i32_e32 vcc, s33, v0
	s_and_saveexec_b64 s[2:3], vcc
	s_cbranch_execnz .LBB357_67
.LBB357_50:
	s_or_b64 exec, exec, s[2:3]
	v_cmp_gt_i32_e32 vcc, s33, v0
	s_and_saveexec_b64 s[2:3], vcc
	s_cbranch_execz .LBB357_52
.LBB357_51:
	s_xor_b64 s[0:1], s[0:1], s[42:43]
	v_cndmask_b32_e64 v1, 0, 1, s[0:1]
	v_add_u32_e32 v0, s30, v0
	global_store_byte v0, v1, s[36:37]
.LBB357_52:
	s_endpgm
.LBB357_53:
	s_xor_b64 s[4:5], s[0:1], s[4:5]
	v_or_b32_e32 v0, 0x100, v0
	v_cndmask_b32_e64 v2, 0, 1, s[4:5]
	global_store_byte v1, v2, s[36:37]
	s_or_b64 exec, exec, s[34:35]
	v_cmp_gt_i32_e32 vcc, s33, v0
	s_and_saveexec_b64 s[4:5], vcc
	s_cbranch_execz .LBB357_37
.LBB357_54:
	s_xor_b64 s[2:3], s[0:1], s[2:3]
	v_cndmask_b32_e64 v1, 0, 1, s[2:3]
	v_add_u32_e32 v2, s30, v0
	v_add_u32_e32 v0, 0x100, v0
	global_store_byte v2, v1, s[36:37]
	s_or_b64 exec, exec, s[4:5]
	v_cmp_gt_i32_e32 vcc, s33, v0
	s_and_saveexec_b64 s[2:3], vcc
	s_cbranch_execz .LBB357_38
.LBB357_55:
	s_xor_b64 s[4:5], s[0:1], s[8:9]
	v_cndmask_b32_e64 v1, 0, 1, s[4:5]
	v_add_u32_e32 v2, s30, v0
	v_add_u32_e32 v0, 0x100, v0
	global_store_byte v2, v1, s[36:37]
	s_or_b64 exec, exec, s[2:3]
	v_cmp_gt_i32_e32 vcc, s33, v0
	s_and_saveexec_b64 s[2:3], vcc
	s_cbranch_execz .LBB357_39
.LBB357_56:
	s_xor_b64 s[4:5], s[0:1], s[6:7]
	v_cndmask_b32_e64 v1, 0, 1, s[4:5]
	v_add_u32_e32 v2, s30, v0
	v_add_u32_e32 v0, 0x100, v0
	global_store_byte v2, v1, s[36:37]
	s_or_b64 exec, exec, s[2:3]
	v_cmp_gt_i32_e32 vcc, s33, v0
	s_and_saveexec_b64 s[2:3], vcc
	s_cbranch_execz .LBB357_40
.LBB357_57:
	s_xor_b64 s[4:5], s[0:1], s[12:13]
	v_cndmask_b32_e64 v1, 0, 1, s[4:5]
	v_add_u32_e32 v2, s30, v0
	v_add_u32_e32 v0, 0x100, v0
	global_store_byte v2, v1, s[36:37]
	s_or_b64 exec, exec, s[2:3]
	v_cmp_gt_i32_e32 vcc, s33, v0
	s_and_saveexec_b64 s[2:3], vcc
	s_cbranch_execz .LBB357_41
.LBB357_58:
	s_xor_b64 s[4:5], s[0:1], s[10:11]
	v_cndmask_b32_e64 v1, 0, 1, s[4:5]
	v_add_u32_e32 v2, s30, v0
	v_add_u32_e32 v0, 0x100, v0
	global_store_byte v2, v1, s[36:37]
	s_or_b64 exec, exec, s[2:3]
	v_cmp_gt_i32_e32 vcc, s33, v0
	s_and_saveexec_b64 s[2:3], vcc
	s_cbranch_execz .LBB357_42
.LBB357_59:
	s_xor_b64 s[4:5], s[0:1], s[16:17]
	v_cndmask_b32_e64 v1, 0, 1, s[4:5]
	v_add_u32_e32 v2, s30, v0
	v_add_u32_e32 v0, 0x100, v0
	global_store_byte v2, v1, s[36:37]
	s_or_b64 exec, exec, s[2:3]
	v_cmp_gt_i32_e32 vcc, s33, v0
	s_and_saveexec_b64 s[2:3], vcc
	s_cbranch_execz .LBB357_43
.LBB357_60:
	s_xor_b64 s[4:5], s[0:1], s[14:15]
	v_cndmask_b32_e64 v1, 0, 1, s[4:5]
	v_add_u32_e32 v2, s30, v0
	v_add_u32_e32 v0, 0x100, v0
	global_store_byte v2, v1, s[36:37]
	s_or_b64 exec, exec, s[2:3]
	v_cmp_gt_i32_e32 vcc, s33, v0
	s_and_saveexec_b64 s[2:3], vcc
	s_cbranch_execz .LBB357_44
.LBB357_61:
	s_xor_b64 s[4:5], s[0:1], s[20:21]
	v_cndmask_b32_e64 v1, 0, 1, s[4:5]
	v_add_u32_e32 v2, s30, v0
	v_add_u32_e32 v0, 0x100, v0
	global_store_byte v2, v1, s[36:37]
	s_or_b64 exec, exec, s[2:3]
	v_cmp_gt_i32_e32 vcc, s33, v0
	s_and_saveexec_b64 s[2:3], vcc
	s_cbranch_execz .LBB357_45
.LBB357_62:
	s_xor_b64 s[4:5], s[0:1], s[18:19]
	v_cndmask_b32_e64 v1, 0, 1, s[4:5]
	v_add_u32_e32 v2, s30, v0
	v_add_u32_e32 v0, 0x100, v0
	global_store_byte v2, v1, s[36:37]
	s_or_b64 exec, exec, s[2:3]
	v_cmp_gt_i32_e32 vcc, s33, v0
	s_and_saveexec_b64 s[2:3], vcc
	s_cbranch_execz .LBB357_46
.LBB357_63:
	s_xor_b64 s[4:5], s[0:1], s[24:25]
	v_cndmask_b32_e64 v1, 0, 1, s[4:5]
	v_add_u32_e32 v2, s30, v0
	v_add_u32_e32 v0, 0x100, v0
	global_store_byte v2, v1, s[36:37]
	s_or_b64 exec, exec, s[2:3]
	v_cmp_gt_i32_e32 vcc, s33, v0
	s_and_saveexec_b64 s[2:3], vcc
	s_cbranch_execz .LBB357_47
.LBB357_64:
	s_xor_b64 s[4:5], s[0:1], s[22:23]
	v_cndmask_b32_e64 v1, 0, 1, s[4:5]
	v_add_u32_e32 v2, s30, v0
	v_add_u32_e32 v0, 0x100, v0
	global_store_byte v2, v1, s[36:37]
	s_or_b64 exec, exec, s[2:3]
	v_cmp_gt_i32_e32 vcc, s33, v0
	s_and_saveexec_b64 s[2:3], vcc
	s_cbranch_execz .LBB357_48
.LBB357_65:
	s_xor_b64 s[4:5], s[0:1], s[28:29]
	v_cndmask_b32_e64 v1, 0, 1, s[4:5]
	v_add_u32_e32 v2, s30, v0
	v_add_u32_e32 v0, 0x100, v0
	global_store_byte v2, v1, s[36:37]
	s_or_b64 exec, exec, s[2:3]
	v_cmp_gt_i32_e32 vcc, s33, v0
	s_and_saveexec_b64 s[2:3], vcc
	s_cbranch_execz .LBB357_49
.LBB357_66:
	s_xor_b64 s[4:5], s[0:1], s[26:27]
	v_cndmask_b32_e64 v1, 0, 1, s[4:5]
	v_add_u32_e32 v2, s30, v0
	v_add_u32_e32 v0, 0x100, v0
	global_store_byte v2, v1, s[36:37]
	s_or_b64 exec, exec, s[2:3]
	v_cmp_gt_i32_e32 vcc, s33, v0
	s_and_saveexec_b64 s[2:3], vcc
	s_cbranch_execz .LBB357_50
.LBB357_67:
	s_xor_b64 s[4:5], s[0:1], s[44:45]
	v_cndmask_b32_e64 v1, 0, 1, s[4:5]
	v_add_u32_e32 v2, s30, v0
	v_add_u32_e32 v0, 0x100, v0
	global_store_byte v2, v1, s[36:37]
	s_or_b64 exec, exec, s[2:3]
	v_cmp_gt_i32_e32 vcc, s33, v0
	s_and_saveexec_b64 s[2:3], vcc
	s_cbranch_execnz .LBB357_51
	s_branch .LBB357_52
	.section	.rodata,"a",@progbits
	.p2align	6, 0x0
	.amdhsa_kernel _ZN2at6native29vectorized_elementwise_kernelILi16ENS0_13BinaryFunctorImmbNS0_12_GLOBAL__N_116CompareEqFunctorImEEEESt5arrayIPcLm3EEEEviT0_T1_
		.amdhsa_group_segment_fixed_size 0
		.amdhsa_private_segment_fixed_size 0
		.amdhsa_kernarg_size 32
		.amdhsa_user_sgpr_count 6
		.amdhsa_user_sgpr_private_segment_buffer 1
		.amdhsa_user_sgpr_dispatch_ptr 0
		.amdhsa_user_sgpr_queue_ptr 0
		.amdhsa_user_sgpr_kernarg_segment_ptr 1
		.amdhsa_user_sgpr_dispatch_id 0
		.amdhsa_user_sgpr_flat_scratch_init 0
		.amdhsa_user_sgpr_private_segment_size 0
		.amdhsa_uses_dynamic_stack 0
		.amdhsa_system_sgpr_private_segment_wavefront_offset 0
		.amdhsa_system_sgpr_workgroup_id_x 1
		.amdhsa_system_sgpr_workgroup_id_y 0
		.amdhsa_system_sgpr_workgroup_id_z 0
		.amdhsa_system_sgpr_workgroup_info 0
		.amdhsa_system_vgpr_workitem_id 0
		.amdhsa_next_free_vgpr 18
		.amdhsa_next_free_sgpr 48
		.amdhsa_reserve_vcc 1
		.amdhsa_reserve_flat_scratch 0
		.amdhsa_float_round_mode_32 0
		.amdhsa_float_round_mode_16_64 0
		.amdhsa_float_denorm_mode_32 3
		.amdhsa_float_denorm_mode_16_64 3
		.amdhsa_dx10_clamp 1
		.amdhsa_ieee_mode 1
		.amdhsa_fp16_overflow 0
		.amdhsa_exception_fp_ieee_invalid_op 0
		.amdhsa_exception_fp_denorm_src 0
		.amdhsa_exception_fp_ieee_div_zero 0
		.amdhsa_exception_fp_ieee_overflow 0
		.amdhsa_exception_fp_ieee_underflow 0
		.amdhsa_exception_fp_ieee_inexact 0
		.amdhsa_exception_int_div_zero 0
	.end_amdhsa_kernel
	.section	.text._ZN2at6native29vectorized_elementwise_kernelILi16ENS0_13BinaryFunctorImmbNS0_12_GLOBAL__N_116CompareEqFunctorImEEEESt5arrayIPcLm3EEEEviT0_T1_,"axG",@progbits,_ZN2at6native29vectorized_elementwise_kernelILi16ENS0_13BinaryFunctorImmbNS0_12_GLOBAL__N_116CompareEqFunctorImEEEESt5arrayIPcLm3EEEEviT0_T1_,comdat
.Lfunc_end357:
	.size	_ZN2at6native29vectorized_elementwise_kernelILi16ENS0_13BinaryFunctorImmbNS0_12_GLOBAL__N_116CompareEqFunctorImEEEESt5arrayIPcLm3EEEEviT0_T1_, .Lfunc_end357-_ZN2at6native29vectorized_elementwise_kernelILi16ENS0_13BinaryFunctorImmbNS0_12_GLOBAL__N_116CompareEqFunctorImEEEESt5arrayIPcLm3EEEEviT0_T1_
                                        ; -- End function
	.set _ZN2at6native29vectorized_elementwise_kernelILi16ENS0_13BinaryFunctorImmbNS0_12_GLOBAL__N_116CompareEqFunctorImEEEESt5arrayIPcLm3EEEEviT0_T1_.num_vgpr, 18
	.set _ZN2at6native29vectorized_elementwise_kernelILi16ENS0_13BinaryFunctorImmbNS0_12_GLOBAL__N_116CompareEqFunctorImEEEESt5arrayIPcLm3EEEEviT0_T1_.num_agpr, 0
	.set _ZN2at6native29vectorized_elementwise_kernelILi16ENS0_13BinaryFunctorImmbNS0_12_GLOBAL__N_116CompareEqFunctorImEEEESt5arrayIPcLm3EEEEviT0_T1_.numbered_sgpr, 48
	.set _ZN2at6native29vectorized_elementwise_kernelILi16ENS0_13BinaryFunctorImmbNS0_12_GLOBAL__N_116CompareEqFunctorImEEEESt5arrayIPcLm3EEEEviT0_T1_.num_named_barrier, 0
	.set _ZN2at6native29vectorized_elementwise_kernelILi16ENS0_13BinaryFunctorImmbNS0_12_GLOBAL__N_116CompareEqFunctorImEEEESt5arrayIPcLm3EEEEviT0_T1_.private_seg_size, 0
	.set _ZN2at6native29vectorized_elementwise_kernelILi16ENS0_13BinaryFunctorImmbNS0_12_GLOBAL__N_116CompareEqFunctorImEEEESt5arrayIPcLm3EEEEviT0_T1_.uses_vcc, 1
	.set _ZN2at6native29vectorized_elementwise_kernelILi16ENS0_13BinaryFunctorImmbNS0_12_GLOBAL__N_116CompareEqFunctorImEEEESt5arrayIPcLm3EEEEviT0_T1_.uses_flat_scratch, 0
	.set _ZN2at6native29vectorized_elementwise_kernelILi16ENS0_13BinaryFunctorImmbNS0_12_GLOBAL__N_116CompareEqFunctorImEEEESt5arrayIPcLm3EEEEviT0_T1_.has_dyn_sized_stack, 0
	.set _ZN2at6native29vectorized_elementwise_kernelILi16ENS0_13BinaryFunctorImmbNS0_12_GLOBAL__N_116CompareEqFunctorImEEEESt5arrayIPcLm3EEEEviT0_T1_.has_recursion, 0
	.set _ZN2at6native29vectorized_elementwise_kernelILi16ENS0_13BinaryFunctorImmbNS0_12_GLOBAL__N_116CompareEqFunctorImEEEESt5arrayIPcLm3EEEEviT0_T1_.has_indirect_call, 0
	.section	.AMDGPU.csdata,"",@progbits
; Kernel info:
; codeLenInByte = 3620
; TotalNumSgprs: 52
; NumVgprs: 18
; ScratchSize: 0
; MemoryBound: 1
; FloatMode: 240
; IeeeMode: 1
; LDSByteSize: 0 bytes/workgroup (compile time only)
; SGPRBlocks: 6
; VGPRBlocks: 4
; NumSGPRsForWavesPerEU: 52
; NumVGPRsForWavesPerEU: 18
; Occupancy: 10
; WaveLimiterHint : 0
; COMPUTE_PGM_RSRC2:SCRATCH_EN: 0
; COMPUTE_PGM_RSRC2:USER_SGPR: 6
; COMPUTE_PGM_RSRC2:TRAP_HANDLER: 0
; COMPUTE_PGM_RSRC2:TGID_X_EN: 1
; COMPUTE_PGM_RSRC2:TGID_Y_EN: 0
; COMPUTE_PGM_RSRC2:TGID_Z_EN: 0
; COMPUTE_PGM_RSRC2:TIDIG_COMP_CNT: 0
	.section	.text._ZN2at6native29vectorized_elementwise_kernelILi8ENS0_13BinaryFunctorImmbNS0_12_GLOBAL__N_116CompareEqFunctorImEEEESt5arrayIPcLm3EEEEviT0_T1_,"axG",@progbits,_ZN2at6native29vectorized_elementwise_kernelILi8ENS0_13BinaryFunctorImmbNS0_12_GLOBAL__N_116CompareEqFunctorImEEEESt5arrayIPcLm3EEEEviT0_T1_,comdat
	.globl	_ZN2at6native29vectorized_elementwise_kernelILi8ENS0_13BinaryFunctorImmbNS0_12_GLOBAL__N_116CompareEqFunctorImEEEESt5arrayIPcLm3EEEEviT0_T1_ ; -- Begin function _ZN2at6native29vectorized_elementwise_kernelILi8ENS0_13BinaryFunctorImmbNS0_12_GLOBAL__N_116CompareEqFunctorImEEEESt5arrayIPcLm3EEEEviT0_T1_
	.p2align	8
	.type	_ZN2at6native29vectorized_elementwise_kernelILi8ENS0_13BinaryFunctorImmbNS0_12_GLOBAL__N_116CompareEqFunctorImEEEESt5arrayIPcLm3EEEEviT0_T1_,@function
_ZN2at6native29vectorized_elementwise_kernelILi8ENS0_13BinaryFunctorImmbNS0_12_GLOBAL__N_116CompareEqFunctorImEEEESt5arrayIPcLm3EEEEviT0_T1_: ; @_ZN2at6native29vectorized_elementwise_kernelILi8ENS0_13BinaryFunctorImmbNS0_12_GLOBAL__N_116CompareEqFunctorImEEEESt5arrayIPcLm3EEEEviT0_T1_
; %bb.0:
	s_load_dwordx2 s[34:35], s[4:5], 0x0
	s_load_dwordx4 s[28:31], s[4:5], 0x8
	s_load_dwordx2 s[36:37], s[4:5], 0x18
	s_lshl_b32 s26, s6, 12
	s_mov_b64 s[0:1], -1
	s_waitcnt lgkmcnt(0)
	s_sub_i32 s33, s34, s26
	s_cmpk_gt_i32 s33, 0xfff
	s_cbranch_scc0 .LBB358_2
; %bb.1:
	s_ashr_i32 s27, s26, 31
	s_lshl_b64 s[0:1], s[26:27], 3
	s_add_u32 s6, s30, s0
	s_addc_u32 s7, s31, s1
	s_add_u32 s10, s36, s0
	v_lshlrev_b32_e32 v19, 6, v0
	s_addc_u32 s11, s37, s1
	global_load_dwordx4 v[1:4], v19, s[10:11]
	global_load_dwordx4 v[5:8], v19, s[6:7]
	global_load_dwordx4 v[9:12], v19, s[6:7] offset:16
	global_load_dwordx4 v[13:16], v19, s[10:11] offset:16
	s_movk_i32 s12, 0x4000
	s_cmp_eq_u32 s35, 0
	s_cselect_b64 s[38:39], -1, 0
	s_waitcnt vmcnt(2)
	v_cmp_ne_u64_e32 vcc, v[5:6], v[1:2]
	v_cmp_ne_u64_e64 s[0:1], v[7:8], v[3:4]
	global_load_dwordx4 v[1:4], v19, s[10:11] offset:32
	s_waitcnt vmcnt(1)
	v_cmp_ne_u64_e64 s[2:3], v[9:10], v[13:14]
	v_cmp_ne_u64_e64 s[4:5], v[11:12], v[15:16]
	global_load_dwordx4 v[5:8], v19, s[6:7] offset:32
	global_load_dwordx4 v[9:12], v19, s[6:7] offset:48
	v_mov_b32_e32 v13, s7
	v_add_co_u32_e64 v14, s[6:7], s6, v19
	v_addc_co_u32_e64 v13, s[6:7], 0, v13, s[6:7]
	v_add_co_u32_e64 v17, s[6:7], s12, v14
	v_addc_co_u32_e64 v18, s[6:7], 0, v13, s[6:7]
	global_load_dwordx4 v[13:16], v19, s[10:11] offset:48
	s_xor_b64 s[40:41], s[38:39], vcc
	s_xor_b64 vcc, s[38:39], s[0:1]
	s_waitcnt vmcnt(2)
	v_cmp_ne_u64_e64 s[6:7], v[5:6], v[1:2]
	v_mov_b32_e32 v1, s11
	v_add_co_u32_e64 v2, s[10:11], s10, v19
	v_addc_co_u32_e64 v1, s[10:11], 0, v1, s[10:11]
	v_add_co_u32_e64 v19, s[10:11], s12, v2
	v_addc_co_u32_e64 v20, s[10:11], 0, v1, s[10:11]
	v_cmp_ne_u64_e64 s[8:9], v[7:8], v[3:4]
	global_load_dwordx4 v[1:4], v[19:20], off
	s_waitcnt vmcnt(1)
	v_cmp_ne_u64_e64 s[10:11], v[9:10], v[13:14]
	v_cmp_ne_u64_e64 s[12:13], v[11:12], v[15:16]
	global_load_dwordx4 v[5:8], v[17:18], off
	global_load_dwordx4 v[9:12], v[17:18], off offset:16
	global_load_dwordx4 v[13:16], v[19:20], off offset:16
	s_xor_b64 s[0:1], s[38:39], s[6:7]
	s_waitcnt vmcnt(2)
	v_cmp_ne_u64_e64 s[14:15], v[5:6], v[1:2]
	v_cmp_ne_u64_e64 s[16:17], v[7:8], v[3:4]
	global_load_dwordx4 v[1:4], v[19:20], off offset:32
	s_waitcnt vmcnt(1)
	v_cmp_ne_u64_e64 s[18:19], v[9:10], v[13:14]
	v_cmp_ne_u64_e64 s[20:21], v[11:12], v[15:16]
	global_load_dwordx4 v[5:8], v[17:18], off offset:32
	global_load_dwordx4 v[9:12], v[17:18], off offset:48
	;; [unrolled: 1-line block ×3, first 2 shown]
	v_mov_b32_e32 v17, 0x100
	v_mov_b32_e32 v18, 0x10000
	;; [unrolled: 1-line block ×3, first 2 shown]
	s_waitcnt vmcnt(2)
	v_cmp_ne_u64_e64 s[22:23], v[5:6], v[1:2]
	v_cndmask_b32_e32 v2, 0, v17, vcc
	s_xor_b64 vcc, s[38:39], s[2:3]
	v_cmp_ne_u64_e64 s[24:25], v[7:8], v[3:4]
	v_cndmask_b32_e32 v4, 0, v18, vcc
	s_xor_b64 vcc, s[38:39], s[4:5]
	v_cndmask_b32_e32 v5, 0, v19, vcc
	s_xor_b64 vcc, s[38:39], s[8:9]
	;; [unrolled: 2-line block ×3, first 2 shown]
	v_cndmask_b32_e64 v1, 0, 1, s[40:41]
	v_cndmask_b32_e32 v8, 0, v18, vcc
	s_xor_b64 vcc, s[38:39], s[12:13]
	v_or3_b32 v3, 0, 0, 0
	v_cndmask_b32_e64 v6, 0, 1, s[0:1]
	v_or_b32_e32 v1, v2, v1
	v_cndmask_b32_e32 v2, 0, v19, vcc
	s_xor_b64 vcc, s[38:39], s[16:17]
	v_or3_b32 v6, v3, v6, v7
	v_or3_b32 v1, v1, v4, v5
	v_cndmask_b32_e32 v5, 0, v17, vcc
	s_xor_b64 vcc, s[38:39], s[18:19]
	v_or3_b32 v2, v6, v8, v2
	v_cndmask_b32_e32 v6, 0, v18, vcc
	s_xor_b64 vcc, s[38:39], s[20:21]
	s_xor_b64 s[0:1], s[38:39], s[14:15]
	v_cndmask_b32_e32 v7, 0, v19, vcc
	s_waitcnt vmcnt(0)
	v_cmp_ne_u64_e32 vcc, v[9:10], v[13:14]
	v_cndmask_b32_e64 v4, 0, 1, s[0:1]
	v_or_b32_e32 v4, v5, v4
	s_xor_b64 vcc, s[38:39], vcc
	v_or3_b32 v4, v4, v6, v7
	s_xor_b64 s[0:1], s[38:39], s[22:23]
	v_cndmask_b32_e32 v7, 0, v18, vcc
	v_cmp_ne_u64_e32 vcc, v[11:12], v[15:16]
	v_cndmask_b32_e64 v5, 0, 1, s[0:1]
	s_xor_b64 s[0:1], s[38:39], s[24:25]
	v_cndmask_b32_e64 v6, 0, v17, s[0:1]
	s_xor_b64 vcc, s[38:39], vcc
	v_or3_b32 v1, v1, 0, 0
	v_or3_b32 v3, v3, v5, v6
	;; [unrolled: 1-line block ×3, first 2 shown]
	v_cndmask_b32_e32 v4, 0, v19, vcc
	s_add_u32 s0, s28, s26
	v_or3_b32 v1, v1, 0, 0
	v_or3_b32 v4, v3, v7, v4
	;; [unrolled: 1-line block ×3, first 2 shown]
	s_addc_u32 s1, s29, s27
	v_lshlrev_b32_e32 v5, 3, v0
	global_store_dwordx2 v5, v[1:2], s[0:1]
	global_store_dwordx2 v5, v[3:4], s[0:1] offset:2048
	s_mov_b64 s[0:1], 0
.LBB358_2:
	s_andn2_b64 vcc, exec, s[0:1]
	s_cbranch_vccnz .LBB358_52
; %bb.3:
	v_cmp_gt_i32_e32 vcc, s33, v0
	s_mov_b64 s[2:3], 0
	v_or_b32_e32 v1, s26, v0
	s_mov_b64 s[4:5], 0
	v_mov_b32_e32 v2, v0
	s_and_saveexec_b64 s[6:7], vcc
	s_cbranch_execz .LBB358_5
; %bb.4:
	v_mov_b32_e32 v2, 0
	v_lshlrev_b64 v[2:3], 3, v[1:2]
	v_mov_b32_e32 v5, s37
	v_add_co_u32_e64 v4, s[0:1], s36, v2
	v_addc_co_u32_e64 v5, s[0:1], v5, v3, s[0:1]
	v_mov_b32_e32 v6, s31
	v_add_co_u32_e64 v2, s[0:1], s30, v2
	v_addc_co_u32_e64 v3, s[0:1], v6, v3, s[0:1]
	global_load_dwordx2 v[6:7], v[2:3], off
	global_load_dwordx2 v[8:9], v[4:5], off
	v_or_b32_e32 v2, 0x100, v0
	s_waitcnt vmcnt(0)
	v_cmp_ne_u64_e64 s[0:1], v[6:7], v[8:9]
	s_and_b64 s[4:5], s[0:1], exec
.LBB358_5:
	s_or_b64 exec, exec, s[6:7]
	v_cmp_gt_i32_e64 s[0:1], s33, v2
	s_and_saveexec_b64 s[6:7], s[0:1]
	s_cbranch_execz .LBB358_7
; %bb.6:
	v_add_u32_e32 v3, s26, v2
	v_mov_b32_e32 v4, 0
	v_lshlrev_b64 v[3:4], 3, v[3:4]
	v_mov_b32_e32 v6, s37
	v_add_co_u32_e64 v5, s[0:1], s36, v3
	v_addc_co_u32_e64 v6, s[0:1], v6, v4, s[0:1]
	v_mov_b32_e32 v7, s31
	v_add_co_u32_e64 v3, s[0:1], s30, v3
	v_addc_co_u32_e64 v4, s[0:1], v7, v4, s[0:1]
	global_load_dwordx2 v[7:8], v[3:4], off
	global_load_dwordx2 v[9:10], v[5:6], off
	v_add_u32_e32 v2, 0x100, v2
	s_waitcnt vmcnt(0)
	v_cmp_ne_u64_e64 s[0:1], v[7:8], v[9:10]
	s_and_b64 s[2:3], s[0:1], exec
.LBB358_7:
	s_or_b64 exec, exec, s[6:7]
	v_cmp_gt_i32_e64 s[0:1], s33, v2
	s_mov_b64 s[6:7], 0
	s_mov_b64 s[8:9], 0
	s_and_saveexec_b64 s[10:11], s[0:1]
	s_cbranch_execz .LBB358_9
; %bb.8:
	v_add_u32_e32 v3, s26, v2
	v_mov_b32_e32 v4, 0
	v_lshlrev_b64 v[3:4], 3, v[3:4]
	v_mov_b32_e32 v6, s37
	v_add_co_u32_e64 v5, s[0:1], s36, v3
	v_addc_co_u32_e64 v6, s[0:1], v6, v4, s[0:1]
	v_mov_b32_e32 v7, s31
	v_add_co_u32_e64 v3, s[0:1], s30, v3
	v_addc_co_u32_e64 v4, s[0:1], v7, v4, s[0:1]
	global_load_dwordx2 v[7:8], v[3:4], off
	global_load_dwordx2 v[9:10], v[5:6], off
	v_add_u32_e32 v2, 0x100, v2
	s_waitcnt vmcnt(0)
	v_cmp_ne_u64_e64 s[0:1], v[7:8], v[9:10]
	s_and_b64 s[8:9], s[0:1], exec
.LBB358_9:
	s_or_b64 exec, exec, s[10:11]
	v_cmp_gt_i32_e64 s[0:1], s33, v2
	s_and_saveexec_b64 s[10:11], s[0:1]
	s_cbranch_execz .LBB358_11
; %bb.10:
	v_add_u32_e32 v3, s26, v2
	v_mov_b32_e32 v4, 0
	v_lshlrev_b64 v[3:4], 3, v[3:4]
	v_mov_b32_e32 v6, s37
	v_add_co_u32_e64 v5, s[0:1], s36, v3
	v_addc_co_u32_e64 v6, s[0:1], v6, v4, s[0:1]
	v_mov_b32_e32 v7, s31
	v_add_co_u32_e64 v3, s[0:1], s30, v3
	v_addc_co_u32_e64 v4, s[0:1], v7, v4, s[0:1]
	global_load_dwordx2 v[7:8], v[3:4], off
	global_load_dwordx2 v[9:10], v[5:6], off
	v_add_u32_e32 v2, 0x100, v2
	s_waitcnt vmcnt(0)
	v_cmp_ne_u64_e64 s[0:1], v[7:8], v[9:10]
	s_and_b64 s[6:7], s[0:1], exec
.LBB358_11:
	s_or_b64 exec, exec, s[10:11]
	v_cmp_gt_i32_e64 s[0:1], s33, v2
	s_mov_b64 s[10:11], 0
	s_mov_b64 s[12:13], 0
	s_and_saveexec_b64 s[14:15], s[0:1]
	s_cbranch_execz .LBB358_13
; %bb.12:
	v_add_u32_e32 v3, s26, v2
	v_mov_b32_e32 v4, 0
	v_lshlrev_b64 v[3:4], 3, v[3:4]
	v_mov_b32_e32 v6, s37
	v_add_co_u32_e64 v5, s[0:1], s36, v3
	v_addc_co_u32_e64 v6, s[0:1], v6, v4, s[0:1]
	v_mov_b32_e32 v7, s31
	v_add_co_u32_e64 v3, s[0:1], s30, v3
	v_addc_co_u32_e64 v4, s[0:1], v7, v4, s[0:1]
	global_load_dwordx2 v[7:8], v[3:4], off
	global_load_dwordx2 v[9:10], v[5:6], off
	v_add_u32_e32 v2, 0x100, v2
	s_waitcnt vmcnt(0)
	v_cmp_ne_u64_e64 s[0:1], v[7:8], v[9:10]
	s_and_b64 s[12:13], s[0:1], exec
.LBB358_13:
	;; [unrolled: 44-line block ×7, first 2 shown]
	s_or_b64 exec, exec, s[46:47]
	v_cmp_gt_i32_e64 s[0:1], s33, v2
	s_and_saveexec_b64 s[46:47], s[0:1]
	s_cbranch_execz .LBB358_35
; %bb.34:
	v_add_u32_e32 v2, s26, v2
	v_mov_b32_e32 v3, 0
	v_lshlrev_b64 v[2:3], 3, v[2:3]
	v_mov_b32_e32 v5, s37
	v_add_co_u32_e64 v4, s[0:1], s36, v2
	v_addc_co_u32_e64 v5, s[0:1], v5, v3, s[0:1]
	v_mov_b32_e32 v6, s31
	v_add_co_u32_e64 v2, s[0:1], s30, v2
	v_addc_co_u32_e64 v3, s[0:1], v6, v3, s[0:1]
	global_load_dwordx2 v[6:7], v[2:3], off
	global_load_dwordx2 v[8:9], v[4:5], off
	s_waitcnt vmcnt(0)
	v_cmp_ne_u64_e64 s[0:1], v[6:7], v[8:9]
	s_and_b64 s[42:43], s[0:1], exec
.LBB358_35:
	s_or_b64 exec, exec, s[46:47]
	s_cmp_eq_u32 s35, 0
	s_cselect_b64 s[0:1], -1, 0
	s_and_saveexec_b64 s[30:31], vcc
	s_cbranch_execnz .LBB358_53
; %bb.36:
	s_or_b64 exec, exec, s[30:31]
	v_cmp_gt_i32_e32 vcc, s33, v0
	s_and_saveexec_b64 s[4:5], vcc
	s_cbranch_execnz .LBB358_54
.LBB358_37:
	s_or_b64 exec, exec, s[4:5]
	v_cmp_gt_i32_e32 vcc, s33, v0
	s_and_saveexec_b64 s[2:3], vcc
	s_cbranch_execnz .LBB358_55
.LBB358_38:
	s_or_b64 exec, exec, s[2:3]
	v_cmp_gt_i32_e32 vcc, s33, v0
	s_and_saveexec_b64 s[2:3], vcc
	s_cbranch_execnz .LBB358_56
.LBB358_39:
	s_or_b64 exec, exec, s[2:3]
	v_cmp_gt_i32_e32 vcc, s33, v0
	s_and_saveexec_b64 s[2:3], vcc
	s_cbranch_execnz .LBB358_57
.LBB358_40:
	s_or_b64 exec, exec, s[2:3]
	v_cmp_gt_i32_e32 vcc, s33, v0
	s_and_saveexec_b64 s[2:3], vcc
	s_cbranch_execnz .LBB358_58
.LBB358_41:
	s_or_b64 exec, exec, s[2:3]
	v_cmp_gt_i32_e32 vcc, s33, v0
	s_and_saveexec_b64 s[2:3], vcc
	s_cbranch_execnz .LBB358_59
.LBB358_42:
	s_or_b64 exec, exec, s[2:3]
	v_cmp_gt_i32_e32 vcc, s33, v0
	s_and_saveexec_b64 s[2:3], vcc
	s_cbranch_execnz .LBB358_60
.LBB358_43:
	s_or_b64 exec, exec, s[2:3]
	v_cmp_gt_i32_e32 vcc, s33, v0
	s_and_saveexec_b64 s[2:3], vcc
	s_cbranch_execnz .LBB358_61
.LBB358_44:
	s_or_b64 exec, exec, s[2:3]
	v_cmp_gt_i32_e32 vcc, s33, v0
	s_and_saveexec_b64 s[2:3], vcc
	s_cbranch_execnz .LBB358_62
.LBB358_45:
	s_or_b64 exec, exec, s[2:3]
	v_cmp_gt_i32_e32 vcc, s33, v0
	s_and_saveexec_b64 s[2:3], vcc
	s_cbranch_execnz .LBB358_63
.LBB358_46:
	s_or_b64 exec, exec, s[2:3]
	v_cmp_gt_i32_e32 vcc, s33, v0
	s_and_saveexec_b64 s[2:3], vcc
	s_cbranch_execnz .LBB358_64
.LBB358_47:
	s_or_b64 exec, exec, s[2:3]
	v_cmp_gt_i32_e32 vcc, s33, v0
	s_and_saveexec_b64 s[2:3], vcc
	s_cbranch_execnz .LBB358_65
.LBB358_48:
	s_or_b64 exec, exec, s[2:3]
	v_cmp_gt_i32_e32 vcc, s33, v0
	s_and_saveexec_b64 s[2:3], vcc
	s_cbranch_execnz .LBB358_66
.LBB358_49:
	s_or_b64 exec, exec, s[2:3]
	v_cmp_gt_i32_e32 vcc, s33, v0
	s_and_saveexec_b64 s[2:3], vcc
	s_cbranch_execnz .LBB358_67
.LBB358_50:
	s_or_b64 exec, exec, s[2:3]
	v_cmp_gt_i32_e32 vcc, s33, v0
	s_and_saveexec_b64 s[2:3], vcc
	s_cbranch_execz .LBB358_52
.LBB358_51:
	s_xor_b64 s[0:1], s[0:1], s[42:43]
	v_cndmask_b32_e64 v1, 0, 1, s[0:1]
	v_add_u32_e32 v0, s26, v0
	global_store_byte v0, v1, s[28:29]
.LBB358_52:
	s_endpgm
.LBB358_53:
	s_xor_b64 s[4:5], s[0:1], s[4:5]
	v_or_b32_e32 v0, 0x100, v0
	v_cndmask_b32_e64 v2, 0, 1, s[4:5]
	global_store_byte v1, v2, s[28:29]
	s_or_b64 exec, exec, s[30:31]
	v_cmp_gt_i32_e32 vcc, s33, v0
	s_and_saveexec_b64 s[4:5], vcc
	s_cbranch_execz .LBB358_37
.LBB358_54:
	s_xor_b64 s[2:3], s[0:1], s[2:3]
	v_cndmask_b32_e64 v1, 0, 1, s[2:3]
	v_add_u32_e32 v2, s26, v0
	v_add_u32_e32 v0, 0x100, v0
	global_store_byte v2, v1, s[28:29]
	s_or_b64 exec, exec, s[4:5]
	v_cmp_gt_i32_e32 vcc, s33, v0
	s_and_saveexec_b64 s[2:3], vcc
	s_cbranch_execz .LBB358_38
.LBB358_55:
	s_xor_b64 s[4:5], s[0:1], s[8:9]
	v_cndmask_b32_e64 v1, 0, 1, s[4:5]
	v_add_u32_e32 v2, s26, v0
	v_add_u32_e32 v0, 0x100, v0
	global_store_byte v2, v1, s[28:29]
	s_or_b64 exec, exec, s[2:3]
	v_cmp_gt_i32_e32 vcc, s33, v0
	s_and_saveexec_b64 s[2:3], vcc
	s_cbranch_execz .LBB358_39
.LBB358_56:
	s_xor_b64 s[4:5], s[0:1], s[6:7]
	v_cndmask_b32_e64 v1, 0, 1, s[4:5]
	v_add_u32_e32 v2, s26, v0
	v_add_u32_e32 v0, 0x100, v0
	global_store_byte v2, v1, s[28:29]
	s_or_b64 exec, exec, s[2:3]
	v_cmp_gt_i32_e32 vcc, s33, v0
	s_and_saveexec_b64 s[2:3], vcc
	s_cbranch_execz .LBB358_40
.LBB358_57:
	s_xor_b64 s[4:5], s[0:1], s[12:13]
	v_cndmask_b32_e64 v1, 0, 1, s[4:5]
	v_add_u32_e32 v2, s26, v0
	v_add_u32_e32 v0, 0x100, v0
	global_store_byte v2, v1, s[28:29]
	s_or_b64 exec, exec, s[2:3]
	v_cmp_gt_i32_e32 vcc, s33, v0
	s_and_saveexec_b64 s[2:3], vcc
	s_cbranch_execz .LBB358_41
.LBB358_58:
	s_xor_b64 s[4:5], s[0:1], s[10:11]
	v_cndmask_b32_e64 v1, 0, 1, s[4:5]
	v_add_u32_e32 v2, s26, v0
	v_add_u32_e32 v0, 0x100, v0
	global_store_byte v2, v1, s[28:29]
	s_or_b64 exec, exec, s[2:3]
	v_cmp_gt_i32_e32 vcc, s33, v0
	s_and_saveexec_b64 s[2:3], vcc
	s_cbranch_execz .LBB358_42
.LBB358_59:
	s_xor_b64 s[4:5], s[0:1], s[16:17]
	v_cndmask_b32_e64 v1, 0, 1, s[4:5]
	v_add_u32_e32 v2, s26, v0
	v_add_u32_e32 v0, 0x100, v0
	global_store_byte v2, v1, s[28:29]
	s_or_b64 exec, exec, s[2:3]
	v_cmp_gt_i32_e32 vcc, s33, v0
	s_and_saveexec_b64 s[2:3], vcc
	s_cbranch_execz .LBB358_43
.LBB358_60:
	s_xor_b64 s[4:5], s[0:1], s[14:15]
	v_cndmask_b32_e64 v1, 0, 1, s[4:5]
	v_add_u32_e32 v2, s26, v0
	v_add_u32_e32 v0, 0x100, v0
	global_store_byte v2, v1, s[28:29]
	s_or_b64 exec, exec, s[2:3]
	v_cmp_gt_i32_e32 vcc, s33, v0
	s_and_saveexec_b64 s[2:3], vcc
	s_cbranch_execz .LBB358_44
.LBB358_61:
	s_xor_b64 s[4:5], s[0:1], s[20:21]
	v_cndmask_b32_e64 v1, 0, 1, s[4:5]
	v_add_u32_e32 v2, s26, v0
	v_add_u32_e32 v0, 0x100, v0
	global_store_byte v2, v1, s[28:29]
	s_or_b64 exec, exec, s[2:3]
	v_cmp_gt_i32_e32 vcc, s33, v0
	s_and_saveexec_b64 s[2:3], vcc
	s_cbranch_execz .LBB358_45
.LBB358_62:
	s_xor_b64 s[4:5], s[0:1], s[18:19]
	v_cndmask_b32_e64 v1, 0, 1, s[4:5]
	v_add_u32_e32 v2, s26, v0
	v_add_u32_e32 v0, 0x100, v0
	global_store_byte v2, v1, s[28:29]
	s_or_b64 exec, exec, s[2:3]
	v_cmp_gt_i32_e32 vcc, s33, v0
	s_and_saveexec_b64 s[2:3], vcc
	s_cbranch_execz .LBB358_46
.LBB358_63:
	s_xor_b64 s[4:5], s[0:1], s[24:25]
	v_cndmask_b32_e64 v1, 0, 1, s[4:5]
	v_add_u32_e32 v2, s26, v0
	v_add_u32_e32 v0, 0x100, v0
	global_store_byte v2, v1, s[28:29]
	s_or_b64 exec, exec, s[2:3]
	v_cmp_gt_i32_e32 vcc, s33, v0
	s_and_saveexec_b64 s[2:3], vcc
	s_cbranch_execz .LBB358_47
.LBB358_64:
	s_xor_b64 s[4:5], s[0:1], s[22:23]
	v_cndmask_b32_e64 v1, 0, 1, s[4:5]
	v_add_u32_e32 v2, s26, v0
	v_add_u32_e32 v0, 0x100, v0
	global_store_byte v2, v1, s[28:29]
	s_or_b64 exec, exec, s[2:3]
	v_cmp_gt_i32_e32 vcc, s33, v0
	s_and_saveexec_b64 s[2:3], vcc
	s_cbranch_execz .LBB358_48
.LBB358_65:
	s_xor_b64 s[4:5], s[0:1], s[40:41]
	v_cndmask_b32_e64 v1, 0, 1, s[4:5]
	v_add_u32_e32 v2, s26, v0
	v_add_u32_e32 v0, 0x100, v0
	global_store_byte v2, v1, s[28:29]
	s_or_b64 exec, exec, s[2:3]
	v_cmp_gt_i32_e32 vcc, s33, v0
	s_and_saveexec_b64 s[2:3], vcc
	s_cbranch_execz .LBB358_49
.LBB358_66:
	s_xor_b64 s[4:5], s[0:1], s[38:39]
	v_cndmask_b32_e64 v1, 0, 1, s[4:5]
	v_add_u32_e32 v2, s26, v0
	v_add_u32_e32 v0, 0x100, v0
	global_store_byte v2, v1, s[28:29]
	s_or_b64 exec, exec, s[2:3]
	v_cmp_gt_i32_e32 vcc, s33, v0
	s_and_saveexec_b64 s[2:3], vcc
	s_cbranch_execz .LBB358_50
.LBB358_67:
	s_xor_b64 s[4:5], s[0:1], s[44:45]
	v_cndmask_b32_e64 v1, 0, 1, s[4:5]
	v_add_u32_e32 v2, s26, v0
	v_add_u32_e32 v0, 0x100, v0
	global_store_byte v2, v1, s[28:29]
	s_or_b64 exec, exec, s[2:3]
	v_cmp_gt_i32_e32 vcc, s33, v0
	s_and_saveexec_b64 s[2:3], vcc
	s_cbranch_execnz .LBB358_51
	s_branch .LBB358_52
	.section	.rodata,"a",@progbits
	.p2align	6, 0x0
	.amdhsa_kernel _ZN2at6native29vectorized_elementwise_kernelILi8ENS0_13BinaryFunctorImmbNS0_12_GLOBAL__N_116CompareEqFunctorImEEEESt5arrayIPcLm3EEEEviT0_T1_
		.amdhsa_group_segment_fixed_size 0
		.amdhsa_private_segment_fixed_size 0
		.amdhsa_kernarg_size 32
		.amdhsa_user_sgpr_count 6
		.amdhsa_user_sgpr_private_segment_buffer 1
		.amdhsa_user_sgpr_dispatch_ptr 0
		.amdhsa_user_sgpr_queue_ptr 0
		.amdhsa_user_sgpr_kernarg_segment_ptr 1
		.amdhsa_user_sgpr_dispatch_id 0
		.amdhsa_user_sgpr_flat_scratch_init 0
		.amdhsa_user_sgpr_private_segment_size 0
		.amdhsa_uses_dynamic_stack 0
		.amdhsa_system_sgpr_private_segment_wavefront_offset 0
		.amdhsa_system_sgpr_workgroup_id_x 1
		.amdhsa_system_sgpr_workgroup_id_y 0
		.amdhsa_system_sgpr_workgroup_id_z 0
		.amdhsa_system_sgpr_workgroup_info 0
		.amdhsa_system_vgpr_workitem_id 0
		.amdhsa_next_free_vgpr 21
		.amdhsa_next_free_sgpr 48
		.amdhsa_reserve_vcc 1
		.amdhsa_reserve_flat_scratch 0
		.amdhsa_float_round_mode_32 0
		.amdhsa_float_round_mode_16_64 0
		.amdhsa_float_denorm_mode_32 3
		.amdhsa_float_denorm_mode_16_64 3
		.amdhsa_dx10_clamp 1
		.amdhsa_ieee_mode 1
		.amdhsa_fp16_overflow 0
		.amdhsa_exception_fp_ieee_invalid_op 0
		.amdhsa_exception_fp_denorm_src 0
		.amdhsa_exception_fp_ieee_div_zero 0
		.amdhsa_exception_fp_ieee_overflow 0
		.amdhsa_exception_fp_ieee_underflow 0
		.amdhsa_exception_fp_ieee_inexact 0
		.amdhsa_exception_int_div_zero 0
	.end_amdhsa_kernel
	.section	.text._ZN2at6native29vectorized_elementwise_kernelILi8ENS0_13BinaryFunctorImmbNS0_12_GLOBAL__N_116CompareEqFunctorImEEEESt5arrayIPcLm3EEEEviT0_T1_,"axG",@progbits,_ZN2at6native29vectorized_elementwise_kernelILi8ENS0_13BinaryFunctorImmbNS0_12_GLOBAL__N_116CompareEqFunctorImEEEESt5arrayIPcLm3EEEEviT0_T1_,comdat
.Lfunc_end358:
	.size	_ZN2at6native29vectorized_elementwise_kernelILi8ENS0_13BinaryFunctorImmbNS0_12_GLOBAL__N_116CompareEqFunctorImEEEESt5arrayIPcLm3EEEEviT0_T1_, .Lfunc_end358-_ZN2at6native29vectorized_elementwise_kernelILi8ENS0_13BinaryFunctorImmbNS0_12_GLOBAL__N_116CompareEqFunctorImEEEESt5arrayIPcLm3EEEEviT0_T1_
                                        ; -- End function
	.set _ZN2at6native29vectorized_elementwise_kernelILi8ENS0_13BinaryFunctorImmbNS0_12_GLOBAL__N_116CompareEqFunctorImEEEESt5arrayIPcLm3EEEEviT0_T1_.num_vgpr, 21
	.set _ZN2at6native29vectorized_elementwise_kernelILi8ENS0_13BinaryFunctorImmbNS0_12_GLOBAL__N_116CompareEqFunctorImEEEESt5arrayIPcLm3EEEEviT0_T1_.num_agpr, 0
	.set _ZN2at6native29vectorized_elementwise_kernelILi8ENS0_13BinaryFunctorImmbNS0_12_GLOBAL__N_116CompareEqFunctorImEEEESt5arrayIPcLm3EEEEviT0_T1_.numbered_sgpr, 48
	.set _ZN2at6native29vectorized_elementwise_kernelILi8ENS0_13BinaryFunctorImmbNS0_12_GLOBAL__N_116CompareEqFunctorImEEEESt5arrayIPcLm3EEEEviT0_T1_.num_named_barrier, 0
	.set _ZN2at6native29vectorized_elementwise_kernelILi8ENS0_13BinaryFunctorImmbNS0_12_GLOBAL__N_116CompareEqFunctorImEEEESt5arrayIPcLm3EEEEviT0_T1_.private_seg_size, 0
	.set _ZN2at6native29vectorized_elementwise_kernelILi8ENS0_13BinaryFunctorImmbNS0_12_GLOBAL__N_116CompareEqFunctorImEEEESt5arrayIPcLm3EEEEviT0_T1_.uses_vcc, 1
	.set _ZN2at6native29vectorized_elementwise_kernelILi8ENS0_13BinaryFunctorImmbNS0_12_GLOBAL__N_116CompareEqFunctorImEEEESt5arrayIPcLm3EEEEviT0_T1_.uses_flat_scratch, 0
	.set _ZN2at6native29vectorized_elementwise_kernelILi8ENS0_13BinaryFunctorImmbNS0_12_GLOBAL__N_116CompareEqFunctorImEEEESt5arrayIPcLm3EEEEviT0_T1_.has_dyn_sized_stack, 0
	.set _ZN2at6native29vectorized_elementwise_kernelILi8ENS0_13BinaryFunctorImmbNS0_12_GLOBAL__N_116CompareEqFunctorImEEEESt5arrayIPcLm3EEEEviT0_T1_.has_recursion, 0
	.set _ZN2at6native29vectorized_elementwise_kernelILi8ENS0_13BinaryFunctorImmbNS0_12_GLOBAL__N_116CompareEqFunctorImEEEESt5arrayIPcLm3EEEEviT0_T1_.has_indirect_call, 0
	.section	.AMDGPU.csdata,"",@progbits
; Kernel info:
; codeLenInByte = 3660
; TotalNumSgprs: 52
; NumVgprs: 21
; ScratchSize: 0
; MemoryBound: 1
; FloatMode: 240
; IeeeMode: 1
; LDSByteSize: 0 bytes/workgroup (compile time only)
; SGPRBlocks: 6
; VGPRBlocks: 5
; NumSGPRsForWavesPerEU: 52
; NumVGPRsForWavesPerEU: 21
; Occupancy: 10
; WaveLimiterHint : 1
; COMPUTE_PGM_RSRC2:SCRATCH_EN: 0
; COMPUTE_PGM_RSRC2:USER_SGPR: 6
; COMPUTE_PGM_RSRC2:TRAP_HANDLER: 0
; COMPUTE_PGM_RSRC2:TGID_X_EN: 1
; COMPUTE_PGM_RSRC2:TGID_Y_EN: 0
; COMPUTE_PGM_RSRC2:TGID_Z_EN: 0
; COMPUTE_PGM_RSRC2:TIDIG_COMP_CNT: 0
	.section	.text._ZN2at6native29vectorized_elementwise_kernelILi4ENS0_13BinaryFunctorImmbNS0_12_GLOBAL__N_116CompareEqFunctorImEEEESt5arrayIPcLm3EEEEviT0_T1_,"axG",@progbits,_ZN2at6native29vectorized_elementwise_kernelILi4ENS0_13BinaryFunctorImmbNS0_12_GLOBAL__N_116CompareEqFunctorImEEEESt5arrayIPcLm3EEEEviT0_T1_,comdat
	.globl	_ZN2at6native29vectorized_elementwise_kernelILi4ENS0_13BinaryFunctorImmbNS0_12_GLOBAL__N_116CompareEqFunctorImEEEESt5arrayIPcLm3EEEEviT0_T1_ ; -- Begin function _ZN2at6native29vectorized_elementwise_kernelILi4ENS0_13BinaryFunctorImmbNS0_12_GLOBAL__N_116CompareEqFunctorImEEEESt5arrayIPcLm3EEEEviT0_T1_
	.p2align	8
	.type	_ZN2at6native29vectorized_elementwise_kernelILi4ENS0_13BinaryFunctorImmbNS0_12_GLOBAL__N_116CompareEqFunctorImEEEESt5arrayIPcLm3EEEEviT0_T1_,@function
_ZN2at6native29vectorized_elementwise_kernelILi4ENS0_13BinaryFunctorImmbNS0_12_GLOBAL__N_116CompareEqFunctorImEEEESt5arrayIPcLm3EEEEviT0_T1_: ; @_ZN2at6native29vectorized_elementwise_kernelILi4ENS0_13BinaryFunctorImmbNS0_12_GLOBAL__N_116CompareEqFunctorImEEEESt5arrayIPcLm3EEEEviT0_T1_
; %bb.0:
	s_load_dwordx2 s[34:35], s[4:5], 0x0
	s_load_dwordx4 s[28:31], s[4:5], 0x8
	s_load_dwordx2 s[36:37], s[4:5], 0x18
	s_lshl_b32 s26, s6, 12
	s_mov_b64 s[0:1], -1
	s_waitcnt lgkmcnt(0)
	s_sub_i32 s33, s34, s26
	s_cmpk_gt_i32 s33, 0xfff
	s_cbranch_scc0 .LBB359_2
; %bb.1:
	s_ashr_i32 s27, s26, 31
	s_lshl_b64 s[0:1], s[26:27], 3
	s_add_u32 s2, s30, s0
	s_addc_u32 s3, s31, s1
	s_add_u32 s4, s36, s0
	v_lshlrev_b32_e32 v19, 5, v0
	s_addc_u32 s5, s37, s1
	global_load_dwordx4 v[1:4], v19, s[4:5]
	global_load_dwordx4 v[5:8], v19, s[2:3]
	global_load_dwordx4 v[9:12], v19, s[2:3] offset:16
	global_load_dwordx4 v[13:16], v19, s[4:5] offset:16
	s_movk_i32 s6, 0x2000
	v_mov_b32_e32 v17, s3
	v_add_co_u32_e32 v21, vcc, s2, v19
	v_addc_co_u32_e32 v22, vcc, 0, v17, vcc
	v_add_co_u32_e64 v17, s[2:3], s6, v21
	v_addc_co_u32_e64 v18, s[2:3], 0, v22, s[2:3]
	v_add_co_u32_e64 v23, s[2:3], s4, v19
	s_movk_i32 s12, 0x4000
	s_movk_i32 s20, 0x6000
	s_cmp_eq_u32 s35, 0
	s_cselect_b64 s[38:39], -1, 0
	s_waitcnt vmcnt(2)
	v_cmp_ne_u64_e32 vcc, v[5:6], v[1:2]
	v_mov_b32_e32 v1, s5
	v_addc_co_u32_e64 v24, s[2:3], 0, v1, s[2:3]
	v_add_co_u32_e64 v19, s[2:3], s6, v23
	v_addc_co_u32_e64 v20, s[2:3], 0, v24, s[2:3]
	v_cmp_ne_u64_e64 s[0:1], v[7:8], v[3:4]
	s_waitcnt vmcnt(0)
	v_cmp_ne_u64_e64 s[2:3], v[9:10], v[13:14]
	v_cmp_ne_u64_e64 s[4:5], v[11:12], v[15:16]
	global_load_dwordx4 v[1:4], v[19:20], off
	global_load_dwordx4 v[5:8], v[17:18], off
	global_load_dwordx4 v[9:12], v[17:18], off offset:16
	global_load_dwordx4 v[13:16], v[19:20], off offset:16
	v_add_co_u32_e64 v17, s[10:11], s12, v21
	v_addc_co_u32_e64 v18, s[10:11], 0, v22, s[10:11]
	v_add_co_u32_e64 v19, s[10:11], s12, v23
	v_addc_co_u32_e64 v20, s[10:11], 0, v24, s[10:11]
	s_xor_b64 s[40:41], s[38:39], vcc
	s_xor_b64 vcc, s[38:39], s[0:1]
	s_waitcnt vmcnt(2)
	v_cmp_ne_u64_e64 s[6:7], v[5:6], v[1:2]
	v_cmp_ne_u64_e64 s[8:9], v[7:8], v[3:4]
	s_waitcnt vmcnt(0)
	v_cmp_ne_u64_e64 s[10:11], v[9:10], v[13:14]
	v_cmp_ne_u64_e64 s[12:13], v[11:12], v[15:16]
	global_load_dwordx4 v[1:4], v[19:20], off
	global_load_dwordx4 v[5:8], v[17:18], off
	global_load_dwordx4 v[9:12], v[17:18], off offset:16
	global_load_dwordx4 v[13:16], v[19:20], off offset:16
	v_add_co_u32_e64 v17, s[18:19], s20, v21
	v_addc_co_u32_e64 v18, s[18:19], 0, v22, s[18:19]
	v_add_co_u32_e64 v19, s[18:19], s20, v23
	v_addc_co_u32_e64 v20, s[18:19], 0, v24, s[18:19]
	s_xor_b64 s[0:1], s[38:39], s[6:7]
	s_waitcnt vmcnt(2)
	v_cmp_ne_u64_e64 s[14:15], v[5:6], v[1:2]
	v_cmp_ne_u64_e64 s[16:17], v[7:8], v[3:4]
	global_load_dwordx4 v[1:4], v[19:20], off
	s_waitcnt vmcnt(1)
	v_cmp_ne_u64_e64 s[18:19], v[9:10], v[13:14]
	v_cmp_ne_u64_e64 s[20:21], v[11:12], v[15:16]
	global_load_dwordx4 v[5:8], v[17:18], off
	global_load_dwordx4 v[9:12], v[17:18], off offset:16
	global_load_dwordx4 v[13:16], v[19:20], off offset:16
	v_mov_b32_e32 v17, 0x100
	v_mov_b32_e32 v18, 0x10000
	;; [unrolled: 1-line block ×3, first 2 shown]
	s_waitcnt vmcnt(2)
	v_cmp_ne_u64_e64 s[22:23], v[5:6], v[1:2]
	v_cndmask_b32_e32 v2, 0, v17, vcc
	s_xor_b64 vcc, s[38:39], s[2:3]
	v_cmp_ne_u64_e64 s[24:25], v[7:8], v[3:4]
	v_cndmask_b32_e64 v1, 0, 1, s[40:41]
	v_cndmask_b32_e32 v3, 0, v18, vcc
	s_xor_b64 vcc, s[38:39], s[4:5]
	v_cndmask_b32_e32 v4, 0, v19, vcc
	v_or_b32_e32 v1, v2, v1
	s_xor_b64 vcc, s[38:39], s[8:9]
	v_or3_b32 v1, v1, v3, v4
	v_cndmask_b32_e64 v2, 0, 1, s[0:1]
	v_cndmask_b32_e32 v3, 0, v17, vcc
	s_xor_b64 vcc, s[38:39], s[10:11]
	v_or_b32_e32 v2, v3, v2
	v_cndmask_b32_e32 v3, 0, v18, vcc
	s_xor_b64 vcc, s[38:39], s[12:13]
	v_cndmask_b32_e32 v4, 0, v19, vcc
	s_xor_b64 s[0:1], s[38:39], s[14:15]
	s_xor_b64 vcc, s[38:39], s[16:17]
	v_or3_b32 v2, v2, v3, v4
	v_cndmask_b32_e64 v3, 0, 1, s[0:1]
	v_cndmask_b32_e32 v4, 0, v17, vcc
	s_xor_b64 vcc, s[38:39], s[18:19]
	v_or_b32_e32 v3, v4, v3
	v_cndmask_b32_e32 v4, 0, v18, vcc
	s_xor_b64 vcc, s[38:39], s[20:21]
	v_cndmask_b32_e32 v5, 0, v19, vcc
	s_xor_b64 vcc, s[38:39], s[24:25]
	v_or3_b32 v3, v3, v4, v5
	s_xor_b64 s[0:1], s[38:39], s[22:23]
	v_cndmask_b32_e32 v5, 0, v17, vcc
	s_waitcnt vmcnt(0)
	v_cmp_ne_u64_e32 vcc, v[9:10], v[13:14]
	v_cndmask_b32_e64 v4, 0, 1, s[0:1]
	v_cmp_ne_u64_e64 s[0:1], v[11:12], v[15:16]
	s_xor_b64 vcc, s[38:39], vcc
	v_or_b32_e32 v4, v5, v4
	v_cndmask_b32_e32 v5, 0, v18, vcc
	s_xor_b64 vcc, s[38:39], s[0:1]
	v_cndmask_b32_e32 v6, 0, v19, vcc
	s_add_u32 s0, s28, s26
	v_or3_b32 v4, v4, v5, v6
	s_addc_u32 s1, s29, s27
	v_lshlrev_b32_e32 v5, 2, v0
	global_store_dword v5, v1, s[0:1]
	global_store_dword v5, v2, s[0:1] offset:1024
	global_store_dword v5, v3, s[0:1] offset:2048
	;; [unrolled: 1-line block ×3, first 2 shown]
	s_mov_b64 s[0:1], 0
.LBB359_2:
	s_andn2_b64 vcc, exec, s[0:1]
	s_cbranch_vccnz .LBB359_52
; %bb.3:
	v_cmp_gt_i32_e32 vcc, s33, v0
	s_mov_b64 s[2:3], 0
	v_or_b32_e32 v1, s26, v0
	s_mov_b64 s[4:5], 0
	v_mov_b32_e32 v2, v0
	s_and_saveexec_b64 s[6:7], vcc
	s_cbranch_execz .LBB359_5
; %bb.4:
	v_mov_b32_e32 v2, 0
	v_lshlrev_b64 v[2:3], 3, v[1:2]
	v_mov_b32_e32 v5, s37
	v_add_co_u32_e64 v4, s[0:1], s36, v2
	v_addc_co_u32_e64 v5, s[0:1], v5, v3, s[0:1]
	v_mov_b32_e32 v6, s31
	v_add_co_u32_e64 v2, s[0:1], s30, v2
	v_addc_co_u32_e64 v3, s[0:1], v6, v3, s[0:1]
	global_load_dwordx2 v[6:7], v[2:3], off
	global_load_dwordx2 v[8:9], v[4:5], off
	v_or_b32_e32 v2, 0x100, v0
	s_waitcnt vmcnt(0)
	v_cmp_ne_u64_e64 s[0:1], v[6:7], v[8:9]
	s_and_b64 s[4:5], s[0:1], exec
.LBB359_5:
	s_or_b64 exec, exec, s[6:7]
	v_cmp_gt_i32_e64 s[0:1], s33, v2
	s_and_saveexec_b64 s[6:7], s[0:1]
	s_cbranch_execz .LBB359_7
; %bb.6:
	v_add_u32_e32 v3, s26, v2
	v_mov_b32_e32 v4, 0
	v_lshlrev_b64 v[3:4], 3, v[3:4]
	v_mov_b32_e32 v6, s37
	v_add_co_u32_e64 v5, s[0:1], s36, v3
	v_addc_co_u32_e64 v6, s[0:1], v6, v4, s[0:1]
	v_mov_b32_e32 v7, s31
	v_add_co_u32_e64 v3, s[0:1], s30, v3
	v_addc_co_u32_e64 v4, s[0:1], v7, v4, s[0:1]
	global_load_dwordx2 v[7:8], v[3:4], off
	global_load_dwordx2 v[9:10], v[5:6], off
	v_add_u32_e32 v2, 0x100, v2
	s_waitcnt vmcnt(0)
	v_cmp_ne_u64_e64 s[0:1], v[7:8], v[9:10]
	s_and_b64 s[2:3], s[0:1], exec
.LBB359_7:
	s_or_b64 exec, exec, s[6:7]
	v_cmp_gt_i32_e64 s[0:1], s33, v2
	s_mov_b64 s[6:7], 0
	s_mov_b64 s[8:9], 0
	s_and_saveexec_b64 s[10:11], s[0:1]
	s_cbranch_execz .LBB359_9
; %bb.8:
	v_add_u32_e32 v3, s26, v2
	v_mov_b32_e32 v4, 0
	v_lshlrev_b64 v[3:4], 3, v[3:4]
	v_mov_b32_e32 v6, s37
	v_add_co_u32_e64 v5, s[0:1], s36, v3
	v_addc_co_u32_e64 v6, s[0:1], v6, v4, s[0:1]
	v_mov_b32_e32 v7, s31
	v_add_co_u32_e64 v3, s[0:1], s30, v3
	v_addc_co_u32_e64 v4, s[0:1], v7, v4, s[0:1]
	global_load_dwordx2 v[7:8], v[3:4], off
	global_load_dwordx2 v[9:10], v[5:6], off
	v_add_u32_e32 v2, 0x100, v2
	s_waitcnt vmcnt(0)
	v_cmp_ne_u64_e64 s[0:1], v[7:8], v[9:10]
	s_and_b64 s[8:9], s[0:1], exec
.LBB359_9:
	s_or_b64 exec, exec, s[10:11]
	v_cmp_gt_i32_e64 s[0:1], s33, v2
	s_and_saveexec_b64 s[10:11], s[0:1]
	s_cbranch_execz .LBB359_11
; %bb.10:
	v_add_u32_e32 v3, s26, v2
	v_mov_b32_e32 v4, 0
	v_lshlrev_b64 v[3:4], 3, v[3:4]
	v_mov_b32_e32 v6, s37
	v_add_co_u32_e64 v5, s[0:1], s36, v3
	v_addc_co_u32_e64 v6, s[0:1], v6, v4, s[0:1]
	v_mov_b32_e32 v7, s31
	v_add_co_u32_e64 v3, s[0:1], s30, v3
	v_addc_co_u32_e64 v4, s[0:1], v7, v4, s[0:1]
	global_load_dwordx2 v[7:8], v[3:4], off
	global_load_dwordx2 v[9:10], v[5:6], off
	v_add_u32_e32 v2, 0x100, v2
	s_waitcnt vmcnt(0)
	v_cmp_ne_u64_e64 s[0:1], v[7:8], v[9:10]
	s_and_b64 s[6:7], s[0:1], exec
.LBB359_11:
	s_or_b64 exec, exec, s[10:11]
	v_cmp_gt_i32_e64 s[0:1], s33, v2
	s_mov_b64 s[10:11], 0
	s_mov_b64 s[12:13], 0
	s_and_saveexec_b64 s[14:15], s[0:1]
	s_cbranch_execz .LBB359_13
; %bb.12:
	v_add_u32_e32 v3, s26, v2
	v_mov_b32_e32 v4, 0
	v_lshlrev_b64 v[3:4], 3, v[3:4]
	v_mov_b32_e32 v6, s37
	v_add_co_u32_e64 v5, s[0:1], s36, v3
	v_addc_co_u32_e64 v6, s[0:1], v6, v4, s[0:1]
	v_mov_b32_e32 v7, s31
	v_add_co_u32_e64 v3, s[0:1], s30, v3
	v_addc_co_u32_e64 v4, s[0:1], v7, v4, s[0:1]
	global_load_dwordx2 v[7:8], v[3:4], off
	global_load_dwordx2 v[9:10], v[5:6], off
	v_add_u32_e32 v2, 0x100, v2
	s_waitcnt vmcnt(0)
	v_cmp_ne_u64_e64 s[0:1], v[7:8], v[9:10]
	s_and_b64 s[12:13], s[0:1], exec
.LBB359_13:
	;; [unrolled: 44-line block ×7, first 2 shown]
	s_or_b64 exec, exec, s[46:47]
	v_cmp_gt_i32_e64 s[0:1], s33, v2
	s_and_saveexec_b64 s[46:47], s[0:1]
	s_cbranch_execz .LBB359_35
; %bb.34:
	v_add_u32_e32 v2, s26, v2
	v_mov_b32_e32 v3, 0
	v_lshlrev_b64 v[2:3], 3, v[2:3]
	v_mov_b32_e32 v5, s37
	v_add_co_u32_e64 v4, s[0:1], s36, v2
	v_addc_co_u32_e64 v5, s[0:1], v5, v3, s[0:1]
	v_mov_b32_e32 v6, s31
	v_add_co_u32_e64 v2, s[0:1], s30, v2
	v_addc_co_u32_e64 v3, s[0:1], v6, v3, s[0:1]
	global_load_dwordx2 v[6:7], v[2:3], off
	global_load_dwordx2 v[8:9], v[4:5], off
	s_waitcnt vmcnt(0)
	v_cmp_ne_u64_e64 s[0:1], v[6:7], v[8:9]
	s_and_b64 s[42:43], s[0:1], exec
.LBB359_35:
	s_or_b64 exec, exec, s[46:47]
	s_cmp_eq_u32 s35, 0
	s_cselect_b64 s[0:1], -1, 0
	s_and_saveexec_b64 s[30:31], vcc
	s_cbranch_execnz .LBB359_53
; %bb.36:
	s_or_b64 exec, exec, s[30:31]
	v_cmp_gt_i32_e32 vcc, s33, v0
	s_and_saveexec_b64 s[4:5], vcc
	s_cbranch_execnz .LBB359_54
.LBB359_37:
	s_or_b64 exec, exec, s[4:5]
	v_cmp_gt_i32_e32 vcc, s33, v0
	s_and_saveexec_b64 s[2:3], vcc
	s_cbranch_execnz .LBB359_55
.LBB359_38:
	s_or_b64 exec, exec, s[2:3]
	v_cmp_gt_i32_e32 vcc, s33, v0
	s_and_saveexec_b64 s[2:3], vcc
	s_cbranch_execnz .LBB359_56
.LBB359_39:
	s_or_b64 exec, exec, s[2:3]
	v_cmp_gt_i32_e32 vcc, s33, v0
	s_and_saveexec_b64 s[2:3], vcc
	s_cbranch_execnz .LBB359_57
.LBB359_40:
	s_or_b64 exec, exec, s[2:3]
	v_cmp_gt_i32_e32 vcc, s33, v0
	s_and_saveexec_b64 s[2:3], vcc
	s_cbranch_execnz .LBB359_58
.LBB359_41:
	s_or_b64 exec, exec, s[2:3]
	v_cmp_gt_i32_e32 vcc, s33, v0
	s_and_saveexec_b64 s[2:3], vcc
	s_cbranch_execnz .LBB359_59
.LBB359_42:
	s_or_b64 exec, exec, s[2:3]
	v_cmp_gt_i32_e32 vcc, s33, v0
	s_and_saveexec_b64 s[2:3], vcc
	s_cbranch_execnz .LBB359_60
.LBB359_43:
	s_or_b64 exec, exec, s[2:3]
	v_cmp_gt_i32_e32 vcc, s33, v0
	s_and_saveexec_b64 s[2:3], vcc
	s_cbranch_execnz .LBB359_61
.LBB359_44:
	s_or_b64 exec, exec, s[2:3]
	v_cmp_gt_i32_e32 vcc, s33, v0
	s_and_saveexec_b64 s[2:3], vcc
	s_cbranch_execnz .LBB359_62
.LBB359_45:
	s_or_b64 exec, exec, s[2:3]
	v_cmp_gt_i32_e32 vcc, s33, v0
	s_and_saveexec_b64 s[2:3], vcc
	s_cbranch_execnz .LBB359_63
.LBB359_46:
	s_or_b64 exec, exec, s[2:3]
	v_cmp_gt_i32_e32 vcc, s33, v0
	s_and_saveexec_b64 s[2:3], vcc
	s_cbranch_execnz .LBB359_64
.LBB359_47:
	s_or_b64 exec, exec, s[2:3]
	v_cmp_gt_i32_e32 vcc, s33, v0
	s_and_saveexec_b64 s[2:3], vcc
	s_cbranch_execnz .LBB359_65
.LBB359_48:
	s_or_b64 exec, exec, s[2:3]
	v_cmp_gt_i32_e32 vcc, s33, v0
	s_and_saveexec_b64 s[2:3], vcc
	s_cbranch_execnz .LBB359_66
.LBB359_49:
	s_or_b64 exec, exec, s[2:3]
	v_cmp_gt_i32_e32 vcc, s33, v0
	s_and_saveexec_b64 s[2:3], vcc
	s_cbranch_execnz .LBB359_67
.LBB359_50:
	s_or_b64 exec, exec, s[2:3]
	v_cmp_gt_i32_e32 vcc, s33, v0
	s_and_saveexec_b64 s[2:3], vcc
	s_cbranch_execz .LBB359_52
.LBB359_51:
	s_xor_b64 s[0:1], s[0:1], s[42:43]
	v_cndmask_b32_e64 v1, 0, 1, s[0:1]
	v_add_u32_e32 v0, s26, v0
	global_store_byte v0, v1, s[28:29]
.LBB359_52:
	s_endpgm
.LBB359_53:
	s_xor_b64 s[4:5], s[0:1], s[4:5]
	v_or_b32_e32 v0, 0x100, v0
	v_cndmask_b32_e64 v2, 0, 1, s[4:5]
	global_store_byte v1, v2, s[28:29]
	s_or_b64 exec, exec, s[30:31]
	v_cmp_gt_i32_e32 vcc, s33, v0
	s_and_saveexec_b64 s[4:5], vcc
	s_cbranch_execz .LBB359_37
.LBB359_54:
	s_xor_b64 s[2:3], s[0:1], s[2:3]
	v_cndmask_b32_e64 v1, 0, 1, s[2:3]
	v_add_u32_e32 v2, s26, v0
	v_add_u32_e32 v0, 0x100, v0
	global_store_byte v2, v1, s[28:29]
	s_or_b64 exec, exec, s[4:5]
	v_cmp_gt_i32_e32 vcc, s33, v0
	s_and_saveexec_b64 s[2:3], vcc
	s_cbranch_execz .LBB359_38
.LBB359_55:
	s_xor_b64 s[4:5], s[0:1], s[8:9]
	v_cndmask_b32_e64 v1, 0, 1, s[4:5]
	v_add_u32_e32 v2, s26, v0
	v_add_u32_e32 v0, 0x100, v0
	global_store_byte v2, v1, s[28:29]
	s_or_b64 exec, exec, s[2:3]
	v_cmp_gt_i32_e32 vcc, s33, v0
	s_and_saveexec_b64 s[2:3], vcc
	s_cbranch_execz .LBB359_39
.LBB359_56:
	s_xor_b64 s[4:5], s[0:1], s[6:7]
	v_cndmask_b32_e64 v1, 0, 1, s[4:5]
	v_add_u32_e32 v2, s26, v0
	v_add_u32_e32 v0, 0x100, v0
	global_store_byte v2, v1, s[28:29]
	s_or_b64 exec, exec, s[2:3]
	v_cmp_gt_i32_e32 vcc, s33, v0
	s_and_saveexec_b64 s[2:3], vcc
	s_cbranch_execz .LBB359_40
.LBB359_57:
	s_xor_b64 s[4:5], s[0:1], s[12:13]
	v_cndmask_b32_e64 v1, 0, 1, s[4:5]
	v_add_u32_e32 v2, s26, v0
	v_add_u32_e32 v0, 0x100, v0
	global_store_byte v2, v1, s[28:29]
	s_or_b64 exec, exec, s[2:3]
	v_cmp_gt_i32_e32 vcc, s33, v0
	s_and_saveexec_b64 s[2:3], vcc
	s_cbranch_execz .LBB359_41
.LBB359_58:
	s_xor_b64 s[4:5], s[0:1], s[10:11]
	v_cndmask_b32_e64 v1, 0, 1, s[4:5]
	v_add_u32_e32 v2, s26, v0
	v_add_u32_e32 v0, 0x100, v0
	global_store_byte v2, v1, s[28:29]
	s_or_b64 exec, exec, s[2:3]
	v_cmp_gt_i32_e32 vcc, s33, v0
	s_and_saveexec_b64 s[2:3], vcc
	s_cbranch_execz .LBB359_42
.LBB359_59:
	s_xor_b64 s[4:5], s[0:1], s[16:17]
	v_cndmask_b32_e64 v1, 0, 1, s[4:5]
	v_add_u32_e32 v2, s26, v0
	v_add_u32_e32 v0, 0x100, v0
	global_store_byte v2, v1, s[28:29]
	s_or_b64 exec, exec, s[2:3]
	v_cmp_gt_i32_e32 vcc, s33, v0
	s_and_saveexec_b64 s[2:3], vcc
	s_cbranch_execz .LBB359_43
.LBB359_60:
	s_xor_b64 s[4:5], s[0:1], s[14:15]
	v_cndmask_b32_e64 v1, 0, 1, s[4:5]
	v_add_u32_e32 v2, s26, v0
	v_add_u32_e32 v0, 0x100, v0
	global_store_byte v2, v1, s[28:29]
	s_or_b64 exec, exec, s[2:3]
	v_cmp_gt_i32_e32 vcc, s33, v0
	s_and_saveexec_b64 s[2:3], vcc
	s_cbranch_execz .LBB359_44
.LBB359_61:
	s_xor_b64 s[4:5], s[0:1], s[20:21]
	v_cndmask_b32_e64 v1, 0, 1, s[4:5]
	v_add_u32_e32 v2, s26, v0
	v_add_u32_e32 v0, 0x100, v0
	global_store_byte v2, v1, s[28:29]
	s_or_b64 exec, exec, s[2:3]
	v_cmp_gt_i32_e32 vcc, s33, v0
	s_and_saveexec_b64 s[2:3], vcc
	s_cbranch_execz .LBB359_45
.LBB359_62:
	s_xor_b64 s[4:5], s[0:1], s[18:19]
	v_cndmask_b32_e64 v1, 0, 1, s[4:5]
	v_add_u32_e32 v2, s26, v0
	v_add_u32_e32 v0, 0x100, v0
	global_store_byte v2, v1, s[28:29]
	s_or_b64 exec, exec, s[2:3]
	v_cmp_gt_i32_e32 vcc, s33, v0
	s_and_saveexec_b64 s[2:3], vcc
	s_cbranch_execz .LBB359_46
.LBB359_63:
	s_xor_b64 s[4:5], s[0:1], s[24:25]
	v_cndmask_b32_e64 v1, 0, 1, s[4:5]
	v_add_u32_e32 v2, s26, v0
	v_add_u32_e32 v0, 0x100, v0
	global_store_byte v2, v1, s[28:29]
	s_or_b64 exec, exec, s[2:3]
	v_cmp_gt_i32_e32 vcc, s33, v0
	s_and_saveexec_b64 s[2:3], vcc
	s_cbranch_execz .LBB359_47
.LBB359_64:
	s_xor_b64 s[4:5], s[0:1], s[22:23]
	v_cndmask_b32_e64 v1, 0, 1, s[4:5]
	v_add_u32_e32 v2, s26, v0
	v_add_u32_e32 v0, 0x100, v0
	global_store_byte v2, v1, s[28:29]
	s_or_b64 exec, exec, s[2:3]
	v_cmp_gt_i32_e32 vcc, s33, v0
	s_and_saveexec_b64 s[2:3], vcc
	s_cbranch_execz .LBB359_48
.LBB359_65:
	s_xor_b64 s[4:5], s[0:1], s[40:41]
	v_cndmask_b32_e64 v1, 0, 1, s[4:5]
	v_add_u32_e32 v2, s26, v0
	v_add_u32_e32 v0, 0x100, v0
	global_store_byte v2, v1, s[28:29]
	s_or_b64 exec, exec, s[2:3]
	v_cmp_gt_i32_e32 vcc, s33, v0
	s_and_saveexec_b64 s[2:3], vcc
	s_cbranch_execz .LBB359_49
.LBB359_66:
	s_xor_b64 s[4:5], s[0:1], s[38:39]
	v_cndmask_b32_e64 v1, 0, 1, s[4:5]
	v_add_u32_e32 v2, s26, v0
	v_add_u32_e32 v0, 0x100, v0
	global_store_byte v2, v1, s[28:29]
	s_or_b64 exec, exec, s[2:3]
	v_cmp_gt_i32_e32 vcc, s33, v0
	s_and_saveexec_b64 s[2:3], vcc
	s_cbranch_execz .LBB359_50
.LBB359_67:
	s_xor_b64 s[4:5], s[0:1], s[44:45]
	v_cndmask_b32_e64 v1, 0, 1, s[4:5]
	v_add_u32_e32 v2, s26, v0
	v_add_u32_e32 v0, 0x100, v0
	global_store_byte v2, v1, s[28:29]
	s_or_b64 exec, exec, s[2:3]
	v_cmp_gt_i32_e32 vcc, s33, v0
	s_and_saveexec_b64 s[2:3], vcc
	s_cbranch_execnz .LBB359_51
	s_branch .LBB359_52
	.section	.rodata,"a",@progbits
	.p2align	6, 0x0
	.amdhsa_kernel _ZN2at6native29vectorized_elementwise_kernelILi4ENS0_13BinaryFunctorImmbNS0_12_GLOBAL__N_116CompareEqFunctorImEEEESt5arrayIPcLm3EEEEviT0_T1_
		.amdhsa_group_segment_fixed_size 0
		.amdhsa_private_segment_fixed_size 0
		.amdhsa_kernarg_size 32
		.amdhsa_user_sgpr_count 6
		.amdhsa_user_sgpr_private_segment_buffer 1
		.amdhsa_user_sgpr_dispatch_ptr 0
		.amdhsa_user_sgpr_queue_ptr 0
		.amdhsa_user_sgpr_kernarg_segment_ptr 1
		.amdhsa_user_sgpr_dispatch_id 0
		.amdhsa_user_sgpr_flat_scratch_init 0
		.amdhsa_user_sgpr_private_segment_size 0
		.amdhsa_uses_dynamic_stack 0
		.amdhsa_system_sgpr_private_segment_wavefront_offset 0
		.amdhsa_system_sgpr_workgroup_id_x 1
		.amdhsa_system_sgpr_workgroup_id_y 0
		.amdhsa_system_sgpr_workgroup_id_z 0
		.amdhsa_system_sgpr_workgroup_info 0
		.amdhsa_system_vgpr_workitem_id 0
		.amdhsa_next_free_vgpr 25
		.amdhsa_next_free_sgpr 48
		.amdhsa_reserve_vcc 1
		.amdhsa_reserve_flat_scratch 0
		.amdhsa_float_round_mode_32 0
		.amdhsa_float_round_mode_16_64 0
		.amdhsa_float_denorm_mode_32 3
		.amdhsa_float_denorm_mode_16_64 3
		.amdhsa_dx10_clamp 1
		.amdhsa_ieee_mode 1
		.amdhsa_fp16_overflow 0
		.amdhsa_exception_fp_ieee_invalid_op 0
		.amdhsa_exception_fp_denorm_src 0
		.amdhsa_exception_fp_ieee_div_zero 0
		.amdhsa_exception_fp_ieee_overflow 0
		.amdhsa_exception_fp_ieee_underflow 0
		.amdhsa_exception_fp_ieee_inexact 0
		.amdhsa_exception_int_div_zero 0
	.end_amdhsa_kernel
	.section	.text._ZN2at6native29vectorized_elementwise_kernelILi4ENS0_13BinaryFunctorImmbNS0_12_GLOBAL__N_116CompareEqFunctorImEEEESt5arrayIPcLm3EEEEviT0_T1_,"axG",@progbits,_ZN2at6native29vectorized_elementwise_kernelILi4ENS0_13BinaryFunctorImmbNS0_12_GLOBAL__N_116CompareEqFunctorImEEEESt5arrayIPcLm3EEEEviT0_T1_,comdat
.Lfunc_end359:
	.size	_ZN2at6native29vectorized_elementwise_kernelILi4ENS0_13BinaryFunctorImmbNS0_12_GLOBAL__N_116CompareEqFunctorImEEEESt5arrayIPcLm3EEEEviT0_T1_, .Lfunc_end359-_ZN2at6native29vectorized_elementwise_kernelILi4ENS0_13BinaryFunctorImmbNS0_12_GLOBAL__N_116CompareEqFunctorImEEEESt5arrayIPcLm3EEEEviT0_T1_
                                        ; -- End function
	.set _ZN2at6native29vectorized_elementwise_kernelILi4ENS0_13BinaryFunctorImmbNS0_12_GLOBAL__N_116CompareEqFunctorImEEEESt5arrayIPcLm3EEEEviT0_T1_.num_vgpr, 25
	.set _ZN2at6native29vectorized_elementwise_kernelILi4ENS0_13BinaryFunctorImmbNS0_12_GLOBAL__N_116CompareEqFunctorImEEEESt5arrayIPcLm3EEEEviT0_T1_.num_agpr, 0
	.set _ZN2at6native29vectorized_elementwise_kernelILi4ENS0_13BinaryFunctorImmbNS0_12_GLOBAL__N_116CompareEqFunctorImEEEESt5arrayIPcLm3EEEEviT0_T1_.numbered_sgpr, 48
	.set _ZN2at6native29vectorized_elementwise_kernelILi4ENS0_13BinaryFunctorImmbNS0_12_GLOBAL__N_116CompareEqFunctorImEEEESt5arrayIPcLm3EEEEviT0_T1_.num_named_barrier, 0
	.set _ZN2at6native29vectorized_elementwise_kernelILi4ENS0_13BinaryFunctorImmbNS0_12_GLOBAL__N_116CompareEqFunctorImEEEESt5arrayIPcLm3EEEEviT0_T1_.private_seg_size, 0
	.set _ZN2at6native29vectorized_elementwise_kernelILi4ENS0_13BinaryFunctorImmbNS0_12_GLOBAL__N_116CompareEqFunctorImEEEESt5arrayIPcLm3EEEEviT0_T1_.uses_vcc, 1
	.set _ZN2at6native29vectorized_elementwise_kernelILi4ENS0_13BinaryFunctorImmbNS0_12_GLOBAL__N_116CompareEqFunctorImEEEESt5arrayIPcLm3EEEEviT0_T1_.uses_flat_scratch, 0
	.set _ZN2at6native29vectorized_elementwise_kernelILi4ENS0_13BinaryFunctorImmbNS0_12_GLOBAL__N_116CompareEqFunctorImEEEESt5arrayIPcLm3EEEEviT0_T1_.has_dyn_sized_stack, 0
	.set _ZN2at6native29vectorized_elementwise_kernelILi4ENS0_13BinaryFunctorImmbNS0_12_GLOBAL__N_116CompareEqFunctorImEEEESt5arrayIPcLm3EEEEviT0_T1_.has_recursion, 0
	.set _ZN2at6native29vectorized_elementwise_kernelILi4ENS0_13BinaryFunctorImmbNS0_12_GLOBAL__N_116CompareEqFunctorImEEEESt5arrayIPcLm3EEEEviT0_T1_.has_indirect_call, 0
	.section	.AMDGPU.csdata,"",@progbits
; Kernel info:
; codeLenInByte = 3692
; TotalNumSgprs: 52
; NumVgprs: 25
; ScratchSize: 0
; MemoryBound: 0
; FloatMode: 240
; IeeeMode: 1
; LDSByteSize: 0 bytes/workgroup (compile time only)
; SGPRBlocks: 6
; VGPRBlocks: 6
; NumSGPRsForWavesPerEU: 52
; NumVGPRsForWavesPerEU: 25
; Occupancy: 9
; WaveLimiterHint : 1
; COMPUTE_PGM_RSRC2:SCRATCH_EN: 0
; COMPUTE_PGM_RSRC2:USER_SGPR: 6
; COMPUTE_PGM_RSRC2:TRAP_HANDLER: 0
; COMPUTE_PGM_RSRC2:TGID_X_EN: 1
; COMPUTE_PGM_RSRC2:TGID_Y_EN: 0
; COMPUTE_PGM_RSRC2:TGID_Z_EN: 0
; COMPUTE_PGM_RSRC2:TIDIG_COMP_CNT: 0
	.section	.text._ZN2at6native29vectorized_elementwise_kernelILi2ENS0_13BinaryFunctorImmbNS0_12_GLOBAL__N_116CompareEqFunctorImEEEESt5arrayIPcLm3EEEEviT0_T1_,"axG",@progbits,_ZN2at6native29vectorized_elementwise_kernelILi2ENS0_13BinaryFunctorImmbNS0_12_GLOBAL__N_116CompareEqFunctorImEEEESt5arrayIPcLm3EEEEviT0_T1_,comdat
	.globl	_ZN2at6native29vectorized_elementwise_kernelILi2ENS0_13BinaryFunctorImmbNS0_12_GLOBAL__N_116CompareEqFunctorImEEEESt5arrayIPcLm3EEEEviT0_T1_ ; -- Begin function _ZN2at6native29vectorized_elementwise_kernelILi2ENS0_13BinaryFunctorImmbNS0_12_GLOBAL__N_116CompareEqFunctorImEEEESt5arrayIPcLm3EEEEviT0_T1_
	.p2align	8
	.type	_ZN2at6native29vectorized_elementwise_kernelILi2ENS0_13BinaryFunctorImmbNS0_12_GLOBAL__N_116CompareEqFunctorImEEEESt5arrayIPcLm3EEEEviT0_T1_,@function
_ZN2at6native29vectorized_elementwise_kernelILi2ENS0_13BinaryFunctorImmbNS0_12_GLOBAL__N_116CompareEqFunctorImEEEESt5arrayIPcLm3EEEEviT0_T1_: ; @_ZN2at6native29vectorized_elementwise_kernelILi2ENS0_13BinaryFunctorImmbNS0_12_GLOBAL__N_116CompareEqFunctorImEEEESt5arrayIPcLm3EEEEviT0_T1_
; %bb.0:
	s_load_dwordx2 s[34:35], s[4:5], 0x0
	s_load_dwordx4 s[36:39], s[4:5], 0x8
	s_load_dwordx2 s[40:41], s[4:5], 0x18
	s_lshl_b32 s30, s6, 12
	s_mov_b64 s[0:1], -1
	s_waitcnt lgkmcnt(0)
	s_sub_i32 s33, s34, s30
	s_cmpk_gt_i32 s33, 0xfff
	s_cbranch_scc0 .LBB360_2
; %bb.1:
	s_ashr_i32 s31, s30, 31
	s_lshl_b64 s[2:3], s[30:31], 3
	s_add_u32 s0, s38, s2
	s_addc_u32 s1, s39, s3
	v_lshlrev_b32_e32 v10, 4, v0
	s_add_u32 s8, s40, s2
	s_addc_u32 s9, s41, s3
	global_load_dwordx4 v[1:4], v10, s[0:1]
	global_load_dwordx4 v[5:8], v10, s[8:9]
	v_add_co_u32_e64 v12, s[4:5], s0, v10
	v_mov_b32_e32 v11, s1
	v_add_co_u32_e32 v9, vcc, 0x1000, v12
	s_mov_b64 s[6:7], vcc
	v_addc_co_u32_e64 v24, vcc, 0, v11, s[4:5]
	v_add_co_u32_e32 v11, vcc, 0x2000, v12
	s_mov_b64 s[12:13], vcc
	v_add_co_u32_e64 v25, s[4:5], s8, v10
	v_addc_co_u32_e64 v10, vcc, 0, v24, s[6:7]
	v_add_co_u32_e32 v13, vcc, 0x3000, v12
	s_mov_b64 s[6:7], vcc
	s_movk_i32 s10, 0x2000
	s_movk_i32 s26, 0x6000
	;; [unrolled: 1-line block ×3, first 2 shown]
	s_cmp_eq_u32 s35, 0
	s_waitcnt vmcnt(0)
	v_cmp_ne_u64_e64 s[0:1], v[1:2], v[5:6]
	v_mov_b32_e32 v1, s9
	v_addc_co_u32_e64 v26, vcc, 0, v1, s[4:5]
	v_add_co_u32_e32 v15, vcc, 0x4000, v12
	s_mov_b64 s[14:15], vcc
	v_add_co_u32_e32 v17, vcc, 0x5000, v12
	s_mov_b64 s[20:21], vcc
	;; [unrolled: 2-line block ×4, first 2 shown]
	v_add_co_u32_e32 v22, vcc, s10, v25
	v_cmp_ne_u64_e64 s[2:3], v[3:4], v[7:8]
	v_addc_co_u32_e32 v23, vcc, 0, v26, vcc
	global_load_dwordx4 v[1:4], v[9:10], off
	global_load_dwordx4 v[5:8], v[22:23], off offset:-4096
	v_addc_co_u32_e64 v12, vcc, 0, v24, s[12:13]
	s_movk_i32 s12, 0x4000
	v_addc_co_u32_e64 v14, vcc, 0, v24, s[6:7]
	v_add_co_u32_e32 v9, vcc, s12, v25
	v_addc_co_u32_e32 v10, vcc, 0, v26, vcc
	v_addc_co_u32_e64 v16, vcc, 0, v24, s[14:15]
	v_addc_co_u32_e64 v18, vcc, 0, v24, s[20:21]
	s_waitcnt vmcnt(0)
	v_cmp_ne_u64_e64 s[8:9], v[1:2], v[5:6]
	v_cmp_ne_u64_e64 s[10:11], v[3:4], v[7:8]
	global_load_dwordx4 v[1:4], v[11:12], off
	global_load_dwordx4 v[5:8], v[22:23], off
	s_waitcnt vmcnt(0)
	v_cmp_ne_u64_e64 s[16:17], v[1:2], v[5:6]
	v_cmp_ne_u64_e64 s[18:19], v[3:4], v[7:8]
	global_load_dwordx4 v[1:4], v[13:14], off
	global_load_dwordx4 v[5:8], v[9:10], off offset:-4096
	s_waitcnt vmcnt(0)
	v_cmp_ne_u64_e64 s[24:25], v[1:2], v[5:6]
	v_cmp_ne_u64_e64 s[6:7], v[3:4], v[7:8]
	global_load_dwordx4 v[1:4], v[15:16], off
	global_load_dwordx4 v[5:8], v[9:10], off
	v_add_co_u32_e32 v9, vcc, s26, v25
	v_addc_co_u32_e32 v10, vcc, 0, v26, vcc
	v_addc_co_u32_e64 v20, vcc, 0, v24, s[22:23]
	s_waitcnt vmcnt(0)
	v_cmp_ne_u64_e64 s[12:13], v[1:2], v[5:6]
	v_cmp_ne_u64_e64 s[14:15], v[3:4], v[7:8]
	global_load_dwordx4 v[1:4], v[17:18], off
	global_load_dwordx4 v[5:8], v[9:10], off offset:-4096
	s_waitcnt vmcnt(0)
	v_cmp_ne_u64_e64 s[20:21], v[1:2], v[5:6]
	v_cmp_ne_u64_e64 s[26:27], v[3:4], v[7:8]
	global_load_dwordx4 v[1:4], v[19:20], off
	global_load_dwordx4 v[5:8], v[9:10], off
	v_mov_b32_e32 v9, 0x100
	s_waitcnt vmcnt(0)
	v_cmp_ne_u64_e64 s[22:23], v[1:2], v[5:6]
	v_add_co_u32_e32 v1, vcc, s34, v25
	v_addc_co_u32_e32 v2, vcc, 0, v26, vcc
	v_addc_co_u32_e64 v22, vcc, 0, v24, s[4:5]
	s_cselect_b64 s[4:5], -1, 0
	s_xor_b64 s[0:1], s[4:5], s[0:1]
	s_xor_b64 vcc, s[4:5], s[2:3]
	v_cndmask_b32_e64 v5, 0, 1, s[0:1]
	v_cndmask_b32_e32 v6, 0, v9, vcc
	s_xor_b64 s[0:1], s[4:5], s[8:9]
	s_xor_b64 vcc, s[4:5], s[10:11]
	v_or_b32_e32 v10, v6, v5
	v_cndmask_b32_e64 v5, 0, 1, s[0:1]
	v_cndmask_b32_e32 v6, 0, v9, vcc
	s_xor_b64 s[0:1], s[4:5], s[16:17]
	s_xor_b64 vcc, s[4:5], s[18:19]
	v_or_b32_e32 v11, v6, v5
	v_cndmask_b32_e64 v5, 0, 1, s[0:1]
	v_cndmask_b32_e32 v6, 0, v9, vcc
	v_cmp_ne_u64_e64 s[28:29], v[3:4], v[7:8]
	global_load_dwordx4 v[1:4], v[1:2], off
	v_or_b32_e32 v12, v6, v5
	global_load_dwordx4 v[5:8], v[21:22], off
	s_xor_b64 s[2:3], s[4:5], s[24:25]
	s_waitcnt vmcnt(0)
	v_cmp_ne_u64_e32 vcc, v[5:6], v[1:2]
	v_cndmask_b32_e64 v1, 0, 1, s[2:3]
	s_xor_b64 s[2:3], s[4:5], s[6:7]
	v_cndmask_b32_e64 v2, 0, v9, s[2:3]
	s_xor_b64 s[2:3], s[4:5], s[12:13]
	v_or_b32_e32 v1, v2, v1
	v_cndmask_b32_e64 v2, 0, 1, s[2:3]
	s_xor_b64 s[2:3], s[4:5], s[14:15]
	v_cmp_ne_u64_e64 s[0:1], v[7:8], v[3:4]
	v_cndmask_b32_e64 v3, 0, v9, s[2:3]
	s_xor_b64 s[2:3], s[4:5], s[20:21]
	v_or_b32_e32 v2, v3, v2
	v_cndmask_b32_e64 v3, 0, 1, s[2:3]
	s_xor_b64 s[2:3], s[4:5], s[26:27]
	v_cndmask_b32_e64 v4, 0, v9, s[2:3]
	s_xor_b64 s[2:3], s[4:5], s[22:23]
	v_or_b32_e32 v3, v4, v3
	v_cndmask_b32_e64 v4, 0, 1, s[2:3]
	s_xor_b64 s[2:3], s[4:5], s[28:29]
	v_cndmask_b32_e64 v5, 0, v9, s[2:3]
	s_xor_b64 s[2:3], s[4:5], vcc
	s_xor_b64 vcc, s[4:5], s[0:1]
	v_or_b32_e32 v4, v5, v4
	v_cndmask_b32_e64 v5, 0, 1, s[2:3]
	v_cndmask_b32_e32 v6, 0, v9, vcc
	s_add_u32 s0, s36, s30
	v_or_b32_e32 v5, v6, v5
	s_addc_u32 s1, s37, s31
	v_lshlrev_b32_e32 v6, 1, v0
	global_store_short v6, v10, s[0:1]
	global_store_short v6, v11, s[0:1] offset:512
	global_store_short v6, v12, s[0:1] offset:1024
	;; [unrolled: 1-line block ×7, first 2 shown]
	s_mov_b64 s[0:1], 0
.LBB360_2:
	s_andn2_b64 vcc, exec, s[0:1]
	s_cbranch_vccnz .LBB360_52
; %bb.3:
	v_cmp_gt_i32_e32 vcc, s33, v0
	s_mov_b64 s[2:3], 0
	v_or_b32_e32 v1, s30, v0
	s_mov_b64 s[4:5], 0
	v_mov_b32_e32 v2, v0
	s_and_saveexec_b64 s[6:7], vcc
	s_cbranch_execz .LBB360_5
; %bb.4:
	v_mov_b32_e32 v2, 0
	v_lshlrev_b64 v[2:3], 3, v[1:2]
	v_mov_b32_e32 v5, s41
	v_add_co_u32_e64 v4, s[0:1], s40, v2
	v_addc_co_u32_e64 v5, s[0:1], v5, v3, s[0:1]
	v_mov_b32_e32 v6, s39
	v_add_co_u32_e64 v2, s[0:1], s38, v2
	v_addc_co_u32_e64 v3, s[0:1], v6, v3, s[0:1]
	global_load_dwordx2 v[6:7], v[2:3], off
	global_load_dwordx2 v[8:9], v[4:5], off
	v_or_b32_e32 v2, 0x100, v0
	s_waitcnt vmcnt(0)
	v_cmp_ne_u64_e64 s[0:1], v[6:7], v[8:9]
	s_and_b64 s[4:5], s[0:1], exec
.LBB360_5:
	s_or_b64 exec, exec, s[6:7]
	v_cmp_gt_i32_e64 s[0:1], s33, v2
	s_and_saveexec_b64 s[6:7], s[0:1]
	s_cbranch_execz .LBB360_7
; %bb.6:
	v_add_u32_e32 v3, s30, v2
	v_mov_b32_e32 v4, 0
	v_lshlrev_b64 v[3:4], 3, v[3:4]
	v_mov_b32_e32 v6, s41
	v_add_co_u32_e64 v5, s[0:1], s40, v3
	v_addc_co_u32_e64 v6, s[0:1], v6, v4, s[0:1]
	v_mov_b32_e32 v7, s39
	v_add_co_u32_e64 v3, s[0:1], s38, v3
	v_addc_co_u32_e64 v4, s[0:1], v7, v4, s[0:1]
	global_load_dwordx2 v[7:8], v[3:4], off
	global_load_dwordx2 v[9:10], v[5:6], off
	v_add_u32_e32 v2, 0x100, v2
	s_waitcnt vmcnt(0)
	v_cmp_ne_u64_e64 s[0:1], v[7:8], v[9:10]
	s_and_b64 s[2:3], s[0:1], exec
.LBB360_7:
	s_or_b64 exec, exec, s[6:7]
	v_cmp_gt_i32_e64 s[0:1], s33, v2
	s_mov_b64 s[6:7], 0
	s_mov_b64 s[8:9], 0
	s_and_saveexec_b64 s[10:11], s[0:1]
	s_cbranch_execz .LBB360_9
; %bb.8:
	v_add_u32_e32 v3, s30, v2
	v_mov_b32_e32 v4, 0
	v_lshlrev_b64 v[3:4], 3, v[3:4]
	v_mov_b32_e32 v6, s41
	v_add_co_u32_e64 v5, s[0:1], s40, v3
	v_addc_co_u32_e64 v6, s[0:1], v6, v4, s[0:1]
	v_mov_b32_e32 v7, s39
	v_add_co_u32_e64 v3, s[0:1], s38, v3
	v_addc_co_u32_e64 v4, s[0:1], v7, v4, s[0:1]
	global_load_dwordx2 v[7:8], v[3:4], off
	global_load_dwordx2 v[9:10], v[5:6], off
	v_add_u32_e32 v2, 0x100, v2
	s_waitcnt vmcnt(0)
	v_cmp_ne_u64_e64 s[0:1], v[7:8], v[9:10]
	s_and_b64 s[8:9], s[0:1], exec
.LBB360_9:
	s_or_b64 exec, exec, s[10:11]
	v_cmp_gt_i32_e64 s[0:1], s33, v2
	s_and_saveexec_b64 s[10:11], s[0:1]
	s_cbranch_execz .LBB360_11
; %bb.10:
	v_add_u32_e32 v3, s30, v2
	v_mov_b32_e32 v4, 0
	v_lshlrev_b64 v[3:4], 3, v[3:4]
	v_mov_b32_e32 v6, s41
	v_add_co_u32_e64 v5, s[0:1], s40, v3
	v_addc_co_u32_e64 v6, s[0:1], v6, v4, s[0:1]
	v_mov_b32_e32 v7, s39
	v_add_co_u32_e64 v3, s[0:1], s38, v3
	v_addc_co_u32_e64 v4, s[0:1], v7, v4, s[0:1]
	global_load_dwordx2 v[7:8], v[3:4], off
	global_load_dwordx2 v[9:10], v[5:6], off
	v_add_u32_e32 v2, 0x100, v2
	s_waitcnt vmcnt(0)
	v_cmp_ne_u64_e64 s[0:1], v[7:8], v[9:10]
	s_and_b64 s[6:7], s[0:1], exec
.LBB360_11:
	s_or_b64 exec, exec, s[10:11]
	v_cmp_gt_i32_e64 s[0:1], s33, v2
	s_mov_b64 s[10:11], 0
	s_mov_b64 s[12:13], 0
	s_and_saveexec_b64 s[14:15], s[0:1]
	s_cbranch_execz .LBB360_13
; %bb.12:
	v_add_u32_e32 v3, s30, v2
	v_mov_b32_e32 v4, 0
	v_lshlrev_b64 v[3:4], 3, v[3:4]
	v_mov_b32_e32 v6, s41
	v_add_co_u32_e64 v5, s[0:1], s40, v3
	v_addc_co_u32_e64 v6, s[0:1], v6, v4, s[0:1]
	v_mov_b32_e32 v7, s39
	v_add_co_u32_e64 v3, s[0:1], s38, v3
	v_addc_co_u32_e64 v4, s[0:1], v7, v4, s[0:1]
	global_load_dwordx2 v[7:8], v[3:4], off
	global_load_dwordx2 v[9:10], v[5:6], off
	v_add_u32_e32 v2, 0x100, v2
	s_waitcnt vmcnt(0)
	v_cmp_ne_u64_e64 s[0:1], v[7:8], v[9:10]
	s_and_b64 s[12:13], s[0:1], exec
.LBB360_13:
	;; [unrolled: 44-line block ×7, first 2 shown]
	s_or_b64 exec, exec, s[46:47]
	v_cmp_gt_i32_e64 s[0:1], s33, v2
	s_and_saveexec_b64 s[46:47], s[0:1]
	s_cbranch_execz .LBB360_35
; %bb.34:
	v_add_u32_e32 v2, s30, v2
	v_mov_b32_e32 v3, 0
	v_lshlrev_b64 v[2:3], 3, v[2:3]
	v_mov_b32_e32 v5, s41
	v_add_co_u32_e64 v4, s[0:1], s40, v2
	v_addc_co_u32_e64 v5, s[0:1], v5, v3, s[0:1]
	v_mov_b32_e32 v6, s39
	v_add_co_u32_e64 v2, s[0:1], s38, v2
	v_addc_co_u32_e64 v3, s[0:1], v6, v3, s[0:1]
	global_load_dwordx2 v[6:7], v[2:3], off
	global_load_dwordx2 v[8:9], v[4:5], off
	s_waitcnt vmcnt(0)
	v_cmp_ne_u64_e64 s[0:1], v[6:7], v[8:9]
	s_and_b64 s[42:43], s[0:1], exec
.LBB360_35:
	s_or_b64 exec, exec, s[46:47]
	s_cmp_eq_u32 s35, 0
	s_cselect_b64 s[0:1], -1, 0
	s_and_saveexec_b64 s[34:35], vcc
	s_cbranch_execnz .LBB360_53
; %bb.36:
	s_or_b64 exec, exec, s[34:35]
	v_cmp_gt_i32_e32 vcc, s33, v0
	s_and_saveexec_b64 s[4:5], vcc
	s_cbranch_execnz .LBB360_54
.LBB360_37:
	s_or_b64 exec, exec, s[4:5]
	v_cmp_gt_i32_e32 vcc, s33, v0
	s_and_saveexec_b64 s[2:3], vcc
	s_cbranch_execnz .LBB360_55
.LBB360_38:
	s_or_b64 exec, exec, s[2:3]
	v_cmp_gt_i32_e32 vcc, s33, v0
	s_and_saveexec_b64 s[2:3], vcc
	s_cbranch_execnz .LBB360_56
.LBB360_39:
	s_or_b64 exec, exec, s[2:3]
	v_cmp_gt_i32_e32 vcc, s33, v0
	s_and_saveexec_b64 s[2:3], vcc
	s_cbranch_execnz .LBB360_57
.LBB360_40:
	s_or_b64 exec, exec, s[2:3]
	v_cmp_gt_i32_e32 vcc, s33, v0
	s_and_saveexec_b64 s[2:3], vcc
	s_cbranch_execnz .LBB360_58
.LBB360_41:
	s_or_b64 exec, exec, s[2:3]
	v_cmp_gt_i32_e32 vcc, s33, v0
	s_and_saveexec_b64 s[2:3], vcc
	s_cbranch_execnz .LBB360_59
.LBB360_42:
	s_or_b64 exec, exec, s[2:3]
	v_cmp_gt_i32_e32 vcc, s33, v0
	s_and_saveexec_b64 s[2:3], vcc
	s_cbranch_execnz .LBB360_60
.LBB360_43:
	s_or_b64 exec, exec, s[2:3]
	v_cmp_gt_i32_e32 vcc, s33, v0
	s_and_saveexec_b64 s[2:3], vcc
	s_cbranch_execnz .LBB360_61
.LBB360_44:
	s_or_b64 exec, exec, s[2:3]
	v_cmp_gt_i32_e32 vcc, s33, v0
	s_and_saveexec_b64 s[2:3], vcc
	s_cbranch_execnz .LBB360_62
.LBB360_45:
	s_or_b64 exec, exec, s[2:3]
	v_cmp_gt_i32_e32 vcc, s33, v0
	s_and_saveexec_b64 s[2:3], vcc
	s_cbranch_execnz .LBB360_63
.LBB360_46:
	s_or_b64 exec, exec, s[2:3]
	v_cmp_gt_i32_e32 vcc, s33, v0
	s_and_saveexec_b64 s[2:3], vcc
	s_cbranch_execnz .LBB360_64
.LBB360_47:
	s_or_b64 exec, exec, s[2:3]
	v_cmp_gt_i32_e32 vcc, s33, v0
	s_and_saveexec_b64 s[2:3], vcc
	s_cbranch_execnz .LBB360_65
.LBB360_48:
	s_or_b64 exec, exec, s[2:3]
	v_cmp_gt_i32_e32 vcc, s33, v0
	s_and_saveexec_b64 s[2:3], vcc
	s_cbranch_execnz .LBB360_66
.LBB360_49:
	s_or_b64 exec, exec, s[2:3]
	v_cmp_gt_i32_e32 vcc, s33, v0
	s_and_saveexec_b64 s[2:3], vcc
	s_cbranch_execnz .LBB360_67
.LBB360_50:
	s_or_b64 exec, exec, s[2:3]
	v_cmp_gt_i32_e32 vcc, s33, v0
	s_and_saveexec_b64 s[2:3], vcc
	s_cbranch_execz .LBB360_52
.LBB360_51:
	s_xor_b64 s[0:1], s[0:1], s[42:43]
	v_cndmask_b32_e64 v1, 0, 1, s[0:1]
	v_add_u32_e32 v0, s30, v0
	global_store_byte v0, v1, s[36:37]
.LBB360_52:
	s_endpgm
.LBB360_53:
	s_xor_b64 s[4:5], s[0:1], s[4:5]
	v_or_b32_e32 v0, 0x100, v0
	v_cndmask_b32_e64 v2, 0, 1, s[4:5]
	global_store_byte v1, v2, s[36:37]
	s_or_b64 exec, exec, s[34:35]
	v_cmp_gt_i32_e32 vcc, s33, v0
	s_and_saveexec_b64 s[4:5], vcc
	s_cbranch_execz .LBB360_37
.LBB360_54:
	s_xor_b64 s[2:3], s[0:1], s[2:3]
	v_cndmask_b32_e64 v1, 0, 1, s[2:3]
	v_add_u32_e32 v2, s30, v0
	v_add_u32_e32 v0, 0x100, v0
	global_store_byte v2, v1, s[36:37]
	s_or_b64 exec, exec, s[4:5]
	v_cmp_gt_i32_e32 vcc, s33, v0
	s_and_saveexec_b64 s[2:3], vcc
	s_cbranch_execz .LBB360_38
.LBB360_55:
	s_xor_b64 s[4:5], s[0:1], s[8:9]
	v_cndmask_b32_e64 v1, 0, 1, s[4:5]
	v_add_u32_e32 v2, s30, v0
	v_add_u32_e32 v0, 0x100, v0
	global_store_byte v2, v1, s[36:37]
	s_or_b64 exec, exec, s[2:3]
	v_cmp_gt_i32_e32 vcc, s33, v0
	s_and_saveexec_b64 s[2:3], vcc
	s_cbranch_execz .LBB360_39
.LBB360_56:
	s_xor_b64 s[4:5], s[0:1], s[6:7]
	v_cndmask_b32_e64 v1, 0, 1, s[4:5]
	v_add_u32_e32 v2, s30, v0
	v_add_u32_e32 v0, 0x100, v0
	global_store_byte v2, v1, s[36:37]
	s_or_b64 exec, exec, s[2:3]
	v_cmp_gt_i32_e32 vcc, s33, v0
	s_and_saveexec_b64 s[2:3], vcc
	s_cbranch_execz .LBB360_40
.LBB360_57:
	s_xor_b64 s[4:5], s[0:1], s[12:13]
	v_cndmask_b32_e64 v1, 0, 1, s[4:5]
	v_add_u32_e32 v2, s30, v0
	v_add_u32_e32 v0, 0x100, v0
	global_store_byte v2, v1, s[36:37]
	s_or_b64 exec, exec, s[2:3]
	v_cmp_gt_i32_e32 vcc, s33, v0
	s_and_saveexec_b64 s[2:3], vcc
	s_cbranch_execz .LBB360_41
.LBB360_58:
	s_xor_b64 s[4:5], s[0:1], s[10:11]
	v_cndmask_b32_e64 v1, 0, 1, s[4:5]
	v_add_u32_e32 v2, s30, v0
	v_add_u32_e32 v0, 0x100, v0
	global_store_byte v2, v1, s[36:37]
	s_or_b64 exec, exec, s[2:3]
	v_cmp_gt_i32_e32 vcc, s33, v0
	s_and_saveexec_b64 s[2:3], vcc
	s_cbranch_execz .LBB360_42
.LBB360_59:
	s_xor_b64 s[4:5], s[0:1], s[16:17]
	v_cndmask_b32_e64 v1, 0, 1, s[4:5]
	v_add_u32_e32 v2, s30, v0
	v_add_u32_e32 v0, 0x100, v0
	global_store_byte v2, v1, s[36:37]
	s_or_b64 exec, exec, s[2:3]
	v_cmp_gt_i32_e32 vcc, s33, v0
	s_and_saveexec_b64 s[2:3], vcc
	s_cbranch_execz .LBB360_43
.LBB360_60:
	s_xor_b64 s[4:5], s[0:1], s[14:15]
	v_cndmask_b32_e64 v1, 0, 1, s[4:5]
	v_add_u32_e32 v2, s30, v0
	v_add_u32_e32 v0, 0x100, v0
	global_store_byte v2, v1, s[36:37]
	s_or_b64 exec, exec, s[2:3]
	v_cmp_gt_i32_e32 vcc, s33, v0
	s_and_saveexec_b64 s[2:3], vcc
	s_cbranch_execz .LBB360_44
.LBB360_61:
	s_xor_b64 s[4:5], s[0:1], s[20:21]
	v_cndmask_b32_e64 v1, 0, 1, s[4:5]
	v_add_u32_e32 v2, s30, v0
	v_add_u32_e32 v0, 0x100, v0
	global_store_byte v2, v1, s[36:37]
	s_or_b64 exec, exec, s[2:3]
	v_cmp_gt_i32_e32 vcc, s33, v0
	s_and_saveexec_b64 s[2:3], vcc
	s_cbranch_execz .LBB360_45
.LBB360_62:
	s_xor_b64 s[4:5], s[0:1], s[18:19]
	v_cndmask_b32_e64 v1, 0, 1, s[4:5]
	v_add_u32_e32 v2, s30, v0
	v_add_u32_e32 v0, 0x100, v0
	global_store_byte v2, v1, s[36:37]
	s_or_b64 exec, exec, s[2:3]
	v_cmp_gt_i32_e32 vcc, s33, v0
	s_and_saveexec_b64 s[2:3], vcc
	s_cbranch_execz .LBB360_46
.LBB360_63:
	s_xor_b64 s[4:5], s[0:1], s[24:25]
	v_cndmask_b32_e64 v1, 0, 1, s[4:5]
	v_add_u32_e32 v2, s30, v0
	v_add_u32_e32 v0, 0x100, v0
	global_store_byte v2, v1, s[36:37]
	s_or_b64 exec, exec, s[2:3]
	v_cmp_gt_i32_e32 vcc, s33, v0
	s_and_saveexec_b64 s[2:3], vcc
	s_cbranch_execz .LBB360_47
.LBB360_64:
	s_xor_b64 s[4:5], s[0:1], s[22:23]
	v_cndmask_b32_e64 v1, 0, 1, s[4:5]
	v_add_u32_e32 v2, s30, v0
	v_add_u32_e32 v0, 0x100, v0
	global_store_byte v2, v1, s[36:37]
	s_or_b64 exec, exec, s[2:3]
	v_cmp_gt_i32_e32 vcc, s33, v0
	s_and_saveexec_b64 s[2:3], vcc
	s_cbranch_execz .LBB360_48
.LBB360_65:
	s_xor_b64 s[4:5], s[0:1], s[28:29]
	v_cndmask_b32_e64 v1, 0, 1, s[4:5]
	v_add_u32_e32 v2, s30, v0
	v_add_u32_e32 v0, 0x100, v0
	global_store_byte v2, v1, s[36:37]
	s_or_b64 exec, exec, s[2:3]
	v_cmp_gt_i32_e32 vcc, s33, v0
	s_and_saveexec_b64 s[2:3], vcc
	s_cbranch_execz .LBB360_49
.LBB360_66:
	s_xor_b64 s[4:5], s[0:1], s[26:27]
	v_cndmask_b32_e64 v1, 0, 1, s[4:5]
	v_add_u32_e32 v2, s30, v0
	v_add_u32_e32 v0, 0x100, v0
	global_store_byte v2, v1, s[36:37]
	s_or_b64 exec, exec, s[2:3]
	v_cmp_gt_i32_e32 vcc, s33, v0
	s_and_saveexec_b64 s[2:3], vcc
	s_cbranch_execz .LBB360_50
.LBB360_67:
	s_xor_b64 s[4:5], s[0:1], s[44:45]
	v_cndmask_b32_e64 v1, 0, 1, s[4:5]
	v_add_u32_e32 v2, s30, v0
	v_add_u32_e32 v0, 0x100, v0
	global_store_byte v2, v1, s[36:37]
	s_or_b64 exec, exec, s[2:3]
	v_cmp_gt_i32_e32 vcc, s33, v0
	s_and_saveexec_b64 s[2:3], vcc
	s_cbranch_execnz .LBB360_51
	s_branch .LBB360_52
	.section	.rodata,"a",@progbits
	.p2align	6, 0x0
	.amdhsa_kernel _ZN2at6native29vectorized_elementwise_kernelILi2ENS0_13BinaryFunctorImmbNS0_12_GLOBAL__N_116CompareEqFunctorImEEEESt5arrayIPcLm3EEEEviT0_T1_
		.amdhsa_group_segment_fixed_size 0
		.amdhsa_private_segment_fixed_size 0
		.amdhsa_kernarg_size 32
		.amdhsa_user_sgpr_count 6
		.amdhsa_user_sgpr_private_segment_buffer 1
		.amdhsa_user_sgpr_dispatch_ptr 0
		.amdhsa_user_sgpr_queue_ptr 0
		.amdhsa_user_sgpr_kernarg_segment_ptr 1
		.amdhsa_user_sgpr_dispatch_id 0
		.amdhsa_user_sgpr_flat_scratch_init 0
		.amdhsa_user_sgpr_private_segment_size 0
		.amdhsa_uses_dynamic_stack 0
		.amdhsa_system_sgpr_private_segment_wavefront_offset 0
		.amdhsa_system_sgpr_workgroup_id_x 1
		.amdhsa_system_sgpr_workgroup_id_y 0
		.amdhsa_system_sgpr_workgroup_id_z 0
		.amdhsa_system_sgpr_workgroup_info 0
		.amdhsa_system_vgpr_workitem_id 0
		.amdhsa_next_free_vgpr 27
		.amdhsa_next_free_sgpr 48
		.amdhsa_reserve_vcc 1
		.amdhsa_reserve_flat_scratch 0
		.amdhsa_float_round_mode_32 0
		.amdhsa_float_round_mode_16_64 0
		.amdhsa_float_denorm_mode_32 3
		.amdhsa_float_denorm_mode_16_64 3
		.amdhsa_dx10_clamp 1
		.amdhsa_ieee_mode 1
		.amdhsa_fp16_overflow 0
		.amdhsa_exception_fp_ieee_invalid_op 0
		.amdhsa_exception_fp_denorm_src 0
		.amdhsa_exception_fp_ieee_div_zero 0
		.amdhsa_exception_fp_ieee_overflow 0
		.amdhsa_exception_fp_ieee_underflow 0
		.amdhsa_exception_fp_ieee_inexact 0
		.amdhsa_exception_int_div_zero 0
	.end_amdhsa_kernel
	.section	.text._ZN2at6native29vectorized_elementwise_kernelILi2ENS0_13BinaryFunctorImmbNS0_12_GLOBAL__N_116CompareEqFunctorImEEEESt5arrayIPcLm3EEEEviT0_T1_,"axG",@progbits,_ZN2at6native29vectorized_elementwise_kernelILi2ENS0_13BinaryFunctorImmbNS0_12_GLOBAL__N_116CompareEqFunctorImEEEESt5arrayIPcLm3EEEEviT0_T1_,comdat
.Lfunc_end360:
	.size	_ZN2at6native29vectorized_elementwise_kernelILi2ENS0_13BinaryFunctorImmbNS0_12_GLOBAL__N_116CompareEqFunctorImEEEESt5arrayIPcLm3EEEEviT0_T1_, .Lfunc_end360-_ZN2at6native29vectorized_elementwise_kernelILi2ENS0_13BinaryFunctorImmbNS0_12_GLOBAL__N_116CompareEqFunctorImEEEESt5arrayIPcLm3EEEEviT0_T1_
                                        ; -- End function
	.set _ZN2at6native29vectorized_elementwise_kernelILi2ENS0_13BinaryFunctorImmbNS0_12_GLOBAL__N_116CompareEqFunctorImEEEESt5arrayIPcLm3EEEEviT0_T1_.num_vgpr, 27
	.set _ZN2at6native29vectorized_elementwise_kernelILi2ENS0_13BinaryFunctorImmbNS0_12_GLOBAL__N_116CompareEqFunctorImEEEESt5arrayIPcLm3EEEEviT0_T1_.num_agpr, 0
	.set _ZN2at6native29vectorized_elementwise_kernelILi2ENS0_13BinaryFunctorImmbNS0_12_GLOBAL__N_116CompareEqFunctorImEEEESt5arrayIPcLm3EEEEviT0_T1_.numbered_sgpr, 48
	.set _ZN2at6native29vectorized_elementwise_kernelILi2ENS0_13BinaryFunctorImmbNS0_12_GLOBAL__N_116CompareEqFunctorImEEEESt5arrayIPcLm3EEEEviT0_T1_.num_named_barrier, 0
	.set _ZN2at6native29vectorized_elementwise_kernelILi2ENS0_13BinaryFunctorImmbNS0_12_GLOBAL__N_116CompareEqFunctorImEEEESt5arrayIPcLm3EEEEviT0_T1_.private_seg_size, 0
	.set _ZN2at6native29vectorized_elementwise_kernelILi2ENS0_13BinaryFunctorImmbNS0_12_GLOBAL__N_116CompareEqFunctorImEEEESt5arrayIPcLm3EEEEviT0_T1_.uses_vcc, 1
	.set _ZN2at6native29vectorized_elementwise_kernelILi2ENS0_13BinaryFunctorImmbNS0_12_GLOBAL__N_116CompareEqFunctorImEEEESt5arrayIPcLm3EEEEviT0_T1_.uses_flat_scratch, 0
	.set _ZN2at6native29vectorized_elementwise_kernelILi2ENS0_13BinaryFunctorImmbNS0_12_GLOBAL__N_116CompareEqFunctorImEEEESt5arrayIPcLm3EEEEviT0_T1_.has_dyn_sized_stack, 0
	.set _ZN2at6native29vectorized_elementwise_kernelILi2ENS0_13BinaryFunctorImmbNS0_12_GLOBAL__N_116CompareEqFunctorImEEEESt5arrayIPcLm3EEEEviT0_T1_.has_recursion, 0
	.set _ZN2at6native29vectorized_elementwise_kernelILi2ENS0_13BinaryFunctorImmbNS0_12_GLOBAL__N_116CompareEqFunctorImEEEESt5arrayIPcLm3EEEEviT0_T1_.has_indirect_call, 0
	.section	.AMDGPU.csdata,"",@progbits
; Kernel info:
; codeLenInByte = 3816
; TotalNumSgprs: 52
; NumVgprs: 27
; ScratchSize: 0
; MemoryBound: 0
; FloatMode: 240
; IeeeMode: 1
; LDSByteSize: 0 bytes/workgroup (compile time only)
; SGPRBlocks: 6
; VGPRBlocks: 6
; NumSGPRsForWavesPerEU: 52
; NumVGPRsForWavesPerEU: 27
; Occupancy: 9
; WaveLimiterHint : 1
; COMPUTE_PGM_RSRC2:SCRATCH_EN: 0
; COMPUTE_PGM_RSRC2:USER_SGPR: 6
; COMPUTE_PGM_RSRC2:TRAP_HANDLER: 0
; COMPUTE_PGM_RSRC2:TGID_X_EN: 1
; COMPUTE_PGM_RSRC2:TGID_Y_EN: 0
; COMPUTE_PGM_RSRC2:TGID_Z_EN: 0
; COMPUTE_PGM_RSRC2:TIDIG_COMP_CNT: 0
	.section	.text._ZN2at6native27unrolled_elementwise_kernelINS0_13BinaryFunctorImmbNS0_12_GLOBAL__N_116CompareEqFunctorImEEEESt5arrayIPcLm3EELi4E23TrivialOffsetCalculatorILi2EjESA_ILi1EjENS0_6memory15LoadWithoutCastENSD_16StoreWithoutCastEEEviT_T0_T2_T3_T4_T5_,"axG",@progbits,_ZN2at6native27unrolled_elementwise_kernelINS0_13BinaryFunctorImmbNS0_12_GLOBAL__N_116CompareEqFunctorImEEEESt5arrayIPcLm3EELi4E23TrivialOffsetCalculatorILi2EjESA_ILi1EjENS0_6memory15LoadWithoutCastENSD_16StoreWithoutCastEEEviT_T0_T2_T3_T4_T5_,comdat
	.globl	_ZN2at6native27unrolled_elementwise_kernelINS0_13BinaryFunctorImmbNS0_12_GLOBAL__N_116CompareEqFunctorImEEEESt5arrayIPcLm3EELi4E23TrivialOffsetCalculatorILi2EjESA_ILi1EjENS0_6memory15LoadWithoutCastENSD_16StoreWithoutCastEEEviT_T0_T2_T3_T4_T5_ ; -- Begin function _ZN2at6native27unrolled_elementwise_kernelINS0_13BinaryFunctorImmbNS0_12_GLOBAL__N_116CompareEqFunctorImEEEESt5arrayIPcLm3EELi4E23TrivialOffsetCalculatorILi2EjESA_ILi1EjENS0_6memory15LoadWithoutCastENSD_16StoreWithoutCastEEEviT_T0_T2_T3_T4_T5_
	.p2align	8
	.type	_ZN2at6native27unrolled_elementwise_kernelINS0_13BinaryFunctorImmbNS0_12_GLOBAL__N_116CompareEqFunctorImEEEESt5arrayIPcLm3EELi4E23TrivialOffsetCalculatorILi2EjESA_ILi1EjENS0_6memory15LoadWithoutCastENSD_16StoreWithoutCastEEEviT_T0_T2_T3_T4_T5_,@function
_ZN2at6native27unrolled_elementwise_kernelINS0_13BinaryFunctorImmbNS0_12_GLOBAL__N_116CompareEqFunctorImEEEESt5arrayIPcLm3EELi4E23TrivialOffsetCalculatorILi2EjESA_ILi1EjENS0_6memory15LoadWithoutCastENSD_16StoreWithoutCastEEEviT_T0_T2_T3_T4_T5_: ; @_ZN2at6native27unrolled_elementwise_kernelINS0_13BinaryFunctorImmbNS0_12_GLOBAL__N_116CompareEqFunctorImEEEESt5arrayIPcLm3EELi4E23TrivialOffsetCalculatorILi2EjESA_ILi1EjENS0_6memory15LoadWithoutCastENSD_16StoreWithoutCastEEEviT_T0_T2_T3_T4_T5_
; %bb.0:
	s_load_dwordx2 s[2:3], s[4:5], 0x0
	s_load_dwordx4 s[8:11], s[4:5], 0x8
	s_load_dwordx2 s[12:13], s[4:5], 0x18
	s_lshl_b32 s20, s6, 10
	s_mov_b64 s[4:5], 0
	s_waitcnt lgkmcnt(0)
	s_sub_i32 s21, s2, s20
	v_cmp_gt_i32_e32 vcc, s21, v0
	v_or_b32_e32 v1, s20, v0
	s_mov_b64 s[6:7], 0
	v_mov_b32_e32 v2, v0
	s_and_saveexec_b64 s[14:15], vcc
	s_cbranch_execz .LBB361_2
; %bb.1:
	v_mov_b32_e32 v2, 0
	v_lshlrev_b64 v[2:3], 3, v[1:2]
	v_mov_b32_e32 v5, s11
	v_add_co_u32_e64 v4, s[0:1], s10, v2
	v_addc_co_u32_e64 v5, s[0:1], v5, v3, s[0:1]
	v_mov_b32_e32 v6, s13
	v_add_co_u32_e64 v2, s[0:1], s12, v2
	v_addc_co_u32_e64 v3, s[0:1], v6, v3, s[0:1]
	global_load_dwordx2 v[6:7], v[4:5], off
	global_load_dwordx2 v[8:9], v[2:3], off
	v_or_b32_e32 v2, 0x100, v0
	s_waitcnt vmcnt(0)
	v_cmp_ne_u64_e64 s[0:1], v[6:7], v[8:9]
	s_and_b64 s[6:7], s[0:1], exec
.LBB361_2:
	s_or_b64 exec, exec, s[14:15]
	v_cmp_gt_i32_e64 s[0:1], s21, v2
	s_and_saveexec_b64 s[14:15], s[0:1]
	s_cbranch_execz .LBB361_4
; %bb.3:
	v_add_u32_e32 v3, s20, v2
	v_mov_b32_e32 v4, 0
	v_lshlrev_b64 v[3:4], 3, v[3:4]
	v_mov_b32_e32 v6, s11
	v_add_co_u32_e64 v5, s[0:1], s10, v3
	v_addc_co_u32_e64 v6, s[0:1], v6, v4, s[0:1]
	v_mov_b32_e32 v7, s13
	v_add_co_u32_e64 v3, s[0:1], s12, v3
	v_addc_co_u32_e64 v4, s[0:1], v7, v4, s[0:1]
	global_load_dwordx2 v[7:8], v[5:6], off
	global_load_dwordx2 v[9:10], v[3:4], off
	v_add_u32_e32 v2, 0x100, v2
	s_waitcnt vmcnt(0)
	v_cmp_ne_u64_e64 s[0:1], v[7:8], v[9:10]
	s_and_b64 s[4:5], s[0:1], exec
.LBB361_4:
	s_or_b64 exec, exec, s[14:15]
	v_cmp_gt_i32_e64 s[0:1], s21, v2
	s_mov_b64 s[14:15], 0
	s_mov_b64 s[16:17], 0
	s_and_saveexec_b64 s[18:19], s[0:1]
	s_cbranch_execz .LBB361_6
; %bb.5:
	v_add_u32_e32 v3, s20, v2
	v_mov_b32_e32 v4, 0
	v_lshlrev_b64 v[3:4], 3, v[3:4]
	v_mov_b32_e32 v6, s11
	v_add_co_u32_e64 v5, s[0:1], s10, v3
	v_addc_co_u32_e64 v6, s[0:1], v6, v4, s[0:1]
	v_mov_b32_e32 v7, s13
	v_add_co_u32_e64 v3, s[0:1], s12, v3
	v_addc_co_u32_e64 v4, s[0:1], v7, v4, s[0:1]
	global_load_dwordx2 v[7:8], v[5:6], off
	global_load_dwordx2 v[9:10], v[3:4], off
	v_add_u32_e32 v2, 0x100, v2
	s_waitcnt vmcnt(0)
	v_cmp_ne_u64_e64 s[0:1], v[7:8], v[9:10]
	s_and_b64 s[16:17], s[0:1], exec
.LBB361_6:
	s_or_b64 exec, exec, s[18:19]
	v_cmp_gt_i32_e64 s[0:1], s21, v2
	s_and_saveexec_b64 s[18:19], s[0:1]
	s_cbranch_execz .LBB361_8
; %bb.7:
	v_add_u32_e32 v2, s20, v2
	v_mov_b32_e32 v3, 0
	v_lshlrev_b64 v[2:3], 3, v[2:3]
	v_mov_b32_e32 v5, s11
	v_add_co_u32_e64 v4, s[0:1], s10, v2
	v_addc_co_u32_e64 v5, s[0:1], v5, v3, s[0:1]
	v_mov_b32_e32 v6, s13
	v_add_co_u32_e64 v2, s[0:1], s12, v2
	v_addc_co_u32_e64 v3, s[0:1], v6, v3, s[0:1]
	global_load_dwordx2 v[6:7], v[4:5], off
	global_load_dwordx2 v[8:9], v[2:3], off
	s_waitcnt vmcnt(0)
	v_cmp_ne_u64_e64 s[0:1], v[6:7], v[8:9]
	s_and_b64 s[14:15], s[0:1], exec
.LBB361_8:
	s_or_b64 exec, exec, s[18:19]
	s_cmp_eq_u32 s3, 0
	s_cselect_b64 s[0:1], -1, 0
	s_and_saveexec_b64 s[2:3], vcc
	s_cbranch_execnz .LBB361_13
; %bb.9:
	s_or_b64 exec, exec, s[2:3]
	v_cmp_gt_i32_e32 vcc, s21, v0
	s_and_saveexec_b64 s[2:3], vcc
	s_cbranch_execnz .LBB361_14
.LBB361_10:
	s_or_b64 exec, exec, s[2:3]
	v_cmp_gt_i32_e32 vcc, s21, v0
	s_and_saveexec_b64 s[2:3], vcc
	s_cbranch_execnz .LBB361_15
.LBB361_11:
	s_or_b64 exec, exec, s[2:3]
	v_cmp_gt_i32_e32 vcc, s21, v0
	s_and_saveexec_b64 s[2:3], vcc
	s_cbranch_execnz .LBB361_16
.LBB361_12:
	s_endpgm
.LBB361_13:
	s_xor_b64 s[6:7], s[0:1], s[6:7]
	v_or_b32_e32 v0, 0x100, v0
	v_cndmask_b32_e64 v2, 0, 1, s[6:7]
	global_store_byte v1, v2, s[8:9]
	s_or_b64 exec, exec, s[2:3]
	v_cmp_gt_i32_e32 vcc, s21, v0
	s_and_saveexec_b64 s[2:3], vcc
	s_cbranch_execz .LBB361_10
.LBB361_14:
	s_xor_b64 s[4:5], s[0:1], s[4:5]
	v_cndmask_b32_e64 v1, 0, 1, s[4:5]
	v_add_u32_e32 v2, 0x100, v0
	v_add_u32_e32 v0, s20, v0
	global_store_byte v0, v1, s[8:9]
	v_mov_b32_e32 v0, v2
	s_or_b64 exec, exec, s[2:3]
	v_cmp_gt_i32_e32 vcc, s21, v0
	s_and_saveexec_b64 s[2:3], vcc
	s_cbranch_execz .LBB361_11
.LBB361_15:
	s_xor_b64 s[4:5], s[0:1], s[16:17]
	v_cndmask_b32_e64 v1, 0, 1, s[4:5]
	v_add_u32_e32 v2, 0x100, v0
	v_add_u32_e32 v0, s20, v0
	global_store_byte v0, v1, s[8:9]
	v_mov_b32_e32 v0, v2
	s_or_b64 exec, exec, s[2:3]
	v_cmp_gt_i32_e32 vcc, s21, v0
	s_and_saveexec_b64 s[2:3], vcc
	s_cbranch_execz .LBB361_12
.LBB361_16:
	s_xor_b64 s[0:1], s[0:1], s[14:15]
	v_cndmask_b32_e64 v1, 0, 1, s[0:1]
	v_add_u32_e32 v0, s20, v0
	global_store_byte v0, v1, s[8:9]
	s_endpgm
	.section	.rodata,"a",@progbits
	.p2align	6, 0x0
	.amdhsa_kernel _ZN2at6native27unrolled_elementwise_kernelINS0_13BinaryFunctorImmbNS0_12_GLOBAL__N_116CompareEqFunctorImEEEESt5arrayIPcLm3EELi4E23TrivialOffsetCalculatorILi2EjESA_ILi1EjENS0_6memory15LoadWithoutCastENSD_16StoreWithoutCastEEEviT_T0_T2_T3_T4_T5_
		.amdhsa_group_segment_fixed_size 0
		.amdhsa_private_segment_fixed_size 0
		.amdhsa_kernarg_size 36
		.amdhsa_user_sgpr_count 6
		.amdhsa_user_sgpr_private_segment_buffer 1
		.amdhsa_user_sgpr_dispatch_ptr 0
		.amdhsa_user_sgpr_queue_ptr 0
		.amdhsa_user_sgpr_kernarg_segment_ptr 1
		.amdhsa_user_sgpr_dispatch_id 0
		.amdhsa_user_sgpr_flat_scratch_init 0
		.amdhsa_user_sgpr_private_segment_size 0
		.amdhsa_uses_dynamic_stack 0
		.amdhsa_system_sgpr_private_segment_wavefront_offset 0
		.amdhsa_system_sgpr_workgroup_id_x 1
		.amdhsa_system_sgpr_workgroup_id_y 0
		.amdhsa_system_sgpr_workgroup_id_z 0
		.amdhsa_system_sgpr_workgroup_info 0
		.amdhsa_system_vgpr_workitem_id 0
		.amdhsa_next_free_vgpr 11
		.amdhsa_next_free_sgpr 22
		.amdhsa_reserve_vcc 1
		.amdhsa_reserve_flat_scratch 0
		.amdhsa_float_round_mode_32 0
		.amdhsa_float_round_mode_16_64 0
		.amdhsa_float_denorm_mode_32 3
		.amdhsa_float_denorm_mode_16_64 3
		.amdhsa_dx10_clamp 1
		.amdhsa_ieee_mode 1
		.amdhsa_fp16_overflow 0
		.amdhsa_exception_fp_ieee_invalid_op 0
		.amdhsa_exception_fp_denorm_src 0
		.amdhsa_exception_fp_ieee_div_zero 0
		.amdhsa_exception_fp_ieee_overflow 0
		.amdhsa_exception_fp_ieee_underflow 0
		.amdhsa_exception_fp_ieee_inexact 0
		.amdhsa_exception_int_div_zero 0
	.end_amdhsa_kernel
	.section	.text._ZN2at6native27unrolled_elementwise_kernelINS0_13BinaryFunctorImmbNS0_12_GLOBAL__N_116CompareEqFunctorImEEEESt5arrayIPcLm3EELi4E23TrivialOffsetCalculatorILi2EjESA_ILi1EjENS0_6memory15LoadWithoutCastENSD_16StoreWithoutCastEEEviT_T0_T2_T3_T4_T5_,"axG",@progbits,_ZN2at6native27unrolled_elementwise_kernelINS0_13BinaryFunctorImmbNS0_12_GLOBAL__N_116CompareEqFunctorImEEEESt5arrayIPcLm3EELi4E23TrivialOffsetCalculatorILi2EjESA_ILi1EjENS0_6memory15LoadWithoutCastENSD_16StoreWithoutCastEEEviT_T0_T2_T3_T4_T5_,comdat
.Lfunc_end361:
	.size	_ZN2at6native27unrolled_elementwise_kernelINS0_13BinaryFunctorImmbNS0_12_GLOBAL__N_116CompareEqFunctorImEEEESt5arrayIPcLm3EELi4E23TrivialOffsetCalculatorILi2EjESA_ILi1EjENS0_6memory15LoadWithoutCastENSD_16StoreWithoutCastEEEviT_T0_T2_T3_T4_T5_, .Lfunc_end361-_ZN2at6native27unrolled_elementwise_kernelINS0_13BinaryFunctorImmbNS0_12_GLOBAL__N_116CompareEqFunctorImEEEESt5arrayIPcLm3EELi4E23TrivialOffsetCalculatorILi2EjESA_ILi1EjENS0_6memory15LoadWithoutCastENSD_16StoreWithoutCastEEEviT_T0_T2_T3_T4_T5_
                                        ; -- End function
	.set _ZN2at6native27unrolled_elementwise_kernelINS0_13BinaryFunctorImmbNS0_12_GLOBAL__N_116CompareEqFunctorImEEEESt5arrayIPcLm3EELi4E23TrivialOffsetCalculatorILi2EjESA_ILi1EjENS0_6memory15LoadWithoutCastENSD_16StoreWithoutCastEEEviT_T0_T2_T3_T4_T5_.num_vgpr, 11
	.set _ZN2at6native27unrolled_elementwise_kernelINS0_13BinaryFunctorImmbNS0_12_GLOBAL__N_116CompareEqFunctorImEEEESt5arrayIPcLm3EELi4E23TrivialOffsetCalculatorILi2EjESA_ILi1EjENS0_6memory15LoadWithoutCastENSD_16StoreWithoutCastEEEviT_T0_T2_T3_T4_T5_.num_agpr, 0
	.set _ZN2at6native27unrolled_elementwise_kernelINS0_13BinaryFunctorImmbNS0_12_GLOBAL__N_116CompareEqFunctorImEEEESt5arrayIPcLm3EELi4E23TrivialOffsetCalculatorILi2EjESA_ILi1EjENS0_6memory15LoadWithoutCastENSD_16StoreWithoutCastEEEviT_T0_T2_T3_T4_T5_.numbered_sgpr, 22
	.set _ZN2at6native27unrolled_elementwise_kernelINS0_13BinaryFunctorImmbNS0_12_GLOBAL__N_116CompareEqFunctorImEEEESt5arrayIPcLm3EELi4E23TrivialOffsetCalculatorILi2EjESA_ILi1EjENS0_6memory15LoadWithoutCastENSD_16StoreWithoutCastEEEviT_T0_T2_T3_T4_T5_.num_named_barrier, 0
	.set _ZN2at6native27unrolled_elementwise_kernelINS0_13BinaryFunctorImmbNS0_12_GLOBAL__N_116CompareEqFunctorImEEEESt5arrayIPcLm3EELi4E23TrivialOffsetCalculatorILi2EjESA_ILi1EjENS0_6memory15LoadWithoutCastENSD_16StoreWithoutCastEEEviT_T0_T2_T3_T4_T5_.private_seg_size, 0
	.set _ZN2at6native27unrolled_elementwise_kernelINS0_13BinaryFunctorImmbNS0_12_GLOBAL__N_116CompareEqFunctorImEEEESt5arrayIPcLm3EELi4E23TrivialOffsetCalculatorILi2EjESA_ILi1EjENS0_6memory15LoadWithoutCastENSD_16StoreWithoutCastEEEviT_T0_T2_T3_T4_T5_.uses_vcc, 1
	.set _ZN2at6native27unrolled_elementwise_kernelINS0_13BinaryFunctorImmbNS0_12_GLOBAL__N_116CompareEqFunctorImEEEESt5arrayIPcLm3EELi4E23TrivialOffsetCalculatorILi2EjESA_ILi1EjENS0_6memory15LoadWithoutCastENSD_16StoreWithoutCastEEEviT_T0_T2_T3_T4_T5_.uses_flat_scratch, 0
	.set _ZN2at6native27unrolled_elementwise_kernelINS0_13BinaryFunctorImmbNS0_12_GLOBAL__N_116CompareEqFunctorImEEEESt5arrayIPcLm3EELi4E23TrivialOffsetCalculatorILi2EjESA_ILi1EjENS0_6memory15LoadWithoutCastENSD_16StoreWithoutCastEEEviT_T0_T2_T3_T4_T5_.has_dyn_sized_stack, 0
	.set _ZN2at6native27unrolled_elementwise_kernelINS0_13BinaryFunctorImmbNS0_12_GLOBAL__N_116CompareEqFunctorImEEEESt5arrayIPcLm3EELi4E23TrivialOffsetCalculatorILi2EjESA_ILi1EjENS0_6memory15LoadWithoutCastENSD_16StoreWithoutCastEEEviT_T0_T2_T3_T4_T5_.has_recursion, 0
	.set _ZN2at6native27unrolled_elementwise_kernelINS0_13BinaryFunctorImmbNS0_12_GLOBAL__N_116CompareEqFunctorImEEEESt5arrayIPcLm3EELi4E23TrivialOffsetCalculatorILi2EjESA_ILi1EjENS0_6memory15LoadWithoutCastENSD_16StoreWithoutCastEEEviT_T0_T2_T3_T4_T5_.has_indirect_call, 0
	.section	.AMDGPU.csdata,"",@progbits
; Kernel info:
; codeLenInByte = 752
; TotalNumSgprs: 26
; NumVgprs: 11
; ScratchSize: 0
; MemoryBound: 0
; FloatMode: 240
; IeeeMode: 1
; LDSByteSize: 0 bytes/workgroup (compile time only)
; SGPRBlocks: 3
; VGPRBlocks: 2
; NumSGPRsForWavesPerEU: 26
; NumVGPRsForWavesPerEU: 11
; Occupancy: 10
; WaveLimiterHint : 0
; COMPUTE_PGM_RSRC2:SCRATCH_EN: 0
; COMPUTE_PGM_RSRC2:USER_SGPR: 6
; COMPUTE_PGM_RSRC2:TRAP_HANDLER: 0
; COMPUTE_PGM_RSRC2:TGID_X_EN: 1
; COMPUTE_PGM_RSRC2:TGID_Y_EN: 0
; COMPUTE_PGM_RSRC2:TGID_Z_EN: 0
; COMPUTE_PGM_RSRC2:TIDIG_COMP_CNT: 0
	.section	.text._ZN2at6native32elementwise_kernel_manual_unrollILi128ELi8EZNS0_22gpu_kernel_impl_nocastINS0_13BinaryFunctorImmbNS0_12_GLOBAL__N_116CompareEqFunctorImEEEEEEvRNS_18TensorIteratorBaseERKT_EUlibE_EEviT1_,"axG",@progbits,_ZN2at6native32elementwise_kernel_manual_unrollILi128ELi8EZNS0_22gpu_kernel_impl_nocastINS0_13BinaryFunctorImmbNS0_12_GLOBAL__N_116CompareEqFunctorImEEEEEEvRNS_18TensorIteratorBaseERKT_EUlibE_EEviT1_,comdat
	.globl	_ZN2at6native32elementwise_kernel_manual_unrollILi128ELi8EZNS0_22gpu_kernel_impl_nocastINS0_13BinaryFunctorImmbNS0_12_GLOBAL__N_116CompareEqFunctorImEEEEEEvRNS_18TensorIteratorBaseERKT_EUlibE_EEviT1_ ; -- Begin function _ZN2at6native32elementwise_kernel_manual_unrollILi128ELi8EZNS0_22gpu_kernel_impl_nocastINS0_13BinaryFunctorImmbNS0_12_GLOBAL__N_116CompareEqFunctorImEEEEEEvRNS_18TensorIteratorBaseERKT_EUlibE_EEviT1_
	.p2align	8
	.type	_ZN2at6native32elementwise_kernel_manual_unrollILi128ELi8EZNS0_22gpu_kernel_impl_nocastINS0_13BinaryFunctorImmbNS0_12_GLOBAL__N_116CompareEqFunctorImEEEEEEvRNS_18TensorIteratorBaseERKT_EUlibE_EEviT1_,@function
_ZN2at6native32elementwise_kernel_manual_unrollILi128ELi8EZNS0_22gpu_kernel_impl_nocastINS0_13BinaryFunctorImmbNS0_12_GLOBAL__N_116CompareEqFunctorImEEEEEEvRNS_18TensorIteratorBaseERKT_EUlibE_EEviT1_: ; @_ZN2at6native32elementwise_kernel_manual_unrollILi128ELi8EZNS0_22gpu_kernel_impl_nocastINS0_13BinaryFunctorImmbNS0_12_GLOBAL__N_116CompareEqFunctorImEEEEEEvRNS_18TensorIteratorBaseERKT_EUlibE_EEviT1_
; %bb.0:
	s_load_dword s38, s[4:5], 0x0
	s_load_dword s33, s[4:5], 0x8
	s_add_u32 s12, s4, 8
	s_addc_u32 s13, s5, 0
	v_lshl_or_b32 v31, s6, 10, v0
	v_or_b32_e32 v41, 0x380, v31
	s_waitcnt lgkmcnt(0)
	s_add_i32 s36, s33, -1
	s_cmp_gt_u32 s36, 1
	v_cmp_le_i32_e32 vcc, s38, v41
	s_cselect_b64 s[14:15], -1, 0
	s_and_saveexec_b64 s[0:1], vcc
	s_xor_b64 s[16:17], exec, s[0:1]
	s_cbranch_execz .LBB362_106
; %bb.1:
	s_load_dwordx4 s[8:11], s[12:13], 0x4
	s_load_dwordx2 s[24:25], s[12:13], 0x14
	s_load_dwordx4 s[4:7], s[12:13], 0xc4
	s_load_dwordx2 s[22:23], s[12:13], 0xd4
	s_load_dword s20, s[12:13], 0x1a0
	s_cmp_lg_u32 s33, 0
	s_load_dwordx2 s[18:19], s[12:13], 0x198
	s_load_dwordx4 s[0:3], s[12:13], 0x188
	s_cselect_b64 s[28:29], -1, 0
	s_min_u32 s37, s36, 15
	s_cmp_gt_u32 s33, 1
	s_cselect_b64 s[26:27], -1, 0
	s_waitcnt lgkmcnt(0)
	s_cmp_eq_u32 s20, 0
	s_cselect_b64 s[20:21], -1, 0
	v_cmp_gt_i32_e32 vcc, s38, v31
	s_and_saveexec_b64 s[30:31], vcc
	s_cbranch_execnz .LBB362_9
; %bb.2:
	s_or_b64 exec, exec, s[30:31]
	v_cmp_gt_i32_e32 vcc, s38, v31
	s_and_saveexec_b64 s[30:31], vcc
	s_cbranch_execnz .LBB362_21
.LBB362_3:
	s_or_b64 exec, exec, s[30:31]
	v_cmp_gt_i32_e32 vcc, s38, v31
	s_and_saveexec_b64 s[30:31], vcc
	s_cbranch_execnz .LBB362_33
.LBB362_4:
	s_or_b64 exec, exec, s[30:31]
	v_cmp_gt_i32_e32 vcc, s38, v31
	s_and_saveexec_b64 s[30:31], vcc
	s_cbranch_execnz .LBB362_45
.LBB362_5:
	s_or_b64 exec, exec, s[30:31]
	v_cmp_gt_i32_e32 vcc, s38, v31
	s_and_saveexec_b64 s[30:31], vcc
	s_cbranch_execnz .LBB362_57
.LBB362_6:
	s_or_b64 exec, exec, s[30:31]
	v_cmp_gt_i32_e32 vcc, s38, v31
	s_and_saveexec_b64 s[30:31], vcc
	s_cbranch_execnz .LBB362_69
.LBB362_7:
	s_or_b64 exec, exec, s[30:31]
	v_cmp_gt_i32_e32 vcc, s38, v31
	s_and_saveexec_b64 s[30:31], vcc
	s_cbranch_execnz .LBB362_81
.LBB362_8:
	s_or_b64 exec, exec, s[30:31]
	v_cmp_gt_i32_e32 vcc, s38, v31
	s_and_saveexec_b64 s[30:31], vcc
	s_cbranch_execnz .LBB362_93
	s_branch .LBB362_105
.LBB362_9:
	s_andn2_b64 vcc, exec, s[14:15]
	s_cbranch_vccnz .LBB362_15
; %bb.10:
	s_andn2_b64 vcc, exec, s[28:29]
	s_cbranch_vccnz .LBB362_16
; %bb.11:
	s_add_i32 s34, s37, 1
	s_and_b32 s39, s34, 30
	s_add_u32 s34, s12, 0xffffffe8
	s_addc_u32 s35, s13, -1
	v_mov_b32_e32 v2, 0
	v_mov_b32_e32 v4, 0
	;; [unrolled: 1-line block ×4, first 2 shown]
.LBB362_12:                             ; =>This Inner Loop Header: Depth=1
	s_load_dwordx4 s[40:43], s[34:35], 0x1c
	s_load_dwordx2 s[48:49], s[34:35], 0x2c
	s_load_dwordx2 s[50:51], s[34:35], 0xec
	s_load_dwordx4 s[44:47], s[34:35], 0xdc
	s_add_u32 s34, s34, 24
	s_waitcnt lgkmcnt(0)
	v_mul_hi_u32 v3, s41, v1
	s_addc_u32 s35, s35, 0
	s_add_i32 s39, s39, -2
	s_cmp_lg_u32 s39, 0
	v_add_u32_e32 v3, v1, v3
	v_lshrrev_b32_e32 v3, s42, v3
	v_mul_lo_u32 v5, v3, s40
	v_mul_hi_u32 v6, s48, v3
	v_sub_u32_e32 v5, v1, v5
	v_add_u32_e32 v1, v3, v6
	v_lshrrev_b32_e32 v1, s49, v1
	v_mul_lo_u32 v8, v1, s43
	v_mul_lo_u32 v6, v5, s44
	;; [unrolled: 1-line block ×4, first 2 shown]
	v_sub_u32_e32 v3, v3, v8
	v_mul_lo_u32 v8, v3, s47
	v_mul_lo_u32 v9, v3, s50
	;; [unrolled: 1-line block ×3, first 2 shown]
	v_add3_u32 v0, v6, v0, v8
	v_add3_u32 v4, v7, v4, v9
	;; [unrolled: 1-line block ×3, first 2 shown]
	s_cbranch_scc1 .LBB362_12
; %bb.13:
	s_bitcmp1_b32 s37, 0
	s_cselect_b64 s[40:41], -1, 0
	s_and_b64 vcc, exec, s[40:41]
	s_cbranch_vccnz .LBB362_17
; %bb.14:
	s_load_dwordx2 s[40:41], s[34:35], 0x1c
	s_load_dword s39, s[34:35], 0x24
	s_load_dwordx2 s[42:43], s[34:35], 0xdc
	s_waitcnt lgkmcnt(0)
	v_mul_hi_u32 v3, s41, v1
	v_add_u32_e32 v3, v1, v3
	v_lshrrev_b32_e32 v3, s39, v3
	v_mul_lo_u32 v3, v3, s40
	s_load_dword s39, s[34:35], 0xe4
	v_sub_u32_e32 v3, v1, v3
	v_mad_u64_u32 v[0:1], s[34:35], v3, s42, v[0:1]
	v_mad_u64_u32 v[4:5], s[34:35], v3, s43, v[4:5]
	s_waitcnt lgkmcnt(0)
	v_mad_u64_u32 v[2:3], s[34:35], v3, s39, v[2:3]
	s_cbranch_execz .LBB362_18
	s_branch .LBB362_20
.LBB362_15:
                                        ; implicit-def: $vgpr0
                                        ; implicit-def: $vgpr4
                                        ; implicit-def: $vgpr2
	s_branch .LBB362_18
.LBB362_16:
	v_mov_b32_e32 v0, 0
	v_mov_b32_e32 v4, 0
	v_mov_b32_e32 v2, 0
.LBB362_17:
	s_cbranch_execnz .LBB362_20
.LBB362_18:
	v_mul_hi_u32 v0, s9, v31
	s_andn2_b64 vcc, exec, s[26:27]
	v_add_u32_e32 v0, v31, v0
	v_lshrrev_b32_e32 v1, s10, v0
	v_mul_lo_u32 v0, v1, s8
	v_sub_u32_e32 v2, v31, v0
	v_mul_lo_u32 v0, v2, s4
	v_mul_lo_u32 v4, v2, s5
	;; [unrolled: 1-line block ×3, first 2 shown]
	s_cbranch_vccnz .LBB362_20
; %bb.19:
	v_mul_hi_u32 v3, s24, v1
	v_add_u32_e32 v3, v1, v3
	v_lshrrev_b32_e32 v3, s25, v3
	v_mul_lo_u32 v3, v3, s11
	v_sub_u32_e32 v3, v1, v3
	v_mad_u64_u32 v[0:1], s[34:35], v3, s7, v[0:1]
	v_mad_u64_u32 v[4:5], s[34:35], v3, s22, v[4:5]
	;; [unrolled: 1-line block ×3, first 2 shown]
.LBB362_20:
	global_load_dwordx2 v[5:6], v4, s[2:3]
	global_load_dwordx2 v[7:8], v2, s[18:19]
	v_add_u32_e32 v31, 0x80, v31
	s_waitcnt vmcnt(0)
	v_cmp_ne_u64_e32 vcc, v[5:6], v[7:8]
	s_xor_b64 s[34:35], s[20:21], vcc
	v_cndmask_b32_e64 v1, 0, 1, s[34:35]
	global_store_byte v0, v1, s[0:1]
	s_or_b64 exec, exec, s[30:31]
	v_cmp_gt_i32_e32 vcc, s38, v31
	s_and_saveexec_b64 s[30:31], vcc
	s_cbranch_execz .LBB362_3
.LBB362_21:
	s_andn2_b64 vcc, exec, s[14:15]
	s_cbranch_vccnz .LBB362_27
; %bb.22:
	s_andn2_b64 vcc, exec, s[28:29]
	s_cbranch_vccnz .LBB362_28
; %bb.23:
	s_add_i32 s34, s37, 1
	s_and_b32 s39, s34, 30
	s_add_u32 s34, s12, 0xffffffe8
	s_addc_u32 s35, s13, -1
	v_mov_b32_e32 v2, 0
	v_mov_b32_e32 v4, 0
	;; [unrolled: 1-line block ×4, first 2 shown]
.LBB362_24:                             ; =>This Inner Loop Header: Depth=1
	s_load_dwordx4 s[40:43], s[34:35], 0x1c
	s_load_dwordx2 s[48:49], s[34:35], 0x2c
	s_load_dwordx2 s[50:51], s[34:35], 0xec
	s_load_dwordx4 s[44:47], s[34:35], 0xdc
	s_add_u32 s34, s34, 24
	s_waitcnt lgkmcnt(0)
	v_mul_hi_u32 v3, s41, v1
	s_addc_u32 s35, s35, 0
	s_add_i32 s39, s39, -2
	s_cmp_eq_u32 s39, 0
	v_add_u32_e32 v3, v1, v3
	v_lshrrev_b32_e32 v3, s42, v3
	v_mul_lo_u32 v5, v3, s40
	v_mul_hi_u32 v6, s48, v3
	v_sub_u32_e32 v5, v1, v5
	v_add_u32_e32 v1, v3, v6
	v_lshrrev_b32_e32 v1, s49, v1
	v_mul_lo_u32 v8, v1, s43
	v_mul_lo_u32 v6, v5, s44
	;; [unrolled: 1-line block ×4, first 2 shown]
	v_sub_u32_e32 v3, v3, v8
	v_mul_lo_u32 v8, v3, s47
	v_mul_lo_u32 v9, v3, s50
	;; [unrolled: 1-line block ×3, first 2 shown]
	v_add3_u32 v0, v6, v0, v8
	v_add3_u32 v4, v7, v4, v9
	;; [unrolled: 1-line block ×3, first 2 shown]
	s_cbranch_scc0 .LBB362_24
; %bb.25:
	s_bitcmp1_b32 s37, 0
	s_cselect_b64 s[40:41], -1, 0
	s_and_b64 vcc, exec, s[40:41]
	s_cbranch_vccnz .LBB362_29
; %bb.26:
	s_load_dwordx2 s[40:41], s[34:35], 0x1c
	s_load_dword s39, s[34:35], 0x24
	s_load_dwordx2 s[42:43], s[34:35], 0xdc
	s_waitcnt lgkmcnt(0)
	v_mul_hi_u32 v3, s41, v1
	v_add_u32_e32 v3, v1, v3
	v_lshrrev_b32_e32 v3, s39, v3
	v_mul_lo_u32 v3, v3, s40
	s_load_dword s39, s[34:35], 0xe4
	v_sub_u32_e32 v3, v1, v3
	v_mad_u64_u32 v[0:1], s[34:35], v3, s42, v[0:1]
	v_mad_u64_u32 v[4:5], s[34:35], v3, s43, v[4:5]
	s_waitcnt lgkmcnt(0)
	v_mad_u64_u32 v[2:3], s[34:35], v3, s39, v[2:3]
	s_branch .LBB362_29
.LBB362_27:
                                        ; implicit-def: $vgpr0
                                        ; implicit-def: $vgpr4
                                        ; implicit-def: $vgpr2
	s_branch .LBB362_30
.LBB362_28:
	v_mov_b32_e32 v0, 0
	v_mov_b32_e32 v4, 0
	;; [unrolled: 1-line block ×3, first 2 shown]
.LBB362_29:
	s_cbranch_execnz .LBB362_32
.LBB362_30:
	v_mul_hi_u32 v0, s9, v31
	s_andn2_b64 vcc, exec, s[26:27]
	v_add_u32_e32 v0, v31, v0
	v_lshrrev_b32_e32 v1, s10, v0
	v_mul_lo_u32 v0, v1, s8
	v_sub_u32_e32 v2, v31, v0
	v_mul_lo_u32 v0, v2, s4
	v_mul_lo_u32 v4, v2, s5
	;; [unrolled: 1-line block ×3, first 2 shown]
	s_cbranch_vccnz .LBB362_32
; %bb.31:
	v_mul_hi_u32 v3, s24, v1
	v_add_u32_e32 v3, v1, v3
	v_lshrrev_b32_e32 v3, s25, v3
	v_mul_lo_u32 v3, v3, s11
	v_sub_u32_e32 v3, v1, v3
	v_mad_u64_u32 v[0:1], s[34:35], v3, s7, v[0:1]
	v_mad_u64_u32 v[4:5], s[34:35], v3, s22, v[4:5]
	;; [unrolled: 1-line block ×3, first 2 shown]
.LBB362_32:
	global_load_dwordx2 v[5:6], v4, s[2:3]
	global_load_dwordx2 v[7:8], v2, s[18:19]
	v_add_u32_e32 v31, 0x80, v31
	s_waitcnt vmcnt(0)
	v_cmp_ne_u64_e32 vcc, v[5:6], v[7:8]
	s_xor_b64 s[34:35], s[20:21], vcc
	v_cndmask_b32_e64 v1, 0, 1, s[34:35]
	global_store_byte v0, v1, s[0:1]
	s_or_b64 exec, exec, s[30:31]
	v_cmp_gt_i32_e32 vcc, s38, v31
	s_and_saveexec_b64 s[30:31], vcc
	s_cbranch_execz .LBB362_4
.LBB362_33:
	s_andn2_b64 vcc, exec, s[14:15]
	s_cbranch_vccnz .LBB362_39
; %bb.34:
	s_andn2_b64 vcc, exec, s[28:29]
	s_cbranch_vccnz .LBB362_40
; %bb.35:
	s_add_i32 s34, s37, 1
	s_and_b32 s39, s34, 30
	s_add_u32 s34, s12, 0xffffffe8
	s_addc_u32 s35, s13, -1
	v_mov_b32_e32 v2, 0
	v_mov_b32_e32 v4, 0
	;; [unrolled: 1-line block ×4, first 2 shown]
.LBB362_36:                             ; =>This Inner Loop Header: Depth=1
	s_load_dwordx4 s[40:43], s[34:35], 0x1c
	s_load_dwordx2 s[48:49], s[34:35], 0x2c
	s_load_dwordx2 s[50:51], s[34:35], 0xec
	s_load_dwordx4 s[44:47], s[34:35], 0xdc
	s_add_u32 s34, s34, 24
	s_waitcnt lgkmcnt(0)
	v_mul_hi_u32 v3, s41, v1
	s_addc_u32 s35, s35, 0
	s_add_i32 s39, s39, -2
	s_cmp_eq_u32 s39, 0
	v_add_u32_e32 v3, v1, v3
	v_lshrrev_b32_e32 v3, s42, v3
	v_mul_lo_u32 v5, v3, s40
	v_mul_hi_u32 v6, s48, v3
	v_sub_u32_e32 v5, v1, v5
	v_add_u32_e32 v1, v3, v6
	v_lshrrev_b32_e32 v1, s49, v1
	v_mul_lo_u32 v8, v1, s43
	v_mul_lo_u32 v6, v5, s44
	v_mul_lo_u32 v7, v5, s45
	v_mul_lo_u32 v5, v5, s46
	v_sub_u32_e32 v3, v3, v8
	v_mul_lo_u32 v8, v3, s47
	v_mul_lo_u32 v9, v3, s50
	;; [unrolled: 1-line block ×3, first 2 shown]
	v_add3_u32 v0, v6, v0, v8
	v_add3_u32 v4, v7, v4, v9
	;; [unrolled: 1-line block ×3, first 2 shown]
	s_cbranch_scc0 .LBB362_36
; %bb.37:
	s_bitcmp1_b32 s37, 0
	s_cselect_b64 s[40:41], -1, 0
	s_and_b64 vcc, exec, s[40:41]
	s_cbranch_vccnz .LBB362_41
; %bb.38:
	s_load_dwordx2 s[40:41], s[34:35], 0x1c
	s_load_dword s39, s[34:35], 0x24
	s_load_dwordx2 s[42:43], s[34:35], 0xdc
	s_waitcnt lgkmcnt(0)
	v_mul_hi_u32 v3, s41, v1
	v_add_u32_e32 v3, v1, v3
	v_lshrrev_b32_e32 v3, s39, v3
	v_mul_lo_u32 v3, v3, s40
	s_load_dword s39, s[34:35], 0xe4
	v_sub_u32_e32 v3, v1, v3
	v_mad_u64_u32 v[0:1], s[34:35], v3, s42, v[0:1]
	v_mad_u64_u32 v[4:5], s[34:35], v3, s43, v[4:5]
	s_waitcnt lgkmcnt(0)
	v_mad_u64_u32 v[2:3], s[34:35], v3, s39, v[2:3]
	s_branch .LBB362_41
.LBB362_39:
                                        ; implicit-def: $vgpr0
                                        ; implicit-def: $vgpr4
                                        ; implicit-def: $vgpr2
	s_branch .LBB362_42
.LBB362_40:
	v_mov_b32_e32 v0, 0
	v_mov_b32_e32 v4, 0
	;; [unrolled: 1-line block ×3, first 2 shown]
.LBB362_41:
	s_cbranch_execnz .LBB362_44
.LBB362_42:
	v_mul_hi_u32 v0, s9, v31
	s_andn2_b64 vcc, exec, s[26:27]
	v_add_u32_e32 v0, v31, v0
	v_lshrrev_b32_e32 v1, s10, v0
	v_mul_lo_u32 v0, v1, s8
	v_sub_u32_e32 v2, v31, v0
	v_mul_lo_u32 v0, v2, s4
	v_mul_lo_u32 v4, v2, s5
	;; [unrolled: 1-line block ×3, first 2 shown]
	s_cbranch_vccnz .LBB362_44
; %bb.43:
	v_mul_hi_u32 v3, s24, v1
	v_add_u32_e32 v3, v1, v3
	v_lshrrev_b32_e32 v3, s25, v3
	v_mul_lo_u32 v3, v3, s11
	v_sub_u32_e32 v3, v1, v3
	v_mad_u64_u32 v[0:1], s[34:35], v3, s7, v[0:1]
	v_mad_u64_u32 v[4:5], s[34:35], v3, s22, v[4:5]
	;; [unrolled: 1-line block ×3, first 2 shown]
.LBB362_44:
	global_load_dwordx2 v[5:6], v4, s[2:3]
	global_load_dwordx2 v[7:8], v2, s[18:19]
	v_add_u32_e32 v31, 0x80, v31
	s_waitcnt vmcnt(0)
	v_cmp_ne_u64_e32 vcc, v[5:6], v[7:8]
	s_xor_b64 s[34:35], s[20:21], vcc
	v_cndmask_b32_e64 v1, 0, 1, s[34:35]
	global_store_byte v0, v1, s[0:1]
	s_or_b64 exec, exec, s[30:31]
	v_cmp_gt_i32_e32 vcc, s38, v31
	s_and_saveexec_b64 s[30:31], vcc
	s_cbranch_execz .LBB362_5
.LBB362_45:
	s_andn2_b64 vcc, exec, s[14:15]
	s_cbranch_vccnz .LBB362_51
; %bb.46:
	s_andn2_b64 vcc, exec, s[28:29]
	s_cbranch_vccnz .LBB362_52
; %bb.47:
	s_add_i32 s34, s37, 1
	s_and_b32 s39, s34, 30
	s_add_u32 s34, s12, 0xffffffe8
	s_addc_u32 s35, s13, -1
	v_mov_b32_e32 v2, 0
	v_mov_b32_e32 v4, 0
	;; [unrolled: 1-line block ×4, first 2 shown]
.LBB362_48:                             ; =>This Inner Loop Header: Depth=1
	s_load_dwordx4 s[40:43], s[34:35], 0x1c
	s_load_dwordx2 s[48:49], s[34:35], 0x2c
	s_load_dwordx2 s[50:51], s[34:35], 0xec
	s_load_dwordx4 s[44:47], s[34:35], 0xdc
	s_add_u32 s34, s34, 24
	s_waitcnt lgkmcnt(0)
	v_mul_hi_u32 v3, s41, v1
	s_addc_u32 s35, s35, 0
	s_add_i32 s39, s39, -2
	s_cmp_eq_u32 s39, 0
	v_add_u32_e32 v3, v1, v3
	v_lshrrev_b32_e32 v3, s42, v3
	v_mul_lo_u32 v5, v3, s40
	v_mul_hi_u32 v6, s48, v3
	v_sub_u32_e32 v5, v1, v5
	v_add_u32_e32 v1, v3, v6
	v_lshrrev_b32_e32 v1, s49, v1
	v_mul_lo_u32 v8, v1, s43
	v_mul_lo_u32 v6, v5, s44
	;; [unrolled: 1-line block ×4, first 2 shown]
	v_sub_u32_e32 v3, v3, v8
	v_mul_lo_u32 v8, v3, s47
	v_mul_lo_u32 v9, v3, s50
	;; [unrolled: 1-line block ×3, first 2 shown]
	v_add3_u32 v0, v6, v0, v8
	v_add3_u32 v4, v7, v4, v9
	;; [unrolled: 1-line block ×3, first 2 shown]
	s_cbranch_scc0 .LBB362_48
; %bb.49:
	s_bitcmp1_b32 s37, 0
	s_cselect_b64 s[40:41], -1, 0
	s_and_b64 vcc, exec, s[40:41]
	s_cbranch_vccnz .LBB362_53
; %bb.50:
	s_load_dwordx2 s[40:41], s[34:35], 0x1c
	s_load_dword s39, s[34:35], 0x24
	s_load_dwordx2 s[42:43], s[34:35], 0xdc
	s_waitcnt lgkmcnt(0)
	v_mul_hi_u32 v3, s41, v1
	v_add_u32_e32 v3, v1, v3
	v_lshrrev_b32_e32 v3, s39, v3
	v_mul_lo_u32 v3, v3, s40
	s_load_dword s39, s[34:35], 0xe4
	v_sub_u32_e32 v3, v1, v3
	v_mad_u64_u32 v[0:1], s[34:35], v3, s42, v[0:1]
	v_mad_u64_u32 v[4:5], s[34:35], v3, s43, v[4:5]
	s_waitcnt lgkmcnt(0)
	v_mad_u64_u32 v[2:3], s[34:35], v3, s39, v[2:3]
	s_branch .LBB362_53
.LBB362_51:
                                        ; implicit-def: $vgpr0
                                        ; implicit-def: $vgpr4
                                        ; implicit-def: $vgpr2
	s_branch .LBB362_54
.LBB362_52:
	v_mov_b32_e32 v0, 0
	v_mov_b32_e32 v4, 0
	;; [unrolled: 1-line block ×3, first 2 shown]
.LBB362_53:
	s_cbranch_execnz .LBB362_56
.LBB362_54:
	v_mul_hi_u32 v0, s9, v31
	s_andn2_b64 vcc, exec, s[26:27]
	v_add_u32_e32 v0, v31, v0
	v_lshrrev_b32_e32 v1, s10, v0
	v_mul_lo_u32 v0, v1, s8
	v_sub_u32_e32 v2, v31, v0
	v_mul_lo_u32 v0, v2, s4
	v_mul_lo_u32 v4, v2, s5
	;; [unrolled: 1-line block ×3, first 2 shown]
	s_cbranch_vccnz .LBB362_56
; %bb.55:
	v_mul_hi_u32 v3, s24, v1
	v_add_u32_e32 v3, v1, v3
	v_lshrrev_b32_e32 v3, s25, v3
	v_mul_lo_u32 v3, v3, s11
	v_sub_u32_e32 v3, v1, v3
	v_mad_u64_u32 v[0:1], s[34:35], v3, s7, v[0:1]
	v_mad_u64_u32 v[4:5], s[34:35], v3, s22, v[4:5]
	;; [unrolled: 1-line block ×3, first 2 shown]
.LBB362_56:
	global_load_dwordx2 v[5:6], v4, s[2:3]
	global_load_dwordx2 v[7:8], v2, s[18:19]
	v_add_u32_e32 v31, 0x80, v31
	s_waitcnt vmcnt(0)
	v_cmp_ne_u64_e32 vcc, v[5:6], v[7:8]
	s_xor_b64 s[34:35], s[20:21], vcc
	v_cndmask_b32_e64 v1, 0, 1, s[34:35]
	global_store_byte v0, v1, s[0:1]
	s_or_b64 exec, exec, s[30:31]
	v_cmp_gt_i32_e32 vcc, s38, v31
	s_and_saveexec_b64 s[30:31], vcc
	s_cbranch_execz .LBB362_6
.LBB362_57:
	s_andn2_b64 vcc, exec, s[14:15]
	s_cbranch_vccnz .LBB362_63
; %bb.58:
	s_andn2_b64 vcc, exec, s[28:29]
	s_cbranch_vccnz .LBB362_64
; %bb.59:
	s_add_i32 s34, s37, 1
	s_and_b32 s39, s34, 30
	s_add_u32 s34, s12, 0xffffffe8
	s_addc_u32 s35, s13, -1
	v_mov_b32_e32 v2, 0
	v_mov_b32_e32 v4, 0
	;; [unrolled: 1-line block ×4, first 2 shown]
.LBB362_60:                             ; =>This Inner Loop Header: Depth=1
	s_load_dwordx4 s[40:43], s[34:35], 0x1c
	s_load_dwordx2 s[48:49], s[34:35], 0x2c
	s_load_dwordx2 s[50:51], s[34:35], 0xec
	s_load_dwordx4 s[44:47], s[34:35], 0xdc
	s_add_u32 s34, s34, 24
	s_waitcnt lgkmcnt(0)
	v_mul_hi_u32 v3, s41, v1
	s_addc_u32 s35, s35, 0
	s_add_i32 s39, s39, -2
	s_cmp_eq_u32 s39, 0
	v_add_u32_e32 v3, v1, v3
	v_lshrrev_b32_e32 v3, s42, v3
	v_mul_lo_u32 v5, v3, s40
	v_mul_hi_u32 v6, s48, v3
	v_sub_u32_e32 v5, v1, v5
	v_add_u32_e32 v1, v3, v6
	v_lshrrev_b32_e32 v1, s49, v1
	v_mul_lo_u32 v8, v1, s43
	v_mul_lo_u32 v6, v5, s44
	;; [unrolled: 1-line block ×4, first 2 shown]
	v_sub_u32_e32 v3, v3, v8
	v_mul_lo_u32 v8, v3, s47
	v_mul_lo_u32 v9, v3, s50
	;; [unrolled: 1-line block ×3, first 2 shown]
	v_add3_u32 v0, v6, v0, v8
	v_add3_u32 v4, v7, v4, v9
	;; [unrolled: 1-line block ×3, first 2 shown]
	s_cbranch_scc0 .LBB362_60
; %bb.61:
	s_bitcmp1_b32 s37, 0
	s_cselect_b64 s[40:41], -1, 0
	s_and_b64 vcc, exec, s[40:41]
	s_cbranch_vccnz .LBB362_65
; %bb.62:
	s_load_dwordx2 s[40:41], s[34:35], 0x1c
	s_load_dword s39, s[34:35], 0x24
	s_load_dwordx2 s[42:43], s[34:35], 0xdc
	s_waitcnt lgkmcnt(0)
	v_mul_hi_u32 v3, s41, v1
	v_add_u32_e32 v3, v1, v3
	v_lshrrev_b32_e32 v3, s39, v3
	v_mul_lo_u32 v3, v3, s40
	s_load_dword s39, s[34:35], 0xe4
	v_sub_u32_e32 v3, v1, v3
	v_mad_u64_u32 v[0:1], s[34:35], v3, s42, v[0:1]
	v_mad_u64_u32 v[4:5], s[34:35], v3, s43, v[4:5]
	s_waitcnt lgkmcnt(0)
	v_mad_u64_u32 v[2:3], s[34:35], v3, s39, v[2:3]
	s_branch .LBB362_65
.LBB362_63:
                                        ; implicit-def: $vgpr0
                                        ; implicit-def: $vgpr4
                                        ; implicit-def: $vgpr2
	s_branch .LBB362_66
.LBB362_64:
	v_mov_b32_e32 v0, 0
	v_mov_b32_e32 v4, 0
	;; [unrolled: 1-line block ×3, first 2 shown]
.LBB362_65:
	s_cbranch_execnz .LBB362_68
.LBB362_66:
	v_mul_hi_u32 v0, s9, v31
	s_andn2_b64 vcc, exec, s[26:27]
	v_add_u32_e32 v0, v31, v0
	v_lshrrev_b32_e32 v1, s10, v0
	v_mul_lo_u32 v0, v1, s8
	v_sub_u32_e32 v2, v31, v0
	v_mul_lo_u32 v0, v2, s4
	v_mul_lo_u32 v4, v2, s5
	;; [unrolled: 1-line block ×3, first 2 shown]
	s_cbranch_vccnz .LBB362_68
; %bb.67:
	v_mul_hi_u32 v3, s24, v1
	v_add_u32_e32 v3, v1, v3
	v_lshrrev_b32_e32 v3, s25, v3
	v_mul_lo_u32 v3, v3, s11
	v_sub_u32_e32 v3, v1, v3
	v_mad_u64_u32 v[0:1], s[34:35], v3, s7, v[0:1]
	v_mad_u64_u32 v[4:5], s[34:35], v3, s22, v[4:5]
	;; [unrolled: 1-line block ×3, first 2 shown]
.LBB362_68:
	global_load_dwordx2 v[5:6], v4, s[2:3]
	global_load_dwordx2 v[7:8], v2, s[18:19]
	v_add_u32_e32 v31, 0x80, v31
	s_waitcnt vmcnt(0)
	v_cmp_ne_u64_e32 vcc, v[5:6], v[7:8]
	s_xor_b64 s[34:35], s[20:21], vcc
	v_cndmask_b32_e64 v1, 0, 1, s[34:35]
	global_store_byte v0, v1, s[0:1]
	s_or_b64 exec, exec, s[30:31]
	v_cmp_gt_i32_e32 vcc, s38, v31
	s_and_saveexec_b64 s[30:31], vcc
	s_cbranch_execz .LBB362_7
.LBB362_69:
	s_andn2_b64 vcc, exec, s[14:15]
	s_cbranch_vccnz .LBB362_75
; %bb.70:
	s_andn2_b64 vcc, exec, s[28:29]
	s_cbranch_vccnz .LBB362_76
; %bb.71:
	s_add_i32 s34, s37, 1
	s_and_b32 s39, s34, 30
	s_add_u32 s34, s12, 0xffffffe8
	s_addc_u32 s35, s13, -1
	v_mov_b32_e32 v2, 0
	v_mov_b32_e32 v4, 0
	;; [unrolled: 1-line block ×4, first 2 shown]
.LBB362_72:                             ; =>This Inner Loop Header: Depth=1
	s_load_dwordx4 s[40:43], s[34:35], 0x1c
	s_load_dwordx2 s[48:49], s[34:35], 0x2c
	s_load_dwordx2 s[50:51], s[34:35], 0xec
	s_load_dwordx4 s[44:47], s[34:35], 0xdc
	s_add_u32 s34, s34, 24
	s_waitcnt lgkmcnt(0)
	v_mul_hi_u32 v3, s41, v1
	s_addc_u32 s35, s35, 0
	s_add_i32 s39, s39, -2
	s_cmp_eq_u32 s39, 0
	v_add_u32_e32 v3, v1, v3
	v_lshrrev_b32_e32 v3, s42, v3
	v_mul_lo_u32 v5, v3, s40
	v_mul_hi_u32 v6, s48, v3
	v_sub_u32_e32 v5, v1, v5
	v_add_u32_e32 v1, v3, v6
	v_lshrrev_b32_e32 v1, s49, v1
	v_mul_lo_u32 v8, v1, s43
	v_mul_lo_u32 v6, v5, s44
	;; [unrolled: 1-line block ×4, first 2 shown]
	v_sub_u32_e32 v3, v3, v8
	v_mul_lo_u32 v8, v3, s47
	v_mul_lo_u32 v9, v3, s50
	;; [unrolled: 1-line block ×3, first 2 shown]
	v_add3_u32 v0, v6, v0, v8
	v_add3_u32 v4, v7, v4, v9
	;; [unrolled: 1-line block ×3, first 2 shown]
	s_cbranch_scc0 .LBB362_72
; %bb.73:
	s_bitcmp1_b32 s37, 0
	s_cselect_b64 s[40:41], -1, 0
	s_and_b64 vcc, exec, s[40:41]
	s_cbranch_vccnz .LBB362_77
; %bb.74:
	s_load_dwordx2 s[40:41], s[34:35], 0x1c
	s_load_dword s39, s[34:35], 0x24
	s_load_dwordx2 s[42:43], s[34:35], 0xdc
	s_waitcnt lgkmcnt(0)
	v_mul_hi_u32 v3, s41, v1
	v_add_u32_e32 v3, v1, v3
	v_lshrrev_b32_e32 v3, s39, v3
	v_mul_lo_u32 v3, v3, s40
	s_load_dword s39, s[34:35], 0xe4
	v_sub_u32_e32 v3, v1, v3
	v_mad_u64_u32 v[0:1], s[34:35], v3, s42, v[0:1]
	v_mad_u64_u32 v[4:5], s[34:35], v3, s43, v[4:5]
	s_waitcnt lgkmcnt(0)
	v_mad_u64_u32 v[2:3], s[34:35], v3, s39, v[2:3]
	s_branch .LBB362_77
.LBB362_75:
                                        ; implicit-def: $vgpr0
                                        ; implicit-def: $vgpr4
                                        ; implicit-def: $vgpr2
	s_branch .LBB362_78
.LBB362_76:
	v_mov_b32_e32 v0, 0
	v_mov_b32_e32 v4, 0
	;; [unrolled: 1-line block ×3, first 2 shown]
.LBB362_77:
	s_cbranch_execnz .LBB362_80
.LBB362_78:
	v_mul_hi_u32 v0, s9, v31
	s_andn2_b64 vcc, exec, s[26:27]
	v_add_u32_e32 v0, v31, v0
	v_lshrrev_b32_e32 v1, s10, v0
	v_mul_lo_u32 v0, v1, s8
	v_sub_u32_e32 v2, v31, v0
	v_mul_lo_u32 v0, v2, s4
	v_mul_lo_u32 v4, v2, s5
	;; [unrolled: 1-line block ×3, first 2 shown]
	s_cbranch_vccnz .LBB362_80
; %bb.79:
	v_mul_hi_u32 v3, s24, v1
	v_add_u32_e32 v3, v1, v3
	v_lshrrev_b32_e32 v3, s25, v3
	v_mul_lo_u32 v3, v3, s11
	v_sub_u32_e32 v3, v1, v3
	v_mad_u64_u32 v[0:1], s[34:35], v3, s7, v[0:1]
	v_mad_u64_u32 v[4:5], s[34:35], v3, s22, v[4:5]
	;; [unrolled: 1-line block ×3, first 2 shown]
.LBB362_80:
	global_load_dwordx2 v[5:6], v4, s[2:3]
	global_load_dwordx2 v[7:8], v2, s[18:19]
	v_add_u32_e32 v31, 0x80, v31
	s_waitcnt vmcnt(0)
	v_cmp_ne_u64_e32 vcc, v[5:6], v[7:8]
	s_xor_b64 s[34:35], s[20:21], vcc
	v_cndmask_b32_e64 v1, 0, 1, s[34:35]
	global_store_byte v0, v1, s[0:1]
	s_or_b64 exec, exec, s[30:31]
	v_cmp_gt_i32_e32 vcc, s38, v31
	s_and_saveexec_b64 s[30:31], vcc
	s_cbranch_execz .LBB362_8
.LBB362_81:
	s_andn2_b64 vcc, exec, s[14:15]
	s_cbranch_vccnz .LBB362_87
; %bb.82:
	s_andn2_b64 vcc, exec, s[28:29]
	s_cbranch_vccnz .LBB362_88
; %bb.83:
	s_add_i32 s34, s37, 1
	s_and_b32 s39, s34, 30
	s_add_u32 s34, s12, 0xffffffe8
	s_addc_u32 s35, s13, -1
	v_mov_b32_e32 v2, 0
	v_mov_b32_e32 v4, 0
	v_mov_b32_e32 v0, 0
	v_mov_b32_e32 v1, v31
.LBB362_84:                             ; =>This Inner Loop Header: Depth=1
	s_load_dwordx4 s[40:43], s[34:35], 0x1c
	s_load_dwordx2 s[48:49], s[34:35], 0x2c
	s_load_dwordx2 s[50:51], s[34:35], 0xec
	s_load_dwordx4 s[44:47], s[34:35], 0xdc
	s_add_u32 s34, s34, 24
	s_waitcnt lgkmcnt(0)
	v_mul_hi_u32 v3, s41, v1
	s_addc_u32 s35, s35, 0
	s_add_i32 s39, s39, -2
	s_cmp_eq_u32 s39, 0
	v_add_u32_e32 v3, v1, v3
	v_lshrrev_b32_e32 v3, s42, v3
	v_mul_lo_u32 v5, v3, s40
	v_mul_hi_u32 v6, s48, v3
	v_sub_u32_e32 v5, v1, v5
	v_add_u32_e32 v1, v3, v6
	v_lshrrev_b32_e32 v1, s49, v1
	v_mul_lo_u32 v8, v1, s43
	v_mul_lo_u32 v6, v5, s44
	;; [unrolled: 1-line block ×4, first 2 shown]
	v_sub_u32_e32 v3, v3, v8
	v_mul_lo_u32 v8, v3, s47
	v_mul_lo_u32 v9, v3, s50
	;; [unrolled: 1-line block ×3, first 2 shown]
	v_add3_u32 v0, v6, v0, v8
	v_add3_u32 v4, v7, v4, v9
	;; [unrolled: 1-line block ×3, first 2 shown]
	s_cbranch_scc0 .LBB362_84
; %bb.85:
	s_bitcmp1_b32 s37, 0
	s_cselect_b64 s[40:41], -1, 0
	s_and_b64 vcc, exec, s[40:41]
	s_cbranch_vccnz .LBB362_89
; %bb.86:
	s_load_dwordx2 s[40:41], s[34:35], 0x1c
	s_load_dword s39, s[34:35], 0x24
	s_load_dwordx2 s[42:43], s[34:35], 0xdc
	s_waitcnt lgkmcnt(0)
	v_mul_hi_u32 v3, s41, v1
	v_add_u32_e32 v3, v1, v3
	v_lshrrev_b32_e32 v3, s39, v3
	v_mul_lo_u32 v3, v3, s40
	s_load_dword s39, s[34:35], 0xe4
	v_sub_u32_e32 v3, v1, v3
	v_mad_u64_u32 v[0:1], s[34:35], v3, s42, v[0:1]
	v_mad_u64_u32 v[4:5], s[34:35], v3, s43, v[4:5]
	s_waitcnt lgkmcnt(0)
	v_mad_u64_u32 v[2:3], s[34:35], v3, s39, v[2:3]
	s_branch .LBB362_89
.LBB362_87:
                                        ; implicit-def: $vgpr0
                                        ; implicit-def: $vgpr4
                                        ; implicit-def: $vgpr2
	s_branch .LBB362_90
.LBB362_88:
	v_mov_b32_e32 v0, 0
	v_mov_b32_e32 v4, 0
	;; [unrolled: 1-line block ×3, first 2 shown]
.LBB362_89:
	s_cbranch_execnz .LBB362_92
.LBB362_90:
	v_mul_hi_u32 v0, s9, v31
	s_andn2_b64 vcc, exec, s[26:27]
	v_add_u32_e32 v0, v31, v0
	v_lshrrev_b32_e32 v1, s10, v0
	v_mul_lo_u32 v0, v1, s8
	v_sub_u32_e32 v2, v31, v0
	v_mul_lo_u32 v0, v2, s4
	v_mul_lo_u32 v4, v2, s5
	;; [unrolled: 1-line block ×3, first 2 shown]
	s_cbranch_vccnz .LBB362_92
; %bb.91:
	v_mul_hi_u32 v3, s24, v1
	v_add_u32_e32 v3, v1, v3
	v_lshrrev_b32_e32 v3, s25, v3
	v_mul_lo_u32 v3, v3, s11
	v_sub_u32_e32 v3, v1, v3
	v_mad_u64_u32 v[0:1], s[34:35], v3, s7, v[0:1]
	v_mad_u64_u32 v[4:5], s[34:35], v3, s22, v[4:5]
	;; [unrolled: 1-line block ×3, first 2 shown]
.LBB362_92:
	global_load_dwordx2 v[5:6], v4, s[2:3]
	global_load_dwordx2 v[7:8], v2, s[18:19]
	v_add_u32_e32 v31, 0x80, v31
	s_waitcnt vmcnt(0)
	v_cmp_ne_u64_e32 vcc, v[5:6], v[7:8]
	s_xor_b64 s[34:35], s[20:21], vcc
	v_cndmask_b32_e64 v1, 0, 1, s[34:35]
	global_store_byte v0, v1, s[0:1]
	s_or_b64 exec, exec, s[30:31]
	v_cmp_gt_i32_e32 vcc, s38, v31
	s_and_saveexec_b64 s[30:31], vcc
	s_cbranch_execz .LBB362_105
.LBB362_93:
	s_andn2_b64 vcc, exec, s[14:15]
	s_cbranch_vccnz .LBB362_99
; %bb.94:
	s_andn2_b64 vcc, exec, s[28:29]
	s_cbranch_vccnz .LBB362_100
; %bb.95:
	s_add_i32 s28, s37, 1
	s_and_b32 s34, s28, 30
	s_add_u32 s28, s12, 0xffffffe8
	s_addc_u32 s29, s13, -1
	v_mov_b32_e32 v4, 0
	v_mov_b32_e32 v2, 0
	;; [unrolled: 1-line block ×4, first 2 shown]
.LBB362_96:                             ; =>This Inner Loop Header: Depth=1
	s_load_dwordx4 s[40:43], s[28:29], 0x1c
	s_load_dwordx2 s[38:39], s[28:29], 0x2c
	s_load_dwordx2 s[48:49], s[28:29], 0xec
	s_load_dwordx4 s[44:47], s[28:29], 0xdc
	s_add_u32 s28, s28, 24
	s_waitcnt lgkmcnt(0)
	v_mul_hi_u32 v3, s41, v1
	s_addc_u32 s29, s29, 0
	s_add_i32 s34, s34, -2
	s_cmp_eq_u32 s34, 0
	v_add_u32_e32 v3, v1, v3
	v_lshrrev_b32_e32 v3, s42, v3
	v_mul_lo_u32 v5, v3, s40
	v_mul_hi_u32 v6, s38, v3
	v_sub_u32_e32 v5, v1, v5
	v_add_u32_e32 v1, v3, v6
	v_lshrrev_b32_e32 v1, s39, v1
	v_mul_lo_u32 v8, v1, s43
	v_mul_lo_u32 v6, v5, s44
	;; [unrolled: 1-line block ×4, first 2 shown]
	v_sub_u32_e32 v3, v3, v8
	v_mul_lo_u32 v8, v3, s47
	v_mul_lo_u32 v9, v3, s48
	;; [unrolled: 1-line block ×3, first 2 shown]
	v_add3_u32 v0, v6, v0, v8
	v_add3_u32 v2, v7, v2, v9
	;; [unrolled: 1-line block ×3, first 2 shown]
	s_cbranch_scc0 .LBB362_96
; %bb.97:
	s_bitcmp1_b32 s37, 0
	s_cselect_b64 s[34:35], -1, 0
	s_and_b64 vcc, exec, s[34:35]
	s_cbranch_vccnz .LBB362_101
; %bb.98:
	s_load_dwordx2 s[34:35], s[28:29], 0x1c
	s_load_dword s37, s[28:29], 0x24
	s_load_dwordx2 s[38:39], s[28:29], 0xdc
	s_waitcnt lgkmcnt(0)
	v_mul_hi_u32 v3, s35, v1
	v_add_u32_e32 v3, v1, v3
	v_lshrrev_b32_e32 v3, s37, v3
	v_mul_lo_u32 v3, v3, s34
	s_load_dword s34, s[28:29], 0xe4
	v_sub_u32_e32 v5, v1, v3
	v_mad_u64_u32 v[0:1], s[28:29], v5, s38, v[0:1]
	v_mad_u64_u32 v[2:3], s[28:29], v5, s39, v[2:3]
	s_waitcnt lgkmcnt(0)
	v_mad_u64_u32 v[4:5], s[28:29], v5, s34, v[4:5]
	s_branch .LBB362_101
.LBB362_99:
                                        ; implicit-def: $vgpr0
                                        ; implicit-def: $vgpr2
                                        ; implicit-def: $vgpr4
	s_branch .LBB362_102
.LBB362_100:
	v_mov_b32_e32 v0, 0
	v_mov_b32_e32 v2, 0
	;; [unrolled: 1-line block ×3, first 2 shown]
.LBB362_101:
	s_cbranch_execnz .LBB362_104
.LBB362_102:
	v_mul_hi_u32 v0, s9, v31
	s_andn2_b64 vcc, exec, s[26:27]
	v_add_u32_e32 v0, v31, v0
	v_lshrrev_b32_e32 v1, s10, v0
	v_mul_lo_u32 v0, v1, s8
	v_sub_u32_e32 v3, v31, v0
	v_mul_lo_u32 v0, v3, s4
	v_mul_lo_u32 v2, v3, s5
	;; [unrolled: 1-line block ×3, first 2 shown]
	s_cbranch_vccnz .LBB362_104
; %bb.103:
	v_mul_hi_u32 v3, s24, v1
	v_add_u32_e32 v3, v1, v3
	v_lshrrev_b32_e32 v3, s25, v3
	v_mul_lo_u32 v3, v3, s11
	v_sub_u32_e32 v5, v1, v3
	v_mad_u64_u32 v[0:1], s[4:5], v5, s7, v[0:1]
	v_mad_u64_u32 v[2:3], s[4:5], v5, s22, v[2:3]
	;; [unrolled: 1-line block ×3, first 2 shown]
.LBB362_104:
	global_load_dwordx2 v[5:6], v2, s[2:3]
	global_load_dwordx2 v[7:8], v4, s[18:19]
	s_waitcnt vmcnt(0)
	v_cmp_ne_u64_e32 vcc, v[5:6], v[7:8]
	s_xor_b64 s[2:3], s[20:21], vcc
	v_cndmask_b32_e64 v1, 0, 1, s[2:3]
	global_store_byte v0, v1, s[0:1]
.LBB362_105:
	s_or_b64 exec, exec, s[30:31]
                                        ; implicit-def: $vgpr41
                                        ; implicit-def: $vgpr31
.LBB362_106:
	s_andn2_saveexec_b64 s[0:1], s[16:17]
	s_cbranch_execz .LBB362_113
; %bb.107:
	v_cndmask_b32_e64 v0, 0, 1, s[14:15]
	v_cmp_ne_u32_e64 s[0:1], 1, v0
	s_andn2_b64 vcc, exec, s[14:15]
	s_cbranch_vccnz .LBB362_114
; %bb.108:
	s_cmp_lg_u32 s33, 0
	s_cbranch_scc0 .LBB362_115
; %bb.109:
	s_min_u32 s4, s36, 15
	s_add_i32 s2, s4, 1
	s_and_b32 s5, s2, 30
	s_add_u32 s2, s12, 0xffffffe8
	s_addc_u32 s3, s13, -1
	v_mov_b32_e32 v2, 0
	v_mov_b32_e32 v4, 0
	;; [unrolled: 1-line block ×4, first 2 shown]
.LBB362_110:                            ; =>This Inner Loop Header: Depth=1
	s_load_dwordx4 s[8:11], s[2:3], 0x1c
	s_load_dwordx2 s[6:7], s[2:3], 0x2c
	s_load_dwordx2 s[14:15], s[2:3], 0xec
	s_load_dwordx4 s[16:19], s[2:3], 0xdc
	s_add_u32 s2, s2, 24
	s_waitcnt lgkmcnt(0)
	v_mul_hi_u32 v3, s9, v1
	s_addc_u32 s3, s3, 0
	s_add_i32 s5, s5, -2
	s_cmp_lg_u32 s5, 0
	v_add_u32_e32 v3, v1, v3
	v_lshrrev_b32_e32 v3, s10, v3
	v_mul_lo_u32 v5, v3, s8
	v_mul_hi_u32 v6, s6, v3
	v_sub_u32_e32 v5, v1, v5
	v_add_u32_e32 v1, v3, v6
	v_lshrrev_b32_e32 v1, s7, v1
	v_mul_lo_u32 v8, v1, s11
	v_mul_lo_u32 v6, v5, s16
	;; [unrolled: 1-line block ×4, first 2 shown]
	v_sub_u32_e32 v3, v3, v8
	v_mul_lo_u32 v8, v3, s19
	v_mul_lo_u32 v9, v3, s14
	;; [unrolled: 1-line block ×3, first 2 shown]
	v_add3_u32 v0, v6, v0, v8
	v_add3_u32 v4, v7, v4, v9
	v_add3_u32 v2, v5, v2, v3
	s_cbranch_scc1 .LBB362_110
; %bb.111:
	s_bitcmp1_b32 s4, 0
	s_cselect_b64 s[4:5], -1, 0
	s_and_b64 vcc, exec, s[4:5]
	s_cbranch_vccnz .LBB362_116
; %bb.112:
	s_load_dwordx2 s[4:5], s[2:3], 0x1c
	s_load_dword s8, s[2:3], 0x24
	s_load_dwordx2 s[6:7], s[2:3], 0xdc
	s_waitcnt lgkmcnt(0)
	v_mul_hi_u32 v3, s5, v1
	v_add_u32_e32 v3, v1, v3
	v_lshrrev_b32_e32 v3, s8, v3
	v_mul_lo_u32 v3, v3, s4
	s_load_dword s4, s[2:3], 0xe4
	v_sub_u32_e32 v3, v1, v3
	v_mad_u64_u32 v[0:1], s[2:3], v3, s6, v[0:1]
	v_mad_u64_u32 v[4:5], s[2:3], v3, s7, v[4:5]
	s_waitcnt lgkmcnt(0)
	v_mad_u64_u32 v[2:3], s[2:3], v3, s4, v[2:3]
	s_cbranch_execz .LBB362_117
	s_branch .LBB362_119
.LBB362_113:
	s_endpgm
.LBB362_114:
                                        ; implicit-def: $vgpr0
                                        ; implicit-def: $vgpr4
                                        ; implicit-def: $vgpr2
	s_branch .LBB362_117
.LBB362_115:
	v_mov_b32_e32 v0, 0
	v_mov_b32_e32 v4, 0
	;; [unrolled: 1-line block ×3, first 2 shown]
.LBB362_116:
	s_cbranch_execnz .LBB362_119
.LBB362_117:
	s_load_dwordx4 s[4:7], s[12:13], 0x4
	s_load_dwordx4 s[8:11], s[12:13], 0xc4
	s_cmp_lt_u32 s33, 2
	s_waitcnt lgkmcnt(0)
	v_mul_hi_u32 v0, s5, v31
	v_add_u32_e32 v0, v31, v0
	v_lshrrev_b32_e32 v1, s6, v0
	v_mul_lo_u32 v0, v1, s4
	v_sub_u32_e32 v2, v31, v0
	v_mul_lo_u32 v0, v2, s8
	v_mul_lo_u32 v4, v2, s9
	;; [unrolled: 1-line block ×3, first 2 shown]
	s_cbranch_scc1 .LBB362_119
; %bb.118:
	s_load_dwordx4 s[4:7], s[12:13], 0x10
	s_load_dwordx4 s[8:11], s[12:13], 0xd0
	s_waitcnt lgkmcnt(0)
	v_mul_hi_u32 v3, s5, v1
	v_add_u32_e32 v3, v1, v3
	v_lshrrev_b32_e32 v3, s6, v3
	v_mul_lo_u32 v3, v3, s4
	v_sub_u32_e32 v3, v1, v3
	v_mad_u64_u32 v[0:1], s[2:3], v3, s8, v[0:1]
	v_mad_u64_u32 v[4:5], s[2:3], v3, s9, v[4:5]
	;; [unrolled: 1-line block ×3, first 2 shown]
.LBB362_119:
	s_and_b64 vcc, exec, s[0:1]
	v_add_u32_e32 v1, 0x80, v31
	s_cbranch_vccnz .LBB362_125
; %bb.120:
	s_cmp_lg_u32 s33, 0
	s_cbranch_scc0 .LBB362_126
; %bb.121:
	s_min_u32 s4, s36, 15
	s_add_i32 s2, s4, 1
	s_and_b32 s5, s2, 30
	s_add_u32 s2, s12, 0xffffffe8
	s_addc_u32 s3, s13, -1
	v_mov_b32_e32 v7, 0
	v_mov_b32_e32 v9, 0
	;; [unrolled: 1-line block ×4, first 2 shown]
.LBB362_122:                            ; =>This Inner Loop Header: Depth=1
	s_load_dwordx4 s[8:11], s[2:3], 0x1c
	s_load_dwordx2 s[6:7], s[2:3], 0x2c
	s_load_dwordx2 s[14:15], s[2:3], 0xec
	s_load_dwordx4 s[16:19], s[2:3], 0xdc
	s_add_u32 s2, s2, 24
	s_waitcnt lgkmcnt(0)
	v_mul_hi_u32 v6, s9, v3
	s_addc_u32 s3, s3, 0
	s_add_i32 s5, s5, -2
	s_cmp_lg_u32 s5, 0
	v_add_u32_e32 v6, v3, v6
	v_lshrrev_b32_e32 v6, s10, v6
	v_mul_lo_u32 v8, v6, s8
	v_mul_hi_u32 v10, s6, v6
	v_sub_u32_e32 v8, v3, v8
	v_add_u32_e32 v3, v6, v10
	v_lshrrev_b32_e32 v3, s7, v3
	v_mul_lo_u32 v12, v3, s11
	v_mul_lo_u32 v10, v8, s16
	;; [unrolled: 1-line block ×4, first 2 shown]
	v_sub_u32_e32 v6, v6, v12
	v_mul_lo_u32 v12, v6, s19
	v_mul_lo_u32 v13, v6, s14
	;; [unrolled: 1-line block ×3, first 2 shown]
	v_add3_u32 v5, v10, v5, v12
	v_add3_u32 v9, v11, v9, v13
	v_add3_u32 v7, v8, v7, v6
	s_cbranch_scc1 .LBB362_122
; %bb.123:
	s_bitcmp1_b32 s4, 0
	s_cselect_b64 s[4:5], -1, 0
	s_and_b64 vcc, exec, s[4:5]
	s_cbranch_vccnz .LBB362_127
; %bb.124:
	s_load_dwordx2 s[4:5], s[2:3], 0x1c
	s_load_dword s8, s[2:3], 0x24
	s_load_dwordx2 s[6:7], s[2:3], 0xdc
	s_waitcnt lgkmcnt(0)
	v_mul_hi_u32 v6, s5, v3
	v_add_u32_e32 v6, v3, v6
	v_lshrrev_b32_e32 v6, s8, v6
	v_mul_lo_u32 v6, v6, s4
	s_load_dword s4, s[2:3], 0xe4
	v_sub_u32_e32 v3, v3, v6
	v_mad_u64_u32 v[5:6], s[2:3], v3, s6, v[5:6]
	v_mad_u64_u32 v[9:10], s[2:3], v3, s7, v[9:10]
	s_waitcnt lgkmcnt(0)
	v_mad_u64_u32 v[7:8], s[2:3], v3, s4, v[7:8]
	s_cbranch_execz .LBB362_128
	s_branch .LBB362_130
.LBB362_125:
                                        ; implicit-def: $vgpr5
                                        ; implicit-def: $vgpr9
                                        ; implicit-def: $vgpr7
	s_branch .LBB362_128
.LBB362_126:
	v_mov_b32_e32 v5, 0
	v_mov_b32_e32 v9, 0
	;; [unrolled: 1-line block ×3, first 2 shown]
.LBB362_127:
	s_cbranch_execnz .LBB362_130
.LBB362_128:
	s_load_dwordx4 s[4:7], s[12:13], 0x4
	s_load_dwordx4 s[8:11], s[12:13], 0xc4
	s_cmp_lt_u32 s33, 2
	s_waitcnt lgkmcnt(0)
	v_mul_hi_u32 v3, s5, v1
	v_add_u32_e32 v3, v1, v3
	v_lshrrev_b32_e32 v3, s6, v3
	v_mul_lo_u32 v5, v3, s4
	v_sub_u32_e32 v1, v1, v5
	v_mul_lo_u32 v5, v1, s8
	v_mul_lo_u32 v9, v1, s9
	;; [unrolled: 1-line block ×3, first 2 shown]
	s_cbranch_scc1 .LBB362_130
; %bb.129:
	s_load_dwordx4 s[4:7], s[12:13], 0x10
	s_load_dwordx4 s[8:11], s[12:13], 0xd0
	s_waitcnt lgkmcnt(0)
	v_mul_hi_u32 v1, s5, v3
	v_add_u32_e32 v1, v3, v1
	v_lshrrev_b32_e32 v1, s6, v1
	v_mul_lo_u32 v1, v1, s4
	v_sub_u32_e32 v1, v3, v1
	v_mad_u64_u32 v[5:6], s[2:3], v1, s8, v[5:6]
	v_mad_u64_u32 v[9:10], s[2:3], v1, s9, v[9:10]
	;; [unrolled: 1-line block ×3, first 2 shown]
.LBB362_130:
	s_and_b64 vcc, exec, s[0:1]
	v_add_u32_e32 v1, 0x100, v31
	s_cbranch_vccnz .LBB362_136
; %bb.131:
	s_cmp_lg_u32 s33, 0
	s_cbranch_scc0 .LBB362_137
; %bb.132:
	s_min_u32 s4, s36, 15
	s_add_i32 s2, s4, 1
	s_and_b32 s5, s2, 30
	s_add_u32 s2, s12, 0xffffffe8
	s_addc_u32 s3, s13, -1
	v_mov_b32_e32 v12, 0
	v_mov_b32_e32 v14, 0
	;; [unrolled: 1-line block ×4, first 2 shown]
.LBB362_133:                            ; =>This Inner Loop Header: Depth=1
	s_load_dwordx4 s[8:11], s[2:3], 0x1c
	s_load_dwordx2 s[6:7], s[2:3], 0x2c
	s_load_dwordx2 s[14:15], s[2:3], 0xec
	s_load_dwordx4 s[16:19], s[2:3], 0xdc
	s_add_u32 s2, s2, 24
	s_waitcnt lgkmcnt(0)
	v_mul_hi_u32 v6, s9, v3
	s_addc_u32 s3, s3, 0
	s_add_i32 s5, s5, -2
	s_cmp_lg_u32 s5, 0
	v_add_u32_e32 v6, v3, v6
	v_lshrrev_b32_e32 v6, s10, v6
	v_mul_lo_u32 v8, v6, s8
	v_mul_hi_u32 v11, s6, v6
	v_sub_u32_e32 v8, v3, v8
	v_add_u32_e32 v3, v6, v11
	v_lshrrev_b32_e32 v3, s7, v3
	v_mul_lo_u32 v15, v3, s11
	v_mul_lo_u32 v11, v8, s16
	;; [unrolled: 1-line block ×4, first 2 shown]
	v_sub_u32_e32 v6, v6, v15
	v_mul_lo_u32 v15, v6, s19
	v_mul_lo_u32 v16, v6, s14
	;; [unrolled: 1-line block ×3, first 2 shown]
	v_add3_u32 v10, v11, v10, v15
	v_add3_u32 v14, v13, v14, v16
	;; [unrolled: 1-line block ×3, first 2 shown]
	s_cbranch_scc1 .LBB362_133
; %bb.134:
	s_bitcmp1_b32 s4, 0
	s_cselect_b64 s[4:5], -1, 0
	s_and_b64 vcc, exec, s[4:5]
	s_cbranch_vccnz .LBB362_138
; %bb.135:
	s_load_dwordx2 s[4:5], s[2:3], 0x1c
	s_load_dword s8, s[2:3], 0x24
	s_load_dwordx2 s[6:7], s[2:3], 0xdc
	s_waitcnt lgkmcnt(0)
	v_mul_hi_u32 v6, s5, v3
	v_add_u32_e32 v6, v3, v6
	v_lshrrev_b32_e32 v6, s8, v6
	v_mul_lo_u32 v6, v6, s4
	s_load_dword s4, s[2:3], 0xe4
	v_sub_u32_e32 v3, v3, v6
	v_mad_u64_u32 v[10:11], s[2:3], v3, s6, v[10:11]
	v_mad_u64_u32 v[14:15], s[2:3], v3, s7, v[14:15]
	s_waitcnt lgkmcnt(0)
	v_mad_u64_u32 v[12:13], s[2:3], v3, s4, v[12:13]
	s_cbranch_execz .LBB362_139
	s_branch .LBB362_141
.LBB362_136:
                                        ; implicit-def: $vgpr10
                                        ; implicit-def: $vgpr14
                                        ; implicit-def: $vgpr12
	s_branch .LBB362_139
.LBB362_137:
	v_mov_b32_e32 v10, 0
	v_mov_b32_e32 v14, 0
	;; [unrolled: 1-line block ×3, first 2 shown]
.LBB362_138:
	s_cbranch_execnz .LBB362_141
.LBB362_139:
	s_load_dwordx4 s[4:7], s[12:13], 0x4
	s_load_dwordx4 s[8:11], s[12:13], 0xc4
	s_cmp_lt_u32 s33, 2
	s_waitcnt lgkmcnt(0)
	v_mul_hi_u32 v3, s5, v1
	v_add_u32_e32 v3, v1, v3
	v_lshrrev_b32_e32 v3, s6, v3
	v_mul_lo_u32 v6, v3, s4
	v_sub_u32_e32 v1, v1, v6
	v_mul_lo_u32 v10, v1, s8
	v_mul_lo_u32 v14, v1, s9
	v_mul_lo_u32 v12, v1, s10
	s_cbranch_scc1 .LBB362_141
; %bb.140:
	s_load_dwordx4 s[4:7], s[12:13], 0x10
	s_load_dwordx4 s[8:11], s[12:13], 0xd0
	s_waitcnt lgkmcnt(0)
	v_mul_hi_u32 v1, s5, v3
	v_add_u32_e32 v1, v3, v1
	v_lshrrev_b32_e32 v1, s6, v1
	v_mul_lo_u32 v1, v1, s4
	v_sub_u32_e32 v1, v3, v1
	v_mad_u64_u32 v[10:11], s[2:3], v1, s8, v[10:11]
	v_mad_u64_u32 v[14:15], s[2:3], v1, s9, v[14:15]
	;; [unrolled: 1-line block ×3, first 2 shown]
.LBB362_141:
	s_and_b64 vcc, exec, s[0:1]
	v_add_u32_e32 v1, 0x180, v31
	s_cbranch_vccnz .LBB362_147
; %bb.142:
	s_cmp_lg_u32 s33, 0
	s_cbranch_scc0 .LBB362_148
; %bb.143:
	s_min_u32 s4, s36, 15
	s_add_i32 s2, s4, 1
	s_and_b32 s5, s2, 30
	s_add_u32 s2, s12, 0xffffffe8
	s_addc_u32 s3, s13, -1
	v_mov_b32_e32 v17, 0
	v_mov_b32_e32 v19, 0
	;; [unrolled: 1-line block ×4, first 2 shown]
.LBB362_144:                            ; =>This Inner Loop Header: Depth=1
	s_load_dwordx4 s[8:11], s[2:3], 0x1c
	s_load_dwordx2 s[6:7], s[2:3], 0x2c
	s_load_dwordx2 s[14:15], s[2:3], 0xec
	s_load_dwordx4 s[16:19], s[2:3], 0xdc
	s_add_u32 s2, s2, 24
	s_waitcnt lgkmcnt(0)
	v_mul_hi_u32 v6, s9, v3
	s_addc_u32 s3, s3, 0
	s_add_i32 s5, s5, -2
	s_cmp_lg_u32 s5, 0
	v_add_u32_e32 v6, v3, v6
	v_lshrrev_b32_e32 v6, s10, v6
	v_mul_lo_u32 v8, v6, s8
	v_mul_hi_u32 v11, s6, v6
	v_sub_u32_e32 v8, v3, v8
	v_add_u32_e32 v3, v6, v11
	v_lshrrev_b32_e32 v3, s7, v3
	v_mul_lo_u32 v16, v3, s11
	v_mul_lo_u32 v11, v8, s16
	;; [unrolled: 1-line block ×4, first 2 shown]
	v_sub_u32_e32 v6, v6, v16
	v_mul_lo_u32 v16, v6, s19
	v_mul_lo_u32 v18, v6, s14
	;; [unrolled: 1-line block ×3, first 2 shown]
	v_add3_u32 v15, v11, v15, v16
	v_add3_u32 v19, v13, v19, v18
	;; [unrolled: 1-line block ×3, first 2 shown]
	s_cbranch_scc1 .LBB362_144
; %bb.145:
	s_bitcmp1_b32 s4, 0
	s_cselect_b64 s[4:5], -1, 0
	s_and_b64 vcc, exec, s[4:5]
	s_cbranch_vccnz .LBB362_149
; %bb.146:
	s_load_dwordx2 s[4:5], s[2:3], 0x1c
	s_load_dword s8, s[2:3], 0x24
	s_load_dwordx2 s[6:7], s[2:3], 0xdc
	s_waitcnt lgkmcnt(0)
	v_mul_hi_u32 v6, s5, v3
	v_add_u32_e32 v6, v3, v6
	v_lshrrev_b32_e32 v6, s8, v6
	v_mul_lo_u32 v6, v6, s4
	s_load_dword s4, s[2:3], 0xe4
	v_sub_u32_e32 v3, v3, v6
	v_mad_u64_u32 v[15:16], s[2:3], v3, s6, v[15:16]
	v_mad_u64_u32 v[19:20], s[2:3], v3, s7, v[19:20]
	s_waitcnt lgkmcnt(0)
	v_mad_u64_u32 v[17:18], s[2:3], v3, s4, v[17:18]
	s_cbranch_execz .LBB362_150
	s_branch .LBB362_152
.LBB362_147:
                                        ; implicit-def: $vgpr15
                                        ; implicit-def: $vgpr19
                                        ; implicit-def: $vgpr17
	s_branch .LBB362_150
.LBB362_148:
	v_mov_b32_e32 v15, 0
	v_mov_b32_e32 v19, 0
	v_mov_b32_e32 v17, 0
.LBB362_149:
	s_cbranch_execnz .LBB362_152
.LBB362_150:
	s_load_dwordx4 s[4:7], s[12:13], 0x4
	s_load_dwordx4 s[8:11], s[12:13], 0xc4
	s_cmp_lt_u32 s33, 2
	s_waitcnt lgkmcnt(0)
	v_mul_hi_u32 v3, s5, v1
	v_add_u32_e32 v3, v1, v3
	v_lshrrev_b32_e32 v3, s6, v3
	v_mul_lo_u32 v6, v3, s4
	v_sub_u32_e32 v1, v1, v6
	v_mul_lo_u32 v15, v1, s8
	v_mul_lo_u32 v19, v1, s9
	;; [unrolled: 1-line block ×3, first 2 shown]
	s_cbranch_scc1 .LBB362_152
; %bb.151:
	s_load_dwordx4 s[4:7], s[12:13], 0x10
	s_load_dwordx4 s[8:11], s[12:13], 0xd0
	s_waitcnt lgkmcnt(0)
	v_mul_hi_u32 v1, s5, v3
	v_add_u32_e32 v1, v3, v1
	v_lshrrev_b32_e32 v1, s6, v1
	v_mul_lo_u32 v1, v1, s4
	v_sub_u32_e32 v1, v3, v1
	v_mad_u64_u32 v[15:16], s[2:3], v1, s8, v[15:16]
	v_mad_u64_u32 v[19:20], s[2:3], v1, s9, v[19:20]
	;; [unrolled: 1-line block ×3, first 2 shown]
.LBB362_152:
	s_and_b64 vcc, exec, s[0:1]
	v_add_u32_e32 v1, 0x200, v31
	s_cbranch_vccnz .LBB362_158
; %bb.153:
	s_cmp_lg_u32 s33, 0
	s_cbranch_scc0 .LBB362_159
; %bb.154:
	s_min_u32 s4, s36, 15
	s_add_i32 s2, s4, 1
	s_and_b32 s5, s2, 30
	s_add_u32 s2, s12, 0xffffffe8
	s_addc_u32 s3, s13, -1
	v_mov_b32_e32 v22, 0
	v_mov_b32_e32 v24, 0
	;; [unrolled: 1-line block ×4, first 2 shown]
.LBB362_155:                            ; =>This Inner Loop Header: Depth=1
	s_load_dwordx4 s[8:11], s[2:3], 0x1c
	s_load_dwordx2 s[6:7], s[2:3], 0x2c
	s_load_dwordx2 s[14:15], s[2:3], 0xec
	s_load_dwordx4 s[16:19], s[2:3], 0xdc
	s_add_u32 s2, s2, 24
	s_waitcnt lgkmcnt(0)
	v_mul_hi_u32 v6, s9, v3
	s_addc_u32 s3, s3, 0
	s_add_i32 s5, s5, -2
	s_cmp_lg_u32 s5, 0
	v_add_u32_e32 v6, v3, v6
	v_lshrrev_b32_e32 v6, s10, v6
	v_mul_lo_u32 v8, v6, s8
	v_mul_hi_u32 v11, s6, v6
	v_sub_u32_e32 v8, v3, v8
	v_add_u32_e32 v3, v6, v11
	v_lshrrev_b32_e32 v3, s7, v3
	v_mul_lo_u32 v16, v3, s11
	v_mul_lo_u32 v11, v8, s16
	;; [unrolled: 1-line block ×4, first 2 shown]
	v_sub_u32_e32 v6, v6, v16
	v_mul_lo_u32 v16, v6, s19
	v_mul_lo_u32 v18, v6, s14
	;; [unrolled: 1-line block ×3, first 2 shown]
	v_add3_u32 v20, v11, v20, v16
	v_add3_u32 v24, v13, v24, v18
	;; [unrolled: 1-line block ×3, first 2 shown]
	s_cbranch_scc1 .LBB362_155
; %bb.156:
	s_bitcmp1_b32 s4, 0
	s_cselect_b64 s[4:5], -1, 0
	s_and_b64 vcc, exec, s[4:5]
	s_cbranch_vccnz .LBB362_160
; %bb.157:
	s_load_dwordx2 s[4:5], s[2:3], 0x1c
	s_load_dword s8, s[2:3], 0x24
	s_load_dwordx2 s[6:7], s[2:3], 0xdc
	s_waitcnt lgkmcnt(0)
	v_mul_hi_u32 v6, s5, v3
	v_add_u32_e32 v6, v3, v6
	v_lshrrev_b32_e32 v6, s8, v6
	v_mul_lo_u32 v6, v6, s4
	s_load_dword s4, s[2:3], 0xe4
	v_sub_u32_e32 v3, v3, v6
	v_mad_u64_u32 v[20:21], s[2:3], v3, s6, v[20:21]
	v_mad_u64_u32 v[24:25], s[2:3], v3, s7, v[24:25]
	s_waitcnt lgkmcnt(0)
	v_mad_u64_u32 v[22:23], s[2:3], v3, s4, v[22:23]
	s_cbranch_execz .LBB362_161
	s_branch .LBB362_163
.LBB362_158:
                                        ; implicit-def: $vgpr20
                                        ; implicit-def: $vgpr24
                                        ; implicit-def: $vgpr22
	s_branch .LBB362_161
.LBB362_159:
	v_mov_b32_e32 v20, 0
	v_mov_b32_e32 v24, 0
	;; [unrolled: 1-line block ×3, first 2 shown]
.LBB362_160:
	s_cbranch_execnz .LBB362_163
.LBB362_161:
	s_load_dwordx4 s[4:7], s[12:13], 0x4
	s_load_dwordx4 s[8:11], s[12:13], 0xc4
	s_cmp_lt_u32 s33, 2
	s_waitcnt lgkmcnt(0)
	v_mul_hi_u32 v3, s5, v1
	v_add_u32_e32 v3, v1, v3
	v_lshrrev_b32_e32 v3, s6, v3
	v_mul_lo_u32 v6, v3, s4
	v_sub_u32_e32 v1, v1, v6
	v_mul_lo_u32 v20, v1, s8
	v_mul_lo_u32 v24, v1, s9
	;; [unrolled: 1-line block ×3, first 2 shown]
	s_cbranch_scc1 .LBB362_163
; %bb.162:
	s_load_dwordx4 s[4:7], s[12:13], 0x10
	s_load_dwordx4 s[8:11], s[12:13], 0xd0
	s_waitcnt lgkmcnt(0)
	v_mul_hi_u32 v1, s5, v3
	v_add_u32_e32 v1, v3, v1
	v_lshrrev_b32_e32 v1, s6, v1
	v_mul_lo_u32 v1, v1, s4
	v_sub_u32_e32 v1, v3, v1
	v_mad_u64_u32 v[20:21], s[2:3], v1, s8, v[20:21]
	v_mad_u64_u32 v[24:25], s[2:3], v1, s9, v[24:25]
	;; [unrolled: 1-line block ×3, first 2 shown]
.LBB362_163:
	s_and_b64 vcc, exec, s[0:1]
	v_add_u32_e32 v1, 0x280, v31
	s_cbranch_vccnz .LBB362_169
; %bb.164:
	s_cmp_lg_u32 s33, 0
	s_cbranch_scc0 .LBB362_170
; %bb.165:
	s_min_u32 s4, s36, 15
	s_add_i32 s2, s4, 1
	s_and_b32 s5, s2, 30
	s_add_u32 s2, s12, 0xffffffe8
	s_addc_u32 s3, s13, -1
	v_mov_b32_e32 v27, 0
	v_mov_b32_e32 v29, 0
	;; [unrolled: 1-line block ×4, first 2 shown]
.LBB362_166:                            ; =>This Inner Loop Header: Depth=1
	s_load_dwordx4 s[8:11], s[2:3], 0x1c
	s_load_dwordx2 s[6:7], s[2:3], 0x2c
	s_load_dwordx2 s[14:15], s[2:3], 0xec
	s_load_dwordx4 s[16:19], s[2:3], 0xdc
	s_add_u32 s2, s2, 24
	s_waitcnt lgkmcnt(0)
	v_mul_hi_u32 v6, s9, v3
	s_addc_u32 s3, s3, 0
	s_add_i32 s5, s5, -2
	s_cmp_lg_u32 s5, 0
	v_add_u32_e32 v6, v3, v6
	v_lshrrev_b32_e32 v6, s10, v6
	v_mul_lo_u32 v8, v6, s8
	v_mul_hi_u32 v11, s6, v6
	v_sub_u32_e32 v8, v3, v8
	v_add_u32_e32 v3, v6, v11
	v_lshrrev_b32_e32 v3, s7, v3
	v_mul_lo_u32 v16, v3, s11
	v_mul_lo_u32 v11, v8, s16
	;; [unrolled: 1-line block ×4, first 2 shown]
	v_sub_u32_e32 v6, v6, v16
	v_mul_lo_u32 v16, v6, s19
	v_mul_lo_u32 v18, v6, s14
	v_mul_lo_u32 v6, v6, s15
	v_add3_u32 v25, v11, v25, v16
	v_add3_u32 v29, v13, v29, v18
	v_add3_u32 v27, v8, v27, v6
	s_cbranch_scc1 .LBB362_166
; %bb.167:
	s_bitcmp1_b32 s4, 0
	s_cselect_b64 s[4:5], -1, 0
	s_and_b64 vcc, exec, s[4:5]
	s_cbranch_vccnz .LBB362_171
; %bb.168:
	s_load_dwordx2 s[4:5], s[2:3], 0x1c
	s_load_dword s8, s[2:3], 0x24
	s_load_dwordx2 s[6:7], s[2:3], 0xdc
	s_waitcnt lgkmcnt(0)
	v_mul_hi_u32 v6, s5, v3
	v_add_u32_e32 v6, v3, v6
	v_lshrrev_b32_e32 v6, s8, v6
	v_mul_lo_u32 v6, v6, s4
	s_load_dword s4, s[2:3], 0xe4
	v_sub_u32_e32 v3, v3, v6
	v_mad_u64_u32 v[25:26], s[2:3], v3, s6, v[25:26]
	v_mad_u64_u32 v[29:30], s[2:3], v3, s7, v[29:30]
	s_waitcnt lgkmcnt(0)
	v_mad_u64_u32 v[27:28], s[2:3], v3, s4, v[27:28]
	s_cbranch_execz .LBB362_172
	s_branch .LBB362_174
.LBB362_169:
                                        ; implicit-def: $vgpr25
                                        ; implicit-def: $vgpr29
                                        ; implicit-def: $vgpr27
	s_branch .LBB362_172
.LBB362_170:
	v_mov_b32_e32 v25, 0
	v_mov_b32_e32 v29, 0
	v_mov_b32_e32 v27, 0
.LBB362_171:
	s_cbranch_execnz .LBB362_174
.LBB362_172:
	s_load_dwordx4 s[4:7], s[12:13], 0x4
	s_load_dwordx4 s[8:11], s[12:13], 0xc4
	s_cmp_lt_u32 s33, 2
	s_waitcnt lgkmcnt(0)
	v_mul_hi_u32 v3, s5, v1
	v_add_u32_e32 v3, v1, v3
	v_lshrrev_b32_e32 v3, s6, v3
	v_mul_lo_u32 v6, v3, s4
	v_sub_u32_e32 v1, v1, v6
	v_mul_lo_u32 v25, v1, s8
	v_mul_lo_u32 v29, v1, s9
	;; [unrolled: 1-line block ×3, first 2 shown]
	s_cbranch_scc1 .LBB362_174
; %bb.173:
	s_load_dwordx4 s[4:7], s[12:13], 0x10
	s_load_dwordx4 s[8:11], s[12:13], 0xd0
	s_waitcnt lgkmcnt(0)
	v_mul_hi_u32 v1, s5, v3
	v_add_u32_e32 v1, v3, v1
	v_lshrrev_b32_e32 v1, s6, v1
	v_mul_lo_u32 v1, v1, s4
	v_sub_u32_e32 v1, v3, v1
	v_mad_u64_u32 v[25:26], s[2:3], v1, s8, v[25:26]
	v_mad_u64_u32 v[29:30], s[2:3], v1, s9, v[29:30]
	;; [unrolled: 1-line block ×3, first 2 shown]
.LBB362_174:
	s_and_b64 vcc, exec, s[0:1]
	v_add_u32_e32 v1, 0x300, v31
	s_cbranch_vccnz .LBB362_180
; %bb.175:
	s_cmp_lg_u32 s33, 0
	s_cbranch_scc0 .LBB362_181
; %bb.176:
	s_min_u32 s4, s36, 15
	s_add_i32 s2, s4, 1
	s_and_b32 s5, s2, 30
	s_add_u32 s2, s12, 0xffffffe8
	s_addc_u32 s3, s13, -1
	v_mov_b32_e32 v34, 0
	v_mov_b32_e32 v32, 0
	;; [unrolled: 1-line block ×4, first 2 shown]
.LBB362_177:                            ; =>This Inner Loop Header: Depth=1
	s_load_dwordx4 s[8:11], s[2:3], 0x1c
	s_load_dwordx2 s[6:7], s[2:3], 0x2c
	s_load_dwordx2 s[14:15], s[2:3], 0xec
	s_load_dwordx4 s[16:19], s[2:3], 0xdc
	s_add_u32 s2, s2, 24
	s_waitcnt lgkmcnt(0)
	v_mul_hi_u32 v6, s9, v3
	s_addc_u32 s3, s3, 0
	s_add_i32 s5, s5, -2
	s_cmp_lg_u32 s5, 0
	v_add_u32_e32 v6, v3, v6
	v_lshrrev_b32_e32 v6, s10, v6
	v_mul_lo_u32 v8, v6, s8
	v_mul_hi_u32 v11, s6, v6
	v_sub_u32_e32 v8, v3, v8
	v_add_u32_e32 v3, v6, v11
	v_lshrrev_b32_e32 v3, s7, v3
	v_mul_lo_u32 v16, v3, s11
	v_mul_lo_u32 v11, v8, s16
	;; [unrolled: 1-line block ×4, first 2 shown]
	v_sub_u32_e32 v6, v6, v16
	v_mul_lo_u32 v16, v6, s19
	v_mul_lo_u32 v18, v6, s14
	;; [unrolled: 1-line block ×3, first 2 shown]
	v_add3_u32 v30, v11, v30, v16
	v_add3_u32 v32, v13, v32, v18
	;; [unrolled: 1-line block ×3, first 2 shown]
	s_cbranch_scc1 .LBB362_177
; %bb.178:
	s_bitcmp1_b32 s4, 0
	s_cselect_b64 s[4:5], -1, 0
	s_and_b64 vcc, exec, s[4:5]
	s_cbranch_vccnz .LBB362_182
; %bb.179:
	s_load_dwordx2 s[4:5], s[2:3], 0x1c
	s_load_dword s8, s[2:3], 0x24
	s_load_dwordx2 s[6:7], s[2:3], 0xdc
	s_waitcnt lgkmcnt(0)
	v_mul_hi_u32 v6, s5, v3
	v_add_u32_e32 v6, v3, v6
	v_lshrrev_b32_e32 v6, s8, v6
	v_mul_lo_u32 v6, v6, s4
	s_load_dword s4, s[2:3], 0xe4
	v_sub_u32_e32 v3, v3, v6
	v_mad_u64_u32 v[30:31], s[2:3], v3, s6, v[30:31]
	v_mad_u64_u32 v[32:33], s[2:3], v3, s7, v[32:33]
	s_waitcnt lgkmcnt(0)
	v_mad_u64_u32 v[34:35], s[2:3], v3, s4, v[34:35]
	s_cbranch_execz .LBB362_183
	s_branch .LBB362_185
.LBB362_180:
                                        ; implicit-def: $vgpr30
                                        ; implicit-def: $vgpr32
                                        ; implicit-def: $vgpr34
	s_branch .LBB362_183
.LBB362_181:
	v_mov_b32_e32 v30, 0
	v_mov_b32_e32 v32, 0
	;; [unrolled: 1-line block ×3, first 2 shown]
.LBB362_182:
	s_cbranch_execnz .LBB362_185
.LBB362_183:
	s_load_dwordx4 s[4:7], s[12:13], 0x4
	s_load_dwordx4 s[8:11], s[12:13], 0xc4
	s_cmp_lt_u32 s33, 2
	s_waitcnt lgkmcnt(0)
	v_mul_hi_u32 v3, s5, v1
	v_add_u32_e32 v3, v1, v3
	v_lshrrev_b32_e32 v3, s6, v3
	v_mul_lo_u32 v6, v3, s4
	v_sub_u32_e32 v1, v1, v6
	v_mul_lo_u32 v30, v1, s8
	v_mul_lo_u32 v32, v1, s9
	v_mul_lo_u32 v34, v1, s10
	s_cbranch_scc1 .LBB362_185
; %bb.184:
	s_load_dwordx4 s[4:7], s[12:13], 0x10
	s_load_dwordx4 s[8:11], s[12:13], 0xd0
	s_waitcnt lgkmcnt(0)
	v_mul_hi_u32 v1, s5, v3
	v_add_u32_e32 v1, v3, v1
	v_lshrrev_b32_e32 v1, s6, v1
	v_mul_lo_u32 v1, v1, s4
	v_sub_u32_e32 v1, v3, v1
	v_mad_u64_u32 v[30:31], s[2:3], v1, s8, v[30:31]
	v_mad_u64_u32 v[32:33], s[2:3], v1, s9, v[32:33]
	;; [unrolled: 1-line block ×3, first 2 shown]
.LBB362_185:
	s_and_b64 vcc, exec, s[0:1]
	s_cbranch_vccnz .LBB362_191
; %bb.186:
	s_cmp_lg_u32 s33, 0
	s_cbranch_scc0 .LBB362_192
; %bb.187:
	s_min_u32 s2, s36, 15
	s_add_i32 s0, s2, 1
	s_and_b32 s3, s0, 30
	s_add_u32 s0, s12, 0xffffffe8
	s_addc_u32 s1, s13, -1
	v_mov_b32_e32 v39, 0
	v_mov_b32_e32 v37, 0
	;; [unrolled: 1-line block ×4, first 2 shown]
.LBB362_188:                            ; =>This Inner Loop Header: Depth=1
	s_load_dwordx4 s[4:7], s[0:1], 0x1c
	s_load_dwordx2 s[14:15], s[0:1], 0x2c
	s_load_dwordx2 s[16:17], s[0:1], 0xec
	s_load_dwordx4 s[8:11], s[0:1], 0xdc
	s_add_u32 s0, s0, 24
	s_waitcnt lgkmcnt(0)
	v_mul_hi_u32 v3, s5, v1
	s_addc_u32 s1, s1, 0
	s_add_i32 s3, s3, -2
	s_cmp_lg_u32 s3, 0
	v_add_u32_e32 v3, v1, v3
	v_lshrrev_b32_e32 v3, s6, v3
	v_mul_lo_u32 v6, v3, s4
	v_mul_hi_u32 v8, s14, v3
	v_sub_u32_e32 v6, v1, v6
	v_add_u32_e32 v1, v3, v8
	v_lshrrev_b32_e32 v1, s15, v1
	v_mul_lo_u32 v13, v1, s7
	v_mul_lo_u32 v8, v6, s8
	;; [unrolled: 1-line block ×4, first 2 shown]
	v_sub_u32_e32 v3, v3, v13
	v_mul_lo_u32 v13, v3, s11
	v_mul_lo_u32 v16, v3, s16
	;; [unrolled: 1-line block ×3, first 2 shown]
	v_add3_u32 v35, v8, v35, v13
	v_add3_u32 v37, v11, v37, v16
	;; [unrolled: 1-line block ×3, first 2 shown]
	s_cbranch_scc1 .LBB362_188
; %bb.189:
	s_bitcmp1_b32 s2, 0
	s_cselect_b64 s[2:3], -1, 0
	s_and_b64 vcc, exec, s[2:3]
	s_cbranch_vccnz .LBB362_193
; %bb.190:
	s_load_dwordx2 s[2:3], s[0:1], 0x1c
	s_load_dword s6, s[0:1], 0x24
	s_load_dwordx2 s[4:5], s[0:1], 0xdc
	s_waitcnt lgkmcnt(0)
	v_mul_hi_u32 v3, s3, v1
	v_add_u32_e32 v3, v1, v3
	v_lshrrev_b32_e32 v3, s6, v3
	v_mul_lo_u32 v3, v3, s2
	s_load_dword s2, s[0:1], 0xe4
	v_sub_u32_e32 v1, v1, v3
	v_mad_u64_u32 v[35:36], s[0:1], v1, s4, v[35:36]
	v_mad_u64_u32 v[37:38], s[0:1], v1, s5, v[37:38]
	s_waitcnt lgkmcnt(0)
	v_mad_u64_u32 v[39:40], s[0:1], v1, s2, v[39:40]
	s_cbranch_execz .LBB362_194
	s_branch .LBB362_196
.LBB362_191:
                                        ; implicit-def: $vgpr35
                                        ; implicit-def: $vgpr37
                                        ; implicit-def: $vgpr39
	s_branch .LBB362_194
.LBB362_192:
	v_mov_b32_e32 v35, 0
	v_mov_b32_e32 v37, 0
	;; [unrolled: 1-line block ×3, first 2 shown]
.LBB362_193:
	s_cbranch_execnz .LBB362_196
.LBB362_194:
	s_load_dwordx4 s[0:3], s[12:13], 0x4
	s_load_dwordx4 s[4:7], s[12:13], 0xc4
	s_cmp_lt_u32 s33, 2
	s_waitcnt lgkmcnt(0)
	v_mul_hi_u32 v1, s1, v41
	v_add_u32_e32 v1, v41, v1
	v_lshrrev_b32_e32 v1, s2, v1
	v_mul_lo_u32 v3, v1, s0
	v_sub_u32_e32 v3, v41, v3
	v_mul_lo_u32 v35, v3, s4
	v_mul_lo_u32 v37, v3, s5
	;; [unrolled: 1-line block ×3, first 2 shown]
	s_cbranch_scc1 .LBB362_196
; %bb.195:
	s_load_dwordx4 s[0:3], s[12:13], 0x10
	s_load_dwordx4 s[4:7], s[12:13], 0xd0
	s_waitcnt lgkmcnt(0)
	v_mul_hi_u32 v3, s1, v1
	v_add_u32_e32 v3, v1, v3
	v_lshrrev_b32_e32 v3, s2, v3
	v_mul_lo_u32 v3, v3, s0
	v_sub_u32_e32 v1, v1, v3
	v_mad_u64_u32 v[35:36], s[0:1], v1, s4, v[35:36]
	v_mad_u64_u32 v[37:38], s[0:1], v1, s5, v[37:38]
	;; [unrolled: 1-line block ×3, first 2 shown]
.LBB362_196:
	s_load_dwordx4 s[16:19], s[12:13], 0x188
	s_load_dwordx2 s[6:7], s[12:13], 0x198
	s_waitcnt lgkmcnt(0)
	global_load_dwordx2 v[40:41], v4, s[18:19]
	global_load_dwordx2 v[42:43], v2, s[6:7]
	s_nop 0
	global_load_dwordx2 v[1:2], v9, s[18:19]
	global_load_dwordx2 v[3:4], v7, s[6:7]
	s_waitcnt vmcnt(2)
	v_cmp_ne_u64_e32 vcc, v[40:41], v[42:43]
	s_waitcnt vmcnt(0)
	v_cmp_ne_u64_e64 s[0:1], v[1:2], v[3:4]
	global_load_dwordx2 v[1:2], v14, s[18:19]
	global_load_dwordx2 v[3:4], v12, s[6:7]
	s_waitcnt vmcnt(0)
	v_cmp_ne_u64_e64 s[2:3], v[1:2], v[3:4]
	global_load_dwordx2 v[1:2], v19, s[18:19]
	global_load_dwordx2 v[3:4], v17, s[6:7]
	s_waitcnt vmcnt(0)
	v_cmp_ne_u64_e64 s[4:5], v[1:2], v[3:4]
	global_load_dwordx2 v[1:2], v24, s[18:19]
	global_load_dwordx2 v[3:4], v22, s[6:7]
	global_load_dwordx2 v[6:7], v29, s[18:19]
	global_load_dwordx2 v[8:9], v27, s[6:7]
	;; [unrolled: 1-line block ×6, first 2 shown]
	s_load_dword s6, s[12:13], 0x1a0
	s_waitcnt lgkmcnt(0)
	s_cmp_eq_u32 s6, 0
	s_cselect_b64 s[14:15], -1, 0
	s_xor_b64 s[0:1], s[14:15], s[0:1]
	s_xor_b64 s[18:19], s[14:15], vcc
	s_waitcnt vmcnt(6)
	v_cmp_ne_u64_e64 s[6:7], v[1:2], v[3:4]
	v_cndmask_b32_e64 v2, 0, 1, s[0:1]
	s_xor_b64 s[0:1], s[14:15], s[2:3]
	s_waitcnt vmcnt(4)
	v_cmp_ne_u64_e64 s[8:9], v[6:7], v[8:9]
	v_cndmask_b32_e64 v3, 0, 1, s[0:1]
	s_xor_b64 s[0:1], s[14:15], s[4:5]
	;; [unrolled: 4-line block ×4, first 2 shown]
	v_cndmask_b32_e64 v7, 0, 1, s[0:1]
	s_xor_b64 s[0:1], s[14:15], s[10:11]
	v_cndmask_b32_e64 v1, 0, 1, s[18:19]
	v_cndmask_b32_e64 v8, 0, 1, s[0:1]
	s_xor_b64 s[0:1], s[14:15], s[12:13]
	v_cndmask_b32_e64 v9, 0, 1, s[0:1]
	global_store_byte v0, v1, s[16:17]
	global_store_byte v5, v2, s[16:17]
	;; [unrolled: 1-line block ×8, first 2 shown]
	s_endpgm
	.section	.rodata,"a",@progbits
	.p2align	6, 0x0
	.amdhsa_kernel _ZN2at6native32elementwise_kernel_manual_unrollILi128ELi8EZNS0_22gpu_kernel_impl_nocastINS0_13BinaryFunctorImmbNS0_12_GLOBAL__N_116CompareEqFunctorImEEEEEEvRNS_18TensorIteratorBaseERKT_EUlibE_EEviT1_
		.amdhsa_group_segment_fixed_size 0
		.amdhsa_private_segment_fixed_size 0
		.amdhsa_kernarg_size 432
		.amdhsa_user_sgpr_count 6
		.amdhsa_user_sgpr_private_segment_buffer 1
		.amdhsa_user_sgpr_dispatch_ptr 0
		.amdhsa_user_sgpr_queue_ptr 0
		.amdhsa_user_sgpr_kernarg_segment_ptr 1
		.amdhsa_user_sgpr_dispatch_id 0
		.amdhsa_user_sgpr_flat_scratch_init 0
		.amdhsa_user_sgpr_private_segment_size 0
		.amdhsa_uses_dynamic_stack 0
		.amdhsa_system_sgpr_private_segment_wavefront_offset 0
		.amdhsa_system_sgpr_workgroup_id_x 1
		.amdhsa_system_sgpr_workgroup_id_y 0
		.amdhsa_system_sgpr_workgroup_id_z 0
		.amdhsa_system_sgpr_workgroup_info 0
		.amdhsa_system_vgpr_workitem_id 0
		.amdhsa_next_free_vgpr 44
		.amdhsa_next_free_sgpr 52
		.amdhsa_reserve_vcc 1
		.amdhsa_reserve_flat_scratch 0
		.amdhsa_float_round_mode_32 0
		.amdhsa_float_round_mode_16_64 0
		.amdhsa_float_denorm_mode_32 3
		.amdhsa_float_denorm_mode_16_64 3
		.amdhsa_dx10_clamp 1
		.amdhsa_ieee_mode 1
		.amdhsa_fp16_overflow 0
		.amdhsa_exception_fp_ieee_invalid_op 0
		.amdhsa_exception_fp_denorm_src 0
		.amdhsa_exception_fp_ieee_div_zero 0
		.amdhsa_exception_fp_ieee_overflow 0
		.amdhsa_exception_fp_ieee_underflow 0
		.amdhsa_exception_fp_ieee_inexact 0
		.amdhsa_exception_int_div_zero 0
	.end_amdhsa_kernel
	.section	.text._ZN2at6native32elementwise_kernel_manual_unrollILi128ELi8EZNS0_22gpu_kernel_impl_nocastINS0_13BinaryFunctorImmbNS0_12_GLOBAL__N_116CompareEqFunctorImEEEEEEvRNS_18TensorIteratorBaseERKT_EUlibE_EEviT1_,"axG",@progbits,_ZN2at6native32elementwise_kernel_manual_unrollILi128ELi8EZNS0_22gpu_kernel_impl_nocastINS0_13BinaryFunctorImmbNS0_12_GLOBAL__N_116CompareEqFunctorImEEEEEEvRNS_18TensorIteratorBaseERKT_EUlibE_EEviT1_,comdat
.Lfunc_end362:
	.size	_ZN2at6native32elementwise_kernel_manual_unrollILi128ELi8EZNS0_22gpu_kernel_impl_nocastINS0_13BinaryFunctorImmbNS0_12_GLOBAL__N_116CompareEqFunctorImEEEEEEvRNS_18TensorIteratorBaseERKT_EUlibE_EEviT1_, .Lfunc_end362-_ZN2at6native32elementwise_kernel_manual_unrollILi128ELi8EZNS0_22gpu_kernel_impl_nocastINS0_13BinaryFunctorImmbNS0_12_GLOBAL__N_116CompareEqFunctorImEEEEEEvRNS_18TensorIteratorBaseERKT_EUlibE_EEviT1_
                                        ; -- End function
	.set _ZN2at6native32elementwise_kernel_manual_unrollILi128ELi8EZNS0_22gpu_kernel_impl_nocastINS0_13BinaryFunctorImmbNS0_12_GLOBAL__N_116CompareEqFunctorImEEEEEEvRNS_18TensorIteratorBaseERKT_EUlibE_EEviT1_.num_vgpr, 44
	.set _ZN2at6native32elementwise_kernel_manual_unrollILi128ELi8EZNS0_22gpu_kernel_impl_nocastINS0_13BinaryFunctorImmbNS0_12_GLOBAL__N_116CompareEqFunctorImEEEEEEvRNS_18TensorIteratorBaseERKT_EUlibE_EEviT1_.num_agpr, 0
	.set _ZN2at6native32elementwise_kernel_manual_unrollILi128ELi8EZNS0_22gpu_kernel_impl_nocastINS0_13BinaryFunctorImmbNS0_12_GLOBAL__N_116CompareEqFunctorImEEEEEEvRNS_18TensorIteratorBaseERKT_EUlibE_EEviT1_.numbered_sgpr, 52
	.set _ZN2at6native32elementwise_kernel_manual_unrollILi128ELi8EZNS0_22gpu_kernel_impl_nocastINS0_13BinaryFunctorImmbNS0_12_GLOBAL__N_116CompareEqFunctorImEEEEEEvRNS_18TensorIteratorBaseERKT_EUlibE_EEviT1_.num_named_barrier, 0
	.set _ZN2at6native32elementwise_kernel_manual_unrollILi128ELi8EZNS0_22gpu_kernel_impl_nocastINS0_13BinaryFunctorImmbNS0_12_GLOBAL__N_116CompareEqFunctorImEEEEEEvRNS_18TensorIteratorBaseERKT_EUlibE_EEviT1_.private_seg_size, 0
	.set _ZN2at6native32elementwise_kernel_manual_unrollILi128ELi8EZNS0_22gpu_kernel_impl_nocastINS0_13BinaryFunctorImmbNS0_12_GLOBAL__N_116CompareEqFunctorImEEEEEEvRNS_18TensorIteratorBaseERKT_EUlibE_EEviT1_.uses_vcc, 1
	.set _ZN2at6native32elementwise_kernel_manual_unrollILi128ELi8EZNS0_22gpu_kernel_impl_nocastINS0_13BinaryFunctorImmbNS0_12_GLOBAL__N_116CompareEqFunctorImEEEEEEvRNS_18TensorIteratorBaseERKT_EUlibE_EEviT1_.uses_flat_scratch, 0
	.set _ZN2at6native32elementwise_kernel_manual_unrollILi128ELi8EZNS0_22gpu_kernel_impl_nocastINS0_13BinaryFunctorImmbNS0_12_GLOBAL__N_116CompareEqFunctorImEEEEEEvRNS_18TensorIteratorBaseERKT_EUlibE_EEviT1_.has_dyn_sized_stack, 0
	.set _ZN2at6native32elementwise_kernel_manual_unrollILi128ELi8EZNS0_22gpu_kernel_impl_nocastINS0_13BinaryFunctorImmbNS0_12_GLOBAL__N_116CompareEqFunctorImEEEEEEvRNS_18TensorIteratorBaseERKT_EUlibE_EEviT1_.has_recursion, 0
	.set _ZN2at6native32elementwise_kernel_manual_unrollILi128ELi8EZNS0_22gpu_kernel_impl_nocastINS0_13BinaryFunctorImmbNS0_12_GLOBAL__N_116CompareEqFunctorImEEEEEEvRNS_18TensorIteratorBaseERKT_EUlibE_EEviT1_.has_indirect_call, 0
	.section	.AMDGPU.csdata,"",@progbits
; Kernel info:
; codeLenInByte = 9384
; TotalNumSgprs: 56
; NumVgprs: 44
; ScratchSize: 0
; MemoryBound: 0
; FloatMode: 240
; IeeeMode: 1
; LDSByteSize: 0 bytes/workgroup (compile time only)
; SGPRBlocks: 6
; VGPRBlocks: 10
; NumSGPRsForWavesPerEU: 56
; NumVGPRsForWavesPerEU: 44
; Occupancy: 5
; WaveLimiterHint : 1
; COMPUTE_PGM_RSRC2:SCRATCH_EN: 0
; COMPUTE_PGM_RSRC2:USER_SGPR: 6
; COMPUTE_PGM_RSRC2:TRAP_HANDLER: 0
; COMPUTE_PGM_RSRC2:TGID_X_EN: 1
; COMPUTE_PGM_RSRC2:TGID_Y_EN: 0
; COMPUTE_PGM_RSRC2:TGID_Z_EN: 0
; COMPUTE_PGM_RSRC2:TIDIG_COMP_CNT: 0
	.section	.text._ZN2at6native32elementwise_kernel_manual_unrollILi128ELi4EZNS0_15gpu_kernel_implINS0_13BinaryFunctorImmbNS0_12_GLOBAL__N_116CompareEqFunctorImEEEEEEvRNS_18TensorIteratorBaseERKT_EUlibE_EEviT1_,"axG",@progbits,_ZN2at6native32elementwise_kernel_manual_unrollILi128ELi4EZNS0_15gpu_kernel_implINS0_13BinaryFunctorImmbNS0_12_GLOBAL__N_116CompareEqFunctorImEEEEEEvRNS_18TensorIteratorBaseERKT_EUlibE_EEviT1_,comdat
	.globl	_ZN2at6native32elementwise_kernel_manual_unrollILi128ELi4EZNS0_15gpu_kernel_implINS0_13BinaryFunctorImmbNS0_12_GLOBAL__N_116CompareEqFunctorImEEEEEEvRNS_18TensorIteratorBaseERKT_EUlibE_EEviT1_ ; -- Begin function _ZN2at6native32elementwise_kernel_manual_unrollILi128ELi4EZNS0_15gpu_kernel_implINS0_13BinaryFunctorImmbNS0_12_GLOBAL__N_116CompareEqFunctorImEEEEEEvRNS_18TensorIteratorBaseERKT_EUlibE_EEviT1_
	.p2align	8
	.type	_ZN2at6native32elementwise_kernel_manual_unrollILi128ELi4EZNS0_15gpu_kernel_implINS0_13BinaryFunctorImmbNS0_12_GLOBAL__N_116CompareEqFunctorImEEEEEEvRNS_18TensorIteratorBaseERKT_EUlibE_EEviT1_,@function
_ZN2at6native32elementwise_kernel_manual_unrollILi128ELi4EZNS0_15gpu_kernel_implINS0_13BinaryFunctorImmbNS0_12_GLOBAL__N_116CompareEqFunctorImEEEEEEvRNS_18TensorIteratorBaseERKT_EUlibE_EEviT1_: ; @_ZN2at6native32elementwise_kernel_manual_unrollILi128ELi4EZNS0_15gpu_kernel_implINS0_13BinaryFunctorImmbNS0_12_GLOBAL__N_116CompareEqFunctorImEEEEEEvRNS_18TensorIteratorBaseERKT_EUlibE_EEviT1_
; %bb.0:
	s_load_dword s33, s[4:5], 0x30
	s_load_dword s50, s[4:5], 0x0
	s_load_dwordx4 s[8:11], s[4:5], 0x8
	s_load_dwordx2 s[2:3], s[4:5], 0x18
	s_load_dwordx4 s[12:15], s[4:5], 0x20
	v_lshl_or_b32 v18, s6, 9, v0
	v_or_b32_e32 v0, 0x180, v18
	s_waitcnt lgkmcnt(0)
	s_lshr_b32 s57, s33, 8
	s_lshr_b32 s56, s33, 16
	v_cmp_le_i32_e32 vcc, s50, v0
	s_mov_b64 s[4:5], 0
	s_mov_b64 s[16:17], 0
	s_and_saveexec_b64 s[0:1], vcc
	s_xor_b64 s[6:7], exec, s[0:1]
	s_cbranch_execz .LBB363_1512
; %bb.1:
	s_cmp_eq_u32 s15, 0
	s_cselect_b64 s[16:17], -1, 0
	v_cmp_gt_i32_e32 vcc, s50, v18
	s_mov_b64 s[0:1], -1
	s_mov_b64 s[28:29], 0
	s_mov_b64 s[22:23], 0
	;; [unrolled: 1-line block ×4, first 2 shown]
	s_and_saveexec_b64 s[24:25], vcc
	s_cbranch_execz .LBB363_375
; %bb.2:
	v_mul_lo_u32 v0, v18, s13
	v_mov_b32_e32 v1, s11
	s_and_b32 s20, s57, 0xff
	s_cmp_lt_i32 s20, 11
	v_ashrrev_i32_e32 v3, 31, v0
	v_add_co_u32_e32 v2, vcc, s10, v0
	v_addc_co_u32_e32 v3, vcc, v1, v3, vcc
	s_cbranch_scc1 .LBB363_9
; %bb.3:
	s_and_b32 s21, 0xffff, s20
	s_cmp_gt_i32 s21, 25
	s_cbranch_scc0 .LBB363_18
; %bb.4:
	s_cmp_gt_i32 s21, 28
	s_cbranch_scc0 .LBB363_28
; %bb.5:
	s_cmp_gt_i32 s21, 43
	s_cbranch_scc0 .LBB363_31
; %bb.6:
	s_cmp_gt_i32 s21, 45
	s_cbranch_scc0 .LBB363_34
; %bb.7:
	s_cmp_eq_u32 s21, 46
	s_cbranch_scc0 .LBB363_37
; %bb.8:
	global_load_dword v0, v[2:3], off
	s_waitcnt vmcnt(0)
	v_lshlrev_b32_e32 v0, 16, v0
	v_trunc_f32_e32 v0, v0
	v_mul_f32_e32 v1, 0x2f800000, v0
	v_floor_f32_e32 v1, v1
	v_fmac_f32_e32 v0, 0xcf800000, v1
	v_cvt_u32_f32_e32 v0, v0
	v_cvt_u32_f32_e32 v1, v1
	s_branch .LBB363_39
.LBB363_9:
                                        ; implicit-def: $vgpr0_vgpr1
	s_mov_b64 s[0:1], 0
	s_cbranch_execnz .LBB363_101
.LBB363_10:
	s_andn2_b64 vcc, exec, s[0:1]
	s_cbranch_vccnz .LBB363_148
.LBB363_11:
	v_mul_lo_u32 v2, v18, s14
	v_mov_b32_e32 v3, s3
	s_and_b32 s26, s56, 0xff
	s_cmp_lt_i32 s26, 11
	v_ashrrev_i32_e32 v4, 31, v2
	v_add_co_u32_e32 v2, vcc, s2, v2
	v_addc_co_u32_e32 v3, vcc, v3, v4, vcc
	s_cbranch_scc1 .LBB363_19
; %bb.12:
	s_and_b32 s27, 0xffff, s26
	s_cmp_gt_i32 s27, 25
	s_cbranch_scc0 .LBB363_29
; %bb.13:
	s_cmp_gt_i32 s27, 28
	s_cbranch_scc0 .LBB363_32
; %bb.14:
	;; [unrolled: 3-line block ×4, first 2 shown]
	s_cmp_eq_u32 s27, 46
	s_mov_b64 s[18:19], 0
	s_cbranch_scc0 .LBB363_149
; %bb.17:
	global_load_dword v4, v[2:3], off
	s_mov_b64 s[0:1], -1
	s_mov_b64 s[20:21], 0
	s_waitcnt vmcnt(0)
	v_lshlrev_b32_e32 v4, 16, v4
	v_trunc_f32_e32 v4, v4
	v_mul_f32_e32 v5, 0x2f800000, v4
	v_floor_f32_e32 v5, v5
	v_fmac_f32_e32 v4, 0xcf800000, v5
	v_cvt_u32_f32_e32 v4, v4
	v_cvt_u32_f32_e32 v5, v5
	s_branch .LBB363_151
.LBB363_18:
	s_mov_b64 s[0:1], 0
                                        ; implicit-def: $vgpr0_vgpr1
	s_cbranch_execnz .LBB363_70
	s_branch .LBB363_100
.LBB363_19:
	s_mov_b64 s[20:21], 0
                                        ; implicit-def: $vgpr4_vgpr5
	s_mov_b64 s[0:1], 0
	s_cbranch_execnz .LBB363_324
.LBB363_20:
	s_andn2_b64 vcc, exec, s[0:1]
	s_cbranch_vccnz .LBB363_372
.LBB363_21:
	v_mul_lo_u32 v2, v18, s12
	s_waitcnt vmcnt(0)
	v_cmp_ne_u64_e32 vcc, v[0:1], v[4:5]
	v_mov_b32_e32 v1, s9
	s_xor_b64 s[18:19], s[16:17], vcc
	v_ashrrev_i32_e32 v3, 31, v2
	s_and_b32 s36, s33, 0xff
	v_add_co_u32_e32 v0, vcc, s8, v2
	s_cmp_lt_i32 s36, 11
	v_addc_co_u32_e32 v1, vcc, v1, v3, vcc
	s_cbranch_scc1 .LBB363_30
; %bb.22:
	s_and_b32 s37, 0xffff, s36
	s_cmp_gt_i32 s37, 25
	s_cbranch_scc0 .LBB363_33
; %bb.23:
	s_cmp_gt_i32 s37, 28
	s_cbranch_scc0 .LBB363_36
; %bb.24:
	;; [unrolled: 3-line block ×4, first 2 shown]
	s_mov_b64 s[30:31], 0
	s_mov_b64 s[0:1], -1
	s_cmp_eq_u32 s37, 46
	s_mov_b64 s[26:27], 0
	s_cbranch_scc0 .LBB363_155
; %bb.27:
	v_cndmask_b32_e64 v2, 0, 1.0, s[18:19]
	v_bfe_u32 v3, v2, 16, 1
	s_movk_i32 s0, 0x7fff
	v_add3_u32 v2, v2, v3, s0
	v_lshrrev_b32_e32 v2, 16, v2
	global_store_dword v[0:1], v2, off
	s_mov_b64 s[26:27], -1
	s_mov_b64 s[0:1], 0
	s_branch .LBB363_155
.LBB363_28:
	s_mov_b64 s[18:19], -1
	s_mov_b64 s[0:1], 0
                                        ; implicit-def: $vgpr0_vgpr1
	s_branch .LBB363_51
.LBB363_29:
	s_mov_b64 s[18:19], -1
	s_mov_b64 s[20:21], 0
	s_mov_b64 s[0:1], 0
                                        ; implicit-def: $vgpr4_vgpr5
	s_branch .LBB363_292
.LBB363_30:
	s_mov_b64 s[30:31], -1
	s_mov_b64 s[0:1], 0
	s_mov_b64 s[26:27], 0
	s_branch .LBB363_224
.LBB363_31:
	s_mov_b64 s[18:19], -1
	s_mov_b64 s[0:1], 0
                                        ; implicit-def: $vgpr0_vgpr1
	s_branch .LBB363_46
.LBB363_32:
	s_mov_b64 s[18:19], -1
	s_mov_b64 s[20:21], 0
	s_mov_b64 s[0:1], 0
                                        ; implicit-def: $vgpr4_vgpr5
	s_branch .LBB363_273
.LBB363_33:
	s_mov_b64 s[30:31], -1
	s_mov_b64 s[0:1], 0
	s_mov_b64 s[26:27], 0
	s_branch .LBB363_182
.LBB363_34:
	s_mov_b64 s[18:19], -1
	s_branch .LBB363_38
.LBB363_35:
	s_mov_b64 s[18:19], -1
	s_mov_b64 s[20:21], 0
	s_mov_b64 s[0:1], 0
                                        ; implicit-def: $vgpr4_vgpr5
	s_branch .LBB363_268
.LBB363_36:
	s_mov_b64 s[30:31], -1
	s_mov_b64 s[0:1], 0
	s_mov_b64 s[26:27], 0
	s_branch .LBB363_165
.LBB363_37:
	s_mov_b64 s[22:23], -1
.LBB363_38:
	s_mov_b64 s[0:1], 0
                                        ; implicit-def: $vgpr0_vgpr1
.LBB363_39:
	s_and_b64 vcc, exec, s[18:19]
	s_cbranch_vccz .LBB363_45
; %bb.40:
	s_cmp_eq_u32 s21, 44
	s_cbranch_scc0 .LBB363_44
; %bb.41:
	global_load_ubyte v0, v[2:3], off
	s_mov_b64 s[0:1], -1
	s_mov_b64 s[22:23], 0
	s_waitcnt vmcnt(0)
	v_lshlrev_b32_e32 v1, 23, v0
	v_trunc_f32_e32 v1, v1
	v_mul_f32_e32 v4, 0x2f800000, v1
	v_floor_f32_e32 v4, v4
	v_fmac_f32_e32 v1, 0xcf800000, v4
	v_cvt_u32_f32_e32 v4, v4
	v_cvt_u32_f32_e32 v5, v1
	v_cmp_ne_u32_e32 vcc, 0, v0
	v_cndmask_b32_e32 v1, 0, v4, vcc
	v_cndmask_b32_e32 v0, 0, v5, vcc
	s_branch .LBB363_45
.LBB363_42:
	s_mov_b64 s[18:19], -1
	s_mov_b64 s[20:21], 0
	s_branch .LBB363_150
.LBB363_43:
	s_mov_b64 s[30:31], -1
	s_mov_b64 s[0:1], 0
	s_mov_b64 s[26:27], 0
	s_branch .LBB363_161
.LBB363_44:
	s_mov_b64 s[22:23], -1
                                        ; implicit-def: $vgpr0_vgpr1
.LBB363_45:
	s_mov_b64 s[18:19], 0
.LBB363_46:
	s_and_b64 vcc, exec, s[18:19]
	s_cbranch_vccz .LBB363_50
; %bb.47:
	s_cmp_eq_u32 s21, 29
	s_cbranch_scc0 .LBB363_49
; %bb.48:
	global_load_dwordx2 v[0:1], v[2:3], off
	s_mov_b64 s[0:1], -1
	s_mov_b64 s[22:23], 0
	s_branch .LBB363_50
.LBB363_49:
	s_mov_b64 s[22:23], -1
                                        ; implicit-def: $vgpr0_vgpr1
.LBB363_50:
	s_mov_b64 s[18:19], 0
.LBB363_51:
	s_and_b64 vcc, exec, s[18:19]
	s_cbranch_vccz .LBB363_69
; %bb.52:
	s_cmp_lt_i32 s21, 27
	s_cbranch_scc1 .LBB363_55
; %bb.53:
	s_cmp_gt_i32 s21, 27
	s_cbranch_scc0 .LBB363_56
; %bb.54:
	global_load_dword v0, v[2:3], off
	s_waitcnt vmcnt(1)
	v_mov_b32_e32 v1, 0
	s_mov_b64 s[0:1], 0
	s_branch .LBB363_57
.LBB363_55:
	s_mov_b64 s[0:1], -1
                                        ; implicit-def: $vgpr0_vgpr1
	s_branch .LBB363_60
.LBB363_56:
	s_mov_b64 s[0:1], -1
                                        ; implicit-def: $vgpr0_vgpr1
.LBB363_57:
	s_andn2_b64 vcc, exec, s[0:1]
	s_cbranch_vccnz .LBB363_59
; %bb.58:
	global_load_ushort v0, v[2:3], off
	s_mov_b32 s0, 0
	s_waitcnt vmcnt(1)
	v_mov_b32_e32 v1, s0
	s_waitcnt vmcnt(0)
	v_and_b32_e32 v0, 0xffff, v0
.LBB363_59:
	s_mov_b64 s[0:1], 0
.LBB363_60:
	s_andn2_b64 vcc, exec, s[0:1]
	s_cbranch_vccnz .LBB363_68
; %bb.61:
	global_load_ubyte v4, v[2:3], off
	s_movk_i32 s0, 0x7f
	s_mov_b64 s[18:19], 0
	s_waitcnt vmcnt(0)
	v_cmp_lt_i16_e32 vcc, s0, v4
	s_and_saveexec_b64 s[0:1], vcc
	s_xor_b64 s[0:1], exec, s[0:1]
; %bb.62:
	s_movk_i32 s18, 0x80
	v_cmp_ne_u16_e32 vcc, s18, v4
	s_and_b64 s[18:19], vcc, exec
; %bb.63:
	s_andn2_saveexec_b64 s[0:1], s[0:1]
; %bb.64:
	v_cmp_ne_u16_e32 vcc, 0, v4
	s_andn2_b64 s[18:19], s[18:19], exec
	s_and_b64 s[26:27], vcc, exec
	s_or_b64 s[18:19], s[18:19], s[26:27]
; %bb.65:
	s_or_b64 exec, exec, s[0:1]
	v_mov_b32_e32 v0, 0
	v_mov_b32_e32 v1, 0
	s_and_saveexec_b64 s[0:1], s[18:19]
	s_cbranch_execz .LBB363_67
; %bb.66:
	v_and_b32_e32 v1, 0xffff, v4
	v_lshlrev_b32_e32 v0, 24, v4
	v_and_b32_e32 v4, 7, v1
	v_ffbh_u32_e32 v6, v4
	v_min_u32_e32 v6, 32, v6
	v_subrev_u32_e32 v7, 28, v6
	v_bfe_u32 v5, v1, 3, 4
	v_lshlrev_b32_e32 v1, v7, v1
	v_sub_u32_e32 v6, 29, v6
	v_and_b32_e32 v1, 7, v1
	v_cmp_eq_u32_e32 vcc, 0, v5
	v_cndmask_b32_e32 v5, v5, v6, vcc
	v_cndmask_b32_e32 v1, v4, v1, vcc
	v_mov_b32_e32 v4, 0x3b800000
	v_lshlrev_b32_e32 v1, 20, v1
	v_and_b32_e32 v0, 0x80000000, v0
	v_lshl_add_u32 v4, v5, 23, v4
	v_or3_b32 v0, v0, v4, v1
	v_trunc_f32_e32 v0, v0
	v_mul_f32_e32 v1, 0x2f800000, v0
	v_floor_f32_e32 v1, v1
	v_fmac_f32_e32 v0, 0xcf800000, v1
	v_cvt_u32_f32_e32 v0, v0
	v_cvt_u32_f32_e32 v1, v1
.LBB363_67:
	s_or_b64 exec, exec, s[0:1]
.LBB363_68:
	s_mov_b64 s[0:1], -1
.LBB363_69:
	s_branch .LBB363_100
.LBB363_70:
	s_cmp_gt_i32 s21, 22
	s_cbranch_scc0 .LBB363_80
; %bb.71:
	s_cmp_lt_i32 s21, 24
	s_cbranch_scc1 .LBB363_81
; %bb.72:
	s_cmp_gt_i32 s21, 24
	s_cbranch_scc0 .LBB363_82
; %bb.73:
	global_load_ubyte v4, v[2:3], off
	s_movk_i32 s0, 0x7f
	s_mov_b64 s[18:19], 0
	s_waitcnt vmcnt(0)
	v_cmp_lt_i16_e32 vcc, s0, v4
	s_and_saveexec_b64 s[0:1], vcc
	s_xor_b64 s[0:1], exec, s[0:1]
; %bb.74:
	s_movk_i32 s18, 0x80
	v_cmp_ne_u16_e32 vcc, s18, v4
	s_and_b64 s[18:19], vcc, exec
; %bb.75:
	s_andn2_saveexec_b64 s[0:1], s[0:1]
; %bb.76:
	v_cmp_ne_u16_e32 vcc, 0, v4
	s_andn2_b64 s[18:19], s[18:19], exec
	s_and_b64 s[26:27], vcc, exec
	s_or_b64 s[18:19], s[18:19], s[26:27]
; %bb.77:
	s_or_b64 exec, exec, s[0:1]
	v_mov_b32_e32 v0, 0
	v_mov_b32_e32 v1, 0
	s_and_saveexec_b64 s[0:1], s[18:19]
	s_cbranch_execz .LBB363_79
; %bb.78:
	v_and_b32_e32 v1, 0xffff, v4
	v_lshlrev_b32_e32 v0, 24, v4
	v_and_b32_e32 v4, 3, v1
	v_ffbh_u32_e32 v6, v4
	v_min_u32_e32 v6, 32, v6
	v_subrev_u32_e32 v7, 29, v6
	v_bfe_u32 v5, v1, 2, 5
	v_lshlrev_b32_e32 v1, v7, v1
	v_sub_u32_e32 v6, 30, v6
	v_and_b32_e32 v1, 3, v1
	v_cmp_eq_u32_e32 vcc, 0, v5
	v_cndmask_b32_e32 v5, v5, v6, vcc
	v_cndmask_b32_e32 v1, v4, v1, vcc
	v_mov_b32_e32 v4, 0x37800000
	v_lshlrev_b32_e32 v1, 21, v1
	v_and_b32_e32 v0, 0x80000000, v0
	v_lshl_add_u32 v4, v5, 23, v4
	v_or3_b32 v0, v0, v4, v1
	v_trunc_f32_e32 v0, v0
	v_mul_f32_e32 v1, 0x2f800000, v0
	v_floor_f32_e32 v1, v1
	v_fmac_f32_e32 v0, 0xcf800000, v1
	v_cvt_u32_f32_e32 v0, v0
	v_cvt_u32_f32_e32 v1, v1
.LBB363_79:
	s_or_b64 exec, exec, s[0:1]
	s_mov_b64 s[0:1], 0
	s_branch .LBB363_83
.LBB363_80:
	s_mov_b64 s[18:19], -1
                                        ; implicit-def: $vgpr0_vgpr1
	s_branch .LBB363_89
.LBB363_81:
	s_mov_b64 s[0:1], -1
                                        ; implicit-def: $vgpr0_vgpr1
	s_branch .LBB363_86
.LBB363_82:
	s_mov_b64 s[0:1], -1
                                        ; implicit-def: $vgpr0_vgpr1
.LBB363_83:
	s_and_b64 vcc, exec, s[0:1]
	s_cbranch_vccz .LBB363_85
; %bb.84:
	global_load_ubyte v0, v[2:3], off
	s_mov_b32 s0, 0x7f800000
	s_brev_b32 s1, 1
	s_waitcnt vmcnt(0)
	v_lshlrev_b32_e32 v0, 24, v0
	v_and_b32_e32 v1, 0x7f000000, v0
	v_ffbh_u32_e32 v4, v1
	v_min_u32_e32 v4, 32, v4
	v_sub_u32_e64 v4, v4, 4 clamp
	v_lshlrev_b32_e32 v6, v4, v1
	v_lshlrev_b32_e32 v4, 23, v4
	v_lshrrev_b32_e32 v6, 4, v6
	v_add_u32_e32 v5, 0x1000000, v1
	v_sub_u32_e32 v4, v6, v4
	v_ashrrev_i32_e32 v5, 8, v5
	v_add_u32_e32 v4, 0x3c000000, v4
	v_and_or_b32 v4, v5, s0, v4
	v_cmp_ne_u32_e32 vcc, 0, v1
	v_cndmask_b32_e32 v1, 0, v4, vcc
	v_and_or_b32 v0, v0, s1, v1
	v_trunc_f32_e32 v0, v0
	v_mul_f32_e32 v1, 0x2f800000, v0
	v_floor_f32_e32 v1, v1
	v_fmac_f32_e32 v0, 0xcf800000, v1
	v_cvt_u32_f32_e32 v0, v0
	v_cvt_u32_f32_e32 v1, v1
.LBB363_85:
	s_mov_b64 s[0:1], 0
.LBB363_86:
	s_andn2_b64 vcc, exec, s[0:1]
	s_cbranch_vccnz .LBB363_88
; %bb.87:
	global_load_ubyte v0, v[2:3], off
	s_movk_i32 s0, 0x7f00
	s_brev_b32 s1, 16
	s_brev_b32 s18, 1
	s_waitcnt vmcnt(0)
	v_lshlrev_b16_e32 v1, 8, v0
	v_lshlrev_b32_e32 v0, 25, v0
	v_lshrrev_b32_e32 v4, 4, v0
	v_and_or_b32 v5, v1, s0, 0.5
	v_or_b32_e32 v4, 0x70000000, v4
	v_add_f32_e32 v5, -0.5, v5
	v_mul_f32_e32 v4, 0x7800000, v4
	v_cmp_gt_u32_e32 vcc, s1, v0
	v_bfe_i32 v1, v1, 0, 16
	v_cndmask_b32_e32 v0, v4, v5, vcc
	v_and_or_b32 v0, v1, s18, v0
	v_trunc_f32_e32 v0, v0
	v_mul_f32_e32 v1, 0x2f800000, v0
	v_floor_f32_e32 v1, v1
	v_fmac_f32_e32 v0, 0xcf800000, v1
	v_cvt_u32_f32_e32 v0, v0
	v_cvt_u32_f32_e32 v1, v1
.LBB363_88:
	s_mov_b64 s[18:19], 0
	s_mov_b64 s[0:1], -1
.LBB363_89:
	s_andn2_b64 vcc, exec, s[18:19]
	s_cbranch_vccnz .LBB363_100
; %bb.90:
	s_cmp_gt_i32 s21, 14
	s_cbranch_scc0 .LBB363_93
; %bb.91:
	s_cmp_eq_u32 s21, 15
	s_cbranch_scc0 .LBB363_94
; %bb.92:
	global_load_ushort v0, v[2:3], off
	s_mov_b64 s[0:1], -1
	s_mov_b64 s[22:23], 0
	s_waitcnt vmcnt(0)
	v_lshlrev_b32_e32 v0, 16, v0
	v_trunc_f32_e32 v0, v0
	v_mul_f32_e32 v1, 0x2f800000, v0
	v_floor_f32_e32 v1, v1
	v_fmac_f32_e32 v0, 0xcf800000, v1
	v_cvt_u32_f32_e32 v0, v0
	v_cvt_u32_f32_e32 v1, v1
	s_branch .LBB363_95
.LBB363_93:
	s_mov_b64 s[18:19], -1
                                        ; implicit-def: $vgpr0_vgpr1
	s_branch .LBB363_96
.LBB363_94:
	s_mov_b64 s[22:23], -1
                                        ; implicit-def: $vgpr0_vgpr1
.LBB363_95:
	s_mov_b64 s[18:19], 0
.LBB363_96:
	s_and_b64 vcc, exec, s[18:19]
	s_cbranch_vccz .LBB363_100
; %bb.97:
	s_cmp_eq_u32 s21, 11
	s_cbranch_scc0 .LBB363_99
; %bb.98:
	global_load_ubyte v0, v[2:3], off
	s_mov_b32 s18, 0
	s_mov_b64 s[0:1], -1
	s_waitcnt vmcnt(1)
	v_mov_b32_e32 v1, s18
	s_mov_b64 s[22:23], 0
	s_waitcnt vmcnt(0)
	v_cmp_ne_u16_e32 vcc, 0, v0
	v_cndmask_b32_e64 v0, 0, 1, vcc
	s_branch .LBB363_100
.LBB363_99:
	s_mov_b64 s[22:23], -1
                                        ; implicit-def: $vgpr0_vgpr1
.LBB363_100:
	s_branch .LBB363_10
.LBB363_101:
	s_and_b32 s18, 0xffff, s20
	s_cmp_lt_i32 s18, 5
	s_cbranch_scc1 .LBB363_106
; %bb.102:
	s_cmp_lt_i32 s18, 8
	s_cbranch_scc1 .LBB363_107
; %bb.103:
	;; [unrolled: 3-line block ×3, first 2 shown]
	s_cmp_gt_i32 s18, 9
	s_cbranch_scc0 .LBB363_109
; %bb.105:
	global_load_dwordx2 v[0:1], v[2:3], off
	s_movk_i32 s0, 0xffe0
	s_waitcnt vmcnt(0)
	v_trunc_f64_e32 v[0:1], v[0:1]
	v_ldexp_f64 v[4:5], v[0:1], s0
	s_mov_b32 s0, 0
	s_mov_b32 s1, 0xc1f00000
	v_floor_f64_e32 v[4:5], v[4:5]
	v_fma_f64 v[6:7], v[4:5], s[0:1], v[0:1]
	v_cvt_u32_f64_e32 v1, v[4:5]
	s_mov_b64 s[0:1], 0
	v_cvt_u32_f64_e32 v0, v[6:7]
	s_branch .LBB363_110
.LBB363_106:
                                        ; implicit-def: $vgpr0_vgpr1
	s_branch .LBB363_128
.LBB363_107:
	s_mov_b64 s[0:1], -1
                                        ; implicit-def: $vgpr0_vgpr1
	s_branch .LBB363_116
.LBB363_108:
	s_mov_b64 s[0:1], -1
                                        ; implicit-def: $vgpr0_vgpr1
	s_branch .LBB363_113
.LBB363_109:
	s_mov_b64 s[0:1], -1
                                        ; implicit-def: $vgpr0_vgpr1
.LBB363_110:
	s_andn2_b64 vcc, exec, s[0:1]
	s_cbranch_vccnz .LBB363_112
; %bb.111:
	global_load_dword v0, v[2:3], off
	s_waitcnt vmcnt(0)
	v_trunc_f32_e32 v0, v0
	v_mul_f32_e32 v1, 0x2f800000, v0
	v_floor_f32_e32 v4, v1
	v_fmac_f32_e32 v0, 0xcf800000, v4
	v_cvt_u32_f32_e32 v1, v4
	v_cvt_u32_f32_e32 v0, v0
.LBB363_112:
	s_mov_b64 s[0:1], 0
.LBB363_113:
	s_andn2_b64 vcc, exec, s[0:1]
	s_cbranch_vccnz .LBB363_115
; %bb.114:
	global_load_dword v0, v[2:3], off
	s_waitcnt vmcnt(1)
	v_mov_b32_e32 v1, 0
	s_waitcnt vmcnt(0)
	v_cvt_f32_f16_e32 v0, v0
	v_cvt_u32_f32_e32 v0, v0
.LBB363_115:
	s_mov_b64 s[0:1], 0
.LBB363_116:
	s_andn2_b64 vcc, exec, s[0:1]
	s_cbranch_vccnz .LBB363_127
; %bb.117:
	s_cmp_lt_i32 s18, 6
	s_cbranch_scc1 .LBB363_120
; %bb.118:
	s_cmp_gt_i32 s18, 6
	s_cbranch_scc0 .LBB363_121
; %bb.119:
	global_load_dwordx2 v[0:1], v[2:3], off
	s_movk_i32 s0, 0xffe0
	s_waitcnt vmcnt(0)
	v_trunc_f64_e32 v[0:1], v[0:1]
	v_ldexp_f64 v[4:5], v[0:1], s0
	s_mov_b32 s0, 0
	s_mov_b32 s1, 0xc1f00000
	v_floor_f64_e32 v[4:5], v[4:5]
	v_fma_f64 v[6:7], v[4:5], s[0:1], v[0:1]
	v_cvt_u32_f64_e32 v1, v[4:5]
	s_mov_b64 s[0:1], 0
	v_cvt_u32_f64_e32 v0, v[6:7]
	s_branch .LBB363_122
.LBB363_120:
	s_mov_b64 s[0:1], -1
                                        ; implicit-def: $vgpr0_vgpr1
	s_branch .LBB363_125
.LBB363_121:
	s_mov_b64 s[0:1], -1
                                        ; implicit-def: $vgpr0_vgpr1
.LBB363_122:
	s_andn2_b64 vcc, exec, s[0:1]
	s_cbranch_vccnz .LBB363_124
; %bb.123:
	global_load_dword v0, v[2:3], off
	s_waitcnt vmcnt(0)
	v_trunc_f32_e32 v0, v0
	v_mul_f32_e32 v1, 0x2f800000, v0
	v_floor_f32_e32 v4, v1
	v_fmac_f32_e32 v0, 0xcf800000, v4
	v_cvt_u32_f32_e32 v1, v4
	v_cvt_u32_f32_e32 v0, v0
.LBB363_124:
	s_mov_b64 s[0:1], 0
.LBB363_125:
	s_andn2_b64 vcc, exec, s[0:1]
	s_cbranch_vccnz .LBB363_127
; %bb.126:
	global_load_ushort v0, v[2:3], off
	s_waitcnt vmcnt(1)
	v_mov_b32_e32 v1, 0
	s_waitcnt vmcnt(0)
	v_cvt_f32_f16_e32 v0, v0
	v_cvt_u32_f32_e32 v0, v0
.LBB363_127:
	s_cbranch_execnz .LBB363_147
.LBB363_128:
	s_cmp_lt_i32 s18, 2
	s_cbranch_scc1 .LBB363_132
; %bb.129:
	s_cmp_lt_i32 s18, 3
	s_cbranch_scc1 .LBB363_133
; %bb.130:
	s_cmp_gt_i32 s18, 3
	s_cbranch_scc0 .LBB363_134
; %bb.131:
	global_load_dwordx2 v[0:1], v[2:3], off
	s_mov_b64 s[0:1], 0
	s_branch .LBB363_135
.LBB363_132:
	s_mov_b64 s[0:1], -1
                                        ; implicit-def: $vgpr0_vgpr1
	s_branch .LBB363_141
.LBB363_133:
	s_mov_b64 s[0:1], -1
                                        ; implicit-def: $vgpr0_vgpr1
	s_branch .LBB363_138
.LBB363_134:
	s_mov_b64 s[0:1], -1
                                        ; implicit-def: $vgpr0_vgpr1
.LBB363_135:
	s_andn2_b64 vcc, exec, s[0:1]
	s_cbranch_vccnz .LBB363_137
; %bb.136:
	global_load_dword v0, v[2:3], off
	s_waitcnt vmcnt(0)
	v_ashrrev_i32_e32 v1, 31, v0
.LBB363_137:
	s_mov_b64 s[0:1], 0
.LBB363_138:
	s_andn2_b64 vcc, exec, s[0:1]
	s_cbranch_vccnz .LBB363_140
; %bb.139:
	global_load_ushort v0, v[2:3], off
	s_waitcnt vmcnt(0)
	v_bfe_i32 v0, v0, 0, 16
	v_ashrrev_i32_e32 v1, 31, v0
.LBB363_140:
	s_mov_b64 s[0:1], 0
.LBB363_141:
	s_andn2_b64 vcc, exec, s[0:1]
	s_cbranch_vccnz .LBB363_147
; %bb.142:
	s_cmp_gt_i32 s18, 0
	s_cbranch_scc0 .LBB363_144
; %bb.143:
	global_load_sbyte v0, v[2:3], off
	s_mov_b64 s[0:1], 0
	s_waitcnt vmcnt(0)
	v_bfe_i32 v0, v0, 0, 16
	v_ashrrev_i32_e32 v1, 31, v0
	s_branch .LBB363_145
.LBB363_144:
	s_mov_b64 s[0:1], -1
                                        ; implicit-def: $vgpr0_vgpr1
.LBB363_145:
	s_andn2_b64 vcc, exec, s[0:1]
	s_cbranch_vccnz .LBB363_147
; %bb.146:
	global_load_ubyte v0, v[2:3], off
	s_mov_b32 s0, 0
	s_waitcnt vmcnt(1)
	v_mov_b32_e32 v1, s0
	s_waitcnt vmcnt(0)
	v_and_b32_e32 v0, 0xffff, v0
.LBB363_147:
	s_branch .LBB363_11
.LBB363_148:
	s_mov_b64 s[0:1], 0
	s_mov_b64 s[20:21], 0
	s_branch .LBB363_373
.LBB363_149:
	s_mov_b64 s[20:21], -1
.LBB363_150:
	s_mov_b64 s[0:1], 0
                                        ; implicit-def: $vgpr4_vgpr5
.LBB363_151:
	s_and_b64 vcc, exec, s[18:19]
	s_cbranch_vccz .LBB363_267
; %bb.152:
	s_cmp_eq_u32 s27, 44
	s_cbranch_scc0 .LBB363_266
; %bb.153:
	global_load_ubyte v4, v[2:3], off
	s_mov_b64 s[0:1], -1
	s_mov_b64 s[20:21], 0
	s_waitcnt vmcnt(0)
	v_lshlrev_b32_e32 v5, 23, v4
	v_trunc_f32_e32 v5, v5
	v_mul_f32_e32 v6, 0x2f800000, v5
	v_floor_f32_e32 v6, v6
	v_fmac_f32_e32 v5, 0xcf800000, v6
	v_cvt_u32_f32_e32 v6, v6
	v_cvt_u32_f32_e32 v7, v5
	v_cmp_ne_u32_e32 vcc, 0, v4
	v_cndmask_b32_e32 v5, 0, v6, vcc
	v_cndmask_b32_e32 v4, 0, v7, vcc
	s_branch .LBB363_267
.LBB363_154:
	s_mov_b64 s[30:31], -1
	s_mov_b64 s[0:1], 0
	s_mov_b64 s[26:27], 0
.LBB363_155:
	s_and_b64 vcc, exec, s[30:31]
	s_cbranch_vccz .LBB363_160
; %bb.156:
	s_cmp_eq_u32 s37, 44
	s_mov_b64 s[0:1], -1
	s_cbranch_scc0 .LBB363_160
; %bb.157:
	v_cndmask_b32_e64 v3, 0, 1.0, s[18:19]
	v_lshrrev_b32_e32 v2, 23, v3
	s_movk_i32 s0, 0xff
	v_cmp_ne_u32_e32 vcc, s0, v2
	v_mov_b32_e32 v4, 0xff
	s_and_saveexec_b64 s[26:27], vcc
; %bb.158:
	s_mov_b32 s0, 0x3fffff
	v_and_b32_e32 v4, 0x400000, v3
	v_and_or_b32 v3, v3, s0, v2
	v_cmp_ne_u32_e32 vcc, 0, v4
	v_cmp_ne_u32_e64 s[0:1], 0, v3
	s_and_b64 s[0:1], vcc, s[0:1]
	v_cndmask_b32_e64 v3, 0, 1, s[0:1]
	v_add_u32_e32 v4, v2, v3
; %bb.159:
	s_or_b64 exec, exec, s[26:27]
	s_mov_b64 s[26:27], -1
	s_mov_b64 s[0:1], 0
	global_store_byte v[0:1], v4, off
.LBB363_160:
	s_mov_b64 s[30:31], 0
.LBB363_161:
	s_and_b64 vcc, exec, s[30:31]
	s_cbranch_vccz .LBB363_164
; %bb.162:
	s_cmp_eq_u32 s37, 29
	s_mov_b64 s[0:1], -1
	s_cbranch_scc0 .LBB363_164
; %bb.163:
	s_mov_b32 s0, 0
	v_cndmask_b32_e64 v2, 0, 1, s[18:19]
	v_mov_b32_e32 v3, s0
	global_store_dwordx2 v[0:1], v[2:3], off
	s_mov_b64 s[26:27], -1
	s_mov_b64 s[0:1], 0
.LBB363_164:
	s_mov_b64 s[30:31], 0
.LBB363_165:
	s_and_b64 vcc, exec, s[30:31]
	s_cbranch_vccz .LBB363_181
; %bb.166:
	s_cmp_lt_i32 s37, 27
	s_mov_b64 s[26:27], -1
	s_cbranch_scc1 .LBB363_172
; %bb.167:
	s_cmp_gt_i32 s37, 27
	s_cbranch_scc0 .LBB363_169
; %bb.168:
	v_cndmask_b32_e64 v2, 0, 1, s[18:19]
	s_mov_b64 s[26:27], 0
	global_store_dword v[0:1], v2, off
.LBB363_169:
	s_andn2_b64 vcc, exec, s[26:27]
	s_cbranch_vccnz .LBB363_171
; %bb.170:
	v_cndmask_b32_e64 v2, 0, 1, s[18:19]
	global_store_short v[0:1], v2, off
.LBB363_171:
	s_mov_b64 s[26:27], 0
.LBB363_172:
	s_andn2_b64 vcc, exec, s[26:27]
	s_cbranch_vccnz .LBB363_180
; %bb.173:
	v_cndmask_b32_e64 v3, 0, 1.0, s[18:19]
	s_mov_b32 s26, 0x43800000
	v_cmp_gt_u32_e32 vcc, s26, v3
	v_mov_b32_e32 v4, 0x80
	s_and_saveexec_b64 s[26:27], vcc
	s_cbranch_execz .LBB363_179
; %bb.174:
	s_mov_b32 s30, 0x3bffffff
	v_cmp_lt_u32_e32 vcc, s30, v3
	s_mov_b64 s[30:31], 0
                                        ; implicit-def: $vgpr2
	s_and_saveexec_b64 s[34:35], vcc
	s_xor_b64 s[34:35], exec, s[34:35]
	s_cbranch_execz .LBB363_404
; %bb.175:
	v_bfe_u32 v2, v3, 20, 1
	s_mov_b32 s38, 0x487ffff
	v_add3_u32 v2, v3, v2, s38
	s_mov_b64 s[30:31], exec
	v_lshrrev_b32_e32 v2, 20, v2
                                        ; implicit-def: $vgpr3
	s_andn2_saveexec_b64 s[34:35], s[34:35]
	s_cbranch_execnz .LBB363_405
.LBB363_176:
	s_or_b64 exec, exec, s[34:35]
	v_mov_b32_e32 v4, 0
	s_and_saveexec_b64 s[34:35], s[30:31]
.LBB363_177:
	v_mov_b32_e32 v4, v2
.LBB363_178:
	s_or_b64 exec, exec, s[34:35]
.LBB363_179:
	s_or_b64 exec, exec, s[26:27]
	global_store_byte v[0:1], v4, off
.LBB363_180:
	s_mov_b64 s[26:27], -1
.LBB363_181:
	s_mov_b64 s[30:31], 0
.LBB363_182:
	s_and_b64 vcc, exec, s[30:31]
	s_cbranch_vccz .LBB363_223
; %bb.183:
	s_cmp_gt_i32 s37, 22
	s_mov_b64 s[30:31], -1
	s_cbranch_scc0 .LBB363_215
; %bb.184:
	s_cmp_lt_i32 s37, 24
	s_mov_b64 s[26:27], -1
	s_cbranch_scc1 .LBB363_204
; %bb.185:
	s_cmp_gt_i32 s37, 24
	s_cbranch_scc0 .LBB363_193
; %bb.186:
	v_cndmask_b32_e64 v3, 0, 1.0, s[18:19]
	s_mov_b32 s26, 0x47800000
	v_cmp_gt_u32_e32 vcc, s26, v3
	v_mov_b32_e32 v4, 0x80
	s_and_saveexec_b64 s[26:27], vcc
	s_cbranch_execz .LBB363_192
; %bb.187:
	s_mov_b32 s30, 0x37ffffff
	v_cmp_lt_u32_e32 vcc, s30, v3
	s_mov_b64 s[30:31], 0
                                        ; implicit-def: $vgpr2
	s_and_saveexec_b64 s[34:35], vcc
	s_xor_b64 s[34:35], exec, s[34:35]
	s_cbranch_execz .LBB363_519
; %bb.188:
	v_bfe_u32 v2, v3, 21, 1
	s_mov_b32 s38, 0x88fffff
	v_add3_u32 v2, v3, v2, s38
	s_mov_b64 s[30:31], exec
	v_lshrrev_b32_e32 v2, 21, v2
                                        ; implicit-def: $vgpr3
	s_andn2_saveexec_b64 s[34:35], s[34:35]
	s_cbranch_execnz .LBB363_520
.LBB363_189:
	s_or_b64 exec, exec, s[34:35]
	v_mov_b32_e32 v4, 0
	s_and_saveexec_b64 s[34:35], s[30:31]
.LBB363_190:
	v_mov_b32_e32 v4, v2
.LBB363_191:
	s_or_b64 exec, exec, s[34:35]
.LBB363_192:
	s_or_b64 exec, exec, s[26:27]
	s_mov_b64 s[26:27], 0
	global_store_byte v[0:1], v4, off
.LBB363_193:
	s_and_b64 vcc, exec, s[26:27]
	s_cbranch_vccz .LBB363_203
; %bb.194:
	v_cndmask_b32_e64 v2, 0, 1.0, s[18:19]
	s_mov_b32 s26, 0x43f00000
	v_cmp_gt_u32_e32 vcc, s26, v2
                                        ; implicit-def: $vgpr3
	s_and_saveexec_b64 s[26:27], vcc
	s_xor_b64 s[26:27], exec, s[26:27]
	s_cbranch_execz .LBB363_200
; %bb.195:
	s_mov_b32 s30, 0x3c7fffff
	v_cmp_lt_u32_e32 vcc, s30, v2
                                        ; implicit-def: $vgpr3
	s_and_saveexec_b64 s[30:31], vcc
	s_xor_b64 s[30:31], exec, s[30:31]
; %bb.196:
	v_bfe_u32 v3, v2, 20, 1
	s_mov_b32 s34, 0x407ffff
	v_add3_u32 v2, v2, v3, s34
	v_lshrrev_b32_e32 v3, 20, v2
	v_and_b32_e32 v2, 0xff00000, v2
	s_mov_b32 s34, 0x7f00000
	v_mov_b32_e32 v4, 0x7e
	v_cmp_ne_u32_e32 vcc, s34, v2
	v_cndmask_b32_e32 v3, v4, v3, vcc
                                        ; implicit-def: $vgpr2
; %bb.197:
	s_andn2_saveexec_b64 s[30:31], s[30:31]
; %bb.198:
	v_add_f32_e32 v3, 0x46800000, v2
; %bb.199:
	s_or_b64 exec, exec, s[30:31]
                                        ; implicit-def: $vgpr2
.LBB363_200:
	s_andn2_saveexec_b64 s[26:27], s[26:27]
; %bb.201:
	s_mov_b32 s30, 0x7f800000
	v_mov_b32_e32 v3, 0x7e
	v_mov_b32_e32 v4, 0x7f
	v_cmp_lt_u32_e32 vcc, s30, v2
	v_cndmask_b32_e32 v3, v3, v4, vcc
; %bb.202:
	s_or_b64 exec, exec, s[26:27]
	global_store_byte v[0:1], v3, off
.LBB363_203:
	s_mov_b64 s[26:27], 0
.LBB363_204:
	s_andn2_b64 vcc, exec, s[26:27]
	s_cbranch_vccnz .LBB363_214
; %bb.205:
	v_cndmask_b32_e64 v2, 0, 1.0, s[18:19]
	s_mov_b32 s26, 0x47800000
	v_cmp_gt_u32_e32 vcc, s26, v2
                                        ; implicit-def: $vgpr3
	s_and_saveexec_b64 s[26:27], vcc
	s_xor_b64 s[26:27], exec, s[26:27]
	s_cbranch_execz .LBB363_211
; %bb.206:
	s_mov_b32 s30, 0x387fffff
	v_cmp_lt_u32_e32 vcc, s30, v2
                                        ; implicit-def: $vgpr3
	s_and_saveexec_b64 s[30:31], vcc
	s_xor_b64 s[30:31], exec, s[30:31]
; %bb.207:
	v_bfe_u32 v3, v2, 21, 1
	s_mov_b32 s34, 0x80fffff
	v_add3_u32 v2, v2, v3, s34
	v_lshrrev_b32_e32 v3, 21, v2
                                        ; implicit-def: $vgpr2
; %bb.208:
	s_andn2_saveexec_b64 s[30:31], s[30:31]
; %bb.209:
	v_add_f32_e32 v3, 0x43000000, v2
; %bb.210:
	s_or_b64 exec, exec, s[30:31]
                                        ; implicit-def: $vgpr2
.LBB363_211:
	s_andn2_saveexec_b64 s[26:27], s[26:27]
; %bb.212:
	s_mov_b32 s30, 0x7f800000
	v_mov_b32_e32 v3, 0x7c
	v_mov_b32_e32 v4, 0x7f
	v_cmp_lt_u32_e32 vcc, s30, v2
	v_cndmask_b32_e32 v3, v3, v4, vcc
; %bb.213:
	s_or_b64 exec, exec, s[26:27]
	global_store_byte v[0:1], v3, off
.LBB363_214:
	s_mov_b64 s[30:31], 0
	s_mov_b64 s[26:27], -1
.LBB363_215:
	s_andn2_b64 vcc, exec, s[30:31]
	s_cbranch_vccnz .LBB363_223
; %bb.216:
	s_cmp_gt_i32 s37, 14
	s_mov_b64 s[30:31], -1
	s_cbranch_scc0 .LBB363_220
; %bb.217:
	s_cmp_eq_u32 s37, 15
	s_mov_b64 s[0:1], -1
	s_cbranch_scc0 .LBB363_219
; %bb.218:
	v_cndmask_b32_e64 v2, 0, 1.0, s[18:19]
	v_bfe_u32 v3, v2, 16, 1
	s_movk_i32 s0, 0x7fff
	v_add3_u32 v2, v2, v3, s0
	global_store_short_d16_hi v[0:1], v2, off
	s_mov_b64 s[26:27], -1
	s_mov_b64 s[0:1], 0
.LBB363_219:
	s_mov_b64 s[30:31], 0
.LBB363_220:
	s_and_b64 vcc, exec, s[30:31]
	s_cbranch_vccz .LBB363_223
; %bb.221:
	s_cmp_eq_u32 s37, 11
	s_mov_b64 s[0:1], -1
	s_cbranch_scc0 .LBB363_223
; %bb.222:
	v_cndmask_b32_e64 v2, 0, 1, s[18:19]
	s_mov_b64 s[26:27], -1
	s_mov_b64 s[0:1], 0
	global_store_byte v[0:1], v2, off
.LBB363_223:
	s_mov_b64 s[30:31], 0
.LBB363_224:
	s_and_b64 vcc, exec, s[30:31]
	s_cbranch_vccz .LBB363_263
; %bb.225:
	s_and_b32 s30, 0xffff, s36
	s_cmp_lt_i32 s30, 5
	s_mov_b64 s[26:27], -1
	s_cbranch_scc1 .LBB363_246
; %bb.226:
	s_cmp_lt_i32 s30, 8
	s_cbranch_scc1 .LBB363_236
; %bb.227:
	s_cmp_lt_i32 s30, 9
	s_cbranch_scc1 .LBB363_233
; %bb.228:
	s_cmp_gt_i32 s30, 9
	s_cbranch_scc0 .LBB363_230
; %bb.229:
	v_cndmask_b32_e64 v2, 0, 1, s[18:19]
	v_cvt_f64_u32_e32 v[2:3], v2
	v_mov_b32_e32 v4, 0
	v_mov_b32_e32 v5, v4
	s_mov_b64 s[26:27], 0
	global_store_dwordx4 v[0:1], v[2:5], off
.LBB363_230:
	s_andn2_b64 vcc, exec, s[26:27]
	s_cbranch_vccnz .LBB363_232
; %bb.231:
	v_cndmask_b32_e64 v2, 0, 1.0, s[18:19]
	v_mov_b32_e32 v3, 0
	global_store_dwordx2 v[0:1], v[2:3], off
.LBB363_232:
	s_mov_b64 s[26:27], 0
.LBB363_233:
	s_andn2_b64 vcc, exec, s[26:27]
	s_cbranch_vccnz .LBB363_235
; %bb.234:
	v_cndmask_b32_e64 v2, 0, 1.0, s[18:19]
	v_cvt_f16_f32_e32 v2, v2
	global_store_dword v[0:1], v2, off
.LBB363_235:
	s_mov_b64 s[26:27], 0
.LBB363_236:
	s_andn2_b64 vcc, exec, s[26:27]
	s_cbranch_vccnz .LBB363_245
; %bb.237:
	s_cmp_lt_i32 s30, 6
	s_mov_b64 s[26:27], -1
	s_cbranch_scc1 .LBB363_243
; %bb.238:
	s_cmp_gt_i32 s30, 6
	s_cbranch_scc0 .LBB363_240
; %bb.239:
	v_cndmask_b32_e64 v2, 0, 1, s[18:19]
	v_cvt_f64_u32_e32 v[2:3], v2
	s_mov_b64 s[26:27], 0
	global_store_dwordx2 v[0:1], v[2:3], off
.LBB363_240:
	s_andn2_b64 vcc, exec, s[26:27]
	s_cbranch_vccnz .LBB363_242
; %bb.241:
	v_cndmask_b32_e64 v2, 0, 1.0, s[18:19]
	global_store_dword v[0:1], v2, off
.LBB363_242:
	s_mov_b64 s[26:27], 0
.LBB363_243:
	s_andn2_b64 vcc, exec, s[26:27]
	s_cbranch_vccnz .LBB363_245
; %bb.244:
	v_cndmask_b32_e64 v2, 0, 1.0, s[18:19]
	v_cvt_f16_f32_e32 v2, v2
	global_store_short v[0:1], v2, off
.LBB363_245:
	s_mov_b64 s[26:27], 0
.LBB363_246:
	s_andn2_b64 vcc, exec, s[26:27]
	s_cbranch_vccnz .LBB363_262
; %bb.247:
	s_cmp_lt_i32 s30, 2
	s_mov_b64 s[26:27], -1
	s_cbranch_scc1 .LBB363_257
; %bb.248:
	s_cmp_lt_i32 s30, 3
	s_cbranch_scc1 .LBB363_254
; %bb.249:
	s_cmp_gt_i32 s30, 3
	s_cbranch_scc0 .LBB363_251
; %bb.250:
	s_mov_b32 s26, 0
	v_cndmask_b32_e64 v2, 0, 1, s[18:19]
	v_mov_b32_e32 v3, s26
	global_store_dwordx2 v[0:1], v[2:3], off
	s_mov_b64 s[26:27], 0
.LBB363_251:
	s_andn2_b64 vcc, exec, s[26:27]
	s_cbranch_vccnz .LBB363_253
; %bb.252:
	v_cndmask_b32_e64 v2, 0, 1, s[18:19]
	global_store_dword v[0:1], v2, off
.LBB363_253:
	s_mov_b64 s[26:27], 0
.LBB363_254:
	s_andn2_b64 vcc, exec, s[26:27]
	s_cbranch_vccnz .LBB363_256
; %bb.255:
	v_cndmask_b32_e64 v2, 0, 1, s[18:19]
	global_store_short v[0:1], v2, off
.LBB363_256:
	s_mov_b64 s[26:27], 0
.LBB363_257:
	s_andn2_b64 vcc, exec, s[26:27]
	s_cbranch_vccnz .LBB363_262
; %bb.258:
	s_mov_b64 s[26:27], -1
	s_cmp_gt_i32 s30, 0
	v_cndmask_b32_e64 v2, 0, 1, s[18:19]
	s_cbranch_scc0 .LBB363_260
; %bb.259:
	global_store_byte v[0:1], v2, off
	s_mov_b64 s[26:27], 0
.LBB363_260:
	s_andn2_b64 vcc, exec, s[26:27]
	s_cbranch_vccnz .LBB363_262
; %bb.261:
	global_store_byte v[0:1], v2, off
.LBB363_262:
	s_mov_b64 s[26:27], -1
.LBB363_263:
	s_andn2_b64 vcc, exec, s[26:27]
	s_cbranch_vccnz .LBB363_265
; %bb.264:
	v_add_u32_e32 v18, 0x80, v18
	s_mov_b64 s[26:27], -1
	s_branch .LBB363_374
.LBB363_265:
	s_mov_b64 s[26:27], 0
                                        ; implicit-def: $vgpr18
	s_branch .LBB363_374
.LBB363_266:
	s_mov_b64 s[20:21], -1
                                        ; implicit-def: $vgpr4_vgpr5
.LBB363_267:
	s_mov_b64 s[18:19], 0
.LBB363_268:
	s_and_b64 vcc, exec, s[18:19]
	s_cbranch_vccz .LBB363_272
; %bb.269:
	s_cmp_eq_u32 s27, 29
	s_cbranch_scc0 .LBB363_271
; %bb.270:
	global_load_dwordx2 v[4:5], v[2:3], off
	s_mov_b64 s[0:1], -1
	s_mov_b64 s[20:21], 0
	s_branch .LBB363_272
.LBB363_271:
	s_mov_b64 s[20:21], -1
                                        ; implicit-def: $vgpr4_vgpr5
.LBB363_272:
	s_mov_b64 s[18:19], 0
.LBB363_273:
	s_and_b64 vcc, exec, s[18:19]
	s_cbranch_vccz .LBB363_291
; %bb.274:
	s_cmp_lt_i32 s27, 27
	s_cbranch_scc1 .LBB363_277
; %bb.275:
	s_cmp_gt_i32 s27, 27
	s_cbranch_scc0 .LBB363_278
; %bb.276:
	global_load_dword v4, v[2:3], off
	s_waitcnt vmcnt(1)
	v_mov_b32_e32 v5, 0
	s_mov_b64 s[0:1], 0
	s_branch .LBB363_279
.LBB363_277:
	s_mov_b64 s[0:1], -1
                                        ; implicit-def: $vgpr4_vgpr5
	s_branch .LBB363_282
.LBB363_278:
	s_mov_b64 s[0:1], -1
                                        ; implicit-def: $vgpr4_vgpr5
.LBB363_279:
	s_andn2_b64 vcc, exec, s[0:1]
	s_cbranch_vccnz .LBB363_281
; %bb.280:
	global_load_ushort v4, v[2:3], off
	s_mov_b32 s0, 0
	s_waitcnt vmcnt(1)
	v_mov_b32_e32 v5, s0
	s_waitcnt vmcnt(0)
	v_and_b32_e32 v4, 0xffff, v4
.LBB363_281:
	s_mov_b64 s[0:1], 0
.LBB363_282:
	s_andn2_b64 vcc, exec, s[0:1]
	s_cbranch_vccnz .LBB363_290
; %bb.283:
	global_load_ubyte v6, v[2:3], off
	s_movk_i32 s0, 0x7f
	s_mov_b64 s[18:19], 0
	s_waitcnt vmcnt(0)
	v_cmp_lt_i16_e32 vcc, s0, v6
	s_and_saveexec_b64 s[0:1], vcc
	s_xor_b64 s[0:1], exec, s[0:1]
; %bb.284:
	s_movk_i32 s18, 0x80
	v_cmp_ne_u16_e32 vcc, s18, v6
	s_and_b64 s[18:19], vcc, exec
; %bb.285:
	s_andn2_saveexec_b64 s[0:1], s[0:1]
; %bb.286:
	v_cmp_ne_u16_e32 vcc, 0, v6
	s_andn2_b64 s[18:19], s[18:19], exec
	s_and_b64 s[30:31], vcc, exec
	s_or_b64 s[18:19], s[18:19], s[30:31]
; %bb.287:
	s_or_b64 exec, exec, s[0:1]
	v_mov_b32_e32 v4, 0
	v_mov_b32_e32 v5, 0
	s_and_saveexec_b64 s[0:1], s[18:19]
	s_cbranch_execz .LBB363_289
; %bb.288:
	v_and_b32_e32 v5, 0xffff, v6
	v_lshlrev_b32_e32 v4, 24, v6
	v_and_b32_e32 v6, 7, v5
	v_ffbh_u32_e32 v8, v6
	v_min_u32_e32 v8, 32, v8
	v_subrev_u32_e32 v9, 28, v8
	v_bfe_u32 v7, v5, 3, 4
	v_lshlrev_b32_e32 v5, v9, v5
	v_sub_u32_e32 v8, 29, v8
	v_and_b32_e32 v5, 7, v5
	v_cmp_eq_u32_e32 vcc, 0, v7
	v_cndmask_b32_e32 v7, v7, v8, vcc
	v_cndmask_b32_e32 v5, v6, v5, vcc
	v_mov_b32_e32 v6, 0x3b800000
	v_lshlrev_b32_e32 v5, 20, v5
	v_and_b32_e32 v4, 0x80000000, v4
	v_lshl_add_u32 v6, v7, 23, v6
	v_or3_b32 v4, v4, v6, v5
	v_trunc_f32_e32 v4, v4
	v_mul_f32_e32 v5, 0x2f800000, v4
	v_floor_f32_e32 v5, v5
	v_fmac_f32_e32 v4, 0xcf800000, v5
	v_cvt_u32_f32_e32 v4, v4
	v_cvt_u32_f32_e32 v5, v5
.LBB363_289:
	s_or_b64 exec, exec, s[0:1]
.LBB363_290:
	s_mov_b64 s[0:1], -1
.LBB363_291:
	s_mov_b64 s[18:19], 0
.LBB363_292:
	s_and_b64 vcc, exec, s[18:19]
	s_cbranch_vccz .LBB363_323
; %bb.293:
	s_cmp_gt_i32 s27, 22
	s_cbranch_scc0 .LBB363_303
; %bb.294:
	s_cmp_lt_i32 s27, 24
	s_cbranch_scc1 .LBB363_304
; %bb.295:
	s_cmp_gt_i32 s27, 24
	s_cbranch_scc0 .LBB363_305
; %bb.296:
	global_load_ubyte v6, v[2:3], off
	s_movk_i32 s0, 0x7f
	s_mov_b64 s[18:19], 0
	s_waitcnt vmcnt(0)
	v_cmp_lt_i16_e32 vcc, s0, v6
	s_and_saveexec_b64 s[0:1], vcc
	s_xor_b64 s[0:1], exec, s[0:1]
; %bb.297:
	s_movk_i32 s18, 0x80
	v_cmp_ne_u16_e32 vcc, s18, v6
	s_and_b64 s[18:19], vcc, exec
; %bb.298:
	s_andn2_saveexec_b64 s[0:1], s[0:1]
; %bb.299:
	v_cmp_ne_u16_e32 vcc, 0, v6
	s_andn2_b64 s[18:19], s[18:19], exec
	s_and_b64 s[30:31], vcc, exec
	s_or_b64 s[18:19], s[18:19], s[30:31]
; %bb.300:
	s_or_b64 exec, exec, s[0:1]
	v_mov_b32_e32 v4, 0
	v_mov_b32_e32 v5, 0
	s_and_saveexec_b64 s[0:1], s[18:19]
	s_cbranch_execz .LBB363_302
; %bb.301:
	v_and_b32_e32 v5, 0xffff, v6
	v_lshlrev_b32_e32 v4, 24, v6
	v_and_b32_e32 v6, 3, v5
	v_ffbh_u32_e32 v8, v6
	v_min_u32_e32 v8, 32, v8
	v_subrev_u32_e32 v9, 29, v8
	v_bfe_u32 v7, v5, 2, 5
	v_lshlrev_b32_e32 v5, v9, v5
	v_sub_u32_e32 v8, 30, v8
	v_and_b32_e32 v5, 3, v5
	v_cmp_eq_u32_e32 vcc, 0, v7
	v_cndmask_b32_e32 v7, v7, v8, vcc
	v_cndmask_b32_e32 v5, v6, v5, vcc
	v_mov_b32_e32 v6, 0x37800000
	v_lshlrev_b32_e32 v5, 21, v5
	v_and_b32_e32 v4, 0x80000000, v4
	v_lshl_add_u32 v6, v7, 23, v6
	v_or3_b32 v4, v4, v6, v5
	v_trunc_f32_e32 v4, v4
	v_mul_f32_e32 v5, 0x2f800000, v4
	v_floor_f32_e32 v5, v5
	v_fmac_f32_e32 v4, 0xcf800000, v5
	v_cvt_u32_f32_e32 v4, v4
	v_cvt_u32_f32_e32 v5, v5
.LBB363_302:
	s_or_b64 exec, exec, s[0:1]
	s_mov_b64 s[0:1], 0
	s_branch .LBB363_306
.LBB363_303:
	s_mov_b64 s[18:19], -1
                                        ; implicit-def: $vgpr4_vgpr5
	s_branch .LBB363_312
.LBB363_304:
	s_mov_b64 s[0:1], -1
                                        ; implicit-def: $vgpr4_vgpr5
	s_branch .LBB363_309
.LBB363_305:
	s_mov_b64 s[0:1], -1
                                        ; implicit-def: $vgpr4_vgpr5
.LBB363_306:
	s_and_b64 vcc, exec, s[0:1]
	s_cbranch_vccz .LBB363_308
; %bb.307:
	global_load_ubyte v4, v[2:3], off
	s_mov_b32 s0, 0x7f800000
	s_brev_b32 s1, 1
	s_waitcnt vmcnt(0)
	v_lshlrev_b32_e32 v4, 24, v4
	v_and_b32_e32 v5, 0x7f000000, v4
	v_ffbh_u32_e32 v6, v5
	v_min_u32_e32 v6, 32, v6
	v_sub_u32_e64 v6, v6, 4 clamp
	v_lshlrev_b32_e32 v8, v6, v5
	v_lshlrev_b32_e32 v6, 23, v6
	v_lshrrev_b32_e32 v8, 4, v8
	v_add_u32_e32 v7, 0x1000000, v5
	v_sub_u32_e32 v6, v8, v6
	v_ashrrev_i32_e32 v7, 8, v7
	v_add_u32_e32 v6, 0x3c000000, v6
	v_and_or_b32 v6, v7, s0, v6
	v_cmp_ne_u32_e32 vcc, 0, v5
	v_cndmask_b32_e32 v5, 0, v6, vcc
	v_and_or_b32 v4, v4, s1, v5
	v_trunc_f32_e32 v4, v4
	v_mul_f32_e32 v5, 0x2f800000, v4
	v_floor_f32_e32 v5, v5
	v_fmac_f32_e32 v4, 0xcf800000, v5
	v_cvt_u32_f32_e32 v4, v4
	v_cvt_u32_f32_e32 v5, v5
.LBB363_308:
	s_mov_b64 s[0:1], 0
.LBB363_309:
	s_andn2_b64 vcc, exec, s[0:1]
	s_cbranch_vccnz .LBB363_311
; %bb.310:
	global_load_ubyte v4, v[2:3], off
	s_movk_i32 s0, 0x7f00
	s_brev_b32 s1, 16
	s_brev_b32 s18, 1
	s_waitcnt vmcnt(0)
	v_lshlrev_b16_e32 v5, 8, v4
	v_lshlrev_b32_e32 v4, 25, v4
	v_lshrrev_b32_e32 v6, 4, v4
	v_and_or_b32 v7, v5, s0, 0.5
	v_or_b32_e32 v6, 0x70000000, v6
	v_add_f32_e32 v7, -0.5, v7
	v_mul_f32_e32 v6, 0x7800000, v6
	v_cmp_gt_u32_e32 vcc, s1, v4
	v_bfe_i32 v5, v5, 0, 16
	v_cndmask_b32_e32 v4, v6, v7, vcc
	v_and_or_b32 v4, v5, s18, v4
	v_trunc_f32_e32 v4, v4
	v_mul_f32_e32 v5, 0x2f800000, v4
	v_floor_f32_e32 v5, v5
	v_fmac_f32_e32 v4, 0xcf800000, v5
	v_cvt_u32_f32_e32 v4, v4
	v_cvt_u32_f32_e32 v5, v5
.LBB363_311:
	s_mov_b64 s[18:19], 0
	s_mov_b64 s[0:1], -1
.LBB363_312:
	s_andn2_b64 vcc, exec, s[18:19]
	s_cbranch_vccnz .LBB363_323
; %bb.313:
	s_cmp_gt_i32 s27, 14
	s_cbranch_scc0 .LBB363_316
; %bb.314:
	s_cmp_eq_u32 s27, 15
	s_cbranch_scc0 .LBB363_317
; %bb.315:
	global_load_ushort v4, v[2:3], off
	s_mov_b64 s[0:1], -1
	s_mov_b64 s[20:21], 0
	s_waitcnt vmcnt(0)
	v_lshlrev_b32_e32 v4, 16, v4
	v_trunc_f32_e32 v4, v4
	v_mul_f32_e32 v5, 0x2f800000, v4
	v_floor_f32_e32 v5, v5
	v_fmac_f32_e32 v4, 0xcf800000, v5
	v_cvt_u32_f32_e32 v4, v4
	v_cvt_u32_f32_e32 v5, v5
	s_branch .LBB363_318
.LBB363_316:
	s_mov_b64 s[18:19], -1
                                        ; implicit-def: $vgpr4_vgpr5
	s_branch .LBB363_319
.LBB363_317:
	s_mov_b64 s[20:21], -1
                                        ; implicit-def: $vgpr4_vgpr5
.LBB363_318:
	s_mov_b64 s[18:19], 0
.LBB363_319:
	s_and_b64 vcc, exec, s[18:19]
	s_cbranch_vccz .LBB363_323
; %bb.320:
	s_cmp_eq_u32 s27, 11
	s_cbranch_scc0 .LBB363_322
; %bb.321:
	global_load_ubyte v4, v[2:3], off
	s_mov_b32 s18, 0
	s_mov_b64 s[0:1], -1
	s_waitcnt vmcnt(1)
	v_mov_b32_e32 v5, s18
	s_mov_b64 s[20:21], 0
	s_waitcnt vmcnt(0)
	v_cmp_ne_u16_e32 vcc, 0, v4
	v_cndmask_b32_e64 v4, 0, 1, vcc
	s_branch .LBB363_323
.LBB363_322:
	s_mov_b64 s[20:21], -1
                                        ; implicit-def: $vgpr4_vgpr5
.LBB363_323:
	s_branch .LBB363_20
.LBB363_324:
	s_and_b32 s18, 0xffff, s26
	s_cmp_lt_i32 s18, 5
	s_cbranch_scc1 .LBB363_329
; %bb.325:
	s_cmp_lt_i32 s18, 8
	s_cbranch_scc1 .LBB363_330
; %bb.326:
	;; [unrolled: 3-line block ×3, first 2 shown]
	s_cmp_gt_i32 s18, 9
	s_cbranch_scc0 .LBB363_332
; %bb.328:
	global_load_dwordx2 v[4:5], v[2:3], off
	s_movk_i32 s0, 0xffe0
	s_waitcnt vmcnt(0)
	v_trunc_f64_e32 v[4:5], v[4:5]
	v_ldexp_f64 v[6:7], v[4:5], s0
	s_mov_b32 s0, 0
	s_mov_b32 s1, 0xc1f00000
	v_floor_f64_e32 v[6:7], v[6:7]
	v_fma_f64 v[8:9], v[6:7], s[0:1], v[4:5]
	v_cvt_u32_f64_e32 v5, v[6:7]
	s_mov_b64 s[0:1], 0
	v_cvt_u32_f64_e32 v4, v[8:9]
	s_branch .LBB363_333
.LBB363_329:
	s_mov_b64 s[0:1], -1
                                        ; implicit-def: $vgpr4_vgpr5
	s_branch .LBB363_351
.LBB363_330:
	s_mov_b64 s[0:1], -1
                                        ; implicit-def: $vgpr4_vgpr5
	s_branch .LBB363_339
.LBB363_331:
	s_mov_b64 s[0:1], -1
                                        ; implicit-def: $vgpr4_vgpr5
	s_branch .LBB363_336
.LBB363_332:
	s_mov_b64 s[0:1], -1
                                        ; implicit-def: $vgpr4_vgpr5
.LBB363_333:
	s_andn2_b64 vcc, exec, s[0:1]
	s_cbranch_vccnz .LBB363_335
; %bb.334:
	global_load_dword v4, v[2:3], off
	s_waitcnt vmcnt(0)
	v_trunc_f32_e32 v4, v4
	v_mul_f32_e32 v5, 0x2f800000, v4
	v_floor_f32_e32 v6, v5
	v_fmac_f32_e32 v4, 0xcf800000, v6
	v_cvt_u32_f32_e32 v5, v6
	v_cvt_u32_f32_e32 v4, v4
.LBB363_335:
	s_mov_b64 s[0:1], 0
.LBB363_336:
	s_andn2_b64 vcc, exec, s[0:1]
	s_cbranch_vccnz .LBB363_338
; %bb.337:
	global_load_dword v4, v[2:3], off
	s_waitcnt vmcnt(1)
	v_mov_b32_e32 v5, 0
	s_waitcnt vmcnt(0)
	v_cvt_f32_f16_e32 v4, v4
	v_cvt_u32_f32_e32 v4, v4
.LBB363_338:
	s_mov_b64 s[0:1], 0
.LBB363_339:
	s_andn2_b64 vcc, exec, s[0:1]
	s_cbranch_vccnz .LBB363_350
; %bb.340:
	s_cmp_lt_i32 s18, 6
	s_cbranch_scc1 .LBB363_343
; %bb.341:
	s_cmp_gt_i32 s18, 6
	s_cbranch_scc0 .LBB363_344
; %bb.342:
	global_load_dwordx2 v[4:5], v[2:3], off
	s_movk_i32 s0, 0xffe0
	s_waitcnt vmcnt(0)
	v_trunc_f64_e32 v[4:5], v[4:5]
	v_ldexp_f64 v[6:7], v[4:5], s0
	s_mov_b32 s0, 0
	s_mov_b32 s1, 0xc1f00000
	v_floor_f64_e32 v[6:7], v[6:7]
	v_fma_f64 v[8:9], v[6:7], s[0:1], v[4:5]
	v_cvt_u32_f64_e32 v5, v[6:7]
	s_mov_b64 s[0:1], 0
	v_cvt_u32_f64_e32 v4, v[8:9]
	s_branch .LBB363_345
.LBB363_343:
	s_mov_b64 s[0:1], -1
                                        ; implicit-def: $vgpr4_vgpr5
	s_branch .LBB363_348
.LBB363_344:
	s_mov_b64 s[0:1], -1
                                        ; implicit-def: $vgpr4_vgpr5
.LBB363_345:
	s_andn2_b64 vcc, exec, s[0:1]
	s_cbranch_vccnz .LBB363_347
; %bb.346:
	global_load_dword v4, v[2:3], off
	s_waitcnt vmcnt(0)
	v_trunc_f32_e32 v4, v4
	v_mul_f32_e32 v5, 0x2f800000, v4
	v_floor_f32_e32 v6, v5
	v_fmac_f32_e32 v4, 0xcf800000, v6
	v_cvt_u32_f32_e32 v5, v6
	v_cvt_u32_f32_e32 v4, v4
.LBB363_347:
	s_mov_b64 s[0:1], 0
.LBB363_348:
	s_andn2_b64 vcc, exec, s[0:1]
	s_cbranch_vccnz .LBB363_350
; %bb.349:
	global_load_ushort v4, v[2:3], off
	s_waitcnt vmcnt(1)
	v_mov_b32_e32 v5, 0
	s_waitcnt vmcnt(0)
	v_cvt_f32_f16_e32 v4, v4
	v_cvt_u32_f32_e32 v4, v4
.LBB363_350:
	s_mov_b64 s[0:1], 0
.LBB363_351:
	s_andn2_b64 vcc, exec, s[0:1]
	s_cbranch_vccnz .LBB363_371
; %bb.352:
	s_cmp_lt_i32 s18, 2
	s_cbranch_scc1 .LBB363_356
; %bb.353:
	s_cmp_lt_i32 s18, 3
	s_cbranch_scc1 .LBB363_357
; %bb.354:
	s_cmp_gt_i32 s18, 3
	s_cbranch_scc0 .LBB363_358
; %bb.355:
	global_load_dwordx2 v[4:5], v[2:3], off
	s_mov_b64 s[0:1], 0
	s_branch .LBB363_359
.LBB363_356:
	s_mov_b64 s[0:1], -1
                                        ; implicit-def: $vgpr4_vgpr5
	s_branch .LBB363_365
.LBB363_357:
	s_mov_b64 s[0:1], -1
                                        ; implicit-def: $vgpr4_vgpr5
	s_branch .LBB363_362
.LBB363_358:
	s_mov_b64 s[0:1], -1
                                        ; implicit-def: $vgpr4_vgpr5
.LBB363_359:
	s_andn2_b64 vcc, exec, s[0:1]
	s_cbranch_vccnz .LBB363_361
; %bb.360:
	global_load_dword v4, v[2:3], off
	s_waitcnt vmcnt(0)
	v_ashrrev_i32_e32 v5, 31, v4
.LBB363_361:
	s_mov_b64 s[0:1], 0
.LBB363_362:
	s_andn2_b64 vcc, exec, s[0:1]
	s_cbranch_vccnz .LBB363_364
; %bb.363:
	global_load_ushort v4, v[2:3], off
	s_waitcnt vmcnt(0)
	v_bfe_i32 v4, v4, 0, 16
	v_ashrrev_i32_e32 v5, 31, v4
.LBB363_364:
	s_mov_b64 s[0:1], 0
.LBB363_365:
	s_andn2_b64 vcc, exec, s[0:1]
	s_cbranch_vccnz .LBB363_371
; %bb.366:
	s_cmp_gt_i32 s18, 0
	s_cbranch_scc0 .LBB363_368
; %bb.367:
	global_load_sbyte v4, v[2:3], off
	s_mov_b64 s[0:1], 0
	s_waitcnt vmcnt(0)
	v_bfe_i32 v4, v4, 0, 16
	v_ashrrev_i32_e32 v5, 31, v4
	s_branch .LBB363_369
.LBB363_368:
	s_mov_b64 s[0:1], -1
                                        ; implicit-def: $vgpr4_vgpr5
.LBB363_369:
	s_andn2_b64 vcc, exec, s[0:1]
	s_cbranch_vccnz .LBB363_371
; %bb.370:
	global_load_ubyte v2, v[2:3], off
	s_mov_b32 s0, 0
	s_waitcnt vmcnt(1)
	v_mov_b32_e32 v5, s0
	s_waitcnt vmcnt(0)
	v_and_b32_e32 v4, 0xffff, v2
.LBB363_371:
	s_branch .LBB363_21
.LBB363_372:
	s_mov_b64 s[0:1], 0
.LBB363_373:
                                        ; implicit-def: $vgpr18
	s_mov_b64 s[26:27], 0
.LBB363_374:
	s_and_b64 s[18:19], s[0:1], exec
	s_and_b64 s[20:21], s[20:21], exec
	;; [unrolled: 1-line block ×3, first 2 shown]
	s_orn2_b64 s[0:1], s[26:27], exec
.LBB363_375:
	s_or_b64 exec, exec, s[24:25]
	s_mov_b64 s[34:35], 0
	s_mov_b64 s[30:31], 0
                                        ; implicit-def: $sgpr58
                                        ; implicit-def: $vgpr2_vgpr3
                                        ; implicit-def: $vgpr0_vgpr1
	s_and_saveexec_b64 s[24:25], s[0:1]
	s_cbranch_execz .LBB363_384
; %bb.376:
	v_cmp_gt_i32_e32 vcc, s50, v18
	s_mov_b64 s[0:1], -1
	s_mov_b64 s[26:27], s[22:23]
	s_mov_b64 s[28:29], s[20:21]
	;; [unrolled: 1-line block ×3, first 2 shown]
	s_and_saveexec_b64 s[34:35], vcc
	s_cbranch_execz .LBB363_757
; %bb.377:
	s_waitcnt vmcnt(0)
	v_mul_lo_u32 v0, v18, s13
	v_mov_b32_e32 v1, s11
	s_and_b32 s30, s57, 0xff
	s_cmp_lt_i32 s30, 11
	v_ashrrev_i32_e32 v3, 31, v0
	v_add_co_u32_e32 v2, vcc, s10, v0
	v_addc_co_u32_e32 v3, vcc, v1, v3, vcc
	s_cbranch_scc1 .LBB363_387
; %bb.378:
	s_and_b32 s31, 0xffff, s30
	s_cmp_gt_i32 s31, 25
	s_cbranch_scc0 .LBB363_396
; %bb.379:
	s_cmp_gt_i32 s31, 28
	s_cbranch_scc0 .LBB363_398
; %bb.380:
	;; [unrolled: 3-line block ×4, first 2 shown]
	s_cmp_eq_u32 s31, 46
	s_mov_b64 s[28:29], 0
	s_cbranch_scc0 .LBB363_406
; %bb.383:
	global_load_dword v0, v[2:3], off
	s_mov_b64 s[26:27], 0
	s_waitcnt vmcnt(0)
	v_lshlrev_b32_e32 v0, 16, v0
	v_trunc_f32_e32 v0, v0
	v_mul_f32_e32 v1, 0x2f800000, v0
	v_floor_f32_e32 v1, v1
	v_fmac_f32_e32 v0, 0xcf800000, v1
	v_cvt_u32_f32_e32 v0, v0
	v_cvt_u32_f32_e32 v1, v1
	s_branch .LBB363_407
.LBB363_384:
	s_or_b64 exec, exec, s[24:25]
	s_mov_b64 s[24:25], 0
	s_and_saveexec_b64 s[0:1], s[22:23]
	s_cbranch_execnz .LBB363_1220
.LBB363_385:
	s_or_b64 exec, exec, s[0:1]
	s_and_saveexec_b64 s[0:1], s[28:29]
	s_xor_b64 s[0:1], exec, s[0:1]
	s_cbranch_execz .LBB363_1221
.LBB363_386:
	global_load_ubyte v0, v[2:3], off
	s_mov_b32 s22, 0
	s_waitcnt vmcnt(1)
	v_mov_b32_e32 v1, s22
	s_or_b64 s[30:31], s[30:31], exec
	s_waitcnt vmcnt(0)
	v_cmp_ne_u16_e32 vcc, 0, v0
	v_cndmask_b32_e64 v0, 0, 1, vcc
	s_or_b64 exec, exec, s[0:1]
	s_and_saveexec_b64 s[0:1], s[34:35]
	s_cbranch_execz .LBB363_1267
	s_branch .LBB363_1222
.LBB363_387:
	s_mov_b64 s[0:1], 0
                                        ; implicit-def: $vgpr0_vgpr1
	s_mov_b64 s[26:27], s[22:23]
	s_cbranch_execnz .LBB363_469
.LBB363_388:
	s_andn2_b64 vcc, exec, s[0:1]
	s_cbranch_vccnz .LBB363_517
.LBB363_389:
	v_mul_lo_u32 v2, v18, s14
	v_mov_b32_e32 v3, s3
	s_and_b32 s36, s56, 0xff
	s_cmp_lt_i32 s36, 11
	v_ashrrev_i32_e32 v4, 31, v2
	v_add_co_u32_e32 v2, vcc, s2, v2
	v_addc_co_u32_e32 v3, vcc, v3, v4, vcc
	s_cbranch_scc1 .LBB363_397
; %bb.390:
	s_and_b32 s37, 0xffff, s36
	s_cmp_gt_i32 s37, 25
	s_cbranch_scc0 .LBB363_399
; %bb.391:
	s_cmp_gt_i32 s37, 28
	s_cbranch_scc0 .LBB363_401
; %bb.392:
	;; [unrolled: 3-line block ×4, first 2 shown]
	s_cmp_eq_u32 s37, 46
	s_mov_b64 s[30:31], 0
	s_cbranch_scc0 .LBB363_521
; %bb.395:
	global_load_dword v4, v[2:3], off
	s_mov_b64 s[0:1], -1
	s_mov_b64 s[28:29], 0
	s_waitcnt vmcnt(0)
	v_lshlrev_b32_e32 v4, 16, v4
	v_trunc_f32_e32 v4, v4
	v_mul_f32_e32 v5, 0x2f800000, v4
	v_floor_f32_e32 v5, v5
	v_fmac_f32_e32 v4, 0xcf800000, v5
	v_cvt_u32_f32_e32 v4, v4
	v_cvt_u32_f32_e32 v5, v5
	s_branch .LBB363_522
.LBB363_396:
	s_mov_b64 s[28:29], -1
	s_mov_b64 s[0:1], 0
	s_mov_b64 s[26:27], s[22:23]
                                        ; implicit-def: $vgpr0_vgpr1
	s_branch .LBB363_437
.LBB363_397:
	s_mov_b64 s[30:31], -1
	s_mov_b64 s[0:1], 0
                                        ; implicit-def: $vgpr4_vgpr5
	s_mov_b64 s[28:29], s[20:21]
	s_branch .LBB363_583
.LBB363_398:
	s_mov_b64 s[28:29], -1
	s_mov_b64 s[0:1], 0
	s_mov_b64 s[26:27], s[22:23]
                                        ; implicit-def: $vgpr0_vgpr1
	s_branch .LBB363_418
.LBB363_399:
	s_mov_b64 s[30:31], -1
	s_mov_b64 s[0:1], 0
	s_mov_b64 s[28:29], s[20:21]
                                        ; implicit-def: $vgpr4_vgpr5
	s_branch .LBB363_551
.LBB363_400:
	s_mov_b64 s[28:29], -1
	s_mov_b64 s[0:1], 0
	s_mov_b64 s[26:27], s[22:23]
                                        ; implicit-def: $vgpr0_vgpr1
	s_branch .LBB363_413
.LBB363_401:
	s_mov_b64 s[30:31], -1
	s_mov_b64 s[0:1], 0
	s_mov_b64 s[28:29], s[20:21]
                                        ; implicit-def: $vgpr4_vgpr5
	s_branch .LBB363_532
.LBB363_402:
	s_mov_b64 s[28:29], -1
	s_mov_b64 s[0:1], 0
	s_mov_b64 s[26:27], s[22:23]
                                        ; implicit-def: $vgpr0_vgpr1
	s_branch .LBB363_407
.LBB363_403:
	s_mov_b64 s[30:31], -1
	s_mov_b64 s[0:1], 0
	s_mov_b64 s[28:29], s[20:21]
                                        ; implicit-def: $vgpr4_vgpr5
	s_branch .LBB363_527
.LBB363_404:
	s_andn2_saveexec_b64 s[34:35], s[34:35]
	s_cbranch_execz .LBB363_176
.LBB363_405:
	v_add_f32_e32 v2, 0x46000000, v3
	v_and_b32_e32 v2, 0xff, v2
	v_cmp_ne_u32_e32 vcc, 0, v2
	s_andn2_b64 s[30:31], s[30:31], exec
	s_and_b64 s[38:39], vcc, exec
	s_or_b64 s[30:31], s[30:31], s[38:39]
	s_or_b64 exec, exec, s[34:35]
	v_mov_b32_e32 v4, 0
	s_and_saveexec_b64 s[34:35], s[30:31]
	s_cbranch_execnz .LBB363_177
	s_branch .LBB363_178
.LBB363_406:
	s_mov_b64 s[26:27], -1
                                        ; implicit-def: $vgpr0_vgpr1
	s_mov_b64 s[0:1], 0
.LBB363_407:
	s_and_b64 vcc, exec, s[28:29]
	s_cbranch_vccz .LBB363_412
; %bb.408:
	s_cmp_eq_u32 s31, 44
	s_cbranch_scc0 .LBB363_411
; %bb.409:
	global_load_ubyte v0, v[2:3], off
	s_mov_b64 s[0:1], -1
	s_mov_b64 s[26:27], 0
	s_waitcnt vmcnt(0)
	v_lshlrev_b32_e32 v1, 23, v0
	v_trunc_f32_e32 v1, v1
	v_mul_f32_e32 v4, 0x2f800000, v1
	v_floor_f32_e32 v4, v4
	v_fmac_f32_e32 v1, 0xcf800000, v4
	v_cvt_u32_f32_e32 v4, v4
	v_cvt_u32_f32_e32 v5, v1
	v_cmp_ne_u32_e32 vcc, 0, v0
	v_cndmask_b32_e32 v1, 0, v4, vcc
	v_cndmask_b32_e32 v0, 0, v5, vcc
	s_branch .LBB363_412
.LBB363_410:
	s_mov_b64 s[30:31], -1
	s_mov_b64 s[0:1], 0
	s_mov_b64 s[28:29], s[20:21]
                                        ; implicit-def: $vgpr4_vgpr5
	s_branch .LBB363_522
.LBB363_411:
	s_mov_b64 s[26:27], -1
                                        ; implicit-def: $vgpr0_vgpr1
.LBB363_412:
	s_mov_b64 s[28:29], 0
.LBB363_413:
	s_and_b64 vcc, exec, s[28:29]
	s_cbranch_vccz .LBB363_417
; %bb.414:
	s_cmp_eq_u32 s31, 29
	s_cbranch_scc0 .LBB363_416
; %bb.415:
	global_load_dwordx2 v[0:1], v[2:3], off
	s_mov_b64 s[0:1], -1
	s_mov_b64 s[26:27], 0
	s_branch .LBB363_417
.LBB363_416:
	s_mov_b64 s[26:27], -1
                                        ; implicit-def: $vgpr0_vgpr1
.LBB363_417:
	s_mov_b64 s[28:29], 0
.LBB363_418:
	s_and_b64 vcc, exec, s[28:29]
	s_cbranch_vccz .LBB363_436
; %bb.419:
	s_cmp_lt_i32 s31, 27
	s_cbranch_scc1 .LBB363_422
; %bb.420:
	s_cmp_gt_i32 s31, 27
	s_cbranch_scc0 .LBB363_423
; %bb.421:
	global_load_dword v0, v[2:3], off
	s_waitcnt vmcnt(1)
	v_mov_b32_e32 v1, 0
	s_mov_b64 s[0:1], 0
	s_branch .LBB363_424
.LBB363_422:
	s_mov_b64 s[0:1], -1
                                        ; implicit-def: $vgpr0_vgpr1
	s_branch .LBB363_427
.LBB363_423:
	s_mov_b64 s[0:1], -1
                                        ; implicit-def: $vgpr0_vgpr1
.LBB363_424:
	s_andn2_b64 vcc, exec, s[0:1]
	s_cbranch_vccnz .LBB363_426
; %bb.425:
	global_load_ushort v0, v[2:3], off
	s_mov_b32 s0, 0
	s_waitcnt vmcnt(1)
	v_mov_b32_e32 v1, s0
	s_waitcnt vmcnt(0)
	v_and_b32_e32 v0, 0xffff, v0
.LBB363_426:
	s_mov_b64 s[0:1], 0
.LBB363_427:
	s_andn2_b64 vcc, exec, s[0:1]
	s_cbranch_vccnz .LBB363_435
; %bb.428:
	global_load_ubyte v4, v[2:3], off
	s_movk_i32 s0, 0x7f
	s_mov_b64 s[28:29], 0
	s_waitcnt vmcnt(0)
	v_cmp_lt_i16_e32 vcc, s0, v4
	s_and_saveexec_b64 s[0:1], vcc
	s_xor_b64 s[0:1], exec, s[0:1]
; %bb.429:
	s_movk_i32 s28, 0x80
	v_cmp_ne_u16_e32 vcc, s28, v4
	s_and_b64 s[28:29], vcc, exec
; %bb.430:
	s_andn2_saveexec_b64 s[0:1], s[0:1]
; %bb.431:
	v_cmp_ne_u16_e32 vcc, 0, v4
	s_andn2_b64 s[28:29], s[28:29], exec
	s_and_b64 s[36:37], vcc, exec
	s_or_b64 s[28:29], s[28:29], s[36:37]
; %bb.432:
	s_or_b64 exec, exec, s[0:1]
	v_mov_b32_e32 v0, 0
	v_mov_b32_e32 v1, 0
	s_and_saveexec_b64 s[0:1], s[28:29]
	s_cbranch_execz .LBB363_434
; %bb.433:
	v_and_b32_e32 v1, 0xffff, v4
	v_lshlrev_b32_e32 v0, 24, v4
	v_and_b32_e32 v4, 7, v1
	v_ffbh_u32_e32 v6, v4
	v_min_u32_e32 v6, 32, v6
	v_subrev_u32_e32 v7, 28, v6
	v_bfe_u32 v5, v1, 3, 4
	v_lshlrev_b32_e32 v1, v7, v1
	v_sub_u32_e32 v6, 29, v6
	v_and_b32_e32 v1, 7, v1
	v_cmp_eq_u32_e32 vcc, 0, v5
	v_cndmask_b32_e32 v5, v5, v6, vcc
	v_cndmask_b32_e32 v1, v4, v1, vcc
	v_mov_b32_e32 v4, 0x3b800000
	v_lshlrev_b32_e32 v1, 20, v1
	v_and_b32_e32 v0, 0x80000000, v0
	v_lshl_add_u32 v4, v5, 23, v4
	v_or3_b32 v0, v0, v4, v1
	v_trunc_f32_e32 v0, v0
	v_mul_f32_e32 v1, 0x2f800000, v0
	v_floor_f32_e32 v1, v1
	v_fmac_f32_e32 v0, 0xcf800000, v1
	v_cvt_u32_f32_e32 v0, v0
	v_cvt_u32_f32_e32 v1, v1
.LBB363_434:
	s_or_b64 exec, exec, s[0:1]
.LBB363_435:
	s_mov_b64 s[0:1], -1
.LBB363_436:
	s_mov_b64 s[28:29], 0
.LBB363_437:
	s_and_b64 vcc, exec, s[28:29]
	s_cbranch_vccz .LBB363_468
; %bb.438:
	s_cmp_gt_i32 s31, 22
	s_cbranch_scc0 .LBB363_448
; %bb.439:
	s_cmp_lt_i32 s31, 24
	s_cbranch_scc1 .LBB363_449
; %bb.440:
	s_cmp_gt_i32 s31, 24
	s_cbranch_scc0 .LBB363_450
; %bb.441:
	global_load_ubyte v4, v[2:3], off
	s_movk_i32 s0, 0x7f
	s_mov_b64 s[28:29], 0
	s_waitcnt vmcnt(0)
	v_cmp_lt_i16_e32 vcc, s0, v4
	s_and_saveexec_b64 s[0:1], vcc
	s_xor_b64 s[0:1], exec, s[0:1]
; %bb.442:
	s_movk_i32 s28, 0x80
	v_cmp_ne_u16_e32 vcc, s28, v4
	s_and_b64 s[28:29], vcc, exec
; %bb.443:
	s_andn2_saveexec_b64 s[0:1], s[0:1]
; %bb.444:
	v_cmp_ne_u16_e32 vcc, 0, v4
	s_andn2_b64 s[28:29], s[28:29], exec
	s_and_b64 s[36:37], vcc, exec
	s_or_b64 s[28:29], s[28:29], s[36:37]
; %bb.445:
	s_or_b64 exec, exec, s[0:1]
	v_mov_b32_e32 v0, 0
	v_mov_b32_e32 v1, 0
	s_and_saveexec_b64 s[0:1], s[28:29]
	s_cbranch_execz .LBB363_447
; %bb.446:
	v_and_b32_e32 v1, 0xffff, v4
	v_lshlrev_b32_e32 v0, 24, v4
	v_and_b32_e32 v4, 3, v1
	v_ffbh_u32_e32 v6, v4
	v_min_u32_e32 v6, 32, v6
	v_subrev_u32_e32 v7, 29, v6
	v_bfe_u32 v5, v1, 2, 5
	v_lshlrev_b32_e32 v1, v7, v1
	v_sub_u32_e32 v6, 30, v6
	v_and_b32_e32 v1, 3, v1
	v_cmp_eq_u32_e32 vcc, 0, v5
	v_cndmask_b32_e32 v5, v5, v6, vcc
	v_cndmask_b32_e32 v1, v4, v1, vcc
	v_mov_b32_e32 v4, 0x37800000
	v_lshlrev_b32_e32 v1, 21, v1
	v_and_b32_e32 v0, 0x80000000, v0
	v_lshl_add_u32 v4, v5, 23, v4
	v_or3_b32 v0, v0, v4, v1
	v_trunc_f32_e32 v0, v0
	v_mul_f32_e32 v1, 0x2f800000, v0
	v_floor_f32_e32 v1, v1
	v_fmac_f32_e32 v0, 0xcf800000, v1
	v_cvt_u32_f32_e32 v0, v0
	v_cvt_u32_f32_e32 v1, v1
.LBB363_447:
	s_or_b64 exec, exec, s[0:1]
	s_mov_b64 s[0:1], 0
	s_branch .LBB363_451
.LBB363_448:
	s_mov_b64 s[28:29], -1
                                        ; implicit-def: $vgpr0_vgpr1
	s_branch .LBB363_457
.LBB363_449:
	s_mov_b64 s[0:1], -1
                                        ; implicit-def: $vgpr0_vgpr1
	s_branch .LBB363_454
.LBB363_450:
	s_mov_b64 s[0:1], -1
                                        ; implicit-def: $vgpr0_vgpr1
.LBB363_451:
	s_and_b64 vcc, exec, s[0:1]
	s_cbranch_vccz .LBB363_453
; %bb.452:
	global_load_ubyte v0, v[2:3], off
	s_mov_b32 s0, 0x7f800000
	s_brev_b32 s1, 1
	s_waitcnt vmcnt(0)
	v_lshlrev_b32_e32 v0, 24, v0
	v_and_b32_e32 v1, 0x7f000000, v0
	v_ffbh_u32_e32 v4, v1
	v_min_u32_e32 v4, 32, v4
	v_sub_u32_e64 v4, v4, 4 clamp
	v_lshlrev_b32_e32 v6, v4, v1
	v_lshlrev_b32_e32 v4, 23, v4
	v_lshrrev_b32_e32 v6, 4, v6
	v_add_u32_e32 v5, 0x1000000, v1
	v_sub_u32_e32 v4, v6, v4
	v_ashrrev_i32_e32 v5, 8, v5
	v_add_u32_e32 v4, 0x3c000000, v4
	v_and_or_b32 v4, v5, s0, v4
	v_cmp_ne_u32_e32 vcc, 0, v1
	v_cndmask_b32_e32 v1, 0, v4, vcc
	v_and_or_b32 v0, v0, s1, v1
	v_trunc_f32_e32 v0, v0
	v_mul_f32_e32 v1, 0x2f800000, v0
	v_floor_f32_e32 v1, v1
	v_fmac_f32_e32 v0, 0xcf800000, v1
	v_cvt_u32_f32_e32 v0, v0
	v_cvt_u32_f32_e32 v1, v1
.LBB363_453:
	s_mov_b64 s[0:1], 0
.LBB363_454:
	s_andn2_b64 vcc, exec, s[0:1]
	s_cbranch_vccnz .LBB363_456
; %bb.455:
	global_load_ubyte v0, v[2:3], off
	s_movk_i32 s0, 0x7f00
	s_brev_b32 s1, 16
	s_brev_b32 s28, 1
	s_waitcnt vmcnt(0)
	v_lshlrev_b16_e32 v1, 8, v0
	v_lshlrev_b32_e32 v0, 25, v0
	v_lshrrev_b32_e32 v4, 4, v0
	v_and_or_b32 v5, v1, s0, 0.5
	v_or_b32_e32 v4, 0x70000000, v4
	v_add_f32_e32 v5, -0.5, v5
	v_mul_f32_e32 v4, 0x7800000, v4
	v_cmp_gt_u32_e32 vcc, s1, v0
	v_bfe_i32 v1, v1, 0, 16
	v_cndmask_b32_e32 v0, v4, v5, vcc
	v_and_or_b32 v0, v1, s28, v0
	v_trunc_f32_e32 v0, v0
	v_mul_f32_e32 v1, 0x2f800000, v0
	v_floor_f32_e32 v1, v1
	v_fmac_f32_e32 v0, 0xcf800000, v1
	v_cvt_u32_f32_e32 v0, v0
	v_cvt_u32_f32_e32 v1, v1
.LBB363_456:
	s_mov_b64 s[28:29], 0
	s_mov_b64 s[0:1], -1
.LBB363_457:
	s_andn2_b64 vcc, exec, s[28:29]
	s_cbranch_vccnz .LBB363_468
; %bb.458:
	s_cmp_gt_i32 s31, 14
	s_cbranch_scc0 .LBB363_461
; %bb.459:
	s_cmp_eq_u32 s31, 15
	s_cbranch_scc0 .LBB363_462
; %bb.460:
	global_load_ushort v0, v[2:3], off
	s_mov_b64 s[0:1], -1
	s_mov_b64 s[26:27], 0
	s_waitcnt vmcnt(0)
	v_lshlrev_b32_e32 v0, 16, v0
	v_trunc_f32_e32 v0, v0
	v_mul_f32_e32 v1, 0x2f800000, v0
	v_floor_f32_e32 v1, v1
	v_fmac_f32_e32 v0, 0xcf800000, v1
	v_cvt_u32_f32_e32 v0, v0
	v_cvt_u32_f32_e32 v1, v1
	s_branch .LBB363_463
.LBB363_461:
	s_mov_b64 s[28:29], -1
                                        ; implicit-def: $vgpr0_vgpr1
	s_branch .LBB363_464
.LBB363_462:
	s_mov_b64 s[26:27], -1
                                        ; implicit-def: $vgpr0_vgpr1
.LBB363_463:
	s_mov_b64 s[28:29], 0
.LBB363_464:
	s_and_b64 vcc, exec, s[28:29]
	s_cbranch_vccz .LBB363_468
; %bb.465:
	s_cmp_eq_u32 s31, 11
	s_cbranch_scc0 .LBB363_467
; %bb.466:
	global_load_ubyte v0, v[2:3], off
	s_mov_b32 s26, 0
	s_mov_b64 s[0:1], -1
	s_waitcnt vmcnt(1)
	v_mov_b32_e32 v1, s26
	s_mov_b64 s[26:27], 0
	s_waitcnt vmcnt(0)
	v_cmp_ne_u16_e32 vcc, 0, v0
	v_cndmask_b32_e64 v0, 0, 1, vcc
	s_branch .LBB363_468
.LBB363_467:
	s_mov_b64 s[26:27], -1
                                        ; implicit-def: $vgpr0_vgpr1
.LBB363_468:
	s_branch .LBB363_388
.LBB363_469:
	s_and_b32 s28, 0xffff, s30
	s_cmp_lt_i32 s28, 5
	s_cbranch_scc1 .LBB363_474
; %bb.470:
	s_cmp_lt_i32 s28, 8
	s_cbranch_scc1 .LBB363_475
; %bb.471:
	;; [unrolled: 3-line block ×3, first 2 shown]
	s_cmp_gt_i32 s28, 9
	s_cbranch_scc0 .LBB363_477
; %bb.473:
	global_load_dwordx2 v[0:1], v[2:3], off
	s_movk_i32 s0, 0xffe0
	s_waitcnt vmcnt(0)
	v_trunc_f64_e32 v[0:1], v[0:1]
	v_ldexp_f64 v[4:5], v[0:1], s0
	s_mov_b32 s0, 0
	s_mov_b32 s1, 0xc1f00000
	v_floor_f64_e32 v[4:5], v[4:5]
	v_fma_f64 v[6:7], v[4:5], s[0:1], v[0:1]
	v_cvt_u32_f64_e32 v1, v[4:5]
	s_mov_b64 s[0:1], 0
	v_cvt_u32_f64_e32 v0, v[6:7]
	s_branch .LBB363_478
.LBB363_474:
	s_mov_b64 s[0:1], -1
                                        ; implicit-def: $vgpr0_vgpr1
	s_branch .LBB363_496
.LBB363_475:
	s_mov_b64 s[0:1], -1
                                        ; implicit-def: $vgpr0_vgpr1
	s_branch .LBB363_484
.LBB363_476:
	s_mov_b64 s[0:1], -1
                                        ; implicit-def: $vgpr0_vgpr1
	s_branch .LBB363_481
.LBB363_477:
	s_mov_b64 s[0:1], -1
                                        ; implicit-def: $vgpr0_vgpr1
.LBB363_478:
	s_andn2_b64 vcc, exec, s[0:1]
	s_cbranch_vccnz .LBB363_480
; %bb.479:
	global_load_dword v0, v[2:3], off
	s_waitcnt vmcnt(0)
	v_trunc_f32_e32 v0, v0
	v_mul_f32_e32 v1, 0x2f800000, v0
	v_floor_f32_e32 v4, v1
	v_fmac_f32_e32 v0, 0xcf800000, v4
	v_cvt_u32_f32_e32 v1, v4
	v_cvt_u32_f32_e32 v0, v0
.LBB363_480:
	s_mov_b64 s[0:1], 0
.LBB363_481:
	s_andn2_b64 vcc, exec, s[0:1]
	s_cbranch_vccnz .LBB363_483
; %bb.482:
	global_load_dword v0, v[2:3], off
	s_waitcnt vmcnt(1)
	v_mov_b32_e32 v1, 0
	s_waitcnt vmcnt(0)
	v_cvt_f32_f16_e32 v0, v0
	v_cvt_u32_f32_e32 v0, v0
.LBB363_483:
	s_mov_b64 s[0:1], 0
.LBB363_484:
	s_andn2_b64 vcc, exec, s[0:1]
	s_cbranch_vccnz .LBB363_495
; %bb.485:
	s_cmp_lt_i32 s28, 6
	s_cbranch_scc1 .LBB363_488
; %bb.486:
	s_cmp_gt_i32 s28, 6
	s_cbranch_scc0 .LBB363_489
; %bb.487:
	global_load_dwordx2 v[0:1], v[2:3], off
	s_movk_i32 s0, 0xffe0
	s_waitcnt vmcnt(0)
	v_trunc_f64_e32 v[0:1], v[0:1]
	v_ldexp_f64 v[4:5], v[0:1], s0
	s_mov_b32 s0, 0
	s_mov_b32 s1, 0xc1f00000
	v_floor_f64_e32 v[4:5], v[4:5]
	v_fma_f64 v[6:7], v[4:5], s[0:1], v[0:1]
	v_cvt_u32_f64_e32 v1, v[4:5]
	s_mov_b64 s[0:1], 0
	v_cvt_u32_f64_e32 v0, v[6:7]
	s_branch .LBB363_490
.LBB363_488:
	s_mov_b64 s[0:1], -1
                                        ; implicit-def: $vgpr0_vgpr1
	s_branch .LBB363_493
.LBB363_489:
	s_mov_b64 s[0:1], -1
                                        ; implicit-def: $vgpr0_vgpr1
.LBB363_490:
	s_andn2_b64 vcc, exec, s[0:1]
	s_cbranch_vccnz .LBB363_492
; %bb.491:
	global_load_dword v0, v[2:3], off
	s_waitcnt vmcnt(0)
	v_trunc_f32_e32 v0, v0
	v_mul_f32_e32 v1, 0x2f800000, v0
	v_floor_f32_e32 v4, v1
	v_fmac_f32_e32 v0, 0xcf800000, v4
	v_cvt_u32_f32_e32 v1, v4
	v_cvt_u32_f32_e32 v0, v0
.LBB363_492:
	s_mov_b64 s[0:1], 0
.LBB363_493:
	s_andn2_b64 vcc, exec, s[0:1]
	s_cbranch_vccnz .LBB363_495
; %bb.494:
	global_load_ushort v0, v[2:3], off
	s_waitcnt vmcnt(1)
	v_mov_b32_e32 v1, 0
	s_waitcnt vmcnt(0)
	v_cvt_f32_f16_e32 v0, v0
	v_cvt_u32_f32_e32 v0, v0
.LBB363_495:
	s_mov_b64 s[0:1], 0
.LBB363_496:
	s_andn2_b64 vcc, exec, s[0:1]
	s_cbranch_vccnz .LBB363_516
; %bb.497:
	s_cmp_lt_i32 s28, 2
	s_cbranch_scc1 .LBB363_501
; %bb.498:
	s_cmp_lt_i32 s28, 3
	s_cbranch_scc1 .LBB363_502
; %bb.499:
	s_cmp_gt_i32 s28, 3
	s_cbranch_scc0 .LBB363_503
; %bb.500:
	global_load_dwordx2 v[0:1], v[2:3], off
	s_mov_b64 s[0:1], 0
	s_branch .LBB363_504
.LBB363_501:
	s_mov_b64 s[0:1], -1
                                        ; implicit-def: $vgpr0_vgpr1
	s_branch .LBB363_510
.LBB363_502:
	s_mov_b64 s[0:1], -1
                                        ; implicit-def: $vgpr0_vgpr1
	s_branch .LBB363_507
.LBB363_503:
	s_mov_b64 s[0:1], -1
                                        ; implicit-def: $vgpr0_vgpr1
.LBB363_504:
	s_andn2_b64 vcc, exec, s[0:1]
	s_cbranch_vccnz .LBB363_506
; %bb.505:
	global_load_dword v0, v[2:3], off
	s_waitcnt vmcnt(0)
	v_ashrrev_i32_e32 v1, 31, v0
.LBB363_506:
	s_mov_b64 s[0:1], 0
.LBB363_507:
	s_andn2_b64 vcc, exec, s[0:1]
	s_cbranch_vccnz .LBB363_509
; %bb.508:
	global_load_ushort v0, v[2:3], off
	s_waitcnt vmcnt(0)
	v_bfe_i32 v0, v0, 0, 16
	v_ashrrev_i32_e32 v1, 31, v0
.LBB363_509:
	s_mov_b64 s[0:1], 0
.LBB363_510:
	s_andn2_b64 vcc, exec, s[0:1]
	s_cbranch_vccnz .LBB363_516
; %bb.511:
	s_cmp_gt_i32 s28, 0
	s_cbranch_scc0 .LBB363_513
; %bb.512:
	global_load_sbyte v0, v[2:3], off
	s_mov_b64 s[0:1], 0
	s_waitcnt vmcnt(0)
	v_bfe_i32 v0, v0, 0, 16
	v_ashrrev_i32_e32 v1, 31, v0
	s_branch .LBB363_514
.LBB363_513:
	s_mov_b64 s[0:1], -1
                                        ; implicit-def: $vgpr0_vgpr1
.LBB363_514:
	s_andn2_b64 vcc, exec, s[0:1]
	s_cbranch_vccnz .LBB363_516
; %bb.515:
	global_load_ubyte v0, v[2:3], off
	s_mov_b32 s0, 0
	s_waitcnt vmcnt(1)
	v_mov_b32_e32 v1, s0
	s_waitcnt vmcnt(0)
	v_and_b32_e32 v0, 0xffff, v0
.LBB363_516:
	s_branch .LBB363_389
.LBB363_517:
	s_mov_b64 s[36:37], 0
	s_mov_b64 s[0:1], s[18:19]
	;; [unrolled: 1-line block ×3, first 2 shown]
.LBB363_518:
                                        ; implicit-def: $vgpr18
	s_branch .LBB363_756
.LBB363_519:
	s_andn2_saveexec_b64 s[34:35], s[34:35]
	s_cbranch_execz .LBB363_189
.LBB363_520:
	v_add_f32_e32 v2, 0x42800000, v3
	v_and_b32_e32 v2, 0xff, v2
	v_cmp_ne_u32_e32 vcc, 0, v2
	s_andn2_b64 s[30:31], s[30:31], exec
	s_and_b64 s[38:39], vcc, exec
	s_or_b64 s[30:31], s[30:31], s[38:39]
	s_or_b64 exec, exec, s[34:35]
	v_mov_b32_e32 v4, 0
	s_and_saveexec_b64 s[34:35], s[30:31]
	s_cbranch_execnz .LBB363_190
	s_branch .LBB363_191
.LBB363_521:
	s_mov_b64 s[28:29], -1
                                        ; implicit-def: $vgpr4_vgpr5
	s_mov_b64 s[0:1], 0
.LBB363_522:
	s_and_b64 vcc, exec, s[30:31]
	s_cbranch_vccz .LBB363_526
; %bb.523:
	s_cmp_eq_u32 s37, 44
	s_cbranch_scc0 .LBB363_525
; %bb.524:
	global_load_ubyte v4, v[2:3], off
	s_mov_b64 s[0:1], -1
	s_mov_b64 s[28:29], 0
	s_waitcnt vmcnt(0)
	v_lshlrev_b32_e32 v5, 23, v4
	v_trunc_f32_e32 v5, v5
	v_mul_f32_e32 v6, 0x2f800000, v5
	v_floor_f32_e32 v6, v6
	v_fmac_f32_e32 v5, 0xcf800000, v6
	v_cvt_u32_f32_e32 v6, v6
	v_cvt_u32_f32_e32 v7, v5
	v_cmp_ne_u32_e32 vcc, 0, v4
	v_cndmask_b32_e32 v5, 0, v6, vcc
	v_cndmask_b32_e32 v4, 0, v7, vcc
	s_branch .LBB363_526
.LBB363_525:
	s_mov_b64 s[28:29], -1
                                        ; implicit-def: $vgpr4_vgpr5
.LBB363_526:
	s_mov_b64 s[30:31], 0
.LBB363_527:
	s_and_b64 vcc, exec, s[30:31]
	s_cbranch_vccz .LBB363_531
; %bb.528:
	s_cmp_eq_u32 s37, 29
	s_cbranch_scc0 .LBB363_530
; %bb.529:
	global_load_dwordx2 v[4:5], v[2:3], off
	s_mov_b64 s[0:1], -1
	s_mov_b64 s[28:29], 0
	s_branch .LBB363_531
.LBB363_530:
	s_mov_b64 s[28:29], -1
                                        ; implicit-def: $vgpr4_vgpr5
.LBB363_531:
	s_mov_b64 s[30:31], 0
.LBB363_532:
	s_and_b64 vcc, exec, s[30:31]
	s_cbranch_vccz .LBB363_550
; %bb.533:
	s_cmp_lt_i32 s37, 27
	s_cbranch_scc1 .LBB363_536
; %bb.534:
	s_cmp_gt_i32 s37, 27
	s_cbranch_scc0 .LBB363_537
; %bb.535:
	global_load_dword v4, v[2:3], off
	s_waitcnt vmcnt(1)
	v_mov_b32_e32 v5, 0
	s_mov_b64 s[0:1], 0
	s_branch .LBB363_538
.LBB363_536:
	s_mov_b64 s[0:1], -1
                                        ; implicit-def: $vgpr4_vgpr5
	s_branch .LBB363_541
.LBB363_537:
	s_mov_b64 s[0:1], -1
                                        ; implicit-def: $vgpr4_vgpr5
.LBB363_538:
	s_andn2_b64 vcc, exec, s[0:1]
	s_cbranch_vccnz .LBB363_540
; %bb.539:
	global_load_ushort v4, v[2:3], off
	s_mov_b32 s0, 0
	s_waitcnt vmcnt(1)
	v_mov_b32_e32 v5, s0
	s_waitcnt vmcnt(0)
	v_and_b32_e32 v4, 0xffff, v4
.LBB363_540:
	s_mov_b64 s[0:1], 0
.LBB363_541:
	s_andn2_b64 vcc, exec, s[0:1]
	s_cbranch_vccnz .LBB363_549
; %bb.542:
	global_load_ubyte v6, v[2:3], off
	s_movk_i32 s0, 0x7f
	s_mov_b64 s[30:31], 0
	s_waitcnt vmcnt(0)
	v_cmp_lt_i16_e32 vcc, s0, v6
	s_and_saveexec_b64 s[0:1], vcc
	s_xor_b64 s[0:1], exec, s[0:1]
; %bb.543:
	s_movk_i32 s30, 0x80
	v_cmp_ne_u16_e32 vcc, s30, v6
	s_and_b64 s[30:31], vcc, exec
; %bb.544:
	s_andn2_saveexec_b64 s[0:1], s[0:1]
; %bb.545:
	v_cmp_ne_u16_e32 vcc, 0, v6
	s_andn2_b64 s[30:31], s[30:31], exec
	s_and_b64 s[38:39], vcc, exec
	s_or_b64 s[30:31], s[30:31], s[38:39]
; %bb.546:
	s_or_b64 exec, exec, s[0:1]
	v_mov_b32_e32 v4, 0
	v_mov_b32_e32 v5, 0
	s_and_saveexec_b64 s[0:1], s[30:31]
	s_cbranch_execz .LBB363_548
; %bb.547:
	v_and_b32_e32 v5, 0xffff, v6
	v_lshlrev_b32_e32 v4, 24, v6
	v_and_b32_e32 v6, 7, v5
	v_ffbh_u32_e32 v8, v6
	v_min_u32_e32 v8, 32, v8
	v_subrev_u32_e32 v9, 28, v8
	v_bfe_u32 v7, v5, 3, 4
	v_lshlrev_b32_e32 v5, v9, v5
	v_sub_u32_e32 v8, 29, v8
	v_and_b32_e32 v5, 7, v5
	v_cmp_eq_u32_e32 vcc, 0, v7
	v_cndmask_b32_e32 v7, v7, v8, vcc
	v_cndmask_b32_e32 v5, v6, v5, vcc
	v_mov_b32_e32 v6, 0x3b800000
	v_lshlrev_b32_e32 v5, 20, v5
	v_and_b32_e32 v4, 0x80000000, v4
	v_lshl_add_u32 v6, v7, 23, v6
	v_or3_b32 v4, v4, v6, v5
	v_trunc_f32_e32 v4, v4
	v_mul_f32_e32 v5, 0x2f800000, v4
	v_floor_f32_e32 v5, v5
	v_fmac_f32_e32 v4, 0xcf800000, v5
	v_cvt_u32_f32_e32 v4, v4
	v_cvt_u32_f32_e32 v5, v5
.LBB363_548:
	s_or_b64 exec, exec, s[0:1]
.LBB363_549:
	s_mov_b64 s[0:1], -1
.LBB363_550:
	s_mov_b64 s[30:31], 0
.LBB363_551:
	s_and_b64 vcc, exec, s[30:31]
	s_cbranch_vccz .LBB363_582
; %bb.552:
	s_cmp_gt_i32 s37, 22
	s_cbranch_scc0 .LBB363_562
; %bb.553:
	s_cmp_lt_i32 s37, 24
	s_cbranch_scc1 .LBB363_563
; %bb.554:
	s_cmp_gt_i32 s37, 24
	s_cbranch_scc0 .LBB363_564
; %bb.555:
	global_load_ubyte v6, v[2:3], off
	s_movk_i32 s0, 0x7f
	s_mov_b64 s[30:31], 0
	s_waitcnt vmcnt(0)
	v_cmp_lt_i16_e32 vcc, s0, v6
	s_and_saveexec_b64 s[0:1], vcc
	s_xor_b64 s[0:1], exec, s[0:1]
; %bb.556:
	s_movk_i32 s30, 0x80
	v_cmp_ne_u16_e32 vcc, s30, v6
	s_and_b64 s[30:31], vcc, exec
; %bb.557:
	s_andn2_saveexec_b64 s[0:1], s[0:1]
; %bb.558:
	v_cmp_ne_u16_e32 vcc, 0, v6
	s_andn2_b64 s[30:31], s[30:31], exec
	s_and_b64 s[38:39], vcc, exec
	s_or_b64 s[30:31], s[30:31], s[38:39]
; %bb.559:
	s_or_b64 exec, exec, s[0:1]
	v_mov_b32_e32 v4, 0
	v_mov_b32_e32 v5, 0
	s_and_saveexec_b64 s[0:1], s[30:31]
	s_cbranch_execz .LBB363_561
; %bb.560:
	v_and_b32_e32 v5, 0xffff, v6
	v_lshlrev_b32_e32 v4, 24, v6
	v_and_b32_e32 v6, 3, v5
	v_ffbh_u32_e32 v8, v6
	v_min_u32_e32 v8, 32, v8
	v_subrev_u32_e32 v9, 29, v8
	v_bfe_u32 v7, v5, 2, 5
	v_lshlrev_b32_e32 v5, v9, v5
	v_sub_u32_e32 v8, 30, v8
	v_and_b32_e32 v5, 3, v5
	v_cmp_eq_u32_e32 vcc, 0, v7
	v_cndmask_b32_e32 v7, v7, v8, vcc
	v_cndmask_b32_e32 v5, v6, v5, vcc
	v_mov_b32_e32 v6, 0x37800000
	v_lshlrev_b32_e32 v5, 21, v5
	v_and_b32_e32 v4, 0x80000000, v4
	v_lshl_add_u32 v6, v7, 23, v6
	v_or3_b32 v4, v4, v6, v5
	v_trunc_f32_e32 v4, v4
	v_mul_f32_e32 v5, 0x2f800000, v4
	v_floor_f32_e32 v5, v5
	v_fmac_f32_e32 v4, 0xcf800000, v5
	v_cvt_u32_f32_e32 v4, v4
	v_cvt_u32_f32_e32 v5, v5
.LBB363_561:
	s_or_b64 exec, exec, s[0:1]
	s_mov_b64 s[0:1], 0
	s_branch .LBB363_565
.LBB363_562:
	s_mov_b64 s[30:31], -1
                                        ; implicit-def: $vgpr4_vgpr5
	s_branch .LBB363_571
.LBB363_563:
	s_mov_b64 s[0:1], -1
                                        ; implicit-def: $vgpr4_vgpr5
	s_branch .LBB363_568
.LBB363_564:
	s_mov_b64 s[0:1], -1
                                        ; implicit-def: $vgpr4_vgpr5
.LBB363_565:
	s_and_b64 vcc, exec, s[0:1]
	s_cbranch_vccz .LBB363_567
; %bb.566:
	global_load_ubyte v4, v[2:3], off
	s_mov_b32 s0, 0x7f800000
	s_brev_b32 s1, 1
	s_waitcnt vmcnt(0)
	v_lshlrev_b32_e32 v4, 24, v4
	v_and_b32_e32 v5, 0x7f000000, v4
	v_ffbh_u32_e32 v6, v5
	v_min_u32_e32 v6, 32, v6
	v_sub_u32_e64 v6, v6, 4 clamp
	v_lshlrev_b32_e32 v8, v6, v5
	v_lshlrev_b32_e32 v6, 23, v6
	v_lshrrev_b32_e32 v8, 4, v8
	v_add_u32_e32 v7, 0x1000000, v5
	v_sub_u32_e32 v6, v8, v6
	v_ashrrev_i32_e32 v7, 8, v7
	v_add_u32_e32 v6, 0x3c000000, v6
	v_and_or_b32 v6, v7, s0, v6
	v_cmp_ne_u32_e32 vcc, 0, v5
	v_cndmask_b32_e32 v5, 0, v6, vcc
	v_and_or_b32 v4, v4, s1, v5
	v_trunc_f32_e32 v4, v4
	v_mul_f32_e32 v5, 0x2f800000, v4
	v_floor_f32_e32 v5, v5
	v_fmac_f32_e32 v4, 0xcf800000, v5
	v_cvt_u32_f32_e32 v4, v4
	v_cvt_u32_f32_e32 v5, v5
.LBB363_567:
	s_mov_b64 s[0:1], 0
.LBB363_568:
	s_andn2_b64 vcc, exec, s[0:1]
	s_cbranch_vccnz .LBB363_570
; %bb.569:
	global_load_ubyte v4, v[2:3], off
	s_movk_i32 s0, 0x7f00
	s_brev_b32 s1, 16
	s_brev_b32 s30, 1
	s_waitcnt vmcnt(0)
	v_lshlrev_b16_e32 v5, 8, v4
	v_lshlrev_b32_e32 v4, 25, v4
	v_lshrrev_b32_e32 v6, 4, v4
	v_and_or_b32 v7, v5, s0, 0.5
	v_or_b32_e32 v6, 0x70000000, v6
	v_add_f32_e32 v7, -0.5, v7
	v_mul_f32_e32 v6, 0x7800000, v6
	v_cmp_gt_u32_e32 vcc, s1, v4
	v_bfe_i32 v5, v5, 0, 16
	v_cndmask_b32_e32 v4, v6, v7, vcc
	v_and_or_b32 v4, v5, s30, v4
	v_trunc_f32_e32 v4, v4
	v_mul_f32_e32 v5, 0x2f800000, v4
	v_floor_f32_e32 v5, v5
	v_fmac_f32_e32 v4, 0xcf800000, v5
	v_cvt_u32_f32_e32 v4, v4
	v_cvt_u32_f32_e32 v5, v5
.LBB363_570:
	s_mov_b64 s[30:31], 0
	s_mov_b64 s[0:1], -1
.LBB363_571:
	s_andn2_b64 vcc, exec, s[30:31]
	s_cbranch_vccnz .LBB363_582
; %bb.572:
	s_cmp_gt_i32 s37, 14
	s_cbranch_scc0 .LBB363_575
; %bb.573:
	s_cmp_eq_u32 s37, 15
	s_cbranch_scc0 .LBB363_576
; %bb.574:
	global_load_ushort v4, v[2:3], off
	s_mov_b64 s[0:1], -1
	s_mov_b64 s[28:29], 0
	s_waitcnt vmcnt(0)
	v_lshlrev_b32_e32 v4, 16, v4
	v_trunc_f32_e32 v4, v4
	v_mul_f32_e32 v5, 0x2f800000, v4
	v_floor_f32_e32 v5, v5
	v_fmac_f32_e32 v4, 0xcf800000, v5
	v_cvt_u32_f32_e32 v4, v4
	v_cvt_u32_f32_e32 v5, v5
	s_branch .LBB363_577
.LBB363_575:
	s_mov_b64 s[30:31], -1
                                        ; implicit-def: $vgpr4_vgpr5
	s_branch .LBB363_578
.LBB363_576:
	s_mov_b64 s[28:29], -1
                                        ; implicit-def: $vgpr4_vgpr5
.LBB363_577:
	s_mov_b64 s[30:31], 0
.LBB363_578:
	s_and_b64 vcc, exec, s[30:31]
	s_cbranch_vccz .LBB363_582
; %bb.579:
	s_cmp_eq_u32 s37, 11
	s_cbranch_scc0 .LBB363_581
; %bb.580:
	global_load_ubyte v4, v[2:3], off
	s_mov_b32 s28, 0
	s_mov_b64 s[0:1], -1
	s_waitcnt vmcnt(1)
	v_mov_b32_e32 v5, s28
	s_mov_b64 s[28:29], 0
	s_waitcnt vmcnt(0)
	v_cmp_ne_u16_e32 vcc, 0, v4
	v_cndmask_b32_e64 v4, 0, 1, vcc
	s_branch .LBB363_582
.LBB363_581:
	s_mov_b64 s[28:29], -1
                                        ; implicit-def: $vgpr4_vgpr5
.LBB363_582:
	s_mov_b64 s[30:31], 0
.LBB363_583:
	s_and_b64 vcc, exec, s[30:31]
	s_cbranch_vccz .LBB363_632
; %bb.584:
	s_and_b32 s30, 0xffff, s36
	s_cmp_lt_i32 s30, 5
	s_cbranch_scc1 .LBB363_589
; %bb.585:
	s_cmp_lt_i32 s30, 8
	s_cbranch_scc1 .LBB363_590
; %bb.586:
	;; [unrolled: 3-line block ×3, first 2 shown]
	s_cmp_gt_i32 s30, 9
	s_cbranch_scc0 .LBB363_592
; %bb.588:
	global_load_dwordx2 v[4:5], v[2:3], off
	s_movk_i32 s0, 0xffe0
	s_waitcnt vmcnt(0)
	v_trunc_f64_e32 v[4:5], v[4:5]
	v_ldexp_f64 v[6:7], v[4:5], s0
	s_mov_b32 s0, 0
	s_mov_b32 s1, 0xc1f00000
	v_floor_f64_e32 v[6:7], v[6:7]
	v_fma_f64 v[8:9], v[6:7], s[0:1], v[4:5]
	v_cvt_u32_f64_e32 v5, v[6:7]
	s_mov_b64 s[0:1], 0
	v_cvt_u32_f64_e32 v4, v[8:9]
	s_branch .LBB363_593
.LBB363_589:
	s_mov_b64 s[0:1], -1
                                        ; implicit-def: $vgpr4_vgpr5
	s_branch .LBB363_611
.LBB363_590:
	s_mov_b64 s[0:1], -1
                                        ; implicit-def: $vgpr4_vgpr5
	s_branch .LBB363_599
.LBB363_591:
	s_mov_b64 s[0:1], -1
                                        ; implicit-def: $vgpr4_vgpr5
	s_branch .LBB363_596
.LBB363_592:
	s_mov_b64 s[0:1], -1
                                        ; implicit-def: $vgpr4_vgpr5
.LBB363_593:
	s_andn2_b64 vcc, exec, s[0:1]
	s_cbranch_vccnz .LBB363_595
; %bb.594:
	global_load_dword v4, v[2:3], off
	s_waitcnt vmcnt(0)
	v_trunc_f32_e32 v4, v4
	v_mul_f32_e32 v5, 0x2f800000, v4
	v_floor_f32_e32 v6, v5
	v_fmac_f32_e32 v4, 0xcf800000, v6
	v_cvt_u32_f32_e32 v5, v6
	v_cvt_u32_f32_e32 v4, v4
.LBB363_595:
	s_mov_b64 s[0:1], 0
.LBB363_596:
	s_andn2_b64 vcc, exec, s[0:1]
	s_cbranch_vccnz .LBB363_598
; %bb.597:
	global_load_dword v4, v[2:3], off
	s_waitcnt vmcnt(1)
	v_mov_b32_e32 v5, 0
	s_waitcnt vmcnt(0)
	v_cvt_f32_f16_e32 v4, v4
	v_cvt_u32_f32_e32 v4, v4
.LBB363_598:
	s_mov_b64 s[0:1], 0
.LBB363_599:
	s_andn2_b64 vcc, exec, s[0:1]
	s_cbranch_vccnz .LBB363_610
; %bb.600:
	s_cmp_lt_i32 s30, 6
	s_cbranch_scc1 .LBB363_603
; %bb.601:
	s_cmp_gt_i32 s30, 6
	s_cbranch_scc0 .LBB363_604
; %bb.602:
	global_load_dwordx2 v[4:5], v[2:3], off
	s_movk_i32 s0, 0xffe0
	s_waitcnt vmcnt(0)
	v_trunc_f64_e32 v[4:5], v[4:5]
	v_ldexp_f64 v[6:7], v[4:5], s0
	s_mov_b32 s0, 0
	s_mov_b32 s1, 0xc1f00000
	v_floor_f64_e32 v[6:7], v[6:7]
	v_fma_f64 v[8:9], v[6:7], s[0:1], v[4:5]
	v_cvt_u32_f64_e32 v5, v[6:7]
	s_mov_b64 s[0:1], 0
	v_cvt_u32_f64_e32 v4, v[8:9]
	s_branch .LBB363_605
.LBB363_603:
	s_mov_b64 s[0:1], -1
                                        ; implicit-def: $vgpr4_vgpr5
	s_branch .LBB363_608
.LBB363_604:
	s_mov_b64 s[0:1], -1
                                        ; implicit-def: $vgpr4_vgpr5
.LBB363_605:
	s_andn2_b64 vcc, exec, s[0:1]
	s_cbranch_vccnz .LBB363_607
; %bb.606:
	global_load_dword v4, v[2:3], off
	s_waitcnt vmcnt(0)
	v_trunc_f32_e32 v4, v4
	v_mul_f32_e32 v5, 0x2f800000, v4
	v_floor_f32_e32 v6, v5
	v_fmac_f32_e32 v4, 0xcf800000, v6
	v_cvt_u32_f32_e32 v5, v6
	v_cvt_u32_f32_e32 v4, v4
.LBB363_607:
	s_mov_b64 s[0:1], 0
.LBB363_608:
	s_andn2_b64 vcc, exec, s[0:1]
	s_cbranch_vccnz .LBB363_610
; %bb.609:
	global_load_ushort v4, v[2:3], off
	s_waitcnt vmcnt(1)
	v_mov_b32_e32 v5, 0
	s_waitcnt vmcnt(0)
	v_cvt_f32_f16_e32 v4, v4
	v_cvt_u32_f32_e32 v4, v4
.LBB363_610:
	s_mov_b64 s[0:1], 0
.LBB363_611:
	s_andn2_b64 vcc, exec, s[0:1]
	s_cbranch_vccnz .LBB363_631
; %bb.612:
	s_cmp_lt_i32 s30, 2
	s_cbranch_scc1 .LBB363_616
; %bb.613:
	s_cmp_lt_i32 s30, 3
	s_cbranch_scc1 .LBB363_617
; %bb.614:
	s_cmp_gt_i32 s30, 3
	s_cbranch_scc0 .LBB363_618
; %bb.615:
	global_load_dwordx2 v[4:5], v[2:3], off
	s_mov_b64 s[0:1], 0
	s_branch .LBB363_619
.LBB363_616:
	s_mov_b64 s[0:1], -1
                                        ; implicit-def: $vgpr4_vgpr5
	s_branch .LBB363_625
.LBB363_617:
	s_mov_b64 s[0:1], -1
                                        ; implicit-def: $vgpr4_vgpr5
	s_branch .LBB363_622
.LBB363_618:
	s_mov_b64 s[0:1], -1
                                        ; implicit-def: $vgpr4_vgpr5
.LBB363_619:
	s_andn2_b64 vcc, exec, s[0:1]
	s_cbranch_vccnz .LBB363_621
; %bb.620:
	global_load_dword v4, v[2:3], off
	s_waitcnt vmcnt(0)
	v_ashrrev_i32_e32 v5, 31, v4
.LBB363_621:
	s_mov_b64 s[0:1], 0
.LBB363_622:
	s_andn2_b64 vcc, exec, s[0:1]
	s_cbranch_vccnz .LBB363_624
; %bb.623:
	global_load_ushort v4, v[2:3], off
	s_waitcnt vmcnt(0)
	v_bfe_i32 v4, v4, 0, 16
	v_ashrrev_i32_e32 v5, 31, v4
.LBB363_624:
	s_mov_b64 s[0:1], 0
.LBB363_625:
	s_andn2_b64 vcc, exec, s[0:1]
	s_cbranch_vccnz .LBB363_631
; %bb.626:
	s_cmp_gt_i32 s30, 0
	s_cbranch_scc0 .LBB363_628
; %bb.627:
	global_load_sbyte v4, v[2:3], off
	s_mov_b64 s[0:1], 0
	s_waitcnt vmcnt(0)
	v_bfe_i32 v4, v4, 0, 16
	v_ashrrev_i32_e32 v5, 31, v4
	s_branch .LBB363_629
.LBB363_628:
	s_mov_b64 s[0:1], -1
                                        ; implicit-def: $vgpr4_vgpr5
.LBB363_629:
	s_andn2_b64 vcc, exec, s[0:1]
	s_cbranch_vccnz .LBB363_631
; %bb.630:
	global_load_ubyte v2, v[2:3], off
	s_mov_b32 s0, 0
	s_waitcnt vmcnt(1)
	v_mov_b32_e32 v5, s0
	s_waitcnt vmcnt(0)
	v_and_b32_e32 v4, 0xffff, v2
.LBB363_631:
	s_mov_b64 s[0:1], -1
.LBB363_632:
	s_andn2_b64 vcc, exec, s[0:1]
	s_cbranch_vccnz .LBB363_640
; %bb.633:
	v_mul_lo_u32 v2, v18, s12
	s_waitcnt vmcnt(0)
	v_cmp_ne_u64_e32 vcc, v[0:1], v[4:5]
	v_mov_b32_e32 v1, s9
	s_xor_b64 s[30:31], s[16:17], vcc
	v_ashrrev_i32_e32 v3, 31, v2
	s_and_b32 s42, s33, 0xff
	v_add_co_u32_e32 v0, vcc, s8, v2
	s_cmp_lt_i32 s42, 11
	v_addc_co_u32_e32 v1, vcc, v1, v3, vcc
	s_cbranch_scc1 .LBB363_641
; %bb.634:
	s_and_b32 s43, 0xffff, s42
	s_cmp_gt_i32 s43, 25
	s_cbranch_scc0 .LBB363_642
; %bb.635:
	s_cmp_gt_i32 s43, 28
	s_cbranch_scc0 .LBB363_643
; %bb.636:
	;; [unrolled: 3-line block ×4, first 2 shown]
	s_mov_b64 s[38:39], 0
	s_mov_b64 s[0:1], -1
	s_cmp_eq_u32 s43, 46
	s_mov_b64 s[36:37], 0
	s_cbranch_scc0 .LBB363_646
; %bb.639:
	v_cndmask_b32_e64 v2, 0, 1.0, s[30:31]
	v_bfe_u32 v3, v2, 16, 1
	s_movk_i32 s0, 0x7fff
	v_add3_u32 v2, v2, v3, s0
	v_lshrrev_b32_e32 v2, 16, v2
	global_store_dword v[0:1], v2, off
	s_mov_b64 s[36:37], -1
	s_mov_b64 s[0:1], 0
	s_branch .LBB363_646
.LBB363_640:
	s_mov_b64 s[36:37], 0
                                        ; implicit-def: $vgpr18
	s_mov_b64 s[0:1], s[18:19]
	s_branch .LBB363_756
.LBB363_641:
	s_mov_b64 s[38:39], -1
	s_mov_b64 s[36:37], 0
	s_mov_b64 s[0:1], s[18:19]
	s_branch .LBB363_715
.LBB363_642:
	s_mov_b64 s[38:39], -1
	s_mov_b64 s[36:37], 0
	s_mov_b64 s[0:1], s[18:19]
	s_branch .LBB363_673
.LBB363_643:
	s_mov_b64 s[38:39], -1
	s_mov_b64 s[36:37], 0
	s_mov_b64 s[0:1], s[18:19]
	s_branch .LBB363_656
.LBB363_644:
	s_mov_b64 s[38:39], -1
	s_mov_b64 s[36:37], 0
	s_mov_b64 s[0:1], s[18:19]
	s_branch .LBB363_652
.LBB363_645:
	s_mov_b64 s[38:39], -1
	s_mov_b64 s[36:37], 0
	s_mov_b64 s[0:1], s[18:19]
.LBB363_646:
	s_and_b64 vcc, exec, s[38:39]
	s_cbranch_vccz .LBB363_651
; %bb.647:
	s_cmp_eq_u32 s43, 44
	s_mov_b64 s[0:1], -1
	s_cbranch_scc0 .LBB363_651
; %bb.648:
	v_cndmask_b32_e64 v3, 0, 1.0, s[30:31]
	v_lshrrev_b32_e32 v2, 23, v3
	s_movk_i32 s0, 0xff
	v_cmp_ne_u32_e32 vcc, s0, v2
	v_mov_b32_e32 v4, 0xff
	s_and_saveexec_b64 s[36:37], vcc
; %bb.649:
	s_mov_b32 s0, 0x3fffff
	v_and_b32_e32 v4, 0x400000, v3
	v_and_or_b32 v3, v3, s0, v2
	v_cmp_ne_u32_e32 vcc, 0, v4
	v_cmp_ne_u32_e64 s[0:1], 0, v3
	s_and_b64 s[0:1], vcc, s[0:1]
	v_cndmask_b32_e64 v3, 0, 1, s[0:1]
	v_add_u32_e32 v4, v2, v3
; %bb.650:
	s_or_b64 exec, exec, s[36:37]
	s_mov_b64 s[36:37], -1
	s_mov_b64 s[0:1], 0
	global_store_byte v[0:1], v4, off
.LBB363_651:
	s_mov_b64 s[38:39], 0
.LBB363_652:
	s_and_b64 vcc, exec, s[38:39]
	s_cbranch_vccz .LBB363_655
; %bb.653:
	s_cmp_eq_u32 s43, 29
	s_mov_b64 s[0:1], -1
	s_cbranch_scc0 .LBB363_655
; %bb.654:
	s_mov_b32 s0, 0
	v_cndmask_b32_e64 v2, 0, 1, s[30:31]
	v_mov_b32_e32 v3, s0
	global_store_dwordx2 v[0:1], v[2:3], off
	s_mov_b64 s[36:37], -1
	s_mov_b64 s[0:1], 0
.LBB363_655:
	s_mov_b64 s[38:39], 0
.LBB363_656:
	s_and_b64 vcc, exec, s[38:39]
	s_cbranch_vccz .LBB363_672
; %bb.657:
	s_cmp_lt_i32 s43, 27
	s_mov_b64 s[36:37], -1
	s_cbranch_scc1 .LBB363_663
; %bb.658:
	s_cmp_gt_i32 s43, 27
	s_cbranch_scc0 .LBB363_660
; %bb.659:
	v_cndmask_b32_e64 v2, 0, 1, s[30:31]
	s_mov_b64 s[36:37], 0
	global_store_dword v[0:1], v2, off
.LBB363_660:
	s_andn2_b64 vcc, exec, s[36:37]
	s_cbranch_vccnz .LBB363_662
; %bb.661:
	v_cndmask_b32_e64 v2, 0, 1, s[30:31]
	global_store_short v[0:1], v2, off
.LBB363_662:
	s_mov_b64 s[36:37], 0
.LBB363_663:
	s_andn2_b64 vcc, exec, s[36:37]
	s_cbranch_vccnz .LBB363_671
; %bb.664:
	v_cndmask_b32_e64 v3, 0, 1.0, s[30:31]
	s_mov_b32 s36, 0x43800000
	v_cmp_gt_u32_e32 vcc, s36, v3
	v_mov_b32_e32 v4, 0x80
	s_and_saveexec_b64 s[36:37], vcc
	s_cbranch_execz .LBB363_670
; %bb.665:
	s_mov_b32 s38, 0x3bffffff
	v_cmp_lt_u32_e32 vcc, s38, v3
	s_mov_b64 s[38:39], 0
                                        ; implicit-def: $vgpr2
	s_and_saveexec_b64 s[40:41], vcc
	s_xor_b64 s[40:41], exec, s[40:41]
	s_cbranch_execz .LBB363_772
; %bb.666:
	v_bfe_u32 v2, v3, 20, 1
	s_mov_b32 s44, 0x487ffff
	v_add3_u32 v2, v3, v2, s44
	s_mov_b64 s[38:39], exec
	v_lshrrev_b32_e32 v2, 20, v2
                                        ; implicit-def: $vgpr3
	s_andn2_saveexec_b64 s[40:41], s[40:41]
	s_cbranch_execnz .LBB363_773
.LBB363_667:
	s_or_b64 exec, exec, s[40:41]
	v_mov_b32_e32 v4, 0
	s_and_saveexec_b64 s[40:41], s[38:39]
.LBB363_668:
	v_mov_b32_e32 v4, v2
.LBB363_669:
	s_or_b64 exec, exec, s[40:41]
.LBB363_670:
	s_or_b64 exec, exec, s[36:37]
	global_store_byte v[0:1], v4, off
.LBB363_671:
	s_mov_b64 s[36:37], -1
.LBB363_672:
	s_mov_b64 s[38:39], 0
.LBB363_673:
	s_and_b64 vcc, exec, s[38:39]
	s_cbranch_vccz .LBB363_714
; %bb.674:
	s_cmp_gt_i32 s43, 22
	s_mov_b64 s[38:39], -1
	s_cbranch_scc0 .LBB363_706
; %bb.675:
	s_cmp_lt_i32 s43, 24
	s_mov_b64 s[36:37], -1
	s_cbranch_scc1 .LBB363_695
; %bb.676:
	s_cmp_gt_i32 s43, 24
	s_cbranch_scc0 .LBB363_684
; %bb.677:
	v_cndmask_b32_e64 v3, 0, 1.0, s[30:31]
	s_mov_b32 s36, 0x47800000
	v_cmp_gt_u32_e32 vcc, s36, v3
	v_mov_b32_e32 v4, 0x80
	s_and_saveexec_b64 s[36:37], vcc
	s_cbranch_execz .LBB363_683
; %bb.678:
	s_mov_b32 s38, 0x37ffffff
	v_cmp_lt_u32_e32 vcc, s38, v3
	s_mov_b64 s[38:39], 0
                                        ; implicit-def: $vgpr2
	s_and_saveexec_b64 s[40:41], vcc
	s_xor_b64 s[40:41], exec, s[40:41]
	s_cbranch_execz .LBB363_900
; %bb.679:
	v_bfe_u32 v2, v3, 21, 1
	s_mov_b32 s44, 0x88fffff
	v_add3_u32 v2, v3, v2, s44
	s_mov_b64 s[38:39], exec
	v_lshrrev_b32_e32 v2, 21, v2
                                        ; implicit-def: $vgpr3
	s_andn2_saveexec_b64 s[40:41], s[40:41]
	s_cbranch_execnz .LBB363_901
.LBB363_680:
	s_or_b64 exec, exec, s[40:41]
	v_mov_b32_e32 v4, 0
	s_and_saveexec_b64 s[40:41], s[38:39]
.LBB363_681:
	v_mov_b32_e32 v4, v2
.LBB363_682:
	s_or_b64 exec, exec, s[40:41]
.LBB363_683:
	s_or_b64 exec, exec, s[36:37]
	s_mov_b64 s[36:37], 0
	global_store_byte v[0:1], v4, off
.LBB363_684:
	s_and_b64 vcc, exec, s[36:37]
	s_cbranch_vccz .LBB363_694
; %bb.685:
	v_cndmask_b32_e64 v2, 0, 1.0, s[30:31]
	s_mov_b32 s36, 0x43f00000
	v_cmp_gt_u32_e32 vcc, s36, v2
                                        ; implicit-def: $vgpr3
	s_and_saveexec_b64 s[36:37], vcc
	s_xor_b64 s[36:37], exec, s[36:37]
	s_cbranch_execz .LBB363_691
; %bb.686:
	s_mov_b32 s38, 0x3c7fffff
	v_cmp_lt_u32_e32 vcc, s38, v2
                                        ; implicit-def: $vgpr3
	s_and_saveexec_b64 s[38:39], vcc
	s_xor_b64 s[38:39], exec, s[38:39]
; %bb.687:
	v_bfe_u32 v3, v2, 20, 1
	s_mov_b32 s40, 0x407ffff
	v_add3_u32 v2, v2, v3, s40
	v_lshrrev_b32_e32 v3, 20, v2
	v_and_b32_e32 v2, 0xff00000, v2
	s_mov_b32 s40, 0x7f00000
	v_mov_b32_e32 v4, 0x7e
	v_cmp_ne_u32_e32 vcc, s40, v2
	v_cndmask_b32_e32 v3, v4, v3, vcc
                                        ; implicit-def: $vgpr2
; %bb.688:
	s_andn2_saveexec_b64 s[38:39], s[38:39]
; %bb.689:
	v_add_f32_e32 v3, 0x46800000, v2
; %bb.690:
	s_or_b64 exec, exec, s[38:39]
                                        ; implicit-def: $vgpr2
.LBB363_691:
	s_andn2_saveexec_b64 s[36:37], s[36:37]
; %bb.692:
	s_mov_b32 s38, 0x7f800000
	v_mov_b32_e32 v3, 0x7e
	v_mov_b32_e32 v4, 0x7f
	v_cmp_lt_u32_e32 vcc, s38, v2
	v_cndmask_b32_e32 v3, v3, v4, vcc
; %bb.693:
	s_or_b64 exec, exec, s[36:37]
	global_store_byte v[0:1], v3, off
.LBB363_694:
	s_mov_b64 s[36:37], 0
.LBB363_695:
	s_andn2_b64 vcc, exec, s[36:37]
	s_cbranch_vccnz .LBB363_705
; %bb.696:
	v_cndmask_b32_e64 v2, 0, 1.0, s[30:31]
	s_mov_b32 s36, 0x47800000
	v_cmp_gt_u32_e32 vcc, s36, v2
                                        ; implicit-def: $vgpr3
	s_and_saveexec_b64 s[36:37], vcc
	s_xor_b64 s[36:37], exec, s[36:37]
	s_cbranch_execz .LBB363_702
; %bb.697:
	s_mov_b32 s38, 0x387fffff
	v_cmp_lt_u32_e32 vcc, s38, v2
                                        ; implicit-def: $vgpr3
	s_and_saveexec_b64 s[38:39], vcc
	s_xor_b64 s[38:39], exec, s[38:39]
; %bb.698:
	v_bfe_u32 v3, v2, 21, 1
	s_mov_b32 s40, 0x80fffff
	v_add3_u32 v2, v2, v3, s40
	v_lshrrev_b32_e32 v3, 21, v2
                                        ; implicit-def: $vgpr2
; %bb.699:
	s_andn2_saveexec_b64 s[38:39], s[38:39]
; %bb.700:
	v_add_f32_e32 v3, 0x43000000, v2
; %bb.701:
	s_or_b64 exec, exec, s[38:39]
                                        ; implicit-def: $vgpr2
.LBB363_702:
	s_andn2_saveexec_b64 s[36:37], s[36:37]
; %bb.703:
	s_mov_b32 s38, 0x7f800000
	v_mov_b32_e32 v3, 0x7c
	v_mov_b32_e32 v4, 0x7f
	v_cmp_lt_u32_e32 vcc, s38, v2
	v_cndmask_b32_e32 v3, v3, v4, vcc
; %bb.704:
	s_or_b64 exec, exec, s[36:37]
	global_store_byte v[0:1], v3, off
.LBB363_705:
	s_mov_b64 s[38:39], 0
	s_mov_b64 s[36:37], -1
.LBB363_706:
	s_andn2_b64 vcc, exec, s[38:39]
	s_cbranch_vccnz .LBB363_714
; %bb.707:
	s_cmp_gt_i32 s43, 14
	s_mov_b64 s[38:39], -1
	s_cbranch_scc0 .LBB363_711
; %bb.708:
	s_cmp_eq_u32 s43, 15
	s_mov_b64 s[0:1], -1
	s_cbranch_scc0 .LBB363_710
; %bb.709:
	v_cndmask_b32_e64 v2, 0, 1.0, s[30:31]
	v_bfe_u32 v3, v2, 16, 1
	s_movk_i32 s0, 0x7fff
	v_add3_u32 v2, v2, v3, s0
	global_store_short_d16_hi v[0:1], v2, off
	s_mov_b64 s[36:37], -1
	s_mov_b64 s[0:1], 0
.LBB363_710:
	s_mov_b64 s[38:39], 0
.LBB363_711:
	s_and_b64 vcc, exec, s[38:39]
	s_cbranch_vccz .LBB363_714
; %bb.712:
	s_cmp_eq_u32 s43, 11
	s_mov_b64 s[0:1], -1
	s_cbranch_scc0 .LBB363_714
; %bb.713:
	v_cndmask_b32_e64 v2, 0, 1, s[30:31]
	s_mov_b64 s[36:37], -1
	s_mov_b64 s[0:1], 0
	global_store_byte v[0:1], v2, off
.LBB363_714:
	s_mov_b64 s[38:39], 0
.LBB363_715:
	s_and_b64 vcc, exec, s[38:39]
	s_cbranch_vccz .LBB363_754
; %bb.716:
	s_and_b32 s38, 0xffff, s42
	s_cmp_lt_i32 s38, 5
	s_mov_b64 s[36:37], -1
	s_cbranch_scc1 .LBB363_737
; %bb.717:
	s_cmp_lt_i32 s38, 8
	s_cbranch_scc1 .LBB363_727
; %bb.718:
	s_cmp_lt_i32 s38, 9
	s_cbranch_scc1 .LBB363_724
; %bb.719:
	s_cmp_gt_i32 s38, 9
	s_cbranch_scc0 .LBB363_721
; %bb.720:
	v_cndmask_b32_e64 v2, 0, 1, s[30:31]
	v_cvt_f64_u32_e32 v[2:3], v2
	v_mov_b32_e32 v4, 0
	v_mov_b32_e32 v5, v4
	s_mov_b64 s[36:37], 0
	global_store_dwordx4 v[0:1], v[2:5], off
.LBB363_721:
	s_andn2_b64 vcc, exec, s[36:37]
	s_cbranch_vccnz .LBB363_723
; %bb.722:
	v_cndmask_b32_e64 v2, 0, 1.0, s[30:31]
	v_mov_b32_e32 v3, 0
	global_store_dwordx2 v[0:1], v[2:3], off
.LBB363_723:
	s_mov_b64 s[36:37], 0
.LBB363_724:
	s_andn2_b64 vcc, exec, s[36:37]
	s_cbranch_vccnz .LBB363_726
; %bb.725:
	v_cndmask_b32_e64 v2, 0, 1.0, s[30:31]
	v_cvt_f16_f32_e32 v2, v2
	global_store_dword v[0:1], v2, off
.LBB363_726:
	s_mov_b64 s[36:37], 0
.LBB363_727:
	s_andn2_b64 vcc, exec, s[36:37]
	s_cbranch_vccnz .LBB363_736
; %bb.728:
	s_cmp_lt_i32 s38, 6
	s_mov_b64 s[36:37], -1
	s_cbranch_scc1 .LBB363_734
; %bb.729:
	s_cmp_gt_i32 s38, 6
	s_cbranch_scc0 .LBB363_731
; %bb.730:
	v_cndmask_b32_e64 v2, 0, 1, s[30:31]
	v_cvt_f64_u32_e32 v[2:3], v2
	s_mov_b64 s[36:37], 0
	global_store_dwordx2 v[0:1], v[2:3], off
.LBB363_731:
	s_andn2_b64 vcc, exec, s[36:37]
	s_cbranch_vccnz .LBB363_733
; %bb.732:
	v_cndmask_b32_e64 v2, 0, 1.0, s[30:31]
	global_store_dword v[0:1], v2, off
.LBB363_733:
	s_mov_b64 s[36:37], 0
.LBB363_734:
	s_andn2_b64 vcc, exec, s[36:37]
	s_cbranch_vccnz .LBB363_736
; %bb.735:
	v_cndmask_b32_e64 v2, 0, 1.0, s[30:31]
	v_cvt_f16_f32_e32 v2, v2
	global_store_short v[0:1], v2, off
.LBB363_736:
	s_mov_b64 s[36:37], 0
.LBB363_737:
	s_andn2_b64 vcc, exec, s[36:37]
	s_cbranch_vccnz .LBB363_753
; %bb.738:
	s_cmp_lt_i32 s38, 2
	s_mov_b64 s[36:37], -1
	s_cbranch_scc1 .LBB363_748
; %bb.739:
	s_cmp_lt_i32 s38, 3
	s_cbranch_scc1 .LBB363_745
; %bb.740:
	s_cmp_gt_i32 s38, 3
	s_cbranch_scc0 .LBB363_742
; %bb.741:
	s_mov_b32 s36, 0
	v_cndmask_b32_e64 v2, 0, 1, s[30:31]
	v_mov_b32_e32 v3, s36
	s_mov_b64 s[36:37], 0
	global_store_dwordx2 v[0:1], v[2:3], off
.LBB363_742:
	s_andn2_b64 vcc, exec, s[36:37]
	s_cbranch_vccnz .LBB363_744
; %bb.743:
	v_cndmask_b32_e64 v2, 0, 1, s[30:31]
	global_store_dword v[0:1], v2, off
.LBB363_744:
	s_mov_b64 s[36:37], 0
.LBB363_745:
	s_andn2_b64 vcc, exec, s[36:37]
	s_cbranch_vccnz .LBB363_747
; %bb.746:
	v_cndmask_b32_e64 v2, 0, 1, s[30:31]
	global_store_short v[0:1], v2, off
.LBB363_747:
	s_mov_b64 s[36:37], 0
.LBB363_748:
	s_andn2_b64 vcc, exec, s[36:37]
	s_cbranch_vccnz .LBB363_753
; %bb.749:
	s_mov_b64 s[36:37], -1
	s_cmp_gt_i32 s38, 0
	v_cndmask_b32_e64 v2, 0, 1, s[30:31]
	s_cbranch_scc0 .LBB363_751
; %bb.750:
	s_mov_b64 s[36:37], 0
	global_store_byte v[0:1], v2, off
.LBB363_751:
	s_andn2_b64 vcc, exec, s[36:37]
	s_cbranch_vccnz .LBB363_753
; %bb.752:
	global_store_byte v[0:1], v2, off
.LBB363_753:
	s_mov_b64 s[36:37], -1
.LBB363_754:
	s_andn2_b64 vcc, exec, s[36:37]
	s_cbranch_vccnz .LBB363_767
; %bb.755:
	v_add_u32_e32 v18, 0x80, v18
	s_mov_b64 s[36:37], -1
.LBB363_756:
	s_andn2_b64 s[30:31], s[18:19], exec
	s_and_b64 s[0:1], s[0:1], exec
	s_or_b64 s[30:31], s[30:31], s[0:1]
	s_andn2_b64 s[0:1], s[20:21], exec
	s_and_b64 s[28:29], s[28:29], exec
	s_or_b64 s[28:29], s[0:1], s[28:29]
	s_andn2_b64 s[0:1], s[22:23], exec
	s_and_b64 s[26:27], s[26:27], exec
	s_or_b64 s[26:27], s[0:1], s[26:27]
	s_orn2_b64 s[0:1], s[36:37], exec
.LBB363_757:
	s_or_b64 exec, exec, s[34:35]
	s_mov_b64 s[36:37], 0
	s_mov_b64 s[38:39], 0
	;; [unrolled: 1-line block ×3, first 2 shown]
                                        ; implicit-def: $sgpr58
                                        ; implicit-def: $vgpr2_vgpr3
                                        ; implicit-def: $vgpr0_vgpr1
	s_and_saveexec_b64 s[34:35], s[0:1]
	s_cbranch_execz .LBB363_1219
; %bb.758:
	v_cmp_gt_i32_e32 vcc, s50, v18
	s_mov_b64 s[48:49], -1
	s_mov_b64 s[0:1], s[26:27]
	s_mov_b64 s[40:41], s[28:29]
	;; [unrolled: 1-line block ×3, first 2 shown]
	s_and_saveexec_b64 s[36:37], vcc
	s_cbranch_execz .LBB363_1138
; %bb.759:
	s_waitcnt vmcnt(0)
	v_mul_lo_u32 v0, v18, s13
	v_mov_b32_e32 v1, s11
	s_and_b32 s42, s57, 0xff
	s_cmp_lt_i32 s42, 11
	v_ashrrev_i32_e32 v3, 31, v0
	v_add_co_u32_e32 v2, vcc, s10, v0
	v_addc_co_u32_e32 v3, vcc, v1, v3, vcc
	s_cbranch_scc1 .LBB363_766
; %bb.760:
	s_and_b32 s43, 0xffff, s42
	s_cmp_gt_i32 s43, 25
	s_cbranch_scc0 .LBB363_768
; %bb.761:
	s_cmp_gt_i32 s43, 28
	s_cbranch_scc0 .LBB363_769
; %bb.762:
	;; [unrolled: 3-line block ×4, first 2 shown]
	s_cmp_eq_u32 s43, 46
	s_mov_b64 s[40:41], 0
	s_cbranch_scc0 .LBB363_774
; %bb.765:
	global_load_dword v0, v[2:3], off
	s_mov_b64 s[0:1], -1
	s_waitcnt vmcnt(0)
	v_lshlrev_b32_e32 v0, 16, v0
	v_trunc_f32_e32 v0, v0
	v_mul_f32_e32 v1, 0x2f800000, v0
	v_floor_f32_e32 v1, v1
	v_fmac_f32_e32 v0, 0xcf800000, v1
	v_cvt_u32_f32_e32 v0, v0
	v_cvt_u32_f32_e32 v1, v1
	s_branch .LBB363_775
.LBB363_766:
	s_mov_b64 s[40:41], -1
	s_mov_b64 s[0:1], 0
                                        ; implicit-def: $vgpr0_vgpr1
	s_mov_b64 s[38:39], s[26:27]
	s_branch .LBB363_836
.LBB363_767:
	s_mov_b64 s[36:37], 0
	s_branch .LBB363_518
.LBB363_768:
	s_mov_b64 s[40:41], -1
	s_mov_b64 s[0:1], 0
	s_mov_b64 s[38:39], s[26:27]
                                        ; implicit-def: $vgpr0_vgpr1
	s_branch .LBB363_804
.LBB363_769:
	s_mov_b64 s[40:41], -1
	s_mov_b64 s[0:1], 0
	s_mov_b64 s[38:39], s[26:27]
                                        ; implicit-def: $vgpr0_vgpr1
	s_branch .LBB363_785
.LBB363_770:
	s_mov_b64 s[40:41], -1
	s_mov_b64 s[0:1], 0
	s_mov_b64 s[38:39], s[26:27]
                                        ; implicit-def: $vgpr0_vgpr1
	s_branch .LBB363_780
.LBB363_771:
	s_mov_b64 s[40:41], -1
	s_mov_b64 s[0:1], 0
	s_mov_b64 s[38:39], s[26:27]
                                        ; implicit-def: $vgpr0_vgpr1
	s_branch .LBB363_775
.LBB363_772:
	s_andn2_saveexec_b64 s[40:41], s[40:41]
	s_cbranch_execz .LBB363_667
.LBB363_773:
	v_add_f32_e32 v2, 0x46000000, v3
	v_and_b32_e32 v2, 0xff, v2
	v_cmp_ne_u32_e32 vcc, 0, v2
	s_andn2_b64 s[38:39], s[38:39], exec
	s_and_b64 s[44:45], vcc, exec
	s_or_b64 s[38:39], s[38:39], s[44:45]
	s_or_b64 exec, exec, s[40:41]
	v_mov_b32_e32 v4, 0
	s_and_saveexec_b64 s[40:41], s[38:39]
	s_cbranch_execnz .LBB363_668
	s_branch .LBB363_669
.LBB363_774:
	s_mov_b64 s[38:39], -1
                                        ; implicit-def: $vgpr0_vgpr1
	s_mov_b64 s[0:1], 0
.LBB363_775:
	s_and_b64 vcc, exec, s[40:41]
	s_cbranch_vccz .LBB363_779
; %bb.776:
	s_cmp_eq_u32 s43, 44
	s_cbranch_scc0 .LBB363_778
; %bb.777:
	global_load_ubyte v0, v[2:3], off
	s_mov_b64 s[0:1], -1
	s_mov_b64 s[38:39], 0
	s_waitcnt vmcnt(0)
	v_lshlrev_b32_e32 v1, 23, v0
	v_trunc_f32_e32 v1, v1
	v_mul_f32_e32 v4, 0x2f800000, v1
	v_floor_f32_e32 v4, v4
	v_fmac_f32_e32 v1, 0xcf800000, v4
	v_cvt_u32_f32_e32 v4, v4
	v_cvt_u32_f32_e32 v5, v1
	v_cmp_ne_u32_e32 vcc, 0, v0
	v_cndmask_b32_e32 v1, 0, v4, vcc
	v_cndmask_b32_e32 v0, 0, v5, vcc
	s_branch .LBB363_779
.LBB363_778:
	s_mov_b64 s[38:39], -1
                                        ; implicit-def: $vgpr0_vgpr1
.LBB363_779:
	s_mov_b64 s[40:41], 0
.LBB363_780:
	s_and_b64 vcc, exec, s[40:41]
	s_cbranch_vccz .LBB363_784
; %bb.781:
	s_cmp_eq_u32 s43, 29
	s_cbranch_scc0 .LBB363_783
; %bb.782:
	global_load_dwordx2 v[0:1], v[2:3], off
	s_mov_b64 s[0:1], -1
	s_mov_b64 s[38:39], 0
	s_branch .LBB363_784
.LBB363_783:
	s_mov_b64 s[38:39], -1
                                        ; implicit-def: $vgpr0_vgpr1
.LBB363_784:
	s_mov_b64 s[40:41], 0
.LBB363_785:
	s_and_b64 vcc, exec, s[40:41]
	s_cbranch_vccz .LBB363_803
; %bb.786:
	s_cmp_lt_i32 s43, 27
	s_cbranch_scc1 .LBB363_789
; %bb.787:
	s_cmp_gt_i32 s43, 27
	s_cbranch_scc0 .LBB363_790
; %bb.788:
	global_load_dword v0, v[2:3], off
	s_waitcnt vmcnt(1)
	v_mov_b32_e32 v1, 0
	s_mov_b64 s[0:1], 0
	s_branch .LBB363_791
.LBB363_789:
	s_mov_b64 s[0:1], -1
                                        ; implicit-def: $vgpr0_vgpr1
	s_branch .LBB363_794
.LBB363_790:
	s_mov_b64 s[0:1], -1
                                        ; implicit-def: $vgpr0_vgpr1
.LBB363_791:
	s_andn2_b64 vcc, exec, s[0:1]
	s_cbranch_vccnz .LBB363_793
; %bb.792:
	global_load_ushort v0, v[2:3], off
	s_mov_b32 s0, 0
	s_waitcnt vmcnt(1)
	v_mov_b32_e32 v1, s0
	s_waitcnt vmcnt(0)
	v_and_b32_e32 v0, 0xffff, v0
.LBB363_793:
	s_mov_b64 s[0:1], 0
.LBB363_794:
	s_andn2_b64 vcc, exec, s[0:1]
	s_cbranch_vccnz .LBB363_802
; %bb.795:
	global_load_ubyte v4, v[2:3], off
	s_movk_i32 s0, 0x7f
	s_mov_b64 s[40:41], 0
	s_waitcnt vmcnt(0)
	v_cmp_lt_i16_e32 vcc, s0, v4
	s_and_saveexec_b64 s[0:1], vcc
	s_xor_b64 s[0:1], exec, s[0:1]
; %bb.796:
	s_movk_i32 s40, 0x80
	v_cmp_ne_u16_e32 vcc, s40, v4
	s_and_b64 s[40:41], vcc, exec
; %bb.797:
	s_andn2_saveexec_b64 s[0:1], s[0:1]
; %bb.798:
	v_cmp_ne_u16_e32 vcc, 0, v4
	s_andn2_b64 s[40:41], s[40:41], exec
	s_and_b64 s[44:45], vcc, exec
	s_or_b64 s[40:41], s[40:41], s[44:45]
; %bb.799:
	s_or_b64 exec, exec, s[0:1]
	v_mov_b32_e32 v0, 0
	v_mov_b32_e32 v1, 0
	s_and_saveexec_b64 s[0:1], s[40:41]
	s_cbranch_execz .LBB363_801
; %bb.800:
	v_and_b32_e32 v1, 0xffff, v4
	v_lshlrev_b32_e32 v0, 24, v4
	v_and_b32_e32 v4, 7, v1
	v_ffbh_u32_e32 v6, v4
	v_min_u32_e32 v6, 32, v6
	v_subrev_u32_e32 v7, 28, v6
	v_bfe_u32 v5, v1, 3, 4
	v_lshlrev_b32_e32 v1, v7, v1
	v_sub_u32_e32 v6, 29, v6
	v_and_b32_e32 v1, 7, v1
	v_cmp_eq_u32_e32 vcc, 0, v5
	v_cndmask_b32_e32 v5, v5, v6, vcc
	v_cndmask_b32_e32 v1, v4, v1, vcc
	v_mov_b32_e32 v4, 0x3b800000
	v_lshlrev_b32_e32 v1, 20, v1
	v_and_b32_e32 v0, 0x80000000, v0
	v_lshl_add_u32 v4, v5, 23, v4
	v_or3_b32 v0, v0, v4, v1
	v_trunc_f32_e32 v0, v0
	v_mul_f32_e32 v1, 0x2f800000, v0
	v_floor_f32_e32 v1, v1
	v_fmac_f32_e32 v0, 0xcf800000, v1
	v_cvt_u32_f32_e32 v0, v0
	v_cvt_u32_f32_e32 v1, v1
.LBB363_801:
	s_or_b64 exec, exec, s[0:1]
.LBB363_802:
	s_mov_b64 s[0:1], -1
.LBB363_803:
	s_mov_b64 s[40:41], 0
.LBB363_804:
	s_and_b64 vcc, exec, s[40:41]
	s_cbranch_vccz .LBB363_835
; %bb.805:
	s_cmp_gt_i32 s43, 22
	s_cbranch_scc0 .LBB363_815
; %bb.806:
	s_cmp_lt_i32 s43, 24
	s_cbranch_scc1 .LBB363_816
; %bb.807:
	s_cmp_gt_i32 s43, 24
	s_cbranch_scc0 .LBB363_817
; %bb.808:
	global_load_ubyte v4, v[2:3], off
	s_movk_i32 s0, 0x7f
	s_mov_b64 s[40:41], 0
	s_waitcnt vmcnt(0)
	v_cmp_lt_i16_e32 vcc, s0, v4
	s_and_saveexec_b64 s[0:1], vcc
	s_xor_b64 s[0:1], exec, s[0:1]
; %bb.809:
	s_movk_i32 s40, 0x80
	v_cmp_ne_u16_e32 vcc, s40, v4
	s_and_b64 s[40:41], vcc, exec
; %bb.810:
	s_andn2_saveexec_b64 s[0:1], s[0:1]
; %bb.811:
	v_cmp_ne_u16_e32 vcc, 0, v4
	s_andn2_b64 s[40:41], s[40:41], exec
	s_and_b64 s[44:45], vcc, exec
	s_or_b64 s[40:41], s[40:41], s[44:45]
; %bb.812:
	s_or_b64 exec, exec, s[0:1]
	v_mov_b32_e32 v0, 0
	v_mov_b32_e32 v1, 0
	s_and_saveexec_b64 s[0:1], s[40:41]
	s_cbranch_execz .LBB363_814
; %bb.813:
	v_and_b32_e32 v1, 0xffff, v4
	v_lshlrev_b32_e32 v0, 24, v4
	v_and_b32_e32 v4, 3, v1
	v_ffbh_u32_e32 v6, v4
	v_min_u32_e32 v6, 32, v6
	v_subrev_u32_e32 v7, 29, v6
	v_bfe_u32 v5, v1, 2, 5
	v_lshlrev_b32_e32 v1, v7, v1
	v_sub_u32_e32 v6, 30, v6
	v_and_b32_e32 v1, 3, v1
	v_cmp_eq_u32_e32 vcc, 0, v5
	v_cndmask_b32_e32 v5, v5, v6, vcc
	v_cndmask_b32_e32 v1, v4, v1, vcc
	v_mov_b32_e32 v4, 0x37800000
	v_lshlrev_b32_e32 v1, 21, v1
	v_and_b32_e32 v0, 0x80000000, v0
	v_lshl_add_u32 v4, v5, 23, v4
	v_or3_b32 v0, v0, v4, v1
	v_trunc_f32_e32 v0, v0
	v_mul_f32_e32 v1, 0x2f800000, v0
	v_floor_f32_e32 v1, v1
	v_fmac_f32_e32 v0, 0xcf800000, v1
	v_cvt_u32_f32_e32 v0, v0
	v_cvt_u32_f32_e32 v1, v1
.LBB363_814:
	s_or_b64 exec, exec, s[0:1]
	s_mov_b64 s[0:1], 0
	s_branch .LBB363_818
.LBB363_815:
	s_mov_b64 s[40:41], -1
                                        ; implicit-def: $vgpr0_vgpr1
	s_branch .LBB363_824
.LBB363_816:
	s_mov_b64 s[0:1], -1
                                        ; implicit-def: $vgpr0_vgpr1
	s_branch .LBB363_821
.LBB363_817:
	s_mov_b64 s[0:1], -1
                                        ; implicit-def: $vgpr0_vgpr1
.LBB363_818:
	s_and_b64 vcc, exec, s[0:1]
	s_cbranch_vccz .LBB363_820
; %bb.819:
	global_load_ubyte v0, v[2:3], off
	s_mov_b32 s0, 0x7f800000
	s_brev_b32 s1, 1
	s_waitcnt vmcnt(0)
	v_lshlrev_b32_e32 v0, 24, v0
	v_and_b32_e32 v1, 0x7f000000, v0
	v_ffbh_u32_e32 v4, v1
	v_min_u32_e32 v4, 32, v4
	v_sub_u32_e64 v4, v4, 4 clamp
	v_lshlrev_b32_e32 v6, v4, v1
	v_lshlrev_b32_e32 v4, 23, v4
	v_lshrrev_b32_e32 v6, 4, v6
	v_add_u32_e32 v5, 0x1000000, v1
	v_sub_u32_e32 v4, v6, v4
	v_ashrrev_i32_e32 v5, 8, v5
	v_add_u32_e32 v4, 0x3c000000, v4
	v_and_or_b32 v4, v5, s0, v4
	v_cmp_ne_u32_e32 vcc, 0, v1
	v_cndmask_b32_e32 v1, 0, v4, vcc
	v_and_or_b32 v0, v0, s1, v1
	v_trunc_f32_e32 v0, v0
	v_mul_f32_e32 v1, 0x2f800000, v0
	v_floor_f32_e32 v1, v1
	v_fmac_f32_e32 v0, 0xcf800000, v1
	v_cvt_u32_f32_e32 v0, v0
	v_cvt_u32_f32_e32 v1, v1
.LBB363_820:
	s_mov_b64 s[0:1], 0
.LBB363_821:
	s_andn2_b64 vcc, exec, s[0:1]
	s_cbranch_vccnz .LBB363_823
; %bb.822:
	global_load_ubyte v0, v[2:3], off
	s_movk_i32 s0, 0x7f00
	s_brev_b32 s1, 16
	s_brev_b32 s40, 1
	s_waitcnt vmcnt(0)
	v_lshlrev_b16_e32 v1, 8, v0
	v_lshlrev_b32_e32 v0, 25, v0
	v_lshrrev_b32_e32 v4, 4, v0
	v_and_or_b32 v5, v1, s0, 0.5
	v_or_b32_e32 v4, 0x70000000, v4
	v_add_f32_e32 v5, -0.5, v5
	v_mul_f32_e32 v4, 0x7800000, v4
	v_cmp_gt_u32_e32 vcc, s1, v0
	v_bfe_i32 v1, v1, 0, 16
	v_cndmask_b32_e32 v0, v4, v5, vcc
	v_and_or_b32 v0, v1, s40, v0
	v_trunc_f32_e32 v0, v0
	v_mul_f32_e32 v1, 0x2f800000, v0
	v_floor_f32_e32 v1, v1
	v_fmac_f32_e32 v0, 0xcf800000, v1
	v_cvt_u32_f32_e32 v0, v0
	v_cvt_u32_f32_e32 v1, v1
.LBB363_823:
	s_mov_b64 s[40:41], 0
	s_mov_b64 s[0:1], -1
.LBB363_824:
	s_andn2_b64 vcc, exec, s[40:41]
	s_cbranch_vccnz .LBB363_835
; %bb.825:
	s_cmp_gt_i32 s43, 14
	s_cbranch_scc0 .LBB363_828
; %bb.826:
	s_cmp_eq_u32 s43, 15
	s_cbranch_scc0 .LBB363_829
; %bb.827:
	global_load_ushort v0, v[2:3], off
	s_mov_b64 s[0:1], -1
	s_mov_b64 s[38:39], 0
	s_waitcnt vmcnt(0)
	v_lshlrev_b32_e32 v0, 16, v0
	v_trunc_f32_e32 v0, v0
	v_mul_f32_e32 v1, 0x2f800000, v0
	v_floor_f32_e32 v1, v1
	v_fmac_f32_e32 v0, 0xcf800000, v1
	v_cvt_u32_f32_e32 v0, v0
	v_cvt_u32_f32_e32 v1, v1
	s_branch .LBB363_830
.LBB363_828:
	s_mov_b64 s[40:41], -1
                                        ; implicit-def: $vgpr0_vgpr1
	s_branch .LBB363_831
.LBB363_829:
	s_mov_b64 s[38:39], -1
                                        ; implicit-def: $vgpr0_vgpr1
.LBB363_830:
	s_mov_b64 s[40:41], 0
.LBB363_831:
	s_and_b64 vcc, exec, s[40:41]
	s_cbranch_vccz .LBB363_835
; %bb.832:
	s_cmp_eq_u32 s43, 11
	s_cbranch_scc0 .LBB363_834
; %bb.833:
	global_load_ubyte v0, v[2:3], off
	s_mov_b32 s38, 0
	s_mov_b64 s[0:1], -1
	s_waitcnt vmcnt(1)
	v_mov_b32_e32 v1, s38
	s_mov_b64 s[38:39], 0
	s_waitcnt vmcnt(0)
	v_cmp_ne_u16_e32 vcc, 0, v0
	v_cndmask_b32_e64 v0, 0, 1, vcc
	s_branch .LBB363_835
.LBB363_834:
	s_mov_b64 s[38:39], -1
                                        ; implicit-def: $vgpr0_vgpr1
.LBB363_835:
	s_mov_b64 s[40:41], 0
.LBB363_836:
	s_and_b64 vcc, exec, s[40:41]
	s_cbranch_vccz .LBB363_885
; %bb.837:
	s_and_b32 s40, 0xffff, s42
	s_cmp_lt_i32 s40, 5
	s_cbranch_scc1 .LBB363_842
; %bb.838:
	s_cmp_lt_i32 s40, 8
	s_cbranch_scc1 .LBB363_843
; %bb.839:
	;; [unrolled: 3-line block ×3, first 2 shown]
	s_cmp_gt_i32 s40, 9
	s_cbranch_scc0 .LBB363_845
; %bb.841:
	global_load_dwordx2 v[0:1], v[2:3], off
	s_movk_i32 s0, 0xffe0
	s_waitcnt vmcnt(0)
	v_trunc_f64_e32 v[0:1], v[0:1]
	v_ldexp_f64 v[4:5], v[0:1], s0
	s_mov_b32 s0, 0
	s_mov_b32 s1, 0xc1f00000
	v_floor_f64_e32 v[4:5], v[4:5]
	v_fma_f64 v[6:7], v[4:5], s[0:1], v[0:1]
	v_cvt_u32_f64_e32 v1, v[4:5]
	s_mov_b64 s[0:1], 0
	v_cvt_u32_f64_e32 v0, v[6:7]
	s_branch .LBB363_846
.LBB363_842:
	s_mov_b64 s[0:1], -1
                                        ; implicit-def: $vgpr0_vgpr1
	s_branch .LBB363_864
.LBB363_843:
	s_mov_b64 s[0:1], -1
                                        ; implicit-def: $vgpr0_vgpr1
	s_branch .LBB363_852
.LBB363_844:
	s_mov_b64 s[0:1], -1
                                        ; implicit-def: $vgpr0_vgpr1
	s_branch .LBB363_849
.LBB363_845:
	s_mov_b64 s[0:1], -1
                                        ; implicit-def: $vgpr0_vgpr1
.LBB363_846:
	s_andn2_b64 vcc, exec, s[0:1]
	s_cbranch_vccnz .LBB363_848
; %bb.847:
	global_load_dword v0, v[2:3], off
	s_waitcnt vmcnt(0)
	v_trunc_f32_e32 v0, v0
	v_mul_f32_e32 v1, 0x2f800000, v0
	v_floor_f32_e32 v4, v1
	v_fmac_f32_e32 v0, 0xcf800000, v4
	v_cvt_u32_f32_e32 v1, v4
	v_cvt_u32_f32_e32 v0, v0
.LBB363_848:
	s_mov_b64 s[0:1], 0
.LBB363_849:
	s_andn2_b64 vcc, exec, s[0:1]
	s_cbranch_vccnz .LBB363_851
; %bb.850:
	global_load_dword v0, v[2:3], off
	s_waitcnt vmcnt(1)
	v_mov_b32_e32 v1, 0
	s_waitcnt vmcnt(0)
	v_cvt_f32_f16_e32 v0, v0
	v_cvt_u32_f32_e32 v0, v0
.LBB363_851:
	s_mov_b64 s[0:1], 0
.LBB363_852:
	s_andn2_b64 vcc, exec, s[0:1]
	s_cbranch_vccnz .LBB363_863
; %bb.853:
	s_cmp_lt_i32 s40, 6
	s_cbranch_scc1 .LBB363_856
; %bb.854:
	s_cmp_gt_i32 s40, 6
	s_cbranch_scc0 .LBB363_857
; %bb.855:
	global_load_dwordx2 v[0:1], v[2:3], off
	s_movk_i32 s0, 0xffe0
	s_waitcnt vmcnt(0)
	v_trunc_f64_e32 v[0:1], v[0:1]
	v_ldexp_f64 v[4:5], v[0:1], s0
	s_mov_b32 s0, 0
	s_mov_b32 s1, 0xc1f00000
	v_floor_f64_e32 v[4:5], v[4:5]
	v_fma_f64 v[6:7], v[4:5], s[0:1], v[0:1]
	v_cvt_u32_f64_e32 v1, v[4:5]
	s_mov_b64 s[0:1], 0
	v_cvt_u32_f64_e32 v0, v[6:7]
	s_branch .LBB363_858
.LBB363_856:
	s_mov_b64 s[0:1], -1
                                        ; implicit-def: $vgpr0_vgpr1
	s_branch .LBB363_861
.LBB363_857:
	s_mov_b64 s[0:1], -1
                                        ; implicit-def: $vgpr0_vgpr1
.LBB363_858:
	s_andn2_b64 vcc, exec, s[0:1]
	s_cbranch_vccnz .LBB363_860
; %bb.859:
	global_load_dword v0, v[2:3], off
	s_waitcnt vmcnt(0)
	v_trunc_f32_e32 v0, v0
	v_mul_f32_e32 v1, 0x2f800000, v0
	v_floor_f32_e32 v4, v1
	v_fmac_f32_e32 v0, 0xcf800000, v4
	v_cvt_u32_f32_e32 v1, v4
	v_cvt_u32_f32_e32 v0, v0
.LBB363_860:
	s_mov_b64 s[0:1], 0
.LBB363_861:
	s_andn2_b64 vcc, exec, s[0:1]
	s_cbranch_vccnz .LBB363_863
; %bb.862:
	global_load_ushort v0, v[2:3], off
	s_waitcnt vmcnt(1)
	v_mov_b32_e32 v1, 0
	s_waitcnt vmcnt(0)
	v_cvt_f32_f16_e32 v0, v0
	v_cvt_u32_f32_e32 v0, v0
.LBB363_863:
	s_mov_b64 s[0:1], 0
.LBB363_864:
	s_andn2_b64 vcc, exec, s[0:1]
	s_cbranch_vccnz .LBB363_884
; %bb.865:
	s_cmp_lt_i32 s40, 2
	s_cbranch_scc1 .LBB363_869
; %bb.866:
	s_cmp_lt_i32 s40, 3
	s_cbranch_scc1 .LBB363_870
; %bb.867:
	s_cmp_gt_i32 s40, 3
	s_cbranch_scc0 .LBB363_871
; %bb.868:
	global_load_dwordx2 v[0:1], v[2:3], off
	s_mov_b64 s[0:1], 0
	s_branch .LBB363_872
.LBB363_869:
	s_mov_b64 s[0:1], -1
                                        ; implicit-def: $vgpr0_vgpr1
	s_branch .LBB363_878
.LBB363_870:
	s_mov_b64 s[0:1], -1
                                        ; implicit-def: $vgpr0_vgpr1
	s_branch .LBB363_875
.LBB363_871:
	s_mov_b64 s[0:1], -1
                                        ; implicit-def: $vgpr0_vgpr1
.LBB363_872:
	s_andn2_b64 vcc, exec, s[0:1]
	s_cbranch_vccnz .LBB363_874
; %bb.873:
	global_load_dword v0, v[2:3], off
	s_waitcnt vmcnt(0)
	v_ashrrev_i32_e32 v1, 31, v0
.LBB363_874:
	s_mov_b64 s[0:1], 0
.LBB363_875:
	s_andn2_b64 vcc, exec, s[0:1]
	s_cbranch_vccnz .LBB363_877
; %bb.876:
	global_load_ushort v0, v[2:3], off
	s_waitcnt vmcnt(0)
	v_bfe_i32 v0, v0, 0, 16
	v_ashrrev_i32_e32 v1, 31, v0
.LBB363_877:
	s_mov_b64 s[0:1], 0
.LBB363_878:
	s_andn2_b64 vcc, exec, s[0:1]
	s_cbranch_vccnz .LBB363_884
; %bb.879:
	s_cmp_gt_i32 s40, 0
	s_cbranch_scc0 .LBB363_881
; %bb.880:
	global_load_sbyte v0, v[2:3], off
	s_mov_b64 s[0:1], 0
	s_waitcnt vmcnt(0)
	v_bfe_i32 v0, v0, 0, 16
	v_ashrrev_i32_e32 v1, 31, v0
	s_branch .LBB363_882
.LBB363_881:
	s_mov_b64 s[0:1], -1
                                        ; implicit-def: $vgpr0_vgpr1
.LBB363_882:
	s_andn2_b64 vcc, exec, s[0:1]
	s_cbranch_vccnz .LBB363_884
; %bb.883:
	global_load_ubyte v0, v[2:3], off
	s_mov_b32 s0, 0
	s_waitcnt vmcnt(1)
	v_mov_b32_e32 v1, s0
	s_waitcnt vmcnt(0)
	v_and_b32_e32 v0, 0xffff, v0
.LBB363_884:
	s_mov_b64 s[0:1], -1
.LBB363_885:
	s_andn2_b64 vcc, exec, s[0:1]
	s_cbranch_vccnz .LBB363_893
; %bb.886:
	v_mul_lo_u32 v2, v18, s14
	v_mov_b32_e32 v3, s3
	s_and_b32 s44, s56, 0xff
	s_cmp_lt_i32 s44, 11
	v_ashrrev_i32_e32 v4, 31, v2
	v_add_co_u32_e32 v2, vcc, s2, v2
	v_addc_co_u32_e32 v3, vcc, v3, v4, vcc
	s_cbranch_scc1 .LBB363_895
; %bb.887:
	s_and_b32 s45, 0xffff, s44
	s_cmp_gt_i32 s45, 25
	s_cbranch_scc0 .LBB363_896
; %bb.888:
	s_cmp_gt_i32 s45, 28
	s_cbranch_scc0 .LBB363_897
; %bb.889:
	;; [unrolled: 3-line block ×4, first 2 shown]
	s_cmp_eq_u32 s45, 46
	s_mov_b64 s[42:43], 0
	s_cbranch_scc0 .LBB363_902
; %bb.892:
	global_load_dword v4, v[2:3], off
	s_mov_b64 s[0:1], -1
	s_mov_b64 s[40:41], 0
	s_waitcnt vmcnt(0)
	v_lshlrev_b32_e32 v4, 16, v4
	v_trunc_f32_e32 v4, v4
	v_mul_f32_e32 v5, 0x2f800000, v4
	v_floor_f32_e32 v5, v5
	v_fmac_f32_e32 v4, 0xcf800000, v5
	v_cvt_u32_f32_e32 v4, v4
	v_cvt_u32_f32_e32 v5, v5
	s_branch .LBB363_903
.LBB363_893:
	s_mov_b64 s[44:45], 0
	s_mov_b64 s[0:1], s[30:31]
	;; [unrolled: 1-line block ×3, first 2 shown]
.LBB363_894:
                                        ; implicit-def: $vgpr18
	s_branch .LBB363_1137
.LBB363_895:
	s_mov_b64 s[42:43], -1
	s_mov_b64 s[0:1], 0
                                        ; implicit-def: $vgpr4_vgpr5
	s_mov_b64 s[40:41], s[28:29]
	s_branch .LBB363_964
.LBB363_896:
	s_mov_b64 s[42:43], -1
	s_mov_b64 s[0:1], 0
	s_mov_b64 s[40:41], s[28:29]
                                        ; implicit-def: $vgpr4_vgpr5
	s_branch .LBB363_932
.LBB363_897:
	s_mov_b64 s[42:43], -1
	s_mov_b64 s[0:1], 0
	s_mov_b64 s[40:41], s[28:29]
                                        ; implicit-def: $vgpr4_vgpr5
	s_branch .LBB363_913
.LBB363_898:
	s_mov_b64 s[42:43], -1
	s_mov_b64 s[0:1], 0
	s_mov_b64 s[40:41], s[28:29]
                                        ; implicit-def: $vgpr4_vgpr5
	s_branch .LBB363_908
.LBB363_899:
	s_mov_b64 s[42:43], -1
	s_mov_b64 s[0:1], 0
	s_mov_b64 s[40:41], s[28:29]
                                        ; implicit-def: $vgpr4_vgpr5
	s_branch .LBB363_903
.LBB363_900:
	s_andn2_saveexec_b64 s[40:41], s[40:41]
	s_cbranch_execz .LBB363_680
.LBB363_901:
	v_add_f32_e32 v2, 0x42800000, v3
	v_and_b32_e32 v2, 0xff, v2
	v_cmp_ne_u32_e32 vcc, 0, v2
	s_andn2_b64 s[38:39], s[38:39], exec
	s_and_b64 s[44:45], vcc, exec
	s_or_b64 s[38:39], s[38:39], s[44:45]
	s_or_b64 exec, exec, s[40:41]
	v_mov_b32_e32 v4, 0
	s_and_saveexec_b64 s[40:41], s[38:39]
	s_cbranch_execnz .LBB363_681
	s_branch .LBB363_682
.LBB363_902:
	s_mov_b64 s[40:41], -1
                                        ; implicit-def: $vgpr4_vgpr5
	s_mov_b64 s[0:1], 0
.LBB363_903:
	s_and_b64 vcc, exec, s[42:43]
	s_cbranch_vccz .LBB363_907
; %bb.904:
	s_cmp_eq_u32 s45, 44
	s_cbranch_scc0 .LBB363_906
; %bb.905:
	global_load_ubyte v4, v[2:3], off
	s_mov_b64 s[0:1], -1
	s_mov_b64 s[40:41], 0
	s_waitcnt vmcnt(0)
	v_lshlrev_b32_e32 v5, 23, v4
	v_trunc_f32_e32 v5, v5
	v_mul_f32_e32 v6, 0x2f800000, v5
	v_floor_f32_e32 v6, v6
	v_fmac_f32_e32 v5, 0xcf800000, v6
	v_cvt_u32_f32_e32 v6, v6
	v_cvt_u32_f32_e32 v7, v5
	v_cmp_ne_u32_e32 vcc, 0, v4
	v_cndmask_b32_e32 v5, 0, v6, vcc
	v_cndmask_b32_e32 v4, 0, v7, vcc
	s_branch .LBB363_907
.LBB363_906:
	s_mov_b64 s[40:41], -1
                                        ; implicit-def: $vgpr4_vgpr5
.LBB363_907:
	s_mov_b64 s[42:43], 0
.LBB363_908:
	s_and_b64 vcc, exec, s[42:43]
	s_cbranch_vccz .LBB363_912
; %bb.909:
	s_cmp_eq_u32 s45, 29
	s_cbranch_scc0 .LBB363_911
; %bb.910:
	global_load_dwordx2 v[4:5], v[2:3], off
	s_mov_b64 s[0:1], -1
	s_mov_b64 s[40:41], 0
	s_branch .LBB363_912
.LBB363_911:
	s_mov_b64 s[40:41], -1
                                        ; implicit-def: $vgpr4_vgpr5
.LBB363_912:
	s_mov_b64 s[42:43], 0
.LBB363_913:
	s_and_b64 vcc, exec, s[42:43]
	s_cbranch_vccz .LBB363_931
; %bb.914:
	s_cmp_lt_i32 s45, 27
	s_cbranch_scc1 .LBB363_917
; %bb.915:
	s_cmp_gt_i32 s45, 27
	s_cbranch_scc0 .LBB363_918
; %bb.916:
	global_load_dword v4, v[2:3], off
	s_waitcnt vmcnt(1)
	v_mov_b32_e32 v5, 0
	s_mov_b64 s[0:1], 0
	s_branch .LBB363_919
.LBB363_917:
	s_mov_b64 s[0:1], -1
                                        ; implicit-def: $vgpr4_vgpr5
	s_branch .LBB363_922
.LBB363_918:
	s_mov_b64 s[0:1], -1
                                        ; implicit-def: $vgpr4_vgpr5
.LBB363_919:
	s_andn2_b64 vcc, exec, s[0:1]
	s_cbranch_vccnz .LBB363_921
; %bb.920:
	global_load_ushort v4, v[2:3], off
	s_mov_b32 s0, 0
	s_waitcnt vmcnt(1)
	v_mov_b32_e32 v5, s0
	s_waitcnt vmcnt(0)
	v_and_b32_e32 v4, 0xffff, v4
.LBB363_921:
	s_mov_b64 s[0:1], 0
.LBB363_922:
	s_andn2_b64 vcc, exec, s[0:1]
	s_cbranch_vccnz .LBB363_930
; %bb.923:
	global_load_ubyte v6, v[2:3], off
	s_movk_i32 s0, 0x7f
	s_mov_b64 s[42:43], 0
	s_waitcnt vmcnt(0)
	v_cmp_lt_i16_e32 vcc, s0, v6
	s_and_saveexec_b64 s[0:1], vcc
	s_xor_b64 s[0:1], exec, s[0:1]
; %bb.924:
	s_movk_i32 s42, 0x80
	v_cmp_ne_u16_e32 vcc, s42, v6
	s_and_b64 s[42:43], vcc, exec
; %bb.925:
	s_andn2_saveexec_b64 s[0:1], s[0:1]
; %bb.926:
	v_cmp_ne_u16_e32 vcc, 0, v6
	s_andn2_b64 s[42:43], s[42:43], exec
	s_and_b64 s[46:47], vcc, exec
	s_or_b64 s[42:43], s[42:43], s[46:47]
; %bb.927:
	s_or_b64 exec, exec, s[0:1]
	v_mov_b32_e32 v4, 0
	v_mov_b32_e32 v5, 0
	s_and_saveexec_b64 s[0:1], s[42:43]
	s_cbranch_execz .LBB363_929
; %bb.928:
	v_and_b32_e32 v5, 0xffff, v6
	v_lshlrev_b32_e32 v4, 24, v6
	v_and_b32_e32 v6, 7, v5
	v_ffbh_u32_e32 v8, v6
	v_min_u32_e32 v8, 32, v8
	v_subrev_u32_e32 v9, 28, v8
	v_bfe_u32 v7, v5, 3, 4
	v_lshlrev_b32_e32 v5, v9, v5
	v_sub_u32_e32 v8, 29, v8
	v_and_b32_e32 v5, 7, v5
	v_cmp_eq_u32_e32 vcc, 0, v7
	v_cndmask_b32_e32 v7, v7, v8, vcc
	v_cndmask_b32_e32 v5, v6, v5, vcc
	v_mov_b32_e32 v6, 0x3b800000
	v_lshlrev_b32_e32 v5, 20, v5
	v_and_b32_e32 v4, 0x80000000, v4
	v_lshl_add_u32 v6, v7, 23, v6
	v_or3_b32 v4, v4, v6, v5
	v_trunc_f32_e32 v4, v4
	v_mul_f32_e32 v5, 0x2f800000, v4
	v_floor_f32_e32 v5, v5
	v_fmac_f32_e32 v4, 0xcf800000, v5
	v_cvt_u32_f32_e32 v4, v4
	v_cvt_u32_f32_e32 v5, v5
.LBB363_929:
	s_or_b64 exec, exec, s[0:1]
.LBB363_930:
	s_mov_b64 s[0:1], -1
.LBB363_931:
	s_mov_b64 s[42:43], 0
.LBB363_932:
	s_and_b64 vcc, exec, s[42:43]
	s_cbranch_vccz .LBB363_963
; %bb.933:
	s_cmp_gt_i32 s45, 22
	s_cbranch_scc0 .LBB363_943
; %bb.934:
	s_cmp_lt_i32 s45, 24
	s_cbranch_scc1 .LBB363_944
; %bb.935:
	s_cmp_gt_i32 s45, 24
	s_cbranch_scc0 .LBB363_945
; %bb.936:
	global_load_ubyte v6, v[2:3], off
	s_movk_i32 s0, 0x7f
	s_mov_b64 s[42:43], 0
	s_waitcnt vmcnt(0)
	v_cmp_lt_i16_e32 vcc, s0, v6
	s_and_saveexec_b64 s[0:1], vcc
	s_xor_b64 s[0:1], exec, s[0:1]
; %bb.937:
	s_movk_i32 s42, 0x80
	v_cmp_ne_u16_e32 vcc, s42, v6
	s_and_b64 s[42:43], vcc, exec
; %bb.938:
	s_andn2_saveexec_b64 s[0:1], s[0:1]
; %bb.939:
	v_cmp_ne_u16_e32 vcc, 0, v6
	s_andn2_b64 s[42:43], s[42:43], exec
	s_and_b64 s[46:47], vcc, exec
	s_or_b64 s[42:43], s[42:43], s[46:47]
; %bb.940:
	s_or_b64 exec, exec, s[0:1]
	v_mov_b32_e32 v4, 0
	v_mov_b32_e32 v5, 0
	s_and_saveexec_b64 s[0:1], s[42:43]
	s_cbranch_execz .LBB363_942
; %bb.941:
	v_and_b32_e32 v5, 0xffff, v6
	v_lshlrev_b32_e32 v4, 24, v6
	v_and_b32_e32 v6, 3, v5
	v_ffbh_u32_e32 v8, v6
	v_min_u32_e32 v8, 32, v8
	v_subrev_u32_e32 v9, 29, v8
	v_bfe_u32 v7, v5, 2, 5
	v_lshlrev_b32_e32 v5, v9, v5
	v_sub_u32_e32 v8, 30, v8
	v_and_b32_e32 v5, 3, v5
	v_cmp_eq_u32_e32 vcc, 0, v7
	v_cndmask_b32_e32 v7, v7, v8, vcc
	v_cndmask_b32_e32 v5, v6, v5, vcc
	v_mov_b32_e32 v6, 0x37800000
	v_lshlrev_b32_e32 v5, 21, v5
	v_and_b32_e32 v4, 0x80000000, v4
	v_lshl_add_u32 v6, v7, 23, v6
	v_or3_b32 v4, v4, v6, v5
	v_trunc_f32_e32 v4, v4
	v_mul_f32_e32 v5, 0x2f800000, v4
	v_floor_f32_e32 v5, v5
	v_fmac_f32_e32 v4, 0xcf800000, v5
	v_cvt_u32_f32_e32 v4, v4
	v_cvt_u32_f32_e32 v5, v5
.LBB363_942:
	s_or_b64 exec, exec, s[0:1]
	s_mov_b64 s[0:1], 0
	s_branch .LBB363_946
.LBB363_943:
	s_mov_b64 s[42:43], -1
                                        ; implicit-def: $vgpr4_vgpr5
	s_branch .LBB363_952
.LBB363_944:
	s_mov_b64 s[0:1], -1
                                        ; implicit-def: $vgpr4_vgpr5
	s_branch .LBB363_949
.LBB363_945:
	s_mov_b64 s[0:1], -1
                                        ; implicit-def: $vgpr4_vgpr5
.LBB363_946:
	s_and_b64 vcc, exec, s[0:1]
	s_cbranch_vccz .LBB363_948
; %bb.947:
	global_load_ubyte v4, v[2:3], off
	s_mov_b32 s0, 0x7f800000
	s_brev_b32 s1, 1
	s_waitcnt vmcnt(0)
	v_lshlrev_b32_e32 v4, 24, v4
	v_and_b32_e32 v5, 0x7f000000, v4
	v_ffbh_u32_e32 v6, v5
	v_min_u32_e32 v6, 32, v6
	v_sub_u32_e64 v6, v6, 4 clamp
	v_lshlrev_b32_e32 v8, v6, v5
	v_lshlrev_b32_e32 v6, 23, v6
	v_lshrrev_b32_e32 v8, 4, v8
	v_add_u32_e32 v7, 0x1000000, v5
	v_sub_u32_e32 v6, v8, v6
	v_ashrrev_i32_e32 v7, 8, v7
	v_add_u32_e32 v6, 0x3c000000, v6
	v_and_or_b32 v6, v7, s0, v6
	v_cmp_ne_u32_e32 vcc, 0, v5
	v_cndmask_b32_e32 v5, 0, v6, vcc
	v_and_or_b32 v4, v4, s1, v5
	v_trunc_f32_e32 v4, v4
	v_mul_f32_e32 v5, 0x2f800000, v4
	v_floor_f32_e32 v5, v5
	v_fmac_f32_e32 v4, 0xcf800000, v5
	v_cvt_u32_f32_e32 v4, v4
	v_cvt_u32_f32_e32 v5, v5
.LBB363_948:
	s_mov_b64 s[0:1], 0
.LBB363_949:
	s_andn2_b64 vcc, exec, s[0:1]
	s_cbranch_vccnz .LBB363_951
; %bb.950:
	global_load_ubyte v4, v[2:3], off
	s_movk_i32 s0, 0x7f00
	s_brev_b32 s1, 16
	s_brev_b32 s42, 1
	s_waitcnt vmcnt(0)
	v_lshlrev_b16_e32 v5, 8, v4
	v_lshlrev_b32_e32 v4, 25, v4
	v_lshrrev_b32_e32 v6, 4, v4
	v_and_or_b32 v7, v5, s0, 0.5
	v_or_b32_e32 v6, 0x70000000, v6
	v_add_f32_e32 v7, -0.5, v7
	v_mul_f32_e32 v6, 0x7800000, v6
	v_cmp_gt_u32_e32 vcc, s1, v4
	v_bfe_i32 v5, v5, 0, 16
	v_cndmask_b32_e32 v4, v6, v7, vcc
	v_and_or_b32 v4, v5, s42, v4
	v_trunc_f32_e32 v4, v4
	v_mul_f32_e32 v5, 0x2f800000, v4
	v_floor_f32_e32 v5, v5
	v_fmac_f32_e32 v4, 0xcf800000, v5
	v_cvt_u32_f32_e32 v4, v4
	v_cvt_u32_f32_e32 v5, v5
.LBB363_951:
	s_mov_b64 s[42:43], 0
	s_mov_b64 s[0:1], -1
.LBB363_952:
	s_andn2_b64 vcc, exec, s[42:43]
	s_cbranch_vccnz .LBB363_963
; %bb.953:
	s_cmp_gt_i32 s45, 14
	s_cbranch_scc0 .LBB363_956
; %bb.954:
	s_cmp_eq_u32 s45, 15
	s_cbranch_scc0 .LBB363_957
; %bb.955:
	global_load_ushort v4, v[2:3], off
	s_mov_b64 s[0:1], -1
	s_mov_b64 s[40:41], 0
	s_waitcnt vmcnt(0)
	v_lshlrev_b32_e32 v4, 16, v4
	v_trunc_f32_e32 v4, v4
	v_mul_f32_e32 v5, 0x2f800000, v4
	v_floor_f32_e32 v5, v5
	v_fmac_f32_e32 v4, 0xcf800000, v5
	v_cvt_u32_f32_e32 v4, v4
	v_cvt_u32_f32_e32 v5, v5
	s_branch .LBB363_958
.LBB363_956:
	s_mov_b64 s[42:43], -1
                                        ; implicit-def: $vgpr4_vgpr5
	s_branch .LBB363_959
.LBB363_957:
	s_mov_b64 s[40:41], -1
                                        ; implicit-def: $vgpr4_vgpr5
.LBB363_958:
	s_mov_b64 s[42:43], 0
.LBB363_959:
	s_and_b64 vcc, exec, s[42:43]
	s_cbranch_vccz .LBB363_963
; %bb.960:
	s_cmp_eq_u32 s45, 11
	s_cbranch_scc0 .LBB363_962
; %bb.961:
	global_load_ubyte v4, v[2:3], off
	s_mov_b32 s40, 0
	s_mov_b64 s[0:1], -1
	s_waitcnt vmcnt(1)
	v_mov_b32_e32 v5, s40
	s_mov_b64 s[40:41], 0
	s_waitcnt vmcnt(0)
	v_cmp_ne_u16_e32 vcc, 0, v4
	v_cndmask_b32_e64 v4, 0, 1, vcc
	s_branch .LBB363_963
.LBB363_962:
	s_mov_b64 s[40:41], -1
                                        ; implicit-def: $vgpr4_vgpr5
.LBB363_963:
	s_mov_b64 s[42:43], 0
.LBB363_964:
	s_and_b64 vcc, exec, s[42:43]
	s_cbranch_vccz .LBB363_1013
; %bb.965:
	s_and_b32 s42, 0xffff, s44
	s_cmp_lt_i32 s42, 5
	s_cbranch_scc1 .LBB363_970
; %bb.966:
	s_cmp_lt_i32 s42, 8
	s_cbranch_scc1 .LBB363_971
; %bb.967:
	;; [unrolled: 3-line block ×3, first 2 shown]
	s_cmp_gt_i32 s42, 9
	s_cbranch_scc0 .LBB363_973
; %bb.969:
	global_load_dwordx2 v[4:5], v[2:3], off
	s_movk_i32 s0, 0xffe0
	s_waitcnt vmcnt(0)
	v_trunc_f64_e32 v[4:5], v[4:5]
	v_ldexp_f64 v[6:7], v[4:5], s0
	s_mov_b32 s0, 0
	s_mov_b32 s1, 0xc1f00000
	v_floor_f64_e32 v[6:7], v[6:7]
	v_fma_f64 v[8:9], v[6:7], s[0:1], v[4:5]
	v_cvt_u32_f64_e32 v5, v[6:7]
	s_mov_b64 s[0:1], 0
	v_cvt_u32_f64_e32 v4, v[8:9]
	s_branch .LBB363_974
.LBB363_970:
	s_mov_b64 s[0:1], -1
                                        ; implicit-def: $vgpr4_vgpr5
	s_branch .LBB363_992
.LBB363_971:
	s_mov_b64 s[0:1], -1
                                        ; implicit-def: $vgpr4_vgpr5
	s_branch .LBB363_980
.LBB363_972:
	s_mov_b64 s[0:1], -1
                                        ; implicit-def: $vgpr4_vgpr5
	s_branch .LBB363_977
.LBB363_973:
	s_mov_b64 s[0:1], -1
                                        ; implicit-def: $vgpr4_vgpr5
.LBB363_974:
	s_andn2_b64 vcc, exec, s[0:1]
	s_cbranch_vccnz .LBB363_976
; %bb.975:
	global_load_dword v4, v[2:3], off
	s_waitcnt vmcnt(0)
	v_trunc_f32_e32 v4, v4
	v_mul_f32_e32 v5, 0x2f800000, v4
	v_floor_f32_e32 v6, v5
	v_fmac_f32_e32 v4, 0xcf800000, v6
	v_cvt_u32_f32_e32 v5, v6
	v_cvt_u32_f32_e32 v4, v4
.LBB363_976:
	s_mov_b64 s[0:1], 0
.LBB363_977:
	s_andn2_b64 vcc, exec, s[0:1]
	s_cbranch_vccnz .LBB363_979
; %bb.978:
	global_load_dword v4, v[2:3], off
	s_waitcnt vmcnt(1)
	v_mov_b32_e32 v5, 0
	s_waitcnt vmcnt(0)
	v_cvt_f32_f16_e32 v4, v4
	v_cvt_u32_f32_e32 v4, v4
.LBB363_979:
	s_mov_b64 s[0:1], 0
.LBB363_980:
	s_andn2_b64 vcc, exec, s[0:1]
	s_cbranch_vccnz .LBB363_991
; %bb.981:
	s_cmp_lt_i32 s42, 6
	s_cbranch_scc1 .LBB363_984
; %bb.982:
	s_cmp_gt_i32 s42, 6
	s_cbranch_scc0 .LBB363_985
; %bb.983:
	global_load_dwordx2 v[4:5], v[2:3], off
	s_movk_i32 s0, 0xffe0
	s_waitcnt vmcnt(0)
	v_trunc_f64_e32 v[4:5], v[4:5]
	v_ldexp_f64 v[6:7], v[4:5], s0
	s_mov_b32 s0, 0
	s_mov_b32 s1, 0xc1f00000
	v_floor_f64_e32 v[6:7], v[6:7]
	v_fma_f64 v[8:9], v[6:7], s[0:1], v[4:5]
	v_cvt_u32_f64_e32 v5, v[6:7]
	s_mov_b64 s[0:1], 0
	v_cvt_u32_f64_e32 v4, v[8:9]
	s_branch .LBB363_986
.LBB363_984:
	s_mov_b64 s[0:1], -1
                                        ; implicit-def: $vgpr4_vgpr5
	s_branch .LBB363_989
.LBB363_985:
	s_mov_b64 s[0:1], -1
                                        ; implicit-def: $vgpr4_vgpr5
.LBB363_986:
	s_andn2_b64 vcc, exec, s[0:1]
	s_cbranch_vccnz .LBB363_988
; %bb.987:
	global_load_dword v4, v[2:3], off
	s_waitcnt vmcnt(0)
	v_trunc_f32_e32 v4, v4
	v_mul_f32_e32 v5, 0x2f800000, v4
	v_floor_f32_e32 v6, v5
	v_fmac_f32_e32 v4, 0xcf800000, v6
	v_cvt_u32_f32_e32 v5, v6
	v_cvt_u32_f32_e32 v4, v4
.LBB363_988:
	s_mov_b64 s[0:1], 0
.LBB363_989:
	s_andn2_b64 vcc, exec, s[0:1]
	s_cbranch_vccnz .LBB363_991
; %bb.990:
	global_load_ushort v4, v[2:3], off
	s_waitcnt vmcnt(1)
	v_mov_b32_e32 v5, 0
	s_waitcnt vmcnt(0)
	v_cvt_f32_f16_e32 v4, v4
	v_cvt_u32_f32_e32 v4, v4
.LBB363_991:
	s_mov_b64 s[0:1], 0
.LBB363_992:
	s_andn2_b64 vcc, exec, s[0:1]
	s_cbranch_vccnz .LBB363_1012
; %bb.993:
	s_cmp_lt_i32 s42, 2
	s_cbranch_scc1 .LBB363_997
; %bb.994:
	s_cmp_lt_i32 s42, 3
	s_cbranch_scc1 .LBB363_998
; %bb.995:
	s_cmp_gt_i32 s42, 3
	s_cbranch_scc0 .LBB363_999
; %bb.996:
	global_load_dwordx2 v[4:5], v[2:3], off
	s_mov_b64 s[0:1], 0
	s_branch .LBB363_1000
.LBB363_997:
	s_mov_b64 s[0:1], -1
                                        ; implicit-def: $vgpr4_vgpr5
	s_branch .LBB363_1006
.LBB363_998:
	s_mov_b64 s[0:1], -1
                                        ; implicit-def: $vgpr4_vgpr5
	s_branch .LBB363_1003
.LBB363_999:
	s_mov_b64 s[0:1], -1
                                        ; implicit-def: $vgpr4_vgpr5
.LBB363_1000:
	s_andn2_b64 vcc, exec, s[0:1]
	s_cbranch_vccnz .LBB363_1002
; %bb.1001:
	global_load_dword v4, v[2:3], off
	s_waitcnt vmcnt(0)
	v_ashrrev_i32_e32 v5, 31, v4
.LBB363_1002:
	s_mov_b64 s[0:1], 0
.LBB363_1003:
	s_andn2_b64 vcc, exec, s[0:1]
	s_cbranch_vccnz .LBB363_1005
; %bb.1004:
	global_load_ushort v4, v[2:3], off
	s_waitcnt vmcnt(0)
	v_bfe_i32 v4, v4, 0, 16
	v_ashrrev_i32_e32 v5, 31, v4
.LBB363_1005:
	s_mov_b64 s[0:1], 0
.LBB363_1006:
	s_andn2_b64 vcc, exec, s[0:1]
	s_cbranch_vccnz .LBB363_1012
; %bb.1007:
	s_cmp_gt_i32 s42, 0
	s_cbranch_scc0 .LBB363_1009
; %bb.1008:
	global_load_sbyte v4, v[2:3], off
	s_mov_b64 s[0:1], 0
	s_waitcnt vmcnt(0)
	v_bfe_i32 v4, v4, 0, 16
	v_ashrrev_i32_e32 v5, 31, v4
	s_branch .LBB363_1010
.LBB363_1009:
	s_mov_b64 s[0:1], -1
                                        ; implicit-def: $vgpr4_vgpr5
.LBB363_1010:
	s_andn2_b64 vcc, exec, s[0:1]
	s_cbranch_vccnz .LBB363_1012
; %bb.1011:
	global_load_ubyte v2, v[2:3], off
	s_mov_b32 s0, 0
	s_waitcnt vmcnt(1)
	v_mov_b32_e32 v5, s0
	s_waitcnt vmcnt(0)
	v_and_b32_e32 v4, 0xffff, v2
.LBB363_1012:
	s_mov_b64 s[0:1], -1
.LBB363_1013:
	s_andn2_b64 vcc, exec, s[0:1]
	s_cbranch_vccnz .LBB363_1021
; %bb.1014:
	v_mul_lo_u32 v2, v18, s12
	s_waitcnt vmcnt(0)
	v_cmp_ne_u64_e32 vcc, v[0:1], v[4:5]
	v_mov_b32_e32 v1, s9
	s_xor_b64 s[42:43], s[16:17], vcc
	v_ashrrev_i32_e32 v3, 31, v2
	s_and_b32 s51, s33, 0xff
	v_add_co_u32_e32 v0, vcc, s8, v2
	s_cmp_lt_i32 s51, 11
	v_addc_co_u32_e32 v1, vcc, v1, v3, vcc
	s_cbranch_scc1 .LBB363_1022
; %bb.1015:
	s_and_b32 s52, 0xffff, s51
	s_cmp_gt_i32 s52, 25
	s_cbranch_scc0 .LBB363_1023
; %bb.1016:
	s_cmp_gt_i32 s52, 28
	s_cbranch_scc0 .LBB363_1024
; %bb.1017:
	;; [unrolled: 3-line block ×4, first 2 shown]
	s_mov_b64 s[46:47], 0
	s_mov_b64 s[0:1], -1
	s_cmp_eq_u32 s52, 46
	s_mov_b64 s[44:45], 0
	s_cbranch_scc0 .LBB363_1027
; %bb.1020:
	v_cndmask_b32_e64 v2, 0, 1.0, s[42:43]
	v_bfe_u32 v3, v2, 16, 1
	s_movk_i32 s0, 0x7fff
	v_add3_u32 v2, v2, v3, s0
	v_lshrrev_b32_e32 v2, 16, v2
	global_store_dword v[0:1], v2, off
	s_mov_b64 s[44:45], -1
	s_mov_b64 s[0:1], 0
	s_branch .LBB363_1027
.LBB363_1021:
	s_mov_b64 s[44:45], 0
                                        ; implicit-def: $vgpr18
	s_mov_b64 s[0:1], s[30:31]
	s_branch .LBB363_1137
.LBB363_1022:
	s_mov_b64 s[46:47], -1
	s_mov_b64 s[44:45], 0
	s_mov_b64 s[0:1], s[30:31]
	s_branch .LBB363_1096
.LBB363_1023:
	s_mov_b64 s[46:47], -1
	s_mov_b64 s[44:45], 0
	s_mov_b64 s[0:1], s[30:31]
	s_branch .LBB363_1054
.LBB363_1024:
	s_mov_b64 s[46:47], -1
	s_mov_b64 s[44:45], 0
	s_mov_b64 s[0:1], s[30:31]
	s_branch .LBB363_1037
.LBB363_1025:
	s_mov_b64 s[46:47], -1
	s_mov_b64 s[44:45], 0
	s_mov_b64 s[0:1], s[30:31]
	s_branch .LBB363_1033
.LBB363_1026:
	s_mov_b64 s[46:47], -1
	s_mov_b64 s[44:45], 0
	s_mov_b64 s[0:1], s[30:31]
.LBB363_1027:
	s_and_b64 vcc, exec, s[46:47]
	s_cbranch_vccz .LBB363_1032
; %bb.1028:
	s_cmp_eq_u32 s52, 44
	s_mov_b64 s[0:1], -1
	s_cbranch_scc0 .LBB363_1032
; %bb.1029:
	v_cndmask_b32_e64 v3, 0, 1.0, s[42:43]
	v_lshrrev_b32_e32 v2, 23, v3
	s_movk_i32 s0, 0xff
	v_cmp_ne_u32_e32 vcc, s0, v2
	v_mov_b32_e32 v4, 0xff
	s_and_saveexec_b64 s[44:45], vcc
; %bb.1030:
	s_mov_b32 s0, 0x3fffff
	v_and_b32_e32 v4, 0x400000, v3
	v_and_or_b32 v3, v3, s0, v2
	v_cmp_ne_u32_e32 vcc, 0, v4
	v_cmp_ne_u32_e64 s[0:1], 0, v3
	s_and_b64 s[0:1], vcc, s[0:1]
	v_cndmask_b32_e64 v3, 0, 1, s[0:1]
	v_add_u32_e32 v4, v2, v3
; %bb.1031:
	s_or_b64 exec, exec, s[44:45]
	s_mov_b64 s[44:45], -1
	s_mov_b64 s[0:1], 0
	global_store_byte v[0:1], v4, off
.LBB363_1032:
	s_mov_b64 s[46:47], 0
.LBB363_1033:
	s_and_b64 vcc, exec, s[46:47]
	s_cbranch_vccz .LBB363_1036
; %bb.1034:
	s_cmp_eq_u32 s52, 29
	s_mov_b64 s[0:1], -1
	s_cbranch_scc0 .LBB363_1036
; %bb.1035:
	s_mov_b32 s0, 0
	v_cndmask_b32_e64 v2, 0, 1, s[42:43]
	v_mov_b32_e32 v3, s0
	global_store_dwordx2 v[0:1], v[2:3], off
	s_mov_b64 s[44:45], -1
	s_mov_b64 s[0:1], 0
.LBB363_1036:
	s_mov_b64 s[46:47], 0
.LBB363_1037:
	s_and_b64 vcc, exec, s[46:47]
	s_cbranch_vccz .LBB363_1053
; %bb.1038:
	s_cmp_lt_i32 s52, 27
	s_mov_b64 s[44:45], -1
	s_cbranch_scc1 .LBB363_1044
; %bb.1039:
	s_cmp_gt_i32 s52, 27
	s_cbranch_scc0 .LBB363_1041
; %bb.1040:
	v_cndmask_b32_e64 v2, 0, 1, s[42:43]
	s_mov_b64 s[44:45], 0
	global_store_dword v[0:1], v2, off
.LBB363_1041:
	s_andn2_b64 vcc, exec, s[44:45]
	s_cbranch_vccnz .LBB363_1043
; %bb.1042:
	v_cndmask_b32_e64 v2, 0, 1, s[42:43]
	global_store_short v[0:1], v2, off
.LBB363_1043:
	s_mov_b64 s[44:45], 0
.LBB363_1044:
	s_andn2_b64 vcc, exec, s[44:45]
	s_cbranch_vccnz .LBB363_1052
; %bb.1045:
	v_cndmask_b32_e64 v3, 0, 1.0, s[42:43]
	s_mov_b32 s44, 0x43800000
	v_cmp_gt_u32_e32 vcc, s44, v3
	v_mov_b32_e32 v4, 0x80
	s_and_saveexec_b64 s[44:45], vcc
	s_cbranch_execz .LBB363_1051
; %bb.1046:
	s_mov_b32 s46, 0x3bffffff
	v_cmp_lt_u32_e32 vcc, s46, v3
	s_mov_b64 s[46:47], 0
                                        ; implicit-def: $vgpr2
	s_and_saveexec_b64 s[48:49], vcc
	s_xor_b64 s[48:49], exec, s[48:49]
	s_cbranch_execz .LBB363_1153
; %bb.1047:
	v_bfe_u32 v2, v3, 20, 1
	s_mov_b32 s53, 0x487ffff
	v_add3_u32 v2, v3, v2, s53
	s_mov_b64 s[46:47], exec
	v_lshrrev_b32_e32 v2, 20, v2
                                        ; implicit-def: $vgpr3
	s_andn2_saveexec_b64 s[48:49], s[48:49]
	s_cbranch_execnz .LBB363_1154
.LBB363_1048:
	s_or_b64 exec, exec, s[48:49]
	v_mov_b32_e32 v4, 0
	s_and_saveexec_b64 s[48:49], s[46:47]
.LBB363_1049:
	v_mov_b32_e32 v4, v2
.LBB363_1050:
	s_or_b64 exec, exec, s[48:49]
.LBB363_1051:
	s_or_b64 exec, exec, s[44:45]
	global_store_byte v[0:1], v4, off
.LBB363_1052:
	s_mov_b64 s[44:45], -1
.LBB363_1053:
	s_mov_b64 s[46:47], 0
.LBB363_1054:
	s_and_b64 vcc, exec, s[46:47]
	s_cbranch_vccz .LBB363_1095
; %bb.1055:
	s_cmp_gt_i32 s52, 22
	s_mov_b64 s[46:47], -1
	s_cbranch_scc0 .LBB363_1087
; %bb.1056:
	s_cmp_lt_i32 s52, 24
	s_mov_b64 s[44:45], -1
	s_cbranch_scc1 .LBB363_1076
; %bb.1057:
	s_cmp_gt_i32 s52, 24
	s_cbranch_scc0 .LBB363_1065
; %bb.1058:
	v_cndmask_b32_e64 v3, 0, 1.0, s[42:43]
	s_mov_b32 s44, 0x47800000
	v_cmp_gt_u32_e32 vcc, s44, v3
	v_mov_b32_e32 v4, 0x80
	s_and_saveexec_b64 s[44:45], vcc
	s_cbranch_execz .LBB363_1064
; %bb.1059:
	s_mov_b32 s46, 0x37ffffff
	v_cmp_lt_u32_e32 vcc, s46, v3
	s_mov_b64 s[46:47], 0
                                        ; implicit-def: $vgpr2
	s_and_saveexec_b64 s[48:49], vcc
	s_xor_b64 s[48:49], exec, s[48:49]
	s_cbranch_execz .LBB363_2147
; %bb.1060:
	v_bfe_u32 v2, v3, 21, 1
	s_mov_b32 s53, 0x88fffff
	v_add3_u32 v2, v3, v2, s53
	s_mov_b64 s[46:47], exec
	v_lshrrev_b32_e32 v2, 21, v2
                                        ; implicit-def: $vgpr3
	s_andn2_saveexec_b64 s[48:49], s[48:49]
	s_cbranch_execnz .LBB363_2148
.LBB363_1061:
	s_or_b64 exec, exec, s[48:49]
	v_mov_b32_e32 v4, 0
	s_and_saveexec_b64 s[48:49], s[46:47]
.LBB363_1062:
	v_mov_b32_e32 v4, v2
.LBB363_1063:
	s_or_b64 exec, exec, s[48:49]
.LBB363_1064:
	s_or_b64 exec, exec, s[44:45]
	s_mov_b64 s[44:45], 0
	global_store_byte v[0:1], v4, off
.LBB363_1065:
	s_and_b64 vcc, exec, s[44:45]
	s_cbranch_vccz .LBB363_1075
; %bb.1066:
	v_cndmask_b32_e64 v2, 0, 1.0, s[42:43]
	s_mov_b32 s44, 0x43f00000
	v_cmp_gt_u32_e32 vcc, s44, v2
                                        ; implicit-def: $vgpr3
	s_and_saveexec_b64 s[44:45], vcc
	s_xor_b64 s[44:45], exec, s[44:45]
	s_cbranch_execz .LBB363_1072
; %bb.1067:
	s_mov_b32 s46, 0x3c7fffff
	v_cmp_lt_u32_e32 vcc, s46, v2
                                        ; implicit-def: $vgpr3
	s_and_saveexec_b64 s[46:47], vcc
	s_xor_b64 s[46:47], exec, s[46:47]
; %bb.1068:
	v_bfe_u32 v3, v2, 20, 1
	s_mov_b32 s48, 0x407ffff
	v_add3_u32 v2, v2, v3, s48
	v_lshrrev_b32_e32 v3, 20, v2
	v_and_b32_e32 v2, 0xff00000, v2
	s_mov_b32 s48, 0x7f00000
	v_mov_b32_e32 v4, 0x7e
	v_cmp_ne_u32_e32 vcc, s48, v2
	v_cndmask_b32_e32 v3, v4, v3, vcc
                                        ; implicit-def: $vgpr2
; %bb.1069:
	s_andn2_saveexec_b64 s[46:47], s[46:47]
; %bb.1070:
	v_add_f32_e32 v3, 0x46800000, v2
; %bb.1071:
	s_or_b64 exec, exec, s[46:47]
                                        ; implicit-def: $vgpr2
.LBB363_1072:
	s_andn2_saveexec_b64 s[44:45], s[44:45]
; %bb.1073:
	s_mov_b32 s46, 0x7f800000
	v_mov_b32_e32 v3, 0x7e
	v_mov_b32_e32 v4, 0x7f
	v_cmp_lt_u32_e32 vcc, s46, v2
	v_cndmask_b32_e32 v3, v3, v4, vcc
; %bb.1074:
	s_or_b64 exec, exec, s[44:45]
	global_store_byte v[0:1], v3, off
.LBB363_1075:
	s_mov_b64 s[44:45], 0
.LBB363_1076:
	s_andn2_b64 vcc, exec, s[44:45]
	s_cbranch_vccnz .LBB363_1086
; %bb.1077:
	v_cndmask_b32_e64 v2, 0, 1.0, s[42:43]
	s_mov_b32 s44, 0x47800000
	v_cmp_gt_u32_e32 vcc, s44, v2
                                        ; implicit-def: $vgpr3
	s_and_saveexec_b64 s[44:45], vcc
	s_xor_b64 s[44:45], exec, s[44:45]
	s_cbranch_execz .LBB363_1083
; %bb.1078:
	s_mov_b32 s46, 0x387fffff
	v_cmp_lt_u32_e32 vcc, s46, v2
                                        ; implicit-def: $vgpr3
	s_and_saveexec_b64 s[46:47], vcc
	s_xor_b64 s[46:47], exec, s[46:47]
; %bb.1079:
	v_bfe_u32 v3, v2, 21, 1
	s_mov_b32 s48, 0x80fffff
	v_add3_u32 v2, v2, v3, s48
	v_lshrrev_b32_e32 v3, 21, v2
                                        ; implicit-def: $vgpr2
; %bb.1080:
	s_andn2_saveexec_b64 s[46:47], s[46:47]
; %bb.1081:
	v_add_f32_e32 v3, 0x43000000, v2
; %bb.1082:
	s_or_b64 exec, exec, s[46:47]
                                        ; implicit-def: $vgpr2
.LBB363_1083:
	s_andn2_saveexec_b64 s[44:45], s[44:45]
; %bb.1084:
	s_mov_b32 s46, 0x7f800000
	v_mov_b32_e32 v3, 0x7c
	v_mov_b32_e32 v4, 0x7f
	v_cmp_lt_u32_e32 vcc, s46, v2
	v_cndmask_b32_e32 v3, v3, v4, vcc
; %bb.1085:
	s_or_b64 exec, exec, s[44:45]
	global_store_byte v[0:1], v3, off
.LBB363_1086:
	s_mov_b64 s[46:47], 0
	s_mov_b64 s[44:45], -1
.LBB363_1087:
	s_andn2_b64 vcc, exec, s[46:47]
	s_cbranch_vccnz .LBB363_1095
; %bb.1088:
	s_cmp_gt_i32 s52, 14
	s_mov_b64 s[46:47], -1
	s_cbranch_scc0 .LBB363_1092
; %bb.1089:
	s_cmp_eq_u32 s52, 15
	s_mov_b64 s[0:1], -1
	s_cbranch_scc0 .LBB363_1091
; %bb.1090:
	v_cndmask_b32_e64 v2, 0, 1.0, s[42:43]
	v_bfe_u32 v3, v2, 16, 1
	s_movk_i32 s0, 0x7fff
	v_add3_u32 v2, v2, v3, s0
	global_store_short_d16_hi v[0:1], v2, off
	s_mov_b64 s[44:45], -1
	s_mov_b64 s[0:1], 0
.LBB363_1091:
	s_mov_b64 s[46:47], 0
.LBB363_1092:
	s_and_b64 vcc, exec, s[46:47]
	s_cbranch_vccz .LBB363_1095
; %bb.1093:
	s_cmp_eq_u32 s52, 11
	s_mov_b64 s[0:1], -1
	s_cbranch_scc0 .LBB363_1095
; %bb.1094:
	v_cndmask_b32_e64 v2, 0, 1, s[42:43]
	s_mov_b64 s[44:45], -1
	s_mov_b64 s[0:1], 0
	global_store_byte v[0:1], v2, off
.LBB363_1095:
	s_mov_b64 s[46:47], 0
.LBB363_1096:
	s_and_b64 vcc, exec, s[46:47]
	s_cbranch_vccz .LBB363_1135
; %bb.1097:
	s_and_b32 s46, 0xffff, s51
	s_cmp_lt_i32 s46, 5
	s_mov_b64 s[44:45], -1
	s_cbranch_scc1 .LBB363_1118
; %bb.1098:
	s_cmp_lt_i32 s46, 8
	s_cbranch_scc1 .LBB363_1108
; %bb.1099:
	s_cmp_lt_i32 s46, 9
	s_cbranch_scc1 .LBB363_1105
; %bb.1100:
	s_cmp_gt_i32 s46, 9
	s_cbranch_scc0 .LBB363_1102
; %bb.1101:
	v_cndmask_b32_e64 v2, 0, 1, s[42:43]
	v_cvt_f64_u32_e32 v[2:3], v2
	v_mov_b32_e32 v4, 0
	v_mov_b32_e32 v5, v4
	s_mov_b64 s[44:45], 0
	global_store_dwordx4 v[0:1], v[2:5], off
.LBB363_1102:
	s_andn2_b64 vcc, exec, s[44:45]
	s_cbranch_vccnz .LBB363_1104
; %bb.1103:
	v_cndmask_b32_e64 v2, 0, 1.0, s[42:43]
	v_mov_b32_e32 v3, 0
	global_store_dwordx2 v[0:1], v[2:3], off
.LBB363_1104:
	s_mov_b64 s[44:45], 0
.LBB363_1105:
	s_andn2_b64 vcc, exec, s[44:45]
	s_cbranch_vccnz .LBB363_1107
; %bb.1106:
	v_cndmask_b32_e64 v2, 0, 1.0, s[42:43]
	v_cvt_f16_f32_e32 v2, v2
	global_store_dword v[0:1], v2, off
.LBB363_1107:
	s_mov_b64 s[44:45], 0
.LBB363_1108:
	s_andn2_b64 vcc, exec, s[44:45]
	s_cbranch_vccnz .LBB363_1117
; %bb.1109:
	s_cmp_lt_i32 s46, 6
	s_mov_b64 s[44:45], -1
	s_cbranch_scc1 .LBB363_1115
; %bb.1110:
	s_cmp_gt_i32 s46, 6
	s_cbranch_scc0 .LBB363_1112
; %bb.1111:
	v_cndmask_b32_e64 v2, 0, 1, s[42:43]
	v_cvt_f64_u32_e32 v[2:3], v2
	s_mov_b64 s[44:45], 0
	global_store_dwordx2 v[0:1], v[2:3], off
.LBB363_1112:
	s_andn2_b64 vcc, exec, s[44:45]
	s_cbranch_vccnz .LBB363_1114
; %bb.1113:
	v_cndmask_b32_e64 v2, 0, 1.0, s[42:43]
	global_store_dword v[0:1], v2, off
.LBB363_1114:
	s_mov_b64 s[44:45], 0
.LBB363_1115:
	s_andn2_b64 vcc, exec, s[44:45]
	s_cbranch_vccnz .LBB363_1117
; %bb.1116:
	v_cndmask_b32_e64 v2, 0, 1.0, s[42:43]
	v_cvt_f16_f32_e32 v2, v2
	global_store_short v[0:1], v2, off
.LBB363_1117:
	s_mov_b64 s[44:45], 0
.LBB363_1118:
	s_andn2_b64 vcc, exec, s[44:45]
	s_cbranch_vccnz .LBB363_1134
; %bb.1119:
	s_cmp_lt_i32 s46, 2
	s_mov_b64 s[44:45], -1
	s_cbranch_scc1 .LBB363_1129
; %bb.1120:
	s_cmp_lt_i32 s46, 3
	s_cbranch_scc1 .LBB363_1126
; %bb.1121:
	s_cmp_gt_i32 s46, 3
	s_cbranch_scc0 .LBB363_1123
; %bb.1122:
	s_mov_b32 s44, 0
	v_cndmask_b32_e64 v2, 0, 1, s[42:43]
	v_mov_b32_e32 v3, s44
	s_mov_b64 s[44:45], 0
	global_store_dwordx2 v[0:1], v[2:3], off
.LBB363_1123:
	s_andn2_b64 vcc, exec, s[44:45]
	s_cbranch_vccnz .LBB363_1125
; %bb.1124:
	v_cndmask_b32_e64 v2, 0, 1, s[42:43]
	global_store_dword v[0:1], v2, off
.LBB363_1125:
	s_mov_b64 s[44:45], 0
.LBB363_1126:
	s_andn2_b64 vcc, exec, s[44:45]
	s_cbranch_vccnz .LBB363_1128
; %bb.1127:
	v_cndmask_b32_e64 v2, 0, 1, s[42:43]
	global_store_short v[0:1], v2, off
.LBB363_1128:
	s_mov_b64 s[44:45], 0
.LBB363_1129:
	s_andn2_b64 vcc, exec, s[44:45]
	s_cbranch_vccnz .LBB363_1134
; %bb.1130:
	s_mov_b64 s[44:45], -1
	s_cmp_gt_i32 s46, 0
	v_cndmask_b32_e64 v2, 0, 1, s[42:43]
	s_cbranch_scc0 .LBB363_1132
; %bb.1131:
	s_mov_b64 s[44:45], 0
	global_store_byte v[0:1], v2, off
.LBB363_1132:
	s_andn2_b64 vcc, exec, s[44:45]
	s_cbranch_vccnz .LBB363_1134
; %bb.1133:
	global_store_byte v[0:1], v2, off
.LBB363_1134:
	s_mov_b64 s[44:45], -1
.LBB363_1135:
	s_andn2_b64 vcc, exec, s[44:45]
	s_cbranch_vccnz .LBB363_1148
; %bb.1136:
	v_add_u32_e32 v18, 0x80, v18
	s_mov_b64 s[44:45], -1
.LBB363_1137:
	s_andn2_b64 s[42:43], s[30:31], exec
	s_and_b64 s[0:1], s[0:1], exec
	s_or_b64 s[42:43], s[42:43], s[0:1]
	s_andn2_b64 s[0:1], s[28:29], exec
	s_and_b64 s[40:41], s[40:41], exec
	s_or_b64 s[40:41], s[0:1], s[40:41]
	;; [unrolled: 3-line block ×3, first 2 shown]
	s_orn2_b64 s[48:49], s[44:45], exec
.LBB363_1138:
	s_or_b64 exec, exec, s[36:37]
	s_mov_b64 s[44:45], 0
	s_mov_b64 s[38:39], 0
	;; [unrolled: 1-line block ×3, first 2 shown]
                                        ; implicit-def: $sgpr58
                                        ; implicit-def: $vgpr2_vgpr3
                                        ; implicit-def: $vgpr0_vgpr1
	s_and_saveexec_b64 s[36:37], s[48:49]
	s_cbranch_execz .LBB363_1218
; %bb.1139:
	v_cmp_gt_i32_e32 vcc, s50, v18
	s_mov_b64 s[48:49], 0
	s_mov_b64 s[50:51], s[0:1]
	;; [unrolled: 1-line block ×4, first 2 shown]
                                        ; implicit-def: $sgpr58
                                        ; implicit-def: $vgpr2_vgpr3
                                        ; implicit-def: $vgpr0_vgpr1
	s_and_saveexec_b64 s[38:39], vcc
	s_cbranch_execz .LBB363_1217
; %bb.1140:
	s_waitcnt vmcnt(0)
	v_mul_lo_u32 v0, v18, s13
	v_mov_b32_e32 v1, s11
	s_and_b32 s58, s57, 0xff
	s_cmp_lt_i32 s58, 11
	v_ashrrev_i32_e32 v3, 31, v0
	v_add_co_u32_e32 v2, vcc, s10, v0
	v_addc_co_u32_e32 v3, vcc, v1, v3, vcc
	s_cbranch_scc1 .LBB363_1147
; %bb.1141:
	s_and_b32 s52, 0xffff, s58
	s_cmp_gt_i32 s52, 25
	s_cbranch_scc0 .LBB363_1149
; %bb.1142:
	s_cmp_gt_i32 s52, 28
	s_cbranch_scc0 .LBB363_1150
; %bb.1143:
	;; [unrolled: 3-line block ×4, first 2 shown]
	s_cmp_eq_u32 s52, 46
	s_mov_b64 s[50:51], 0
	s_cbranch_scc0 .LBB363_1155
; %bb.1146:
	global_load_dword v0, v[2:3], off
	s_mov_b64 s[48:49], -1
	s_waitcnt vmcnt(0)
	v_lshlrev_b32_e32 v0, 16, v0
	v_trunc_f32_e32 v0, v0
	v_mul_f32_e32 v1, 0x2f800000, v0
	v_floor_f32_e32 v1, v1
	v_fmac_f32_e32 v0, 0xcf800000, v1
	v_cvt_u32_f32_e32 v0, v0
	v_cvt_u32_f32_e32 v1, v1
	s_branch .LBB363_1157
.LBB363_1147:
	s_mov_b64 s[50:51], -1
                                        ; implicit-def: $vgpr0_vgpr1
	s_mov_b64 s[44:45], s[0:1]
	s_branch .LBB363_1216
.LBB363_1148:
	s_mov_b64 s[44:45], 0
	s_branch .LBB363_894
.LBB363_1149:
	s_mov_b64 s[50:51], -1
	s_mov_b64 s[44:45], s[0:1]
                                        ; implicit-def: $vgpr0_vgpr1
	s_branch .LBB363_1186
.LBB363_1150:
	s_mov_b64 s[50:51], -1
	s_mov_b64 s[44:45], s[0:1]
                                        ; implicit-def: $vgpr0_vgpr1
	s_branch .LBB363_1167
.LBB363_1151:
	s_mov_b64 s[50:51], -1
	s_mov_b64 s[44:45], s[0:1]
                                        ; implicit-def: $vgpr0_vgpr1
	s_branch .LBB363_1162
.LBB363_1152:
	s_mov_b64 s[50:51], -1
	s_mov_b64 s[44:45], s[0:1]
	s_branch .LBB363_1156
.LBB363_1153:
	s_andn2_saveexec_b64 s[48:49], s[48:49]
	s_cbranch_execz .LBB363_1048
.LBB363_1154:
	v_add_f32_e32 v2, 0x46000000, v3
	v_and_b32_e32 v2, 0xff, v2
	v_cmp_ne_u32_e32 vcc, 0, v2
	s_andn2_b64 s[46:47], s[46:47], exec
	s_and_b64 s[54:55], vcc, exec
	s_or_b64 s[46:47], s[46:47], s[54:55]
	s_or_b64 exec, exec, s[48:49]
	v_mov_b32_e32 v4, 0
	s_and_saveexec_b64 s[48:49], s[46:47]
	s_cbranch_execnz .LBB363_1049
	s_branch .LBB363_1050
.LBB363_1155:
	s_mov_b64 s[44:45], -1
.LBB363_1156:
                                        ; implicit-def: $vgpr0_vgpr1
.LBB363_1157:
	s_and_b64 vcc, exec, s[50:51]
	s_cbranch_vccz .LBB363_1161
; %bb.1158:
	s_cmp_eq_u32 s52, 44
	s_cbranch_scc0 .LBB363_1160
; %bb.1159:
	global_load_ubyte v0, v[2:3], off
	s_mov_b64 s[44:45], 0
	s_mov_b64 s[48:49], -1
	s_waitcnt vmcnt(0)
	v_lshlrev_b32_e32 v1, 23, v0
	v_trunc_f32_e32 v1, v1
	v_mul_f32_e32 v4, 0x2f800000, v1
	v_floor_f32_e32 v4, v4
	v_fmac_f32_e32 v1, 0xcf800000, v4
	v_cvt_u32_f32_e32 v4, v4
	v_cvt_u32_f32_e32 v5, v1
	v_cmp_ne_u32_e32 vcc, 0, v0
	v_cndmask_b32_e32 v1, 0, v4, vcc
	v_cndmask_b32_e32 v0, 0, v5, vcc
	s_branch .LBB363_1161
.LBB363_1160:
	s_mov_b64 s[44:45], -1
                                        ; implicit-def: $vgpr0_vgpr1
.LBB363_1161:
	s_mov_b64 s[50:51], 0
.LBB363_1162:
	s_and_b64 vcc, exec, s[50:51]
	s_cbranch_vccz .LBB363_1166
; %bb.1163:
	s_cmp_eq_u32 s52, 29
	s_cbranch_scc0 .LBB363_1165
; %bb.1164:
	global_load_dwordx2 v[0:1], v[2:3], off
	s_mov_b64 s[44:45], 0
	s_mov_b64 s[48:49], -1
	s_branch .LBB363_1166
.LBB363_1165:
	s_mov_b64 s[44:45], -1
                                        ; implicit-def: $vgpr0_vgpr1
.LBB363_1166:
	s_mov_b64 s[50:51], 0
.LBB363_1167:
	s_and_b64 vcc, exec, s[50:51]
	s_cbranch_vccz .LBB363_1185
; %bb.1168:
	s_cmp_lt_i32 s52, 27
	s_cbranch_scc1 .LBB363_1171
; %bb.1169:
	s_cmp_gt_i32 s52, 27
	s_cbranch_scc0 .LBB363_1172
; %bb.1170:
	global_load_dword v0, v[2:3], off
	s_waitcnt vmcnt(1)
	v_mov_b32_e32 v1, 0
	s_mov_b64 s[48:49], 0
	s_branch .LBB363_1173
.LBB363_1171:
	s_mov_b64 s[48:49], -1
                                        ; implicit-def: $vgpr0_vgpr1
	s_branch .LBB363_1176
.LBB363_1172:
	s_mov_b64 s[48:49], -1
                                        ; implicit-def: $vgpr0_vgpr1
.LBB363_1173:
	s_andn2_b64 vcc, exec, s[48:49]
	s_cbranch_vccnz .LBB363_1175
; %bb.1174:
	global_load_ushort v0, v[2:3], off
	s_mov_b32 s48, 0
	s_waitcnt vmcnt(1)
	v_mov_b32_e32 v1, s48
	s_waitcnt vmcnt(0)
	v_and_b32_e32 v0, 0xffff, v0
.LBB363_1175:
	s_mov_b64 s[48:49], 0
.LBB363_1176:
	s_andn2_b64 vcc, exec, s[48:49]
	s_cbranch_vccnz .LBB363_1184
; %bb.1177:
	global_load_ubyte v4, v[2:3], off
	s_movk_i32 s48, 0x7f
	s_mov_b64 s[50:51], 0
	s_waitcnt vmcnt(0)
	v_cmp_lt_i16_e32 vcc, s48, v4
	s_and_saveexec_b64 s[48:49], vcc
	s_xor_b64 s[48:49], exec, s[48:49]
; %bb.1178:
	s_movk_i32 s50, 0x80
	v_cmp_ne_u16_e32 vcc, s50, v4
	s_and_b64 s[50:51], vcc, exec
; %bb.1179:
	s_andn2_saveexec_b64 s[48:49], s[48:49]
; %bb.1180:
	v_cmp_ne_u16_e32 vcc, 0, v4
	s_andn2_b64 s[50:51], s[50:51], exec
	s_and_b64 s[54:55], vcc, exec
	s_or_b64 s[50:51], s[50:51], s[54:55]
; %bb.1181:
	s_or_b64 exec, exec, s[48:49]
	v_mov_b32_e32 v0, 0
	v_mov_b32_e32 v1, 0
	s_and_saveexec_b64 s[48:49], s[50:51]
	s_cbranch_execz .LBB363_1183
; %bb.1182:
	v_and_b32_e32 v1, 0xffff, v4
	v_lshlrev_b32_e32 v0, 24, v4
	v_and_b32_e32 v4, 7, v1
	v_ffbh_u32_e32 v6, v4
	v_min_u32_e32 v6, 32, v6
	v_subrev_u32_e32 v7, 28, v6
	v_bfe_u32 v5, v1, 3, 4
	v_lshlrev_b32_e32 v1, v7, v1
	v_sub_u32_e32 v6, 29, v6
	v_and_b32_e32 v1, 7, v1
	v_cmp_eq_u32_e32 vcc, 0, v5
	v_cndmask_b32_e32 v5, v5, v6, vcc
	v_cndmask_b32_e32 v1, v4, v1, vcc
	v_mov_b32_e32 v4, 0x3b800000
	v_lshlrev_b32_e32 v1, 20, v1
	v_and_b32_e32 v0, 0x80000000, v0
	v_lshl_add_u32 v4, v5, 23, v4
	v_or3_b32 v0, v0, v4, v1
	v_trunc_f32_e32 v0, v0
	v_mul_f32_e32 v1, 0x2f800000, v0
	v_floor_f32_e32 v1, v1
	v_fmac_f32_e32 v0, 0xcf800000, v1
	v_cvt_u32_f32_e32 v0, v0
	v_cvt_u32_f32_e32 v1, v1
.LBB363_1183:
	s_or_b64 exec, exec, s[48:49]
.LBB363_1184:
	s_mov_b64 s[48:49], -1
.LBB363_1185:
	s_mov_b64 s[50:51], 0
.LBB363_1186:
	s_and_b64 vcc, exec, s[50:51]
	s_cbranch_vccz .LBB363_1215
; %bb.1187:
	s_cmp_gt_i32 s52, 22
	s_cbranch_scc0 .LBB363_1197
; %bb.1188:
	s_cmp_lt_i32 s52, 24
	s_cbranch_scc1 .LBB363_1198
; %bb.1189:
	s_cmp_gt_i32 s52, 24
	s_cbranch_scc0 .LBB363_1199
; %bb.1190:
	global_load_ubyte v4, v[2:3], off
	s_movk_i32 s46, 0x7f
	s_mov_b64 s[48:49], 0
	s_waitcnt vmcnt(0)
	v_cmp_lt_i16_e32 vcc, s46, v4
	s_and_saveexec_b64 s[46:47], vcc
	s_xor_b64 s[46:47], exec, s[46:47]
; %bb.1191:
	s_movk_i32 s48, 0x80
	v_cmp_ne_u16_e32 vcc, s48, v4
	s_and_b64 s[48:49], vcc, exec
; %bb.1192:
	s_andn2_saveexec_b64 s[46:47], s[46:47]
; %bb.1193:
	v_cmp_ne_u16_e32 vcc, 0, v4
	s_andn2_b64 s[48:49], s[48:49], exec
	s_and_b64 s[50:51], vcc, exec
	s_or_b64 s[48:49], s[48:49], s[50:51]
; %bb.1194:
	s_or_b64 exec, exec, s[46:47]
	v_mov_b32_e32 v0, 0
	v_mov_b32_e32 v1, 0
	s_and_saveexec_b64 s[46:47], s[48:49]
	s_cbranch_execz .LBB363_1196
; %bb.1195:
	v_and_b32_e32 v1, 0xffff, v4
	v_lshlrev_b32_e32 v0, 24, v4
	v_and_b32_e32 v4, 3, v1
	v_ffbh_u32_e32 v6, v4
	v_min_u32_e32 v6, 32, v6
	v_subrev_u32_e32 v7, 29, v6
	v_bfe_u32 v5, v1, 2, 5
	v_lshlrev_b32_e32 v1, v7, v1
	v_sub_u32_e32 v6, 30, v6
	v_and_b32_e32 v1, 3, v1
	v_cmp_eq_u32_e32 vcc, 0, v5
	v_cndmask_b32_e32 v5, v5, v6, vcc
	v_cndmask_b32_e32 v1, v4, v1, vcc
	v_mov_b32_e32 v4, 0x37800000
	v_lshlrev_b32_e32 v1, 21, v1
	v_and_b32_e32 v0, 0x80000000, v0
	v_lshl_add_u32 v4, v5, 23, v4
	v_or3_b32 v0, v0, v4, v1
	v_trunc_f32_e32 v0, v0
	v_mul_f32_e32 v1, 0x2f800000, v0
	v_floor_f32_e32 v1, v1
	v_fmac_f32_e32 v0, 0xcf800000, v1
	v_cvt_u32_f32_e32 v0, v0
	v_cvt_u32_f32_e32 v1, v1
.LBB363_1196:
	s_or_b64 exec, exec, s[46:47]
	s_mov_b64 s[46:47], 0
	s_branch .LBB363_1200
.LBB363_1197:
	s_mov_b64 s[46:47], -1
                                        ; implicit-def: $vgpr0_vgpr1
	s_branch .LBB363_1206
.LBB363_1198:
	s_mov_b64 s[46:47], -1
                                        ; implicit-def: $vgpr0_vgpr1
	s_branch .LBB363_1203
.LBB363_1199:
	s_mov_b64 s[46:47], -1
                                        ; implicit-def: $vgpr0_vgpr1
.LBB363_1200:
	s_and_b64 vcc, exec, s[46:47]
	s_cbranch_vccz .LBB363_1202
; %bb.1201:
	global_load_ubyte v0, v[2:3], off
	s_mov_b32 s46, 0x7f800000
	s_brev_b32 s47, 1
	s_waitcnt vmcnt(0)
	v_lshlrev_b32_e32 v0, 24, v0
	v_and_b32_e32 v1, 0x7f000000, v0
	v_ffbh_u32_e32 v4, v1
	v_min_u32_e32 v4, 32, v4
	v_sub_u32_e64 v4, v4, 4 clamp
	v_lshlrev_b32_e32 v6, v4, v1
	v_lshlrev_b32_e32 v4, 23, v4
	v_lshrrev_b32_e32 v6, 4, v6
	v_add_u32_e32 v5, 0x1000000, v1
	v_sub_u32_e32 v4, v6, v4
	v_ashrrev_i32_e32 v5, 8, v5
	v_add_u32_e32 v4, 0x3c000000, v4
	v_and_or_b32 v4, v5, s46, v4
	v_cmp_ne_u32_e32 vcc, 0, v1
	v_cndmask_b32_e32 v1, 0, v4, vcc
	v_and_or_b32 v0, v0, s47, v1
	v_trunc_f32_e32 v0, v0
	v_mul_f32_e32 v1, 0x2f800000, v0
	v_floor_f32_e32 v1, v1
	v_fmac_f32_e32 v0, 0xcf800000, v1
	v_cvt_u32_f32_e32 v0, v0
	v_cvt_u32_f32_e32 v1, v1
.LBB363_1202:
	s_mov_b64 s[46:47], 0
.LBB363_1203:
	s_andn2_b64 vcc, exec, s[46:47]
	s_cbranch_vccnz .LBB363_1205
; %bb.1204:
	global_load_ubyte v0, v[2:3], off
	s_movk_i32 s46, 0x7f00
	s_brev_b32 s47, 16
	s_brev_b32 s48, 1
	s_waitcnt vmcnt(0)
	v_lshlrev_b16_e32 v1, 8, v0
	v_lshlrev_b32_e32 v0, 25, v0
	v_lshrrev_b32_e32 v4, 4, v0
	v_and_or_b32 v5, v1, s46, 0.5
	v_or_b32_e32 v4, 0x70000000, v4
	v_add_f32_e32 v5, -0.5, v5
	v_mul_f32_e32 v4, 0x7800000, v4
	v_cmp_gt_u32_e32 vcc, s47, v0
	v_bfe_i32 v1, v1, 0, 16
	v_cndmask_b32_e32 v0, v4, v5, vcc
	v_and_or_b32 v0, v1, s48, v0
	v_trunc_f32_e32 v0, v0
	v_mul_f32_e32 v1, 0x2f800000, v0
	v_floor_f32_e32 v1, v1
	v_fmac_f32_e32 v0, 0xcf800000, v1
	v_cvt_u32_f32_e32 v0, v0
	v_cvt_u32_f32_e32 v1, v1
.LBB363_1205:
	s_mov_b64 s[46:47], 0
	s_mov_b64 s[48:49], -1
.LBB363_1206:
	s_andn2_b64 vcc, exec, s[46:47]
	s_mov_b64 s[46:47], 0
	s_cbranch_vccnz .LBB363_1215
; %bb.1207:
	s_cmp_gt_i32 s52, 14
	s_cbranch_scc0 .LBB363_1210
; %bb.1208:
	s_cmp_eq_u32 s52, 15
	s_cbranch_scc0 .LBB363_1211
; %bb.1209:
	global_load_ushort v0, v[2:3], off
	s_mov_b64 s[44:45], 0
	s_mov_b64 s[48:49], -1
	s_waitcnt vmcnt(0)
	v_lshlrev_b32_e32 v0, 16, v0
	v_trunc_f32_e32 v0, v0
	v_mul_f32_e32 v1, 0x2f800000, v0
	v_floor_f32_e32 v1, v1
	v_fmac_f32_e32 v0, 0xcf800000, v1
	v_cvt_u32_f32_e32 v0, v0
	v_cvt_u32_f32_e32 v1, v1
	s_branch .LBB363_1212
.LBB363_1210:
	s_mov_b64 s[50:51], -1
                                        ; implicit-def: $vgpr0_vgpr1
	s_branch .LBB363_1213
.LBB363_1211:
	s_mov_b64 s[44:45], -1
                                        ; implicit-def: $vgpr0_vgpr1
.LBB363_1212:
	s_mov_b64 s[50:51], 0
.LBB363_1213:
	s_and_b64 vcc, exec, s[50:51]
	s_cbranch_vccz .LBB363_1215
; %bb.1214:
	s_cmp_lg_u32 s52, 11
	s_cselect_b64 s[50:51], -1, 0
	s_andn2_b64 s[44:45], s[44:45], exec
	s_and_b64 s[50:51], s[50:51], exec
	s_mov_b64 s[46:47], -1
	s_or_b64 s[44:45], s[44:45], s[50:51]
.LBB363_1215:
	s_mov_b64 s[50:51], 0
.LBB363_1216:
	s_and_b64 s[54:55], s[48:49], exec
	s_and_b64 s[48:49], s[46:47], exec
	s_andn2_b64 s[46:47], s[0:1], exec
	s_and_b64 s[44:45], s[44:45], exec
	s_and_b64 s[52:53], s[50:51], exec
	s_or_b64 s[50:51], s[46:47], s[44:45]
.LBB363_1217:
	s_or_b64 exec, exec, s[38:39]
	s_and_b64 s[44:45], s[48:49], exec
	s_andn2_b64 s[0:1], s[0:1], exec
	s_and_b64 s[48:49], s[50:51], exec
	s_and_b64 s[46:47], s[54:55], exec
	;; [unrolled: 1-line block ×3, first 2 shown]
	s_or_b64 s[0:1], s[0:1], s[48:49]
.LBB363_1218:
	s_or_b64 exec, exec, s[36:37]
	s_andn2_b64 s[30:31], s[30:31], exec
	s_and_b64 s[36:37], s[42:43], exec
	s_or_b64 s[30:31], s[30:31], s[36:37]
	s_andn2_b64 s[28:29], s[28:29], exec
	s_and_b64 s[36:37], s[40:41], exec
	s_andn2_b64 s[26:27], s[26:27], exec
	s_and_b64 s[0:1], s[0:1], exec
	s_or_b64 s[28:29], s[28:29], s[36:37]
	s_and_b64 s[40:41], s[46:47], exec
	s_and_b64 s[38:39], s[38:39], exec
	;; [unrolled: 1-line block ×3, first 2 shown]
	s_or_b64 s[26:27], s[26:27], s[0:1]
.LBB363_1219:
	s_or_b64 exec, exec, s[34:35]
	s_andn2_b64 s[0:1], s[18:19], exec
	s_and_b64 s[18:19], s[30:31], exec
	s_or_b64 s[18:19], s[0:1], s[18:19]
	s_andn2_b64 s[0:1], s[20:21], exec
	s_and_b64 s[20:21], s[28:29], exec
	s_or_b64 s[20:21], s[0:1], s[20:21]
	s_andn2_b64 s[0:1], s[22:23], exec
	s_and_b64 s[22:23], s[26:27], exec
	s_and_b64 s[30:31], s[40:41], exec
	;; [unrolled: 1-line block ×4, first 2 shown]
	s_or_b64 s[22:23], s[0:1], s[22:23]
	s_or_b64 exec, exec, s[24:25]
	s_mov_b64 s[24:25], 0
	s_and_saveexec_b64 s[0:1], s[22:23]
	s_cbranch_execz .LBB363_385
.LBB363_1220:
	s_mov_b64 s[24:25], exec
	s_andn2_b64 s[28:29], s[28:29], exec
	s_trap 2
	s_or_b64 exec, exec, s[0:1]
	s_and_saveexec_b64 s[0:1], s[28:29]
	s_xor_b64 s[0:1], exec, s[0:1]
	s_cbranch_execnz .LBB363_386
.LBB363_1221:
	s_or_b64 exec, exec, s[0:1]
	s_and_saveexec_b64 s[0:1], s[34:35]
	s_cbranch_execz .LBB363_1267
.LBB363_1222:
	s_sext_i32_i16 s22, s58
	s_cmp_lt_i32 s22, 5
	s_cbranch_scc1 .LBB363_1227
; %bb.1223:
	s_cmp_lt_i32 s22, 8
	s_cbranch_scc1 .LBB363_1228
; %bb.1224:
	;; [unrolled: 3-line block ×3, first 2 shown]
	s_cmp_gt_i32 s22, 9
	s_cbranch_scc0 .LBB363_1230
; %bb.1226:
	global_load_dwordx2 v[0:1], v[2:3], off
	s_movk_i32 s22, 0xffe0
	s_waitcnt vmcnt(0)
	v_trunc_f64_e32 v[0:1], v[0:1]
	v_ldexp_f64 v[4:5], v[0:1], s22
	s_mov_b32 s22, 0
	s_mov_b32 s23, 0xc1f00000
	v_floor_f64_e32 v[4:5], v[4:5]
	v_fma_f64 v[6:7], v[4:5], s[22:23], v[0:1]
	v_cvt_u32_f64_e32 v1, v[4:5]
	s_mov_b64 s[22:23], 0
	v_cvt_u32_f64_e32 v0, v[6:7]
	s_branch .LBB363_1231
.LBB363_1227:
                                        ; implicit-def: $vgpr0_vgpr1
	s_branch .LBB363_1248
.LBB363_1228:
                                        ; implicit-def: $vgpr0_vgpr1
	s_branch .LBB363_1237
.LBB363_1229:
	s_mov_b64 s[22:23], -1
                                        ; implicit-def: $vgpr0_vgpr1
	s_branch .LBB363_1234
.LBB363_1230:
	s_mov_b64 s[22:23], -1
                                        ; implicit-def: $vgpr0_vgpr1
.LBB363_1231:
	s_andn2_b64 vcc, exec, s[22:23]
	s_cbranch_vccnz .LBB363_1233
; %bb.1232:
	global_load_dword v0, v[2:3], off
	s_waitcnt vmcnt(0)
	v_trunc_f32_e32 v0, v0
	v_mul_f32_e32 v1, 0x2f800000, v0
	v_floor_f32_e32 v4, v1
	v_fmac_f32_e32 v0, 0xcf800000, v4
	v_cvt_u32_f32_e32 v1, v4
	v_cvt_u32_f32_e32 v0, v0
.LBB363_1233:
	s_mov_b64 s[22:23], 0
.LBB363_1234:
	s_andn2_b64 vcc, exec, s[22:23]
	s_cbranch_vccnz .LBB363_1236
; %bb.1235:
	global_load_dword v0, v[2:3], off
	s_waitcnt vmcnt(1)
	v_mov_b32_e32 v1, 0
	s_waitcnt vmcnt(0)
	v_cvt_f32_f16_e32 v0, v0
	v_cvt_u32_f32_e32 v0, v0
.LBB363_1236:
	s_cbranch_execnz .LBB363_1247
.LBB363_1237:
	s_sext_i32_i16 s22, s58
	s_cmp_lt_i32 s22, 6
	s_cbranch_scc1 .LBB363_1240
; %bb.1238:
	s_cmp_gt_i32 s22, 6
	s_cbranch_scc0 .LBB363_1241
; %bb.1239:
	global_load_dwordx2 v[0:1], v[2:3], off
	s_movk_i32 s22, 0xffe0
	s_waitcnt vmcnt(0)
	v_trunc_f64_e32 v[0:1], v[0:1]
	v_ldexp_f64 v[4:5], v[0:1], s22
	s_mov_b32 s22, 0
	s_mov_b32 s23, 0xc1f00000
	v_floor_f64_e32 v[4:5], v[4:5]
	v_fma_f64 v[6:7], v[4:5], s[22:23], v[0:1]
	v_cvt_u32_f64_e32 v1, v[4:5]
	s_mov_b64 s[22:23], 0
	v_cvt_u32_f64_e32 v0, v[6:7]
	s_branch .LBB363_1242
.LBB363_1240:
	s_mov_b64 s[22:23], -1
                                        ; implicit-def: $vgpr0_vgpr1
	s_branch .LBB363_1245
.LBB363_1241:
	s_mov_b64 s[22:23], -1
                                        ; implicit-def: $vgpr0_vgpr1
.LBB363_1242:
	s_andn2_b64 vcc, exec, s[22:23]
	s_cbranch_vccnz .LBB363_1244
; %bb.1243:
	global_load_dword v0, v[2:3], off
	s_waitcnt vmcnt(0)
	v_trunc_f32_e32 v0, v0
	v_mul_f32_e32 v1, 0x2f800000, v0
	v_floor_f32_e32 v4, v1
	v_fmac_f32_e32 v0, 0xcf800000, v4
	v_cvt_u32_f32_e32 v1, v4
	v_cvt_u32_f32_e32 v0, v0
.LBB363_1244:
	s_mov_b64 s[22:23], 0
.LBB363_1245:
	s_andn2_b64 vcc, exec, s[22:23]
	s_cbranch_vccnz .LBB363_1247
; %bb.1246:
	global_load_ushort v0, v[2:3], off
	s_waitcnt vmcnt(1)
	v_mov_b32_e32 v1, 0
	s_waitcnt vmcnt(0)
	v_cvt_f32_f16_e32 v0, v0
	v_cvt_u32_f32_e32 v0, v0
.LBB363_1247:
	s_cbranch_execnz .LBB363_1266
.LBB363_1248:
	s_sext_i32_i16 s22, s58
	s_cmp_lt_i32 s22, 2
	s_cbranch_scc1 .LBB363_1252
; %bb.1249:
	s_cmp_lt_i32 s22, 3
	s_cbranch_scc1 .LBB363_1253
; %bb.1250:
	s_cmp_gt_i32 s22, 3
	s_cbranch_scc0 .LBB363_1254
; %bb.1251:
	global_load_dwordx2 v[0:1], v[2:3], off
	s_mov_b64 s[22:23], 0
	s_branch .LBB363_1255
.LBB363_1252:
                                        ; implicit-def: $vgpr0_vgpr1
	s_branch .LBB363_1261
.LBB363_1253:
	s_mov_b64 s[22:23], -1
                                        ; implicit-def: $vgpr0_vgpr1
	s_branch .LBB363_1258
.LBB363_1254:
	s_mov_b64 s[22:23], -1
                                        ; implicit-def: $vgpr0_vgpr1
.LBB363_1255:
	s_andn2_b64 vcc, exec, s[22:23]
	s_cbranch_vccnz .LBB363_1257
; %bb.1256:
	global_load_dword v0, v[2:3], off
	s_waitcnt vmcnt(0)
	v_ashrrev_i32_e32 v1, 31, v0
.LBB363_1257:
	s_mov_b64 s[22:23], 0
.LBB363_1258:
	s_andn2_b64 vcc, exec, s[22:23]
	s_cbranch_vccnz .LBB363_1260
; %bb.1259:
	global_load_ushort v0, v[2:3], off
	s_waitcnt vmcnt(0)
	v_bfe_i32 v0, v0, 0, 16
	v_ashrrev_i32_e32 v1, 31, v0
.LBB363_1260:
	s_cbranch_execnz .LBB363_1266
.LBB363_1261:
	s_sext_i32_i16 s22, s58
	s_cmp_gt_i32 s22, 0
	s_cbranch_scc0 .LBB363_1263
; %bb.1262:
	global_load_sbyte v0, v[2:3], off
	s_mov_b64 s[22:23], 0
	s_waitcnt vmcnt(0)
	v_bfe_i32 v0, v0, 0, 16
	v_ashrrev_i32_e32 v1, 31, v0
	s_branch .LBB363_1264
.LBB363_1263:
	s_mov_b64 s[22:23], -1
                                        ; implicit-def: $vgpr0_vgpr1
.LBB363_1264:
	s_andn2_b64 vcc, exec, s[22:23]
	s_cbranch_vccnz .LBB363_1266
; %bb.1265:
	global_load_ubyte v0, v[2:3], off
	s_mov_b32 s22, 0
	s_waitcnt vmcnt(1)
	v_mov_b32_e32 v1, s22
	s_waitcnt vmcnt(0)
	v_and_b32_e32 v0, 0xffff, v0
.LBB363_1266:
	s_or_b64 s[30:31], s[30:31], exec
.LBB363_1267:
	s_or_b64 exec, exec, s[0:1]
	s_mov_b64 s[28:29], 0
	s_mov_b64 s[34:35], 0
	;; [unrolled: 1-line block ×3, first 2 shown]
                                        ; implicit-def: $sgpr36
                                        ; implicit-def: $vgpr2_vgpr3
                                        ; implicit-def: $vgpr4_vgpr5
	s_and_saveexec_b64 s[0:1], s[30:31]
	s_cbranch_execz .LBB363_1275
; %bb.1268:
	v_mul_lo_u32 v2, v18, s14
	v_mov_b32_e32 v3, s3
	s_and_b32 s36, s56, 0xff
	s_cmp_lt_i32 s36, 11
	s_waitcnt vmcnt(0)
	v_ashrrev_i32_e32 v4, 31, v2
	v_add_co_u32_e32 v2, vcc, s2, v2
	v_addc_co_u32_e32 v3, vcc, v3, v4, vcc
	s_cbranch_scc1 .LBB363_1278
; %bb.1269:
	s_and_b32 s34, 0xffff, s36
	s_cmp_gt_i32 s34, 25
	s_cbranch_scc0 .LBB363_1279
; %bb.1270:
	s_cmp_gt_i32 s34, 28
	s_cbranch_scc0 .LBB363_1280
; %bb.1271:
	;; [unrolled: 3-line block ×4, first 2 shown]
	s_cmp_eq_u32 s34, 46
	s_mov_b64 s[30:31], 0
	s_cbranch_scc0 .LBB363_1283
; %bb.1274:
	global_load_dword v4, v[2:3], off
	s_mov_b64 s[22:23], 0
	s_mov_b64 s[26:27], -1
	s_waitcnt vmcnt(0)
	v_lshlrev_b32_e32 v4, 16, v4
	v_trunc_f32_e32 v4, v4
	v_mul_f32_e32 v5, 0x2f800000, v4
	v_floor_f32_e32 v5, v5
	v_fmac_f32_e32 v4, 0xcf800000, v5
	v_cvt_u32_f32_e32 v4, v4
	v_cvt_u32_f32_e32 v5, v5
	s_branch .LBB363_1285
.LBB363_1275:
	s_or_b64 exec, exec, s[0:1]
	s_and_saveexec_b64 s[0:1], s[20:21]
	s_cbranch_execnz .LBB363_1344
.LBB363_1276:
	s_or_b64 exec, exec, s[0:1]
	s_and_saveexec_b64 s[0:1], s[28:29]
	s_xor_b64 s[0:1], exec, s[0:1]
	s_cbranch_execz .LBB363_1345
.LBB363_1277:
	global_load_ubyte v4, v[2:3], off
	s_mov_b32 s20, 0
	s_waitcnt vmcnt(1)
	v_mov_b32_e32 v5, s20
	s_or_b64 s[26:27], s[26:27], exec
	s_waitcnt vmcnt(0)
	v_cmp_ne_u16_e32 vcc, 0, v4
	v_cndmask_b32_e64 v4, 0, 1, vcc
	s_or_b64 exec, exec, s[0:1]
	s_and_saveexec_b64 s[0:1], s[34:35]
	s_cbranch_execz .LBB363_1391
	s_branch .LBB363_1346
.LBB363_1278:
	s_mov_b64 s[30:31], -1
                                        ; implicit-def: $vgpr4_vgpr5
	s_mov_b64 s[22:23], s[20:21]
	s_branch .LBB363_1343
.LBB363_1279:
	s_mov_b64 s[22:23], s[20:21]
                                        ; implicit-def: $vgpr4_vgpr5
	s_cbranch_execnz .LBB363_1314
	s_branch .LBB363_1342
.LBB363_1280:
	s_mov_b64 s[30:31], -1
	s_mov_b64 s[22:23], s[20:21]
                                        ; implicit-def: $vgpr4_vgpr5
	s_branch .LBB363_1295
.LBB363_1281:
	s_mov_b64 s[30:31], -1
	s_mov_b64 s[22:23], s[20:21]
                                        ; implicit-def: $vgpr4_vgpr5
	s_branch .LBB363_1290
.LBB363_1282:
	s_mov_b64 s[30:31], -1
	s_mov_b64 s[22:23], s[20:21]
	s_branch .LBB363_1284
.LBB363_1283:
	s_mov_b64 s[22:23], -1
.LBB363_1284:
                                        ; implicit-def: $vgpr4_vgpr5
.LBB363_1285:
	s_and_b64 vcc, exec, s[30:31]
	s_cbranch_vccz .LBB363_1289
; %bb.1286:
	s_cmp_eq_u32 s34, 44
	s_cbranch_scc0 .LBB363_1288
; %bb.1287:
	global_load_ubyte v4, v[2:3], off
	s_mov_b64 s[22:23], 0
	s_mov_b64 s[26:27], -1
	s_waitcnt vmcnt(0)
	v_lshlrev_b32_e32 v5, 23, v4
	v_trunc_f32_e32 v5, v5
	v_mul_f32_e32 v6, 0x2f800000, v5
	v_floor_f32_e32 v6, v6
	v_fmac_f32_e32 v5, 0xcf800000, v6
	v_cvt_u32_f32_e32 v6, v6
	v_cvt_u32_f32_e32 v7, v5
	v_cmp_ne_u32_e32 vcc, 0, v4
	v_cndmask_b32_e32 v5, 0, v6, vcc
	v_cndmask_b32_e32 v4, 0, v7, vcc
	s_branch .LBB363_1289
.LBB363_1288:
	s_mov_b64 s[22:23], -1
                                        ; implicit-def: $vgpr4_vgpr5
.LBB363_1289:
	s_mov_b64 s[30:31], 0
.LBB363_1290:
	s_and_b64 vcc, exec, s[30:31]
	s_cbranch_vccz .LBB363_1294
; %bb.1291:
	s_cmp_eq_u32 s34, 29
	s_cbranch_scc0 .LBB363_1293
; %bb.1292:
	global_load_dwordx2 v[4:5], v[2:3], off
	s_mov_b64 s[22:23], 0
	s_mov_b64 s[26:27], -1
	s_branch .LBB363_1294
.LBB363_1293:
	s_mov_b64 s[22:23], -1
                                        ; implicit-def: $vgpr4_vgpr5
.LBB363_1294:
	s_mov_b64 s[30:31], 0
.LBB363_1295:
	s_and_b64 vcc, exec, s[30:31]
	s_cbranch_vccz .LBB363_1313
; %bb.1296:
	s_cmp_lt_i32 s34, 27
	s_cbranch_scc1 .LBB363_1299
; %bb.1297:
	s_cmp_gt_i32 s34, 27
	s_cbranch_scc0 .LBB363_1300
; %bb.1298:
	global_load_dword v4, v[2:3], off
	s_waitcnt vmcnt(1)
	v_mov_b32_e32 v5, 0
	s_mov_b64 s[26:27], 0
	s_branch .LBB363_1301
.LBB363_1299:
	s_mov_b64 s[26:27], -1
                                        ; implicit-def: $vgpr4_vgpr5
	s_branch .LBB363_1304
.LBB363_1300:
	s_mov_b64 s[26:27], -1
                                        ; implicit-def: $vgpr4_vgpr5
.LBB363_1301:
	s_andn2_b64 vcc, exec, s[26:27]
	s_cbranch_vccnz .LBB363_1303
; %bb.1302:
	global_load_ushort v4, v[2:3], off
	s_mov_b32 s26, 0
	s_waitcnt vmcnt(1)
	v_mov_b32_e32 v5, s26
	s_waitcnt vmcnt(0)
	v_and_b32_e32 v4, 0xffff, v4
.LBB363_1303:
	s_mov_b64 s[26:27], 0
.LBB363_1304:
	s_andn2_b64 vcc, exec, s[26:27]
	s_cbranch_vccnz .LBB363_1312
; %bb.1305:
	global_load_ubyte v6, v[2:3], off
	s_movk_i32 s26, 0x7f
	s_mov_b64 s[30:31], 0
	s_waitcnt vmcnt(0)
	v_cmp_lt_i16_e32 vcc, s26, v6
	s_and_saveexec_b64 s[26:27], vcc
	s_xor_b64 s[26:27], exec, s[26:27]
; %bb.1306:
	s_movk_i32 s30, 0x80
	v_cmp_ne_u16_e32 vcc, s30, v6
	s_and_b64 s[30:31], vcc, exec
; %bb.1307:
	s_andn2_saveexec_b64 s[26:27], s[26:27]
; %bb.1308:
	v_cmp_ne_u16_e32 vcc, 0, v6
	s_andn2_b64 s[30:31], s[30:31], exec
	s_and_b64 s[38:39], vcc, exec
	s_or_b64 s[30:31], s[30:31], s[38:39]
; %bb.1309:
	s_or_b64 exec, exec, s[26:27]
	v_mov_b32_e32 v4, 0
	v_mov_b32_e32 v5, 0
	s_and_saveexec_b64 s[26:27], s[30:31]
	s_cbranch_execz .LBB363_1311
; %bb.1310:
	v_and_b32_e32 v5, 0xffff, v6
	v_lshlrev_b32_e32 v4, 24, v6
	v_and_b32_e32 v6, 7, v5
	v_ffbh_u32_e32 v8, v6
	v_min_u32_e32 v8, 32, v8
	v_subrev_u32_e32 v9, 28, v8
	v_bfe_u32 v7, v5, 3, 4
	v_lshlrev_b32_e32 v5, v9, v5
	v_sub_u32_e32 v8, 29, v8
	v_and_b32_e32 v5, 7, v5
	v_cmp_eq_u32_e32 vcc, 0, v7
	v_cndmask_b32_e32 v7, v7, v8, vcc
	v_cndmask_b32_e32 v5, v6, v5, vcc
	v_mov_b32_e32 v6, 0x3b800000
	v_lshlrev_b32_e32 v5, 20, v5
	v_and_b32_e32 v4, 0x80000000, v4
	v_lshl_add_u32 v6, v7, 23, v6
	v_or3_b32 v4, v4, v6, v5
	v_trunc_f32_e32 v4, v4
	v_mul_f32_e32 v5, 0x2f800000, v4
	v_floor_f32_e32 v5, v5
	v_fmac_f32_e32 v4, 0xcf800000, v5
	v_cvt_u32_f32_e32 v4, v4
	v_cvt_u32_f32_e32 v5, v5
.LBB363_1311:
	s_or_b64 exec, exec, s[26:27]
.LBB363_1312:
	s_mov_b64 s[26:27], -1
.LBB363_1313:
	s_branch .LBB363_1342
.LBB363_1314:
	s_cmp_gt_i32 s34, 22
	s_cbranch_scc0 .LBB363_1324
; %bb.1315:
	s_cmp_lt_i32 s34, 24
	s_cbranch_scc1 .LBB363_1325
; %bb.1316:
	s_cmp_gt_i32 s34, 24
	s_cbranch_scc0 .LBB363_1326
; %bb.1317:
	global_load_ubyte v6, v[2:3], off
	s_movk_i32 s26, 0x7f
	s_waitcnt vmcnt(0)
	v_cmp_lt_i16_e32 vcc, s26, v6
	s_and_saveexec_b64 s[26:27], vcc
	s_xor_b64 s[26:27], exec, s[26:27]
; %bb.1318:
	s_movk_i32 s28, 0x80
	v_cmp_ne_u16_e32 vcc, s28, v6
	s_and_b64 s[28:29], vcc, exec
; %bb.1319:
	s_andn2_saveexec_b64 s[26:27], s[26:27]
; %bb.1320:
	v_cmp_ne_u16_e32 vcc, 0, v6
	s_andn2_b64 s[28:29], s[28:29], exec
	s_and_b64 s[30:31], vcc, exec
	s_or_b64 s[28:29], s[28:29], s[30:31]
; %bb.1321:
	s_or_b64 exec, exec, s[26:27]
	v_mov_b32_e32 v4, 0
	v_mov_b32_e32 v5, 0
	s_and_saveexec_b64 s[26:27], s[28:29]
	s_cbranch_execz .LBB363_1323
; %bb.1322:
	v_and_b32_e32 v5, 0xffff, v6
	v_lshlrev_b32_e32 v4, 24, v6
	v_and_b32_e32 v6, 3, v5
	v_ffbh_u32_e32 v8, v6
	v_min_u32_e32 v8, 32, v8
	v_subrev_u32_e32 v9, 29, v8
	v_bfe_u32 v7, v5, 2, 5
	v_lshlrev_b32_e32 v5, v9, v5
	v_sub_u32_e32 v8, 30, v8
	v_and_b32_e32 v5, 3, v5
	v_cmp_eq_u32_e32 vcc, 0, v7
	v_cndmask_b32_e32 v7, v7, v8, vcc
	v_cndmask_b32_e32 v5, v6, v5, vcc
	v_mov_b32_e32 v6, 0x37800000
	v_lshlrev_b32_e32 v5, 21, v5
	v_and_b32_e32 v4, 0x80000000, v4
	v_lshl_add_u32 v6, v7, 23, v6
	v_or3_b32 v4, v4, v6, v5
	v_trunc_f32_e32 v4, v4
	v_mul_f32_e32 v5, 0x2f800000, v4
	v_floor_f32_e32 v5, v5
	v_fmac_f32_e32 v4, 0xcf800000, v5
	v_cvt_u32_f32_e32 v4, v4
	v_cvt_u32_f32_e32 v5, v5
.LBB363_1323:
	s_or_b64 exec, exec, s[26:27]
	s_mov_b64 s[26:27], 0
	s_branch .LBB363_1327
.LBB363_1324:
	s_mov_b64 s[28:29], -1
                                        ; implicit-def: $vgpr4_vgpr5
	s_branch .LBB363_1333
.LBB363_1325:
	s_mov_b64 s[26:27], -1
                                        ; implicit-def: $vgpr4_vgpr5
	s_branch .LBB363_1330
.LBB363_1326:
	s_mov_b64 s[26:27], -1
                                        ; implicit-def: $vgpr4_vgpr5
.LBB363_1327:
	s_and_b64 vcc, exec, s[26:27]
	s_cbranch_vccz .LBB363_1329
; %bb.1328:
	global_load_ubyte v4, v[2:3], off
	s_mov_b32 s26, 0x7f800000
	s_brev_b32 s27, 1
	s_waitcnt vmcnt(0)
	v_lshlrev_b32_e32 v4, 24, v4
	v_and_b32_e32 v5, 0x7f000000, v4
	v_ffbh_u32_e32 v6, v5
	v_min_u32_e32 v6, 32, v6
	v_sub_u32_e64 v6, v6, 4 clamp
	v_lshlrev_b32_e32 v8, v6, v5
	v_lshlrev_b32_e32 v6, 23, v6
	v_lshrrev_b32_e32 v8, 4, v8
	v_add_u32_e32 v7, 0x1000000, v5
	v_sub_u32_e32 v6, v8, v6
	v_ashrrev_i32_e32 v7, 8, v7
	v_add_u32_e32 v6, 0x3c000000, v6
	v_and_or_b32 v6, v7, s26, v6
	v_cmp_ne_u32_e32 vcc, 0, v5
	v_cndmask_b32_e32 v5, 0, v6, vcc
	v_and_or_b32 v4, v4, s27, v5
	v_trunc_f32_e32 v4, v4
	v_mul_f32_e32 v5, 0x2f800000, v4
	v_floor_f32_e32 v5, v5
	v_fmac_f32_e32 v4, 0xcf800000, v5
	v_cvt_u32_f32_e32 v4, v4
	v_cvt_u32_f32_e32 v5, v5
.LBB363_1329:
	s_mov_b64 s[26:27], 0
.LBB363_1330:
	s_andn2_b64 vcc, exec, s[26:27]
	s_cbranch_vccnz .LBB363_1332
; %bb.1331:
	global_load_ubyte v4, v[2:3], off
	s_movk_i32 s26, 0x7f00
	s_brev_b32 s27, 16
	s_brev_b32 s28, 1
	s_waitcnt vmcnt(0)
	v_lshlrev_b16_e32 v5, 8, v4
	v_lshlrev_b32_e32 v4, 25, v4
	v_lshrrev_b32_e32 v6, 4, v4
	v_and_or_b32 v7, v5, s26, 0.5
	v_or_b32_e32 v6, 0x70000000, v6
	v_add_f32_e32 v7, -0.5, v7
	v_mul_f32_e32 v6, 0x7800000, v6
	v_cmp_gt_u32_e32 vcc, s27, v4
	v_bfe_i32 v5, v5, 0, 16
	v_cndmask_b32_e32 v4, v6, v7, vcc
	v_and_or_b32 v4, v5, s28, v4
	v_trunc_f32_e32 v4, v4
	v_mul_f32_e32 v5, 0x2f800000, v4
	v_floor_f32_e32 v5, v5
	v_fmac_f32_e32 v4, 0xcf800000, v5
	v_cvt_u32_f32_e32 v4, v4
	v_cvt_u32_f32_e32 v5, v5
.LBB363_1332:
	s_mov_b64 s[28:29], 0
	s_mov_b64 s[26:27], -1
.LBB363_1333:
	s_andn2_b64 vcc, exec, s[28:29]
	s_mov_b64 s[28:29], 0
	s_cbranch_vccnz .LBB363_1342
; %bb.1334:
	s_cmp_gt_i32 s34, 14
	s_cbranch_scc0 .LBB363_1337
; %bb.1335:
	s_cmp_eq_u32 s34, 15
	s_cbranch_scc0 .LBB363_1338
; %bb.1336:
	global_load_ushort v4, v[2:3], off
	s_mov_b64 s[22:23], 0
	s_mov_b64 s[26:27], -1
	s_waitcnt vmcnt(0)
	v_lshlrev_b32_e32 v4, 16, v4
	v_trunc_f32_e32 v4, v4
	v_mul_f32_e32 v5, 0x2f800000, v4
	v_floor_f32_e32 v5, v5
	v_fmac_f32_e32 v4, 0xcf800000, v5
	v_cvt_u32_f32_e32 v4, v4
	v_cvt_u32_f32_e32 v5, v5
	s_branch .LBB363_1339
.LBB363_1337:
	s_mov_b64 s[30:31], -1
                                        ; implicit-def: $vgpr4_vgpr5
	s_branch .LBB363_1340
.LBB363_1338:
	s_mov_b64 s[22:23], -1
                                        ; implicit-def: $vgpr4_vgpr5
.LBB363_1339:
	s_mov_b64 s[30:31], 0
.LBB363_1340:
	s_and_b64 vcc, exec, s[30:31]
	s_cbranch_vccz .LBB363_1342
; %bb.1341:
	s_cmp_lg_u32 s34, 11
	s_cselect_b64 s[30:31], -1, 0
	s_andn2_b64 s[22:23], s[22:23], exec
	s_and_b64 s[30:31], s[30:31], exec
	s_mov_b64 s[28:29], -1
	s_or_b64 s[22:23], s[22:23], s[30:31]
.LBB363_1342:
	s_mov_b64 s[30:31], 0
.LBB363_1343:
	s_andn2_b64 s[20:21], s[20:21], exec
	s_and_b64 s[22:23], s[22:23], exec
	s_and_b64 s[26:27], s[26:27], exec
	;; [unrolled: 1-line block ×4, first 2 shown]
	s_or_b64 s[20:21], s[20:21], s[22:23]
	s_or_b64 exec, exec, s[0:1]
	s_and_saveexec_b64 s[0:1], s[20:21]
	s_cbranch_execz .LBB363_1276
.LBB363_1344:
	s_or_b64 s[24:25], s[24:25], exec
	s_andn2_b64 s[28:29], s[28:29], exec
	s_trap 2
	s_or_b64 exec, exec, s[0:1]
	s_and_saveexec_b64 s[0:1], s[28:29]
	s_xor_b64 s[0:1], exec, s[0:1]
	s_cbranch_execnz .LBB363_1277
.LBB363_1345:
	s_or_b64 exec, exec, s[0:1]
	s_and_saveexec_b64 s[0:1], s[34:35]
	s_cbranch_execz .LBB363_1391
.LBB363_1346:
	s_sext_i32_i16 s20, s36
	s_cmp_lt_i32 s20, 5
	s_cbranch_scc1 .LBB363_1351
; %bb.1347:
	s_cmp_lt_i32 s20, 8
	s_cbranch_scc1 .LBB363_1352
; %bb.1348:
	s_cmp_lt_i32 s20, 9
	s_cbranch_scc1 .LBB363_1353
; %bb.1349:
	s_cmp_gt_i32 s20, 9
	s_cbranch_scc0 .LBB363_1354
; %bb.1350:
	global_load_dwordx2 v[4:5], v[2:3], off
	s_movk_i32 s20, 0xffe0
	s_waitcnt vmcnt(0)
	v_trunc_f64_e32 v[4:5], v[4:5]
	v_ldexp_f64 v[6:7], v[4:5], s20
	s_mov_b32 s20, 0
	s_mov_b32 s21, 0xc1f00000
	v_floor_f64_e32 v[6:7], v[6:7]
	v_fma_f64 v[8:9], v[6:7], s[20:21], v[4:5]
	v_cvt_u32_f64_e32 v5, v[6:7]
	s_mov_b64 s[20:21], 0
	v_cvt_u32_f64_e32 v4, v[8:9]
	s_branch .LBB363_1355
.LBB363_1351:
                                        ; implicit-def: $vgpr4_vgpr5
	s_branch .LBB363_1372
.LBB363_1352:
                                        ; implicit-def: $vgpr4_vgpr5
	s_branch .LBB363_1361
.LBB363_1353:
	s_mov_b64 s[20:21], -1
                                        ; implicit-def: $vgpr4_vgpr5
	s_branch .LBB363_1358
.LBB363_1354:
	s_mov_b64 s[20:21], -1
                                        ; implicit-def: $vgpr4_vgpr5
.LBB363_1355:
	s_andn2_b64 vcc, exec, s[20:21]
	s_cbranch_vccnz .LBB363_1357
; %bb.1356:
	global_load_dword v4, v[2:3], off
	s_waitcnt vmcnt(0)
	v_trunc_f32_e32 v4, v4
	v_mul_f32_e32 v5, 0x2f800000, v4
	v_floor_f32_e32 v6, v5
	v_fmac_f32_e32 v4, 0xcf800000, v6
	v_cvt_u32_f32_e32 v5, v6
	v_cvt_u32_f32_e32 v4, v4
.LBB363_1357:
	s_mov_b64 s[20:21], 0
.LBB363_1358:
	s_andn2_b64 vcc, exec, s[20:21]
	s_cbranch_vccnz .LBB363_1360
; %bb.1359:
	global_load_dword v4, v[2:3], off
	s_waitcnt vmcnt(1)
	v_mov_b32_e32 v5, 0
	s_waitcnt vmcnt(0)
	v_cvt_f32_f16_e32 v4, v4
	v_cvt_u32_f32_e32 v4, v4
.LBB363_1360:
	s_cbranch_execnz .LBB363_1371
.LBB363_1361:
	s_sext_i32_i16 s20, s36
	s_cmp_lt_i32 s20, 6
	s_cbranch_scc1 .LBB363_1364
; %bb.1362:
	s_cmp_gt_i32 s20, 6
	s_cbranch_scc0 .LBB363_1365
; %bb.1363:
	global_load_dwordx2 v[4:5], v[2:3], off
	s_movk_i32 s20, 0xffe0
	s_waitcnt vmcnt(0)
	v_trunc_f64_e32 v[4:5], v[4:5]
	v_ldexp_f64 v[6:7], v[4:5], s20
	s_mov_b32 s20, 0
	s_mov_b32 s21, 0xc1f00000
	v_floor_f64_e32 v[6:7], v[6:7]
	v_fma_f64 v[8:9], v[6:7], s[20:21], v[4:5]
	v_cvt_u32_f64_e32 v5, v[6:7]
	s_mov_b64 s[20:21], 0
	v_cvt_u32_f64_e32 v4, v[8:9]
	s_branch .LBB363_1366
.LBB363_1364:
	s_mov_b64 s[20:21], -1
                                        ; implicit-def: $vgpr4_vgpr5
	s_branch .LBB363_1369
.LBB363_1365:
	s_mov_b64 s[20:21], -1
                                        ; implicit-def: $vgpr4_vgpr5
.LBB363_1366:
	s_andn2_b64 vcc, exec, s[20:21]
	s_cbranch_vccnz .LBB363_1368
; %bb.1367:
	global_load_dword v4, v[2:3], off
	s_waitcnt vmcnt(0)
	v_trunc_f32_e32 v4, v4
	v_mul_f32_e32 v5, 0x2f800000, v4
	v_floor_f32_e32 v6, v5
	v_fmac_f32_e32 v4, 0xcf800000, v6
	v_cvt_u32_f32_e32 v5, v6
	v_cvt_u32_f32_e32 v4, v4
.LBB363_1368:
	s_mov_b64 s[20:21], 0
.LBB363_1369:
	s_andn2_b64 vcc, exec, s[20:21]
	s_cbranch_vccnz .LBB363_1371
; %bb.1370:
	global_load_ushort v4, v[2:3], off
	s_waitcnt vmcnt(1)
	v_mov_b32_e32 v5, 0
	s_waitcnt vmcnt(0)
	v_cvt_f32_f16_e32 v4, v4
	v_cvt_u32_f32_e32 v4, v4
.LBB363_1371:
	s_cbranch_execnz .LBB363_1390
.LBB363_1372:
	s_sext_i32_i16 s20, s36
	s_cmp_lt_i32 s20, 2
	s_cbranch_scc1 .LBB363_1376
; %bb.1373:
	s_cmp_lt_i32 s20, 3
	s_cbranch_scc1 .LBB363_1377
; %bb.1374:
	s_cmp_gt_i32 s20, 3
	s_cbranch_scc0 .LBB363_1378
; %bb.1375:
	global_load_dwordx2 v[4:5], v[2:3], off
	s_mov_b64 s[20:21], 0
	s_branch .LBB363_1379
.LBB363_1376:
                                        ; implicit-def: $vgpr4_vgpr5
	s_branch .LBB363_1385
.LBB363_1377:
	s_mov_b64 s[20:21], -1
                                        ; implicit-def: $vgpr4_vgpr5
	s_branch .LBB363_1382
.LBB363_1378:
	s_mov_b64 s[20:21], -1
                                        ; implicit-def: $vgpr4_vgpr5
.LBB363_1379:
	s_andn2_b64 vcc, exec, s[20:21]
	s_cbranch_vccnz .LBB363_1381
; %bb.1380:
	global_load_dword v4, v[2:3], off
	s_waitcnt vmcnt(0)
	v_ashrrev_i32_e32 v5, 31, v4
.LBB363_1381:
	s_mov_b64 s[20:21], 0
.LBB363_1382:
	s_andn2_b64 vcc, exec, s[20:21]
	s_cbranch_vccnz .LBB363_1384
; %bb.1383:
	global_load_ushort v4, v[2:3], off
	s_waitcnt vmcnt(0)
	v_bfe_i32 v4, v4, 0, 16
	v_ashrrev_i32_e32 v5, 31, v4
.LBB363_1384:
	s_cbranch_execnz .LBB363_1390
.LBB363_1385:
	s_sext_i32_i16 s20, s36
	s_cmp_gt_i32 s20, 0
	s_cbranch_scc0 .LBB363_1387
; %bb.1386:
	global_load_sbyte v4, v[2:3], off
	s_mov_b64 s[20:21], 0
	s_waitcnt vmcnt(0)
	v_bfe_i32 v4, v4, 0, 16
	v_ashrrev_i32_e32 v5, 31, v4
	s_branch .LBB363_1388
.LBB363_1387:
	s_mov_b64 s[20:21], -1
                                        ; implicit-def: $vgpr4_vgpr5
.LBB363_1388:
	s_andn2_b64 vcc, exec, s[20:21]
	s_cbranch_vccnz .LBB363_1390
; %bb.1389:
	global_load_ubyte v2, v[2:3], off
	s_mov_b32 s20, 0
	s_waitcnt vmcnt(1)
	v_mov_b32_e32 v5, s20
	s_waitcnt vmcnt(0)
	v_and_b32_e32 v4, 0xffff, v2
.LBB363_1390:
	s_or_b64 s[26:27], s[26:27], exec
.LBB363_1391:
	s_or_b64 exec, exec, s[0:1]
	s_mov_b64 s[30:31], 0
	s_mov_b64 s[28:29], 0
                                        ; implicit-def: $sgpr20_sgpr21
                                        ; implicit-def: $sgpr34
                                        ; implicit-def: $vgpr2_vgpr3
	s_and_saveexec_b64 s[22:23], s[26:27]
	s_cbranch_execz .LBB363_1466
; %bb.1392:
	v_mul_lo_u32 v2, v18, s12
	s_waitcnt vmcnt(0)
	v_cmp_ne_u64_e32 vcc, v[0:1], v[4:5]
	v_mov_b32_e32 v0, s9
	s_xor_b64 s[20:21], s[16:17], vcc
	v_ashrrev_i32_e32 v1, 31, v2
	s_and_b32 s34, s33, 0xff
	v_add_co_u32_e32 v2, vcc, s8, v2
	s_cmp_lt_i32 s34, 11
	v_addc_co_u32_e32 v3, vcc, v0, v1, vcc
	s_cbranch_scc1 .LBB363_1469
; %bb.1393:
	s_and_b32 s35, 0xffff, s34
	s_mov_b64 s[26:27], -1
	s_cmp_gt_i32 s35, 25
	s_mov_b64 s[0:1], s[18:19]
	s_cbranch_scc0 .LBB363_1426
; %bb.1394:
	s_mov_b64 s[16:17], -1
	s_cmp_gt_i32 s35, 28
	s_mov_b64 s[0:1], s[18:19]
	s_cbranch_scc0 .LBB363_1410
; %bb.1395:
	s_cmp_gt_i32 s35, 43
	s_mov_b64 s[0:1], s[18:19]
	s_cbranch_scc0 .LBB363_1406
; %bb.1396:
	;; [unrolled: 4-line block ×3, first 2 shown]
	s_cmp_eq_u32 s35, 46
	s_mov_b64 s[0:1], -1
	s_cbranch_scc0 .LBB363_1399
; %bb.1398:
	v_cndmask_b32_e64 v0, 0, 1.0, s[20:21]
	v_bfe_u32 v1, v0, 16, 1
	s_movk_i32 s0, 0x7fff
	v_add3_u32 v0, v0, v1, s0
	v_lshrrev_b32_e32 v0, 16, v0
	global_store_dword v[2:3], v0, off
	s_mov_b64 s[0:1], 0
.LBB363_1399:
	s_mov_b64 s[16:17], 0
.LBB363_1400:
	s_and_b64 vcc, exec, s[16:17]
	s_cbranch_vccz .LBB363_1405
; %bb.1401:
	s_cmp_eq_u32 s35, 44
	s_mov_b64 s[0:1], -1
	s_cbranch_scc0 .LBB363_1405
; %bb.1402:
	v_cndmask_b32_e64 v1, 0, 1.0, s[20:21]
	v_lshrrev_b32_e32 v0, 23, v1
	s_movk_i32 s0, 0xff
	v_cmp_ne_u32_e32 vcc, s0, v0
	v_mov_b32_e32 v4, 0xff
	s_and_saveexec_b64 s[16:17], vcc
; %bb.1403:
	s_mov_b32 s0, 0x3fffff
	v_and_b32_e32 v4, 0x400000, v1
	v_and_or_b32 v1, v1, s0, v0
	v_cmp_ne_u32_e32 vcc, 0, v4
	v_cmp_ne_u32_e64 s[0:1], 0, v1
	s_and_b64 s[0:1], vcc, s[0:1]
	v_cndmask_b32_e64 v1, 0, 1, s[0:1]
	v_add_u32_e32 v4, v0, v1
; %bb.1404:
	s_or_b64 exec, exec, s[16:17]
	s_mov_b64 s[0:1], 0
	global_store_byte v[2:3], v4, off
.LBB363_1405:
	s_mov_b64 s[16:17], 0
.LBB363_1406:
	s_and_b64 vcc, exec, s[16:17]
	s_cbranch_vccz .LBB363_1409
; %bb.1407:
	s_cmp_eq_u32 s35, 29
	s_mov_b64 s[0:1], -1
	s_cbranch_scc0 .LBB363_1409
; %bb.1408:
	s_mov_b32 s0, 0
	v_cndmask_b32_e64 v0, 0, 1, s[20:21]
	v_mov_b32_e32 v1, s0
	global_store_dwordx2 v[2:3], v[0:1], off
	s_mov_b64 s[0:1], 0
.LBB363_1409:
	s_mov_b64 s[16:17], 0
.LBB363_1410:
	s_and_b64 vcc, exec, s[16:17]
	s_cbranch_vccz .LBB363_1425
; %bb.1411:
	s_cmp_lt_i32 s35, 27
	s_mov_b64 s[16:17], -1
	s_cbranch_scc1 .LBB363_1417
; %bb.1412:
	s_cmp_gt_i32 s35, 27
	v_cndmask_b32_e64 v0, 0, 1, s[20:21]
	s_cbranch_scc0 .LBB363_1414
; %bb.1413:
	s_mov_b64 s[16:17], 0
	global_store_dword v[2:3], v0, off
.LBB363_1414:
	s_andn2_b64 vcc, exec, s[16:17]
	s_cbranch_vccnz .LBB363_1416
; %bb.1415:
	global_store_short v[2:3], v0, off
.LBB363_1416:
	s_mov_b64 s[16:17], 0
.LBB363_1417:
	s_andn2_b64 vcc, exec, s[16:17]
	s_cbranch_vccnz .LBB363_1425
; %bb.1418:
	v_cndmask_b32_e64 v1, 0, 1.0, s[20:21]
	s_mov_b32 s16, 0x43800000
	v_cmp_gt_u32_e32 vcc, s16, v1
	v_mov_b32_e32 v4, 0x80
	s_and_saveexec_b64 s[16:17], vcc
	s_cbranch_execz .LBB363_1424
; %bb.1419:
	s_mov_b32 s26, 0x3bffffff
	v_cmp_lt_u32_e32 vcc, s26, v1
	s_mov_b64 s[26:27], 0
                                        ; implicit-def: $vgpr0
	s_and_saveexec_b64 s[28:29], vcc
	s_xor_b64 s[28:29], exec, s[28:29]
	s_cbranch_execz .LBB363_1526
; %bb.1420:
	v_bfe_u32 v0, v1, 20, 1
	s_mov_b32 s30, 0x487ffff
	v_add3_u32 v0, v1, v0, s30
	s_mov_b64 s[26:27], exec
	v_lshrrev_b32_e32 v0, 20, v0
                                        ; implicit-def: $vgpr1
	s_andn2_saveexec_b64 s[28:29], s[28:29]
	s_cbranch_execnz .LBB363_1527
.LBB363_1421:
	s_or_b64 exec, exec, s[28:29]
	v_mov_b32_e32 v4, 0
	s_and_saveexec_b64 s[28:29], s[26:27]
.LBB363_1422:
	v_mov_b32_e32 v4, v0
.LBB363_1423:
	s_or_b64 exec, exec, s[28:29]
.LBB363_1424:
	s_or_b64 exec, exec, s[16:17]
	global_store_byte v[2:3], v4, off
.LBB363_1425:
	s_mov_b64 s[26:27], 0
.LBB363_1426:
	s_mov_b64 s[16:17], 0
	s_and_b64 vcc, exec, s[26:27]
	s_cbranch_vccz .LBB363_1470
; %bb.1427:
	s_cmp_gt_i32 s35, 22
	s_mov_b64 s[26:27], -1
	s_cbranch_scc0 .LBB363_1459
; %bb.1428:
	s_cmp_lt_i32 s35, 24
	s_cbranch_scc1 .LBB363_1448
; %bb.1429:
	s_cmp_gt_i32 s35, 24
	s_cbranch_scc0 .LBB363_1437
; %bb.1430:
	v_cndmask_b32_e64 v1, 0, 1.0, s[20:21]
	s_mov_b32 s26, 0x47800000
	v_cmp_gt_u32_e32 vcc, s26, v1
	v_mov_b32_e32 v4, 0x80
	s_and_saveexec_b64 s[26:27], vcc
	s_cbranch_execz .LBB363_1436
; %bb.1431:
	s_mov_b32 s28, 0x37ffffff
	v_cmp_lt_u32_e32 vcc, s28, v1
	s_mov_b64 s[28:29], 0
                                        ; implicit-def: $vgpr0
	s_and_saveexec_b64 s[30:31], vcc
	s_xor_b64 s[30:31], exec, s[30:31]
	s_cbranch_execz .LBB363_1646
; %bb.1432:
	v_bfe_u32 v0, v1, 21, 1
	s_mov_b32 s36, 0x88fffff
	v_add3_u32 v0, v1, v0, s36
	s_mov_b64 s[28:29], exec
	v_lshrrev_b32_e32 v0, 21, v0
                                        ; implicit-def: $vgpr1
	s_andn2_saveexec_b64 s[30:31], s[30:31]
	s_cbranch_execnz .LBB363_1647
.LBB363_1433:
	s_or_b64 exec, exec, s[30:31]
	v_mov_b32_e32 v4, 0
	s_and_saveexec_b64 s[30:31], s[28:29]
.LBB363_1434:
	v_mov_b32_e32 v4, v0
.LBB363_1435:
	s_or_b64 exec, exec, s[30:31]
.LBB363_1436:
	s_or_b64 exec, exec, s[26:27]
	s_mov_b64 s[26:27], 0
	global_store_byte v[2:3], v4, off
.LBB363_1437:
	s_and_b64 vcc, exec, s[26:27]
	s_cbranch_vccz .LBB363_1447
; %bb.1438:
	v_cndmask_b32_e64 v0, 0, 1.0, s[20:21]
	s_mov_b32 s26, 0x43f00000
	v_cmp_gt_u32_e32 vcc, s26, v0
                                        ; implicit-def: $vgpr1
	s_and_saveexec_b64 s[26:27], vcc
	s_xor_b64 s[26:27], exec, s[26:27]
	s_cbranch_execz .LBB363_1444
; %bb.1439:
	s_mov_b32 s28, 0x3c7fffff
	v_cmp_lt_u32_e32 vcc, s28, v0
                                        ; implicit-def: $vgpr1
	s_and_saveexec_b64 s[28:29], vcc
	s_xor_b64 s[28:29], exec, s[28:29]
; %bb.1440:
	v_bfe_u32 v1, v0, 20, 1
	s_mov_b32 s30, 0x407ffff
	v_add3_u32 v0, v0, v1, s30
	v_lshrrev_b32_e32 v1, 20, v0
	v_and_b32_e32 v0, 0xff00000, v0
	s_mov_b32 s30, 0x7f00000
	v_mov_b32_e32 v4, 0x7e
	v_cmp_ne_u32_e32 vcc, s30, v0
	v_cndmask_b32_e32 v1, v4, v1, vcc
                                        ; implicit-def: $vgpr0
; %bb.1441:
	s_andn2_saveexec_b64 s[28:29], s[28:29]
; %bb.1442:
	v_add_f32_e32 v1, 0x46800000, v0
; %bb.1443:
	s_or_b64 exec, exec, s[28:29]
                                        ; implicit-def: $vgpr0
.LBB363_1444:
	s_andn2_saveexec_b64 s[26:27], s[26:27]
; %bb.1445:
	s_mov_b32 s28, 0x7f800000
	v_mov_b32_e32 v1, 0x7e
	v_mov_b32_e32 v4, 0x7f
	v_cmp_lt_u32_e32 vcc, s28, v0
	v_cndmask_b32_e32 v1, v1, v4, vcc
; %bb.1446:
	s_or_b64 exec, exec, s[26:27]
	global_store_byte v[2:3], v1, off
.LBB363_1447:
	s_mov_b64 s[26:27], 0
.LBB363_1448:
	s_andn2_b64 vcc, exec, s[26:27]
	s_cbranch_vccnz .LBB363_1458
; %bb.1449:
	v_cndmask_b32_e64 v0, 0, 1.0, s[20:21]
	s_mov_b32 s26, 0x47800000
	v_cmp_gt_u32_e32 vcc, s26, v0
                                        ; implicit-def: $vgpr1
	s_and_saveexec_b64 s[26:27], vcc
	s_xor_b64 s[26:27], exec, s[26:27]
	s_cbranch_execz .LBB363_1455
; %bb.1450:
	s_mov_b32 s28, 0x387fffff
	v_cmp_lt_u32_e32 vcc, s28, v0
                                        ; implicit-def: $vgpr1
	s_and_saveexec_b64 s[28:29], vcc
	s_xor_b64 s[28:29], exec, s[28:29]
; %bb.1451:
	v_bfe_u32 v1, v0, 21, 1
	s_mov_b32 s30, 0x80fffff
	v_add3_u32 v0, v0, v1, s30
	v_lshrrev_b32_e32 v1, 21, v0
                                        ; implicit-def: $vgpr0
; %bb.1452:
	s_andn2_saveexec_b64 s[28:29], s[28:29]
; %bb.1453:
	v_add_f32_e32 v1, 0x43000000, v0
; %bb.1454:
	s_or_b64 exec, exec, s[28:29]
                                        ; implicit-def: $vgpr0
.LBB363_1455:
	s_andn2_saveexec_b64 s[26:27], s[26:27]
; %bb.1456:
	s_mov_b32 s28, 0x7f800000
	v_mov_b32_e32 v1, 0x7c
	v_mov_b32_e32 v4, 0x7f
	v_cmp_lt_u32_e32 vcc, s28, v0
	v_cndmask_b32_e32 v1, v1, v4, vcc
; %bb.1457:
	s_or_b64 exec, exec, s[26:27]
	global_store_byte v[2:3], v1, off
.LBB363_1458:
	s_mov_b64 s[26:27], 0
.LBB363_1459:
	s_andn2_b64 vcc, exec, s[26:27]
	s_mov_b64 s[26:27], 0
	s_cbranch_vccnz .LBB363_1471
; %bb.1460:
	s_cmp_gt_i32 s35, 14
	s_mov_b64 s[28:29], -1
	s_cbranch_scc0 .LBB363_1464
; %bb.1461:
	s_cmp_eq_u32 s35, 15
	s_mov_b64 s[0:1], -1
	s_cbranch_scc0 .LBB363_1463
; %bb.1462:
	v_cndmask_b32_e64 v0, 0, 1.0, s[20:21]
	v_bfe_u32 v1, v0, 16, 1
	s_movk_i32 s0, 0x7fff
	v_add3_u32 v0, v0, v1, s0
	global_store_short_d16_hi v[2:3], v0, off
	s_mov_b64 s[0:1], 0
.LBB363_1463:
	s_mov_b64 s[28:29], 0
.LBB363_1464:
	s_and_b64 vcc, exec, s[28:29]
	s_cbranch_vccz .LBB363_1471
; %bb.1465:
	s_cmp_lg_u32 s35, 11
	s_cselect_b64 s[28:29], -1, 0
	s_andn2_b64 s[0:1], s[0:1], exec
	s_and_b64 s[28:29], s[28:29], exec
	s_mov_b64 s[26:27], -1
	s_or_b64 s[0:1], s[0:1], s[28:29]
	s_branch .LBB363_1471
.LBB363_1466:
	s_or_b64 exec, exec, s[22:23]
	s_and_saveexec_b64 s[0:1], s[18:19]
	s_cbranch_execnz .LBB363_1472
.LBB363_1467:
	s_or_b64 exec, exec, s[0:1]
	s_and_saveexec_b64 s[0:1], s[30:31]
	s_xor_b64 s[0:1], exec, s[0:1]
	s_cbranch_execz .LBB363_1473
.LBB363_1468:
	s_waitcnt vmcnt(0)
	v_cndmask_b32_e64 v0, 0, 1, s[20:21]
	global_store_byte v[2:3], v0, off
	s_or_b64 exec, exec, s[0:1]
	s_and_saveexec_b64 s[0:1], s[28:29]
	s_xor_b64 s[0:1], exec, s[0:1]
	s_cbranch_execz .LBB363_1511
	s_branch .LBB363_1474
.LBB363_1469:
	s_mov_b64 s[26:27], 0
	s_mov_b64 s[16:17], -1
	s_mov_b64 s[0:1], s[18:19]
	s_branch .LBB363_1471
.LBB363_1470:
	s_mov_b64 s[26:27], 0
.LBB363_1471:
	s_and_b64 s[28:29], s[16:17], exec
	s_andn2_b64 s[16:17], s[18:19], exec
	s_and_b64 s[0:1], s[0:1], exec
	s_and_b64 s[30:31], s[26:27], exec
	s_or_b64 s[18:19], s[16:17], s[0:1]
	s_or_b64 exec, exec, s[22:23]
	s_and_saveexec_b64 s[0:1], s[18:19]
	s_cbranch_execz .LBB363_1467
.LBB363_1472:
	s_or_b64 s[24:25], s[24:25], exec
	s_andn2_b64 s[30:31], s[30:31], exec
	s_trap 2
	s_or_b64 exec, exec, s[0:1]
	s_and_saveexec_b64 s[0:1], s[30:31]
	s_xor_b64 s[0:1], exec, s[0:1]
	s_cbranch_execnz .LBB363_1468
.LBB363_1473:
	s_or_b64 exec, exec, s[0:1]
	s_and_saveexec_b64 s[0:1], s[28:29]
	s_xor_b64 s[0:1], exec, s[0:1]
	s_cbranch_execz .LBB363_1511
.LBB363_1474:
	s_sext_i32_i16 s18, s34
	s_cmp_lt_i32 s18, 5
	s_mov_b64 s[16:17], -1
	s_cbranch_scc1 .LBB363_1495
; %bb.1475:
	s_cmp_lt_i32 s18, 8
	s_cbranch_scc1 .LBB363_1485
; %bb.1476:
	s_cmp_lt_i32 s18, 9
	s_cbranch_scc1 .LBB363_1482
; %bb.1477:
	s_cmp_gt_i32 s18, 9
	s_cbranch_scc0 .LBB363_1479
; %bb.1478:
	s_waitcnt vmcnt(0)
	v_cndmask_b32_e64 v0, 0, 1, s[20:21]
	v_cvt_f64_u32_e32 v[4:5], v0
	v_mov_b32_e32 v6, 0
	v_mov_b32_e32 v7, v6
	s_mov_b64 s[16:17], 0
	global_store_dwordx4 v[2:3], v[4:7], off
.LBB363_1479:
	s_andn2_b64 vcc, exec, s[16:17]
	s_cbranch_vccnz .LBB363_1481
; %bb.1480:
	s_waitcnt vmcnt(0)
	v_cndmask_b32_e64 v0, 0, 1.0, s[20:21]
	v_mov_b32_e32 v1, 0
	global_store_dwordx2 v[2:3], v[0:1], off
.LBB363_1481:
	s_mov_b64 s[16:17], 0
.LBB363_1482:
	s_andn2_b64 vcc, exec, s[16:17]
	s_cbranch_vccnz .LBB363_1484
; %bb.1483:
	s_waitcnt vmcnt(0)
	v_cndmask_b32_e64 v0, 0, 1.0, s[20:21]
	v_cvt_f16_f32_e32 v0, v0
	global_store_dword v[2:3], v0, off
.LBB363_1484:
	s_mov_b64 s[16:17], 0
.LBB363_1485:
	s_andn2_b64 vcc, exec, s[16:17]
	s_cbranch_vccnz .LBB363_1494
; %bb.1486:
	s_sext_i32_i16 s18, s34
	s_cmp_lt_i32 s18, 6
	s_mov_b64 s[16:17], -1
	s_cbranch_scc1 .LBB363_1492
; %bb.1487:
	s_cmp_gt_i32 s18, 6
	s_cbranch_scc0 .LBB363_1489
; %bb.1488:
	s_waitcnt vmcnt(0)
	v_cndmask_b32_e64 v0, 0, 1, s[20:21]
	v_cvt_f64_u32_e32 v[0:1], v0
	s_mov_b64 s[16:17], 0
	global_store_dwordx2 v[2:3], v[0:1], off
.LBB363_1489:
	s_andn2_b64 vcc, exec, s[16:17]
	s_cbranch_vccnz .LBB363_1491
; %bb.1490:
	s_waitcnt vmcnt(0)
	v_cndmask_b32_e64 v0, 0, 1.0, s[20:21]
	global_store_dword v[2:3], v0, off
.LBB363_1491:
	s_mov_b64 s[16:17], 0
.LBB363_1492:
	s_andn2_b64 vcc, exec, s[16:17]
	s_cbranch_vccnz .LBB363_1494
; %bb.1493:
	s_waitcnt vmcnt(0)
	v_cndmask_b32_e64 v0, 0, 1.0, s[20:21]
	v_cvt_f16_f32_e32 v0, v0
	global_store_short v[2:3], v0, off
.LBB363_1494:
	s_mov_b64 s[16:17], 0
.LBB363_1495:
	s_andn2_b64 vcc, exec, s[16:17]
	s_cbranch_vccnz .LBB363_1511
; %bb.1496:
	s_sext_i32_i16 s18, s34
	s_cmp_lt_i32 s18, 2
	s_mov_b64 s[16:17], -1
	s_cbranch_scc1 .LBB363_1506
; %bb.1497:
	s_cmp_lt_i32 s18, 3
	s_cbranch_scc1 .LBB363_1503
; %bb.1498:
	s_cmp_gt_i32 s18, 3
	s_cbranch_scc0 .LBB363_1500
; %bb.1499:
	s_mov_b32 s16, 0
	s_waitcnt vmcnt(0)
	v_cndmask_b32_e64 v0, 0, 1, s[20:21]
	v_mov_b32_e32 v1, s16
	s_mov_b64 s[16:17], 0
	global_store_dwordx2 v[2:3], v[0:1], off
.LBB363_1500:
	s_andn2_b64 vcc, exec, s[16:17]
	s_cbranch_vccnz .LBB363_1502
; %bb.1501:
	s_waitcnt vmcnt(0)
	v_cndmask_b32_e64 v0, 0, 1, s[20:21]
	global_store_dword v[2:3], v0, off
.LBB363_1502:
	s_mov_b64 s[16:17], 0
.LBB363_1503:
	s_andn2_b64 vcc, exec, s[16:17]
	s_cbranch_vccnz .LBB363_1505
; %bb.1504:
	s_waitcnt vmcnt(0)
	v_cndmask_b32_e64 v0, 0, 1, s[20:21]
	global_store_short v[2:3], v0, off
.LBB363_1505:
	s_mov_b64 s[16:17], 0
.LBB363_1506:
	s_andn2_b64 vcc, exec, s[16:17]
	s_cbranch_vccnz .LBB363_1511
; %bb.1507:
	s_sext_i32_i16 s18, s34
	s_mov_b64 s[16:17], -1
	s_cmp_gt_i32 s18, 0
	s_waitcnt vmcnt(0)
	v_cndmask_b32_e64 v0, 0, 1, s[20:21]
	s_cbranch_scc0 .LBB363_1509
; %bb.1508:
	s_mov_b64 s[16:17], 0
	global_store_byte v[2:3], v0, off
.LBB363_1509:
	s_andn2_b64 vcc, exec, s[16:17]
	s_cbranch_vccnz .LBB363_1511
; %bb.1510:
	global_store_byte v[2:3], v0, off
.LBB363_1511:
	s_or_b64 exec, exec, s[0:1]
	s_and_b64 s[16:17], s[24:25], exec
                                        ; implicit-def: $vgpr18
.LBB363_1512:
	s_or_saveexec_b64 s[6:7], s[6:7]
	s_mov_b64 s[0:1], 0
                                        ; implicit-def: $sgpr20_sgpr21
                                        ; implicit-def: $sgpr24
                                        ; implicit-def: $vgpr0_vgpr1
	s_xor_b64 exec, exec, s[6:7]
	s_cbranch_execz .LBB363_2949
; %bb.1513:
	v_mul_lo_u32 v6, s13, v18
	s_waitcnt vmcnt(0)
	v_mov_b32_e32 v0, s11
	s_and_b32 s24, s57, 0xff
	s_cmp_lt_i32 s24, 11
	v_ashrrev_i32_e32 v1, 31, v6
	v_add_co_u32_e32 v2, vcc, s10, v6
	v_addc_co_u32_e32 v3, vcc, v0, v1, vcc
	s_cbranch_scc1 .LBB363_1520
; %bb.1514:
	s_and_b32 s22, 0xffff, s24
	s_cmp_gt_i32 s22, 25
	s_cbranch_scc0 .LBB363_1522
; %bb.1515:
	s_cmp_gt_i32 s22, 28
	s_cbranch_scc0 .LBB363_1523
; %bb.1516:
	;; [unrolled: 3-line block ×4, first 2 shown]
	s_cmp_eq_u32 s22, 46
	s_mov_b64 s[18:19], 0
	s_cbranch_scc0 .LBB363_1528
; %bb.1519:
	global_load_dword v0, v[2:3], off
	s_mov_b64 s[20:21], -1
	s_waitcnt vmcnt(0)
	v_lshlrev_b32_e32 v0, 16, v0
	v_trunc_f32_e32 v0, v0
	v_mul_f32_e32 v1, 0x2f800000, v0
	v_floor_f32_e32 v1, v1
	v_fmac_f32_e32 v0, 0xcf800000, v1
	v_cvt_u32_f32_e32 v0, v0
	v_cvt_u32_f32_e32 v1, v1
	s_branch .LBB363_1529
.LBB363_1520:
	s_mov_b64 s[20:21], 0
                                        ; implicit-def: $vgpr0_vgpr1
	s_mov_b64 s[18:19], s[16:17]
	s_cbranch_execnz .LBB363_1587
.LBB363_1521:
	s_andn2_b64 vcc, exec, s[20:21]
	s_cbranch_vccz .LBB363_1632
	s_branch .LBB363_2947
.LBB363_1522:
	s_mov_b64 s[20:21], 0
                                        ; implicit-def: $vgpr0_vgpr1
	s_cbranch_execnz .LBB363_1556
	s_branch .LBB363_1583
.LBB363_1523:
	s_mov_b64 s[20:21], 0
                                        ; implicit-def: $vgpr0_vgpr1
	s_cbranch_execz .LBB363_1555
	s_branch .LBB363_1538
.LBB363_1524:
	s_mov_b64 s[20:21], 0
                                        ; implicit-def: $vgpr0_vgpr1
	s_cbranch_execnz .LBB363_1534
	s_branch .LBB363_1537
.LBB363_1525:
	s_mov_b64 s[18:19], -1
	s_mov_b64 s[20:21], 0
                                        ; implicit-def: $vgpr0_vgpr1
	s_branch .LBB363_1529
.LBB363_1526:
	s_andn2_saveexec_b64 s[28:29], s[28:29]
	s_cbranch_execz .LBB363_1421
.LBB363_1527:
	v_add_f32_e32 v0, 0x46000000, v1
	v_and_b32_e32 v0, 0xff, v0
	v_cmp_ne_u32_e32 vcc, 0, v0
	s_andn2_b64 s[26:27], s[26:27], exec
	s_and_b64 s[30:31], vcc, exec
	s_or_b64 s[26:27], s[26:27], s[30:31]
	s_or_b64 exec, exec, s[28:29]
	v_mov_b32_e32 v4, 0
	s_and_saveexec_b64 s[28:29], s[26:27]
	s_cbranch_execnz .LBB363_1422
	s_branch .LBB363_1423
.LBB363_1528:
	s_mov_b64 s[0:1], -1
                                        ; implicit-def: $vgpr0_vgpr1
	s_mov_b64 s[20:21], 0
.LBB363_1529:
	s_and_b64 vcc, exec, s[18:19]
	s_cbranch_vccz .LBB363_1532
; %bb.1530:
	s_cmp_eq_u32 s22, 44
	s_cbranch_scc0 .LBB363_1533
; %bb.1531:
	global_load_ubyte v0, v[2:3], off
	s_mov_b64 s[0:1], 0
	s_mov_b64 s[20:21], -1
	s_waitcnt vmcnt(0)
	v_lshlrev_b32_e32 v1, 23, v0
	v_trunc_f32_e32 v1, v1
	v_mul_f32_e32 v4, 0x2f800000, v1
	v_floor_f32_e32 v4, v4
	v_fmac_f32_e32 v1, 0xcf800000, v4
	v_cvt_u32_f32_e32 v4, v4
	v_cvt_u32_f32_e32 v5, v1
	v_cmp_ne_u32_e32 vcc, 0, v0
	v_cndmask_b32_e32 v1, 0, v4, vcc
	v_cndmask_b32_e32 v0, 0, v5, vcc
.LBB363_1532:
	s_branch .LBB363_1537
.LBB363_1533:
	s_mov_b64 s[0:1], -1
                                        ; implicit-def: $vgpr0_vgpr1
	s_branch .LBB363_1537
.LBB363_1534:
	s_cmp_eq_u32 s22, 29
	s_cbranch_scc0 .LBB363_1536
; %bb.1535:
	global_load_dwordx2 v[0:1], v[2:3], off
	s_mov_b64 s[0:1], 0
	s_mov_b64 s[20:21], -1
	s_branch .LBB363_1537
.LBB363_1536:
	s_mov_b64 s[0:1], -1
                                        ; implicit-def: $vgpr0_vgpr1
.LBB363_1537:
	s_branch .LBB363_1555
.LBB363_1538:
	s_cmp_lt_i32 s22, 27
	s_cbranch_scc1 .LBB363_1541
; %bb.1539:
	s_cmp_gt_i32 s22, 27
	s_cbranch_scc0 .LBB363_1542
; %bb.1540:
	global_load_dword v0, v[2:3], off
	s_waitcnt vmcnt(1)
	v_mov_b32_e32 v1, 0
	s_mov_b64 s[18:19], 0
	s_branch .LBB363_1543
.LBB363_1541:
	s_mov_b64 s[18:19], -1
                                        ; implicit-def: $vgpr0_vgpr1
	s_branch .LBB363_1546
.LBB363_1542:
	s_mov_b64 s[18:19], -1
                                        ; implicit-def: $vgpr0_vgpr1
.LBB363_1543:
	s_andn2_b64 vcc, exec, s[18:19]
	s_cbranch_vccnz .LBB363_1545
; %bb.1544:
	global_load_ushort v0, v[2:3], off
	s_mov_b32 s18, 0
	s_waitcnt vmcnt(1)
	v_mov_b32_e32 v1, s18
	s_waitcnt vmcnt(0)
	v_and_b32_e32 v0, 0xffff, v0
.LBB363_1545:
	s_mov_b64 s[18:19], 0
.LBB363_1546:
	s_andn2_b64 vcc, exec, s[18:19]
	s_cbranch_vccnz .LBB363_1554
; %bb.1547:
	global_load_ubyte v4, v[2:3], off
	s_movk_i32 s18, 0x7f
	s_mov_b64 s[20:21], 0
	s_waitcnt vmcnt(0)
	v_cmp_lt_i16_e32 vcc, s18, v4
	s_and_saveexec_b64 s[18:19], vcc
	s_xor_b64 s[18:19], exec, s[18:19]
; %bb.1548:
	s_movk_i32 s20, 0x80
	v_cmp_ne_u16_e32 vcc, s20, v4
	s_and_b64 s[20:21], vcc, exec
; %bb.1549:
	s_andn2_saveexec_b64 s[18:19], s[18:19]
; %bb.1550:
	v_cmp_ne_u16_e32 vcc, 0, v4
	s_andn2_b64 s[20:21], s[20:21], exec
	s_and_b64 s[26:27], vcc, exec
	s_or_b64 s[20:21], s[20:21], s[26:27]
; %bb.1551:
	s_or_b64 exec, exec, s[18:19]
	v_mov_b32_e32 v0, 0
	v_mov_b32_e32 v1, 0
	s_and_saveexec_b64 s[18:19], s[20:21]
	s_cbranch_execz .LBB363_1553
; %bb.1552:
	v_and_b32_e32 v1, 0xffff, v4
	v_lshlrev_b32_e32 v0, 24, v4
	v_and_b32_e32 v4, 7, v1
	v_ffbh_u32_e32 v7, v4
	v_min_u32_e32 v7, 32, v7
	v_subrev_u32_e32 v8, 28, v7
	v_bfe_u32 v5, v1, 3, 4
	v_lshlrev_b32_e32 v1, v8, v1
	v_sub_u32_e32 v7, 29, v7
	v_and_b32_e32 v1, 7, v1
	v_cmp_eq_u32_e32 vcc, 0, v5
	v_cndmask_b32_e32 v5, v5, v7, vcc
	v_cndmask_b32_e32 v1, v4, v1, vcc
	v_mov_b32_e32 v4, 0x3b800000
	v_lshlrev_b32_e32 v1, 20, v1
	v_and_b32_e32 v0, 0x80000000, v0
	v_lshl_add_u32 v4, v5, 23, v4
	v_or3_b32 v0, v0, v4, v1
	v_trunc_f32_e32 v0, v0
	v_mul_f32_e32 v1, 0x2f800000, v0
	v_floor_f32_e32 v1, v1
	v_fmac_f32_e32 v0, 0xcf800000, v1
	v_cvt_u32_f32_e32 v0, v0
	v_cvt_u32_f32_e32 v1, v1
.LBB363_1553:
	s_or_b64 exec, exec, s[18:19]
.LBB363_1554:
	s_mov_b64 s[20:21], -1
.LBB363_1555:
	s_branch .LBB363_1583
.LBB363_1556:
	s_cmp_gt_i32 s22, 22
	s_cbranch_scc0 .LBB363_1566
; %bb.1557:
	s_cmp_lt_i32 s22, 24
	s_cbranch_scc1 .LBB363_1567
; %bb.1558:
	s_cmp_gt_i32 s22, 24
	s_cbranch_scc0 .LBB363_1568
; %bb.1559:
	global_load_ubyte v4, v[2:3], off
	s_movk_i32 s4, 0x7f
	s_mov_b64 s[18:19], 0
	s_waitcnt vmcnt(0)
	v_cmp_lt_i16_e32 vcc, s4, v4
	s_and_saveexec_b64 s[4:5], vcc
	s_xor_b64 s[4:5], exec, s[4:5]
; %bb.1560:
	s_movk_i32 s18, 0x80
	v_cmp_ne_u16_e32 vcc, s18, v4
	s_and_b64 s[18:19], vcc, exec
; %bb.1561:
	s_andn2_saveexec_b64 s[4:5], s[4:5]
; %bb.1562:
	v_cmp_ne_u16_e32 vcc, 0, v4
	s_andn2_b64 s[18:19], s[18:19], exec
	s_and_b64 s[20:21], vcc, exec
	s_or_b64 s[18:19], s[18:19], s[20:21]
; %bb.1563:
	s_or_b64 exec, exec, s[4:5]
	v_mov_b32_e32 v0, 0
	v_mov_b32_e32 v1, 0
	s_and_saveexec_b64 s[4:5], s[18:19]
	s_cbranch_execz .LBB363_1565
; %bb.1564:
	v_and_b32_e32 v1, 0xffff, v4
	v_lshlrev_b32_e32 v0, 24, v4
	v_and_b32_e32 v4, 3, v1
	v_ffbh_u32_e32 v7, v4
	v_min_u32_e32 v7, 32, v7
	v_subrev_u32_e32 v8, 29, v7
	v_bfe_u32 v5, v1, 2, 5
	v_lshlrev_b32_e32 v1, v8, v1
	v_sub_u32_e32 v7, 30, v7
	v_and_b32_e32 v1, 3, v1
	v_cmp_eq_u32_e32 vcc, 0, v5
	v_cndmask_b32_e32 v5, v5, v7, vcc
	v_cndmask_b32_e32 v1, v4, v1, vcc
	v_mov_b32_e32 v4, 0x37800000
	v_lshlrev_b32_e32 v1, 21, v1
	v_and_b32_e32 v0, 0x80000000, v0
	v_lshl_add_u32 v4, v5, 23, v4
	v_or3_b32 v0, v0, v4, v1
	v_trunc_f32_e32 v0, v0
	v_mul_f32_e32 v1, 0x2f800000, v0
	v_floor_f32_e32 v1, v1
	v_fmac_f32_e32 v0, 0xcf800000, v1
	v_cvt_u32_f32_e32 v0, v0
	v_cvt_u32_f32_e32 v1, v1
.LBB363_1565:
	s_or_b64 exec, exec, s[4:5]
	s_mov_b64 s[4:5], 0
	s_branch .LBB363_1569
.LBB363_1566:
                                        ; implicit-def: $vgpr0_vgpr1
	s_mov_b64 s[4:5], 0
	s_branch .LBB363_1575
.LBB363_1567:
	s_mov_b64 s[4:5], -1
                                        ; implicit-def: $vgpr0_vgpr1
	s_branch .LBB363_1572
.LBB363_1568:
	s_mov_b64 s[4:5], -1
                                        ; implicit-def: $vgpr0_vgpr1
.LBB363_1569:
	s_and_b64 vcc, exec, s[4:5]
	s_cbranch_vccz .LBB363_1571
; %bb.1570:
	global_load_ubyte v0, v[2:3], off
	s_mov_b32 s4, 0x7f800000
	s_brev_b32 s5, 1
	s_waitcnt vmcnt(0)
	v_lshlrev_b32_e32 v0, 24, v0
	v_and_b32_e32 v1, 0x7f000000, v0
	v_ffbh_u32_e32 v4, v1
	v_min_u32_e32 v4, 32, v4
	v_sub_u32_e64 v4, v4, 4 clamp
	v_lshlrev_b32_e32 v7, v4, v1
	v_lshlrev_b32_e32 v4, 23, v4
	v_lshrrev_b32_e32 v7, 4, v7
	v_add_u32_e32 v5, 0x1000000, v1
	v_sub_u32_e32 v4, v7, v4
	v_ashrrev_i32_e32 v5, 8, v5
	v_add_u32_e32 v4, 0x3c000000, v4
	v_and_or_b32 v4, v5, s4, v4
	v_cmp_ne_u32_e32 vcc, 0, v1
	v_cndmask_b32_e32 v1, 0, v4, vcc
	v_and_or_b32 v0, v0, s5, v1
	v_trunc_f32_e32 v0, v0
	v_mul_f32_e32 v1, 0x2f800000, v0
	v_floor_f32_e32 v1, v1
	v_fmac_f32_e32 v0, 0xcf800000, v1
	v_cvt_u32_f32_e32 v0, v0
	v_cvt_u32_f32_e32 v1, v1
.LBB363_1571:
	s_mov_b64 s[4:5], 0
.LBB363_1572:
	s_andn2_b64 vcc, exec, s[4:5]
	s_cbranch_vccnz .LBB363_1574
; %bb.1573:
	global_load_ubyte v0, v[2:3], off
	s_movk_i32 s4, 0x7f00
	s_brev_b32 s5, 16
	s_brev_b32 s18, 1
	s_waitcnt vmcnt(0)
	v_lshlrev_b16_e32 v1, 8, v0
	v_lshlrev_b32_e32 v0, 25, v0
	v_lshrrev_b32_e32 v4, 4, v0
	v_and_or_b32 v5, v1, s4, 0.5
	v_or_b32_e32 v4, 0x70000000, v4
	v_add_f32_e32 v5, -0.5, v5
	v_mul_f32_e32 v4, 0x7800000, v4
	v_cmp_gt_u32_e32 vcc, s5, v0
	v_bfe_i32 v1, v1, 0, 16
	v_cndmask_b32_e32 v0, v4, v5, vcc
	v_and_or_b32 v0, v1, s18, v0
	v_trunc_f32_e32 v0, v0
	v_mul_f32_e32 v1, 0x2f800000, v0
	v_floor_f32_e32 v1, v1
	v_fmac_f32_e32 v0, 0xcf800000, v1
	v_cvt_u32_f32_e32 v0, v0
	v_cvt_u32_f32_e32 v1, v1
.LBB363_1574:
	s_mov_b64 s[20:21], -1
	s_mov_b64 s[4:5], 0
	s_cbranch_execnz .LBB363_1583
.LBB363_1575:
	s_cmp_gt_i32 s22, 14
	s_cbranch_scc0 .LBB363_1578
; %bb.1576:
	s_cmp_eq_u32 s22, 15
	s_cbranch_scc0 .LBB363_1579
; %bb.1577:
	global_load_ushort v0, v[2:3], off
	s_mov_b64 s[0:1], 0
	s_mov_b64 s[20:21], -1
	s_waitcnt vmcnt(0)
	v_lshlrev_b32_e32 v0, 16, v0
	v_trunc_f32_e32 v0, v0
	v_mul_f32_e32 v1, 0x2f800000, v0
	v_floor_f32_e32 v1, v1
	v_fmac_f32_e32 v0, 0xcf800000, v1
	v_cvt_u32_f32_e32 v0, v0
	v_cvt_u32_f32_e32 v1, v1
	s_branch .LBB363_1580
.LBB363_1578:
	s_mov_b64 s[18:19], -1
                                        ; implicit-def: $vgpr0_vgpr1
	s_branch .LBB363_1581
.LBB363_1579:
	s_mov_b64 s[0:1], -1
                                        ; implicit-def: $vgpr0_vgpr1
.LBB363_1580:
	s_mov_b64 s[18:19], 0
.LBB363_1581:
	s_and_b64 vcc, exec, s[18:19]
	s_cbranch_vccz .LBB363_1583
; %bb.1582:
	s_cmp_lg_u32 s22, 11
	s_mov_b64 s[4:5], -1
	s_cselect_b64 s[0:1], -1, 0
.LBB363_1583:
	s_and_b64 vcc, exec, s[0:1]
	s_mov_b64 s[18:19], s[16:17]
	s_cbranch_vccnz .LBB363_1644
; %bb.1584:
	s_andn2_b64 vcc, exec, s[4:5]
	s_cbranch_vccnz .LBB363_1586
.LBB363_1585:
	global_load_ubyte v0, v[2:3], off
	s_mov_b32 s0, 0
	s_waitcnt vmcnt(1)
	v_mov_b32_e32 v1, s0
	s_mov_b64 s[20:21], -1
	s_waitcnt vmcnt(0)
	v_cmp_ne_u16_e32 vcc, 0, v0
	v_cndmask_b32_e64 v0, 0, 1, vcc
.LBB363_1586:
	s_branch .LBB363_1521
.LBB363_1587:
	s_and_b32 s4, 0xffff, s24
	s_cmp_lt_i32 s4, 5
	s_cbranch_scc1 .LBB363_1592
; %bb.1588:
	s_cmp_lt_i32 s4, 8
	s_cbranch_scc1 .LBB363_1593
; %bb.1589:
	;; [unrolled: 3-line block ×3, first 2 shown]
	s_cmp_gt_i32 s4, 9
	s_cbranch_scc0 .LBB363_1595
; %bb.1591:
	global_load_dwordx2 v[0:1], v[2:3], off
	s_movk_i32 s0, 0xffe0
	s_waitcnt vmcnt(0)
	v_trunc_f64_e32 v[0:1], v[0:1]
	v_ldexp_f64 v[4:5], v[0:1], s0
	s_mov_b32 s0, 0
	s_mov_b32 s1, 0xc1f00000
	v_floor_f64_e32 v[4:5], v[4:5]
	v_fma_f64 v[7:8], v[4:5], s[0:1], v[0:1]
	v_cvt_u32_f64_e32 v1, v[4:5]
	s_mov_b64 s[0:1], 0
	v_cvt_u32_f64_e32 v0, v[7:8]
	s_branch .LBB363_1596
.LBB363_1592:
                                        ; implicit-def: $vgpr0_vgpr1
	s_branch .LBB363_1613
.LBB363_1593:
                                        ; implicit-def: $vgpr0_vgpr1
	s_branch .LBB363_1602
.LBB363_1594:
	s_mov_b64 s[0:1], -1
                                        ; implicit-def: $vgpr0_vgpr1
	s_branch .LBB363_1599
.LBB363_1595:
	s_mov_b64 s[0:1], -1
                                        ; implicit-def: $vgpr0_vgpr1
.LBB363_1596:
	s_andn2_b64 vcc, exec, s[0:1]
	s_cbranch_vccnz .LBB363_1598
; %bb.1597:
	global_load_dword v0, v[2:3], off
	s_waitcnt vmcnt(0)
	v_trunc_f32_e32 v0, v0
	v_mul_f32_e32 v1, 0x2f800000, v0
	v_floor_f32_e32 v4, v1
	v_fmac_f32_e32 v0, 0xcf800000, v4
	v_cvt_u32_f32_e32 v1, v4
	v_cvt_u32_f32_e32 v0, v0
.LBB363_1598:
	s_mov_b64 s[0:1], 0
.LBB363_1599:
	s_andn2_b64 vcc, exec, s[0:1]
	s_cbranch_vccnz .LBB363_1601
; %bb.1600:
	global_load_dword v0, v[2:3], off
	s_waitcnt vmcnt(1)
	v_mov_b32_e32 v1, 0
	s_waitcnt vmcnt(0)
	v_cvt_f32_f16_e32 v0, v0
	v_cvt_u32_f32_e32 v0, v0
.LBB363_1601:
	s_cbranch_execnz .LBB363_1612
.LBB363_1602:
	s_cmp_lt_i32 s4, 6
	s_cbranch_scc1 .LBB363_1605
; %bb.1603:
	s_cmp_gt_i32 s4, 6
	s_cbranch_scc0 .LBB363_1606
; %bb.1604:
	global_load_dwordx2 v[0:1], v[2:3], off
	s_movk_i32 s0, 0xffe0
	s_waitcnt vmcnt(0)
	v_trunc_f64_e32 v[0:1], v[0:1]
	v_ldexp_f64 v[4:5], v[0:1], s0
	s_mov_b32 s0, 0
	s_mov_b32 s1, 0xc1f00000
	v_floor_f64_e32 v[4:5], v[4:5]
	v_fma_f64 v[7:8], v[4:5], s[0:1], v[0:1]
	v_cvt_u32_f64_e32 v1, v[4:5]
	s_mov_b64 s[0:1], 0
	v_cvt_u32_f64_e32 v0, v[7:8]
	s_branch .LBB363_1607
.LBB363_1605:
	s_mov_b64 s[0:1], -1
                                        ; implicit-def: $vgpr0_vgpr1
	s_branch .LBB363_1610
.LBB363_1606:
	s_mov_b64 s[0:1], -1
                                        ; implicit-def: $vgpr0_vgpr1
.LBB363_1607:
	s_andn2_b64 vcc, exec, s[0:1]
	s_cbranch_vccnz .LBB363_1609
; %bb.1608:
	global_load_dword v0, v[2:3], off
	s_waitcnt vmcnt(0)
	v_trunc_f32_e32 v0, v0
	v_mul_f32_e32 v1, 0x2f800000, v0
	v_floor_f32_e32 v4, v1
	v_fmac_f32_e32 v0, 0xcf800000, v4
	v_cvt_u32_f32_e32 v1, v4
	v_cvt_u32_f32_e32 v0, v0
.LBB363_1609:
	s_mov_b64 s[0:1], 0
.LBB363_1610:
	s_andn2_b64 vcc, exec, s[0:1]
	s_cbranch_vccnz .LBB363_1612
; %bb.1611:
	global_load_ushort v0, v[2:3], off
	s_waitcnt vmcnt(1)
	v_mov_b32_e32 v1, 0
	s_waitcnt vmcnt(0)
	v_cvt_f32_f16_e32 v0, v0
	v_cvt_u32_f32_e32 v0, v0
.LBB363_1612:
	s_cbranch_execnz .LBB363_1631
.LBB363_1613:
	s_cmp_lt_i32 s4, 2
	s_cbranch_scc1 .LBB363_1617
; %bb.1614:
	s_cmp_lt_i32 s4, 3
	s_cbranch_scc1 .LBB363_1618
; %bb.1615:
	s_cmp_gt_i32 s4, 3
	s_cbranch_scc0 .LBB363_1619
; %bb.1616:
	global_load_dwordx2 v[0:1], v[2:3], off
	s_mov_b64 s[0:1], 0
	s_branch .LBB363_1620
.LBB363_1617:
                                        ; implicit-def: $vgpr0_vgpr1
	s_branch .LBB363_1626
.LBB363_1618:
	s_mov_b64 s[0:1], -1
                                        ; implicit-def: $vgpr0_vgpr1
	s_branch .LBB363_1623
.LBB363_1619:
	s_mov_b64 s[0:1], -1
                                        ; implicit-def: $vgpr0_vgpr1
.LBB363_1620:
	s_andn2_b64 vcc, exec, s[0:1]
	s_cbranch_vccnz .LBB363_1622
; %bb.1621:
	global_load_dword v0, v[2:3], off
	s_waitcnt vmcnt(0)
	v_ashrrev_i32_e32 v1, 31, v0
.LBB363_1622:
	s_mov_b64 s[0:1], 0
.LBB363_1623:
	s_andn2_b64 vcc, exec, s[0:1]
	s_cbranch_vccnz .LBB363_1625
; %bb.1624:
	global_load_ushort v0, v[2:3], off
	s_waitcnt vmcnt(0)
	v_bfe_i32 v0, v0, 0, 16
	v_ashrrev_i32_e32 v1, 31, v0
.LBB363_1625:
	s_cbranch_execnz .LBB363_1631
.LBB363_1626:
	s_cmp_gt_i32 s4, 0
	s_cbranch_scc0 .LBB363_1628
; %bb.1627:
	global_load_sbyte v0, v[2:3], off
	s_mov_b64 s[0:1], 0
	s_waitcnt vmcnt(0)
	v_bfe_i32 v0, v0, 0, 16
	v_ashrrev_i32_e32 v1, 31, v0
	s_branch .LBB363_1629
.LBB363_1628:
	s_mov_b64 s[0:1], -1
                                        ; implicit-def: $vgpr0_vgpr1
.LBB363_1629:
	s_andn2_b64 vcc, exec, s[0:1]
	s_cbranch_vccnz .LBB363_1631
; %bb.1630:
	global_load_ubyte v0, v[2:3], off
	s_mov_b32 s0, 0
	s_waitcnt vmcnt(1)
	v_mov_b32_e32 v1, s0
	s_waitcnt vmcnt(0)
	v_and_b32_e32 v0, 0xffff, v0
.LBB363_1631:
.LBB363_1632:
	v_mul_lo_u32 v8, s14, v18
	v_mov_b32_e32 v2, s3
	s_and_b32 s25, s56, 0xff
	s_cmp_lt_i32 s25, 11
	v_ashrrev_i32_e32 v3, 31, v8
	v_add_co_u32_e32 v4, vcc, s2, v8
	v_addc_co_u32_e32 v5, vcc, v2, v3, vcc
	s_cbranch_scc1 .LBB363_1639
; %bb.1633:
	s_and_b32 s26, 0xffff, s25
	s_cmp_gt_i32 s26, 25
	s_mov_b64 s[4:5], 0
	s_cbranch_scc0 .LBB363_1641
; %bb.1634:
	s_cmp_gt_i32 s26, 28
	s_cbranch_scc0 .LBB363_1642
; %bb.1635:
	s_cmp_gt_i32 s26, 43
	;; [unrolled: 3-line block ×3, first 2 shown]
	s_cbranch_scc0 .LBB363_1645
; %bb.1637:
	s_cmp_eq_u32 s26, 46
	s_mov_b64 s[22:23], 0
	s_cbranch_scc0 .LBB363_1648
; %bb.1638:
	global_load_dword v2, v[4:5], off
	s_mov_b64 s[0:1], 0
	s_mov_b64 s[20:21], -1
	s_waitcnt vmcnt(0)
	v_lshlrev_b32_e32 v2, 16, v2
	v_trunc_f32_e32 v2, v2
	v_mul_f32_e32 v3, 0x2f800000, v2
	v_floor_f32_e32 v3, v3
	v_fmac_f32_e32 v2, 0xcf800000, v3
	v_cvt_u32_f32_e32 v2, v2
	v_cvt_u32_f32_e32 v3, v3
	s_branch .LBB363_1649
.LBB363_1639:
	s_mov_b64 s[20:21], 0
                                        ; implicit-def: $vgpr2_vgpr3
	s_cbranch_execnz .LBB363_1710
.LBB363_1640:
	s_andn2_b64 vcc, exec, s[20:21]
	s_cbranch_vccnz .LBB363_2947
	s_branch .LBB363_1757
.LBB363_1641:
	s_mov_b64 s[20:21], 0
	s_mov_b64 s[0:1], 0
                                        ; implicit-def: $vgpr2_vgpr3
	s_cbranch_execnz .LBB363_1678
	s_branch .LBB363_1706
.LBB363_1642:
	s_mov_b64 s[22:23], -1
	s_mov_b64 s[20:21], 0
	s_mov_b64 s[0:1], 0
                                        ; implicit-def: $vgpr2_vgpr3
	s_branch .LBB363_1659
.LBB363_1643:
	s_mov_b64 s[22:23], -1
	s_mov_b64 s[20:21], 0
	s_mov_b64 s[0:1], 0
                                        ; implicit-def: $vgpr2_vgpr3
	s_branch .LBB363_1654
.LBB363_1644:
	s_or_b64 s[18:19], s[16:17], exec
	s_trap 2
	s_cbranch_execz .LBB363_1585
	s_branch .LBB363_1586
.LBB363_1645:
	s_mov_b64 s[22:23], -1
	s_mov_b64 s[20:21], 0
	s_mov_b64 s[0:1], 0
                                        ; implicit-def: $vgpr2_vgpr3
	s_branch .LBB363_1649
.LBB363_1646:
	s_andn2_saveexec_b64 s[30:31], s[30:31]
	s_cbranch_execz .LBB363_1433
.LBB363_1647:
	v_add_f32_e32 v0, 0x42800000, v1
	v_and_b32_e32 v0, 0xff, v0
	v_cmp_ne_u32_e32 vcc, 0, v0
	s_andn2_b64 s[28:29], s[28:29], exec
	s_and_b64 s[36:37], vcc, exec
	s_or_b64 s[28:29], s[28:29], s[36:37]
	s_or_b64 exec, exec, s[30:31]
	v_mov_b32_e32 v4, 0
	s_and_saveexec_b64 s[30:31], s[28:29]
	s_cbranch_execnz .LBB363_1434
	s_branch .LBB363_1435
.LBB363_1648:
	s_mov_b64 s[0:1], -1
                                        ; implicit-def: $vgpr2_vgpr3
	s_mov_b64 s[20:21], 0
.LBB363_1649:
	s_and_b64 vcc, exec, s[22:23]
	s_cbranch_vccz .LBB363_1653
; %bb.1650:
	s_cmp_eq_u32 s26, 44
	s_cbranch_scc0 .LBB363_1652
; %bb.1651:
	global_load_ubyte v2, v[4:5], off
	s_mov_b64 s[0:1], 0
	s_mov_b64 s[20:21], -1
	s_waitcnt vmcnt(0)
	v_lshlrev_b32_e32 v3, 23, v2
	v_trunc_f32_e32 v3, v3
	v_mul_f32_e32 v7, 0x2f800000, v3
	v_floor_f32_e32 v7, v7
	v_fmac_f32_e32 v3, 0xcf800000, v7
	v_cvt_u32_f32_e32 v7, v7
	v_cvt_u32_f32_e32 v9, v3
	v_cmp_ne_u32_e32 vcc, 0, v2
	v_cndmask_b32_e32 v3, 0, v7, vcc
	v_cndmask_b32_e32 v2, 0, v9, vcc
	s_branch .LBB363_1653
.LBB363_1652:
	s_mov_b64 s[0:1], -1
                                        ; implicit-def: $vgpr2_vgpr3
.LBB363_1653:
	s_mov_b64 s[22:23], 0
.LBB363_1654:
	s_and_b64 vcc, exec, s[22:23]
	s_cbranch_vccz .LBB363_1658
; %bb.1655:
	s_cmp_eq_u32 s26, 29
	s_cbranch_scc0 .LBB363_1657
; %bb.1656:
	global_load_dwordx2 v[2:3], v[4:5], off
	s_mov_b64 s[0:1], 0
	s_mov_b64 s[20:21], -1
	s_branch .LBB363_1658
.LBB363_1657:
	s_mov_b64 s[0:1], -1
                                        ; implicit-def: $vgpr2_vgpr3
.LBB363_1658:
	s_mov_b64 s[22:23], 0
.LBB363_1659:
	s_and_b64 vcc, exec, s[22:23]
	s_cbranch_vccz .LBB363_1677
; %bb.1660:
	s_cmp_lt_i32 s26, 27
	s_cbranch_scc1 .LBB363_1663
; %bb.1661:
	s_cmp_gt_i32 s26, 27
	s_cbranch_scc0 .LBB363_1664
; %bb.1662:
	global_load_dword v2, v[4:5], off
	s_waitcnt vmcnt(1)
	v_mov_b32_e32 v3, 0
	s_mov_b64 s[20:21], 0
	s_branch .LBB363_1665
.LBB363_1663:
	s_mov_b64 s[20:21], -1
                                        ; implicit-def: $vgpr2_vgpr3
	s_branch .LBB363_1668
.LBB363_1664:
	s_mov_b64 s[20:21], -1
                                        ; implicit-def: $vgpr2_vgpr3
.LBB363_1665:
	s_andn2_b64 vcc, exec, s[20:21]
	s_cbranch_vccnz .LBB363_1667
; %bb.1666:
	global_load_ushort v2, v[4:5], off
	s_mov_b32 s20, 0
	s_waitcnt vmcnt(1)
	v_mov_b32_e32 v3, s20
	s_waitcnt vmcnt(0)
	v_and_b32_e32 v2, 0xffff, v2
.LBB363_1667:
	s_mov_b64 s[20:21], 0
.LBB363_1668:
	s_andn2_b64 vcc, exec, s[20:21]
	s_cbranch_vccnz .LBB363_1676
; %bb.1669:
	global_load_ubyte v7, v[4:5], off
	s_movk_i32 s20, 0x7f
	s_mov_b64 s[22:23], 0
	s_waitcnt vmcnt(0)
	v_cmp_lt_i16_e32 vcc, s20, v7
	s_and_saveexec_b64 s[20:21], vcc
	s_xor_b64 s[20:21], exec, s[20:21]
; %bb.1670:
	s_movk_i32 s22, 0x80
	v_cmp_ne_u16_e32 vcc, s22, v7
	s_and_b64 s[22:23], vcc, exec
; %bb.1671:
	s_andn2_saveexec_b64 s[20:21], s[20:21]
; %bb.1672:
	v_cmp_ne_u16_e32 vcc, 0, v7
	s_andn2_b64 s[22:23], s[22:23], exec
	s_and_b64 s[28:29], vcc, exec
	s_or_b64 s[22:23], s[22:23], s[28:29]
; %bb.1673:
	s_or_b64 exec, exec, s[20:21]
	v_mov_b32_e32 v2, 0
	v_mov_b32_e32 v3, 0
	s_and_saveexec_b64 s[20:21], s[22:23]
	s_cbranch_execz .LBB363_1675
; %bb.1674:
	v_and_b32_e32 v3, 0xffff, v7
	v_lshlrev_b32_e32 v2, 24, v7
	v_and_b32_e32 v7, 7, v3
	v_ffbh_u32_e32 v10, v7
	v_min_u32_e32 v10, 32, v10
	v_subrev_u32_e32 v11, 28, v10
	v_bfe_u32 v9, v3, 3, 4
	v_lshlrev_b32_e32 v3, v11, v3
	v_sub_u32_e32 v10, 29, v10
	v_and_b32_e32 v3, 7, v3
	v_cmp_eq_u32_e32 vcc, 0, v9
	v_cndmask_b32_e32 v9, v9, v10, vcc
	v_cndmask_b32_e32 v3, v7, v3, vcc
	v_mov_b32_e32 v7, 0x3b800000
	v_lshlrev_b32_e32 v3, 20, v3
	v_and_b32_e32 v2, 0x80000000, v2
	v_lshl_add_u32 v7, v9, 23, v7
	v_or3_b32 v2, v2, v7, v3
	v_trunc_f32_e32 v2, v2
	v_mul_f32_e32 v3, 0x2f800000, v2
	v_floor_f32_e32 v3, v3
	v_fmac_f32_e32 v2, 0xcf800000, v3
	v_cvt_u32_f32_e32 v2, v2
	v_cvt_u32_f32_e32 v3, v3
.LBB363_1675:
	s_or_b64 exec, exec, s[20:21]
.LBB363_1676:
	s_mov_b64 s[20:21], -1
.LBB363_1677:
	s_branch .LBB363_1706
.LBB363_1678:
	s_cmp_gt_i32 s26, 22
	s_cbranch_scc0 .LBB363_1688
; %bb.1679:
	s_cmp_lt_i32 s26, 24
	s_cbranch_scc1 .LBB363_1689
; %bb.1680:
	s_cmp_gt_i32 s26, 24
	s_cbranch_scc0 .LBB363_1690
; %bb.1681:
	global_load_ubyte v7, v[4:5], off
	s_movk_i32 s4, 0x7f
	s_mov_b64 s[20:21], 0
	s_waitcnt vmcnt(0)
	v_cmp_lt_i16_e32 vcc, s4, v7
	s_and_saveexec_b64 s[4:5], vcc
	s_xor_b64 s[4:5], exec, s[4:5]
; %bb.1682:
	s_movk_i32 s20, 0x80
	v_cmp_ne_u16_e32 vcc, s20, v7
	s_and_b64 s[20:21], vcc, exec
; %bb.1683:
	s_andn2_saveexec_b64 s[4:5], s[4:5]
; %bb.1684:
	v_cmp_ne_u16_e32 vcc, 0, v7
	s_andn2_b64 s[20:21], s[20:21], exec
	s_and_b64 s[22:23], vcc, exec
	s_or_b64 s[20:21], s[20:21], s[22:23]
; %bb.1685:
	s_or_b64 exec, exec, s[4:5]
	v_mov_b32_e32 v2, 0
	v_mov_b32_e32 v3, 0
	s_and_saveexec_b64 s[4:5], s[20:21]
	s_cbranch_execz .LBB363_1687
; %bb.1686:
	v_and_b32_e32 v3, 0xffff, v7
	v_lshlrev_b32_e32 v2, 24, v7
	v_and_b32_e32 v7, 3, v3
	v_ffbh_u32_e32 v10, v7
	v_min_u32_e32 v10, 32, v10
	v_subrev_u32_e32 v11, 29, v10
	v_bfe_u32 v9, v3, 2, 5
	v_lshlrev_b32_e32 v3, v11, v3
	v_sub_u32_e32 v10, 30, v10
	v_and_b32_e32 v3, 3, v3
	v_cmp_eq_u32_e32 vcc, 0, v9
	v_cndmask_b32_e32 v9, v9, v10, vcc
	v_cndmask_b32_e32 v3, v7, v3, vcc
	v_mov_b32_e32 v7, 0x37800000
	v_lshlrev_b32_e32 v3, 21, v3
	v_and_b32_e32 v2, 0x80000000, v2
	v_lshl_add_u32 v7, v9, 23, v7
	v_or3_b32 v2, v2, v7, v3
	v_trunc_f32_e32 v2, v2
	v_mul_f32_e32 v3, 0x2f800000, v2
	v_floor_f32_e32 v3, v3
	v_fmac_f32_e32 v2, 0xcf800000, v3
	v_cvt_u32_f32_e32 v2, v2
	v_cvt_u32_f32_e32 v3, v3
.LBB363_1687:
	s_or_b64 exec, exec, s[4:5]
	s_mov_b64 s[4:5], 0
	s_branch .LBB363_1691
.LBB363_1688:
	s_mov_b64 s[4:5], -1
                                        ; implicit-def: $vgpr2_vgpr3
	s_branch .LBB363_1697
.LBB363_1689:
	s_mov_b64 s[4:5], -1
                                        ; implicit-def: $vgpr2_vgpr3
	s_branch .LBB363_1694
.LBB363_1690:
	s_mov_b64 s[4:5], -1
                                        ; implicit-def: $vgpr2_vgpr3
.LBB363_1691:
	s_and_b64 vcc, exec, s[4:5]
	s_cbranch_vccz .LBB363_1693
; %bb.1692:
	global_load_ubyte v2, v[4:5], off
	s_mov_b32 s4, 0x7f800000
	s_brev_b32 s5, 1
	s_waitcnt vmcnt(0)
	v_lshlrev_b32_e32 v2, 24, v2
	v_and_b32_e32 v3, 0x7f000000, v2
	v_ffbh_u32_e32 v7, v3
	v_min_u32_e32 v7, 32, v7
	v_sub_u32_e64 v7, v7, 4 clamp
	v_lshlrev_b32_e32 v10, v7, v3
	v_lshlrev_b32_e32 v7, 23, v7
	v_lshrrev_b32_e32 v10, 4, v10
	v_add_u32_e32 v9, 0x1000000, v3
	v_sub_u32_e32 v7, v10, v7
	v_ashrrev_i32_e32 v9, 8, v9
	v_add_u32_e32 v7, 0x3c000000, v7
	v_and_or_b32 v7, v9, s4, v7
	v_cmp_ne_u32_e32 vcc, 0, v3
	v_cndmask_b32_e32 v3, 0, v7, vcc
	v_and_or_b32 v2, v2, s5, v3
	v_trunc_f32_e32 v2, v2
	v_mul_f32_e32 v3, 0x2f800000, v2
	v_floor_f32_e32 v3, v3
	v_fmac_f32_e32 v2, 0xcf800000, v3
	v_cvt_u32_f32_e32 v2, v2
	v_cvt_u32_f32_e32 v3, v3
.LBB363_1693:
	s_mov_b64 s[4:5], 0
.LBB363_1694:
	s_andn2_b64 vcc, exec, s[4:5]
	s_cbranch_vccnz .LBB363_1696
; %bb.1695:
	global_load_ubyte v2, v[4:5], off
	s_movk_i32 s4, 0x7f00
	s_brev_b32 s5, 16
	s_brev_b32 s20, 1
	s_waitcnt vmcnt(0)
	v_lshlrev_b16_e32 v3, 8, v2
	v_lshlrev_b32_e32 v2, 25, v2
	v_lshrrev_b32_e32 v7, 4, v2
	v_and_or_b32 v9, v3, s4, 0.5
	v_or_b32_e32 v7, 0x70000000, v7
	v_add_f32_e32 v9, -0.5, v9
	v_mul_f32_e32 v7, 0x7800000, v7
	v_cmp_gt_u32_e32 vcc, s5, v2
	v_bfe_i32 v3, v3, 0, 16
	v_cndmask_b32_e32 v2, v7, v9, vcc
	v_and_or_b32 v2, v3, s20, v2
	v_trunc_f32_e32 v2, v2
	v_mul_f32_e32 v3, 0x2f800000, v2
	v_floor_f32_e32 v3, v3
	v_fmac_f32_e32 v2, 0xcf800000, v3
	v_cvt_u32_f32_e32 v2, v2
	v_cvt_u32_f32_e32 v3, v3
.LBB363_1696:
	s_mov_b64 s[4:5], 0
	s_mov_b64 s[20:21], -1
.LBB363_1697:
	s_andn2_b64 vcc, exec, s[4:5]
	s_mov_b64 s[4:5], 0
	s_cbranch_vccnz .LBB363_1706
; %bb.1698:
	s_cmp_gt_i32 s26, 14
	s_cbranch_scc0 .LBB363_1701
; %bb.1699:
	s_cmp_eq_u32 s26, 15
	s_cbranch_scc0 .LBB363_1702
; %bb.1700:
	global_load_ushort v2, v[4:5], off
	s_mov_b64 s[0:1], 0
	s_mov_b64 s[20:21], -1
	s_waitcnt vmcnt(0)
	v_lshlrev_b32_e32 v2, 16, v2
	v_trunc_f32_e32 v2, v2
	v_mul_f32_e32 v3, 0x2f800000, v2
	v_floor_f32_e32 v3, v3
	v_fmac_f32_e32 v2, 0xcf800000, v3
	v_cvt_u32_f32_e32 v2, v2
	v_cvt_u32_f32_e32 v3, v3
	s_branch .LBB363_1703
.LBB363_1701:
	s_mov_b64 s[22:23], -1
                                        ; implicit-def: $vgpr2_vgpr3
	s_branch .LBB363_1704
.LBB363_1702:
	s_mov_b64 s[0:1], -1
                                        ; implicit-def: $vgpr2_vgpr3
.LBB363_1703:
	s_mov_b64 s[22:23], 0
.LBB363_1704:
	s_and_b64 vcc, exec, s[22:23]
	s_cbranch_vccz .LBB363_1706
; %bb.1705:
	s_cmp_lg_u32 s26, 11
	s_mov_b64 s[4:5], -1
	s_cselect_b64 s[0:1], -1, 0
.LBB363_1706:
	s_and_b64 vcc, exec, s[0:1]
	s_cbranch_vccnz .LBB363_1769
; %bb.1707:
	s_andn2_b64 vcc, exec, s[4:5]
	s_cbranch_vccnz .LBB363_1709
.LBB363_1708:
	global_load_ubyte v2, v[4:5], off
	s_mov_b32 s0, 0
	s_waitcnt vmcnt(1)
	v_mov_b32_e32 v3, s0
	s_mov_b64 s[20:21], -1
	s_waitcnt vmcnt(0)
	v_cmp_ne_u16_e32 vcc, 0, v2
	v_cndmask_b32_e64 v2, 0, 1, vcc
.LBB363_1709:
	s_branch .LBB363_1640
.LBB363_1710:
	s_and_b32 s4, 0xffff, s25
	s_cmp_lt_i32 s4, 5
	s_cbranch_scc1 .LBB363_1715
; %bb.1711:
	s_cmp_lt_i32 s4, 8
	s_cbranch_scc1 .LBB363_1716
; %bb.1712:
	;; [unrolled: 3-line block ×3, first 2 shown]
	s_cmp_gt_i32 s4, 9
	s_cbranch_scc0 .LBB363_1718
; %bb.1714:
	global_load_dwordx2 v[2:3], v[4:5], off
	s_movk_i32 s0, 0xffe0
	s_waitcnt vmcnt(0)
	v_trunc_f64_e32 v[2:3], v[2:3]
	v_ldexp_f64 v[9:10], v[2:3], s0
	s_mov_b32 s0, 0
	s_mov_b32 s1, 0xc1f00000
	v_floor_f64_e32 v[9:10], v[9:10]
	v_fma_f64 v[11:12], v[9:10], s[0:1], v[2:3]
	v_cvt_u32_f64_e32 v3, v[9:10]
	s_mov_b64 s[0:1], 0
	v_cvt_u32_f64_e32 v2, v[11:12]
	s_branch .LBB363_1719
.LBB363_1715:
                                        ; implicit-def: $vgpr2_vgpr3
	s_branch .LBB363_1737
.LBB363_1716:
	s_mov_b64 s[0:1], -1
                                        ; implicit-def: $vgpr2_vgpr3
	s_branch .LBB363_1725
.LBB363_1717:
	s_mov_b64 s[0:1], -1
                                        ; implicit-def: $vgpr2_vgpr3
	s_branch .LBB363_1722
.LBB363_1718:
	s_mov_b64 s[0:1], -1
                                        ; implicit-def: $vgpr2_vgpr3
.LBB363_1719:
	s_andn2_b64 vcc, exec, s[0:1]
	s_cbranch_vccnz .LBB363_1721
; %bb.1720:
	global_load_dword v2, v[4:5], off
	s_waitcnt vmcnt(0)
	v_trunc_f32_e32 v2, v2
	v_mul_f32_e32 v3, 0x2f800000, v2
	v_floor_f32_e32 v7, v3
	v_fmac_f32_e32 v2, 0xcf800000, v7
	v_cvt_u32_f32_e32 v3, v7
	v_cvt_u32_f32_e32 v2, v2
.LBB363_1721:
	s_mov_b64 s[0:1], 0
.LBB363_1722:
	s_andn2_b64 vcc, exec, s[0:1]
	s_cbranch_vccnz .LBB363_1724
; %bb.1723:
	global_load_dword v2, v[4:5], off
	s_waitcnt vmcnt(1)
	v_mov_b32_e32 v3, 0
	s_waitcnt vmcnt(0)
	v_cvt_f32_f16_e32 v2, v2
	v_cvt_u32_f32_e32 v2, v2
.LBB363_1724:
	s_mov_b64 s[0:1], 0
.LBB363_1725:
	s_andn2_b64 vcc, exec, s[0:1]
	s_cbranch_vccnz .LBB363_1736
; %bb.1726:
	s_cmp_lt_i32 s4, 6
	s_cbranch_scc1 .LBB363_1729
; %bb.1727:
	s_cmp_gt_i32 s4, 6
	s_cbranch_scc0 .LBB363_1730
; %bb.1728:
	global_load_dwordx2 v[2:3], v[4:5], off
	s_movk_i32 s0, 0xffe0
	s_waitcnt vmcnt(0)
	v_trunc_f64_e32 v[2:3], v[2:3]
	v_ldexp_f64 v[9:10], v[2:3], s0
	s_mov_b32 s0, 0
	s_mov_b32 s1, 0xc1f00000
	v_floor_f64_e32 v[9:10], v[9:10]
	v_fma_f64 v[11:12], v[9:10], s[0:1], v[2:3]
	v_cvt_u32_f64_e32 v3, v[9:10]
	s_mov_b64 s[0:1], 0
	v_cvt_u32_f64_e32 v2, v[11:12]
	s_branch .LBB363_1731
.LBB363_1729:
	s_mov_b64 s[0:1], -1
                                        ; implicit-def: $vgpr2_vgpr3
	s_branch .LBB363_1734
.LBB363_1730:
	s_mov_b64 s[0:1], -1
                                        ; implicit-def: $vgpr2_vgpr3
.LBB363_1731:
	s_andn2_b64 vcc, exec, s[0:1]
	s_cbranch_vccnz .LBB363_1733
; %bb.1732:
	global_load_dword v2, v[4:5], off
	s_waitcnt vmcnt(0)
	v_trunc_f32_e32 v2, v2
	v_mul_f32_e32 v3, 0x2f800000, v2
	v_floor_f32_e32 v7, v3
	v_fmac_f32_e32 v2, 0xcf800000, v7
	v_cvt_u32_f32_e32 v3, v7
	v_cvt_u32_f32_e32 v2, v2
.LBB363_1733:
	s_mov_b64 s[0:1], 0
.LBB363_1734:
	s_andn2_b64 vcc, exec, s[0:1]
	s_cbranch_vccnz .LBB363_1736
; %bb.1735:
	global_load_ushort v2, v[4:5], off
	s_waitcnt vmcnt(1)
	v_mov_b32_e32 v3, 0
	s_waitcnt vmcnt(0)
	v_cvt_f32_f16_e32 v2, v2
	v_cvt_u32_f32_e32 v2, v2
.LBB363_1736:
	s_cbranch_execnz .LBB363_1756
.LBB363_1737:
	s_cmp_lt_i32 s4, 2
	s_cbranch_scc1 .LBB363_1741
; %bb.1738:
	s_cmp_lt_i32 s4, 3
	s_cbranch_scc1 .LBB363_1742
; %bb.1739:
	s_cmp_gt_i32 s4, 3
	s_cbranch_scc0 .LBB363_1743
; %bb.1740:
	global_load_dwordx2 v[2:3], v[4:5], off
	s_mov_b64 s[0:1], 0
	s_branch .LBB363_1744
.LBB363_1741:
	s_mov_b64 s[0:1], -1
                                        ; implicit-def: $vgpr2_vgpr3
	s_branch .LBB363_1750
.LBB363_1742:
	s_mov_b64 s[0:1], -1
                                        ; implicit-def: $vgpr2_vgpr3
	s_branch .LBB363_1747
.LBB363_1743:
	s_mov_b64 s[0:1], -1
                                        ; implicit-def: $vgpr2_vgpr3
.LBB363_1744:
	s_andn2_b64 vcc, exec, s[0:1]
	s_cbranch_vccnz .LBB363_1746
; %bb.1745:
	global_load_dword v2, v[4:5], off
	s_waitcnt vmcnt(0)
	v_ashrrev_i32_e32 v3, 31, v2
.LBB363_1746:
	s_mov_b64 s[0:1], 0
.LBB363_1747:
	s_andn2_b64 vcc, exec, s[0:1]
	s_cbranch_vccnz .LBB363_1749
; %bb.1748:
	global_load_ushort v2, v[4:5], off
	s_waitcnt vmcnt(0)
	v_bfe_i32 v2, v2, 0, 16
	v_ashrrev_i32_e32 v3, 31, v2
.LBB363_1749:
	s_mov_b64 s[0:1], 0
.LBB363_1750:
	s_andn2_b64 vcc, exec, s[0:1]
	s_cbranch_vccnz .LBB363_1756
; %bb.1751:
	s_cmp_gt_i32 s4, 0
	s_cbranch_scc0 .LBB363_1753
; %bb.1752:
	global_load_sbyte v2, v[4:5], off
	s_mov_b64 s[0:1], 0
	s_waitcnt vmcnt(0)
	v_bfe_i32 v2, v2, 0, 16
	v_ashrrev_i32_e32 v3, 31, v2
	s_branch .LBB363_1754
.LBB363_1753:
	s_mov_b64 s[0:1], -1
                                        ; implicit-def: $vgpr2_vgpr3
.LBB363_1754:
	s_andn2_b64 vcc, exec, s[0:1]
	s_cbranch_vccnz .LBB363_1756
; %bb.1755:
	global_load_ubyte v2, v[4:5], off
	s_mov_b32 s0, 0
	s_waitcnt vmcnt(1)
	v_mov_b32_e32 v3, s0
	s_waitcnt vmcnt(0)
	v_and_b32_e32 v2, 0xffff, v2
.LBB363_1756:
.LBB363_1757:
	s_lshl_b32 s13, s13, 7
	v_add_u32_e32 v10, s13, v6
	v_ashrrev_i32_e32 v4, 31, v10
	v_mov_b32_e32 v5, s11
	v_add_co_u32_e32 v6, vcc, s10, v10
	s_cmp_lt_i32 s24, 11
	v_addc_co_u32_e32 v7, vcc, v5, v4, vcc
	s_cbranch_scc1 .LBB363_1764
; %bb.1758:
	s_and_b32 s26, 0xffff, s24
	s_cmp_gt_i32 s26, 25
	s_mov_b64 s[4:5], 0
	s_cbranch_scc0 .LBB363_1766
; %bb.1759:
	s_cmp_gt_i32 s26, 28
	s_cbranch_scc0 .LBB363_1767
; %bb.1760:
	s_cmp_gt_i32 s26, 43
	;; [unrolled: 3-line block ×3, first 2 shown]
	s_cbranch_scc0 .LBB363_1770
; %bb.1762:
	s_cmp_eq_u32 s26, 46
	s_mov_b64 s[22:23], 0
	s_cbranch_scc0 .LBB363_1771
; %bb.1763:
	global_load_dword v4, v[6:7], off
	s_mov_b64 s[0:1], 0
	s_mov_b64 s[20:21], -1
	s_waitcnt vmcnt(0)
	v_lshlrev_b32_e32 v4, 16, v4
	v_trunc_f32_e32 v4, v4
	v_mul_f32_e32 v5, 0x2f800000, v4
	v_floor_f32_e32 v5, v5
	v_fmac_f32_e32 v4, 0xcf800000, v5
	v_cvt_u32_f32_e32 v4, v4
	v_cvt_u32_f32_e32 v5, v5
	s_branch .LBB363_1772
.LBB363_1764:
	s_mov_b64 s[20:21], 0
                                        ; implicit-def: $vgpr4_vgpr5
	s_cbranch_execnz .LBB363_1834
.LBB363_1765:
	s_andn2_b64 vcc, exec, s[20:21]
	s_cbranch_vccnz .LBB363_2947
	s_branch .LBB363_1882
.LBB363_1766:
	s_mov_b64 s[22:23], -1
	s_mov_b64 s[20:21], 0
	s_mov_b64 s[0:1], 0
                                        ; implicit-def: $vgpr4_vgpr5
	s_branch .LBB363_1801
.LBB363_1767:
	s_mov_b64 s[22:23], -1
	s_mov_b64 s[20:21], 0
	s_mov_b64 s[0:1], 0
                                        ; implicit-def: $vgpr4_vgpr5
	s_branch .LBB363_1782
.LBB363_1768:
	s_mov_b64 s[22:23], -1
	s_mov_b64 s[20:21], 0
	s_mov_b64 s[0:1], 0
                                        ; implicit-def: $vgpr4_vgpr5
	s_branch .LBB363_1777
.LBB363_1769:
	s_trap 2
	s_or_b64 s[18:19], s[18:19], exec
	s_cbranch_execz .LBB363_1708
	s_branch .LBB363_1709
.LBB363_1770:
	s_mov_b64 s[22:23], -1
	s_mov_b64 s[20:21], 0
	s_mov_b64 s[0:1], 0
                                        ; implicit-def: $vgpr4_vgpr5
	s_branch .LBB363_1772
.LBB363_1771:
	s_mov_b64 s[0:1], -1
                                        ; implicit-def: $vgpr4_vgpr5
	s_mov_b64 s[20:21], 0
.LBB363_1772:
	s_and_b64 vcc, exec, s[22:23]
	s_cbranch_vccz .LBB363_1776
; %bb.1773:
	s_cmp_eq_u32 s26, 44
	s_cbranch_scc0 .LBB363_1775
; %bb.1774:
	global_load_ubyte v4, v[6:7], off
	s_mov_b64 s[0:1], 0
	s_mov_b64 s[20:21], -1
	s_waitcnt vmcnt(0)
	v_lshlrev_b32_e32 v5, 23, v4
	v_trunc_f32_e32 v5, v5
	v_mul_f32_e32 v9, 0x2f800000, v5
	v_floor_f32_e32 v9, v9
	v_fmac_f32_e32 v5, 0xcf800000, v9
	v_cvt_u32_f32_e32 v9, v9
	v_cvt_u32_f32_e32 v11, v5
	v_cmp_ne_u32_e32 vcc, 0, v4
	v_cndmask_b32_e32 v5, 0, v9, vcc
	v_cndmask_b32_e32 v4, 0, v11, vcc
	s_branch .LBB363_1776
.LBB363_1775:
	s_mov_b64 s[0:1], -1
                                        ; implicit-def: $vgpr4_vgpr5
.LBB363_1776:
	s_mov_b64 s[22:23], 0
.LBB363_1777:
	s_and_b64 vcc, exec, s[22:23]
	s_cbranch_vccz .LBB363_1781
; %bb.1778:
	s_cmp_eq_u32 s26, 29
	s_cbranch_scc0 .LBB363_1780
; %bb.1779:
	global_load_dwordx2 v[4:5], v[6:7], off
	s_mov_b64 s[0:1], 0
	s_mov_b64 s[20:21], -1
	s_branch .LBB363_1781
.LBB363_1780:
	s_mov_b64 s[0:1], -1
                                        ; implicit-def: $vgpr4_vgpr5
.LBB363_1781:
	s_mov_b64 s[22:23], 0
.LBB363_1782:
	s_and_b64 vcc, exec, s[22:23]
	s_cbranch_vccz .LBB363_1800
; %bb.1783:
	s_cmp_lt_i32 s26, 27
	s_cbranch_scc1 .LBB363_1786
; %bb.1784:
	s_cmp_gt_i32 s26, 27
	s_cbranch_scc0 .LBB363_1787
; %bb.1785:
	global_load_dword v4, v[6:7], off
	s_waitcnt vmcnt(1)
	v_mov_b32_e32 v5, 0
	s_mov_b64 s[20:21], 0
	s_branch .LBB363_1788
.LBB363_1786:
	s_mov_b64 s[20:21], -1
                                        ; implicit-def: $vgpr4_vgpr5
	s_branch .LBB363_1791
.LBB363_1787:
	s_mov_b64 s[20:21], -1
                                        ; implicit-def: $vgpr4_vgpr5
.LBB363_1788:
	s_andn2_b64 vcc, exec, s[20:21]
	s_cbranch_vccnz .LBB363_1790
; %bb.1789:
	global_load_ushort v4, v[6:7], off
	s_mov_b32 s20, 0
	s_waitcnt vmcnt(1)
	v_mov_b32_e32 v5, s20
	s_waitcnt vmcnt(0)
	v_and_b32_e32 v4, 0xffff, v4
.LBB363_1790:
	s_mov_b64 s[20:21], 0
.LBB363_1791:
	s_andn2_b64 vcc, exec, s[20:21]
	s_cbranch_vccnz .LBB363_1799
; %bb.1792:
	global_load_ubyte v9, v[6:7], off
	s_movk_i32 s20, 0x7f
	s_mov_b64 s[22:23], 0
	s_waitcnt vmcnt(0)
	v_cmp_lt_i16_e32 vcc, s20, v9
	s_and_saveexec_b64 s[20:21], vcc
	s_xor_b64 s[20:21], exec, s[20:21]
; %bb.1793:
	s_movk_i32 s22, 0x80
	v_cmp_ne_u16_e32 vcc, s22, v9
	s_and_b64 s[22:23], vcc, exec
; %bb.1794:
	s_andn2_saveexec_b64 s[20:21], s[20:21]
; %bb.1795:
	v_cmp_ne_u16_e32 vcc, 0, v9
	s_andn2_b64 s[22:23], s[22:23], exec
	s_and_b64 s[28:29], vcc, exec
	s_or_b64 s[22:23], s[22:23], s[28:29]
; %bb.1796:
	s_or_b64 exec, exec, s[20:21]
	v_mov_b32_e32 v4, 0
	v_mov_b32_e32 v5, 0
	s_and_saveexec_b64 s[20:21], s[22:23]
	s_cbranch_execz .LBB363_1798
; %bb.1797:
	v_and_b32_e32 v5, 0xffff, v9
	v_lshlrev_b32_e32 v4, 24, v9
	v_and_b32_e32 v9, 7, v5
	v_ffbh_u32_e32 v12, v9
	v_min_u32_e32 v12, 32, v12
	v_subrev_u32_e32 v13, 28, v12
	v_bfe_u32 v11, v5, 3, 4
	v_lshlrev_b32_e32 v5, v13, v5
	v_sub_u32_e32 v12, 29, v12
	v_and_b32_e32 v5, 7, v5
	v_cmp_eq_u32_e32 vcc, 0, v11
	v_cndmask_b32_e32 v11, v11, v12, vcc
	v_cndmask_b32_e32 v5, v9, v5, vcc
	v_mov_b32_e32 v9, 0x3b800000
	v_lshlrev_b32_e32 v5, 20, v5
	v_and_b32_e32 v4, 0x80000000, v4
	v_lshl_add_u32 v9, v11, 23, v9
	v_or3_b32 v4, v4, v9, v5
	v_trunc_f32_e32 v4, v4
	v_mul_f32_e32 v5, 0x2f800000, v4
	v_floor_f32_e32 v5, v5
	v_fmac_f32_e32 v4, 0xcf800000, v5
	v_cvt_u32_f32_e32 v4, v4
	v_cvt_u32_f32_e32 v5, v5
.LBB363_1798:
	s_or_b64 exec, exec, s[20:21]
.LBB363_1799:
	s_mov_b64 s[20:21], -1
.LBB363_1800:
	s_mov_b64 s[22:23], 0
.LBB363_1801:
	s_and_b64 vcc, exec, s[22:23]
	s_cbranch_vccz .LBB363_1830
; %bb.1802:
	s_cmp_gt_i32 s26, 22
	s_cbranch_scc0 .LBB363_1812
; %bb.1803:
	s_cmp_lt_i32 s26, 24
	s_cbranch_scc1 .LBB363_1813
; %bb.1804:
	s_cmp_gt_i32 s26, 24
	s_cbranch_scc0 .LBB363_1814
; %bb.1805:
	global_load_ubyte v9, v[6:7], off
	s_movk_i32 s4, 0x7f
	s_mov_b64 s[20:21], 0
	s_waitcnt vmcnt(0)
	v_cmp_lt_i16_e32 vcc, s4, v9
	s_and_saveexec_b64 s[4:5], vcc
	s_xor_b64 s[4:5], exec, s[4:5]
; %bb.1806:
	s_movk_i32 s20, 0x80
	v_cmp_ne_u16_e32 vcc, s20, v9
	s_and_b64 s[20:21], vcc, exec
; %bb.1807:
	s_andn2_saveexec_b64 s[4:5], s[4:5]
; %bb.1808:
	v_cmp_ne_u16_e32 vcc, 0, v9
	s_andn2_b64 s[20:21], s[20:21], exec
	s_and_b64 s[22:23], vcc, exec
	s_or_b64 s[20:21], s[20:21], s[22:23]
; %bb.1809:
	s_or_b64 exec, exec, s[4:5]
	v_mov_b32_e32 v4, 0
	v_mov_b32_e32 v5, 0
	s_and_saveexec_b64 s[4:5], s[20:21]
	s_cbranch_execz .LBB363_1811
; %bb.1810:
	v_and_b32_e32 v5, 0xffff, v9
	v_lshlrev_b32_e32 v4, 24, v9
	v_and_b32_e32 v9, 3, v5
	v_ffbh_u32_e32 v12, v9
	v_min_u32_e32 v12, 32, v12
	v_subrev_u32_e32 v13, 29, v12
	v_bfe_u32 v11, v5, 2, 5
	v_lshlrev_b32_e32 v5, v13, v5
	v_sub_u32_e32 v12, 30, v12
	v_and_b32_e32 v5, 3, v5
	v_cmp_eq_u32_e32 vcc, 0, v11
	v_cndmask_b32_e32 v11, v11, v12, vcc
	v_cndmask_b32_e32 v5, v9, v5, vcc
	v_mov_b32_e32 v9, 0x37800000
	v_lshlrev_b32_e32 v5, 21, v5
	v_and_b32_e32 v4, 0x80000000, v4
	v_lshl_add_u32 v9, v11, 23, v9
	v_or3_b32 v4, v4, v9, v5
	v_trunc_f32_e32 v4, v4
	v_mul_f32_e32 v5, 0x2f800000, v4
	v_floor_f32_e32 v5, v5
	v_fmac_f32_e32 v4, 0xcf800000, v5
	v_cvt_u32_f32_e32 v4, v4
	v_cvt_u32_f32_e32 v5, v5
.LBB363_1811:
	s_or_b64 exec, exec, s[4:5]
	s_mov_b64 s[4:5], 0
	s_branch .LBB363_1815
.LBB363_1812:
	s_mov_b64 s[4:5], -1
                                        ; implicit-def: $vgpr4_vgpr5
	s_branch .LBB363_1821
.LBB363_1813:
	s_mov_b64 s[4:5], -1
                                        ; implicit-def: $vgpr4_vgpr5
	s_branch .LBB363_1818
.LBB363_1814:
	s_mov_b64 s[4:5], -1
                                        ; implicit-def: $vgpr4_vgpr5
.LBB363_1815:
	s_and_b64 vcc, exec, s[4:5]
	s_cbranch_vccz .LBB363_1817
; %bb.1816:
	global_load_ubyte v4, v[6:7], off
	s_mov_b32 s4, 0x7f800000
	s_brev_b32 s5, 1
	s_waitcnt vmcnt(0)
	v_lshlrev_b32_e32 v4, 24, v4
	v_and_b32_e32 v5, 0x7f000000, v4
	v_ffbh_u32_e32 v9, v5
	v_min_u32_e32 v9, 32, v9
	v_sub_u32_e64 v9, v9, 4 clamp
	v_lshlrev_b32_e32 v12, v9, v5
	v_lshlrev_b32_e32 v9, 23, v9
	v_lshrrev_b32_e32 v12, 4, v12
	v_add_u32_e32 v11, 0x1000000, v5
	v_sub_u32_e32 v9, v12, v9
	v_ashrrev_i32_e32 v11, 8, v11
	v_add_u32_e32 v9, 0x3c000000, v9
	v_and_or_b32 v9, v11, s4, v9
	v_cmp_ne_u32_e32 vcc, 0, v5
	v_cndmask_b32_e32 v5, 0, v9, vcc
	v_and_or_b32 v4, v4, s5, v5
	v_trunc_f32_e32 v4, v4
	v_mul_f32_e32 v5, 0x2f800000, v4
	v_floor_f32_e32 v5, v5
	v_fmac_f32_e32 v4, 0xcf800000, v5
	v_cvt_u32_f32_e32 v4, v4
	v_cvt_u32_f32_e32 v5, v5
.LBB363_1817:
	s_mov_b64 s[4:5], 0
.LBB363_1818:
	s_andn2_b64 vcc, exec, s[4:5]
	s_cbranch_vccnz .LBB363_1820
; %bb.1819:
	global_load_ubyte v4, v[6:7], off
	s_movk_i32 s4, 0x7f00
	s_brev_b32 s5, 16
	s_brev_b32 s20, 1
	s_waitcnt vmcnt(0)
	v_lshlrev_b16_e32 v5, 8, v4
	v_lshlrev_b32_e32 v4, 25, v4
	v_lshrrev_b32_e32 v9, 4, v4
	v_and_or_b32 v11, v5, s4, 0.5
	v_or_b32_e32 v9, 0x70000000, v9
	v_add_f32_e32 v11, -0.5, v11
	v_mul_f32_e32 v9, 0x7800000, v9
	v_cmp_gt_u32_e32 vcc, s5, v4
	v_bfe_i32 v5, v5, 0, 16
	v_cndmask_b32_e32 v4, v9, v11, vcc
	v_and_or_b32 v4, v5, s20, v4
	v_trunc_f32_e32 v4, v4
	v_mul_f32_e32 v5, 0x2f800000, v4
	v_floor_f32_e32 v5, v5
	v_fmac_f32_e32 v4, 0xcf800000, v5
	v_cvt_u32_f32_e32 v4, v4
	v_cvt_u32_f32_e32 v5, v5
.LBB363_1820:
	s_mov_b64 s[4:5], 0
	s_mov_b64 s[20:21], -1
.LBB363_1821:
	s_andn2_b64 vcc, exec, s[4:5]
	s_mov_b64 s[4:5], 0
	s_cbranch_vccnz .LBB363_1830
; %bb.1822:
	s_cmp_gt_i32 s26, 14
	s_cbranch_scc0 .LBB363_1825
; %bb.1823:
	s_cmp_eq_u32 s26, 15
	s_cbranch_scc0 .LBB363_1826
; %bb.1824:
	global_load_ushort v4, v[6:7], off
	s_mov_b64 s[0:1], 0
	s_mov_b64 s[20:21], -1
	s_waitcnt vmcnt(0)
	v_lshlrev_b32_e32 v4, 16, v4
	v_trunc_f32_e32 v4, v4
	v_mul_f32_e32 v5, 0x2f800000, v4
	v_floor_f32_e32 v5, v5
	v_fmac_f32_e32 v4, 0xcf800000, v5
	v_cvt_u32_f32_e32 v4, v4
	v_cvt_u32_f32_e32 v5, v5
	s_branch .LBB363_1827
.LBB363_1825:
	s_mov_b64 s[22:23], -1
                                        ; implicit-def: $vgpr4_vgpr5
	s_branch .LBB363_1828
.LBB363_1826:
	s_mov_b64 s[0:1], -1
                                        ; implicit-def: $vgpr4_vgpr5
.LBB363_1827:
	s_mov_b64 s[22:23], 0
.LBB363_1828:
	s_and_b64 vcc, exec, s[22:23]
	s_cbranch_vccz .LBB363_1830
; %bb.1829:
	s_cmp_lg_u32 s26, 11
	s_mov_b64 s[4:5], -1
	s_cselect_b64 s[0:1], -1, 0
.LBB363_1830:
	s_and_b64 vcc, exec, s[0:1]
	s_cbranch_vccnz .LBB363_1893
; %bb.1831:
	s_andn2_b64 vcc, exec, s[4:5]
	s_cbranch_vccnz .LBB363_1833
.LBB363_1832:
	global_load_ubyte v4, v[6:7], off
	s_mov_b32 s0, 0
	s_waitcnt vmcnt(1)
	v_mov_b32_e32 v5, s0
	s_mov_b64 s[20:21], -1
	s_waitcnt vmcnt(0)
	v_cmp_ne_u16_e32 vcc, 0, v4
	v_cndmask_b32_e64 v4, 0, 1, vcc
.LBB363_1833:
	s_branch .LBB363_1765
.LBB363_1834:
	s_and_b32 s4, 0xffff, s24
	s_cmp_lt_i32 s4, 5
	s_cbranch_scc1 .LBB363_1839
; %bb.1835:
	s_cmp_lt_i32 s4, 8
	s_cbranch_scc1 .LBB363_1840
; %bb.1836:
	;; [unrolled: 3-line block ×3, first 2 shown]
	s_cmp_gt_i32 s4, 9
	s_cbranch_scc0 .LBB363_1842
; %bb.1838:
	global_load_dwordx2 v[4:5], v[6:7], off
	s_movk_i32 s0, 0xffe0
	s_waitcnt vmcnt(0)
	v_trunc_f64_e32 v[4:5], v[4:5]
	v_ldexp_f64 v[11:12], v[4:5], s0
	s_mov_b32 s0, 0
	s_mov_b32 s1, 0xc1f00000
	v_floor_f64_e32 v[11:12], v[11:12]
	v_fma_f64 v[13:14], v[11:12], s[0:1], v[4:5]
	v_cvt_u32_f64_e32 v5, v[11:12]
	s_mov_b64 s[0:1], 0
	v_cvt_u32_f64_e32 v4, v[13:14]
	s_branch .LBB363_1843
.LBB363_1839:
	s_mov_b64 s[0:1], -1
                                        ; implicit-def: $vgpr4_vgpr5
	s_branch .LBB363_1861
.LBB363_1840:
	s_mov_b64 s[0:1], -1
                                        ; implicit-def: $vgpr4_vgpr5
	s_branch .LBB363_1849
.LBB363_1841:
	s_mov_b64 s[0:1], -1
                                        ; implicit-def: $vgpr4_vgpr5
	s_branch .LBB363_1846
.LBB363_1842:
	s_mov_b64 s[0:1], -1
                                        ; implicit-def: $vgpr4_vgpr5
.LBB363_1843:
	s_andn2_b64 vcc, exec, s[0:1]
	s_cbranch_vccnz .LBB363_1845
; %bb.1844:
	global_load_dword v4, v[6:7], off
	s_waitcnt vmcnt(0)
	v_trunc_f32_e32 v4, v4
	v_mul_f32_e32 v5, 0x2f800000, v4
	v_floor_f32_e32 v9, v5
	v_fmac_f32_e32 v4, 0xcf800000, v9
	v_cvt_u32_f32_e32 v5, v9
	v_cvt_u32_f32_e32 v4, v4
.LBB363_1845:
	s_mov_b64 s[0:1], 0
.LBB363_1846:
	s_andn2_b64 vcc, exec, s[0:1]
	s_cbranch_vccnz .LBB363_1848
; %bb.1847:
	global_load_dword v4, v[6:7], off
	s_waitcnt vmcnt(1)
	v_mov_b32_e32 v5, 0
	s_waitcnt vmcnt(0)
	v_cvt_f32_f16_e32 v4, v4
	v_cvt_u32_f32_e32 v4, v4
.LBB363_1848:
	s_mov_b64 s[0:1], 0
.LBB363_1849:
	s_andn2_b64 vcc, exec, s[0:1]
	s_cbranch_vccnz .LBB363_1860
; %bb.1850:
	s_cmp_lt_i32 s4, 6
	s_cbranch_scc1 .LBB363_1853
; %bb.1851:
	s_cmp_gt_i32 s4, 6
	s_cbranch_scc0 .LBB363_1854
; %bb.1852:
	global_load_dwordx2 v[4:5], v[6:7], off
	s_movk_i32 s0, 0xffe0
	s_waitcnt vmcnt(0)
	v_trunc_f64_e32 v[4:5], v[4:5]
	v_ldexp_f64 v[11:12], v[4:5], s0
	s_mov_b32 s0, 0
	s_mov_b32 s1, 0xc1f00000
	v_floor_f64_e32 v[11:12], v[11:12]
	v_fma_f64 v[13:14], v[11:12], s[0:1], v[4:5]
	v_cvt_u32_f64_e32 v5, v[11:12]
	s_mov_b64 s[0:1], 0
	v_cvt_u32_f64_e32 v4, v[13:14]
	s_branch .LBB363_1855
.LBB363_1853:
	s_mov_b64 s[0:1], -1
                                        ; implicit-def: $vgpr4_vgpr5
	s_branch .LBB363_1858
.LBB363_1854:
	s_mov_b64 s[0:1], -1
                                        ; implicit-def: $vgpr4_vgpr5
.LBB363_1855:
	s_andn2_b64 vcc, exec, s[0:1]
	s_cbranch_vccnz .LBB363_1857
; %bb.1856:
	global_load_dword v4, v[6:7], off
	s_waitcnt vmcnt(0)
	v_trunc_f32_e32 v4, v4
	v_mul_f32_e32 v5, 0x2f800000, v4
	v_floor_f32_e32 v9, v5
	v_fmac_f32_e32 v4, 0xcf800000, v9
	v_cvt_u32_f32_e32 v5, v9
	v_cvt_u32_f32_e32 v4, v4
.LBB363_1857:
	s_mov_b64 s[0:1], 0
.LBB363_1858:
	s_andn2_b64 vcc, exec, s[0:1]
	s_cbranch_vccnz .LBB363_1860
; %bb.1859:
	global_load_ushort v4, v[6:7], off
	s_waitcnt vmcnt(1)
	v_mov_b32_e32 v5, 0
	s_waitcnt vmcnt(0)
	v_cvt_f32_f16_e32 v4, v4
	v_cvt_u32_f32_e32 v4, v4
.LBB363_1860:
	s_mov_b64 s[0:1], 0
.LBB363_1861:
	s_andn2_b64 vcc, exec, s[0:1]
	s_cbranch_vccnz .LBB363_1881
; %bb.1862:
	s_cmp_lt_i32 s4, 2
	s_cbranch_scc1 .LBB363_1866
; %bb.1863:
	s_cmp_lt_i32 s4, 3
	s_cbranch_scc1 .LBB363_1867
; %bb.1864:
	s_cmp_gt_i32 s4, 3
	s_cbranch_scc0 .LBB363_1868
; %bb.1865:
	global_load_dwordx2 v[4:5], v[6:7], off
	s_mov_b64 s[0:1], 0
	s_branch .LBB363_1869
.LBB363_1866:
	s_mov_b64 s[0:1], -1
                                        ; implicit-def: $vgpr4_vgpr5
	s_branch .LBB363_1875
.LBB363_1867:
	s_mov_b64 s[0:1], -1
                                        ; implicit-def: $vgpr4_vgpr5
	s_branch .LBB363_1872
.LBB363_1868:
	s_mov_b64 s[0:1], -1
                                        ; implicit-def: $vgpr4_vgpr5
.LBB363_1869:
	s_andn2_b64 vcc, exec, s[0:1]
	s_cbranch_vccnz .LBB363_1871
; %bb.1870:
	global_load_dword v4, v[6:7], off
	s_waitcnt vmcnt(0)
	v_ashrrev_i32_e32 v5, 31, v4
.LBB363_1871:
	s_mov_b64 s[0:1], 0
.LBB363_1872:
	s_andn2_b64 vcc, exec, s[0:1]
	s_cbranch_vccnz .LBB363_1874
; %bb.1873:
	global_load_ushort v4, v[6:7], off
	s_waitcnt vmcnt(0)
	v_bfe_i32 v4, v4, 0, 16
	v_ashrrev_i32_e32 v5, 31, v4
.LBB363_1874:
	s_mov_b64 s[0:1], 0
.LBB363_1875:
	s_andn2_b64 vcc, exec, s[0:1]
	s_cbranch_vccnz .LBB363_1881
; %bb.1876:
	s_cmp_gt_i32 s4, 0
	s_cbranch_scc0 .LBB363_1878
; %bb.1877:
	global_load_sbyte v4, v[6:7], off
	s_mov_b64 s[0:1], 0
	s_waitcnt vmcnt(0)
	v_bfe_i32 v4, v4, 0, 16
	v_ashrrev_i32_e32 v5, 31, v4
	s_branch .LBB363_1879
.LBB363_1878:
	s_mov_b64 s[0:1], -1
                                        ; implicit-def: $vgpr4_vgpr5
.LBB363_1879:
	s_andn2_b64 vcc, exec, s[0:1]
	s_cbranch_vccnz .LBB363_1881
; %bb.1880:
	global_load_ubyte v4, v[6:7], off
	s_mov_b32 s0, 0
	s_waitcnt vmcnt(1)
	v_mov_b32_e32 v5, s0
	s_waitcnt vmcnt(0)
	v_and_b32_e32 v4, 0xffff, v4
.LBB363_1881:
.LBB363_1882:
	s_lshl_b32 s14, s14, 7
	v_add_u32_e32 v12, s14, v8
	v_ashrrev_i32_e32 v6, 31, v12
	v_mov_b32_e32 v7, s3
	v_add_co_u32_e32 v8, vcc, s2, v12
	s_cmp_lt_i32 s25, 11
	v_addc_co_u32_e32 v9, vcc, v7, v6, vcc
	s_cbranch_scc1 .LBB363_1889
; %bb.1883:
	s_and_b32 s26, 0xffff, s25
	s_cmp_gt_i32 s26, 25
	s_mov_b64 s[4:5], 0
	s_cbranch_scc0 .LBB363_1890
; %bb.1884:
	s_cmp_gt_i32 s26, 28
	s_cbranch_scc0 .LBB363_1891
; %bb.1885:
	s_cmp_gt_i32 s26, 43
	;; [unrolled: 3-line block ×3, first 2 shown]
	s_cbranch_scc0 .LBB363_1894
; %bb.1887:
	s_cmp_eq_u32 s26, 46
	s_mov_b64 s[22:23], 0
	s_cbranch_scc0 .LBB363_1895
; %bb.1888:
	global_load_dword v6, v[8:9], off
	s_mov_b64 s[0:1], 0
	s_mov_b64 s[20:21], -1
	s_waitcnt vmcnt(0)
	v_lshlrev_b32_e32 v6, 16, v6
	v_trunc_f32_e32 v6, v6
	v_mul_f32_e32 v7, 0x2f800000, v6
	v_floor_f32_e32 v7, v7
	v_fmac_f32_e32 v6, 0xcf800000, v7
	v_cvt_u32_f32_e32 v6, v6
	v_cvt_u32_f32_e32 v7, v7
	s_branch .LBB363_1896
.LBB363_1889:
	s_mov_b64 s[0:1], -1
	s_mov_b64 s[20:21], 0
                                        ; implicit-def: $vgpr6_vgpr7
	s_branch .LBB363_1958
.LBB363_1890:
	s_mov_b64 s[22:23], -1
	s_mov_b64 s[20:21], 0
	s_mov_b64 s[0:1], 0
                                        ; implicit-def: $vgpr6_vgpr7
	s_branch .LBB363_1925
.LBB363_1891:
	s_mov_b64 s[22:23], -1
	s_mov_b64 s[20:21], 0
	s_mov_b64 s[0:1], 0
                                        ; implicit-def: $vgpr6_vgpr7
	s_branch .LBB363_1906
.LBB363_1892:
	s_mov_b64 s[22:23], -1
	s_mov_b64 s[20:21], 0
	s_mov_b64 s[0:1], 0
                                        ; implicit-def: $vgpr6_vgpr7
	s_branch .LBB363_1901
.LBB363_1893:
	s_trap 2
	s_or_b64 s[18:19], s[18:19], exec
	s_cbranch_execz .LBB363_1832
	s_branch .LBB363_1833
.LBB363_1894:
	s_mov_b64 s[22:23], -1
	s_mov_b64 s[20:21], 0
	s_mov_b64 s[0:1], 0
                                        ; implicit-def: $vgpr6_vgpr7
	s_branch .LBB363_1896
.LBB363_1895:
	s_mov_b64 s[0:1], -1
                                        ; implicit-def: $vgpr6_vgpr7
	s_mov_b64 s[20:21], 0
.LBB363_1896:
	s_and_b64 vcc, exec, s[22:23]
	s_cbranch_vccz .LBB363_1900
; %bb.1897:
	s_cmp_eq_u32 s26, 44
	s_cbranch_scc0 .LBB363_1899
; %bb.1898:
	global_load_ubyte v6, v[8:9], off
	s_mov_b64 s[0:1], 0
	s_mov_b64 s[20:21], -1
	s_waitcnt vmcnt(0)
	v_lshlrev_b32_e32 v7, 23, v6
	v_trunc_f32_e32 v7, v7
	v_mul_f32_e32 v11, 0x2f800000, v7
	v_floor_f32_e32 v11, v11
	v_fmac_f32_e32 v7, 0xcf800000, v11
	v_cvt_u32_f32_e32 v11, v11
	v_cvt_u32_f32_e32 v13, v7
	v_cmp_ne_u32_e32 vcc, 0, v6
	v_cndmask_b32_e32 v7, 0, v11, vcc
	v_cndmask_b32_e32 v6, 0, v13, vcc
	s_branch .LBB363_1900
.LBB363_1899:
	s_mov_b64 s[0:1], -1
                                        ; implicit-def: $vgpr6_vgpr7
.LBB363_1900:
	s_mov_b64 s[22:23], 0
.LBB363_1901:
	s_and_b64 vcc, exec, s[22:23]
	s_cbranch_vccz .LBB363_1905
; %bb.1902:
	s_cmp_eq_u32 s26, 29
	s_cbranch_scc0 .LBB363_1904
; %bb.1903:
	global_load_dwordx2 v[6:7], v[8:9], off
	s_mov_b64 s[0:1], 0
	s_mov_b64 s[20:21], -1
	s_branch .LBB363_1905
.LBB363_1904:
	s_mov_b64 s[0:1], -1
                                        ; implicit-def: $vgpr6_vgpr7
.LBB363_1905:
	s_mov_b64 s[22:23], 0
.LBB363_1906:
	s_and_b64 vcc, exec, s[22:23]
	s_cbranch_vccz .LBB363_1924
; %bb.1907:
	s_cmp_lt_i32 s26, 27
	s_cbranch_scc1 .LBB363_1910
; %bb.1908:
	s_cmp_gt_i32 s26, 27
	s_cbranch_scc0 .LBB363_1911
; %bb.1909:
	global_load_dword v6, v[8:9], off
	s_waitcnt vmcnt(1)
	v_mov_b32_e32 v7, 0
	s_mov_b64 s[20:21], 0
	s_branch .LBB363_1912
.LBB363_1910:
	s_mov_b64 s[20:21], -1
                                        ; implicit-def: $vgpr6_vgpr7
	s_branch .LBB363_1915
.LBB363_1911:
	s_mov_b64 s[20:21], -1
                                        ; implicit-def: $vgpr6_vgpr7
.LBB363_1912:
	s_andn2_b64 vcc, exec, s[20:21]
	s_cbranch_vccnz .LBB363_1914
; %bb.1913:
	global_load_ushort v6, v[8:9], off
	s_mov_b32 s20, 0
	s_waitcnt vmcnt(1)
	v_mov_b32_e32 v7, s20
	s_waitcnt vmcnt(0)
	v_and_b32_e32 v6, 0xffff, v6
.LBB363_1914:
	s_mov_b64 s[20:21], 0
.LBB363_1915:
	s_andn2_b64 vcc, exec, s[20:21]
	s_cbranch_vccnz .LBB363_1923
; %bb.1916:
	global_load_ubyte v11, v[8:9], off
	s_movk_i32 s20, 0x7f
	s_mov_b64 s[22:23], 0
	s_waitcnt vmcnt(0)
	v_cmp_lt_i16_e32 vcc, s20, v11
	s_and_saveexec_b64 s[20:21], vcc
	s_xor_b64 s[20:21], exec, s[20:21]
; %bb.1917:
	s_movk_i32 s22, 0x80
	v_cmp_ne_u16_e32 vcc, s22, v11
	s_and_b64 s[22:23], vcc, exec
; %bb.1918:
	s_andn2_saveexec_b64 s[20:21], s[20:21]
; %bb.1919:
	v_cmp_ne_u16_e32 vcc, 0, v11
	s_andn2_b64 s[22:23], s[22:23], exec
	s_and_b64 s[28:29], vcc, exec
	s_or_b64 s[22:23], s[22:23], s[28:29]
; %bb.1920:
	s_or_b64 exec, exec, s[20:21]
	v_mov_b32_e32 v6, 0
	v_mov_b32_e32 v7, 0
	s_and_saveexec_b64 s[20:21], s[22:23]
	s_cbranch_execz .LBB363_1922
; %bb.1921:
	v_and_b32_e32 v7, 0xffff, v11
	v_lshlrev_b32_e32 v6, 24, v11
	v_and_b32_e32 v11, 7, v7
	v_ffbh_u32_e32 v14, v11
	v_min_u32_e32 v14, 32, v14
	v_subrev_u32_e32 v15, 28, v14
	v_bfe_u32 v13, v7, 3, 4
	v_lshlrev_b32_e32 v7, v15, v7
	v_sub_u32_e32 v14, 29, v14
	v_and_b32_e32 v7, 7, v7
	v_cmp_eq_u32_e32 vcc, 0, v13
	v_cndmask_b32_e32 v13, v13, v14, vcc
	v_cndmask_b32_e32 v7, v11, v7, vcc
	v_mov_b32_e32 v11, 0x3b800000
	v_lshlrev_b32_e32 v7, 20, v7
	v_and_b32_e32 v6, 0x80000000, v6
	v_lshl_add_u32 v11, v13, 23, v11
	v_or3_b32 v6, v6, v11, v7
	v_trunc_f32_e32 v6, v6
	v_mul_f32_e32 v7, 0x2f800000, v6
	v_floor_f32_e32 v7, v7
	v_fmac_f32_e32 v6, 0xcf800000, v7
	v_cvt_u32_f32_e32 v6, v6
	v_cvt_u32_f32_e32 v7, v7
.LBB363_1922:
	s_or_b64 exec, exec, s[20:21]
.LBB363_1923:
	s_mov_b64 s[20:21], -1
.LBB363_1924:
	s_mov_b64 s[22:23], 0
.LBB363_1925:
	s_and_b64 vcc, exec, s[22:23]
	s_cbranch_vccz .LBB363_1954
; %bb.1926:
	s_cmp_gt_i32 s26, 22
	s_cbranch_scc0 .LBB363_1936
; %bb.1927:
	s_cmp_lt_i32 s26, 24
	s_cbranch_scc1 .LBB363_1937
; %bb.1928:
	s_cmp_gt_i32 s26, 24
	s_cbranch_scc0 .LBB363_1938
; %bb.1929:
	global_load_ubyte v11, v[8:9], off
	s_movk_i32 s4, 0x7f
	s_mov_b64 s[20:21], 0
	s_waitcnt vmcnt(0)
	v_cmp_lt_i16_e32 vcc, s4, v11
	s_and_saveexec_b64 s[4:5], vcc
	s_xor_b64 s[4:5], exec, s[4:5]
; %bb.1930:
	s_movk_i32 s20, 0x80
	v_cmp_ne_u16_e32 vcc, s20, v11
	s_and_b64 s[20:21], vcc, exec
; %bb.1931:
	s_andn2_saveexec_b64 s[4:5], s[4:5]
; %bb.1932:
	v_cmp_ne_u16_e32 vcc, 0, v11
	s_andn2_b64 s[20:21], s[20:21], exec
	s_and_b64 s[22:23], vcc, exec
	s_or_b64 s[20:21], s[20:21], s[22:23]
; %bb.1933:
	s_or_b64 exec, exec, s[4:5]
	v_mov_b32_e32 v6, 0
	v_mov_b32_e32 v7, 0
	s_and_saveexec_b64 s[4:5], s[20:21]
	s_cbranch_execz .LBB363_1935
; %bb.1934:
	v_and_b32_e32 v7, 0xffff, v11
	v_lshlrev_b32_e32 v6, 24, v11
	v_and_b32_e32 v11, 3, v7
	v_ffbh_u32_e32 v14, v11
	v_min_u32_e32 v14, 32, v14
	v_subrev_u32_e32 v15, 29, v14
	v_bfe_u32 v13, v7, 2, 5
	v_lshlrev_b32_e32 v7, v15, v7
	v_sub_u32_e32 v14, 30, v14
	v_and_b32_e32 v7, 3, v7
	v_cmp_eq_u32_e32 vcc, 0, v13
	v_cndmask_b32_e32 v13, v13, v14, vcc
	v_cndmask_b32_e32 v7, v11, v7, vcc
	v_mov_b32_e32 v11, 0x37800000
	v_lshlrev_b32_e32 v7, 21, v7
	v_and_b32_e32 v6, 0x80000000, v6
	v_lshl_add_u32 v11, v13, 23, v11
	v_or3_b32 v6, v6, v11, v7
	v_trunc_f32_e32 v6, v6
	v_mul_f32_e32 v7, 0x2f800000, v6
	v_floor_f32_e32 v7, v7
	v_fmac_f32_e32 v6, 0xcf800000, v7
	v_cvt_u32_f32_e32 v6, v6
	v_cvt_u32_f32_e32 v7, v7
.LBB363_1935:
	s_or_b64 exec, exec, s[4:5]
	s_mov_b64 s[4:5], 0
	s_branch .LBB363_1939
.LBB363_1936:
	s_mov_b64 s[4:5], -1
                                        ; implicit-def: $vgpr6_vgpr7
	s_branch .LBB363_1945
.LBB363_1937:
	s_mov_b64 s[4:5], -1
                                        ; implicit-def: $vgpr6_vgpr7
	s_branch .LBB363_1942
.LBB363_1938:
	s_mov_b64 s[4:5], -1
                                        ; implicit-def: $vgpr6_vgpr7
.LBB363_1939:
	s_and_b64 vcc, exec, s[4:5]
	s_cbranch_vccz .LBB363_1941
; %bb.1940:
	global_load_ubyte v6, v[8:9], off
	s_mov_b32 s4, 0x7f800000
	s_brev_b32 s5, 1
	s_waitcnt vmcnt(0)
	v_lshlrev_b32_e32 v6, 24, v6
	v_and_b32_e32 v7, 0x7f000000, v6
	v_ffbh_u32_e32 v11, v7
	v_min_u32_e32 v11, 32, v11
	v_sub_u32_e64 v11, v11, 4 clamp
	v_lshlrev_b32_e32 v14, v11, v7
	v_lshlrev_b32_e32 v11, 23, v11
	v_lshrrev_b32_e32 v14, 4, v14
	v_add_u32_e32 v13, 0x1000000, v7
	v_sub_u32_e32 v11, v14, v11
	v_ashrrev_i32_e32 v13, 8, v13
	v_add_u32_e32 v11, 0x3c000000, v11
	v_and_or_b32 v11, v13, s4, v11
	v_cmp_ne_u32_e32 vcc, 0, v7
	v_cndmask_b32_e32 v7, 0, v11, vcc
	v_and_or_b32 v6, v6, s5, v7
	v_trunc_f32_e32 v6, v6
	v_mul_f32_e32 v7, 0x2f800000, v6
	v_floor_f32_e32 v7, v7
	v_fmac_f32_e32 v6, 0xcf800000, v7
	v_cvt_u32_f32_e32 v6, v6
	v_cvt_u32_f32_e32 v7, v7
.LBB363_1941:
	s_mov_b64 s[4:5], 0
.LBB363_1942:
	s_andn2_b64 vcc, exec, s[4:5]
	s_cbranch_vccnz .LBB363_1944
; %bb.1943:
	global_load_ubyte v6, v[8:9], off
	s_movk_i32 s4, 0x7f00
	s_brev_b32 s5, 16
	s_brev_b32 s20, 1
	s_waitcnt vmcnt(0)
	v_lshlrev_b16_e32 v7, 8, v6
	v_lshlrev_b32_e32 v6, 25, v6
	v_lshrrev_b32_e32 v11, 4, v6
	v_and_or_b32 v13, v7, s4, 0.5
	v_or_b32_e32 v11, 0x70000000, v11
	v_add_f32_e32 v13, -0.5, v13
	v_mul_f32_e32 v11, 0x7800000, v11
	v_cmp_gt_u32_e32 vcc, s5, v6
	v_bfe_i32 v7, v7, 0, 16
	v_cndmask_b32_e32 v6, v11, v13, vcc
	v_and_or_b32 v6, v7, s20, v6
	v_trunc_f32_e32 v6, v6
	v_mul_f32_e32 v7, 0x2f800000, v6
	v_floor_f32_e32 v7, v7
	v_fmac_f32_e32 v6, 0xcf800000, v7
	v_cvt_u32_f32_e32 v6, v6
	v_cvt_u32_f32_e32 v7, v7
.LBB363_1944:
	s_mov_b64 s[4:5], 0
	s_mov_b64 s[20:21], -1
.LBB363_1945:
	s_andn2_b64 vcc, exec, s[4:5]
	s_mov_b64 s[4:5], 0
	s_cbranch_vccnz .LBB363_1954
; %bb.1946:
	s_cmp_gt_i32 s26, 14
	s_cbranch_scc0 .LBB363_1949
; %bb.1947:
	s_cmp_eq_u32 s26, 15
	s_cbranch_scc0 .LBB363_1950
; %bb.1948:
	global_load_ushort v6, v[8:9], off
	s_mov_b64 s[0:1], 0
	s_mov_b64 s[20:21], -1
	s_waitcnt vmcnt(0)
	v_lshlrev_b32_e32 v6, 16, v6
	v_trunc_f32_e32 v6, v6
	v_mul_f32_e32 v7, 0x2f800000, v6
	v_floor_f32_e32 v7, v7
	v_fmac_f32_e32 v6, 0xcf800000, v7
	v_cvt_u32_f32_e32 v6, v6
	v_cvt_u32_f32_e32 v7, v7
	s_branch .LBB363_1951
.LBB363_1949:
	s_mov_b64 s[22:23], -1
                                        ; implicit-def: $vgpr6_vgpr7
	s_branch .LBB363_1952
.LBB363_1950:
	s_mov_b64 s[0:1], -1
                                        ; implicit-def: $vgpr6_vgpr7
.LBB363_1951:
	s_mov_b64 s[22:23], 0
.LBB363_1952:
	s_and_b64 vcc, exec, s[22:23]
	s_cbranch_vccz .LBB363_1954
; %bb.1953:
	s_cmp_lg_u32 s26, 11
	s_mov_b64 s[4:5], -1
	s_cselect_b64 s[0:1], -1, 0
.LBB363_1954:
	s_and_b64 vcc, exec, s[0:1]
	s_cbranch_vccnz .LBB363_2019
; %bb.1955:
	s_andn2_b64 vcc, exec, s[4:5]
	s_cbranch_vccnz .LBB363_1957
.LBB363_1956:
	global_load_ubyte v6, v[8:9], off
	s_mov_b32 s0, 0
	s_waitcnt vmcnt(1)
	v_mov_b32_e32 v7, s0
	s_mov_b64 s[20:21], -1
	s_waitcnt vmcnt(0)
	v_cmp_ne_u16_e32 vcc, 0, v6
	v_cndmask_b32_e64 v6, 0, 1, vcc
.LBB363_1957:
	s_mov_b64 s[0:1], 0
.LBB363_1958:
	s_and_b64 vcc, exec, s[0:1]
	s_cbranch_vccz .LBB363_2007
; %bb.1959:
	s_and_b32 s4, 0xffff, s25
	s_cmp_lt_i32 s4, 5
	s_cbranch_scc1 .LBB363_1964
; %bb.1960:
	s_cmp_lt_i32 s4, 8
	s_cbranch_scc1 .LBB363_1965
; %bb.1961:
	;; [unrolled: 3-line block ×3, first 2 shown]
	s_cmp_gt_i32 s4, 9
	s_cbranch_scc0 .LBB363_1967
; %bb.1963:
	global_load_dwordx2 v[6:7], v[8:9], off
	s_movk_i32 s0, 0xffe0
	s_waitcnt vmcnt(0)
	v_trunc_f64_e32 v[6:7], v[6:7]
	v_ldexp_f64 v[13:14], v[6:7], s0
	s_mov_b32 s0, 0
	s_mov_b32 s1, 0xc1f00000
	v_floor_f64_e32 v[13:14], v[13:14]
	v_fma_f64 v[15:16], v[13:14], s[0:1], v[6:7]
	v_cvt_u32_f64_e32 v7, v[13:14]
	s_mov_b64 s[0:1], 0
	v_cvt_u32_f64_e32 v6, v[15:16]
	s_branch .LBB363_1968
.LBB363_1964:
	s_mov_b64 s[0:1], -1
                                        ; implicit-def: $vgpr6_vgpr7
	s_branch .LBB363_1986
.LBB363_1965:
	s_mov_b64 s[0:1], -1
                                        ; implicit-def: $vgpr6_vgpr7
	s_branch .LBB363_1974
.LBB363_1966:
	s_mov_b64 s[0:1], -1
                                        ; implicit-def: $vgpr6_vgpr7
	s_branch .LBB363_1971
.LBB363_1967:
	s_mov_b64 s[0:1], -1
                                        ; implicit-def: $vgpr6_vgpr7
.LBB363_1968:
	s_andn2_b64 vcc, exec, s[0:1]
	s_cbranch_vccnz .LBB363_1970
; %bb.1969:
	global_load_dword v6, v[8:9], off
	s_waitcnt vmcnt(0)
	v_trunc_f32_e32 v6, v6
	v_mul_f32_e32 v7, 0x2f800000, v6
	v_floor_f32_e32 v11, v7
	v_fmac_f32_e32 v6, 0xcf800000, v11
	v_cvt_u32_f32_e32 v7, v11
	v_cvt_u32_f32_e32 v6, v6
.LBB363_1970:
	s_mov_b64 s[0:1], 0
.LBB363_1971:
	s_andn2_b64 vcc, exec, s[0:1]
	s_cbranch_vccnz .LBB363_1973
; %bb.1972:
	global_load_dword v6, v[8:9], off
	s_waitcnt vmcnt(1)
	v_mov_b32_e32 v7, 0
	s_waitcnt vmcnt(0)
	v_cvt_f32_f16_e32 v6, v6
	v_cvt_u32_f32_e32 v6, v6
.LBB363_1973:
	s_mov_b64 s[0:1], 0
.LBB363_1974:
	s_andn2_b64 vcc, exec, s[0:1]
	s_cbranch_vccnz .LBB363_1985
; %bb.1975:
	s_cmp_lt_i32 s4, 6
	s_cbranch_scc1 .LBB363_1978
; %bb.1976:
	s_cmp_gt_i32 s4, 6
	s_cbranch_scc0 .LBB363_1979
; %bb.1977:
	global_load_dwordx2 v[6:7], v[8:9], off
	s_movk_i32 s0, 0xffe0
	s_waitcnt vmcnt(0)
	v_trunc_f64_e32 v[6:7], v[6:7]
	v_ldexp_f64 v[13:14], v[6:7], s0
	s_mov_b32 s0, 0
	s_mov_b32 s1, 0xc1f00000
	v_floor_f64_e32 v[13:14], v[13:14]
	v_fma_f64 v[15:16], v[13:14], s[0:1], v[6:7]
	v_cvt_u32_f64_e32 v7, v[13:14]
	s_mov_b64 s[0:1], 0
	v_cvt_u32_f64_e32 v6, v[15:16]
	s_branch .LBB363_1980
.LBB363_1978:
	s_mov_b64 s[0:1], -1
                                        ; implicit-def: $vgpr6_vgpr7
	s_branch .LBB363_1983
.LBB363_1979:
	s_mov_b64 s[0:1], -1
                                        ; implicit-def: $vgpr6_vgpr7
.LBB363_1980:
	s_andn2_b64 vcc, exec, s[0:1]
	s_cbranch_vccnz .LBB363_1982
; %bb.1981:
	global_load_dword v6, v[8:9], off
	s_waitcnt vmcnt(0)
	v_trunc_f32_e32 v6, v6
	v_mul_f32_e32 v7, 0x2f800000, v6
	v_floor_f32_e32 v11, v7
	v_fmac_f32_e32 v6, 0xcf800000, v11
	v_cvt_u32_f32_e32 v7, v11
	v_cvt_u32_f32_e32 v6, v6
.LBB363_1982:
	s_mov_b64 s[0:1], 0
.LBB363_1983:
	s_andn2_b64 vcc, exec, s[0:1]
	s_cbranch_vccnz .LBB363_1985
; %bb.1984:
	global_load_ushort v6, v[8:9], off
	s_waitcnt vmcnt(1)
	v_mov_b32_e32 v7, 0
	s_waitcnt vmcnt(0)
	v_cvt_f32_f16_e32 v6, v6
	v_cvt_u32_f32_e32 v6, v6
.LBB363_1985:
	s_mov_b64 s[0:1], 0
.LBB363_1986:
	s_andn2_b64 vcc, exec, s[0:1]
	s_cbranch_vccnz .LBB363_2006
; %bb.1987:
	s_cmp_lt_i32 s4, 2
	s_cbranch_scc1 .LBB363_1991
; %bb.1988:
	s_cmp_lt_i32 s4, 3
	s_cbranch_scc1 .LBB363_1992
; %bb.1989:
	s_cmp_gt_i32 s4, 3
	s_cbranch_scc0 .LBB363_1993
; %bb.1990:
	global_load_dwordx2 v[6:7], v[8:9], off
	s_mov_b64 s[0:1], 0
	s_branch .LBB363_1994
.LBB363_1991:
	s_mov_b64 s[0:1], -1
                                        ; implicit-def: $vgpr6_vgpr7
	s_branch .LBB363_2000
.LBB363_1992:
	s_mov_b64 s[0:1], -1
                                        ; implicit-def: $vgpr6_vgpr7
	s_branch .LBB363_1997
.LBB363_1993:
	s_mov_b64 s[0:1], -1
                                        ; implicit-def: $vgpr6_vgpr7
.LBB363_1994:
	s_andn2_b64 vcc, exec, s[0:1]
	s_cbranch_vccnz .LBB363_1996
; %bb.1995:
	global_load_dword v6, v[8:9], off
	s_waitcnt vmcnt(0)
	v_ashrrev_i32_e32 v7, 31, v6
.LBB363_1996:
	s_mov_b64 s[0:1], 0
.LBB363_1997:
	s_andn2_b64 vcc, exec, s[0:1]
	s_cbranch_vccnz .LBB363_1999
; %bb.1998:
	global_load_ushort v6, v[8:9], off
	s_waitcnt vmcnt(0)
	v_bfe_i32 v6, v6, 0, 16
	v_ashrrev_i32_e32 v7, 31, v6
.LBB363_1999:
	s_mov_b64 s[0:1], 0
.LBB363_2000:
	s_andn2_b64 vcc, exec, s[0:1]
	s_cbranch_vccnz .LBB363_2006
; %bb.2001:
	s_cmp_gt_i32 s4, 0
	s_cbranch_scc0 .LBB363_2003
; %bb.2002:
	global_load_sbyte v6, v[8:9], off
	s_mov_b64 s[0:1], 0
	s_waitcnt vmcnt(0)
	v_bfe_i32 v6, v6, 0, 16
	v_ashrrev_i32_e32 v7, 31, v6
	s_branch .LBB363_2004
.LBB363_2003:
	s_mov_b64 s[0:1], -1
                                        ; implicit-def: $vgpr6_vgpr7
.LBB363_2004:
	s_andn2_b64 vcc, exec, s[0:1]
	s_cbranch_vccnz .LBB363_2006
; %bb.2005:
	global_load_ubyte v6, v[8:9], off
	s_mov_b32 s0, 0
	s_waitcnt vmcnt(1)
	v_mov_b32_e32 v7, s0
	s_waitcnt vmcnt(0)
	v_and_b32_e32 v6, 0xffff, v6
.LBB363_2006:
	s_mov_b64 s[20:21], -1
.LBB363_2007:
	s_andn2_b64 vcc, exec, s[20:21]
	s_cbranch_vccnz .LBB363_2947
; %bb.2008:
	v_add_u32_e32 v14, s13, v10
	v_ashrrev_i32_e32 v8, 31, v14
	v_mov_b32_e32 v9, s11
	v_add_co_u32_e32 v10, vcc, s10, v14
	s_cmp_lt_i32 s24, 11
	v_addc_co_u32_e32 v11, vcc, v9, v8, vcc
	s_cbranch_scc1 .LBB363_2015
; %bb.2009:
	s_and_b32 s26, 0xffff, s24
	s_cmp_gt_i32 s26, 25
	s_mov_b64 s[4:5], 0
	s_cbranch_scc0 .LBB363_2016
; %bb.2010:
	s_cmp_gt_i32 s26, 28
	s_cbranch_scc0 .LBB363_2017
; %bb.2011:
	s_cmp_gt_i32 s26, 43
	;; [unrolled: 3-line block ×3, first 2 shown]
	s_cbranch_scc0 .LBB363_2020
; %bb.2013:
	s_cmp_eq_u32 s26, 46
	s_mov_b64 s[22:23], 0
	s_cbranch_scc0 .LBB363_2021
; %bb.2014:
	global_load_dword v8, v[10:11], off
	s_mov_b64 s[0:1], 0
	s_mov_b64 s[20:21], -1
	s_waitcnt vmcnt(0)
	v_lshlrev_b32_e32 v8, 16, v8
	v_trunc_f32_e32 v8, v8
	v_mul_f32_e32 v9, 0x2f800000, v8
	v_floor_f32_e32 v9, v9
	v_fmac_f32_e32 v8, 0xcf800000, v9
	v_cvt_u32_f32_e32 v8, v8
	v_cvt_u32_f32_e32 v9, v9
	s_branch .LBB363_2022
.LBB363_2015:
	s_mov_b64 s[0:1], -1
	s_mov_b64 s[20:21], 0
                                        ; implicit-def: $vgpr8_vgpr9
	s_branch .LBB363_2084
.LBB363_2016:
	s_mov_b64 s[22:23], -1
	s_mov_b64 s[20:21], 0
	s_mov_b64 s[0:1], 0
                                        ; implicit-def: $vgpr8_vgpr9
	s_branch .LBB363_2051
.LBB363_2017:
	s_mov_b64 s[22:23], -1
	s_mov_b64 s[20:21], 0
	s_mov_b64 s[0:1], 0
                                        ; implicit-def: $vgpr8_vgpr9
	s_branch .LBB363_2032
.LBB363_2018:
	s_mov_b64 s[22:23], -1
	s_mov_b64 s[20:21], 0
	s_mov_b64 s[0:1], 0
                                        ; implicit-def: $vgpr8_vgpr9
	s_branch .LBB363_2027
.LBB363_2019:
	s_trap 2
	s_or_b64 s[18:19], s[18:19], exec
	s_cbranch_execz .LBB363_1956
	s_branch .LBB363_1957
.LBB363_2020:
	s_mov_b64 s[22:23], -1
	s_mov_b64 s[20:21], 0
	s_mov_b64 s[0:1], 0
                                        ; implicit-def: $vgpr8_vgpr9
	s_branch .LBB363_2022
.LBB363_2021:
	s_mov_b64 s[0:1], -1
                                        ; implicit-def: $vgpr8_vgpr9
	s_mov_b64 s[20:21], 0
.LBB363_2022:
	s_and_b64 vcc, exec, s[22:23]
	s_cbranch_vccz .LBB363_2026
; %bb.2023:
	s_cmp_eq_u32 s26, 44
	s_cbranch_scc0 .LBB363_2025
; %bb.2024:
	global_load_ubyte v8, v[10:11], off
	s_mov_b64 s[0:1], 0
	s_mov_b64 s[20:21], -1
	s_waitcnt vmcnt(0)
	v_lshlrev_b32_e32 v9, 23, v8
	v_trunc_f32_e32 v9, v9
	v_mul_f32_e32 v13, 0x2f800000, v9
	v_floor_f32_e32 v13, v13
	v_fmac_f32_e32 v9, 0xcf800000, v13
	v_cvt_u32_f32_e32 v13, v13
	v_cvt_u32_f32_e32 v15, v9
	v_cmp_ne_u32_e32 vcc, 0, v8
	v_cndmask_b32_e32 v9, 0, v13, vcc
	v_cndmask_b32_e32 v8, 0, v15, vcc
	s_branch .LBB363_2026
.LBB363_2025:
	s_mov_b64 s[0:1], -1
                                        ; implicit-def: $vgpr8_vgpr9
.LBB363_2026:
	s_mov_b64 s[22:23], 0
.LBB363_2027:
	s_and_b64 vcc, exec, s[22:23]
	s_cbranch_vccz .LBB363_2031
; %bb.2028:
	s_cmp_eq_u32 s26, 29
	s_cbranch_scc0 .LBB363_2030
; %bb.2029:
	global_load_dwordx2 v[8:9], v[10:11], off
	s_mov_b64 s[0:1], 0
	s_mov_b64 s[20:21], -1
	s_branch .LBB363_2031
.LBB363_2030:
	s_mov_b64 s[0:1], -1
                                        ; implicit-def: $vgpr8_vgpr9
.LBB363_2031:
	s_mov_b64 s[22:23], 0
.LBB363_2032:
	s_and_b64 vcc, exec, s[22:23]
	s_cbranch_vccz .LBB363_2050
; %bb.2033:
	s_cmp_lt_i32 s26, 27
	s_cbranch_scc1 .LBB363_2036
; %bb.2034:
	s_cmp_gt_i32 s26, 27
	s_cbranch_scc0 .LBB363_2037
; %bb.2035:
	global_load_dword v8, v[10:11], off
	s_waitcnt vmcnt(1)
	v_mov_b32_e32 v9, 0
	s_mov_b64 s[20:21], 0
	s_branch .LBB363_2038
.LBB363_2036:
	s_mov_b64 s[20:21], -1
                                        ; implicit-def: $vgpr8_vgpr9
	s_branch .LBB363_2041
.LBB363_2037:
	s_mov_b64 s[20:21], -1
                                        ; implicit-def: $vgpr8_vgpr9
.LBB363_2038:
	s_andn2_b64 vcc, exec, s[20:21]
	s_cbranch_vccnz .LBB363_2040
; %bb.2039:
	global_load_ushort v8, v[10:11], off
	s_mov_b32 s20, 0
	s_waitcnt vmcnt(1)
	v_mov_b32_e32 v9, s20
	s_waitcnt vmcnt(0)
	v_and_b32_e32 v8, 0xffff, v8
.LBB363_2040:
	s_mov_b64 s[20:21], 0
.LBB363_2041:
	s_andn2_b64 vcc, exec, s[20:21]
	s_cbranch_vccnz .LBB363_2049
; %bb.2042:
	global_load_ubyte v13, v[10:11], off
	s_movk_i32 s20, 0x7f
	s_mov_b64 s[22:23], 0
	s_waitcnt vmcnt(0)
	v_cmp_lt_i16_e32 vcc, s20, v13
	s_and_saveexec_b64 s[20:21], vcc
	s_xor_b64 s[20:21], exec, s[20:21]
; %bb.2043:
	s_movk_i32 s22, 0x80
	v_cmp_ne_u16_e32 vcc, s22, v13
	s_and_b64 s[22:23], vcc, exec
; %bb.2044:
	s_andn2_saveexec_b64 s[20:21], s[20:21]
; %bb.2045:
	v_cmp_ne_u16_e32 vcc, 0, v13
	s_andn2_b64 s[22:23], s[22:23], exec
	s_and_b64 s[28:29], vcc, exec
	s_or_b64 s[22:23], s[22:23], s[28:29]
; %bb.2046:
	s_or_b64 exec, exec, s[20:21]
	v_mov_b32_e32 v8, 0
	v_mov_b32_e32 v9, 0
	s_and_saveexec_b64 s[20:21], s[22:23]
	s_cbranch_execz .LBB363_2048
; %bb.2047:
	v_and_b32_e32 v9, 0xffff, v13
	v_lshlrev_b32_e32 v8, 24, v13
	v_and_b32_e32 v13, 7, v9
	v_ffbh_u32_e32 v16, v13
	v_min_u32_e32 v16, 32, v16
	v_subrev_u32_e32 v17, 28, v16
	v_bfe_u32 v15, v9, 3, 4
	v_lshlrev_b32_e32 v9, v17, v9
	v_sub_u32_e32 v16, 29, v16
	v_and_b32_e32 v9, 7, v9
	v_cmp_eq_u32_e32 vcc, 0, v15
	v_cndmask_b32_e32 v15, v15, v16, vcc
	v_cndmask_b32_e32 v9, v13, v9, vcc
	v_mov_b32_e32 v13, 0x3b800000
	v_lshlrev_b32_e32 v9, 20, v9
	v_and_b32_e32 v8, 0x80000000, v8
	v_lshl_add_u32 v13, v15, 23, v13
	v_or3_b32 v8, v8, v13, v9
	v_trunc_f32_e32 v8, v8
	v_mul_f32_e32 v9, 0x2f800000, v8
	v_floor_f32_e32 v9, v9
	v_fmac_f32_e32 v8, 0xcf800000, v9
	v_cvt_u32_f32_e32 v8, v8
	v_cvt_u32_f32_e32 v9, v9
.LBB363_2048:
	s_or_b64 exec, exec, s[20:21]
.LBB363_2049:
	s_mov_b64 s[20:21], -1
.LBB363_2050:
	s_mov_b64 s[22:23], 0
.LBB363_2051:
	s_and_b64 vcc, exec, s[22:23]
	s_cbranch_vccz .LBB363_2080
; %bb.2052:
	s_cmp_gt_i32 s26, 22
	s_cbranch_scc0 .LBB363_2062
; %bb.2053:
	s_cmp_lt_i32 s26, 24
	s_cbranch_scc1 .LBB363_2063
; %bb.2054:
	s_cmp_gt_i32 s26, 24
	s_cbranch_scc0 .LBB363_2064
; %bb.2055:
	global_load_ubyte v13, v[10:11], off
	s_movk_i32 s4, 0x7f
	s_mov_b64 s[20:21], 0
	s_waitcnt vmcnt(0)
	v_cmp_lt_i16_e32 vcc, s4, v13
	s_and_saveexec_b64 s[4:5], vcc
	s_xor_b64 s[4:5], exec, s[4:5]
; %bb.2056:
	s_movk_i32 s20, 0x80
	v_cmp_ne_u16_e32 vcc, s20, v13
	s_and_b64 s[20:21], vcc, exec
; %bb.2057:
	s_andn2_saveexec_b64 s[4:5], s[4:5]
; %bb.2058:
	v_cmp_ne_u16_e32 vcc, 0, v13
	s_andn2_b64 s[20:21], s[20:21], exec
	s_and_b64 s[22:23], vcc, exec
	s_or_b64 s[20:21], s[20:21], s[22:23]
; %bb.2059:
	s_or_b64 exec, exec, s[4:5]
	v_mov_b32_e32 v8, 0
	v_mov_b32_e32 v9, 0
	s_and_saveexec_b64 s[4:5], s[20:21]
	s_cbranch_execz .LBB363_2061
; %bb.2060:
	v_and_b32_e32 v9, 0xffff, v13
	v_lshlrev_b32_e32 v8, 24, v13
	v_and_b32_e32 v13, 3, v9
	v_ffbh_u32_e32 v16, v13
	v_min_u32_e32 v16, 32, v16
	v_subrev_u32_e32 v17, 29, v16
	v_bfe_u32 v15, v9, 2, 5
	v_lshlrev_b32_e32 v9, v17, v9
	v_sub_u32_e32 v16, 30, v16
	v_and_b32_e32 v9, 3, v9
	v_cmp_eq_u32_e32 vcc, 0, v15
	v_cndmask_b32_e32 v15, v15, v16, vcc
	v_cndmask_b32_e32 v9, v13, v9, vcc
	v_mov_b32_e32 v13, 0x37800000
	v_lshlrev_b32_e32 v9, 21, v9
	v_and_b32_e32 v8, 0x80000000, v8
	v_lshl_add_u32 v13, v15, 23, v13
	v_or3_b32 v8, v8, v13, v9
	v_trunc_f32_e32 v8, v8
	v_mul_f32_e32 v9, 0x2f800000, v8
	v_floor_f32_e32 v9, v9
	v_fmac_f32_e32 v8, 0xcf800000, v9
	v_cvt_u32_f32_e32 v8, v8
	v_cvt_u32_f32_e32 v9, v9
.LBB363_2061:
	s_or_b64 exec, exec, s[4:5]
	s_mov_b64 s[4:5], 0
	s_branch .LBB363_2065
.LBB363_2062:
	s_mov_b64 s[4:5], -1
                                        ; implicit-def: $vgpr8_vgpr9
	s_branch .LBB363_2071
.LBB363_2063:
	s_mov_b64 s[4:5], -1
                                        ; implicit-def: $vgpr8_vgpr9
	s_branch .LBB363_2068
.LBB363_2064:
	s_mov_b64 s[4:5], -1
                                        ; implicit-def: $vgpr8_vgpr9
.LBB363_2065:
	s_and_b64 vcc, exec, s[4:5]
	s_cbranch_vccz .LBB363_2067
; %bb.2066:
	global_load_ubyte v8, v[10:11], off
	s_mov_b32 s4, 0x7f800000
	s_brev_b32 s5, 1
	s_waitcnt vmcnt(0)
	v_lshlrev_b32_e32 v8, 24, v8
	v_and_b32_e32 v9, 0x7f000000, v8
	v_ffbh_u32_e32 v13, v9
	v_min_u32_e32 v13, 32, v13
	v_sub_u32_e64 v13, v13, 4 clamp
	v_lshlrev_b32_e32 v16, v13, v9
	v_lshlrev_b32_e32 v13, 23, v13
	v_lshrrev_b32_e32 v16, 4, v16
	v_add_u32_e32 v15, 0x1000000, v9
	v_sub_u32_e32 v13, v16, v13
	v_ashrrev_i32_e32 v15, 8, v15
	v_add_u32_e32 v13, 0x3c000000, v13
	v_and_or_b32 v13, v15, s4, v13
	v_cmp_ne_u32_e32 vcc, 0, v9
	v_cndmask_b32_e32 v9, 0, v13, vcc
	v_and_or_b32 v8, v8, s5, v9
	v_trunc_f32_e32 v8, v8
	v_mul_f32_e32 v9, 0x2f800000, v8
	v_floor_f32_e32 v9, v9
	v_fmac_f32_e32 v8, 0xcf800000, v9
	v_cvt_u32_f32_e32 v8, v8
	v_cvt_u32_f32_e32 v9, v9
.LBB363_2067:
	s_mov_b64 s[4:5], 0
.LBB363_2068:
	s_andn2_b64 vcc, exec, s[4:5]
	s_cbranch_vccnz .LBB363_2070
; %bb.2069:
	global_load_ubyte v8, v[10:11], off
	s_movk_i32 s4, 0x7f00
	s_brev_b32 s5, 16
	s_brev_b32 s20, 1
	s_waitcnt vmcnt(0)
	v_lshlrev_b16_e32 v9, 8, v8
	v_lshlrev_b32_e32 v8, 25, v8
	v_lshrrev_b32_e32 v13, 4, v8
	v_and_or_b32 v15, v9, s4, 0.5
	v_or_b32_e32 v13, 0x70000000, v13
	v_add_f32_e32 v15, -0.5, v15
	v_mul_f32_e32 v13, 0x7800000, v13
	v_cmp_gt_u32_e32 vcc, s5, v8
	v_bfe_i32 v9, v9, 0, 16
	v_cndmask_b32_e32 v8, v13, v15, vcc
	v_and_or_b32 v8, v9, s20, v8
	v_trunc_f32_e32 v8, v8
	v_mul_f32_e32 v9, 0x2f800000, v8
	v_floor_f32_e32 v9, v9
	v_fmac_f32_e32 v8, 0xcf800000, v9
	v_cvt_u32_f32_e32 v8, v8
	v_cvt_u32_f32_e32 v9, v9
.LBB363_2070:
	s_mov_b64 s[4:5], 0
	s_mov_b64 s[20:21], -1
.LBB363_2071:
	s_andn2_b64 vcc, exec, s[4:5]
	s_mov_b64 s[4:5], 0
	s_cbranch_vccnz .LBB363_2080
; %bb.2072:
	s_cmp_gt_i32 s26, 14
	s_cbranch_scc0 .LBB363_2075
; %bb.2073:
	s_cmp_eq_u32 s26, 15
	s_cbranch_scc0 .LBB363_2076
; %bb.2074:
	global_load_ushort v8, v[10:11], off
	s_mov_b64 s[0:1], 0
	s_mov_b64 s[20:21], -1
	s_waitcnt vmcnt(0)
	v_lshlrev_b32_e32 v8, 16, v8
	v_trunc_f32_e32 v8, v8
	v_mul_f32_e32 v9, 0x2f800000, v8
	v_floor_f32_e32 v9, v9
	v_fmac_f32_e32 v8, 0xcf800000, v9
	v_cvt_u32_f32_e32 v8, v8
	v_cvt_u32_f32_e32 v9, v9
	s_branch .LBB363_2077
.LBB363_2075:
	s_mov_b64 s[22:23], -1
                                        ; implicit-def: $vgpr8_vgpr9
	s_branch .LBB363_2078
.LBB363_2076:
	s_mov_b64 s[0:1], -1
                                        ; implicit-def: $vgpr8_vgpr9
.LBB363_2077:
	s_mov_b64 s[22:23], 0
.LBB363_2078:
	s_and_b64 vcc, exec, s[22:23]
	s_cbranch_vccz .LBB363_2080
; %bb.2079:
	s_cmp_lg_u32 s26, 11
	s_mov_b64 s[4:5], -1
	s_cselect_b64 s[0:1], -1, 0
.LBB363_2080:
	s_and_b64 vcc, exec, s[0:1]
	s_cbranch_vccnz .LBB363_2145
; %bb.2081:
	s_andn2_b64 vcc, exec, s[4:5]
	s_cbranch_vccnz .LBB363_2083
.LBB363_2082:
	global_load_ubyte v8, v[10:11], off
	s_mov_b32 s0, 0
	s_waitcnt vmcnt(1)
	v_mov_b32_e32 v9, s0
	s_mov_b64 s[20:21], -1
	s_waitcnt vmcnt(0)
	v_cmp_ne_u16_e32 vcc, 0, v8
	v_cndmask_b32_e64 v8, 0, 1, vcc
.LBB363_2083:
	s_mov_b64 s[0:1], 0
.LBB363_2084:
	s_and_b64 vcc, exec, s[0:1]
	s_cbranch_vccz .LBB363_2133
; %bb.2085:
	s_and_b32 s4, 0xffff, s24
	s_cmp_lt_i32 s4, 5
	s_cbranch_scc1 .LBB363_2090
; %bb.2086:
	s_cmp_lt_i32 s4, 8
	s_cbranch_scc1 .LBB363_2091
; %bb.2087:
	;; [unrolled: 3-line block ×3, first 2 shown]
	s_cmp_gt_i32 s4, 9
	s_cbranch_scc0 .LBB363_2093
; %bb.2089:
	global_load_dwordx2 v[8:9], v[10:11], off
	s_movk_i32 s0, 0xffe0
	s_waitcnt vmcnt(0)
	v_trunc_f64_e32 v[8:9], v[8:9]
	v_ldexp_f64 v[15:16], v[8:9], s0
	s_mov_b32 s0, 0
	s_mov_b32 s1, 0xc1f00000
	v_floor_f64_e32 v[15:16], v[15:16]
	v_fma_f64 v[19:20], v[15:16], s[0:1], v[8:9]
	v_cvt_u32_f64_e32 v9, v[15:16]
	s_mov_b64 s[0:1], 0
	v_cvt_u32_f64_e32 v8, v[19:20]
	s_branch .LBB363_2094
.LBB363_2090:
	s_mov_b64 s[0:1], -1
                                        ; implicit-def: $vgpr8_vgpr9
	s_branch .LBB363_2112
.LBB363_2091:
	s_mov_b64 s[0:1], -1
                                        ; implicit-def: $vgpr8_vgpr9
	s_branch .LBB363_2100
.LBB363_2092:
	s_mov_b64 s[0:1], -1
                                        ; implicit-def: $vgpr8_vgpr9
	s_branch .LBB363_2097
.LBB363_2093:
	s_mov_b64 s[0:1], -1
                                        ; implicit-def: $vgpr8_vgpr9
.LBB363_2094:
	s_andn2_b64 vcc, exec, s[0:1]
	s_cbranch_vccnz .LBB363_2096
; %bb.2095:
	global_load_dword v8, v[10:11], off
	s_waitcnt vmcnt(0)
	v_trunc_f32_e32 v8, v8
	v_mul_f32_e32 v9, 0x2f800000, v8
	v_floor_f32_e32 v13, v9
	v_fmac_f32_e32 v8, 0xcf800000, v13
	v_cvt_u32_f32_e32 v9, v13
	v_cvt_u32_f32_e32 v8, v8
.LBB363_2096:
	s_mov_b64 s[0:1], 0
.LBB363_2097:
	s_andn2_b64 vcc, exec, s[0:1]
	s_cbranch_vccnz .LBB363_2099
; %bb.2098:
	global_load_dword v8, v[10:11], off
	s_waitcnt vmcnt(1)
	v_mov_b32_e32 v9, 0
	s_waitcnt vmcnt(0)
	v_cvt_f32_f16_e32 v8, v8
	v_cvt_u32_f32_e32 v8, v8
.LBB363_2099:
	s_mov_b64 s[0:1], 0
.LBB363_2100:
	s_andn2_b64 vcc, exec, s[0:1]
	s_cbranch_vccnz .LBB363_2111
; %bb.2101:
	s_cmp_lt_i32 s4, 6
	s_cbranch_scc1 .LBB363_2104
; %bb.2102:
	s_cmp_gt_i32 s4, 6
	s_cbranch_scc0 .LBB363_2105
; %bb.2103:
	global_load_dwordx2 v[8:9], v[10:11], off
	s_movk_i32 s0, 0xffe0
	s_waitcnt vmcnt(0)
	v_trunc_f64_e32 v[8:9], v[8:9]
	v_ldexp_f64 v[15:16], v[8:9], s0
	s_mov_b32 s0, 0
	s_mov_b32 s1, 0xc1f00000
	v_floor_f64_e32 v[15:16], v[15:16]
	v_fma_f64 v[19:20], v[15:16], s[0:1], v[8:9]
	v_cvt_u32_f64_e32 v9, v[15:16]
	s_mov_b64 s[0:1], 0
	v_cvt_u32_f64_e32 v8, v[19:20]
	s_branch .LBB363_2106
.LBB363_2104:
	s_mov_b64 s[0:1], -1
                                        ; implicit-def: $vgpr8_vgpr9
	s_branch .LBB363_2109
.LBB363_2105:
	s_mov_b64 s[0:1], -1
                                        ; implicit-def: $vgpr8_vgpr9
.LBB363_2106:
	s_andn2_b64 vcc, exec, s[0:1]
	s_cbranch_vccnz .LBB363_2108
; %bb.2107:
	global_load_dword v8, v[10:11], off
	s_waitcnt vmcnt(0)
	v_trunc_f32_e32 v8, v8
	v_mul_f32_e32 v9, 0x2f800000, v8
	v_floor_f32_e32 v13, v9
	v_fmac_f32_e32 v8, 0xcf800000, v13
	v_cvt_u32_f32_e32 v9, v13
	v_cvt_u32_f32_e32 v8, v8
.LBB363_2108:
	s_mov_b64 s[0:1], 0
.LBB363_2109:
	s_andn2_b64 vcc, exec, s[0:1]
	s_cbranch_vccnz .LBB363_2111
; %bb.2110:
	global_load_ushort v8, v[10:11], off
	s_waitcnt vmcnt(1)
	v_mov_b32_e32 v9, 0
	s_waitcnt vmcnt(0)
	v_cvt_f32_f16_e32 v8, v8
	v_cvt_u32_f32_e32 v8, v8
.LBB363_2111:
	s_mov_b64 s[0:1], 0
.LBB363_2112:
	s_andn2_b64 vcc, exec, s[0:1]
	s_cbranch_vccnz .LBB363_2132
; %bb.2113:
	s_cmp_lt_i32 s4, 2
	s_cbranch_scc1 .LBB363_2117
; %bb.2114:
	s_cmp_lt_i32 s4, 3
	s_cbranch_scc1 .LBB363_2118
; %bb.2115:
	s_cmp_gt_i32 s4, 3
	s_cbranch_scc0 .LBB363_2119
; %bb.2116:
	global_load_dwordx2 v[8:9], v[10:11], off
	s_mov_b64 s[0:1], 0
	s_branch .LBB363_2120
.LBB363_2117:
	s_mov_b64 s[0:1], -1
                                        ; implicit-def: $vgpr8_vgpr9
	s_branch .LBB363_2126
.LBB363_2118:
	s_mov_b64 s[0:1], -1
                                        ; implicit-def: $vgpr8_vgpr9
	s_branch .LBB363_2123
.LBB363_2119:
	s_mov_b64 s[0:1], -1
                                        ; implicit-def: $vgpr8_vgpr9
.LBB363_2120:
	s_andn2_b64 vcc, exec, s[0:1]
	s_cbranch_vccnz .LBB363_2122
; %bb.2121:
	global_load_dword v8, v[10:11], off
	s_waitcnt vmcnt(0)
	v_ashrrev_i32_e32 v9, 31, v8
.LBB363_2122:
	s_mov_b64 s[0:1], 0
.LBB363_2123:
	s_andn2_b64 vcc, exec, s[0:1]
	s_cbranch_vccnz .LBB363_2125
; %bb.2124:
	global_load_ushort v8, v[10:11], off
	s_waitcnt vmcnt(0)
	v_bfe_i32 v8, v8, 0, 16
	v_ashrrev_i32_e32 v9, 31, v8
.LBB363_2125:
	s_mov_b64 s[0:1], 0
.LBB363_2126:
	s_andn2_b64 vcc, exec, s[0:1]
	s_cbranch_vccnz .LBB363_2132
; %bb.2127:
	s_cmp_gt_i32 s4, 0
	s_cbranch_scc0 .LBB363_2129
; %bb.2128:
	global_load_sbyte v8, v[10:11], off
	s_mov_b64 s[0:1], 0
	s_waitcnt vmcnt(0)
	v_bfe_i32 v8, v8, 0, 16
	v_ashrrev_i32_e32 v9, 31, v8
	s_branch .LBB363_2130
.LBB363_2129:
	s_mov_b64 s[0:1], -1
                                        ; implicit-def: $vgpr8_vgpr9
.LBB363_2130:
	s_andn2_b64 vcc, exec, s[0:1]
	s_cbranch_vccnz .LBB363_2132
; %bb.2131:
	global_load_ubyte v8, v[10:11], off
	s_mov_b32 s0, 0
	s_waitcnt vmcnt(1)
	v_mov_b32_e32 v9, s0
	s_waitcnt vmcnt(0)
	v_and_b32_e32 v8, 0xffff, v8
.LBB363_2132:
	s_mov_b64 s[20:21], -1
.LBB363_2133:
	s_andn2_b64 vcc, exec, s[20:21]
	s_cbranch_vccnz .LBB363_2947
; %bb.2134:
	v_add_u32_e32 v16, s14, v12
	v_ashrrev_i32_e32 v10, 31, v16
	v_mov_b32_e32 v11, s3
	v_add_co_u32_e32 v12, vcc, s2, v16
	s_cmp_lt_i32 s25, 11
	v_addc_co_u32_e32 v13, vcc, v11, v10, vcc
	s_cbranch_scc1 .LBB363_2141
; %bb.2135:
	s_and_b32 s26, 0xffff, s25
	s_cmp_gt_i32 s26, 25
	s_mov_b64 s[4:5], 0
	s_cbranch_scc0 .LBB363_2142
; %bb.2136:
	s_cmp_gt_i32 s26, 28
	s_cbranch_scc0 .LBB363_2143
; %bb.2137:
	s_cmp_gt_i32 s26, 43
	;; [unrolled: 3-line block ×3, first 2 shown]
	s_cbranch_scc0 .LBB363_2146
; %bb.2139:
	s_cmp_eq_u32 s26, 46
	s_mov_b64 s[22:23], 0
	s_cbranch_scc0 .LBB363_2149
; %bb.2140:
	global_load_dword v10, v[12:13], off
	s_mov_b64 s[0:1], 0
	s_mov_b64 s[20:21], -1
	s_waitcnt vmcnt(0)
	v_lshlrev_b32_e32 v10, 16, v10
	v_trunc_f32_e32 v10, v10
	v_mul_f32_e32 v11, 0x2f800000, v10
	v_floor_f32_e32 v11, v11
	v_fmac_f32_e32 v10, 0xcf800000, v11
	v_cvt_u32_f32_e32 v10, v10
	v_cvt_u32_f32_e32 v11, v11
	s_branch .LBB363_2150
.LBB363_2141:
	s_mov_b64 s[0:1], -1
	s_mov_b64 s[20:21], 0
                                        ; implicit-def: $vgpr10_vgpr11
	s_branch .LBB363_2212
.LBB363_2142:
	s_mov_b64 s[22:23], -1
	s_mov_b64 s[20:21], 0
	s_mov_b64 s[0:1], 0
                                        ; implicit-def: $vgpr10_vgpr11
	s_branch .LBB363_2179
.LBB363_2143:
	s_mov_b64 s[22:23], -1
	s_mov_b64 s[20:21], 0
	s_mov_b64 s[0:1], 0
                                        ; implicit-def: $vgpr10_vgpr11
	s_branch .LBB363_2160
.LBB363_2144:
	s_mov_b64 s[22:23], -1
	s_mov_b64 s[20:21], 0
	s_mov_b64 s[0:1], 0
                                        ; implicit-def: $vgpr10_vgpr11
	s_branch .LBB363_2155
.LBB363_2145:
	s_trap 2
	s_or_b64 s[18:19], s[18:19], exec
	s_cbranch_execz .LBB363_2082
	s_branch .LBB363_2083
.LBB363_2146:
	s_mov_b64 s[22:23], -1
	s_mov_b64 s[20:21], 0
	s_mov_b64 s[0:1], 0
                                        ; implicit-def: $vgpr10_vgpr11
	s_branch .LBB363_2150
.LBB363_2147:
	s_andn2_saveexec_b64 s[48:49], s[48:49]
	s_cbranch_execz .LBB363_1061
.LBB363_2148:
	v_add_f32_e32 v2, 0x42800000, v3
	v_and_b32_e32 v2, 0xff, v2
	v_cmp_ne_u32_e32 vcc, 0, v2
	s_andn2_b64 s[46:47], s[46:47], exec
	s_and_b64 s[54:55], vcc, exec
	s_or_b64 s[46:47], s[46:47], s[54:55]
	s_or_b64 exec, exec, s[48:49]
	v_mov_b32_e32 v4, 0
	s_and_saveexec_b64 s[48:49], s[46:47]
	s_cbranch_execnz .LBB363_1062
	s_branch .LBB363_1063
.LBB363_2149:
	s_mov_b64 s[0:1], -1
                                        ; implicit-def: $vgpr10_vgpr11
	s_mov_b64 s[20:21], 0
.LBB363_2150:
	s_and_b64 vcc, exec, s[22:23]
	s_cbranch_vccz .LBB363_2154
; %bb.2151:
	s_cmp_eq_u32 s26, 44
	s_cbranch_scc0 .LBB363_2153
; %bb.2152:
	global_load_ubyte v10, v[12:13], off
	s_mov_b64 s[0:1], 0
	s_mov_b64 s[20:21], -1
	s_waitcnt vmcnt(0)
	v_lshlrev_b32_e32 v11, 23, v10
	v_trunc_f32_e32 v11, v11
	v_mul_f32_e32 v15, 0x2f800000, v11
	v_floor_f32_e32 v15, v15
	v_fmac_f32_e32 v11, 0xcf800000, v15
	v_cvt_u32_f32_e32 v15, v15
	v_cvt_u32_f32_e32 v17, v11
	v_cmp_ne_u32_e32 vcc, 0, v10
	v_cndmask_b32_e32 v11, 0, v15, vcc
	v_cndmask_b32_e32 v10, 0, v17, vcc
	s_branch .LBB363_2154
.LBB363_2153:
	s_mov_b64 s[0:1], -1
                                        ; implicit-def: $vgpr10_vgpr11
.LBB363_2154:
	s_mov_b64 s[22:23], 0
.LBB363_2155:
	s_and_b64 vcc, exec, s[22:23]
	s_cbranch_vccz .LBB363_2159
; %bb.2156:
	s_cmp_eq_u32 s26, 29
	s_cbranch_scc0 .LBB363_2158
; %bb.2157:
	global_load_dwordx2 v[10:11], v[12:13], off
	s_mov_b64 s[0:1], 0
	s_mov_b64 s[20:21], -1
	s_branch .LBB363_2159
.LBB363_2158:
	s_mov_b64 s[0:1], -1
                                        ; implicit-def: $vgpr10_vgpr11
.LBB363_2159:
	s_mov_b64 s[22:23], 0
.LBB363_2160:
	s_and_b64 vcc, exec, s[22:23]
	s_cbranch_vccz .LBB363_2178
; %bb.2161:
	s_cmp_lt_i32 s26, 27
	s_cbranch_scc1 .LBB363_2164
; %bb.2162:
	s_cmp_gt_i32 s26, 27
	s_cbranch_scc0 .LBB363_2165
; %bb.2163:
	global_load_dword v10, v[12:13], off
	s_waitcnt vmcnt(1)
	v_mov_b32_e32 v11, 0
	s_mov_b64 s[20:21], 0
	s_branch .LBB363_2166
.LBB363_2164:
	s_mov_b64 s[20:21], -1
                                        ; implicit-def: $vgpr10_vgpr11
	s_branch .LBB363_2169
.LBB363_2165:
	s_mov_b64 s[20:21], -1
                                        ; implicit-def: $vgpr10_vgpr11
.LBB363_2166:
	s_andn2_b64 vcc, exec, s[20:21]
	s_cbranch_vccnz .LBB363_2168
; %bb.2167:
	global_load_ushort v10, v[12:13], off
	s_mov_b32 s20, 0
	s_waitcnt vmcnt(1)
	v_mov_b32_e32 v11, s20
	s_waitcnt vmcnt(0)
	v_and_b32_e32 v10, 0xffff, v10
.LBB363_2168:
	s_mov_b64 s[20:21], 0
.LBB363_2169:
	s_andn2_b64 vcc, exec, s[20:21]
	s_cbranch_vccnz .LBB363_2177
; %bb.2170:
	global_load_ubyte v15, v[12:13], off
	s_movk_i32 s20, 0x7f
	s_mov_b64 s[22:23], 0
	s_waitcnt vmcnt(0)
	v_cmp_lt_i16_e32 vcc, s20, v15
	s_and_saveexec_b64 s[20:21], vcc
	s_xor_b64 s[20:21], exec, s[20:21]
; %bb.2171:
	s_movk_i32 s22, 0x80
	v_cmp_ne_u16_e32 vcc, s22, v15
	s_and_b64 s[22:23], vcc, exec
; %bb.2172:
	s_andn2_saveexec_b64 s[20:21], s[20:21]
; %bb.2173:
	v_cmp_ne_u16_e32 vcc, 0, v15
	s_andn2_b64 s[22:23], s[22:23], exec
	s_and_b64 s[28:29], vcc, exec
	s_or_b64 s[22:23], s[22:23], s[28:29]
; %bb.2174:
	s_or_b64 exec, exec, s[20:21]
	v_mov_b32_e32 v10, 0
	v_mov_b32_e32 v11, 0
	s_and_saveexec_b64 s[20:21], s[22:23]
	s_cbranch_execz .LBB363_2176
; %bb.2175:
	v_and_b32_e32 v11, 0xffff, v15
	v_lshlrev_b32_e32 v10, 24, v15
	v_and_b32_e32 v15, 7, v11
	v_ffbh_u32_e32 v19, v15
	v_min_u32_e32 v19, 32, v19
	v_subrev_u32_e32 v20, 28, v19
	v_bfe_u32 v17, v11, 3, 4
	v_lshlrev_b32_e32 v11, v20, v11
	v_sub_u32_e32 v19, 29, v19
	v_and_b32_e32 v11, 7, v11
	v_cmp_eq_u32_e32 vcc, 0, v17
	v_cndmask_b32_e32 v17, v17, v19, vcc
	v_cndmask_b32_e32 v11, v15, v11, vcc
	v_mov_b32_e32 v15, 0x3b800000
	v_lshlrev_b32_e32 v11, 20, v11
	v_and_b32_e32 v10, 0x80000000, v10
	v_lshl_add_u32 v15, v17, 23, v15
	v_or3_b32 v10, v10, v15, v11
	v_trunc_f32_e32 v10, v10
	v_mul_f32_e32 v11, 0x2f800000, v10
	v_floor_f32_e32 v11, v11
	v_fmac_f32_e32 v10, 0xcf800000, v11
	v_cvt_u32_f32_e32 v10, v10
	v_cvt_u32_f32_e32 v11, v11
.LBB363_2176:
	s_or_b64 exec, exec, s[20:21]
.LBB363_2177:
	s_mov_b64 s[20:21], -1
.LBB363_2178:
	s_mov_b64 s[22:23], 0
.LBB363_2179:
	s_and_b64 vcc, exec, s[22:23]
	s_cbranch_vccz .LBB363_2208
; %bb.2180:
	s_cmp_gt_i32 s26, 22
	s_cbranch_scc0 .LBB363_2190
; %bb.2181:
	s_cmp_lt_i32 s26, 24
	s_cbranch_scc1 .LBB363_2191
; %bb.2182:
	s_cmp_gt_i32 s26, 24
	s_cbranch_scc0 .LBB363_2192
; %bb.2183:
	global_load_ubyte v15, v[12:13], off
	s_movk_i32 s4, 0x7f
	s_mov_b64 s[20:21], 0
	s_waitcnt vmcnt(0)
	v_cmp_lt_i16_e32 vcc, s4, v15
	s_and_saveexec_b64 s[4:5], vcc
	s_xor_b64 s[4:5], exec, s[4:5]
; %bb.2184:
	s_movk_i32 s20, 0x80
	v_cmp_ne_u16_e32 vcc, s20, v15
	s_and_b64 s[20:21], vcc, exec
; %bb.2185:
	s_andn2_saveexec_b64 s[4:5], s[4:5]
; %bb.2186:
	v_cmp_ne_u16_e32 vcc, 0, v15
	s_andn2_b64 s[20:21], s[20:21], exec
	s_and_b64 s[22:23], vcc, exec
	s_or_b64 s[20:21], s[20:21], s[22:23]
; %bb.2187:
	s_or_b64 exec, exec, s[4:5]
	v_mov_b32_e32 v10, 0
	v_mov_b32_e32 v11, 0
	s_and_saveexec_b64 s[4:5], s[20:21]
	s_cbranch_execz .LBB363_2189
; %bb.2188:
	v_and_b32_e32 v11, 0xffff, v15
	v_lshlrev_b32_e32 v10, 24, v15
	v_and_b32_e32 v15, 3, v11
	v_ffbh_u32_e32 v19, v15
	v_min_u32_e32 v19, 32, v19
	v_subrev_u32_e32 v20, 29, v19
	v_bfe_u32 v17, v11, 2, 5
	v_lshlrev_b32_e32 v11, v20, v11
	v_sub_u32_e32 v19, 30, v19
	v_and_b32_e32 v11, 3, v11
	v_cmp_eq_u32_e32 vcc, 0, v17
	v_cndmask_b32_e32 v17, v17, v19, vcc
	v_cndmask_b32_e32 v11, v15, v11, vcc
	v_mov_b32_e32 v15, 0x37800000
	v_lshlrev_b32_e32 v11, 21, v11
	v_and_b32_e32 v10, 0x80000000, v10
	v_lshl_add_u32 v15, v17, 23, v15
	v_or3_b32 v10, v10, v15, v11
	v_trunc_f32_e32 v10, v10
	v_mul_f32_e32 v11, 0x2f800000, v10
	v_floor_f32_e32 v11, v11
	v_fmac_f32_e32 v10, 0xcf800000, v11
	v_cvt_u32_f32_e32 v10, v10
	v_cvt_u32_f32_e32 v11, v11
.LBB363_2189:
	s_or_b64 exec, exec, s[4:5]
	s_mov_b64 s[4:5], 0
	s_branch .LBB363_2193
.LBB363_2190:
	s_mov_b64 s[4:5], -1
                                        ; implicit-def: $vgpr10_vgpr11
	s_branch .LBB363_2199
.LBB363_2191:
	s_mov_b64 s[4:5], -1
                                        ; implicit-def: $vgpr10_vgpr11
	s_branch .LBB363_2196
.LBB363_2192:
	s_mov_b64 s[4:5], -1
                                        ; implicit-def: $vgpr10_vgpr11
.LBB363_2193:
	s_and_b64 vcc, exec, s[4:5]
	s_cbranch_vccz .LBB363_2195
; %bb.2194:
	global_load_ubyte v10, v[12:13], off
	s_mov_b32 s4, 0x7f800000
	s_brev_b32 s5, 1
	s_waitcnt vmcnt(0)
	v_lshlrev_b32_e32 v10, 24, v10
	v_and_b32_e32 v11, 0x7f000000, v10
	v_ffbh_u32_e32 v15, v11
	v_min_u32_e32 v15, 32, v15
	v_sub_u32_e64 v15, v15, 4 clamp
	v_lshlrev_b32_e32 v19, v15, v11
	v_lshlrev_b32_e32 v15, 23, v15
	v_lshrrev_b32_e32 v19, 4, v19
	v_add_u32_e32 v17, 0x1000000, v11
	v_sub_u32_e32 v15, v19, v15
	v_ashrrev_i32_e32 v17, 8, v17
	v_add_u32_e32 v15, 0x3c000000, v15
	v_and_or_b32 v15, v17, s4, v15
	v_cmp_ne_u32_e32 vcc, 0, v11
	v_cndmask_b32_e32 v11, 0, v15, vcc
	v_and_or_b32 v10, v10, s5, v11
	v_trunc_f32_e32 v10, v10
	v_mul_f32_e32 v11, 0x2f800000, v10
	v_floor_f32_e32 v11, v11
	v_fmac_f32_e32 v10, 0xcf800000, v11
	v_cvt_u32_f32_e32 v10, v10
	v_cvt_u32_f32_e32 v11, v11
.LBB363_2195:
	s_mov_b64 s[4:5], 0
.LBB363_2196:
	s_andn2_b64 vcc, exec, s[4:5]
	s_cbranch_vccnz .LBB363_2198
; %bb.2197:
	global_load_ubyte v10, v[12:13], off
	s_movk_i32 s4, 0x7f00
	s_brev_b32 s5, 16
	s_brev_b32 s20, 1
	s_waitcnt vmcnt(0)
	v_lshlrev_b16_e32 v11, 8, v10
	v_lshlrev_b32_e32 v10, 25, v10
	v_lshrrev_b32_e32 v15, 4, v10
	v_and_or_b32 v17, v11, s4, 0.5
	v_or_b32_e32 v15, 0x70000000, v15
	v_add_f32_e32 v17, -0.5, v17
	v_mul_f32_e32 v15, 0x7800000, v15
	v_cmp_gt_u32_e32 vcc, s5, v10
	v_bfe_i32 v11, v11, 0, 16
	v_cndmask_b32_e32 v10, v15, v17, vcc
	v_and_or_b32 v10, v11, s20, v10
	v_trunc_f32_e32 v10, v10
	v_mul_f32_e32 v11, 0x2f800000, v10
	v_floor_f32_e32 v11, v11
	v_fmac_f32_e32 v10, 0xcf800000, v11
	v_cvt_u32_f32_e32 v10, v10
	v_cvt_u32_f32_e32 v11, v11
.LBB363_2198:
	s_mov_b64 s[4:5], 0
	s_mov_b64 s[20:21], -1
.LBB363_2199:
	s_andn2_b64 vcc, exec, s[4:5]
	s_mov_b64 s[4:5], 0
	s_cbranch_vccnz .LBB363_2208
; %bb.2200:
	s_cmp_gt_i32 s26, 14
	s_cbranch_scc0 .LBB363_2203
; %bb.2201:
	s_cmp_eq_u32 s26, 15
	s_cbranch_scc0 .LBB363_2204
; %bb.2202:
	global_load_ushort v10, v[12:13], off
	s_mov_b64 s[0:1], 0
	s_mov_b64 s[20:21], -1
	s_waitcnt vmcnt(0)
	v_lshlrev_b32_e32 v10, 16, v10
	v_trunc_f32_e32 v10, v10
	v_mul_f32_e32 v11, 0x2f800000, v10
	v_floor_f32_e32 v11, v11
	v_fmac_f32_e32 v10, 0xcf800000, v11
	v_cvt_u32_f32_e32 v10, v10
	v_cvt_u32_f32_e32 v11, v11
	s_branch .LBB363_2205
.LBB363_2203:
	s_mov_b64 s[22:23], -1
                                        ; implicit-def: $vgpr10_vgpr11
	s_branch .LBB363_2206
.LBB363_2204:
	s_mov_b64 s[0:1], -1
                                        ; implicit-def: $vgpr10_vgpr11
.LBB363_2205:
	s_mov_b64 s[22:23], 0
.LBB363_2206:
	s_and_b64 vcc, exec, s[22:23]
	s_cbranch_vccz .LBB363_2208
; %bb.2207:
	s_cmp_lg_u32 s26, 11
	s_mov_b64 s[4:5], -1
	s_cselect_b64 s[0:1], -1, 0
.LBB363_2208:
	s_and_b64 vcc, exec, s[0:1]
	s_cbranch_vccnz .LBB363_2273
; %bb.2209:
	s_andn2_b64 vcc, exec, s[4:5]
	s_cbranch_vccnz .LBB363_2211
.LBB363_2210:
	global_load_ubyte v10, v[12:13], off
	s_mov_b32 s0, 0
	s_waitcnt vmcnt(1)
	v_mov_b32_e32 v11, s0
	s_mov_b64 s[20:21], -1
	s_waitcnt vmcnt(0)
	v_cmp_ne_u16_e32 vcc, 0, v10
	v_cndmask_b32_e64 v10, 0, 1, vcc
.LBB363_2211:
	s_mov_b64 s[0:1], 0
.LBB363_2212:
	s_and_b64 vcc, exec, s[0:1]
	s_cbranch_vccz .LBB363_2261
; %bb.2213:
	s_and_b32 s4, 0xffff, s25
	s_cmp_lt_i32 s4, 5
	s_cbranch_scc1 .LBB363_2218
; %bb.2214:
	s_cmp_lt_i32 s4, 8
	s_cbranch_scc1 .LBB363_2219
; %bb.2215:
	;; [unrolled: 3-line block ×3, first 2 shown]
	s_cmp_gt_i32 s4, 9
	s_cbranch_scc0 .LBB363_2221
; %bb.2217:
	global_load_dwordx2 v[10:11], v[12:13], off
	s_movk_i32 s0, 0xffe0
	s_waitcnt vmcnt(0)
	v_trunc_f64_e32 v[10:11], v[10:11]
	v_ldexp_f64 v[19:20], v[10:11], s0
	s_mov_b32 s0, 0
	s_mov_b32 s1, 0xc1f00000
	v_floor_f64_e32 v[19:20], v[19:20]
	v_fma_f64 v[21:22], v[19:20], s[0:1], v[10:11]
	v_cvt_u32_f64_e32 v11, v[19:20]
	s_mov_b64 s[0:1], 0
	v_cvt_u32_f64_e32 v10, v[21:22]
	s_branch .LBB363_2222
.LBB363_2218:
	s_mov_b64 s[0:1], -1
                                        ; implicit-def: $vgpr10_vgpr11
	s_branch .LBB363_2240
.LBB363_2219:
	s_mov_b64 s[0:1], -1
                                        ; implicit-def: $vgpr10_vgpr11
	s_branch .LBB363_2228
.LBB363_2220:
	s_mov_b64 s[0:1], -1
                                        ; implicit-def: $vgpr10_vgpr11
	s_branch .LBB363_2225
.LBB363_2221:
	s_mov_b64 s[0:1], -1
                                        ; implicit-def: $vgpr10_vgpr11
.LBB363_2222:
	s_andn2_b64 vcc, exec, s[0:1]
	s_cbranch_vccnz .LBB363_2224
; %bb.2223:
	global_load_dword v10, v[12:13], off
	s_waitcnt vmcnt(0)
	v_trunc_f32_e32 v10, v10
	v_mul_f32_e32 v11, 0x2f800000, v10
	v_floor_f32_e32 v15, v11
	v_fmac_f32_e32 v10, 0xcf800000, v15
	v_cvt_u32_f32_e32 v11, v15
	v_cvt_u32_f32_e32 v10, v10
.LBB363_2224:
	s_mov_b64 s[0:1], 0
.LBB363_2225:
	s_andn2_b64 vcc, exec, s[0:1]
	s_cbranch_vccnz .LBB363_2227
; %bb.2226:
	global_load_dword v10, v[12:13], off
	s_waitcnt vmcnt(1)
	v_mov_b32_e32 v11, 0
	s_waitcnt vmcnt(0)
	v_cvt_f32_f16_e32 v10, v10
	v_cvt_u32_f32_e32 v10, v10
.LBB363_2227:
	s_mov_b64 s[0:1], 0
.LBB363_2228:
	s_andn2_b64 vcc, exec, s[0:1]
	s_cbranch_vccnz .LBB363_2239
; %bb.2229:
	s_cmp_lt_i32 s4, 6
	s_cbranch_scc1 .LBB363_2232
; %bb.2230:
	s_cmp_gt_i32 s4, 6
	s_cbranch_scc0 .LBB363_2233
; %bb.2231:
	global_load_dwordx2 v[10:11], v[12:13], off
	s_movk_i32 s0, 0xffe0
	s_waitcnt vmcnt(0)
	v_trunc_f64_e32 v[10:11], v[10:11]
	v_ldexp_f64 v[19:20], v[10:11], s0
	s_mov_b32 s0, 0
	s_mov_b32 s1, 0xc1f00000
	v_floor_f64_e32 v[19:20], v[19:20]
	v_fma_f64 v[21:22], v[19:20], s[0:1], v[10:11]
	v_cvt_u32_f64_e32 v11, v[19:20]
	s_mov_b64 s[0:1], 0
	v_cvt_u32_f64_e32 v10, v[21:22]
	s_branch .LBB363_2234
.LBB363_2232:
	s_mov_b64 s[0:1], -1
                                        ; implicit-def: $vgpr10_vgpr11
	s_branch .LBB363_2237
.LBB363_2233:
	s_mov_b64 s[0:1], -1
                                        ; implicit-def: $vgpr10_vgpr11
.LBB363_2234:
	s_andn2_b64 vcc, exec, s[0:1]
	s_cbranch_vccnz .LBB363_2236
; %bb.2235:
	global_load_dword v10, v[12:13], off
	s_waitcnt vmcnt(0)
	v_trunc_f32_e32 v10, v10
	v_mul_f32_e32 v11, 0x2f800000, v10
	v_floor_f32_e32 v15, v11
	v_fmac_f32_e32 v10, 0xcf800000, v15
	v_cvt_u32_f32_e32 v11, v15
	v_cvt_u32_f32_e32 v10, v10
.LBB363_2236:
	s_mov_b64 s[0:1], 0
.LBB363_2237:
	s_andn2_b64 vcc, exec, s[0:1]
	s_cbranch_vccnz .LBB363_2239
; %bb.2238:
	global_load_ushort v10, v[12:13], off
	s_waitcnt vmcnt(1)
	v_mov_b32_e32 v11, 0
	s_waitcnt vmcnt(0)
	v_cvt_f32_f16_e32 v10, v10
	v_cvt_u32_f32_e32 v10, v10
.LBB363_2239:
	s_mov_b64 s[0:1], 0
.LBB363_2240:
	s_andn2_b64 vcc, exec, s[0:1]
	s_cbranch_vccnz .LBB363_2260
; %bb.2241:
	s_cmp_lt_i32 s4, 2
	s_cbranch_scc1 .LBB363_2245
; %bb.2242:
	s_cmp_lt_i32 s4, 3
	s_cbranch_scc1 .LBB363_2246
; %bb.2243:
	s_cmp_gt_i32 s4, 3
	s_cbranch_scc0 .LBB363_2247
; %bb.2244:
	global_load_dwordx2 v[10:11], v[12:13], off
	s_mov_b64 s[0:1], 0
	s_branch .LBB363_2248
.LBB363_2245:
	s_mov_b64 s[0:1], -1
                                        ; implicit-def: $vgpr10_vgpr11
	s_branch .LBB363_2254
.LBB363_2246:
	s_mov_b64 s[0:1], -1
                                        ; implicit-def: $vgpr10_vgpr11
	s_branch .LBB363_2251
.LBB363_2247:
	s_mov_b64 s[0:1], -1
                                        ; implicit-def: $vgpr10_vgpr11
.LBB363_2248:
	s_andn2_b64 vcc, exec, s[0:1]
	s_cbranch_vccnz .LBB363_2250
; %bb.2249:
	global_load_dword v10, v[12:13], off
	s_waitcnt vmcnt(0)
	v_ashrrev_i32_e32 v11, 31, v10
.LBB363_2250:
	s_mov_b64 s[0:1], 0
.LBB363_2251:
	s_andn2_b64 vcc, exec, s[0:1]
	s_cbranch_vccnz .LBB363_2253
; %bb.2252:
	global_load_ushort v10, v[12:13], off
	s_waitcnt vmcnt(0)
	v_bfe_i32 v10, v10, 0, 16
	v_ashrrev_i32_e32 v11, 31, v10
.LBB363_2253:
	s_mov_b64 s[0:1], 0
.LBB363_2254:
	s_andn2_b64 vcc, exec, s[0:1]
	s_cbranch_vccnz .LBB363_2260
; %bb.2255:
	s_cmp_gt_i32 s4, 0
	s_cbranch_scc0 .LBB363_2257
; %bb.2256:
	global_load_sbyte v10, v[12:13], off
	s_mov_b64 s[0:1], 0
	s_waitcnt vmcnt(0)
	v_bfe_i32 v10, v10, 0, 16
	v_ashrrev_i32_e32 v11, 31, v10
	s_branch .LBB363_2258
.LBB363_2257:
	s_mov_b64 s[0:1], -1
                                        ; implicit-def: $vgpr10_vgpr11
.LBB363_2258:
	s_andn2_b64 vcc, exec, s[0:1]
	s_cbranch_vccnz .LBB363_2260
; %bb.2259:
	global_load_ubyte v10, v[12:13], off
	s_mov_b32 s0, 0
	s_waitcnt vmcnt(1)
	v_mov_b32_e32 v11, s0
	s_waitcnt vmcnt(0)
	v_and_b32_e32 v10, 0xffff, v10
.LBB363_2260:
	s_mov_b64 s[20:21], -1
.LBB363_2261:
	s_andn2_b64 vcc, exec, s[20:21]
	s_cbranch_vccnz .LBB363_2947
; %bb.2262:
	v_add_u32_e32 v12, s13, v14
	v_ashrrev_i32_e32 v13, 31, v12
	v_mov_b32_e32 v15, s11
	v_add_co_u32_e32 v14, vcc, s10, v12
	s_cmp_lt_i32 s24, 11
	v_addc_co_u32_e32 v15, vcc, v15, v13, vcc
	s_cbranch_scc1 .LBB363_2269
; %bb.2263:
	s_and_b32 s13, 0xffff, s24
	s_cmp_gt_i32 s13, 25
	s_mov_b64 s[4:5], 0
	s_cbranch_scc0 .LBB363_2270
; %bb.2264:
	s_cmp_gt_i32 s13, 28
	s_cbranch_scc0 .LBB363_2271
; %bb.2265:
	s_cmp_gt_i32 s13, 43
	;; [unrolled: 3-line block ×3, first 2 shown]
	s_cbranch_scc0 .LBB363_2274
; %bb.2267:
	s_cmp_eq_u32 s13, 46
	s_mov_b64 s[20:21], 0
	s_cbranch_scc0 .LBB363_2275
; %bb.2268:
	global_load_dword v12, v[14:15], off
	s_mov_b64 s[0:1], 0
	s_mov_b64 s[10:11], -1
	s_waitcnt vmcnt(0)
	v_lshlrev_b32_e32 v12, 16, v12
	v_trunc_f32_e32 v12, v12
	v_mul_f32_e32 v13, 0x2f800000, v12
	v_floor_f32_e32 v13, v13
	v_fmac_f32_e32 v12, 0xcf800000, v13
	v_cvt_u32_f32_e32 v12, v12
	v_cvt_u32_f32_e32 v13, v13
	s_branch .LBB363_2276
.LBB363_2269:
	s_mov_b64 s[0:1], -1
	s_mov_b64 s[10:11], 0
                                        ; implicit-def: $vgpr12_vgpr13
	s_branch .LBB363_2338
.LBB363_2270:
	s_mov_b64 s[20:21], -1
	s_mov_b64 s[10:11], 0
	s_mov_b64 s[0:1], 0
                                        ; implicit-def: $vgpr12_vgpr13
	s_branch .LBB363_2305
.LBB363_2271:
	s_mov_b64 s[20:21], -1
	s_mov_b64 s[10:11], 0
	s_mov_b64 s[0:1], 0
                                        ; implicit-def: $vgpr12_vgpr13
	s_branch .LBB363_2286
.LBB363_2272:
	s_mov_b64 s[20:21], -1
	s_mov_b64 s[10:11], 0
	s_mov_b64 s[0:1], 0
                                        ; implicit-def: $vgpr12_vgpr13
	s_branch .LBB363_2281
.LBB363_2273:
	s_trap 2
	s_or_b64 s[18:19], s[18:19], exec
	s_cbranch_execz .LBB363_2210
	s_branch .LBB363_2211
.LBB363_2274:
	s_mov_b64 s[20:21], -1
	s_mov_b64 s[10:11], 0
	s_mov_b64 s[0:1], 0
                                        ; implicit-def: $vgpr12_vgpr13
	s_branch .LBB363_2276
.LBB363_2275:
	s_mov_b64 s[0:1], -1
                                        ; implicit-def: $vgpr12_vgpr13
	s_mov_b64 s[10:11], 0
.LBB363_2276:
	s_and_b64 vcc, exec, s[20:21]
	s_cbranch_vccz .LBB363_2280
; %bb.2277:
	s_cmp_eq_u32 s13, 44
	s_cbranch_scc0 .LBB363_2279
; %bb.2278:
	global_load_ubyte v12, v[14:15], off
	s_mov_b64 s[0:1], 0
	s_mov_b64 s[10:11], -1
	s_waitcnt vmcnt(0)
	v_lshlrev_b32_e32 v13, 23, v12
	v_trunc_f32_e32 v13, v13
	v_mul_f32_e32 v17, 0x2f800000, v13
	v_floor_f32_e32 v17, v17
	v_fmac_f32_e32 v13, 0xcf800000, v17
	v_cvt_u32_f32_e32 v17, v17
	v_cvt_u32_f32_e32 v19, v13
	v_cmp_ne_u32_e32 vcc, 0, v12
	v_cndmask_b32_e32 v13, 0, v17, vcc
	v_cndmask_b32_e32 v12, 0, v19, vcc
	s_branch .LBB363_2280
.LBB363_2279:
	s_mov_b64 s[0:1], -1
                                        ; implicit-def: $vgpr12_vgpr13
.LBB363_2280:
	s_mov_b64 s[20:21], 0
.LBB363_2281:
	s_and_b64 vcc, exec, s[20:21]
	s_cbranch_vccz .LBB363_2285
; %bb.2282:
	s_cmp_eq_u32 s13, 29
	s_cbranch_scc0 .LBB363_2284
; %bb.2283:
	global_load_dwordx2 v[12:13], v[14:15], off
	s_mov_b64 s[0:1], 0
	s_mov_b64 s[10:11], -1
	s_branch .LBB363_2285
.LBB363_2284:
	s_mov_b64 s[0:1], -1
                                        ; implicit-def: $vgpr12_vgpr13
.LBB363_2285:
	s_mov_b64 s[20:21], 0
.LBB363_2286:
	s_and_b64 vcc, exec, s[20:21]
	s_cbranch_vccz .LBB363_2304
; %bb.2287:
	s_cmp_lt_i32 s13, 27
	s_cbranch_scc1 .LBB363_2290
; %bb.2288:
	s_cmp_gt_i32 s13, 27
	s_cbranch_scc0 .LBB363_2291
; %bb.2289:
	global_load_dword v12, v[14:15], off
	s_waitcnt vmcnt(1)
	v_mov_b32_e32 v13, 0
	s_mov_b64 s[10:11], 0
	s_branch .LBB363_2292
.LBB363_2290:
	s_mov_b64 s[10:11], -1
                                        ; implicit-def: $vgpr12_vgpr13
	s_branch .LBB363_2295
.LBB363_2291:
	s_mov_b64 s[10:11], -1
                                        ; implicit-def: $vgpr12_vgpr13
.LBB363_2292:
	s_andn2_b64 vcc, exec, s[10:11]
	s_cbranch_vccnz .LBB363_2294
; %bb.2293:
	global_load_ushort v12, v[14:15], off
	s_mov_b32 s10, 0
	s_waitcnt vmcnt(1)
	v_mov_b32_e32 v13, s10
	s_waitcnt vmcnt(0)
	v_and_b32_e32 v12, 0xffff, v12
.LBB363_2294:
	s_mov_b64 s[10:11], 0
.LBB363_2295:
	s_andn2_b64 vcc, exec, s[10:11]
	s_cbranch_vccnz .LBB363_2303
; %bb.2296:
	global_load_ubyte v17, v[14:15], off
	s_movk_i32 s10, 0x7f
	s_mov_b64 s[20:21], 0
	s_waitcnt vmcnt(0)
	v_cmp_lt_i16_e32 vcc, s10, v17
	s_and_saveexec_b64 s[10:11], vcc
	s_xor_b64 s[10:11], exec, s[10:11]
; %bb.2297:
	s_movk_i32 s20, 0x80
	v_cmp_ne_u16_e32 vcc, s20, v17
	s_and_b64 s[20:21], vcc, exec
; %bb.2298:
	s_andn2_saveexec_b64 s[10:11], s[10:11]
; %bb.2299:
	v_cmp_ne_u16_e32 vcc, 0, v17
	s_andn2_b64 s[20:21], s[20:21], exec
	s_and_b64 s[22:23], vcc, exec
	s_or_b64 s[20:21], s[20:21], s[22:23]
; %bb.2300:
	s_or_b64 exec, exec, s[10:11]
	v_mov_b32_e32 v12, 0
	v_mov_b32_e32 v13, 0
	s_and_saveexec_b64 s[10:11], s[20:21]
	s_cbranch_execz .LBB363_2302
; %bb.2301:
	v_and_b32_e32 v13, 0xffff, v17
	v_lshlrev_b32_e32 v12, 24, v17
	v_and_b32_e32 v17, 7, v13
	v_ffbh_u32_e32 v20, v17
	v_min_u32_e32 v20, 32, v20
	v_subrev_u32_e32 v21, 28, v20
	v_bfe_u32 v19, v13, 3, 4
	v_lshlrev_b32_e32 v13, v21, v13
	v_sub_u32_e32 v20, 29, v20
	v_and_b32_e32 v13, 7, v13
	v_cmp_eq_u32_e32 vcc, 0, v19
	v_cndmask_b32_e32 v19, v19, v20, vcc
	v_cndmask_b32_e32 v13, v17, v13, vcc
	v_mov_b32_e32 v17, 0x3b800000
	v_lshlrev_b32_e32 v13, 20, v13
	v_and_b32_e32 v12, 0x80000000, v12
	v_lshl_add_u32 v17, v19, 23, v17
	v_or3_b32 v12, v12, v17, v13
	v_trunc_f32_e32 v12, v12
	v_mul_f32_e32 v13, 0x2f800000, v12
	v_floor_f32_e32 v13, v13
	v_fmac_f32_e32 v12, 0xcf800000, v13
	v_cvt_u32_f32_e32 v12, v12
	v_cvt_u32_f32_e32 v13, v13
.LBB363_2302:
	s_or_b64 exec, exec, s[10:11]
.LBB363_2303:
	s_mov_b64 s[10:11], -1
.LBB363_2304:
	s_mov_b64 s[20:21], 0
.LBB363_2305:
	s_and_b64 vcc, exec, s[20:21]
	s_cbranch_vccz .LBB363_2334
; %bb.2306:
	s_cmp_gt_i32 s13, 22
	s_cbranch_scc0 .LBB363_2316
; %bb.2307:
	s_cmp_lt_i32 s13, 24
	s_cbranch_scc1 .LBB363_2317
; %bb.2308:
	s_cmp_gt_i32 s13, 24
	s_cbranch_scc0 .LBB363_2318
; %bb.2309:
	global_load_ubyte v17, v[14:15], off
	s_movk_i32 s4, 0x7f
	s_mov_b64 s[10:11], 0
	s_waitcnt vmcnt(0)
	v_cmp_lt_i16_e32 vcc, s4, v17
	s_and_saveexec_b64 s[4:5], vcc
	s_xor_b64 s[4:5], exec, s[4:5]
; %bb.2310:
	s_movk_i32 s10, 0x80
	v_cmp_ne_u16_e32 vcc, s10, v17
	s_and_b64 s[10:11], vcc, exec
; %bb.2311:
	s_andn2_saveexec_b64 s[4:5], s[4:5]
; %bb.2312:
	v_cmp_ne_u16_e32 vcc, 0, v17
	s_andn2_b64 s[10:11], s[10:11], exec
	s_and_b64 s[20:21], vcc, exec
	s_or_b64 s[10:11], s[10:11], s[20:21]
; %bb.2313:
	s_or_b64 exec, exec, s[4:5]
	v_mov_b32_e32 v12, 0
	v_mov_b32_e32 v13, 0
	s_and_saveexec_b64 s[4:5], s[10:11]
	s_cbranch_execz .LBB363_2315
; %bb.2314:
	v_and_b32_e32 v13, 0xffff, v17
	v_lshlrev_b32_e32 v12, 24, v17
	v_and_b32_e32 v17, 3, v13
	v_ffbh_u32_e32 v20, v17
	v_min_u32_e32 v20, 32, v20
	v_subrev_u32_e32 v21, 29, v20
	v_bfe_u32 v19, v13, 2, 5
	v_lshlrev_b32_e32 v13, v21, v13
	v_sub_u32_e32 v20, 30, v20
	v_and_b32_e32 v13, 3, v13
	v_cmp_eq_u32_e32 vcc, 0, v19
	v_cndmask_b32_e32 v19, v19, v20, vcc
	v_cndmask_b32_e32 v13, v17, v13, vcc
	v_mov_b32_e32 v17, 0x37800000
	v_lshlrev_b32_e32 v13, 21, v13
	v_and_b32_e32 v12, 0x80000000, v12
	v_lshl_add_u32 v17, v19, 23, v17
	v_or3_b32 v12, v12, v17, v13
	v_trunc_f32_e32 v12, v12
	v_mul_f32_e32 v13, 0x2f800000, v12
	v_floor_f32_e32 v13, v13
	v_fmac_f32_e32 v12, 0xcf800000, v13
	v_cvt_u32_f32_e32 v12, v12
	v_cvt_u32_f32_e32 v13, v13
.LBB363_2315:
	s_or_b64 exec, exec, s[4:5]
	s_mov_b64 s[4:5], 0
	s_branch .LBB363_2319
.LBB363_2316:
	s_mov_b64 s[4:5], -1
                                        ; implicit-def: $vgpr12_vgpr13
	s_branch .LBB363_2325
.LBB363_2317:
	s_mov_b64 s[4:5], -1
                                        ; implicit-def: $vgpr12_vgpr13
	s_branch .LBB363_2322
.LBB363_2318:
	s_mov_b64 s[4:5], -1
                                        ; implicit-def: $vgpr12_vgpr13
.LBB363_2319:
	s_and_b64 vcc, exec, s[4:5]
	s_cbranch_vccz .LBB363_2321
; %bb.2320:
	global_load_ubyte v12, v[14:15], off
	s_mov_b32 s4, 0x7f800000
	s_brev_b32 s5, 1
	s_waitcnt vmcnt(0)
	v_lshlrev_b32_e32 v12, 24, v12
	v_and_b32_e32 v13, 0x7f000000, v12
	v_ffbh_u32_e32 v17, v13
	v_min_u32_e32 v17, 32, v17
	v_sub_u32_e64 v17, v17, 4 clamp
	v_lshlrev_b32_e32 v20, v17, v13
	v_lshlrev_b32_e32 v17, 23, v17
	v_lshrrev_b32_e32 v20, 4, v20
	v_add_u32_e32 v19, 0x1000000, v13
	v_sub_u32_e32 v17, v20, v17
	v_ashrrev_i32_e32 v19, 8, v19
	v_add_u32_e32 v17, 0x3c000000, v17
	v_and_or_b32 v17, v19, s4, v17
	v_cmp_ne_u32_e32 vcc, 0, v13
	v_cndmask_b32_e32 v13, 0, v17, vcc
	v_and_or_b32 v12, v12, s5, v13
	v_trunc_f32_e32 v12, v12
	v_mul_f32_e32 v13, 0x2f800000, v12
	v_floor_f32_e32 v13, v13
	v_fmac_f32_e32 v12, 0xcf800000, v13
	v_cvt_u32_f32_e32 v12, v12
	v_cvt_u32_f32_e32 v13, v13
.LBB363_2321:
	s_mov_b64 s[4:5], 0
.LBB363_2322:
	s_andn2_b64 vcc, exec, s[4:5]
	s_cbranch_vccnz .LBB363_2324
; %bb.2323:
	global_load_ubyte v12, v[14:15], off
	s_movk_i32 s4, 0x7f00
	s_brev_b32 s5, 16
	s_brev_b32 s10, 1
	s_waitcnt vmcnt(0)
	v_lshlrev_b16_e32 v13, 8, v12
	v_lshlrev_b32_e32 v12, 25, v12
	v_lshrrev_b32_e32 v17, 4, v12
	v_and_or_b32 v19, v13, s4, 0.5
	v_or_b32_e32 v17, 0x70000000, v17
	v_add_f32_e32 v19, -0.5, v19
	v_mul_f32_e32 v17, 0x7800000, v17
	v_cmp_gt_u32_e32 vcc, s5, v12
	v_bfe_i32 v13, v13, 0, 16
	v_cndmask_b32_e32 v12, v17, v19, vcc
	v_and_or_b32 v12, v13, s10, v12
	v_trunc_f32_e32 v12, v12
	v_mul_f32_e32 v13, 0x2f800000, v12
	v_floor_f32_e32 v13, v13
	v_fmac_f32_e32 v12, 0xcf800000, v13
	v_cvt_u32_f32_e32 v12, v12
	v_cvt_u32_f32_e32 v13, v13
.LBB363_2324:
	s_mov_b64 s[4:5], 0
	s_mov_b64 s[10:11], -1
.LBB363_2325:
	s_andn2_b64 vcc, exec, s[4:5]
	s_mov_b64 s[4:5], 0
	s_cbranch_vccnz .LBB363_2334
; %bb.2326:
	s_cmp_gt_i32 s13, 14
	s_cbranch_scc0 .LBB363_2329
; %bb.2327:
	s_cmp_eq_u32 s13, 15
	s_cbranch_scc0 .LBB363_2330
; %bb.2328:
	global_load_ushort v12, v[14:15], off
	s_mov_b64 s[0:1], 0
	s_mov_b64 s[10:11], -1
	s_waitcnt vmcnt(0)
	v_lshlrev_b32_e32 v12, 16, v12
	v_trunc_f32_e32 v12, v12
	v_mul_f32_e32 v13, 0x2f800000, v12
	v_floor_f32_e32 v13, v13
	v_fmac_f32_e32 v12, 0xcf800000, v13
	v_cvt_u32_f32_e32 v12, v12
	v_cvt_u32_f32_e32 v13, v13
	s_branch .LBB363_2331
.LBB363_2329:
	s_mov_b64 s[20:21], -1
                                        ; implicit-def: $vgpr12_vgpr13
	s_branch .LBB363_2332
.LBB363_2330:
	s_mov_b64 s[0:1], -1
                                        ; implicit-def: $vgpr12_vgpr13
.LBB363_2331:
	s_mov_b64 s[20:21], 0
.LBB363_2332:
	s_and_b64 vcc, exec, s[20:21]
	s_cbranch_vccz .LBB363_2334
; %bb.2333:
	s_cmp_lg_u32 s13, 11
	s_mov_b64 s[4:5], -1
	s_cselect_b64 s[0:1], -1, 0
.LBB363_2334:
	s_and_b64 vcc, exec, s[0:1]
	s_cbranch_vccnz .LBB363_2399
; %bb.2335:
	s_andn2_b64 vcc, exec, s[4:5]
	s_cbranch_vccnz .LBB363_2337
.LBB363_2336:
	global_load_ubyte v12, v[14:15], off
	s_mov_b32 s0, 0
	s_waitcnt vmcnt(1)
	v_mov_b32_e32 v13, s0
	s_mov_b64 s[10:11], -1
	s_waitcnt vmcnt(0)
	v_cmp_ne_u16_e32 vcc, 0, v12
	v_cndmask_b32_e64 v12, 0, 1, vcc
.LBB363_2337:
	s_mov_b64 s[0:1], 0
.LBB363_2338:
	s_and_b64 vcc, exec, s[0:1]
	s_cbranch_vccz .LBB363_2387
; %bb.2339:
	s_and_b32 s4, 0xffff, s24
	s_cmp_lt_i32 s4, 5
	s_cbranch_scc1 .LBB363_2344
; %bb.2340:
	s_cmp_lt_i32 s4, 8
	s_cbranch_scc1 .LBB363_2345
; %bb.2341:
	s_cmp_lt_i32 s4, 9
	s_cbranch_scc1 .LBB363_2346
; %bb.2342:
	s_cmp_gt_i32 s4, 9
	s_cbranch_scc0 .LBB363_2347
; %bb.2343:
	global_load_dwordx2 v[12:13], v[14:15], off
	s_movk_i32 s0, 0xffe0
	s_waitcnt vmcnt(0)
	v_trunc_f64_e32 v[12:13], v[12:13]
	v_ldexp_f64 v[19:20], v[12:13], s0
	s_mov_b32 s0, 0
	s_mov_b32 s1, 0xc1f00000
	v_floor_f64_e32 v[19:20], v[19:20]
	v_fma_f64 v[21:22], v[19:20], s[0:1], v[12:13]
	v_cvt_u32_f64_e32 v13, v[19:20]
	s_mov_b64 s[0:1], 0
	v_cvt_u32_f64_e32 v12, v[21:22]
	s_branch .LBB363_2348
.LBB363_2344:
	s_mov_b64 s[0:1], -1
                                        ; implicit-def: $vgpr12_vgpr13
	s_branch .LBB363_2366
.LBB363_2345:
	s_mov_b64 s[0:1], -1
                                        ; implicit-def: $vgpr12_vgpr13
	s_branch .LBB363_2354
.LBB363_2346:
	s_mov_b64 s[0:1], -1
                                        ; implicit-def: $vgpr12_vgpr13
	s_branch .LBB363_2351
.LBB363_2347:
	s_mov_b64 s[0:1], -1
                                        ; implicit-def: $vgpr12_vgpr13
.LBB363_2348:
	s_andn2_b64 vcc, exec, s[0:1]
	s_cbranch_vccnz .LBB363_2350
; %bb.2349:
	global_load_dword v12, v[14:15], off
	s_waitcnt vmcnt(0)
	v_trunc_f32_e32 v12, v12
	v_mul_f32_e32 v13, 0x2f800000, v12
	v_floor_f32_e32 v17, v13
	v_fmac_f32_e32 v12, 0xcf800000, v17
	v_cvt_u32_f32_e32 v13, v17
	v_cvt_u32_f32_e32 v12, v12
.LBB363_2350:
	s_mov_b64 s[0:1], 0
.LBB363_2351:
	s_andn2_b64 vcc, exec, s[0:1]
	s_cbranch_vccnz .LBB363_2353
; %bb.2352:
	global_load_dword v12, v[14:15], off
	s_waitcnt vmcnt(1)
	v_mov_b32_e32 v13, 0
	s_waitcnt vmcnt(0)
	v_cvt_f32_f16_e32 v12, v12
	v_cvt_u32_f32_e32 v12, v12
.LBB363_2353:
	s_mov_b64 s[0:1], 0
.LBB363_2354:
	s_andn2_b64 vcc, exec, s[0:1]
	s_cbranch_vccnz .LBB363_2365
; %bb.2355:
	s_cmp_lt_i32 s4, 6
	s_cbranch_scc1 .LBB363_2358
; %bb.2356:
	s_cmp_gt_i32 s4, 6
	s_cbranch_scc0 .LBB363_2359
; %bb.2357:
	global_load_dwordx2 v[12:13], v[14:15], off
	s_movk_i32 s0, 0xffe0
	s_waitcnt vmcnt(0)
	v_trunc_f64_e32 v[12:13], v[12:13]
	v_ldexp_f64 v[19:20], v[12:13], s0
	s_mov_b32 s0, 0
	s_mov_b32 s1, 0xc1f00000
	v_floor_f64_e32 v[19:20], v[19:20]
	v_fma_f64 v[21:22], v[19:20], s[0:1], v[12:13]
	v_cvt_u32_f64_e32 v13, v[19:20]
	s_mov_b64 s[0:1], 0
	v_cvt_u32_f64_e32 v12, v[21:22]
	s_branch .LBB363_2360
.LBB363_2358:
	s_mov_b64 s[0:1], -1
                                        ; implicit-def: $vgpr12_vgpr13
	s_branch .LBB363_2363
.LBB363_2359:
	s_mov_b64 s[0:1], -1
                                        ; implicit-def: $vgpr12_vgpr13
.LBB363_2360:
	s_andn2_b64 vcc, exec, s[0:1]
	s_cbranch_vccnz .LBB363_2362
; %bb.2361:
	global_load_dword v12, v[14:15], off
	s_waitcnt vmcnt(0)
	v_trunc_f32_e32 v12, v12
	v_mul_f32_e32 v13, 0x2f800000, v12
	v_floor_f32_e32 v17, v13
	v_fmac_f32_e32 v12, 0xcf800000, v17
	v_cvt_u32_f32_e32 v13, v17
	v_cvt_u32_f32_e32 v12, v12
.LBB363_2362:
	s_mov_b64 s[0:1], 0
.LBB363_2363:
	s_andn2_b64 vcc, exec, s[0:1]
	s_cbranch_vccnz .LBB363_2365
; %bb.2364:
	global_load_ushort v12, v[14:15], off
	s_waitcnt vmcnt(1)
	v_mov_b32_e32 v13, 0
	s_waitcnt vmcnt(0)
	v_cvt_f32_f16_e32 v12, v12
	v_cvt_u32_f32_e32 v12, v12
.LBB363_2365:
	s_mov_b64 s[0:1], 0
.LBB363_2366:
	s_andn2_b64 vcc, exec, s[0:1]
	s_cbranch_vccnz .LBB363_2386
; %bb.2367:
	s_cmp_lt_i32 s4, 2
	s_cbranch_scc1 .LBB363_2371
; %bb.2368:
	s_cmp_lt_i32 s4, 3
	s_cbranch_scc1 .LBB363_2372
; %bb.2369:
	s_cmp_gt_i32 s4, 3
	s_cbranch_scc0 .LBB363_2373
; %bb.2370:
	global_load_dwordx2 v[12:13], v[14:15], off
	s_mov_b64 s[0:1], 0
	s_branch .LBB363_2374
.LBB363_2371:
	s_mov_b64 s[0:1], -1
                                        ; implicit-def: $vgpr12_vgpr13
	s_branch .LBB363_2380
.LBB363_2372:
	s_mov_b64 s[0:1], -1
                                        ; implicit-def: $vgpr12_vgpr13
	s_branch .LBB363_2377
.LBB363_2373:
	s_mov_b64 s[0:1], -1
                                        ; implicit-def: $vgpr12_vgpr13
.LBB363_2374:
	s_andn2_b64 vcc, exec, s[0:1]
	s_cbranch_vccnz .LBB363_2376
; %bb.2375:
	global_load_dword v12, v[14:15], off
	s_waitcnt vmcnt(0)
	v_ashrrev_i32_e32 v13, 31, v12
.LBB363_2376:
	s_mov_b64 s[0:1], 0
.LBB363_2377:
	s_andn2_b64 vcc, exec, s[0:1]
	s_cbranch_vccnz .LBB363_2379
; %bb.2378:
	global_load_ushort v12, v[14:15], off
	s_waitcnt vmcnt(0)
	v_bfe_i32 v12, v12, 0, 16
	v_ashrrev_i32_e32 v13, 31, v12
.LBB363_2379:
	s_mov_b64 s[0:1], 0
.LBB363_2380:
	s_andn2_b64 vcc, exec, s[0:1]
	s_cbranch_vccnz .LBB363_2386
; %bb.2381:
	s_cmp_gt_i32 s4, 0
	s_cbranch_scc0 .LBB363_2383
; %bb.2382:
	global_load_sbyte v12, v[14:15], off
	s_mov_b64 s[0:1], 0
	s_waitcnt vmcnt(0)
	v_bfe_i32 v12, v12, 0, 16
	v_ashrrev_i32_e32 v13, 31, v12
	s_branch .LBB363_2384
.LBB363_2383:
	s_mov_b64 s[0:1], -1
                                        ; implicit-def: $vgpr12_vgpr13
.LBB363_2384:
	s_andn2_b64 vcc, exec, s[0:1]
	s_cbranch_vccnz .LBB363_2386
; %bb.2385:
	global_load_ubyte v12, v[14:15], off
	s_mov_b32 s0, 0
	s_waitcnt vmcnt(1)
	v_mov_b32_e32 v13, s0
	s_waitcnt vmcnt(0)
	v_and_b32_e32 v12, 0xffff, v12
.LBB363_2386:
	s_mov_b64 s[10:11], -1
.LBB363_2387:
	s_andn2_b64 vcc, exec, s[10:11]
	s_cbranch_vccnz .LBB363_2947
; %bb.2388:
	v_add_u32_e32 v14, s14, v16
	v_ashrrev_i32_e32 v15, 31, v14
	v_mov_b32_e32 v17, s3
	v_add_co_u32_e32 v16, vcc, s2, v14
	s_cmp_lt_i32 s25, 11
	v_addc_co_u32_e32 v17, vcc, v17, v15, vcc
	s_cbranch_scc1 .LBB363_2395
; %bb.2389:
	s_and_b32 s13, 0xffff, s25
	s_cmp_gt_i32 s13, 25
	s_mov_b64 s[2:3], 0
	s_cbranch_scc0 .LBB363_2396
; %bb.2390:
	s_cmp_gt_i32 s13, 28
	s_cbranch_scc0 .LBB363_2397
; %bb.2391:
	s_cmp_gt_i32 s13, 43
	;; [unrolled: 3-line block ×3, first 2 shown]
	s_cbranch_scc0 .LBB363_2400
; %bb.2393:
	s_cmp_eq_u32 s13, 46
	s_mov_b64 s[10:11], 0
	s_cbranch_scc0 .LBB363_2401
; %bb.2394:
	global_load_dword v14, v[16:17], off
	s_mov_b64 s[0:1], 0
	s_mov_b64 s[4:5], -1
	s_waitcnt vmcnt(0)
	v_lshlrev_b32_e32 v14, 16, v14
	v_trunc_f32_e32 v14, v14
	v_mul_f32_e32 v15, 0x2f800000, v14
	v_floor_f32_e32 v15, v15
	v_fmac_f32_e32 v14, 0xcf800000, v15
	v_cvt_u32_f32_e32 v14, v14
	v_cvt_u32_f32_e32 v15, v15
	s_branch .LBB363_2402
.LBB363_2395:
	s_mov_b64 s[0:1], -1
	s_mov_b64 s[4:5], 0
                                        ; implicit-def: $vgpr14_vgpr15
	s_branch .LBB363_2464
.LBB363_2396:
	s_mov_b64 s[10:11], -1
	s_mov_b64 s[4:5], 0
	s_mov_b64 s[0:1], 0
                                        ; implicit-def: $vgpr14_vgpr15
	s_branch .LBB363_2431
.LBB363_2397:
	s_mov_b64 s[10:11], -1
	s_mov_b64 s[4:5], 0
	s_mov_b64 s[0:1], 0
                                        ; implicit-def: $vgpr14_vgpr15
	s_branch .LBB363_2412
.LBB363_2398:
	s_mov_b64 s[10:11], -1
	s_mov_b64 s[4:5], 0
	s_mov_b64 s[0:1], 0
                                        ; implicit-def: $vgpr14_vgpr15
	s_branch .LBB363_2407
.LBB363_2399:
	s_trap 2
	s_or_b64 s[18:19], s[18:19], exec
	s_cbranch_execz .LBB363_2336
	s_branch .LBB363_2337
.LBB363_2400:
	s_mov_b64 s[10:11], -1
	s_mov_b64 s[4:5], 0
	s_mov_b64 s[0:1], 0
                                        ; implicit-def: $vgpr14_vgpr15
	s_branch .LBB363_2402
.LBB363_2401:
	s_mov_b64 s[0:1], -1
                                        ; implicit-def: $vgpr14_vgpr15
	s_mov_b64 s[4:5], 0
.LBB363_2402:
	s_and_b64 vcc, exec, s[10:11]
	s_cbranch_vccz .LBB363_2406
; %bb.2403:
	s_cmp_eq_u32 s13, 44
	s_cbranch_scc0 .LBB363_2405
; %bb.2404:
	global_load_ubyte v14, v[16:17], off
	s_mov_b64 s[0:1], 0
	s_mov_b64 s[4:5], -1
	s_waitcnt vmcnt(0)
	v_lshlrev_b32_e32 v15, 23, v14
	v_trunc_f32_e32 v15, v15
	v_mul_f32_e32 v19, 0x2f800000, v15
	v_floor_f32_e32 v19, v19
	v_fmac_f32_e32 v15, 0xcf800000, v19
	v_cvt_u32_f32_e32 v19, v19
	v_cvt_u32_f32_e32 v20, v15
	v_cmp_ne_u32_e32 vcc, 0, v14
	v_cndmask_b32_e32 v15, 0, v19, vcc
	v_cndmask_b32_e32 v14, 0, v20, vcc
	s_branch .LBB363_2406
.LBB363_2405:
	s_mov_b64 s[0:1], -1
                                        ; implicit-def: $vgpr14_vgpr15
.LBB363_2406:
	s_mov_b64 s[10:11], 0
.LBB363_2407:
	s_and_b64 vcc, exec, s[10:11]
	s_cbranch_vccz .LBB363_2411
; %bb.2408:
	s_cmp_eq_u32 s13, 29
	s_cbranch_scc0 .LBB363_2410
; %bb.2409:
	global_load_dwordx2 v[14:15], v[16:17], off
	s_mov_b64 s[0:1], 0
	s_mov_b64 s[4:5], -1
	s_branch .LBB363_2411
.LBB363_2410:
	s_mov_b64 s[0:1], -1
                                        ; implicit-def: $vgpr14_vgpr15
.LBB363_2411:
	s_mov_b64 s[10:11], 0
.LBB363_2412:
	s_and_b64 vcc, exec, s[10:11]
	s_cbranch_vccz .LBB363_2430
; %bb.2413:
	s_cmp_lt_i32 s13, 27
	s_cbranch_scc1 .LBB363_2416
; %bb.2414:
	s_cmp_gt_i32 s13, 27
	s_cbranch_scc0 .LBB363_2417
; %bb.2415:
	global_load_dword v14, v[16:17], off
	s_waitcnt vmcnt(1)
	v_mov_b32_e32 v15, 0
	s_mov_b64 s[4:5], 0
	s_branch .LBB363_2418
.LBB363_2416:
	s_mov_b64 s[4:5], -1
                                        ; implicit-def: $vgpr14_vgpr15
	s_branch .LBB363_2421
.LBB363_2417:
	s_mov_b64 s[4:5], -1
                                        ; implicit-def: $vgpr14_vgpr15
.LBB363_2418:
	s_andn2_b64 vcc, exec, s[4:5]
	s_cbranch_vccnz .LBB363_2420
; %bb.2419:
	global_load_ushort v14, v[16:17], off
	s_mov_b32 s4, 0
	s_waitcnt vmcnt(1)
	v_mov_b32_e32 v15, s4
	s_waitcnt vmcnt(0)
	v_and_b32_e32 v14, 0xffff, v14
.LBB363_2420:
	s_mov_b64 s[4:5], 0
.LBB363_2421:
	s_andn2_b64 vcc, exec, s[4:5]
	s_cbranch_vccnz .LBB363_2429
; %bb.2422:
	global_load_ubyte v19, v[16:17], off
	s_movk_i32 s4, 0x7f
	s_mov_b64 s[10:11], 0
	s_waitcnt vmcnt(0)
	v_cmp_lt_i16_e32 vcc, s4, v19
	s_and_saveexec_b64 s[4:5], vcc
	s_xor_b64 s[4:5], exec, s[4:5]
; %bb.2423:
	s_movk_i32 s10, 0x80
	v_cmp_ne_u16_e32 vcc, s10, v19
	s_and_b64 s[10:11], vcc, exec
; %bb.2424:
	s_andn2_saveexec_b64 s[4:5], s[4:5]
; %bb.2425:
	v_cmp_ne_u16_e32 vcc, 0, v19
	s_andn2_b64 s[10:11], s[10:11], exec
	s_and_b64 s[20:21], vcc, exec
	s_or_b64 s[10:11], s[10:11], s[20:21]
; %bb.2426:
	s_or_b64 exec, exec, s[4:5]
	v_mov_b32_e32 v14, 0
	v_mov_b32_e32 v15, 0
	s_and_saveexec_b64 s[4:5], s[10:11]
	s_cbranch_execz .LBB363_2428
; %bb.2427:
	v_and_b32_e32 v15, 0xffff, v19
	v_lshlrev_b32_e32 v14, 24, v19
	v_and_b32_e32 v19, 7, v15
	v_ffbh_u32_e32 v21, v19
	v_min_u32_e32 v21, 32, v21
	v_subrev_u32_e32 v22, 28, v21
	v_bfe_u32 v20, v15, 3, 4
	v_lshlrev_b32_e32 v15, v22, v15
	v_sub_u32_e32 v21, 29, v21
	v_and_b32_e32 v15, 7, v15
	v_cmp_eq_u32_e32 vcc, 0, v20
	v_cndmask_b32_e32 v20, v20, v21, vcc
	v_cndmask_b32_e32 v15, v19, v15, vcc
	v_mov_b32_e32 v19, 0x3b800000
	v_lshlrev_b32_e32 v15, 20, v15
	v_and_b32_e32 v14, 0x80000000, v14
	v_lshl_add_u32 v19, v20, 23, v19
	v_or3_b32 v14, v14, v19, v15
	v_trunc_f32_e32 v14, v14
	v_mul_f32_e32 v15, 0x2f800000, v14
	v_floor_f32_e32 v15, v15
	v_fmac_f32_e32 v14, 0xcf800000, v15
	v_cvt_u32_f32_e32 v14, v14
	v_cvt_u32_f32_e32 v15, v15
.LBB363_2428:
	s_or_b64 exec, exec, s[4:5]
.LBB363_2429:
	s_mov_b64 s[4:5], -1
.LBB363_2430:
	s_mov_b64 s[10:11], 0
.LBB363_2431:
	s_and_b64 vcc, exec, s[10:11]
	s_cbranch_vccz .LBB363_2460
; %bb.2432:
	s_cmp_gt_i32 s13, 22
	s_cbranch_scc0 .LBB363_2442
; %bb.2433:
	s_cmp_lt_i32 s13, 24
	s_cbranch_scc1 .LBB363_2443
; %bb.2434:
	s_cmp_gt_i32 s13, 24
	s_cbranch_scc0 .LBB363_2444
; %bb.2435:
	global_load_ubyte v19, v[16:17], off
	s_movk_i32 s2, 0x7f
	s_mov_b64 s[4:5], 0
	s_waitcnt vmcnt(0)
	v_cmp_lt_i16_e32 vcc, s2, v19
	s_and_saveexec_b64 s[2:3], vcc
	s_xor_b64 s[2:3], exec, s[2:3]
; %bb.2436:
	s_movk_i32 s4, 0x80
	v_cmp_ne_u16_e32 vcc, s4, v19
	s_and_b64 s[4:5], vcc, exec
; %bb.2437:
	s_andn2_saveexec_b64 s[2:3], s[2:3]
; %bb.2438:
	v_cmp_ne_u16_e32 vcc, 0, v19
	s_andn2_b64 s[4:5], s[4:5], exec
	s_and_b64 s[10:11], vcc, exec
	s_or_b64 s[4:5], s[4:5], s[10:11]
; %bb.2439:
	s_or_b64 exec, exec, s[2:3]
	v_mov_b32_e32 v14, 0
	v_mov_b32_e32 v15, 0
	s_and_saveexec_b64 s[2:3], s[4:5]
	s_cbranch_execz .LBB363_2441
; %bb.2440:
	v_and_b32_e32 v15, 0xffff, v19
	v_lshlrev_b32_e32 v14, 24, v19
	v_and_b32_e32 v19, 3, v15
	v_ffbh_u32_e32 v21, v19
	v_min_u32_e32 v21, 32, v21
	v_subrev_u32_e32 v22, 29, v21
	v_bfe_u32 v20, v15, 2, 5
	v_lshlrev_b32_e32 v15, v22, v15
	v_sub_u32_e32 v21, 30, v21
	v_and_b32_e32 v15, 3, v15
	v_cmp_eq_u32_e32 vcc, 0, v20
	v_cndmask_b32_e32 v20, v20, v21, vcc
	v_cndmask_b32_e32 v15, v19, v15, vcc
	v_mov_b32_e32 v19, 0x37800000
	v_lshlrev_b32_e32 v15, 21, v15
	v_and_b32_e32 v14, 0x80000000, v14
	v_lshl_add_u32 v19, v20, 23, v19
	v_or3_b32 v14, v14, v19, v15
	v_trunc_f32_e32 v14, v14
	v_mul_f32_e32 v15, 0x2f800000, v14
	v_floor_f32_e32 v15, v15
	v_fmac_f32_e32 v14, 0xcf800000, v15
	v_cvt_u32_f32_e32 v14, v14
	v_cvt_u32_f32_e32 v15, v15
.LBB363_2441:
	s_or_b64 exec, exec, s[2:3]
	s_mov_b64 s[2:3], 0
	s_branch .LBB363_2445
.LBB363_2442:
	s_mov_b64 s[2:3], -1
                                        ; implicit-def: $vgpr14_vgpr15
	s_branch .LBB363_2451
.LBB363_2443:
	s_mov_b64 s[2:3], -1
                                        ; implicit-def: $vgpr14_vgpr15
	s_branch .LBB363_2448
.LBB363_2444:
	s_mov_b64 s[2:3], -1
                                        ; implicit-def: $vgpr14_vgpr15
.LBB363_2445:
	s_and_b64 vcc, exec, s[2:3]
	s_cbranch_vccz .LBB363_2447
; %bb.2446:
	global_load_ubyte v14, v[16:17], off
	s_mov_b32 s2, 0x7f800000
	s_brev_b32 s3, 1
	s_waitcnt vmcnt(0)
	v_lshlrev_b32_e32 v14, 24, v14
	v_and_b32_e32 v15, 0x7f000000, v14
	v_ffbh_u32_e32 v19, v15
	v_min_u32_e32 v19, 32, v19
	v_sub_u32_e64 v19, v19, 4 clamp
	v_lshlrev_b32_e32 v21, v19, v15
	v_lshlrev_b32_e32 v19, 23, v19
	v_lshrrev_b32_e32 v21, 4, v21
	v_add_u32_e32 v20, 0x1000000, v15
	v_sub_u32_e32 v19, v21, v19
	v_ashrrev_i32_e32 v20, 8, v20
	v_add_u32_e32 v19, 0x3c000000, v19
	v_and_or_b32 v19, v20, s2, v19
	v_cmp_ne_u32_e32 vcc, 0, v15
	v_cndmask_b32_e32 v15, 0, v19, vcc
	v_and_or_b32 v14, v14, s3, v15
	v_trunc_f32_e32 v14, v14
	v_mul_f32_e32 v15, 0x2f800000, v14
	v_floor_f32_e32 v15, v15
	v_fmac_f32_e32 v14, 0xcf800000, v15
	v_cvt_u32_f32_e32 v14, v14
	v_cvt_u32_f32_e32 v15, v15
.LBB363_2447:
	s_mov_b64 s[2:3], 0
.LBB363_2448:
	s_andn2_b64 vcc, exec, s[2:3]
	s_cbranch_vccnz .LBB363_2450
; %bb.2449:
	global_load_ubyte v14, v[16:17], off
	s_movk_i32 s2, 0x7f00
	s_brev_b32 s3, 16
	s_brev_b32 s4, 1
	s_waitcnt vmcnt(0)
	v_lshlrev_b16_e32 v15, 8, v14
	v_lshlrev_b32_e32 v14, 25, v14
	v_lshrrev_b32_e32 v19, 4, v14
	v_and_or_b32 v20, v15, s2, 0.5
	v_or_b32_e32 v19, 0x70000000, v19
	v_add_f32_e32 v20, -0.5, v20
	v_mul_f32_e32 v19, 0x7800000, v19
	v_cmp_gt_u32_e32 vcc, s3, v14
	v_bfe_i32 v15, v15, 0, 16
	v_cndmask_b32_e32 v14, v19, v20, vcc
	v_and_or_b32 v14, v15, s4, v14
	v_trunc_f32_e32 v14, v14
	v_mul_f32_e32 v15, 0x2f800000, v14
	v_floor_f32_e32 v15, v15
	v_fmac_f32_e32 v14, 0xcf800000, v15
	v_cvt_u32_f32_e32 v14, v14
	v_cvt_u32_f32_e32 v15, v15
.LBB363_2450:
	s_mov_b64 s[2:3], 0
	s_mov_b64 s[4:5], -1
.LBB363_2451:
	s_andn2_b64 vcc, exec, s[2:3]
	s_mov_b64 s[2:3], 0
	s_cbranch_vccnz .LBB363_2460
; %bb.2452:
	s_cmp_gt_i32 s13, 14
	s_cbranch_scc0 .LBB363_2455
; %bb.2453:
	s_cmp_eq_u32 s13, 15
	s_cbranch_scc0 .LBB363_2456
; %bb.2454:
	global_load_ushort v14, v[16:17], off
	s_mov_b64 s[0:1], 0
	s_mov_b64 s[4:5], -1
	s_waitcnt vmcnt(0)
	v_lshlrev_b32_e32 v14, 16, v14
	v_trunc_f32_e32 v14, v14
	v_mul_f32_e32 v15, 0x2f800000, v14
	v_floor_f32_e32 v15, v15
	v_fmac_f32_e32 v14, 0xcf800000, v15
	v_cvt_u32_f32_e32 v14, v14
	v_cvt_u32_f32_e32 v15, v15
	s_branch .LBB363_2457
.LBB363_2455:
	s_mov_b64 s[10:11], -1
                                        ; implicit-def: $vgpr14_vgpr15
	s_branch .LBB363_2458
.LBB363_2456:
	s_mov_b64 s[0:1], -1
                                        ; implicit-def: $vgpr14_vgpr15
.LBB363_2457:
	s_mov_b64 s[10:11], 0
.LBB363_2458:
	s_and_b64 vcc, exec, s[10:11]
	s_cbranch_vccz .LBB363_2460
; %bb.2459:
	s_cmp_lg_u32 s13, 11
	s_mov_b64 s[2:3], -1
	s_cselect_b64 s[0:1], -1, 0
.LBB363_2460:
	s_and_b64 vcc, exec, s[0:1]
	s_cbranch_vccnz .LBB363_2993
; %bb.2461:
	s_andn2_b64 vcc, exec, s[2:3]
	s_cbranch_vccnz .LBB363_2463
.LBB363_2462:
	global_load_ubyte v14, v[16:17], off
	s_mov_b32 s0, 0
	s_waitcnt vmcnt(1)
	v_mov_b32_e32 v15, s0
	s_mov_b64 s[4:5], -1
	s_waitcnt vmcnt(0)
	v_cmp_ne_u16_e32 vcc, 0, v14
	v_cndmask_b32_e64 v14, 0, 1, vcc
.LBB363_2463:
	s_mov_b64 s[0:1], 0
.LBB363_2464:
	s_and_b64 vcc, exec, s[0:1]
	s_cbranch_vccz .LBB363_2513
; %bb.2465:
	s_and_b32 s2, 0xffff, s25
	s_cmp_lt_i32 s2, 5
	s_cbranch_scc1 .LBB363_2470
; %bb.2466:
	s_cmp_lt_i32 s2, 8
	s_cbranch_scc1 .LBB363_2471
; %bb.2467:
	s_cmp_lt_i32 s2, 9
	s_cbranch_scc1 .LBB363_2472
; %bb.2468:
	s_cmp_gt_i32 s2, 9
	s_cbranch_scc0 .LBB363_2473
; %bb.2469:
	global_load_dwordx2 v[14:15], v[16:17], off
	s_movk_i32 s0, 0xffe0
	s_waitcnt vmcnt(0)
	v_trunc_f64_e32 v[14:15], v[14:15]
	v_ldexp_f64 v[19:20], v[14:15], s0
	s_mov_b32 s0, 0
	s_mov_b32 s1, 0xc1f00000
	v_floor_f64_e32 v[19:20], v[19:20]
	v_fma_f64 v[21:22], v[19:20], s[0:1], v[14:15]
	v_cvt_u32_f64_e32 v15, v[19:20]
	s_mov_b64 s[0:1], 0
	v_cvt_u32_f64_e32 v14, v[21:22]
	s_branch .LBB363_2474
.LBB363_2470:
	s_mov_b64 s[0:1], -1
                                        ; implicit-def: $vgpr14_vgpr15
	s_branch .LBB363_2492
.LBB363_2471:
	s_mov_b64 s[0:1], -1
                                        ; implicit-def: $vgpr14_vgpr15
	s_branch .LBB363_2480
.LBB363_2472:
	s_mov_b64 s[0:1], -1
                                        ; implicit-def: $vgpr14_vgpr15
	s_branch .LBB363_2477
.LBB363_2473:
	s_mov_b64 s[0:1], -1
                                        ; implicit-def: $vgpr14_vgpr15
.LBB363_2474:
	s_andn2_b64 vcc, exec, s[0:1]
	s_cbranch_vccnz .LBB363_2476
; %bb.2475:
	global_load_dword v14, v[16:17], off
	s_waitcnt vmcnt(0)
	v_trunc_f32_e32 v14, v14
	v_mul_f32_e32 v15, 0x2f800000, v14
	v_floor_f32_e32 v19, v15
	v_fmac_f32_e32 v14, 0xcf800000, v19
	v_cvt_u32_f32_e32 v15, v19
	v_cvt_u32_f32_e32 v14, v14
.LBB363_2476:
	s_mov_b64 s[0:1], 0
.LBB363_2477:
	s_andn2_b64 vcc, exec, s[0:1]
	s_cbranch_vccnz .LBB363_2479
; %bb.2478:
	global_load_dword v14, v[16:17], off
	s_waitcnt vmcnt(1)
	v_mov_b32_e32 v15, 0
	s_waitcnt vmcnt(0)
	v_cvt_f32_f16_e32 v14, v14
	v_cvt_u32_f32_e32 v14, v14
.LBB363_2479:
	s_mov_b64 s[0:1], 0
.LBB363_2480:
	s_andn2_b64 vcc, exec, s[0:1]
	s_cbranch_vccnz .LBB363_2491
; %bb.2481:
	s_cmp_lt_i32 s2, 6
	s_cbranch_scc1 .LBB363_2484
; %bb.2482:
	s_cmp_gt_i32 s2, 6
	s_cbranch_scc0 .LBB363_2485
; %bb.2483:
	global_load_dwordx2 v[14:15], v[16:17], off
	s_movk_i32 s0, 0xffe0
	s_waitcnt vmcnt(0)
	v_trunc_f64_e32 v[14:15], v[14:15]
	v_ldexp_f64 v[19:20], v[14:15], s0
	s_mov_b32 s0, 0
	s_mov_b32 s1, 0xc1f00000
	v_floor_f64_e32 v[19:20], v[19:20]
	v_fma_f64 v[21:22], v[19:20], s[0:1], v[14:15]
	v_cvt_u32_f64_e32 v15, v[19:20]
	s_mov_b64 s[0:1], 0
	v_cvt_u32_f64_e32 v14, v[21:22]
	s_branch .LBB363_2486
.LBB363_2484:
	s_mov_b64 s[0:1], -1
                                        ; implicit-def: $vgpr14_vgpr15
	s_branch .LBB363_2489
.LBB363_2485:
	s_mov_b64 s[0:1], -1
                                        ; implicit-def: $vgpr14_vgpr15
.LBB363_2486:
	s_andn2_b64 vcc, exec, s[0:1]
	s_cbranch_vccnz .LBB363_2488
; %bb.2487:
	global_load_dword v14, v[16:17], off
	s_waitcnt vmcnt(0)
	v_trunc_f32_e32 v14, v14
	v_mul_f32_e32 v15, 0x2f800000, v14
	v_floor_f32_e32 v19, v15
	v_fmac_f32_e32 v14, 0xcf800000, v19
	v_cvt_u32_f32_e32 v15, v19
	v_cvt_u32_f32_e32 v14, v14
.LBB363_2488:
	s_mov_b64 s[0:1], 0
.LBB363_2489:
	s_andn2_b64 vcc, exec, s[0:1]
	s_cbranch_vccnz .LBB363_2491
; %bb.2490:
	global_load_ushort v14, v[16:17], off
	s_waitcnt vmcnt(1)
	v_mov_b32_e32 v15, 0
	s_waitcnt vmcnt(0)
	v_cvt_f32_f16_e32 v14, v14
	v_cvt_u32_f32_e32 v14, v14
.LBB363_2491:
	s_mov_b64 s[0:1], 0
.LBB363_2492:
	s_andn2_b64 vcc, exec, s[0:1]
	s_cbranch_vccnz .LBB363_2512
; %bb.2493:
	s_cmp_lt_i32 s2, 2
	s_cbranch_scc1 .LBB363_2497
; %bb.2494:
	s_cmp_lt_i32 s2, 3
	s_cbranch_scc1 .LBB363_2498
; %bb.2495:
	s_cmp_gt_i32 s2, 3
	s_cbranch_scc0 .LBB363_2499
; %bb.2496:
	global_load_dwordx2 v[14:15], v[16:17], off
	s_mov_b64 s[0:1], 0
	s_branch .LBB363_2500
.LBB363_2497:
	s_mov_b64 s[0:1], -1
                                        ; implicit-def: $vgpr14_vgpr15
	s_branch .LBB363_2506
.LBB363_2498:
	s_mov_b64 s[0:1], -1
                                        ; implicit-def: $vgpr14_vgpr15
	s_branch .LBB363_2503
.LBB363_2499:
	s_mov_b64 s[0:1], -1
                                        ; implicit-def: $vgpr14_vgpr15
.LBB363_2500:
	s_andn2_b64 vcc, exec, s[0:1]
	s_cbranch_vccnz .LBB363_2502
; %bb.2501:
	global_load_dword v14, v[16:17], off
	s_waitcnt vmcnt(0)
	v_ashrrev_i32_e32 v15, 31, v14
.LBB363_2502:
	s_mov_b64 s[0:1], 0
.LBB363_2503:
	s_andn2_b64 vcc, exec, s[0:1]
	s_cbranch_vccnz .LBB363_2505
; %bb.2504:
	global_load_ushort v14, v[16:17], off
	s_waitcnt vmcnt(0)
	v_bfe_i32 v14, v14, 0, 16
	v_ashrrev_i32_e32 v15, 31, v14
.LBB363_2505:
	s_mov_b64 s[0:1], 0
.LBB363_2506:
	s_andn2_b64 vcc, exec, s[0:1]
	s_cbranch_vccnz .LBB363_2512
; %bb.2507:
	s_cmp_gt_i32 s2, 0
	s_cbranch_scc0 .LBB363_2509
; %bb.2508:
	global_load_sbyte v14, v[16:17], off
	s_mov_b64 s[0:1], 0
	s_waitcnt vmcnt(0)
	v_bfe_i32 v14, v14, 0, 16
	v_ashrrev_i32_e32 v15, 31, v14
	s_branch .LBB363_2510
.LBB363_2509:
	s_mov_b64 s[0:1], -1
                                        ; implicit-def: $vgpr14_vgpr15
.LBB363_2510:
	s_andn2_b64 vcc, exec, s[0:1]
	s_cbranch_vccnz .LBB363_2512
; %bb.2511:
	global_load_ubyte v14, v[16:17], off
	s_mov_b32 s0, 0
	s_waitcnt vmcnt(1)
	v_mov_b32_e32 v15, s0
	s_waitcnt vmcnt(0)
	v_and_b32_e32 v14, 0xffff, v14
.LBB363_2512:
	s_mov_b64 s[4:5], -1
.LBB363_2513:
	s_andn2_b64 vcc, exec, s[4:5]
	s_cbranch_vccnz .LBB363_2947
; %bb.2514:
	v_mul_lo_u32 v16, s12, v18
	s_cmp_eq_u32 s15, 0
	s_waitcnt vmcnt(0)
	v_cmp_ne_u64_e32 vcc, v[0:1], v[2:3]
	s_cselect_b64 s[2:3], -1, 0
	s_xor_b64 s[4:5], s[2:3], vcc
	v_ashrrev_i32_e32 v1, 31, v16
	v_mov_b32_e32 v2, s9
	s_and_b32 s24, s33, 0xff
	v_add_co_u32_e32 v0, vcc, s8, v16
	s_cmp_lt_i32 s24, 11
	v_addc_co_u32_e32 v1, vcc, v2, v1, vcc
	s_cbranch_scc1 .LBB363_2592
; %bb.2515:
	s_and_b32 s13, 0xffff, s24
	s_mov_b64 s[20:21], -1
	s_mov_b64 s[10:11], 0
	s_cmp_gt_i32 s13, 25
	s_mov_b64 s[14:15], 0
	s_mov_b64 s[0:1], 0
	s_cbranch_scc0 .LBB363_2548
; %bb.2516:
	s_cmp_gt_i32 s13, 28
	s_cbranch_scc0 .LBB363_2531
; %bb.2517:
	s_cmp_gt_i32 s13, 43
	;; [unrolled: 3-line block ×3, first 2 shown]
	s_cbranch_scc0 .LBB363_2521
; %bb.2519:
	s_mov_b64 s[0:1], -1
	s_mov_b64 s[20:21], 0
	s_cmp_eq_u32 s13, 46
	s_cbranch_scc0 .LBB363_2521
; %bb.2520:
	v_cndmask_b32_e64 v2, 0, 1.0, s[4:5]
	v_bfe_u32 v3, v2, 16, 1
	s_movk_i32 s0, 0x7fff
	v_add3_u32 v2, v2, v3, s0
	v_lshrrev_b32_e32 v2, 16, v2
	global_store_dword v[0:1], v2, off
	s_mov_b64 s[0:1], 0
	s_mov_b64 s[14:15], -1
.LBB363_2521:
	s_and_b64 vcc, exec, s[20:21]
	s_cbranch_vccz .LBB363_2526
; %bb.2522:
	s_cmp_eq_u32 s13, 44
	s_mov_b64 s[0:1], -1
	s_cbranch_scc0 .LBB363_2526
; %bb.2523:
	v_cndmask_b32_e64 v3, 0, 1.0, s[4:5]
	v_lshrrev_b32_e32 v2, 23, v3
	s_movk_i32 s0, 0xff
	v_cmp_ne_u32_e32 vcc, s0, v2
	v_mov_b32_e32 v17, 0xff
	s_and_saveexec_b64 s[14:15], vcc
; %bb.2524:
	s_mov_b32 s0, 0x3fffff
	v_and_b32_e32 v17, 0x400000, v3
	v_and_or_b32 v3, v3, s0, v2
	v_cmp_ne_u32_e32 vcc, 0, v17
	v_cmp_ne_u32_e64 s[0:1], 0, v3
	s_and_b64 s[0:1], vcc, s[0:1]
	v_cndmask_b32_e64 v3, 0, 1, s[0:1]
	v_add_u32_e32 v17, v2, v3
; %bb.2525:
	s_or_b64 exec, exec, s[14:15]
	s_mov_b64 s[0:1], 0
	s_mov_b64 s[14:15], -1
	global_store_byte v[0:1], v17, off
.LBB363_2526:
	s_mov_b64 s[20:21], 0
.LBB363_2527:
	s_and_b64 vcc, exec, s[20:21]
	s_cbranch_vccz .LBB363_2530
; %bb.2528:
	s_cmp_eq_u32 s13, 29
	s_mov_b64 s[0:1], -1
	s_cbranch_scc0 .LBB363_2530
; %bb.2529:
	s_mov_b32 s0, 0
	v_cndmask_b32_e64 v2, 0, 1, s[4:5]
	v_mov_b32_e32 v3, s0
	global_store_dwordx2 v[0:1], v[2:3], off
	s_mov_b64 s[0:1], 0
	s_mov_b64 s[14:15], -1
.LBB363_2530:
	s_mov_b64 s[20:21], 0
.LBB363_2531:
	s_and_b64 vcc, exec, s[20:21]
	s_cbranch_vccz .LBB363_2547
; %bb.2532:
	s_cmp_lt_i32 s13, 27
	s_mov_b64 s[14:15], -1
	s_cbranch_scc1 .LBB363_2538
; %bb.2533:
	s_cmp_gt_i32 s13, 27
	s_cbranch_scc0 .LBB363_2535
; %bb.2534:
	v_cndmask_b32_e64 v2, 0, 1, s[4:5]
	s_mov_b64 s[14:15], 0
	global_store_dword v[0:1], v2, off
.LBB363_2535:
	s_andn2_b64 vcc, exec, s[14:15]
	s_cbranch_vccnz .LBB363_2537
; %bb.2536:
	v_cndmask_b32_e64 v2, 0, 1, s[4:5]
	global_store_short v[0:1], v2, off
.LBB363_2537:
	s_mov_b64 s[14:15], 0
.LBB363_2538:
	s_andn2_b64 vcc, exec, s[14:15]
	s_cbranch_vccnz .LBB363_2546
; %bb.2539:
	v_cndmask_b32_e64 v3, 0, 1.0, s[4:5]
	s_mov_b32 s14, 0x43800000
	v_cmp_gt_u32_e32 vcc, s14, v3
	v_mov_b32_e32 v17, 0x80
	s_and_saveexec_b64 s[14:15], vcc
	s_cbranch_execz .LBB363_2545
; %bb.2540:
	s_mov_b32 s20, 0x3bffffff
	v_cmp_lt_u32_e32 vcc, s20, v3
	s_mov_b64 s[20:21], 0
                                        ; implicit-def: $vgpr2
	s_and_saveexec_b64 s[22:23], vcc
	s_xor_b64 s[22:23], exec, s[22:23]
	s_cbranch_execz .LBB363_2994
; %bb.2541:
	v_bfe_u32 v2, v3, 20, 1
	s_mov_b32 s25, 0x487ffff
	v_add3_u32 v2, v3, v2, s25
	s_mov_b64 s[20:21], exec
	v_lshrrev_b32_e32 v2, 20, v2
                                        ; implicit-def: $vgpr3
	s_andn2_saveexec_b64 s[22:23], s[22:23]
	s_cbranch_execnz .LBB363_2995
.LBB363_2542:
	s_or_b64 exec, exec, s[22:23]
	v_mov_b32_e32 v17, 0
	s_and_saveexec_b64 s[22:23], s[20:21]
.LBB363_2543:
	v_mov_b32_e32 v17, v2
.LBB363_2544:
	s_or_b64 exec, exec, s[22:23]
.LBB363_2545:
	s_or_b64 exec, exec, s[14:15]
	global_store_byte v[0:1], v17, off
.LBB363_2546:
	s_mov_b64 s[14:15], -1
.LBB363_2547:
	s_mov_b64 s[20:21], 0
.LBB363_2548:
	s_and_b64 vcc, exec, s[20:21]
	s_cbranch_vccz .LBB363_2588
; %bb.2549:
	s_cmp_gt_i32 s13, 22
	s_mov_b64 s[10:11], -1
	s_cbranch_scc0 .LBB363_2581
; %bb.2550:
	s_cmp_lt_i32 s13, 24
	s_cbranch_scc1 .LBB363_2570
; %bb.2551:
	s_cmp_gt_i32 s13, 24
	s_cbranch_scc0 .LBB363_2559
; %bb.2552:
	v_cndmask_b32_e64 v3, 0, 1.0, s[4:5]
	s_mov_b32 s10, 0x47800000
	v_cmp_gt_u32_e32 vcc, s10, v3
	v_mov_b32_e32 v17, 0x80
	s_and_saveexec_b64 s[10:11], vcc
	s_cbranch_execz .LBB363_2558
; %bb.2553:
	s_mov_b32 s14, 0x37ffffff
	v_cmp_lt_u32_e32 vcc, s14, v3
	s_mov_b64 s[14:15], 0
                                        ; implicit-def: $vgpr2
	s_and_saveexec_b64 s[20:21], vcc
	s_xor_b64 s[20:21], exec, s[20:21]
	s_cbranch_execz .LBB363_2997
; %bb.2554:
	v_bfe_u32 v2, v3, 21, 1
	s_mov_b32 s22, 0x88fffff
	v_add3_u32 v2, v3, v2, s22
	s_mov_b64 s[14:15], exec
	v_lshrrev_b32_e32 v2, 21, v2
                                        ; implicit-def: $vgpr3
	s_andn2_saveexec_b64 s[20:21], s[20:21]
	s_cbranch_execnz .LBB363_2998
.LBB363_2555:
	s_or_b64 exec, exec, s[20:21]
	v_mov_b32_e32 v17, 0
	s_and_saveexec_b64 s[20:21], s[14:15]
.LBB363_2556:
	v_mov_b32_e32 v17, v2
.LBB363_2557:
	s_or_b64 exec, exec, s[20:21]
.LBB363_2558:
	s_or_b64 exec, exec, s[10:11]
	s_mov_b64 s[10:11], 0
	global_store_byte v[0:1], v17, off
.LBB363_2559:
	s_and_b64 vcc, exec, s[10:11]
	s_cbranch_vccz .LBB363_2569
; %bb.2560:
	v_cndmask_b32_e64 v2, 0, 1.0, s[4:5]
	s_mov_b32 s10, 0x43f00000
	v_cmp_gt_u32_e32 vcc, s10, v2
                                        ; implicit-def: $vgpr3
	s_and_saveexec_b64 s[10:11], vcc
	s_xor_b64 s[10:11], exec, s[10:11]
	s_cbranch_execz .LBB363_2566
; %bb.2561:
	s_mov_b32 s14, 0x3c7fffff
	v_cmp_lt_u32_e32 vcc, s14, v2
                                        ; implicit-def: $vgpr3
	s_and_saveexec_b64 s[14:15], vcc
	s_xor_b64 s[14:15], exec, s[14:15]
; %bb.2562:
	v_bfe_u32 v3, v2, 20, 1
	s_mov_b32 s20, 0x407ffff
	v_add3_u32 v2, v2, v3, s20
	v_lshrrev_b32_e32 v3, 20, v2
	v_and_b32_e32 v2, 0xff00000, v2
	s_mov_b32 s20, 0x7f00000
	v_mov_b32_e32 v17, 0x7e
	v_cmp_ne_u32_e32 vcc, s20, v2
	v_cndmask_b32_e32 v3, v17, v3, vcc
                                        ; implicit-def: $vgpr2
; %bb.2563:
	s_andn2_saveexec_b64 s[14:15], s[14:15]
; %bb.2564:
	v_add_f32_e32 v3, 0x46800000, v2
; %bb.2565:
	s_or_b64 exec, exec, s[14:15]
                                        ; implicit-def: $vgpr2
.LBB363_2566:
	s_andn2_saveexec_b64 s[10:11], s[10:11]
; %bb.2567:
	s_mov_b32 s14, 0x7f800000
	v_mov_b32_e32 v3, 0x7e
	v_mov_b32_e32 v17, 0x7f
	v_cmp_lt_u32_e32 vcc, s14, v2
	v_cndmask_b32_e32 v3, v3, v17, vcc
; %bb.2568:
	s_or_b64 exec, exec, s[10:11]
	global_store_byte v[0:1], v3, off
.LBB363_2569:
	s_mov_b64 s[10:11], 0
.LBB363_2570:
	s_andn2_b64 vcc, exec, s[10:11]
	s_cbranch_vccnz .LBB363_2580
; %bb.2571:
	v_cndmask_b32_e64 v2, 0, 1.0, s[4:5]
	s_mov_b32 s10, 0x47800000
	v_cmp_gt_u32_e32 vcc, s10, v2
                                        ; implicit-def: $vgpr3
	s_and_saveexec_b64 s[10:11], vcc
	s_xor_b64 s[10:11], exec, s[10:11]
	s_cbranch_execz .LBB363_2577
; %bb.2572:
	s_mov_b32 s14, 0x387fffff
	v_cmp_lt_u32_e32 vcc, s14, v2
                                        ; implicit-def: $vgpr3
	s_and_saveexec_b64 s[14:15], vcc
	s_xor_b64 s[14:15], exec, s[14:15]
; %bb.2573:
	v_bfe_u32 v3, v2, 21, 1
	s_mov_b32 s20, 0x80fffff
	v_add3_u32 v2, v2, v3, s20
	v_lshrrev_b32_e32 v3, 21, v2
                                        ; implicit-def: $vgpr2
; %bb.2574:
	s_andn2_saveexec_b64 s[14:15], s[14:15]
; %bb.2575:
	v_add_f32_e32 v3, 0x43000000, v2
; %bb.2576:
	s_or_b64 exec, exec, s[14:15]
                                        ; implicit-def: $vgpr2
.LBB363_2577:
	s_andn2_saveexec_b64 s[10:11], s[10:11]
; %bb.2578:
	s_mov_b32 s14, 0x7f800000
	v_mov_b32_e32 v3, 0x7c
	v_mov_b32_e32 v17, 0x7f
	v_cmp_lt_u32_e32 vcc, s14, v2
	v_cndmask_b32_e32 v3, v3, v17, vcc
; %bb.2579:
	s_or_b64 exec, exec, s[10:11]
	global_store_byte v[0:1], v3, off
.LBB363_2580:
	s_mov_b64 s[10:11], 0
	s_mov_b64 s[14:15], -1
.LBB363_2581:
	s_andn2_b64 vcc, exec, s[10:11]
	s_mov_b64 s[10:11], 0
	s_cbranch_vccnz .LBB363_2588
; %bb.2582:
	s_cmp_gt_i32 s13, 14
	s_mov_b64 s[20:21], -1
	s_cbranch_scc0 .LBB363_2586
; %bb.2583:
	s_cmp_eq_u32 s13, 15
	s_mov_b64 s[0:1], -1
	s_cbranch_scc0 .LBB363_2585
; %bb.2584:
	v_cndmask_b32_e64 v2, 0, 1.0, s[4:5]
	v_bfe_u32 v3, v2, 16, 1
	s_movk_i32 s0, 0x7fff
	v_add3_u32 v2, v2, v3, s0
	global_store_short_d16_hi v[0:1], v2, off
	s_mov_b64 s[0:1], 0
	s_mov_b64 s[14:15], -1
.LBB363_2585:
	s_mov_b64 s[20:21], 0
.LBB363_2586:
	s_and_b64 vcc, exec, s[20:21]
	s_cbranch_vccz .LBB363_2588
; %bb.2587:
	s_cmp_lg_u32 s13, 11
	s_mov_b64 s[10:11], -1
	s_cselect_b64 s[0:1], -1, 0
.LBB363_2588:
	s_and_b64 vcc, exec, s[0:1]
	s_cbranch_vccnz .LBB363_2996
; %bb.2589:
	s_andn2_b64 vcc, exec, s[10:11]
	s_cbranch_vccnz .LBB363_2591
.LBB363_2590:
	v_cndmask_b32_e64 v2, 0, 1, s[4:5]
	s_mov_b64 s[14:15], -1
	global_store_byte v[0:1], v2, off
.LBB363_2591:
	s_mov_b64 s[0:1], 0
	s_branch .LBB363_2593
.LBB363_2592:
	s_mov_b64 s[0:1], -1
	s_mov_b64 s[14:15], 0
.LBB363_2593:
	s_and_b64 vcc, exec, s[0:1]
	s_cbranch_vccz .LBB363_2632
; %bb.2594:
	s_and_b32 s10, 0xffff, s24
	s_cmp_lt_i32 s10, 5
	s_mov_b64 s[0:1], -1
	s_cbranch_scc1 .LBB363_2615
; %bb.2595:
	s_cmp_lt_i32 s10, 8
	s_cbranch_scc1 .LBB363_2605
; %bb.2596:
	s_cmp_lt_i32 s10, 9
	s_cbranch_scc1 .LBB363_2602
; %bb.2597:
	s_cmp_gt_i32 s10, 9
	s_cbranch_scc0 .LBB363_2599
; %bb.2598:
	v_cndmask_b32_e64 v2, 0, 1, s[4:5]
	v_cvt_f64_u32_e32 v[17:18], v2
	v_mov_b32_e32 v19, 0
	v_mov_b32_e32 v20, v19
	s_mov_b64 s[0:1], 0
	global_store_dwordx4 v[0:1], v[17:20], off
.LBB363_2599:
	s_andn2_b64 vcc, exec, s[0:1]
	s_cbranch_vccnz .LBB363_2601
; %bb.2600:
	v_cndmask_b32_e64 v2, 0, 1.0, s[4:5]
	v_mov_b32_e32 v3, 0
	global_store_dwordx2 v[0:1], v[2:3], off
.LBB363_2601:
	s_mov_b64 s[0:1], 0
.LBB363_2602:
	s_andn2_b64 vcc, exec, s[0:1]
	s_cbranch_vccnz .LBB363_2604
; %bb.2603:
	v_cndmask_b32_e64 v2, 0, 1.0, s[4:5]
	v_cvt_f16_f32_e32 v2, v2
	global_store_dword v[0:1], v2, off
.LBB363_2604:
	s_mov_b64 s[0:1], 0
.LBB363_2605:
	s_andn2_b64 vcc, exec, s[0:1]
	s_cbranch_vccnz .LBB363_2614
; %bb.2606:
	s_cmp_lt_i32 s10, 6
	s_mov_b64 s[0:1], -1
	s_cbranch_scc1 .LBB363_2612
; %bb.2607:
	s_cmp_gt_i32 s10, 6
	s_cbranch_scc0 .LBB363_2609
; %bb.2608:
	v_cndmask_b32_e64 v2, 0, 1, s[4:5]
	v_cvt_f64_u32_e32 v[2:3], v2
	s_mov_b64 s[0:1], 0
	global_store_dwordx2 v[0:1], v[2:3], off
.LBB363_2609:
	s_andn2_b64 vcc, exec, s[0:1]
	s_cbranch_vccnz .LBB363_2611
; %bb.2610:
	v_cndmask_b32_e64 v2, 0, 1.0, s[4:5]
	global_store_dword v[0:1], v2, off
.LBB363_2611:
	s_mov_b64 s[0:1], 0
.LBB363_2612:
	s_andn2_b64 vcc, exec, s[0:1]
	s_cbranch_vccnz .LBB363_2614
; %bb.2613:
	v_cndmask_b32_e64 v2, 0, 1.0, s[4:5]
	v_cvt_f16_f32_e32 v2, v2
	global_store_short v[0:1], v2, off
.LBB363_2614:
	s_mov_b64 s[0:1], 0
.LBB363_2615:
	s_andn2_b64 vcc, exec, s[0:1]
	s_cbranch_vccnz .LBB363_2631
; %bb.2616:
	s_cmp_lt_i32 s10, 2
	s_mov_b64 s[0:1], -1
	s_cbranch_scc1 .LBB363_2626
; %bb.2617:
	s_cmp_lt_i32 s10, 3
	s_cbranch_scc1 .LBB363_2623
; %bb.2618:
	s_cmp_gt_i32 s10, 3
	s_cbranch_scc0 .LBB363_2620
; %bb.2619:
	s_mov_b32 s0, 0
	v_cndmask_b32_e64 v2, 0, 1, s[4:5]
	v_mov_b32_e32 v3, s0
	global_store_dwordx2 v[0:1], v[2:3], off
	s_mov_b64 s[0:1], 0
.LBB363_2620:
	s_andn2_b64 vcc, exec, s[0:1]
	s_cbranch_vccnz .LBB363_2622
; %bb.2621:
	v_cndmask_b32_e64 v2, 0, 1, s[4:5]
	global_store_dword v[0:1], v2, off
.LBB363_2622:
	s_mov_b64 s[0:1], 0
.LBB363_2623:
	s_andn2_b64 vcc, exec, s[0:1]
	s_cbranch_vccnz .LBB363_2625
; %bb.2624:
	v_cndmask_b32_e64 v2, 0, 1, s[4:5]
	global_store_short v[0:1], v2, off
.LBB363_2625:
	s_mov_b64 s[0:1], 0
.LBB363_2626:
	s_andn2_b64 vcc, exec, s[0:1]
	s_cbranch_vccnz .LBB363_2631
; %bb.2627:
	s_mov_b64 s[0:1], -1
	s_cmp_gt_i32 s10, 0
	v_cndmask_b32_e64 v2, 0, 1, s[4:5]
	s_cbranch_scc0 .LBB363_2629
; %bb.2628:
	global_store_byte v[0:1], v2, off
	s_mov_b64 s[0:1], 0
.LBB363_2629:
	s_andn2_b64 vcc, exec, s[0:1]
	s_cbranch_vccnz .LBB363_2631
; %bb.2630:
	global_store_byte v[0:1], v2, off
.LBB363_2631:
	s_mov_b64 s[14:15], -1
.LBB363_2632:
	s_andn2_b64 vcc, exec, s[14:15]
	s_cbranch_vccnz .LBB363_2947
; %bb.2633:
	v_cmp_ne_u64_e32 vcc, v[4:5], v[6:7]
	s_lshl_b32 s22, s12, 7
	v_add_u32_e32 v2, s22, v16
	s_xor_b64 s[4:5], s[2:3], vcc
	v_ashrrev_i32_e32 v1, 31, v2
	v_mov_b32_e32 v3, s9
	v_add_co_u32_e32 v0, vcc, s8, v2
	s_cmp_lt_i32 s24, 11
	v_addc_co_u32_e32 v1, vcc, v3, v1, vcc
	s_cbranch_scc1 .LBB363_2711
; %bb.2634:
	s_and_b32 s23, 0xffff, s24
	s_mov_b64 s[14:15], -1
	s_mov_b64 s[10:11], 0
	s_cmp_gt_i32 s23, 25
	s_mov_b64 s[12:13], 0
	s_mov_b64 s[0:1], 0
	s_cbranch_scc0 .LBB363_2667
; %bb.2635:
	s_cmp_gt_i32 s23, 28
	s_cbranch_scc0 .LBB363_2650
; %bb.2636:
	s_cmp_gt_i32 s23, 43
	;; [unrolled: 3-line block ×3, first 2 shown]
	s_cbranch_scc0 .LBB363_2640
; %bb.2638:
	s_mov_b64 s[0:1], -1
	s_mov_b64 s[14:15], 0
	s_cmp_eq_u32 s23, 46
	s_cbranch_scc0 .LBB363_2640
; %bb.2639:
	v_cndmask_b32_e64 v3, 0, 1.0, s[4:5]
	v_bfe_u32 v4, v3, 16, 1
	s_movk_i32 s0, 0x7fff
	v_add3_u32 v3, v3, v4, s0
	v_lshrrev_b32_e32 v3, 16, v3
	global_store_dword v[0:1], v3, off
	s_mov_b64 s[0:1], 0
	s_mov_b64 s[12:13], -1
.LBB363_2640:
	s_and_b64 vcc, exec, s[14:15]
	s_cbranch_vccz .LBB363_2645
; %bb.2641:
	s_cmp_eq_u32 s23, 44
	s_mov_b64 s[0:1], -1
	s_cbranch_scc0 .LBB363_2645
; %bb.2642:
	v_cndmask_b32_e64 v4, 0, 1.0, s[4:5]
	v_lshrrev_b32_e32 v3, 23, v4
	s_movk_i32 s0, 0xff
	v_cmp_ne_u32_e32 vcc, s0, v3
	v_mov_b32_e32 v5, 0xff
	s_and_saveexec_b64 s[12:13], vcc
; %bb.2643:
	s_mov_b32 s0, 0x3fffff
	v_and_b32_e32 v5, 0x400000, v4
	v_and_or_b32 v4, v4, s0, v3
	v_cmp_ne_u32_e32 vcc, 0, v5
	v_cmp_ne_u32_e64 s[0:1], 0, v4
	s_and_b64 s[0:1], vcc, s[0:1]
	v_cndmask_b32_e64 v4, 0, 1, s[0:1]
	v_add_u32_e32 v5, v3, v4
; %bb.2644:
	s_or_b64 exec, exec, s[12:13]
	s_mov_b64 s[0:1], 0
	s_mov_b64 s[12:13], -1
	global_store_byte v[0:1], v5, off
.LBB363_2645:
	s_mov_b64 s[14:15], 0
.LBB363_2646:
	s_and_b64 vcc, exec, s[14:15]
	s_cbranch_vccz .LBB363_2649
; %bb.2647:
	s_cmp_eq_u32 s23, 29
	s_mov_b64 s[0:1], -1
	s_cbranch_scc0 .LBB363_2649
; %bb.2648:
	s_mov_b32 s0, 0
	v_cndmask_b32_e64 v3, 0, 1, s[4:5]
	v_mov_b32_e32 v4, s0
	global_store_dwordx2 v[0:1], v[3:4], off
	s_mov_b64 s[0:1], 0
	s_mov_b64 s[12:13], -1
.LBB363_2649:
	s_mov_b64 s[14:15], 0
.LBB363_2650:
	s_and_b64 vcc, exec, s[14:15]
	s_cbranch_vccz .LBB363_2666
; %bb.2651:
	s_cmp_lt_i32 s23, 27
	s_mov_b64 s[12:13], -1
	s_cbranch_scc1 .LBB363_2657
; %bb.2652:
	s_cmp_gt_i32 s23, 27
	s_cbranch_scc0 .LBB363_2654
; %bb.2653:
	v_cndmask_b32_e64 v3, 0, 1, s[4:5]
	s_mov_b64 s[12:13], 0
	global_store_dword v[0:1], v3, off
.LBB363_2654:
	s_andn2_b64 vcc, exec, s[12:13]
	s_cbranch_vccnz .LBB363_2656
; %bb.2655:
	v_cndmask_b32_e64 v3, 0, 1, s[4:5]
	global_store_short v[0:1], v3, off
.LBB363_2656:
	s_mov_b64 s[12:13], 0
.LBB363_2657:
	s_andn2_b64 vcc, exec, s[12:13]
	s_cbranch_vccnz .LBB363_2665
; %bb.2658:
	v_cndmask_b32_e64 v4, 0, 1.0, s[4:5]
	s_mov_b32 s12, 0x43800000
	v_cmp_gt_u32_e32 vcc, s12, v4
	v_mov_b32_e32 v5, 0x80
	s_and_saveexec_b64 s[12:13], vcc
	s_cbranch_execz .LBB363_2664
; %bb.2659:
	s_mov_b32 s14, 0x3bffffff
	v_cmp_lt_u32_e32 vcc, s14, v4
	s_mov_b64 s[14:15], 0
                                        ; implicit-def: $vgpr3
	s_and_saveexec_b64 s[20:21], vcc
	s_xor_b64 s[20:21], exec, s[20:21]
	s_cbranch_execz .LBB363_2999
; %bb.2660:
	v_bfe_u32 v3, v4, 20, 1
	s_mov_b32 s25, 0x487ffff
	v_add3_u32 v3, v4, v3, s25
	s_mov_b64 s[14:15], exec
	v_lshrrev_b32_e32 v3, 20, v3
                                        ; implicit-def: $vgpr4
	s_andn2_saveexec_b64 s[20:21], s[20:21]
	s_cbranch_execnz .LBB363_3000
.LBB363_2661:
	s_or_b64 exec, exec, s[20:21]
	v_mov_b32_e32 v5, 0
	s_and_saveexec_b64 s[20:21], s[14:15]
.LBB363_2662:
	v_mov_b32_e32 v5, v3
.LBB363_2663:
	s_or_b64 exec, exec, s[20:21]
.LBB363_2664:
	s_or_b64 exec, exec, s[12:13]
	global_store_byte v[0:1], v5, off
.LBB363_2665:
	s_mov_b64 s[12:13], -1
.LBB363_2666:
	s_mov_b64 s[14:15], 0
.LBB363_2667:
	s_and_b64 vcc, exec, s[14:15]
	s_cbranch_vccz .LBB363_2707
; %bb.2668:
	s_cmp_gt_i32 s23, 22
	s_mov_b64 s[10:11], -1
	s_cbranch_scc0 .LBB363_2700
; %bb.2669:
	s_cmp_lt_i32 s23, 24
	s_cbranch_scc1 .LBB363_2689
; %bb.2670:
	s_cmp_gt_i32 s23, 24
	s_cbranch_scc0 .LBB363_2678
; %bb.2671:
	v_cndmask_b32_e64 v4, 0, 1.0, s[4:5]
	s_mov_b32 s10, 0x47800000
	v_cmp_gt_u32_e32 vcc, s10, v4
	v_mov_b32_e32 v5, 0x80
	s_and_saveexec_b64 s[10:11], vcc
	s_cbranch_execz .LBB363_2677
; %bb.2672:
	s_mov_b32 s12, 0x37ffffff
	v_cmp_lt_u32_e32 vcc, s12, v4
	s_mov_b64 s[12:13], 0
                                        ; implicit-def: $vgpr3
	s_and_saveexec_b64 s[14:15], vcc
	s_xor_b64 s[14:15], exec, s[14:15]
	s_cbranch_execz .LBB363_3002
; %bb.2673:
	v_bfe_u32 v3, v4, 21, 1
	s_mov_b32 s20, 0x88fffff
	v_add3_u32 v3, v4, v3, s20
	s_mov_b64 s[12:13], exec
	v_lshrrev_b32_e32 v3, 21, v3
                                        ; implicit-def: $vgpr4
	s_andn2_saveexec_b64 s[14:15], s[14:15]
	s_cbranch_execnz .LBB363_3003
.LBB363_2674:
	s_or_b64 exec, exec, s[14:15]
	v_mov_b32_e32 v5, 0
	s_and_saveexec_b64 s[14:15], s[12:13]
.LBB363_2675:
	v_mov_b32_e32 v5, v3
.LBB363_2676:
	s_or_b64 exec, exec, s[14:15]
.LBB363_2677:
	s_or_b64 exec, exec, s[10:11]
	s_mov_b64 s[10:11], 0
	global_store_byte v[0:1], v5, off
.LBB363_2678:
	s_and_b64 vcc, exec, s[10:11]
	s_cbranch_vccz .LBB363_2688
; %bb.2679:
	v_cndmask_b32_e64 v3, 0, 1.0, s[4:5]
	s_mov_b32 s10, 0x43f00000
	v_cmp_gt_u32_e32 vcc, s10, v3
                                        ; implicit-def: $vgpr4
	s_and_saveexec_b64 s[10:11], vcc
	s_xor_b64 s[10:11], exec, s[10:11]
	s_cbranch_execz .LBB363_2685
; %bb.2680:
	s_mov_b32 s12, 0x3c7fffff
	v_cmp_lt_u32_e32 vcc, s12, v3
                                        ; implicit-def: $vgpr4
	s_and_saveexec_b64 s[12:13], vcc
	s_xor_b64 s[12:13], exec, s[12:13]
; %bb.2681:
	v_bfe_u32 v4, v3, 20, 1
	s_mov_b32 s14, 0x407ffff
	v_add3_u32 v3, v3, v4, s14
	v_lshrrev_b32_e32 v4, 20, v3
	v_and_b32_e32 v3, 0xff00000, v3
	s_mov_b32 s14, 0x7f00000
	v_mov_b32_e32 v5, 0x7e
	v_cmp_ne_u32_e32 vcc, s14, v3
	v_cndmask_b32_e32 v4, v5, v4, vcc
                                        ; implicit-def: $vgpr3
; %bb.2682:
	s_andn2_saveexec_b64 s[12:13], s[12:13]
; %bb.2683:
	v_add_f32_e32 v4, 0x46800000, v3
; %bb.2684:
	s_or_b64 exec, exec, s[12:13]
                                        ; implicit-def: $vgpr3
.LBB363_2685:
	s_andn2_saveexec_b64 s[10:11], s[10:11]
; %bb.2686:
	s_mov_b32 s12, 0x7f800000
	v_mov_b32_e32 v4, 0x7e
	v_mov_b32_e32 v5, 0x7f
	v_cmp_lt_u32_e32 vcc, s12, v3
	v_cndmask_b32_e32 v4, v4, v5, vcc
; %bb.2687:
	s_or_b64 exec, exec, s[10:11]
	global_store_byte v[0:1], v4, off
.LBB363_2688:
	s_mov_b64 s[10:11], 0
.LBB363_2689:
	s_andn2_b64 vcc, exec, s[10:11]
	s_cbranch_vccnz .LBB363_2699
; %bb.2690:
	v_cndmask_b32_e64 v3, 0, 1.0, s[4:5]
	s_mov_b32 s10, 0x47800000
	v_cmp_gt_u32_e32 vcc, s10, v3
                                        ; implicit-def: $vgpr4
	s_and_saveexec_b64 s[10:11], vcc
	s_xor_b64 s[10:11], exec, s[10:11]
	s_cbranch_execz .LBB363_2696
; %bb.2691:
	s_mov_b32 s12, 0x387fffff
	v_cmp_lt_u32_e32 vcc, s12, v3
                                        ; implicit-def: $vgpr4
	s_and_saveexec_b64 s[12:13], vcc
	s_xor_b64 s[12:13], exec, s[12:13]
; %bb.2692:
	v_bfe_u32 v4, v3, 21, 1
	s_mov_b32 s14, 0x80fffff
	v_add3_u32 v3, v3, v4, s14
	v_lshrrev_b32_e32 v4, 21, v3
                                        ; implicit-def: $vgpr3
; %bb.2693:
	s_andn2_saveexec_b64 s[12:13], s[12:13]
; %bb.2694:
	v_add_f32_e32 v4, 0x43000000, v3
; %bb.2695:
	s_or_b64 exec, exec, s[12:13]
                                        ; implicit-def: $vgpr3
.LBB363_2696:
	s_andn2_saveexec_b64 s[10:11], s[10:11]
; %bb.2697:
	s_mov_b32 s12, 0x7f800000
	v_mov_b32_e32 v4, 0x7c
	v_mov_b32_e32 v5, 0x7f
	v_cmp_lt_u32_e32 vcc, s12, v3
	v_cndmask_b32_e32 v4, v4, v5, vcc
; %bb.2698:
	s_or_b64 exec, exec, s[10:11]
	global_store_byte v[0:1], v4, off
.LBB363_2699:
	s_mov_b64 s[10:11], 0
	s_mov_b64 s[12:13], -1
.LBB363_2700:
	s_andn2_b64 vcc, exec, s[10:11]
	s_mov_b64 s[10:11], 0
	s_cbranch_vccnz .LBB363_2707
; %bb.2701:
	s_cmp_gt_i32 s23, 14
	s_mov_b64 s[14:15], -1
	s_cbranch_scc0 .LBB363_2705
; %bb.2702:
	s_cmp_eq_u32 s23, 15
	s_mov_b64 s[0:1], -1
	s_cbranch_scc0 .LBB363_2704
; %bb.2703:
	v_cndmask_b32_e64 v3, 0, 1.0, s[4:5]
	v_bfe_u32 v4, v3, 16, 1
	s_movk_i32 s0, 0x7fff
	v_add3_u32 v3, v3, v4, s0
	global_store_short_d16_hi v[0:1], v3, off
	s_mov_b64 s[0:1], 0
	s_mov_b64 s[12:13], -1
.LBB363_2704:
	s_mov_b64 s[14:15], 0
.LBB363_2705:
	s_and_b64 vcc, exec, s[14:15]
	s_cbranch_vccz .LBB363_2707
; %bb.2706:
	s_cmp_lg_u32 s23, 11
	s_mov_b64 s[10:11], -1
	s_cselect_b64 s[0:1], -1, 0
.LBB363_2707:
	s_and_b64 vcc, exec, s[0:1]
	s_cbranch_vccnz .LBB363_3001
; %bb.2708:
	s_andn2_b64 vcc, exec, s[10:11]
	s_cbranch_vccnz .LBB363_2710
.LBB363_2709:
	v_cndmask_b32_e64 v3, 0, 1, s[4:5]
	s_mov_b64 s[12:13], -1
	global_store_byte v[0:1], v3, off
.LBB363_2710:
	s_mov_b64 s[0:1], 0
	s_branch .LBB363_2712
.LBB363_2711:
	s_mov_b64 s[0:1], -1
	s_mov_b64 s[12:13], 0
.LBB363_2712:
	s_and_b64 vcc, exec, s[0:1]
	s_cbranch_vccz .LBB363_2751
; %bb.2713:
	s_and_b32 s10, 0xffff, s24
	s_cmp_lt_i32 s10, 5
	s_mov_b64 s[0:1], -1
	s_cbranch_scc1 .LBB363_2734
; %bb.2714:
	s_cmp_lt_i32 s10, 8
	s_cbranch_scc1 .LBB363_2724
; %bb.2715:
	s_cmp_lt_i32 s10, 9
	s_cbranch_scc1 .LBB363_2721
; %bb.2716:
	s_cmp_gt_i32 s10, 9
	s_cbranch_scc0 .LBB363_2718
; %bb.2717:
	v_cndmask_b32_e64 v3, 0, 1, s[4:5]
	v_cvt_f64_u32_e32 v[3:4], v3
	v_mov_b32_e32 v5, 0
	v_mov_b32_e32 v6, v5
	s_mov_b64 s[0:1], 0
	global_store_dwordx4 v[0:1], v[3:6], off
.LBB363_2718:
	s_andn2_b64 vcc, exec, s[0:1]
	s_cbranch_vccnz .LBB363_2720
; %bb.2719:
	v_cndmask_b32_e64 v3, 0, 1.0, s[4:5]
	v_mov_b32_e32 v4, 0
	global_store_dwordx2 v[0:1], v[3:4], off
.LBB363_2720:
	s_mov_b64 s[0:1], 0
.LBB363_2721:
	s_andn2_b64 vcc, exec, s[0:1]
	s_cbranch_vccnz .LBB363_2723
; %bb.2722:
	v_cndmask_b32_e64 v3, 0, 1.0, s[4:5]
	v_cvt_f16_f32_e32 v3, v3
	global_store_dword v[0:1], v3, off
.LBB363_2723:
	s_mov_b64 s[0:1], 0
.LBB363_2724:
	s_andn2_b64 vcc, exec, s[0:1]
	s_cbranch_vccnz .LBB363_2733
; %bb.2725:
	s_cmp_lt_i32 s10, 6
	s_mov_b64 s[0:1], -1
	s_cbranch_scc1 .LBB363_2731
; %bb.2726:
	s_cmp_gt_i32 s10, 6
	s_cbranch_scc0 .LBB363_2728
; %bb.2727:
	v_cndmask_b32_e64 v3, 0, 1, s[4:5]
	v_cvt_f64_u32_e32 v[3:4], v3
	s_mov_b64 s[0:1], 0
	global_store_dwordx2 v[0:1], v[3:4], off
.LBB363_2728:
	s_andn2_b64 vcc, exec, s[0:1]
	s_cbranch_vccnz .LBB363_2730
; %bb.2729:
	v_cndmask_b32_e64 v3, 0, 1.0, s[4:5]
	global_store_dword v[0:1], v3, off
.LBB363_2730:
	s_mov_b64 s[0:1], 0
.LBB363_2731:
	s_andn2_b64 vcc, exec, s[0:1]
	s_cbranch_vccnz .LBB363_2733
; %bb.2732:
	v_cndmask_b32_e64 v3, 0, 1.0, s[4:5]
	v_cvt_f16_f32_e32 v3, v3
	global_store_short v[0:1], v3, off
.LBB363_2733:
	s_mov_b64 s[0:1], 0
.LBB363_2734:
	s_andn2_b64 vcc, exec, s[0:1]
	s_cbranch_vccnz .LBB363_2750
; %bb.2735:
	s_cmp_lt_i32 s10, 2
	s_mov_b64 s[0:1], -1
	s_cbranch_scc1 .LBB363_2745
; %bb.2736:
	s_cmp_lt_i32 s10, 3
	s_cbranch_scc1 .LBB363_2742
; %bb.2737:
	s_cmp_gt_i32 s10, 3
	s_cbranch_scc0 .LBB363_2739
; %bb.2738:
	s_mov_b32 s0, 0
	v_cndmask_b32_e64 v3, 0, 1, s[4:5]
	v_mov_b32_e32 v4, s0
	global_store_dwordx2 v[0:1], v[3:4], off
	s_mov_b64 s[0:1], 0
.LBB363_2739:
	s_andn2_b64 vcc, exec, s[0:1]
	s_cbranch_vccnz .LBB363_2741
; %bb.2740:
	v_cndmask_b32_e64 v3, 0, 1, s[4:5]
	global_store_dword v[0:1], v3, off
.LBB363_2741:
	s_mov_b64 s[0:1], 0
.LBB363_2742:
	s_andn2_b64 vcc, exec, s[0:1]
	s_cbranch_vccnz .LBB363_2744
; %bb.2743:
	v_cndmask_b32_e64 v3, 0, 1, s[4:5]
	global_store_short v[0:1], v3, off
.LBB363_2744:
	s_mov_b64 s[0:1], 0
.LBB363_2745:
	s_andn2_b64 vcc, exec, s[0:1]
	s_cbranch_vccnz .LBB363_2750
; %bb.2746:
	s_mov_b64 s[0:1], -1
	s_cmp_gt_i32 s10, 0
	v_cndmask_b32_e64 v3, 0, 1, s[4:5]
	s_cbranch_scc0 .LBB363_2748
; %bb.2747:
	global_store_byte v[0:1], v3, off
	s_mov_b64 s[0:1], 0
.LBB363_2748:
	s_andn2_b64 vcc, exec, s[0:1]
	s_cbranch_vccnz .LBB363_2750
; %bb.2749:
	global_store_byte v[0:1], v3, off
.LBB363_2750:
	s_mov_b64 s[12:13], -1
.LBB363_2751:
	s_andn2_b64 vcc, exec, s[12:13]
	s_cbranch_vccnz .LBB363_2947
; %bb.2752:
	v_cmp_ne_u64_e32 vcc, v[8:9], v[10:11]
	v_add_u32_e32 v2, s22, v2
	s_xor_b64 s[4:5], s[2:3], vcc
	v_ashrrev_i32_e32 v1, 31, v2
	v_mov_b32_e32 v3, s9
	v_add_co_u32_e32 v0, vcc, s8, v2
	s_cmp_lt_i32 s24, 11
	v_addc_co_u32_e32 v1, vcc, v3, v1, vcc
	s_cbranch_scc1 .LBB363_2830
; %bb.2753:
	s_and_b32 s23, 0xffff, s24
	s_mov_b64 s[14:15], -1
	s_mov_b64 s[10:11], 0
	s_cmp_gt_i32 s23, 25
	s_mov_b64 s[12:13], 0
	s_mov_b64 s[0:1], 0
	s_cbranch_scc0 .LBB363_2786
; %bb.2754:
	s_cmp_gt_i32 s23, 28
	s_cbranch_scc0 .LBB363_2769
; %bb.2755:
	s_cmp_gt_i32 s23, 43
	;; [unrolled: 3-line block ×3, first 2 shown]
	s_cbranch_scc0 .LBB363_2759
; %bb.2757:
	s_mov_b64 s[0:1], -1
	s_mov_b64 s[14:15], 0
	s_cmp_eq_u32 s23, 46
	s_cbranch_scc0 .LBB363_2759
; %bb.2758:
	v_cndmask_b32_e64 v3, 0, 1.0, s[4:5]
	v_bfe_u32 v4, v3, 16, 1
	s_movk_i32 s0, 0x7fff
	v_add3_u32 v3, v3, v4, s0
	v_lshrrev_b32_e32 v3, 16, v3
	global_store_dword v[0:1], v3, off
	s_mov_b64 s[0:1], 0
	s_mov_b64 s[12:13], -1
.LBB363_2759:
	s_and_b64 vcc, exec, s[14:15]
	s_cbranch_vccz .LBB363_2764
; %bb.2760:
	s_cmp_eq_u32 s23, 44
	s_mov_b64 s[0:1], -1
	s_cbranch_scc0 .LBB363_2764
; %bb.2761:
	v_cndmask_b32_e64 v4, 0, 1.0, s[4:5]
	v_lshrrev_b32_e32 v3, 23, v4
	s_movk_i32 s0, 0xff
	v_cmp_ne_u32_e32 vcc, s0, v3
	v_mov_b32_e32 v5, 0xff
	s_and_saveexec_b64 s[12:13], vcc
; %bb.2762:
	s_mov_b32 s0, 0x3fffff
	v_and_b32_e32 v5, 0x400000, v4
	v_and_or_b32 v4, v4, s0, v3
	v_cmp_ne_u32_e32 vcc, 0, v5
	v_cmp_ne_u32_e64 s[0:1], 0, v4
	s_and_b64 s[0:1], vcc, s[0:1]
	v_cndmask_b32_e64 v4, 0, 1, s[0:1]
	v_add_u32_e32 v5, v3, v4
; %bb.2763:
	s_or_b64 exec, exec, s[12:13]
	s_mov_b64 s[0:1], 0
	s_mov_b64 s[12:13], -1
	global_store_byte v[0:1], v5, off
.LBB363_2764:
	s_mov_b64 s[14:15], 0
.LBB363_2765:
	s_and_b64 vcc, exec, s[14:15]
	s_cbranch_vccz .LBB363_2768
; %bb.2766:
	s_cmp_eq_u32 s23, 29
	s_mov_b64 s[0:1], -1
	s_cbranch_scc0 .LBB363_2768
; %bb.2767:
	s_mov_b32 s0, 0
	v_cndmask_b32_e64 v3, 0, 1, s[4:5]
	v_mov_b32_e32 v4, s0
	global_store_dwordx2 v[0:1], v[3:4], off
	s_mov_b64 s[0:1], 0
	s_mov_b64 s[12:13], -1
.LBB363_2768:
	s_mov_b64 s[14:15], 0
.LBB363_2769:
	s_and_b64 vcc, exec, s[14:15]
	s_cbranch_vccz .LBB363_2785
; %bb.2770:
	s_cmp_lt_i32 s23, 27
	s_mov_b64 s[12:13], -1
	s_cbranch_scc1 .LBB363_2776
; %bb.2771:
	s_cmp_gt_i32 s23, 27
	s_cbranch_scc0 .LBB363_2773
; %bb.2772:
	v_cndmask_b32_e64 v3, 0, 1, s[4:5]
	s_mov_b64 s[12:13], 0
	global_store_dword v[0:1], v3, off
.LBB363_2773:
	s_andn2_b64 vcc, exec, s[12:13]
	s_cbranch_vccnz .LBB363_2775
; %bb.2774:
	v_cndmask_b32_e64 v3, 0, 1, s[4:5]
	global_store_short v[0:1], v3, off
.LBB363_2775:
	s_mov_b64 s[12:13], 0
.LBB363_2776:
	s_andn2_b64 vcc, exec, s[12:13]
	s_cbranch_vccnz .LBB363_2784
; %bb.2777:
	v_cndmask_b32_e64 v4, 0, 1.0, s[4:5]
	s_mov_b32 s12, 0x43800000
	v_cmp_gt_u32_e32 vcc, s12, v4
	v_mov_b32_e32 v5, 0x80
	s_and_saveexec_b64 s[12:13], vcc
	s_cbranch_execz .LBB363_2783
; %bb.2778:
	s_mov_b32 s14, 0x3bffffff
	v_cmp_lt_u32_e32 vcc, s14, v4
	s_mov_b64 s[14:15], 0
                                        ; implicit-def: $vgpr3
	s_and_saveexec_b64 s[20:21], vcc
	s_xor_b64 s[20:21], exec, s[20:21]
	s_cbranch_execz .LBB363_3004
; %bb.2779:
	v_bfe_u32 v3, v4, 20, 1
	s_mov_b32 s25, 0x487ffff
	v_add3_u32 v3, v4, v3, s25
	s_mov_b64 s[14:15], exec
	v_lshrrev_b32_e32 v3, 20, v3
                                        ; implicit-def: $vgpr4
	s_andn2_saveexec_b64 s[20:21], s[20:21]
	s_cbranch_execnz .LBB363_3005
.LBB363_2780:
	s_or_b64 exec, exec, s[20:21]
	v_mov_b32_e32 v5, 0
	s_and_saveexec_b64 s[20:21], s[14:15]
.LBB363_2781:
	v_mov_b32_e32 v5, v3
.LBB363_2782:
	s_or_b64 exec, exec, s[20:21]
.LBB363_2783:
	s_or_b64 exec, exec, s[12:13]
	global_store_byte v[0:1], v5, off
.LBB363_2784:
	s_mov_b64 s[12:13], -1
.LBB363_2785:
	s_mov_b64 s[14:15], 0
.LBB363_2786:
	s_and_b64 vcc, exec, s[14:15]
	s_cbranch_vccz .LBB363_2826
; %bb.2787:
	s_cmp_gt_i32 s23, 22
	s_mov_b64 s[10:11], -1
	s_cbranch_scc0 .LBB363_2819
; %bb.2788:
	s_cmp_lt_i32 s23, 24
	s_cbranch_scc1 .LBB363_2808
; %bb.2789:
	s_cmp_gt_i32 s23, 24
	s_cbranch_scc0 .LBB363_2797
; %bb.2790:
	v_cndmask_b32_e64 v4, 0, 1.0, s[4:5]
	s_mov_b32 s10, 0x47800000
	v_cmp_gt_u32_e32 vcc, s10, v4
	v_mov_b32_e32 v5, 0x80
	s_and_saveexec_b64 s[10:11], vcc
	s_cbranch_execz .LBB363_2796
; %bb.2791:
	s_mov_b32 s12, 0x37ffffff
	v_cmp_lt_u32_e32 vcc, s12, v4
	s_mov_b64 s[12:13], 0
                                        ; implicit-def: $vgpr3
	s_and_saveexec_b64 s[14:15], vcc
	s_xor_b64 s[14:15], exec, s[14:15]
	s_cbranch_execz .LBB363_3007
; %bb.2792:
	v_bfe_u32 v3, v4, 21, 1
	s_mov_b32 s20, 0x88fffff
	v_add3_u32 v3, v4, v3, s20
	s_mov_b64 s[12:13], exec
	v_lshrrev_b32_e32 v3, 21, v3
                                        ; implicit-def: $vgpr4
	s_andn2_saveexec_b64 s[14:15], s[14:15]
	s_cbranch_execnz .LBB363_3008
.LBB363_2793:
	s_or_b64 exec, exec, s[14:15]
	v_mov_b32_e32 v5, 0
	s_and_saveexec_b64 s[14:15], s[12:13]
.LBB363_2794:
	v_mov_b32_e32 v5, v3
.LBB363_2795:
	s_or_b64 exec, exec, s[14:15]
.LBB363_2796:
	s_or_b64 exec, exec, s[10:11]
	s_mov_b64 s[10:11], 0
	global_store_byte v[0:1], v5, off
.LBB363_2797:
	s_and_b64 vcc, exec, s[10:11]
	s_cbranch_vccz .LBB363_2807
; %bb.2798:
	v_cndmask_b32_e64 v3, 0, 1.0, s[4:5]
	s_mov_b32 s10, 0x43f00000
	v_cmp_gt_u32_e32 vcc, s10, v3
                                        ; implicit-def: $vgpr4
	s_and_saveexec_b64 s[10:11], vcc
	s_xor_b64 s[10:11], exec, s[10:11]
	s_cbranch_execz .LBB363_2804
; %bb.2799:
	s_mov_b32 s12, 0x3c7fffff
	v_cmp_lt_u32_e32 vcc, s12, v3
                                        ; implicit-def: $vgpr4
	s_and_saveexec_b64 s[12:13], vcc
	s_xor_b64 s[12:13], exec, s[12:13]
; %bb.2800:
	v_bfe_u32 v4, v3, 20, 1
	s_mov_b32 s14, 0x407ffff
	v_add3_u32 v3, v3, v4, s14
	v_lshrrev_b32_e32 v4, 20, v3
	v_and_b32_e32 v3, 0xff00000, v3
	s_mov_b32 s14, 0x7f00000
	v_mov_b32_e32 v5, 0x7e
	v_cmp_ne_u32_e32 vcc, s14, v3
	v_cndmask_b32_e32 v4, v5, v4, vcc
                                        ; implicit-def: $vgpr3
; %bb.2801:
	s_andn2_saveexec_b64 s[12:13], s[12:13]
; %bb.2802:
	v_add_f32_e32 v4, 0x46800000, v3
; %bb.2803:
	s_or_b64 exec, exec, s[12:13]
                                        ; implicit-def: $vgpr3
.LBB363_2804:
	s_andn2_saveexec_b64 s[10:11], s[10:11]
; %bb.2805:
	s_mov_b32 s12, 0x7f800000
	v_mov_b32_e32 v4, 0x7e
	v_mov_b32_e32 v5, 0x7f
	v_cmp_lt_u32_e32 vcc, s12, v3
	v_cndmask_b32_e32 v4, v4, v5, vcc
; %bb.2806:
	s_or_b64 exec, exec, s[10:11]
	global_store_byte v[0:1], v4, off
.LBB363_2807:
	s_mov_b64 s[10:11], 0
.LBB363_2808:
	s_andn2_b64 vcc, exec, s[10:11]
	s_cbranch_vccnz .LBB363_2818
; %bb.2809:
	v_cndmask_b32_e64 v3, 0, 1.0, s[4:5]
	s_mov_b32 s10, 0x47800000
	v_cmp_gt_u32_e32 vcc, s10, v3
                                        ; implicit-def: $vgpr4
	s_and_saveexec_b64 s[10:11], vcc
	s_xor_b64 s[10:11], exec, s[10:11]
	s_cbranch_execz .LBB363_2815
; %bb.2810:
	s_mov_b32 s12, 0x387fffff
	v_cmp_lt_u32_e32 vcc, s12, v3
                                        ; implicit-def: $vgpr4
	s_and_saveexec_b64 s[12:13], vcc
	s_xor_b64 s[12:13], exec, s[12:13]
; %bb.2811:
	v_bfe_u32 v4, v3, 21, 1
	s_mov_b32 s14, 0x80fffff
	v_add3_u32 v3, v3, v4, s14
	v_lshrrev_b32_e32 v4, 21, v3
                                        ; implicit-def: $vgpr3
; %bb.2812:
	s_andn2_saveexec_b64 s[12:13], s[12:13]
; %bb.2813:
	v_add_f32_e32 v4, 0x43000000, v3
; %bb.2814:
	s_or_b64 exec, exec, s[12:13]
                                        ; implicit-def: $vgpr3
.LBB363_2815:
	s_andn2_saveexec_b64 s[10:11], s[10:11]
; %bb.2816:
	s_mov_b32 s12, 0x7f800000
	v_mov_b32_e32 v4, 0x7c
	v_mov_b32_e32 v5, 0x7f
	v_cmp_lt_u32_e32 vcc, s12, v3
	v_cndmask_b32_e32 v4, v4, v5, vcc
; %bb.2817:
	s_or_b64 exec, exec, s[10:11]
	global_store_byte v[0:1], v4, off
.LBB363_2818:
	s_mov_b64 s[10:11], 0
	s_mov_b64 s[12:13], -1
.LBB363_2819:
	s_andn2_b64 vcc, exec, s[10:11]
	s_mov_b64 s[10:11], 0
	s_cbranch_vccnz .LBB363_2826
; %bb.2820:
	s_cmp_gt_i32 s23, 14
	s_mov_b64 s[14:15], -1
	s_cbranch_scc0 .LBB363_2824
; %bb.2821:
	s_cmp_eq_u32 s23, 15
	s_mov_b64 s[0:1], -1
	s_cbranch_scc0 .LBB363_2823
; %bb.2822:
	v_cndmask_b32_e64 v3, 0, 1.0, s[4:5]
	v_bfe_u32 v4, v3, 16, 1
	s_movk_i32 s0, 0x7fff
	v_add3_u32 v3, v3, v4, s0
	global_store_short_d16_hi v[0:1], v3, off
	s_mov_b64 s[0:1], 0
	s_mov_b64 s[12:13], -1
.LBB363_2823:
	s_mov_b64 s[14:15], 0
.LBB363_2824:
	s_and_b64 vcc, exec, s[14:15]
	s_cbranch_vccz .LBB363_2826
; %bb.2825:
	s_cmp_lg_u32 s23, 11
	s_mov_b64 s[10:11], -1
	s_cselect_b64 s[0:1], -1, 0
.LBB363_2826:
	s_and_b64 vcc, exec, s[0:1]
	s_cbranch_vccnz .LBB363_3006
; %bb.2827:
	s_andn2_b64 vcc, exec, s[10:11]
	s_cbranch_vccnz .LBB363_2829
.LBB363_2828:
	v_cndmask_b32_e64 v3, 0, 1, s[4:5]
	s_mov_b64 s[12:13], -1
	global_store_byte v[0:1], v3, off
.LBB363_2829:
	s_mov_b64 s[0:1], 0
	s_branch .LBB363_2831
.LBB363_2830:
	s_mov_b64 s[0:1], -1
	s_mov_b64 s[12:13], 0
.LBB363_2831:
	s_and_b64 vcc, exec, s[0:1]
	s_cbranch_vccz .LBB363_2870
; %bb.2832:
	s_and_b32 s10, 0xffff, s24
	s_cmp_lt_i32 s10, 5
	s_mov_b64 s[0:1], -1
	s_cbranch_scc1 .LBB363_2853
; %bb.2833:
	s_cmp_lt_i32 s10, 8
	s_cbranch_scc1 .LBB363_2843
; %bb.2834:
	s_cmp_lt_i32 s10, 9
	s_cbranch_scc1 .LBB363_2840
; %bb.2835:
	s_cmp_gt_i32 s10, 9
	s_cbranch_scc0 .LBB363_2837
; %bb.2836:
	v_cndmask_b32_e64 v3, 0, 1, s[4:5]
	v_cvt_f64_u32_e32 v[3:4], v3
	v_mov_b32_e32 v5, 0
	v_mov_b32_e32 v6, v5
	s_mov_b64 s[0:1], 0
	global_store_dwordx4 v[0:1], v[3:6], off
.LBB363_2837:
	s_andn2_b64 vcc, exec, s[0:1]
	s_cbranch_vccnz .LBB363_2839
; %bb.2838:
	v_cndmask_b32_e64 v3, 0, 1.0, s[4:5]
	v_mov_b32_e32 v4, 0
	global_store_dwordx2 v[0:1], v[3:4], off
.LBB363_2839:
	s_mov_b64 s[0:1], 0
.LBB363_2840:
	s_andn2_b64 vcc, exec, s[0:1]
	s_cbranch_vccnz .LBB363_2842
; %bb.2841:
	v_cndmask_b32_e64 v3, 0, 1.0, s[4:5]
	v_cvt_f16_f32_e32 v3, v3
	global_store_dword v[0:1], v3, off
.LBB363_2842:
	s_mov_b64 s[0:1], 0
.LBB363_2843:
	s_andn2_b64 vcc, exec, s[0:1]
	s_cbranch_vccnz .LBB363_2852
; %bb.2844:
	s_cmp_lt_i32 s10, 6
	s_mov_b64 s[0:1], -1
	s_cbranch_scc1 .LBB363_2850
; %bb.2845:
	s_cmp_gt_i32 s10, 6
	s_cbranch_scc0 .LBB363_2847
; %bb.2846:
	v_cndmask_b32_e64 v3, 0, 1, s[4:5]
	v_cvt_f64_u32_e32 v[3:4], v3
	s_mov_b64 s[0:1], 0
	global_store_dwordx2 v[0:1], v[3:4], off
.LBB363_2847:
	s_andn2_b64 vcc, exec, s[0:1]
	s_cbranch_vccnz .LBB363_2849
; %bb.2848:
	v_cndmask_b32_e64 v3, 0, 1.0, s[4:5]
	global_store_dword v[0:1], v3, off
.LBB363_2849:
	s_mov_b64 s[0:1], 0
.LBB363_2850:
	s_andn2_b64 vcc, exec, s[0:1]
	s_cbranch_vccnz .LBB363_2852
; %bb.2851:
	v_cndmask_b32_e64 v3, 0, 1.0, s[4:5]
	v_cvt_f16_f32_e32 v3, v3
	global_store_short v[0:1], v3, off
.LBB363_2852:
	s_mov_b64 s[0:1], 0
.LBB363_2853:
	s_andn2_b64 vcc, exec, s[0:1]
	s_cbranch_vccnz .LBB363_2869
; %bb.2854:
	s_cmp_lt_i32 s10, 2
	s_mov_b64 s[0:1], -1
	s_cbranch_scc1 .LBB363_2864
; %bb.2855:
	s_cmp_lt_i32 s10, 3
	s_cbranch_scc1 .LBB363_2861
; %bb.2856:
	s_cmp_gt_i32 s10, 3
	s_cbranch_scc0 .LBB363_2858
; %bb.2857:
	s_mov_b32 s0, 0
	v_cndmask_b32_e64 v3, 0, 1, s[4:5]
	v_mov_b32_e32 v4, s0
	global_store_dwordx2 v[0:1], v[3:4], off
	s_mov_b64 s[0:1], 0
.LBB363_2858:
	s_andn2_b64 vcc, exec, s[0:1]
	s_cbranch_vccnz .LBB363_2860
; %bb.2859:
	v_cndmask_b32_e64 v3, 0, 1, s[4:5]
	global_store_dword v[0:1], v3, off
.LBB363_2860:
	s_mov_b64 s[0:1], 0
.LBB363_2861:
	s_andn2_b64 vcc, exec, s[0:1]
	s_cbranch_vccnz .LBB363_2863
; %bb.2862:
	v_cndmask_b32_e64 v3, 0, 1, s[4:5]
	global_store_short v[0:1], v3, off
.LBB363_2863:
	s_mov_b64 s[0:1], 0
.LBB363_2864:
	s_andn2_b64 vcc, exec, s[0:1]
	s_cbranch_vccnz .LBB363_2869
; %bb.2865:
	s_mov_b64 s[0:1], -1
	s_cmp_gt_i32 s10, 0
	v_cndmask_b32_e64 v3, 0, 1, s[4:5]
	s_cbranch_scc0 .LBB363_2867
; %bb.2866:
	global_store_byte v[0:1], v3, off
	s_mov_b64 s[0:1], 0
.LBB363_2867:
	s_andn2_b64 vcc, exec, s[0:1]
	s_cbranch_vccnz .LBB363_2869
; %bb.2868:
	global_store_byte v[0:1], v3, off
.LBB363_2869:
	s_mov_b64 s[12:13], -1
.LBB363_2870:
	s_andn2_b64 vcc, exec, s[12:13]
	s_cbranch_vccnz .LBB363_2947
; %bb.2871:
	v_cmp_ne_u64_e32 vcc, v[12:13], v[14:15]
	v_add_u32_e32 v0, s22, v2
	s_xor_b64 s[20:21], s[2:3], vcc
	v_ashrrev_i32_e32 v1, 31, v0
	v_mov_b32_e32 v2, s9
	v_add_co_u32_e32 v0, vcc, s8, v0
	s_cmp_lt_i32 s24, 11
	v_addc_co_u32_e32 v1, vcc, v2, v1, vcc
	s_cbranch_scc1 .LBB363_2992
; %bb.2872:
	s_and_b32 s12, 0xffff, s24
	s_mov_b64 s[4:5], -1
	s_mov_b64 s[2:3], 0
	s_cmp_gt_i32 s12, 25
	s_mov_b64 s[0:1], 0
	s_cbranch_scc0 .LBB363_2905
; %bb.2873:
	s_cmp_gt_i32 s12, 28
	s_cbranch_scc0 .LBB363_2889
; %bb.2874:
	s_cmp_gt_i32 s12, 43
	;; [unrolled: 3-line block ×3, first 2 shown]
	s_cbranch_scc0 .LBB363_2879
; %bb.2876:
	s_cmp_eq_u32 s12, 46
	s_mov_b64 s[0:1], -1
	s_cbranch_scc0 .LBB363_2878
; %bb.2877:
	v_cndmask_b32_e64 v2, 0, 1.0, s[20:21]
	v_bfe_u32 v3, v2, 16, 1
	s_movk_i32 s0, 0x7fff
	v_add3_u32 v2, v2, v3, s0
	v_lshrrev_b32_e32 v2, 16, v2
	global_store_dword v[0:1], v2, off
	s_mov_b64 s[0:1], 0
.LBB363_2878:
	s_mov_b64 s[4:5], 0
.LBB363_2879:
	s_and_b64 vcc, exec, s[4:5]
	s_cbranch_vccz .LBB363_2884
; %bb.2880:
	s_cmp_eq_u32 s12, 44
	s_mov_b64 s[0:1], -1
	s_cbranch_scc0 .LBB363_2884
; %bb.2881:
	v_cndmask_b32_e64 v3, 0, 1.0, s[20:21]
	v_lshrrev_b32_e32 v2, 23, v3
	s_movk_i32 s0, 0xff
	v_cmp_ne_u32_e32 vcc, s0, v2
	v_mov_b32_e32 v4, 0xff
	s_and_saveexec_b64 s[4:5], vcc
; %bb.2882:
	s_mov_b32 s0, 0x3fffff
	v_and_b32_e32 v4, 0x400000, v3
	v_and_or_b32 v3, v3, s0, v2
	v_cmp_ne_u32_e32 vcc, 0, v4
	v_cmp_ne_u32_e64 s[0:1], 0, v3
	s_and_b64 s[0:1], vcc, s[0:1]
	v_cndmask_b32_e64 v3, 0, 1, s[0:1]
	v_add_u32_e32 v4, v2, v3
; %bb.2883:
	s_or_b64 exec, exec, s[4:5]
	s_mov_b64 s[0:1], 0
	global_store_byte v[0:1], v4, off
.LBB363_2884:
	s_mov_b64 s[4:5], 0
.LBB363_2885:
	s_and_b64 vcc, exec, s[4:5]
	s_cbranch_vccz .LBB363_2888
; %bb.2886:
	s_cmp_eq_u32 s12, 29
	s_mov_b64 s[0:1], -1
	s_cbranch_scc0 .LBB363_2888
; %bb.2887:
	s_mov_b32 s0, 0
	v_cndmask_b32_e64 v2, 0, 1, s[20:21]
	v_mov_b32_e32 v3, s0
	global_store_dwordx2 v[0:1], v[2:3], off
	s_mov_b64 s[0:1], 0
.LBB363_2888:
	s_mov_b64 s[4:5], 0
.LBB363_2889:
	s_and_b64 vcc, exec, s[4:5]
	s_cbranch_vccz .LBB363_2904
; %bb.2890:
	s_cmp_lt_i32 s12, 27
	s_mov_b64 s[4:5], -1
	s_cbranch_scc1 .LBB363_2896
; %bb.2891:
	s_cmp_gt_i32 s12, 27
	v_cndmask_b32_e64 v2, 0, 1, s[20:21]
	s_cbranch_scc0 .LBB363_2893
; %bb.2892:
	global_store_dword v[0:1], v2, off
	s_mov_b64 s[4:5], 0
.LBB363_2893:
	s_andn2_b64 vcc, exec, s[4:5]
	s_cbranch_vccnz .LBB363_2895
; %bb.2894:
	global_store_short v[0:1], v2, off
.LBB363_2895:
	s_mov_b64 s[4:5], 0
.LBB363_2896:
	s_andn2_b64 vcc, exec, s[4:5]
	s_cbranch_vccnz .LBB363_2904
; %bb.2897:
	v_cndmask_b32_e64 v3, 0, 1.0, s[20:21]
	s_mov_b32 s4, 0x43800000
	v_cmp_gt_u32_e32 vcc, s4, v3
	v_mov_b32_e32 v4, 0x80
	s_and_saveexec_b64 s[4:5], vcc
	s_cbranch_execz .LBB363_2903
; %bb.2898:
	s_mov_b32 s8, 0x3bffffff
	v_cmp_lt_u32_e32 vcc, s8, v3
	s_mov_b64 s[8:9], 0
                                        ; implicit-def: $vgpr2
	s_and_saveexec_b64 s[10:11], vcc
	s_xor_b64 s[10:11], exec, s[10:11]
	s_cbranch_execz .LBB363_3009
; %bb.2899:
	v_bfe_u32 v2, v3, 20, 1
	s_mov_b32 s13, 0x487ffff
	v_add3_u32 v2, v3, v2, s13
	s_mov_b64 s[8:9], exec
	v_lshrrev_b32_e32 v2, 20, v2
                                        ; implicit-def: $vgpr3
	s_andn2_saveexec_b64 s[10:11], s[10:11]
	s_cbranch_execnz .LBB363_3010
.LBB363_2900:
	s_or_b64 exec, exec, s[10:11]
	v_mov_b32_e32 v4, 0
	s_and_saveexec_b64 s[10:11], s[8:9]
.LBB363_2901:
	v_mov_b32_e32 v4, v2
.LBB363_2902:
	s_or_b64 exec, exec, s[10:11]
.LBB363_2903:
	s_or_b64 exec, exec, s[4:5]
	global_store_byte v[0:1], v4, off
.LBB363_2904:
	s_mov_b64 s[4:5], 0
.LBB363_2905:
	s_and_b64 vcc, exec, s[4:5]
	s_cbranch_vccz .LBB363_2945
; %bb.2906:
	s_cmp_gt_i32 s12, 22
	s_mov_b64 s[2:3], -1
	s_cbranch_scc0 .LBB363_2938
; %bb.2907:
	s_cmp_lt_i32 s12, 24
	s_cbranch_scc1 .LBB363_2927
; %bb.2908:
	s_cmp_gt_i32 s12, 24
	s_cbranch_scc0 .LBB363_2916
; %bb.2909:
	v_cndmask_b32_e64 v3, 0, 1.0, s[20:21]
	s_mov_b32 s2, 0x47800000
	v_cmp_gt_u32_e32 vcc, s2, v3
	v_mov_b32_e32 v4, 0x80
	s_and_saveexec_b64 s[2:3], vcc
	s_cbranch_execz .LBB363_2915
; %bb.2910:
	s_mov_b32 s4, 0x37ffffff
	v_cmp_lt_u32_e32 vcc, s4, v3
	s_mov_b64 s[4:5], 0
                                        ; implicit-def: $vgpr2
	s_and_saveexec_b64 s[8:9], vcc
	s_xor_b64 s[8:9], exec, s[8:9]
	s_cbranch_execz .LBB363_3012
; %bb.2911:
	v_bfe_u32 v2, v3, 21, 1
	s_mov_b32 s10, 0x88fffff
	v_add3_u32 v2, v3, v2, s10
	s_mov_b64 s[4:5], exec
	v_lshrrev_b32_e32 v2, 21, v2
                                        ; implicit-def: $vgpr3
	s_andn2_saveexec_b64 s[8:9], s[8:9]
	s_cbranch_execnz .LBB363_3013
.LBB363_2912:
	s_or_b64 exec, exec, s[8:9]
	v_mov_b32_e32 v4, 0
	s_and_saveexec_b64 s[8:9], s[4:5]
.LBB363_2913:
	v_mov_b32_e32 v4, v2
.LBB363_2914:
	s_or_b64 exec, exec, s[8:9]
.LBB363_2915:
	s_or_b64 exec, exec, s[2:3]
	s_mov_b64 s[2:3], 0
	global_store_byte v[0:1], v4, off
.LBB363_2916:
	s_and_b64 vcc, exec, s[2:3]
	s_cbranch_vccz .LBB363_2926
; %bb.2917:
	v_cndmask_b32_e64 v2, 0, 1.0, s[20:21]
	s_mov_b32 s2, 0x43f00000
	v_cmp_gt_u32_e32 vcc, s2, v2
                                        ; implicit-def: $vgpr3
	s_and_saveexec_b64 s[2:3], vcc
	s_xor_b64 s[2:3], exec, s[2:3]
	s_cbranch_execz .LBB363_2923
; %bb.2918:
	s_mov_b32 s4, 0x3c7fffff
	v_cmp_lt_u32_e32 vcc, s4, v2
                                        ; implicit-def: $vgpr3
	s_and_saveexec_b64 s[4:5], vcc
	s_xor_b64 s[4:5], exec, s[4:5]
; %bb.2919:
	v_bfe_u32 v3, v2, 20, 1
	s_mov_b32 s8, 0x407ffff
	v_add3_u32 v2, v2, v3, s8
	v_lshrrev_b32_e32 v3, 20, v2
	v_and_b32_e32 v2, 0xff00000, v2
	s_mov_b32 s8, 0x7f00000
	v_mov_b32_e32 v4, 0x7e
	v_cmp_ne_u32_e32 vcc, s8, v2
	v_cndmask_b32_e32 v3, v4, v3, vcc
                                        ; implicit-def: $vgpr2
; %bb.2920:
	s_andn2_saveexec_b64 s[4:5], s[4:5]
; %bb.2921:
	v_add_f32_e32 v3, 0x46800000, v2
; %bb.2922:
	s_or_b64 exec, exec, s[4:5]
                                        ; implicit-def: $vgpr2
.LBB363_2923:
	s_andn2_saveexec_b64 s[2:3], s[2:3]
; %bb.2924:
	s_mov_b32 s4, 0x7f800000
	v_mov_b32_e32 v3, 0x7e
	v_mov_b32_e32 v4, 0x7f
	v_cmp_lt_u32_e32 vcc, s4, v2
	v_cndmask_b32_e32 v3, v3, v4, vcc
; %bb.2925:
	s_or_b64 exec, exec, s[2:3]
	global_store_byte v[0:1], v3, off
.LBB363_2926:
	s_mov_b64 s[2:3], 0
.LBB363_2927:
	s_andn2_b64 vcc, exec, s[2:3]
	s_cbranch_vccnz .LBB363_2937
; %bb.2928:
	v_cndmask_b32_e64 v2, 0, 1.0, s[20:21]
	s_mov_b32 s2, 0x47800000
	v_cmp_gt_u32_e32 vcc, s2, v2
                                        ; implicit-def: $vgpr3
	s_and_saveexec_b64 s[2:3], vcc
	s_xor_b64 s[2:3], exec, s[2:3]
	s_cbranch_execz .LBB363_2934
; %bb.2929:
	s_mov_b32 s4, 0x387fffff
	v_cmp_lt_u32_e32 vcc, s4, v2
                                        ; implicit-def: $vgpr3
	s_and_saveexec_b64 s[4:5], vcc
	s_xor_b64 s[4:5], exec, s[4:5]
; %bb.2930:
	v_bfe_u32 v3, v2, 21, 1
	s_mov_b32 s8, 0x80fffff
	v_add3_u32 v2, v2, v3, s8
	v_lshrrev_b32_e32 v3, 21, v2
                                        ; implicit-def: $vgpr2
; %bb.2931:
	s_andn2_saveexec_b64 s[4:5], s[4:5]
; %bb.2932:
	v_add_f32_e32 v3, 0x43000000, v2
; %bb.2933:
	s_or_b64 exec, exec, s[4:5]
                                        ; implicit-def: $vgpr2
.LBB363_2934:
	s_andn2_saveexec_b64 s[2:3], s[2:3]
; %bb.2935:
	s_mov_b32 s4, 0x7f800000
	v_mov_b32_e32 v3, 0x7c
	v_mov_b32_e32 v4, 0x7f
	v_cmp_lt_u32_e32 vcc, s4, v2
	v_cndmask_b32_e32 v3, v3, v4, vcc
; %bb.2936:
	s_or_b64 exec, exec, s[2:3]
	global_store_byte v[0:1], v3, off
.LBB363_2937:
	s_mov_b64 s[2:3], 0
.LBB363_2938:
	s_andn2_b64 vcc, exec, s[2:3]
	s_mov_b64 s[2:3], 0
	s_cbranch_vccnz .LBB363_2945
; %bb.2939:
	s_cmp_gt_i32 s12, 14
	s_mov_b64 s[4:5], -1
	s_cbranch_scc0 .LBB363_2943
; %bb.2940:
	s_cmp_eq_u32 s12, 15
	s_mov_b64 s[0:1], -1
	s_cbranch_scc0 .LBB363_2942
; %bb.2941:
	v_cndmask_b32_e64 v2, 0, 1.0, s[20:21]
	v_bfe_u32 v3, v2, 16, 1
	s_movk_i32 s0, 0x7fff
	v_add3_u32 v2, v2, v3, s0
	global_store_short_d16_hi v[0:1], v2, off
	s_mov_b64 s[0:1], 0
.LBB363_2942:
	s_mov_b64 s[4:5], 0
.LBB363_2943:
	s_and_b64 vcc, exec, s[4:5]
	s_cbranch_vccz .LBB363_2945
; %bb.2944:
	s_cmp_lg_u32 s12, 11
	s_mov_b64 s[2:3], -1
	s_cselect_b64 s[0:1], -1, 0
.LBB363_2945:
	s_and_b64 vcc, exec, s[0:1]
	s_cbranch_vccnz .LBB363_3011
.LBB363_2946:
	s_mov_b64 s[0:1], 0
	s_branch .LBB363_2948
.LBB363_2947:
	s_mov_b64 s[0:1], 0
	s_mov_b64 s[2:3], 0
                                        ; implicit-def: $sgpr20_sgpr21
                                        ; implicit-def: $sgpr24
                                        ; implicit-def: $vgpr0_vgpr1
.LBB363_2948:
	s_and_b64 s[4:5], s[2:3], exec
	s_andn2_b64 s[2:3], s[16:17], exec
	s_and_b64 s[8:9], s[18:19], exec
	s_and_b64 s[0:1], s[0:1], exec
	s_or_b64 s[16:17], s[2:3], s[8:9]
.LBB363_2949:
	s_or_b64 exec, exec, s[6:7]
	s_and_saveexec_b64 s[2:3], s[16:17]
	s_cbranch_execz .LBB363_2952
; %bb.2950:
	; divergent unreachable
	s_or_b64 exec, exec, s[2:3]
	s_and_saveexec_b64 s[2:3], s[4:5]
	s_xor_b64 s[2:3], exec, s[2:3]
	s_cbranch_execnz .LBB363_2953
.LBB363_2951:
	s_or_b64 exec, exec, s[2:3]
	s_and_saveexec_b64 s[2:3], s[0:1]
	s_cbranch_execnz .LBB363_2954
	s_branch .LBB363_2991
.LBB363_2952:
	s_or_b64 exec, exec, s[2:3]
	s_and_saveexec_b64 s[2:3], s[4:5]
	s_xor_b64 s[2:3], exec, s[2:3]
	s_cbranch_execz .LBB363_2951
.LBB363_2953:
	s_waitcnt vmcnt(0)
	v_cndmask_b32_e64 v2, 0, 1, s[20:21]
	global_store_byte v[0:1], v2, off
	s_or_b64 exec, exec, s[2:3]
	s_and_saveexec_b64 s[2:3], s[0:1]
	s_cbranch_execz .LBB363_2991
.LBB363_2954:
	s_sext_i32_i16 s2, s24
	s_cmp_lt_i32 s2, 5
	s_mov_b64 s[0:1], -1
	s_cbranch_scc1 .LBB363_2975
; %bb.2955:
	s_cmp_lt_i32 s2, 8
	s_cbranch_scc1 .LBB363_2965
; %bb.2956:
	s_cmp_lt_i32 s2, 9
	s_cbranch_scc1 .LBB363_2962
; %bb.2957:
	s_cmp_gt_i32 s2, 9
	s_cbranch_scc0 .LBB363_2959
; %bb.2958:
	s_waitcnt vmcnt(0)
	v_cndmask_b32_e64 v2, 0, 1, s[20:21]
	v_cvt_f64_u32_e32 v[2:3], v2
	v_mov_b32_e32 v4, 0
	v_mov_b32_e32 v5, v4
	s_mov_b64 s[0:1], 0
	global_store_dwordx4 v[0:1], v[2:5], off
.LBB363_2959:
	s_andn2_b64 vcc, exec, s[0:1]
	s_cbranch_vccnz .LBB363_2961
; %bb.2960:
	s_waitcnt vmcnt(0)
	v_cndmask_b32_e64 v2, 0, 1.0, s[20:21]
	v_mov_b32_e32 v3, 0
	global_store_dwordx2 v[0:1], v[2:3], off
.LBB363_2961:
	s_mov_b64 s[0:1], 0
.LBB363_2962:
	s_andn2_b64 vcc, exec, s[0:1]
	s_cbranch_vccnz .LBB363_2964
; %bb.2963:
	s_waitcnt vmcnt(0)
	v_cndmask_b32_e64 v2, 0, 1.0, s[20:21]
	v_cvt_f16_f32_e32 v2, v2
	global_store_dword v[0:1], v2, off
.LBB363_2964:
	s_mov_b64 s[0:1], 0
.LBB363_2965:
	s_andn2_b64 vcc, exec, s[0:1]
	s_cbranch_vccnz .LBB363_2974
; %bb.2966:
	s_sext_i32_i16 s2, s24
	s_cmp_lt_i32 s2, 6
	s_mov_b64 s[0:1], -1
	s_cbranch_scc1 .LBB363_2972
; %bb.2967:
	s_cmp_gt_i32 s2, 6
	s_cbranch_scc0 .LBB363_2969
; %bb.2968:
	s_waitcnt vmcnt(0)
	v_cndmask_b32_e64 v2, 0, 1, s[20:21]
	v_cvt_f64_u32_e32 v[2:3], v2
	s_mov_b64 s[0:1], 0
	global_store_dwordx2 v[0:1], v[2:3], off
.LBB363_2969:
	s_andn2_b64 vcc, exec, s[0:1]
	s_cbranch_vccnz .LBB363_2971
; %bb.2970:
	s_waitcnt vmcnt(0)
	v_cndmask_b32_e64 v2, 0, 1.0, s[20:21]
	global_store_dword v[0:1], v2, off
.LBB363_2971:
	s_mov_b64 s[0:1], 0
.LBB363_2972:
	s_andn2_b64 vcc, exec, s[0:1]
	s_cbranch_vccnz .LBB363_2974
; %bb.2973:
	s_waitcnt vmcnt(0)
	v_cndmask_b32_e64 v2, 0, 1.0, s[20:21]
	v_cvt_f16_f32_e32 v2, v2
	global_store_short v[0:1], v2, off
.LBB363_2974:
	s_mov_b64 s[0:1], 0
.LBB363_2975:
	s_andn2_b64 vcc, exec, s[0:1]
	s_cbranch_vccnz .LBB363_2991
; %bb.2976:
	s_sext_i32_i16 s2, s24
	s_cmp_lt_i32 s2, 2
	s_mov_b64 s[0:1], -1
	s_cbranch_scc1 .LBB363_2986
; %bb.2977:
	s_cmp_lt_i32 s2, 3
	s_cbranch_scc1 .LBB363_2983
; %bb.2978:
	s_cmp_gt_i32 s2, 3
	s_cbranch_scc0 .LBB363_2980
; %bb.2979:
	s_mov_b32 s0, 0
	s_waitcnt vmcnt(0)
	v_cndmask_b32_e64 v2, 0, 1, s[20:21]
	v_mov_b32_e32 v3, s0
	global_store_dwordx2 v[0:1], v[2:3], off
	s_mov_b64 s[0:1], 0
.LBB363_2980:
	s_andn2_b64 vcc, exec, s[0:1]
	s_cbranch_vccnz .LBB363_2982
; %bb.2981:
	s_waitcnt vmcnt(0)
	v_cndmask_b32_e64 v2, 0, 1, s[20:21]
	global_store_dword v[0:1], v2, off
.LBB363_2982:
	s_mov_b64 s[0:1], 0
.LBB363_2983:
	s_andn2_b64 vcc, exec, s[0:1]
	s_cbranch_vccnz .LBB363_2985
; %bb.2984:
	s_waitcnt vmcnt(0)
	v_cndmask_b32_e64 v2, 0, 1, s[20:21]
	global_store_short v[0:1], v2, off
.LBB363_2985:
	s_mov_b64 s[0:1], 0
.LBB363_2986:
	s_andn2_b64 vcc, exec, s[0:1]
	s_cbranch_vccnz .LBB363_2991
; %bb.2987:
	s_sext_i32_i16 s2, s24
	s_mov_b64 s[0:1], -1
	s_cmp_gt_i32 s2, 0
	s_waitcnt vmcnt(0)
	v_cndmask_b32_e64 v2, 0, 1, s[20:21]
	s_cbranch_scc0 .LBB363_2989
; %bb.2988:
	global_store_byte v[0:1], v2, off
	s_mov_b64 s[0:1], 0
.LBB363_2989:
	s_andn2_b64 vcc, exec, s[0:1]
	s_cbranch_vccnz .LBB363_2991
; %bb.2990:
	global_store_byte v[0:1], v2, off
	s_endpgm
.LBB363_2991:
	s_endpgm
.LBB363_2992:
	s_mov_b64 s[2:3], 0
	s_mov_b64 s[0:1], -1
	s_branch .LBB363_2948
.LBB363_2993:
	s_trap 2
	s_or_b64 s[18:19], s[18:19], exec
	s_cbranch_execz .LBB363_2462
	s_branch .LBB363_2463
.LBB363_2994:
	s_andn2_saveexec_b64 s[22:23], s[22:23]
	s_cbranch_execz .LBB363_2542
.LBB363_2995:
	v_add_f32_e32 v2, 0x46000000, v3
	v_and_b32_e32 v2, 0xff, v2
	v_cmp_ne_u32_e32 vcc, 0, v2
	s_andn2_b64 s[20:21], s[20:21], exec
	s_and_b64 s[26:27], vcc, exec
	s_or_b64 s[20:21], s[20:21], s[26:27]
	s_or_b64 exec, exec, s[22:23]
	v_mov_b32_e32 v17, 0
	s_and_saveexec_b64 s[22:23], s[20:21]
	s_cbranch_execnz .LBB363_2543
	s_branch .LBB363_2544
.LBB363_2996:
	s_trap 2
	s_or_b64 s[18:19], s[18:19], exec
	s_cbranch_execz .LBB363_2590
	s_branch .LBB363_2591
.LBB363_2997:
	s_andn2_saveexec_b64 s[20:21], s[20:21]
	s_cbranch_execz .LBB363_2555
.LBB363_2998:
	v_add_f32_e32 v2, 0x42800000, v3
	v_and_b32_e32 v2, 0xff, v2
	v_cmp_ne_u32_e32 vcc, 0, v2
	s_andn2_b64 s[14:15], s[14:15], exec
	s_and_b64 s[22:23], vcc, exec
	s_or_b64 s[14:15], s[14:15], s[22:23]
	s_or_b64 exec, exec, s[20:21]
	v_mov_b32_e32 v17, 0
	s_and_saveexec_b64 s[20:21], s[14:15]
	s_cbranch_execnz .LBB363_2556
	s_branch .LBB363_2557
.LBB363_2999:
	s_andn2_saveexec_b64 s[20:21], s[20:21]
	s_cbranch_execz .LBB363_2661
.LBB363_3000:
	v_add_f32_e32 v3, 0x46000000, v4
	v_and_b32_e32 v3, 0xff, v3
	v_cmp_ne_u32_e32 vcc, 0, v3
	s_andn2_b64 s[14:15], s[14:15], exec
	s_and_b64 s[26:27], vcc, exec
	s_or_b64 s[14:15], s[14:15], s[26:27]
	s_or_b64 exec, exec, s[20:21]
	v_mov_b32_e32 v5, 0
	s_and_saveexec_b64 s[20:21], s[14:15]
	s_cbranch_execnz .LBB363_2662
	s_branch .LBB363_2663
.LBB363_3001:
	s_trap 2
	s_or_b64 s[18:19], s[18:19], exec
	s_cbranch_execz .LBB363_2709
	s_branch .LBB363_2710
.LBB363_3002:
	s_andn2_saveexec_b64 s[14:15], s[14:15]
	s_cbranch_execz .LBB363_2674
.LBB363_3003:
	v_add_f32_e32 v3, 0x42800000, v4
	v_and_b32_e32 v3, 0xff, v3
	v_cmp_ne_u32_e32 vcc, 0, v3
	s_andn2_b64 s[12:13], s[12:13], exec
	s_and_b64 s[20:21], vcc, exec
	s_or_b64 s[12:13], s[12:13], s[20:21]
	s_or_b64 exec, exec, s[14:15]
	v_mov_b32_e32 v5, 0
	s_and_saveexec_b64 s[14:15], s[12:13]
	s_cbranch_execnz .LBB363_2675
	s_branch .LBB363_2676
.LBB363_3004:
	s_andn2_saveexec_b64 s[20:21], s[20:21]
	s_cbranch_execz .LBB363_2780
.LBB363_3005:
	v_add_f32_e32 v3, 0x46000000, v4
	v_and_b32_e32 v3, 0xff, v3
	v_cmp_ne_u32_e32 vcc, 0, v3
	s_andn2_b64 s[14:15], s[14:15], exec
	s_and_b64 s[26:27], vcc, exec
	s_or_b64 s[14:15], s[14:15], s[26:27]
	s_or_b64 exec, exec, s[20:21]
	v_mov_b32_e32 v5, 0
	s_and_saveexec_b64 s[20:21], s[14:15]
	s_cbranch_execnz .LBB363_2781
	s_branch .LBB363_2782
.LBB363_3006:
	s_trap 2
	s_or_b64 s[18:19], s[18:19], exec
	s_cbranch_execz .LBB363_2828
	s_branch .LBB363_2829
.LBB363_3007:
	s_andn2_saveexec_b64 s[14:15], s[14:15]
	s_cbranch_execz .LBB363_2793
.LBB363_3008:
	v_add_f32_e32 v3, 0x42800000, v4
	v_and_b32_e32 v3, 0xff, v3
	v_cmp_ne_u32_e32 vcc, 0, v3
	s_andn2_b64 s[12:13], s[12:13], exec
	s_and_b64 s[20:21], vcc, exec
	s_or_b64 s[12:13], s[12:13], s[20:21]
	s_or_b64 exec, exec, s[14:15]
	v_mov_b32_e32 v5, 0
	s_and_saveexec_b64 s[14:15], s[12:13]
	s_cbranch_execnz .LBB363_2794
	s_branch .LBB363_2795
.LBB363_3009:
	s_andn2_saveexec_b64 s[10:11], s[10:11]
	s_cbranch_execz .LBB363_2900
.LBB363_3010:
	v_add_f32_e32 v2, 0x46000000, v3
	v_and_b32_e32 v2, 0xff, v2
	v_cmp_ne_u32_e32 vcc, 0, v2
	s_andn2_b64 s[8:9], s[8:9], exec
	s_and_b64 s[14:15], vcc, exec
	s_or_b64 s[8:9], s[8:9], s[14:15]
	s_or_b64 exec, exec, s[10:11]
	v_mov_b32_e32 v4, 0
	s_and_saveexec_b64 s[10:11], s[8:9]
	s_cbranch_execnz .LBB363_2901
	s_branch .LBB363_2902
.LBB363_3011:
	s_mov_b64 s[2:3], 0
	s_or_b64 s[18:19], s[18:19], exec
	s_trap 2
	s_branch .LBB363_2946
.LBB363_3012:
	s_andn2_saveexec_b64 s[8:9], s[8:9]
	s_cbranch_execz .LBB363_2912
.LBB363_3013:
	v_add_f32_e32 v2, 0x42800000, v3
	v_and_b32_e32 v2, 0xff, v2
	v_cmp_ne_u32_e32 vcc, 0, v2
	s_andn2_b64 s[4:5], s[4:5], exec
	s_and_b64 s[10:11], vcc, exec
	s_or_b64 s[4:5], s[4:5], s[10:11]
	s_or_b64 exec, exec, s[8:9]
	v_mov_b32_e32 v4, 0
	s_and_saveexec_b64 s[8:9], s[4:5]
	s_cbranch_execnz .LBB363_2913
	s_branch .LBB363_2914
	.section	.rodata,"a",@progbits
	.p2align	6, 0x0
	.amdhsa_kernel _ZN2at6native32elementwise_kernel_manual_unrollILi128ELi4EZNS0_15gpu_kernel_implINS0_13BinaryFunctorImmbNS0_12_GLOBAL__N_116CompareEqFunctorImEEEEEEvRNS_18TensorIteratorBaseERKT_EUlibE_EEviT1_
		.amdhsa_group_segment_fixed_size 0
		.amdhsa_private_segment_fixed_size 0
		.amdhsa_kernarg_size 56
		.amdhsa_user_sgpr_count 6
		.amdhsa_user_sgpr_private_segment_buffer 1
		.amdhsa_user_sgpr_dispatch_ptr 0
		.amdhsa_user_sgpr_queue_ptr 0
		.amdhsa_user_sgpr_kernarg_segment_ptr 1
		.amdhsa_user_sgpr_dispatch_id 0
		.amdhsa_user_sgpr_flat_scratch_init 0
		.amdhsa_user_sgpr_private_segment_size 0
		.amdhsa_uses_dynamic_stack 0
		.amdhsa_system_sgpr_private_segment_wavefront_offset 0
		.amdhsa_system_sgpr_workgroup_id_x 1
		.amdhsa_system_sgpr_workgroup_id_y 0
		.amdhsa_system_sgpr_workgroup_id_z 0
		.amdhsa_system_sgpr_workgroup_info 0
		.amdhsa_system_vgpr_workitem_id 0
		.amdhsa_next_free_vgpr 23
		.amdhsa_next_free_sgpr 59
		.amdhsa_reserve_vcc 1
		.amdhsa_reserve_flat_scratch 0
		.amdhsa_float_round_mode_32 0
		.amdhsa_float_round_mode_16_64 0
		.amdhsa_float_denorm_mode_32 3
		.amdhsa_float_denorm_mode_16_64 3
		.amdhsa_dx10_clamp 1
		.amdhsa_ieee_mode 1
		.amdhsa_fp16_overflow 0
		.amdhsa_exception_fp_ieee_invalid_op 0
		.amdhsa_exception_fp_denorm_src 0
		.amdhsa_exception_fp_ieee_div_zero 0
		.amdhsa_exception_fp_ieee_overflow 0
		.amdhsa_exception_fp_ieee_underflow 0
		.amdhsa_exception_fp_ieee_inexact 0
		.amdhsa_exception_int_div_zero 0
	.end_amdhsa_kernel
	.section	.text._ZN2at6native32elementwise_kernel_manual_unrollILi128ELi4EZNS0_15gpu_kernel_implINS0_13BinaryFunctorImmbNS0_12_GLOBAL__N_116CompareEqFunctorImEEEEEEvRNS_18TensorIteratorBaseERKT_EUlibE_EEviT1_,"axG",@progbits,_ZN2at6native32elementwise_kernel_manual_unrollILi128ELi4EZNS0_15gpu_kernel_implINS0_13BinaryFunctorImmbNS0_12_GLOBAL__N_116CompareEqFunctorImEEEEEEvRNS_18TensorIteratorBaseERKT_EUlibE_EEviT1_,comdat
.Lfunc_end363:
	.size	_ZN2at6native32elementwise_kernel_manual_unrollILi128ELi4EZNS0_15gpu_kernel_implINS0_13BinaryFunctorImmbNS0_12_GLOBAL__N_116CompareEqFunctorImEEEEEEvRNS_18TensorIteratorBaseERKT_EUlibE_EEviT1_, .Lfunc_end363-_ZN2at6native32elementwise_kernel_manual_unrollILi128ELi4EZNS0_15gpu_kernel_implINS0_13BinaryFunctorImmbNS0_12_GLOBAL__N_116CompareEqFunctorImEEEEEEvRNS_18TensorIteratorBaseERKT_EUlibE_EEviT1_
                                        ; -- End function
	.set _ZN2at6native32elementwise_kernel_manual_unrollILi128ELi4EZNS0_15gpu_kernel_implINS0_13BinaryFunctorImmbNS0_12_GLOBAL__N_116CompareEqFunctorImEEEEEEvRNS_18TensorIteratorBaseERKT_EUlibE_EEviT1_.num_vgpr, 23
	.set _ZN2at6native32elementwise_kernel_manual_unrollILi128ELi4EZNS0_15gpu_kernel_implINS0_13BinaryFunctorImmbNS0_12_GLOBAL__N_116CompareEqFunctorImEEEEEEvRNS_18TensorIteratorBaseERKT_EUlibE_EEviT1_.num_agpr, 0
	.set _ZN2at6native32elementwise_kernel_manual_unrollILi128ELi4EZNS0_15gpu_kernel_implINS0_13BinaryFunctorImmbNS0_12_GLOBAL__N_116CompareEqFunctorImEEEEEEvRNS_18TensorIteratorBaseERKT_EUlibE_EEviT1_.numbered_sgpr, 59
	.set _ZN2at6native32elementwise_kernel_manual_unrollILi128ELi4EZNS0_15gpu_kernel_implINS0_13BinaryFunctorImmbNS0_12_GLOBAL__N_116CompareEqFunctorImEEEEEEvRNS_18TensorIteratorBaseERKT_EUlibE_EEviT1_.num_named_barrier, 0
	.set _ZN2at6native32elementwise_kernel_manual_unrollILi128ELi4EZNS0_15gpu_kernel_implINS0_13BinaryFunctorImmbNS0_12_GLOBAL__N_116CompareEqFunctorImEEEEEEvRNS_18TensorIteratorBaseERKT_EUlibE_EEviT1_.private_seg_size, 0
	.set _ZN2at6native32elementwise_kernel_manual_unrollILi128ELi4EZNS0_15gpu_kernel_implINS0_13BinaryFunctorImmbNS0_12_GLOBAL__N_116CompareEqFunctorImEEEEEEvRNS_18TensorIteratorBaseERKT_EUlibE_EEviT1_.uses_vcc, 1
	.set _ZN2at6native32elementwise_kernel_manual_unrollILi128ELi4EZNS0_15gpu_kernel_implINS0_13BinaryFunctorImmbNS0_12_GLOBAL__N_116CompareEqFunctorImEEEEEEvRNS_18TensorIteratorBaseERKT_EUlibE_EEviT1_.uses_flat_scratch, 0
	.set _ZN2at6native32elementwise_kernel_manual_unrollILi128ELi4EZNS0_15gpu_kernel_implINS0_13BinaryFunctorImmbNS0_12_GLOBAL__N_116CompareEqFunctorImEEEEEEvRNS_18TensorIteratorBaseERKT_EUlibE_EEviT1_.has_dyn_sized_stack, 0
	.set _ZN2at6native32elementwise_kernel_manual_unrollILi128ELi4EZNS0_15gpu_kernel_implINS0_13BinaryFunctorImmbNS0_12_GLOBAL__N_116CompareEqFunctorImEEEEEEvRNS_18TensorIteratorBaseERKT_EUlibE_EEviT1_.has_recursion, 0
	.set _ZN2at6native32elementwise_kernel_manual_unrollILi128ELi4EZNS0_15gpu_kernel_implINS0_13BinaryFunctorImmbNS0_12_GLOBAL__N_116CompareEqFunctorImEEEEEEvRNS_18TensorIteratorBaseERKT_EUlibE_EEviT1_.has_indirect_call, 0
	.section	.AMDGPU.csdata,"",@progbits
; Kernel info:
; codeLenInByte = 49928
; TotalNumSgprs: 63
; NumVgprs: 23
; ScratchSize: 0
; MemoryBound: 1
; FloatMode: 240
; IeeeMode: 1
; LDSByteSize: 0 bytes/workgroup (compile time only)
; SGPRBlocks: 7
; VGPRBlocks: 5
; NumSGPRsForWavesPerEU: 63
; NumVGPRsForWavesPerEU: 23
; Occupancy: 10
; WaveLimiterHint : 0
; COMPUTE_PGM_RSRC2:SCRATCH_EN: 0
; COMPUTE_PGM_RSRC2:USER_SGPR: 6
; COMPUTE_PGM_RSRC2:TRAP_HANDLER: 0
; COMPUTE_PGM_RSRC2:TGID_X_EN: 1
; COMPUTE_PGM_RSRC2:TGID_Y_EN: 0
; COMPUTE_PGM_RSRC2:TGID_Z_EN: 0
; COMPUTE_PGM_RSRC2:TIDIG_COMP_CNT: 0
	.section	.text._ZN2at6native32elementwise_kernel_manual_unrollILi128ELi4EZNS0_15gpu_kernel_implINS0_13BinaryFunctorImmbNS0_12_GLOBAL__N_116CompareEqFunctorImEEEEEEvRNS_18TensorIteratorBaseERKT_EUlibE0_EEviT1_,"axG",@progbits,_ZN2at6native32elementwise_kernel_manual_unrollILi128ELi4EZNS0_15gpu_kernel_implINS0_13BinaryFunctorImmbNS0_12_GLOBAL__N_116CompareEqFunctorImEEEEEEvRNS_18TensorIteratorBaseERKT_EUlibE0_EEviT1_,comdat
	.globl	_ZN2at6native32elementwise_kernel_manual_unrollILi128ELi4EZNS0_15gpu_kernel_implINS0_13BinaryFunctorImmbNS0_12_GLOBAL__N_116CompareEqFunctorImEEEEEEvRNS_18TensorIteratorBaseERKT_EUlibE0_EEviT1_ ; -- Begin function _ZN2at6native32elementwise_kernel_manual_unrollILi128ELi4EZNS0_15gpu_kernel_implINS0_13BinaryFunctorImmbNS0_12_GLOBAL__N_116CompareEqFunctorImEEEEEEvRNS_18TensorIteratorBaseERKT_EUlibE0_EEviT1_
	.p2align	8
	.type	_ZN2at6native32elementwise_kernel_manual_unrollILi128ELi4EZNS0_15gpu_kernel_implINS0_13BinaryFunctorImmbNS0_12_GLOBAL__N_116CompareEqFunctorImEEEEEEvRNS_18TensorIteratorBaseERKT_EUlibE0_EEviT1_,@function
_ZN2at6native32elementwise_kernel_manual_unrollILi128ELi4EZNS0_15gpu_kernel_implINS0_13BinaryFunctorImmbNS0_12_GLOBAL__N_116CompareEqFunctorImEEEEEEvRNS_18TensorIteratorBaseERKT_EUlibE0_EEviT1_: ; @_ZN2at6native32elementwise_kernel_manual_unrollILi128ELi4EZNS0_15gpu_kernel_implINS0_13BinaryFunctorImmbNS0_12_GLOBAL__N_116CompareEqFunctorImEEEEEEvRNS_18TensorIteratorBaseERKT_EUlibE0_EEviT1_
; %bb.0:
	s_load_dword s70, s[4:5], 0x0
	s_load_dword s33, s[4:5], 0x8
	s_add_u32 s2, s4, 8
	s_addc_u32 s3, s5, 0
	v_lshl_or_b32 v10, s6, 9, v0
	v_or_b32_e32 v21, 0x180, v10
	s_waitcnt lgkmcnt(0)
	s_add_i32 s72, s33, -1
	s_cmp_gt_u32 s72, 1
	v_cmp_le_i32_e32 vcc, s70, v21
	s_cselect_b64 s[24:25], -1, 0
	s_mov_b64 s[6:7], 0
	s_mov_b64 s[12:13], 0
	s_and_saveexec_b64 s[0:1], vcc
	s_xor_b64 s[26:27], exec, s[0:1]
	s_cbranch_execz .LBB364_1557
; %bb.1:
	s_cmp_lg_u32 s33, 0
	s_load_dwordx4 s[16:19], s[2:3], 0x4
	s_load_dwordx2 s[34:35], s[2:3], 0x14
	s_load_dwordx8 s[8:15], s[2:3], 0x188
	s_load_dwordx4 s[20:23], s[2:3], 0xc4
	s_load_dwordx2 s[30:31], s[2:3], 0xd4
	s_cselect_b64 s[38:39], -1, 0
	s_min_u32 s75, s72, 15
	s_cmp_gt_u32 s33, 1
	s_cselect_b64 s[36:37], -1, 0
	s_waitcnt lgkmcnt(0)
	s_lshr_b32 s74, s15, 8
	s_lshr_b32 s73, s15, 16
	s_cmp_eq_u32 s14, 0
	s_cselect_b64 s[28:29], -1, 0
	v_cmp_gt_i32_e32 vcc, s70, v10
	s_mov_b64 s[0:1], -1
	s_mov_b64 s[50:51], 0
	s_mov_b64 s[44:45], 0
	;; [unrolled: 1-line block ×4, first 2 shown]
	s_and_saveexec_b64 s[46:47], vcc
	s_cbranch_execz .LBB364_386
; %bb.2:
	s_andn2_b64 vcc, exec, s[24:25]
	s_cbranch_vccnz .LBB364_8
; %bb.3:
	s_andn2_b64 vcc, exec, s[38:39]
	s_cbranch_vccnz .LBB364_9
; %bb.4:
	s_add_i32 s0, s75, 1
	s_and_b32 s14, s0, 30
	s_add_u32 s0, s2, 0xffffffe8
	s_addc_u32 s1, s3, -1
	v_mov_b32_e32 v3, 0
	v_mov_b32_e32 v5, 0
	;; [unrolled: 1-line block ×4, first 2 shown]
.LBB364_5:                              ; =>This Inner Loop Header: Depth=1
	s_load_dwordx4 s[40:43], s[0:1], 0x1c
	s_load_dwordx2 s[44:45], s[0:1], 0x2c
	s_load_dwordx2 s[48:49], s[0:1], 0xec
	s_load_dwordx4 s[52:55], s[0:1], 0xdc
	s_add_u32 s0, s0, 24
	s_waitcnt lgkmcnt(0)
	v_mul_hi_u32 v2, s41, v1
	s_addc_u32 s1, s1, 0
	s_add_i32 s14, s14, -2
	s_cmp_lg_u32 s14, 0
	v_add_u32_e32 v2, v1, v2
	v_lshrrev_b32_e32 v2, s42, v2
	v_mul_lo_u32 v4, v2, s40
	v_mul_hi_u32 v6, s44, v2
	v_sub_u32_e32 v4, v1, v4
	v_add_u32_e32 v1, v2, v6
	v_lshrrev_b32_e32 v1, s45, v1
	v_mul_lo_u32 v8, v1, s43
	v_mul_lo_u32 v6, v4, s52
	;; [unrolled: 1-line block ×4, first 2 shown]
	v_sub_u32_e32 v2, v2, v8
	v_mul_lo_u32 v8, v2, s55
	v_mul_lo_u32 v9, v2, s48
	;; [unrolled: 1-line block ×3, first 2 shown]
	v_add3_u32 v0, v6, v0, v8
	v_add3_u32 v5, v7, v5, v9
	;; [unrolled: 1-line block ×3, first 2 shown]
	s_cbranch_scc1 .LBB364_5
; %bb.6:
	s_bitcmp1_b32 s75, 0
	s_cselect_b64 s[40:41], -1, 0
	s_and_b64 vcc, exec, s[40:41]
	s_cbranch_vccnz .LBB364_10
; %bb.7:
	s_load_dwordx2 s[40:41], s[0:1], 0x1c
	s_load_dword s14, s[0:1], 0x24
	s_load_dwordx2 s[42:43], s[0:1], 0xdc
	s_waitcnt lgkmcnt(0)
	v_mul_hi_u32 v2, s41, v1
	v_add_u32_e32 v2, v1, v2
	v_lshrrev_b32_e32 v2, s14, v2
	v_mul_lo_u32 v2, v2, s40
	s_load_dword s14, s[0:1], 0xe4
	v_sub_u32_e32 v2, v1, v2
	v_mad_u64_u32 v[0:1], s[0:1], v2, s42, v[0:1]
	v_mad_u64_u32 v[5:6], s[0:1], v2, s43, v[5:6]
	s_waitcnt lgkmcnt(0)
	v_mad_u64_u32 v[3:4], s[0:1], v2, s14, v[3:4]
	s_cbranch_execz .LBB364_11
	s_branch .LBB364_13
.LBB364_8:
                                        ; implicit-def: $vgpr0
                                        ; implicit-def: $vgpr5
                                        ; implicit-def: $vgpr3
	s_andn2_b64 vcc, exec, s[0:1]
	s_cbranch_vccz .LBB364_11
	s_branch .LBB364_13
.LBB364_9:
	v_mov_b32_e32 v0, 0
	v_mov_b32_e32 v5, 0
	;; [unrolled: 1-line block ×3, first 2 shown]
.LBB364_10:
	s_cbranch_execnz .LBB364_13
.LBB364_11:
	v_mul_hi_u32 v0, s17, v10
	s_andn2_b64 vcc, exec, s[36:37]
	v_add_u32_e32 v0, v10, v0
	v_lshrrev_b32_e32 v1, s18, v0
	v_mul_lo_u32 v0, v1, s16
	v_sub_u32_e32 v2, v10, v0
	v_mul_lo_u32 v0, v2, s20
	v_mul_lo_u32 v5, v2, s21
	;; [unrolled: 1-line block ×3, first 2 shown]
	s_cbranch_vccnz .LBB364_13
; %bb.12:
	v_mul_hi_u32 v2, s34, v1
	v_add_u32_e32 v2, v1, v2
	v_lshrrev_b32_e32 v2, s35, v2
	v_mul_lo_u32 v2, v2, s19
	v_sub_u32_e32 v2, v1, v2
	v_mad_u64_u32 v[0:1], s[0:1], v2, s23, v[0:1]
	v_mad_u64_u32 v[5:6], s[0:1], v2, s30, v[5:6]
	;; [unrolled: 1-line block ×3, first 2 shown]
.LBB364_13:
	v_mov_b32_e32 v1, s11
	s_and_b32 s14, s74, 0xff
	v_add_co_u32_e32 v4, vcc, s10, v5
	s_cmp_lt_i32 s14, 11
	v_addc_co_u32_e32 v5, vcc, 0, v1, vcc
	s_cbranch_scc1 .LBB364_20
; %bb.14:
	s_and_b32 s42, 0xffff, s14
	s_cmp_gt_i32 s42, 25
	s_cbranch_scc0 .LBB364_29
; %bb.15:
	s_cmp_gt_i32 s42, 28
	s_cbranch_scc0 .LBB364_39
; %bb.16:
	s_cmp_gt_i32 s42, 43
	s_cbranch_scc0 .LBB364_42
; %bb.17:
	s_cmp_gt_i32 s42, 45
	s_cbranch_scc0 .LBB364_45
; %bb.18:
	s_cmp_eq_u32 s42, 46
	s_mov_b64 s[40:41], 0
	s_cbranch_scc0 .LBB364_48
; %bb.19:
	global_load_dword v1, v[4:5], off
	s_mov_b64 s[0:1], -1
	s_mov_b64 s[44:45], 0
	s_waitcnt vmcnt(0)
	v_lshlrev_b32_e32 v1, 16, v1
	v_trunc_f32_e32 v1, v1
	v_mul_f32_e32 v2, 0x2f800000, v1
	v_floor_f32_e32 v2, v2
	v_fmac_f32_e32 v1, 0xcf800000, v2
	v_cvt_u32_f32_e32 v1, v1
	v_cvt_u32_f32_e32 v2, v2
	s_branch .LBB364_50
.LBB364_20:
	s_mov_b64 s[44:45], 0
                                        ; implicit-def: $vgpr1_vgpr2
	s_mov_b64 s[0:1], 0
	s_cbranch_execnz .LBB364_112
.LBB364_21:
	s_andn2_b64 vcc, exec, s[0:1]
	s_cbranch_vccnz .LBB364_159
.LBB364_22:
	v_mov_b32_e32 v4, s13
	s_and_b32 s14, s73, 0xff
	v_add_co_u32_e32 v3, vcc, s12, v3
	s_cmp_lt_i32 s14, 11
	v_addc_co_u32_e32 v4, vcc, 0, v4, vcc
	s_cbranch_scc1 .LBB364_30
; %bb.23:
	s_and_b32 s48, 0xffff, s14
	s_cmp_gt_i32 s48, 25
	s_cbranch_scc0 .LBB364_40
; %bb.24:
	s_cmp_gt_i32 s48, 28
	s_cbranch_scc0 .LBB364_43
; %bb.25:
	;; [unrolled: 3-line block ×4, first 2 shown]
	s_cmp_eq_u32 s48, 46
	s_mov_b64 s[40:41], 0
	s_cbranch_scc0 .LBB364_160
; %bb.28:
	global_load_dword v5, v[3:4], off
	s_mov_b64 s[0:1], -1
	s_mov_b64 s[42:43], 0
	s_waitcnt vmcnt(0)
	v_lshlrev_b32_e32 v5, 16, v5
	v_trunc_f32_e32 v5, v5
	v_mul_f32_e32 v6, 0x2f800000, v5
	v_floor_f32_e32 v6, v6
	v_fmac_f32_e32 v5, 0xcf800000, v6
	v_cvt_u32_f32_e32 v5, v5
	v_cvt_u32_f32_e32 v6, v6
	s_branch .LBB364_162
.LBB364_29:
	s_mov_b64 s[44:45], 0
	s_mov_b64 s[0:1], 0
                                        ; implicit-def: $vgpr1_vgpr2
	s_cbranch_execnz .LBB364_81
	s_branch .LBB364_111
.LBB364_30:
	s_mov_b64 s[42:43], 0
                                        ; implicit-def: $vgpr5_vgpr6
	s_mov_b64 s[0:1], 0
	s_cbranch_execnz .LBB364_335
.LBB364_31:
	s_andn2_b64 vcc, exec, s[0:1]
	s_cbranch_vccnz .LBB364_383
.LBB364_32:
	s_waitcnt vmcnt(0)
	v_cmp_ne_u64_e32 vcc, v[1:2], v[5:6]
	v_mov_b32_e32 v1, s9
	s_xor_b64 s[40:41], s[28:29], vcc
	s_and_b32 s14, s15, 0xff
	v_add_co_u32_e32 v0, vcc, s8, v0
	s_cmp_lt_i32 s14, 11
	v_addc_co_u32_e32 v1, vcc, 0, v1, vcc
	s_cbranch_scc1 .LBB364_41
; %bb.33:
	s_and_b32 s56, 0xffff, s14
	s_cmp_gt_i32 s56, 25
	s_cbranch_scc0 .LBB364_44
; %bb.34:
	s_cmp_gt_i32 s56, 28
	s_cbranch_scc0 .LBB364_47
; %bb.35:
	;; [unrolled: 3-line block ×4, first 2 shown]
	s_mov_b64 s[52:53], 0
	s_mov_b64 s[0:1], -1
	s_cmp_eq_u32 s56, 46
	s_mov_b64 s[48:49], 0
	s_cbranch_scc0 .LBB364_166
; %bb.38:
	v_cndmask_b32_e64 v2, 0, 1.0, s[40:41]
	v_bfe_u32 v3, v2, 16, 1
	s_movk_i32 s0, 0x7fff
	v_add3_u32 v2, v2, v3, s0
	v_lshrrev_b32_e32 v2, 16, v2
	global_store_dword v[0:1], v2, off
	s_mov_b64 s[48:49], -1
	s_mov_b64 s[0:1], 0
	s_branch .LBB364_166
.LBB364_39:
	s_mov_b64 s[40:41], -1
	s_mov_b64 s[44:45], 0
	s_mov_b64 s[0:1], 0
                                        ; implicit-def: $vgpr1_vgpr2
	s_branch .LBB364_62
.LBB364_40:
	s_mov_b64 s[40:41], -1
	s_mov_b64 s[42:43], 0
	s_mov_b64 s[0:1], 0
                                        ; implicit-def: $vgpr5_vgpr6
	s_branch .LBB364_303
.LBB364_41:
	s_mov_b64 s[52:53], -1
	s_mov_b64 s[0:1], 0
	s_mov_b64 s[48:49], 0
	s_branch .LBB364_235
.LBB364_42:
	s_mov_b64 s[40:41], -1
	s_mov_b64 s[44:45], 0
	s_mov_b64 s[0:1], 0
                                        ; implicit-def: $vgpr1_vgpr2
	s_branch .LBB364_57
.LBB364_43:
	s_mov_b64 s[40:41], -1
	s_mov_b64 s[42:43], 0
	s_mov_b64 s[0:1], 0
                                        ; implicit-def: $vgpr5_vgpr6
	s_branch .LBB364_284
.LBB364_44:
	s_mov_b64 s[52:53], -1
	s_mov_b64 s[0:1], 0
	s_mov_b64 s[48:49], 0
	s_branch .LBB364_193
.LBB364_45:
	s_mov_b64 s[40:41], -1
	s_mov_b64 s[44:45], 0
	s_branch .LBB364_49
.LBB364_46:
	s_mov_b64 s[40:41], -1
	s_mov_b64 s[42:43], 0
	s_mov_b64 s[0:1], 0
                                        ; implicit-def: $vgpr5_vgpr6
	s_branch .LBB364_279
.LBB364_47:
	s_mov_b64 s[52:53], -1
	s_mov_b64 s[0:1], 0
	s_mov_b64 s[48:49], 0
	s_branch .LBB364_176
.LBB364_48:
	s_mov_b64 s[44:45], -1
.LBB364_49:
	s_mov_b64 s[0:1], 0
                                        ; implicit-def: $vgpr1_vgpr2
.LBB364_50:
	s_and_b64 vcc, exec, s[40:41]
	s_cbranch_vccz .LBB364_56
; %bb.51:
	s_cmp_eq_u32 s42, 44
	s_cbranch_scc0 .LBB364_55
; %bb.52:
	global_load_ubyte v1, v[4:5], off
	s_mov_b64 s[0:1], -1
	s_mov_b64 s[44:45], 0
	s_waitcnt vmcnt(0)
	v_lshlrev_b32_e32 v2, 23, v1
	v_trunc_f32_e32 v2, v2
	v_mul_f32_e32 v6, 0x2f800000, v2
	v_floor_f32_e32 v6, v6
	v_fmac_f32_e32 v2, 0xcf800000, v6
	v_cvt_u32_f32_e32 v6, v6
	v_cvt_u32_f32_e32 v7, v2
	v_cmp_ne_u32_e32 vcc, 0, v1
	v_cndmask_b32_e32 v2, 0, v6, vcc
	v_cndmask_b32_e32 v1, 0, v7, vcc
	s_branch .LBB364_56
.LBB364_53:
	s_mov_b64 s[40:41], -1
	s_mov_b64 s[42:43], 0
	s_branch .LBB364_161
.LBB364_54:
	s_mov_b64 s[52:53], -1
	s_mov_b64 s[0:1], 0
	s_mov_b64 s[48:49], 0
	s_branch .LBB364_172
.LBB364_55:
	s_mov_b64 s[44:45], -1
                                        ; implicit-def: $vgpr1_vgpr2
.LBB364_56:
	s_mov_b64 s[40:41], 0
.LBB364_57:
	s_and_b64 vcc, exec, s[40:41]
	s_cbranch_vccz .LBB364_61
; %bb.58:
	s_cmp_eq_u32 s42, 29
	s_cbranch_scc0 .LBB364_60
; %bb.59:
	global_load_dwordx2 v[1:2], v[4:5], off
	s_mov_b64 s[0:1], -1
	s_mov_b64 s[44:45], 0
	s_branch .LBB364_61
.LBB364_60:
	s_mov_b64 s[44:45], -1
                                        ; implicit-def: $vgpr1_vgpr2
.LBB364_61:
	s_mov_b64 s[40:41], 0
.LBB364_62:
	s_and_b64 vcc, exec, s[40:41]
	s_cbranch_vccz .LBB364_80
; %bb.63:
	s_cmp_lt_i32 s42, 27
	s_cbranch_scc1 .LBB364_66
; %bb.64:
	s_cmp_gt_i32 s42, 27
	s_cbranch_scc0 .LBB364_67
; %bb.65:
	global_load_dword v1, v[4:5], off
	s_waitcnt vmcnt(1)
	v_mov_b32_e32 v2, 0
	s_mov_b64 s[0:1], 0
	s_branch .LBB364_68
.LBB364_66:
	s_mov_b64 s[0:1], -1
                                        ; implicit-def: $vgpr1_vgpr2
	s_branch .LBB364_71
.LBB364_67:
	s_mov_b64 s[0:1], -1
                                        ; implicit-def: $vgpr1_vgpr2
.LBB364_68:
	s_andn2_b64 vcc, exec, s[0:1]
	s_cbranch_vccnz .LBB364_70
; %bb.69:
	global_load_ushort v1, v[4:5], off
	s_mov_b32 s0, 0
	s_waitcnt vmcnt(1)
	v_mov_b32_e32 v2, s0
	s_waitcnt vmcnt(0)
	v_and_b32_e32 v1, 0xffff, v1
.LBB364_70:
	s_mov_b64 s[0:1], 0
.LBB364_71:
	s_andn2_b64 vcc, exec, s[0:1]
	s_cbranch_vccnz .LBB364_79
; %bb.72:
	global_load_ubyte v6, v[4:5], off
	s_movk_i32 s0, 0x7f
	s_mov_b64 s[40:41], 0
	s_waitcnt vmcnt(0)
	v_cmp_lt_i16_e32 vcc, s0, v6
	s_and_saveexec_b64 s[0:1], vcc
	s_xor_b64 s[0:1], exec, s[0:1]
; %bb.73:
	s_movk_i32 s40, 0x80
	v_cmp_ne_u16_e32 vcc, s40, v6
	s_and_b64 s[40:41], vcc, exec
; %bb.74:
	s_andn2_saveexec_b64 s[0:1], s[0:1]
; %bb.75:
	v_cmp_ne_u16_e32 vcc, 0, v6
	s_andn2_b64 s[40:41], s[40:41], exec
	s_and_b64 s[48:49], vcc, exec
	s_or_b64 s[40:41], s[40:41], s[48:49]
; %bb.76:
	s_or_b64 exec, exec, s[0:1]
	v_mov_b32_e32 v1, 0
	v_mov_b32_e32 v2, 0
	s_and_saveexec_b64 s[0:1], s[40:41]
	s_cbranch_execz .LBB364_78
; %bb.77:
	v_and_b32_e32 v2, 0xffff, v6
	v_lshlrev_b32_e32 v1, 24, v6
	v_and_b32_e32 v6, 7, v2
	v_ffbh_u32_e32 v8, v6
	v_min_u32_e32 v8, 32, v8
	v_subrev_u32_e32 v9, 28, v8
	v_bfe_u32 v7, v2, 3, 4
	v_lshlrev_b32_e32 v2, v9, v2
	v_sub_u32_e32 v8, 29, v8
	v_and_b32_e32 v2, 7, v2
	v_cmp_eq_u32_e32 vcc, 0, v7
	v_cndmask_b32_e32 v7, v7, v8, vcc
	v_cndmask_b32_e32 v2, v6, v2, vcc
	v_mov_b32_e32 v6, 0x3b800000
	v_lshlrev_b32_e32 v2, 20, v2
	v_and_b32_e32 v1, 0x80000000, v1
	v_lshl_add_u32 v6, v7, 23, v6
	v_or3_b32 v1, v1, v6, v2
	v_trunc_f32_e32 v1, v1
	v_mul_f32_e32 v2, 0x2f800000, v1
	v_floor_f32_e32 v2, v2
	v_fmac_f32_e32 v1, 0xcf800000, v2
	v_cvt_u32_f32_e32 v1, v1
	v_cvt_u32_f32_e32 v2, v2
.LBB364_78:
	s_or_b64 exec, exec, s[0:1]
.LBB364_79:
	s_mov_b64 s[0:1], -1
.LBB364_80:
	s_branch .LBB364_111
.LBB364_81:
	s_cmp_gt_i32 s42, 22
	s_cbranch_scc0 .LBB364_91
; %bb.82:
	s_cmp_lt_i32 s42, 24
	s_cbranch_scc1 .LBB364_92
; %bb.83:
	s_cmp_gt_i32 s42, 24
	s_cbranch_scc0 .LBB364_93
; %bb.84:
	global_load_ubyte v6, v[4:5], off
	s_movk_i32 s0, 0x7f
	s_mov_b64 s[40:41], 0
	s_waitcnt vmcnt(0)
	v_cmp_lt_i16_e32 vcc, s0, v6
	s_and_saveexec_b64 s[0:1], vcc
	s_xor_b64 s[0:1], exec, s[0:1]
; %bb.85:
	s_movk_i32 s40, 0x80
	v_cmp_ne_u16_e32 vcc, s40, v6
	s_and_b64 s[40:41], vcc, exec
; %bb.86:
	s_andn2_saveexec_b64 s[0:1], s[0:1]
; %bb.87:
	v_cmp_ne_u16_e32 vcc, 0, v6
	s_andn2_b64 s[40:41], s[40:41], exec
	s_and_b64 s[48:49], vcc, exec
	s_or_b64 s[40:41], s[40:41], s[48:49]
; %bb.88:
	s_or_b64 exec, exec, s[0:1]
	v_mov_b32_e32 v1, 0
	v_mov_b32_e32 v2, 0
	s_and_saveexec_b64 s[0:1], s[40:41]
	s_cbranch_execz .LBB364_90
; %bb.89:
	v_and_b32_e32 v2, 0xffff, v6
	v_lshlrev_b32_e32 v1, 24, v6
	v_and_b32_e32 v6, 3, v2
	v_ffbh_u32_e32 v8, v6
	v_min_u32_e32 v8, 32, v8
	v_subrev_u32_e32 v9, 29, v8
	v_bfe_u32 v7, v2, 2, 5
	v_lshlrev_b32_e32 v2, v9, v2
	v_sub_u32_e32 v8, 30, v8
	v_and_b32_e32 v2, 3, v2
	v_cmp_eq_u32_e32 vcc, 0, v7
	v_cndmask_b32_e32 v7, v7, v8, vcc
	v_cndmask_b32_e32 v2, v6, v2, vcc
	v_mov_b32_e32 v6, 0x37800000
	v_lshlrev_b32_e32 v2, 21, v2
	v_and_b32_e32 v1, 0x80000000, v1
	v_lshl_add_u32 v6, v7, 23, v6
	v_or3_b32 v1, v1, v6, v2
	v_trunc_f32_e32 v1, v1
	v_mul_f32_e32 v2, 0x2f800000, v1
	v_floor_f32_e32 v2, v2
	v_fmac_f32_e32 v1, 0xcf800000, v2
	v_cvt_u32_f32_e32 v1, v1
	v_cvt_u32_f32_e32 v2, v2
.LBB364_90:
	s_or_b64 exec, exec, s[0:1]
	s_mov_b64 s[0:1], 0
	s_branch .LBB364_94
.LBB364_91:
	s_mov_b64 s[40:41], -1
                                        ; implicit-def: $vgpr1_vgpr2
	s_branch .LBB364_100
.LBB364_92:
	s_mov_b64 s[0:1], -1
                                        ; implicit-def: $vgpr1_vgpr2
	s_branch .LBB364_97
.LBB364_93:
	s_mov_b64 s[0:1], -1
                                        ; implicit-def: $vgpr1_vgpr2
.LBB364_94:
	s_and_b64 vcc, exec, s[0:1]
	s_cbranch_vccz .LBB364_96
; %bb.95:
	global_load_ubyte v1, v[4:5], off
	s_mov_b32 s0, 0x7f800000
	s_brev_b32 s1, 1
	s_waitcnt vmcnt(0)
	v_lshlrev_b32_e32 v1, 24, v1
	v_and_b32_e32 v2, 0x7f000000, v1
	v_ffbh_u32_e32 v6, v2
	v_min_u32_e32 v6, 32, v6
	v_sub_u32_e64 v6, v6, 4 clamp
	v_lshlrev_b32_e32 v8, v6, v2
	v_lshlrev_b32_e32 v6, 23, v6
	v_lshrrev_b32_e32 v8, 4, v8
	v_add_u32_e32 v7, 0x1000000, v2
	v_sub_u32_e32 v6, v8, v6
	v_ashrrev_i32_e32 v7, 8, v7
	v_add_u32_e32 v6, 0x3c000000, v6
	v_and_or_b32 v6, v7, s0, v6
	v_cmp_ne_u32_e32 vcc, 0, v2
	v_cndmask_b32_e32 v2, 0, v6, vcc
	v_and_or_b32 v1, v1, s1, v2
	v_trunc_f32_e32 v1, v1
	v_mul_f32_e32 v2, 0x2f800000, v1
	v_floor_f32_e32 v2, v2
	v_fmac_f32_e32 v1, 0xcf800000, v2
	v_cvt_u32_f32_e32 v1, v1
	v_cvt_u32_f32_e32 v2, v2
.LBB364_96:
	s_mov_b64 s[0:1], 0
.LBB364_97:
	s_andn2_b64 vcc, exec, s[0:1]
	s_cbranch_vccnz .LBB364_99
; %bb.98:
	global_load_ubyte v1, v[4:5], off
	s_movk_i32 s0, 0x7f00
	s_brev_b32 s1, 16
	s_brev_b32 s40, 1
	s_waitcnt vmcnt(0)
	v_lshlrev_b16_e32 v2, 8, v1
	v_lshlrev_b32_e32 v1, 25, v1
	v_lshrrev_b32_e32 v6, 4, v1
	v_and_or_b32 v7, v2, s0, 0.5
	v_or_b32_e32 v6, 0x70000000, v6
	v_add_f32_e32 v7, -0.5, v7
	v_mul_f32_e32 v6, 0x7800000, v6
	v_cmp_gt_u32_e32 vcc, s1, v1
	v_bfe_i32 v2, v2, 0, 16
	v_cndmask_b32_e32 v1, v6, v7, vcc
	v_and_or_b32 v1, v2, s40, v1
	v_trunc_f32_e32 v1, v1
	v_mul_f32_e32 v2, 0x2f800000, v1
	v_floor_f32_e32 v2, v2
	v_fmac_f32_e32 v1, 0xcf800000, v2
	v_cvt_u32_f32_e32 v1, v1
	v_cvt_u32_f32_e32 v2, v2
.LBB364_99:
	s_mov_b64 s[40:41], 0
	s_mov_b64 s[0:1], -1
.LBB364_100:
	s_andn2_b64 vcc, exec, s[40:41]
	s_cbranch_vccnz .LBB364_111
; %bb.101:
	s_cmp_gt_i32 s42, 14
	s_cbranch_scc0 .LBB364_104
; %bb.102:
	s_cmp_eq_u32 s42, 15
	s_cbranch_scc0 .LBB364_105
; %bb.103:
	global_load_ushort v1, v[4:5], off
	s_mov_b64 s[0:1], -1
	s_mov_b64 s[44:45], 0
	s_waitcnt vmcnt(0)
	v_lshlrev_b32_e32 v1, 16, v1
	v_trunc_f32_e32 v1, v1
	v_mul_f32_e32 v2, 0x2f800000, v1
	v_floor_f32_e32 v2, v2
	v_fmac_f32_e32 v1, 0xcf800000, v2
	v_cvt_u32_f32_e32 v1, v1
	v_cvt_u32_f32_e32 v2, v2
	s_branch .LBB364_106
.LBB364_104:
	s_mov_b64 s[40:41], -1
                                        ; implicit-def: $vgpr1_vgpr2
	s_branch .LBB364_107
.LBB364_105:
	s_mov_b64 s[44:45], -1
                                        ; implicit-def: $vgpr1_vgpr2
.LBB364_106:
	s_mov_b64 s[40:41], 0
.LBB364_107:
	s_and_b64 vcc, exec, s[40:41]
	s_cbranch_vccz .LBB364_111
; %bb.108:
	s_cmp_eq_u32 s42, 11
	s_cbranch_scc0 .LBB364_110
; %bb.109:
	global_load_ubyte v1, v[4:5], off
	s_mov_b32 s40, 0
	s_mov_b64 s[0:1], -1
	s_waitcnt vmcnt(1)
	v_mov_b32_e32 v2, s40
	s_mov_b64 s[44:45], 0
	s_waitcnt vmcnt(0)
	v_cmp_ne_u16_e32 vcc, 0, v1
	v_cndmask_b32_e64 v1, 0, 1, vcc
	s_branch .LBB364_111
.LBB364_110:
	s_mov_b64 s[44:45], -1
                                        ; implicit-def: $vgpr1_vgpr2
.LBB364_111:
	s_branch .LBB364_21
.LBB364_112:
	s_and_b32 s14, 0xffff, s14
	s_cmp_lt_i32 s14, 5
	s_cbranch_scc1 .LBB364_117
; %bb.113:
	s_cmp_lt_i32 s14, 8
	s_cbranch_scc1 .LBB364_118
; %bb.114:
	;; [unrolled: 3-line block ×3, first 2 shown]
	s_cmp_gt_i32 s14, 9
	s_cbranch_scc0 .LBB364_120
; %bb.116:
	global_load_dwordx2 v[1:2], v[4:5], off
	s_movk_i32 s0, 0xffe0
	s_waitcnt vmcnt(0)
	v_trunc_f64_e32 v[1:2], v[1:2]
	v_ldexp_f64 v[6:7], v[1:2], s0
	s_mov_b32 s0, 0
	s_mov_b32 s1, 0xc1f00000
	v_floor_f64_e32 v[6:7], v[6:7]
	v_fma_f64 v[8:9], v[6:7], s[0:1], v[1:2]
	v_cvt_u32_f64_e32 v2, v[6:7]
	s_mov_b64 s[0:1], 0
	v_cvt_u32_f64_e32 v1, v[8:9]
	s_branch .LBB364_121
.LBB364_117:
                                        ; implicit-def: $vgpr1_vgpr2
	s_branch .LBB364_139
.LBB364_118:
	s_mov_b64 s[0:1], -1
                                        ; implicit-def: $vgpr1_vgpr2
	s_branch .LBB364_127
.LBB364_119:
	s_mov_b64 s[0:1], -1
                                        ; implicit-def: $vgpr1_vgpr2
	s_branch .LBB364_124
.LBB364_120:
	s_mov_b64 s[0:1], -1
                                        ; implicit-def: $vgpr1_vgpr2
.LBB364_121:
	s_andn2_b64 vcc, exec, s[0:1]
	s_cbranch_vccnz .LBB364_123
; %bb.122:
	global_load_dword v1, v[4:5], off
	s_waitcnt vmcnt(0)
	v_trunc_f32_e32 v1, v1
	v_mul_f32_e32 v2, 0x2f800000, v1
	v_floor_f32_e32 v6, v2
	v_fmac_f32_e32 v1, 0xcf800000, v6
	v_cvt_u32_f32_e32 v2, v6
	v_cvt_u32_f32_e32 v1, v1
.LBB364_123:
	s_mov_b64 s[0:1], 0
.LBB364_124:
	s_andn2_b64 vcc, exec, s[0:1]
	s_cbranch_vccnz .LBB364_126
; %bb.125:
	global_load_dword v1, v[4:5], off
	s_waitcnt vmcnt(1)
	v_mov_b32_e32 v2, 0
	s_waitcnt vmcnt(0)
	v_cvt_f32_f16_e32 v1, v1
	v_cvt_u32_f32_e32 v1, v1
.LBB364_126:
	s_mov_b64 s[0:1], 0
.LBB364_127:
	s_andn2_b64 vcc, exec, s[0:1]
	s_cbranch_vccnz .LBB364_138
; %bb.128:
	s_cmp_lt_i32 s14, 6
	s_cbranch_scc1 .LBB364_131
; %bb.129:
	s_cmp_gt_i32 s14, 6
	s_cbranch_scc0 .LBB364_132
; %bb.130:
	global_load_dwordx2 v[1:2], v[4:5], off
	s_movk_i32 s0, 0xffe0
	s_waitcnt vmcnt(0)
	v_trunc_f64_e32 v[1:2], v[1:2]
	v_ldexp_f64 v[6:7], v[1:2], s0
	s_mov_b32 s0, 0
	s_mov_b32 s1, 0xc1f00000
	v_floor_f64_e32 v[6:7], v[6:7]
	v_fma_f64 v[8:9], v[6:7], s[0:1], v[1:2]
	v_cvt_u32_f64_e32 v2, v[6:7]
	s_mov_b64 s[0:1], 0
	v_cvt_u32_f64_e32 v1, v[8:9]
	s_branch .LBB364_133
.LBB364_131:
	s_mov_b64 s[0:1], -1
                                        ; implicit-def: $vgpr1_vgpr2
	s_branch .LBB364_136
.LBB364_132:
	s_mov_b64 s[0:1], -1
                                        ; implicit-def: $vgpr1_vgpr2
.LBB364_133:
	s_andn2_b64 vcc, exec, s[0:1]
	s_cbranch_vccnz .LBB364_135
; %bb.134:
	global_load_dword v1, v[4:5], off
	s_waitcnt vmcnt(0)
	v_trunc_f32_e32 v1, v1
	v_mul_f32_e32 v2, 0x2f800000, v1
	v_floor_f32_e32 v6, v2
	v_fmac_f32_e32 v1, 0xcf800000, v6
	v_cvt_u32_f32_e32 v2, v6
	v_cvt_u32_f32_e32 v1, v1
.LBB364_135:
	s_mov_b64 s[0:1], 0
.LBB364_136:
	s_andn2_b64 vcc, exec, s[0:1]
	s_cbranch_vccnz .LBB364_138
; %bb.137:
	global_load_ushort v1, v[4:5], off
	s_waitcnt vmcnt(1)
	v_mov_b32_e32 v2, 0
	s_waitcnt vmcnt(0)
	v_cvt_f32_f16_e32 v1, v1
	v_cvt_u32_f32_e32 v1, v1
.LBB364_138:
	s_cbranch_execnz .LBB364_158
.LBB364_139:
	s_cmp_lt_i32 s14, 2
	s_cbranch_scc1 .LBB364_143
; %bb.140:
	s_cmp_lt_i32 s14, 3
	s_cbranch_scc1 .LBB364_144
; %bb.141:
	s_cmp_gt_i32 s14, 3
	s_cbranch_scc0 .LBB364_145
; %bb.142:
	global_load_dwordx2 v[1:2], v[4:5], off
	s_mov_b64 s[0:1], 0
	s_branch .LBB364_146
.LBB364_143:
	s_mov_b64 s[0:1], -1
                                        ; implicit-def: $vgpr1_vgpr2
	s_branch .LBB364_152
.LBB364_144:
	s_mov_b64 s[0:1], -1
                                        ; implicit-def: $vgpr1_vgpr2
	s_branch .LBB364_149
.LBB364_145:
	s_mov_b64 s[0:1], -1
                                        ; implicit-def: $vgpr1_vgpr2
.LBB364_146:
	s_andn2_b64 vcc, exec, s[0:1]
	s_cbranch_vccnz .LBB364_148
; %bb.147:
	global_load_dword v1, v[4:5], off
	s_waitcnt vmcnt(0)
	v_ashrrev_i32_e32 v2, 31, v1
.LBB364_148:
	s_mov_b64 s[0:1], 0
.LBB364_149:
	s_andn2_b64 vcc, exec, s[0:1]
	s_cbranch_vccnz .LBB364_151
; %bb.150:
	global_load_ushort v1, v[4:5], off
	s_waitcnt vmcnt(0)
	v_bfe_i32 v1, v1, 0, 16
	v_ashrrev_i32_e32 v2, 31, v1
.LBB364_151:
	s_mov_b64 s[0:1], 0
.LBB364_152:
	s_andn2_b64 vcc, exec, s[0:1]
	s_cbranch_vccnz .LBB364_158
; %bb.153:
	s_cmp_gt_i32 s14, 0
	s_cbranch_scc0 .LBB364_155
; %bb.154:
	global_load_sbyte v1, v[4:5], off
	s_mov_b64 s[0:1], 0
	s_waitcnt vmcnt(0)
	v_bfe_i32 v1, v1, 0, 16
	v_ashrrev_i32_e32 v2, 31, v1
	s_branch .LBB364_156
.LBB364_155:
	s_mov_b64 s[0:1], -1
                                        ; implicit-def: $vgpr1_vgpr2
.LBB364_156:
	s_andn2_b64 vcc, exec, s[0:1]
	s_cbranch_vccnz .LBB364_158
; %bb.157:
	global_load_ubyte v1, v[4:5], off
	s_mov_b32 s0, 0
	s_waitcnt vmcnt(1)
	v_mov_b32_e32 v2, s0
	s_waitcnt vmcnt(0)
	v_and_b32_e32 v1, 0xffff, v1
.LBB364_158:
	s_branch .LBB364_22
.LBB364_159:
	s_mov_b64 s[0:1], 0
	s_mov_b64 s[42:43], 0
	s_branch .LBB364_384
.LBB364_160:
	s_mov_b64 s[42:43], -1
.LBB364_161:
	s_mov_b64 s[0:1], 0
                                        ; implicit-def: $vgpr5_vgpr6
.LBB364_162:
	s_and_b64 vcc, exec, s[40:41]
	s_cbranch_vccz .LBB364_278
; %bb.163:
	s_cmp_eq_u32 s48, 44
	s_cbranch_scc0 .LBB364_277
; %bb.164:
	global_load_ubyte v5, v[3:4], off
	s_mov_b64 s[0:1], -1
	s_mov_b64 s[42:43], 0
	s_waitcnt vmcnt(0)
	v_lshlrev_b32_e32 v6, 23, v5
	v_trunc_f32_e32 v6, v6
	v_mul_f32_e32 v7, 0x2f800000, v6
	v_floor_f32_e32 v7, v7
	v_fmac_f32_e32 v6, 0xcf800000, v7
	v_cvt_u32_f32_e32 v7, v7
	v_cvt_u32_f32_e32 v8, v6
	v_cmp_ne_u32_e32 vcc, 0, v5
	v_cndmask_b32_e32 v6, 0, v7, vcc
	v_cndmask_b32_e32 v5, 0, v8, vcc
	s_branch .LBB364_278
.LBB364_165:
	s_mov_b64 s[52:53], -1
	s_mov_b64 s[0:1], 0
	s_mov_b64 s[48:49], 0
.LBB364_166:
	s_and_b64 vcc, exec, s[52:53]
	s_cbranch_vccz .LBB364_171
; %bb.167:
	s_cmp_eq_u32 s56, 44
	s_mov_b64 s[0:1], -1
	s_cbranch_scc0 .LBB364_171
; %bb.168:
	v_cndmask_b32_e64 v3, 0, 1.0, s[40:41]
	v_lshrrev_b32_e32 v2, 23, v3
	s_movk_i32 s0, 0xff
	v_cmp_ne_u32_e32 vcc, s0, v2
	v_mov_b32_e32 v4, 0xff
	s_and_saveexec_b64 s[48:49], vcc
; %bb.169:
	s_mov_b32 s0, 0x3fffff
	v_and_b32_e32 v4, 0x400000, v3
	v_and_or_b32 v3, v3, s0, v2
	v_cmp_ne_u32_e32 vcc, 0, v4
	v_cmp_ne_u32_e64 s[0:1], 0, v3
	s_and_b64 s[0:1], vcc, s[0:1]
	v_cndmask_b32_e64 v3, 0, 1, s[0:1]
	v_add_u32_e32 v4, v2, v3
; %bb.170:
	s_or_b64 exec, exec, s[48:49]
	s_mov_b64 s[48:49], -1
	s_mov_b64 s[0:1], 0
	global_store_byte v[0:1], v4, off
.LBB364_171:
	s_mov_b64 s[52:53], 0
.LBB364_172:
	s_and_b64 vcc, exec, s[52:53]
	s_cbranch_vccz .LBB364_175
; %bb.173:
	s_cmp_eq_u32 s56, 29
	s_mov_b64 s[0:1], -1
	s_cbranch_scc0 .LBB364_175
; %bb.174:
	s_mov_b32 s0, 0
	v_cndmask_b32_e64 v2, 0, 1, s[40:41]
	v_mov_b32_e32 v3, s0
	global_store_dwordx2 v[0:1], v[2:3], off
	s_mov_b64 s[48:49], -1
	s_mov_b64 s[0:1], 0
.LBB364_175:
	s_mov_b64 s[52:53], 0
.LBB364_176:
	s_and_b64 vcc, exec, s[52:53]
	s_cbranch_vccz .LBB364_192
; %bb.177:
	s_cmp_lt_i32 s56, 27
	s_mov_b64 s[48:49], -1
	s_cbranch_scc1 .LBB364_183
; %bb.178:
	s_cmp_gt_i32 s56, 27
	s_cbranch_scc0 .LBB364_180
; %bb.179:
	v_cndmask_b32_e64 v2, 0, 1, s[40:41]
	s_mov_b64 s[48:49], 0
	global_store_dword v[0:1], v2, off
.LBB364_180:
	s_andn2_b64 vcc, exec, s[48:49]
	s_cbranch_vccnz .LBB364_182
; %bb.181:
	v_cndmask_b32_e64 v2, 0, 1, s[40:41]
	global_store_short v[0:1], v2, off
.LBB364_182:
	s_mov_b64 s[48:49], 0
.LBB364_183:
	s_andn2_b64 vcc, exec, s[48:49]
	s_cbranch_vccnz .LBB364_191
; %bb.184:
	v_cndmask_b32_e64 v3, 0, 1.0, s[40:41]
	s_mov_b32 s48, 0x43800000
	v_cmp_gt_u32_e32 vcc, s48, v3
	v_mov_b32_e32 v4, 0x80
	s_and_saveexec_b64 s[48:49], vcc
	s_cbranch_execz .LBB364_190
; %bb.185:
	s_mov_b32 s52, 0x3bffffff
	v_cmp_lt_u32_e32 vcc, s52, v3
	s_mov_b64 s[52:53], 0
                                        ; implicit-def: $vgpr2
	s_and_saveexec_b64 s[54:55], vcc
	s_xor_b64 s[54:55], exec, s[54:55]
	s_cbranch_execz .LBB364_426
; %bb.186:
	v_bfe_u32 v2, v3, 20, 1
	s_mov_b32 s57, 0x487ffff
	v_add3_u32 v2, v3, v2, s57
	s_mov_b64 s[52:53], exec
	v_lshrrev_b32_e32 v2, 20, v2
                                        ; implicit-def: $vgpr3
	s_andn2_saveexec_b64 s[54:55], s[54:55]
	s_cbranch_execnz .LBB364_427
.LBB364_187:
	s_or_b64 exec, exec, s[54:55]
	v_mov_b32_e32 v4, 0
	s_and_saveexec_b64 s[54:55], s[52:53]
.LBB364_188:
	v_mov_b32_e32 v4, v2
.LBB364_189:
	s_or_b64 exec, exec, s[54:55]
.LBB364_190:
	s_or_b64 exec, exec, s[48:49]
	global_store_byte v[0:1], v4, off
.LBB364_191:
	s_mov_b64 s[48:49], -1
.LBB364_192:
	s_mov_b64 s[52:53], 0
.LBB364_193:
	s_and_b64 vcc, exec, s[52:53]
	s_cbranch_vccz .LBB364_234
; %bb.194:
	s_cmp_gt_i32 s56, 22
	s_mov_b64 s[52:53], -1
	s_cbranch_scc0 .LBB364_226
; %bb.195:
	s_cmp_lt_i32 s56, 24
	s_mov_b64 s[48:49], -1
	s_cbranch_scc1 .LBB364_215
; %bb.196:
	s_cmp_gt_i32 s56, 24
	s_cbranch_scc0 .LBB364_204
; %bb.197:
	v_cndmask_b32_e64 v3, 0, 1.0, s[40:41]
	s_mov_b32 s48, 0x47800000
	v_cmp_gt_u32_e32 vcc, s48, v3
	v_mov_b32_e32 v4, 0x80
	s_and_saveexec_b64 s[48:49], vcc
	s_cbranch_execz .LBB364_203
; %bb.198:
	s_mov_b32 s52, 0x37ffffff
	v_cmp_lt_u32_e32 vcc, s52, v3
	s_mov_b64 s[52:53], 0
                                        ; implicit-def: $vgpr2
	s_and_saveexec_b64 s[54:55], vcc
	s_xor_b64 s[54:55], exec, s[54:55]
	s_cbranch_execz .LBB364_541
; %bb.199:
	v_bfe_u32 v2, v3, 21, 1
	s_mov_b32 s57, 0x88fffff
	v_add3_u32 v2, v3, v2, s57
	s_mov_b64 s[52:53], exec
	v_lshrrev_b32_e32 v2, 21, v2
                                        ; implicit-def: $vgpr3
	s_andn2_saveexec_b64 s[54:55], s[54:55]
	s_cbranch_execnz .LBB364_542
.LBB364_200:
	s_or_b64 exec, exec, s[54:55]
	v_mov_b32_e32 v4, 0
	s_and_saveexec_b64 s[54:55], s[52:53]
.LBB364_201:
	v_mov_b32_e32 v4, v2
.LBB364_202:
	s_or_b64 exec, exec, s[54:55]
.LBB364_203:
	s_or_b64 exec, exec, s[48:49]
	s_mov_b64 s[48:49], 0
	global_store_byte v[0:1], v4, off
.LBB364_204:
	s_and_b64 vcc, exec, s[48:49]
	s_cbranch_vccz .LBB364_214
; %bb.205:
	v_cndmask_b32_e64 v2, 0, 1.0, s[40:41]
	s_mov_b32 s48, 0x43f00000
	v_cmp_gt_u32_e32 vcc, s48, v2
                                        ; implicit-def: $vgpr3
	s_and_saveexec_b64 s[48:49], vcc
	s_xor_b64 s[48:49], exec, s[48:49]
	s_cbranch_execz .LBB364_211
; %bb.206:
	s_mov_b32 s52, 0x3c7fffff
	v_cmp_lt_u32_e32 vcc, s52, v2
                                        ; implicit-def: $vgpr3
	s_and_saveexec_b64 s[52:53], vcc
	s_xor_b64 s[52:53], exec, s[52:53]
; %bb.207:
	v_bfe_u32 v3, v2, 20, 1
	s_mov_b32 s54, 0x407ffff
	v_add3_u32 v2, v2, v3, s54
	v_lshrrev_b32_e32 v3, 20, v2
	v_and_b32_e32 v2, 0xff00000, v2
	s_mov_b32 s54, 0x7f00000
	v_mov_b32_e32 v4, 0x7e
	v_cmp_ne_u32_e32 vcc, s54, v2
	v_cndmask_b32_e32 v3, v4, v3, vcc
                                        ; implicit-def: $vgpr2
; %bb.208:
	s_andn2_saveexec_b64 s[52:53], s[52:53]
; %bb.209:
	v_add_f32_e32 v3, 0x46800000, v2
; %bb.210:
	s_or_b64 exec, exec, s[52:53]
                                        ; implicit-def: $vgpr2
.LBB364_211:
	s_andn2_saveexec_b64 s[48:49], s[48:49]
; %bb.212:
	s_mov_b32 s52, 0x7f800000
	v_mov_b32_e32 v3, 0x7e
	v_mov_b32_e32 v4, 0x7f
	v_cmp_lt_u32_e32 vcc, s52, v2
	v_cndmask_b32_e32 v3, v3, v4, vcc
; %bb.213:
	s_or_b64 exec, exec, s[48:49]
	global_store_byte v[0:1], v3, off
.LBB364_214:
	s_mov_b64 s[48:49], 0
.LBB364_215:
	s_andn2_b64 vcc, exec, s[48:49]
	s_cbranch_vccnz .LBB364_225
; %bb.216:
	v_cndmask_b32_e64 v2, 0, 1.0, s[40:41]
	s_mov_b32 s48, 0x47800000
	v_cmp_gt_u32_e32 vcc, s48, v2
                                        ; implicit-def: $vgpr3
	s_and_saveexec_b64 s[48:49], vcc
	s_xor_b64 s[48:49], exec, s[48:49]
	s_cbranch_execz .LBB364_222
; %bb.217:
	s_mov_b32 s52, 0x387fffff
	v_cmp_lt_u32_e32 vcc, s52, v2
                                        ; implicit-def: $vgpr3
	s_and_saveexec_b64 s[52:53], vcc
	s_xor_b64 s[52:53], exec, s[52:53]
; %bb.218:
	v_bfe_u32 v3, v2, 21, 1
	s_mov_b32 s54, 0x80fffff
	v_add3_u32 v2, v2, v3, s54
	v_lshrrev_b32_e32 v3, 21, v2
                                        ; implicit-def: $vgpr2
; %bb.219:
	s_andn2_saveexec_b64 s[52:53], s[52:53]
; %bb.220:
	v_add_f32_e32 v3, 0x43000000, v2
; %bb.221:
	s_or_b64 exec, exec, s[52:53]
                                        ; implicit-def: $vgpr2
.LBB364_222:
	s_andn2_saveexec_b64 s[48:49], s[48:49]
; %bb.223:
	s_mov_b32 s52, 0x7f800000
	v_mov_b32_e32 v3, 0x7c
	v_mov_b32_e32 v4, 0x7f
	v_cmp_lt_u32_e32 vcc, s52, v2
	v_cndmask_b32_e32 v3, v3, v4, vcc
; %bb.224:
	s_or_b64 exec, exec, s[48:49]
	global_store_byte v[0:1], v3, off
.LBB364_225:
	s_mov_b64 s[52:53], 0
	s_mov_b64 s[48:49], -1
.LBB364_226:
	s_andn2_b64 vcc, exec, s[52:53]
	s_cbranch_vccnz .LBB364_234
; %bb.227:
	s_cmp_gt_i32 s56, 14
	s_mov_b64 s[52:53], -1
	s_cbranch_scc0 .LBB364_231
; %bb.228:
	s_cmp_eq_u32 s56, 15
	s_mov_b64 s[0:1], -1
	s_cbranch_scc0 .LBB364_230
; %bb.229:
	v_cndmask_b32_e64 v2, 0, 1.0, s[40:41]
	v_bfe_u32 v3, v2, 16, 1
	s_movk_i32 s0, 0x7fff
	v_add3_u32 v2, v2, v3, s0
	global_store_short_d16_hi v[0:1], v2, off
	s_mov_b64 s[48:49], -1
	s_mov_b64 s[0:1], 0
.LBB364_230:
	s_mov_b64 s[52:53], 0
.LBB364_231:
	s_and_b64 vcc, exec, s[52:53]
	s_cbranch_vccz .LBB364_234
; %bb.232:
	s_cmp_eq_u32 s56, 11
	s_mov_b64 s[0:1], -1
	s_cbranch_scc0 .LBB364_234
; %bb.233:
	v_cndmask_b32_e64 v2, 0, 1, s[40:41]
	s_mov_b64 s[48:49], -1
	s_mov_b64 s[0:1], 0
	global_store_byte v[0:1], v2, off
.LBB364_234:
	s_mov_b64 s[52:53], 0
.LBB364_235:
	s_and_b64 vcc, exec, s[52:53]
	s_cbranch_vccz .LBB364_274
; %bb.236:
	s_and_b32 s14, 0xffff, s14
	s_cmp_lt_i32 s14, 5
	s_mov_b64 s[48:49], -1
	s_cbranch_scc1 .LBB364_257
; %bb.237:
	s_cmp_lt_i32 s14, 8
	s_cbranch_scc1 .LBB364_247
; %bb.238:
	s_cmp_lt_i32 s14, 9
	s_cbranch_scc1 .LBB364_244
; %bb.239:
	s_cmp_gt_i32 s14, 9
	s_cbranch_scc0 .LBB364_241
; %bb.240:
	v_cndmask_b32_e64 v2, 0, 1, s[40:41]
	v_cvt_f64_u32_e32 v[2:3], v2
	v_mov_b32_e32 v4, 0
	v_mov_b32_e32 v5, v4
	s_mov_b64 s[48:49], 0
	global_store_dwordx4 v[0:1], v[2:5], off
.LBB364_241:
	s_andn2_b64 vcc, exec, s[48:49]
	s_cbranch_vccnz .LBB364_243
; %bb.242:
	v_cndmask_b32_e64 v2, 0, 1.0, s[40:41]
	v_mov_b32_e32 v3, 0
	global_store_dwordx2 v[0:1], v[2:3], off
.LBB364_243:
	s_mov_b64 s[48:49], 0
.LBB364_244:
	s_andn2_b64 vcc, exec, s[48:49]
	s_cbranch_vccnz .LBB364_246
; %bb.245:
	v_cndmask_b32_e64 v2, 0, 1.0, s[40:41]
	v_cvt_f16_f32_e32 v2, v2
	global_store_dword v[0:1], v2, off
.LBB364_246:
	s_mov_b64 s[48:49], 0
.LBB364_247:
	s_andn2_b64 vcc, exec, s[48:49]
	s_cbranch_vccnz .LBB364_256
; %bb.248:
	s_cmp_lt_i32 s14, 6
	s_mov_b64 s[48:49], -1
	s_cbranch_scc1 .LBB364_254
; %bb.249:
	s_cmp_gt_i32 s14, 6
	s_cbranch_scc0 .LBB364_251
; %bb.250:
	v_cndmask_b32_e64 v2, 0, 1, s[40:41]
	v_cvt_f64_u32_e32 v[2:3], v2
	s_mov_b64 s[48:49], 0
	global_store_dwordx2 v[0:1], v[2:3], off
.LBB364_251:
	s_andn2_b64 vcc, exec, s[48:49]
	s_cbranch_vccnz .LBB364_253
; %bb.252:
	v_cndmask_b32_e64 v2, 0, 1.0, s[40:41]
	global_store_dword v[0:1], v2, off
.LBB364_253:
	s_mov_b64 s[48:49], 0
.LBB364_254:
	s_andn2_b64 vcc, exec, s[48:49]
	s_cbranch_vccnz .LBB364_256
; %bb.255:
	v_cndmask_b32_e64 v2, 0, 1.0, s[40:41]
	v_cvt_f16_f32_e32 v2, v2
	global_store_short v[0:1], v2, off
.LBB364_256:
	s_mov_b64 s[48:49], 0
.LBB364_257:
	s_andn2_b64 vcc, exec, s[48:49]
	s_cbranch_vccnz .LBB364_273
; %bb.258:
	s_cmp_lt_i32 s14, 2
	s_mov_b64 s[48:49], -1
	s_cbranch_scc1 .LBB364_268
; %bb.259:
	s_cmp_lt_i32 s14, 3
	s_cbranch_scc1 .LBB364_265
; %bb.260:
	s_cmp_gt_i32 s14, 3
	s_cbranch_scc0 .LBB364_262
; %bb.261:
	s_mov_b32 s48, 0
	v_cndmask_b32_e64 v2, 0, 1, s[40:41]
	v_mov_b32_e32 v3, s48
	global_store_dwordx2 v[0:1], v[2:3], off
	s_mov_b64 s[48:49], 0
.LBB364_262:
	s_andn2_b64 vcc, exec, s[48:49]
	s_cbranch_vccnz .LBB364_264
; %bb.263:
	v_cndmask_b32_e64 v2, 0, 1, s[40:41]
	global_store_dword v[0:1], v2, off
.LBB364_264:
	s_mov_b64 s[48:49], 0
.LBB364_265:
	s_andn2_b64 vcc, exec, s[48:49]
	s_cbranch_vccnz .LBB364_267
; %bb.266:
	v_cndmask_b32_e64 v2, 0, 1, s[40:41]
	global_store_short v[0:1], v2, off
.LBB364_267:
	s_mov_b64 s[48:49], 0
.LBB364_268:
	s_andn2_b64 vcc, exec, s[48:49]
	s_cbranch_vccnz .LBB364_273
; %bb.269:
	s_cmp_gt_i32 s14, 0
	s_mov_b64 s[48:49], -1
	s_cbranch_scc0 .LBB364_271
; %bb.270:
	v_cndmask_b32_e64 v2, 0, 1, s[40:41]
	global_store_byte v[0:1], v2, off
	s_mov_b64 s[48:49], 0
.LBB364_271:
	s_andn2_b64 vcc, exec, s[48:49]
	s_cbranch_vccnz .LBB364_273
; %bb.272:
	v_cndmask_b32_e64 v2, 0, 1, s[40:41]
	global_store_byte v[0:1], v2, off
.LBB364_273:
	s_mov_b64 s[48:49], -1
.LBB364_274:
	s_andn2_b64 vcc, exec, s[48:49]
	s_cbranch_vccnz .LBB364_276
; %bb.275:
	v_add_u32_e32 v10, 0x80, v10
	s_mov_b64 s[48:49], -1
	s_branch .LBB364_385
.LBB364_276:
	s_mov_b64 s[48:49], 0
                                        ; implicit-def: $vgpr10
	s_branch .LBB364_385
.LBB364_277:
	s_mov_b64 s[42:43], -1
                                        ; implicit-def: $vgpr5_vgpr6
.LBB364_278:
	s_mov_b64 s[40:41], 0
.LBB364_279:
	s_and_b64 vcc, exec, s[40:41]
	s_cbranch_vccz .LBB364_283
; %bb.280:
	s_cmp_eq_u32 s48, 29
	s_cbranch_scc0 .LBB364_282
; %bb.281:
	global_load_dwordx2 v[5:6], v[3:4], off
	s_mov_b64 s[0:1], -1
	s_mov_b64 s[42:43], 0
	s_branch .LBB364_283
.LBB364_282:
	s_mov_b64 s[42:43], -1
                                        ; implicit-def: $vgpr5_vgpr6
.LBB364_283:
	s_mov_b64 s[40:41], 0
.LBB364_284:
	s_and_b64 vcc, exec, s[40:41]
	s_cbranch_vccz .LBB364_302
; %bb.285:
	s_cmp_lt_i32 s48, 27
	s_cbranch_scc1 .LBB364_288
; %bb.286:
	s_cmp_gt_i32 s48, 27
	s_cbranch_scc0 .LBB364_289
; %bb.287:
	global_load_dword v5, v[3:4], off
	s_waitcnt vmcnt(1)
	v_mov_b32_e32 v6, 0
	s_mov_b64 s[0:1], 0
	s_branch .LBB364_290
.LBB364_288:
	s_mov_b64 s[0:1], -1
                                        ; implicit-def: $vgpr5_vgpr6
	s_branch .LBB364_293
.LBB364_289:
	s_mov_b64 s[0:1], -1
                                        ; implicit-def: $vgpr5_vgpr6
.LBB364_290:
	s_andn2_b64 vcc, exec, s[0:1]
	s_cbranch_vccnz .LBB364_292
; %bb.291:
	global_load_ushort v5, v[3:4], off
	s_mov_b32 s0, 0
	s_waitcnt vmcnt(1)
	v_mov_b32_e32 v6, s0
	s_waitcnt vmcnt(0)
	v_and_b32_e32 v5, 0xffff, v5
.LBB364_292:
	s_mov_b64 s[0:1], 0
.LBB364_293:
	s_andn2_b64 vcc, exec, s[0:1]
	s_cbranch_vccnz .LBB364_301
; %bb.294:
	global_load_ubyte v7, v[3:4], off
	s_movk_i32 s0, 0x7f
	s_mov_b64 s[40:41], 0
	s_waitcnt vmcnt(0)
	v_cmp_lt_i16_e32 vcc, s0, v7
	s_and_saveexec_b64 s[0:1], vcc
	s_xor_b64 s[0:1], exec, s[0:1]
; %bb.295:
	s_movk_i32 s40, 0x80
	v_cmp_ne_u16_e32 vcc, s40, v7
	s_and_b64 s[40:41], vcc, exec
; %bb.296:
	s_andn2_saveexec_b64 s[0:1], s[0:1]
; %bb.297:
	v_cmp_ne_u16_e32 vcc, 0, v7
	s_andn2_b64 s[40:41], s[40:41], exec
	s_and_b64 s[52:53], vcc, exec
	s_or_b64 s[40:41], s[40:41], s[52:53]
; %bb.298:
	s_or_b64 exec, exec, s[0:1]
	v_mov_b32_e32 v5, 0
	v_mov_b32_e32 v6, 0
	s_and_saveexec_b64 s[0:1], s[40:41]
	s_cbranch_execz .LBB364_300
; %bb.299:
	v_and_b32_e32 v6, 0xffff, v7
	v_lshlrev_b32_e32 v5, 24, v7
	v_and_b32_e32 v7, 7, v6
	v_ffbh_u32_e32 v9, v7
	v_min_u32_e32 v9, 32, v9
	v_subrev_u32_e32 v11, 28, v9
	v_bfe_u32 v8, v6, 3, 4
	v_lshlrev_b32_e32 v6, v11, v6
	v_sub_u32_e32 v9, 29, v9
	v_and_b32_e32 v6, 7, v6
	v_cmp_eq_u32_e32 vcc, 0, v8
	v_cndmask_b32_e32 v8, v8, v9, vcc
	v_cndmask_b32_e32 v6, v7, v6, vcc
	v_mov_b32_e32 v7, 0x3b800000
	v_lshlrev_b32_e32 v6, 20, v6
	v_and_b32_e32 v5, 0x80000000, v5
	v_lshl_add_u32 v7, v8, 23, v7
	v_or3_b32 v5, v5, v7, v6
	v_trunc_f32_e32 v5, v5
	v_mul_f32_e32 v6, 0x2f800000, v5
	v_floor_f32_e32 v6, v6
	v_fmac_f32_e32 v5, 0xcf800000, v6
	v_cvt_u32_f32_e32 v5, v5
	v_cvt_u32_f32_e32 v6, v6
.LBB364_300:
	s_or_b64 exec, exec, s[0:1]
.LBB364_301:
	s_mov_b64 s[0:1], -1
.LBB364_302:
	s_mov_b64 s[40:41], 0
.LBB364_303:
	s_and_b64 vcc, exec, s[40:41]
	s_cbranch_vccz .LBB364_334
; %bb.304:
	s_cmp_gt_i32 s48, 22
	s_cbranch_scc0 .LBB364_314
; %bb.305:
	s_cmp_lt_i32 s48, 24
	s_cbranch_scc1 .LBB364_315
; %bb.306:
	s_cmp_gt_i32 s48, 24
	s_cbranch_scc0 .LBB364_316
; %bb.307:
	global_load_ubyte v7, v[3:4], off
	s_movk_i32 s0, 0x7f
	s_mov_b64 s[40:41], 0
	s_waitcnt vmcnt(0)
	v_cmp_lt_i16_e32 vcc, s0, v7
	s_and_saveexec_b64 s[0:1], vcc
	s_xor_b64 s[0:1], exec, s[0:1]
; %bb.308:
	s_movk_i32 s40, 0x80
	v_cmp_ne_u16_e32 vcc, s40, v7
	s_and_b64 s[40:41], vcc, exec
; %bb.309:
	s_andn2_saveexec_b64 s[0:1], s[0:1]
; %bb.310:
	v_cmp_ne_u16_e32 vcc, 0, v7
	s_andn2_b64 s[40:41], s[40:41], exec
	s_and_b64 s[52:53], vcc, exec
	s_or_b64 s[40:41], s[40:41], s[52:53]
; %bb.311:
	s_or_b64 exec, exec, s[0:1]
	v_mov_b32_e32 v5, 0
	v_mov_b32_e32 v6, 0
	s_and_saveexec_b64 s[0:1], s[40:41]
	s_cbranch_execz .LBB364_313
; %bb.312:
	v_and_b32_e32 v6, 0xffff, v7
	v_lshlrev_b32_e32 v5, 24, v7
	v_and_b32_e32 v7, 3, v6
	v_ffbh_u32_e32 v9, v7
	v_min_u32_e32 v9, 32, v9
	v_subrev_u32_e32 v11, 29, v9
	v_bfe_u32 v8, v6, 2, 5
	v_lshlrev_b32_e32 v6, v11, v6
	v_sub_u32_e32 v9, 30, v9
	v_and_b32_e32 v6, 3, v6
	v_cmp_eq_u32_e32 vcc, 0, v8
	v_cndmask_b32_e32 v8, v8, v9, vcc
	v_cndmask_b32_e32 v6, v7, v6, vcc
	v_mov_b32_e32 v7, 0x37800000
	v_lshlrev_b32_e32 v6, 21, v6
	v_and_b32_e32 v5, 0x80000000, v5
	v_lshl_add_u32 v7, v8, 23, v7
	v_or3_b32 v5, v5, v7, v6
	v_trunc_f32_e32 v5, v5
	v_mul_f32_e32 v6, 0x2f800000, v5
	v_floor_f32_e32 v6, v6
	v_fmac_f32_e32 v5, 0xcf800000, v6
	v_cvt_u32_f32_e32 v5, v5
	v_cvt_u32_f32_e32 v6, v6
.LBB364_313:
	s_or_b64 exec, exec, s[0:1]
	s_mov_b64 s[0:1], 0
	s_branch .LBB364_317
.LBB364_314:
	s_mov_b64 s[40:41], -1
                                        ; implicit-def: $vgpr5_vgpr6
	s_branch .LBB364_323
.LBB364_315:
	s_mov_b64 s[0:1], -1
                                        ; implicit-def: $vgpr5_vgpr6
	s_branch .LBB364_320
.LBB364_316:
	s_mov_b64 s[0:1], -1
                                        ; implicit-def: $vgpr5_vgpr6
.LBB364_317:
	s_and_b64 vcc, exec, s[0:1]
	s_cbranch_vccz .LBB364_319
; %bb.318:
	global_load_ubyte v5, v[3:4], off
	s_mov_b32 s0, 0x7f800000
	s_brev_b32 s1, 1
	s_waitcnt vmcnt(0)
	v_lshlrev_b32_e32 v5, 24, v5
	v_and_b32_e32 v6, 0x7f000000, v5
	v_ffbh_u32_e32 v7, v6
	v_min_u32_e32 v7, 32, v7
	v_sub_u32_e64 v7, v7, 4 clamp
	v_lshlrev_b32_e32 v9, v7, v6
	v_lshlrev_b32_e32 v7, 23, v7
	v_lshrrev_b32_e32 v9, 4, v9
	v_add_u32_e32 v8, 0x1000000, v6
	v_sub_u32_e32 v7, v9, v7
	v_ashrrev_i32_e32 v8, 8, v8
	v_add_u32_e32 v7, 0x3c000000, v7
	v_and_or_b32 v7, v8, s0, v7
	v_cmp_ne_u32_e32 vcc, 0, v6
	v_cndmask_b32_e32 v6, 0, v7, vcc
	v_and_or_b32 v5, v5, s1, v6
	v_trunc_f32_e32 v5, v5
	v_mul_f32_e32 v6, 0x2f800000, v5
	v_floor_f32_e32 v6, v6
	v_fmac_f32_e32 v5, 0xcf800000, v6
	v_cvt_u32_f32_e32 v5, v5
	v_cvt_u32_f32_e32 v6, v6
.LBB364_319:
	s_mov_b64 s[0:1], 0
.LBB364_320:
	s_andn2_b64 vcc, exec, s[0:1]
	s_cbranch_vccnz .LBB364_322
; %bb.321:
	global_load_ubyte v5, v[3:4], off
	s_movk_i32 s0, 0x7f00
	s_brev_b32 s1, 16
	s_brev_b32 s40, 1
	s_waitcnt vmcnt(0)
	v_lshlrev_b16_e32 v6, 8, v5
	v_lshlrev_b32_e32 v5, 25, v5
	v_lshrrev_b32_e32 v7, 4, v5
	v_and_or_b32 v8, v6, s0, 0.5
	v_or_b32_e32 v7, 0x70000000, v7
	v_add_f32_e32 v8, -0.5, v8
	v_mul_f32_e32 v7, 0x7800000, v7
	v_cmp_gt_u32_e32 vcc, s1, v5
	v_bfe_i32 v6, v6, 0, 16
	v_cndmask_b32_e32 v5, v7, v8, vcc
	v_and_or_b32 v5, v6, s40, v5
	v_trunc_f32_e32 v5, v5
	v_mul_f32_e32 v6, 0x2f800000, v5
	v_floor_f32_e32 v6, v6
	v_fmac_f32_e32 v5, 0xcf800000, v6
	v_cvt_u32_f32_e32 v5, v5
	v_cvt_u32_f32_e32 v6, v6
.LBB364_322:
	s_mov_b64 s[40:41], 0
	s_mov_b64 s[0:1], -1
.LBB364_323:
	s_andn2_b64 vcc, exec, s[40:41]
	s_cbranch_vccnz .LBB364_334
; %bb.324:
	s_cmp_gt_i32 s48, 14
	s_cbranch_scc0 .LBB364_327
; %bb.325:
	s_cmp_eq_u32 s48, 15
	s_cbranch_scc0 .LBB364_328
; %bb.326:
	global_load_ushort v5, v[3:4], off
	s_mov_b64 s[0:1], -1
	s_mov_b64 s[42:43], 0
	s_waitcnt vmcnt(0)
	v_lshlrev_b32_e32 v5, 16, v5
	v_trunc_f32_e32 v5, v5
	v_mul_f32_e32 v6, 0x2f800000, v5
	v_floor_f32_e32 v6, v6
	v_fmac_f32_e32 v5, 0xcf800000, v6
	v_cvt_u32_f32_e32 v5, v5
	v_cvt_u32_f32_e32 v6, v6
	s_branch .LBB364_329
.LBB364_327:
	s_mov_b64 s[40:41], -1
                                        ; implicit-def: $vgpr5_vgpr6
	s_branch .LBB364_330
.LBB364_328:
	s_mov_b64 s[42:43], -1
                                        ; implicit-def: $vgpr5_vgpr6
.LBB364_329:
	s_mov_b64 s[40:41], 0
.LBB364_330:
	s_and_b64 vcc, exec, s[40:41]
	s_cbranch_vccz .LBB364_334
; %bb.331:
	s_cmp_eq_u32 s48, 11
	s_cbranch_scc0 .LBB364_333
; %bb.332:
	global_load_ubyte v5, v[3:4], off
	s_mov_b32 s40, 0
	s_mov_b64 s[0:1], -1
	s_waitcnt vmcnt(1)
	v_mov_b32_e32 v6, s40
	s_mov_b64 s[42:43], 0
	s_waitcnt vmcnt(0)
	v_cmp_ne_u16_e32 vcc, 0, v5
	v_cndmask_b32_e64 v5, 0, 1, vcc
	s_branch .LBB364_334
.LBB364_333:
	s_mov_b64 s[42:43], -1
                                        ; implicit-def: $vgpr5_vgpr6
.LBB364_334:
	s_branch .LBB364_31
.LBB364_335:
	s_and_b32 s14, 0xffff, s14
	s_cmp_lt_i32 s14, 5
	s_cbranch_scc1 .LBB364_340
; %bb.336:
	s_cmp_lt_i32 s14, 8
	s_cbranch_scc1 .LBB364_341
; %bb.337:
	;; [unrolled: 3-line block ×3, first 2 shown]
	s_cmp_gt_i32 s14, 9
	s_cbranch_scc0 .LBB364_343
; %bb.339:
	global_load_dwordx2 v[5:6], v[3:4], off
	s_movk_i32 s0, 0xffe0
	s_waitcnt vmcnt(0)
	v_trunc_f64_e32 v[5:6], v[5:6]
	v_ldexp_f64 v[7:8], v[5:6], s0
	s_mov_b32 s0, 0
	s_mov_b32 s1, 0xc1f00000
	v_floor_f64_e32 v[7:8], v[7:8]
	v_fma_f64 v[11:12], v[7:8], s[0:1], v[5:6]
	v_cvt_u32_f64_e32 v6, v[7:8]
	s_mov_b64 s[0:1], 0
	v_cvt_u32_f64_e32 v5, v[11:12]
	s_branch .LBB364_344
.LBB364_340:
	s_mov_b64 s[0:1], -1
                                        ; implicit-def: $vgpr5_vgpr6
	s_branch .LBB364_362
.LBB364_341:
	s_mov_b64 s[0:1], -1
                                        ; implicit-def: $vgpr5_vgpr6
	s_branch .LBB364_350
.LBB364_342:
	s_mov_b64 s[0:1], -1
                                        ; implicit-def: $vgpr5_vgpr6
	s_branch .LBB364_347
.LBB364_343:
	s_mov_b64 s[0:1], -1
                                        ; implicit-def: $vgpr5_vgpr6
.LBB364_344:
	s_andn2_b64 vcc, exec, s[0:1]
	s_cbranch_vccnz .LBB364_346
; %bb.345:
	global_load_dword v5, v[3:4], off
	s_waitcnt vmcnt(0)
	v_trunc_f32_e32 v5, v5
	v_mul_f32_e32 v6, 0x2f800000, v5
	v_floor_f32_e32 v7, v6
	v_fmac_f32_e32 v5, 0xcf800000, v7
	v_cvt_u32_f32_e32 v6, v7
	v_cvt_u32_f32_e32 v5, v5
.LBB364_346:
	s_mov_b64 s[0:1], 0
.LBB364_347:
	s_andn2_b64 vcc, exec, s[0:1]
	s_cbranch_vccnz .LBB364_349
; %bb.348:
	global_load_dword v5, v[3:4], off
	s_waitcnt vmcnt(1)
	v_mov_b32_e32 v6, 0
	s_waitcnt vmcnt(0)
	v_cvt_f32_f16_e32 v5, v5
	v_cvt_u32_f32_e32 v5, v5
.LBB364_349:
	s_mov_b64 s[0:1], 0
.LBB364_350:
	s_andn2_b64 vcc, exec, s[0:1]
	s_cbranch_vccnz .LBB364_361
; %bb.351:
	s_cmp_lt_i32 s14, 6
	s_cbranch_scc1 .LBB364_354
; %bb.352:
	s_cmp_gt_i32 s14, 6
	s_cbranch_scc0 .LBB364_355
; %bb.353:
	global_load_dwordx2 v[5:6], v[3:4], off
	s_movk_i32 s0, 0xffe0
	s_waitcnt vmcnt(0)
	v_trunc_f64_e32 v[5:6], v[5:6]
	v_ldexp_f64 v[7:8], v[5:6], s0
	s_mov_b32 s0, 0
	s_mov_b32 s1, 0xc1f00000
	v_floor_f64_e32 v[7:8], v[7:8]
	v_fma_f64 v[11:12], v[7:8], s[0:1], v[5:6]
	v_cvt_u32_f64_e32 v6, v[7:8]
	s_mov_b64 s[0:1], 0
	v_cvt_u32_f64_e32 v5, v[11:12]
	s_branch .LBB364_356
.LBB364_354:
	s_mov_b64 s[0:1], -1
                                        ; implicit-def: $vgpr5_vgpr6
	s_branch .LBB364_359
.LBB364_355:
	s_mov_b64 s[0:1], -1
                                        ; implicit-def: $vgpr5_vgpr6
.LBB364_356:
	s_andn2_b64 vcc, exec, s[0:1]
	s_cbranch_vccnz .LBB364_358
; %bb.357:
	global_load_dword v5, v[3:4], off
	s_waitcnt vmcnt(0)
	v_trunc_f32_e32 v5, v5
	v_mul_f32_e32 v6, 0x2f800000, v5
	v_floor_f32_e32 v7, v6
	v_fmac_f32_e32 v5, 0xcf800000, v7
	v_cvt_u32_f32_e32 v6, v7
	v_cvt_u32_f32_e32 v5, v5
.LBB364_358:
	s_mov_b64 s[0:1], 0
.LBB364_359:
	s_andn2_b64 vcc, exec, s[0:1]
	s_cbranch_vccnz .LBB364_361
; %bb.360:
	global_load_ushort v5, v[3:4], off
	s_waitcnt vmcnt(1)
	v_mov_b32_e32 v6, 0
	s_waitcnt vmcnt(0)
	v_cvt_f32_f16_e32 v5, v5
	v_cvt_u32_f32_e32 v5, v5
.LBB364_361:
	s_mov_b64 s[0:1], 0
.LBB364_362:
	s_andn2_b64 vcc, exec, s[0:1]
	s_cbranch_vccnz .LBB364_382
; %bb.363:
	s_cmp_lt_i32 s14, 2
	s_cbranch_scc1 .LBB364_367
; %bb.364:
	s_cmp_lt_i32 s14, 3
	s_cbranch_scc1 .LBB364_368
; %bb.365:
	s_cmp_gt_i32 s14, 3
	s_cbranch_scc0 .LBB364_369
; %bb.366:
	global_load_dwordx2 v[5:6], v[3:4], off
	s_mov_b64 s[0:1], 0
	s_branch .LBB364_370
.LBB364_367:
	s_mov_b64 s[0:1], -1
                                        ; implicit-def: $vgpr5_vgpr6
	s_branch .LBB364_376
.LBB364_368:
	s_mov_b64 s[0:1], -1
                                        ; implicit-def: $vgpr5_vgpr6
	s_branch .LBB364_373
.LBB364_369:
	s_mov_b64 s[0:1], -1
                                        ; implicit-def: $vgpr5_vgpr6
.LBB364_370:
	s_andn2_b64 vcc, exec, s[0:1]
	s_cbranch_vccnz .LBB364_372
; %bb.371:
	global_load_dword v5, v[3:4], off
	s_waitcnt vmcnt(0)
	v_ashrrev_i32_e32 v6, 31, v5
.LBB364_372:
	s_mov_b64 s[0:1], 0
.LBB364_373:
	s_andn2_b64 vcc, exec, s[0:1]
	s_cbranch_vccnz .LBB364_375
; %bb.374:
	global_load_ushort v5, v[3:4], off
	s_waitcnt vmcnt(0)
	v_bfe_i32 v5, v5, 0, 16
	v_ashrrev_i32_e32 v6, 31, v5
.LBB364_375:
	s_mov_b64 s[0:1], 0
.LBB364_376:
	s_andn2_b64 vcc, exec, s[0:1]
	s_cbranch_vccnz .LBB364_382
; %bb.377:
	s_cmp_gt_i32 s14, 0
	s_cbranch_scc0 .LBB364_379
; %bb.378:
	global_load_sbyte v5, v[3:4], off
	s_mov_b64 s[0:1], 0
	s_waitcnt vmcnt(0)
	v_bfe_i32 v5, v5, 0, 16
	v_ashrrev_i32_e32 v6, 31, v5
	s_branch .LBB364_380
.LBB364_379:
	s_mov_b64 s[0:1], -1
                                        ; implicit-def: $vgpr5_vgpr6
.LBB364_380:
	s_andn2_b64 vcc, exec, s[0:1]
	s_cbranch_vccnz .LBB364_382
; %bb.381:
	global_load_ubyte v3, v[3:4], off
	s_mov_b32 s0, 0
	s_waitcnt vmcnt(1)
	v_mov_b32_e32 v6, s0
	s_waitcnt vmcnt(0)
	v_and_b32_e32 v5, 0xffff, v3
.LBB364_382:
	s_branch .LBB364_32
.LBB364_383:
	s_mov_b64 s[0:1], 0
.LBB364_384:
                                        ; implicit-def: $vgpr10
	s_mov_b64 s[48:49], 0
.LBB364_385:
	s_and_b64 s[40:41], s[0:1], exec
	s_and_b64 s[42:43], s[42:43], exec
	;; [unrolled: 1-line block ×3, first 2 shown]
	s_orn2_b64 s[0:1], s[48:49], exec
.LBB364_386:
	s_or_b64 exec, exec, s[46:47]
	s_mov_b64 s[54:55], 0
	s_mov_b64 s[52:53], 0
                                        ; implicit-def: $sgpr14
                                        ; implicit-def: $vgpr4_vgpr5
                                        ; implicit-def: $vgpr0
                                        ; implicit-def: $vgpr3
                                        ; implicit-def: $vgpr1_vgpr2
	s_and_saveexec_b64 s[46:47], s[0:1]
	s_cbranch_execz .LBB364_394
; %bb.387:
	v_cmp_gt_i32_e32 vcc, s70, v10
	s_mov_b64 s[0:1], -1
	s_mov_b64 s[48:49], s[44:45]
	s_mov_b64 s[50:51], s[42:43]
	;; [unrolled: 1-line block ×3, first 2 shown]
	s_and_saveexec_b64 s[54:55], vcc
	s_cbranch_execz .LBB364_779
; %bb.388:
	s_andn2_b64 vcc, exec, s[24:25]
	s_cbranch_vccnz .LBB364_397
; %bb.389:
	s_andn2_b64 vcc, exec, s[38:39]
	s_cbranch_vccnz .LBB364_398
; %bb.390:
	s_add_i32 s0, s75, 1
	s_and_b32 s14, s0, 30
	s_add_u32 s0, s2, 0xffffffe8
	s_addc_u32 s1, s3, -1
	v_mov_b32_e32 v3, 0
	s_waitcnt vmcnt(0)
	v_mov_b32_e32 v5, 0
	v_mov_b32_e32 v0, 0
	;; [unrolled: 1-line block ×3, first 2 shown]
.LBB364_391:                            ; =>This Inner Loop Header: Depth=1
	s_load_dwordx4 s[48:51], s[0:1], 0x1c
	s_load_dwordx2 s[52:53], s[0:1], 0x2c
	s_load_dwordx2 s[60:61], s[0:1], 0xec
	s_load_dwordx4 s[56:59], s[0:1], 0xdc
	s_add_u32 s0, s0, 24
	s_waitcnt lgkmcnt(0)
	v_mul_hi_u32 v2, s49, v1
	s_addc_u32 s1, s1, 0
	s_add_i32 s14, s14, -2
	s_cmp_eq_u32 s14, 0
	v_add_u32_e32 v2, v1, v2
	v_lshrrev_b32_e32 v2, s50, v2
	v_mul_lo_u32 v4, v2, s48
	v_mul_hi_u32 v6, s52, v2
	v_sub_u32_e32 v4, v1, v4
	v_add_u32_e32 v1, v2, v6
	v_lshrrev_b32_e32 v1, s53, v1
	v_mul_lo_u32 v8, v1, s51
	v_mul_lo_u32 v6, v4, s56
	;; [unrolled: 1-line block ×4, first 2 shown]
	v_sub_u32_e32 v2, v2, v8
	v_mul_lo_u32 v8, v2, s59
	v_mul_lo_u32 v9, v2, s60
	v_mul_lo_u32 v2, v2, s61
	v_add3_u32 v0, v6, v0, v8
	v_add3_u32 v5, v7, v5, v9
	;; [unrolled: 1-line block ×3, first 2 shown]
	s_cbranch_scc0 .LBB364_391
; %bb.392:
	s_bitcmp1_b32 s75, 0
	s_cselect_b64 s[48:49], -1, 0
	s_and_b64 vcc, exec, s[48:49]
	s_cbranch_vccnz .LBB364_399
; %bb.393:
	s_load_dwordx2 s[48:49], s[0:1], 0x1c
	s_load_dword s14, s[0:1], 0x24
	s_load_dwordx2 s[50:51], s[0:1], 0xdc
	s_waitcnt lgkmcnt(0)
	v_mul_hi_u32 v2, s49, v1
	v_add_u32_e32 v2, v1, v2
	v_lshrrev_b32_e32 v2, s14, v2
	v_mul_lo_u32 v2, v2, s48
	s_load_dword s14, s[0:1], 0xe4
	v_sub_u32_e32 v2, v1, v2
	v_mad_u64_u32 v[0:1], s[0:1], v2, s50, v[0:1]
	v_mad_u64_u32 v[5:6], s[0:1], v2, s51, v[5:6]
	s_waitcnt lgkmcnt(0)
	v_mad_u64_u32 v[3:4], s[0:1], v2, s14, v[3:4]
	s_branch .LBB364_399
.LBB364_394:
	s_or_b64 exec, exec, s[46:47]
	s_mov_b64 s[10:11], 0
	s_and_saveexec_b64 s[0:1], s[44:45]
	s_cbranch_execnz .LBB364_1265
.LBB364_395:
	s_or_b64 exec, exec, s[0:1]
	s_and_saveexec_b64 s[0:1], s[50:51]
	s_xor_b64 s[0:1], exec, s[0:1]
	s_cbranch_execz .LBB364_1266
.LBB364_396:
	s_waitcnt vmcnt(0)
	global_load_ubyte v1, v[4:5], off
	s_mov_b32 s16, 0
	v_mov_b32_e32 v2, s16
	s_or_b64 s[52:53], s[52:53], exec
	s_waitcnt vmcnt(0)
	v_cmp_ne_u16_e32 vcc, 0, v1
	v_cndmask_b32_e64 v1, 0, 1, vcc
	s_or_b64 exec, exec, s[0:1]
	s_and_saveexec_b64 s[0:1], s[54:55]
	s_cbranch_execz .LBB364_1312
	s_branch .LBB364_1267
.LBB364_397:
                                        ; implicit-def: $vgpr0
                                        ; implicit-def: $vgpr5
                                        ; implicit-def: $vgpr3
	s_andn2_b64 vcc, exec, s[0:1]
	s_cbranch_vccz .LBB364_400
	s_branch .LBB364_402
.LBB364_398:
	v_mov_b32_e32 v0, 0
	s_waitcnt vmcnt(0)
	v_mov_b32_e32 v5, 0
	v_mov_b32_e32 v3, 0
.LBB364_399:
	s_cbranch_execnz .LBB364_402
.LBB364_400:
	v_mul_hi_u32 v0, s17, v10
	s_andn2_b64 vcc, exec, s[36:37]
	v_add_u32_e32 v0, v10, v0
	s_waitcnt vmcnt(0)
	v_lshrrev_b32_e32 v1, s18, v0
	v_mul_lo_u32 v0, v1, s16
	v_sub_u32_e32 v2, v10, v0
	v_mul_lo_u32 v0, v2, s20
	v_mul_lo_u32 v5, v2, s21
	v_mul_lo_u32 v3, v2, s22
	s_cbranch_vccnz .LBB364_402
; %bb.401:
	v_mul_hi_u32 v2, s34, v1
	v_add_u32_e32 v2, v1, v2
	v_lshrrev_b32_e32 v2, s35, v2
	v_mul_lo_u32 v2, v2, s19
	v_sub_u32_e32 v2, v1, v2
	v_mad_u64_u32 v[0:1], s[0:1], v2, s23, v[0:1]
	v_mad_u64_u32 v[5:6], s[0:1], v2, s30, v[5:6]
	;; [unrolled: 1-line block ×3, first 2 shown]
.LBB364_402:
	s_waitcnt vmcnt(0)
	v_mov_b32_e32 v1, s11
	s_and_b32 s14, s74, 0xff
	v_add_co_u32_e32 v4, vcc, s10, v5
	s_cmp_lt_i32 s14, 11
	v_addc_co_u32_e32 v5, vcc, 0, v1, vcc
	s_cbranch_scc1 .LBB364_409
; %bb.403:
	s_and_b32 s52, 0xffff, s14
	s_cmp_gt_i32 s52, 25
	s_cbranch_scc0 .LBB364_418
; %bb.404:
	s_cmp_gt_i32 s52, 28
	s_cbranch_scc0 .LBB364_420
; %bb.405:
	;; [unrolled: 3-line block ×4, first 2 shown]
	s_cmp_eq_u32 s52, 46
	s_mov_b64 s[50:51], 0
	s_cbranch_scc0 .LBB364_428
; %bb.408:
	global_load_dword v1, v[4:5], off
	s_mov_b64 s[0:1], -1
	s_mov_b64 s[48:49], 0
	s_waitcnt vmcnt(0)
	v_lshlrev_b32_e32 v1, 16, v1
	v_trunc_f32_e32 v1, v1
	v_mul_f32_e32 v2, 0x2f800000, v1
	v_floor_f32_e32 v2, v2
	v_fmac_f32_e32 v1, 0xcf800000, v2
	v_cvt_u32_f32_e32 v1, v1
	v_cvt_u32_f32_e32 v2, v2
	s_branch .LBB364_429
.LBB364_409:
	s_mov_b64 s[0:1], 0
                                        ; implicit-def: $vgpr1_vgpr2
	s_mov_b64 s[48:49], s[44:45]
	s_cbranch_execnz .LBB364_491
.LBB364_410:
	s_andn2_b64 vcc, exec, s[0:1]
	s_cbranch_vccnz .LBB364_539
.LBB364_411:
	v_mov_b32_e32 v4, s13
	s_and_b32 s14, s73, 0xff
	v_add_co_u32_e32 v3, vcc, s12, v3
	s_cmp_lt_i32 s14, 11
	v_addc_co_u32_e32 v4, vcc, 0, v4, vcc
	s_cbranch_scc1 .LBB364_419
; %bb.412:
	s_and_b32 s56, 0xffff, s14
	s_cmp_gt_i32 s56, 25
	s_cbranch_scc0 .LBB364_421
; %bb.413:
	s_cmp_gt_i32 s56, 28
	s_cbranch_scc0 .LBB364_423
; %bb.414:
	;; [unrolled: 3-line block ×4, first 2 shown]
	s_cmp_eq_u32 s56, 46
	s_mov_b64 s[52:53], 0
	s_cbranch_scc0 .LBB364_543
; %bb.417:
	global_load_dword v5, v[3:4], off
	s_mov_b64 s[0:1], -1
	s_mov_b64 s[50:51], 0
	s_waitcnt vmcnt(0)
	v_lshlrev_b32_e32 v5, 16, v5
	v_trunc_f32_e32 v5, v5
	v_mul_f32_e32 v6, 0x2f800000, v5
	v_floor_f32_e32 v6, v6
	v_fmac_f32_e32 v5, 0xcf800000, v6
	v_cvt_u32_f32_e32 v5, v5
	v_cvt_u32_f32_e32 v6, v6
	s_branch .LBB364_544
.LBB364_418:
	s_mov_b64 s[50:51], -1
	s_mov_b64 s[0:1], 0
	s_mov_b64 s[48:49], s[44:45]
                                        ; implicit-def: $vgpr1_vgpr2
	s_branch .LBB364_459
.LBB364_419:
	s_mov_b64 s[52:53], -1
	s_mov_b64 s[0:1], 0
                                        ; implicit-def: $vgpr5_vgpr6
	s_mov_b64 s[50:51], s[42:43]
	s_branch .LBB364_605
.LBB364_420:
	s_mov_b64 s[50:51], -1
	s_mov_b64 s[0:1], 0
	s_mov_b64 s[48:49], s[44:45]
                                        ; implicit-def: $vgpr1_vgpr2
	s_branch .LBB364_440
.LBB364_421:
	s_mov_b64 s[52:53], -1
	s_mov_b64 s[0:1], 0
	s_mov_b64 s[50:51], s[42:43]
                                        ; implicit-def: $vgpr5_vgpr6
	s_branch .LBB364_573
.LBB364_422:
	s_mov_b64 s[50:51], -1
	s_mov_b64 s[0:1], 0
	s_mov_b64 s[48:49], s[44:45]
                                        ; implicit-def: $vgpr1_vgpr2
	s_branch .LBB364_435
.LBB364_423:
	s_mov_b64 s[52:53], -1
	s_mov_b64 s[0:1], 0
	s_mov_b64 s[50:51], s[42:43]
                                        ; implicit-def: $vgpr5_vgpr6
	s_branch .LBB364_554
.LBB364_424:
	s_mov_b64 s[50:51], -1
	s_mov_b64 s[0:1], 0
	s_mov_b64 s[48:49], s[44:45]
                                        ; implicit-def: $vgpr1_vgpr2
	s_branch .LBB364_429
.LBB364_425:
	s_mov_b64 s[52:53], -1
	s_mov_b64 s[0:1], 0
	s_mov_b64 s[50:51], s[42:43]
                                        ; implicit-def: $vgpr5_vgpr6
	s_branch .LBB364_549
.LBB364_426:
	s_andn2_saveexec_b64 s[54:55], s[54:55]
	s_cbranch_execz .LBB364_187
.LBB364_427:
	v_add_f32_e32 v2, 0x46000000, v3
	v_and_b32_e32 v2, 0xff, v2
	v_cmp_ne_u32_e32 vcc, 0, v2
	s_andn2_b64 s[52:53], s[52:53], exec
	s_and_b64 s[58:59], vcc, exec
	s_or_b64 s[52:53], s[52:53], s[58:59]
	s_or_b64 exec, exec, s[54:55]
	v_mov_b32_e32 v4, 0
	s_and_saveexec_b64 s[54:55], s[52:53]
	s_cbranch_execnz .LBB364_188
	s_branch .LBB364_189
.LBB364_428:
	s_mov_b64 s[48:49], -1
                                        ; implicit-def: $vgpr1_vgpr2
	s_mov_b64 s[0:1], 0
.LBB364_429:
	s_and_b64 vcc, exec, s[50:51]
	s_cbranch_vccz .LBB364_434
; %bb.430:
	s_cmp_eq_u32 s52, 44
	s_cbranch_scc0 .LBB364_433
; %bb.431:
	global_load_ubyte v1, v[4:5], off
	s_mov_b64 s[0:1], -1
	s_mov_b64 s[48:49], 0
	s_waitcnt vmcnt(0)
	v_lshlrev_b32_e32 v2, 23, v1
	v_trunc_f32_e32 v2, v2
	v_mul_f32_e32 v6, 0x2f800000, v2
	v_floor_f32_e32 v6, v6
	v_fmac_f32_e32 v2, 0xcf800000, v6
	v_cvt_u32_f32_e32 v6, v6
	v_cvt_u32_f32_e32 v7, v2
	v_cmp_ne_u32_e32 vcc, 0, v1
	v_cndmask_b32_e32 v2, 0, v6, vcc
	v_cndmask_b32_e32 v1, 0, v7, vcc
	s_branch .LBB364_434
.LBB364_432:
	s_mov_b64 s[52:53], -1
	s_mov_b64 s[0:1], 0
	s_mov_b64 s[50:51], s[42:43]
                                        ; implicit-def: $vgpr5_vgpr6
	s_branch .LBB364_544
.LBB364_433:
	s_mov_b64 s[48:49], -1
                                        ; implicit-def: $vgpr1_vgpr2
.LBB364_434:
	s_mov_b64 s[50:51], 0
.LBB364_435:
	s_and_b64 vcc, exec, s[50:51]
	s_cbranch_vccz .LBB364_439
; %bb.436:
	s_cmp_eq_u32 s52, 29
	s_cbranch_scc0 .LBB364_438
; %bb.437:
	global_load_dwordx2 v[1:2], v[4:5], off
	s_mov_b64 s[0:1], -1
	s_mov_b64 s[48:49], 0
	s_branch .LBB364_439
.LBB364_438:
	s_mov_b64 s[48:49], -1
                                        ; implicit-def: $vgpr1_vgpr2
.LBB364_439:
	s_mov_b64 s[50:51], 0
.LBB364_440:
	s_and_b64 vcc, exec, s[50:51]
	s_cbranch_vccz .LBB364_458
; %bb.441:
	s_cmp_lt_i32 s52, 27
	s_cbranch_scc1 .LBB364_444
; %bb.442:
	s_cmp_gt_i32 s52, 27
	s_cbranch_scc0 .LBB364_445
; %bb.443:
	global_load_dword v1, v[4:5], off
	s_waitcnt vmcnt(1)
	v_mov_b32_e32 v2, 0
	s_mov_b64 s[0:1], 0
	s_branch .LBB364_446
.LBB364_444:
	s_mov_b64 s[0:1], -1
                                        ; implicit-def: $vgpr1_vgpr2
	s_branch .LBB364_449
.LBB364_445:
	s_mov_b64 s[0:1], -1
                                        ; implicit-def: $vgpr1_vgpr2
.LBB364_446:
	s_andn2_b64 vcc, exec, s[0:1]
	s_cbranch_vccnz .LBB364_448
; %bb.447:
	global_load_ushort v1, v[4:5], off
	s_mov_b32 s0, 0
	s_waitcnt vmcnt(1)
	v_mov_b32_e32 v2, s0
	s_waitcnt vmcnt(0)
	v_and_b32_e32 v1, 0xffff, v1
.LBB364_448:
	s_mov_b64 s[0:1], 0
.LBB364_449:
	s_andn2_b64 vcc, exec, s[0:1]
	s_cbranch_vccnz .LBB364_457
; %bb.450:
	global_load_ubyte v6, v[4:5], off
	s_movk_i32 s0, 0x7f
	s_mov_b64 s[50:51], 0
	s_waitcnt vmcnt(0)
	v_cmp_lt_i16_e32 vcc, s0, v6
	s_and_saveexec_b64 s[0:1], vcc
	s_xor_b64 s[0:1], exec, s[0:1]
; %bb.451:
	s_movk_i32 s50, 0x80
	v_cmp_ne_u16_e32 vcc, s50, v6
	s_and_b64 s[50:51], vcc, exec
; %bb.452:
	s_andn2_saveexec_b64 s[0:1], s[0:1]
; %bb.453:
	v_cmp_ne_u16_e32 vcc, 0, v6
	s_andn2_b64 s[50:51], s[50:51], exec
	s_and_b64 s[56:57], vcc, exec
	s_or_b64 s[50:51], s[50:51], s[56:57]
; %bb.454:
	s_or_b64 exec, exec, s[0:1]
	v_mov_b32_e32 v1, 0
	v_mov_b32_e32 v2, 0
	s_and_saveexec_b64 s[0:1], s[50:51]
	s_cbranch_execz .LBB364_456
; %bb.455:
	v_and_b32_e32 v2, 0xffff, v6
	v_lshlrev_b32_e32 v1, 24, v6
	v_and_b32_e32 v6, 7, v2
	v_ffbh_u32_e32 v8, v6
	v_min_u32_e32 v8, 32, v8
	v_subrev_u32_e32 v9, 28, v8
	v_bfe_u32 v7, v2, 3, 4
	v_lshlrev_b32_e32 v2, v9, v2
	v_sub_u32_e32 v8, 29, v8
	v_and_b32_e32 v2, 7, v2
	v_cmp_eq_u32_e32 vcc, 0, v7
	v_cndmask_b32_e32 v7, v7, v8, vcc
	v_cndmask_b32_e32 v2, v6, v2, vcc
	v_mov_b32_e32 v6, 0x3b800000
	v_lshlrev_b32_e32 v2, 20, v2
	v_and_b32_e32 v1, 0x80000000, v1
	v_lshl_add_u32 v6, v7, 23, v6
	v_or3_b32 v1, v1, v6, v2
	v_trunc_f32_e32 v1, v1
	v_mul_f32_e32 v2, 0x2f800000, v1
	v_floor_f32_e32 v2, v2
	v_fmac_f32_e32 v1, 0xcf800000, v2
	v_cvt_u32_f32_e32 v1, v1
	v_cvt_u32_f32_e32 v2, v2
.LBB364_456:
	s_or_b64 exec, exec, s[0:1]
.LBB364_457:
	s_mov_b64 s[0:1], -1
.LBB364_458:
	s_mov_b64 s[50:51], 0
.LBB364_459:
	s_and_b64 vcc, exec, s[50:51]
	s_cbranch_vccz .LBB364_490
; %bb.460:
	s_cmp_gt_i32 s52, 22
	s_cbranch_scc0 .LBB364_470
; %bb.461:
	s_cmp_lt_i32 s52, 24
	s_cbranch_scc1 .LBB364_471
; %bb.462:
	s_cmp_gt_i32 s52, 24
	s_cbranch_scc0 .LBB364_472
; %bb.463:
	global_load_ubyte v6, v[4:5], off
	s_movk_i32 s0, 0x7f
	s_mov_b64 s[50:51], 0
	s_waitcnt vmcnt(0)
	v_cmp_lt_i16_e32 vcc, s0, v6
	s_and_saveexec_b64 s[0:1], vcc
	s_xor_b64 s[0:1], exec, s[0:1]
; %bb.464:
	s_movk_i32 s50, 0x80
	v_cmp_ne_u16_e32 vcc, s50, v6
	s_and_b64 s[50:51], vcc, exec
; %bb.465:
	s_andn2_saveexec_b64 s[0:1], s[0:1]
; %bb.466:
	v_cmp_ne_u16_e32 vcc, 0, v6
	s_andn2_b64 s[50:51], s[50:51], exec
	s_and_b64 s[56:57], vcc, exec
	s_or_b64 s[50:51], s[50:51], s[56:57]
; %bb.467:
	s_or_b64 exec, exec, s[0:1]
	v_mov_b32_e32 v1, 0
	v_mov_b32_e32 v2, 0
	s_and_saveexec_b64 s[0:1], s[50:51]
	s_cbranch_execz .LBB364_469
; %bb.468:
	v_and_b32_e32 v2, 0xffff, v6
	v_lshlrev_b32_e32 v1, 24, v6
	v_and_b32_e32 v6, 3, v2
	v_ffbh_u32_e32 v8, v6
	v_min_u32_e32 v8, 32, v8
	v_subrev_u32_e32 v9, 29, v8
	v_bfe_u32 v7, v2, 2, 5
	v_lshlrev_b32_e32 v2, v9, v2
	v_sub_u32_e32 v8, 30, v8
	v_and_b32_e32 v2, 3, v2
	v_cmp_eq_u32_e32 vcc, 0, v7
	v_cndmask_b32_e32 v7, v7, v8, vcc
	v_cndmask_b32_e32 v2, v6, v2, vcc
	v_mov_b32_e32 v6, 0x37800000
	v_lshlrev_b32_e32 v2, 21, v2
	v_and_b32_e32 v1, 0x80000000, v1
	v_lshl_add_u32 v6, v7, 23, v6
	v_or3_b32 v1, v1, v6, v2
	v_trunc_f32_e32 v1, v1
	v_mul_f32_e32 v2, 0x2f800000, v1
	v_floor_f32_e32 v2, v2
	v_fmac_f32_e32 v1, 0xcf800000, v2
	v_cvt_u32_f32_e32 v1, v1
	v_cvt_u32_f32_e32 v2, v2
.LBB364_469:
	s_or_b64 exec, exec, s[0:1]
	s_mov_b64 s[0:1], 0
	s_branch .LBB364_473
.LBB364_470:
	s_mov_b64 s[50:51], -1
                                        ; implicit-def: $vgpr1_vgpr2
	s_branch .LBB364_479
.LBB364_471:
	s_mov_b64 s[0:1], -1
                                        ; implicit-def: $vgpr1_vgpr2
	s_branch .LBB364_476
.LBB364_472:
	s_mov_b64 s[0:1], -1
                                        ; implicit-def: $vgpr1_vgpr2
.LBB364_473:
	s_and_b64 vcc, exec, s[0:1]
	s_cbranch_vccz .LBB364_475
; %bb.474:
	global_load_ubyte v1, v[4:5], off
	s_mov_b32 s0, 0x7f800000
	s_brev_b32 s1, 1
	s_waitcnt vmcnt(0)
	v_lshlrev_b32_e32 v1, 24, v1
	v_and_b32_e32 v2, 0x7f000000, v1
	v_ffbh_u32_e32 v6, v2
	v_min_u32_e32 v6, 32, v6
	v_sub_u32_e64 v6, v6, 4 clamp
	v_lshlrev_b32_e32 v8, v6, v2
	v_lshlrev_b32_e32 v6, 23, v6
	v_lshrrev_b32_e32 v8, 4, v8
	v_add_u32_e32 v7, 0x1000000, v2
	v_sub_u32_e32 v6, v8, v6
	v_ashrrev_i32_e32 v7, 8, v7
	v_add_u32_e32 v6, 0x3c000000, v6
	v_and_or_b32 v6, v7, s0, v6
	v_cmp_ne_u32_e32 vcc, 0, v2
	v_cndmask_b32_e32 v2, 0, v6, vcc
	v_and_or_b32 v1, v1, s1, v2
	v_trunc_f32_e32 v1, v1
	v_mul_f32_e32 v2, 0x2f800000, v1
	v_floor_f32_e32 v2, v2
	v_fmac_f32_e32 v1, 0xcf800000, v2
	v_cvt_u32_f32_e32 v1, v1
	v_cvt_u32_f32_e32 v2, v2
.LBB364_475:
	s_mov_b64 s[0:1], 0
.LBB364_476:
	s_andn2_b64 vcc, exec, s[0:1]
	s_cbranch_vccnz .LBB364_478
; %bb.477:
	global_load_ubyte v1, v[4:5], off
	s_movk_i32 s0, 0x7f00
	s_brev_b32 s1, 16
	s_brev_b32 s50, 1
	s_waitcnt vmcnt(0)
	v_lshlrev_b16_e32 v2, 8, v1
	v_lshlrev_b32_e32 v1, 25, v1
	v_lshrrev_b32_e32 v6, 4, v1
	v_and_or_b32 v7, v2, s0, 0.5
	v_or_b32_e32 v6, 0x70000000, v6
	v_add_f32_e32 v7, -0.5, v7
	v_mul_f32_e32 v6, 0x7800000, v6
	v_cmp_gt_u32_e32 vcc, s1, v1
	v_bfe_i32 v2, v2, 0, 16
	v_cndmask_b32_e32 v1, v6, v7, vcc
	v_and_or_b32 v1, v2, s50, v1
	v_trunc_f32_e32 v1, v1
	v_mul_f32_e32 v2, 0x2f800000, v1
	v_floor_f32_e32 v2, v2
	v_fmac_f32_e32 v1, 0xcf800000, v2
	v_cvt_u32_f32_e32 v1, v1
	v_cvt_u32_f32_e32 v2, v2
.LBB364_478:
	s_mov_b64 s[50:51], 0
	s_mov_b64 s[0:1], -1
.LBB364_479:
	s_andn2_b64 vcc, exec, s[50:51]
	s_cbranch_vccnz .LBB364_490
; %bb.480:
	s_cmp_gt_i32 s52, 14
	s_cbranch_scc0 .LBB364_483
; %bb.481:
	s_cmp_eq_u32 s52, 15
	s_cbranch_scc0 .LBB364_484
; %bb.482:
	global_load_ushort v1, v[4:5], off
	s_mov_b64 s[0:1], -1
	s_mov_b64 s[48:49], 0
	s_waitcnt vmcnt(0)
	v_lshlrev_b32_e32 v1, 16, v1
	v_trunc_f32_e32 v1, v1
	v_mul_f32_e32 v2, 0x2f800000, v1
	v_floor_f32_e32 v2, v2
	v_fmac_f32_e32 v1, 0xcf800000, v2
	v_cvt_u32_f32_e32 v1, v1
	v_cvt_u32_f32_e32 v2, v2
	s_branch .LBB364_485
.LBB364_483:
	s_mov_b64 s[50:51], -1
                                        ; implicit-def: $vgpr1_vgpr2
	s_branch .LBB364_486
.LBB364_484:
	s_mov_b64 s[48:49], -1
                                        ; implicit-def: $vgpr1_vgpr2
.LBB364_485:
	s_mov_b64 s[50:51], 0
.LBB364_486:
	s_and_b64 vcc, exec, s[50:51]
	s_cbranch_vccz .LBB364_490
; %bb.487:
	s_cmp_eq_u32 s52, 11
	s_cbranch_scc0 .LBB364_489
; %bb.488:
	global_load_ubyte v1, v[4:5], off
	s_mov_b32 s48, 0
	s_mov_b64 s[0:1], -1
	s_waitcnt vmcnt(1)
	v_mov_b32_e32 v2, s48
	s_mov_b64 s[48:49], 0
	s_waitcnt vmcnt(0)
	v_cmp_ne_u16_e32 vcc, 0, v1
	v_cndmask_b32_e64 v1, 0, 1, vcc
	s_branch .LBB364_490
.LBB364_489:
	s_mov_b64 s[48:49], -1
                                        ; implicit-def: $vgpr1_vgpr2
.LBB364_490:
	s_branch .LBB364_410
.LBB364_491:
	s_and_b32 s14, 0xffff, s14
	s_cmp_lt_i32 s14, 5
	s_cbranch_scc1 .LBB364_496
; %bb.492:
	s_cmp_lt_i32 s14, 8
	s_cbranch_scc1 .LBB364_497
; %bb.493:
	;; [unrolled: 3-line block ×3, first 2 shown]
	s_cmp_gt_i32 s14, 9
	s_cbranch_scc0 .LBB364_499
; %bb.495:
	global_load_dwordx2 v[1:2], v[4:5], off
	s_movk_i32 s0, 0xffe0
	s_waitcnt vmcnt(0)
	v_trunc_f64_e32 v[1:2], v[1:2]
	v_ldexp_f64 v[6:7], v[1:2], s0
	s_mov_b32 s0, 0
	s_mov_b32 s1, 0xc1f00000
	v_floor_f64_e32 v[6:7], v[6:7]
	v_fma_f64 v[8:9], v[6:7], s[0:1], v[1:2]
	v_cvt_u32_f64_e32 v2, v[6:7]
	s_mov_b64 s[0:1], 0
	v_cvt_u32_f64_e32 v1, v[8:9]
	s_branch .LBB364_500
.LBB364_496:
	s_mov_b64 s[0:1], -1
                                        ; implicit-def: $vgpr1_vgpr2
	s_branch .LBB364_518
.LBB364_497:
	s_mov_b64 s[0:1], -1
                                        ; implicit-def: $vgpr1_vgpr2
	s_branch .LBB364_506
.LBB364_498:
	s_mov_b64 s[0:1], -1
                                        ; implicit-def: $vgpr1_vgpr2
	s_branch .LBB364_503
.LBB364_499:
	s_mov_b64 s[0:1], -1
                                        ; implicit-def: $vgpr1_vgpr2
.LBB364_500:
	s_andn2_b64 vcc, exec, s[0:1]
	s_cbranch_vccnz .LBB364_502
; %bb.501:
	global_load_dword v1, v[4:5], off
	s_waitcnt vmcnt(0)
	v_trunc_f32_e32 v1, v1
	v_mul_f32_e32 v2, 0x2f800000, v1
	v_floor_f32_e32 v6, v2
	v_fmac_f32_e32 v1, 0xcf800000, v6
	v_cvt_u32_f32_e32 v2, v6
	v_cvt_u32_f32_e32 v1, v1
.LBB364_502:
	s_mov_b64 s[0:1], 0
.LBB364_503:
	s_andn2_b64 vcc, exec, s[0:1]
	s_cbranch_vccnz .LBB364_505
; %bb.504:
	global_load_dword v1, v[4:5], off
	s_waitcnt vmcnt(1)
	v_mov_b32_e32 v2, 0
	s_waitcnt vmcnt(0)
	v_cvt_f32_f16_e32 v1, v1
	v_cvt_u32_f32_e32 v1, v1
.LBB364_505:
	s_mov_b64 s[0:1], 0
.LBB364_506:
	s_andn2_b64 vcc, exec, s[0:1]
	s_cbranch_vccnz .LBB364_517
; %bb.507:
	s_cmp_lt_i32 s14, 6
	s_cbranch_scc1 .LBB364_510
; %bb.508:
	s_cmp_gt_i32 s14, 6
	s_cbranch_scc0 .LBB364_511
; %bb.509:
	global_load_dwordx2 v[1:2], v[4:5], off
	s_movk_i32 s0, 0xffe0
	s_waitcnt vmcnt(0)
	v_trunc_f64_e32 v[1:2], v[1:2]
	v_ldexp_f64 v[6:7], v[1:2], s0
	s_mov_b32 s0, 0
	s_mov_b32 s1, 0xc1f00000
	v_floor_f64_e32 v[6:7], v[6:7]
	v_fma_f64 v[8:9], v[6:7], s[0:1], v[1:2]
	v_cvt_u32_f64_e32 v2, v[6:7]
	s_mov_b64 s[0:1], 0
	v_cvt_u32_f64_e32 v1, v[8:9]
	s_branch .LBB364_512
.LBB364_510:
	s_mov_b64 s[0:1], -1
                                        ; implicit-def: $vgpr1_vgpr2
	s_branch .LBB364_515
.LBB364_511:
	s_mov_b64 s[0:1], -1
                                        ; implicit-def: $vgpr1_vgpr2
.LBB364_512:
	s_andn2_b64 vcc, exec, s[0:1]
	s_cbranch_vccnz .LBB364_514
; %bb.513:
	global_load_dword v1, v[4:5], off
	s_waitcnt vmcnt(0)
	v_trunc_f32_e32 v1, v1
	v_mul_f32_e32 v2, 0x2f800000, v1
	v_floor_f32_e32 v6, v2
	v_fmac_f32_e32 v1, 0xcf800000, v6
	v_cvt_u32_f32_e32 v2, v6
	v_cvt_u32_f32_e32 v1, v1
.LBB364_514:
	s_mov_b64 s[0:1], 0
.LBB364_515:
	s_andn2_b64 vcc, exec, s[0:1]
	s_cbranch_vccnz .LBB364_517
; %bb.516:
	global_load_ushort v1, v[4:5], off
	s_waitcnt vmcnt(1)
	v_mov_b32_e32 v2, 0
	s_waitcnt vmcnt(0)
	v_cvt_f32_f16_e32 v1, v1
	v_cvt_u32_f32_e32 v1, v1
.LBB364_517:
	s_mov_b64 s[0:1], 0
.LBB364_518:
	s_andn2_b64 vcc, exec, s[0:1]
	s_cbranch_vccnz .LBB364_538
; %bb.519:
	s_cmp_lt_i32 s14, 2
	s_cbranch_scc1 .LBB364_523
; %bb.520:
	s_cmp_lt_i32 s14, 3
	s_cbranch_scc1 .LBB364_524
; %bb.521:
	s_cmp_gt_i32 s14, 3
	s_cbranch_scc0 .LBB364_525
; %bb.522:
	global_load_dwordx2 v[1:2], v[4:5], off
	s_mov_b64 s[0:1], 0
	s_branch .LBB364_526
.LBB364_523:
	s_mov_b64 s[0:1], -1
                                        ; implicit-def: $vgpr1_vgpr2
	s_branch .LBB364_532
.LBB364_524:
	s_mov_b64 s[0:1], -1
                                        ; implicit-def: $vgpr1_vgpr2
	s_branch .LBB364_529
.LBB364_525:
	s_mov_b64 s[0:1], -1
                                        ; implicit-def: $vgpr1_vgpr2
.LBB364_526:
	s_andn2_b64 vcc, exec, s[0:1]
	s_cbranch_vccnz .LBB364_528
; %bb.527:
	global_load_dword v1, v[4:5], off
	s_waitcnt vmcnt(0)
	v_ashrrev_i32_e32 v2, 31, v1
.LBB364_528:
	s_mov_b64 s[0:1], 0
.LBB364_529:
	s_andn2_b64 vcc, exec, s[0:1]
	s_cbranch_vccnz .LBB364_531
; %bb.530:
	global_load_ushort v1, v[4:5], off
	s_waitcnt vmcnt(0)
	v_bfe_i32 v1, v1, 0, 16
	v_ashrrev_i32_e32 v2, 31, v1
.LBB364_531:
	s_mov_b64 s[0:1], 0
.LBB364_532:
	s_andn2_b64 vcc, exec, s[0:1]
	s_cbranch_vccnz .LBB364_538
; %bb.533:
	s_cmp_gt_i32 s14, 0
	s_cbranch_scc0 .LBB364_535
; %bb.534:
	global_load_sbyte v1, v[4:5], off
	s_mov_b64 s[0:1], 0
	s_waitcnt vmcnt(0)
	v_bfe_i32 v1, v1, 0, 16
	v_ashrrev_i32_e32 v2, 31, v1
	s_branch .LBB364_536
.LBB364_535:
	s_mov_b64 s[0:1], -1
                                        ; implicit-def: $vgpr1_vgpr2
.LBB364_536:
	s_andn2_b64 vcc, exec, s[0:1]
	s_cbranch_vccnz .LBB364_538
; %bb.537:
	global_load_ubyte v1, v[4:5], off
	s_mov_b32 s0, 0
	s_waitcnt vmcnt(1)
	v_mov_b32_e32 v2, s0
	s_waitcnt vmcnt(0)
	v_and_b32_e32 v1, 0xffff, v1
.LBB364_538:
	s_branch .LBB364_411
.LBB364_539:
	s_mov_b64 s[56:57], 0
	s_mov_b64 s[0:1], s[40:41]
	;; [unrolled: 1-line block ×3, first 2 shown]
.LBB364_540:
                                        ; implicit-def: $vgpr10
	s_branch .LBB364_778
.LBB364_541:
	s_andn2_saveexec_b64 s[54:55], s[54:55]
	s_cbranch_execz .LBB364_200
.LBB364_542:
	v_add_f32_e32 v2, 0x42800000, v3
	v_and_b32_e32 v2, 0xff, v2
	v_cmp_ne_u32_e32 vcc, 0, v2
	s_andn2_b64 s[52:53], s[52:53], exec
	s_and_b64 s[58:59], vcc, exec
	s_or_b64 s[52:53], s[52:53], s[58:59]
	s_or_b64 exec, exec, s[54:55]
	v_mov_b32_e32 v4, 0
	s_and_saveexec_b64 s[54:55], s[52:53]
	s_cbranch_execnz .LBB364_201
	s_branch .LBB364_202
.LBB364_543:
	s_mov_b64 s[50:51], -1
                                        ; implicit-def: $vgpr5_vgpr6
	s_mov_b64 s[0:1], 0
.LBB364_544:
	s_and_b64 vcc, exec, s[52:53]
	s_cbranch_vccz .LBB364_548
; %bb.545:
	s_cmp_eq_u32 s56, 44
	s_cbranch_scc0 .LBB364_547
; %bb.546:
	global_load_ubyte v5, v[3:4], off
	s_mov_b64 s[0:1], -1
	s_mov_b64 s[50:51], 0
	s_waitcnt vmcnt(0)
	v_lshlrev_b32_e32 v6, 23, v5
	v_trunc_f32_e32 v6, v6
	v_mul_f32_e32 v7, 0x2f800000, v6
	v_floor_f32_e32 v7, v7
	v_fmac_f32_e32 v6, 0xcf800000, v7
	v_cvt_u32_f32_e32 v7, v7
	v_cvt_u32_f32_e32 v8, v6
	v_cmp_ne_u32_e32 vcc, 0, v5
	v_cndmask_b32_e32 v6, 0, v7, vcc
	v_cndmask_b32_e32 v5, 0, v8, vcc
	s_branch .LBB364_548
.LBB364_547:
	s_mov_b64 s[50:51], -1
                                        ; implicit-def: $vgpr5_vgpr6
.LBB364_548:
	s_mov_b64 s[52:53], 0
.LBB364_549:
	s_and_b64 vcc, exec, s[52:53]
	s_cbranch_vccz .LBB364_553
; %bb.550:
	s_cmp_eq_u32 s56, 29
	s_cbranch_scc0 .LBB364_552
; %bb.551:
	global_load_dwordx2 v[5:6], v[3:4], off
	s_mov_b64 s[0:1], -1
	s_mov_b64 s[50:51], 0
	s_branch .LBB364_553
.LBB364_552:
	s_mov_b64 s[50:51], -1
                                        ; implicit-def: $vgpr5_vgpr6
.LBB364_553:
	s_mov_b64 s[52:53], 0
.LBB364_554:
	s_and_b64 vcc, exec, s[52:53]
	s_cbranch_vccz .LBB364_572
; %bb.555:
	s_cmp_lt_i32 s56, 27
	s_cbranch_scc1 .LBB364_558
; %bb.556:
	s_cmp_gt_i32 s56, 27
	s_cbranch_scc0 .LBB364_559
; %bb.557:
	global_load_dword v5, v[3:4], off
	s_waitcnt vmcnt(1)
	v_mov_b32_e32 v6, 0
	s_mov_b64 s[0:1], 0
	s_branch .LBB364_560
.LBB364_558:
	s_mov_b64 s[0:1], -1
                                        ; implicit-def: $vgpr5_vgpr6
	s_branch .LBB364_563
.LBB364_559:
	s_mov_b64 s[0:1], -1
                                        ; implicit-def: $vgpr5_vgpr6
.LBB364_560:
	s_andn2_b64 vcc, exec, s[0:1]
	s_cbranch_vccnz .LBB364_562
; %bb.561:
	global_load_ushort v5, v[3:4], off
	s_mov_b32 s0, 0
	s_waitcnt vmcnt(1)
	v_mov_b32_e32 v6, s0
	s_waitcnt vmcnt(0)
	v_and_b32_e32 v5, 0xffff, v5
.LBB364_562:
	s_mov_b64 s[0:1], 0
.LBB364_563:
	s_andn2_b64 vcc, exec, s[0:1]
	s_cbranch_vccnz .LBB364_571
; %bb.564:
	global_load_ubyte v7, v[3:4], off
	s_movk_i32 s0, 0x7f
	s_mov_b64 s[52:53], 0
	s_waitcnt vmcnt(0)
	v_cmp_lt_i16_e32 vcc, s0, v7
	s_and_saveexec_b64 s[0:1], vcc
	s_xor_b64 s[0:1], exec, s[0:1]
; %bb.565:
	s_movk_i32 s52, 0x80
	v_cmp_ne_u16_e32 vcc, s52, v7
	s_and_b64 s[52:53], vcc, exec
; %bb.566:
	s_andn2_saveexec_b64 s[0:1], s[0:1]
; %bb.567:
	v_cmp_ne_u16_e32 vcc, 0, v7
	s_andn2_b64 s[52:53], s[52:53], exec
	s_and_b64 s[58:59], vcc, exec
	s_or_b64 s[52:53], s[52:53], s[58:59]
; %bb.568:
	s_or_b64 exec, exec, s[0:1]
	v_mov_b32_e32 v5, 0
	v_mov_b32_e32 v6, 0
	s_and_saveexec_b64 s[0:1], s[52:53]
	s_cbranch_execz .LBB364_570
; %bb.569:
	v_and_b32_e32 v6, 0xffff, v7
	v_lshlrev_b32_e32 v5, 24, v7
	v_and_b32_e32 v7, 7, v6
	v_ffbh_u32_e32 v9, v7
	v_min_u32_e32 v9, 32, v9
	v_subrev_u32_e32 v11, 28, v9
	v_bfe_u32 v8, v6, 3, 4
	v_lshlrev_b32_e32 v6, v11, v6
	v_sub_u32_e32 v9, 29, v9
	v_and_b32_e32 v6, 7, v6
	v_cmp_eq_u32_e32 vcc, 0, v8
	v_cndmask_b32_e32 v8, v8, v9, vcc
	v_cndmask_b32_e32 v6, v7, v6, vcc
	v_mov_b32_e32 v7, 0x3b800000
	v_lshlrev_b32_e32 v6, 20, v6
	v_and_b32_e32 v5, 0x80000000, v5
	v_lshl_add_u32 v7, v8, 23, v7
	v_or3_b32 v5, v5, v7, v6
	v_trunc_f32_e32 v5, v5
	v_mul_f32_e32 v6, 0x2f800000, v5
	v_floor_f32_e32 v6, v6
	v_fmac_f32_e32 v5, 0xcf800000, v6
	v_cvt_u32_f32_e32 v5, v5
	v_cvt_u32_f32_e32 v6, v6
.LBB364_570:
	s_or_b64 exec, exec, s[0:1]
.LBB364_571:
	s_mov_b64 s[0:1], -1
.LBB364_572:
	s_mov_b64 s[52:53], 0
.LBB364_573:
	s_and_b64 vcc, exec, s[52:53]
	s_cbranch_vccz .LBB364_604
; %bb.574:
	s_cmp_gt_i32 s56, 22
	s_cbranch_scc0 .LBB364_584
; %bb.575:
	s_cmp_lt_i32 s56, 24
	s_cbranch_scc1 .LBB364_585
; %bb.576:
	s_cmp_gt_i32 s56, 24
	s_cbranch_scc0 .LBB364_586
; %bb.577:
	global_load_ubyte v7, v[3:4], off
	s_movk_i32 s0, 0x7f
	s_mov_b64 s[52:53], 0
	s_waitcnt vmcnt(0)
	v_cmp_lt_i16_e32 vcc, s0, v7
	s_and_saveexec_b64 s[0:1], vcc
	s_xor_b64 s[0:1], exec, s[0:1]
; %bb.578:
	s_movk_i32 s52, 0x80
	v_cmp_ne_u16_e32 vcc, s52, v7
	s_and_b64 s[52:53], vcc, exec
; %bb.579:
	s_andn2_saveexec_b64 s[0:1], s[0:1]
; %bb.580:
	v_cmp_ne_u16_e32 vcc, 0, v7
	s_andn2_b64 s[52:53], s[52:53], exec
	s_and_b64 s[58:59], vcc, exec
	s_or_b64 s[52:53], s[52:53], s[58:59]
; %bb.581:
	s_or_b64 exec, exec, s[0:1]
	v_mov_b32_e32 v5, 0
	v_mov_b32_e32 v6, 0
	s_and_saveexec_b64 s[0:1], s[52:53]
	s_cbranch_execz .LBB364_583
; %bb.582:
	v_and_b32_e32 v6, 0xffff, v7
	v_lshlrev_b32_e32 v5, 24, v7
	v_and_b32_e32 v7, 3, v6
	v_ffbh_u32_e32 v9, v7
	v_min_u32_e32 v9, 32, v9
	v_subrev_u32_e32 v11, 29, v9
	v_bfe_u32 v8, v6, 2, 5
	v_lshlrev_b32_e32 v6, v11, v6
	v_sub_u32_e32 v9, 30, v9
	v_and_b32_e32 v6, 3, v6
	v_cmp_eq_u32_e32 vcc, 0, v8
	v_cndmask_b32_e32 v8, v8, v9, vcc
	v_cndmask_b32_e32 v6, v7, v6, vcc
	v_mov_b32_e32 v7, 0x37800000
	v_lshlrev_b32_e32 v6, 21, v6
	v_and_b32_e32 v5, 0x80000000, v5
	v_lshl_add_u32 v7, v8, 23, v7
	v_or3_b32 v5, v5, v7, v6
	v_trunc_f32_e32 v5, v5
	v_mul_f32_e32 v6, 0x2f800000, v5
	v_floor_f32_e32 v6, v6
	v_fmac_f32_e32 v5, 0xcf800000, v6
	v_cvt_u32_f32_e32 v5, v5
	v_cvt_u32_f32_e32 v6, v6
.LBB364_583:
	s_or_b64 exec, exec, s[0:1]
	s_mov_b64 s[0:1], 0
	s_branch .LBB364_587
.LBB364_584:
	s_mov_b64 s[52:53], -1
                                        ; implicit-def: $vgpr5_vgpr6
	s_branch .LBB364_593
.LBB364_585:
	s_mov_b64 s[0:1], -1
                                        ; implicit-def: $vgpr5_vgpr6
	s_branch .LBB364_590
.LBB364_586:
	s_mov_b64 s[0:1], -1
                                        ; implicit-def: $vgpr5_vgpr6
.LBB364_587:
	s_and_b64 vcc, exec, s[0:1]
	s_cbranch_vccz .LBB364_589
; %bb.588:
	global_load_ubyte v5, v[3:4], off
	s_mov_b32 s0, 0x7f800000
	s_brev_b32 s1, 1
	s_waitcnt vmcnt(0)
	v_lshlrev_b32_e32 v5, 24, v5
	v_and_b32_e32 v6, 0x7f000000, v5
	v_ffbh_u32_e32 v7, v6
	v_min_u32_e32 v7, 32, v7
	v_sub_u32_e64 v7, v7, 4 clamp
	v_lshlrev_b32_e32 v9, v7, v6
	v_lshlrev_b32_e32 v7, 23, v7
	v_lshrrev_b32_e32 v9, 4, v9
	v_add_u32_e32 v8, 0x1000000, v6
	v_sub_u32_e32 v7, v9, v7
	v_ashrrev_i32_e32 v8, 8, v8
	v_add_u32_e32 v7, 0x3c000000, v7
	v_and_or_b32 v7, v8, s0, v7
	v_cmp_ne_u32_e32 vcc, 0, v6
	v_cndmask_b32_e32 v6, 0, v7, vcc
	v_and_or_b32 v5, v5, s1, v6
	v_trunc_f32_e32 v5, v5
	v_mul_f32_e32 v6, 0x2f800000, v5
	v_floor_f32_e32 v6, v6
	v_fmac_f32_e32 v5, 0xcf800000, v6
	v_cvt_u32_f32_e32 v5, v5
	v_cvt_u32_f32_e32 v6, v6
.LBB364_589:
	s_mov_b64 s[0:1], 0
.LBB364_590:
	s_andn2_b64 vcc, exec, s[0:1]
	s_cbranch_vccnz .LBB364_592
; %bb.591:
	global_load_ubyte v5, v[3:4], off
	s_movk_i32 s0, 0x7f00
	s_brev_b32 s1, 16
	s_brev_b32 s52, 1
	s_waitcnt vmcnt(0)
	v_lshlrev_b16_e32 v6, 8, v5
	v_lshlrev_b32_e32 v5, 25, v5
	v_lshrrev_b32_e32 v7, 4, v5
	v_and_or_b32 v8, v6, s0, 0.5
	v_or_b32_e32 v7, 0x70000000, v7
	v_add_f32_e32 v8, -0.5, v8
	v_mul_f32_e32 v7, 0x7800000, v7
	v_cmp_gt_u32_e32 vcc, s1, v5
	v_bfe_i32 v6, v6, 0, 16
	v_cndmask_b32_e32 v5, v7, v8, vcc
	v_and_or_b32 v5, v6, s52, v5
	v_trunc_f32_e32 v5, v5
	v_mul_f32_e32 v6, 0x2f800000, v5
	v_floor_f32_e32 v6, v6
	v_fmac_f32_e32 v5, 0xcf800000, v6
	v_cvt_u32_f32_e32 v5, v5
	v_cvt_u32_f32_e32 v6, v6
.LBB364_592:
	s_mov_b64 s[52:53], 0
	s_mov_b64 s[0:1], -1
.LBB364_593:
	s_andn2_b64 vcc, exec, s[52:53]
	s_cbranch_vccnz .LBB364_604
; %bb.594:
	s_cmp_gt_i32 s56, 14
	s_cbranch_scc0 .LBB364_597
; %bb.595:
	s_cmp_eq_u32 s56, 15
	s_cbranch_scc0 .LBB364_598
; %bb.596:
	global_load_ushort v5, v[3:4], off
	s_mov_b64 s[0:1], -1
	s_mov_b64 s[50:51], 0
	s_waitcnt vmcnt(0)
	v_lshlrev_b32_e32 v5, 16, v5
	v_trunc_f32_e32 v5, v5
	v_mul_f32_e32 v6, 0x2f800000, v5
	v_floor_f32_e32 v6, v6
	v_fmac_f32_e32 v5, 0xcf800000, v6
	v_cvt_u32_f32_e32 v5, v5
	v_cvt_u32_f32_e32 v6, v6
	s_branch .LBB364_599
.LBB364_597:
	s_mov_b64 s[52:53], -1
                                        ; implicit-def: $vgpr5_vgpr6
	s_branch .LBB364_600
.LBB364_598:
	s_mov_b64 s[50:51], -1
                                        ; implicit-def: $vgpr5_vgpr6
.LBB364_599:
	s_mov_b64 s[52:53], 0
.LBB364_600:
	s_and_b64 vcc, exec, s[52:53]
	s_cbranch_vccz .LBB364_604
; %bb.601:
	s_cmp_eq_u32 s56, 11
	s_cbranch_scc0 .LBB364_603
; %bb.602:
	global_load_ubyte v5, v[3:4], off
	s_mov_b32 s50, 0
	s_mov_b64 s[0:1], -1
	s_waitcnt vmcnt(1)
	v_mov_b32_e32 v6, s50
	s_mov_b64 s[50:51], 0
	s_waitcnt vmcnt(0)
	v_cmp_ne_u16_e32 vcc, 0, v5
	v_cndmask_b32_e64 v5, 0, 1, vcc
	s_branch .LBB364_604
.LBB364_603:
	s_mov_b64 s[50:51], -1
                                        ; implicit-def: $vgpr5_vgpr6
.LBB364_604:
	s_mov_b64 s[52:53], 0
.LBB364_605:
	s_and_b64 vcc, exec, s[52:53]
	s_cbranch_vccz .LBB364_654
; %bb.606:
	s_and_b32 s14, 0xffff, s14
	s_cmp_lt_i32 s14, 5
	s_cbranch_scc1 .LBB364_611
; %bb.607:
	s_cmp_lt_i32 s14, 8
	s_cbranch_scc1 .LBB364_612
; %bb.608:
	s_cmp_lt_i32 s14, 9
	s_cbranch_scc1 .LBB364_613
; %bb.609:
	s_cmp_gt_i32 s14, 9
	s_cbranch_scc0 .LBB364_614
; %bb.610:
	global_load_dwordx2 v[5:6], v[3:4], off
	s_movk_i32 s0, 0xffe0
	s_waitcnt vmcnt(0)
	v_trunc_f64_e32 v[5:6], v[5:6]
	v_ldexp_f64 v[7:8], v[5:6], s0
	s_mov_b32 s0, 0
	s_mov_b32 s1, 0xc1f00000
	v_floor_f64_e32 v[7:8], v[7:8]
	v_fma_f64 v[11:12], v[7:8], s[0:1], v[5:6]
	v_cvt_u32_f64_e32 v6, v[7:8]
	s_mov_b64 s[0:1], 0
	v_cvt_u32_f64_e32 v5, v[11:12]
	s_branch .LBB364_615
.LBB364_611:
	s_mov_b64 s[0:1], -1
                                        ; implicit-def: $vgpr5_vgpr6
	s_branch .LBB364_633
.LBB364_612:
	s_mov_b64 s[0:1], -1
                                        ; implicit-def: $vgpr5_vgpr6
	s_branch .LBB364_621
.LBB364_613:
	s_mov_b64 s[0:1], -1
                                        ; implicit-def: $vgpr5_vgpr6
	s_branch .LBB364_618
.LBB364_614:
	s_mov_b64 s[0:1], -1
                                        ; implicit-def: $vgpr5_vgpr6
.LBB364_615:
	s_andn2_b64 vcc, exec, s[0:1]
	s_cbranch_vccnz .LBB364_617
; %bb.616:
	global_load_dword v5, v[3:4], off
	s_waitcnt vmcnt(0)
	v_trunc_f32_e32 v5, v5
	v_mul_f32_e32 v6, 0x2f800000, v5
	v_floor_f32_e32 v7, v6
	v_fmac_f32_e32 v5, 0xcf800000, v7
	v_cvt_u32_f32_e32 v6, v7
	v_cvt_u32_f32_e32 v5, v5
.LBB364_617:
	s_mov_b64 s[0:1], 0
.LBB364_618:
	s_andn2_b64 vcc, exec, s[0:1]
	s_cbranch_vccnz .LBB364_620
; %bb.619:
	global_load_dword v5, v[3:4], off
	s_waitcnt vmcnt(1)
	v_mov_b32_e32 v6, 0
	s_waitcnt vmcnt(0)
	v_cvt_f32_f16_e32 v5, v5
	v_cvt_u32_f32_e32 v5, v5
.LBB364_620:
	s_mov_b64 s[0:1], 0
.LBB364_621:
	s_andn2_b64 vcc, exec, s[0:1]
	s_cbranch_vccnz .LBB364_632
; %bb.622:
	s_cmp_lt_i32 s14, 6
	s_cbranch_scc1 .LBB364_625
; %bb.623:
	s_cmp_gt_i32 s14, 6
	s_cbranch_scc0 .LBB364_626
; %bb.624:
	global_load_dwordx2 v[5:6], v[3:4], off
	s_movk_i32 s0, 0xffe0
	s_waitcnt vmcnt(0)
	v_trunc_f64_e32 v[5:6], v[5:6]
	v_ldexp_f64 v[7:8], v[5:6], s0
	s_mov_b32 s0, 0
	s_mov_b32 s1, 0xc1f00000
	v_floor_f64_e32 v[7:8], v[7:8]
	v_fma_f64 v[11:12], v[7:8], s[0:1], v[5:6]
	v_cvt_u32_f64_e32 v6, v[7:8]
	s_mov_b64 s[0:1], 0
	v_cvt_u32_f64_e32 v5, v[11:12]
	s_branch .LBB364_627
.LBB364_625:
	s_mov_b64 s[0:1], -1
                                        ; implicit-def: $vgpr5_vgpr6
	s_branch .LBB364_630
.LBB364_626:
	s_mov_b64 s[0:1], -1
                                        ; implicit-def: $vgpr5_vgpr6
.LBB364_627:
	s_andn2_b64 vcc, exec, s[0:1]
	s_cbranch_vccnz .LBB364_629
; %bb.628:
	global_load_dword v5, v[3:4], off
	s_waitcnt vmcnt(0)
	v_trunc_f32_e32 v5, v5
	v_mul_f32_e32 v6, 0x2f800000, v5
	v_floor_f32_e32 v7, v6
	v_fmac_f32_e32 v5, 0xcf800000, v7
	v_cvt_u32_f32_e32 v6, v7
	v_cvt_u32_f32_e32 v5, v5
.LBB364_629:
	s_mov_b64 s[0:1], 0
.LBB364_630:
	s_andn2_b64 vcc, exec, s[0:1]
	s_cbranch_vccnz .LBB364_632
; %bb.631:
	global_load_ushort v5, v[3:4], off
	s_waitcnt vmcnt(1)
	v_mov_b32_e32 v6, 0
	s_waitcnt vmcnt(0)
	v_cvt_f32_f16_e32 v5, v5
	v_cvt_u32_f32_e32 v5, v5
.LBB364_632:
	s_mov_b64 s[0:1], 0
.LBB364_633:
	s_andn2_b64 vcc, exec, s[0:1]
	s_cbranch_vccnz .LBB364_653
; %bb.634:
	s_cmp_lt_i32 s14, 2
	s_cbranch_scc1 .LBB364_638
; %bb.635:
	s_cmp_lt_i32 s14, 3
	s_cbranch_scc1 .LBB364_639
; %bb.636:
	s_cmp_gt_i32 s14, 3
	s_cbranch_scc0 .LBB364_640
; %bb.637:
	global_load_dwordx2 v[5:6], v[3:4], off
	s_mov_b64 s[0:1], 0
	s_branch .LBB364_641
.LBB364_638:
	s_mov_b64 s[0:1], -1
                                        ; implicit-def: $vgpr5_vgpr6
	s_branch .LBB364_647
.LBB364_639:
	s_mov_b64 s[0:1], -1
                                        ; implicit-def: $vgpr5_vgpr6
	s_branch .LBB364_644
.LBB364_640:
	s_mov_b64 s[0:1], -1
                                        ; implicit-def: $vgpr5_vgpr6
.LBB364_641:
	s_andn2_b64 vcc, exec, s[0:1]
	s_cbranch_vccnz .LBB364_643
; %bb.642:
	global_load_dword v5, v[3:4], off
	s_waitcnt vmcnt(0)
	v_ashrrev_i32_e32 v6, 31, v5
.LBB364_643:
	s_mov_b64 s[0:1], 0
.LBB364_644:
	s_andn2_b64 vcc, exec, s[0:1]
	s_cbranch_vccnz .LBB364_646
; %bb.645:
	global_load_ushort v5, v[3:4], off
	s_waitcnt vmcnt(0)
	v_bfe_i32 v5, v5, 0, 16
	v_ashrrev_i32_e32 v6, 31, v5
.LBB364_646:
	s_mov_b64 s[0:1], 0
.LBB364_647:
	s_andn2_b64 vcc, exec, s[0:1]
	s_cbranch_vccnz .LBB364_653
; %bb.648:
	s_cmp_gt_i32 s14, 0
	s_cbranch_scc0 .LBB364_650
; %bb.649:
	global_load_sbyte v5, v[3:4], off
	s_mov_b64 s[0:1], 0
	s_waitcnt vmcnt(0)
	v_bfe_i32 v5, v5, 0, 16
	v_ashrrev_i32_e32 v6, 31, v5
	s_branch .LBB364_651
.LBB364_650:
	s_mov_b64 s[0:1], -1
                                        ; implicit-def: $vgpr5_vgpr6
.LBB364_651:
	s_andn2_b64 vcc, exec, s[0:1]
	s_cbranch_vccnz .LBB364_653
; %bb.652:
	global_load_ubyte v3, v[3:4], off
	s_mov_b32 s0, 0
	s_waitcnt vmcnt(1)
	v_mov_b32_e32 v6, s0
	s_waitcnt vmcnt(0)
	v_and_b32_e32 v5, 0xffff, v3
.LBB364_653:
	s_mov_b64 s[0:1], -1
.LBB364_654:
	s_andn2_b64 vcc, exec, s[0:1]
	s_cbranch_vccnz .LBB364_662
; %bb.655:
	s_waitcnt vmcnt(0)
	v_cmp_ne_u64_e32 vcc, v[1:2], v[5:6]
	v_mov_b32_e32 v1, s9
	s_xor_b64 s[52:53], s[28:29], vcc
	s_and_b32 s14, s15, 0xff
	v_add_co_u32_e32 v0, vcc, s8, v0
	s_cmp_lt_i32 s14, 11
	v_addc_co_u32_e32 v1, vcc, 0, v1, vcc
	s_cbranch_scc1 .LBB364_663
; %bb.656:
	s_and_b32 s62, 0xffff, s14
	s_cmp_gt_i32 s62, 25
	s_cbranch_scc0 .LBB364_664
; %bb.657:
	s_cmp_gt_i32 s62, 28
	s_cbranch_scc0 .LBB364_665
; %bb.658:
	;; [unrolled: 3-line block ×4, first 2 shown]
	s_mov_b64 s[58:59], 0
	s_mov_b64 s[0:1], -1
	s_cmp_eq_u32 s62, 46
	s_mov_b64 s[56:57], 0
	s_cbranch_scc0 .LBB364_668
; %bb.661:
	v_cndmask_b32_e64 v2, 0, 1.0, s[52:53]
	v_bfe_u32 v3, v2, 16, 1
	s_movk_i32 s0, 0x7fff
	v_add3_u32 v2, v2, v3, s0
	v_lshrrev_b32_e32 v2, 16, v2
	global_store_dword v[0:1], v2, off
	s_mov_b64 s[56:57], -1
	s_mov_b64 s[0:1], 0
	s_branch .LBB364_668
.LBB364_662:
	s_mov_b64 s[56:57], 0
                                        ; implicit-def: $vgpr10
	s_mov_b64 s[0:1], s[40:41]
	s_branch .LBB364_778
.LBB364_663:
	s_mov_b64 s[58:59], -1
	s_mov_b64 s[56:57], 0
	s_mov_b64 s[0:1], s[40:41]
	s_branch .LBB364_737
.LBB364_664:
	s_mov_b64 s[58:59], -1
	s_mov_b64 s[56:57], 0
	s_mov_b64 s[0:1], s[40:41]
	s_branch .LBB364_695
.LBB364_665:
	s_mov_b64 s[58:59], -1
	s_mov_b64 s[56:57], 0
	s_mov_b64 s[0:1], s[40:41]
	s_branch .LBB364_678
.LBB364_666:
	s_mov_b64 s[58:59], -1
	s_mov_b64 s[56:57], 0
	s_mov_b64 s[0:1], s[40:41]
	s_branch .LBB364_674
.LBB364_667:
	s_mov_b64 s[58:59], -1
	s_mov_b64 s[56:57], 0
	s_mov_b64 s[0:1], s[40:41]
.LBB364_668:
	s_and_b64 vcc, exec, s[58:59]
	s_cbranch_vccz .LBB364_673
; %bb.669:
	s_cmp_eq_u32 s62, 44
	s_mov_b64 s[0:1], -1
	s_cbranch_scc0 .LBB364_673
; %bb.670:
	v_cndmask_b32_e64 v3, 0, 1.0, s[52:53]
	v_lshrrev_b32_e32 v2, 23, v3
	s_movk_i32 s0, 0xff
	v_cmp_ne_u32_e32 vcc, s0, v2
	v_mov_b32_e32 v4, 0xff
	s_and_saveexec_b64 s[56:57], vcc
; %bb.671:
	s_mov_b32 s0, 0x3fffff
	v_and_b32_e32 v4, 0x400000, v3
	v_and_or_b32 v3, v3, s0, v2
	v_cmp_ne_u32_e32 vcc, 0, v4
	v_cmp_ne_u32_e64 s[0:1], 0, v3
	s_and_b64 s[0:1], vcc, s[0:1]
	v_cndmask_b32_e64 v3, 0, 1, s[0:1]
	v_add_u32_e32 v4, v2, v3
; %bb.672:
	s_or_b64 exec, exec, s[56:57]
	s_mov_b64 s[56:57], -1
	s_mov_b64 s[0:1], 0
	global_store_byte v[0:1], v4, off
.LBB364_673:
	s_mov_b64 s[58:59], 0
.LBB364_674:
	s_and_b64 vcc, exec, s[58:59]
	s_cbranch_vccz .LBB364_677
; %bb.675:
	s_cmp_eq_u32 s62, 29
	s_mov_b64 s[0:1], -1
	s_cbranch_scc0 .LBB364_677
; %bb.676:
	s_mov_b32 s0, 0
	v_cndmask_b32_e64 v2, 0, 1, s[52:53]
	v_mov_b32_e32 v3, s0
	global_store_dwordx2 v[0:1], v[2:3], off
	s_mov_b64 s[56:57], -1
	s_mov_b64 s[0:1], 0
.LBB364_677:
	s_mov_b64 s[58:59], 0
.LBB364_678:
	s_and_b64 vcc, exec, s[58:59]
	s_cbranch_vccz .LBB364_694
; %bb.679:
	s_cmp_lt_i32 s62, 27
	s_mov_b64 s[56:57], -1
	s_cbranch_scc1 .LBB364_685
; %bb.680:
	s_cmp_gt_i32 s62, 27
	s_cbranch_scc0 .LBB364_682
; %bb.681:
	v_cndmask_b32_e64 v2, 0, 1, s[52:53]
	s_mov_b64 s[56:57], 0
	global_store_dword v[0:1], v2, off
.LBB364_682:
	s_andn2_b64 vcc, exec, s[56:57]
	s_cbranch_vccnz .LBB364_684
; %bb.683:
	v_cndmask_b32_e64 v2, 0, 1, s[52:53]
	global_store_short v[0:1], v2, off
.LBB364_684:
	s_mov_b64 s[56:57], 0
.LBB364_685:
	s_andn2_b64 vcc, exec, s[56:57]
	s_cbranch_vccnz .LBB364_693
; %bb.686:
	v_cndmask_b32_e64 v3, 0, 1.0, s[52:53]
	s_mov_b32 s56, 0x43800000
	v_cmp_gt_u32_e32 vcc, s56, v3
	v_mov_b32_e32 v4, 0x80
	s_and_saveexec_b64 s[56:57], vcc
	s_cbranch_execz .LBB364_692
; %bb.687:
	s_mov_b32 s58, 0x3bffffff
	v_cmp_lt_u32_e32 vcc, s58, v3
	s_mov_b64 s[58:59], 0
                                        ; implicit-def: $vgpr2
	s_and_saveexec_b64 s[60:61], vcc
	s_xor_b64 s[60:61], exec, s[60:61]
	s_cbranch_execz .LBB364_806
; %bb.688:
	v_bfe_u32 v2, v3, 20, 1
	s_mov_b32 s63, 0x487ffff
	v_add3_u32 v2, v3, v2, s63
	s_mov_b64 s[58:59], exec
	v_lshrrev_b32_e32 v2, 20, v2
                                        ; implicit-def: $vgpr3
	s_andn2_saveexec_b64 s[60:61], s[60:61]
	s_cbranch_execnz .LBB364_807
.LBB364_689:
	s_or_b64 exec, exec, s[60:61]
	v_mov_b32_e32 v4, 0
	s_and_saveexec_b64 s[60:61], s[58:59]
.LBB364_690:
	v_mov_b32_e32 v4, v2
.LBB364_691:
	s_or_b64 exec, exec, s[60:61]
.LBB364_692:
	s_or_b64 exec, exec, s[56:57]
	global_store_byte v[0:1], v4, off
.LBB364_693:
	s_mov_b64 s[56:57], -1
.LBB364_694:
	s_mov_b64 s[58:59], 0
.LBB364_695:
	s_and_b64 vcc, exec, s[58:59]
	s_cbranch_vccz .LBB364_736
; %bb.696:
	s_cmp_gt_i32 s62, 22
	s_mov_b64 s[58:59], -1
	s_cbranch_scc0 .LBB364_728
; %bb.697:
	s_cmp_lt_i32 s62, 24
	s_mov_b64 s[56:57], -1
	s_cbranch_scc1 .LBB364_717
; %bb.698:
	s_cmp_gt_i32 s62, 24
	s_cbranch_scc0 .LBB364_706
; %bb.699:
	v_cndmask_b32_e64 v3, 0, 1.0, s[52:53]
	s_mov_b32 s56, 0x47800000
	v_cmp_gt_u32_e32 vcc, s56, v3
	v_mov_b32_e32 v4, 0x80
	s_and_saveexec_b64 s[56:57], vcc
	s_cbranch_execz .LBB364_705
; %bb.700:
	s_mov_b32 s58, 0x37ffffff
	v_cmp_lt_u32_e32 vcc, s58, v3
	s_mov_b64 s[58:59], 0
                                        ; implicit-def: $vgpr2
	s_and_saveexec_b64 s[60:61], vcc
	s_xor_b64 s[60:61], exec, s[60:61]
	s_cbranch_execz .LBB364_934
; %bb.701:
	v_bfe_u32 v2, v3, 21, 1
	s_mov_b32 s63, 0x88fffff
	v_add3_u32 v2, v3, v2, s63
	s_mov_b64 s[58:59], exec
	v_lshrrev_b32_e32 v2, 21, v2
                                        ; implicit-def: $vgpr3
	s_andn2_saveexec_b64 s[60:61], s[60:61]
	s_cbranch_execnz .LBB364_935
.LBB364_702:
	s_or_b64 exec, exec, s[60:61]
	v_mov_b32_e32 v4, 0
	s_and_saveexec_b64 s[60:61], s[58:59]
.LBB364_703:
	v_mov_b32_e32 v4, v2
.LBB364_704:
	s_or_b64 exec, exec, s[60:61]
.LBB364_705:
	s_or_b64 exec, exec, s[56:57]
	s_mov_b64 s[56:57], 0
	global_store_byte v[0:1], v4, off
.LBB364_706:
	s_and_b64 vcc, exec, s[56:57]
	s_cbranch_vccz .LBB364_716
; %bb.707:
	v_cndmask_b32_e64 v2, 0, 1.0, s[52:53]
	s_mov_b32 s56, 0x43f00000
	v_cmp_gt_u32_e32 vcc, s56, v2
                                        ; implicit-def: $vgpr3
	s_and_saveexec_b64 s[56:57], vcc
	s_xor_b64 s[56:57], exec, s[56:57]
	s_cbranch_execz .LBB364_713
; %bb.708:
	s_mov_b32 s58, 0x3c7fffff
	v_cmp_lt_u32_e32 vcc, s58, v2
                                        ; implicit-def: $vgpr3
	s_and_saveexec_b64 s[58:59], vcc
	s_xor_b64 s[58:59], exec, s[58:59]
; %bb.709:
	v_bfe_u32 v3, v2, 20, 1
	s_mov_b32 s60, 0x407ffff
	v_add3_u32 v2, v2, v3, s60
	v_lshrrev_b32_e32 v3, 20, v2
	v_and_b32_e32 v2, 0xff00000, v2
	s_mov_b32 s60, 0x7f00000
	v_mov_b32_e32 v4, 0x7e
	v_cmp_ne_u32_e32 vcc, s60, v2
	v_cndmask_b32_e32 v3, v4, v3, vcc
                                        ; implicit-def: $vgpr2
; %bb.710:
	s_andn2_saveexec_b64 s[58:59], s[58:59]
; %bb.711:
	v_add_f32_e32 v3, 0x46800000, v2
; %bb.712:
	s_or_b64 exec, exec, s[58:59]
                                        ; implicit-def: $vgpr2
.LBB364_713:
	s_andn2_saveexec_b64 s[56:57], s[56:57]
; %bb.714:
	s_mov_b32 s58, 0x7f800000
	v_mov_b32_e32 v3, 0x7e
	v_mov_b32_e32 v4, 0x7f
	v_cmp_lt_u32_e32 vcc, s58, v2
	v_cndmask_b32_e32 v3, v3, v4, vcc
; %bb.715:
	s_or_b64 exec, exec, s[56:57]
	global_store_byte v[0:1], v3, off
.LBB364_716:
	s_mov_b64 s[56:57], 0
.LBB364_717:
	s_andn2_b64 vcc, exec, s[56:57]
	s_cbranch_vccnz .LBB364_727
; %bb.718:
	v_cndmask_b32_e64 v2, 0, 1.0, s[52:53]
	s_mov_b32 s56, 0x47800000
	v_cmp_gt_u32_e32 vcc, s56, v2
                                        ; implicit-def: $vgpr3
	s_and_saveexec_b64 s[56:57], vcc
	s_xor_b64 s[56:57], exec, s[56:57]
	s_cbranch_execz .LBB364_724
; %bb.719:
	s_mov_b32 s58, 0x387fffff
	v_cmp_lt_u32_e32 vcc, s58, v2
                                        ; implicit-def: $vgpr3
	s_and_saveexec_b64 s[58:59], vcc
	s_xor_b64 s[58:59], exec, s[58:59]
; %bb.720:
	v_bfe_u32 v3, v2, 21, 1
	s_mov_b32 s60, 0x80fffff
	v_add3_u32 v2, v2, v3, s60
	v_lshrrev_b32_e32 v3, 21, v2
                                        ; implicit-def: $vgpr2
; %bb.721:
	s_andn2_saveexec_b64 s[58:59], s[58:59]
; %bb.722:
	v_add_f32_e32 v3, 0x43000000, v2
; %bb.723:
	s_or_b64 exec, exec, s[58:59]
                                        ; implicit-def: $vgpr2
.LBB364_724:
	s_andn2_saveexec_b64 s[56:57], s[56:57]
; %bb.725:
	s_mov_b32 s58, 0x7f800000
	v_mov_b32_e32 v3, 0x7c
	v_mov_b32_e32 v4, 0x7f
	v_cmp_lt_u32_e32 vcc, s58, v2
	v_cndmask_b32_e32 v3, v3, v4, vcc
; %bb.726:
	s_or_b64 exec, exec, s[56:57]
	global_store_byte v[0:1], v3, off
.LBB364_727:
	s_mov_b64 s[58:59], 0
	s_mov_b64 s[56:57], -1
.LBB364_728:
	s_andn2_b64 vcc, exec, s[58:59]
	s_cbranch_vccnz .LBB364_736
; %bb.729:
	s_cmp_gt_i32 s62, 14
	s_mov_b64 s[58:59], -1
	s_cbranch_scc0 .LBB364_733
; %bb.730:
	s_cmp_eq_u32 s62, 15
	s_mov_b64 s[0:1], -1
	s_cbranch_scc0 .LBB364_732
; %bb.731:
	v_cndmask_b32_e64 v2, 0, 1.0, s[52:53]
	v_bfe_u32 v3, v2, 16, 1
	s_movk_i32 s0, 0x7fff
	v_add3_u32 v2, v2, v3, s0
	global_store_short_d16_hi v[0:1], v2, off
	s_mov_b64 s[56:57], -1
	s_mov_b64 s[0:1], 0
.LBB364_732:
	s_mov_b64 s[58:59], 0
.LBB364_733:
	s_and_b64 vcc, exec, s[58:59]
	s_cbranch_vccz .LBB364_736
; %bb.734:
	s_cmp_eq_u32 s62, 11
	s_mov_b64 s[0:1], -1
	s_cbranch_scc0 .LBB364_736
; %bb.735:
	v_cndmask_b32_e64 v2, 0, 1, s[52:53]
	s_mov_b64 s[56:57], -1
	s_mov_b64 s[0:1], 0
	global_store_byte v[0:1], v2, off
.LBB364_736:
	s_mov_b64 s[58:59], 0
.LBB364_737:
	s_and_b64 vcc, exec, s[58:59]
	s_cbranch_vccz .LBB364_776
; %bb.738:
	s_and_b32 s14, 0xffff, s14
	s_cmp_lt_i32 s14, 5
	s_mov_b64 s[56:57], -1
	s_cbranch_scc1 .LBB364_759
; %bb.739:
	s_cmp_lt_i32 s14, 8
	s_cbranch_scc1 .LBB364_749
; %bb.740:
	s_cmp_lt_i32 s14, 9
	s_cbranch_scc1 .LBB364_746
; %bb.741:
	s_cmp_gt_i32 s14, 9
	s_cbranch_scc0 .LBB364_743
; %bb.742:
	v_cndmask_b32_e64 v2, 0, 1, s[52:53]
	v_cvt_f64_u32_e32 v[2:3], v2
	v_mov_b32_e32 v4, 0
	v_mov_b32_e32 v5, v4
	s_mov_b64 s[56:57], 0
	global_store_dwordx4 v[0:1], v[2:5], off
.LBB364_743:
	s_andn2_b64 vcc, exec, s[56:57]
	s_cbranch_vccnz .LBB364_745
; %bb.744:
	v_cndmask_b32_e64 v2, 0, 1.0, s[52:53]
	v_mov_b32_e32 v3, 0
	global_store_dwordx2 v[0:1], v[2:3], off
.LBB364_745:
	s_mov_b64 s[56:57], 0
.LBB364_746:
	s_andn2_b64 vcc, exec, s[56:57]
	s_cbranch_vccnz .LBB364_748
; %bb.747:
	v_cndmask_b32_e64 v2, 0, 1.0, s[52:53]
	v_cvt_f16_f32_e32 v2, v2
	global_store_dword v[0:1], v2, off
.LBB364_748:
	s_mov_b64 s[56:57], 0
.LBB364_749:
	s_andn2_b64 vcc, exec, s[56:57]
	s_cbranch_vccnz .LBB364_758
; %bb.750:
	s_cmp_lt_i32 s14, 6
	s_mov_b64 s[56:57], -1
	s_cbranch_scc1 .LBB364_756
; %bb.751:
	s_cmp_gt_i32 s14, 6
	s_cbranch_scc0 .LBB364_753
; %bb.752:
	v_cndmask_b32_e64 v2, 0, 1, s[52:53]
	v_cvt_f64_u32_e32 v[2:3], v2
	s_mov_b64 s[56:57], 0
	global_store_dwordx2 v[0:1], v[2:3], off
.LBB364_753:
	s_andn2_b64 vcc, exec, s[56:57]
	s_cbranch_vccnz .LBB364_755
; %bb.754:
	v_cndmask_b32_e64 v2, 0, 1.0, s[52:53]
	global_store_dword v[0:1], v2, off
.LBB364_755:
	s_mov_b64 s[56:57], 0
.LBB364_756:
	s_andn2_b64 vcc, exec, s[56:57]
	s_cbranch_vccnz .LBB364_758
; %bb.757:
	v_cndmask_b32_e64 v2, 0, 1.0, s[52:53]
	v_cvt_f16_f32_e32 v2, v2
	global_store_short v[0:1], v2, off
.LBB364_758:
	s_mov_b64 s[56:57], 0
.LBB364_759:
	s_andn2_b64 vcc, exec, s[56:57]
	s_cbranch_vccnz .LBB364_775
; %bb.760:
	s_cmp_lt_i32 s14, 2
	s_mov_b64 s[56:57], -1
	s_cbranch_scc1 .LBB364_770
; %bb.761:
	s_cmp_lt_i32 s14, 3
	s_cbranch_scc1 .LBB364_767
; %bb.762:
	s_cmp_gt_i32 s14, 3
	s_cbranch_scc0 .LBB364_764
; %bb.763:
	s_mov_b32 s56, 0
	v_cndmask_b32_e64 v2, 0, 1, s[52:53]
	v_mov_b32_e32 v3, s56
	s_mov_b64 s[56:57], 0
	global_store_dwordx2 v[0:1], v[2:3], off
.LBB364_764:
	s_andn2_b64 vcc, exec, s[56:57]
	s_cbranch_vccnz .LBB364_766
; %bb.765:
	v_cndmask_b32_e64 v2, 0, 1, s[52:53]
	global_store_dword v[0:1], v2, off
.LBB364_766:
	s_mov_b64 s[56:57], 0
.LBB364_767:
	s_andn2_b64 vcc, exec, s[56:57]
	s_cbranch_vccnz .LBB364_769
; %bb.768:
	v_cndmask_b32_e64 v2, 0, 1, s[52:53]
	global_store_short v[0:1], v2, off
.LBB364_769:
	s_mov_b64 s[56:57], 0
.LBB364_770:
	s_andn2_b64 vcc, exec, s[56:57]
	s_cbranch_vccnz .LBB364_775
; %bb.771:
	s_mov_b64 s[56:57], -1
	s_cmp_gt_i32 s14, 0
	v_cndmask_b32_e64 v2, 0, 1, s[52:53]
	s_cbranch_scc0 .LBB364_773
; %bb.772:
	s_mov_b64 s[56:57], 0
	global_store_byte v[0:1], v2, off
.LBB364_773:
	s_andn2_b64 vcc, exec, s[56:57]
	s_cbranch_vccnz .LBB364_775
; %bb.774:
	global_store_byte v[0:1], v2, off
.LBB364_775:
	s_mov_b64 s[56:57], -1
.LBB364_776:
	s_andn2_b64 vcc, exec, s[56:57]
	s_cbranch_vccnz .LBB364_788
; %bb.777:
	v_add_u32_e32 v10, 0x80, v10
	s_mov_b64 s[56:57], -1
.LBB364_778:
	s_andn2_b64 s[52:53], s[40:41], exec
	s_and_b64 s[0:1], s[0:1], exec
	s_or_b64 s[52:53], s[52:53], s[0:1]
	s_andn2_b64 s[0:1], s[42:43], exec
	s_and_b64 s[50:51], s[50:51], exec
	s_or_b64 s[50:51], s[0:1], s[50:51]
	;; [unrolled: 3-line block ×3, first 2 shown]
	s_orn2_b64 s[0:1], s[56:57], exec
.LBB364_779:
	s_or_b64 exec, exec, s[54:55]
	s_mov_b64 s[56:57], 0
	s_mov_b64 s[58:59], 0
	;; [unrolled: 1-line block ×3, first 2 shown]
                                        ; implicit-def: $sgpr14
                                        ; implicit-def: $vgpr4_vgpr5
                                        ; implicit-def: $vgpr0
                                        ; implicit-def: $vgpr3
                                        ; implicit-def: $vgpr1_vgpr2
	s_and_saveexec_b64 s[54:55], s[0:1]
	s_cbranch_execz .LBB364_1264
; %bb.780:
	v_cmp_gt_i32_e32 vcc, s70, v10
	s_mov_b64 s[68:69], -1
	s_mov_b64 s[0:1], s[48:49]
	s_mov_b64 s[60:61], s[50:51]
	;; [unrolled: 1-line block ×3, first 2 shown]
	s_and_saveexec_b64 s[56:57], vcc
	s_cbranch_execz .LBB364_1172
; %bb.781:
	s_andn2_b64 vcc, exec, s[24:25]
	s_cbranch_vccnz .LBB364_787
; %bb.782:
	s_andn2_b64 vcc, exec, s[38:39]
	s_cbranch_vccnz .LBB364_789
; %bb.783:
	s_add_i32 s0, s75, 1
	s_and_b32 s14, s0, 30
	s_add_u32 s0, s2, 0xffffffe8
	s_addc_u32 s1, s3, -1
	v_mov_b32_e32 v3, 0
	s_waitcnt vmcnt(0)
	v_mov_b32_e32 v5, 0
	v_mov_b32_e32 v0, 0
	;; [unrolled: 1-line block ×3, first 2 shown]
.LBB364_784:                            ; =>This Inner Loop Header: Depth=1
	s_load_dwordx4 s[60:63], s[0:1], 0x1c
	s_load_dwordx2 s[58:59], s[0:1], 0x2c
	s_load_dwordx2 s[68:69], s[0:1], 0xec
	s_load_dwordx4 s[64:67], s[0:1], 0xdc
	s_add_u32 s0, s0, 24
	s_waitcnt lgkmcnt(0)
	v_mul_hi_u32 v2, s61, v1
	s_addc_u32 s1, s1, 0
	s_add_i32 s14, s14, -2
	s_cmp_eq_u32 s14, 0
	v_add_u32_e32 v2, v1, v2
	v_lshrrev_b32_e32 v2, s62, v2
	v_mul_lo_u32 v4, v2, s60
	v_mul_hi_u32 v6, s58, v2
	v_sub_u32_e32 v4, v1, v4
	v_add_u32_e32 v1, v2, v6
	v_lshrrev_b32_e32 v1, s59, v1
	v_mul_lo_u32 v8, v1, s63
	v_mul_lo_u32 v6, v4, s64
	;; [unrolled: 1-line block ×4, first 2 shown]
	v_sub_u32_e32 v2, v2, v8
	v_mul_lo_u32 v8, v2, s67
	v_mul_lo_u32 v9, v2, s68
	v_mul_lo_u32 v2, v2, s69
	v_add3_u32 v0, v6, v0, v8
	v_add3_u32 v5, v7, v5, v9
	;; [unrolled: 1-line block ×3, first 2 shown]
	s_cbranch_scc0 .LBB364_784
; %bb.785:
	s_bitcmp1_b32 s75, 0
	s_cselect_b64 s[58:59], -1, 0
	s_and_b64 vcc, exec, s[58:59]
	s_cbranch_vccnz .LBB364_790
; %bb.786:
	s_load_dwordx2 s[58:59], s[0:1], 0x1c
	s_load_dword s14, s[0:1], 0x24
	s_load_dwordx2 s[60:61], s[0:1], 0xdc
	s_waitcnt lgkmcnt(0)
	v_mul_hi_u32 v2, s59, v1
	v_add_u32_e32 v2, v1, v2
	v_lshrrev_b32_e32 v2, s14, v2
	v_mul_lo_u32 v2, v2, s58
	s_load_dword s14, s[0:1], 0xe4
	v_sub_u32_e32 v2, v1, v2
	v_mad_u64_u32 v[0:1], s[0:1], v2, s60, v[0:1]
	v_mad_u64_u32 v[5:6], s[0:1], v2, s61, v[5:6]
	s_waitcnt lgkmcnt(0)
	v_mad_u64_u32 v[3:4], s[0:1], v2, s14, v[3:4]
	s_branch .LBB364_790
.LBB364_787:
	s_mov_b64 s[0:1], -1
                                        ; implicit-def: $vgpr0
                                        ; implicit-def: $vgpr5
                                        ; implicit-def: $vgpr3
	s_branch .LBB364_791
.LBB364_788:
	s_mov_b64 s[56:57], 0
	s_branch .LBB364_540
.LBB364_789:
	v_mov_b32_e32 v0, 0
	s_waitcnt vmcnt(0)
	v_mov_b32_e32 v5, 0
	v_mov_b32_e32 v3, 0
.LBB364_790:
	s_mov_b64 s[0:1], 0
.LBB364_791:
	s_andn2_b64 vcc, exec, s[0:1]
	s_cbranch_vccnz .LBB364_794
; %bb.792:
	v_mul_hi_u32 v0, s17, v10
	s_andn2_b64 vcc, exec, s[36:37]
	v_add_u32_e32 v0, v10, v0
	s_waitcnt vmcnt(0)
	v_lshrrev_b32_e32 v1, s18, v0
	v_mul_lo_u32 v0, v1, s16
	v_sub_u32_e32 v2, v10, v0
	v_mul_lo_u32 v0, v2, s20
	v_mul_lo_u32 v5, v2, s21
	;; [unrolled: 1-line block ×3, first 2 shown]
	s_cbranch_vccnz .LBB364_794
; %bb.793:
	v_mul_hi_u32 v2, s34, v1
	v_add_u32_e32 v2, v1, v2
	v_lshrrev_b32_e32 v2, s35, v2
	v_mul_lo_u32 v2, v2, s19
	v_sub_u32_e32 v2, v1, v2
	v_mad_u64_u32 v[0:1], s[0:1], v2, s23, v[0:1]
	v_mad_u64_u32 v[5:6], s[0:1], v2, s30, v[5:6]
	;; [unrolled: 1-line block ×3, first 2 shown]
.LBB364_794:
	s_waitcnt vmcnt(0)
	v_mov_b32_e32 v1, s11
	s_and_b32 s14, s74, 0xff
	v_add_co_u32_e32 v4, vcc, s10, v5
	s_cmp_lt_i32 s14, 11
	v_addc_co_u32_e32 v5, vcc, 0, v1, vcc
	s_cbranch_scc1 .LBB364_801
; %bb.795:
	s_and_b32 s62, 0xffff, s14
	s_cmp_gt_i32 s62, 25
	s_cbranch_scc0 .LBB364_802
; %bb.796:
	s_cmp_gt_i32 s62, 28
	s_cbranch_scc0 .LBB364_803
; %bb.797:
	;; [unrolled: 3-line block ×4, first 2 shown]
	s_cmp_eq_u32 s62, 46
	s_mov_b64 s[60:61], 0
	s_cbranch_scc0 .LBB364_808
; %bb.800:
	global_load_dword v1, v[4:5], off
	s_mov_b64 s[0:1], -1
	s_mov_b64 s[58:59], 0
	s_waitcnt vmcnt(0)
	v_lshlrev_b32_e32 v1, 16, v1
	v_trunc_f32_e32 v1, v1
	v_mul_f32_e32 v2, 0x2f800000, v1
	v_floor_f32_e32 v2, v2
	v_fmac_f32_e32 v1, 0xcf800000, v2
	v_cvt_u32_f32_e32 v1, v1
	v_cvt_u32_f32_e32 v2, v2
	s_branch .LBB364_809
.LBB364_801:
	s_mov_b64 s[60:61], -1
	s_mov_b64 s[0:1], 0
                                        ; implicit-def: $vgpr1_vgpr2
	s_mov_b64 s[58:59], s[48:49]
	s_branch .LBB364_870
.LBB364_802:
	s_mov_b64 s[60:61], -1
	s_mov_b64 s[0:1], 0
	s_mov_b64 s[58:59], s[48:49]
                                        ; implicit-def: $vgpr1_vgpr2
	s_branch .LBB364_838
.LBB364_803:
	s_mov_b64 s[60:61], -1
	s_mov_b64 s[0:1], 0
	s_mov_b64 s[58:59], s[48:49]
                                        ; implicit-def: $vgpr1_vgpr2
	s_branch .LBB364_819
.LBB364_804:
	s_mov_b64 s[60:61], -1
	s_mov_b64 s[0:1], 0
	s_mov_b64 s[58:59], s[48:49]
                                        ; implicit-def: $vgpr1_vgpr2
	s_branch .LBB364_814
.LBB364_805:
	s_mov_b64 s[60:61], -1
	s_mov_b64 s[0:1], 0
	s_mov_b64 s[58:59], s[48:49]
                                        ; implicit-def: $vgpr1_vgpr2
	s_branch .LBB364_809
.LBB364_806:
	s_andn2_saveexec_b64 s[60:61], s[60:61]
	s_cbranch_execz .LBB364_689
.LBB364_807:
	v_add_f32_e32 v2, 0x46000000, v3
	v_and_b32_e32 v2, 0xff, v2
	v_cmp_ne_u32_e32 vcc, 0, v2
	s_andn2_b64 s[58:59], s[58:59], exec
	s_and_b64 s[64:65], vcc, exec
	s_or_b64 s[58:59], s[58:59], s[64:65]
	s_or_b64 exec, exec, s[60:61]
	v_mov_b32_e32 v4, 0
	s_and_saveexec_b64 s[60:61], s[58:59]
	s_cbranch_execnz .LBB364_690
	s_branch .LBB364_691
.LBB364_808:
	s_mov_b64 s[58:59], -1
                                        ; implicit-def: $vgpr1_vgpr2
	s_mov_b64 s[0:1], 0
.LBB364_809:
	s_and_b64 vcc, exec, s[60:61]
	s_cbranch_vccz .LBB364_813
; %bb.810:
	s_cmp_eq_u32 s62, 44
	s_cbranch_scc0 .LBB364_812
; %bb.811:
	global_load_ubyte v1, v[4:5], off
	s_mov_b64 s[0:1], -1
	s_mov_b64 s[58:59], 0
	s_waitcnt vmcnt(0)
	v_lshlrev_b32_e32 v2, 23, v1
	v_trunc_f32_e32 v2, v2
	v_mul_f32_e32 v6, 0x2f800000, v2
	v_floor_f32_e32 v6, v6
	v_fmac_f32_e32 v2, 0xcf800000, v6
	v_cvt_u32_f32_e32 v6, v6
	v_cvt_u32_f32_e32 v7, v2
	v_cmp_ne_u32_e32 vcc, 0, v1
	v_cndmask_b32_e32 v2, 0, v6, vcc
	v_cndmask_b32_e32 v1, 0, v7, vcc
	s_branch .LBB364_813
.LBB364_812:
	s_mov_b64 s[58:59], -1
                                        ; implicit-def: $vgpr1_vgpr2
.LBB364_813:
	s_mov_b64 s[60:61], 0
.LBB364_814:
	s_and_b64 vcc, exec, s[60:61]
	s_cbranch_vccz .LBB364_818
; %bb.815:
	s_cmp_eq_u32 s62, 29
	s_cbranch_scc0 .LBB364_817
; %bb.816:
	global_load_dwordx2 v[1:2], v[4:5], off
	s_mov_b64 s[0:1], -1
	s_mov_b64 s[58:59], 0
	s_branch .LBB364_818
.LBB364_817:
	s_mov_b64 s[58:59], -1
                                        ; implicit-def: $vgpr1_vgpr2
.LBB364_818:
	s_mov_b64 s[60:61], 0
.LBB364_819:
	s_and_b64 vcc, exec, s[60:61]
	s_cbranch_vccz .LBB364_837
; %bb.820:
	s_cmp_lt_i32 s62, 27
	s_cbranch_scc1 .LBB364_823
; %bb.821:
	s_cmp_gt_i32 s62, 27
	s_cbranch_scc0 .LBB364_824
; %bb.822:
	global_load_dword v1, v[4:5], off
	s_waitcnt vmcnt(1)
	v_mov_b32_e32 v2, 0
	s_mov_b64 s[0:1], 0
	s_branch .LBB364_825
.LBB364_823:
	s_mov_b64 s[0:1], -1
                                        ; implicit-def: $vgpr1_vgpr2
	s_branch .LBB364_828
.LBB364_824:
	s_mov_b64 s[0:1], -1
                                        ; implicit-def: $vgpr1_vgpr2
.LBB364_825:
	s_andn2_b64 vcc, exec, s[0:1]
	s_cbranch_vccnz .LBB364_827
; %bb.826:
	global_load_ushort v1, v[4:5], off
	s_mov_b32 s0, 0
	s_waitcnt vmcnt(1)
	v_mov_b32_e32 v2, s0
	s_waitcnt vmcnt(0)
	v_and_b32_e32 v1, 0xffff, v1
.LBB364_827:
	s_mov_b64 s[0:1], 0
.LBB364_828:
	s_andn2_b64 vcc, exec, s[0:1]
	s_cbranch_vccnz .LBB364_836
; %bb.829:
	global_load_ubyte v6, v[4:5], off
	s_movk_i32 s0, 0x7f
	s_mov_b64 s[60:61], 0
	s_waitcnt vmcnt(0)
	v_cmp_lt_i16_e32 vcc, s0, v6
	s_and_saveexec_b64 s[0:1], vcc
	s_xor_b64 s[0:1], exec, s[0:1]
; %bb.830:
	s_movk_i32 s60, 0x80
	v_cmp_ne_u16_e32 vcc, s60, v6
	s_and_b64 s[60:61], vcc, exec
; %bb.831:
	s_andn2_saveexec_b64 s[0:1], s[0:1]
; %bb.832:
	v_cmp_ne_u16_e32 vcc, 0, v6
	s_andn2_b64 s[60:61], s[60:61], exec
	s_and_b64 s[64:65], vcc, exec
	s_or_b64 s[60:61], s[60:61], s[64:65]
; %bb.833:
	s_or_b64 exec, exec, s[0:1]
	v_mov_b32_e32 v1, 0
	v_mov_b32_e32 v2, 0
	s_and_saveexec_b64 s[0:1], s[60:61]
	s_cbranch_execz .LBB364_835
; %bb.834:
	v_and_b32_e32 v2, 0xffff, v6
	v_lshlrev_b32_e32 v1, 24, v6
	v_and_b32_e32 v6, 7, v2
	v_ffbh_u32_e32 v8, v6
	v_min_u32_e32 v8, 32, v8
	v_subrev_u32_e32 v9, 28, v8
	v_bfe_u32 v7, v2, 3, 4
	v_lshlrev_b32_e32 v2, v9, v2
	v_sub_u32_e32 v8, 29, v8
	v_and_b32_e32 v2, 7, v2
	v_cmp_eq_u32_e32 vcc, 0, v7
	v_cndmask_b32_e32 v7, v7, v8, vcc
	v_cndmask_b32_e32 v2, v6, v2, vcc
	v_mov_b32_e32 v6, 0x3b800000
	v_lshlrev_b32_e32 v2, 20, v2
	v_and_b32_e32 v1, 0x80000000, v1
	v_lshl_add_u32 v6, v7, 23, v6
	v_or3_b32 v1, v1, v6, v2
	v_trunc_f32_e32 v1, v1
	v_mul_f32_e32 v2, 0x2f800000, v1
	v_floor_f32_e32 v2, v2
	v_fmac_f32_e32 v1, 0xcf800000, v2
	v_cvt_u32_f32_e32 v1, v1
	v_cvt_u32_f32_e32 v2, v2
.LBB364_835:
	s_or_b64 exec, exec, s[0:1]
.LBB364_836:
	s_mov_b64 s[0:1], -1
.LBB364_837:
	s_mov_b64 s[60:61], 0
.LBB364_838:
	s_and_b64 vcc, exec, s[60:61]
	s_cbranch_vccz .LBB364_869
; %bb.839:
	s_cmp_gt_i32 s62, 22
	s_cbranch_scc0 .LBB364_849
; %bb.840:
	s_cmp_lt_i32 s62, 24
	s_cbranch_scc1 .LBB364_850
; %bb.841:
	s_cmp_gt_i32 s62, 24
	s_cbranch_scc0 .LBB364_851
; %bb.842:
	global_load_ubyte v6, v[4:5], off
	s_movk_i32 s0, 0x7f
	s_mov_b64 s[60:61], 0
	s_waitcnt vmcnt(0)
	v_cmp_lt_i16_e32 vcc, s0, v6
	s_and_saveexec_b64 s[0:1], vcc
	s_xor_b64 s[0:1], exec, s[0:1]
; %bb.843:
	s_movk_i32 s60, 0x80
	v_cmp_ne_u16_e32 vcc, s60, v6
	s_and_b64 s[60:61], vcc, exec
; %bb.844:
	s_andn2_saveexec_b64 s[0:1], s[0:1]
; %bb.845:
	v_cmp_ne_u16_e32 vcc, 0, v6
	s_andn2_b64 s[60:61], s[60:61], exec
	s_and_b64 s[64:65], vcc, exec
	s_or_b64 s[60:61], s[60:61], s[64:65]
; %bb.846:
	s_or_b64 exec, exec, s[0:1]
	v_mov_b32_e32 v1, 0
	v_mov_b32_e32 v2, 0
	s_and_saveexec_b64 s[0:1], s[60:61]
	s_cbranch_execz .LBB364_848
; %bb.847:
	v_and_b32_e32 v2, 0xffff, v6
	v_lshlrev_b32_e32 v1, 24, v6
	v_and_b32_e32 v6, 3, v2
	v_ffbh_u32_e32 v8, v6
	v_min_u32_e32 v8, 32, v8
	v_subrev_u32_e32 v9, 29, v8
	v_bfe_u32 v7, v2, 2, 5
	v_lshlrev_b32_e32 v2, v9, v2
	v_sub_u32_e32 v8, 30, v8
	v_and_b32_e32 v2, 3, v2
	v_cmp_eq_u32_e32 vcc, 0, v7
	v_cndmask_b32_e32 v7, v7, v8, vcc
	v_cndmask_b32_e32 v2, v6, v2, vcc
	v_mov_b32_e32 v6, 0x37800000
	v_lshlrev_b32_e32 v2, 21, v2
	v_and_b32_e32 v1, 0x80000000, v1
	v_lshl_add_u32 v6, v7, 23, v6
	v_or3_b32 v1, v1, v6, v2
	v_trunc_f32_e32 v1, v1
	v_mul_f32_e32 v2, 0x2f800000, v1
	v_floor_f32_e32 v2, v2
	v_fmac_f32_e32 v1, 0xcf800000, v2
	v_cvt_u32_f32_e32 v1, v1
	v_cvt_u32_f32_e32 v2, v2
.LBB364_848:
	s_or_b64 exec, exec, s[0:1]
	s_mov_b64 s[0:1], 0
	s_branch .LBB364_852
.LBB364_849:
	s_mov_b64 s[60:61], -1
                                        ; implicit-def: $vgpr1_vgpr2
	s_branch .LBB364_858
.LBB364_850:
	s_mov_b64 s[0:1], -1
                                        ; implicit-def: $vgpr1_vgpr2
	s_branch .LBB364_855
.LBB364_851:
	s_mov_b64 s[0:1], -1
                                        ; implicit-def: $vgpr1_vgpr2
.LBB364_852:
	s_and_b64 vcc, exec, s[0:1]
	s_cbranch_vccz .LBB364_854
; %bb.853:
	global_load_ubyte v1, v[4:5], off
	s_mov_b32 s0, 0x7f800000
	s_brev_b32 s1, 1
	s_waitcnt vmcnt(0)
	v_lshlrev_b32_e32 v1, 24, v1
	v_and_b32_e32 v2, 0x7f000000, v1
	v_ffbh_u32_e32 v6, v2
	v_min_u32_e32 v6, 32, v6
	v_sub_u32_e64 v6, v6, 4 clamp
	v_lshlrev_b32_e32 v8, v6, v2
	v_lshlrev_b32_e32 v6, 23, v6
	v_lshrrev_b32_e32 v8, 4, v8
	v_add_u32_e32 v7, 0x1000000, v2
	v_sub_u32_e32 v6, v8, v6
	v_ashrrev_i32_e32 v7, 8, v7
	v_add_u32_e32 v6, 0x3c000000, v6
	v_and_or_b32 v6, v7, s0, v6
	v_cmp_ne_u32_e32 vcc, 0, v2
	v_cndmask_b32_e32 v2, 0, v6, vcc
	v_and_or_b32 v1, v1, s1, v2
	v_trunc_f32_e32 v1, v1
	v_mul_f32_e32 v2, 0x2f800000, v1
	v_floor_f32_e32 v2, v2
	v_fmac_f32_e32 v1, 0xcf800000, v2
	v_cvt_u32_f32_e32 v1, v1
	v_cvt_u32_f32_e32 v2, v2
.LBB364_854:
	s_mov_b64 s[0:1], 0
.LBB364_855:
	s_andn2_b64 vcc, exec, s[0:1]
	s_cbranch_vccnz .LBB364_857
; %bb.856:
	global_load_ubyte v1, v[4:5], off
	s_movk_i32 s0, 0x7f00
	s_brev_b32 s1, 16
	s_brev_b32 s60, 1
	s_waitcnt vmcnt(0)
	v_lshlrev_b16_e32 v2, 8, v1
	v_lshlrev_b32_e32 v1, 25, v1
	v_lshrrev_b32_e32 v6, 4, v1
	v_and_or_b32 v7, v2, s0, 0.5
	v_or_b32_e32 v6, 0x70000000, v6
	v_add_f32_e32 v7, -0.5, v7
	v_mul_f32_e32 v6, 0x7800000, v6
	v_cmp_gt_u32_e32 vcc, s1, v1
	v_bfe_i32 v2, v2, 0, 16
	v_cndmask_b32_e32 v1, v6, v7, vcc
	v_and_or_b32 v1, v2, s60, v1
	v_trunc_f32_e32 v1, v1
	v_mul_f32_e32 v2, 0x2f800000, v1
	v_floor_f32_e32 v2, v2
	v_fmac_f32_e32 v1, 0xcf800000, v2
	v_cvt_u32_f32_e32 v1, v1
	v_cvt_u32_f32_e32 v2, v2
.LBB364_857:
	s_mov_b64 s[60:61], 0
	s_mov_b64 s[0:1], -1
.LBB364_858:
	s_andn2_b64 vcc, exec, s[60:61]
	s_cbranch_vccnz .LBB364_869
; %bb.859:
	s_cmp_gt_i32 s62, 14
	s_cbranch_scc0 .LBB364_862
; %bb.860:
	s_cmp_eq_u32 s62, 15
	s_cbranch_scc0 .LBB364_863
; %bb.861:
	global_load_ushort v1, v[4:5], off
	s_mov_b64 s[0:1], -1
	s_mov_b64 s[58:59], 0
	s_waitcnt vmcnt(0)
	v_lshlrev_b32_e32 v1, 16, v1
	v_trunc_f32_e32 v1, v1
	v_mul_f32_e32 v2, 0x2f800000, v1
	v_floor_f32_e32 v2, v2
	v_fmac_f32_e32 v1, 0xcf800000, v2
	v_cvt_u32_f32_e32 v1, v1
	v_cvt_u32_f32_e32 v2, v2
	s_branch .LBB364_864
.LBB364_862:
	s_mov_b64 s[60:61], -1
                                        ; implicit-def: $vgpr1_vgpr2
	s_branch .LBB364_865
.LBB364_863:
	s_mov_b64 s[58:59], -1
                                        ; implicit-def: $vgpr1_vgpr2
.LBB364_864:
	s_mov_b64 s[60:61], 0
.LBB364_865:
	s_and_b64 vcc, exec, s[60:61]
	s_cbranch_vccz .LBB364_869
; %bb.866:
	s_cmp_eq_u32 s62, 11
	s_cbranch_scc0 .LBB364_868
; %bb.867:
	global_load_ubyte v1, v[4:5], off
	s_mov_b32 s58, 0
	s_mov_b64 s[0:1], -1
	s_waitcnt vmcnt(1)
	v_mov_b32_e32 v2, s58
	s_mov_b64 s[58:59], 0
	s_waitcnt vmcnt(0)
	v_cmp_ne_u16_e32 vcc, 0, v1
	v_cndmask_b32_e64 v1, 0, 1, vcc
	s_branch .LBB364_869
.LBB364_868:
	s_mov_b64 s[58:59], -1
                                        ; implicit-def: $vgpr1_vgpr2
.LBB364_869:
	s_mov_b64 s[60:61], 0
.LBB364_870:
	s_and_b64 vcc, exec, s[60:61]
	s_cbranch_vccz .LBB364_919
; %bb.871:
	s_and_b32 s14, 0xffff, s14
	s_cmp_lt_i32 s14, 5
	s_cbranch_scc1 .LBB364_876
; %bb.872:
	s_cmp_lt_i32 s14, 8
	s_cbranch_scc1 .LBB364_877
; %bb.873:
	;; [unrolled: 3-line block ×3, first 2 shown]
	s_cmp_gt_i32 s14, 9
	s_cbranch_scc0 .LBB364_879
; %bb.875:
	global_load_dwordx2 v[1:2], v[4:5], off
	s_movk_i32 s0, 0xffe0
	s_waitcnt vmcnt(0)
	v_trunc_f64_e32 v[1:2], v[1:2]
	v_ldexp_f64 v[6:7], v[1:2], s0
	s_mov_b32 s0, 0
	s_mov_b32 s1, 0xc1f00000
	v_floor_f64_e32 v[6:7], v[6:7]
	v_fma_f64 v[8:9], v[6:7], s[0:1], v[1:2]
	v_cvt_u32_f64_e32 v2, v[6:7]
	s_mov_b64 s[0:1], 0
	v_cvt_u32_f64_e32 v1, v[8:9]
	s_branch .LBB364_880
.LBB364_876:
	s_mov_b64 s[0:1], -1
                                        ; implicit-def: $vgpr1_vgpr2
	s_branch .LBB364_898
.LBB364_877:
	s_mov_b64 s[0:1], -1
                                        ; implicit-def: $vgpr1_vgpr2
	s_branch .LBB364_886
.LBB364_878:
	s_mov_b64 s[0:1], -1
                                        ; implicit-def: $vgpr1_vgpr2
	s_branch .LBB364_883
.LBB364_879:
	s_mov_b64 s[0:1], -1
                                        ; implicit-def: $vgpr1_vgpr2
.LBB364_880:
	s_andn2_b64 vcc, exec, s[0:1]
	s_cbranch_vccnz .LBB364_882
; %bb.881:
	global_load_dword v1, v[4:5], off
	s_waitcnt vmcnt(0)
	v_trunc_f32_e32 v1, v1
	v_mul_f32_e32 v2, 0x2f800000, v1
	v_floor_f32_e32 v6, v2
	v_fmac_f32_e32 v1, 0xcf800000, v6
	v_cvt_u32_f32_e32 v2, v6
	v_cvt_u32_f32_e32 v1, v1
.LBB364_882:
	s_mov_b64 s[0:1], 0
.LBB364_883:
	s_andn2_b64 vcc, exec, s[0:1]
	s_cbranch_vccnz .LBB364_885
; %bb.884:
	global_load_dword v1, v[4:5], off
	s_waitcnt vmcnt(1)
	v_mov_b32_e32 v2, 0
	s_waitcnt vmcnt(0)
	v_cvt_f32_f16_e32 v1, v1
	v_cvt_u32_f32_e32 v1, v1
.LBB364_885:
	s_mov_b64 s[0:1], 0
.LBB364_886:
	s_andn2_b64 vcc, exec, s[0:1]
	s_cbranch_vccnz .LBB364_897
; %bb.887:
	s_cmp_lt_i32 s14, 6
	s_cbranch_scc1 .LBB364_890
; %bb.888:
	s_cmp_gt_i32 s14, 6
	s_cbranch_scc0 .LBB364_891
; %bb.889:
	global_load_dwordx2 v[1:2], v[4:5], off
	s_movk_i32 s0, 0xffe0
	s_waitcnt vmcnt(0)
	v_trunc_f64_e32 v[1:2], v[1:2]
	v_ldexp_f64 v[6:7], v[1:2], s0
	s_mov_b32 s0, 0
	s_mov_b32 s1, 0xc1f00000
	v_floor_f64_e32 v[6:7], v[6:7]
	v_fma_f64 v[8:9], v[6:7], s[0:1], v[1:2]
	v_cvt_u32_f64_e32 v2, v[6:7]
	s_mov_b64 s[0:1], 0
	v_cvt_u32_f64_e32 v1, v[8:9]
	s_branch .LBB364_892
.LBB364_890:
	s_mov_b64 s[0:1], -1
                                        ; implicit-def: $vgpr1_vgpr2
	s_branch .LBB364_895
.LBB364_891:
	s_mov_b64 s[0:1], -1
                                        ; implicit-def: $vgpr1_vgpr2
.LBB364_892:
	s_andn2_b64 vcc, exec, s[0:1]
	s_cbranch_vccnz .LBB364_894
; %bb.893:
	global_load_dword v1, v[4:5], off
	s_waitcnt vmcnt(0)
	v_trunc_f32_e32 v1, v1
	v_mul_f32_e32 v2, 0x2f800000, v1
	v_floor_f32_e32 v6, v2
	v_fmac_f32_e32 v1, 0xcf800000, v6
	v_cvt_u32_f32_e32 v2, v6
	v_cvt_u32_f32_e32 v1, v1
.LBB364_894:
	s_mov_b64 s[0:1], 0
.LBB364_895:
	s_andn2_b64 vcc, exec, s[0:1]
	s_cbranch_vccnz .LBB364_897
; %bb.896:
	global_load_ushort v1, v[4:5], off
	s_waitcnt vmcnt(1)
	v_mov_b32_e32 v2, 0
	s_waitcnt vmcnt(0)
	v_cvt_f32_f16_e32 v1, v1
	v_cvt_u32_f32_e32 v1, v1
.LBB364_897:
	s_mov_b64 s[0:1], 0
.LBB364_898:
	s_andn2_b64 vcc, exec, s[0:1]
	s_cbranch_vccnz .LBB364_918
; %bb.899:
	s_cmp_lt_i32 s14, 2
	s_cbranch_scc1 .LBB364_903
; %bb.900:
	s_cmp_lt_i32 s14, 3
	s_cbranch_scc1 .LBB364_904
; %bb.901:
	s_cmp_gt_i32 s14, 3
	s_cbranch_scc0 .LBB364_905
; %bb.902:
	global_load_dwordx2 v[1:2], v[4:5], off
	s_mov_b64 s[0:1], 0
	s_branch .LBB364_906
.LBB364_903:
	s_mov_b64 s[0:1], -1
                                        ; implicit-def: $vgpr1_vgpr2
	s_branch .LBB364_912
.LBB364_904:
	s_mov_b64 s[0:1], -1
                                        ; implicit-def: $vgpr1_vgpr2
	s_branch .LBB364_909
.LBB364_905:
	s_mov_b64 s[0:1], -1
                                        ; implicit-def: $vgpr1_vgpr2
.LBB364_906:
	s_andn2_b64 vcc, exec, s[0:1]
	s_cbranch_vccnz .LBB364_908
; %bb.907:
	global_load_dword v1, v[4:5], off
	s_waitcnt vmcnt(0)
	v_ashrrev_i32_e32 v2, 31, v1
.LBB364_908:
	s_mov_b64 s[0:1], 0
.LBB364_909:
	s_andn2_b64 vcc, exec, s[0:1]
	s_cbranch_vccnz .LBB364_911
; %bb.910:
	global_load_ushort v1, v[4:5], off
	s_waitcnt vmcnt(0)
	v_bfe_i32 v1, v1, 0, 16
	v_ashrrev_i32_e32 v2, 31, v1
.LBB364_911:
	s_mov_b64 s[0:1], 0
.LBB364_912:
	s_andn2_b64 vcc, exec, s[0:1]
	s_cbranch_vccnz .LBB364_918
; %bb.913:
	s_cmp_gt_i32 s14, 0
	s_cbranch_scc0 .LBB364_915
; %bb.914:
	global_load_sbyte v1, v[4:5], off
	s_mov_b64 s[0:1], 0
	s_waitcnt vmcnt(0)
	v_bfe_i32 v1, v1, 0, 16
	v_ashrrev_i32_e32 v2, 31, v1
	s_branch .LBB364_916
.LBB364_915:
	s_mov_b64 s[0:1], -1
                                        ; implicit-def: $vgpr1_vgpr2
.LBB364_916:
	s_andn2_b64 vcc, exec, s[0:1]
	s_cbranch_vccnz .LBB364_918
; %bb.917:
	global_load_ubyte v1, v[4:5], off
	s_mov_b32 s0, 0
	s_waitcnt vmcnt(1)
	v_mov_b32_e32 v2, s0
	s_waitcnt vmcnt(0)
	v_and_b32_e32 v1, 0xffff, v1
.LBB364_918:
	s_mov_b64 s[0:1], -1
.LBB364_919:
	s_andn2_b64 vcc, exec, s[0:1]
	s_cbranch_vccnz .LBB364_927
; %bb.920:
	v_mov_b32_e32 v4, s13
	s_and_b32 s14, s73, 0xff
	v_add_co_u32_e32 v3, vcc, s12, v3
	s_cmp_lt_i32 s14, 11
	v_addc_co_u32_e32 v4, vcc, 0, v4, vcc
	s_cbranch_scc1 .LBB364_929
; %bb.921:
	s_and_b32 s64, 0xffff, s14
	s_cmp_gt_i32 s64, 25
	s_cbranch_scc0 .LBB364_930
; %bb.922:
	s_cmp_gt_i32 s64, 28
	s_cbranch_scc0 .LBB364_931
; %bb.923:
	;; [unrolled: 3-line block ×4, first 2 shown]
	s_cmp_eq_u32 s64, 46
	s_mov_b64 s[62:63], 0
	s_cbranch_scc0 .LBB364_936
; %bb.926:
	global_load_dword v5, v[3:4], off
	s_mov_b64 s[0:1], -1
	s_mov_b64 s[60:61], 0
	s_waitcnt vmcnt(0)
	v_lshlrev_b32_e32 v5, 16, v5
	v_trunc_f32_e32 v5, v5
	v_mul_f32_e32 v6, 0x2f800000, v5
	v_floor_f32_e32 v6, v6
	v_fmac_f32_e32 v5, 0xcf800000, v6
	v_cvt_u32_f32_e32 v5, v5
	v_cvt_u32_f32_e32 v6, v6
	s_branch .LBB364_937
.LBB364_927:
	s_mov_b64 s[64:65], 0
	s_mov_b64 s[0:1], s[52:53]
	;; [unrolled: 1-line block ×3, first 2 shown]
.LBB364_928:
                                        ; implicit-def: $vgpr10
	s_branch .LBB364_1171
.LBB364_929:
	s_mov_b64 s[62:63], -1
	s_mov_b64 s[0:1], 0
                                        ; implicit-def: $vgpr5_vgpr6
	s_mov_b64 s[60:61], s[50:51]
	s_branch .LBB364_998
.LBB364_930:
	s_mov_b64 s[62:63], -1
	s_mov_b64 s[0:1], 0
	s_mov_b64 s[60:61], s[50:51]
                                        ; implicit-def: $vgpr5_vgpr6
	s_branch .LBB364_966
.LBB364_931:
	s_mov_b64 s[62:63], -1
	s_mov_b64 s[0:1], 0
	s_mov_b64 s[60:61], s[50:51]
                                        ; implicit-def: $vgpr5_vgpr6
	s_branch .LBB364_947
.LBB364_932:
	s_mov_b64 s[62:63], -1
	s_mov_b64 s[0:1], 0
	s_mov_b64 s[60:61], s[50:51]
                                        ; implicit-def: $vgpr5_vgpr6
	s_branch .LBB364_942
.LBB364_933:
	s_mov_b64 s[62:63], -1
	s_mov_b64 s[0:1], 0
	s_mov_b64 s[60:61], s[50:51]
                                        ; implicit-def: $vgpr5_vgpr6
	s_branch .LBB364_937
.LBB364_934:
	s_andn2_saveexec_b64 s[60:61], s[60:61]
	s_cbranch_execz .LBB364_702
.LBB364_935:
	v_add_f32_e32 v2, 0x42800000, v3
	v_and_b32_e32 v2, 0xff, v2
	v_cmp_ne_u32_e32 vcc, 0, v2
	s_andn2_b64 s[58:59], s[58:59], exec
	s_and_b64 s[64:65], vcc, exec
	s_or_b64 s[58:59], s[58:59], s[64:65]
	s_or_b64 exec, exec, s[60:61]
	v_mov_b32_e32 v4, 0
	s_and_saveexec_b64 s[60:61], s[58:59]
	s_cbranch_execnz .LBB364_703
	s_branch .LBB364_704
.LBB364_936:
	s_mov_b64 s[60:61], -1
                                        ; implicit-def: $vgpr5_vgpr6
	s_mov_b64 s[0:1], 0
.LBB364_937:
	s_and_b64 vcc, exec, s[62:63]
	s_cbranch_vccz .LBB364_941
; %bb.938:
	s_cmp_eq_u32 s64, 44
	s_cbranch_scc0 .LBB364_940
; %bb.939:
	global_load_ubyte v5, v[3:4], off
	s_mov_b64 s[0:1], -1
	s_mov_b64 s[60:61], 0
	s_waitcnt vmcnt(0)
	v_lshlrev_b32_e32 v6, 23, v5
	v_trunc_f32_e32 v6, v6
	v_mul_f32_e32 v7, 0x2f800000, v6
	v_floor_f32_e32 v7, v7
	v_fmac_f32_e32 v6, 0xcf800000, v7
	v_cvt_u32_f32_e32 v7, v7
	v_cvt_u32_f32_e32 v8, v6
	v_cmp_ne_u32_e32 vcc, 0, v5
	v_cndmask_b32_e32 v6, 0, v7, vcc
	v_cndmask_b32_e32 v5, 0, v8, vcc
	s_branch .LBB364_941
.LBB364_940:
	s_mov_b64 s[60:61], -1
                                        ; implicit-def: $vgpr5_vgpr6
.LBB364_941:
	s_mov_b64 s[62:63], 0
.LBB364_942:
	s_and_b64 vcc, exec, s[62:63]
	s_cbranch_vccz .LBB364_946
; %bb.943:
	s_cmp_eq_u32 s64, 29
	s_cbranch_scc0 .LBB364_945
; %bb.944:
	global_load_dwordx2 v[5:6], v[3:4], off
	s_mov_b64 s[0:1], -1
	s_mov_b64 s[60:61], 0
	s_branch .LBB364_946
.LBB364_945:
	s_mov_b64 s[60:61], -1
                                        ; implicit-def: $vgpr5_vgpr6
.LBB364_946:
	s_mov_b64 s[62:63], 0
.LBB364_947:
	s_and_b64 vcc, exec, s[62:63]
	s_cbranch_vccz .LBB364_965
; %bb.948:
	s_cmp_lt_i32 s64, 27
	s_cbranch_scc1 .LBB364_951
; %bb.949:
	s_cmp_gt_i32 s64, 27
	s_cbranch_scc0 .LBB364_952
; %bb.950:
	global_load_dword v5, v[3:4], off
	s_waitcnt vmcnt(1)
	v_mov_b32_e32 v6, 0
	s_mov_b64 s[0:1], 0
	s_branch .LBB364_953
.LBB364_951:
	s_mov_b64 s[0:1], -1
                                        ; implicit-def: $vgpr5_vgpr6
	s_branch .LBB364_956
.LBB364_952:
	s_mov_b64 s[0:1], -1
                                        ; implicit-def: $vgpr5_vgpr6
.LBB364_953:
	s_andn2_b64 vcc, exec, s[0:1]
	s_cbranch_vccnz .LBB364_955
; %bb.954:
	global_load_ushort v5, v[3:4], off
	s_mov_b32 s0, 0
	s_waitcnt vmcnt(1)
	v_mov_b32_e32 v6, s0
	s_waitcnt vmcnt(0)
	v_and_b32_e32 v5, 0xffff, v5
.LBB364_955:
	s_mov_b64 s[0:1], 0
.LBB364_956:
	s_andn2_b64 vcc, exec, s[0:1]
	s_cbranch_vccnz .LBB364_964
; %bb.957:
	global_load_ubyte v7, v[3:4], off
	s_movk_i32 s0, 0x7f
	s_mov_b64 s[62:63], 0
	s_waitcnt vmcnt(0)
	v_cmp_lt_i16_e32 vcc, s0, v7
	s_and_saveexec_b64 s[0:1], vcc
	s_xor_b64 s[0:1], exec, s[0:1]
; %bb.958:
	s_movk_i32 s62, 0x80
	v_cmp_ne_u16_e32 vcc, s62, v7
	s_and_b64 s[62:63], vcc, exec
; %bb.959:
	s_andn2_saveexec_b64 s[0:1], s[0:1]
; %bb.960:
	v_cmp_ne_u16_e32 vcc, 0, v7
	s_andn2_b64 s[62:63], s[62:63], exec
	s_and_b64 s[66:67], vcc, exec
	s_or_b64 s[62:63], s[62:63], s[66:67]
; %bb.961:
	s_or_b64 exec, exec, s[0:1]
	v_mov_b32_e32 v5, 0
	v_mov_b32_e32 v6, 0
	s_and_saveexec_b64 s[0:1], s[62:63]
	s_cbranch_execz .LBB364_963
; %bb.962:
	v_and_b32_e32 v6, 0xffff, v7
	v_lshlrev_b32_e32 v5, 24, v7
	v_and_b32_e32 v7, 7, v6
	v_ffbh_u32_e32 v9, v7
	v_min_u32_e32 v9, 32, v9
	v_subrev_u32_e32 v11, 28, v9
	v_bfe_u32 v8, v6, 3, 4
	v_lshlrev_b32_e32 v6, v11, v6
	v_sub_u32_e32 v9, 29, v9
	v_and_b32_e32 v6, 7, v6
	v_cmp_eq_u32_e32 vcc, 0, v8
	v_cndmask_b32_e32 v8, v8, v9, vcc
	v_cndmask_b32_e32 v6, v7, v6, vcc
	v_mov_b32_e32 v7, 0x3b800000
	v_lshlrev_b32_e32 v6, 20, v6
	v_and_b32_e32 v5, 0x80000000, v5
	v_lshl_add_u32 v7, v8, 23, v7
	v_or3_b32 v5, v5, v7, v6
	v_trunc_f32_e32 v5, v5
	v_mul_f32_e32 v6, 0x2f800000, v5
	v_floor_f32_e32 v6, v6
	v_fmac_f32_e32 v5, 0xcf800000, v6
	v_cvt_u32_f32_e32 v5, v5
	v_cvt_u32_f32_e32 v6, v6
.LBB364_963:
	s_or_b64 exec, exec, s[0:1]
.LBB364_964:
	s_mov_b64 s[0:1], -1
.LBB364_965:
	s_mov_b64 s[62:63], 0
.LBB364_966:
	s_and_b64 vcc, exec, s[62:63]
	s_cbranch_vccz .LBB364_997
; %bb.967:
	s_cmp_gt_i32 s64, 22
	s_cbranch_scc0 .LBB364_977
; %bb.968:
	s_cmp_lt_i32 s64, 24
	s_cbranch_scc1 .LBB364_978
; %bb.969:
	s_cmp_gt_i32 s64, 24
	s_cbranch_scc0 .LBB364_979
; %bb.970:
	global_load_ubyte v7, v[3:4], off
	s_movk_i32 s0, 0x7f
	s_mov_b64 s[62:63], 0
	s_waitcnt vmcnt(0)
	v_cmp_lt_i16_e32 vcc, s0, v7
	s_and_saveexec_b64 s[0:1], vcc
	s_xor_b64 s[0:1], exec, s[0:1]
; %bb.971:
	s_movk_i32 s62, 0x80
	v_cmp_ne_u16_e32 vcc, s62, v7
	s_and_b64 s[62:63], vcc, exec
; %bb.972:
	s_andn2_saveexec_b64 s[0:1], s[0:1]
; %bb.973:
	v_cmp_ne_u16_e32 vcc, 0, v7
	s_andn2_b64 s[62:63], s[62:63], exec
	s_and_b64 s[66:67], vcc, exec
	s_or_b64 s[62:63], s[62:63], s[66:67]
; %bb.974:
	s_or_b64 exec, exec, s[0:1]
	v_mov_b32_e32 v5, 0
	v_mov_b32_e32 v6, 0
	s_and_saveexec_b64 s[0:1], s[62:63]
	s_cbranch_execz .LBB364_976
; %bb.975:
	v_and_b32_e32 v6, 0xffff, v7
	v_lshlrev_b32_e32 v5, 24, v7
	v_and_b32_e32 v7, 3, v6
	v_ffbh_u32_e32 v9, v7
	v_min_u32_e32 v9, 32, v9
	v_subrev_u32_e32 v11, 29, v9
	v_bfe_u32 v8, v6, 2, 5
	v_lshlrev_b32_e32 v6, v11, v6
	v_sub_u32_e32 v9, 30, v9
	v_and_b32_e32 v6, 3, v6
	v_cmp_eq_u32_e32 vcc, 0, v8
	v_cndmask_b32_e32 v8, v8, v9, vcc
	v_cndmask_b32_e32 v6, v7, v6, vcc
	v_mov_b32_e32 v7, 0x37800000
	v_lshlrev_b32_e32 v6, 21, v6
	v_and_b32_e32 v5, 0x80000000, v5
	v_lshl_add_u32 v7, v8, 23, v7
	v_or3_b32 v5, v5, v7, v6
	v_trunc_f32_e32 v5, v5
	v_mul_f32_e32 v6, 0x2f800000, v5
	v_floor_f32_e32 v6, v6
	v_fmac_f32_e32 v5, 0xcf800000, v6
	v_cvt_u32_f32_e32 v5, v5
	v_cvt_u32_f32_e32 v6, v6
.LBB364_976:
	s_or_b64 exec, exec, s[0:1]
	s_mov_b64 s[0:1], 0
	s_branch .LBB364_980
.LBB364_977:
	s_mov_b64 s[62:63], -1
                                        ; implicit-def: $vgpr5_vgpr6
	s_branch .LBB364_986
.LBB364_978:
	s_mov_b64 s[0:1], -1
                                        ; implicit-def: $vgpr5_vgpr6
	s_branch .LBB364_983
.LBB364_979:
	s_mov_b64 s[0:1], -1
                                        ; implicit-def: $vgpr5_vgpr6
.LBB364_980:
	s_and_b64 vcc, exec, s[0:1]
	s_cbranch_vccz .LBB364_982
; %bb.981:
	global_load_ubyte v5, v[3:4], off
	s_mov_b32 s0, 0x7f800000
	s_brev_b32 s1, 1
	s_waitcnt vmcnt(0)
	v_lshlrev_b32_e32 v5, 24, v5
	v_and_b32_e32 v6, 0x7f000000, v5
	v_ffbh_u32_e32 v7, v6
	v_min_u32_e32 v7, 32, v7
	v_sub_u32_e64 v7, v7, 4 clamp
	v_lshlrev_b32_e32 v9, v7, v6
	v_lshlrev_b32_e32 v7, 23, v7
	v_lshrrev_b32_e32 v9, 4, v9
	v_add_u32_e32 v8, 0x1000000, v6
	v_sub_u32_e32 v7, v9, v7
	v_ashrrev_i32_e32 v8, 8, v8
	v_add_u32_e32 v7, 0x3c000000, v7
	v_and_or_b32 v7, v8, s0, v7
	v_cmp_ne_u32_e32 vcc, 0, v6
	v_cndmask_b32_e32 v6, 0, v7, vcc
	v_and_or_b32 v5, v5, s1, v6
	v_trunc_f32_e32 v5, v5
	v_mul_f32_e32 v6, 0x2f800000, v5
	v_floor_f32_e32 v6, v6
	v_fmac_f32_e32 v5, 0xcf800000, v6
	v_cvt_u32_f32_e32 v5, v5
	v_cvt_u32_f32_e32 v6, v6
.LBB364_982:
	s_mov_b64 s[0:1], 0
.LBB364_983:
	s_andn2_b64 vcc, exec, s[0:1]
	s_cbranch_vccnz .LBB364_985
; %bb.984:
	global_load_ubyte v5, v[3:4], off
	s_movk_i32 s0, 0x7f00
	s_brev_b32 s1, 16
	s_brev_b32 s62, 1
	s_waitcnt vmcnt(0)
	v_lshlrev_b16_e32 v6, 8, v5
	v_lshlrev_b32_e32 v5, 25, v5
	v_lshrrev_b32_e32 v7, 4, v5
	v_and_or_b32 v8, v6, s0, 0.5
	v_or_b32_e32 v7, 0x70000000, v7
	v_add_f32_e32 v8, -0.5, v8
	v_mul_f32_e32 v7, 0x7800000, v7
	v_cmp_gt_u32_e32 vcc, s1, v5
	v_bfe_i32 v6, v6, 0, 16
	v_cndmask_b32_e32 v5, v7, v8, vcc
	v_and_or_b32 v5, v6, s62, v5
	v_trunc_f32_e32 v5, v5
	v_mul_f32_e32 v6, 0x2f800000, v5
	v_floor_f32_e32 v6, v6
	v_fmac_f32_e32 v5, 0xcf800000, v6
	v_cvt_u32_f32_e32 v5, v5
	v_cvt_u32_f32_e32 v6, v6
.LBB364_985:
	s_mov_b64 s[62:63], 0
	s_mov_b64 s[0:1], -1
.LBB364_986:
	s_andn2_b64 vcc, exec, s[62:63]
	s_cbranch_vccnz .LBB364_997
; %bb.987:
	s_cmp_gt_i32 s64, 14
	s_cbranch_scc0 .LBB364_990
; %bb.988:
	s_cmp_eq_u32 s64, 15
	s_cbranch_scc0 .LBB364_991
; %bb.989:
	global_load_ushort v5, v[3:4], off
	s_mov_b64 s[0:1], -1
	s_mov_b64 s[60:61], 0
	s_waitcnt vmcnt(0)
	v_lshlrev_b32_e32 v5, 16, v5
	v_trunc_f32_e32 v5, v5
	v_mul_f32_e32 v6, 0x2f800000, v5
	v_floor_f32_e32 v6, v6
	v_fmac_f32_e32 v5, 0xcf800000, v6
	v_cvt_u32_f32_e32 v5, v5
	v_cvt_u32_f32_e32 v6, v6
	s_branch .LBB364_992
.LBB364_990:
	s_mov_b64 s[62:63], -1
                                        ; implicit-def: $vgpr5_vgpr6
	s_branch .LBB364_993
.LBB364_991:
	s_mov_b64 s[60:61], -1
                                        ; implicit-def: $vgpr5_vgpr6
.LBB364_992:
	s_mov_b64 s[62:63], 0
.LBB364_993:
	s_and_b64 vcc, exec, s[62:63]
	s_cbranch_vccz .LBB364_997
; %bb.994:
	s_cmp_eq_u32 s64, 11
	s_cbranch_scc0 .LBB364_996
; %bb.995:
	global_load_ubyte v5, v[3:4], off
	s_mov_b32 s60, 0
	s_mov_b64 s[0:1], -1
	s_waitcnt vmcnt(1)
	v_mov_b32_e32 v6, s60
	s_mov_b64 s[60:61], 0
	s_waitcnt vmcnt(0)
	v_cmp_ne_u16_e32 vcc, 0, v5
	v_cndmask_b32_e64 v5, 0, 1, vcc
	s_branch .LBB364_997
.LBB364_996:
	s_mov_b64 s[60:61], -1
                                        ; implicit-def: $vgpr5_vgpr6
.LBB364_997:
	s_mov_b64 s[62:63], 0
.LBB364_998:
	s_and_b64 vcc, exec, s[62:63]
	s_cbranch_vccz .LBB364_1047
; %bb.999:
	s_and_b32 s14, 0xffff, s14
	s_cmp_lt_i32 s14, 5
	s_cbranch_scc1 .LBB364_1004
; %bb.1000:
	s_cmp_lt_i32 s14, 8
	s_cbranch_scc1 .LBB364_1005
; %bb.1001:
	;; [unrolled: 3-line block ×3, first 2 shown]
	s_cmp_gt_i32 s14, 9
	s_cbranch_scc0 .LBB364_1007
; %bb.1003:
	global_load_dwordx2 v[5:6], v[3:4], off
	s_movk_i32 s0, 0xffe0
	s_waitcnt vmcnt(0)
	v_trunc_f64_e32 v[5:6], v[5:6]
	v_ldexp_f64 v[7:8], v[5:6], s0
	s_mov_b32 s0, 0
	s_mov_b32 s1, 0xc1f00000
	v_floor_f64_e32 v[7:8], v[7:8]
	v_fma_f64 v[11:12], v[7:8], s[0:1], v[5:6]
	v_cvt_u32_f64_e32 v6, v[7:8]
	s_mov_b64 s[0:1], 0
	v_cvt_u32_f64_e32 v5, v[11:12]
	s_branch .LBB364_1008
.LBB364_1004:
	s_mov_b64 s[0:1], -1
                                        ; implicit-def: $vgpr5_vgpr6
	s_branch .LBB364_1026
.LBB364_1005:
	s_mov_b64 s[0:1], -1
                                        ; implicit-def: $vgpr5_vgpr6
	s_branch .LBB364_1014
.LBB364_1006:
	s_mov_b64 s[0:1], -1
                                        ; implicit-def: $vgpr5_vgpr6
	s_branch .LBB364_1011
.LBB364_1007:
	s_mov_b64 s[0:1], -1
                                        ; implicit-def: $vgpr5_vgpr6
.LBB364_1008:
	s_andn2_b64 vcc, exec, s[0:1]
	s_cbranch_vccnz .LBB364_1010
; %bb.1009:
	global_load_dword v5, v[3:4], off
	s_waitcnt vmcnt(0)
	v_trunc_f32_e32 v5, v5
	v_mul_f32_e32 v6, 0x2f800000, v5
	v_floor_f32_e32 v7, v6
	v_fmac_f32_e32 v5, 0xcf800000, v7
	v_cvt_u32_f32_e32 v6, v7
	v_cvt_u32_f32_e32 v5, v5
.LBB364_1010:
	s_mov_b64 s[0:1], 0
.LBB364_1011:
	s_andn2_b64 vcc, exec, s[0:1]
	s_cbranch_vccnz .LBB364_1013
; %bb.1012:
	global_load_dword v5, v[3:4], off
	s_waitcnt vmcnt(1)
	v_mov_b32_e32 v6, 0
	s_waitcnt vmcnt(0)
	v_cvt_f32_f16_e32 v5, v5
	v_cvt_u32_f32_e32 v5, v5
.LBB364_1013:
	s_mov_b64 s[0:1], 0
.LBB364_1014:
	s_andn2_b64 vcc, exec, s[0:1]
	s_cbranch_vccnz .LBB364_1025
; %bb.1015:
	s_cmp_lt_i32 s14, 6
	s_cbranch_scc1 .LBB364_1018
; %bb.1016:
	s_cmp_gt_i32 s14, 6
	s_cbranch_scc0 .LBB364_1019
; %bb.1017:
	global_load_dwordx2 v[5:6], v[3:4], off
	s_movk_i32 s0, 0xffe0
	s_waitcnt vmcnt(0)
	v_trunc_f64_e32 v[5:6], v[5:6]
	v_ldexp_f64 v[7:8], v[5:6], s0
	s_mov_b32 s0, 0
	s_mov_b32 s1, 0xc1f00000
	v_floor_f64_e32 v[7:8], v[7:8]
	v_fma_f64 v[11:12], v[7:8], s[0:1], v[5:6]
	v_cvt_u32_f64_e32 v6, v[7:8]
	s_mov_b64 s[0:1], 0
	v_cvt_u32_f64_e32 v5, v[11:12]
	s_branch .LBB364_1020
.LBB364_1018:
	s_mov_b64 s[0:1], -1
                                        ; implicit-def: $vgpr5_vgpr6
	s_branch .LBB364_1023
.LBB364_1019:
	s_mov_b64 s[0:1], -1
                                        ; implicit-def: $vgpr5_vgpr6
.LBB364_1020:
	s_andn2_b64 vcc, exec, s[0:1]
	s_cbranch_vccnz .LBB364_1022
; %bb.1021:
	global_load_dword v5, v[3:4], off
	s_waitcnt vmcnt(0)
	v_trunc_f32_e32 v5, v5
	v_mul_f32_e32 v6, 0x2f800000, v5
	v_floor_f32_e32 v7, v6
	v_fmac_f32_e32 v5, 0xcf800000, v7
	v_cvt_u32_f32_e32 v6, v7
	v_cvt_u32_f32_e32 v5, v5
.LBB364_1022:
	s_mov_b64 s[0:1], 0
.LBB364_1023:
	s_andn2_b64 vcc, exec, s[0:1]
	s_cbranch_vccnz .LBB364_1025
; %bb.1024:
	global_load_ushort v5, v[3:4], off
	s_waitcnt vmcnt(1)
	v_mov_b32_e32 v6, 0
	s_waitcnt vmcnt(0)
	v_cvt_f32_f16_e32 v5, v5
	v_cvt_u32_f32_e32 v5, v5
.LBB364_1025:
	s_mov_b64 s[0:1], 0
.LBB364_1026:
	s_andn2_b64 vcc, exec, s[0:1]
	s_cbranch_vccnz .LBB364_1046
; %bb.1027:
	s_cmp_lt_i32 s14, 2
	s_cbranch_scc1 .LBB364_1031
; %bb.1028:
	s_cmp_lt_i32 s14, 3
	s_cbranch_scc1 .LBB364_1032
; %bb.1029:
	s_cmp_gt_i32 s14, 3
	s_cbranch_scc0 .LBB364_1033
; %bb.1030:
	global_load_dwordx2 v[5:6], v[3:4], off
	s_mov_b64 s[0:1], 0
	s_branch .LBB364_1034
.LBB364_1031:
	s_mov_b64 s[0:1], -1
                                        ; implicit-def: $vgpr5_vgpr6
	s_branch .LBB364_1040
.LBB364_1032:
	s_mov_b64 s[0:1], -1
                                        ; implicit-def: $vgpr5_vgpr6
	s_branch .LBB364_1037
.LBB364_1033:
	s_mov_b64 s[0:1], -1
                                        ; implicit-def: $vgpr5_vgpr6
.LBB364_1034:
	s_andn2_b64 vcc, exec, s[0:1]
	s_cbranch_vccnz .LBB364_1036
; %bb.1035:
	global_load_dword v5, v[3:4], off
	s_waitcnt vmcnt(0)
	v_ashrrev_i32_e32 v6, 31, v5
.LBB364_1036:
	s_mov_b64 s[0:1], 0
.LBB364_1037:
	s_andn2_b64 vcc, exec, s[0:1]
	s_cbranch_vccnz .LBB364_1039
; %bb.1038:
	global_load_ushort v5, v[3:4], off
	s_waitcnt vmcnt(0)
	v_bfe_i32 v5, v5, 0, 16
	v_ashrrev_i32_e32 v6, 31, v5
.LBB364_1039:
	s_mov_b64 s[0:1], 0
.LBB364_1040:
	s_andn2_b64 vcc, exec, s[0:1]
	s_cbranch_vccnz .LBB364_1046
; %bb.1041:
	s_cmp_gt_i32 s14, 0
	s_cbranch_scc0 .LBB364_1043
; %bb.1042:
	global_load_sbyte v5, v[3:4], off
	s_mov_b64 s[0:1], 0
	s_waitcnt vmcnt(0)
	v_bfe_i32 v5, v5, 0, 16
	v_ashrrev_i32_e32 v6, 31, v5
	s_branch .LBB364_1044
.LBB364_1043:
	s_mov_b64 s[0:1], -1
                                        ; implicit-def: $vgpr5_vgpr6
.LBB364_1044:
	s_andn2_b64 vcc, exec, s[0:1]
	s_cbranch_vccnz .LBB364_1046
; %bb.1045:
	global_load_ubyte v3, v[3:4], off
	s_mov_b32 s0, 0
	s_waitcnt vmcnt(1)
	v_mov_b32_e32 v6, s0
	s_waitcnt vmcnt(0)
	v_and_b32_e32 v5, 0xffff, v3
.LBB364_1046:
	s_mov_b64 s[0:1], -1
.LBB364_1047:
	s_andn2_b64 vcc, exec, s[0:1]
	s_cbranch_vccnz .LBB364_1055
; %bb.1048:
	s_waitcnt vmcnt(0)
	v_cmp_ne_u64_e32 vcc, v[1:2], v[5:6]
	v_mov_b32_e32 v1, s9
	s_xor_b64 s[62:63], s[28:29], vcc
	s_and_b32 s14, s15, 0xff
	v_add_co_u32_e32 v0, vcc, s8, v0
	s_cmp_lt_i32 s14, 11
	v_addc_co_u32_e32 v1, vcc, 0, v1, vcc
	s_cbranch_scc1 .LBB364_1056
; %bb.1049:
	s_and_b32 s71, 0xffff, s14
	s_cmp_gt_i32 s71, 25
	s_cbranch_scc0 .LBB364_1057
; %bb.1050:
	s_cmp_gt_i32 s71, 28
	s_cbranch_scc0 .LBB364_1058
; %bb.1051:
	;; [unrolled: 3-line block ×4, first 2 shown]
	s_mov_b64 s[66:67], 0
	s_mov_b64 s[0:1], -1
	s_cmp_eq_u32 s71, 46
	s_mov_b64 s[64:65], 0
	s_cbranch_scc0 .LBB364_1061
; %bb.1054:
	v_cndmask_b32_e64 v2, 0, 1.0, s[62:63]
	v_bfe_u32 v3, v2, 16, 1
	s_movk_i32 s0, 0x7fff
	v_add3_u32 v2, v2, v3, s0
	v_lshrrev_b32_e32 v2, 16, v2
	global_store_dword v[0:1], v2, off
	s_mov_b64 s[64:65], -1
	s_mov_b64 s[0:1], 0
	s_branch .LBB364_1061
.LBB364_1055:
	s_mov_b64 s[64:65], 0
                                        ; implicit-def: $vgpr10
	s_mov_b64 s[0:1], s[52:53]
	s_branch .LBB364_1171
.LBB364_1056:
	s_mov_b64 s[66:67], -1
	s_mov_b64 s[64:65], 0
	s_mov_b64 s[0:1], s[52:53]
	s_branch .LBB364_1130
.LBB364_1057:
	s_mov_b64 s[66:67], -1
	s_mov_b64 s[64:65], 0
	s_mov_b64 s[0:1], s[52:53]
	s_branch .LBB364_1088
.LBB364_1058:
	s_mov_b64 s[66:67], -1
	s_mov_b64 s[64:65], 0
	s_mov_b64 s[0:1], s[52:53]
	s_branch .LBB364_1071
.LBB364_1059:
	s_mov_b64 s[66:67], -1
	s_mov_b64 s[64:65], 0
	s_mov_b64 s[0:1], s[52:53]
	s_branch .LBB364_1067
.LBB364_1060:
	s_mov_b64 s[66:67], -1
	s_mov_b64 s[64:65], 0
	s_mov_b64 s[0:1], s[52:53]
.LBB364_1061:
	s_and_b64 vcc, exec, s[66:67]
	s_cbranch_vccz .LBB364_1066
; %bb.1062:
	s_cmp_eq_u32 s71, 44
	s_mov_b64 s[0:1], -1
	s_cbranch_scc0 .LBB364_1066
; %bb.1063:
	v_cndmask_b32_e64 v3, 0, 1.0, s[62:63]
	v_lshrrev_b32_e32 v2, 23, v3
	s_movk_i32 s0, 0xff
	v_cmp_ne_u32_e32 vcc, s0, v2
	v_mov_b32_e32 v4, 0xff
	s_and_saveexec_b64 s[64:65], vcc
; %bb.1064:
	s_mov_b32 s0, 0x3fffff
	v_and_b32_e32 v4, 0x400000, v3
	v_and_or_b32 v3, v3, s0, v2
	v_cmp_ne_u32_e32 vcc, 0, v4
	v_cmp_ne_u32_e64 s[0:1], 0, v3
	s_and_b64 s[0:1], vcc, s[0:1]
	v_cndmask_b32_e64 v3, 0, 1, s[0:1]
	v_add_u32_e32 v4, v2, v3
; %bb.1065:
	s_or_b64 exec, exec, s[64:65]
	s_mov_b64 s[64:65], -1
	s_mov_b64 s[0:1], 0
	global_store_byte v[0:1], v4, off
.LBB364_1066:
	s_mov_b64 s[66:67], 0
.LBB364_1067:
	s_and_b64 vcc, exec, s[66:67]
	s_cbranch_vccz .LBB364_1070
; %bb.1068:
	s_cmp_eq_u32 s71, 29
	s_mov_b64 s[0:1], -1
	s_cbranch_scc0 .LBB364_1070
; %bb.1069:
	s_mov_b32 s0, 0
	v_cndmask_b32_e64 v2, 0, 1, s[62:63]
	v_mov_b32_e32 v3, s0
	global_store_dwordx2 v[0:1], v[2:3], off
	s_mov_b64 s[64:65], -1
	s_mov_b64 s[0:1], 0
.LBB364_1070:
	s_mov_b64 s[66:67], 0
.LBB364_1071:
	s_and_b64 vcc, exec, s[66:67]
	s_cbranch_vccz .LBB364_1087
; %bb.1072:
	s_cmp_lt_i32 s71, 27
	s_mov_b64 s[64:65], -1
	s_cbranch_scc1 .LBB364_1078
; %bb.1073:
	s_cmp_gt_i32 s71, 27
	s_cbranch_scc0 .LBB364_1075
; %bb.1074:
	v_cndmask_b32_e64 v2, 0, 1, s[62:63]
	s_mov_b64 s[64:65], 0
	global_store_dword v[0:1], v2, off
.LBB364_1075:
	s_andn2_b64 vcc, exec, s[64:65]
	s_cbranch_vccnz .LBB364_1077
; %bb.1076:
	v_cndmask_b32_e64 v2, 0, 1, s[62:63]
	global_store_short v[0:1], v2, off
.LBB364_1077:
	s_mov_b64 s[64:65], 0
.LBB364_1078:
	s_andn2_b64 vcc, exec, s[64:65]
	s_cbranch_vccnz .LBB364_1086
; %bb.1079:
	v_cndmask_b32_e64 v3, 0, 1.0, s[62:63]
	s_mov_b32 s64, 0x43800000
	v_cmp_gt_u32_e32 vcc, s64, v3
	v_mov_b32_e32 v4, 0x80
	s_and_saveexec_b64 s[64:65], vcc
	s_cbranch_execz .LBB364_1085
; %bb.1080:
	s_mov_b32 s66, 0x3bffffff
	v_cmp_lt_u32_e32 vcc, s66, v3
	s_mov_b64 s[66:67], 0
                                        ; implicit-def: $vgpr2
	s_and_saveexec_b64 s[68:69], vcc
	s_xor_b64 s[68:69], exec, s[68:69]
	s_cbranch_execz .LBB364_1199
; %bb.1081:
	v_bfe_u32 v2, v3, 20, 1
	s_mov_b32 s76, 0x487ffff
	v_add3_u32 v2, v3, v2, s76
	s_mov_b64 s[66:67], exec
	v_lshrrev_b32_e32 v2, 20, v2
                                        ; implicit-def: $vgpr3
	s_andn2_saveexec_b64 s[68:69], s[68:69]
	s_cbranch_execnz .LBB364_1200
.LBB364_1082:
	s_or_b64 exec, exec, s[68:69]
	v_mov_b32_e32 v4, 0
	s_and_saveexec_b64 s[68:69], s[66:67]
.LBB364_1083:
	v_mov_b32_e32 v4, v2
.LBB364_1084:
	s_or_b64 exec, exec, s[68:69]
.LBB364_1085:
	s_or_b64 exec, exec, s[64:65]
	global_store_byte v[0:1], v4, off
.LBB364_1086:
	s_mov_b64 s[64:65], -1
.LBB364_1087:
	s_mov_b64 s[66:67], 0
.LBB364_1088:
	s_and_b64 vcc, exec, s[66:67]
	s_cbranch_vccz .LBB364_1129
; %bb.1089:
	s_cmp_gt_i32 s71, 22
	s_mov_b64 s[66:67], -1
	s_cbranch_scc0 .LBB364_1121
; %bb.1090:
	s_cmp_lt_i32 s71, 24
	s_mov_b64 s[64:65], -1
	s_cbranch_scc1 .LBB364_1110
; %bb.1091:
	s_cmp_gt_i32 s71, 24
	s_cbranch_scc0 .LBB364_1099
; %bb.1092:
	v_cndmask_b32_e64 v3, 0, 1.0, s[62:63]
	s_mov_b32 s64, 0x47800000
	v_cmp_gt_u32_e32 vcc, s64, v3
	v_mov_b32_e32 v4, 0x80
	s_and_saveexec_b64 s[64:65], vcc
	s_cbranch_execz .LBB364_1098
; %bb.1093:
	s_mov_b32 s66, 0x37ffffff
	v_cmp_lt_u32_e32 vcc, s66, v3
	s_mov_b64 s[66:67], 0
                                        ; implicit-def: $vgpr2
	s_and_saveexec_b64 s[68:69], vcc
	s_xor_b64 s[68:69], exec, s[68:69]
	s_cbranch_execz .LBB364_2236
; %bb.1094:
	v_bfe_u32 v2, v3, 21, 1
	s_mov_b32 s76, 0x88fffff
	v_add3_u32 v2, v3, v2, s76
	s_mov_b64 s[66:67], exec
	v_lshrrev_b32_e32 v2, 21, v2
                                        ; implicit-def: $vgpr3
	s_andn2_saveexec_b64 s[68:69], s[68:69]
	s_cbranch_execnz .LBB364_2237
.LBB364_1095:
	s_or_b64 exec, exec, s[68:69]
	v_mov_b32_e32 v4, 0
	s_and_saveexec_b64 s[68:69], s[66:67]
.LBB364_1096:
	v_mov_b32_e32 v4, v2
.LBB364_1097:
	s_or_b64 exec, exec, s[68:69]
.LBB364_1098:
	s_or_b64 exec, exec, s[64:65]
	s_mov_b64 s[64:65], 0
	global_store_byte v[0:1], v4, off
.LBB364_1099:
	s_and_b64 vcc, exec, s[64:65]
	s_cbranch_vccz .LBB364_1109
; %bb.1100:
	v_cndmask_b32_e64 v2, 0, 1.0, s[62:63]
	s_mov_b32 s64, 0x43f00000
	v_cmp_gt_u32_e32 vcc, s64, v2
                                        ; implicit-def: $vgpr3
	s_and_saveexec_b64 s[64:65], vcc
	s_xor_b64 s[64:65], exec, s[64:65]
	s_cbranch_execz .LBB364_1106
; %bb.1101:
	s_mov_b32 s66, 0x3c7fffff
	v_cmp_lt_u32_e32 vcc, s66, v2
                                        ; implicit-def: $vgpr3
	s_and_saveexec_b64 s[66:67], vcc
	s_xor_b64 s[66:67], exec, s[66:67]
; %bb.1102:
	v_bfe_u32 v3, v2, 20, 1
	s_mov_b32 s68, 0x407ffff
	v_add3_u32 v2, v2, v3, s68
	v_lshrrev_b32_e32 v3, 20, v2
	v_and_b32_e32 v2, 0xff00000, v2
	s_mov_b32 s68, 0x7f00000
	v_mov_b32_e32 v4, 0x7e
	v_cmp_ne_u32_e32 vcc, s68, v2
	v_cndmask_b32_e32 v3, v4, v3, vcc
                                        ; implicit-def: $vgpr2
; %bb.1103:
	s_andn2_saveexec_b64 s[66:67], s[66:67]
; %bb.1104:
	v_add_f32_e32 v3, 0x46800000, v2
; %bb.1105:
	s_or_b64 exec, exec, s[66:67]
                                        ; implicit-def: $vgpr2
.LBB364_1106:
	s_andn2_saveexec_b64 s[64:65], s[64:65]
; %bb.1107:
	s_mov_b32 s66, 0x7f800000
	v_mov_b32_e32 v3, 0x7e
	v_mov_b32_e32 v4, 0x7f
	v_cmp_lt_u32_e32 vcc, s66, v2
	v_cndmask_b32_e32 v3, v3, v4, vcc
; %bb.1108:
	s_or_b64 exec, exec, s[64:65]
	global_store_byte v[0:1], v3, off
.LBB364_1109:
	s_mov_b64 s[64:65], 0
.LBB364_1110:
	s_andn2_b64 vcc, exec, s[64:65]
	s_cbranch_vccnz .LBB364_1120
; %bb.1111:
	v_cndmask_b32_e64 v2, 0, 1.0, s[62:63]
	s_mov_b32 s64, 0x47800000
	v_cmp_gt_u32_e32 vcc, s64, v2
                                        ; implicit-def: $vgpr3
	s_and_saveexec_b64 s[64:65], vcc
	s_xor_b64 s[64:65], exec, s[64:65]
	s_cbranch_execz .LBB364_1117
; %bb.1112:
	s_mov_b32 s66, 0x387fffff
	v_cmp_lt_u32_e32 vcc, s66, v2
                                        ; implicit-def: $vgpr3
	s_and_saveexec_b64 s[66:67], vcc
	s_xor_b64 s[66:67], exec, s[66:67]
; %bb.1113:
	v_bfe_u32 v3, v2, 21, 1
	s_mov_b32 s68, 0x80fffff
	v_add3_u32 v2, v2, v3, s68
	v_lshrrev_b32_e32 v3, 21, v2
                                        ; implicit-def: $vgpr2
; %bb.1114:
	s_andn2_saveexec_b64 s[66:67], s[66:67]
; %bb.1115:
	v_add_f32_e32 v3, 0x43000000, v2
; %bb.1116:
	s_or_b64 exec, exec, s[66:67]
                                        ; implicit-def: $vgpr2
.LBB364_1117:
	s_andn2_saveexec_b64 s[64:65], s[64:65]
; %bb.1118:
	s_mov_b32 s66, 0x7f800000
	v_mov_b32_e32 v3, 0x7c
	v_mov_b32_e32 v4, 0x7f
	v_cmp_lt_u32_e32 vcc, s66, v2
	v_cndmask_b32_e32 v3, v3, v4, vcc
; %bb.1119:
	s_or_b64 exec, exec, s[64:65]
	global_store_byte v[0:1], v3, off
.LBB364_1120:
	s_mov_b64 s[66:67], 0
	s_mov_b64 s[64:65], -1
.LBB364_1121:
	s_andn2_b64 vcc, exec, s[66:67]
	s_cbranch_vccnz .LBB364_1129
; %bb.1122:
	s_cmp_gt_i32 s71, 14
	s_mov_b64 s[66:67], -1
	s_cbranch_scc0 .LBB364_1126
; %bb.1123:
	s_cmp_eq_u32 s71, 15
	s_mov_b64 s[0:1], -1
	s_cbranch_scc0 .LBB364_1125
; %bb.1124:
	v_cndmask_b32_e64 v2, 0, 1.0, s[62:63]
	v_bfe_u32 v3, v2, 16, 1
	s_movk_i32 s0, 0x7fff
	v_add3_u32 v2, v2, v3, s0
	global_store_short_d16_hi v[0:1], v2, off
	s_mov_b64 s[64:65], -1
	s_mov_b64 s[0:1], 0
.LBB364_1125:
	s_mov_b64 s[66:67], 0
.LBB364_1126:
	s_and_b64 vcc, exec, s[66:67]
	s_cbranch_vccz .LBB364_1129
; %bb.1127:
	s_cmp_eq_u32 s71, 11
	s_mov_b64 s[0:1], -1
	s_cbranch_scc0 .LBB364_1129
; %bb.1128:
	v_cndmask_b32_e64 v2, 0, 1, s[62:63]
	s_mov_b64 s[64:65], -1
	s_mov_b64 s[0:1], 0
	global_store_byte v[0:1], v2, off
.LBB364_1129:
	s_mov_b64 s[66:67], 0
.LBB364_1130:
	s_and_b64 vcc, exec, s[66:67]
	s_cbranch_vccz .LBB364_1169
; %bb.1131:
	s_and_b32 s14, 0xffff, s14
	s_cmp_lt_i32 s14, 5
	s_mov_b64 s[64:65], -1
	s_cbranch_scc1 .LBB364_1152
; %bb.1132:
	s_cmp_lt_i32 s14, 8
	s_cbranch_scc1 .LBB364_1142
; %bb.1133:
	s_cmp_lt_i32 s14, 9
	s_cbranch_scc1 .LBB364_1139
; %bb.1134:
	s_cmp_gt_i32 s14, 9
	s_cbranch_scc0 .LBB364_1136
; %bb.1135:
	v_cndmask_b32_e64 v2, 0, 1, s[62:63]
	v_cvt_f64_u32_e32 v[2:3], v2
	v_mov_b32_e32 v4, 0
	v_mov_b32_e32 v5, v4
	s_mov_b64 s[64:65], 0
	global_store_dwordx4 v[0:1], v[2:5], off
.LBB364_1136:
	s_andn2_b64 vcc, exec, s[64:65]
	s_cbranch_vccnz .LBB364_1138
; %bb.1137:
	v_cndmask_b32_e64 v2, 0, 1.0, s[62:63]
	v_mov_b32_e32 v3, 0
	global_store_dwordx2 v[0:1], v[2:3], off
.LBB364_1138:
	s_mov_b64 s[64:65], 0
.LBB364_1139:
	s_andn2_b64 vcc, exec, s[64:65]
	s_cbranch_vccnz .LBB364_1141
; %bb.1140:
	v_cndmask_b32_e64 v2, 0, 1.0, s[62:63]
	v_cvt_f16_f32_e32 v2, v2
	global_store_dword v[0:1], v2, off
.LBB364_1141:
	s_mov_b64 s[64:65], 0
.LBB364_1142:
	s_andn2_b64 vcc, exec, s[64:65]
	s_cbranch_vccnz .LBB364_1151
; %bb.1143:
	s_cmp_lt_i32 s14, 6
	s_mov_b64 s[64:65], -1
	s_cbranch_scc1 .LBB364_1149
; %bb.1144:
	s_cmp_gt_i32 s14, 6
	s_cbranch_scc0 .LBB364_1146
; %bb.1145:
	v_cndmask_b32_e64 v2, 0, 1, s[62:63]
	v_cvt_f64_u32_e32 v[2:3], v2
	s_mov_b64 s[64:65], 0
	global_store_dwordx2 v[0:1], v[2:3], off
.LBB364_1146:
	s_andn2_b64 vcc, exec, s[64:65]
	s_cbranch_vccnz .LBB364_1148
; %bb.1147:
	v_cndmask_b32_e64 v2, 0, 1.0, s[62:63]
	global_store_dword v[0:1], v2, off
.LBB364_1148:
	s_mov_b64 s[64:65], 0
.LBB364_1149:
	s_andn2_b64 vcc, exec, s[64:65]
	s_cbranch_vccnz .LBB364_1151
; %bb.1150:
	v_cndmask_b32_e64 v2, 0, 1.0, s[62:63]
	v_cvt_f16_f32_e32 v2, v2
	global_store_short v[0:1], v2, off
.LBB364_1151:
	s_mov_b64 s[64:65], 0
.LBB364_1152:
	s_andn2_b64 vcc, exec, s[64:65]
	s_cbranch_vccnz .LBB364_1168
; %bb.1153:
	s_cmp_lt_i32 s14, 2
	s_mov_b64 s[64:65], -1
	s_cbranch_scc1 .LBB364_1163
; %bb.1154:
	s_cmp_lt_i32 s14, 3
	s_cbranch_scc1 .LBB364_1160
; %bb.1155:
	s_cmp_gt_i32 s14, 3
	s_cbranch_scc0 .LBB364_1157
; %bb.1156:
	s_mov_b32 s64, 0
	v_cndmask_b32_e64 v2, 0, 1, s[62:63]
	v_mov_b32_e32 v3, s64
	s_mov_b64 s[64:65], 0
	global_store_dwordx2 v[0:1], v[2:3], off
.LBB364_1157:
	s_andn2_b64 vcc, exec, s[64:65]
	s_cbranch_vccnz .LBB364_1159
; %bb.1158:
	v_cndmask_b32_e64 v2, 0, 1, s[62:63]
	global_store_dword v[0:1], v2, off
.LBB364_1159:
	s_mov_b64 s[64:65], 0
.LBB364_1160:
	s_andn2_b64 vcc, exec, s[64:65]
	s_cbranch_vccnz .LBB364_1162
; %bb.1161:
	v_cndmask_b32_e64 v2, 0, 1, s[62:63]
	global_store_short v[0:1], v2, off
.LBB364_1162:
	s_mov_b64 s[64:65], 0
.LBB364_1163:
	s_andn2_b64 vcc, exec, s[64:65]
	s_cbranch_vccnz .LBB364_1168
; %bb.1164:
	s_mov_b64 s[64:65], -1
	s_cmp_gt_i32 s14, 0
	v_cndmask_b32_e64 v2, 0, 1, s[62:63]
	s_cbranch_scc0 .LBB364_1166
; %bb.1165:
	s_mov_b64 s[64:65], 0
	global_store_byte v[0:1], v2, off
.LBB364_1166:
	s_andn2_b64 vcc, exec, s[64:65]
	s_cbranch_vccnz .LBB364_1168
; %bb.1167:
	global_store_byte v[0:1], v2, off
.LBB364_1168:
	s_mov_b64 s[64:65], -1
.LBB364_1169:
	s_andn2_b64 vcc, exec, s[64:65]
	s_cbranch_vccnz .LBB364_1181
; %bb.1170:
	v_add_u32_e32 v10, 0x80, v10
	s_mov_b64 s[64:65], -1
.LBB364_1171:
	s_andn2_b64 s[62:63], s[52:53], exec
	s_and_b64 s[0:1], s[0:1], exec
	s_or_b64 s[62:63], s[62:63], s[0:1]
	s_andn2_b64 s[0:1], s[50:51], exec
	s_and_b64 s[60:61], s[60:61], exec
	s_or_b64 s[60:61], s[0:1], s[60:61]
	;; [unrolled: 3-line block ×3, first 2 shown]
	s_orn2_b64 s[68:69], s[64:65], exec
.LBB364_1172:
	s_or_b64 exec, exec, s[56:57]
	s_mov_b64 s[64:65], 0
	s_mov_b64 s[58:59], 0
	;; [unrolled: 1-line block ×3, first 2 shown]
                                        ; implicit-def: $sgpr14
                                        ; implicit-def: $vgpr4_vgpr5
                                        ; implicit-def: $vgpr0
                                        ; implicit-def: $vgpr3
                                        ; implicit-def: $vgpr1_vgpr2
	s_and_saveexec_b64 s[56:57], s[68:69]
	s_cbranch_execz .LBB364_1263
; %bb.1173:
	v_cmp_gt_i32_e32 vcc, s70, v10
	s_mov_b64 s[68:69], s[0:1]
	s_mov_b64 s[70:71], 0
                                        ; implicit-def: $sgpr14
                                        ; implicit-def: $vgpr4_vgpr5
                                        ; implicit-def: $vgpr0
                                        ; implicit-def: $vgpr3
                                        ; implicit-def: $vgpr1_vgpr2
	s_and_saveexec_b64 s[58:59], vcc
	s_cbranch_execz .LBB364_1262
; %bb.1174:
	s_andn2_b64 vcc, exec, s[24:25]
	s_cbranch_vccnz .LBB364_1180
; %bb.1175:
	s_andn2_b64 vcc, exec, s[38:39]
	s_cbranch_vccnz .LBB364_1182
; %bb.1176:
	s_add_i32 s14, s75, 1
	s_and_b32 s14, s14, 30
	s_add_u32 s38, s2, 0xffffffe8
	s_addc_u32 s39, s3, -1
	v_mov_b32_e32 v3, 0
	s_waitcnt vmcnt(0)
	v_mov_b32_e32 v5, 0
	v_mov_b32_e32 v0, 0
	v_mov_b32_e32 v1, v10
.LBB364_1177:                           ; =>This Inner Loop Header: Depth=1
	s_load_dwordx4 s[64:67], s[38:39], 0x1c
	s_load_dwordx2 s[76:77], s[38:39], 0x2c
	s_load_dwordx2 s[78:79], s[38:39], 0xec
	s_load_dwordx4 s[68:71], s[38:39], 0xdc
	s_add_u32 s38, s38, 24
	s_waitcnt lgkmcnt(0)
	v_mul_hi_u32 v2, s65, v1
	s_addc_u32 s39, s39, 0
	s_add_i32 s14, s14, -2
	s_cmp_eq_u32 s14, 0
	v_add_u32_e32 v2, v1, v2
	v_lshrrev_b32_e32 v2, s66, v2
	v_mul_lo_u32 v4, v2, s64
	v_mul_hi_u32 v6, s76, v2
	v_sub_u32_e32 v4, v1, v4
	v_add_u32_e32 v1, v2, v6
	v_lshrrev_b32_e32 v1, s77, v1
	v_mul_lo_u32 v8, v1, s67
	v_mul_lo_u32 v6, v4, s68
	;; [unrolled: 1-line block ×4, first 2 shown]
	v_sub_u32_e32 v2, v2, v8
	v_mul_lo_u32 v8, v2, s71
	v_mul_lo_u32 v9, v2, s78
	;; [unrolled: 1-line block ×3, first 2 shown]
	v_add3_u32 v0, v6, v0, v8
	v_add3_u32 v5, v7, v5, v9
	;; [unrolled: 1-line block ×3, first 2 shown]
	s_cbranch_scc0 .LBB364_1177
; %bb.1178:
	s_bitcmp1_b32 s75, 0
	s_cselect_b64 s[64:65], -1, 0
	s_and_b64 vcc, exec, s[64:65]
	s_cbranch_vccnz .LBB364_1183
; %bb.1179:
	s_load_dwordx2 s[64:65], s[38:39], 0x1c
	s_load_dword s14, s[38:39], 0x24
	s_load_dwordx2 s[66:67], s[38:39], 0xdc
	s_waitcnt lgkmcnt(0)
	v_mul_hi_u32 v2, s65, v1
	v_add_u32_e32 v2, v1, v2
	v_lshrrev_b32_e32 v2, s14, v2
	v_mul_lo_u32 v2, v2, s64
	s_load_dword s14, s[38:39], 0xe4
	v_sub_u32_e32 v2, v1, v2
	v_mad_u64_u32 v[0:1], s[38:39], v2, s66, v[0:1]
	v_mad_u64_u32 v[5:6], s[38:39], v2, s67, v[5:6]
	s_waitcnt lgkmcnt(0)
	v_mad_u64_u32 v[3:4], s[38:39], v2, s14, v[3:4]
	s_branch .LBB364_1183
.LBB364_1180:
	s_mov_b64 s[38:39], -1
                                        ; implicit-def: $vgpr0
                                        ; implicit-def: $vgpr5
                                        ; implicit-def: $vgpr3
	s_branch .LBB364_1184
.LBB364_1181:
	s_mov_b64 s[64:65], 0
	s_branch .LBB364_928
.LBB364_1182:
	v_mov_b32_e32 v0, 0
	s_waitcnt vmcnt(0)
	v_mov_b32_e32 v5, 0
	v_mov_b32_e32 v3, 0
.LBB364_1183:
	s_mov_b64 s[38:39], 0
.LBB364_1184:
	s_andn2_b64 vcc, exec, s[38:39]
	s_cbranch_vccnz .LBB364_1187
; %bb.1185:
	v_mul_hi_u32 v0, s17, v10
	s_andn2_b64 vcc, exec, s[36:37]
	v_add_u32_e32 v0, v10, v0
	s_waitcnt vmcnt(0)
	v_lshrrev_b32_e32 v1, s18, v0
	v_mul_lo_u32 v0, v1, s16
	v_sub_u32_e32 v2, v10, v0
	v_mul_lo_u32 v0, v2, s20
	v_mul_lo_u32 v5, v2, s21
	;; [unrolled: 1-line block ×3, first 2 shown]
	s_cbranch_vccnz .LBB364_1187
; %bb.1186:
	v_mul_hi_u32 v2, s34, v1
	v_add_u32_e32 v2, v1, v2
	v_lshrrev_b32_e32 v2, s35, v2
	v_mul_lo_u32 v2, v2, s19
	v_sub_u32_e32 v2, v1, v2
	v_mad_u64_u32 v[0:1], s[16:17], v2, s23, v[0:1]
	v_mad_u64_u32 v[5:6], s[16:17], v2, s30, v[5:6]
	;; [unrolled: 1-line block ×3, first 2 shown]
.LBB364_1187:
	s_waitcnt vmcnt(0)
	v_mov_b32_e32 v1, s11
	s_and_b32 s14, s74, 0xff
	v_add_co_u32_e32 v4, vcc, s10, v5
	s_cmp_lt_i32 s14, 11
	v_addc_co_u32_e32 v5, vcc, 0, v1, vcc
	s_cbranch_scc1 .LBB364_1194
; %bb.1188:
	s_and_b32 s22, 0xffff, s14
	s_cmp_gt_i32 s22, 25
	s_mov_b64 s[16:17], 0
	s_cbranch_scc0 .LBB364_1195
; %bb.1189:
	s_cmp_gt_i32 s22, 28
	s_cbranch_scc0 .LBB364_1196
; %bb.1190:
	s_cmp_gt_i32 s22, 43
	;; [unrolled: 3-line block ×3, first 2 shown]
	s_cbranch_scc0 .LBB364_1198
; %bb.1192:
	s_cmp_eq_u32 s22, 46
	s_mov_b64 s[20:21], 0
	s_cbranch_scc0 .LBB364_1201
; %bb.1193:
	global_load_dword v1, v[4:5], off
	s_mov_b64 s[10:11], 0
	s_mov_b64 s[18:19], -1
	s_waitcnt vmcnt(0)
	v_lshlrev_b32_e32 v1, 16, v1
	v_trunc_f32_e32 v1, v1
	v_mul_f32_e32 v2, 0x2f800000, v1
	v_floor_f32_e32 v2, v2
	v_fmac_f32_e32 v1, 0xcf800000, v2
	v_cvt_u32_f32_e32 v1, v1
	v_cvt_u32_f32_e32 v2, v2
	s_branch .LBB364_1202
.LBB364_1194:
	s_mov_b64 s[20:21], -1
	s_mov_b64 s[18:19], 0
	s_mov_b64 s[16:17], 0
	;; [unrolled: 1-line block ×3, first 2 shown]
                                        ; implicit-def: $vgpr1_vgpr2
	s_branch .LBB364_1261
.LBB364_1195:
	s_mov_b64 s[20:21], -1
	s_mov_b64 s[18:19], 0
	s_mov_b64 s[10:11], s[0:1]
                                        ; implicit-def: $vgpr1_vgpr2
	s_branch .LBB364_1231
.LBB364_1196:
	s_mov_b64 s[20:21], -1
	s_mov_b64 s[18:19], 0
	s_mov_b64 s[10:11], s[0:1]
                                        ; implicit-def: $vgpr1_vgpr2
	s_branch .LBB364_1212
.LBB364_1197:
	s_mov_b64 s[20:21], -1
	s_mov_b64 s[18:19], 0
	s_mov_b64 s[10:11], s[0:1]
                                        ; implicit-def: $vgpr1_vgpr2
	s_branch .LBB364_1207
.LBB364_1198:
	s_mov_b64 s[20:21], -1
	s_mov_b64 s[18:19], 0
	s_mov_b64 s[10:11], s[0:1]
                                        ; implicit-def: $vgpr1_vgpr2
	s_branch .LBB364_1202
.LBB364_1199:
	s_andn2_saveexec_b64 s[68:69], s[68:69]
	s_cbranch_execz .LBB364_1082
.LBB364_1200:
	v_add_f32_e32 v2, 0x46000000, v3
	v_and_b32_e32 v2, 0xff, v2
	v_cmp_ne_u32_e32 vcc, 0, v2
	s_andn2_b64 s[66:67], s[66:67], exec
	s_and_b64 s[76:77], vcc, exec
	s_or_b64 s[66:67], s[66:67], s[76:77]
	s_or_b64 exec, exec, s[68:69]
	v_mov_b32_e32 v4, 0
	s_and_saveexec_b64 s[68:69], s[66:67]
	s_cbranch_execnz .LBB364_1083
	s_branch .LBB364_1084
.LBB364_1201:
	s_mov_b64 s[10:11], -1
                                        ; implicit-def: $vgpr1_vgpr2
	s_mov_b64 s[18:19], 0
.LBB364_1202:
	s_and_b64 vcc, exec, s[20:21]
	s_cbranch_vccz .LBB364_1206
; %bb.1203:
	s_cmp_eq_u32 s22, 44
	s_cbranch_scc0 .LBB364_1205
; %bb.1204:
	global_load_ubyte v1, v[4:5], off
	s_mov_b64 s[10:11], 0
	s_mov_b64 s[18:19], -1
	s_waitcnt vmcnt(0)
	v_lshlrev_b32_e32 v2, 23, v1
	v_trunc_f32_e32 v2, v2
	v_mul_f32_e32 v6, 0x2f800000, v2
	v_floor_f32_e32 v6, v6
	v_fmac_f32_e32 v2, 0xcf800000, v6
	v_cvt_u32_f32_e32 v6, v6
	v_cvt_u32_f32_e32 v7, v2
	v_cmp_ne_u32_e32 vcc, 0, v1
	v_cndmask_b32_e32 v2, 0, v6, vcc
	v_cndmask_b32_e32 v1, 0, v7, vcc
	s_branch .LBB364_1206
.LBB364_1205:
	s_mov_b64 s[10:11], -1
                                        ; implicit-def: $vgpr1_vgpr2
.LBB364_1206:
	s_mov_b64 s[20:21], 0
.LBB364_1207:
	s_and_b64 vcc, exec, s[20:21]
	s_cbranch_vccz .LBB364_1211
; %bb.1208:
	s_cmp_eq_u32 s22, 29
	s_cbranch_scc0 .LBB364_1210
; %bb.1209:
	global_load_dwordx2 v[1:2], v[4:5], off
	s_mov_b64 s[10:11], 0
	s_mov_b64 s[18:19], -1
	s_branch .LBB364_1211
.LBB364_1210:
	s_mov_b64 s[10:11], -1
                                        ; implicit-def: $vgpr1_vgpr2
.LBB364_1211:
	s_mov_b64 s[20:21], 0
.LBB364_1212:
	s_and_b64 vcc, exec, s[20:21]
	s_cbranch_vccz .LBB364_1230
; %bb.1213:
	s_cmp_lt_i32 s22, 27
	s_cbranch_scc1 .LBB364_1216
; %bb.1214:
	s_cmp_gt_i32 s22, 27
	s_cbranch_scc0 .LBB364_1217
; %bb.1215:
	global_load_dword v1, v[4:5], off
	s_waitcnt vmcnt(1)
	v_mov_b32_e32 v2, 0
	s_mov_b64 s[18:19], 0
	s_branch .LBB364_1218
.LBB364_1216:
	s_mov_b64 s[18:19], -1
                                        ; implicit-def: $vgpr1_vgpr2
	s_branch .LBB364_1221
.LBB364_1217:
	s_mov_b64 s[18:19], -1
                                        ; implicit-def: $vgpr1_vgpr2
.LBB364_1218:
	s_andn2_b64 vcc, exec, s[18:19]
	s_cbranch_vccnz .LBB364_1220
; %bb.1219:
	global_load_ushort v1, v[4:5], off
	s_mov_b32 s18, 0
	s_waitcnt vmcnt(1)
	v_mov_b32_e32 v2, s18
	s_waitcnt vmcnt(0)
	v_and_b32_e32 v1, 0xffff, v1
.LBB364_1220:
	s_mov_b64 s[18:19], 0
.LBB364_1221:
	s_andn2_b64 vcc, exec, s[18:19]
	s_cbranch_vccnz .LBB364_1229
; %bb.1222:
	global_load_ubyte v6, v[4:5], off
	s_movk_i32 s18, 0x7f
	s_mov_b64 s[20:21], 0
	s_waitcnt vmcnt(0)
	v_cmp_lt_i16_e32 vcc, s18, v6
	s_and_saveexec_b64 s[18:19], vcc
	s_xor_b64 s[18:19], exec, s[18:19]
; %bb.1223:
	s_movk_i32 s20, 0x80
	v_cmp_ne_u16_e32 vcc, s20, v6
	s_and_b64 s[20:21], vcc, exec
; %bb.1224:
	s_andn2_saveexec_b64 s[18:19], s[18:19]
; %bb.1225:
	v_cmp_ne_u16_e32 vcc, 0, v6
	s_andn2_b64 s[20:21], s[20:21], exec
	s_and_b64 s[30:31], vcc, exec
	s_or_b64 s[20:21], s[20:21], s[30:31]
; %bb.1226:
	s_or_b64 exec, exec, s[18:19]
	v_mov_b32_e32 v1, 0
	v_mov_b32_e32 v2, 0
	s_and_saveexec_b64 s[18:19], s[20:21]
	s_cbranch_execz .LBB364_1228
; %bb.1227:
	v_and_b32_e32 v2, 0xffff, v6
	v_lshlrev_b32_e32 v1, 24, v6
	v_and_b32_e32 v6, 7, v2
	v_ffbh_u32_e32 v8, v6
	v_min_u32_e32 v8, 32, v8
	v_subrev_u32_e32 v9, 28, v8
	v_bfe_u32 v7, v2, 3, 4
	v_lshlrev_b32_e32 v2, v9, v2
	v_sub_u32_e32 v8, 29, v8
	v_and_b32_e32 v2, 7, v2
	v_cmp_eq_u32_e32 vcc, 0, v7
	v_cndmask_b32_e32 v7, v7, v8, vcc
	v_cndmask_b32_e32 v2, v6, v2, vcc
	v_mov_b32_e32 v6, 0x3b800000
	v_lshlrev_b32_e32 v2, 20, v2
	v_and_b32_e32 v1, 0x80000000, v1
	v_lshl_add_u32 v6, v7, 23, v6
	v_or3_b32 v1, v1, v6, v2
	v_trunc_f32_e32 v1, v1
	v_mul_f32_e32 v2, 0x2f800000, v1
	v_floor_f32_e32 v2, v2
	v_fmac_f32_e32 v1, 0xcf800000, v2
	v_cvt_u32_f32_e32 v1, v1
	v_cvt_u32_f32_e32 v2, v2
.LBB364_1228:
	s_or_b64 exec, exec, s[18:19]
.LBB364_1229:
	s_mov_b64 s[18:19], -1
.LBB364_1230:
	s_mov_b64 s[20:21], 0
.LBB364_1231:
	s_and_b64 vcc, exec, s[20:21]
	s_cbranch_vccz .LBB364_1260
; %bb.1232:
	s_cmp_gt_i32 s22, 22
	s_cbranch_scc0 .LBB364_1242
; %bb.1233:
	s_cmp_lt_i32 s22, 24
	s_cbranch_scc1 .LBB364_1243
; %bb.1234:
	s_cmp_gt_i32 s22, 24
	s_cbranch_scc0 .LBB364_1244
; %bb.1235:
	global_load_ubyte v6, v[4:5], off
	s_movk_i32 s16, 0x7f
	s_mov_b64 s[18:19], 0
	s_waitcnt vmcnt(0)
	v_cmp_lt_i16_e32 vcc, s16, v6
	s_and_saveexec_b64 s[16:17], vcc
	s_xor_b64 s[16:17], exec, s[16:17]
; %bb.1236:
	s_movk_i32 s18, 0x80
	v_cmp_ne_u16_e32 vcc, s18, v6
	s_and_b64 s[18:19], vcc, exec
; %bb.1237:
	s_andn2_saveexec_b64 s[16:17], s[16:17]
; %bb.1238:
	v_cmp_ne_u16_e32 vcc, 0, v6
	s_andn2_b64 s[18:19], s[18:19], exec
	s_and_b64 s[20:21], vcc, exec
	s_or_b64 s[18:19], s[18:19], s[20:21]
; %bb.1239:
	s_or_b64 exec, exec, s[16:17]
	v_mov_b32_e32 v1, 0
	v_mov_b32_e32 v2, 0
	s_and_saveexec_b64 s[16:17], s[18:19]
	s_cbranch_execz .LBB364_1241
; %bb.1240:
	v_and_b32_e32 v2, 0xffff, v6
	v_lshlrev_b32_e32 v1, 24, v6
	v_and_b32_e32 v6, 3, v2
	v_ffbh_u32_e32 v8, v6
	v_min_u32_e32 v8, 32, v8
	v_subrev_u32_e32 v9, 29, v8
	v_bfe_u32 v7, v2, 2, 5
	v_lshlrev_b32_e32 v2, v9, v2
	v_sub_u32_e32 v8, 30, v8
	v_and_b32_e32 v2, 3, v2
	v_cmp_eq_u32_e32 vcc, 0, v7
	v_cndmask_b32_e32 v7, v7, v8, vcc
	v_cndmask_b32_e32 v2, v6, v2, vcc
	v_mov_b32_e32 v6, 0x37800000
	v_lshlrev_b32_e32 v2, 21, v2
	v_and_b32_e32 v1, 0x80000000, v1
	v_lshl_add_u32 v6, v7, 23, v6
	v_or3_b32 v1, v1, v6, v2
	v_trunc_f32_e32 v1, v1
	v_mul_f32_e32 v2, 0x2f800000, v1
	v_floor_f32_e32 v2, v2
	v_fmac_f32_e32 v1, 0xcf800000, v2
	v_cvt_u32_f32_e32 v1, v1
	v_cvt_u32_f32_e32 v2, v2
.LBB364_1241:
	s_or_b64 exec, exec, s[16:17]
	s_mov_b64 s[16:17], 0
	s_branch .LBB364_1245
.LBB364_1242:
	s_mov_b64 s[16:17], -1
                                        ; implicit-def: $vgpr1_vgpr2
	s_branch .LBB364_1251
.LBB364_1243:
	s_mov_b64 s[16:17], -1
                                        ; implicit-def: $vgpr1_vgpr2
	s_branch .LBB364_1248
.LBB364_1244:
	s_mov_b64 s[16:17], -1
                                        ; implicit-def: $vgpr1_vgpr2
.LBB364_1245:
	s_and_b64 vcc, exec, s[16:17]
	s_cbranch_vccz .LBB364_1247
; %bb.1246:
	global_load_ubyte v1, v[4:5], off
	s_mov_b32 s16, 0x7f800000
	s_brev_b32 s17, 1
	s_waitcnt vmcnt(0)
	v_lshlrev_b32_e32 v1, 24, v1
	v_and_b32_e32 v2, 0x7f000000, v1
	v_ffbh_u32_e32 v6, v2
	v_min_u32_e32 v6, 32, v6
	v_sub_u32_e64 v6, v6, 4 clamp
	v_lshlrev_b32_e32 v8, v6, v2
	v_lshlrev_b32_e32 v6, 23, v6
	v_lshrrev_b32_e32 v8, 4, v8
	v_add_u32_e32 v7, 0x1000000, v2
	v_sub_u32_e32 v6, v8, v6
	v_ashrrev_i32_e32 v7, 8, v7
	v_add_u32_e32 v6, 0x3c000000, v6
	v_and_or_b32 v6, v7, s16, v6
	v_cmp_ne_u32_e32 vcc, 0, v2
	v_cndmask_b32_e32 v2, 0, v6, vcc
	v_and_or_b32 v1, v1, s17, v2
	v_trunc_f32_e32 v1, v1
	v_mul_f32_e32 v2, 0x2f800000, v1
	v_floor_f32_e32 v2, v2
	v_fmac_f32_e32 v1, 0xcf800000, v2
	v_cvt_u32_f32_e32 v1, v1
	v_cvt_u32_f32_e32 v2, v2
.LBB364_1247:
	s_mov_b64 s[16:17], 0
.LBB364_1248:
	s_andn2_b64 vcc, exec, s[16:17]
	s_cbranch_vccnz .LBB364_1250
; %bb.1249:
	global_load_ubyte v1, v[4:5], off
	s_movk_i32 s16, 0x7f00
	s_brev_b32 s17, 16
	s_brev_b32 s18, 1
	s_waitcnt vmcnt(0)
	v_lshlrev_b16_e32 v2, 8, v1
	v_lshlrev_b32_e32 v1, 25, v1
	v_lshrrev_b32_e32 v6, 4, v1
	v_and_or_b32 v7, v2, s16, 0.5
	v_or_b32_e32 v6, 0x70000000, v6
	v_add_f32_e32 v7, -0.5, v7
	v_mul_f32_e32 v6, 0x7800000, v6
	v_cmp_gt_u32_e32 vcc, s17, v1
	v_bfe_i32 v2, v2, 0, 16
	v_cndmask_b32_e32 v1, v6, v7, vcc
	v_and_or_b32 v1, v2, s18, v1
	v_trunc_f32_e32 v1, v1
	v_mul_f32_e32 v2, 0x2f800000, v1
	v_floor_f32_e32 v2, v2
	v_fmac_f32_e32 v1, 0xcf800000, v2
	v_cvt_u32_f32_e32 v1, v1
	v_cvt_u32_f32_e32 v2, v2
.LBB364_1250:
	s_mov_b64 s[16:17], 0
	s_mov_b64 s[18:19], -1
.LBB364_1251:
	s_andn2_b64 vcc, exec, s[16:17]
	s_mov_b64 s[16:17], 0
	s_cbranch_vccnz .LBB364_1260
; %bb.1252:
	s_cmp_gt_i32 s22, 14
	s_cbranch_scc0 .LBB364_1255
; %bb.1253:
	s_cmp_eq_u32 s22, 15
	s_cbranch_scc0 .LBB364_1256
; %bb.1254:
	global_load_ushort v1, v[4:5], off
	s_mov_b64 s[10:11], 0
	s_mov_b64 s[18:19], -1
	s_waitcnt vmcnt(0)
	v_lshlrev_b32_e32 v1, 16, v1
	v_trunc_f32_e32 v1, v1
	v_mul_f32_e32 v2, 0x2f800000, v1
	v_floor_f32_e32 v2, v2
	v_fmac_f32_e32 v1, 0xcf800000, v2
	v_cvt_u32_f32_e32 v1, v1
	v_cvt_u32_f32_e32 v2, v2
	s_branch .LBB364_1257
.LBB364_1255:
	s_mov_b64 s[20:21], -1
                                        ; implicit-def: $vgpr1_vgpr2
	s_branch .LBB364_1258
.LBB364_1256:
	s_mov_b64 s[10:11], -1
                                        ; implicit-def: $vgpr1_vgpr2
.LBB364_1257:
	s_mov_b64 s[20:21], 0
.LBB364_1258:
	s_and_b64 vcc, exec, s[20:21]
	s_cbranch_vccz .LBB364_1260
; %bb.1259:
	s_cmp_lg_u32 s22, 11
	s_cselect_b64 s[20:21], -1, 0
	s_andn2_b64 s[10:11], s[10:11], exec
	s_and_b64 s[20:21], s[20:21], exec
	s_mov_b64 s[16:17], -1
	s_or_b64 s[10:11], s[10:11], s[20:21]
.LBB364_1260:
	s_mov_b64 s[20:21], 0
.LBB364_1261:
	s_and_b64 s[64:65], s[16:17], exec
	s_andn2_b64 s[16:17], s[0:1], exec
	s_and_b64 s[10:11], s[10:11], exec
	s_and_b64 s[66:67], s[18:19], exec
	;; [unrolled: 1-line block ×3, first 2 shown]
	s_or_b64 s[68:69], s[16:17], s[10:11]
.LBB364_1262:
	s_or_b64 exec, exec, s[58:59]
	s_andn2_b64 s[0:1], s[0:1], exec
	s_and_b64 s[10:11], s[68:69], exec
	s_and_b64 s[66:67], s[66:67], exec
	;; [unrolled: 1-line block ×4, first 2 shown]
	s_or_b64 s[0:1], s[0:1], s[10:11]
.LBB364_1263:
	s_or_b64 exec, exec, s[56:57]
	s_andn2_b64 s[10:11], s[52:53], exec
	s_and_b64 s[16:17], s[62:63], exec
	s_or_b64 s[52:53], s[10:11], s[16:17]
	s_andn2_b64 s[10:11], s[50:51], exec
	s_and_b64 s[16:17], s[60:61], exec
	s_or_b64 s[50:51], s[10:11], s[16:17]
	s_andn2_b64 s[10:11], s[48:49], exec
	s_and_b64 s[0:1], s[0:1], exec
	s_and_b64 s[60:61], s[66:67], exec
	;; [unrolled: 1-line block ×4, first 2 shown]
	s_or_b64 s[48:49], s[10:11], s[0:1]
.LBB364_1264:
	s_or_b64 exec, exec, s[54:55]
	s_andn2_b64 s[0:1], s[40:41], exec
	s_and_b64 s[10:11], s[52:53], exec
	s_or_b64 s[40:41], s[0:1], s[10:11]
	s_andn2_b64 s[0:1], s[42:43], exec
	s_and_b64 s[10:11], s[50:51], exec
	s_or_b64 s[42:43], s[0:1], s[10:11]
	s_andn2_b64 s[0:1], s[44:45], exec
	s_and_b64 s[10:11], s[48:49], exec
	s_and_b64 s[52:53], s[60:61], exec
	;; [unrolled: 1-line block ×4, first 2 shown]
	s_or_b64 s[44:45], s[0:1], s[10:11]
	s_or_b64 exec, exec, s[46:47]
	s_mov_b64 s[10:11], 0
	s_and_saveexec_b64 s[0:1], s[44:45]
	s_cbranch_execz .LBB364_395
.LBB364_1265:
	s_mov_b64 s[10:11], exec
	s_andn2_b64 s[50:51], s[50:51], exec
	s_trap 2
	s_or_b64 exec, exec, s[0:1]
	s_and_saveexec_b64 s[0:1], s[50:51]
	s_xor_b64 s[0:1], exec, s[0:1]
	s_cbranch_execnz .LBB364_396
.LBB364_1266:
	s_or_b64 exec, exec, s[0:1]
	s_and_saveexec_b64 s[0:1], s[54:55]
	s_cbranch_execz .LBB364_1312
.LBB364_1267:
	s_sext_i32_i16 s16, s14
	s_cmp_lt_i32 s16, 5
	s_cbranch_scc1 .LBB364_1272
; %bb.1268:
	s_cmp_lt_i32 s16, 8
	s_cbranch_scc1 .LBB364_1273
; %bb.1269:
	;; [unrolled: 3-line block ×3, first 2 shown]
	s_cmp_gt_i32 s16, 9
	s_cbranch_scc0 .LBB364_1275
; %bb.1271:
	s_waitcnt vmcnt(0)
	global_load_dwordx2 v[1:2], v[4:5], off
	s_movk_i32 s16, 0xffe0
	s_waitcnt vmcnt(0)
	v_trunc_f64_e32 v[1:2], v[1:2]
	v_ldexp_f64 v[6:7], v[1:2], s16
	s_mov_b32 s16, 0
	s_mov_b32 s17, 0xc1f00000
	v_floor_f64_e32 v[6:7], v[6:7]
	v_fma_f64 v[8:9], v[6:7], s[16:17], v[1:2]
	v_cvt_u32_f64_e32 v2, v[6:7]
	s_mov_b64 s[16:17], 0
	v_cvt_u32_f64_e32 v1, v[8:9]
	s_branch .LBB364_1276
.LBB364_1272:
                                        ; implicit-def: $vgpr1_vgpr2
	s_branch .LBB364_1293
.LBB364_1273:
                                        ; implicit-def: $vgpr1_vgpr2
	s_branch .LBB364_1282
.LBB364_1274:
	s_mov_b64 s[16:17], -1
                                        ; implicit-def: $vgpr1_vgpr2
	s_branch .LBB364_1279
.LBB364_1275:
	s_mov_b64 s[16:17], -1
                                        ; implicit-def: $vgpr1_vgpr2
.LBB364_1276:
	s_andn2_b64 vcc, exec, s[16:17]
	s_cbranch_vccnz .LBB364_1278
; %bb.1277:
	s_waitcnt vmcnt(0)
	global_load_dword v1, v[4:5], off
	s_waitcnt vmcnt(0)
	v_trunc_f32_e32 v1, v1
	v_mul_f32_e32 v2, 0x2f800000, v1
	v_floor_f32_e32 v6, v2
	v_fmac_f32_e32 v1, 0xcf800000, v6
	v_cvt_u32_f32_e32 v2, v6
	v_cvt_u32_f32_e32 v1, v1
.LBB364_1278:
	s_mov_b64 s[16:17], 0
.LBB364_1279:
	s_andn2_b64 vcc, exec, s[16:17]
	s_cbranch_vccnz .LBB364_1281
; %bb.1280:
	s_waitcnt vmcnt(0)
	global_load_dword v1, v[4:5], off
	v_mov_b32_e32 v2, 0
	s_waitcnt vmcnt(0)
	v_cvt_f32_f16_e32 v1, v1
	v_cvt_u32_f32_e32 v1, v1
.LBB364_1281:
	s_cbranch_execnz .LBB364_1292
.LBB364_1282:
	s_sext_i32_i16 s16, s14
	s_cmp_lt_i32 s16, 6
	s_cbranch_scc1 .LBB364_1285
; %bb.1283:
	s_cmp_gt_i32 s16, 6
	s_cbranch_scc0 .LBB364_1286
; %bb.1284:
	s_waitcnt vmcnt(0)
	global_load_dwordx2 v[1:2], v[4:5], off
	s_movk_i32 s16, 0xffe0
	s_waitcnt vmcnt(0)
	v_trunc_f64_e32 v[1:2], v[1:2]
	v_ldexp_f64 v[6:7], v[1:2], s16
	s_mov_b32 s16, 0
	s_mov_b32 s17, 0xc1f00000
	v_floor_f64_e32 v[6:7], v[6:7]
	v_fma_f64 v[8:9], v[6:7], s[16:17], v[1:2]
	v_cvt_u32_f64_e32 v2, v[6:7]
	s_mov_b64 s[16:17], 0
	v_cvt_u32_f64_e32 v1, v[8:9]
	s_branch .LBB364_1287
.LBB364_1285:
	s_mov_b64 s[16:17], -1
                                        ; implicit-def: $vgpr1_vgpr2
	s_branch .LBB364_1290
.LBB364_1286:
	s_mov_b64 s[16:17], -1
                                        ; implicit-def: $vgpr1_vgpr2
.LBB364_1287:
	s_andn2_b64 vcc, exec, s[16:17]
	s_cbranch_vccnz .LBB364_1289
; %bb.1288:
	s_waitcnt vmcnt(0)
	global_load_dword v1, v[4:5], off
	s_waitcnt vmcnt(0)
	v_trunc_f32_e32 v1, v1
	v_mul_f32_e32 v2, 0x2f800000, v1
	v_floor_f32_e32 v6, v2
	v_fmac_f32_e32 v1, 0xcf800000, v6
	v_cvt_u32_f32_e32 v2, v6
	v_cvt_u32_f32_e32 v1, v1
.LBB364_1289:
	s_mov_b64 s[16:17], 0
.LBB364_1290:
	s_andn2_b64 vcc, exec, s[16:17]
	s_cbranch_vccnz .LBB364_1292
; %bb.1291:
	s_waitcnt vmcnt(0)
	global_load_ushort v1, v[4:5], off
	v_mov_b32_e32 v2, 0
	s_waitcnt vmcnt(0)
	v_cvt_f32_f16_e32 v1, v1
	v_cvt_u32_f32_e32 v1, v1
.LBB364_1292:
	s_cbranch_execnz .LBB364_1311
.LBB364_1293:
	s_sext_i32_i16 s16, s14
	s_cmp_lt_i32 s16, 2
	s_cbranch_scc1 .LBB364_1297
; %bb.1294:
	s_cmp_lt_i32 s16, 3
	s_cbranch_scc1 .LBB364_1298
; %bb.1295:
	s_cmp_gt_i32 s16, 3
	s_cbranch_scc0 .LBB364_1299
; %bb.1296:
	s_waitcnt vmcnt(0)
	global_load_dwordx2 v[1:2], v[4:5], off
	s_mov_b64 s[16:17], 0
	s_branch .LBB364_1300
.LBB364_1297:
                                        ; implicit-def: $vgpr1_vgpr2
	s_branch .LBB364_1306
.LBB364_1298:
	s_mov_b64 s[16:17], -1
                                        ; implicit-def: $vgpr1_vgpr2
	s_branch .LBB364_1303
.LBB364_1299:
	s_mov_b64 s[16:17], -1
                                        ; implicit-def: $vgpr1_vgpr2
.LBB364_1300:
	s_andn2_b64 vcc, exec, s[16:17]
	s_cbranch_vccnz .LBB364_1302
; %bb.1301:
	s_waitcnt vmcnt(0)
	global_load_dword v1, v[4:5], off
	s_waitcnt vmcnt(0)
	v_ashrrev_i32_e32 v2, 31, v1
.LBB364_1302:
	s_mov_b64 s[16:17], 0
.LBB364_1303:
	s_andn2_b64 vcc, exec, s[16:17]
	s_cbranch_vccnz .LBB364_1305
; %bb.1304:
	s_waitcnt vmcnt(0)
	global_load_ushort v1, v[4:5], off
	s_waitcnt vmcnt(0)
	v_bfe_i32 v1, v1, 0, 16
	v_ashrrev_i32_e32 v2, 31, v1
.LBB364_1305:
	s_cbranch_execnz .LBB364_1311
.LBB364_1306:
	s_sext_i32_i16 s14, s14
	s_cmp_gt_i32 s14, 0
	s_cbranch_scc0 .LBB364_1308
; %bb.1307:
	s_waitcnt vmcnt(0)
	global_load_sbyte v1, v[4:5], off
	s_mov_b64 s[16:17], 0
	s_waitcnt vmcnt(0)
	v_bfe_i32 v1, v1, 0, 16
	v_ashrrev_i32_e32 v2, 31, v1
	s_branch .LBB364_1309
.LBB364_1308:
	s_mov_b64 s[16:17], -1
                                        ; implicit-def: $vgpr1_vgpr2
.LBB364_1309:
	s_andn2_b64 vcc, exec, s[16:17]
	s_cbranch_vccnz .LBB364_1311
; %bb.1310:
	s_waitcnt vmcnt(0)
	global_load_ubyte v1, v[4:5], off
	s_mov_b32 s14, 0
	v_mov_b32_e32 v2, s14
	s_waitcnt vmcnt(0)
	v_and_b32_e32 v1, 0xffff, v1
.LBB364_1311:
	s_or_b64 s[52:53], s[52:53], exec
.LBB364_1312:
	s_or_b64 exec, exec, s[0:1]
	s_mov_b64 s[16:17], 0
	s_mov_b64 s[20:21], 0
	;; [unrolled: 1-line block ×3, first 2 shown]
                                        ; implicit-def: $sgpr14
                                        ; implicit-def: $vgpr4_vgpr5
                                        ; implicit-def: $vgpr6_vgpr7
	s_and_saveexec_b64 s[0:1], s[52:53]
	s_cbranch_execz .LBB364_1320
; %bb.1313:
	s_waitcnt vmcnt(0)
	v_mov_b32_e32 v5, s13
	s_and_b32 s14, s73, 0xff
	v_add_co_u32_e32 v4, vcc, s12, v3
	s_cmp_lt_i32 s14, 11
	v_addc_co_u32_e32 v5, vcc, 0, v5, vcc
	s_cbranch_scc1 .LBB364_1323
; %bb.1314:
	s_and_b32 s22, 0xffff, s14
	s_cmp_gt_i32 s22, 25
	s_cbranch_scc0 .LBB364_1324
; %bb.1315:
	s_cmp_gt_i32 s22, 28
	s_cbranch_scc0 .LBB364_1325
; %bb.1316:
	;; [unrolled: 3-line block ×4, first 2 shown]
	s_cmp_eq_u32 s22, 46
	s_cbranch_scc0 .LBB364_1328
; %bb.1319:
	global_load_dword v3, v[4:5], off
	s_mov_b64 s[12:13], 0
	s_mov_b64 s[18:19], -1
	s_waitcnt vmcnt(0)
	v_lshlrev_b32_e32 v3, 16, v3
	v_trunc_f32_e32 v3, v3
	v_mul_f32_e32 v6, 0x2f800000, v3
	v_floor_f32_e32 v7, v6
	v_fmac_f32_e32 v3, 0xcf800000, v7
	v_cvt_u32_f32_e32 v6, v3
	v_cvt_u32_f32_e32 v7, v7
	s_branch .LBB364_1330
.LBB364_1320:
	s_or_b64 exec, exec, s[0:1]
	s_and_saveexec_b64 s[0:1], s[42:43]
	s_cbranch_execnz .LBB364_1389
.LBB364_1321:
	s_or_b64 exec, exec, s[0:1]
	s_and_saveexec_b64 s[0:1], s[16:17]
	s_xor_b64 s[0:1], exec, s[0:1]
	s_cbranch_execz .LBB364_1390
.LBB364_1322:
	s_waitcnt vmcnt(0)
	global_load_ubyte v3, v[4:5], off
	s_mov_b32 s12, 0
	v_mov_b32_e32 v7, s12
	s_or_b64 s[18:19], s[18:19], exec
	s_waitcnt vmcnt(0)
	v_cmp_ne_u16_e32 vcc, 0, v3
	v_cndmask_b32_e64 v6, 0, 1, vcc
	s_or_b64 exec, exec, s[0:1]
	s_and_saveexec_b64 s[0:1], s[20:21]
	s_cbranch_execz .LBB364_1436
	s_branch .LBB364_1391
.LBB364_1323:
	s_mov_b64 s[20:21], -1
                                        ; implicit-def: $vgpr6_vgpr7
	s_mov_b64 s[12:13], s[42:43]
	s_branch .LBB364_1388
.LBB364_1324:
	s_mov_b64 s[12:13], s[42:43]
                                        ; implicit-def: $vgpr6_vgpr7
	s_cbranch_execnz .LBB364_1359
	s_branch .LBB364_1387
.LBB364_1325:
	s_mov_b64 s[20:21], -1
	s_mov_b64 s[12:13], s[42:43]
                                        ; implicit-def: $vgpr6_vgpr7
	s_branch .LBB364_1340
.LBB364_1326:
	s_mov_b64 s[20:21], -1
	s_mov_b64 s[12:13], s[42:43]
                                        ; implicit-def: $vgpr6_vgpr7
	s_branch .LBB364_1335
.LBB364_1327:
	s_mov_b64 s[20:21], -1
	s_mov_b64 s[12:13], s[42:43]
	s_branch .LBB364_1329
.LBB364_1328:
	s_mov_b64 s[12:13], -1
.LBB364_1329:
                                        ; implicit-def: $vgpr6_vgpr7
.LBB364_1330:
	s_and_b64 vcc, exec, s[20:21]
	s_cbranch_vccz .LBB364_1334
; %bb.1331:
	s_cmp_eq_u32 s22, 44
	s_cbranch_scc0 .LBB364_1333
; %bb.1332:
	global_load_ubyte v3, v[4:5], off
	s_mov_b64 s[12:13], 0
	s_mov_b64 s[18:19], -1
	s_waitcnt vmcnt(0)
	v_lshlrev_b32_e32 v6, 23, v3
	v_trunc_f32_e32 v6, v6
	v_mul_f32_e32 v7, 0x2f800000, v6
	v_floor_f32_e32 v7, v7
	v_fmac_f32_e32 v6, 0xcf800000, v7
	v_cvt_u32_f32_e32 v7, v7
	v_cvt_u32_f32_e32 v6, v6
	v_cmp_ne_u32_e32 vcc, 0, v3
	v_cndmask_b32_e32 v7, 0, v7, vcc
	v_cndmask_b32_e32 v6, 0, v6, vcc
	s_branch .LBB364_1334
.LBB364_1333:
	s_mov_b64 s[12:13], -1
                                        ; implicit-def: $vgpr6_vgpr7
.LBB364_1334:
	s_mov_b64 s[20:21], 0
.LBB364_1335:
	s_and_b64 vcc, exec, s[20:21]
	s_cbranch_vccz .LBB364_1339
; %bb.1336:
	s_cmp_eq_u32 s22, 29
	s_cbranch_scc0 .LBB364_1338
; %bb.1337:
	global_load_dwordx2 v[6:7], v[4:5], off
	s_mov_b64 s[12:13], 0
	s_mov_b64 s[18:19], -1
	s_branch .LBB364_1339
.LBB364_1338:
	s_mov_b64 s[12:13], -1
                                        ; implicit-def: $vgpr6_vgpr7
.LBB364_1339:
	s_mov_b64 s[20:21], 0
.LBB364_1340:
	s_and_b64 vcc, exec, s[20:21]
	s_cbranch_vccz .LBB364_1358
; %bb.1341:
	s_cmp_lt_i32 s22, 27
	s_cbranch_scc1 .LBB364_1344
; %bb.1342:
	s_cmp_gt_i32 s22, 27
	s_cbranch_scc0 .LBB364_1345
; %bb.1343:
	global_load_dword v6, v[4:5], off
	s_waitcnt vmcnt(1)
	v_mov_b32_e32 v7, 0
	s_mov_b64 s[18:19], 0
	s_branch .LBB364_1346
.LBB364_1344:
	s_mov_b64 s[18:19], -1
                                        ; implicit-def: $vgpr6_vgpr7
	s_branch .LBB364_1349
.LBB364_1345:
	s_mov_b64 s[18:19], -1
                                        ; implicit-def: $vgpr6_vgpr7
.LBB364_1346:
	s_andn2_b64 vcc, exec, s[18:19]
	s_cbranch_vccnz .LBB364_1348
; %bb.1347:
	global_load_ushort v3, v[4:5], off
	s_mov_b32 s18, 0
	s_waitcnt vmcnt(1)
	v_mov_b32_e32 v7, s18
	s_waitcnt vmcnt(0)
	v_and_b32_e32 v6, 0xffff, v3
.LBB364_1348:
	s_mov_b64 s[18:19], 0
.LBB364_1349:
	s_andn2_b64 vcc, exec, s[18:19]
	s_cbranch_vccnz .LBB364_1357
; %bb.1350:
	global_load_ubyte v3, v[4:5], off
	s_movk_i32 s18, 0x7f
	s_mov_b64 s[20:21], 0
	s_waitcnt vmcnt(0)
	v_cmp_lt_i16_e32 vcc, s18, v3
	s_and_saveexec_b64 s[18:19], vcc
	s_xor_b64 s[18:19], exec, s[18:19]
; %bb.1351:
	s_movk_i32 s20, 0x80
	v_cmp_ne_u16_e32 vcc, s20, v3
	s_and_b64 s[20:21], vcc, exec
; %bb.1352:
	s_andn2_saveexec_b64 s[18:19], s[18:19]
; %bb.1353:
	v_cmp_ne_u16_e32 vcc, 0, v3
	s_andn2_b64 s[20:21], s[20:21], exec
	s_and_b64 s[30:31], vcc, exec
	s_or_b64 s[20:21], s[20:21], s[30:31]
; %bb.1354:
	s_or_b64 exec, exec, s[18:19]
	v_mov_b32_e32 v6, 0
	v_mov_b32_e32 v7, 0
	s_and_saveexec_b64 s[18:19], s[20:21]
	s_cbranch_execz .LBB364_1356
; %bb.1355:
	v_lshlrev_b32_e32 v6, 24, v3
	v_and_b32_e32 v3, 0xffff, v3
	v_and_b32_e32 v7, 7, v3
	v_ffbh_u32_e32 v9, v7
	v_min_u32_e32 v9, 32, v9
	v_subrev_u32_e32 v10, 28, v9
	v_bfe_u32 v8, v3, 3, 4
	v_lshlrev_b32_e32 v3, v10, v3
	v_sub_u32_e32 v9, 29, v9
	v_and_b32_e32 v3, 7, v3
	v_cmp_eq_u32_e32 vcc, 0, v8
	v_cndmask_b32_e32 v8, v8, v9, vcc
	v_cndmask_b32_e32 v3, v7, v3, vcc
	v_mov_b32_e32 v7, 0x3b800000
	v_lshlrev_b32_e32 v3, 20, v3
	v_and_b32_e32 v6, 0x80000000, v6
	v_lshl_add_u32 v7, v8, 23, v7
	v_or3_b32 v3, v6, v7, v3
	v_trunc_f32_e32 v3, v3
	v_mul_f32_e32 v6, 0x2f800000, v3
	v_floor_f32_e32 v7, v6
	v_fmac_f32_e32 v3, 0xcf800000, v7
	v_cvt_u32_f32_e32 v6, v3
	v_cvt_u32_f32_e32 v7, v7
.LBB364_1356:
	s_or_b64 exec, exec, s[18:19]
.LBB364_1357:
	s_mov_b64 s[18:19], -1
.LBB364_1358:
	s_branch .LBB364_1387
.LBB364_1359:
	s_cmp_gt_i32 s22, 22
	s_cbranch_scc0 .LBB364_1369
; %bb.1360:
	s_cmp_lt_i32 s22, 24
	s_cbranch_scc1 .LBB364_1370
; %bb.1361:
	s_cmp_gt_i32 s22, 24
	s_cbranch_scc0 .LBB364_1371
; %bb.1362:
	global_load_ubyte v3, v[4:5], off
	s_movk_i32 s16, 0x7f
	s_mov_b64 s[18:19], 0
	s_waitcnt vmcnt(0)
	v_cmp_lt_i16_e32 vcc, s16, v3
	s_and_saveexec_b64 s[16:17], vcc
	s_xor_b64 s[16:17], exec, s[16:17]
; %bb.1363:
	s_movk_i32 s18, 0x80
	v_cmp_ne_u16_e32 vcc, s18, v3
	s_and_b64 s[18:19], vcc, exec
; %bb.1364:
	s_andn2_saveexec_b64 s[16:17], s[16:17]
; %bb.1365:
	v_cmp_ne_u16_e32 vcc, 0, v3
	s_andn2_b64 s[18:19], s[18:19], exec
	s_and_b64 s[20:21], vcc, exec
	s_or_b64 s[18:19], s[18:19], s[20:21]
; %bb.1366:
	s_or_b64 exec, exec, s[16:17]
	v_mov_b32_e32 v6, 0
	v_mov_b32_e32 v7, 0
	s_and_saveexec_b64 s[16:17], s[18:19]
	s_cbranch_execz .LBB364_1368
; %bb.1367:
	v_lshlrev_b32_e32 v6, 24, v3
	v_and_b32_e32 v3, 0xffff, v3
	v_and_b32_e32 v7, 3, v3
	v_ffbh_u32_e32 v9, v7
	v_min_u32_e32 v9, 32, v9
	v_subrev_u32_e32 v10, 29, v9
	v_bfe_u32 v8, v3, 2, 5
	v_lshlrev_b32_e32 v3, v10, v3
	v_sub_u32_e32 v9, 30, v9
	v_and_b32_e32 v3, 3, v3
	v_cmp_eq_u32_e32 vcc, 0, v8
	v_cndmask_b32_e32 v8, v8, v9, vcc
	v_cndmask_b32_e32 v3, v7, v3, vcc
	v_mov_b32_e32 v7, 0x37800000
	v_lshlrev_b32_e32 v3, 21, v3
	v_and_b32_e32 v6, 0x80000000, v6
	v_lshl_add_u32 v7, v8, 23, v7
	v_or3_b32 v3, v6, v7, v3
	v_trunc_f32_e32 v3, v3
	v_mul_f32_e32 v6, 0x2f800000, v3
	v_floor_f32_e32 v7, v6
	v_fmac_f32_e32 v3, 0xcf800000, v7
	v_cvt_u32_f32_e32 v6, v3
	v_cvt_u32_f32_e32 v7, v7
.LBB364_1368:
	s_or_b64 exec, exec, s[16:17]
	s_mov_b64 s[16:17], 0
	s_branch .LBB364_1372
.LBB364_1369:
	s_mov_b64 s[16:17], -1
                                        ; implicit-def: $vgpr6_vgpr7
	s_branch .LBB364_1378
.LBB364_1370:
	s_mov_b64 s[16:17], -1
                                        ; implicit-def: $vgpr6_vgpr7
	s_branch .LBB364_1375
.LBB364_1371:
	s_mov_b64 s[16:17], -1
                                        ; implicit-def: $vgpr6_vgpr7
.LBB364_1372:
	s_and_b64 vcc, exec, s[16:17]
	s_cbranch_vccz .LBB364_1374
; %bb.1373:
	global_load_ubyte v3, v[4:5], off
	s_mov_b32 s16, 0x7f800000
	s_brev_b32 s17, 1
	s_waitcnt vmcnt(0)
	v_lshlrev_b32_e32 v3, 24, v3
	v_and_b32_e32 v6, 0x7f000000, v3
	v_ffbh_u32_e32 v7, v6
	v_min_u32_e32 v7, 32, v7
	v_sub_u32_e64 v7, v7, 4 clamp
	v_lshlrev_b32_e32 v9, v7, v6
	v_lshlrev_b32_e32 v7, 23, v7
	v_lshrrev_b32_e32 v9, 4, v9
	v_add_u32_e32 v8, 0x1000000, v6
	v_sub_u32_e32 v7, v9, v7
	v_ashrrev_i32_e32 v8, 8, v8
	v_add_u32_e32 v7, 0x3c000000, v7
	v_and_or_b32 v7, v8, s16, v7
	v_cmp_ne_u32_e32 vcc, 0, v6
	v_cndmask_b32_e32 v6, 0, v7, vcc
	v_and_or_b32 v3, v3, s17, v6
	v_trunc_f32_e32 v3, v3
	v_mul_f32_e32 v6, 0x2f800000, v3
	v_floor_f32_e32 v7, v6
	v_fmac_f32_e32 v3, 0xcf800000, v7
	v_cvt_u32_f32_e32 v6, v3
	v_cvt_u32_f32_e32 v7, v7
.LBB364_1374:
	s_mov_b64 s[16:17], 0
.LBB364_1375:
	s_andn2_b64 vcc, exec, s[16:17]
	s_cbranch_vccnz .LBB364_1377
; %bb.1376:
	global_load_ubyte v3, v[4:5], off
	s_movk_i32 s16, 0x7f00
	s_brev_b32 s17, 16
	s_brev_b32 s18, 1
	s_waitcnt vmcnt(0)
	v_lshlrev_b16_e32 v6, 8, v3
	v_lshlrev_b32_e32 v3, 25, v3
	v_lshrrev_b32_e32 v7, 4, v3
	v_and_or_b32 v8, v6, s16, 0.5
	v_or_b32_e32 v7, 0x70000000, v7
	v_add_f32_e32 v8, -0.5, v8
	v_mul_f32_e32 v7, 0x7800000, v7
	v_cmp_gt_u32_e32 vcc, s17, v3
	v_bfe_i32 v6, v6, 0, 16
	v_cndmask_b32_e32 v3, v7, v8, vcc
	v_and_or_b32 v3, v6, s18, v3
	v_trunc_f32_e32 v3, v3
	v_mul_f32_e32 v6, 0x2f800000, v3
	v_floor_f32_e32 v7, v6
	v_fmac_f32_e32 v3, 0xcf800000, v7
	v_cvt_u32_f32_e32 v6, v3
	v_cvt_u32_f32_e32 v7, v7
.LBB364_1377:
	s_mov_b64 s[16:17], 0
	s_mov_b64 s[18:19], -1
.LBB364_1378:
	s_andn2_b64 vcc, exec, s[16:17]
	s_mov_b64 s[16:17], 0
	s_cbranch_vccnz .LBB364_1387
; %bb.1379:
	s_cmp_gt_i32 s22, 14
	s_cbranch_scc0 .LBB364_1382
; %bb.1380:
	s_cmp_eq_u32 s22, 15
	s_cbranch_scc0 .LBB364_1383
; %bb.1381:
	global_load_ushort v3, v[4:5], off
	s_mov_b64 s[12:13], 0
	s_mov_b64 s[18:19], -1
	s_waitcnt vmcnt(0)
	v_lshlrev_b32_e32 v3, 16, v3
	v_trunc_f32_e32 v3, v3
	v_mul_f32_e32 v6, 0x2f800000, v3
	v_floor_f32_e32 v7, v6
	v_fmac_f32_e32 v3, 0xcf800000, v7
	v_cvt_u32_f32_e32 v6, v3
	v_cvt_u32_f32_e32 v7, v7
	s_branch .LBB364_1384
.LBB364_1382:
	s_mov_b64 s[20:21], -1
                                        ; implicit-def: $vgpr6_vgpr7
	s_branch .LBB364_1385
.LBB364_1383:
	s_mov_b64 s[12:13], -1
                                        ; implicit-def: $vgpr6_vgpr7
.LBB364_1384:
	s_mov_b64 s[20:21], 0
.LBB364_1385:
	s_and_b64 vcc, exec, s[20:21]
	s_cbranch_vccz .LBB364_1387
; %bb.1386:
	s_cmp_lg_u32 s22, 11
	s_cselect_b64 s[20:21], -1, 0
	s_andn2_b64 s[12:13], s[12:13], exec
	s_and_b64 s[20:21], s[20:21], exec
	s_mov_b64 s[16:17], -1
	s_or_b64 s[12:13], s[12:13], s[20:21]
.LBB364_1387:
	s_mov_b64 s[20:21], 0
.LBB364_1388:
	s_andn2_b64 s[22:23], s[42:43], exec
	s_and_b64 s[12:13], s[12:13], exec
	s_and_b64 s[18:19], s[18:19], exec
	s_and_b64 s[20:21], s[20:21], exec
	s_and_b64 s[16:17], s[16:17], exec
	s_or_b64 s[42:43], s[22:23], s[12:13]
	s_or_b64 exec, exec, s[0:1]
	s_and_saveexec_b64 s[0:1], s[42:43]
	s_cbranch_execz .LBB364_1321
.LBB364_1389:
	s_or_b64 s[10:11], s[10:11], exec
	s_andn2_b64 s[16:17], s[16:17], exec
	s_trap 2
	s_or_b64 exec, exec, s[0:1]
	s_and_saveexec_b64 s[0:1], s[16:17]
	s_xor_b64 s[0:1], exec, s[0:1]
	s_cbranch_execnz .LBB364_1322
.LBB364_1390:
	s_or_b64 exec, exec, s[0:1]
	s_and_saveexec_b64 s[0:1], s[20:21]
	s_cbranch_execz .LBB364_1436
.LBB364_1391:
	s_sext_i32_i16 s12, s14
	s_cmp_lt_i32 s12, 5
	s_cbranch_scc1 .LBB364_1396
; %bb.1392:
	s_cmp_lt_i32 s12, 8
	s_cbranch_scc1 .LBB364_1397
; %bb.1393:
	s_cmp_lt_i32 s12, 9
	s_cbranch_scc1 .LBB364_1398
; %bb.1394:
	s_cmp_gt_i32 s12, 9
	s_cbranch_scc0 .LBB364_1399
; %bb.1395:
	s_waitcnt vmcnt(0)
	global_load_dwordx2 v[6:7], v[4:5], off
	s_movk_i32 s12, 0xffe0
	s_waitcnt vmcnt(0)
	v_trunc_f64_e32 v[6:7], v[6:7]
	v_ldexp_f64 v[8:9], v[6:7], s12
	s_mov_b32 s12, 0
	s_mov_b32 s13, 0xc1f00000
	v_floor_f64_e32 v[8:9], v[8:9]
	v_fma_f64 v[10:11], v[8:9], s[12:13], v[6:7]
	v_cvt_u32_f64_e32 v7, v[8:9]
	s_mov_b64 s[12:13], 0
	v_cvt_u32_f64_e32 v6, v[10:11]
	s_branch .LBB364_1400
.LBB364_1396:
                                        ; implicit-def: $vgpr6_vgpr7
	s_branch .LBB364_1417
.LBB364_1397:
                                        ; implicit-def: $vgpr6_vgpr7
	s_branch .LBB364_1406
.LBB364_1398:
	s_mov_b64 s[12:13], -1
                                        ; implicit-def: $vgpr6_vgpr7
	s_branch .LBB364_1403
.LBB364_1399:
	s_mov_b64 s[12:13], -1
                                        ; implicit-def: $vgpr6_vgpr7
.LBB364_1400:
	s_andn2_b64 vcc, exec, s[12:13]
	s_cbranch_vccnz .LBB364_1402
; %bb.1401:
	s_waitcnt vmcnt(0)
	global_load_dword v3, v[4:5], off
	s_waitcnt vmcnt(0)
	v_trunc_f32_e32 v3, v3
	v_mul_f32_e32 v6, 0x2f800000, v3
	v_floor_f32_e32 v6, v6
	v_fmac_f32_e32 v3, 0xcf800000, v6
	v_cvt_u32_f32_e32 v7, v6
	v_cvt_u32_f32_e32 v6, v3
.LBB364_1402:
	s_mov_b64 s[12:13], 0
.LBB364_1403:
	s_andn2_b64 vcc, exec, s[12:13]
	s_cbranch_vccnz .LBB364_1405
; %bb.1404:
	s_waitcnt vmcnt(0)
	global_load_dword v3, v[4:5], off
	v_mov_b32_e32 v7, 0
	s_waitcnt vmcnt(0)
	v_cvt_f32_f16_e32 v3, v3
	v_cvt_u32_f32_e32 v6, v3
.LBB364_1405:
	s_cbranch_execnz .LBB364_1416
.LBB364_1406:
	s_sext_i32_i16 s12, s14
	s_cmp_lt_i32 s12, 6
	s_cbranch_scc1 .LBB364_1409
; %bb.1407:
	s_cmp_gt_i32 s12, 6
	s_cbranch_scc0 .LBB364_1410
; %bb.1408:
	s_waitcnt vmcnt(0)
	global_load_dwordx2 v[6:7], v[4:5], off
	s_movk_i32 s12, 0xffe0
	s_waitcnt vmcnt(0)
	v_trunc_f64_e32 v[6:7], v[6:7]
	v_ldexp_f64 v[8:9], v[6:7], s12
	s_mov_b32 s12, 0
	s_mov_b32 s13, 0xc1f00000
	v_floor_f64_e32 v[8:9], v[8:9]
	v_fma_f64 v[10:11], v[8:9], s[12:13], v[6:7]
	v_cvt_u32_f64_e32 v7, v[8:9]
	s_mov_b64 s[12:13], 0
	v_cvt_u32_f64_e32 v6, v[10:11]
	s_branch .LBB364_1411
.LBB364_1409:
	s_mov_b64 s[12:13], -1
                                        ; implicit-def: $vgpr6_vgpr7
	s_branch .LBB364_1414
.LBB364_1410:
	s_mov_b64 s[12:13], -1
                                        ; implicit-def: $vgpr6_vgpr7
.LBB364_1411:
	s_andn2_b64 vcc, exec, s[12:13]
	s_cbranch_vccnz .LBB364_1413
; %bb.1412:
	s_waitcnt vmcnt(0)
	global_load_dword v3, v[4:5], off
	s_waitcnt vmcnt(0)
	v_trunc_f32_e32 v3, v3
	v_mul_f32_e32 v6, 0x2f800000, v3
	v_floor_f32_e32 v6, v6
	v_fmac_f32_e32 v3, 0xcf800000, v6
	v_cvt_u32_f32_e32 v7, v6
	v_cvt_u32_f32_e32 v6, v3
.LBB364_1413:
	s_mov_b64 s[12:13], 0
.LBB364_1414:
	s_andn2_b64 vcc, exec, s[12:13]
	s_cbranch_vccnz .LBB364_1416
; %bb.1415:
	s_waitcnt vmcnt(0)
	global_load_ushort v3, v[4:5], off
	v_mov_b32_e32 v7, 0
	s_waitcnt vmcnt(0)
	v_cvt_f32_f16_e32 v3, v3
	v_cvt_u32_f32_e32 v6, v3
.LBB364_1416:
	s_cbranch_execnz .LBB364_1435
.LBB364_1417:
	s_sext_i32_i16 s12, s14
	s_cmp_lt_i32 s12, 2
	s_cbranch_scc1 .LBB364_1421
; %bb.1418:
	s_cmp_lt_i32 s12, 3
	s_cbranch_scc1 .LBB364_1422
; %bb.1419:
	s_cmp_gt_i32 s12, 3
	s_cbranch_scc0 .LBB364_1423
; %bb.1420:
	s_waitcnt vmcnt(0)
	global_load_dwordx2 v[6:7], v[4:5], off
	s_mov_b64 s[12:13], 0
	s_branch .LBB364_1424
.LBB364_1421:
                                        ; implicit-def: $vgpr6_vgpr7
	s_branch .LBB364_1430
.LBB364_1422:
	s_mov_b64 s[12:13], -1
                                        ; implicit-def: $vgpr6_vgpr7
	s_branch .LBB364_1427
.LBB364_1423:
	s_mov_b64 s[12:13], -1
                                        ; implicit-def: $vgpr6_vgpr7
.LBB364_1424:
	s_andn2_b64 vcc, exec, s[12:13]
	s_cbranch_vccnz .LBB364_1426
; %bb.1425:
	s_waitcnt vmcnt(0)
	global_load_dword v6, v[4:5], off
	s_waitcnt vmcnt(0)
	v_ashrrev_i32_e32 v7, 31, v6
.LBB364_1426:
	s_mov_b64 s[12:13], 0
.LBB364_1427:
	s_andn2_b64 vcc, exec, s[12:13]
	s_cbranch_vccnz .LBB364_1429
; %bb.1428:
	s_waitcnt vmcnt(0)
	global_load_ushort v3, v[4:5], off
	s_waitcnt vmcnt(0)
	v_bfe_i32 v6, v3, 0, 16
	v_ashrrev_i32_e32 v7, 31, v6
.LBB364_1429:
	s_cbranch_execnz .LBB364_1435
.LBB364_1430:
	s_sext_i32_i16 s12, s14
	s_cmp_gt_i32 s12, 0
	s_cbranch_scc0 .LBB364_1432
; %bb.1431:
	s_waitcnt vmcnt(0)
	global_load_sbyte v3, v[4:5], off
	s_mov_b64 s[12:13], 0
	s_waitcnt vmcnt(0)
	v_bfe_i32 v6, v3, 0, 16
	v_ashrrev_i32_e32 v7, 31, v6
	s_branch .LBB364_1433
.LBB364_1432:
	s_mov_b64 s[12:13], -1
                                        ; implicit-def: $vgpr6_vgpr7
.LBB364_1433:
	s_andn2_b64 vcc, exec, s[12:13]
	s_cbranch_vccnz .LBB364_1435
; %bb.1434:
	s_waitcnt vmcnt(0)
	global_load_ubyte v3, v[4:5], off
	s_mov_b32 s12, 0
	v_mov_b32_e32 v7, s12
	s_waitcnt vmcnt(0)
	v_and_b32_e32 v6, 0xffff, v3
.LBB364_1435:
	s_or_b64 s[18:19], s[18:19], exec
.LBB364_1436:
	s_or_b64 exec, exec, s[0:1]
	s_mov_b64 s[22:23], 0
	s_mov_b64 s[20:21], 0
                                        ; implicit-def: $sgpr12_sgpr13
                                        ; implicit-def: $sgpr30
                                        ; implicit-def: $vgpr3_vgpr4
	s_and_saveexec_b64 s[16:17], s[18:19]
	s_cbranch_execz .LBB364_1511
; %bb.1437:
	s_waitcnt vmcnt(0)
	v_cmp_ne_u64_e32 vcc, v[1:2], v[6:7]
	v_mov_b32_e32 v1, s9
	s_xor_b64 s[12:13], s[28:29], vcc
	s_and_b32 s30, s15, 0xff
	v_add_co_u32_e32 v3, vcc, s8, v0
	s_cmp_lt_i32 s30, 11
	v_addc_co_u32_e32 v4, vcc, 0, v1, vcc
	s_cbranch_scc1 .LBB364_1514
; %bb.1438:
	s_and_b32 s22, 0xffff, s30
	s_mov_b64 s[14:15], -1
	s_cmp_gt_i32 s22, 25
	s_mov_b64 s[0:1], s[40:41]
	s_cbranch_scc0 .LBB364_1471
; %bb.1439:
	s_mov_b64 s[8:9], -1
	s_cmp_gt_i32 s22, 28
	s_mov_b64 s[0:1], s[40:41]
	s_cbranch_scc0 .LBB364_1455
; %bb.1440:
	s_cmp_gt_i32 s22, 43
	s_mov_b64 s[0:1], s[40:41]
	s_cbranch_scc0 .LBB364_1451
; %bb.1441:
	;; [unrolled: 4-line block ×3, first 2 shown]
	s_cmp_eq_u32 s22, 46
	s_mov_b64 s[0:1], -1
	s_cbranch_scc0 .LBB364_1444
; %bb.1443:
	v_cndmask_b32_e64 v0, 0, 1.0, s[12:13]
	v_bfe_u32 v1, v0, 16, 1
	s_movk_i32 s0, 0x7fff
	v_add3_u32 v0, v0, v1, s0
	v_lshrrev_b32_e32 v0, 16, v0
	global_store_dword v[3:4], v0, off
	s_mov_b64 s[0:1], 0
.LBB364_1444:
	s_mov_b64 s[8:9], 0
.LBB364_1445:
	s_and_b64 vcc, exec, s[8:9]
	s_cbranch_vccz .LBB364_1450
; %bb.1446:
	s_cmp_eq_u32 s22, 44
	s_mov_b64 s[0:1], -1
	s_cbranch_scc0 .LBB364_1450
; %bb.1447:
	v_cndmask_b32_e64 v1, 0, 1.0, s[12:13]
	v_lshrrev_b32_e32 v0, 23, v1
	s_movk_i32 s0, 0xff
	v_cmp_ne_u32_e32 vcc, s0, v0
	v_mov_b32_e32 v2, 0xff
	s_and_saveexec_b64 s[8:9], vcc
; %bb.1448:
	s_mov_b32 s0, 0x3fffff
	v_and_b32_e32 v2, 0x400000, v1
	v_and_or_b32 v1, v1, s0, v0
	v_cmp_ne_u32_e32 vcc, 0, v2
	v_cmp_ne_u32_e64 s[0:1], 0, v1
	s_and_b64 s[0:1], vcc, s[0:1]
	v_cndmask_b32_e64 v1, 0, 1, s[0:1]
	v_add_u32_e32 v2, v0, v1
; %bb.1449:
	s_or_b64 exec, exec, s[8:9]
	s_mov_b64 s[0:1], 0
	global_store_byte v[3:4], v2, off
.LBB364_1450:
	s_mov_b64 s[8:9], 0
.LBB364_1451:
	s_and_b64 vcc, exec, s[8:9]
	s_cbranch_vccz .LBB364_1454
; %bb.1452:
	s_cmp_eq_u32 s22, 29
	s_mov_b64 s[0:1], -1
	s_cbranch_scc0 .LBB364_1454
; %bb.1453:
	s_mov_b32 s0, 0
	v_cndmask_b32_e64 v0, 0, 1, s[12:13]
	v_mov_b32_e32 v1, s0
	global_store_dwordx2 v[3:4], v[0:1], off
	s_mov_b64 s[0:1], 0
.LBB364_1454:
	s_mov_b64 s[8:9], 0
.LBB364_1455:
	s_and_b64 vcc, exec, s[8:9]
	s_cbranch_vccz .LBB364_1470
; %bb.1456:
	s_cmp_lt_i32 s22, 27
	s_mov_b64 s[8:9], -1
	s_cbranch_scc1 .LBB364_1462
; %bb.1457:
	s_cmp_gt_i32 s22, 27
	s_cbranch_scc0 .LBB364_1459
; %bb.1458:
	v_cndmask_b32_e64 v0, 0, 1, s[12:13]
	s_mov_b64 s[8:9], 0
	global_store_dword v[3:4], v0, off
.LBB364_1459:
	s_andn2_b64 vcc, exec, s[8:9]
	s_cbranch_vccnz .LBB364_1461
; %bb.1460:
	v_cndmask_b32_e64 v0, 0, 1, s[12:13]
	global_store_short v[3:4], v0, off
.LBB364_1461:
	s_mov_b64 s[8:9], 0
.LBB364_1462:
	s_andn2_b64 vcc, exec, s[8:9]
	s_cbranch_vccnz .LBB364_1470
; %bb.1463:
	v_cndmask_b32_e64 v1, 0, 1.0, s[12:13]
	s_mov_b32 s8, 0x43800000
	v_cmp_gt_u32_e32 vcc, s8, v1
	v_mov_b32_e32 v2, 0x80
	s_and_saveexec_b64 s[8:9], vcc
	s_cbranch_execz .LBB364_1469
; %bb.1464:
	s_mov_b32 s14, 0x3bffffff
	v_cmp_lt_u32_e32 vcc, s14, v1
	s_mov_b64 s[14:15], 0
                                        ; implicit-def: $vgpr0
	s_and_saveexec_b64 s[18:19], vcc
	s_xor_b64 s[18:19], exec, s[18:19]
	s_cbranch_execz .LBB364_1615
; %bb.1465:
	v_bfe_u32 v0, v1, 20, 1
	s_mov_b32 s20, 0x487ffff
	v_add3_u32 v0, v1, v0, s20
	s_mov_b64 s[14:15], exec
	v_lshrrev_b32_e32 v0, 20, v0
                                        ; implicit-def: $vgpr1
	s_andn2_saveexec_b64 s[18:19], s[18:19]
	s_cbranch_execnz .LBB364_1616
.LBB364_1466:
	s_or_b64 exec, exec, s[18:19]
	v_mov_b32_e32 v2, 0
	s_and_saveexec_b64 s[18:19], s[14:15]
.LBB364_1467:
	v_mov_b32_e32 v2, v0
.LBB364_1468:
	s_or_b64 exec, exec, s[18:19]
.LBB364_1469:
	s_or_b64 exec, exec, s[8:9]
	global_store_byte v[3:4], v2, off
.LBB364_1470:
	s_mov_b64 s[14:15], 0
.LBB364_1471:
	s_mov_b64 s[8:9], 0
	s_and_b64 vcc, exec, s[14:15]
	s_cbranch_vccz .LBB364_1515
; %bb.1472:
	s_cmp_gt_i32 s22, 22
	s_mov_b64 s[14:15], -1
	s_cbranch_scc0 .LBB364_1504
; %bb.1473:
	s_cmp_lt_i32 s22, 24
	s_cbranch_scc1 .LBB364_1493
; %bb.1474:
	s_cmp_gt_i32 s22, 24
	s_cbranch_scc0 .LBB364_1482
; %bb.1475:
	v_cndmask_b32_e64 v1, 0, 1.0, s[12:13]
	s_mov_b32 s14, 0x47800000
	v_cmp_gt_u32_e32 vcc, s14, v1
	v_mov_b32_e32 v2, 0x80
	s_and_saveexec_b64 s[14:15], vcc
	s_cbranch_execz .LBB364_1481
; %bb.1476:
	s_mov_b32 s18, 0x37ffffff
	v_cmp_lt_u32_e32 vcc, s18, v1
	s_mov_b64 s[18:19], 0
                                        ; implicit-def: $vgpr0
	s_and_saveexec_b64 s[20:21], vcc
	s_xor_b64 s[20:21], exec, s[20:21]
	s_cbranch_execz .LBB364_1735
; %bb.1477:
	v_bfe_u32 v0, v1, 21, 1
	s_mov_b32 s23, 0x88fffff
	v_add3_u32 v0, v1, v0, s23
	s_mov_b64 s[18:19], exec
	v_lshrrev_b32_e32 v0, 21, v0
                                        ; implicit-def: $vgpr1
	s_andn2_saveexec_b64 s[20:21], s[20:21]
	s_cbranch_execnz .LBB364_1736
.LBB364_1478:
	s_or_b64 exec, exec, s[20:21]
	v_mov_b32_e32 v2, 0
	s_and_saveexec_b64 s[20:21], s[18:19]
.LBB364_1479:
	v_mov_b32_e32 v2, v0
.LBB364_1480:
	s_or_b64 exec, exec, s[20:21]
.LBB364_1481:
	s_or_b64 exec, exec, s[14:15]
	s_mov_b64 s[14:15], 0
	global_store_byte v[3:4], v2, off
.LBB364_1482:
	s_and_b64 vcc, exec, s[14:15]
	s_cbranch_vccz .LBB364_1492
; %bb.1483:
	v_cndmask_b32_e64 v0, 0, 1.0, s[12:13]
	s_mov_b32 s14, 0x43f00000
	v_cmp_gt_u32_e32 vcc, s14, v0
                                        ; implicit-def: $vgpr1
	s_and_saveexec_b64 s[14:15], vcc
	s_xor_b64 s[14:15], exec, s[14:15]
	s_cbranch_execz .LBB364_1489
; %bb.1484:
	s_mov_b32 s18, 0x3c7fffff
	v_cmp_lt_u32_e32 vcc, s18, v0
                                        ; implicit-def: $vgpr1
	s_and_saveexec_b64 s[18:19], vcc
	s_xor_b64 s[18:19], exec, s[18:19]
; %bb.1485:
	v_bfe_u32 v1, v0, 20, 1
	s_mov_b32 s20, 0x407ffff
	v_add3_u32 v0, v0, v1, s20
	v_lshrrev_b32_e32 v1, 20, v0
	v_and_b32_e32 v0, 0xff00000, v0
	s_mov_b32 s20, 0x7f00000
	v_mov_b32_e32 v2, 0x7e
	v_cmp_ne_u32_e32 vcc, s20, v0
	v_cndmask_b32_e32 v1, v2, v1, vcc
                                        ; implicit-def: $vgpr0
; %bb.1486:
	s_andn2_saveexec_b64 s[18:19], s[18:19]
; %bb.1487:
	v_add_f32_e32 v1, 0x46800000, v0
; %bb.1488:
	s_or_b64 exec, exec, s[18:19]
                                        ; implicit-def: $vgpr0
.LBB364_1489:
	s_andn2_saveexec_b64 s[14:15], s[14:15]
; %bb.1490:
	s_mov_b32 s18, 0x7f800000
	v_mov_b32_e32 v1, 0x7e
	v_mov_b32_e32 v2, 0x7f
	v_cmp_lt_u32_e32 vcc, s18, v0
	v_cndmask_b32_e32 v1, v1, v2, vcc
; %bb.1491:
	s_or_b64 exec, exec, s[14:15]
	global_store_byte v[3:4], v1, off
.LBB364_1492:
	s_mov_b64 s[14:15], 0
.LBB364_1493:
	s_andn2_b64 vcc, exec, s[14:15]
	s_cbranch_vccnz .LBB364_1503
; %bb.1494:
	v_cndmask_b32_e64 v0, 0, 1.0, s[12:13]
	s_mov_b32 s14, 0x47800000
	v_cmp_gt_u32_e32 vcc, s14, v0
                                        ; implicit-def: $vgpr1
	s_and_saveexec_b64 s[14:15], vcc
	s_xor_b64 s[14:15], exec, s[14:15]
	s_cbranch_execz .LBB364_1500
; %bb.1495:
	s_mov_b32 s18, 0x387fffff
	v_cmp_lt_u32_e32 vcc, s18, v0
                                        ; implicit-def: $vgpr1
	s_and_saveexec_b64 s[18:19], vcc
	s_xor_b64 s[18:19], exec, s[18:19]
; %bb.1496:
	v_bfe_u32 v1, v0, 21, 1
	s_mov_b32 s20, 0x80fffff
	v_add3_u32 v0, v0, v1, s20
	v_lshrrev_b32_e32 v1, 21, v0
                                        ; implicit-def: $vgpr0
; %bb.1497:
	s_andn2_saveexec_b64 s[18:19], s[18:19]
; %bb.1498:
	v_add_f32_e32 v1, 0x43000000, v0
; %bb.1499:
	s_or_b64 exec, exec, s[18:19]
                                        ; implicit-def: $vgpr0
.LBB364_1500:
	s_andn2_saveexec_b64 s[14:15], s[14:15]
; %bb.1501:
	s_mov_b32 s18, 0x7f800000
	v_mov_b32_e32 v1, 0x7c
	v_mov_b32_e32 v2, 0x7f
	v_cmp_lt_u32_e32 vcc, s18, v0
	v_cndmask_b32_e32 v1, v1, v2, vcc
; %bb.1502:
	s_or_b64 exec, exec, s[14:15]
	global_store_byte v[3:4], v1, off
.LBB364_1503:
	s_mov_b64 s[14:15], 0
.LBB364_1504:
	s_andn2_b64 vcc, exec, s[14:15]
	s_mov_b64 s[14:15], 0
	s_cbranch_vccnz .LBB364_1516
; %bb.1505:
	s_cmp_gt_i32 s22, 14
	s_mov_b64 s[18:19], -1
	s_cbranch_scc0 .LBB364_1509
; %bb.1506:
	s_cmp_eq_u32 s22, 15
	s_mov_b64 s[0:1], -1
	s_cbranch_scc0 .LBB364_1508
; %bb.1507:
	v_cndmask_b32_e64 v0, 0, 1.0, s[12:13]
	v_bfe_u32 v1, v0, 16, 1
	s_movk_i32 s0, 0x7fff
	v_add3_u32 v0, v0, v1, s0
	global_store_short_d16_hi v[3:4], v0, off
	s_mov_b64 s[0:1], 0
.LBB364_1508:
	s_mov_b64 s[18:19], 0
.LBB364_1509:
	s_and_b64 vcc, exec, s[18:19]
	s_cbranch_vccz .LBB364_1516
; %bb.1510:
	s_cmp_lg_u32 s22, 11
	s_cselect_b64 s[18:19], -1, 0
	s_andn2_b64 s[0:1], s[0:1], exec
	s_and_b64 s[18:19], s[18:19], exec
	s_mov_b64 s[14:15], -1
	s_or_b64 s[0:1], s[0:1], s[18:19]
	s_branch .LBB364_1516
.LBB364_1511:
	s_or_b64 exec, exec, s[16:17]
	s_and_saveexec_b64 s[0:1], s[40:41]
	s_cbranch_execnz .LBB364_1517
.LBB364_1512:
	s_or_b64 exec, exec, s[0:1]
	s_and_saveexec_b64 s[0:1], s[22:23]
	s_xor_b64 s[0:1], exec, s[0:1]
	s_cbranch_execz .LBB364_1518
.LBB364_1513:
	v_cndmask_b32_e64 v0, 0, 1, s[12:13]
	global_store_byte v[3:4], v0, off
	s_or_b64 exec, exec, s[0:1]
	s_and_saveexec_b64 s[0:1], s[20:21]
	s_xor_b64 s[0:1], exec, s[0:1]
	s_cbranch_execz .LBB364_1556
	s_branch .LBB364_1519
.LBB364_1514:
	s_mov_b64 s[14:15], 0
	s_mov_b64 s[8:9], -1
	s_mov_b64 s[0:1], s[40:41]
	s_branch .LBB364_1516
.LBB364_1515:
	s_mov_b64 s[14:15], 0
.LBB364_1516:
	s_and_b64 s[20:21], s[8:9], exec
	s_andn2_b64 s[8:9], s[40:41], exec
	s_and_b64 s[0:1], s[0:1], exec
	s_and_b64 s[22:23], s[14:15], exec
	s_or_b64 s[40:41], s[8:9], s[0:1]
	s_or_b64 exec, exec, s[16:17]
	s_and_saveexec_b64 s[0:1], s[40:41]
	s_cbranch_execz .LBB364_1512
.LBB364_1517:
	s_or_b64 s[10:11], s[10:11], exec
	s_andn2_b64 s[22:23], s[22:23], exec
	s_trap 2
	s_or_b64 exec, exec, s[0:1]
	s_and_saveexec_b64 s[0:1], s[22:23]
	s_xor_b64 s[0:1], exec, s[0:1]
	s_cbranch_execnz .LBB364_1513
.LBB364_1518:
	s_or_b64 exec, exec, s[0:1]
	s_and_saveexec_b64 s[0:1], s[20:21]
	s_xor_b64 s[0:1], exec, s[0:1]
	s_cbranch_execz .LBB364_1556
.LBB364_1519:
	s_sext_i32_i16 s14, s30
	s_cmp_lt_i32 s14, 5
	s_mov_b64 s[8:9], -1
	s_cbranch_scc1 .LBB364_1540
; %bb.1520:
	s_cmp_lt_i32 s14, 8
	s_cbranch_scc1 .LBB364_1530
; %bb.1521:
	s_cmp_lt_i32 s14, 9
	s_cbranch_scc1 .LBB364_1527
; %bb.1522:
	s_cmp_gt_i32 s14, 9
	s_cbranch_scc0 .LBB364_1524
; %bb.1523:
	v_cndmask_b32_e64 v0, 0, 1, s[12:13]
	s_waitcnt vmcnt(0)
	v_cvt_f64_u32_e32 v[5:6], v0
	v_mov_b32_e32 v7, 0
	v_mov_b32_e32 v8, v7
	s_mov_b64 s[8:9], 0
	global_store_dwordx4 v[3:4], v[5:8], off
.LBB364_1524:
	s_andn2_b64 vcc, exec, s[8:9]
	s_cbranch_vccnz .LBB364_1526
; %bb.1525:
	v_cndmask_b32_e64 v0, 0, 1.0, s[12:13]
	s_waitcnt vmcnt(0)
	v_mov_b32_e32 v1, 0
	global_store_dwordx2 v[3:4], v[0:1], off
.LBB364_1526:
	s_mov_b64 s[8:9], 0
.LBB364_1527:
	s_andn2_b64 vcc, exec, s[8:9]
	s_cbranch_vccnz .LBB364_1529
; %bb.1528:
	v_cndmask_b32_e64 v0, 0, 1.0, s[12:13]
	v_cvt_f16_f32_e32 v0, v0
	global_store_dword v[3:4], v0, off
.LBB364_1529:
	s_mov_b64 s[8:9], 0
.LBB364_1530:
	s_andn2_b64 vcc, exec, s[8:9]
	s_cbranch_vccnz .LBB364_1539
; %bb.1531:
	s_sext_i32_i16 s14, s30
	s_cmp_lt_i32 s14, 6
	s_mov_b64 s[8:9], -1
	s_cbranch_scc1 .LBB364_1537
; %bb.1532:
	s_cmp_gt_i32 s14, 6
	s_cbranch_scc0 .LBB364_1534
; %bb.1533:
	v_cndmask_b32_e64 v0, 0, 1, s[12:13]
	s_waitcnt vmcnt(0)
	v_cvt_f64_u32_e32 v[0:1], v0
	s_mov_b64 s[8:9], 0
	global_store_dwordx2 v[3:4], v[0:1], off
.LBB364_1534:
	s_andn2_b64 vcc, exec, s[8:9]
	s_cbranch_vccnz .LBB364_1536
; %bb.1535:
	v_cndmask_b32_e64 v0, 0, 1.0, s[12:13]
	global_store_dword v[3:4], v0, off
.LBB364_1536:
	s_mov_b64 s[8:9], 0
.LBB364_1537:
	s_andn2_b64 vcc, exec, s[8:9]
	s_cbranch_vccnz .LBB364_1539
; %bb.1538:
	v_cndmask_b32_e64 v0, 0, 1.0, s[12:13]
	v_cvt_f16_f32_e32 v0, v0
	global_store_short v[3:4], v0, off
.LBB364_1539:
	s_mov_b64 s[8:9], 0
.LBB364_1540:
	s_andn2_b64 vcc, exec, s[8:9]
	s_cbranch_vccnz .LBB364_1556
; %bb.1541:
	s_sext_i32_i16 s14, s30
	s_cmp_lt_i32 s14, 2
	s_mov_b64 s[8:9], -1
	s_cbranch_scc1 .LBB364_1551
; %bb.1542:
	s_cmp_lt_i32 s14, 3
	s_cbranch_scc1 .LBB364_1548
; %bb.1543:
	s_cmp_gt_i32 s14, 3
	s_cbranch_scc0 .LBB364_1545
; %bb.1544:
	s_mov_b32 s8, 0
	v_cndmask_b32_e64 v0, 0, 1, s[12:13]
	s_waitcnt vmcnt(0)
	v_mov_b32_e32 v1, s8
	s_mov_b64 s[8:9], 0
	global_store_dwordx2 v[3:4], v[0:1], off
.LBB364_1545:
	s_andn2_b64 vcc, exec, s[8:9]
	s_cbranch_vccnz .LBB364_1547
; %bb.1546:
	v_cndmask_b32_e64 v0, 0, 1, s[12:13]
	global_store_dword v[3:4], v0, off
.LBB364_1547:
	s_mov_b64 s[8:9], 0
.LBB364_1548:
	s_andn2_b64 vcc, exec, s[8:9]
	s_cbranch_vccnz .LBB364_1550
; %bb.1549:
	v_cndmask_b32_e64 v0, 0, 1, s[12:13]
	global_store_short v[3:4], v0, off
.LBB364_1550:
	s_mov_b64 s[8:9], 0
.LBB364_1551:
	s_andn2_b64 vcc, exec, s[8:9]
	s_cbranch_vccnz .LBB364_1556
; %bb.1552:
	s_sext_i32_i16 s14, s30
	s_mov_b64 s[8:9], -1
	s_cmp_gt_i32 s14, 0
	v_cndmask_b32_e64 v0, 0, 1, s[12:13]
	s_cbranch_scc0 .LBB364_1554
; %bb.1553:
	s_mov_b64 s[8:9], 0
	global_store_byte v[3:4], v0, off
.LBB364_1554:
	s_andn2_b64 vcc, exec, s[8:9]
	s_cbranch_vccnz .LBB364_1556
; %bb.1555:
	global_store_byte v[3:4], v0, off
.LBB364_1556:
	s_or_b64 exec, exec, s[0:1]
	s_and_b64 s[12:13], s[10:11], exec
                                        ; implicit-def: $vgpr21
                                        ; implicit-def: $vgpr10
.LBB364_1557:
	s_or_saveexec_b64 s[14:15], s[26:27]
	s_mov_b64 s[0:1], 0
                                        ; implicit-def: $sgpr10_sgpr11
                                        ; implicit-def: $vgpr0_vgpr1
                                        ; implicit-def: $sgpr22
	s_xor_b64 exec, exec, s[14:15]
	s_cbranch_execz .LBB364_3038
; %bb.1558:
	v_cndmask_b32_e64 v0, 0, 1, s[24:25]
	v_cmp_ne_u32_e64 s[0:1], 1, v0
	s_andn2_b64 vcc, exec, s[24:25]
	s_cbranch_vccnz .LBB364_1564
; %bb.1559:
	s_cmp_lg_u32 s33, 0
	s_cbranch_scc0 .LBB364_1565
; %bb.1560:
	s_min_u32 s8, s72, 15
	s_add_i32 s6, s8, 1
	s_and_b32 s9, s6, 30
	s_add_u32 s6, s2, 0xffffffe8
	s_addc_u32 s7, s3, -1
	v_mov_b32_e32 v11, 0
	v_mov_b32_e32 v8, 0
	s_waitcnt vmcnt(0)
	v_mov_b32_e32 v6, 0
	v_mov_b32_e32 v0, v10
.LBB364_1561:                           ; =>This Inner Loop Header: Depth=1
	s_load_dwordx4 s[16:19], s[6:7], 0x1c
	s_load_dwordx2 s[10:11], s[6:7], 0x2c
	s_load_dwordx2 s[24:25], s[6:7], 0xec
	s_load_dwordx4 s[20:23], s[6:7], 0xdc
	s_add_u32 s6, s6, 24
	s_waitcnt lgkmcnt(0)
	v_mul_hi_u32 v1, s17, v0
	s_addc_u32 s7, s7, 0
	s_add_i32 s9, s9, -2
	s_cmp_lg_u32 s9, 0
	v_add_u32_e32 v1, v0, v1
	v_lshrrev_b32_e32 v1, s18, v1
	v_mul_lo_u32 v2, v1, s16
	v_mul_hi_u32 v3, s10, v1
	v_sub_u32_e32 v2, v0, v2
	v_add_u32_e32 v0, v1, v3
	v_lshrrev_b32_e32 v0, s11, v0
	v_mul_lo_u32 v5, v0, s19
	v_mul_lo_u32 v3, v2, s20
	;; [unrolled: 1-line block ×4, first 2 shown]
	v_sub_u32_e32 v1, v1, v5
	v_mul_lo_u32 v5, v1, s23
	v_mul_lo_u32 v7, v1, s24
	;; [unrolled: 1-line block ×3, first 2 shown]
	v_add3_u32 v6, v3, v6, v5
	v_add3_u32 v8, v4, v8, v7
	;; [unrolled: 1-line block ×3, first 2 shown]
	s_cbranch_scc1 .LBB364_1561
; %bb.1562:
	s_bitcmp1_b32 s8, 0
	s_cselect_b64 s[8:9], -1, 0
	s_and_b64 vcc, exec, s[8:9]
	s_cbranch_vccnz .LBB364_1566
; %bb.1563:
	s_load_dwordx2 s[8:9], s[6:7], 0x1c
	s_load_dword s16, s[6:7], 0x24
	s_load_dwordx2 s[10:11], s[6:7], 0xdc
	s_waitcnt lgkmcnt(0)
	v_mul_hi_u32 v1, s9, v0
	v_add_u32_e32 v1, v0, v1
	v_lshrrev_b32_e32 v1, s16, v1
	v_mul_lo_u32 v1, v1, s8
	s_load_dword s8, s[6:7], 0xe4
	v_sub_u32_e32 v0, v0, v1
	v_mad_u64_u32 v[6:7], s[6:7], v0, s10, v[6:7]
	v_mad_u64_u32 v[8:9], s[6:7], v0, s11, v[8:9]
	s_waitcnt lgkmcnt(0)
	v_mad_u64_u32 v[11:12], s[6:7], v0, s8, v[11:12]
	s_cbranch_execz .LBB364_1567
	s_branch .LBB364_1569
.LBB364_1564:
                                        ; implicit-def: $vgpr6
                                        ; implicit-def: $vgpr8
                                        ; implicit-def: $vgpr11
	s_branch .LBB364_1567
.LBB364_1565:
	s_waitcnt vmcnt(0)
	v_mov_b32_e32 v6, 0
	v_mov_b32_e32 v8, 0
	;; [unrolled: 1-line block ×3, first 2 shown]
.LBB364_1566:
	s_cbranch_execnz .LBB364_1569
.LBB364_1567:
	s_load_dwordx4 s[8:11], s[2:3], 0x4
	s_load_dwordx4 s[16:19], s[2:3], 0xc4
	s_cmp_lt_u32 s33, 2
	s_waitcnt lgkmcnt(0)
	v_mul_hi_u32 v0, s9, v10
	v_add_u32_e32 v0, v10, v0
	v_lshrrev_b32_e32 v0, s10, v0
	s_waitcnt vmcnt(0)
	v_mul_lo_u32 v1, v0, s8
	v_sub_u32_e32 v1, v10, v1
	v_mul_lo_u32 v6, v1, s16
	v_mul_lo_u32 v8, v1, s17
	;; [unrolled: 1-line block ×3, first 2 shown]
	s_cbranch_scc1 .LBB364_1569
; %bb.1568:
	s_load_dwordx4 s[8:11], s[2:3], 0x10
	s_load_dwordx4 s[16:19], s[2:3], 0xd0
	s_waitcnt lgkmcnt(0)
	v_mul_hi_u32 v1, s9, v0
	v_add_u32_e32 v1, v0, v1
	v_lshrrev_b32_e32 v1, s10, v1
	v_mul_lo_u32 v1, v1, s8
	v_sub_u32_e32 v0, v0, v1
	v_mad_u64_u32 v[6:7], s[6:7], v0, s16, v[6:7]
	v_mad_u64_u32 v[8:9], s[6:7], v0, s17, v[8:9]
	;; [unrolled: 1-line block ×3, first 2 shown]
.LBB364_1569:
	s_and_b64 vcc, exec, s[0:1]
	v_add_u32_e32 v0, 0x80, v10
	s_cbranch_vccnz .LBB364_1575
; %bb.1570:
	s_cmp_lg_u32 s33, 0
	s_cbranch_scc0 .LBB364_1576
; %bb.1571:
	s_min_u32 s8, s72, 15
	s_add_i32 s6, s8, 1
	s_and_b32 s9, s6, 30
	s_add_u32 s6, s2, 0xffffffe8
	s_addc_u32 s7, s3, -1
	v_mov_b32_e32 v16, 0
	v_mov_b32_e32 v12, 0
	;; [unrolled: 1-line block ×3, first 2 shown]
	s_waitcnt vmcnt(0)
	v_mov_b32_e32 v1, v0
.LBB364_1572:                           ; =>This Inner Loop Header: Depth=1
	s_load_dwordx4 s[16:19], s[6:7], 0x1c
	s_load_dwordx2 s[10:11], s[6:7], 0x2c
	s_load_dwordx2 s[24:25], s[6:7], 0xec
	s_load_dwordx4 s[20:23], s[6:7], 0xdc
	s_add_u32 s6, s6, 24
	s_waitcnt lgkmcnt(0)
	v_mul_hi_u32 v2, s17, v1
	s_addc_u32 s7, s7, 0
	s_add_i32 s9, s9, -2
	s_cmp_lg_u32 s9, 0
	v_add_u32_e32 v2, v1, v2
	v_lshrrev_b32_e32 v2, s18, v2
	v_mul_lo_u32 v3, v2, s16
	v_mul_hi_u32 v5, s10, v2
	v_sub_u32_e32 v3, v1, v3
	v_add_u32_e32 v1, v2, v5
	v_lshrrev_b32_e32 v1, s11, v1
	v_mul_lo_u32 v9, v1, s19
	v_mul_lo_u32 v5, v3, s20
	;; [unrolled: 1-line block ×4, first 2 shown]
	v_sub_u32_e32 v2, v2, v9
	v_mul_lo_u32 v9, v2, s23
	v_mul_lo_u32 v13, v2, s24
	;; [unrolled: 1-line block ×3, first 2 shown]
	v_add3_u32 v4, v5, v4, v9
	v_add3_u32 v12, v7, v12, v13
	;; [unrolled: 1-line block ×3, first 2 shown]
	s_cbranch_scc1 .LBB364_1572
; %bb.1573:
	s_bitcmp1_b32 s8, 0
	s_cselect_b64 s[8:9], -1, 0
	s_and_b64 vcc, exec, s[8:9]
	s_cbranch_vccnz .LBB364_1577
; %bb.1574:
	s_load_dwordx2 s[8:9], s[6:7], 0x1c
	s_load_dword s16, s[6:7], 0x24
	s_load_dwordx2 s[10:11], s[6:7], 0xdc
	s_waitcnt lgkmcnt(0)
	v_mul_hi_u32 v2, s9, v1
	v_add_u32_e32 v2, v1, v2
	v_lshrrev_b32_e32 v2, s16, v2
	v_mul_lo_u32 v2, v2, s8
	s_load_dword s8, s[6:7], 0xe4
	v_sub_u32_e32 v1, v1, v2
	v_mad_u64_u32 v[4:5], s[6:7], v1, s10, v[4:5]
	v_mad_u64_u32 v[12:13], s[6:7], v1, s11, v[12:13]
	s_waitcnt lgkmcnt(0)
	v_mad_u64_u32 v[16:17], s[6:7], v1, s8, v[16:17]
	s_cbranch_execz .LBB364_1578
	s_branch .LBB364_1580
.LBB364_1575:
                                        ; implicit-def: $vgpr4
                                        ; implicit-def: $vgpr12
                                        ; implicit-def: $vgpr16
	s_branch .LBB364_1578
.LBB364_1576:
	v_mov_b32_e32 v4, 0
	v_mov_b32_e32 v12, 0
	;; [unrolled: 1-line block ×3, first 2 shown]
.LBB364_1577:
	s_cbranch_execnz .LBB364_1580
.LBB364_1578:
	s_load_dwordx4 s[8:11], s[2:3], 0x4
	s_load_dwordx4 s[16:19], s[2:3], 0xc4
	s_cmp_lt_u32 s33, 2
	s_waitcnt vmcnt(0) lgkmcnt(0)
	v_mul_hi_u32 v1, s9, v0
	v_add_u32_e32 v1, v0, v1
	v_lshrrev_b32_e32 v1, s10, v1
	v_mul_lo_u32 v2, v1, s8
	v_sub_u32_e32 v0, v0, v2
	v_mul_lo_u32 v4, v0, s16
	v_mul_lo_u32 v12, v0, s17
	;; [unrolled: 1-line block ×3, first 2 shown]
	s_cbranch_scc1 .LBB364_1580
; %bb.1579:
	s_load_dwordx4 s[8:11], s[2:3], 0x10
	s_load_dwordx4 s[16:19], s[2:3], 0xd0
	s_waitcnt lgkmcnt(0)
	v_mul_hi_u32 v0, s9, v1
	v_add_u32_e32 v0, v1, v0
	v_lshrrev_b32_e32 v0, s10, v0
	v_mul_lo_u32 v0, v0, s8
	v_sub_u32_e32 v0, v1, v0
	v_mad_u64_u32 v[4:5], s[6:7], v0, s16, v[4:5]
	v_mad_u64_u32 v[12:13], s[6:7], v0, s17, v[12:13]
	;; [unrolled: 1-line block ×3, first 2 shown]
.LBB364_1580:
	s_and_b64 vcc, exec, s[0:1]
	v_add_u32_e32 v0, 0x100, v10
	s_cbranch_vccnz .LBB364_1586
; %bb.1581:
	s_cmp_lg_u32 s33, 0
	s_cbranch_scc0 .LBB364_1587
; %bb.1582:
	s_min_u32 s8, s72, 15
	s_add_i32 s6, s8, 1
	s_and_b32 s9, s6, 30
	s_add_u32 s6, s2, 0xffffffe8
	s_addc_u32 s7, s3, -1
	v_mov_b32_e32 v19, 0
	v_mov_b32_e32 v17, 0
	s_waitcnt vmcnt(0)
	v_mov_b32_e32 v2, 0
	v_mov_b32_e32 v1, v0
.LBB364_1583:                           ; =>This Inner Loop Header: Depth=1
	s_load_dwordx4 s[16:19], s[6:7], 0x1c
	s_load_dwordx2 s[10:11], s[6:7], 0x2c
	s_load_dwordx2 s[24:25], s[6:7], 0xec
	s_load_dwordx4 s[20:23], s[6:7], 0xdc
	s_add_u32 s6, s6, 24
	s_waitcnt lgkmcnt(0)
	v_mul_hi_u32 v3, s17, v1
	s_addc_u32 s7, s7, 0
	s_add_i32 s9, s9, -2
	s_cmp_lg_u32 s9, 0
	v_add_u32_e32 v3, v1, v3
	v_lshrrev_b32_e32 v3, s18, v3
	v_mul_lo_u32 v5, v3, s16
	v_mul_hi_u32 v7, s10, v3
	v_sub_u32_e32 v5, v1, v5
	v_add_u32_e32 v1, v3, v7
	v_lshrrev_b32_e32 v1, s11, v1
	v_mul_lo_u32 v10, v1, s19
	v_mul_lo_u32 v7, v5, s20
	v_mul_lo_u32 v9, v5, s21
	v_mul_lo_u32 v5, v5, s22
	v_sub_u32_e32 v3, v3, v10
	v_mul_lo_u32 v10, v3, s23
	v_mul_lo_u32 v13, v3, s24
	;; [unrolled: 1-line block ×3, first 2 shown]
	v_add3_u32 v2, v7, v2, v10
	v_add3_u32 v17, v9, v17, v13
	;; [unrolled: 1-line block ×3, first 2 shown]
	s_cbranch_scc1 .LBB364_1583
; %bb.1584:
	s_bitcmp1_b32 s8, 0
	s_cselect_b64 s[8:9], -1, 0
	s_and_b64 vcc, exec, s[8:9]
	s_cbranch_vccnz .LBB364_1588
; %bb.1585:
	s_load_dwordx2 s[8:9], s[6:7], 0x1c
	s_load_dword s16, s[6:7], 0x24
	s_load_dwordx2 s[10:11], s[6:7], 0xdc
	s_waitcnt lgkmcnt(0)
	v_mul_hi_u32 v3, s9, v1
	v_add_u32_e32 v3, v1, v3
	v_lshrrev_b32_e32 v3, s16, v3
	v_mul_lo_u32 v3, v3, s8
	s_load_dword s8, s[6:7], 0xe4
	v_sub_u32_e32 v1, v1, v3
	v_mad_u64_u32 v[2:3], s[6:7], v1, s10, v[2:3]
	v_mad_u64_u32 v[17:18], s[6:7], v1, s11, v[17:18]
	s_waitcnt lgkmcnt(0)
	v_mad_u64_u32 v[19:20], s[6:7], v1, s8, v[19:20]
	s_cbranch_execz .LBB364_1589
	s_branch .LBB364_1591
.LBB364_1586:
                                        ; implicit-def: $vgpr2
                                        ; implicit-def: $vgpr17
                                        ; implicit-def: $vgpr19
	s_branch .LBB364_1589
.LBB364_1587:
	s_waitcnt vmcnt(0)
	v_mov_b32_e32 v2, 0
	v_mov_b32_e32 v17, 0
	;; [unrolled: 1-line block ×3, first 2 shown]
.LBB364_1588:
	s_cbranch_execnz .LBB364_1591
.LBB364_1589:
	s_load_dwordx4 s[8:11], s[2:3], 0x4
	s_load_dwordx4 s[16:19], s[2:3], 0xc4
	s_cmp_lt_u32 s33, 2
	s_waitcnt vmcnt(0) lgkmcnt(0)
	v_mul_hi_u32 v1, s9, v0
	v_add_u32_e32 v1, v0, v1
	v_lshrrev_b32_e32 v1, s10, v1
	v_mul_lo_u32 v2, v1, s8
	v_sub_u32_e32 v0, v0, v2
	v_mul_lo_u32 v2, v0, s16
	v_mul_lo_u32 v17, v0, s17
	;; [unrolled: 1-line block ×3, first 2 shown]
	s_cbranch_scc1 .LBB364_1591
; %bb.1590:
	s_load_dwordx4 s[8:11], s[2:3], 0x10
	s_load_dwordx4 s[16:19], s[2:3], 0xd0
	s_waitcnt lgkmcnt(0)
	v_mul_hi_u32 v0, s9, v1
	v_add_u32_e32 v0, v1, v0
	v_lshrrev_b32_e32 v0, s10, v0
	v_mul_lo_u32 v0, v0, s8
	v_sub_u32_e32 v0, v1, v0
	v_mad_u64_u32 v[2:3], s[6:7], v0, s16, v[2:3]
	v_mad_u64_u32 v[17:18], s[6:7], v0, s17, v[17:18]
	;; [unrolled: 1-line block ×3, first 2 shown]
.LBB364_1591:
	s_and_b64 vcc, exec, s[0:1]
	s_cbranch_vccnz .LBB364_1597
; %bb.1592:
	s_cmp_lg_u32 s33, 0
	s_cbranch_scc0 .LBB364_1598
; %bb.1593:
	s_min_u32 s6, s72, 15
	s_add_i32 s0, s6, 1
	s_and_b32 s7, s0, 30
	s_add_u32 s0, s2, 0xffffffe8
	s_addc_u32 s1, s3, -1
	v_mov_b32_e32 v9, 0
	v_mov_b32_e32 v14, 0
	;; [unrolled: 1-line block ×3, first 2 shown]
	s_waitcnt vmcnt(0)
	v_mov_b32_e32 v1, v21
.LBB364_1594:                           ; =>This Inner Loop Header: Depth=1
	s_load_dwordx4 s[8:11], s[0:1], 0x1c
	s_load_dwordx2 s[20:21], s[0:1], 0x2c
	s_load_dwordx2 s[22:23], s[0:1], 0xec
	s_load_dwordx4 s[16:19], s[0:1], 0xdc
	s_add_u32 s0, s0, 24
	s_waitcnt lgkmcnt(0)
	v_mul_hi_u32 v3, s9, v1
	s_addc_u32 s1, s1, 0
	s_add_i32 s7, s7, -2
	s_cmp_lg_u32 s7, 0
	v_add_u32_e32 v3, v1, v3
	v_lshrrev_b32_e32 v3, s10, v3
	v_mul_lo_u32 v5, v3, s8
	v_mul_hi_u32 v7, s20, v3
	v_sub_u32_e32 v5, v1, v5
	v_add_u32_e32 v1, v3, v7
	v_lshrrev_b32_e32 v1, s21, v1
	v_mul_lo_u32 v13, v1, s11
	v_mul_lo_u32 v7, v5, s16
	;; [unrolled: 1-line block ×4, first 2 shown]
	v_sub_u32_e32 v3, v3, v13
	v_mul_lo_u32 v13, v3, s19
	v_mul_lo_u32 v15, v3, s22
	;; [unrolled: 1-line block ×3, first 2 shown]
	v_add3_u32 v0, v7, v0, v13
	v_add3_u32 v14, v10, v14, v15
	;; [unrolled: 1-line block ×3, first 2 shown]
	s_cbranch_scc1 .LBB364_1594
; %bb.1595:
	s_bitcmp1_b32 s6, 0
	s_cselect_b64 s[6:7], -1, 0
	s_and_b64 vcc, exec, s[6:7]
	s_cbranch_vccnz .LBB364_1599
; %bb.1596:
	s_load_dwordx2 s[6:7], s[0:1], 0x1c
	s_load_dword s10, s[0:1], 0x24
	s_load_dwordx2 s[8:9], s[0:1], 0xdc
	s_waitcnt lgkmcnt(0)
	v_mul_hi_u32 v3, s7, v1
	v_add_u32_e32 v3, v1, v3
	v_lshrrev_b32_e32 v3, s10, v3
	v_mul_lo_u32 v3, v3, s6
	s_load_dword s6, s[0:1], 0xe4
	v_sub_u32_e32 v3, v1, v3
	v_mad_u64_u32 v[0:1], s[0:1], v3, s8, v[0:1]
	v_mad_u64_u32 v[14:15], s[0:1], v3, s9, v[14:15]
	s_waitcnt lgkmcnt(0)
	v_mad_u64_u32 v[9:10], s[0:1], v3, s6, v[9:10]
	s_cbranch_execz .LBB364_1600
	s_branch .LBB364_1602
.LBB364_1597:
                                        ; implicit-def: $vgpr0
                                        ; implicit-def: $vgpr14
                                        ; implicit-def: $vgpr9
	s_branch .LBB364_1600
.LBB364_1598:
	v_mov_b32_e32 v0, 0
	v_mov_b32_e32 v14, 0
	;; [unrolled: 1-line block ×3, first 2 shown]
.LBB364_1599:
	s_cbranch_execnz .LBB364_1602
.LBB364_1600:
	s_load_dwordx4 s[8:11], s[2:3], 0x4
	s_load_dwordx4 s[16:19], s[2:3], 0xc4
	s_cmp_lt_u32 s33, 2
	s_waitcnt lgkmcnt(0)
	v_mul_hi_u32 v0, s9, v21
	v_add_u32_e32 v0, v21, v0
	s_waitcnt vmcnt(0)
	v_lshrrev_b32_e32 v1, s10, v0
	v_mul_lo_u32 v0, v1, s8
	v_sub_u32_e32 v3, v21, v0
	v_mul_lo_u32 v0, v3, s16
	v_mul_lo_u32 v14, v3, s17
	v_mul_lo_u32 v9, v3, s18
	s_cbranch_scc1 .LBB364_1602
; %bb.1601:
	s_load_dwordx4 s[8:11], s[2:3], 0x10
	s_load_dwordx4 s[16:19], s[2:3], 0xd0
	s_waitcnt lgkmcnt(0)
	v_mul_hi_u32 v3, s9, v1
	v_add_u32_e32 v3, v1, v3
	v_lshrrev_b32_e32 v3, s10, v3
	v_mul_lo_u32 v3, v3, s8
	v_sub_u32_e32 v3, v1, v3
	v_mad_u64_u32 v[0:1], s[0:1], v3, s16, v[0:1]
	v_mad_u64_u32 v[14:15], s[0:1], v3, s17, v[14:15]
	;; [unrolled: 1-line block ×3, first 2 shown]
.LBB364_1602:
	s_load_dwordx4 s[8:11], s[2:3], 0x188
	s_load_dword s23, s[4:5], 0x1ac
	s_waitcnt vmcnt(0) lgkmcnt(0)
	v_mov_b32_e32 v1, s11
	s_bfe_u32 s18, s23, 0x80008
	v_add_co_u32_e32 v20, vcc, s10, v8
	s_cmp_lt_i32 s18, 11
	v_addc_co_u32_e32 v21, vcc, 0, v1, vcc
	s_cbranch_scc1 .LBB364_1609
; %bb.1603:
	s_and_b32 s19, 0xffff, s18
	s_cmp_gt_i32 s19, 25
	s_mov_b64 s[6:7], 0
	s_cbranch_scc0 .LBB364_1611
; %bb.1604:
	s_cmp_gt_i32 s19, 28
	s_cbranch_scc0 .LBB364_1612
; %bb.1605:
	s_cmp_gt_i32 s19, 43
	;; [unrolled: 3-line block ×3, first 2 shown]
	s_cbranch_scc0 .LBB364_1614
; %bb.1607:
	s_cmp_eq_u32 s19, 46
	s_mov_b64 s[4:5], 0
	s_cbranch_scc0 .LBB364_1617
; %bb.1608:
	global_load_dword v1, v[20:21], off
	s_mov_b64 s[0:1], 0
	s_mov_b64 s[16:17], -1
	s_waitcnt vmcnt(0)
	v_lshlrev_b32_e32 v1, 16, v1
	v_trunc_f32_e32 v1, v1
	v_mul_f32_e32 v3, 0x2f800000, v1
	v_floor_f32_e32 v3, v3
	v_fmac_f32_e32 v1, 0xcf800000, v3
	v_cvt_u32_f32_e32 v7, v1
	v_cvt_u32_f32_e32 v8, v3
	s_branch .LBB364_1618
.LBB364_1609:
	s_mov_b64 s[16:17], 0
                                        ; implicit-def: $vgpr7_vgpr8
	s_mov_b64 s[4:5], s[12:13]
	s_cbranch_execnz .LBB364_1676
.LBB364_1610:
	s_andn2_b64 vcc, exec, s[16:17]
	s_cbranch_vccz .LBB364_1721
	s_branch .LBB364_3036
.LBB364_1611:
	s_mov_b64 s[16:17], 0
	s_mov_b64 s[0:1], 0
                                        ; implicit-def: $vgpr7_vgpr8
	s_cbranch_execnz .LBB364_1645
	s_branch .LBB364_1672
.LBB364_1612:
	s_mov_b64 s[16:17], 0
	s_mov_b64 s[0:1], 0
                                        ; implicit-def: $vgpr7_vgpr8
	s_cbranch_execz .LBB364_1644
	s_branch .LBB364_1627
.LBB364_1613:
	s_mov_b64 s[16:17], 0
	s_mov_b64 s[0:1], 0
                                        ; implicit-def: $vgpr7_vgpr8
	s_cbranch_execnz .LBB364_1623
	s_branch .LBB364_1626
.LBB364_1614:
	s_mov_b64 s[4:5], -1
	s_mov_b64 s[16:17], 0
	s_mov_b64 s[0:1], 0
                                        ; implicit-def: $vgpr7_vgpr8
	s_branch .LBB364_1618
.LBB364_1615:
	s_andn2_saveexec_b64 s[18:19], s[18:19]
	s_cbranch_execz .LBB364_1466
.LBB364_1616:
	v_add_f32_e32 v0, 0x46000000, v1
	v_and_b32_e32 v0, 0xff, v0
	v_cmp_ne_u32_e32 vcc, 0, v0
	s_andn2_b64 s[14:15], s[14:15], exec
	s_and_b64 s[20:21], vcc, exec
	s_or_b64 s[14:15], s[14:15], s[20:21]
	s_or_b64 exec, exec, s[18:19]
	v_mov_b32_e32 v2, 0
	s_and_saveexec_b64 s[18:19], s[14:15]
	s_cbranch_execnz .LBB364_1467
	s_branch .LBB364_1468
.LBB364_1617:
	s_mov_b64 s[0:1], -1
                                        ; implicit-def: $vgpr7_vgpr8
	s_mov_b64 s[16:17], 0
.LBB364_1618:
	s_and_b64 vcc, exec, s[4:5]
	s_cbranch_vccz .LBB364_1621
; %bb.1619:
	s_cmp_eq_u32 s19, 44
	s_cbranch_scc0 .LBB364_1622
; %bb.1620:
	global_load_ubyte v1, v[20:21], off
	s_mov_b64 s[0:1], 0
	s_mov_b64 s[16:17], -1
	s_waitcnt vmcnt(0)
	v_lshlrev_b32_e32 v3, 23, v1
	v_trunc_f32_e32 v3, v3
	v_mul_f32_e32 v5, 0x2f800000, v3
	v_floor_f32_e32 v5, v5
	v_fmac_f32_e32 v3, 0xcf800000, v5
	v_cvt_u32_f32_e32 v5, v5
	v_cvt_u32_f32_e32 v3, v3
	v_cmp_ne_u32_e32 vcc, 0, v1
	v_cndmask_b32_e32 v8, 0, v5, vcc
	v_cndmask_b32_e32 v7, 0, v3, vcc
.LBB364_1621:
	s_branch .LBB364_1626
.LBB364_1622:
	s_mov_b64 s[0:1], -1
                                        ; implicit-def: $vgpr7_vgpr8
	s_branch .LBB364_1626
.LBB364_1623:
	s_cmp_eq_u32 s19, 29
	s_cbranch_scc0 .LBB364_1625
; %bb.1624:
	global_load_dwordx2 v[7:8], v[20:21], off
	s_mov_b64 s[0:1], 0
	s_mov_b64 s[16:17], -1
	s_branch .LBB364_1626
.LBB364_1625:
	s_mov_b64 s[0:1], -1
                                        ; implicit-def: $vgpr7_vgpr8
.LBB364_1626:
	s_branch .LBB364_1644
.LBB364_1627:
	s_cmp_lt_i32 s19, 27
	s_cbranch_scc1 .LBB364_1630
; %bb.1628:
	s_cmp_gt_i32 s19, 27
	s_cbranch_scc0 .LBB364_1631
; %bb.1629:
	global_load_dword v7, v[20:21], off
	s_waitcnt vmcnt(1)
	v_mov_b32_e32 v8, 0
	s_mov_b64 s[4:5], 0
	s_branch .LBB364_1632
.LBB364_1630:
	s_mov_b64 s[4:5], -1
                                        ; implicit-def: $vgpr7_vgpr8
	s_branch .LBB364_1635
.LBB364_1631:
	s_mov_b64 s[4:5], -1
                                        ; implicit-def: $vgpr7_vgpr8
.LBB364_1632:
	s_andn2_b64 vcc, exec, s[4:5]
	s_cbranch_vccnz .LBB364_1634
; %bb.1633:
	global_load_ushort v1, v[20:21], off
	s_mov_b32 s4, 0
	s_waitcnt vmcnt(1)
	v_mov_b32_e32 v8, s4
	s_waitcnt vmcnt(0)
	v_and_b32_e32 v7, 0xffff, v1
.LBB364_1634:
	s_mov_b64 s[4:5], 0
.LBB364_1635:
	s_andn2_b64 vcc, exec, s[4:5]
	s_cbranch_vccnz .LBB364_1643
; %bb.1636:
	global_load_ubyte v1, v[20:21], off
	s_movk_i32 s4, 0x7f
	s_mov_b64 s[16:17], 0
	s_waitcnt vmcnt(0)
	v_cmp_lt_i16_e32 vcc, s4, v1
	s_and_saveexec_b64 s[4:5], vcc
	s_xor_b64 s[4:5], exec, s[4:5]
; %bb.1637:
	s_movk_i32 s16, 0x80
	v_cmp_ne_u16_e32 vcc, s16, v1
	s_and_b64 s[16:17], vcc, exec
; %bb.1638:
	s_andn2_saveexec_b64 s[4:5], s[4:5]
; %bb.1639:
	v_cmp_ne_u16_e32 vcc, 0, v1
	s_andn2_b64 s[16:17], s[16:17], exec
	s_and_b64 s[20:21], vcc, exec
	s_or_b64 s[16:17], s[16:17], s[20:21]
; %bb.1640:
	s_or_b64 exec, exec, s[4:5]
	v_mov_b32_e32 v7, 0
	v_mov_b32_e32 v8, 0
	s_and_saveexec_b64 s[4:5], s[16:17]
	s_cbranch_execz .LBB364_1642
; %bb.1641:
	v_lshlrev_b32_e32 v3, 24, v1
	v_and_b32_e32 v1, 0xffff, v1
	v_and_b32_e32 v5, 7, v1
	v_ffbh_u32_e32 v8, v5
	v_min_u32_e32 v8, 32, v8
	v_subrev_u32_e32 v10, 28, v8
	v_bfe_u32 v7, v1, 3, 4
	v_lshlrev_b32_e32 v1, v10, v1
	v_sub_u32_e32 v8, 29, v8
	v_and_b32_e32 v1, 7, v1
	v_cmp_eq_u32_e32 vcc, 0, v7
	v_cndmask_b32_e32 v7, v7, v8, vcc
	v_cndmask_b32_e32 v1, v5, v1, vcc
	v_mov_b32_e32 v5, 0x3b800000
	v_lshlrev_b32_e32 v1, 20, v1
	v_and_b32_e32 v3, 0x80000000, v3
	v_lshl_add_u32 v5, v7, 23, v5
	v_or3_b32 v1, v3, v5, v1
	v_trunc_f32_e32 v1, v1
	v_mul_f32_e32 v3, 0x2f800000, v1
	v_floor_f32_e32 v3, v3
	v_fmac_f32_e32 v1, 0xcf800000, v3
	v_cvt_u32_f32_e32 v7, v1
	v_cvt_u32_f32_e32 v8, v3
.LBB364_1642:
	s_or_b64 exec, exec, s[4:5]
.LBB364_1643:
	s_mov_b64 s[16:17], -1
.LBB364_1644:
	s_branch .LBB364_1672
.LBB364_1645:
	s_cmp_gt_i32 s19, 22
	s_cbranch_scc0 .LBB364_1655
; %bb.1646:
	s_cmp_lt_i32 s19, 24
	s_cbranch_scc1 .LBB364_1656
; %bb.1647:
	s_cmp_gt_i32 s19, 24
	s_cbranch_scc0 .LBB364_1657
; %bb.1648:
	global_load_ubyte v1, v[20:21], off
	s_movk_i32 s4, 0x7f
	s_waitcnt vmcnt(0)
	v_cmp_lt_i16_e32 vcc, s4, v1
	s_and_saveexec_b64 s[4:5], vcc
	s_xor_b64 s[4:5], exec, s[4:5]
; %bb.1649:
	s_movk_i32 s6, 0x80
	v_cmp_ne_u16_e32 vcc, s6, v1
	s_and_b64 s[6:7], vcc, exec
; %bb.1650:
	s_andn2_saveexec_b64 s[4:5], s[4:5]
; %bb.1651:
	v_cmp_ne_u16_e32 vcc, 0, v1
	s_andn2_b64 s[6:7], s[6:7], exec
	s_and_b64 s[16:17], vcc, exec
	s_or_b64 s[6:7], s[6:7], s[16:17]
; %bb.1652:
	s_or_b64 exec, exec, s[4:5]
	v_mov_b32_e32 v7, 0
	v_mov_b32_e32 v8, 0
	s_and_saveexec_b64 s[4:5], s[6:7]
	s_cbranch_execz .LBB364_1654
; %bb.1653:
	v_lshlrev_b32_e32 v3, 24, v1
	v_and_b32_e32 v1, 0xffff, v1
	v_and_b32_e32 v5, 3, v1
	v_ffbh_u32_e32 v8, v5
	v_min_u32_e32 v8, 32, v8
	v_subrev_u32_e32 v10, 29, v8
	v_bfe_u32 v7, v1, 2, 5
	v_lshlrev_b32_e32 v1, v10, v1
	v_sub_u32_e32 v8, 30, v8
	v_and_b32_e32 v1, 3, v1
	v_cmp_eq_u32_e32 vcc, 0, v7
	v_cndmask_b32_e32 v7, v7, v8, vcc
	v_cndmask_b32_e32 v1, v5, v1, vcc
	v_mov_b32_e32 v5, 0x37800000
	v_lshlrev_b32_e32 v1, 21, v1
	v_and_b32_e32 v3, 0x80000000, v3
	v_lshl_add_u32 v5, v7, 23, v5
	v_or3_b32 v1, v3, v5, v1
	v_trunc_f32_e32 v1, v1
	v_mul_f32_e32 v3, 0x2f800000, v1
	v_floor_f32_e32 v3, v3
	v_fmac_f32_e32 v1, 0xcf800000, v3
	v_cvt_u32_f32_e32 v7, v1
	v_cvt_u32_f32_e32 v8, v3
.LBB364_1654:
	s_or_b64 exec, exec, s[4:5]
	s_mov_b64 s[4:5], 0
	s_branch .LBB364_1658
.LBB364_1655:
                                        ; implicit-def: $vgpr7_vgpr8
	s_mov_b64 s[6:7], 0
	s_branch .LBB364_1664
.LBB364_1656:
	s_mov_b64 s[4:5], -1
                                        ; implicit-def: $vgpr7_vgpr8
	s_branch .LBB364_1661
.LBB364_1657:
	s_mov_b64 s[4:5], -1
                                        ; implicit-def: $vgpr7_vgpr8
.LBB364_1658:
	s_and_b64 vcc, exec, s[4:5]
	s_cbranch_vccz .LBB364_1660
; %bb.1659:
	global_load_ubyte v1, v[20:21], off
	s_mov_b32 s4, 0x7f800000
	s_brev_b32 s5, 1
	s_waitcnt vmcnt(0)
	v_lshlrev_b32_e32 v1, 24, v1
	v_and_b32_e32 v3, 0x7f000000, v1
	v_ffbh_u32_e32 v5, v3
	v_min_u32_e32 v5, 32, v5
	v_sub_u32_e64 v5, v5, 4 clamp
	v_lshlrev_b32_e32 v8, v5, v3
	v_lshlrev_b32_e32 v5, 23, v5
	v_lshrrev_b32_e32 v8, 4, v8
	v_add_u32_e32 v7, 0x1000000, v3
	v_sub_u32_e32 v5, v8, v5
	v_ashrrev_i32_e32 v7, 8, v7
	v_add_u32_e32 v5, 0x3c000000, v5
	v_and_or_b32 v5, v7, s4, v5
	v_cmp_ne_u32_e32 vcc, 0, v3
	v_cndmask_b32_e32 v3, 0, v5, vcc
	v_and_or_b32 v1, v1, s5, v3
	v_trunc_f32_e32 v1, v1
	v_mul_f32_e32 v3, 0x2f800000, v1
	v_floor_f32_e32 v3, v3
	v_fmac_f32_e32 v1, 0xcf800000, v3
	v_cvt_u32_f32_e32 v7, v1
	v_cvt_u32_f32_e32 v8, v3
.LBB364_1660:
	s_mov_b64 s[4:5], 0
.LBB364_1661:
	s_andn2_b64 vcc, exec, s[4:5]
	s_cbranch_vccnz .LBB364_1663
; %bb.1662:
	global_load_ubyte v1, v[20:21], off
	s_movk_i32 s4, 0x7f00
	s_brev_b32 s5, 16
	s_brev_b32 s6, 1
	s_waitcnt vmcnt(0)
	v_lshlrev_b16_e32 v3, 8, v1
	v_lshlrev_b32_e32 v1, 25, v1
	v_lshrrev_b32_e32 v5, 4, v1
	v_and_or_b32 v7, v3, s4, 0.5
	v_or_b32_e32 v5, 0x70000000, v5
	v_add_f32_e32 v7, -0.5, v7
	v_mul_f32_e32 v5, 0x7800000, v5
	v_cmp_gt_u32_e32 vcc, s5, v1
	v_bfe_i32 v3, v3, 0, 16
	v_cndmask_b32_e32 v1, v5, v7, vcc
	v_and_or_b32 v1, v3, s6, v1
	v_trunc_f32_e32 v1, v1
	v_mul_f32_e32 v3, 0x2f800000, v1
	v_floor_f32_e32 v3, v3
	v_fmac_f32_e32 v1, 0xcf800000, v3
	v_cvt_u32_f32_e32 v7, v1
	v_cvt_u32_f32_e32 v8, v3
.LBB364_1663:
	s_mov_b64 s[16:17], -1
	s_mov_b64 s[6:7], 0
	s_cbranch_execnz .LBB364_1672
.LBB364_1664:
	s_cmp_gt_i32 s19, 14
	s_cbranch_scc0 .LBB364_1667
; %bb.1665:
	s_cmp_eq_u32 s19, 15
	s_cbranch_scc0 .LBB364_1668
; %bb.1666:
	global_load_ushort v1, v[20:21], off
	s_mov_b64 s[0:1], 0
	s_mov_b64 s[16:17], -1
	s_waitcnt vmcnt(0)
	v_lshlrev_b32_e32 v1, 16, v1
	v_trunc_f32_e32 v1, v1
	v_mul_f32_e32 v3, 0x2f800000, v1
	v_floor_f32_e32 v3, v3
	v_fmac_f32_e32 v1, 0xcf800000, v3
	v_cvt_u32_f32_e32 v7, v1
	v_cvt_u32_f32_e32 v8, v3
	s_branch .LBB364_1669
.LBB364_1667:
	s_mov_b64 s[4:5], -1
                                        ; implicit-def: $vgpr7_vgpr8
	s_branch .LBB364_1670
.LBB364_1668:
	s_mov_b64 s[0:1], -1
                                        ; implicit-def: $vgpr7_vgpr8
.LBB364_1669:
	s_mov_b64 s[4:5], 0
.LBB364_1670:
	s_and_b64 vcc, exec, s[4:5]
	s_cbranch_vccz .LBB364_1672
; %bb.1671:
	s_cmp_lg_u32 s19, 11
	s_mov_b64 s[6:7], -1
	s_cselect_b64 s[0:1], -1, 0
.LBB364_1672:
	s_and_b64 vcc, exec, s[0:1]
	s_mov_b64 s[4:5], s[12:13]
	s_cbranch_vccnz .LBB364_1733
; %bb.1673:
	s_andn2_b64 vcc, exec, s[6:7]
	s_cbranch_vccnz .LBB364_1675
.LBB364_1674:
	global_load_ubyte v1, v[20:21], off
	s_mov_b32 s0, 0
	s_waitcnt vmcnt(1)
	v_mov_b32_e32 v8, s0
	s_mov_b64 s[16:17], -1
	s_waitcnt vmcnt(0)
	v_cmp_ne_u16_e32 vcc, 0, v1
	v_cndmask_b32_e64 v7, 0, 1, vcc
.LBB364_1675:
	s_branch .LBB364_1610
.LBB364_1676:
	s_and_b32 s6, 0xffff, s18
	s_cmp_lt_i32 s6, 5
	s_cbranch_scc1 .LBB364_1681
; %bb.1677:
	s_cmp_lt_i32 s6, 8
	s_cbranch_scc1 .LBB364_1682
; %bb.1678:
	;; [unrolled: 3-line block ×3, first 2 shown]
	s_cmp_gt_i32 s6, 9
	s_cbranch_scc0 .LBB364_1684
; %bb.1680:
	global_load_dwordx2 v[7:8], v[20:21], off
	s_movk_i32 s0, 0xffe0
	s_waitcnt vmcnt(0)
	v_trunc_f64_e32 v[7:8], v[7:8]
	v_ldexp_f64 v[22:23], v[7:8], s0
	s_mov_b32 s0, 0
	s_mov_b32 s1, 0xc1f00000
	v_floor_f64_e32 v[22:23], v[22:23]
	v_fma_f64 v[24:25], v[22:23], s[0:1], v[7:8]
	v_cvt_u32_f64_e32 v8, v[22:23]
	s_mov_b64 s[0:1], 0
	v_cvt_u32_f64_e32 v7, v[24:25]
	s_branch .LBB364_1685
.LBB364_1681:
                                        ; implicit-def: $vgpr7_vgpr8
	s_branch .LBB364_1702
.LBB364_1682:
                                        ; implicit-def: $vgpr7_vgpr8
	s_branch .LBB364_1691
.LBB364_1683:
	s_mov_b64 s[0:1], -1
                                        ; implicit-def: $vgpr7_vgpr8
	s_branch .LBB364_1688
.LBB364_1684:
	s_mov_b64 s[0:1], -1
                                        ; implicit-def: $vgpr7_vgpr8
.LBB364_1685:
	s_andn2_b64 vcc, exec, s[0:1]
	s_cbranch_vccnz .LBB364_1687
; %bb.1686:
	global_load_dword v1, v[20:21], off
	s_waitcnt vmcnt(0)
	v_trunc_f32_e32 v1, v1
	v_mul_f32_e32 v3, 0x2f800000, v1
	v_floor_f32_e32 v3, v3
	v_fmac_f32_e32 v1, 0xcf800000, v3
	v_cvt_u32_f32_e32 v8, v3
	v_cvt_u32_f32_e32 v7, v1
.LBB364_1687:
	s_mov_b64 s[0:1], 0
.LBB364_1688:
	s_andn2_b64 vcc, exec, s[0:1]
	s_cbranch_vccnz .LBB364_1690
; %bb.1689:
	global_load_dword v1, v[20:21], off
	s_waitcnt vmcnt(1)
	v_mov_b32_e32 v8, 0
	s_waitcnt vmcnt(0)
	v_cvt_f32_f16_e32 v1, v1
	v_cvt_u32_f32_e32 v7, v1
.LBB364_1690:
	s_cbranch_execnz .LBB364_1701
.LBB364_1691:
	s_cmp_lt_i32 s6, 6
	s_cbranch_scc1 .LBB364_1694
; %bb.1692:
	s_cmp_gt_i32 s6, 6
	s_cbranch_scc0 .LBB364_1695
; %bb.1693:
	global_load_dwordx2 v[7:8], v[20:21], off
	s_movk_i32 s0, 0xffe0
	s_waitcnt vmcnt(0)
	v_trunc_f64_e32 v[7:8], v[7:8]
	v_ldexp_f64 v[22:23], v[7:8], s0
	s_mov_b32 s0, 0
	s_mov_b32 s1, 0xc1f00000
	v_floor_f64_e32 v[22:23], v[22:23]
	v_fma_f64 v[24:25], v[22:23], s[0:1], v[7:8]
	v_cvt_u32_f64_e32 v8, v[22:23]
	s_mov_b64 s[0:1], 0
	v_cvt_u32_f64_e32 v7, v[24:25]
	s_branch .LBB364_1696
.LBB364_1694:
	s_mov_b64 s[0:1], -1
                                        ; implicit-def: $vgpr7_vgpr8
	s_branch .LBB364_1699
.LBB364_1695:
	s_mov_b64 s[0:1], -1
                                        ; implicit-def: $vgpr7_vgpr8
.LBB364_1696:
	s_andn2_b64 vcc, exec, s[0:1]
	s_cbranch_vccnz .LBB364_1698
; %bb.1697:
	global_load_dword v1, v[20:21], off
	s_waitcnt vmcnt(0)
	v_trunc_f32_e32 v1, v1
	v_mul_f32_e32 v3, 0x2f800000, v1
	v_floor_f32_e32 v3, v3
	v_fmac_f32_e32 v1, 0xcf800000, v3
	v_cvt_u32_f32_e32 v8, v3
	v_cvt_u32_f32_e32 v7, v1
.LBB364_1698:
	s_mov_b64 s[0:1], 0
.LBB364_1699:
	s_andn2_b64 vcc, exec, s[0:1]
	s_cbranch_vccnz .LBB364_1701
; %bb.1700:
	global_load_ushort v1, v[20:21], off
	s_waitcnt vmcnt(1)
	v_mov_b32_e32 v8, 0
	s_waitcnt vmcnt(0)
	v_cvt_f32_f16_e32 v1, v1
	v_cvt_u32_f32_e32 v7, v1
.LBB364_1701:
	s_cbranch_execnz .LBB364_1720
.LBB364_1702:
	s_cmp_lt_i32 s6, 2
	s_cbranch_scc1 .LBB364_1706
; %bb.1703:
	s_cmp_lt_i32 s6, 3
	s_cbranch_scc1 .LBB364_1707
; %bb.1704:
	s_cmp_gt_i32 s6, 3
	s_cbranch_scc0 .LBB364_1708
; %bb.1705:
	global_load_dwordx2 v[7:8], v[20:21], off
	s_mov_b64 s[0:1], 0
	s_branch .LBB364_1709
.LBB364_1706:
                                        ; implicit-def: $vgpr7_vgpr8
	s_branch .LBB364_1715
.LBB364_1707:
	s_mov_b64 s[0:1], -1
                                        ; implicit-def: $vgpr7_vgpr8
	s_branch .LBB364_1712
.LBB364_1708:
	s_mov_b64 s[0:1], -1
                                        ; implicit-def: $vgpr7_vgpr8
.LBB364_1709:
	s_andn2_b64 vcc, exec, s[0:1]
	s_cbranch_vccnz .LBB364_1711
; %bb.1710:
	global_load_dword v7, v[20:21], off
	s_waitcnt vmcnt(0)
	v_ashrrev_i32_e32 v8, 31, v7
.LBB364_1711:
	s_mov_b64 s[0:1], 0
.LBB364_1712:
	s_andn2_b64 vcc, exec, s[0:1]
	s_cbranch_vccnz .LBB364_1714
; %bb.1713:
	global_load_ushort v1, v[20:21], off
	s_waitcnt vmcnt(0)
	v_bfe_i32 v7, v1, 0, 16
	v_ashrrev_i32_e32 v8, 31, v7
.LBB364_1714:
	s_cbranch_execnz .LBB364_1720
.LBB364_1715:
	s_cmp_gt_i32 s6, 0
	s_cbranch_scc0 .LBB364_1717
; %bb.1716:
	global_load_sbyte v1, v[20:21], off
	s_mov_b64 s[0:1], 0
	s_waitcnt vmcnt(0)
	v_bfe_i32 v7, v1, 0, 16
	v_ashrrev_i32_e32 v8, 31, v7
	s_branch .LBB364_1718
.LBB364_1717:
	s_mov_b64 s[0:1], -1
                                        ; implicit-def: $vgpr7_vgpr8
.LBB364_1718:
	s_andn2_b64 vcc, exec, s[0:1]
	s_cbranch_vccnz .LBB364_1720
; %bb.1719:
	global_load_ubyte v1, v[20:21], off
	s_mov_b32 s0, 0
	s_waitcnt vmcnt(1)
	v_mov_b32_e32 v8, s0
	s_waitcnt vmcnt(0)
	v_and_b32_e32 v7, 0xffff, v1
.LBB364_1720:
.LBB364_1721:
	s_load_dwordx2 s[0:1], s[2:3], 0x198
	s_bfe_u32 s22, s23, 0x80010
	s_cmp_lt_i32 s22, 11
	s_waitcnt lgkmcnt(0)
	v_mov_b32_e32 v1, s1
	v_add_co_u32_e32 v20, vcc, s0, v11
	v_addc_co_u32_e32 v21, vcc, 0, v1, vcc
	s_cbranch_scc1 .LBB364_1728
; %bb.1722:
	s_and_b32 s24, 0xffff, s22
	s_cmp_gt_i32 s24, 25
	s_mov_b64 s[16:17], 0
	s_cbranch_scc0 .LBB364_1730
; %bb.1723:
	s_cmp_gt_i32 s24, 28
	s_cbranch_scc0 .LBB364_1731
; %bb.1724:
	s_cmp_gt_i32 s24, 43
	;; [unrolled: 3-line block ×3, first 2 shown]
	s_cbranch_scc0 .LBB364_1734
; %bb.1726:
	s_cmp_eq_u32 s24, 46
	s_mov_b64 s[20:21], 0
	s_cbranch_scc0 .LBB364_1737
; %bb.1727:
	global_load_dword v1, v[20:21], off
	s_mov_b64 s[6:7], 0
	s_mov_b64 s[18:19], -1
	s_waitcnt vmcnt(0)
	v_lshlrev_b32_e32 v1, 16, v1
	v_trunc_f32_e32 v1, v1
	v_mul_f32_e32 v3, 0x2f800000, v1
	v_floor_f32_e32 v3, v3
	v_fmac_f32_e32 v1, 0xcf800000, v3
	v_cvt_u32_f32_e32 v10, v1
	v_cvt_u32_f32_e32 v11, v3
	s_branch .LBB364_1738
.LBB364_1728:
	s_mov_b64 s[18:19], 0
                                        ; implicit-def: $vgpr10_vgpr11
	s_cbranch_execnz .LBB364_1799
.LBB364_1729:
	s_andn2_b64 vcc, exec, s[18:19]
	s_cbranch_vccnz .LBB364_3036
	s_branch .LBB364_1846
.LBB364_1730:
	s_mov_b64 s[18:19], 0
	s_mov_b64 s[6:7], 0
                                        ; implicit-def: $vgpr10_vgpr11
	s_cbranch_execnz .LBB364_1767
	s_branch .LBB364_1795
.LBB364_1731:
	s_mov_b64 s[20:21], -1
	s_mov_b64 s[18:19], 0
	s_mov_b64 s[6:7], 0
                                        ; implicit-def: $vgpr10_vgpr11
	s_branch .LBB364_1748
.LBB364_1732:
	s_mov_b64 s[20:21], -1
	s_mov_b64 s[18:19], 0
	s_mov_b64 s[6:7], 0
                                        ; implicit-def: $vgpr10_vgpr11
	s_branch .LBB364_1743
.LBB364_1733:
	s_or_b64 s[4:5], s[12:13], exec
	s_trap 2
	s_cbranch_execz .LBB364_1674
	s_branch .LBB364_1675
.LBB364_1734:
	s_mov_b64 s[20:21], -1
	s_mov_b64 s[18:19], 0
	s_mov_b64 s[6:7], 0
                                        ; implicit-def: $vgpr10_vgpr11
	s_branch .LBB364_1738
.LBB364_1735:
	s_andn2_saveexec_b64 s[20:21], s[20:21]
	s_cbranch_execz .LBB364_1478
.LBB364_1736:
	v_add_f32_e32 v0, 0x42800000, v1
	v_and_b32_e32 v0, 0xff, v0
	v_cmp_ne_u32_e32 vcc, 0, v0
	s_andn2_b64 s[18:19], s[18:19], exec
	s_and_b64 s[28:29], vcc, exec
	s_or_b64 s[18:19], s[18:19], s[28:29]
	s_or_b64 exec, exec, s[20:21]
	v_mov_b32_e32 v2, 0
	s_and_saveexec_b64 s[20:21], s[18:19]
	s_cbranch_execnz .LBB364_1479
	s_branch .LBB364_1480
.LBB364_1737:
	s_mov_b64 s[6:7], -1
                                        ; implicit-def: $vgpr10_vgpr11
	s_mov_b64 s[18:19], 0
.LBB364_1738:
	s_and_b64 vcc, exec, s[20:21]
	s_cbranch_vccz .LBB364_1742
; %bb.1739:
	s_cmp_eq_u32 s24, 44
	s_cbranch_scc0 .LBB364_1741
; %bb.1740:
	global_load_ubyte v1, v[20:21], off
	s_mov_b64 s[6:7], 0
	s_mov_b64 s[18:19], -1
	s_waitcnt vmcnt(0)
	v_lshlrev_b32_e32 v3, 23, v1
	v_trunc_f32_e32 v3, v3
	v_mul_f32_e32 v5, 0x2f800000, v3
	v_floor_f32_e32 v5, v5
	v_fmac_f32_e32 v3, 0xcf800000, v5
	v_cvt_u32_f32_e32 v5, v5
	v_cvt_u32_f32_e32 v3, v3
	v_cmp_ne_u32_e32 vcc, 0, v1
	v_cndmask_b32_e32 v11, 0, v5, vcc
	v_cndmask_b32_e32 v10, 0, v3, vcc
	s_branch .LBB364_1742
.LBB364_1741:
	s_mov_b64 s[6:7], -1
                                        ; implicit-def: $vgpr10_vgpr11
.LBB364_1742:
	s_mov_b64 s[20:21], 0
.LBB364_1743:
	s_and_b64 vcc, exec, s[20:21]
	s_cbranch_vccz .LBB364_1747
; %bb.1744:
	s_cmp_eq_u32 s24, 29
	s_cbranch_scc0 .LBB364_1746
; %bb.1745:
	global_load_dwordx2 v[10:11], v[20:21], off
	s_mov_b64 s[6:7], 0
	s_mov_b64 s[18:19], -1
	s_branch .LBB364_1747
.LBB364_1746:
	s_mov_b64 s[6:7], -1
                                        ; implicit-def: $vgpr10_vgpr11
.LBB364_1747:
	s_mov_b64 s[20:21], 0
.LBB364_1748:
	s_and_b64 vcc, exec, s[20:21]
	s_cbranch_vccz .LBB364_1766
; %bb.1749:
	s_cmp_lt_i32 s24, 27
	s_cbranch_scc1 .LBB364_1752
; %bb.1750:
	s_cmp_gt_i32 s24, 27
	s_cbranch_scc0 .LBB364_1753
; %bb.1751:
	global_load_dword v10, v[20:21], off
	s_waitcnt vmcnt(1)
	v_mov_b32_e32 v11, 0
	s_mov_b64 s[18:19], 0
	s_branch .LBB364_1754
.LBB364_1752:
	s_mov_b64 s[18:19], -1
                                        ; implicit-def: $vgpr10_vgpr11
	s_branch .LBB364_1757
.LBB364_1753:
	s_mov_b64 s[18:19], -1
                                        ; implicit-def: $vgpr10_vgpr11
.LBB364_1754:
	s_andn2_b64 vcc, exec, s[18:19]
	s_cbranch_vccnz .LBB364_1756
; %bb.1755:
	global_load_ushort v1, v[20:21], off
	s_mov_b32 s18, 0
	s_waitcnt vmcnt(1)
	v_mov_b32_e32 v11, s18
	s_waitcnt vmcnt(0)
	v_and_b32_e32 v10, 0xffff, v1
.LBB364_1756:
	s_mov_b64 s[18:19], 0
.LBB364_1757:
	s_andn2_b64 vcc, exec, s[18:19]
	s_cbranch_vccnz .LBB364_1765
; %bb.1758:
	global_load_ubyte v1, v[20:21], off
	s_movk_i32 s18, 0x7f
	s_mov_b64 s[20:21], 0
	s_waitcnt vmcnt(0)
	v_cmp_lt_i16_e32 vcc, s18, v1
	s_and_saveexec_b64 s[18:19], vcc
	s_xor_b64 s[18:19], exec, s[18:19]
; %bb.1759:
	s_movk_i32 s20, 0x80
	v_cmp_ne_u16_e32 vcc, s20, v1
	s_and_b64 s[20:21], vcc, exec
; %bb.1760:
	s_andn2_saveexec_b64 s[18:19], s[18:19]
; %bb.1761:
	v_cmp_ne_u16_e32 vcc, 0, v1
	s_andn2_b64 s[20:21], s[20:21], exec
	s_and_b64 s[26:27], vcc, exec
	s_or_b64 s[20:21], s[20:21], s[26:27]
; %bb.1762:
	s_or_b64 exec, exec, s[18:19]
	v_mov_b32_e32 v10, 0
	v_mov_b32_e32 v11, 0
	s_and_saveexec_b64 s[18:19], s[20:21]
	s_cbranch_execz .LBB364_1764
; %bb.1763:
	v_lshlrev_b32_e32 v3, 24, v1
	v_and_b32_e32 v1, 0xffff, v1
	v_and_b32_e32 v5, 7, v1
	v_ffbh_u32_e32 v11, v5
	v_min_u32_e32 v11, 32, v11
	v_subrev_u32_e32 v13, 28, v11
	v_bfe_u32 v10, v1, 3, 4
	v_lshlrev_b32_e32 v1, v13, v1
	v_sub_u32_e32 v11, 29, v11
	v_and_b32_e32 v1, 7, v1
	v_cmp_eq_u32_e32 vcc, 0, v10
	v_cndmask_b32_e32 v10, v10, v11, vcc
	v_cndmask_b32_e32 v1, v5, v1, vcc
	v_mov_b32_e32 v5, 0x3b800000
	v_lshlrev_b32_e32 v1, 20, v1
	v_and_b32_e32 v3, 0x80000000, v3
	v_lshl_add_u32 v5, v10, 23, v5
	v_or3_b32 v1, v3, v5, v1
	v_trunc_f32_e32 v1, v1
	v_mul_f32_e32 v3, 0x2f800000, v1
	v_floor_f32_e32 v3, v3
	v_fmac_f32_e32 v1, 0xcf800000, v3
	v_cvt_u32_f32_e32 v10, v1
	v_cvt_u32_f32_e32 v11, v3
.LBB364_1764:
	s_or_b64 exec, exec, s[18:19]
.LBB364_1765:
	s_mov_b64 s[18:19], -1
.LBB364_1766:
	s_branch .LBB364_1795
.LBB364_1767:
	s_cmp_gt_i32 s24, 22
	s_cbranch_scc0 .LBB364_1777
; %bb.1768:
	s_cmp_lt_i32 s24, 24
	s_cbranch_scc1 .LBB364_1778
; %bb.1769:
	s_cmp_gt_i32 s24, 24
	s_cbranch_scc0 .LBB364_1779
; %bb.1770:
	global_load_ubyte v1, v[20:21], off
	s_movk_i32 s16, 0x7f
	s_mov_b64 s[18:19], 0
	s_waitcnt vmcnt(0)
	v_cmp_lt_i16_e32 vcc, s16, v1
	s_and_saveexec_b64 s[16:17], vcc
	s_xor_b64 s[16:17], exec, s[16:17]
; %bb.1771:
	s_movk_i32 s18, 0x80
	v_cmp_ne_u16_e32 vcc, s18, v1
	s_and_b64 s[18:19], vcc, exec
; %bb.1772:
	s_andn2_saveexec_b64 s[16:17], s[16:17]
; %bb.1773:
	v_cmp_ne_u16_e32 vcc, 0, v1
	s_andn2_b64 s[18:19], s[18:19], exec
	s_and_b64 s[20:21], vcc, exec
	s_or_b64 s[18:19], s[18:19], s[20:21]
; %bb.1774:
	s_or_b64 exec, exec, s[16:17]
	v_mov_b32_e32 v10, 0
	v_mov_b32_e32 v11, 0
	s_and_saveexec_b64 s[16:17], s[18:19]
	s_cbranch_execz .LBB364_1776
; %bb.1775:
	v_lshlrev_b32_e32 v3, 24, v1
	v_and_b32_e32 v1, 0xffff, v1
	v_and_b32_e32 v5, 3, v1
	v_ffbh_u32_e32 v11, v5
	v_min_u32_e32 v11, 32, v11
	v_subrev_u32_e32 v13, 29, v11
	v_bfe_u32 v10, v1, 2, 5
	v_lshlrev_b32_e32 v1, v13, v1
	v_sub_u32_e32 v11, 30, v11
	v_and_b32_e32 v1, 3, v1
	v_cmp_eq_u32_e32 vcc, 0, v10
	v_cndmask_b32_e32 v10, v10, v11, vcc
	v_cndmask_b32_e32 v1, v5, v1, vcc
	v_mov_b32_e32 v5, 0x37800000
	v_lshlrev_b32_e32 v1, 21, v1
	v_and_b32_e32 v3, 0x80000000, v3
	v_lshl_add_u32 v5, v10, 23, v5
	v_or3_b32 v1, v3, v5, v1
	v_trunc_f32_e32 v1, v1
	v_mul_f32_e32 v3, 0x2f800000, v1
	v_floor_f32_e32 v3, v3
	v_fmac_f32_e32 v1, 0xcf800000, v3
	v_cvt_u32_f32_e32 v10, v1
	v_cvt_u32_f32_e32 v11, v3
.LBB364_1776:
	s_or_b64 exec, exec, s[16:17]
	s_mov_b64 s[16:17], 0
	s_branch .LBB364_1780
.LBB364_1777:
	s_mov_b64 s[16:17], -1
                                        ; implicit-def: $vgpr10_vgpr11
	s_branch .LBB364_1786
.LBB364_1778:
	s_mov_b64 s[16:17], -1
                                        ; implicit-def: $vgpr10_vgpr11
	s_branch .LBB364_1783
.LBB364_1779:
	s_mov_b64 s[16:17], -1
                                        ; implicit-def: $vgpr10_vgpr11
.LBB364_1780:
	s_and_b64 vcc, exec, s[16:17]
	s_cbranch_vccz .LBB364_1782
; %bb.1781:
	global_load_ubyte v1, v[20:21], off
	s_mov_b32 s16, 0x7f800000
	s_brev_b32 s17, 1
	s_waitcnt vmcnt(0)
	v_lshlrev_b32_e32 v1, 24, v1
	v_and_b32_e32 v3, 0x7f000000, v1
	v_ffbh_u32_e32 v5, v3
	v_min_u32_e32 v5, 32, v5
	v_sub_u32_e64 v5, v5, 4 clamp
	v_lshlrev_b32_e32 v11, v5, v3
	v_lshlrev_b32_e32 v5, 23, v5
	v_lshrrev_b32_e32 v11, 4, v11
	v_add_u32_e32 v10, 0x1000000, v3
	v_sub_u32_e32 v5, v11, v5
	v_ashrrev_i32_e32 v10, 8, v10
	v_add_u32_e32 v5, 0x3c000000, v5
	v_and_or_b32 v5, v10, s16, v5
	v_cmp_ne_u32_e32 vcc, 0, v3
	v_cndmask_b32_e32 v3, 0, v5, vcc
	v_and_or_b32 v1, v1, s17, v3
	v_trunc_f32_e32 v1, v1
	v_mul_f32_e32 v3, 0x2f800000, v1
	v_floor_f32_e32 v3, v3
	v_fmac_f32_e32 v1, 0xcf800000, v3
	v_cvt_u32_f32_e32 v10, v1
	v_cvt_u32_f32_e32 v11, v3
.LBB364_1782:
	s_mov_b64 s[16:17], 0
.LBB364_1783:
	s_andn2_b64 vcc, exec, s[16:17]
	s_cbranch_vccnz .LBB364_1785
; %bb.1784:
	global_load_ubyte v1, v[20:21], off
	s_movk_i32 s16, 0x7f00
	s_brev_b32 s17, 16
	s_brev_b32 s18, 1
	s_waitcnt vmcnt(0)
	v_lshlrev_b16_e32 v3, 8, v1
	v_lshlrev_b32_e32 v1, 25, v1
	v_lshrrev_b32_e32 v5, 4, v1
	v_and_or_b32 v10, v3, s16, 0.5
	v_or_b32_e32 v5, 0x70000000, v5
	v_add_f32_e32 v10, -0.5, v10
	v_mul_f32_e32 v5, 0x7800000, v5
	v_cmp_gt_u32_e32 vcc, s17, v1
	v_bfe_i32 v3, v3, 0, 16
	v_cndmask_b32_e32 v1, v5, v10, vcc
	v_and_or_b32 v1, v3, s18, v1
	v_trunc_f32_e32 v1, v1
	v_mul_f32_e32 v3, 0x2f800000, v1
	v_floor_f32_e32 v3, v3
	v_fmac_f32_e32 v1, 0xcf800000, v3
	v_cvt_u32_f32_e32 v10, v1
	v_cvt_u32_f32_e32 v11, v3
.LBB364_1785:
	s_mov_b64 s[16:17], 0
	s_mov_b64 s[18:19], -1
.LBB364_1786:
	s_andn2_b64 vcc, exec, s[16:17]
	s_mov_b64 s[16:17], 0
	s_cbranch_vccnz .LBB364_1795
; %bb.1787:
	s_cmp_gt_i32 s24, 14
	s_cbranch_scc0 .LBB364_1790
; %bb.1788:
	s_cmp_eq_u32 s24, 15
	s_cbranch_scc0 .LBB364_1791
; %bb.1789:
	global_load_ushort v1, v[20:21], off
	s_mov_b64 s[6:7], 0
	s_mov_b64 s[18:19], -1
	s_waitcnt vmcnt(0)
	v_lshlrev_b32_e32 v1, 16, v1
	v_trunc_f32_e32 v1, v1
	v_mul_f32_e32 v3, 0x2f800000, v1
	v_floor_f32_e32 v3, v3
	v_fmac_f32_e32 v1, 0xcf800000, v3
	v_cvt_u32_f32_e32 v10, v1
	v_cvt_u32_f32_e32 v11, v3
	s_branch .LBB364_1792
.LBB364_1790:
	s_mov_b64 s[20:21], -1
                                        ; implicit-def: $vgpr10_vgpr11
	s_branch .LBB364_1793
.LBB364_1791:
	s_mov_b64 s[6:7], -1
                                        ; implicit-def: $vgpr10_vgpr11
.LBB364_1792:
	s_mov_b64 s[20:21], 0
.LBB364_1793:
	s_and_b64 vcc, exec, s[20:21]
	s_cbranch_vccz .LBB364_1795
; %bb.1794:
	s_cmp_lg_u32 s24, 11
	s_mov_b64 s[16:17], -1
	s_cselect_b64 s[6:7], -1, 0
.LBB364_1795:
	s_and_b64 vcc, exec, s[6:7]
	s_cbranch_vccnz .LBB364_1858
; %bb.1796:
	s_andn2_b64 vcc, exec, s[16:17]
	s_cbranch_vccnz .LBB364_1798
.LBB364_1797:
	global_load_ubyte v1, v[20:21], off
	s_mov_b32 s6, 0
	s_waitcnt vmcnt(1)
	v_mov_b32_e32 v11, s6
	s_mov_b64 s[18:19], -1
	s_waitcnt vmcnt(0)
	v_cmp_ne_u16_e32 vcc, 0, v1
	v_cndmask_b32_e64 v10, 0, 1, vcc
.LBB364_1798:
	s_branch .LBB364_1729
.LBB364_1799:
	s_and_b32 s16, 0xffff, s22
	s_cmp_lt_i32 s16, 5
	s_cbranch_scc1 .LBB364_1804
; %bb.1800:
	s_cmp_lt_i32 s16, 8
	s_cbranch_scc1 .LBB364_1805
; %bb.1801:
	;; [unrolled: 3-line block ×3, first 2 shown]
	s_cmp_gt_i32 s16, 9
	s_cbranch_scc0 .LBB364_1807
; %bb.1803:
	global_load_dwordx2 v[10:11], v[20:21], off
	s_movk_i32 s6, 0xffe0
	s_waitcnt vmcnt(0)
	v_trunc_f64_e32 v[10:11], v[10:11]
	v_ldexp_f64 v[22:23], v[10:11], s6
	s_mov_b32 s6, 0
	s_mov_b32 s7, 0xc1f00000
	v_floor_f64_e32 v[22:23], v[22:23]
	v_fma_f64 v[24:25], v[22:23], s[6:7], v[10:11]
	v_cvt_u32_f64_e32 v11, v[22:23]
	s_mov_b64 s[6:7], 0
	v_cvt_u32_f64_e32 v10, v[24:25]
	s_branch .LBB364_1808
.LBB364_1804:
                                        ; implicit-def: $vgpr10_vgpr11
	s_branch .LBB364_1826
.LBB364_1805:
	s_mov_b64 s[6:7], -1
                                        ; implicit-def: $vgpr10_vgpr11
	s_branch .LBB364_1814
.LBB364_1806:
	s_mov_b64 s[6:7], -1
                                        ; implicit-def: $vgpr10_vgpr11
	s_branch .LBB364_1811
.LBB364_1807:
	s_mov_b64 s[6:7], -1
                                        ; implicit-def: $vgpr10_vgpr11
.LBB364_1808:
	s_andn2_b64 vcc, exec, s[6:7]
	s_cbranch_vccnz .LBB364_1810
; %bb.1809:
	global_load_dword v1, v[20:21], off
	s_waitcnt vmcnt(0)
	v_trunc_f32_e32 v1, v1
	v_mul_f32_e32 v3, 0x2f800000, v1
	v_floor_f32_e32 v3, v3
	v_fmac_f32_e32 v1, 0xcf800000, v3
	v_cvt_u32_f32_e32 v11, v3
	v_cvt_u32_f32_e32 v10, v1
.LBB364_1810:
	s_mov_b64 s[6:7], 0
.LBB364_1811:
	s_andn2_b64 vcc, exec, s[6:7]
	s_cbranch_vccnz .LBB364_1813
; %bb.1812:
	global_load_dword v1, v[20:21], off
	s_waitcnt vmcnt(1)
	v_mov_b32_e32 v11, 0
	s_waitcnt vmcnt(0)
	v_cvt_f32_f16_e32 v1, v1
	v_cvt_u32_f32_e32 v10, v1
.LBB364_1813:
	s_mov_b64 s[6:7], 0
.LBB364_1814:
	s_andn2_b64 vcc, exec, s[6:7]
	s_cbranch_vccnz .LBB364_1825
; %bb.1815:
	s_cmp_lt_i32 s16, 6
	s_cbranch_scc1 .LBB364_1818
; %bb.1816:
	s_cmp_gt_i32 s16, 6
	s_cbranch_scc0 .LBB364_1819
; %bb.1817:
	global_load_dwordx2 v[10:11], v[20:21], off
	s_movk_i32 s6, 0xffe0
	s_waitcnt vmcnt(0)
	v_trunc_f64_e32 v[10:11], v[10:11]
	v_ldexp_f64 v[22:23], v[10:11], s6
	s_mov_b32 s6, 0
	s_mov_b32 s7, 0xc1f00000
	v_floor_f64_e32 v[22:23], v[22:23]
	v_fma_f64 v[24:25], v[22:23], s[6:7], v[10:11]
	v_cvt_u32_f64_e32 v11, v[22:23]
	s_mov_b64 s[6:7], 0
	v_cvt_u32_f64_e32 v10, v[24:25]
	s_branch .LBB364_1820
.LBB364_1818:
	s_mov_b64 s[6:7], -1
                                        ; implicit-def: $vgpr10_vgpr11
	s_branch .LBB364_1823
.LBB364_1819:
	s_mov_b64 s[6:7], -1
                                        ; implicit-def: $vgpr10_vgpr11
.LBB364_1820:
	s_andn2_b64 vcc, exec, s[6:7]
	s_cbranch_vccnz .LBB364_1822
; %bb.1821:
	global_load_dword v1, v[20:21], off
	s_waitcnt vmcnt(0)
	v_trunc_f32_e32 v1, v1
	v_mul_f32_e32 v3, 0x2f800000, v1
	v_floor_f32_e32 v3, v3
	v_fmac_f32_e32 v1, 0xcf800000, v3
	v_cvt_u32_f32_e32 v11, v3
	v_cvt_u32_f32_e32 v10, v1
.LBB364_1822:
	s_mov_b64 s[6:7], 0
.LBB364_1823:
	s_andn2_b64 vcc, exec, s[6:7]
	s_cbranch_vccnz .LBB364_1825
; %bb.1824:
	global_load_ushort v1, v[20:21], off
	s_waitcnt vmcnt(1)
	v_mov_b32_e32 v11, 0
	s_waitcnt vmcnt(0)
	v_cvt_f32_f16_e32 v1, v1
	v_cvt_u32_f32_e32 v10, v1
.LBB364_1825:
	s_cbranch_execnz .LBB364_1845
.LBB364_1826:
	s_cmp_lt_i32 s16, 2
	s_cbranch_scc1 .LBB364_1830
; %bb.1827:
	s_cmp_lt_i32 s16, 3
	s_cbranch_scc1 .LBB364_1831
; %bb.1828:
	s_cmp_gt_i32 s16, 3
	s_cbranch_scc0 .LBB364_1832
; %bb.1829:
	global_load_dwordx2 v[10:11], v[20:21], off
	s_mov_b64 s[6:7], 0
	s_branch .LBB364_1833
.LBB364_1830:
	s_mov_b64 s[6:7], -1
                                        ; implicit-def: $vgpr10_vgpr11
	s_branch .LBB364_1839
.LBB364_1831:
	s_mov_b64 s[6:7], -1
                                        ; implicit-def: $vgpr10_vgpr11
	s_branch .LBB364_1836
.LBB364_1832:
	s_mov_b64 s[6:7], -1
                                        ; implicit-def: $vgpr10_vgpr11
.LBB364_1833:
	s_andn2_b64 vcc, exec, s[6:7]
	s_cbranch_vccnz .LBB364_1835
; %bb.1834:
	global_load_dword v10, v[20:21], off
	s_waitcnt vmcnt(0)
	v_ashrrev_i32_e32 v11, 31, v10
.LBB364_1835:
	s_mov_b64 s[6:7], 0
.LBB364_1836:
	s_andn2_b64 vcc, exec, s[6:7]
	s_cbranch_vccnz .LBB364_1838
; %bb.1837:
	global_load_ushort v1, v[20:21], off
	s_waitcnt vmcnt(0)
	v_bfe_i32 v10, v1, 0, 16
	v_ashrrev_i32_e32 v11, 31, v10
.LBB364_1838:
	s_mov_b64 s[6:7], 0
.LBB364_1839:
	s_andn2_b64 vcc, exec, s[6:7]
	s_cbranch_vccnz .LBB364_1845
; %bb.1840:
	s_cmp_gt_i32 s16, 0
	s_cbranch_scc0 .LBB364_1842
; %bb.1841:
	global_load_sbyte v1, v[20:21], off
	s_mov_b64 s[6:7], 0
	s_waitcnt vmcnt(0)
	v_bfe_i32 v10, v1, 0, 16
	v_ashrrev_i32_e32 v11, 31, v10
	s_branch .LBB364_1843
.LBB364_1842:
	s_mov_b64 s[6:7], -1
                                        ; implicit-def: $vgpr10_vgpr11
.LBB364_1843:
	s_andn2_b64 vcc, exec, s[6:7]
	s_cbranch_vccnz .LBB364_1845
; %bb.1844:
	global_load_ubyte v1, v[20:21], off
	s_mov_b32 s6, 0
	s_waitcnt vmcnt(1)
	v_mov_b32_e32 v11, s6
	s_waitcnt vmcnt(0)
	v_and_b32_e32 v10, 0xffff, v1
.LBB364_1845:
.LBB364_1846:
	s_lshr_b32 s6, s23, 8
	v_mov_b32_e32 v1, s11
	s_and_b32 s22, s6, 0xff
	v_add_co_u32_e32 v20, vcc, s10, v12
	s_cmp_lt_i32 s22, 11
	v_addc_co_u32_e32 v21, vcc, 0, v1, vcc
	s_cbranch_scc1 .LBB364_1853
; %bb.1847:
	s_and_b32 s24, 0xffff, s22
	s_cmp_gt_i32 s24, 25
	s_mov_b64 s[16:17], 0
	s_cbranch_scc0 .LBB364_1855
; %bb.1848:
	s_cmp_gt_i32 s24, 28
	s_cbranch_scc0 .LBB364_1856
; %bb.1849:
	s_cmp_gt_i32 s24, 43
	s_cbranch_scc0 .LBB364_1857
; %bb.1850:
	s_cmp_gt_i32 s24, 45
	s_cbranch_scc0 .LBB364_1859
; %bb.1851:
	s_cmp_eq_u32 s24, 46
	s_mov_b64 s[20:21], 0
	s_cbranch_scc0 .LBB364_1860
; %bb.1852:
	global_load_dword v1, v[20:21], off
	s_mov_b64 s[6:7], 0
	s_mov_b64 s[18:19], -1
	s_waitcnt vmcnt(0)
	v_lshlrev_b32_e32 v1, 16, v1
	v_trunc_f32_e32 v1, v1
	v_mul_f32_e32 v3, 0x2f800000, v1
	v_floor_f32_e32 v3, v3
	v_fmac_f32_e32 v1, 0xcf800000, v3
	v_cvt_u32_f32_e32 v12, v1
	v_cvt_u32_f32_e32 v13, v3
	s_branch .LBB364_1861
.LBB364_1853:
	s_mov_b64 s[18:19], 0
                                        ; implicit-def: $vgpr12_vgpr13
	s_cbranch_execnz .LBB364_1923
.LBB364_1854:
	s_andn2_b64 vcc, exec, s[18:19]
	s_cbranch_vccnz .LBB364_3036
	s_branch .LBB364_1971
.LBB364_1855:
	s_mov_b64 s[20:21], -1
	s_mov_b64 s[18:19], 0
	s_mov_b64 s[6:7], 0
                                        ; implicit-def: $vgpr12_vgpr13
	s_branch .LBB364_1890
.LBB364_1856:
	s_mov_b64 s[20:21], -1
	s_mov_b64 s[18:19], 0
	s_mov_b64 s[6:7], 0
                                        ; implicit-def: $vgpr12_vgpr13
	s_branch .LBB364_1871
.LBB364_1857:
	s_mov_b64 s[20:21], -1
	s_mov_b64 s[18:19], 0
	s_mov_b64 s[6:7], 0
                                        ; implicit-def: $vgpr12_vgpr13
	s_branch .LBB364_1866
.LBB364_1858:
	s_trap 2
	s_or_b64 s[4:5], s[4:5], exec
	s_cbranch_execz .LBB364_1797
	s_branch .LBB364_1798
.LBB364_1859:
	s_mov_b64 s[20:21], -1
	s_mov_b64 s[18:19], 0
	s_mov_b64 s[6:7], 0
                                        ; implicit-def: $vgpr12_vgpr13
	s_branch .LBB364_1861
.LBB364_1860:
	s_mov_b64 s[6:7], -1
                                        ; implicit-def: $vgpr12_vgpr13
	s_mov_b64 s[18:19], 0
.LBB364_1861:
	s_and_b64 vcc, exec, s[20:21]
	s_cbranch_vccz .LBB364_1865
; %bb.1862:
	s_cmp_eq_u32 s24, 44
	s_cbranch_scc0 .LBB364_1864
; %bb.1863:
	global_load_ubyte v1, v[20:21], off
	s_mov_b64 s[6:7], 0
	s_mov_b64 s[18:19], -1
	s_waitcnt vmcnt(0)
	v_lshlrev_b32_e32 v3, 23, v1
	v_trunc_f32_e32 v3, v3
	v_mul_f32_e32 v5, 0x2f800000, v3
	v_floor_f32_e32 v5, v5
	v_fmac_f32_e32 v3, 0xcf800000, v5
	v_cvt_u32_f32_e32 v5, v5
	v_cvt_u32_f32_e32 v3, v3
	v_cmp_ne_u32_e32 vcc, 0, v1
	v_cndmask_b32_e32 v13, 0, v5, vcc
	v_cndmask_b32_e32 v12, 0, v3, vcc
	s_branch .LBB364_1865
.LBB364_1864:
	s_mov_b64 s[6:7], -1
                                        ; implicit-def: $vgpr12_vgpr13
.LBB364_1865:
	s_mov_b64 s[20:21], 0
.LBB364_1866:
	s_and_b64 vcc, exec, s[20:21]
	s_cbranch_vccz .LBB364_1870
; %bb.1867:
	s_cmp_eq_u32 s24, 29
	s_cbranch_scc0 .LBB364_1869
; %bb.1868:
	global_load_dwordx2 v[12:13], v[20:21], off
	s_mov_b64 s[6:7], 0
	s_mov_b64 s[18:19], -1
	s_branch .LBB364_1870
.LBB364_1869:
	s_mov_b64 s[6:7], -1
                                        ; implicit-def: $vgpr12_vgpr13
.LBB364_1870:
	s_mov_b64 s[20:21], 0
.LBB364_1871:
	s_and_b64 vcc, exec, s[20:21]
	s_cbranch_vccz .LBB364_1889
; %bb.1872:
	s_cmp_lt_i32 s24, 27
	s_cbranch_scc1 .LBB364_1875
; %bb.1873:
	s_cmp_gt_i32 s24, 27
	s_cbranch_scc0 .LBB364_1876
; %bb.1874:
	global_load_dword v12, v[20:21], off
	s_waitcnt vmcnt(1)
	v_mov_b32_e32 v13, 0
	s_mov_b64 s[18:19], 0
	s_branch .LBB364_1877
.LBB364_1875:
	s_mov_b64 s[18:19], -1
                                        ; implicit-def: $vgpr12_vgpr13
	s_branch .LBB364_1880
.LBB364_1876:
	s_mov_b64 s[18:19], -1
                                        ; implicit-def: $vgpr12_vgpr13
.LBB364_1877:
	s_andn2_b64 vcc, exec, s[18:19]
	s_cbranch_vccnz .LBB364_1879
; %bb.1878:
	global_load_ushort v1, v[20:21], off
	s_mov_b32 s18, 0
	s_waitcnt vmcnt(1)
	v_mov_b32_e32 v13, s18
	s_waitcnt vmcnt(0)
	v_and_b32_e32 v12, 0xffff, v1
.LBB364_1879:
	s_mov_b64 s[18:19], 0
.LBB364_1880:
	s_andn2_b64 vcc, exec, s[18:19]
	s_cbranch_vccnz .LBB364_1888
; %bb.1881:
	global_load_ubyte v1, v[20:21], off
	s_movk_i32 s18, 0x7f
	s_mov_b64 s[20:21], 0
	s_waitcnt vmcnt(0)
	v_cmp_lt_i16_e32 vcc, s18, v1
	s_and_saveexec_b64 s[18:19], vcc
	s_xor_b64 s[18:19], exec, s[18:19]
; %bb.1882:
	s_movk_i32 s20, 0x80
	v_cmp_ne_u16_e32 vcc, s20, v1
	s_and_b64 s[20:21], vcc, exec
; %bb.1883:
	s_andn2_saveexec_b64 s[18:19], s[18:19]
; %bb.1884:
	v_cmp_ne_u16_e32 vcc, 0, v1
	s_andn2_b64 s[20:21], s[20:21], exec
	s_and_b64 s[26:27], vcc, exec
	s_or_b64 s[20:21], s[20:21], s[26:27]
; %bb.1885:
	s_or_b64 exec, exec, s[18:19]
	v_mov_b32_e32 v12, 0
	v_mov_b32_e32 v13, 0
	s_and_saveexec_b64 s[18:19], s[20:21]
	s_cbranch_execz .LBB364_1887
; %bb.1886:
	v_lshlrev_b32_e32 v3, 24, v1
	v_and_b32_e32 v1, 0xffff, v1
	v_and_b32_e32 v5, 7, v1
	v_ffbh_u32_e32 v13, v5
	v_min_u32_e32 v13, 32, v13
	v_subrev_u32_e32 v15, 28, v13
	v_bfe_u32 v12, v1, 3, 4
	v_lshlrev_b32_e32 v1, v15, v1
	v_sub_u32_e32 v13, 29, v13
	v_and_b32_e32 v1, 7, v1
	v_cmp_eq_u32_e32 vcc, 0, v12
	v_cndmask_b32_e32 v12, v12, v13, vcc
	v_cndmask_b32_e32 v1, v5, v1, vcc
	v_mov_b32_e32 v5, 0x3b800000
	v_lshlrev_b32_e32 v1, 20, v1
	v_and_b32_e32 v3, 0x80000000, v3
	v_lshl_add_u32 v5, v12, 23, v5
	v_or3_b32 v1, v3, v5, v1
	v_trunc_f32_e32 v1, v1
	v_mul_f32_e32 v3, 0x2f800000, v1
	v_floor_f32_e32 v3, v3
	v_fmac_f32_e32 v1, 0xcf800000, v3
	v_cvt_u32_f32_e32 v12, v1
	v_cvt_u32_f32_e32 v13, v3
.LBB364_1887:
	s_or_b64 exec, exec, s[18:19]
.LBB364_1888:
	s_mov_b64 s[18:19], -1
.LBB364_1889:
	s_mov_b64 s[20:21], 0
.LBB364_1890:
	s_and_b64 vcc, exec, s[20:21]
	s_cbranch_vccz .LBB364_1919
; %bb.1891:
	s_cmp_gt_i32 s24, 22
	s_cbranch_scc0 .LBB364_1901
; %bb.1892:
	s_cmp_lt_i32 s24, 24
	s_cbranch_scc1 .LBB364_1902
; %bb.1893:
	s_cmp_gt_i32 s24, 24
	s_cbranch_scc0 .LBB364_1903
; %bb.1894:
	global_load_ubyte v1, v[20:21], off
	s_movk_i32 s16, 0x7f
	s_mov_b64 s[18:19], 0
	s_waitcnt vmcnt(0)
	v_cmp_lt_i16_e32 vcc, s16, v1
	s_and_saveexec_b64 s[16:17], vcc
	s_xor_b64 s[16:17], exec, s[16:17]
; %bb.1895:
	s_movk_i32 s18, 0x80
	v_cmp_ne_u16_e32 vcc, s18, v1
	s_and_b64 s[18:19], vcc, exec
; %bb.1896:
	s_andn2_saveexec_b64 s[16:17], s[16:17]
; %bb.1897:
	v_cmp_ne_u16_e32 vcc, 0, v1
	s_andn2_b64 s[18:19], s[18:19], exec
	s_and_b64 s[20:21], vcc, exec
	s_or_b64 s[18:19], s[18:19], s[20:21]
; %bb.1898:
	s_or_b64 exec, exec, s[16:17]
	v_mov_b32_e32 v12, 0
	v_mov_b32_e32 v13, 0
	s_and_saveexec_b64 s[16:17], s[18:19]
	s_cbranch_execz .LBB364_1900
; %bb.1899:
	v_lshlrev_b32_e32 v3, 24, v1
	v_and_b32_e32 v1, 0xffff, v1
	v_and_b32_e32 v5, 3, v1
	v_ffbh_u32_e32 v13, v5
	v_min_u32_e32 v13, 32, v13
	v_subrev_u32_e32 v15, 29, v13
	v_bfe_u32 v12, v1, 2, 5
	v_lshlrev_b32_e32 v1, v15, v1
	v_sub_u32_e32 v13, 30, v13
	v_and_b32_e32 v1, 3, v1
	v_cmp_eq_u32_e32 vcc, 0, v12
	v_cndmask_b32_e32 v12, v12, v13, vcc
	v_cndmask_b32_e32 v1, v5, v1, vcc
	v_mov_b32_e32 v5, 0x37800000
	v_lshlrev_b32_e32 v1, 21, v1
	v_and_b32_e32 v3, 0x80000000, v3
	v_lshl_add_u32 v5, v12, 23, v5
	v_or3_b32 v1, v3, v5, v1
	v_trunc_f32_e32 v1, v1
	v_mul_f32_e32 v3, 0x2f800000, v1
	v_floor_f32_e32 v3, v3
	v_fmac_f32_e32 v1, 0xcf800000, v3
	v_cvt_u32_f32_e32 v12, v1
	v_cvt_u32_f32_e32 v13, v3
.LBB364_1900:
	s_or_b64 exec, exec, s[16:17]
	s_mov_b64 s[16:17], 0
	s_branch .LBB364_1904
.LBB364_1901:
	s_mov_b64 s[16:17], -1
                                        ; implicit-def: $vgpr12_vgpr13
	s_branch .LBB364_1910
.LBB364_1902:
	s_mov_b64 s[16:17], -1
                                        ; implicit-def: $vgpr12_vgpr13
	s_branch .LBB364_1907
.LBB364_1903:
	s_mov_b64 s[16:17], -1
                                        ; implicit-def: $vgpr12_vgpr13
.LBB364_1904:
	s_and_b64 vcc, exec, s[16:17]
	s_cbranch_vccz .LBB364_1906
; %bb.1905:
	global_load_ubyte v1, v[20:21], off
	s_mov_b32 s16, 0x7f800000
	s_brev_b32 s17, 1
	s_waitcnt vmcnt(0)
	v_lshlrev_b32_e32 v1, 24, v1
	v_and_b32_e32 v3, 0x7f000000, v1
	v_ffbh_u32_e32 v5, v3
	v_min_u32_e32 v5, 32, v5
	v_sub_u32_e64 v5, v5, 4 clamp
	v_lshlrev_b32_e32 v13, v5, v3
	v_lshlrev_b32_e32 v5, 23, v5
	v_lshrrev_b32_e32 v13, 4, v13
	v_add_u32_e32 v12, 0x1000000, v3
	v_sub_u32_e32 v5, v13, v5
	v_ashrrev_i32_e32 v12, 8, v12
	v_add_u32_e32 v5, 0x3c000000, v5
	v_and_or_b32 v5, v12, s16, v5
	v_cmp_ne_u32_e32 vcc, 0, v3
	v_cndmask_b32_e32 v3, 0, v5, vcc
	v_and_or_b32 v1, v1, s17, v3
	v_trunc_f32_e32 v1, v1
	v_mul_f32_e32 v3, 0x2f800000, v1
	v_floor_f32_e32 v3, v3
	v_fmac_f32_e32 v1, 0xcf800000, v3
	v_cvt_u32_f32_e32 v12, v1
	v_cvt_u32_f32_e32 v13, v3
.LBB364_1906:
	s_mov_b64 s[16:17], 0
.LBB364_1907:
	s_andn2_b64 vcc, exec, s[16:17]
	s_cbranch_vccnz .LBB364_1909
; %bb.1908:
	global_load_ubyte v1, v[20:21], off
	s_movk_i32 s16, 0x7f00
	s_brev_b32 s17, 16
	s_brev_b32 s18, 1
	s_waitcnt vmcnt(0)
	v_lshlrev_b16_e32 v3, 8, v1
	v_lshlrev_b32_e32 v1, 25, v1
	v_lshrrev_b32_e32 v5, 4, v1
	v_and_or_b32 v12, v3, s16, 0.5
	v_or_b32_e32 v5, 0x70000000, v5
	v_add_f32_e32 v12, -0.5, v12
	v_mul_f32_e32 v5, 0x7800000, v5
	v_cmp_gt_u32_e32 vcc, s17, v1
	v_bfe_i32 v3, v3, 0, 16
	v_cndmask_b32_e32 v1, v5, v12, vcc
	v_and_or_b32 v1, v3, s18, v1
	v_trunc_f32_e32 v1, v1
	v_mul_f32_e32 v3, 0x2f800000, v1
	v_floor_f32_e32 v3, v3
	v_fmac_f32_e32 v1, 0xcf800000, v3
	v_cvt_u32_f32_e32 v12, v1
	v_cvt_u32_f32_e32 v13, v3
.LBB364_1909:
	s_mov_b64 s[16:17], 0
	s_mov_b64 s[18:19], -1
.LBB364_1910:
	s_andn2_b64 vcc, exec, s[16:17]
	s_mov_b64 s[16:17], 0
	s_cbranch_vccnz .LBB364_1919
; %bb.1911:
	s_cmp_gt_i32 s24, 14
	s_cbranch_scc0 .LBB364_1914
; %bb.1912:
	s_cmp_eq_u32 s24, 15
	s_cbranch_scc0 .LBB364_1915
; %bb.1913:
	global_load_ushort v1, v[20:21], off
	s_mov_b64 s[6:7], 0
	s_mov_b64 s[18:19], -1
	s_waitcnt vmcnt(0)
	v_lshlrev_b32_e32 v1, 16, v1
	v_trunc_f32_e32 v1, v1
	v_mul_f32_e32 v3, 0x2f800000, v1
	v_floor_f32_e32 v3, v3
	v_fmac_f32_e32 v1, 0xcf800000, v3
	v_cvt_u32_f32_e32 v12, v1
	v_cvt_u32_f32_e32 v13, v3
	s_branch .LBB364_1916
.LBB364_1914:
	s_mov_b64 s[20:21], -1
                                        ; implicit-def: $vgpr12_vgpr13
	s_branch .LBB364_1917
.LBB364_1915:
	s_mov_b64 s[6:7], -1
                                        ; implicit-def: $vgpr12_vgpr13
.LBB364_1916:
	s_mov_b64 s[20:21], 0
.LBB364_1917:
	s_and_b64 vcc, exec, s[20:21]
	s_cbranch_vccz .LBB364_1919
; %bb.1918:
	s_cmp_lg_u32 s24, 11
	s_mov_b64 s[16:17], -1
	s_cselect_b64 s[6:7], -1, 0
.LBB364_1919:
	s_and_b64 vcc, exec, s[6:7]
	s_cbranch_vccnz .LBB364_1982
; %bb.1920:
	s_andn2_b64 vcc, exec, s[16:17]
	s_cbranch_vccnz .LBB364_1922
.LBB364_1921:
	global_load_ubyte v1, v[20:21], off
	s_mov_b32 s6, 0
	s_waitcnt vmcnt(1)
	v_mov_b32_e32 v13, s6
	s_mov_b64 s[18:19], -1
	s_waitcnt vmcnt(0)
	v_cmp_ne_u16_e32 vcc, 0, v1
	v_cndmask_b32_e64 v12, 0, 1, vcc
.LBB364_1922:
	s_branch .LBB364_1854
.LBB364_1923:
	s_and_b32 s16, 0xffff, s22
	s_cmp_lt_i32 s16, 5
	s_cbranch_scc1 .LBB364_1928
; %bb.1924:
	s_cmp_lt_i32 s16, 8
	s_cbranch_scc1 .LBB364_1929
; %bb.1925:
	s_cmp_lt_i32 s16, 9
	s_cbranch_scc1 .LBB364_1930
; %bb.1926:
	s_cmp_gt_i32 s16, 9
	s_cbranch_scc0 .LBB364_1931
; %bb.1927:
	global_load_dwordx2 v[12:13], v[20:21], off
	s_movk_i32 s6, 0xffe0
	s_waitcnt vmcnt(0)
	v_trunc_f64_e32 v[12:13], v[12:13]
	v_ldexp_f64 v[22:23], v[12:13], s6
	s_mov_b32 s6, 0
	s_mov_b32 s7, 0xc1f00000
	v_floor_f64_e32 v[22:23], v[22:23]
	v_fma_f64 v[24:25], v[22:23], s[6:7], v[12:13]
	v_cvt_u32_f64_e32 v13, v[22:23]
	s_mov_b64 s[6:7], 0
	v_cvt_u32_f64_e32 v12, v[24:25]
	s_branch .LBB364_1932
.LBB364_1928:
	s_mov_b64 s[6:7], -1
                                        ; implicit-def: $vgpr12_vgpr13
	s_branch .LBB364_1950
.LBB364_1929:
	s_mov_b64 s[6:7], -1
                                        ; implicit-def: $vgpr12_vgpr13
	s_branch .LBB364_1938
.LBB364_1930:
	s_mov_b64 s[6:7], -1
                                        ; implicit-def: $vgpr12_vgpr13
	s_branch .LBB364_1935
.LBB364_1931:
	s_mov_b64 s[6:7], -1
                                        ; implicit-def: $vgpr12_vgpr13
.LBB364_1932:
	s_andn2_b64 vcc, exec, s[6:7]
	s_cbranch_vccnz .LBB364_1934
; %bb.1933:
	global_load_dword v1, v[20:21], off
	s_waitcnt vmcnt(0)
	v_trunc_f32_e32 v1, v1
	v_mul_f32_e32 v3, 0x2f800000, v1
	v_floor_f32_e32 v3, v3
	v_fmac_f32_e32 v1, 0xcf800000, v3
	v_cvt_u32_f32_e32 v13, v3
	v_cvt_u32_f32_e32 v12, v1
.LBB364_1934:
	s_mov_b64 s[6:7], 0
.LBB364_1935:
	s_andn2_b64 vcc, exec, s[6:7]
	s_cbranch_vccnz .LBB364_1937
; %bb.1936:
	global_load_dword v1, v[20:21], off
	s_waitcnt vmcnt(1)
	v_mov_b32_e32 v13, 0
	s_waitcnt vmcnt(0)
	v_cvt_f32_f16_e32 v1, v1
	v_cvt_u32_f32_e32 v12, v1
.LBB364_1937:
	s_mov_b64 s[6:7], 0
.LBB364_1938:
	s_andn2_b64 vcc, exec, s[6:7]
	s_cbranch_vccnz .LBB364_1949
; %bb.1939:
	s_cmp_lt_i32 s16, 6
	s_cbranch_scc1 .LBB364_1942
; %bb.1940:
	s_cmp_gt_i32 s16, 6
	s_cbranch_scc0 .LBB364_1943
; %bb.1941:
	global_load_dwordx2 v[12:13], v[20:21], off
	s_movk_i32 s6, 0xffe0
	s_waitcnt vmcnt(0)
	v_trunc_f64_e32 v[12:13], v[12:13]
	v_ldexp_f64 v[22:23], v[12:13], s6
	s_mov_b32 s6, 0
	s_mov_b32 s7, 0xc1f00000
	v_floor_f64_e32 v[22:23], v[22:23]
	v_fma_f64 v[24:25], v[22:23], s[6:7], v[12:13]
	v_cvt_u32_f64_e32 v13, v[22:23]
	s_mov_b64 s[6:7], 0
	v_cvt_u32_f64_e32 v12, v[24:25]
	s_branch .LBB364_1944
.LBB364_1942:
	s_mov_b64 s[6:7], -1
                                        ; implicit-def: $vgpr12_vgpr13
	s_branch .LBB364_1947
.LBB364_1943:
	s_mov_b64 s[6:7], -1
                                        ; implicit-def: $vgpr12_vgpr13
.LBB364_1944:
	s_andn2_b64 vcc, exec, s[6:7]
	s_cbranch_vccnz .LBB364_1946
; %bb.1945:
	global_load_dword v1, v[20:21], off
	s_waitcnt vmcnt(0)
	v_trunc_f32_e32 v1, v1
	v_mul_f32_e32 v3, 0x2f800000, v1
	v_floor_f32_e32 v3, v3
	v_fmac_f32_e32 v1, 0xcf800000, v3
	v_cvt_u32_f32_e32 v13, v3
	v_cvt_u32_f32_e32 v12, v1
.LBB364_1946:
	s_mov_b64 s[6:7], 0
.LBB364_1947:
	s_andn2_b64 vcc, exec, s[6:7]
	s_cbranch_vccnz .LBB364_1949
; %bb.1948:
	global_load_ushort v1, v[20:21], off
	s_waitcnt vmcnt(1)
	v_mov_b32_e32 v13, 0
	s_waitcnt vmcnt(0)
	v_cvt_f32_f16_e32 v1, v1
	v_cvt_u32_f32_e32 v12, v1
.LBB364_1949:
	s_mov_b64 s[6:7], 0
.LBB364_1950:
	s_andn2_b64 vcc, exec, s[6:7]
	s_cbranch_vccnz .LBB364_1970
; %bb.1951:
	s_cmp_lt_i32 s16, 2
	s_cbranch_scc1 .LBB364_1955
; %bb.1952:
	s_cmp_lt_i32 s16, 3
	s_cbranch_scc1 .LBB364_1956
; %bb.1953:
	s_cmp_gt_i32 s16, 3
	s_cbranch_scc0 .LBB364_1957
; %bb.1954:
	global_load_dwordx2 v[12:13], v[20:21], off
	s_mov_b64 s[6:7], 0
	s_branch .LBB364_1958
.LBB364_1955:
	s_mov_b64 s[6:7], -1
                                        ; implicit-def: $vgpr12_vgpr13
	s_branch .LBB364_1964
.LBB364_1956:
	s_mov_b64 s[6:7], -1
                                        ; implicit-def: $vgpr12_vgpr13
	s_branch .LBB364_1961
.LBB364_1957:
	s_mov_b64 s[6:7], -1
                                        ; implicit-def: $vgpr12_vgpr13
.LBB364_1958:
	s_andn2_b64 vcc, exec, s[6:7]
	s_cbranch_vccnz .LBB364_1960
; %bb.1959:
	global_load_dword v12, v[20:21], off
	s_waitcnt vmcnt(0)
	v_ashrrev_i32_e32 v13, 31, v12
.LBB364_1960:
	s_mov_b64 s[6:7], 0
.LBB364_1961:
	s_andn2_b64 vcc, exec, s[6:7]
	s_cbranch_vccnz .LBB364_1963
; %bb.1962:
	global_load_ushort v1, v[20:21], off
	s_waitcnt vmcnt(0)
	v_bfe_i32 v12, v1, 0, 16
	v_ashrrev_i32_e32 v13, 31, v12
.LBB364_1963:
	s_mov_b64 s[6:7], 0
.LBB364_1964:
	s_andn2_b64 vcc, exec, s[6:7]
	s_cbranch_vccnz .LBB364_1970
; %bb.1965:
	s_cmp_gt_i32 s16, 0
	s_cbranch_scc0 .LBB364_1967
; %bb.1966:
	global_load_sbyte v1, v[20:21], off
	s_mov_b64 s[6:7], 0
	s_waitcnt vmcnt(0)
	v_bfe_i32 v12, v1, 0, 16
	v_ashrrev_i32_e32 v13, 31, v12
	s_branch .LBB364_1968
.LBB364_1967:
	s_mov_b64 s[6:7], -1
                                        ; implicit-def: $vgpr12_vgpr13
.LBB364_1968:
	s_andn2_b64 vcc, exec, s[6:7]
	s_cbranch_vccnz .LBB364_1970
; %bb.1969:
	global_load_ubyte v1, v[20:21], off
	s_mov_b32 s6, 0
	s_waitcnt vmcnt(1)
	v_mov_b32_e32 v13, s6
	s_waitcnt vmcnt(0)
	v_and_b32_e32 v12, 0xffff, v1
.LBB364_1970:
.LBB364_1971:
	s_lshr_b32 s6, s23, 16
	v_mov_b32_e32 v1, s1
	s_and_b32 s23, s6, 0xff
	v_add_co_u32_e32 v20, vcc, s0, v16
	s_cmp_lt_i32 s23, 11
	v_addc_co_u32_e32 v21, vcc, 0, v1, vcc
	s_cbranch_scc1 .LBB364_1978
; %bb.1972:
	s_and_b32 s24, 0xffff, s23
	s_cmp_gt_i32 s24, 25
	s_mov_b64 s[16:17], 0
	s_cbranch_scc0 .LBB364_1979
; %bb.1973:
	s_cmp_gt_i32 s24, 28
	s_cbranch_scc0 .LBB364_1980
; %bb.1974:
	s_cmp_gt_i32 s24, 43
	;; [unrolled: 3-line block ×3, first 2 shown]
	s_cbranch_scc0 .LBB364_1983
; %bb.1976:
	s_cmp_eq_u32 s24, 46
	s_mov_b64 s[20:21], 0
	s_cbranch_scc0 .LBB364_1984
; %bb.1977:
	global_load_dword v1, v[20:21], off
	s_mov_b64 s[6:7], 0
	s_mov_b64 s[18:19], -1
	s_waitcnt vmcnt(0)
	v_lshlrev_b32_e32 v1, 16, v1
	v_trunc_f32_e32 v1, v1
	v_mul_f32_e32 v3, 0x2f800000, v1
	v_floor_f32_e32 v3, v3
	v_fmac_f32_e32 v1, 0xcf800000, v3
	v_cvt_u32_f32_e32 v15, v1
	v_cvt_u32_f32_e32 v16, v3
	s_branch .LBB364_1985
.LBB364_1978:
	s_mov_b64 s[6:7], -1
	s_mov_b64 s[18:19], 0
                                        ; implicit-def: $vgpr15_vgpr16
	s_branch .LBB364_2047
.LBB364_1979:
	s_mov_b64 s[20:21], -1
	s_mov_b64 s[18:19], 0
	s_mov_b64 s[6:7], 0
                                        ; implicit-def: $vgpr15_vgpr16
	s_branch .LBB364_2014
.LBB364_1980:
	s_mov_b64 s[20:21], -1
	s_mov_b64 s[18:19], 0
	s_mov_b64 s[6:7], 0
                                        ; implicit-def: $vgpr15_vgpr16
	s_branch .LBB364_1995
.LBB364_1981:
	s_mov_b64 s[20:21], -1
	s_mov_b64 s[18:19], 0
	s_mov_b64 s[6:7], 0
                                        ; implicit-def: $vgpr15_vgpr16
	s_branch .LBB364_1990
.LBB364_1982:
	s_trap 2
	s_or_b64 s[4:5], s[4:5], exec
	s_cbranch_execz .LBB364_1921
	s_branch .LBB364_1922
.LBB364_1983:
	s_mov_b64 s[20:21], -1
	s_mov_b64 s[18:19], 0
	s_mov_b64 s[6:7], 0
                                        ; implicit-def: $vgpr15_vgpr16
	s_branch .LBB364_1985
.LBB364_1984:
	s_mov_b64 s[6:7], -1
                                        ; implicit-def: $vgpr15_vgpr16
	s_mov_b64 s[18:19], 0
.LBB364_1985:
	s_and_b64 vcc, exec, s[20:21]
	s_cbranch_vccz .LBB364_1989
; %bb.1986:
	s_cmp_eq_u32 s24, 44
	s_cbranch_scc0 .LBB364_1988
; %bb.1987:
	global_load_ubyte v1, v[20:21], off
	s_mov_b64 s[6:7], 0
	s_mov_b64 s[18:19], -1
	s_waitcnt vmcnt(0)
	v_lshlrev_b32_e32 v3, 23, v1
	v_trunc_f32_e32 v3, v3
	v_mul_f32_e32 v5, 0x2f800000, v3
	v_floor_f32_e32 v5, v5
	v_fmac_f32_e32 v3, 0xcf800000, v5
	v_cvt_u32_f32_e32 v5, v5
	v_cvt_u32_f32_e32 v3, v3
	v_cmp_ne_u32_e32 vcc, 0, v1
	v_cndmask_b32_e32 v16, 0, v5, vcc
	v_cndmask_b32_e32 v15, 0, v3, vcc
	s_branch .LBB364_1989
.LBB364_1988:
	s_mov_b64 s[6:7], -1
                                        ; implicit-def: $vgpr15_vgpr16
.LBB364_1989:
	s_mov_b64 s[20:21], 0
.LBB364_1990:
	s_and_b64 vcc, exec, s[20:21]
	s_cbranch_vccz .LBB364_1994
; %bb.1991:
	s_cmp_eq_u32 s24, 29
	s_cbranch_scc0 .LBB364_1993
; %bb.1992:
	global_load_dwordx2 v[15:16], v[20:21], off
	s_mov_b64 s[6:7], 0
	s_mov_b64 s[18:19], -1
	s_branch .LBB364_1994
.LBB364_1993:
	s_mov_b64 s[6:7], -1
                                        ; implicit-def: $vgpr15_vgpr16
.LBB364_1994:
	s_mov_b64 s[20:21], 0
.LBB364_1995:
	s_and_b64 vcc, exec, s[20:21]
	s_cbranch_vccz .LBB364_2013
; %bb.1996:
	s_cmp_lt_i32 s24, 27
	s_cbranch_scc1 .LBB364_1999
; %bb.1997:
	s_cmp_gt_i32 s24, 27
	s_cbranch_scc0 .LBB364_2000
; %bb.1998:
	global_load_dword v15, v[20:21], off
	s_waitcnt vmcnt(1)
	v_mov_b32_e32 v16, 0
	s_mov_b64 s[18:19], 0
	s_branch .LBB364_2001
.LBB364_1999:
	s_mov_b64 s[18:19], -1
                                        ; implicit-def: $vgpr15_vgpr16
	s_branch .LBB364_2004
.LBB364_2000:
	s_mov_b64 s[18:19], -1
                                        ; implicit-def: $vgpr15_vgpr16
.LBB364_2001:
	s_andn2_b64 vcc, exec, s[18:19]
	s_cbranch_vccnz .LBB364_2003
; %bb.2002:
	global_load_ushort v1, v[20:21], off
	s_mov_b32 s18, 0
	s_waitcnt vmcnt(1)
	v_mov_b32_e32 v16, s18
	s_waitcnt vmcnt(0)
	v_and_b32_e32 v15, 0xffff, v1
.LBB364_2003:
	s_mov_b64 s[18:19], 0
.LBB364_2004:
	s_andn2_b64 vcc, exec, s[18:19]
	s_cbranch_vccnz .LBB364_2012
; %bb.2005:
	global_load_ubyte v1, v[20:21], off
	s_movk_i32 s18, 0x7f
	s_mov_b64 s[20:21], 0
	s_waitcnt vmcnt(0)
	v_cmp_lt_i16_e32 vcc, s18, v1
	s_and_saveexec_b64 s[18:19], vcc
	s_xor_b64 s[18:19], exec, s[18:19]
; %bb.2006:
	s_movk_i32 s20, 0x80
	v_cmp_ne_u16_e32 vcc, s20, v1
	s_and_b64 s[20:21], vcc, exec
; %bb.2007:
	s_andn2_saveexec_b64 s[18:19], s[18:19]
; %bb.2008:
	v_cmp_ne_u16_e32 vcc, 0, v1
	s_andn2_b64 s[20:21], s[20:21], exec
	s_and_b64 s[26:27], vcc, exec
	s_or_b64 s[20:21], s[20:21], s[26:27]
; %bb.2009:
	s_or_b64 exec, exec, s[18:19]
	v_mov_b32_e32 v15, 0
	v_mov_b32_e32 v16, 0
	s_and_saveexec_b64 s[18:19], s[20:21]
	s_cbranch_execz .LBB364_2011
; %bb.2010:
	v_lshlrev_b32_e32 v3, 24, v1
	v_and_b32_e32 v1, 0xffff, v1
	v_and_b32_e32 v5, 7, v1
	v_ffbh_u32_e32 v16, v5
	v_min_u32_e32 v16, 32, v16
	v_subrev_u32_e32 v18, 28, v16
	v_bfe_u32 v15, v1, 3, 4
	v_lshlrev_b32_e32 v1, v18, v1
	v_sub_u32_e32 v16, 29, v16
	v_and_b32_e32 v1, 7, v1
	v_cmp_eq_u32_e32 vcc, 0, v15
	v_cndmask_b32_e32 v15, v15, v16, vcc
	v_cndmask_b32_e32 v1, v5, v1, vcc
	v_mov_b32_e32 v5, 0x3b800000
	v_lshlrev_b32_e32 v1, 20, v1
	v_and_b32_e32 v3, 0x80000000, v3
	v_lshl_add_u32 v5, v15, 23, v5
	v_or3_b32 v1, v3, v5, v1
	v_trunc_f32_e32 v1, v1
	v_mul_f32_e32 v3, 0x2f800000, v1
	v_floor_f32_e32 v3, v3
	v_fmac_f32_e32 v1, 0xcf800000, v3
	v_cvt_u32_f32_e32 v15, v1
	v_cvt_u32_f32_e32 v16, v3
.LBB364_2011:
	s_or_b64 exec, exec, s[18:19]
.LBB364_2012:
	s_mov_b64 s[18:19], -1
.LBB364_2013:
	s_mov_b64 s[20:21], 0
.LBB364_2014:
	s_and_b64 vcc, exec, s[20:21]
	s_cbranch_vccz .LBB364_2043
; %bb.2015:
	s_cmp_gt_i32 s24, 22
	s_cbranch_scc0 .LBB364_2025
; %bb.2016:
	s_cmp_lt_i32 s24, 24
	s_cbranch_scc1 .LBB364_2026
; %bb.2017:
	s_cmp_gt_i32 s24, 24
	s_cbranch_scc0 .LBB364_2027
; %bb.2018:
	global_load_ubyte v1, v[20:21], off
	s_movk_i32 s16, 0x7f
	s_mov_b64 s[18:19], 0
	s_waitcnt vmcnt(0)
	v_cmp_lt_i16_e32 vcc, s16, v1
	s_and_saveexec_b64 s[16:17], vcc
	s_xor_b64 s[16:17], exec, s[16:17]
; %bb.2019:
	s_movk_i32 s18, 0x80
	v_cmp_ne_u16_e32 vcc, s18, v1
	s_and_b64 s[18:19], vcc, exec
; %bb.2020:
	s_andn2_saveexec_b64 s[16:17], s[16:17]
; %bb.2021:
	v_cmp_ne_u16_e32 vcc, 0, v1
	s_andn2_b64 s[18:19], s[18:19], exec
	s_and_b64 s[20:21], vcc, exec
	s_or_b64 s[18:19], s[18:19], s[20:21]
; %bb.2022:
	s_or_b64 exec, exec, s[16:17]
	v_mov_b32_e32 v15, 0
	v_mov_b32_e32 v16, 0
	s_and_saveexec_b64 s[16:17], s[18:19]
	s_cbranch_execz .LBB364_2024
; %bb.2023:
	v_lshlrev_b32_e32 v3, 24, v1
	v_and_b32_e32 v1, 0xffff, v1
	v_and_b32_e32 v5, 3, v1
	v_ffbh_u32_e32 v16, v5
	v_min_u32_e32 v16, 32, v16
	v_subrev_u32_e32 v18, 29, v16
	v_bfe_u32 v15, v1, 2, 5
	v_lshlrev_b32_e32 v1, v18, v1
	v_sub_u32_e32 v16, 30, v16
	v_and_b32_e32 v1, 3, v1
	v_cmp_eq_u32_e32 vcc, 0, v15
	v_cndmask_b32_e32 v15, v15, v16, vcc
	v_cndmask_b32_e32 v1, v5, v1, vcc
	v_mov_b32_e32 v5, 0x37800000
	v_lshlrev_b32_e32 v1, 21, v1
	v_and_b32_e32 v3, 0x80000000, v3
	v_lshl_add_u32 v5, v15, 23, v5
	v_or3_b32 v1, v3, v5, v1
	v_trunc_f32_e32 v1, v1
	v_mul_f32_e32 v3, 0x2f800000, v1
	v_floor_f32_e32 v3, v3
	v_fmac_f32_e32 v1, 0xcf800000, v3
	v_cvt_u32_f32_e32 v15, v1
	v_cvt_u32_f32_e32 v16, v3
.LBB364_2024:
	s_or_b64 exec, exec, s[16:17]
	s_mov_b64 s[16:17], 0
	s_branch .LBB364_2028
.LBB364_2025:
	s_mov_b64 s[16:17], -1
                                        ; implicit-def: $vgpr15_vgpr16
	s_branch .LBB364_2034
.LBB364_2026:
	s_mov_b64 s[16:17], -1
                                        ; implicit-def: $vgpr15_vgpr16
	s_branch .LBB364_2031
.LBB364_2027:
	s_mov_b64 s[16:17], -1
                                        ; implicit-def: $vgpr15_vgpr16
.LBB364_2028:
	s_and_b64 vcc, exec, s[16:17]
	s_cbranch_vccz .LBB364_2030
; %bb.2029:
	global_load_ubyte v1, v[20:21], off
	s_mov_b32 s16, 0x7f800000
	s_brev_b32 s17, 1
	s_waitcnt vmcnt(0)
	v_lshlrev_b32_e32 v1, 24, v1
	v_and_b32_e32 v3, 0x7f000000, v1
	v_ffbh_u32_e32 v5, v3
	v_min_u32_e32 v5, 32, v5
	v_sub_u32_e64 v5, v5, 4 clamp
	v_lshlrev_b32_e32 v16, v5, v3
	v_lshlrev_b32_e32 v5, 23, v5
	v_lshrrev_b32_e32 v16, 4, v16
	v_add_u32_e32 v15, 0x1000000, v3
	v_sub_u32_e32 v5, v16, v5
	v_ashrrev_i32_e32 v15, 8, v15
	v_add_u32_e32 v5, 0x3c000000, v5
	v_and_or_b32 v5, v15, s16, v5
	v_cmp_ne_u32_e32 vcc, 0, v3
	v_cndmask_b32_e32 v3, 0, v5, vcc
	v_and_or_b32 v1, v1, s17, v3
	v_trunc_f32_e32 v1, v1
	v_mul_f32_e32 v3, 0x2f800000, v1
	v_floor_f32_e32 v3, v3
	v_fmac_f32_e32 v1, 0xcf800000, v3
	v_cvt_u32_f32_e32 v15, v1
	v_cvt_u32_f32_e32 v16, v3
.LBB364_2030:
	s_mov_b64 s[16:17], 0
.LBB364_2031:
	s_andn2_b64 vcc, exec, s[16:17]
	s_cbranch_vccnz .LBB364_2033
; %bb.2032:
	global_load_ubyte v1, v[20:21], off
	s_movk_i32 s16, 0x7f00
	s_brev_b32 s17, 16
	s_brev_b32 s18, 1
	s_waitcnt vmcnt(0)
	v_lshlrev_b16_e32 v3, 8, v1
	v_lshlrev_b32_e32 v1, 25, v1
	v_lshrrev_b32_e32 v5, 4, v1
	v_and_or_b32 v15, v3, s16, 0.5
	v_or_b32_e32 v5, 0x70000000, v5
	v_add_f32_e32 v15, -0.5, v15
	v_mul_f32_e32 v5, 0x7800000, v5
	v_cmp_gt_u32_e32 vcc, s17, v1
	v_bfe_i32 v3, v3, 0, 16
	v_cndmask_b32_e32 v1, v5, v15, vcc
	v_and_or_b32 v1, v3, s18, v1
	v_trunc_f32_e32 v1, v1
	v_mul_f32_e32 v3, 0x2f800000, v1
	v_floor_f32_e32 v3, v3
	v_fmac_f32_e32 v1, 0xcf800000, v3
	v_cvt_u32_f32_e32 v15, v1
	v_cvt_u32_f32_e32 v16, v3
.LBB364_2033:
	s_mov_b64 s[16:17], 0
	s_mov_b64 s[18:19], -1
.LBB364_2034:
	s_andn2_b64 vcc, exec, s[16:17]
	s_mov_b64 s[16:17], 0
	s_cbranch_vccnz .LBB364_2043
; %bb.2035:
	s_cmp_gt_i32 s24, 14
	s_cbranch_scc0 .LBB364_2038
; %bb.2036:
	s_cmp_eq_u32 s24, 15
	s_cbranch_scc0 .LBB364_2039
; %bb.2037:
	global_load_ushort v1, v[20:21], off
	s_mov_b64 s[6:7], 0
	s_mov_b64 s[18:19], -1
	s_waitcnt vmcnt(0)
	v_lshlrev_b32_e32 v1, 16, v1
	v_trunc_f32_e32 v1, v1
	v_mul_f32_e32 v3, 0x2f800000, v1
	v_floor_f32_e32 v3, v3
	v_fmac_f32_e32 v1, 0xcf800000, v3
	v_cvt_u32_f32_e32 v15, v1
	v_cvt_u32_f32_e32 v16, v3
	s_branch .LBB364_2040
.LBB364_2038:
	s_mov_b64 s[20:21], -1
                                        ; implicit-def: $vgpr15_vgpr16
	s_branch .LBB364_2041
.LBB364_2039:
	s_mov_b64 s[6:7], -1
                                        ; implicit-def: $vgpr15_vgpr16
.LBB364_2040:
	s_mov_b64 s[20:21], 0
.LBB364_2041:
	s_and_b64 vcc, exec, s[20:21]
	s_cbranch_vccz .LBB364_2043
; %bb.2042:
	s_cmp_lg_u32 s24, 11
	s_mov_b64 s[16:17], -1
	s_cselect_b64 s[6:7], -1, 0
.LBB364_2043:
	s_and_b64 vcc, exec, s[6:7]
	s_cbranch_vccnz .LBB364_2108
; %bb.2044:
	s_andn2_b64 vcc, exec, s[16:17]
	s_cbranch_vccnz .LBB364_2046
.LBB364_2045:
	global_load_ubyte v1, v[20:21], off
	s_mov_b32 s6, 0
	s_waitcnt vmcnt(1)
	v_mov_b32_e32 v16, s6
	s_mov_b64 s[18:19], -1
	s_waitcnt vmcnt(0)
	v_cmp_ne_u16_e32 vcc, 0, v1
	v_cndmask_b32_e64 v15, 0, 1, vcc
.LBB364_2046:
	s_mov_b64 s[6:7], 0
.LBB364_2047:
	s_and_b64 vcc, exec, s[6:7]
	s_cbranch_vccz .LBB364_2096
; %bb.2048:
	s_and_b32 s16, 0xffff, s23
	s_cmp_lt_i32 s16, 5
	s_cbranch_scc1 .LBB364_2053
; %bb.2049:
	s_cmp_lt_i32 s16, 8
	s_cbranch_scc1 .LBB364_2054
; %bb.2050:
	;; [unrolled: 3-line block ×3, first 2 shown]
	s_cmp_gt_i32 s16, 9
	s_cbranch_scc0 .LBB364_2056
; %bb.2052:
	global_load_dwordx2 v[15:16], v[20:21], off
	s_movk_i32 s6, 0xffe0
	s_waitcnt vmcnt(0)
	v_trunc_f64_e32 v[15:16], v[15:16]
	v_ldexp_f64 v[22:23], v[15:16], s6
	s_mov_b32 s6, 0
	s_mov_b32 s7, 0xc1f00000
	v_floor_f64_e32 v[22:23], v[22:23]
	v_fma_f64 v[24:25], v[22:23], s[6:7], v[15:16]
	v_cvt_u32_f64_e32 v16, v[22:23]
	s_mov_b64 s[6:7], 0
	v_cvt_u32_f64_e32 v15, v[24:25]
	s_branch .LBB364_2057
.LBB364_2053:
	s_mov_b64 s[6:7], -1
                                        ; implicit-def: $vgpr15_vgpr16
	s_branch .LBB364_2075
.LBB364_2054:
	s_mov_b64 s[6:7], -1
                                        ; implicit-def: $vgpr15_vgpr16
	s_branch .LBB364_2063
.LBB364_2055:
	s_mov_b64 s[6:7], -1
                                        ; implicit-def: $vgpr15_vgpr16
	s_branch .LBB364_2060
.LBB364_2056:
	s_mov_b64 s[6:7], -1
                                        ; implicit-def: $vgpr15_vgpr16
.LBB364_2057:
	s_andn2_b64 vcc, exec, s[6:7]
	s_cbranch_vccnz .LBB364_2059
; %bb.2058:
	global_load_dword v1, v[20:21], off
	s_waitcnt vmcnt(0)
	v_trunc_f32_e32 v1, v1
	v_mul_f32_e32 v3, 0x2f800000, v1
	v_floor_f32_e32 v3, v3
	v_fmac_f32_e32 v1, 0xcf800000, v3
	v_cvt_u32_f32_e32 v16, v3
	v_cvt_u32_f32_e32 v15, v1
.LBB364_2059:
	s_mov_b64 s[6:7], 0
.LBB364_2060:
	s_andn2_b64 vcc, exec, s[6:7]
	s_cbranch_vccnz .LBB364_2062
; %bb.2061:
	global_load_dword v1, v[20:21], off
	s_waitcnt vmcnt(1)
	v_mov_b32_e32 v16, 0
	s_waitcnt vmcnt(0)
	v_cvt_f32_f16_e32 v1, v1
	v_cvt_u32_f32_e32 v15, v1
.LBB364_2062:
	s_mov_b64 s[6:7], 0
.LBB364_2063:
	s_andn2_b64 vcc, exec, s[6:7]
	s_cbranch_vccnz .LBB364_2074
; %bb.2064:
	s_cmp_lt_i32 s16, 6
	s_cbranch_scc1 .LBB364_2067
; %bb.2065:
	s_cmp_gt_i32 s16, 6
	s_cbranch_scc0 .LBB364_2068
; %bb.2066:
	global_load_dwordx2 v[15:16], v[20:21], off
	s_movk_i32 s6, 0xffe0
	s_waitcnt vmcnt(0)
	v_trunc_f64_e32 v[15:16], v[15:16]
	v_ldexp_f64 v[22:23], v[15:16], s6
	s_mov_b32 s6, 0
	s_mov_b32 s7, 0xc1f00000
	v_floor_f64_e32 v[22:23], v[22:23]
	v_fma_f64 v[24:25], v[22:23], s[6:7], v[15:16]
	v_cvt_u32_f64_e32 v16, v[22:23]
	s_mov_b64 s[6:7], 0
	v_cvt_u32_f64_e32 v15, v[24:25]
	s_branch .LBB364_2069
.LBB364_2067:
	s_mov_b64 s[6:7], -1
                                        ; implicit-def: $vgpr15_vgpr16
	s_branch .LBB364_2072
.LBB364_2068:
	s_mov_b64 s[6:7], -1
                                        ; implicit-def: $vgpr15_vgpr16
.LBB364_2069:
	s_andn2_b64 vcc, exec, s[6:7]
	s_cbranch_vccnz .LBB364_2071
; %bb.2070:
	global_load_dword v1, v[20:21], off
	s_waitcnt vmcnt(0)
	v_trunc_f32_e32 v1, v1
	v_mul_f32_e32 v3, 0x2f800000, v1
	v_floor_f32_e32 v3, v3
	v_fmac_f32_e32 v1, 0xcf800000, v3
	v_cvt_u32_f32_e32 v16, v3
	v_cvt_u32_f32_e32 v15, v1
.LBB364_2071:
	s_mov_b64 s[6:7], 0
.LBB364_2072:
	s_andn2_b64 vcc, exec, s[6:7]
	s_cbranch_vccnz .LBB364_2074
; %bb.2073:
	global_load_ushort v1, v[20:21], off
	s_waitcnt vmcnt(1)
	v_mov_b32_e32 v16, 0
	s_waitcnt vmcnt(0)
	v_cvt_f32_f16_e32 v1, v1
	v_cvt_u32_f32_e32 v15, v1
.LBB364_2074:
	s_mov_b64 s[6:7], 0
.LBB364_2075:
	s_andn2_b64 vcc, exec, s[6:7]
	s_cbranch_vccnz .LBB364_2095
; %bb.2076:
	s_cmp_lt_i32 s16, 2
	s_cbranch_scc1 .LBB364_2080
; %bb.2077:
	s_cmp_lt_i32 s16, 3
	s_cbranch_scc1 .LBB364_2081
; %bb.2078:
	s_cmp_gt_i32 s16, 3
	s_cbranch_scc0 .LBB364_2082
; %bb.2079:
	global_load_dwordx2 v[15:16], v[20:21], off
	s_mov_b64 s[6:7], 0
	s_branch .LBB364_2083
.LBB364_2080:
	s_mov_b64 s[6:7], -1
                                        ; implicit-def: $vgpr15_vgpr16
	s_branch .LBB364_2089
.LBB364_2081:
	s_mov_b64 s[6:7], -1
                                        ; implicit-def: $vgpr15_vgpr16
	s_branch .LBB364_2086
.LBB364_2082:
	s_mov_b64 s[6:7], -1
                                        ; implicit-def: $vgpr15_vgpr16
.LBB364_2083:
	s_andn2_b64 vcc, exec, s[6:7]
	s_cbranch_vccnz .LBB364_2085
; %bb.2084:
	global_load_dword v15, v[20:21], off
	s_waitcnt vmcnt(0)
	v_ashrrev_i32_e32 v16, 31, v15
.LBB364_2085:
	s_mov_b64 s[6:7], 0
.LBB364_2086:
	s_andn2_b64 vcc, exec, s[6:7]
	s_cbranch_vccnz .LBB364_2088
; %bb.2087:
	global_load_ushort v1, v[20:21], off
	s_waitcnt vmcnt(0)
	v_bfe_i32 v15, v1, 0, 16
	v_ashrrev_i32_e32 v16, 31, v15
.LBB364_2088:
	s_mov_b64 s[6:7], 0
.LBB364_2089:
	s_andn2_b64 vcc, exec, s[6:7]
	s_cbranch_vccnz .LBB364_2095
; %bb.2090:
	s_cmp_gt_i32 s16, 0
	s_cbranch_scc0 .LBB364_2092
; %bb.2091:
	global_load_sbyte v1, v[20:21], off
	s_mov_b64 s[6:7], 0
	s_waitcnt vmcnt(0)
	v_bfe_i32 v15, v1, 0, 16
	v_ashrrev_i32_e32 v16, 31, v15
	s_branch .LBB364_2093
.LBB364_2092:
	s_mov_b64 s[6:7], -1
                                        ; implicit-def: $vgpr15_vgpr16
.LBB364_2093:
	s_andn2_b64 vcc, exec, s[6:7]
	s_cbranch_vccnz .LBB364_2095
; %bb.2094:
	global_load_ubyte v1, v[20:21], off
	s_mov_b32 s6, 0
	s_waitcnt vmcnt(1)
	v_mov_b32_e32 v16, s6
	s_waitcnt vmcnt(0)
	v_and_b32_e32 v15, 0xffff, v1
.LBB364_2095:
	s_mov_b64 s[18:19], -1
.LBB364_2096:
	s_andn2_b64 vcc, exec, s[18:19]
	s_cbranch_vccnz .LBB364_3036
; %bb.2097:
	v_mov_b32_e32 v1, s11
	v_add_co_u32_e32 v20, vcc, s10, v17
	s_cmp_lt_i32 s22, 11
	v_addc_co_u32_e32 v21, vcc, 0, v1, vcc
	s_cbranch_scc1 .LBB364_2104
; %bb.2098:
	s_and_b32 s24, 0xffff, s22
	s_cmp_gt_i32 s24, 25
	s_mov_b64 s[16:17], 0
	s_cbranch_scc0 .LBB364_2105
; %bb.2099:
	s_cmp_gt_i32 s24, 28
	s_cbranch_scc0 .LBB364_2106
; %bb.2100:
	s_cmp_gt_i32 s24, 43
	;; [unrolled: 3-line block ×3, first 2 shown]
	s_cbranch_scc0 .LBB364_2109
; %bb.2102:
	s_cmp_eq_u32 s24, 46
	s_mov_b64 s[20:21], 0
	s_cbranch_scc0 .LBB364_2110
; %bb.2103:
	global_load_dword v1, v[20:21], off
	s_mov_b64 s[6:7], 0
	s_mov_b64 s[18:19], -1
	s_waitcnt vmcnt(0)
	v_lshlrev_b32_e32 v1, 16, v1
	v_trunc_f32_e32 v1, v1
	v_mul_f32_e32 v3, 0x2f800000, v1
	v_floor_f32_e32 v3, v3
	v_fmac_f32_e32 v1, 0xcf800000, v3
	v_cvt_u32_f32_e32 v17, v1
	v_cvt_u32_f32_e32 v18, v3
	s_branch .LBB364_2111
.LBB364_2104:
	s_mov_b64 s[6:7], -1
	s_mov_b64 s[18:19], 0
                                        ; implicit-def: $vgpr17_vgpr18
	s_branch .LBB364_2173
.LBB364_2105:
	s_mov_b64 s[20:21], -1
	s_mov_b64 s[18:19], 0
	s_mov_b64 s[6:7], 0
                                        ; implicit-def: $vgpr17_vgpr18
	s_branch .LBB364_2140
.LBB364_2106:
	s_mov_b64 s[20:21], -1
	s_mov_b64 s[18:19], 0
	s_mov_b64 s[6:7], 0
                                        ; implicit-def: $vgpr17_vgpr18
	s_branch .LBB364_2121
.LBB364_2107:
	s_mov_b64 s[20:21], -1
	s_mov_b64 s[18:19], 0
	s_mov_b64 s[6:7], 0
                                        ; implicit-def: $vgpr17_vgpr18
	s_branch .LBB364_2116
.LBB364_2108:
	s_trap 2
	s_or_b64 s[4:5], s[4:5], exec
	s_cbranch_execz .LBB364_2045
	s_branch .LBB364_2046
.LBB364_2109:
	s_mov_b64 s[20:21], -1
	s_mov_b64 s[18:19], 0
	s_mov_b64 s[6:7], 0
                                        ; implicit-def: $vgpr17_vgpr18
	s_branch .LBB364_2111
.LBB364_2110:
	s_mov_b64 s[6:7], -1
                                        ; implicit-def: $vgpr17_vgpr18
	s_mov_b64 s[18:19], 0
.LBB364_2111:
	s_and_b64 vcc, exec, s[20:21]
	s_cbranch_vccz .LBB364_2115
; %bb.2112:
	s_cmp_eq_u32 s24, 44
	s_cbranch_scc0 .LBB364_2114
; %bb.2113:
	global_load_ubyte v1, v[20:21], off
	s_mov_b64 s[6:7], 0
	s_mov_b64 s[18:19], -1
	s_waitcnt vmcnt(0)
	v_lshlrev_b32_e32 v3, 23, v1
	v_trunc_f32_e32 v3, v3
	v_mul_f32_e32 v5, 0x2f800000, v3
	v_floor_f32_e32 v5, v5
	v_fmac_f32_e32 v3, 0xcf800000, v5
	v_cvt_u32_f32_e32 v5, v5
	v_cvt_u32_f32_e32 v3, v3
	v_cmp_ne_u32_e32 vcc, 0, v1
	v_cndmask_b32_e32 v18, 0, v5, vcc
	v_cndmask_b32_e32 v17, 0, v3, vcc
	s_branch .LBB364_2115
.LBB364_2114:
	s_mov_b64 s[6:7], -1
                                        ; implicit-def: $vgpr17_vgpr18
.LBB364_2115:
	s_mov_b64 s[20:21], 0
.LBB364_2116:
	s_and_b64 vcc, exec, s[20:21]
	s_cbranch_vccz .LBB364_2120
; %bb.2117:
	s_cmp_eq_u32 s24, 29
	s_cbranch_scc0 .LBB364_2119
; %bb.2118:
	global_load_dwordx2 v[17:18], v[20:21], off
	s_mov_b64 s[6:7], 0
	s_mov_b64 s[18:19], -1
	s_branch .LBB364_2120
.LBB364_2119:
	s_mov_b64 s[6:7], -1
                                        ; implicit-def: $vgpr17_vgpr18
.LBB364_2120:
	s_mov_b64 s[20:21], 0
.LBB364_2121:
	s_and_b64 vcc, exec, s[20:21]
	s_cbranch_vccz .LBB364_2139
; %bb.2122:
	s_cmp_lt_i32 s24, 27
	s_cbranch_scc1 .LBB364_2125
; %bb.2123:
	s_cmp_gt_i32 s24, 27
	s_cbranch_scc0 .LBB364_2126
; %bb.2124:
	global_load_dword v17, v[20:21], off
	s_waitcnt vmcnt(1)
	v_mov_b32_e32 v18, 0
	s_mov_b64 s[18:19], 0
	s_branch .LBB364_2127
.LBB364_2125:
	s_mov_b64 s[18:19], -1
                                        ; implicit-def: $vgpr17_vgpr18
	s_branch .LBB364_2130
.LBB364_2126:
	s_mov_b64 s[18:19], -1
                                        ; implicit-def: $vgpr17_vgpr18
.LBB364_2127:
	s_andn2_b64 vcc, exec, s[18:19]
	s_cbranch_vccnz .LBB364_2129
; %bb.2128:
	global_load_ushort v1, v[20:21], off
	s_mov_b32 s18, 0
	s_waitcnt vmcnt(1)
	v_mov_b32_e32 v18, s18
	s_waitcnt vmcnt(0)
	v_and_b32_e32 v17, 0xffff, v1
.LBB364_2129:
	s_mov_b64 s[18:19], 0
.LBB364_2130:
	s_andn2_b64 vcc, exec, s[18:19]
	s_cbranch_vccnz .LBB364_2138
; %bb.2131:
	global_load_ubyte v1, v[20:21], off
	s_movk_i32 s18, 0x7f
	s_mov_b64 s[20:21], 0
	s_waitcnt vmcnt(0)
	v_cmp_lt_i16_e32 vcc, s18, v1
	s_and_saveexec_b64 s[18:19], vcc
	s_xor_b64 s[18:19], exec, s[18:19]
; %bb.2132:
	s_movk_i32 s20, 0x80
	v_cmp_ne_u16_e32 vcc, s20, v1
	s_and_b64 s[20:21], vcc, exec
; %bb.2133:
	s_andn2_saveexec_b64 s[18:19], s[18:19]
; %bb.2134:
	v_cmp_ne_u16_e32 vcc, 0, v1
	s_andn2_b64 s[20:21], s[20:21], exec
	s_and_b64 s[26:27], vcc, exec
	s_or_b64 s[20:21], s[20:21], s[26:27]
; %bb.2135:
	s_or_b64 exec, exec, s[18:19]
	v_mov_b32_e32 v17, 0
	v_mov_b32_e32 v18, 0
	s_and_saveexec_b64 s[18:19], s[20:21]
	s_cbranch_execz .LBB364_2137
; %bb.2136:
	v_lshlrev_b32_e32 v3, 24, v1
	v_and_b32_e32 v1, 0xffff, v1
	v_and_b32_e32 v5, 7, v1
	v_ffbh_u32_e32 v18, v5
	v_min_u32_e32 v18, 32, v18
	v_subrev_u32_e32 v22, 28, v18
	v_bfe_u32 v17, v1, 3, 4
	v_lshlrev_b32_e32 v1, v22, v1
	v_sub_u32_e32 v18, 29, v18
	v_and_b32_e32 v1, 7, v1
	v_cmp_eq_u32_e32 vcc, 0, v17
	v_cndmask_b32_e32 v17, v17, v18, vcc
	v_cndmask_b32_e32 v1, v5, v1, vcc
	v_mov_b32_e32 v5, 0x3b800000
	v_lshlrev_b32_e32 v1, 20, v1
	v_and_b32_e32 v3, 0x80000000, v3
	v_lshl_add_u32 v5, v17, 23, v5
	v_or3_b32 v1, v3, v5, v1
	v_trunc_f32_e32 v1, v1
	v_mul_f32_e32 v3, 0x2f800000, v1
	v_floor_f32_e32 v3, v3
	v_fmac_f32_e32 v1, 0xcf800000, v3
	v_cvt_u32_f32_e32 v17, v1
	v_cvt_u32_f32_e32 v18, v3
.LBB364_2137:
	s_or_b64 exec, exec, s[18:19]
.LBB364_2138:
	s_mov_b64 s[18:19], -1
.LBB364_2139:
	s_mov_b64 s[20:21], 0
.LBB364_2140:
	s_and_b64 vcc, exec, s[20:21]
	s_cbranch_vccz .LBB364_2169
; %bb.2141:
	s_cmp_gt_i32 s24, 22
	s_cbranch_scc0 .LBB364_2151
; %bb.2142:
	s_cmp_lt_i32 s24, 24
	s_cbranch_scc1 .LBB364_2152
; %bb.2143:
	s_cmp_gt_i32 s24, 24
	s_cbranch_scc0 .LBB364_2153
; %bb.2144:
	global_load_ubyte v1, v[20:21], off
	s_movk_i32 s16, 0x7f
	s_mov_b64 s[18:19], 0
	s_waitcnt vmcnt(0)
	v_cmp_lt_i16_e32 vcc, s16, v1
	s_and_saveexec_b64 s[16:17], vcc
	s_xor_b64 s[16:17], exec, s[16:17]
; %bb.2145:
	s_movk_i32 s18, 0x80
	v_cmp_ne_u16_e32 vcc, s18, v1
	s_and_b64 s[18:19], vcc, exec
; %bb.2146:
	s_andn2_saveexec_b64 s[16:17], s[16:17]
; %bb.2147:
	v_cmp_ne_u16_e32 vcc, 0, v1
	s_andn2_b64 s[18:19], s[18:19], exec
	s_and_b64 s[20:21], vcc, exec
	s_or_b64 s[18:19], s[18:19], s[20:21]
; %bb.2148:
	s_or_b64 exec, exec, s[16:17]
	v_mov_b32_e32 v17, 0
	v_mov_b32_e32 v18, 0
	s_and_saveexec_b64 s[16:17], s[18:19]
	s_cbranch_execz .LBB364_2150
; %bb.2149:
	v_lshlrev_b32_e32 v3, 24, v1
	v_and_b32_e32 v1, 0xffff, v1
	v_and_b32_e32 v5, 3, v1
	v_ffbh_u32_e32 v18, v5
	v_min_u32_e32 v18, 32, v18
	v_subrev_u32_e32 v22, 29, v18
	v_bfe_u32 v17, v1, 2, 5
	v_lshlrev_b32_e32 v1, v22, v1
	v_sub_u32_e32 v18, 30, v18
	v_and_b32_e32 v1, 3, v1
	v_cmp_eq_u32_e32 vcc, 0, v17
	v_cndmask_b32_e32 v17, v17, v18, vcc
	v_cndmask_b32_e32 v1, v5, v1, vcc
	v_mov_b32_e32 v5, 0x37800000
	v_lshlrev_b32_e32 v1, 21, v1
	v_and_b32_e32 v3, 0x80000000, v3
	v_lshl_add_u32 v5, v17, 23, v5
	v_or3_b32 v1, v3, v5, v1
	v_trunc_f32_e32 v1, v1
	v_mul_f32_e32 v3, 0x2f800000, v1
	v_floor_f32_e32 v3, v3
	v_fmac_f32_e32 v1, 0xcf800000, v3
	v_cvt_u32_f32_e32 v17, v1
	v_cvt_u32_f32_e32 v18, v3
.LBB364_2150:
	s_or_b64 exec, exec, s[16:17]
	s_mov_b64 s[16:17], 0
	s_branch .LBB364_2154
.LBB364_2151:
	s_mov_b64 s[16:17], -1
                                        ; implicit-def: $vgpr17_vgpr18
	s_branch .LBB364_2160
.LBB364_2152:
	s_mov_b64 s[16:17], -1
                                        ; implicit-def: $vgpr17_vgpr18
	s_branch .LBB364_2157
.LBB364_2153:
	s_mov_b64 s[16:17], -1
                                        ; implicit-def: $vgpr17_vgpr18
.LBB364_2154:
	s_and_b64 vcc, exec, s[16:17]
	s_cbranch_vccz .LBB364_2156
; %bb.2155:
	global_load_ubyte v1, v[20:21], off
	s_mov_b32 s16, 0x7f800000
	s_brev_b32 s17, 1
	s_waitcnt vmcnt(0)
	v_lshlrev_b32_e32 v1, 24, v1
	v_and_b32_e32 v3, 0x7f000000, v1
	v_ffbh_u32_e32 v5, v3
	v_min_u32_e32 v5, 32, v5
	v_sub_u32_e64 v5, v5, 4 clamp
	v_lshlrev_b32_e32 v18, v5, v3
	v_lshlrev_b32_e32 v5, 23, v5
	v_lshrrev_b32_e32 v18, 4, v18
	v_add_u32_e32 v17, 0x1000000, v3
	v_sub_u32_e32 v5, v18, v5
	v_ashrrev_i32_e32 v17, 8, v17
	v_add_u32_e32 v5, 0x3c000000, v5
	v_and_or_b32 v5, v17, s16, v5
	v_cmp_ne_u32_e32 vcc, 0, v3
	v_cndmask_b32_e32 v3, 0, v5, vcc
	v_and_or_b32 v1, v1, s17, v3
	v_trunc_f32_e32 v1, v1
	v_mul_f32_e32 v3, 0x2f800000, v1
	v_floor_f32_e32 v3, v3
	v_fmac_f32_e32 v1, 0xcf800000, v3
	v_cvt_u32_f32_e32 v17, v1
	v_cvt_u32_f32_e32 v18, v3
.LBB364_2156:
	s_mov_b64 s[16:17], 0
.LBB364_2157:
	s_andn2_b64 vcc, exec, s[16:17]
	s_cbranch_vccnz .LBB364_2159
; %bb.2158:
	global_load_ubyte v1, v[20:21], off
	s_movk_i32 s16, 0x7f00
	s_brev_b32 s17, 16
	s_brev_b32 s18, 1
	s_waitcnt vmcnt(0)
	v_lshlrev_b16_e32 v3, 8, v1
	v_lshlrev_b32_e32 v1, 25, v1
	v_lshrrev_b32_e32 v5, 4, v1
	v_and_or_b32 v17, v3, s16, 0.5
	v_or_b32_e32 v5, 0x70000000, v5
	v_add_f32_e32 v17, -0.5, v17
	v_mul_f32_e32 v5, 0x7800000, v5
	v_cmp_gt_u32_e32 vcc, s17, v1
	v_bfe_i32 v3, v3, 0, 16
	v_cndmask_b32_e32 v1, v5, v17, vcc
	v_and_or_b32 v1, v3, s18, v1
	v_trunc_f32_e32 v1, v1
	v_mul_f32_e32 v3, 0x2f800000, v1
	v_floor_f32_e32 v3, v3
	v_fmac_f32_e32 v1, 0xcf800000, v3
	v_cvt_u32_f32_e32 v17, v1
	v_cvt_u32_f32_e32 v18, v3
.LBB364_2159:
	s_mov_b64 s[16:17], 0
	s_mov_b64 s[18:19], -1
.LBB364_2160:
	s_andn2_b64 vcc, exec, s[16:17]
	s_mov_b64 s[16:17], 0
	s_cbranch_vccnz .LBB364_2169
; %bb.2161:
	s_cmp_gt_i32 s24, 14
	s_cbranch_scc0 .LBB364_2164
; %bb.2162:
	s_cmp_eq_u32 s24, 15
	s_cbranch_scc0 .LBB364_2165
; %bb.2163:
	global_load_ushort v1, v[20:21], off
	s_mov_b64 s[6:7], 0
	s_mov_b64 s[18:19], -1
	s_waitcnt vmcnt(0)
	v_lshlrev_b32_e32 v1, 16, v1
	v_trunc_f32_e32 v1, v1
	v_mul_f32_e32 v3, 0x2f800000, v1
	v_floor_f32_e32 v3, v3
	v_fmac_f32_e32 v1, 0xcf800000, v3
	v_cvt_u32_f32_e32 v17, v1
	v_cvt_u32_f32_e32 v18, v3
	s_branch .LBB364_2166
.LBB364_2164:
	s_mov_b64 s[20:21], -1
                                        ; implicit-def: $vgpr17_vgpr18
	s_branch .LBB364_2167
.LBB364_2165:
	s_mov_b64 s[6:7], -1
                                        ; implicit-def: $vgpr17_vgpr18
.LBB364_2166:
	s_mov_b64 s[20:21], 0
.LBB364_2167:
	s_and_b64 vcc, exec, s[20:21]
	s_cbranch_vccz .LBB364_2169
; %bb.2168:
	s_cmp_lg_u32 s24, 11
	s_mov_b64 s[16:17], -1
	s_cselect_b64 s[6:7], -1, 0
.LBB364_2169:
	s_and_b64 vcc, exec, s[6:7]
	s_cbranch_vccnz .LBB364_2234
; %bb.2170:
	s_andn2_b64 vcc, exec, s[16:17]
	s_cbranch_vccnz .LBB364_2172
.LBB364_2171:
	global_load_ubyte v1, v[20:21], off
	s_mov_b32 s6, 0
	s_waitcnt vmcnt(1)
	v_mov_b32_e32 v18, s6
	s_mov_b64 s[18:19], -1
	s_waitcnt vmcnt(0)
	v_cmp_ne_u16_e32 vcc, 0, v1
	v_cndmask_b32_e64 v17, 0, 1, vcc
.LBB364_2172:
	s_mov_b64 s[6:7], 0
.LBB364_2173:
	s_and_b64 vcc, exec, s[6:7]
	s_cbranch_vccz .LBB364_2222
; %bb.2174:
	s_and_b32 s16, 0xffff, s22
	s_cmp_lt_i32 s16, 5
	s_cbranch_scc1 .LBB364_2179
; %bb.2175:
	s_cmp_lt_i32 s16, 8
	s_cbranch_scc1 .LBB364_2180
; %bb.2176:
	s_cmp_lt_i32 s16, 9
	s_cbranch_scc1 .LBB364_2181
; %bb.2177:
	s_cmp_gt_i32 s16, 9
	s_cbranch_scc0 .LBB364_2182
; %bb.2178:
	global_load_dwordx2 v[17:18], v[20:21], off
	s_movk_i32 s6, 0xffe0
	s_waitcnt vmcnt(0)
	v_trunc_f64_e32 v[17:18], v[17:18]
	v_ldexp_f64 v[22:23], v[17:18], s6
	s_mov_b32 s6, 0
	s_mov_b32 s7, 0xc1f00000
	v_floor_f64_e32 v[22:23], v[22:23]
	v_fma_f64 v[24:25], v[22:23], s[6:7], v[17:18]
	v_cvt_u32_f64_e32 v18, v[22:23]
	s_mov_b64 s[6:7], 0
	v_cvt_u32_f64_e32 v17, v[24:25]
	s_branch .LBB364_2183
.LBB364_2179:
	s_mov_b64 s[6:7], -1
                                        ; implicit-def: $vgpr17_vgpr18
	s_branch .LBB364_2201
.LBB364_2180:
	s_mov_b64 s[6:7], -1
                                        ; implicit-def: $vgpr17_vgpr18
	s_branch .LBB364_2189
.LBB364_2181:
	s_mov_b64 s[6:7], -1
                                        ; implicit-def: $vgpr17_vgpr18
	s_branch .LBB364_2186
.LBB364_2182:
	s_mov_b64 s[6:7], -1
                                        ; implicit-def: $vgpr17_vgpr18
.LBB364_2183:
	s_andn2_b64 vcc, exec, s[6:7]
	s_cbranch_vccnz .LBB364_2185
; %bb.2184:
	global_load_dword v1, v[20:21], off
	s_waitcnt vmcnt(0)
	v_trunc_f32_e32 v1, v1
	v_mul_f32_e32 v3, 0x2f800000, v1
	v_floor_f32_e32 v3, v3
	v_fmac_f32_e32 v1, 0xcf800000, v3
	v_cvt_u32_f32_e32 v18, v3
	v_cvt_u32_f32_e32 v17, v1
.LBB364_2185:
	s_mov_b64 s[6:7], 0
.LBB364_2186:
	s_andn2_b64 vcc, exec, s[6:7]
	s_cbranch_vccnz .LBB364_2188
; %bb.2187:
	global_load_dword v1, v[20:21], off
	s_waitcnt vmcnt(1)
	v_mov_b32_e32 v18, 0
	s_waitcnt vmcnt(0)
	v_cvt_f32_f16_e32 v1, v1
	v_cvt_u32_f32_e32 v17, v1
.LBB364_2188:
	s_mov_b64 s[6:7], 0
.LBB364_2189:
	s_andn2_b64 vcc, exec, s[6:7]
	s_cbranch_vccnz .LBB364_2200
; %bb.2190:
	s_cmp_lt_i32 s16, 6
	s_cbranch_scc1 .LBB364_2193
; %bb.2191:
	s_cmp_gt_i32 s16, 6
	s_cbranch_scc0 .LBB364_2194
; %bb.2192:
	global_load_dwordx2 v[17:18], v[20:21], off
	s_movk_i32 s6, 0xffe0
	s_waitcnt vmcnt(0)
	v_trunc_f64_e32 v[17:18], v[17:18]
	v_ldexp_f64 v[22:23], v[17:18], s6
	s_mov_b32 s6, 0
	s_mov_b32 s7, 0xc1f00000
	v_floor_f64_e32 v[22:23], v[22:23]
	v_fma_f64 v[24:25], v[22:23], s[6:7], v[17:18]
	v_cvt_u32_f64_e32 v18, v[22:23]
	s_mov_b64 s[6:7], 0
	v_cvt_u32_f64_e32 v17, v[24:25]
	s_branch .LBB364_2195
.LBB364_2193:
	s_mov_b64 s[6:7], -1
                                        ; implicit-def: $vgpr17_vgpr18
	s_branch .LBB364_2198
.LBB364_2194:
	s_mov_b64 s[6:7], -1
                                        ; implicit-def: $vgpr17_vgpr18
.LBB364_2195:
	s_andn2_b64 vcc, exec, s[6:7]
	s_cbranch_vccnz .LBB364_2197
; %bb.2196:
	global_load_dword v1, v[20:21], off
	s_waitcnt vmcnt(0)
	v_trunc_f32_e32 v1, v1
	v_mul_f32_e32 v3, 0x2f800000, v1
	v_floor_f32_e32 v3, v3
	v_fmac_f32_e32 v1, 0xcf800000, v3
	v_cvt_u32_f32_e32 v18, v3
	v_cvt_u32_f32_e32 v17, v1
.LBB364_2197:
	s_mov_b64 s[6:7], 0
.LBB364_2198:
	s_andn2_b64 vcc, exec, s[6:7]
	s_cbranch_vccnz .LBB364_2200
; %bb.2199:
	global_load_ushort v1, v[20:21], off
	s_waitcnt vmcnt(1)
	v_mov_b32_e32 v18, 0
	s_waitcnt vmcnt(0)
	v_cvt_f32_f16_e32 v1, v1
	v_cvt_u32_f32_e32 v17, v1
.LBB364_2200:
	s_mov_b64 s[6:7], 0
.LBB364_2201:
	s_andn2_b64 vcc, exec, s[6:7]
	s_cbranch_vccnz .LBB364_2221
; %bb.2202:
	s_cmp_lt_i32 s16, 2
	s_cbranch_scc1 .LBB364_2206
; %bb.2203:
	s_cmp_lt_i32 s16, 3
	s_cbranch_scc1 .LBB364_2207
; %bb.2204:
	s_cmp_gt_i32 s16, 3
	s_cbranch_scc0 .LBB364_2208
; %bb.2205:
	global_load_dwordx2 v[17:18], v[20:21], off
	s_mov_b64 s[6:7], 0
	s_branch .LBB364_2209
.LBB364_2206:
	s_mov_b64 s[6:7], -1
                                        ; implicit-def: $vgpr17_vgpr18
	s_branch .LBB364_2215
.LBB364_2207:
	s_mov_b64 s[6:7], -1
                                        ; implicit-def: $vgpr17_vgpr18
	s_branch .LBB364_2212
.LBB364_2208:
	s_mov_b64 s[6:7], -1
                                        ; implicit-def: $vgpr17_vgpr18
.LBB364_2209:
	s_andn2_b64 vcc, exec, s[6:7]
	s_cbranch_vccnz .LBB364_2211
; %bb.2210:
	global_load_dword v17, v[20:21], off
	s_waitcnt vmcnt(0)
	v_ashrrev_i32_e32 v18, 31, v17
.LBB364_2211:
	s_mov_b64 s[6:7], 0
.LBB364_2212:
	s_andn2_b64 vcc, exec, s[6:7]
	s_cbranch_vccnz .LBB364_2214
; %bb.2213:
	global_load_ushort v1, v[20:21], off
	s_waitcnt vmcnt(0)
	v_bfe_i32 v17, v1, 0, 16
	v_ashrrev_i32_e32 v18, 31, v17
.LBB364_2214:
	s_mov_b64 s[6:7], 0
.LBB364_2215:
	s_andn2_b64 vcc, exec, s[6:7]
	s_cbranch_vccnz .LBB364_2221
; %bb.2216:
	s_cmp_gt_i32 s16, 0
	s_cbranch_scc0 .LBB364_2218
; %bb.2217:
	global_load_sbyte v1, v[20:21], off
	s_mov_b64 s[6:7], 0
	s_waitcnt vmcnt(0)
	v_bfe_i32 v17, v1, 0, 16
	v_ashrrev_i32_e32 v18, 31, v17
	s_branch .LBB364_2219
.LBB364_2218:
	s_mov_b64 s[6:7], -1
                                        ; implicit-def: $vgpr17_vgpr18
.LBB364_2219:
	s_andn2_b64 vcc, exec, s[6:7]
	s_cbranch_vccnz .LBB364_2221
; %bb.2220:
	global_load_ubyte v1, v[20:21], off
	s_mov_b32 s6, 0
	s_waitcnt vmcnt(1)
	v_mov_b32_e32 v18, s6
	s_waitcnt vmcnt(0)
	v_and_b32_e32 v17, 0xffff, v1
.LBB364_2221:
	s_mov_b64 s[18:19], -1
.LBB364_2222:
	s_andn2_b64 vcc, exec, s[18:19]
	s_cbranch_vccnz .LBB364_3036
; %bb.2223:
	v_mov_b32_e32 v1, s1
	v_add_co_u32_e32 v21, vcc, s0, v19
	s_cmp_lt_i32 s23, 11
	v_addc_co_u32_e32 v22, vcc, 0, v1, vcc
	s_cbranch_scc1 .LBB364_2230
; %bb.2224:
	s_and_b32 s24, 0xffff, s23
	s_cmp_gt_i32 s24, 25
	s_mov_b64 s[16:17], 0
	s_cbranch_scc0 .LBB364_2231
; %bb.2225:
	s_cmp_gt_i32 s24, 28
	s_cbranch_scc0 .LBB364_2232
; %bb.2226:
	s_cmp_gt_i32 s24, 43
	;; [unrolled: 3-line block ×3, first 2 shown]
	s_cbranch_scc0 .LBB364_2235
; %bb.2228:
	s_cmp_eq_u32 s24, 46
	s_mov_b64 s[20:21], 0
	s_cbranch_scc0 .LBB364_2238
; %bb.2229:
	global_load_dword v1, v[21:22], off
	s_mov_b64 s[6:7], 0
	s_mov_b64 s[18:19], -1
	s_waitcnt vmcnt(0)
	v_lshlrev_b32_e32 v1, 16, v1
	v_trunc_f32_e32 v1, v1
	v_mul_f32_e32 v3, 0x2f800000, v1
	v_floor_f32_e32 v3, v3
	v_fmac_f32_e32 v1, 0xcf800000, v3
	v_cvt_u32_f32_e32 v19, v1
	v_cvt_u32_f32_e32 v20, v3
	s_branch .LBB364_2239
.LBB364_2230:
	s_mov_b64 s[6:7], -1
	s_mov_b64 s[18:19], 0
                                        ; implicit-def: $vgpr19_vgpr20
	s_branch .LBB364_2301
.LBB364_2231:
	s_mov_b64 s[20:21], -1
	s_mov_b64 s[18:19], 0
	s_mov_b64 s[6:7], 0
                                        ; implicit-def: $vgpr19_vgpr20
	s_branch .LBB364_2268
.LBB364_2232:
	s_mov_b64 s[20:21], -1
	s_mov_b64 s[18:19], 0
	s_mov_b64 s[6:7], 0
                                        ; implicit-def: $vgpr19_vgpr20
	s_branch .LBB364_2249
.LBB364_2233:
	s_mov_b64 s[20:21], -1
	s_mov_b64 s[18:19], 0
	s_mov_b64 s[6:7], 0
                                        ; implicit-def: $vgpr19_vgpr20
	s_branch .LBB364_2244
.LBB364_2234:
	s_trap 2
	s_or_b64 s[4:5], s[4:5], exec
	s_cbranch_execz .LBB364_2171
	s_branch .LBB364_2172
.LBB364_2235:
	s_mov_b64 s[20:21], -1
	s_mov_b64 s[18:19], 0
	s_mov_b64 s[6:7], 0
                                        ; implicit-def: $vgpr19_vgpr20
	s_branch .LBB364_2239
.LBB364_2236:
	s_andn2_saveexec_b64 s[68:69], s[68:69]
	s_cbranch_execz .LBB364_1095
.LBB364_2237:
	v_add_f32_e32 v2, 0x42800000, v3
	v_and_b32_e32 v2, 0xff, v2
	v_cmp_ne_u32_e32 vcc, 0, v2
	s_andn2_b64 s[66:67], s[66:67], exec
	s_and_b64 s[76:77], vcc, exec
	s_or_b64 s[66:67], s[66:67], s[76:77]
	s_or_b64 exec, exec, s[68:69]
	v_mov_b32_e32 v4, 0
	s_and_saveexec_b64 s[68:69], s[66:67]
	s_cbranch_execnz .LBB364_1096
	s_branch .LBB364_1097
.LBB364_2238:
	s_mov_b64 s[6:7], -1
                                        ; implicit-def: $vgpr19_vgpr20
	s_mov_b64 s[18:19], 0
.LBB364_2239:
	s_and_b64 vcc, exec, s[20:21]
	s_cbranch_vccz .LBB364_2243
; %bb.2240:
	s_cmp_eq_u32 s24, 44
	s_cbranch_scc0 .LBB364_2242
; %bb.2241:
	global_load_ubyte v1, v[21:22], off
	s_mov_b64 s[6:7], 0
	s_mov_b64 s[18:19], -1
	s_waitcnt vmcnt(0)
	v_lshlrev_b32_e32 v3, 23, v1
	v_trunc_f32_e32 v3, v3
	v_mul_f32_e32 v5, 0x2f800000, v3
	v_floor_f32_e32 v5, v5
	v_fmac_f32_e32 v3, 0xcf800000, v5
	v_cvt_u32_f32_e32 v5, v5
	v_cvt_u32_f32_e32 v3, v3
	v_cmp_ne_u32_e32 vcc, 0, v1
	v_cndmask_b32_e32 v20, 0, v5, vcc
	v_cndmask_b32_e32 v19, 0, v3, vcc
	s_branch .LBB364_2243
.LBB364_2242:
	s_mov_b64 s[6:7], -1
                                        ; implicit-def: $vgpr19_vgpr20
.LBB364_2243:
	s_mov_b64 s[20:21], 0
.LBB364_2244:
	s_and_b64 vcc, exec, s[20:21]
	s_cbranch_vccz .LBB364_2248
; %bb.2245:
	s_cmp_eq_u32 s24, 29
	s_cbranch_scc0 .LBB364_2247
; %bb.2246:
	global_load_dwordx2 v[19:20], v[21:22], off
	s_mov_b64 s[6:7], 0
	s_mov_b64 s[18:19], -1
	s_branch .LBB364_2248
.LBB364_2247:
	s_mov_b64 s[6:7], -1
                                        ; implicit-def: $vgpr19_vgpr20
.LBB364_2248:
	s_mov_b64 s[20:21], 0
.LBB364_2249:
	s_and_b64 vcc, exec, s[20:21]
	s_cbranch_vccz .LBB364_2267
; %bb.2250:
	s_cmp_lt_i32 s24, 27
	s_cbranch_scc1 .LBB364_2253
; %bb.2251:
	s_cmp_gt_i32 s24, 27
	s_cbranch_scc0 .LBB364_2254
; %bb.2252:
	global_load_dword v19, v[21:22], off
	s_waitcnt vmcnt(1)
	v_mov_b32_e32 v20, 0
	s_mov_b64 s[18:19], 0
	s_branch .LBB364_2255
.LBB364_2253:
	s_mov_b64 s[18:19], -1
                                        ; implicit-def: $vgpr19_vgpr20
	s_branch .LBB364_2258
.LBB364_2254:
	s_mov_b64 s[18:19], -1
                                        ; implicit-def: $vgpr19_vgpr20
.LBB364_2255:
	s_andn2_b64 vcc, exec, s[18:19]
	s_cbranch_vccnz .LBB364_2257
; %bb.2256:
	global_load_ushort v1, v[21:22], off
	s_mov_b32 s18, 0
	s_waitcnt vmcnt(1)
	v_mov_b32_e32 v20, s18
	s_waitcnt vmcnt(0)
	v_and_b32_e32 v19, 0xffff, v1
.LBB364_2257:
	s_mov_b64 s[18:19], 0
.LBB364_2258:
	s_andn2_b64 vcc, exec, s[18:19]
	s_cbranch_vccnz .LBB364_2266
; %bb.2259:
	global_load_ubyte v1, v[21:22], off
	s_movk_i32 s18, 0x7f
	s_mov_b64 s[20:21], 0
	s_waitcnt vmcnt(0)
	v_cmp_lt_i16_e32 vcc, s18, v1
	s_and_saveexec_b64 s[18:19], vcc
	s_xor_b64 s[18:19], exec, s[18:19]
; %bb.2260:
	s_movk_i32 s20, 0x80
	v_cmp_ne_u16_e32 vcc, s20, v1
	s_and_b64 s[20:21], vcc, exec
; %bb.2261:
	s_andn2_saveexec_b64 s[18:19], s[18:19]
; %bb.2262:
	v_cmp_ne_u16_e32 vcc, 0, v1
	s_andn2_b64 s[20:21], s[20:21], exec
	s_and_b64 s[26:27], vcc, exec
	s_or_b64 s[20:21], s[20:21], s[26:27]
; %bb.2263:
	s_or_b64 exec, exec, s[18:19]
	v_mov_b32_e32 v19, 0
	v_mov_b32_e32 v20, 0
	s_and_saveexec_b64 s[18:19], s[20:21]
	s_cbranch_execz .LBB364_2265
; %bb.2264:
	v_lshlrev_b32_e32 v3, 24, v1
	v_and_b32_e32 v1, 0xffff, v1
	v_and_b32_e32 v5, 7, v1
	v_ffbh_u32_e32 v20, v5
	v_min_u32_e32 v20, 32, v20
	v_subrev_u32_e32 v23, 28, v20
	v_bfe_u32 v19, v1, 3, 4
	v_lshlrev_b32_e32 v1, v23, v1
	v_sub_u32_e32 v20, 29, v20
	v_and_b32_e32 v1, 7, v1
	v_cmp_eq_u32_e32 vcc, 0, v19
	v_cndmask_b32_e32 v19, v19, v20, vcc
	v_cndmask_b32_e32 v1, v5, v1, vcc
	v_mov_b32_e32 v5, 0x3b800000
	v_lshlrev_b32_e32 v1, 20, v1
	v_and_b32_e32 v3, 0x80000000, v3
	v_lshl_add_u32 v5, v19, 23, v5
	v_or3_b32 v1, v3, v5, v1
	v_trunc_f32_e32 v1, v1
	v_mul_f32_e32 v3, 0x2f800000, v1
	v_floor_f32_e32 v3, v3
	v_fmac_f32_e32 v1, 0xcf800000, v3
	v_cvt_u32_f32_e32 v19, v1
	v_cvt_u32_f32_e32 v20, v3
.LBB364_2265:
	s_or_b64 exec, exec, s[18:19]
.LBB364_2266:
	s_mov_b64 s[18:19], -1
.LBB364_2267:
	s_mov_b64 s[20:21], 0
.LBB364_2268:
	s_and_b64 vcc, exec, s[20:21]
	s_cbranch_vccz .LBB364_2297
; %bb.2269:
	s_cmp_gt_i32 s24, 22
	s_cbranch_scc0 .LBB364_2279
; %bb.2270:
	s_cmp_lt_i32 s24, 24
	s_cbranch_scc1 .LBB364_2280
; %bb.2271:
	s_cmp_gt_i32 s24, 24
	s_cbranch_scc0 .LBB364_2281
; %bb.2272:
	global_load_ubyte v1, v[21:22], off
	s_movk_i32 s16, 0x7f
	s_mov_b64 s[18:19], 0
	s_waitcnt vmcnt(0)
	v_cmp_lt_i16_e32 vcc, s16, v1
	s_and_saveexec_b64 s[16:17], vcc
	s_xor_b64 s[16:17], exec, s[16:17]
; %bb.2273:
	s_movk_i32 s18, 0x80
	v_cmp_ne_u16_e32 vcc, s18, v1
	s_and_b64 s[18:19], vcc, exec
; %bb.2274:
	s_andn2_saveexec_b64 s[16:17], s[16:17]
; %bb.2275:
	v_cmp_ne_u16_e32 vcc, 0, v1
	s_andn2_b64 s[18:19], s[18:19], exec
	s_and_b64 s[20:21], vcc, exec
	s_or_b64 s[18:19], s[18:19], s[20:21]
; %bb.2276:
	s_or_b64 exec, exec, s[16:17]
	v_mov_b32_e32 v19, 0
	v_mov_b32_e32 v20, 0
	s_and_saveexec_b64 s[16:17], s[18:19]
	s_cbranch_execz .LBB364_2278
; %bb.2277:
	v_lshlrev_b32_e32 v3, 24, v1
	v_and_b32_e32 v1, 0xffff, v1
	v_and_b32_e32 v5, 3, v1
	v_ffbh_u32_e32 v20, v5
	v_min_u32_e32 v20, 32, v20
	v_subrev_u32_e32 v23, 29, v20
	v_bfe_u32 v19, v1, 2, 5
	v_lshlrev_b32_e32 v1, v23, v1
	v_sub_u32_e32 v20, 30, v20
	v_and_b32_e32 v1, 3, v1
	v_cmp_eq_u32_e32 vcc, 0, v19
	v_cndmask_b32_e32 v19, v19, v20, vcc
	v_cndmask_b32_e32 v1, v5, v1, vcc
	v_mov_b32_e32 v5, 0x37800000
	v_lshlrev_b32_e32 v1, 21, v1
	v_and_b32_e32 v3, 0x80000000, v3
	v_lshl_add_u32 v5, v19, 23, v5
	v_or3_b32 v1, v3, v5, v1
	v_trunc_f32_e32 v1, v1
	v_mul_f32_e32 v3, 0x2f800000, v1
	v_floor_f32_e32 v3, v3
	v_fmac_f32_e32 v1, 0xcf800000, v3
	v_cvt_u32_f32_e32 v19, v1
	v_cvt_u32_f32_e32 v20, v3
.LBB364_2278:
	s_or_b64 exec, exec, s[16:17]
	s_mov_b64 s[16:17], 0
	s_branch .LBB364_2282
.LBB364_2279:
	s_mov_b64 s[16:17], -1
                                        ; implicit-def: $vgpr19_vgpr20
	s_branch .LBB364_2288
.LBB364_2280:
	s_mov_b64 s[16:17], -1
                                        ; implicit-def: $vgpr19_vgpr20
	s_branch .LBB364_2285
.LBB364_2281:
	s_mov_b64 s[16:17], -1
                                        ; implicit-def: $vgpr19_vgpr20
.LBB364_2282:
	s_and_b64 vcc, exec, s[16:17]
	s_cbranch_vccz .LBB364_2284
; %bb.2283:
	global_load_ubyte v1, v[21:22], off
	s_mov_b32 s16, 0x7f800000
	s_brev_b32 s17, 1
	s_waitcnt vmcnt(0)
	v_lshlrev_b32_e32 v1, 24, v1
	v_and_b32_e32 v3, 0x7f000000, v1
	v_ffbh_u32_e32 v5, v3
	v_min_u32_e32 v5, 32, v5
	v_sub_u32_e64 v5, v5, 4 clamp
	v_lshlrev_b32_e32 v20, v5, v3
	v_lshlrev_b32_e32 v5, 23, v5
	v_lshrrev_b32_e32 v20, 4, v20
	v_add_u32_e32 v19, 0x1000000, v3
	v_sub_u32_e32 v5, v20, v5
	v_ashrrev_i32_e32 v19, 8, v19
	v_add_u32_e32 v5, 0x3c000000, v5
	v_and_or_b32 v5, v19, s16, v5
	v_cmp_ne_u32_e32 vcc, 0, v3
	v_cndmask_b32_e32 v3, 0, v5, vcc
	v_and_or_b32 v1, v1, s17, v3
	v_trunc_f32_e32 v1, v1
	v_mul_f32_e32 v3, 0x2f800000, v1
	v_floor_f32_e32 v3, v3
	v_fmac_f32_e32 v1, 0xcf800000, v3
	v_cvt_u32_f32_e32 v19, v1
	v_cvt_u32_f32_e32 v20, v3
.LBB364_2284:
	s_mov_b64 s[16:17], 0
.LBB364_2285:
	s_andn2_b64 vcc, exec, s[16:17]
	s_cbranch_vccnz .LBB364_2287
; %bb.2286:
	global_load_ubyte v1, v[21:22], off
	s_movk_i32 s16, 0x7f00
	s_brev_b32 s17, 16
	s_brev_b32 s18, 1
	s_waitcnt vmcnt(0)
	v_lshlrev_b16_e32 v3, 8, v1
	v_lshlrev_b32_e32 v1, 25, v1
	v_lshrrev_b32_e32 v5, 4, v1
	v_and_or_b32 v19, v3, s16, 0.5
	v_or_b32_e32 v5, 0x70000000, v5
	v_add_f32_e32 v19, -0.5, v19
	v_mul_f32_e32 v5, 0x7800000, v5
	v_cmp_gt_u32_e32 vcc, s17, v1
	v_bfe_i32 v3, v3, 0, 16
	v_cndmask_b32_e32 v1, v5, v19, vcc
	v_and_or_b32 v1, v3, s18, v1
	v_trunc_f32_e32 v1, v1
	v_mul_f32_e32 v3, 0x2f800000, v1
	v_floor_f32_e32 v3, v3
	v_fmac_f32_e32 v1, 0xcf800000, v3
	v_cvt_u32_f32_e32 v19, v1
	v_cvt_u32_f32_e32 v20, v3
.LBB364_2287:
	s_mov_b64 s[16:17], 0
	s_mov_b64 s[18:19], -1
.LBB364_2288:
	s_andn2_b64 vcc, exec, s[16:17]
	s_mov_b64 s[16:17], 0
	s_cbranch_vccnz .LBB364_2297
; %bb.2289:
	s_cmp_gt_i32 s24, 14
	s_cbranch_scc0 .LBB364_2292
; %bb.2290:
	s_cmp_eq_u32 s24, 15
	s_cbranch_scc0 .LBB364_2293
; %bb.2291:
	global_load_ushort v1, v[21:22], off
	s_mov_b64 s[6:7], 0
	s_mov_b64 s[18:19], -1
	s_waitcnt vmcnt(0)
	v_lshlrev_b32_e32 v1, 16, v1
	v_trunc_f32_e32 v1, v1
	v_mul_f32_e32 v3, 0x2f800000, v1
	v_floor_f32_e32 v3, v3
	v_fmac_f32_e32 v1, 0xcf800000, v3
	v_cvt_u32_f32_e32 v19, v1
	v_cvt_u32_f32_e32 v20, v3
	s_branch .LBB364_2294
.LBB364_2292:
	s_mov_b64 s[20:21], -1
                                        ; implicit-def: $vgpr19_vgpr20
	s_branch .LBB364_2295
.LBB364_2293:
	s_mov_b64 s[6:7], -1
                                        ; implicit-def: $vgpr19_vgpr20
.LBB364_2294:
	s_mov_b64 s[20:21], 0
.LBB364_2295:
	s_and_b64 vcc, exec, s[20:21]
	s_cbranch_vccz .LBB364_2297
; %bb.2296:
	s_cmp_lg_u32 s24, 11
	s_mov_b64 s[16:17], -1
	s_cselect_b64 s[6:7], -1, 0
.LBB364_2297:
	s_and_b64 vcc, exec, s[6:7]
	s_cbranch_vccnz .LBB364_2362
; %bb.2298:
	s_andn2_b64 vcc, exec, s[16:17]
	s_cbranch_vccnz .LBB364_2300
.LBB364_2299:
	global_load_ubyte v1, v[21:22], off
	s_mov_b32 s6, 0
	s_waitcnt vmcnt(1)
	v_mov_b32_e32 v20, s6
	s_mov_b64 s[18:19], -1
	s_waitcnt vmcnt(0)
	v_cmp_ne_u16_e32 vcc, 0, v1
	v_cndmask_b32_e64 v19, 0, 1, vcc
.LBB364_2300:
	s_mov_b64 s[6:7], 0
.LBB364_2301:
	s_and_b64 vcc, exec, s[6:7]
	s_cbranch_vccz .LBB364_2350
; %bb.2302:
	s_and_b32 s16, 0xffff, s23
	s_cmp_lt_i32 s16, 5
	s_cbranch_scc1 .LBB364_2307
; %bb.2303:
	s_cmp_lt_i32 s16, 8
	s_cbranch_scc1 .LBB364_2308
; %bb.2304:
	;; [unrolled: 3-line block ×3, first 2 shown]
	s_cmp_gt_i32 s16, 9
	s_cbranch_scc0 .LBB364_2310
; %bb.2306:
	global_load_dwordx2 v[19:20], v[21:22], off
	s_movk_i32 s6, 0xffe0
	s_waitcnt vmcnt(0)
	v_trunc_f64_e32 v[19:20], v[19:20]
	v_ldexp_f64 v[23:24], v[19:20], s6
	s_mov_b32 s6, 0
	s_mov_b32 s7, 0xc1f00000
	v_floor_f64_e32 v[23:24], v[23:24]
	v_fma_f64 v[25:26], v[23:24], s[6:7], v[19:20]
	v_cvt_u32_f64_e32 v20, v[23:24]
	s_mov_b64 s[6:7], 0
	v_cvt_u32_f64_e32 v19, v[25:26]
	s_branch .LBB364_2311
.LBB364_2307:
	s_mov_b64 s[6:7], -1
                                        ; implicit-def: $vgpr19_vgpr20
	s_branch .LBB364_2329
.LBB364_2308:
	s_mov_b64 s[6:7], -1
                                        ; implicit-def: $vgpr19_vgpr20
	s_branch .LBB364_2317
.LBB364_2309:
	s_mov_b64 s[6:7], -1
                                        ; implicit-def: $vgpr19_vgpr20
	s_branch .LBB364_2314
.LBB364_2310:
	s_mov_b64 s[6:7], -1
                                        ; implicit-def: $vgpr19_vgpr20
.LBB364_2311:
	s_andn2_b64 vcc, exec, s[6:7]
	s_cbranch_vccnz .LBB364_2313
; %bb.2312:
	global_load_dword v1, v[21:22], off
	s_waitcnt vmcnt(0)
	v_trunc_f32_e32 v1, v1
	v_mul_f32_e32 v3, 0x2f800000, v1
	v_floor_f32_e32 v3, v3
	v_fmac_f32_e32 v1, 0xcf800000, v3
	v_cvt_u32_f32_e32 v20, v3
	v_cvt_u32_f32_e32 v19, v1
.LBB364_2313:
	s_mov_b64 s[6:7], 0
.LBB364_2314:
	s_andn2_b64 vcc, exec, s[6:7]
	s_cbranch_vccnz .LBB364_2316
; %bb.2315:
	global_load_dword v1, v[21:22], off
	s_waitcnt vmcnt(1)
	v_mov_b32_e32 v20, 0
	s_waitcnt vmcnt(0)
	v_cvt_f32_f16_e32 v1, v1
	v_cvt_u32_f32_e32 v19, v1
.LBB364_2316:
	s_mov_b64 s[6:7], 0
.LBB364_2317:
	s_andn2_b64 vcc, exec, s[6:7]
	s_cbranch_vccnz .LBB364_2328
; %bb.2318:
	s_cmp_lt_i32 s16, 6
	s_cbranch_scc1 .LBB364_2321
; %bb.2319:
	s_cmp_gt_i32 s16, 6
	s_cbranch_scc0 .LBB364_2322
; %bb.2320:
	global_load_dwordx2 v[19:20], v[21:22], off
	s_movk_i32 s6, 0xffe0
	s_waitcnt vmcnt(0)
	v_trunc_f64_e32 v[19:20], v[19:20]
	v_ldexp_f64 v[23:24], v[19:20], s6
	s_mov_b32 s6, 0
	s_mov_b32 s7, 0xc1f00000
	v_floor_f64_e32 v[23:24], v[23:24]
	v_fma_f64 v[25:26], v[23:24], s[6:7], v[19:20]
	v_cvt_u32_f64_e32 v20, v[23:24]
	s_mov_b64 s[6:7], 0
	v_cvt_u32_f64_e32 v19, v[25:26]
	s_branch .LBB364_2323
.LBB364_2321:
	s_mov_b64 s[6:7], -1
                                        ; implicit-def: $vgpr19_vgpr20
	s_branch .LBB364_2326
.LBB364_2322:
	s_mov_b64 s[6:7], -1
                                        ; implicit-def: $vgpr19_vgpr20
.LBB364_2323:
	s_andn2_b64 vcc, exec, s[6:7]
	s_cbranch_vccnz .LBB364_2325
; %bb.2324:
	global_load_dword v1, v[21:22], off
	s_waitcnt vmcnt(0)
	v_trunc_f32_e32 v1, v1
	v_mul_f32_e32 v3, 0x2f800000, v1
	v_floor_f32_e32 v3, v3
	v_fmac_f32_e32 v1, 0xcf800000, v3
	v_cvt_u32_f32_e32 v20, v3
	v_cvt_u32_f32_e32 v19, v1
.LBB364_2325:
	s_mov_b64 s[6:7], 0
.LBB364_2326:
	s_andn2_b64 vcc, exec, s[6:7]
	s_cbranch_vccnz .LBB364_2328
; %bb.2327:
	global_load_ushort v1, v[21:22], off
	s_waitcnt vmcnt(1)
	v_mov_b32_e32 v20, 0
	s_waitcnt vmcnt(0)
	v_cvt_f32_f16_e32 v1, v1
	v_cvt_u32_f32_e32 v19, v1
.LBB364_2328:
	s_mov_b64 s[6:7], 0
.LBB364_2329:
	s_andn2_b64 vcc, exec, s[6:7]
	s_cbranch_vccnz .LBB364_2349
; %bb.2330:
	s_cmp_lt_i32 s16, 2
	s_cbranch_scc1 .LBB364_2334
; %bb.2331:
	s_cmp_lt_i32 s16, 3
	s_cbranch_scc1 .LBB364_2335
; %bb.2332:
	s_cmp_gt_i32 s16, 3
	s_cbranch_scc0 .LBB364_2336
; %bb.2333:
	global_load_dwordx2 v[19:20], v[21:22], off
	s_mov_b64 s[6:7], 0
	s_branch .LBB364_2337
.LBB364_2334:
	s_mov_b64 s[6:7], -1
                                        ; implicit-def: $vgpr19_vgpr20
	s_branch .LBB364_2343
.LBB364_2335:
	s_mov_b64 s[6:7], -1
                                        ; implicit-def: $vgpr19_vgpr20
	s_branch .LBB364_2340
.LBB364_2336:
	s_mov_b64 s[6:7], -1
                                        ; implicit-def: $vgpr19_vgpr20
.LBB364_2337:
	s_andn2_b64 vcc, exec, s[6:7]
	s_cbranch_vccnz .LBB364_2339
; %bb.2338:
	global_load_dword v19, v[21:22], off
	s_waitcnt vmcnt(0)
	v_ashrrev_i32_e32 v20, 31, v19
.LBB364_2339:
	s_mov_b64 s[6:7], 0
.LBB364_2340:
	s_andn2_b64 vcc, exec, s[6:7]
	s_cbranch_vccnz .LBB364_2342
; %bb.2341:
	global_load_ushort v1, v[21:22], off
	s_waitcnt vmcnt(0)
	v_bfe_i32 v19, v1, 0, 16
	v_ashrrev_i32_e32 v20, 31, v19
.LBB364_2342:
	s_mov_b64 s[6:7], 0
.LBB364_2343:
	s_andn2_b64 vcc, exec, s[6:7]
	s_cbranch_vccnz .LBB364_2349
; %bb.2344:
	s_cmp_gt_i32 s16, 0
	s_cbranch_scc0 .LBB364_2346
; %bb.2345:
	global_load_sbyte v1, v[21:22], off
	s_mov_b64 s[6:7], 0
	s_waitcnt vmcnt(0)
	v_bfe_i32 v19, v1, 0, 16
	v_ashrrev_i32_e32 v20, 31, v19
	s_branch .LBB364_2347
.LBB364_2346:
	s_mov_b64 s[6:7], -1
                                        ; implicit-def: $vgpr19_vgpr20
.LBB364_2347:
	s_andn2_b64 vcc, exec, s[6:7]
	s_cbranch_vccnz .LBB364_2349
; %bb.2348:
	global_load_ubyte v1, v[21:22], off
	s_mov_b32 s6, 0
	s_waitcnt vmcnt(1)
	v_mov_b32_e32 v20, s6
	s_waitcnt vmcnt(0)
	v_and_b32_e32 v19, 0xffff, v1
.LBB364_2349:
	s_mov_b64 s[18:19], -1
.LBB364_2350:
	s_andn2_b64 vcc, exec, s[18:19]
	s_cbranch_vccnz .LBB364_3036
; %bb.2351:
	v_mov_b32_e32 v1, s11
	v_add_co_u32_e32 v23, vcc, s10, v14
	s_cmp_lt_i32 s22, 11
	v_addc_co_u32_e32 v24, vcc, 0, v1, vcc
	s_cbranch_scc1 .LBB364_2358
; %bb.2352:
	s_and_b32 s20, 0xffff, s22
	s_cmp_gt_i32 s20, 25
	s_mov_b64 s[10:11], 0
	s_cbranch_scc0 .LBB364_2359
; %bb.2353:
	s_cmp_gt_i32 s20, 28
	s_cbranch_scc0 .LBB364_2360
; %bb.2354:
	s_cmp_gt_i32 s20, 43
	;; [unrolled: 3-line block ×3, first 2 shown]
	s_cbranch_scc0 .LBB364_2363
; %bb.2356:
	s_cmp_eq_u32 s20, 46
	s_mov_b64 s[18:19], 0
	s_cbranch_scc0 .LBB364_2364
; %bb.2357:
	global_load_dword v1, v[23:24], off
	s_mov_b64 s[6:7], 0
	s_mov_b64 s[16:17], -1
	s_waitcnt vmcnt(0)
	v_lshlrev_b32_e32 v1, 16, v1
	v_trunc_f32_e32 v1, v1
	v_mul_f32_e32 v3, 0x2f800000, v1
	v_floor_f32_e32 v3, v3
	v_fmac_f32_e32 v1, 0xcf800000, v3
	v_cvt_u32_f32_e32 v21, v1
	v_cvt_u32_f32_e32 v22, v3
	s_branch .LBB364_2365
.LBB364_2358:
	s_mov_b64 s[6:7], -1
	s_mov_b64 s[16:17], 0
                                        ; implicit-def: $vgpr21_vgpr22
	s_branch .LBB364_2427
.LBB364_2359:
	s_mov_b64 s[18:19], -1
	s_mov_b64 s[16:17], 0
	s_mov_b64 s[6:7], 0
                                        ; implicit-def: $vgpr21_vgpr22
	s_branch .LBB364_2394
.LBB364_2360:
	s_mov_b64 s[18:19], -1
	s_mov_b64 s[16:17], 0
	s_mov_b64 s[6:7], 0
                                        ; implicit-def: $vgpr21_vgpr22
	s_branch .LBB364_2375
.LBB364_2361:
	s_mov_b64 s[18:19], -1
	s_mov_b64 s[16:17], 0
	s_mov_b64 s[6:7], 0
                                        ; implicit-def: $vgpr21_vgpr22
	s_branch .LBB364_2370
.LBB364_2362:
	s_trap 2
	s_or_b64 s[4:5], s[4:5], exec
	s_cbranch_execz .LBB364_2299
	s_branch .LBB364_2300
.LBB364_2363:
	s_mov_b64 s[18:19], -1
	s_mov_b64 s[16:17], 0
	s_mov_b64 s[6:7], 0
                                        ; implicit-def: $vgpr21_vgpr22
	s_branch .LBB364_2365
.LBB364_2364:
	s_mov_b64 s[6:7], -1
                                        ; implicit-def: $vgpr21_vgpr22
	s_mov_b64 s[16:17], 0
.LBB364_2365:
	s_and_b64 vcc, exec, s[18:19]
	s_cbranch_vccz .LBB364_2369
; %bb.2366:
	s_cmp_eq_u32 s20, 44
	s_cbranch_scc0 .LBB364_2368
; %bb.2367:
	global_load_ubyte v1, v[23:24], off
	s_mov_b64 s[6:7], 0
	s_mov_b64 s[16:17], -1
	s_waitcnt vmcnt(0)
	v_lshlrev_b32_e32 v3, 23, v1
	v_trunc_f32_e32 v3, v3
	v_mul_f32_e32 v5, 0x2f800000, v3
	v_floor_f32_e32 v5, v5
	v_fmac_f32_e32 v3, 0xcf800000, v5
	v_cvt_u32_f32_e32 v5, v5
	v_cvt_u32_f32_e32 v3, v3
	v_cmp_ne_u32_e32 vcc, 0, v1
	v_cndmask_b32_e32 v22, 0, v5, vcc
	v_cndmask_b32_e32 v21, 0, v3, vcc
	s_branch .LBB364_2369
.LBB364_2368:
	s_mov_b64 s[6:7], -1
                                        ; implicit-def: $vgpr21_vgpr22
.LBB364_2369:
	s_mov_b64 s[18:19], 0
.LBB364_2370:
	s_and_b64 vcc, exec, s[18:19]
	s_cbranch_vccz .LBB364_2374
; %bb.2371:
	s_cmp_eq_u32 s20, 29
	s_cbranch_scc0 .LBB364_2373
; %bb.2372:
	global_load_dwordx2 v[21:22], v[23:24], off
	s_mov_b64 s[6:7], 0
	s_mov_b64 s[16:17], -1
	s_branch .LBB364_2374
.LBB364_2373:
	s_mov_b64 s[6:7], -1
                                        ; implicit-def: $vgpr21_vgpr22
.LBB364_2374:
	s_mov_b64 s[18:19], 0
.LBB364_2375:
	s_and_b64 vcc, exec, s[18:19]
	s_cbranch_vccz .LBB364_2393
; %bb.2376:
	s_cmp_lt_i32 s20, 27
	s_cbranch_scc1 .LBB364_2379
; %bb.2377:
	s_cmp_gt_i32 s20, 27
	s_cbranch_scc0 .LBB364_2380
; %bb.2378:
	global_load_dword v21, v[23:24], off
	s_waitcnt vmcnt(1)
	v_mov_b32_e32 v22, 0
	s_mov_b64 s[16:17], 0
	s_branch .LBB364_2381
.LBB364_2379:
	s_mov_b64 s[16:17], -1
                                        ; implicit-def: $vgpr21_vgpr22
	s_branch .LBB364_2384
.LBB364_2380:
	s_mov_b64 s[16:17], -1
                                        ; implicit-def: $vgpr21_vgpr22
.LBB364_2381:
	s_andn2_b64 vcc, exec, s[16:17]
	s_cbranch_vccnz .LBB364_2383
; %bb.2382:
	global_load_ushort v1, v[23:24], off
	s_mov_b32 s16, 0
	s_waitcnt vmcnt(1)
	v_mov_b32_e32 v22, s16
	s_waitcnt vmcnt(0)
	v_and_b32_e32 v21, 0xffff, v1
.LBB364_2383:
	s_mov_b64 s[16:17], 0
.LBB364_2384:
	s_andn2_b64 vcc, exec, s[16:17]
	s_cbranch_vccnz .LBB364_2392
; %bb.2385:
	global_load_ubyte v1, v[23:24], off
	s_movk_i32 s16, 0x7f
	s_mov_b64 s[18:19], 0
	s_waitcnt vmcnt(0)
	v_cmp_lt_i16_e32 vcc, s16, v1
	s_and_saveexec_b64 s[16:17], vcc
	s_xor_b64 s[16:17], exec, s[16:17]
; %bb.2386:
	s_movk_i32 s18, 0x80
	v_cmp_ne_u16_e32 vcc, s18, v1
	s_and_b64 s[18:19], vcc, exec
; %bb.2387:
	s_andn2_saveexec_b64 s[16:17], s[16:17]
; %bb.2388:
	v_cmp_ne_u16_e32 vcc, 0, v1
	s_andn2_b64 s[18:19], s[18:19], exec
	s_and_b64 s[24:25], vcc, exec
	s_or_b64 s[18:19], s[18:19], s[24:25]
; %bb.2389:
	s_or_b64 exec, exec, s[16:17]
	v_mov_b32_e32 v21, 0
	v_mov_b32_e32 v22, 0
	s_and_saveexec_b64 s[16:17], s[18:19]
	s_cbranch_execz .LBB364_2391
; %bb.2390:
	v_lshlrev_b32_e32 v3, 24, v1
	v_and_b32_e32 v1, 0xffff, v1
	v_and_b32_e32 v5, 7, v1
	v_ffbh_u32_e32 v21, v5
	v_min_u32_e32 v21, 32, v21
	v_subrev_u32_e32 v22, 28, v21
	v_bfe_u32 v14, v1, 3, 4
	v_lshlrev_b32_e32 v1, v22, v1
	v_sub_u32_e32 v21, 29, v21
	v_and_b32_e32 v1, 7, v1
	v_cmp_eq_u32_e32 vcc, 0, v14
	v_cndmask_b32_e32 v14, v14, v21, vcc
	v_cndmask_b32_e32 v1, v5, v1, vcc
	v_mov_b32_e32 v5, 0x3b800000
	v_lshlrev_b32_e32 v1, 20, v1
	v_and_b32_e32 v3, 0x80000000, v3
	v_lshl_add_u32 v5, v14, 23, v5
	v_or3_b32 v1, v3, v5, v1
	v_trunc_f32_e32 v1, v1
	v_mul_f32_e32 v3, 0x2f800000, v1
	v_floor_f32_e32 v3, v3
	v_fmac_f32_e32 v1, 0xcf800000, v3
	v_cvt_u32_f32_e32 v21, v1
	v_cvt_u32_f32_e32 v22, v3
.LBB364_2391:
	s_or_b64 exec, exec, s[16:17]
.LBB364_2392:
	s_mov_b64 s[16:17], -1
.LBB364_2393:
	s_mov_b64 s[18:19], 0
.LBB364_2394:
	s_and_b64 vcc, exec, s[18:19]
	s_cbranch_vccz .LBB364_2423
; %bb.2395:
	s_cmp_gt_i32 s20, 22
	s_cbranch_scc0 .LBB364_2405
; %bb.2396:
	s_cmp_lt_i32 s20, 24
	s_cbranch_scc1 .LBB364_2406
; %bb.2397:
	s_cmp_gt_i32 s20, 24
	s_cbranch_scc0 .LBB364_2407
; %bb.2398:
	global_load_ubyte v1, v[23:24], off
	s_movk_i32 s10, 0x7f
	s_mov_b64 s[16:17], 0
	s_waitcnt vmcnt(0)
	v_cmp_lt_i16_e32 vcc, s10, v1
	s_and_saveexec_b64 s[10:11], vcc
	s_xor_b64 s[10:11], exec, s[10:11]
; %bb.2399:
	s_movk_i32 s16, 0x80
	v_cmp_ne_u16_e32 vcc, s16, v1
	s_and_b64 s[16:17], vcc, exec
; %bb.2400:
	s_andn2_saveexec_b64 s[10:11], s[10:11]
; %bb.2401:
	v_cmp_ne_u16_e32 vcc, 0, v1
	s_andn2_b64 s[16:17], s[16:17], exec
	s_and_b64 s[18:19], vcc, exec
	s_or_b64 s[16:17], s[16:17], s[18:19]
; %bb.2402:
	s_or_b64 exec, exec, s[10:11]
	v_mov_b32_e32 v21, 0
	v_mov_b32_e32 v22, 0
	s_and_saveexec_b64 s[10:11], s[16:17]
	s_cbranch_execz .LBB364_2404
; %bb.2403:
	v_lshlrev_b32_e32 v3, 24, v1
	v_and_b32_e32 v1, 0xffff, v1
	v_and_b32_e32 v5, 3, v1
	v_ffbh_u32_e32 v21, v5
	v_min_u32_e32 v21, 32, v21
	v_subrev_u32_e32 v22, 29, v21
	v_bfe_u32 v14, v1, 2, 5
	v_lshlrev_b32_e32 v1, v22, v1
	v_sub_u32_e32 v21, 30, v21
	v_and_b32_e32 v1, 3, v1
	v_cmp_eq_u32_e32 vcc, 0, v14
	v_cndmask_b32_e32 v14, v14, v21, vcc
	v_cndmask_b32_e32 v1, v5, v1, vcc
	v_mov_b32_e32 v5, 0x37800000
	v_lshlrev_b32_e32 v1, 21, v1
	v_and_b32_e32 v3, 0x80000000, v3
	v_lshl_add_u32 v5, v14, 23, v5
	v_or3_b32 v1, v3, v5, v1
	v_trunc_f32_e32 v1, v1
	v_mul_f32_e32 v3, 0x2f800000, v1
	v_floor_f32_e32 v3, v3
	v_fmac_f32_e32 v1, 0xcf800000, v3
	v_cvt_u32_f32_e32 v21, v1
	v_cvt_u32_f32_e32 v22, v3
.LBB364_2404:
	s_or_b64 exec, exec, s[10:11]
	s_mov_b64 s[10:11], 0
	s_branch .LBB364_2408
.LBB364_2405:
	s_mov_b64 s[10:11], -1
                                        ; implicit-def: $vgpr21_vgpr22
	s_branch .LBB364_2414
.LBB364_2406:
	s_mov_b64 s[10:11], -1
                                        ; implicit-def: $vgpr21_vgpr22
	s_branch .LBB364_2411
.LBB364_2407:
	s_mov_b64 s[10:11], -1
                                        ; implicit-def: $vgpr21_vgpr22
.LBB364_2408:
	s_and_b64 vcc, exec, s[10:11]
	s_cbranch_vccz .LBB364_2410
; %bb.2409:
	global_load_ubyte v1, v[23:24], off
	s_mov_b32 s10, 0x7f800000
	s_brev_b32 s11, 1
	s_waitcnt vmcnt(0)
	v_lshlrev_b32_e32 v1, 24, v1
	v_and_b32_e32 v3, 0x7f000000, v1
	v_ffbh_u32_e32 v5, v3
	v_min_u32_e32 v5, 32, v5
	v_sub_u32_e64 v5, v5, 4 clamp
	v_lshlrev_b32_e32 v21, v5, v3
	v_lshlrev_b32_e32 v5, 23, v5
	v_lshrrev_b32_e32 v21, 4, v21
	v_add_u32_e32 v14, 0x1000000, v3
	v_sub_u32_e32 v5, v21, v5
	v_ashrrev_i32_e32 v14, 8, v14
	v_add_u32_e32 v5, 0x3c000000, v5
	v_and_or_b32 v5, v14, s10, v5
	v_cmp_ne_u32_e32 vcc, 0, v3
	v_cndmask_b32_e32 v3, 0, v5, vcc
	v_and_or_b32 v1, v1, s11, v3
	v_trunc_f32_e32 v1, v1
	v_mul_f32_e32 v3, 0x2f800000, v1
	v_floor_f32_e32 v3, v3
	v_fmac_f32_e32 v1, 0xcf800000, v3
	v_cvt_u32_f32_e32 v21, v1
	v_cvt_u32_f32_e32 v22, v3
.LBB364_2410:
	s_mov_b64 s[10:11], 0
.LBB364_2411:
	s_andn2_b64 vcc, exec, s[10:11]
	s_cbranch_vccnz .LBB364_2413
; %bb.2412:
	global_load_ubyte v1, v[23:24], off
	s_movk_i32 s10, 0x7f00
	s_brev_b32 s11, 16
	s_brev_b32 s16, 1
	s_waitcnt vmcnt(0)
	v_lshlrev_b16_e32 v3, 8, v1
	v_lshlrev_b32_e32 v1, 25, v1
	v_lshrrev_b32_e32 v5, 4, v1
	v_and_or_b32 v14, v3, s10, 0.5
	v_or_b32_e32 v5, 0x70000000, v5
	v_add_f32_e32 v14, -0.5, v14
	v_mul_f32_e32 v5, 0x7800000, v5
	v_cmp_gt_u32_e32 vcc, s11, v1
	v_bfe_i32 v3, v3, 0, 16
	v_cndmask_b32_e32 v1, v5, v14, vcc
	v_and_or_b32 v1, v3, s16, v1
	v_trunc_f32_e32 v1, v1
	v_mul_f32_e32 v3, 0x2f800000, v1
	v_floor_f32_e32 v3, v3
	v_fmac_f32_e32 v1, 0xcf800000, v3
	v_cvt_u32_f32_e32 v21, v1
	v_cvt_u32_f32_e32 v22, v3
.LBB364_2413:
	s_mov_b64 s[10:11], 0
	s_mov_b64 s[16:17], -1
.LBB364_2414:
	s_andn2_b64 vcc, exec, s[10:11]
	s_mov_b64 s[10:11], 0
	s_cbranch_vccnz .LBB364_2423
; %bb.2415:
	s_cmp_gt_i32 s20, 14
	s_cbranch_scc0 .LBB364_2418
; %bb.2416:
	s_cmp_eq_u32 s20, 15
	s_cbranch_scc0 .LBB364_2419
; %bb.2417:
	global_load_ushort v1, v[23:24], off
	s_mov_b64 s[6:7], 0
	s_mov_b64 s[16:17], -1
	s_waitcnt vmcnt(0)
	v_lshlrev_b32_e32 v1, 16, v1
	v_trunc_f32_e32 v1, v1
	v_mul_f32_e32 v3, 0x2f800000, v1
	v_floor_f32_e32 v3, v3
	v_fmac_f32_e32 v1, 0xcf800000, v3
	v_cvt_u32_f32_e32 v21, v1
	v_cvt_u32_f32_e32 v22, v3
	s_branch .LBB364_2420
.LBB364_2418:
	s_mov_b64 s[18:19], -1
                                        ; implicit-def: $vgpr21_vgpr22
	s_branch .LBB364_2421
.LBB364_2419:
	s_mov_b64 s[6:7], -1
                                        ; implicit-def: $vgpr21_vgpr22
.LBB364_2420:
	s_mov_b64 s[18:19], 0
.LBB364_2421:
	s_and_b64 vcc, exec, s[18:19]
	s_cbranch_vccz .LBB364_2423
; %bb.2422:
	s_cmp_lg_u32 s20, 11
	s_mov_b64 s[10:11], -1
	s_cselect_b64 s[6:7], -1, 0
.LBB364_2423:
	s_and_b64 vcc, exec, s[6:7]
	s_cbranch_vccnz .LBB364_2488
; %bb.2424:
	s_andn2_b64 vcc, exec, s[10:11]
	s_cbranch_vccnz .LBB364_2426
.LBB364_2425:
	global_load_ubyte v1, v[23:24], off
	s_mov_b32 s6, 0
	s_waitcnt vmcnt(1)
	v_mov_b32_e32 v22, s6
	s_mov_b64 s[16:17], -1
	s_waitcnt vmcnt(0)
	v_cmp_ne_u16_e32 vcc, 0, v1
	v_cndmask_b32_e64 v21, 0, 1, vcc
.LBB364_2426:
	s_mov_b64 s[6:7], 0
.LBB364_2427:
	s_and_b64 vcc, exec, s[6:7]
	s_cbranch_vccz .LBB364_2476
; %bb.2428:
	s_and_b32 s10, 0xffff, s22
	s_cmp_lt_i32 s10, 5
	s_cbranch_scc1 .LBB364_2433
; %bb.2429:
	s_cmp_lt_i32 s10, 8
	s_cbranch_scc1 .LBB364_2434
; %bb.2430:
	;; [unrolled: 3-line block ×3, first 2 shown]
	s_cmp_gt_i32 s10, 9
	s_cbranch_scc0 .LBB364_2436
; %bb.2432:
	global_load_dwordx2 v[21:22], v[23:24], off
	s_movk_i32 s6, 0xffe0
	s_waitcnt vmcnt(0)
	v_trunc_f64_e32 v[21:22], v[21:22]
	v_ldexp_f64 v[25:26], v[21:22], s6
	s_mov_b32 s6, 0
	s_mov_b32 s7, 0xc1f00000
	v_floor_f64_e32 v[25:26], v[25:26]
	v_fma_f64 v[27:28], v[25:26], s[6:7], v[21:22]
	v_cvt_u32_f64_e32 v22, v[25:26]
	s_mov_b64 s[6:7], 0
	v_cvt_u32_f64_e32 v21, v[27:28]
	s_branch .LBB364_2437
.LBB364_2433:
	s_mov_b64 s[6:7], -1
                                        ; implicit-def: $vgpr21_vgpr22
	s_branch .LBB364_2455
.LBB364_2434:
	s_mov_b64 s[6:7], -1
                                        ; implicit-def: $vgpr21_vgpr22
	s_branch .LBB364_2443
.LBB364_2435:
	s_mov_b64 s[6:7], -1
                                        ; implicit-def: $vgpr21_vgpr22
	s_branch .LBB364_2440
.LBB364_2436:
	s_mov_b64 s[6:7], -1
                                        ; implicit-def: $vgpr21_vgpr22
.LBB364_2437:
	s_andn2_b64 vcc, exec, s[6:7]
	s_cbranch_vccnz .LBB364_2439
; %bb.2438:
	global_load_dword v1, v[23:24], off
	s_waitcnt vmcnt(0)
	v_trunc_f32_e32 v1, v1
	v_mul_f32_e32 v3, 0x2f800000, v1
	v_floor_f32_e32 v3, v3
	v_fmac_f32_e32 v1, 0xcf800000, v3
	v_cvt_u32_f32_e32 v22, v3
	v_cvt_u32_f32_e32 v21, v1
.LBB364_2439:
	s_mov_b64 s[6:7], 0
.LBB364_2440:
	s_andn2_b64 vcc, exec, s[6:7]
	s_cbranch_vccnz .LBB364_2442
; %bb.2441:
	global_load_dword v1, v[23:24], off
	s_waitcnt vmcnt(1)
	v_mov_b32_e32 v22, 0
	s_waitcnt vmcnt(0)
	v_cvt_f32_f16_e32 v1, v1
	v_cvt_u32_f32_e32 v21, v1
.LBB364_2442:
	s_mov_b64 s[6:7], 0
.LBB364_2443:
	s_andn2_b64 vcc, exec, s[6:7]
	s_cbranch_vccnz .LBB364_2454
; %bb.2444:
	s_cmp_lt_i32 s10, 6
	s_cbranch_scc1 .LBB364_2447
; %bb.2445:
	s_cmp_gt_i32 s10, 6
	s_cbranch_scc0 .LBB364_2448
; %bb.2446:
	global_load_dwordx2 v[21:22], v[23:24], off
	s_movk_i32 s6, 0xffe0
	s_waitcnt vmcnt(0)
	v_trunc_f64_e32 v[21:22], v[21:22]
	v_ldexp_f64 v[25:26], v[21:22], s6
	s_mov_b32 s6, 0
	s_mov_b32 s7, 0xc1f00000
	v_floor_f64_e32 v[25:26], v[25:26]
	v_fma_f64 v[27:28], v[25:26], s[6:7], v[21:22]
	v_cvt_u32_f64_e32 v22, v[25:26]
	s_mov_b64 s[6:7], 0
	v_cvt_u32_f64_e32 v21, v[27:28]
	s_branch .LBB364_2449
.LBB364_2447:
	s_mov_b64 s[6:7], -1
                                        ; implicit-def: $vgpr21_vgpr22
	s_branch .LBB364_2452
.LBB364_2448:
	s_mov_b64 s[6:7], -1
                                        ; implicit-def: $vgpr21_vgpr22
.LBB364_2449:
	s_andn2_b64 vcc, exec, s[6:7]
	s_cbranch_vccnz .LBB364_2451
; %bb.2450:
	global_load_dword v1, v[23:24], off
	s_waitcnt vmcnt(0)
	v_trunc_f32_e32 v1, v1
	v_mul_f32_e32 v3, 0x2f800000, v1
	v_floor_f32_e32 v3, v3
	v_fmac_f32_e32 v1, 0xcf800000, v3
	v_cvt_u32_f32_e32 v22, v3
	v_cvt_u32_f32_e32 v21, v1
.LBB364_2451:
	s_mov_b64 s[6:7], 0
.LBB364_2452:
	s_andn2_b64 vcc, exec, s[6:7]
	s_cbranch_vccnz .LBB364_2454
; %bb.2453:
	global_load_ushort v1, v[23:24], off
	s_waitcnt vmcnt(1)
	v_mov_b32_e32 v22, 0
	s_waitcnt vmcnt(0)
	v_cvt_f32_f16_e32 v1, v1
	v_cvt_u32_f32_e32 v21, v1
.LBB364_2454:
	s_mov_b64 s[6:7], 0
.LBB364_2455:
	s_andn2_b64 vcc, exec, s[6:7]
	s_cbranch_vccnz .LBB364_2475
; %bb.2456:
	s_cmp_lt_i32 s10, 2
	s_cbranch_scc1 .LBB364_2460
; %bb.2457:
	s_cmp_lt_i32 s10, 3
	s_cbranch_scc1 .LBB364_2461
; %bb.2458:
	s_cmp_gt_i32 s10, 3
	s_cbranch_scc0 .LBB364_2462
; %bb.2459:
	global_load_dwordx2 v[21:22], v[23:24], off
	s_mov_b64 s[6:7], 0
	s_branch .LBB364_2463
.LBB364_2460:
	s_mov_b64 s[6:7], -1
                                        ; implicit-def: $vgpr21_vgpr22
	s_branch .LBB364_2469
.LBB364_2461:
	s_mov_b64 s[6:7], -1
                                        ; implicit-def: $vgpr21_vgpr22
	s_branch .LBB364_2466
.LBB364_2462:
	s_mov_b64 s[6:7], -1
                                        ; implicit-def: $vgpr21_vgpr22
.LBB364_2463:
	s_andn2_b64 vcc, exec, s[6:7]
	s_cbranch_vccnz .LBB364_2465
; %bb.2464:
	global_load_dword v21, v[23:24], off
	s_waitcnt vmcnt(0)
	v_ashrrev_i32_e32 v22, 31, v21
.LBB364_2465:
	s_mov_b64 s[6:7], 0
.LBB364_2466:
	s_andn2_b64 vcc, exec, s[6:7]
	s_cbranch_vccnz .LBB364_2468
; %bb.2467:
	global_load_ushort v1, v[23:24], off
	s_waitcnt vmcnt(0)
	v_bfe_i32 v21, v1, 0, 16
	v_ashrrev_i32_e32 v22, 31, v21
.LBB364_2468:
	s_mov_b64 s[6:7], 0
.LBB364_2469:
	s_andn2_b64 vcc, exec, s[6:7]
	s_cbranch_vccnz .LBB364_2475
; %bb.2470:
	s_cmp_gt_i32 s10, 0
	s_cbranch_scc0 .LBB364_2472
; %bb.2471:
	global_load_sbyte v1, v[23:24], off
	s_mov_b64 s[6:7], 0
	s_waitcnt vmcnt(0)
	v_bfe_i32 v21, v1, 0, 16
	v_ashrrev_i32_e32 v22, 31, v21
	s_branch .LBB364_2473
.LBB364_2472:
	s_mov_b64 s[6:7], -1
                                        ; implicit-def: $vgpr21_vgpr22
.LBB364_2473:
	s_andn2_b64 vcc, exec, s[6:7]
	s_cbranch_vccnz .LBB364_2475
; %bb.2474:
	global_load_ubyte v1, v[23:24], off
	s_mov_b32 s6, 0
	s_waitcnt vmcnt(1)
	v_mov_b32_e32 v22, s6
	s_waitcnt vmcnt(0)
	v_and_b32_e32 v21, 0xffff, v1
.LBB364_2475:
	s_mov_b64 s[16:17], -1
.LBB364_2476:
	s_andn2_b64 vcc, exec, s[16:17]
	s_cbranch_vccnz .LBB364_3036
; %bb.2477:
	v_mov_b32_e32 v1, s1
	v_add_co_u32_e32 v25, vcc, s0, v9
	s_cmp_lt_i32 s23, 11
	v_addc_co_u32_e32 v26, vcc, 0, v1, vcc
	s_cbranch_scc1 .LBB364_2484
; %bb.2478:
	s_and_b32 s18, 0xffff, s23
	s_cmp_gt_i32 s18, 25
	s_mov_b64 s[6:7], 0
	s_cbranch_scc0 .LBB364_2485
; %bb.2479:
	s_cmp_gt_i32 s18, 28
	s_cbranch_scc0 .LBB364_2486
; %bb.2480:
	s_cmp_gt_i32 s18, 43
	;; [unrolled: 3-line block ×3, first 2 shown]
	s_cbranch_scc0 .LBB364_2489
; %bb.2482:
	s_cmp_eq_u32 s18, 46
	s_mov_b64 s[16:17], 0
	s_cbranch_scc0 .LBB364_2490
; %bb.2483:
	global_load_dword v1, v[25:26], off
	s_mov_b64 s[0:1], 0
	s_mov_b64 s[10:11], -1
	s_waitcnt vmcnt(0)
	v_lshlrev_b32_e32 v1, 16, v1
	v_trunc_f32_e32 v1, v1
	v_mul_f32_e32 v3, 0x2f800000, v1
	v_floor_f32_e32 v3, v3
	v_fmac_f32_e32 v1, 0xcf800000, v3
	v_cvt_u32_f32_e32 v23, v1
	v_cvt_u32_f32_e32 v24, v3
	s_branch .LBB364_2491
.LBB364_2484:
	s_mov_b64 s[0:1], -1
	s_mov_b64 s[10:11], 0
                                        ; implicit-def: $vgpr23_vgpr24
	s_branch .LBB364_2553
.LBB364_2485:
	s_mov_b64 s[16:17], -1
	s_mov_b64 s[10:11], 0
	s_mov_b64 s[0:1], 0
                                        ; implicit-def: $vgpr23_vgpr24
	s_branch .LBB364_2520
.LBB364_2486:
	s_mov_b64 s[16:17], -1
	s_mov_b64 s[10:11], 0
	s_mov_b64 s[0:1], 0
                                        ; implicit-def: $vgpr23_vgpr24
	s_branch .LBB364_2501
.LBB364_2487:
	s_mov_b64 s[16:17], -1
	s_mov_b64 s[10:11], 0
	s_mov_b64 s[0:1], 0
                                        ; implicit-def: $vgpr23_vgpr24
	s_branch .LBB364_2496
.LBB364_2488:
	s_trap 2
	s_or_b64 s[4:5], s[4:5], exec
	s_cbranch_execz .LBB364_2425
	s_branch .LBB364_2426
.LBB364_2489:
	s_mov_b64 s[16:17], -1
	s_mov_b64 s[10:11], 0
	s_mov_b64 s[0:1], 0
                                        ; implicit-def: $vgpr23_vgpr24
	s_branch .LBB364_2491
.LBB364_2490:
	s_mov_b64 s[0:1], -1
                                        ; implicit-def: $vgpr23_vgpr24
	s_mov_b64 s[10:11], 0
.LBB364_2491:
	s_and_b64 vcc, exec, s[16:17]
	s_cbranch_vccz .LBB364_2495
; %bb.2492:
	s_cmp_eq_u32 s18, 44
	s_cbranch_scc0 .LBB364_2494
; %bb.2493:
	global_load_ubyte v1, v[25:26], off
	s_mov_b64 s[0:1], 0
	s_mov_b64 s[10:11], -1
	s_waitcnt vmcnt(0)
	v_lshlrev_b32_e32 v3, 23, v1
	v_trunc_f32_e32 v3, v3
	v_mul_f32_e32 v5, 0x2f800000, v3
	v_floor_f32_e32 v5, v5
	v_fmac_f32_e32 v3, 0xcf800000, v5
	v_cvt_u32_f32_e32 v5, v5
	v_cvt_u32_f32_e32 v3, v3
	v_cmp_ne_u32_e32 vcc, 0, v1
	v_cndmask_b32_e32 v24, 0, v5, vcc
	v_cndmask_b32_e32 v23, 0, v3, vcc
	s_branch .LBB364_2495
.LBB364_2494:
	s_mov_b64 s[0:1], -1
                                        ; implicit-def: $vgpr23_vgpr24
.LBB364_2495:
	s_mov_b64 s[16:17], 0
.LBB364_2496:
	s_and_b64 vcc, exec, s[16:17]
	s_cbranch_vccz .LBB364_2500
; %bb.2497:
	s_cmp_eq_u32 s18, 29
	s_cbranch_scc0 .LBB364_2499
; %bb.2498:
	global_load_dwordx2 v[23:24], v[25:26], off
	s_mov_b64 s[0:1], 0
	s_mov_b64 s[10:11], -1
	s_branch .LBB364_2500
.LBB364_2499:
	s_mov_b64 s[0:1], -1
                                        ; implicit-def: $vgpr23_vgpr24
.LBB364_2500:
	s_mov_b64 s[16:17], 0
.LBB364_2501:
	s_and_b64 vcc, exec, s[16:17]
	s_cbranch_vccz .LBB364_2519
; %bb.2502:
	s_cmp_lt_i32 s18, 27
	s_cbranch_scc1 .LBB364_2505
; %bb.2503:
	s_cmp_gt_i32 s18, 27
	s_cbranch_scc0 .LBB364_2506
; %bb.2504:
	global_load_dword v23, v[25:26], off
	s_waitcnt vmcnt(1)
	v_mov_b32_e32 v24, 0
	s_mov_b64 s[10:11], 0
	s_branch .LBB364_2507
.LBB364_2505:
	s_mov_b64 s[10:11], -1
                                        ; implicit-def: $vgpr23_vgpr24
	s_branch .LBB364_2510
.LBB364_2506:
	s_mov_b64 s[10:11], -1
                                        ; implicit-def: $vgpr23_vgpr24
.LBB364_2507:
	s_andn2_b64 vcc, exec, s[10:11]
	s_cbranch_vccnz .LBB364_2509
; %bb.2508:
	global_load_ushort v1, v[25:26], off
	s_mov_b32 s10, 0
	s_waitcnt vmcnt(1)
	v_mov_b32_e32 v24, s10
	s_waitcnt vmcnt(0)
	v_and_b32_e32 v23, 0xffff, v1
.LBB364_2509:
	s_mov_b64 s[10:11], 0
.LBB364_2510:
	s_andn2_b64 vcc, exec, s[10:11]
	s_cbranch_vccnz .LBB364_2518
; %bb.2511:
	global_load_ubyte v1, v[25:26], off
	s_movk_i32 s10, 0x7f
	s_mov_b64 s[16:17], 0
	s_waitcnt vmcnt(0)
	v_cmp_lt_i16_e32 vcc, s10, v1
	s_and_saveexec_b64 s[10:11], vcc
	s_xor_b64 s[10:11], exec, s[10:11]
; %bb.2512:
	s_movk_i32 s16, 0x80
	v_cmp_ne_u16_e32 vcc, s16, v1
	s_and_b64 s[16:17], vcc, exec
; %bb.2513:
	s_andn2_saveexec_b64 s[10:11], s[10:11]
; %bb.2514:
	v_cmp_ne_u16_e32 vcc, 0, v1
	s_andn2_b64 s[16:17], s[16:17], exec
	s_and_b64 s[20:21], vcc, exec
	s_or_b64 s[16:17], s[16:17], s[20:21]
; %bb.2515:
	s_or_b64 exec, exec, s[10:11]
	v_mov_b32_e32 v23, 0
	v_mov_b32_e32 v24, 0
	s_and_saveexec_b64 s[10:11], s[16:17]
	s_cbranch_execz .LBB364_2517
; %bb.2516:
	v_lshlrev_b32_e32 v3, 24, v1
	v_and_b32_e32 v1, 0xffff, v1
	v_and_b32_e32 v5, 7, v1
	v_ffbh_u32_e32 v14, v5
	v_min_u32_e32 v14, 32, v14
	v_subrev_u32_e32 v23, 28, v14
	v_bfe_u32 v9, v1, 3, 4
	v_lshlrev_b32_e32 v1, v23, v1
	v_sub_u32_e32 v14, 29, v14
	v_and_b32_e32 v1, 7, v1
	v_cmp_eq_u32_e32 vcc, 0, v9
	v_cndmask_b32_e32 v9, v9, v14, vcc
	v_cndmask_b32_e32 v1, v5, v1, vcc
	v_mov_b32_e32 v5, 0x3b800000
	v_lshlrev_b32_e32 v1, 20, v1
	v_and_b32_e32 v3, 0x80000000, v3
	v_lshl_add_u32 v5, v9, 23, v5
	v_or3_b32 v1, v3, v5, v1
	v_trunc_f32_e32 v1, v1
	v_mul_f32_e32 v3, 0x2f800000, v1
	v_floor_f32_e32 v3, v3
	v_fmac_f32_e32 v1, 0xcf800000, v3
	v_cvt_u32_f32_e32 v23, v1
	v_cvt_u32_f32_e32 v24, v3
.LBB364_2517:
	s_or_b64 exec, exec, s[10:11]
.LBB364_2518:
	s_mov_b64 s[10:11], -1
.LBB364_2519:
	s_mov_b64 s[16:17], 0
.LBB364_2520:
	s_and_b64 vcc, exec, s[16:17]
	s_cbranch_vccz .LBB364_2549
; %bb.2521:
	s_cmp_gt_i32 s18, 22
	s_cbranch_scc0 .LBB364_2531
; %bb.2522:
	s_cmp_lt_i32 s18, 24
	s_cbranch_scc1 .LBB364_2532
; %bb.2523:
	s_cmp_gt_i32 s18, 24
	s_cbranch_scc0 .LBB364_2533
; %bb.2524:
	global_load_ubyte v1, v[25:26], off
	s_movk_i32 s6, 0x7f
	s_mov_b64 s[10:11], 0
	s_waitcnt vmcnt(0)
	v_cmp_lt_i16_e32 vcc, s6, v1
	s_and_saveexec_b64 s[6:7], vcc
	s_xor_b64 s[6:7], exec, s[6:7]
; %bb.2525:
	s_movk_i32 s10, 0x80
	v_cmp_ne_u16_e32 vcc, s10, v1
	s_and_b64 s[10:11], vcc, exec
; %bb.2526:
	s_andn2_saveexec_b64 s[6:7], s[6:7]
; %bb.2527:
	v_cmp_ne_u16_e32 vcc, 0, v1
	s_andn2_b64 s[10:11], s[10:11], exec
	s_and_b64 s[16:17], vcc, exec
	s_or_b64 s[10:11], s[10:11], s[16:17]
; %bb.2528:
	s_or_b64 exec, exec, s[6:7]
	v_mov_b32_e32 v23, 0
	v_mov_b32_e32 v24, 0
	s_and_saveexec_b64 s[6:7], s[10:11]
	s_cbranch_execz .LBB364_2530
; %bb.2529:
	v_lshlrev_b32_e32 v3, 24, v1
	v_and_b32_e32 v1, 0xffff, v1
	v_and_b32_e32 v5, 3, v1
	v_ffbh_u32_e32 v14, v5
	v_min_u32_e32 v14, 32, v14
	v_subrev_u32_e32 v23, 29, v14
	v_bfe_u32 v9, v1, 2, 5
	v_lshlrev_b32_e32 v1, v23, v1
	v_sub_u32_e32 v14, 30, v14
	v_and_b32_e32 v1, 3, v1
	v_cmp_eq_u32_e32 vcc, 0, v9
	v_cndmask_b32_e32 v9, v9, v14, vcc
	v_cndmask_b32_e32 v1, v5, v1, vcc
	v_mov_b32_e32 v5, 0x37800000
	v_lshlrev_b32_e32 v1, 21, v1
	v_and_b32_e32 v3, 0x80000000, v3
	v_lshl_add_u32 v5, v9, 23, v5
	v_or3_b32 v1, v3, v5, v1
	v_trunc_f32_e32 v1, v1
	v_mul_f32_e32 v3, 0x2f800000, v1
	v_floor_f32_e32 v3, v3
	v_fmac_f32_e32 v1, 0xcf800000, v3
	v_cvt_u32_f32_e32 v23, v1
	v_cvt_u32_f32_e32 v24, v3
.LBB364_2530:
	s_or_b64 exec, exec, s[6:7]
	s_mov_b64 s[6:7], 0
	s_branch .LBB364_2534
.LBB364_2531:
	s_mov_b64 s[6:7], -1
                                        ; implicit-def: $vgpr23_vgpr24
	s_branch .LBB364_2540
.LBB364_2532:
	s_mov_b64 s[6:7], -1
                                        ; implicit-def: $vgpr23_vgpr24
	s_branch .LBB364_2537
.LBB364_2533:
	s_mov_b64 s[6:7], -1
                                        ; implicit-def: $vgpr23_vgpr24
.LBB364_2534:
	s_and_b64 vcc, exec, s[6:7]
	s_cbranch_vccz .LBB364_2536
; %bb.2535:
	global_load_ubyte v1, v[25:26], off
	s_mov_b32 s6, 0x7f800000
	s_brev_b32 s7, 1
	s_waitcnt vmcnt(0)
	v_lshlrev_b32_e32 v1, 24, v1
	v_and_b32_e32 v3, 0x7f000000, v1
	v_ffbh_u32_e32 v5, v3
	v_min_u32_e32 v5, 32, v5
	v_sub_u32_e64 v5, v5, 4 clamp
	v_lshlrev_b32_e32 v14, v5, v3
	v_lshlrev_b32_e32 v5, 23, v5
	v_lshrrev_b32_e32 v14, 4, v14
	v_add_u32_e32 v9, 0x1000000, v3
	v_sub_u32_e32 v5, v14, v5
	v_ashrrev_i32_e32 v9, 8, v9
	v_add_u32_e32 v5, 0x3c000000, v5
	v_and_or_b32 v5, v9, s6, v5
	v_cmp_ne_u32_e32 vcc, 0, v3
	v_cndmask_b32_e32 v3, 0, v5, vcc
	v_and_or_b32 v1, v1, s7, v3
	v_trunc_f32_e32 v1, v1
	v_mul_f32_e32 v3, 0x2f800000, v1
	v_floor_f32_e32 v3, v3
	v_fmac_f32_e32 v1, 0xcf800000, v3
	v_cvt_u32_f32_e32 v23, v1
	v_cvt_u32_f32_e32 v24, v3
.LBB364_2536:
	s_mov_b64 s[6:7], 0
.LBB364_2537:
	s_andn2_b64 vcc, exec, s[6:7]
	s_cbranch_vccnz .LBB364_2539
; %bb.2538:
	global_load_ubyte v1, v[25:26], off
	s_movk_i32 s6, 0x7f00
	s_brev_b32 s7, 16
	s_brev_b32 s10, 1
	s_waitcnt vmcnt(0)
	v_lshlrev_b16_e32 v3, 8, v1
	v_lshlrev_b32_e32 v1, 25, v1
	v_lshrrev_b32_e32 v5, 4, v1
	v_and_or_b32 v9, v3, s6, 0.5
	v_or_b32_e32 v5, 0x70000000, v5
	v_add_f32_e32 v9, -0.5, v9
	v_mul_f32_e32 v5, 0x7800000, v5
	v_cmp_gt_u32_e32 vcc, s7, v1
	v_bfe_i32 v3, v3, 0, 16
	v_cndmask_b32_e32 v1, v5, v9, vcc
	v_and_or_b32 v1, v3, s10, v1
	v_trunc_f32_e32 v1, v1
	v_mul_f32_e32 v3, 0x2f800000, v1
	v_floor_f32_e32 v3, v3
	v_fmac_f32_e32 v1, 0xcf800000, v3
	v_cvt_u32_f32_e32 v23, v1
	v_cvt_u32_f32_e32 v24, v3
.LBB364_2539:
	s_mov_b64 s[6:7], 0
	s_mov_b64 s[10:11], -1
.LBB364_2540:
	s_andn2_b64 vcc, exec, s[6:7]
	s_mov_b64 s[6:7], 0
	s_cbranch_vccnz .LBB364_2549
; %bb.2541:
	s_cmp_gt_i32 s18, 14
	s_cbranch_scc0 .LBB364_2544
; %bb.2542:
	s_cmp_eq_u32 s18, 15
	s_cbranch_scc0 .LBB364_2545
; %bb.2543:
	global_load_ushort v1, v[25:26], off
	s_mov_b64 s[0:1], 0
	s_mov_b64 s[10:11], -1
	s_waitcnt vmcnt(0)
	v_lshlrev_b32_e32 v1, 16, v1
	v_trunc_f32_e32 v1, v1
	v_mul_f32_e32 v3, 0x2f800000, v1
	v_floor_f32_e32 v3, v3
	v_fmac_f32_e32 v1, 0xcf800000, v3
	v_cvt_u32_f32_e32 v23, v1
	v_cvt_u32_f32_e32 v24, v3
	s_branch .LBB364_2546
.LBB364_2544:
	s_mov_b64 s[16:17], -1
                                        ; implicit-def: $vgpr23_vgpr24
	s_branch .LBB364_2547
.LBB364_2545:
	s_mov_b64 s[0:1], -1
                                        ; implicit-def: $vgpr23_vgpr24
.LBB364_2546:
	s_mov_b64 s[16:17], 0
.LBB364_2547:
	s_and_b64 vcc, exec, s[16:17]
	s_cbranch_vccz .LBB364_2549
; %bb.2548:
	s_cmp_lg_u32 s18, 11
	s_mov_b64 s[6:7], -1
	s_cselect_b64 s[0:1], -1, 0
.LBB364_2549:
	s_and_b64 vcc, exec, s[0:1]
	s_cbranch_vccnz .LBB364_3082
; %bb.2550:
	s_andn2_b64 vcc, exec, s[6:7]
	s_cbranch_vccnz .LBB364_2552
.LBB364_2551:
	global_load_ubyte v1, v[25:26], off
	s_mov_b32 s0, 0
	s_waitcnt vmcnt(1)
	v_mov_b32_e32 v24, s0
	s_mov_b64 s[10:11], -1
	s_waitcnt vmcnt(0)
	v_cmp_ne_u16_e32 vcc, 0, v1
	v_cndmask_b32_e64 v23, 0, 1, vcc
.LBB364_2552:
	s_mov_b64 s[0:1], 0
.LBB364_2553:
	s_and_b64 vcc, exec, s[0:1]
	s_cbranch_vccz .LBB364_2602
; %bb.2554:
	s_and_b32 s6, 0xffff, s23
	s_cmp_lt_i32 s6, 5
	s_cbranch_scc1 .LBB364_2559
; %bb.2555:
	s_cmp_lt_i32 s6, 8
	s_cbranch_scc1 .LBB364_2560
; %bb.2556:
	;; [unrolled: 3-line block ×3, first 2 shown]
	s_cmp_gt_i32 s6, 9
	s_cbranch_scc0 .LBB364_2562
; %bb.2558:
	global_load_dwordx2 v[23:24], v[25:26], off
	s_movk_i32 s0, 0xffe0
	s_waitcnt vmcnt(0)
	v_trunc_f64_e32 v[23:24], v[23:24]
	v_ldexp_f64 v[27:28], v[23:24], s0
	s_mov_b32 s0, 0
	s_mov_b32 s1, 0xc1f00000
	v_floor_f64_e32 v[27:28], v[27:28]
	v_fma_f64 v[29:30], v[27:28], s[0:1], v[23:24]
	v_cvt_u32_f64_e32 v24, v[27:28]
	s_mov_b64 s[0:1], 0
	v_cvt_u32_f64_e32 v23, v[29:30]
	s_branch .LBB364_2563
.LBB364_2559:
	s_mov_b64 s[0:1], -1
                                        ; implicit-def: $vgpr23_vgpr24
	s_branch .LBB364_2581
.LBB364_2560:
	s_mov_b64 s[0:1], -1
                                        ; implicit-def: $vgpr23_vgpr24
	s_branch .LBB364_2569
.LBB364_2561:
	s_mov_b64 s[0:1], -1
                                        ; implicit-def: $vgpr23_vgpr24
	s_branch .LBB364_2566
.LBB364_2562:
	s_mov_b64 s[0:1], -1
                                        ; implicit-def: $vgpr23_vgpr24
.LBB364_2563:
	s_andn2_b64 vcc, exec, s[0:1]
	s_cbranch_vccnz .LBB364_2565
; %bb.2564:
	global_load_dword v1, v[25:26], off
	s_waitcnt vmcnt(0)
	v_trunc_f32_e32 v1, v1
	v_mul_f32_e32 v3, 0x2f800000, v1
	v_floor_f32_e32 v3, v3
	v_fmac_f32_e32 v1, 0xcf800000, v3
	v_cvt_u32_f32_e32 v24, v3
	v_cvt_u32_f32_e32 v23, v1
.LBB364_2565:
	s_mov_b64 s[0:1], 0
.LBB364_2566:
	s_andn2_b64 vcc, exec, s[0:1]
	s_cbranch_vccnz .LBB364_2568
; %bb.2567:
	global_load_dword v1, v[25:26], off
	s_waitcnt vmcnt(1)
	v_mov_b32_e32 v24, 0
	s_waitcnt vmcnt(0)
	v_cvt_f32_f16_e32 v1, v1
	v_cvt_u32_f32_e32 v23, v1
.LBB364_2568:
	s_mov_b64 s[0:1], 0
.LBB364_2569:
	s_andn2_b64 vcc, exec, s[0:1]
	s_cbranch_vccnz .LBB364_2580
; %bb.2570:
	s_cmp_lt_i32 s6, 6
	s_cbranch_scc1 .LBB364_2573
; %bb.2571:
	s_cmp_gt_i32 s6, 6
	s_cbranch_scc0 .LBB364_2574
; %bb.2572:
	global_load_dwordx2 v[23:24], v[25:26], off
	s_movk_i32 s0, 0xffe0
	s_waitcnt vmcnt(0)
	v_trunc_f64_e32 v[23:24], v[23:24]
	v_ldexp_f64 v[27:28], v[23:24], s0
	s_mov_b32 s0, 0
	s_mov_b32 s1, 0xc1f00000
	v_floor_f64_e32 v[27:28], v[27:28]
	v_fma_f64 v[29:30], v[27:28], s[0:1], v[23:24]
	v_cvt_u32_f64_e32 v24, v[27:28]
	s_mov_b64 s[0:1], 0
	v_cvt_u32_f64_e32 v23, v[29:30]
	s_branch .LBB364_2575
.LBB364_2573:
	s_mov_b64 s[0:1], -1
                                        ; implicit-def: $vgpr23_vgpr24
	s_branch .LBB364_2578
.LBB364_2574:
	s_mov_b64 s[0:1], -1
                                        ; implicit-def: $vgpr23_vgpr24
.LBB364_2575:
	s_andn2_b64 vcc, exec, s[0:1]
	s_cbranch_vccnz .LBB364_2577
; %bb.2576:
	global_load_dword v1, v[25:26], off
	s_waitcnt vmcnt(0)
	v_trunc_f32_e32 v1, v1
	v_mul_f32_e32 v3, 0x2f800000, v1
	v_floor_f32_e32 v3, v3
	v_fmac_f32_e32 v1, 0xcf800000, v3
	v_cvt_u32_f32_e32 v24, v3
	v_cvt_u32_f32_e32 v23, v1
.LBB364_2577:
	s_mov_b64 s[0:1], 0
.LBB364_2578:
	s_andn2_b64 vcc, exec, s[0:1]
	s_cbranch_vccnz .LBB364_2580
; %bb.2579:
	global_load_ushort v1, v[25:26], off
	s_waitcnt vmcnt(1)
	v_mov_b32_e32 v24, 0
	s_waitcnt vmcnt(0)
	v_cvt_f32_f16_e32 v1, v1
	v_cvt_u32_f32_e32 v23, v1
.LBB364_2580:
	s_mov_b64 s[0:1], 0
.LBB364_2581:
	s_andn2_b64 vcc, exec, s[0:1]
	s_cbranch_vccnz .LBB364_2601
; %bb.2582:
	s_cmp_lt_i32 s6, 2
	s_cbranch_scc1 .LBB364_2586
; %bb.2583:
	s_cmp_lt_i32 s6, 3
	s_cbranch_scc1 .LBB364_2587
; %bb.2584:
	s_cmp_gt_i32 s6, 3
	s_cbranch_scc0 .LBB364_2588
; %bb.2585:
	global_load_dwordx2 v[23:24], v[25:26], off
	s_mov_b64 s[0:1], 0
	s_branch .LBB364_2589
.LBB364_2586:
	s_mov_b64 s[0:1], -1
                                        ; implicit-def: $vgpr23_vgpr24
	s_branch .LBB364_2595
.LBB364_2587:
	s_mov_b64 s[0:1], -1
                                        ; implicit-def: $vgpr23_vgpr24
	s_branch .LBB364_2592
.LBB364_2588:
	s_mov_b64 s[0:1], -1
                                        ; implicit-def: $vgpr23_vgpr24
.LBB364_2589:
	s_andn2_b64 vcc, exec, s[0:1]
	s_cbranch_vccnz .LBB364_2591
; %bb.2590:
	global_load_dword v23, v[25:26], off
	s_waitcnt vmcnt(0)
	v_ashrrev_i32_e32 v24, 31, v23
.LBB364_2591:
	s_mov_b64 s[0:1], 0
.LBB364_2592:
	s_andn2_b64 vcc, exec, s[0:1]
	s_cbranch_vccnz .LBB364_2594
; %bb.2593:
	global_load_ushort v1, v[25:26], off
	s_waitcnt vmcnt(0)
	v_bfe_i32 v23, v1, 0, 16
	v_ashrrev_i32_e32 v24, 31, v23
.LBB364_2594:
	s_mov_b64 s[0:1], 0
.LBB364_2595:
	s_andn2_b64 vcc, exec, s[0:1]
	s_cbranch_vccnz .LBB364_2601
; %bb.2596:
	s_cmp_gt_i32 s6, 0
	s_cbranch_scc0 .LBB364_2598
; %bb.2597:
	global_load_sbyte v1, v[25:26], off
	s_mov_b64 s[0:1], 0
	s_waitcnt vmcnt(0)
	v_bfe_i32 v23, v1, 0, 16
	v_ashrrev_i32_e32 v24, 31, v23
	s_branch .LBB364_2599
.LBB364_2598:
	s_mov_b64 s[0:1], -1
                                        ; implicit-def: $vgpr23_vgpr24
.LBB364_2599:
	s_andn2_b64 vcc, exec, s[0:1]
	s_cbranch_vccnz .LBB364_2601
; %bb.2600:
	global_load_ubyte v1, v[25:26], off
	s_mov_b32 s0, 0
	s_waitcnt vmcnt(1)
	v_mov_b32_e32 v24, s0
	s_waitcnt vmcnt(0)
	v_and_b32_e32 v23, 0xffff, v1
.LBB364_2601:
	s_mov_b64 s[10:11], -1
.LBB364_2602:
	s_andn2_b64 vcc, exec, s[10:11]
	s_cbranch_vccnz .LBB364_3036
; %bb.2603:
	s_load_dwordx2 s[0:1], s[2:3], 0x1a0
	s_waitcnt vmcnt(0)
	v_cmp_ne_u64_e32 vcc, v[7:8], v[10:11]
	v_mov_b32_e32 v1, s9
	s_waitcnt lgkmcnt(0)
	s_cmp_eq_u32 s0, 0
	s_cselect_b64 s[2:3], -1, 0
	s_and_b32 s22, s1, 0xff
	s_xor_b64 s[6:7], s[2:3], vcc
	v_add_co_u32_e32 v5, vcc, s8, v6
	s_cmp_lt_i32 s22, 11
	v_addc_co_u32_e32 v6, vcc, 0, v1, vcc
	s_cbranch_scc1 .LBB364_2681
; %bb.2604:
	s_and_b32 s23, 0xffff, s22
	s_mov_b64 s[18:19], -1
	s_mov_b64 s[10:11], 0
	s_cmp_gt_i32 s23, 25
	s_mov_b64 s[16:17], 0
	s_mov_b64 s[0:1], 0
	s_cbranch_scc0 .LBB364_2637
; %bb.2605:
	s_cmp_gt_i32 s23, 28
	s_cbranch_scc0 .LBB364_2620
; %bb.2606:
	s_cmp_gt_i32 s23, 43
	;; [unrolled: 3-line block ×3, first 2 shown]
	s_cbranch_scc0 .LBB364_2610
; %bb.2608:
	s_mov_b64 s[0:1], -1
	s_mov_b64 s[18:19], 0
	s_cmp_eq_u32 s23, 46
	s_cbranch_scc0 .LBB364_2610
; %bb.2609:
	v_cndmask_b32_e64 v1, 0, 1.0, s[6:7]
	v_bfe_u32 v3, v1, 16, 1
	s_movk_i32 s0, 0x7fff
	v_add3_u32 v1, v1, v3, s0
	v_lshrrev_b32_e32 v1, 16, v1
	global_store_dword v[5:6], v1, off
	s_mov_b64 s[0:1], 0
	s_mov_b64 s[16:17], -1
.LBB364_2610:
	s_and_b64 vcc, exec, s[18:19]
	s_cbranch_vccz .LBB364_2615
; %bb.2611:
	s_cmp_eq_u32 s23, 44
	s_mov_b64 s[0:1], -1
	s_cbranch_scc0 .LBB364_2615
; %bb.2612:
	v_cndmask_b32_e64 v3, 0, 1.0, s[6:7]
	v_lshrrev_b32_e32 v1, 23, v3
	s_movk_i32 s0, 0xff
	v_cmp_ne_u32_e32 vcc, s0, v1
	v_mov_b32_e32 v7, 0xff
	s_and_saveexec_b64 s[16:17], vcc
; %bb.2613:
	s_mov_b32 s0, 0x3fffff
	v_and_b32_e32 v7, 0x400000, v3
	v_and_or_b32 v3, v3, s0, v1
	v_cmp_ne_u32_e32 vcc, 0, v7
	v_cmp_ne_u32_e64 s[0:1], 0, v3
	s_and_b64 s[0:1], vcc, s[0:1]
	v_cndmask_b32_e64 v3, 0, 1, s[0:1]
	v_add_u32_e32 v7, v1, v3
; %bb.2614:
	s_or_b64 exec, exec, s[16:17]
	s_mov_b64 s[0:1], 0
	s_mov_b64 s[16:17], -1
	global_store_byte v[5:6], v7, off
.LBB364_2615:
	s_mov_b64 s[18:19], 0
.LBB364_2616:
	s_and_b64 vcc, exec, s[18:19]
	s_cbranch_vccz .LBB364_2619
; %bb.2617:
	s_cmp_eq_u32 s23, 29
	s_mov_b64 s[0:1], -1
	s_cbranch_scc0 .LBB364_2619
; %bb.2618:
	s_mov_b32 s0, 0
	v_cndmask_b32_e64 v7, 0, 1, s[6:7]
	v_mov_b32_e32 v8, s0
	global_store_dwordx2 v[5:6], v[7:8], off
	s_mov_b64 s[0:1], 0
	s_mov_b64 s[16:17], -1
.LBB364_2619:
	s_mov_b64 s[18:19], 0
.LBB364_2620:
	s_and_b64 vcc, exec, s[18:19]
	s_cbranch_vccz .LBB364_2636
; %bb.2621:
	s_cmp_lt_i32 s23, 27
	s_mov_b64 s[16:17], -1
	s_cbranch_scc1 .LBB364_2627
; %bb.2622:
	s_cmp_gt_i32 s23, 27
	s_cbranch_scc0 .LBB364_2624
; %bb.2623:
	v_cndmask_b32_e64 v1, 0, 1, s[6:7]
	s_mov_b64 s[16:17], 0
	global_store_dword v[5:6], v1, off
.LBB364_2624:
	s_andn2_b64 vcc, exec, s[16:17]
	s_cbranch_vccnz .LBB364_2626
; %bb.2625:
	v_cndmask_b32_e64 v1, 0, 1, s[6:7]
	global_store_short v[5:6], v1, off
.LBB364_2626:
	s_mov_b64 s[16:17], 0
.LBB364_2627:
	s_andn2_b64 vcc, exec, s[16:17]
	s_cbranch_vccnz .LBB364_2635
; %bb.2628:
	v_cndmask_b32_e64 v3, 0, 1.0, s[6:7]
	s_mov_b32 s16, 0x43800000
	v_cmp_gt_u32_e32 vcc, s16, v3
	v_mov_b32_e32 v7, 0x80
	s_and_saveexec_b64 s[16:17], vcc
	s_cbranch_execz .LBB364_2634
; %bb.2629:
	s_mov_b32 s18, 0x3bffffff
	v_cmp_lt_u32_e32 vcc, s18, v3
	s_mov_b64 s[18:19], 0
                                        ; implicit-def: $vgpr1
	s_and_saveexec_b64 s[20:21], vcc
	s_xor_b64 s[20:21], exec, s[20:21]
	s_cbranch_execz .LBB364_3083
; %bb.2630:
	v_bfe_u32 v1, v3, 20, 1
	s_mov_b32 s24, 0x487ffff
	v_add3_u32 v1, v3, v1, s24
	s_mov_b64 s[18:19], exec
	v_lshrrev_b32_e32 v1, 20, v1
                                        ; implicit-def: $vgpr3
	s_andn2_saveexec_b64 s[20:21], s[20:21]
	s_cbranch_execnz .LBB364_3084
.LBB364_2631:
	s_or_b64 exec, exec, s[20:21]
	v_mov_b32_e32 v7, 0
	s_and_saveexec_b64 s[20:21], s[18:19]
.LBB364_2632:
	v_mov_b32_e32 v7, v1
.LBB364_2633:
	s_or_b64 exec, exec, s[20:21]
.LBB364_2634:
	s_or_b64 exec, exec, s[16:17]
	global_store_byte v[5:6], v7, off
.LBB364_2635:
	s_mov_b64 s[16:17], -1
.LBB364_2636:
	s_mov_b64 s[18:19], 0
.LBB364_2637:
	s_and_b64 vcc, exec, s[18:19]
	s_cbranch_vccz .LBB364_2677
; %bb.2638:
	s_cmp_gt_i32 s23, 22
	s_mov_b64 s[10:11], -1
	s_cbranch_scc0 .LBB364_2670
; %bb.2639:
	s_cmp_lt_i32 s23, 24
	s_cbranch_scc1 .LBB364_2659
; %bb.2640:
	s_cmp_gt_i32 s23, 24
	s_cbranch_scc0 .LBB364_2648
; %bb.2641:
	v_cndmask_b32_e64 v3, 0, 1.0, s[6:7]
	s_mov_b32 s10, 0x47800000
	v_cmp_gt_u32_e32 vcc, s10, v3
	v_mov_b32_e32 v7, 0x80
	s_and_saveexec_b64 s[10:11], vcc
	s_cbranch_execz .LBB364_2647
; %bb.2642:
	s_mov_b32 s16, 0x37ffffff
	v_cmp_lt_u32_e32 vcc, s16, v3
	s_mov_b64 s[16:17], 0
                                        ; implicit-def: $vgpr1
	s_and_saveexec_b64 s[18:19], vcc
	s_xor_b64 s[18:19], exec, s[18:19]
	s_cbranch_execz .LBB364_3086
; %bb.2643:
	v_bfe_u32 v1, v3, 21, 1
	s_mov_b32 s20, 0x88fffff
	v_add3_u32 v1, v3, v1, s20
	s_mov_b64 s[16:17], exec
	v_lshrrev_b32_e32 v1, 21, v1
                                        ; implicit-def: $vgpr3
	s_andn2_saveexec_b64 s[18:19], s[18:19]
	s_cbranch_execnz .LBB364_3087
.LBB364_2644:
	s_or_b64 exec, exec, s[18:19]
	v_mov_b32_e32 v7, 0
	s_and_saveexec_b64 s[18:19], s[16:17]
.LBB364_2645:
	v_mov_b32_e32 v7, v1
.LBB364_2646:
	s_or_b64 exec, exec, s[18:19]
.LBB364_2647:
	s_or_b64 exec, exec, s[10:11]
	s_mov_b64 s[10:11], 0
	global_store_byte v[5:6], v7, off
.LBB364_2648:
	s_and_b64 vcc, exec, s[10:11]
	s_cbranch_vccz .LBB364_2658
; %bb.2649:
	v_cndmask_b32_e64 v1, 0, 1.0, s[6:7]
	s_mov_b32 s10, 0x43f00000
	v_cmp_gt_u32_e32 vcc, s10, v1
                                        ; implicit-def: $vgpr3
	s_and_saveexec_b64 s[10:11], vcc
	s_xor_b64 s[10:11], exec, s[10:11]
	s_cbranch_execz .LBB364_2655
; %bb.2650:
	s_mov_b32 s16, 0x3c7fffff
	v_cmp_lt_u32_e32 vcc, s16, v1
                                        ; implicit-def: $vgpr3
	s_and_saveexec_b64 s[16:17], vcc
	s_xor_b64 s[16:17], exec, s[16:17]
; %bb.2651:
	v_bfe_u32 v3, v1, 20, 1
	s_mov_b32 s18, 0x407ffff
	v_add3_u32 v1, v1, v3, s18
	v_lshrrev_b32_e32 v3, 20, v1
	v_and_b32_e32 v1, 0xff00000, v1
	s_mov_b32 s18, 0x7f00000
	v_mov_b32_e32 v7, 0x7e
	v_cmp_ne_u32_e32 vcc, s18, v1
	v_cndmask_b32_e32 v3, v7, v3, vcc
                                        ; implicit-def: $vgpr1
; %bb.2652:
	s_andn2_saveexec_b64 s[16:17], s[16:17]
; %bb.2653:
	v_add_f32_e32 v3, 0x46800000, v1
; %bb.2654:
	s_or_b64 exec, exec, s[16:17]
                                        ; implicit-def: $vgpr1
.LBB364_2655:
	s_andn2_saveexec_b64 s[10:11], s[10:11]
; %bb.2656:
	s_mov_b32 s16, 0x7f800000
	v_mov_b32_e32 v3, 0x7e
	v_mov_b32_e32 v7, 0x7f
	v_cmp_lt_u32_e32 vcc, s16, v1
	v_cndmask_b32_e32 v3, v3, v7, vcc
; %bb.2657:
	s_or_b64 exec, exec, s[10:11]
	global_store_byte v[5:6], v3, off
.LBB364_2658:
	s_mov_b64 s[10:11], 0
.LBB364_2659:
	s_andn2_b64 vcc, exec, s[10:11]
	s_cbranch_vccnz .LBB364_2669
; %bb.2660:
	v_cndmask_b32_e64 v1, 0, 1.0, s[6:7]
	s_mov_b32 s10, 0x47800000
	v_cmp_gt_u32_e32 vcc, s10, v1
                                        ; implicit-def: $vgpr3
	s_and_saveexec_b64 s[10:11], vcc
	s_xor_b64 s[10:11], exec, s[10:11]
	s_cbranch_execz .LBB364_2666
; %bb.2661:
	s_mov_b32 s16, 0x387fffff
	v_cmp_lt_u32_e32 vcc, s16, v1
                                        ; implicit-def: $vgpr3
	s_and_saveexec_b64 s[16:17], vcc
	s_xor_b64 s[16:17], exec, s[16:17]
; %bb.2662:
	v_bfe_u32 v3, v1, 21, 1
	s_mov_b32 s18, 0x80fffff
	v_add3_u32 v1, v1, v3, s18
	v_lshrrev_b32_e32 v3, 21, v1
                                        ; implicit-def: $vgpr1
; %bb.2663:
	s_andn2_saveexec_b64 s[16:17], s[16:17]
; %bb.2664:
	v_add_f32_e32 v3, 0x43000000, v1
; %bb.2665:
	s_or_b64 exec, exec, s[16:17]
                                        ; implicit-def: $vgpr1
.LBB364_2666:
	s_andn2_saveexec_b64 s[10:11], s[10:11]
; %bb.2667:
	s_mov_b32 s16, 0x7f800000
	v_mov_b32_e32 v3, 0x7c
	v_mov_b32_e32 v7, 0x7f
	v_cmp_lt_u32_e32 vcc, s16, v1
	v_cndmask_b32_e32 v3, v3, v7, vcc
; %bb.2668:
	s_or_b64 exec, exec, s[10:11]
	global_store_byte v[5:6], v3, off
.LBB364_2669:
	s_mov_b64 s[10:11], 0
	s_mov_b64 s[16:17], -1
.LBB364_2670:
	s_andn2_b64 vcc, exec, s[10:11]
	s_mov_b64 s[10:11], 0
	s_cbranch_vccnz .LBB364_2677
; %bb.2671:
	s_cmp_gt_i32 s23, 14
	s_mov_b64 s[18:19], -1
	s_cbranch_scc0 .LBB364_2675
; %bb.2672:
	s_cmp_eq_u32 s23, 15
	s_mov_b64 s[0:1], -1
	s_cbranch_scc0 .LBB364_2674
; %bb.2673:
	v_cndmask_b32_e64 v1, 0, 1.0, s[6:7]
	v_bfe_u32 v3, v1, 16, 1
	s_movk_i32 s0, 0x7fff
	v_add3_u32 v1, v1, v3, s0
	global_store_short_d16_hi v[5:6], v1, off
	s_mov_b64 s[0:1], 0
	s_mov_b64 s[16:17], -1
.LBB364_2674:
	s_mov_b64 s[18:19], 0
.LBB364_2675:
	s_and_b64 vcc, exec, s[18:19]
	s_cbranch_vccz .LBB364_2677
; %bb.2676:
	s_cmp_lg_u32 s23, 11
	s_mov_b64 s[10:11], -1
	s_cselect_b64 s[0:1], -1, 0
.LBB364_2677:
	s_and_b64 vcc, exec, s[0:1]
	s_cbranch_vccnz .LBB364_3085
; %bb.2678:
	s_andn2_b64 vcc, exec, s[10:11]
	s_cbranch_vccnz .LBB364_2680
.LBB364_2679:
	v_cndmask_b32_e64 v1, 0, 1, s[6:7]
	s_mov_b64 s[16:17], -1
	global_store_byte v[5:6], v1, off
.LBB364_2680:
	s_mov_b64 s[0:1], 0
	s_branch .LBB364_2682
.LBB364_2681:
	s_mov_b64 s[0:1], -1
	s_mov_b64 s[16:17], 0
.LBB364_2682:
	s_and_b64 vcc, exec, s[0:1]
	s_cbranch_vccz .LBB364_2721
; %bb.2683:
	s_and_b32 s10, 0xffff, s22
	s_cmp_lt_i32 s10, 5
	s_mov_b64 s[0:1], -1
	s_cbranch_scc1 .LBB364_2704
; %bb.2684:
	s_cmp_lt_i32 s10, 8
	s_cbranch_scc1 .LBB364_2694
; %bb.2685:
	s_cmp_lt_i32 s10, 9
	s_cbranch_scc1 .LBB364_2691
; %bb.2686:
	s_cmp_gt_i32 s10, 9
	s_cbranch_scc0 .LBB364_2688
; %bb.2687:
	v_cndmask_b32_e64 v1, 0, 1, s[6:7]
	v_cvt_f64_u32_e32 v[7:8], v1
	v_mov_b32_e32 v9, 0
	v_mov_b32_e32 v10, v9
	s_mov_b64 s[0:1], 0
	global_store_dwordx4 v[5:6], v[7:10], off
.LBB364_2688:
	s_andn2_b64 vcc, exec, s[0:1]
	s_cbranch_vccnz .LBB364_2690
; %bb.2689:
	v_cndmask_b32_e64 v7, 0, 1.0, s[6:7]
	v_mov_b32_e32 v8, 0
	global_store_dwordx2 v[5:6], v[7:8], off
.LBB364_2690:
	s_mov_b64 s[0:1], 0
.LBB364_2691:
	s_andn2_b64 vcc, exec, s[0:1]
	s_cbranch_vccnz .LBB364_2693
; %bb.2692:
	v_cndmask_b32_e64 v1, 0, 1.0, s[6:7]
	v_cvt_f16_f32_e32 v1, v1
	global_store_dword v[5:6], v1, off
.LBB364_2693:
	s_mov_b64 s[0:1], 0
.LBB364_2694:
	s_andn2_b64 vcc, exec, s[0:1]
	s_cbranch_vccnz .LBB364_2703
; %bb.2695:
	s_cmp_lt_i32 s10, 6
	s_mov_b64 s[0:1], -1
	s_cbranch_scc1 .LBB364_2701
; %bb.2696:
	s_cmp_gt_i32 s10, 6
	s_cbranch_scc0 .LBB364_2698
; %bb.2697:
	v_cndmask_b32_e64 v1, 0, 1, s[6:7]
	v_cvt_f64_u32_e32 v[7:8], v1
	s_mov_b64 s[0:1], 0
	global_store_dwordx2 v[5:6], v[7:8], off
.LBB364_2698:
	s_andn2_b64 vcc, exec, s[0:1]
	s_cbranch_vccnz .LBB364_2700
; %bb.2699:
	v_cndmask_b32_e64 v1, 0, 1.0, s[6:7]
	global_store_dword v[5:6], v1, off
.LBB364_2700:
	s_mov_b64 s[0:1], 0
.LBB364_2701:
	s_andn2_b64 vcc, exec, s[0:1]
	s_cbranch_vccnz .LBB364_2703
; %bb.2702:
	v_cndmask_b32_e64 v1, 0, 1.0, s[6:7]
	v_cvt_f16_f32_e32 v1, v1
	global_store_short v[5:6], v1, off
.LBB364_2703:
	s_mov_b64 s[0:1], 0
.LBB364_2704:
	s_andn2_b64 vcc, exec, s[0:1]
	s_cbranch_vccnz .LBB364_2720
; %bb.2705:
	s_cmp_lt_i32 s10, 2
	s_mov_b64 s[0:1], -1
	s_cbranch_scc1 .LBB364_2715
; %bb.2706:
	s_cmp_lt_i32 s10, 3
	s_cbranch_scc1 .LBB364_2712
; %bb.2707:
	s_cmp_gt_i32 s10, 3
	s_cbranch_scc0 .LBB364_2709
; %bb.2708:
	s_mov_b32 s0, 0
	v_cndmask_b32_e64 v7, 0, 1, s[6:7]
	v_mov_b32_e32 v8, s0
	global_store_dwordx2 v[5:6], v[7:8], off
	s_mov_b64 s[0:1], 0
.LBB364_2709:
	s_andn2_b64 vcc, exec, s[0:1]
	s_cbranch_vccnz .LBB364_2711
; %bb.2710:
	v_cndmask_b32_e64 v1, 0, 1, s[6:7]
	global_store_dword v[5:6], v1, off
.LBB364_2711:
	s_mov_b64 s[0:1], 0
.LBB364_2712:
	s_andn2_b64 vcc, exec, s[0:1]
	s_cbranch_vccnz .LBB364_2714
; %bb.2713:
	v_cndmask_b32_e64 v1, 0, 1, s[6:7]
	global_store_short v[5:6], v1, off
.LBB364_2714:
	s_mov_b64 s[0:1], 0
.LBB364_2715:
	s_andn2_b64 vcc, exec, s[0:1]
	s_cbranch_vccnz .LBB364_2720
; %bb.2716:
	s_mov_b64 s[0:1], -1
	s_cmp_gt_i32 s10, 0
	v_cndmask_b32_e64 v1, 0, 1, s[6:7]
	s_cbranch_scc0 .LBB364_2718
; %bb.2717:
	global_store_byte v[5:6], v1, off
	s_mov_b64 s[0:1], 0
.LBB364_2718:
	s_andn2_b64 vcc, exec, s[0:1]
	s_cbranch_vccnz .LBB364_2720
; %bb.2719:
	global_store_byte v[5:6], v1, off
.LBB364_2720:
	s_mov_b64 s[16:17], -1
.LBB364_2721:
	s_andn2_b64 vcc, exec, s[16:17]
	s_cbranch_vccnz .LBB364_3036
; %bb.2722:
	v_cmp_ne_u64_e32 vcc, v[12:13], v[15:16]
	v_mov_b32_e32 v1, s9
	s_xor_b64 s[6:7], s[2:3], vcc
	s_and_b32 s23, 0xffff, s22
	v_add_co_u32_e32 v3, vcc, s8, v4
	s_cmp_lt_i32 s23, 11
	v_addc_co_u32_e32 v4, vcc, 0, v1, vcc
	s_cbranch_scc1 .LBB364_2800
; %bb.2723:
	s_mov_b64 s[18:19], -1
	s_mov_b64 s[10:11], 0
	s_cmp_gt_i32 s23, 25
	s_mov_b64 s[16:17], 0
	s_mov_b64 s[0:1], 0
	s_cbranch_scc0 .LBB364_2756
; %bb.2724:
	s_cmp_gt_i32 s23, 28
	s_cbranch_scc0 .LBB364_2739
; %bb.2725:
	s_cmp_gt_i32 s23, 43
	;; [unrolled: 3-line block ×3, first 2 shown]
	s_cbranch_scc0 .LBB364_2729
; %bb.2727:
	s_mov_b64 s[0:1], -1
	s_mov_b64 s[18:19], 0
	s_cmp_eq_u32 s23, 46
	s_cbranch_scc0 .LBB364_2729
; %bb.2728:
	v_cndmask_b32_e64 v1, 0, 1.0, s[6:7]
	v_bfe_u32 v5, v1, 16, 1
	s_movk_i32 s0, 0x7fff
	v_add3_u32 v1, v1, v5, s0
	v_lshrrev_b32_e32 v1, 16, v1
	global_store_dword v[3:4], v1, off
	s_mov_b64 s[0:1], 0
	s_mov_b64 s[16:17], -1
.LBB364_2729:
	s_and_b64 vcc, exec, s[18:19]
	s_cbranch_vccz .LBB364_2734
; %bb.2730:
	s_cmp_eq_u32 s23, 44
	s_mov_b64 s[0:1], -1
	s_cbranch_scc0 .LBB364_2734
; %bb.2731:
	v_cndmask_b32_e64 v5, 0, 1.0, s[6:7]
	v_lshrrev_b32_e32 v1, 23, v5
	s_movk_i32 s0, 0xff
	v_cmp_ne_u32_e32 vcc, s0, v1
	v_mov_b32_e32 v6, 0xff
	s_and_saveexec_b64 s[16:17], vcc
; %bb.2732:
	s_mov_b32 s0, 0x3fffff
	v_and_b32_e32 v6, 0x400000, v5
	v_and_or_b32 v5, v5, s0, v1
	v_cmp_ne_u32_e32 vcc, 0, v6
	v_cmp_ne_u32_e64 s[0:1], 0, v5
	s_and_b64 s[0:1], vcc, s[0:1]
	v_cndmask_b32_e64 v5, 0, 1, s[0:1]
	v_add_u32_e32 v6, v1, v5
; %bb.2733:
	s_or_b64 exec, exec, s[16:17]
	s_mov_b64 s[0:1], 0
	s_mov_b64 s[16:17], -1
	global_store_byte v[3:4], v6, off
.LBB364_2734:
	s_mov_b64 s[18:19], 0
.LBB364_2735:
	s_and_b64 vcc, exec, s[18:19]
	s_cbranch_vccz .LBB364_2738
; %bb.2736:
	s_cmp_eq_u32 s23, 29
	s_mov_b64 s[0:1], -1
	s_cbranch_scc0 .LBB364_2738
; %bb.2737:
	s_mov_b32 s0, 0
	v_cndmask_b32_e64 v5, 0, 1, s[6:7]
	v_mov_b32_e32 v6, s0
	global_store_dwordx2 v[3:4], v[5:6], off
	s_mov_b64 s[0:1], 0
	s_mov_b64 s[16:17], -1
.LBB364_2738:
	s_mov_b64 s[18:19], 0
.LBB364_2739:
	s_and_b64 vcc, exec, s[18:19]
	s_cbranch_vccz .LBB364_2755
; %bb.2740:
	s_cmp_lt_i32 s23, 27
	s_mov_b64 s[16:17], -1
	s_cbranch_scc1 .LBB364_2746
; %bb.2741:
	s_cmp_gt_i32 s23, 27
	s_cbranch_scc0 .LBB364_2743
; %bb.2742:
	v_cndmask_b32_e64 v1, 0, 1, s[6:7]
	s_mov_b64 s[16:17], 0
	global_store_dword v[3:4], v1, off
.LBB364_2743:
	s_andn2_b64 vcc, exec, s[16:17]
	s_cbranch_vccnz .LBB364_2745
; %bb.2744:
	v_cndmask_b32_e64 v1, 0, 1, s[6:7]
	global_store_short v[3:4], v1, off
.LBB364_2745:
	s_mov_b64 s[16:17], 0
.LBB364_2746:
	s_andn2_b64 vcc, exec, s[16:17]
	s_cbranch_vccnz .LBB364_2754
; %bb.2747:
	v_cndmask_b32_e64 v5, 0, 1.0, s[6:7]
	s_mov_b32 s16, 0x43800000
	v_cmp_gt_u32_e32 vcc, s16, v5
	v_mov_b32_e32 v6, 0x80
	s_and_saveexec_b64 s[16:17], vcc
	s_cbranch_execz .LBB364_2753
; %bb.2748:
	s_mov_b32 s18, 0x3bffffff
	v_cmp_lt_u32_e32 vcc, s18, v5
	s_mov_b64 s[18:19], 0
                                        ; implicit-def: $vgpr1
	s_and_saveexec_b64 s[20:21], vcc
	s_xor_b64 s[20:21], exec, s[20:21]
	s_cbranch_execz .LBB364_3088
; %bb.2749:
	v_bfe_u32 v1, v5, 20, 1
	s_mov_b32 s24, 0x487ffff
	v_add3_u32 v1, v5, v1, s24
	s_mov_b64 s[18:19], exec
	v_lshrrev_b32_e32 v1, 20, v1
                                        ; implicit-def: $vgpr5
	s_andn2_saveexec_b64 s[20:21], s[20:21]
	s_cbranch_execnz .LBB364_3089
.LBB364_2750:
	s_or_b64 exec, exec, s[20:21]
	v_mov_b32_e32 v6, 0
	s_and_saveexec_b64 s[20:21], s[18:19]
.LBB364_2751:
	v_mov_b32_e32 v6, v1
.LBB364_2752:
	s_or_b64 exec, exec, s[20:21]
.LBB364_2753:
	s_or_b64 exec, exec, s[16:17]
	global_store_byte v[3:4], v6, off
.LBB364_2754:
	s_mov_b64 s[16:17], -1
.LBB364_2755:
	s_mov_b64 s[18:19], 0
.LBB364_2756:
	s_and_b64 vcc, exec, s[18:19]
	s_cbranch_vccz .LBB364_2796
; %bb.2757:
	s_cmp_gt_i32 s23, 22
	s_mov_b64 s[10:11], -1
	s_cbranch_scc0 .LBB364_2789
; %bb.2758:
	s_cmp_lt_i32 s23, 24
	s_cbranch_scc1 .LBB364_2778
; %bb.2759:
	s_cmp_gt_i32 s23, 24
	s_cbranch_scc0 .LBB364_2767
; %bb.2760:
	v_cndmask_b32_e64 v5, 0, 1.0, s[6:7]
	s_mov_b32 s10, 0x47800000
	v_cmp_gt_u32_e32 vcc, s10, v5
	v_mov_b32_e32 v6, 0x80
	s_and_saveexec_b64 s[10:11], vcc
	s_cbranch_execz .LBB364_2766
; %bb.2761:
	s_mov_b32 s16, 0x37ffffff
	v_cmp_lt_u32_e32 vcc, s16, v5
	s_mov_b64 s[16:17], 0
                                        ; implicit-def: $vgpr1
	s_and_saveexec_b64 s[18:19], vcc
	s_xor_b64 s[18:19], exec, s[18:19]
	s_cbranch_execz .LBB364_3091
; %bb.2762:
	v_bfe_u32 v1, v5, 21, 1
	s_mov_b32 s20, 0x88fffff
	v_add3_u32 v1, v5, v1, s20
	s_mov_b64 s[16:17], exec
	v_lshrrev_b32_e32 v1, 21, v1
                                        ; implicit-def: $vgpr5
	s_andn2_saveexec_b64 s[18:19], s[18:19]
	s_cbranch_execnz .LBB364_3092
.LBB364_2763:
	s_or_b64 exec, exec, s[18:19]
	v_mov_b32_e32 v6, 0
	s_and_saveexec_b64 s[18:19], s[16:17]
.LBB364_2764:
	v_mov_b32_e32 v6, v1
.LBB364_2765:
	s_or_b64 exec, exec, s[18:19]
.LBB364_2766:
	s_or_b64 exec, exec, s[10:11]
	s_mov_b64 s[10:11], 0
	global_store_byte v[3:4], v6, off
.LBB364_2767:
	s_and_b64 vcc, exec, s[10:11]
	s_cbranch_vccz .LBB364_2777
; %bb.2768:
	v_cndmask_b32_e64 v1, 0, 1.0, s[6:7]
	s_mov_b32 s10, 0x43f00000
	v_cmp_gt_u32_e32 vcc, s10, v1
                                        ; implicit-def: $vgpr5
	s_and_saveexec_b64 s[10:11], vcc
	s_xor_b64 s[10:11], exec, s[10:11]
	s_cbranch_execz .LBB364_2774
; %bb.2769:
	s_mov_b32 s16, 0x3c7fffff
	v_cmp_lt_u32_e32 vcc, s16, v1
                                        ; implicit-def: $vgpr5
	s_and_saveexec_b64 s[16:17], vcc
	s_xor_b64 s[16:17], exec, s[16:17]
; %bb.2770:
	v_bfe_u32 v5, v1, 20, 1
	s_mov_b32 s18, 0x407ffff
	v_add3_u32 v1, v1, v5, s18
	v_lshrrev_b32_e32 v5, 20, v1
	v_and_b32_e32 v1, 0xff00000, v1
	s_mov_b32 s18, 0x7f00000
	v_mov_b32_e32 v6, 0x7e
	v_cmp_ne_u32_e32 vcc, s18, v1
	v_cndmask_b32_e32 v5, v6, v5, vcc
                                        ; implicit-def: $vgpr1
; %bb.2771:
	s_andn2_saveexec_b64 s[16:17], s[16:17]
; %bb.2772:
	v_add_f32_e32 v5, 0x46800000, v1
; %bb.2773:
	s_or_b64 exec, exec, s[16:17]
                                        ; implicit-def: $vgpr1
.LBB364_2774:
	s_andn2_saveexec_b64 s[10:11], s[10:11]
; %bb.2775:
	s_mov_b32 s16, 0x7f800000
	v_mov_b32_e32 v5, 0x7e
	v_mov_b32_e32 v6, 0x7f
	v_cmp_lt_u32_e32 vcc, s16, v1
	v_cndmask_b32_e32 v5, v5, v6, vcc
; %bb.2776:
	s_or_b64 exec, exec, s[10:11]
	global_store_byte v[3:4], v5, off
.LBB364_2777:
	s_mov_b64 s[10:11], 0
.LBB364_2778:
	s_andn2_b64 vcc, exec, s[10:11]
	s_cbranch_vccnz .LBB364_2788
; %bb.2779:
	v_cndmask_b32_e64 v1, 0, 1.0, s[6:7]
	s_mov_b32 s10, 0x47800000
	v_cmp_gt_u32_e32 vcc, s10, v1
                                        ; implicit-def: $vgpr5
	s_and_saveexec_b64 s[10:11], vcc
	s_xor_b64 s[10:11], exec, s[10:11]
	s_cbranch_execz .LBB364_2785
; %bb.2780:
	s_mov_b32 s16, 0x387fffff
	v_cmp_lt_u32_e32 vcc, s16, v1
                                        ; implicit-def: $vgpr5
	s_and_saveexec_b64 s[16:17], vcc
	s_xor_b64 s[16:17], exec, s[16:17]
; %bb.2781:
	v_bfe_u32 v5, v1, 21, 1
	s_mov_b32 s18, 0x80fffff
	v_add3_u32 v1, v1, v5, s18
	v_lshrrev_b32_e32 v5, 21, v1
                                        ; implicit-def: $vgpr1
; %bb.2782:
	s_andn2_saveexec_b64 s[16:17], s[16:17]
; %bb.2783:
	v_add_f32_e32 v5, 0x43000000, v1
; %bb.2784:
	s_or_b64 exec, exec, s[16:17]
                                        ; implicit-def: $vgpr1
.LBB364_2785:
	s_andn2_saveexec_b64 s[10:11], s[10:11]
; %bb.2786:
	s_mov_b32 s16, 0x7f800000
	v_mov_b32_e32 v5, 0x7c
	v_mov_b32_e32 v6, 0x7f
	v_cmp_lt_u32_e32 vcc, s16, v1
	v_cndmask_b32_e32 v5, v5, v6, vcc
; %bb.2787:
	s_or_b64 exec, exec, s[10:11]
	global_store_byte v[3:4], v5, off
.LBB364_2788:
	s_mov_b64 s[10:11], 0
	s_mov_b64 s[16:17], -1
.LBB364_2789:
	s_andn2_b64 vcc, exec, s[10:11]
	s_mov_b64 s[10:11], 0
	s_cbranch_vccnz .LBB364_2796
; %bb.2790:
	s_cmp_gt_i32 s23, 14
	s_mov_b64 s[18:19], -1
	s_cbranch_scc0 .LBB364_2794
; %bb.2791:
	s_cmp_eq_u32 s23, 15
	s_mov_b64 s[0:1], -1
	s_cbranch_scc0 .LBB364_2793
; %bb.2792:
	v_cndmask_b32_e64 v1, 0, 1.0, s[6:7]
	v_bfe_u32 v5, v1, 16, 1
	s_movk_i32 s0, 0x7fff
	v_add3_u32 v1, v1, v5, s0
	global_store_short_d16_hi v[3:4], v1, off
	s_mov_b64 s[0:1], 0
	s_mov_b64 s[16:17], -1
.LBB364_2793:
	s_mov_b64 s[18:19], 0
.LBB364_2794:
	s_and_b64 vcc, exec, s[18:19]
	s_cbranch_vccz .LBB364_2796
; %bb.2795:
	s_cmp_lg_u32 s23, 11
	s_mov_b64 s[10:11], -1
	s_cselect_b64 s[0:1], -1, 0
.LBB364_2796:
	s_and_b64 vcc, exec, s[0:1]
	s_cbranch_vccnz .LBB364_3090
; %bb.2797:
	s_andn2_b64 vcc, exec, s[10:11]
	s_cbranch_vccnz .LBB364_2799
.LBB364_2798:
	v_cndmask_b32_e64 v1, 0, 1, s[6:7]
	s_mov_b64 s[16:17], -1
	global_store_byte v[3:4], v1, off
.LBB364_2799:
	s_mov_b64 s[0:1], 0
	s_branch .LBB364_2801
.LBB364_2800:
	s_mov_b64 s[0:1], -1
	s_mov_b64 s[16:17], 0
.LBB364_2801:
	s_and_b64 vcc, exec, s[0:1]
	s_cbranch_vccz .LBB364_2840
; %bb.2802:
	s_cmp_lt_i32 s23, 5
	s_mov_b64 s[0:1], -1
	s_cbranch_scc1 .LBB364_2823
; %bb.2803:
	s_cmp_lt_i32 s23, 8
	s_cbranch_scc1 .LBB364_2813
; %bb.2804:
	s_cmp_lt_i32 s23, 9
	s_cbranch_scc1 .LBB364_2810
; %bb.2805:
	s_cmp_gt_i32 s23, 9
	s_cbranch_scc0 .LBB364_2807
; %bb.2806:
	v_cndmask_b32_e64 v1, 0, 1, s[6:7]
	v_cvt_f64_u32_e32 v[5:6], v1
	v_mov_b32_e32 v7, 0
	v_mov_b32_e32 v8, v7
	s_mov_b64 s[0:1], 0
	global_store_dwordx4 v[3:4], v[5:8], off
.LBB364_2807:
	s_andn2_b64 vcc, exec, s[0:1]
	s_cbranch_vccnz .LBB364_2809
; %bb.2808:
	v_cndmask_b32_e64 v5, 0, 1.0, s[6:7]
	v_mov_b32_e32 v6, 0
	global_store_dwordx2 v[3:4], v[5:6], off
.LBB364_2809:
	s_mov_b64 s[0:1], 0
.LBB364_2810:
	s_andn2_b64 vcc, exec, s[0:1]
	s_cbranch_vccnz .LBB364_2812
; %bb.2811:
	v_cndmask_b32_e64 v1, 0, 1.0, s[6:7]
	v_cvt_f16_f32_e32 v1, v1
	global_store_dword v[3:4], v1, off
.LBB364_2812:
	s_mov_b64 s[0:1], 0
.LBB364_2813:
	s_andn2_b64 vcc, exec, s[0:1]
	s_cbranch_vccnz .LBB364_2822
; %bb.2814:
	s_cmp_lt_i32 s23, 6
	s_mov_b64 s[0:1], -1
	s_cbranch_scc1 .LBB364_2820
; %bb.2815:
	s_cmp_gt_i32 s23, 6
	s_cbranch_scc0 .LBB364_2817
; %bb.2816:
	v_cndmask_b32_e64 v1, 0, 1, s[6:7]
	v_cvt_f64_u32_e32 v[5:6], v1
	s_mov_b64 s[0:1], 0
	global_store_dwordx2 v[3:4], v[5:6], off
.LBB364_2817:
	s_andn2_b64 vcc, exec, s[0:1]
	s_cbranch_vccnz .LBB364_2819
; %bb.2818:
	v_cndmask_b32_e64 v1, 0, 1.0, s[6:7]
	global_store_dword v[3:4], v1, off
.LBB364_2819:
	s_mov_b64 s[0:1], 0
.LBB364_2820:
	s_andn2_b64 vcc, exec, s[0:1]
	s_cbranch_vccnz .LBB364_2822
; %bb.2821:
	v_cndmask_b32_e64 v1, 0, 1.0, s[6:7]
	v_cvt_f16_f32_e32 v1, v1
	global_store_short v[3:4], v1, off
.LBB364_2822:
	s_mov_b64 s[0:1], 0
.LBB364_2823:
	s_andn2_b64 vcc, exec, s[0:1]
	s_cbranch_vccnz .LBB364_2839
; %bb.2824:
	s_cmp_lt_i32 s23, 2
	s_mov_b64 s[0:1], -1
	s_cbranch_scc1 .LBB364_2834
; %bb.2825:
	s_cmp_lt_i32 s23, 3
	s_cbranch_scc1 .LBB364_2831
; %bb.2826:
	s_cmp_gt_i32 s23, 3
	s_cbranch_scc0 .LBB364_2828
; %bb.2827:
	s_mov_b32 s0, 0
	v_cndmask_b32_e64 v5, 0, 1, s[6:7]
	v_mov_b32_e32 v6, s0
	global_store_dwordx2 v[3:4], v[5:6], off
	s_mov_b64 s[0:1], 0
.LBB364_2828:
	s_andn2_b64 vcc, exec, s[0:1]
	s_cbranch_vccnz .LBB364_2830
; %bb.2829:
	v_cndmask_b32_e64 v1, 0, 1, s[6:7]
	global_store_dword v[3:4], v1, off
.LBB364_2830:
	s_mov_b64 s[0:1], 0
.LBB364_2831:
	s_andn2_b64 vcc, exec, s[0:1]
	s_cbranch_vccnz .LBB364_2833
; %bb.2832:
	v_cndmask_b32_e64 v1, 0, 1, s[6:7]
	global_store_short v[3:4], v1, off
.LBB364_2833:
	s_mov_b64 s[0:1], 0
.LBB364_2834:
	s_andn2_b64 vcc, exec, s[0:1]
	s_cbranch_vccnz .LBB364_2839
; %bb.2835:
	s_mov_b64 s[0:1], -1
	s_cmp_gt_i32 s23, 0
	v_cndmask_b32_e64 v1, 0, 1, s[6:7]
	s_cbranch_scc0 .LBB364_2837
; %bb.2836:
	global_store_byte v[3:4], v1, off
	s_mov_b64 s[0:1], 0
.LBB364_2837:
	s_andn2_b64 vcc, exec, s[0:1]
	s_cbranch_vccnz .LBB364_2839
; %bb.2838:
	global_store_byte v[3:4], v1, off
.LBB364_2839:
	s_mov_b64 s[16:17], -1
.LBB364_2840:
	s_andn2_b64 vcc, exec, s[16:17]
	s_cbranch_vccnz .LBB364_3036
; %bb.2841:
	v_cmp_ne_u64_e32 vcc, v[17:18], v[19:20]
	v_mov_b32_e32 v3, s9
	s_xor_b64 s[6:7], s[2:3], vcc
	v_add_co_u32_e32 v1, vcc, s8, v2
	s_cmp_lt_i32 s23, 11
	v_addc_co_u32_e32 v2, vcc, 0, v3, vcc
	s_cbranch_scc1 .LBB364_2919
; %bb.2842:
	s_mov_b64 s[18:19], -1
	s_mov_b64 s[10:11], 0
	s_cmp_gt_i32 s23, 25
	s_mov_b64 s[16:17], 0
	s_mov_b64 s[0:1], 0
	s_cbranch_scc0 .LBB364_2875
; %bb.2843:
	s_cmp_gt_i32 s23, 28
	s_cbranch_scc0 .LBB364_2858
; %bb.2844:
	s_cmp_gt_i32 s23, 43
	s_cbranch_scc0 .LBB364_2854
; %bb.2845:
	s_cmp_gt_i32 s23, 45
	s_cbranch_scc0 .LBB364_2848
; %bb.2846:
	s_mov_b64 s[0:1], -1
	s_mov_b64 s[18:19], 0
	s_cmp_eq_u32 s23, 46
	s_cbranch_scc0 .LBB364_2848
; %bb.2847:
	v_cndmask_b32_e64 v3, 0, 1.0, s[6:7]
	v_bfe_u32 v4, v3, 16, 1
	s_movk_i32 s0, 0x7fff
	v_add3_u32 v3, v3, v4, s0
	v_lshrrev_b32_e32 v3, 16, v3
	global_store_dword v[1:2], v3, off
	s_mov_b64 s[0:1], 0
	s_mov_b64 s[16:17], -1
.LBB364_2848:
	s_and_b64 vcc, exec, s[18:19]
	s_cbranch_vccz .LBB364_2853
; %bb.2849:
	s_cmp_eq_u32 s23, 44
	s_mov_b64 s[0:1], -1
	s_cbranch_scc0 .LBB364_2853
; %bb.2850:
	v_cndmask_b32_e64 v4, 0, 1.0, s[6:7]
	v_lshrrev_b32_e32 v3, 23, v4
	s_movk_i32 s0, 0xff
	v_cmp_ne_u32_e32 vcc, s0, v3
	v_mov_b32_e32 v5, 0xff
	s_and_saveexec_b64 s[16:17], vcc
; %bb.2851:
	s_mov_b32 s0, 0x3fffff
	v_and_b32_e32 v5, 0x400000, v4
	v_and_or_b32 v4, v4, s0, v3
	v_cmp_ne_u32_e32 vcc, 0, v5
	v_cmp_ne_u32_e64 s[0:1], 0, v4
	s_and_b64 s[0:1], vcc, s[0:1]
	v_cndmask_b32_e64 v4, 0, 1, s[0:1]
	v_add_u32_e32 v5, v3, v4
; %bb.2852:
	s_or_b64 exec, exec, s[16:17]
	s_mov_b64 s[0:1], 0
	s_mov_b64 s[16:17], -1
	global_store_byte v[1:2], v5, off
.LBB364_2853:
	s_mov_b64 s[18:19], 0
.LBB364_2854:
	s_and_b64 vcc, exec, s[18:19]
	s_cbranch_vccz .LBB364_2857
; %bb.2855:
	s_cmp_eq_u32 s23, 29
	s_mov_b64 s[0:1], -1
	s_cbranch_scc0 .LBB364_2857
; %bb.2856:
	s_mov_b32 s0, 0
	v_cndmask_b32_e64 v3, 0, 1, s[6:7]
	v_mov_b32_e32 v4, s0
	global_store_dwordx2 v[1:2], v[3:4], off
	s_mov_b64 s[0:1], 0
	s_mov_b64 s[16:17], -1
.LBB364_2857:
	s_mov_b64 s[18:19], 0
.LBB364_2858:
	s_and_b64 vcc, exec, s[18:19]
	s_cbranch_vccz .LBB364_2874
; %bb.2859:
	s_cmp_lt_i32 s23, 27
	s_mov_b64 s[16:17], -1
	s_cbranch_scc1 .LBB364_2865
; %bb.2860:
	s_cmp_gt_i32 s23, 27
	s_cbranch_scc0 .LBB364_2862
; %bb.2861:
	v_cndmask_b32_e64 v3, 0, 1, s[6:7]
	s_mov_b64 s[16:17], 0
	global_store_dword v[1:2], v3, off
.LBB364_2862:
	s_andn2_b64 vcc, exec, s[16:17]
	s_cbranch_vccnz .LBB364_2864
; %bb.2863:
	v_cndmask_b32_e64 v3, 0, 1, s[6:7]
	global_store_short v[1:2], v3, off
.LBB364_2864:
	s_mov_b64 s[16:17], 0
.LBB364_2865:
	s_andn2_b64 vcc, exec, s[16:17]
	s_cbranch_vccnz .LBB364_2873
; %bb.2866:
	v_cndmask_b32_e64 v4, 0, 1.0, s[6:7]
	s_mov_b32 s16, 0x43800000
	v_cmp_gt_u32_e32 vcc, s16, v4
	v_mov_b32_e32 v5, 0x80
	s_and_saveexec_b64 s[16:17], vcc
	s_cbranch_execz .LBB364_2872
; %bb.2867:
	s_mov_b32 s18, 0x3bffffff
	v_cmp_lt_u32_e32 vcc, s18, v4
	s_mov_b64 s[18:19], 0
                                        ; implicit-def: $vgpr3
	s_and_saveexec_b64 s[20:21], vcc
	s_xor_b64 s[20:21], exec, s[20:21]
	s_cbranch_execz .LBB364_3093
; %bb.2868:
	v_bfe_u32 v3, v4, 20, 1
	s_mov_b32 s24, 0x487ffff
	v_add3_u32 v3, v4, v3, s24
	s_mov_b64 s[18:19], exec
	v_lshrrev_b32_e32 v3, 20, v3
                                        ; implicit-def: $vgpr4
	s_andn2_saveexec_b64 s[20:21], s[20:21]
	s_cbranch_execnz .LBB364_3094
.LBB364_2869:
	s_or_b64 exec, exec, s[20:21]
	v_mov_b32_e32 v5, 0
	s_and_saveexec_b64 s[20:21], s[18:19]
.LBB364_2870:
	v_mov_b32_e32 v5, v3
.LBB364_2871:
	s_or_b64 exec, exec, s[20:21]
.LBB364_2872:
	s_or_b64 exec, exec, s[16:17]
	global_store_byte v[1:2], v5, off
.LBB364_2873:
	s_mov_b64 s[16:17], -1
.LBB364_2874:
	s_mov_b64 s[18:19], 0
.LBB364_2875:
	s_and_b64 vcc, exec, s[18:19]
	s_cbranch_vccz .LBB364_2915
; %bb.2876:
	s_cmp_gt_i32 s23, 22
	s_mov_b64 s[10:11], -1
	s_cbranch_scc0 .LBB364_2908
; %bb.2877:
	s_cmp_lt_i32 s23, 24
	s_cbranch_scc1 .LBB364_2897
; %bb.2878:
	s_cmp_gt_i32 s23, 24
	s_cbranch_scc0 .LBB364_2886
; %bb.2879:
	v_cndmask_b32_e64 v4, 0, 1.0, s[6:7]
	s_mov_b32 s10, 0x47800000
	v_cmp_gt_u32_e32 vcc, s10, v4
	v_mov_b32_e32 v5, 0x80
	s_and_saveexec_b64 s[10:11], vcc
	s_cbranch_execz .LBB364_2885
; %bb.2880:
	s_mov_b32 s16, 0x37ffffff
	v_cmp_lt_u32_e32 vcc, s16, v4
	s_mov_b64 s[16:17], 0
                                        ; implicit-def: $vgpr3
	s_and_saveexec_b64 s[18:19], vcc
	s_xor_b64 s[18:19], exec, s[18:19]
	s_cbranch_execz .LBB364_3096
; %bb.2881:
	v_bfe_u32 v3, v4, 21, 1
	s_mov_b32 s20, 0x88fffff
	v_add3_u32 v3, v4, v3, s20
	s_mov_b64 s[16:17], exec
	v_lshrrev_b32_e32 v3, 21, v3
                                        ; implicit-def: $vgpr4
	s_andn2_saveexec_b64 s[18:19], s[18:19]
	s_cbranch_execnz .LBB364_3097
.LBB364_2882:
	s_or_b64 exec, exec, s[18:19]
	v_mov_b32_e32 v5, 0
	s_and_saveexec_b64 s[18:19], s[16:17]
.LBB364_2883:
	v_mov_b32_e32 v5, v3
.LBB364_2884:
	s_or_b64 exec, exec, s[18:19]
.LBB364_2885:
	s_or_b64 exec, exec, s[10:11]
	s_mov_b64 s[10:11], 0
	global_store_byte v[1:2], v5, off
.LBB364_2886:
	s_and_b64 vcc, exec, s[10:11]
	s_cbranch_vccz .LBB364_2896
; %bb.2887:
	v_cndmask_b32_e64 v3, 0, 1.0, s[6:7]
	s_mov_b32 s10, 0x43f00000
	v_cmp_gt_u32_e32 vcc, s10, v3
                                        ; implicit-def: $vgpr4
	s_and_saveexec_b64 s[10:11], vcc
	s_xor_b64 s[10:11], exec, s[10:11]
	s_cbranch_execz .LBB364_2893
; %bb.2888:
	s_mov_b32 s16, 0x3c7fffff
	v_cmp_lt_u32_e32 vcc, s16, v3
                                        ; implicit-def: $vgpr4
	s_and_saveexec_b64 s[16:17], vcc
	s_xor_b64 s[16:17], exec, s[16:17]
; %bb.2889:
	v_bfe_u32 v4, v3, 20, 1
	s_mov_b32 s18, 0x407ffff
	v_add3_u32 v3, v3, v4, s18
	v_lshrrev_b32_e32 v4, 20, v3
	v_and_b32_e32 v3, 0xff00000, v3
	s_mov_b32 s18, 0x7f00000
	v_mov_b32_e32 v5, 0x7e
	v_cmp_ne_u32_e32 vcc, s18, v3
	v_cndmask_b32_e32 v4, v5, v4, vcc
                                        ; implicit-def: $vgpr3
; %bb.2890:
	s_andn2_saveexec_b64 s[16:17], s[16:17]
; %bb.2891:
	v_add_f32_e32 v4, 0x46800000, v3
; %bb.2892:
	s_or_b64 exec, exec, s[16:17]
                                        ; implicit-def: $vgpr3
.LBB364_2893:
	s_andn2_saveexec_b64 s[10:11], s[10:11]
; %bb.2894:
	s_mov_b32 s16, 0x7f800000
	v_mov_b32_e32 v4, 0x7e
	v_mov_b32_e32 v5, 0x7f
	v_cmp_lt_u32_e32 vcc, s16, v3
	v_cndmask_b32_e32 v4, v4, v5, vcc
; %bb.2895:
	s_or_b64 exec, exec, s[10:11]
	global_store_byte v[1:2], v4, off
.LBB364_2896:
	s_mov_b64 s[10:11], 0
.LBB364_2897:
	s_andn2_b64 vcc, exec, s[10:11]
	s_cbranch_vccnz .LBB364_2907
; %bb.2898:
	v_cndmask_b32_e64 v3, 0, 1.0, s[6:7]
	s_mov_b32 s10, 0x47800000
	v_cmp_gt_u32_e32 vcc, s10, v3
                                        ; implicit-def: $vgpr4
	s_and_saveexec_b64 s[10:11], vcc
	s_xor_b64 s[10:11], exec, s[10:11]
	s_cbranch_execz .LBB364_2904
; %bb.2899:
	s_mov_b32 s16, 0x387fffff
	v_cmp_lt_u32_e32 vcc, s16, v3
                                        ; implicit-def: $vgpr4
	s_and_saveexec_b64 s[16:17], vcc
	s_xor_b64 s[16:17], exec, s[16:17]
; %bb.2900:
	v_bfe_u32 v4, v3, 21, 1
	s_mov_b32 s18, 0x80fffff
	v_add3_u32 v3, v3, v4, s18
	v_lshrrev_b32_e32 v4, 21, v3
                                        ; implicit-def: $vgpr3
; %bb.2901:
	s_andn2_saveexec_b64 s[16:17], s[16:17]
; %bb.2902:
	v_add_f32_e32 v4, 0x43000000, v3
; %bb.2903:
	s_or_b64 exec, exec, s[16:17]
                                        ; implicit-def: $vgpr3
.LBB364_2904:
	s_andn2_saveexec_b64 s[10:11], s[10:11]
; %bb.2905:
	s_mov_b32 s16, 0x7f800000
	v_mov_b32_e32 v4, 0x7c
	v_mov_b32_e32 v5, 0x7f
	v_cmp_lt_u32_e32 vcc, s16, v3
	v_cndmask_b32_e32 v4, v4, v5, vcc
; %bb.2906:
	s_or_b64 exec, exec, s[10:11]
	global_store_byte v[1:2], v4, off
.LBB364_2907:
	s_mov_b64 s[10:11], 0
	s_mov_b64 s[16:17], -1
.LBB364_2908:
	s_andn2_b64 vcc, exec, s[10:11]
	s_mov_b64 s[10:11], 0
	s_cbranch_vccnz .LBB364_2915
; %bb.2909:
	s_cmp_gt_i32 s23, 14
	s_mov_b64 s[18:19], -1
	s_cbranch_scc0 .LBB364_2913
; %bb.2910:
	s_cmp_eq_u32 s23, 15
	s_mov_b64 s[0:1], -1
	s_cbranch_scc0 .LBB364_2912
; %bb.2911:
	v_cndmask_b32_e64 v3, 0, 1.0, s[6:7]
	v_bfe_u32 v4, v3, 16, 1
	s_movk_i32 s0, 0x7fff
	v_add3_u32 v3, v3, v4, s0
	global_store_short_d16_hi v[1:2], v3, off
	s_mov_b64 s[0:1], 0
	s_mov_b64 s[16:17], -1
.LBB364_2912:
	s_mov_b64 s[18:19], 0
.LBB364_2913:
	s_and_b64 vcc, exec, s[18:19]
	s_cbranch_vccz .LBB364_2915
; %bb.2914:
	s_cmp_lg_u32 s23, 11
	s_mov_b64 s[10:11], -1
	s_cselect_b64 s[0:1], -1, 0
.LBB364_2915:
	s_and_b64 vcc, exec, s[0:1]
	s_cbranch_vccnz .LBB364_3095
; %bb.2916:
	s_andn2_b64 vcc, exec, s[10:11]
	s_cbranch_vccnz .LBB364_2918
.LBB364_2917:
	v_cndmask_b32_e64 v3, 0, 1, s[6:7]
	s_mov_b64 s[16:17], -1
	global_store_byte v[1:2], v3, off
.LBB364_2918:
	s_mov_b64 s[0:1], 0
	s_branch .LBB364_2920
.LBB364_2919:
	s_mov_b64 s[0:1], -1
	s_mov_b64 s[16:17], 0
.LBB364_2920:
	s_and_b64 vcc, exec, s[0:1]
	s_cbranch_vccz .LBB364_2959
; %bb.2921:
	s_cmp_lt_i32 s23, 5
	s_mov_b64 s[0:1], -1
	s_cbranch_scc1 .LBB364_2942
; %bb.2922:
	s_cmp_lt_i32 s23, 8
	s_cbranch_scc1 .LBB364_2932
; %bb.2923:
	s_cmp_lt_i32 s23, 9
	s_cbranch_scc1 .LBB364_2929
; %bb.2924:
	s_cmp_gt_i32 s23, 9
	s_cbranch_scc0 .LBB364_2926
; %bb.2925:
	v_cndmask_b32_e64 v3, 0, 1, s[6:7]
	v_cvt_f64_u32_e32 v[3:4], v3
	v_mov_b32_e32 v5, 0
	v_mov_b32_e32 v6, v5
	s_mov_b64 s[0:1], 0
	global_store_dwordx4 v[1:2], v[3:6], off
.LBB364_2926:
	s_andn2_b64 vcc, exec, s[0:1]
	s_cbranch_vccnz .LBB364_2928
; %bb.2927:
	v_cndmask_b32_e64 v3, 0, 1.0, s[6:7]
	v_mov_b32_e32 v4, 0
	global_store_dwordx2 v[1:2], v[3:4], off
.LBB364_2928:
	s_mov_b64 s[0:1], 0
.LBB364_2929:
	s_andn2_b64 vcc, exec, s[0:1]
	s_cbranch_vccnz .LBB364_2931
; %bb.2930:
	v_cndmask_b32_e64 v3, 0, 1.0, s[6:7]
	v_cvt_f16_f32_e32 v3, v3
	global_store_dword v[1:2], v3, off
.LBB364_2931:
	s_mov_b64 s[0:1], 0
.LBB364_2932:
	s_andn2_b64 vcc, exec, s[0:1]
	s_cbranch_vccnz .LBB364_2941
; %bb.2933:
	s_cmp_lt_i32 s23, 6
	s_mov_b64 s[0:1], -1
	s_cbranch_scc1 .LBB364_2939
; %bb.2934:
	s_cmp_gt_i32 s23, 6
	s_cbranch_scc0 .LBB364_2936
; %bb.2935:
	v_cndmask_b32_e64 v3, 0, 1, s[6:7]
	v_cvt_f64_u32_e32 v[3:4], v3
	s_mov_b64 s[0:1], 0
	global_store_dwordx2 v[1:2], v[3:4], off
.LBB364_2936:
	s_andn2_b64 vcc, exec, s[0:1]
	s_cbranch_vccnz .LBB364_2938
; %bb.2937:
	v_cndmask_b32_e64 v3, 0, 1.0, s[6:7]
	global_store_dword v[1:2], v3, off
.LBB364_2938:
	s_mov_b64 s[0:1], 0
.LBB364_2939:
	s_andn2_b64 vcc, exec, s[0:1]
	s_cbranch_vccnz .LBB364_2941
; %bb.2940:
	v_cndmask_b32_e64 v3, 0, 1.0, s[6:7]
	v_cvt_f16_f32_e32 v3, v3
	global_store_short v[1:2], v3, off
.LBB364_2941:
	s_mov_b64 s[0:1], 0
.LBB364_2942:
	s_andn2_b64 vcc, exec, s[0:1]
	s_cbranch_vccnz .LBB364_2958
; %bb.2943:
	s_cmp_lt_i32 s23, 2
	s_mov_b64 s[0:1], -1
	s_cbranch_scc1 .LBB364_2953
; %bb.2944:
	s_cmp_lt_i32 s23, 3
	s_cbranch_scc1 .LBB364_2950
; %bb.2945:
	s_cmp_gt_i32 s23, 3
	s_cbranch_scc0 .LBB364_2947
; %bb.2946:
	s_mov_b32 s0, 0
	v_cndmask_b32_e64 v3, 0, 1, s[6:7]
	v_mov_b32_e32 v4, s0
	global_store_dwordx2 v[1:2], v[3:4], off
	s_mov_b64 s[0:1], 0
.LBB364_2947:
	s_andn2_b64 vcc, exec, s[0:1]
	s_cbranch_vccnz .LBB364_2949
; %bb.2948:
	v_cndmask_b32_e64 v3, 0, 1, s[6:7]
	global_store_dword v[1:2], v3, off
.LBB364_2949:
	s_mov_b64 s[0:1], 0
.LBB364_2950:
	s_andn2_b64 vcc, exec, s[0:1]
	s_cbranch_vccnz .LBB364_2952
; %bb.2951:
	v_cndmask_b32_e64 v3, 0, 1, s[6:7]
	global_store_short v[1:2], v3, off
.LBB364_2952:
	s_mov_b64 s[0:1], 0
.LBB364_2953:
	s_andn2_b64 vcc, exec, s[0:1]
	s_cbranch_vccnz .LBB364_2958
; %bb.2954:
	s_cmp_gt_i32 s23, 0
	s_mov_b64 s[0:1], -1
	s_cbranch_scc0 .LBB364_2956
; %bb.2955:
	v_cndmask_b32_e64 v3, 0, 1, s[6:7]
	global_store_byte v[1:2], v3, off
	s_mov_b64 s[0:1], 0
.LBB364_2956:
	s_andn2_b64 vcc, exec, s[0:1]
	s_cbranch_vccnz .LBB364_2958
; %bb.2957:
	v_cndmask_b32_e64 v3, 0, 1, s[6:7]
	global_store_byte v[1:2], v3, off
.LBB364_2958:
	s_mov_b64 s[16:17], -1
.LBB364_2959:
	s_andn2_b64 vcc, exec, s[16:17]
	s_cbranch_vccnz .LBB364_3036
; %bb.2960:
	v_cmp_ne_u64_e32 vcc, v[21:22], v[23:24]
	v_mov_b32_e32 v1, s9
	s_xor_b64 s[10:11], s[2:3], vcc
	v_add_co_u32_e32 v0, vcc, s8, v0
	s_cmp_lt_i32 s23, 11
	v_addc_co_u32_e32 v1, vcc, 0, v1, vcc
	s_cbranch_scc1 .LBB364_3081
; %bb.2961:
	s_mov_b64 s[6:7], -1
	s_mov_b64 s[2:3], 0
	s_cmp_gt_i32 s23, 25
	s_mov_b64 s[0:1], 0
	s_cbranch_scc0 .LBB364_2994
; %bb.2962:
	s_cmp_gt_i32 s23, 28
	s_cbranch_scc0 .LBB364_2978
; %bb.2963:
	s_cmp_gt_i32 s23, 43
	;; [unrolled: 3-line block ×3, first 2 shown]
	s_cbranch_scc0 .LBB364_2968
; %bb.2965:
	s_cmp_eq_u32 s23, 46
	s_mov_b64 s[0:1], -1
	s_cbranch_scc0 .LBB364_2967
; %bb.2966:
	v_cndmask_b32_e64 v2, 0, 1.0, s[10:11]
	v_bfe_u32 v3, v2, 16, 1
	s_movk_i32 s0, 0x7fff
	v_add3_u32 v2, v2, v3, s0
	v_lshrrev_b32_e32 v2, 16, v2
	global_store_dword v[0:1], v2, off
	s_mov_b64 s[0:1], 0
.LBB364_2967:
	s_mov_b64 s[6:7], 0
.LBB364_2968:
	s_and_b64 vcc, exec, s[6:7]
	s_cbranch_vccz .LBB364_2973
; %bb.2969:
	s_cmp_eq_u32 s23, 44
	s_mov_b64 s[0:1], -1
	s_cbranch_scc0 .LBB364_2973
; %bb.2970:
	v_cndmask_b32_e64 v3, 0, 1.0, s[10:11]
	v_lshrrev_b32_e32 v2, 23, v3
	s_movk_i32 s0, 0xff
	v_cmp_ne_u32_e32 vcc, s0, v2
	v_mov_b32_e32 v4, 0xff
	s_and_saveexec_b64 s[6:7], vcc
; %bb.2971:
	s_mov_b32 s0, 0x3fffff
	v_and_b32_e32 v4, 0x400000, v3
	v_and_or_b32 v3, v3, s0, v2
	v_cmp_ne_u32_e32 vcc, 0, v4
	v_cmp_ne_u32_e64 s[0:1], 0, v3
	s_and_b64 s[0:1], vcc, s[0:1]
	v_cndmask_b32_e64 v3, 0, 1, s[0:1]
	v_add_u32_e32 v4, v2, v3
; %bb.2972:
	s_or_b64 exec, exec, s[6:7]
	s_mov_b64 s[0:1], 0
	global_store_byte v[0:1], v4, off
.LBB364_2973:
	s_mov_b64 s[6:7], 0
.LBB364_2974:
	s_and_b64 vcc, exec, s[6:7]
	s_cbranch_vccz .LBB364_2977
; %bb.2975:
	s_cmp_eq_u32 s23, 29
	s_mov_b64 s[0:1], -1
	s_cbranch_scc0 .LBB364_2977
; %bb.2976:
	s_mov_b32 s0, 0
	v_cndmask_b32_e64 v2, 0, 1, s[10:11]
	v_mov_b32_e32 v3, s0
	global_store_dwordx2 v[0:1], v[2:3], off
	s_mov_b64 s[0:1], 0
.LBB364_2977:
	s_mov_b64 s[6:7], 0
.LBB364_2978:
	s_and_b64 vcc, exec, s[6:7]
	s_cbranch_vccz .LBB364_2993
; %bb.2979:
	s_cmp_lt_i32 s23, 27
	s_mov_b64 s[6:7], -1
	s_cbranch_scc1 .LBB364_2985
; %bb.2980:
	s_cmp_gt_i32 s23, 27
	v_cndmask_b32_e64 v2, 0, 1, s[10:11]
	s_cbranch_scc0 .LBB364_2982
; %bb.2981:
	global_store_dword v[0:1], v2, off
	s_mov_b64 s[6:7], 0
.LBB364_2982:
	s_andn2_b64 vcc, exec, s[6:7]
	s_cbranch_vccnz .LBB364_2984
; %bb.2983:
	global_store_short v[0:1], v2, off
.LBB364_2984:
	s_mov_b64 s[6:7], 0
.LBB364_2985:
	s_andn2_b64 vcc, exec, s[6:7]
	s_cbranch_vccnz .LBB364_2993
; %bb.2986:
	v_cndmask_b32_e64 v3, 0, 1.0, s[10:11]
	s_mov_b32 s6, 0x43800000
	v_cmp_gt_u32_e32 vcc, s6, v3
	v_mov_b32_e32 v4, 0x80
	s_and_saveexec_b64 s[6:7], vcc
	s_cbranch_execz .LBB364_2992
; %bb.2987:
	s_mov_b32 s8, 0x3bffffff
	v_cmp_lt_u32_e32 vcc, s8, v3
	s_mov_b64 s[8:9], 0
                                        ; implicit-def: $vgpr2
	s_and_saveexec_b64 s[16:17], vcc
	s_xor_b64 s[16:17], exec, s[16:17]
	s_cbranch_execz .LBB364_3098
; %bb.2988:
	v_bfe_u32 v2, v3, 20, 1
	s_mov_b32 s18, 0x487ffff
	v_add3_u32 v2, v3, v2, s18
	s_mov_b64 s[8:9], exec
	v_lshrrev_b32_e32 v2, 20, v2
                                        ; implicit-def: $vgpr3
	s_andn2_saveexec_b64 s[16:17], s[16:17]
	s_cbranch_execnz .LBB364_3099
.LBB364_2989:
	s_or_b64 exec, exec, s[16:17]
	v_mov_b32_e32 v4, 0
	s_and_saveexec_b64 s[16:17], s[8:9]
.LBB364_2990:
	v_mov_b32_e32 v4, v2
.LBB364_2991:
	s_or_b64 exec, exec, s[16:17]
.LBB364_2992:
	s_or_b64 exec, exec, s[6:7]
	global_store_byte v[0:1], v4, off
.LBB364_2993:
	s_mov_b64 s[6:7], 0
.LBB364_2994:
	s_and_b64 vcc, exec, s[6:7]
	s_cbranch_vccz .LBB364_3034
; %bb.2995:
	s_cmp_gt_i32 s23, 22
	s_mov_b64 s[2:3], -1
	s_cbranch_scc0 .LBB364_3027
; %bb.2996:
	s_cmp_lt_i32 s23, 24
	s_cbranch_scc1 .LBB364_3016
; %bb.2997:
	s_cmp_gt_i32 s23, 24
	s_cbranch_scc0 .LBB364_3005
; %bb.2998:
	v_cndmask_b32_e64 v3, 0, 1.0, s[10:11]
	s_mov_b32 s2, 0x47800000
	v_cmp_gt_u32_e32 vcc, s2, v3
	v_mov_b32_e32 v4, 0x80
	s_and_saveexec_b64 s[2:3], vcc
	s_cbranch_execz .LBB364_3004
; %bb.2999:
	s_mov_b32 s6, 0x37ffffff
	v_cmp_lt_u32_e32 vcc, s6, v3
	s_mov_b64 s[6:7], 0
                                        ; implicit-def: $vgpr2
	s_and_saveexec_b64 s[8:9], vcc
	s_xor_b64 s[8:9], exec, s[8:9]
	s_cbranch_execz .LBB364_3101
; %bb.3000:
	v_bfe_u32 v2, v3, 21, 1
	s_mov_b32 s16, 0x88fffff
	v_add3_u32 v2, v3, v2, s16
	s_mov_b64 s[6:7], exec
	v_lshrrev_b32_e32 v2, 21, v2
                                        ; implicit-def: $vgpr3
	s_andn2_saveexec_b64 s[8:9], s[8:9]
	s_cbranch_execnz .LBB364_3102
.LBB364_3001:
	s_or_b64 exec, exec, s[8:9]
	v_mov_b32_e32 v4, 0
	s_and_saveexec_b64 s[8:9], s[6:7]
.LBB364_3002:
	v_mov_b32_e32 v4, v2
.LBB364_3003:
	s_or_b64 exec, exec, s[8:9]
.LBB364_3004:
	s_or_b64 exec, exec, s[2:3]
	s_mov_b64 s[2:3], 0
	global_store_byte v[0:1], v4, off
.LBB364_3005:
	s_and_b64 vcc, exec, s[2:3]
	s_cbranch_vccz .LBB364_3015
; %bb.3006:
	v_cndmask_b32_e64 v2, 0, 1.0, s[10:11]
	s_mov_b32 s2, 0x43f00000
	v_cmp_gt_u32_e32 vcc, s2, v2
                                        ; implicit-def: $vgpr3
	s_and_saveexec_b64 s[2:3], vcc
	s_xor_b64 s[2:3], exec, s[2:3]
	s_cbranch_execz .LBB364_3012
; %bb.3007:
	s_mov_b32 s6, 0x3c7fffff
	v_cmp_lt_u32_e32 vcc, s6, v2
                                        ; implicit-def: $vgpr3
	s_and_saveexec_b64 s[6:7], vcc
	s_xor_b64 s[6:7], exec, s[6:7]
; %bb.3008:
	v_bfe_u32 v3, v2, 20, 1
	s_mov_b32 s8, 0x407ffff
	v_add3_u32 v2, v2, v3, s8
	v_lshrrev_b32_e32 v3, 20, v2
	v_and_b32_e32 v2, 0xff00000, v2
	s_mov_b32 s8, 0x7f00000
	v_mov_b32_e32 v4, 0x7e
	v_cmp_ne_u32_e32 vcc, s8, v2
	v_cndmask_b32_e32 v3, v4, v3, vcc
                                        ; implicit-def: $vgpr2
; %bb.3009:
	s_andn2_saveexec_b64 s[6:7], s[6:7]
; %bb.3010:
	v_add_f32_e32 v3, 0x46800000, v2
; %bb.3011:
	s_or_b64 exec, exec, s[6:7]
                                        ; implicit-def: $vgpr2
.LBB364_3012:
	s_andn2_saveexec_b64 s[2:3], s[2:3]
; %bb.3013:
	s_mov_b32 s6, 0x7f800000
	v_mov_b32_e32 v3, 0x7e
	v_mov_b32_e32 v4, 0x7f
	v_cmp_lt_u32_e32 vcc, s6, v2
	v_cndmask_b32_e32 v3, v3, v4, vcc
; %bb.3014:
	s_or_b64 exec, exec, s[2:3]
	global_store_byte v[0:1], v3, off
.LBB364_3015:
	s_mov_b64 s[2:3], 0
.LBB364_3016:
	s_andn2_b64 vcc, exec, s[2:3]
	s_cbranch_vccnz .LBB364_3026
; %bb.3017:
	v_cndmask_b32_e64 v2, 0, 1.0, s[10:11]
	s_mov_b32 s2, 0x47800000
	v_cmp_gt_u32_e32 vcc, s2, v2
                                        ; implicit-def: $vgpr3
	s_and_saveexec_b64 s[2:3], vcc
	s_xor_b64 s[2:3], exec, s[2:3]
	s_cbranch_execz .LBB364_3023
; %bb.3018:
	s_mov_b32 s6, 0x387fffff
	v_cmp_lt_u32_e32 vcc, s6, v2
                                        ; implicit-def: $vgpr3
	s_and_saveexec_b64 s[6:7], vcc
	s_xor_b64 s[6:7], exec, s[6:7]
; %bb.3019:
	v_bfe_u32 v3, v2, 21, 1
	s_mov_b32 s8, 0x80fffff
	v_add3_u32 v2, v2, v3, s8
	v_lshrrev_b32_e32 v3, 21, v2
                                        ; implicit-def: $vgpr2
; %bb.3020:
	s_andn2_saveexec_b64 s[6:7], s[6:7]
; %bb.3021:
	v_add_f32_e32 v3, 0x43000000, v2
; %bb.3022:
	s_or_b64 exec, exec, s[6:7]
                                        ; implicit-def: $vgpr2
.LBB364_3023:
	s_andn2_saveexec_b64 s[2:3], s[2:3]
; %bb.3024:
	s_mov_b32 s6, 0x7f800000
	v_mov_b32_e32 v3, 0x7c
	v_mov_b32_e32 v4, 0x7f
	v_cmp_lt_u32_e32 vcc, s6, v2
	v_cndmask_b32_e32 v3, v3, v4, vcc
; %bb.3025:
	s_or_b64 exec, exec, s[2:3]
	global_store_byte v[0:1], v3, off
.LBB364_3026:
	s_mov_b64 s[2:3], 0
.LBB364_3027:
	s_andn2_b64 vcc, exec, s[2:3]
	s_mov_b64 s[2:3], 0
	s_cbranch_vccnz .LBB364_3034
; %bb.3028:
	s_cmp_gt_i32 s23, 14
	s_mov_b64 s[6:7], -1
	s_cbranch_scc0 .LBB364_3032
; %bb.3029:
	s_cmp_eq_u32 s23, 15
	s_mov_b64 s[0:1], -1
	s_cbranch_scc0 .LBB364_3031
; %bb.3030:
	v_cndmask_b32_e64 v2, 0, 1.0, s[10:11]
	v_bfe_u32 v3, v2, 16, 1
	s_movk_i32 s0, 0x7fff
	v_add3_u32 v2, v2, v3, s0
	global_store_short_d16_hi v[0:1], v2, off
	s_mov_b64 s[0:1], 0
.LBB364_3031:
	s_mov_b64 s[6:7], 0
.LBB364_3032:
	s_and_b64 vcc, exec, s[6:7]
	s_cbranch_vccz .LBB364_3034
; %bb.3033:
	s_cmp_lg_u32 s23, 11
	s_mov_b64 s[2:3], -1
	s_cselect_b64 s[0:1], -1, 0
.LBB364_3034:
	s_and_b64 vcc, exec, s[0:1]
	s_cbranch_vccnz .LBB364_3100
.LBB364_3035:
	s_mov_b64 s[0:1], 0
	s_branch .LBB364_3037
.LBB364_3036:
	s_mov_b64 s[0:1], 0
	s_mov_b64 s[2:3], 0
                                        ; implicit-def: $sgpr10_sgpr11
                                        ; implicit-def: $vgpr0_vgpr1
                                        ; implicit-def: $sgpr22
.LBB364_3037:
	s_and_b64 s[6:7], s[2:3], exec
	s_andn2_b64 s[2:3], s[12:13], exec
	s_and_b64 s[4:5], s[4:5], exec
	s_and_b64 s[0:1], s[0:1], exec
	s_or_b64 s[12:13], s[2:3], s[4:5]
.LBB364_3038:
	s_or_b64 exec, exec, s[14:15]
	s_and_saveexec_b64 s[2:3], s[12:13]
	s_cbranch_execz .LBB364_3041
; %bb.3039:
	; divergent unreachable
	s_or_b64 exec, exec, s[2:3]
	s_and_saveexec_b64 s[2:3], s[6:7]
	s_xor_b64 s[2:3], exec, s[2:3]
	s_cbranch_execnz .LBB364_3042
.LBB364_3040:
	s_or_b64 exec, exec, s[2:3]
	s_and_saveexec_b64 s[2:3], s[0:1]
	s_cbranch_execnz .LBB364_3043
	s_branch .LBB364_3080
.LBB364_3041:
	s_or_b64 exec, exec, s[2:3]
	s_and_saveexec_b64 s[2:3], s[6:7]
	s_xor_b64 s[2:3], exec, s[2:3]
	s_cbranch_execz .LBB364_3040
.LBB364_3042:
	s_waitcnt vmcnt(0)
	v_cndmask_b32_e64 v2, 0, 1, s[10:11]
	global_store_byte v[0:1], v2, off
	s_or_b64 exec, exec, s[2:3]
	s_and_saveexec_b64 s[2:3], s[0:1]
	s_cbranch_execz .LBB364_3080
.LBB364_3043:
	s_sext_i32_i16 s2, s22
	s_cmp_lt_i32 s2, 5
	s_mov_b64 s[0:1], -1
	s_cbranch_scc1 .LBB364_3064
; %bb.3044:
	s_cmp_lt_i32 s2, 8
	s_cbranch_scc1 .LBB364_3054
; %bb.3045:
	s_cmp_lt_i32 s2, 9
	s_cbranch_scc1 .LBB364_3051
; %bb.3046:
	s_cmp_gt_i32 s2, 9
	s_cbranch_scc0 .LBB364_3048
; %bb.3047:
	s_waitcnt vmcnt(0)
	v_cndmask_b32_e64 v2, 0, 1, s[10:11]
	v_cvt_f64_u32_e32 v[2:3], v2
	v_mov_b32_e32 v4, 0
	v_mov_b32_e32 v5, v4
	s_mov_b64 s[0:1], 0
	global_store_dwordx4 v[0:1], v[2:5], off
.LBB364_3048:
	s_andn2_b64 vcc, exec, s[0:1]
	s_cbranch_vccnz .LBB364_3050
; %bb.3049:
	s_waitcnt vmcnt(0)
	v_cndmask_b32_e64 v2, 0, 1.0, s[10:11]
	v_mov_b32_e32 v3, 0
	global_store_dwordx2 v[0:1], v[2:3], off
.LBB364_3050:
	s_mov_b64 s[0:1], 0
.LBB364_3051:
	s_andn2_b64 vcc, exec, s[0:1]
	s_cbranch_vccnz .LBB364_3053
; %bb.3052:
	s_waitcnt vmcnt(0)
	v_cndmask_b32_e64 v2, 0, 1.0, s[10:11]
	v_cvt_f16_f32_e32 v2, v2
	global_store_dword v[0:1], v2, off
.LBB364_3053:
	s_mov_b64 s[0:1], 0
.LBB364_3054:
	s_andn2_b64 vcc, exec, s[0:1]
	s_cbranch_vccnz .LBB364_3063
; %bb.3055:
	s_sext_i32_i16 s2, s22
	s_cmp_lt_i32 s2, 6
	s_mov_b64 s[0:1], -1
	s_cbranch_scc1 .LBB364_3061
; %bb.3056:
	s_cmp_gt_i32 s2, 6
	s_cbranch_scc0 .LBB364_3058
; %bb.3057:
	s_waitcnt vmcnt(0)
	v_cndmask_b32_e64 v2, 0, 1, s[10:11]
	v_cvt_f64_u32_e32 v[2:3], v2
	s_mov_b64 s[0:1], 0
	global_store_dwordx2 v[0:1], v[2:3], off
.LBB364_3058:
	s_andn2_b64 vcc, exec, s[0:1]
	s_cbranch_vccnz .LBB364_3060
; %bb.3059:
	s_waitcnt vmcnt(0)
	v_cndmask_b32_e64 v2, 0, 1.0, s[10:11]
	global_store_dword v[0:1], v2, off
.LBB364_3060:
	s_mov_b64 s[0:1], 0
.LBB364_3061:
	s_andn2_b64 vcc, exec, s[0:1]
	s_cbranch_vccnz .LBB364_3063
; %bb.3062:
	s_waitcnt vmcnt(0)
	v_cndmask_b32_e64 v2, 0, 1.0, s[10:11]
	v_cvt_f16_f32_e32 v2, v2
	global_store_short v[0:1], v2, off
.LBB364_3063:
	s_mov_b64 s[0:1], 0
.LBB364_3064:
	s_andn2_b64 vcc, exec, s[0:1]
	s_cbranch_vccnz .LBB364_3080
; %bb.3065:
	s_sext_i32_i16 s2, s22
	s_cmp_lt_i32 s2, 2
	s_mov_b64 s[0:1], -1
	s_cbranch_scc1 .LBB364_3075
; %bb.3066:
	s_cmp_lt_i32 s2, 3
	s_cbranch_scc1 .LBB364_3072
; %bb.3067:
	s_cmp_gt_i32 s2, 3
	s_cbranch_scc0 .LBB364_3069
; %bb.3068:
	s_mov_b32 s0, 0
	s_waitcnt vmcnt(0)
	v_cndmask_b32_e64 v2, 0, 1, s[10:11]
	v_mov_b32_e32 v3, s0
	global_store_dwordx2 v[0:1], v[2:3], off
	s_mov_b64 s[0:1], 0
.LBB364_3069:
	s_andn2_b64 vcc, exec, s[0:1]
	s_cbranch_vccnz .LBB364_3071
; %bb.3070:
	s_waitcnt vmcnt(0)
	v_cndmask_b32_e64 v2, 0, 1, s[10:11]
	global_store_dword v[0:1], v2, off
.LBB364_3071:
	s_mov_b64 s[0:1], 0
.LBB364_3072:
	s_andn2_b64 vcc, exec, s[0:1]
	s_cbranch_vccnz .LBB364_3074
; %bb.3073:
	s_waitcnt vmcnt(0)
	v_cndmask_b32_e64 v2, 0, 1, s[10:11]
	global_store_short v[0:1], v2, off
.LBB364_3074:
	s_mov_b64 s[0:1], 0
.LBB364_3075:
	s_andn2_b64 vcc, exec, s[0:1]
	s_cbranch_vccnz .LBB364_3080
; %bb.3076:
	s_sext_i32_i16 s0, s22
	s_cmp_gt_i32 s0, 0
	s_mov_b64 s[0:1], -1
	s_cbranch_scc0 .LBB364_3078
; %bb.3077:
	s_waitcnt vmcnt(0)
	v_cndmask_b32_e64 v2, 0, 1, s[10:11]
	global_store_byte v[0:1], v2, off
	s_mov_b64 s[0:1], 0
.LBB364_3078:
	s_andn2_b64 vcc, exec, s[0:1]
	s_cbranch_vccnz .LBB364_3080
; %bb.3079:
	s_waitcnt vmcnt(0)
	v_cndmask_b32_e64 v2, 0, 1, s[10:11]
	global_store_byte v[0:1], v2, off
	s_endpgm
.LBB364_3080:
	s_endpgm
.LBB364_3081:
	s_mov_b64 s[2:3], 0
	s_mov_b64 s[0:1], -1
	s_branch .LBB364_3037
.LBB364_3082:
	s_trap 2
	s_or_b64 s[4:5], s[4:5], exec
	s_cbranch_execz .LBB364_2551
	s_branch .LBB364_2552
.LBB364_3083:
	s_andn2_saveexec_b64 s[20:21], s[20:21]
	s_cbranch_execz .LBB364_2631
.LBB364_3084:
	v_add_f32_e32 v1, 0x46000000, v3
	v_and_b32_e32 v1, 0xff, v1
	v_cmp_ne_u32_e32 vcc, 0, v1
	s_andn2_b64 s[18:19], s[18:19], exec
	s_and_b64 s[24:25], vcc, exec
	s_or_b64 s[18:19], s[18:19], s[24:25]
	s_or_b64 exec, exec, s[20:21]
	v_mov_b32_e32 v7, 0
	s_and_saveexec_b64 s[20:21], s[18:19]
	s_cbranch_execnz .LBB364_2632
	s_branch .LBB364_2633
.LBB364_3085:
	s_trap 2
	s_or_b64 s[4:5], s[4:5], exec
	s_cbranch_execz .LBB364_2679
	s_branch .LBB364_2680
.LBB364_3086:
	s_andn2_saveexec_b64 s[18:19], s[18:19]
	s_cbranch_execz .LBB364_2644
.LBB364_3087:
	v_add_f32_e32 v1, 0x42800000, v3
	v_and_b32_e32 v1, 0xff, v1
	v_cmp_ne_u32_e32 vcc, 0, v1
	s_andn2_b64 s[16:17], s[16:17], exec
	s_and_b64 s[20:21], vcc, exec
	s_or_b64 s[16:17], s[16:17], s[20:21]
	s_or_b64 exec, exec, s[18:19]
	v_mov_b32_e32 v7, 0
	s_and_saveexec_b64 s[18:19], s[16:17]
	s_cbranch_execnz .LBB364_2645
	s_branch .LBB364_2646
.LBB364_3088:
	s_andn2_saveexec_b64 s[20:21], s[20:21]
	s_cbranch_execz .LBB364_2750
.LBB364_3089:
	v_add_f32_e32 v1, 0x46000000, v5
	v_and_b32_e32 v1, 0xff, v1
	v_cmp_ne_u32_e32 vcc, 0, v1
	s_andn2_b64 s[18:19], s[18:19], exec
	s_and_b64 s[24:25], vcc, exec
	s_or_b64 s[18:19], s[18:19], s[24:25]
	s_or_b64 exec, exec, s[20:21]
	v_mov_b32_e32 v6, 0
	s_and_saveexec_b64 s[20:21], s[18:19]
	s_cbranch_execnz .LBB364_2751
	s_branch .LBB364_2752
.LBB364_3090:
	s_trap 2
	s_or_b64 s[4:5], s[4:5], exec
	s_cbranch_execz .LBB364_2798
	s_branch .LBB364_2799
.LBB364_3091:
	s_andn2_saveexec_b64 s[18:19], s[18:19]
	s_cbranch_execz .LBB364_2763
.LBB364_3092:
	v_add_f32_e32 v1, 0x42800000, v5
	v_and_b32_e32 v1, 0xff, v1
	v_cmp_ne_u32_e32 vcc, 0, v1
	s_andn2_b64 s[16:17], s[16:17], exec
	s_and_b64 s[20:21], vcc, exec
	s_or_b64 s[16:17], s[16:17], s[20:21]
	s_or_b64 exec, exec, s[18:19]
	v_mov_b32_e32 v6, 0
	s_and_saveexec_b64 s[18:19], s[16:17]
	s_cbranch_execnz .LBB364_2764
	s_branch .LBB364_2765
.LBB364_3093:
	s_andn2_saveexec_b64 s[20:21], s[20:21]
	s_cbranch_execz .LBB364_2869
.LBB364_3094:
	v_add_f32_e32 v3, 0x46000000, v4
	v_and_b32_e32 v3, 0xff, v3
	v_cmp_ne_u32_e32 vcc, 0, v3
	s_andn2_b64 s[18:19], s[18:19], exec
	s_and_b64 s[24:25], vcc, exec
	s_or_b64 s[18:19], s[18:19], s[24:25]
	s_or_b64 exec, exec, s[20:21]
	v_mov_b32_e32 v5, 0
	s_and_saveexec_b64 s[20:21], s[18:19]
	s_cbranch_execnz .LBB364_2870
	s_branch .LBB364_2871
.LBB364_3095:
	s_trap 2
	s_or_b64 s[4:5], s[4:5], exec
	s_cbranch_execz .LBB364_2917
	s_branch .LBB364_2918
.LBB364_3096:
	s_andn2_saveexec_b64 s[18:19], s[18:19]
	s_cbranch_execz .LBB364_2882
.LBB364_3097:
	v_add_f32_e32 v3, 0x42800000, v4
	v_and_b32_e32 v3, 0xff, v3
	v_cmp_ne_u32_e32 vcc, 0, v3
	s_andn2_b64 s[16:17], s[16:17], exec
	s_and_b64 s[20:21], vcc, exec
	s_or_b64 s[16:17], s[16:17], s[20:21]
	s_or_b64 exec, exec, s[18:19]
	v_mov_b32_e32 v5, 0
	s_and_saveexec_b64 s[18:19], s[16:17]
	s_cbranch_execnz .LBB364_2883
	s_branch .LBB364_2884
.LBB364_3098:
	s_andn2_saveexec_b64 s[16:17], s[16:17]
	s_cbranch_execz .LBB364_2989
.LBB364_3099:
	v_add_f32_e32 v2, 0x46000000, v3
	v_and_b32_e32 v2, 0xff, v2
	v_cmp_ne_u32_e32 vcc, 0, v2
	s_andn2_b64 s[8:9], s[8:9], exec
	s_and_b64 s[18:19], vcc, exec
	s_or_b64 s[8:9], s[8:9], s[18:19]
	s_or_b64 exec, exec, s[16:17]
	v_mov_b32_e32 v4, 0
	s_and_saveexec_b64 s[16:17], s[8:9]
	s_cbranch_execnz .LBB364_2990
	s_branch .LBB364_2991
.LBB364_3100:
	s_mov_b64 s[2:3], 0
	s_or_b64 s[4:5], s[4:5], exec
	s_trap 2
	s_branch .LBB364_3035
.LBB364_3101:
	s_andn2_saveexec_b64 s[8:9], s[8:9]
	s_cbranch_execz .LBB364_3001
.LBB364_3102:
	v_add_f32_e32 v2, 0x42800000, v3
	v_and_b32_e32 v2, 0xff, v2
	v_cmp_ne_u32_e32 vcc, 0, v2
	s_andn2_b64 s[6:7], s[6:7], exec
	s_and_b64 s[16:17], vcc, exec
	s_or_b64 s[6:7], s[6:7], s[16:17]
	s_or_b64 exec, exec, s[8:9]
	v_mov_b32_e32 v4, 0
	s_and_saveexec_b64 s[8:9], s[6:7]
	s_cbranch_execnz .LBB364_3002
	s_branch .LBB364_3003
	.section	.rodata,"a",@progbits
	.p2align	6, 0x0
	.amdhsa_kernel _ZN2at6native32elementwise_kernel_manual_unrollILi128ELi4EZNS0_15gpu_kernel_implINS0_13BinaryFunctorImmbNS0_12_GLOBAL__N_116CompareEqFunctorImEEEEEEvRNS_18TensorIteratorBaseERKT_EUlibE0_EEviT1_
		.amdhsa_group_segment_fixed_size 0
		.amdhsa_private_segment_fixed_size 0
		.amdhsa_kernarg_size 432
		.amdhsa_user_sgpr_count 6
		.amdhsa_user_sgpr_private_segment_buffer 1
		.amdhsa_user_sgpr_dispatch_ptr 0
		.amdhsa_user_sgpr_queue_ptr 0
		.amdhsa_user_sgpr_kernarg_segment_ptr 1
		.amdhsa_user_sgpr_dispatch_id 0
		.amdhsa_user_sgpr_flat_scratch_init 0
		.amdhsa_user_sgpr_private_segment_size 0
		.amdhsa_uses_dynamic_stack 0
		.amdhsa_system_sgpr_private_segment_wavefront_offset 0
		.amdhsa_system_sgpr_workgroup_id_x 1
		.amdhsa_system_sgpr_workgroup_id_y 0
		.amdhsa_system_sgpr_workgroup_id_z 0
		.amdhsa_system_sgpr_workgroup_info 0
		.amdhsa_system_vgpr_workitem_id 0
		.amdhsa_next_free_vgpr 31
		.amdhsa_next_free_sgpr 80
		.amdhsa_reserve_vcc 1
		.amdhsa_reserve_flat_scratch 0
		.amdhsa_float_round_mode_32 0
		.amdhsa_float_round_mode_16_64 0
		.amdhsa_float_denorm_mode_32 3
		.amdhsa_float_denorm_mode_16_64 3
		.amdhsa_dx10_clamp 1
		.amdhsa_ieee_mode 1
		.amdhsa_fp16_overflow 0
		.amdhsa_exception_fp_ieee_invalid_op 0
		.amdhsa_exception_fp_denorm_src 0
		.amdhsa_exception_fp_ieee_div_zero 0
		.amdhsa_exception_fp_ieee_overflow 0
		.amdhsa_exception_fp_ieee_underflow 0
		.amdhsa_exception_fp_ieee_inexact 0
		.amdhsa_exception_int_div_zero 0
	.end_amdhsa_kernel
	.section	.text._ZN2at6native32elementwise_kernel_manual_unrollILi128ELi4EZNS0_15gpu_kernel_implINS0_13BinaryFunctorImmbNS0_12_GLOBAL__N_116CompareEqFunctorImEEEEEEvRNS_18TensorIteratorBaseERKT_EUlibE0_EEviT1_,"axG",@progbits,_ZN2at6native32elementwise_kernel_manual_unrollILi128ELi4EZNS0_15gpu_kernel_implINS0_13BinaryFunctorImmbNS0_12_GLOBAL__N_116CompareEqFunctorImEEEEEEvRNS_18TensorIteratorBaseERKT_EUlibE0_EEviT1_,comdat
.Lfunc_end364:
	.size	_ZN2at6native32elementwise_kernel_manual_unrollILi128ELi4EZNS0_15gpu_kernel_implINS0_13BinaryFunctorImmbNS0_12_GLOBAL__N_116CompareEqFunctorImEEEEEEvRNS_18TensorIteratorBaseERKT_EUlibE0_EEviT1_, .Lfunc_end364-_ZN2at6native32elementwise_kernel_manual_unrollILi128ELi4EZNS0_15gpu_kernel_implINS0_13BinaryFunctorImmbNS0_12_GLOBAL__N_116CompareEqFunctorImEEEEEEvRNS_18TensorIteratorBaseERKT_EUlibE0_EEviT1_
                                        ; -- End function
	.set _ZN2at6native32elementwise_kernel_manual_unrollILi128ELi4EZNS0_15gpu_kernel_implINS0_13BinaryFunctorImmbNS0_12_GLOBAL__N_116CompareEqFunctorImEEEEEEvRNS_18TensorIteratorBaseERKT_EUlibE0_EEviT1_.num_vgpr, 31
	.set _ZN2at6native32elementwise_kernel_manual_unrollILi128ELi4EZNS0_15gpu_kernel_implINS0_13BinaryFunctorImmbNS0_12_GLOBAL__N_116CompareEqFunctorImEEEEEEvRNS_18TensorIteratorBaseERKT_EUlibE0_EEviT1_.num_agpr, 0
	.set _ZN2at6native32elementwise_kernel_manual_unrollILi128ELi4EZNS0_15gpu_kernel_implINS0_13BinaryFunctorImmbNS0_12_GLOBAL__N_116CompareEqFunctorImEEEEEEvRNS_18TensorIteratorBaseERKT_EUlibE0_EEviT1_.numbered_sgpr, 80
	.set _ZN2at6native32elementwise_kernel_manual_unrollILi128ELi4EZNS0_15gpu_kernel_implINS0_13BinaryFunctorImmbNS0_12_GLOBAL__N_116CompareEqFunctorImEEEEEEvRNS_18TensorIteratorBaseERKT_EUlibE0_EEviT1_.num_named_barrier, 0
	.set _ZN2at6native32elementwise_kernel_manual_unrollILi128ELi4EZNS0_15gpu_kernel_implINS0_13BinaryFunctorImmbNS0_12_GLOBAL__N_116CompareEqFunctorImEEEEEEvRNS_18TensorIteratorBaseERKT_EUlibE0_EEviT1_.private_seg_size, 0
	.set _ZN2at6native32elementwise_kernel_manual_unrollILi128ELi4EZNS0_15gpu_kernel_implINS0_13BinaryFunctorImmbNS0_12_GLOBAL__N_116CompareEqFunctorImEEEEEEvRNS_18TensorIteratorBaseERKT_EUlibE0_EEviT1_.uses_vcc, 1
	.set _ZN2at6native32elementwise_kernel_manual_unrollILi128ELi4EZNS0_15gpu_kernel_implINS0_13BinaryFunctorImmbNS0_12_GLOBAL__N_116CompareEqFunctorImEEEEEEvRNS_18TensorIteratorBaseERKT_EUlibE0_EEviT1_.uses_flat_scratch, 0
	.set _ZN2at6native32elementwise_kernel_manual_unrollILi128ELi4EZNS0_15gpu_kernel_implINS0_13BinaryFunctorImmbNS0_12_GLOBAL__N_116CompareEqFunctorImEEEEEEvRNS_18TensorIteratorBaseERKT_EUlibE0_EEviT1_.has_dyn_sized_stack, 0
	.set _ZN2at6native32elementwise_kernel_manual_unrollILi128ELi4EZNS0_15gpu_kernel_implINS0_13BinaryFunctorImmbNS0_12_GLOBAL__N_116CompareEqFunctorImEEEEEEvRNS_18TensorIteratorBaseERKT_EUlibE0_EEviT1_.has_recursion, 0
	.set _ZN2at6native32elementwise_kernel_manual_unrollILi128ELi4EZNS0_15gpu_kernel_implINS0_13BinaryFunctorImmbNS0_12_GLOBAL__N_116CompareEqFunctorImEEEEEEvRNS_18TensorIteratorBaseERKT_EUlibE0_EEviT1_.has_indirect_call, 0
	.section	.AMDGPU.csdata,"",@progbits
; Kernel info:
; codeLenInByte = 54092
; TotalNumSgprs: 84
; NumVgprs: 31
; ScratchSize: 0
; MemoryBound: 1
; FloatMode: 240
; IeeeMode: 1
; LDSByteSize: 0 bytes/workgroup (compile time only)
; SGPRBlocks: 10
; VGPRBlocks: 7
; NumSGPRsForWavesPerEU: 84
; NumVGPRsForWavesPerEU: 31
; Occupancy: 8
; WaveLimiterHint : 1
; COMPUTE_PGM_RSRC2:SCRATCH_EN: 0
; COMPUTE_PGM_RSRC2:USER_SGPR: 6
; COMPUTE_PGM_RSRC2:TRAP_HANDLER: 0
; COMPUTE_PGM_RSRC2:TGID_X_EN: 1
; COMPUTE_PGM_RSRC2:TGID_Y_EN: 0
; COMPUTE_PGM_RSRC2:TGID_Z_EN: 0
; COMPUTE_PGM_RSRC2:TIDIG_COMP_CNT: 0
	.section	.text._ZN2at6native29vectorized_elementwise_kernelILi16ENS0_13AUnaryFunctorImmbNS0_12_GLOBAL__N_116CompareEqFunctorImEEEESt5arrayIPcLm2EEEEviT0_T1_,"axG",@progbits,_ZN2at6native29vectorized_elementwise_kernelILi16ENS0_13AUnaryFunctorImmbNS0_12_GLOBAL__N_116CompareEqFunctorImEEEESt5arrayIPcLm2EEEEviT0_T1_,comdat
	.globl	_ZN2at6native29vectorized_elementwise_kernelILi16ENS0_13AUnaryFunctorImmbNS0_12_GLOBAL__N_116CompareEqFunctorImEEEESt5arrayIPcLm2EEEEviT0_T1_ ; -- Begin function _ZN2at6native29vectorized_elementwise_kernelILi16ENS0_13AUnaryFunctorImmbNS0_12_GLOBAL__N_116CompareEqFunctorImEEEESt5arrayIPcLm2EEEEviT0_T1_
	.p2align	8
	.type	_ZN2at6native29vectorized_elementwise_kernelILi16ENS0_13AUnaryFunctorImmbNS0_12_GLOBAL__N_116CompareEqFunctorImEEEESt5arrayIPcLm2EEEEviT0_T1_,@function
_ZN2at6native29vectorized_elementwise_kernelILi16ENS0_13AUnaryFunctorImmbNS0_12_GLOBAL__N_116CompareEqFunctorImEEEESt5arrayIPcLm2EEEEviT0_T1_: ; @_ZN2at6native29vectorized_elementwise_kernelILi16ENS0_13AUnaryFunctorImmbNS0_12_GLOBAL__N_116CompareEqFunctorImEEEESt5arrayIPcLm2EEEEviT0_T1_
; %bb.0:
	s_load_dword s0, s[4:5], 0x0
	s_load_dword s42, s[4:5], 0x8
	s_load_dwordx4 s[36:39], s[4:5], 0x10
	s_load_dwordx2 s[34:35], s[4:5], 0x20
	s_lshl_b32 s30, s6, 12
	s_waitcnt lgkmcnt(0)
	s_sub_i32 s33, s0, s30
	s_cmpk_gt_i32 s33, 0xfff
	s_mov_b64 s[0:1], -1
	s_cbranch_scc0 .LBB365_2
; %bb.1:
	s_ashr_i32 s31, s30, 31
	s_lshl_b64 s[0:1], s[30:31], 3
	s_add_u32 s0, s34, s0
	s_addc_u32 s1, s35, s1
	v_lshlrev_b32_e32 v33, 7, v0
	global_load_dwordx4 v[1:4], v33, s[0:1]
	global_load_dwordx4 v[5:8], v33, s[0:1] offset:16
	global_load_dwordx4 v[9:12], v33, s[0:1] offset:32
	;; [unrolled: 1-line block ×7, first 2 shown]
	s_cmp_eq_u32 s42, 0
	s_cselect_b64 s[44:45], -1, 0
	s_add_u32 s40, s38, s30
	s_addc_u32 s41, s39, s31
	v_lshlrev_b32_e32 v33, 4, v0
	s_waitcnt vmcnt(7)
	v_cmp_ne_u64_e64 s[0:1], s[36:37], v[1:2]
	s_waitcnt vmcnt(6)
	v_cmp_ne_u64_e64 s[2:3], s[36:37], v[7:8]
	v_cmp_ne_u64_e64 s[4:5], s[36:37], v[5:6]
	s_xor_b64 s[0:1], s[44:45], s[0:1]
	s_waitcnt vmcnt(5)
	v_cmp_ne_u64_e64 s[6:7], s[36:37], v[11:12]
	v_cndmask_b32_e64 v2, 0, 1, s[0:1]
	s_xor_b64 s[0:1], s[44:45], s[2:3]
	v_cmp_ne_u64_e32 vcc, s[36:37], v[3:4]
	v_cmp_ne_u64_e64 s[8:9], s[36:37], v[9:10]
	v_cndmask_b32_e64 v3, 0, 1, s[0:1]
	s_xor_b64 s[0:1], s[44:45], s[4:5]
	s_waitcnt vmcnt(4)
	v_cmp_ne_u64_e64 s[10:11], s[36:37], v[15:16]
	v_cndmask_b32_e64 v4, 0, 1, s[0:1]
	s_xor_b64 s[0:1], s[44:45], s[6:7]
	v_cmp_ne_u64_e64 s[12:13], s[36:37], v[13:14]
	v_cndmask_b32_e64 v5, 0, 1, s[0:1]
	s_xor_b64 s[0:1], s[44:45], s[8:9]
	s_waitcnt vmcnt(3)
	v_cmp_ne_u64_e64 s[14:15], s[36:37], v[19:20]
	v_cndmask_b32_e64 v6, 0, 1, s[0:1]
	s_xor_b64 s[0:1], s[44:45], s[10:11]
	;; [unrolled: 7-line block ×5, first 2 shown]
	v_cmp_ne_u64_e64 s[28:29], s[36:37], v[29:30]
	v_cndmask_b32_e64 v13, 0, 1, s[0:1]
	s_xor_b64 s[0:1], s[44:45], s[24:25]
	s_xor_b64 s[46:47], s[44:45], vcc
	v_cndmask_b32_e64 v14, 0, 1, s[0:1]
	s_xor_b64 s[0:1], s[44:45], s[26:27]
	v_cndmask_b32_e64 v1, 0, 1, s[46:47]
	v_cndmask_b32_e64 v15, 0, 1, s[0:1]
	s_xor_b64 s[0:1], s[44:45], s[28:29]
	v_cndmask_b32_e64 v16, 0, 1, s[0:1]
	v_lshlrev_b16_e32 v1, 8, v1
	v_lshlrev_b16_e32 v3, 8, v3
	;; [unrolled: 1-line block ×8, first 2 shown]
	v_or_b32_e32 v1, v2, v1
	v_or_b32_sdwa v2, v4, v3 dst_sel:WORD_1 dst_unused:UNUSED_PAD src0_sel:DWORD src1_sel:DWORD
	v_or_b32_e32 v3, v6, v5
	v_or_b32_sdwa v4, v8, v7 dst_sel:WORD_1 dst_unused:UNUSED_PAD src0_sel:DWORD src1_sel:DWORD
	v_or_b32_e32 v5, v10, v9
	v_or_b32_sdwa v6, v12, v11 dst_sel:WORD_1 dst_unused:UNUSED_PAD src0_sel:DWORD src1_sel:DWORD
	v_or_b32_e32 v7, v14, v13
	v_or_b32_sdwa v8, v16, v15 dst_sel:WORD_1 dst_unused:UNUSED_PAD src0_sel:DWORD src1_sel:DWORD
	v_or_b32_sdwa v1, v1, v2 dst_sel:DWORD dst_unused:UNUSED_PAD src0_sel:WORD_0 src1_sel:DWORD
	v_or_b32_sdwa v2, v3, v4 dst_sel:DWORD dst_unused:UNUSED_PAD src0_sel:WORD_0 src1_sel:DWORD
	;; [unrolled: 1-line block ×4, first 2 shown]
	global_store_dwordx4 v33, v[1:4], s[40:41]
	s_mov_b64 s[0:1], 0
.LBB365_2:
	s_andn2_b64 vcc, exec, s[0:1]
	s_cbranch_vccnz .LBB365_52
; %bb.3:
	v_mov_b32_e32 v1, 0
	v_mov_b32_e32 v4, 0
	v_cmp_gt_i32_e32 vcc, s33, v0
	v_mov_b32_e32 v2, 0
	v_or_b32_e32 v3, s30, v0
	v_mov_b32_e32 v5, 0
	v_mov_b32_e32 v34, v0
	s_and_saveexec_b64 s[2:3], vcc
	s_cbranch_execz .LBB365_5
; %bb.4:
	v_mov_b32_e32 v4, 0
	v_lshlrev_b64 v[4:5], 3, v[3:4]
	v_mov_b32_e32 v6, s35
	v_add_co_u32_e64 v4, s[0:1], s34, v4
	v_addc_co_u32_e64 v5, s[0:1], v6, v5, s[0:1]
	global_load_dwordx2 v[4:5], v[4:5], off
	v_or_b32_e32 v34, 0x100, v0
.LBB365_5:
	s_or_b64 exec, exec, s[2:3]
	v_cmp_gt_i32_e64 s[0:1], s33, v34
	s_and_saveexec_b64 s[2:3], s[0:1]
	s_cbranch_execz .LBB365_7
; %bb.6:
	v_add_u32_e32 v1, s30, v34
	v_mov_b32_e32 v2, 0
	v_lshlrev_b64 v[1:2], 3, v[1:2]
	v_mov_b32_e32 v6, s35
	v_add_co_u32_e64 v1, s[0:1], s34, v1
	v_addc_co_u32_e64 v2, s[0:1], v6, v2, s[0:1]
	global_load_dwordx2 v[1:2], v[1:2], off
	v_add_u32_e32 v34, 0x100, v34
.LBB365_7:
	s_or_b64 exec, exec, s[2:3]
	v_mov_b32_e32 v6, 0
	v_mov_b32_e32 v8, 0
	v_mov_b32_e32 v7, 0
	v_mov_b32_e32 v9, 0
	v_cmp_gt_i32_e64 s[0:1], s33, v34
	s_and_saveexec_b64 s[2:3], s[0:1]
	s_cbranch_execz .LBB365_9
; %bb.8:
	v_add_u32_e32 v8, s30, v34
	v_mov_b32_e32 v9, 0
	v_lshlrev_b64 v[8:9], 3, v[8:9]
	v_mov_b32_e32 v10, s35
	v_add_co_u32_e64 v8, s[0:1], s34, v8
	v_addc_co_u32_e64 v9, s[0:1], v10, v9, s[0:1]
	global_load_dwordx2 v[8:9], v[8:9], off
	v_add_u32_e32 v34, 0x100, v34
.LBB365_9:
	s_or_b64 exec, exec, s[2:3]
	v_cmp_gt_i32_e64 s[0:1], s33, v34
	s_and_saveexec_b64 s[2:3], s[0:1]
	s_cbranch_execz .LBB365_11
; %bb.10:
	v_add_u32_e32 v6, s30, v34
	v_mov_b32_e32 v7, 0
	v_lshlrev_b64 v[6:7], 3, v[6:7]
	v_mov_b32_e32 v10, s35
	v_add_co_u32_e64 v6, s[0:1], s34, v6
	v_addc_co_u32_e64 v7, s[0:1], v10, v7, s[0:1]
	global_load_dwordx2 v[6:7], v[6:7], off
	v_add_u32_e32 v34, 0x100, v34
.LBB365_11:
	s_or_b64 exec, exec, s[2:3]
	v_mov_b32_e32 v10, 0
	v_mov_b32_e32 v12, 0
	v_mov_b32_e32 v11, 0
	v_mov_b32_e32 v13, 0
	v_cmp_gt_i32_e64 s[0:1], s33, v34
	s_and_saveexec_b64 s[2:3], s[0:1]
	s_cbranch_execz .LBB365_13
; %bb.12:
	v_add_u32_e32 v12, s30, v34
	v_mov_b32_e32 v13, 0
	v_lshlrev_b64 v[12:13], 3, v[12:13]
	v_mov_b32_e32 v14, s35
	v_add_co_u32_e64 v12, s[0:1], s34, v12
	v_addc_co_u32_e64 v13, s[0:1], v14, v13, s[0:1]
	global_load_dwordx2 v[12:13], v[12:13], off
	v_add_u32_e32 v34, 0x100, v34
.LBB365_13:
	;; [unrolled: 32-line block ×7, first 2 shown]
	s_or_b64 exec, exec, s[2:3]
	v_cmp_gt_i32_e64 s[0:1], s33, v34
	s_and_saveexec_b64 s[2:3], s[0:1]
	s_cbranch_execz .LBB365_35
; %bb.34:
	v_add_u32_e32 v30, s30, v34
	v_mov_b32_e32 v31, 0
	v_lshlrev_b64 v[30:31], 3, v[30:31]
	v_mov_b32_e32 v34, s35
	v_add_co_u32_e64 v30, s[0:1], s34, v30
	v_addc_co_u32_e64 v31, s[0:1], v34, v31, s[0:1]
	global_load_dwordx2 v[30:31], v[30:31], off
.LBB365_35:
	s_or_b64 exec, exec, s[2:3]
	s_cmp_eq_u32 s42, 0
	s_cselect_b64 s[0:1], -1, 0
	s_and_saveexec_b64 s[2:3], vcc
	s_cbranch_execnz .LBB365_53
; %bb.36:
	s_or_b64 exec, exec, s[2:3]
	v_cmp_gt_i32_e32 vcc, s33, v0
	s_and_saveexec_b64 s[2:3], vcc
	s_cbranch_execnz .LBB365_54
.LBB365_37:
	s_or_b64 exec, exec, s[2:3]
	v_cmp_gt_i32_e32 vcc, s33, v0
	s_and_saveexec_b64 s[2:3], vcc
	s_cbranch_execnz .LBB365_55
.LBB365_38:
	s_or_b64 exec, exec, s[2:3]
	v_cmp_gt_i32_e32 vcc, s33, v0
	s_and_saveexec_b64 s[2:3], vcc
	s_cbranch_execnz .LBB365_56
.LBB365_39:
	s_or_b64 exec, exec, s[2:3]
	v_cmp_gt_i32_e32 vcc, s33, v0
	s_and_saveexec_b64 s[2:3], vcc
	s_cbranch_execnz .LBB365_57
.LBB365_40:
	s_or_b64 exec, exec, s[2:3]
	v_cmp_gt_i32_e32 vcc, s33, v0
	s_and_saveexec_b64 s[2:3], vcc
	s_cbranch_execnz .LBB365_58
.LBB365_41:
	s_or_b64 exec, exec, s[2:3]
	v_cmp_gt_i32_e32 vcc, s33, v0
	s_and_saveexec_b64 s[2:3], vcc
	s_cbranch_execnz .LBB365_59
.LBB365_42:
	s_or_b64 exec, exec, s[2:3]
	v_cmp_gt_i32_e32 vcc, s33, v0
	s_and_saveexec_b64 s[2:3], vcc
	s_cbranch_execnz .LBB365_60
.LBB365_43:
	s_or_b64 exec, exec, s[2:3]
	v_cmp_gt_i32_e32 vcc, s33, v0
	s_and_saveexec_b64 s[2:3], vcc
	s_cbranch_execnz .LBB365_61
.LBB365_44:
	s_or_b64 exec, exec, s[2:3]
	v_cmp_gt_i32_e32 vcc, s33, v0
	s_and_saveexec_b64 s[2:3], vcc
	s_cbranch_execnz .LBB365_62
.LBB365_45:
	s_or_b64 exec, exec, s[2:3]
	v_cmp_gt_i32_e32 vcc, s33, v0
	s_and_saveexec_b64 s[2:3], vcc
	s_cbranch_execnz .LBB365_63
.LBB365_46:
	s_or_b64 exec, exec, s[2:3]
	v_cmp_gt_i32_e32 vcc, s33, v0
	s_and_saveexec_b64 s[2:3], vcc
	s_cbranch_execnz .LBB365_64
.LBB365_47:
	s_or_b64 exec, exec, s[2:3]
	v_cmp_gt_i32_e32 vcc, s33, v0
	s_and_saveexec_b64 s[2:3], vcc
	s_cbranch_execnz .LBB365_65
.LBB365_48:
	s_or_b64 exec, exec, s[2:3]
	v_cmp_gt_i32_e32 vcc, s33, v0
	s_and_saveexec_b64 s[2:3], vcc
	s_cbranch_execnz .LBB365_66
.LBB365_49:
	s_or_b64 exec, exec, s[2:3]
	v_cmp_gt_i32_e32 vcc, s33, v0
	s_and_saveexec_b64 s[2:3], vcc
	s_cbranch_execnz .LBB365_67
.LBB365_50:
	s_or_b64 exec, exec, s[2:3]
	v_cmp_gt_i32_e32 vcc, s33, v0
	s_and_saveexec_b64 s[2:3], vcc
	s_cbranch_execz .LBB365_52
.LBB365_51:
	s_waitcnt vmcnt(0)
	v_cmp_ne_u64_e32 vcc, s[36:37], v[30:31]
	v_add_u32_e32 v0, s30, v0
	s_xor_b64 s[0:1], s[0:1], vcc
	v_cndmask_b32_e64 v1, 0, 1, s[0:1]
	global_store_byte v0, v1, s[38:39]
.LBB365_52:
	s_endpgm
.LBB365_53:
	s_waitcnt vmcnt(0)
	v_cmp_ne_u64_e32 vcc, s[36:37], v[4:5]
	v_or_b32_e32 v0, 0x100, v0
	s_xor_b64 s[4:5], s[0:1], vcc
	v_cndmask_b32_e64 v4, 0, 1, s[4:5]
	global_store_byte v3, v4, s[38:39]
	s_or_b64 exec, exec, s[2:3]
	v_cmp_gt_i32_e32 vcc, s33, v0
	s_and_saveexec_b64 s[2:3], vcc
	s_cbranch_execz .LBB365_37
.LBB365_54:
	s_waitcnt vmcnt(0)
	v_cmp_ne_u64_e32 vcc, s[36:37], v[1:2]
	v_add_u32_e32 v2, s30, v0
	s_xor_b64 s[4:5], s[0:1], vcc
	v_cndmask_b32_e64 v1, 0, 1, s[4:5]
	v_add_u32_e32 v0, 0x100, v0
	global_store_byte v2, v1, s[38:39]
	s_or_b64 exec, exec, s[2:3]
	v_cmp_gt_i32_e32 vcc, s33, v0
	s_and_saveexec_b64 s[2:3], vcc
	s_cbranch_execz .LBB365_38
.LBB365_55:
	s_waitcnt vmcnt(0)
	v_cmp_ne_u64_e32 vcc, s[36:37], v[8:9]
	v_add_u32_e32 v2, s30, v0
	s_xor_b64 s[4:5], s[0:1], vcc
	v_cndmask_b32_e64 v1, 0, 1, s[4:5]
	v_add_u32_e32 v0, 0x100, v0
	global_store_byte v2, v1, s[38:39]
	s_or_b64 exec, exec, s[2:3]
	v_cmp_gt_i32_e32 vcc, s33, v0
	s_and_saveexec_b64 s[2:3], vcc
	s_cbranch_execz .LBB365_39
.LBB365_56:
	s_waitcnt vmcnt(0)
	v_cmp_ne_u64_e32 vcc, s[36:37], v[6:7]
	v_add_u32_e32 v2, s30, v0
	s_xor_b64 s[4:5], s[0:1], vcc
	v_cndmask_b32_e64 v1, 0, 1, s[4:5]
	v_add_u32_e32 v0, 0x100, v0
	global_store_byte v2, v1, s[38:39]
	s_or_b64 exec, exec, s[2:3]
	v_cmp_gt_i32_e32 vcc, s33, v0
	s_and_saveexec_b64 s[2:3], vcc
	s_cbranch_execz .LBB365_40
.LBB365_57:
	s_waitcnt vmcnt(0)
	v_cmp_ne_u64_e32 vcc, s[36:37], v[12:13]
	v_add_u32_e32 v2, s30, v0
	s_xor_b64 s[4:5], s[0:1], vcc
	v_cndmask_b32_e64 v1, 0, 1, s[4:5]
	v_add_u32_e32 v0, 0x100, v0
	global_store_byte v2, v1, s[38:39]
	s_or_b64 exec, exec, s[2:3]
	v_cmp_gt_i32_e32 vcc, s33, v0
	s_and_saveexec_b64 s[2:3], vcc
	s_cbranch_execz .LBB365_41
.LBB365_58:
	s_waitcnt vmcnt(0)
	v_cmp_ne_u64_e32 vcc, s[36:37], v[10:11]
	v_add_u32_e32 v2, s30, v0
	s_xor_b64 s[4:5], s[0:1], vcc
	v_cndmask_b32_e64 v1, 0, 1, s[4:5]
	v_add_u32_e32 v0, 0x100, v0
	global_store_byte v2, v1, s[38:39]
	s_or_b64 exec, exec, s[2:3]
	v_cmp_gt_i32_e32 vcc, s33, v0
	s_and_saveexec_b64 s[2:3], vcc
	s_cbranch_execz .LBB365_42
.LBB365_59:
	s_waitcnt vmcnt(0)
	v_cmp_ne_u64_e32 vcc, s[36:37], v[16:17]
	v_add_u32_e32 v2, s30, v0
	s_xor_b64 s[4:5], s[0:1], vcc
	v_cndmask_b32_e64 v1, 0, 1, s[4:5]
	v_add_u32_e32 v0, 0x100, v0
	global_store_byte v2, v1, s[38:39]
	s_or_b64 exec, exec, s[2:3]
	v_cmp_gt_i32_e32 vcc, s33, v0
	s_and_saveexec_b64 s[2:3], vcc
	s_cbranch_execz .LBB365_43
.LBB365_60:
	s_waitcnt vmcnt(0)
	v_cmp_ne_u64_e32 vcc, s[36:37], v[14:15]
	v_add_u32_e32 v2, s30, v0
	s_xor_b64 s[4:5], s[0:1], vcc
	v_cndmask_b32_e64 v1, 0, 1, s[4:5]
	v_add_u32_e32 v0, 0x100, v0
	global_store_byte v2, v1, s[38:39]
	s_or_b64 exec, exec, s[2:3]
	v_cmp_gt_i32_e32 vcc, s33, v0
	s_and_saveexec_b64 s[2:3], vcc
	s_cbranch_execz .LBB365_44
.LBB365_61:
	s_waitcnt vmcnt(0)
	v_cmp_ne_u64_e32 vcc, s[36:37], v[20:21]
	v_add_u32_e32 v2, s30, v0
	s_xor_b64 s[4:5], s[0:1], vcc
	v_cndmask_b32_e64 v1, 0, 1, s[4:5]
	v_add_u32_e32 v0, 0x100, v0
	global_store_byte v2, v1, s[38:39]
	s_or_b64 exec, exec, s[2:3]
	v_cmp_gt_i32_e32 vcc, s33, v0
	s_and_saveexec_b64 s[2:3], vcc
	s_cbranch_execz .LBB365_45
.LBB365_62:
	s_waitcnt vmcnt(0)
	v_cmp_ne_u64_e32 vcc, s[36:37], v[18:19]
	v_add_u32_e32 v2, s30, v0
	s_xor_b64 s[4:5], s[0:1], vcc
	v_cndmask_b32_e64 v1, 0, 1, s[4:5]
	v_add_u32_e32 v0, 0x100, v0
	global_store_byte v2, v1, s[38:39]
	s_or_b64 exec, exec, s[2:3]
	v_cmp_gt_i32_e32 vcc, s33, v0
	s_and_saveexec_b64 s[2:3], vcc
	s_cbranch_execz .LBB365_46
.LBB365_63:
	s_waitcnt vmcnt(0)
	v_cmp_ne_u64_e32 vcc, s[36:37], v[24:25]
	v_add_u32_e32 v2, s30, v0
	s_xor_b64 s[4:5], s[0:1], vcc
	v_cndmask_b32_e64 v1, 0, 1, s[4:5]
	v_add_u32_e32 v0, 0x100, v0
	global_store_byte v2, v1, s[38:39]
	s_or_b64 exec, exec, s[2:3]
	v_cmp_gt_i32_e32 vcc, s33, v0
	s_and_saveexec_b64 s[2:3], vcc
	s_cbranch_execz .LBB365_47
.LBB365_64:
	s_waitcnt vmcnt(0)
	v_cmp_ne_u64_e32 vcc, s[36:37], v[22:23]
	v_add_u32_e32 v2, s30, v0
	s_xor_b64 s[4:5], s[0:1], vcc
	v_cndmask_b32_e64 v1, 0, 1, s[4:5]
	v_add_u32_e32 v0, 0x100, v0
	global_store_byte v2, v1, s[38:39]
	s_or_b64 exec, exec, s[2:3]
	v_cmp_gt_i32_e32 vcc, s33, v0
	s_and_saveexec_b64 s[2:3], vcc
	s_cbranch_execz .LBB365_48
.LBB365_65:
	s_waitcnt vmcnt(0)
	v_cmp_ne_u64_e32 vcc, s[36:37], v[28:29]
	v_add_u32_e32 v2, s30, v0
	s_xor_b64 s[4:5], s[0:1], vcc
	v_cndmask_b32_e64 v1, 0, 1, s[4:5]
	v_add_u32_e32 v0, 0x100, v0
	global_store_byte v2, v1, s[38:39]
	s_or_b64 exec, exec, s[2:3]
	v_cmp_gt_i32_e32 vcc, s33, v0
	s_and_saveexec_b64 s[2:3], vcc
	s_cbranch_execz .LBB365_49
.LBB365_66:
	s_waitcnt vmcnt(0)
	v_cmp_ne_u64_e32 vcc, s[36:37], v[26:27]
	v_add_u32_e32 v2, s30, v0
	s_xor_b64 s[4:5], s[0:1], vcc
	v_cndmask_b32_e64 v1, 0, 1, s[4:5]
	v_add_u32_e32 v0, 0x100, v0
	global_store_byte v2, v1, s[38:39]
	s_or_b64 exec, exec, s[2:3]
	v_cmp_gt_i32_e32 vcc, s33, v0
	s_and_saveexec_b64 s[2:3], vcc
	s_cbranch_execz .LBB365_50
.LBB365_67:
	s_waitcnt vmcnt(0)
	v_cmp_ne_u64_e32 vcc, s[36:37], v[32:33]
	v_add_u32_e32 v2, s30, v0
	s_xor_b64 s[4:5], s[0:1], vcc
	v_cndmask_b32_e64 v1, 0, 1, s[4:5]
	v_add_u32_e32 v0, 0x100, v0
	global_store_byte v2, v1, s[38:39]
	s_or_b64 exec, exec, s[2:3]
	v_cmp_gt_i32_e32 vcc, s33, v0
	s_and_saveexec_b64 s[2:3], vcc
	s_cbranch_execnz .LBB365_51
	s_branch .LBB365_52
	.section	.rodata,"a",@progbits
	.p2align	6, 0x0
	.amdhsa_kernel _ZN2at6native29vectorized_elementwise_kernelILi16ENS0_13AUnaryFunctorImmbNS0_12_GLOBAL__N_116CompareEqFunctorImEEEESt5arrayIPcLm2EEEEviT0_T1_
		.amdhsa_group_segment_fixed_size 0
		.amdhsa_private_segment_fixed_size 0
		.amdhsa_kernarg_size 40
		.amdhsa_user_sgpr_count 6
		.amdhsa_user_sgpr_private_segment_buffer 1
		.amdhsa_user_sgpr_dispatch_ptr 0
		.amdhsa_user_sgpr_queue_ptr 0
		.amdhsa_user_sgpr_kernarg_segment_ptr 1
		.amdhsa_user_sgpr_dispatch_id 0
		.amdhsa_user_sgpr_flat_scratch_init 0
		.amdhsa_user_sgpr_private_segment_size 0
		.amdhsa_uses_dynamic_stack 0
		.amdhsa_system_sgpr_private_segment_wavefront_offset 0
		.amdhsa_system_sgpr_workgroup_id_x 1
		.amdhsa_system_sgpr_workgroup_id_y 0
		.amdhsa_system_sgpr_workgroup_id_z 0
		.amdhsa_system_sgpr_workgroup_info 0
		.amdhsa_system_vgpr_workitem_id 0
		.amdhsa_next_free_vgpr 36
		.amdhsa_next_free_sgpr 48
		.amdhsa_reserve_vcc 1
		.amdhsa_reserve_flat_scratch 0
		.amdhsa_float_round_mode_32 0
		.amdhsa_float_round_mode_16_64 0
		.amdhsa_float_denorm_mode_32 3
		.amdhsa_float_denorm_mode_16_64 3
		.amdhsa_dx10_clamp 1
		.amdhsa_ieee_mode 1
		.amdhsa_fp16_overflow 0
		.amdhsa_exception_fp_ieee_invalid_op 0
		.amdhsa_exception_fp_denorm_src 0
		.amdhsa_exception_fp_ieee_div_zero 0
		.amdhsa_exception_fp_ieee_overflow 0
		.amdhsa_exception_fp_ieee_underflow 0
		.amdhsa_exception_fp_ieee_inexact 0
		.amdhsa_exception_int_div_zero 0
	.end_amdhsa_kernel
	.section	.text._ZN2at6native29vectorized_elementwise_kernelILi16ENS0_13AUnaryFunctorImmbNS0_12_GLOBAL__N_116CompareEqFunctorImEEEESt5arrayIPcLm2EEEEviT0_T1_,"axG",@progbits,_ZN2at6native29vectorized_elementwise_kernelILi16ENS0_13AUnaryFunctorImmbNS0_12_GLOBAL__N_116CompareEqFunctorImEEEESt5arrayIPcLm2EEEEviT0_T1_,comdat
.Lfunc_end365:
	.size	_ZN2at6native29vectorized_elementwise_kernelILi16ENS0_13AUnaryFunctorImmbNS0_12_GLOBAL__N_116CompareEqFunctorImEEEESt5arrayIPcLm2EEEEviT0_T1_, .Lfunc_end365-_ZN2at6native29vectorized_elementwise_kernelILi16ENS0_13AUnaryFunctorImmbNS0_12_GLOBAL__N_116CompareEqFunctorImEEEESt5arrayIPcLm2EEEEviT0_T1_
                                        ; -- End function
	.set _ZN2at6native29vectorized_elementwise_kernelILi16ENS0_13AUnaryFunctorImmbNS0_12_GLOBAL__N_116CompareEqFunctorImEEEESt5arrayIPcLm2EEEEviT0_T1_.num_vgpr, 36
	.set _ZN2at6native29vectorized_elementwise_kernelILi16ENS0_13AUnaryFunctorImmbNS0_12_GLOBAL__N_116CompareEqFunctorImEEEESt5arrayIPcLm2EEEEviT0_T1_.num_agpr, 0
	.set _ZN2at6native29vectorized_elementwise_kernelILi16ENS0_13AUnaryFunctorImmbNS0_12_GLOBAL__N_116CompareEqFunctorImEEEESt5arrayIPcLm2EEEEviT0_T1_.numbered_sgpr, 48
	.set _ZN2at6native29vectorized_elementwise_kernelILi16ENS0_13AUnaryFunctorImmbNS0_12_GLOBAL__N_116CompareEqFunctorImEEEESt5arrayIPcLm2EEEEviT0_T1_.num_named_barrier, 0
	.set _ZN2at6native29vectorized_elementwise_kernelILi16ENS0_13AUnaryFunctorImmbNS0_12_GLOBAL__N_116CompareEqFunctorImEEEESt5arrayIPcLm2EEEEviT0_T1_.private_seg_size, 0
	.set _ZN2at6native29vectorized_elementwise_kernelILi16ENS0_13AUnaryFunctorImmbNS0_12_GLOBAL__N_116CompareEqFunctorImEEEESt5arrayIPcLm2EEEEviT0_T1_.uses_vcc, 1
	.set _ZN2at6native29vectorized_elementwise_kernelILi16ENS0_13AUnaryFunctorImmbNS0_12_GLOBAL__N_116CompareEqFunctorImEEEESt5arrayIPcLm2EEEEviT0_T1_.uses_flat_scratch, 0
	.set _ZN2at6native29vectorized_elementwise_kernelILi16ENS0_13AUnaryFunctorImmbNS0_12_GLOBAL__N_116CompareEqFunctorImEEEESt5arrayIPcLm2EEEEviT0_T1_.has_dyn_sized_stack, 0
	.set _ZN2at6native29vectorized_elementwise_kernelILi16ENS0_13AUnaryFunctorImmbNS0_12_GLOBAL__N_116CompareEqFunctorImEEEESt5arrayIPcLm2EEEEviT0_T1_.has_recursion, 0
	.set _ZN2at6native29vectorized_elementwise_kernelILi16ENS0_13AUnaryFunctorImmbNS0_12_GLOBAL__N_116CompareEqFunctorImEEEESt5arrayIPcLm2EEEEviT0_T1_.has_indirect_call, 0
	.section	.AMDGPU.csdata,"",@progbits
; Kernel info:
; codeLenInByte = 3044
; TotalNumSgprs: 52
; NumVgprs: 36
; ScratchSize: 0
; MemoryBound: 0
; FloatMode: 240
; IeeeMode: 1
; LDSByteSize: 0 bytes/workgroup (compile time only)
; SGPRBlocks: 6
; VGPRBlocks: 8
; NumSGPRsForWavesPerEU: 52
; NumVGPRsForWavesPerEU: 36
; Occupancy: 7
; WaveLimiterHint : 0
; COMPUTE_PGM_RSRC2:SCRATCH_EN: 0
; COMPUTE_PGM_RSRC2:USER_SGPR: 6
; COMPUTE_PGM_RSRC2:TRAP_HANDLER: 0
; COMPUTE_PGM_RSRC2:TGID_X_EN: 1
; COMPUTE_PGM_RSRC2:TGID_Y_EN: 0
; COMPUTE_PGM_RSRC2:TGID_Z_EN: 0
; COMPUTE_PGM_RSRC2:TIDIG_COMP_CNT: 0
	.section	.text._ZN2at6native29vectorized_elementwise_kernelILi8ENS0_13AUnaryFunctorImmbNS0_12_GLOBAL__N_116CompareEqFunctorImEEEESt5arrayIPcLm2EEEEviT0_T1_,"axG",@progbits,_ZN2at6native29vectorized_elementwise_kernelILi8ENS0_13AUnaryFunctorImmbNS0_12_GLOBAL__N_116CompareEqFunctorImEEEESt5arrayIPcLm2EEEEviT0_T1_,comdat
	.globl	_ZN2at6native29vectorized_elementwise_kernelILi8ENS0_13AUnaryFunctorImmbNS0_12_GLOBAL__N_116CompareEqFunctorImEEEESt5arrayIPcLm2EEEEviT0_T1_ ; -- Begin function _ZN2at6native29vectorized_elementwise_kernelILi8ENS0_13AUnaryFunctorImmbNS0_12_GLOBAL__N_116CompareEqFunctorImEEEESt5arrayIPcLm2EEEEviT0_T1_
	.p2align	8
	.type	_ZN2at6native29vectorized_elementwise_kernelILi8ENS0_13AUnaryFunctorImmbNS0_12_GLOBAL__N_116CompareEqFunctorImEEEESt5arrayIPcLm2EEEEviT0_T1_,@function
_ZN2at6native29vectorized_elementwise_kernelILi8ENS0_13AUnaryFunctorImmbNS0_12_GLOBAL__N_116CompareEqFunctorImEEEESt5arrayIPcLm2EEEEviT0_T1_: ; @_ZN2at6native29vectorized_elementwise_kernelILi8ENS0_13AUnaryFunctorImmbNS0_12_GLOBAL__N_116CompareEqFunctorImEEEESt5arrayIPcLm2EEEEviT0_T1_
; %bb.0:
	s_load_dword s0, s[4:5], 0x0
	s_load_dword s23, s[4:5], 0x8
	s_load_dwordx4 s[16:19], s[4:5], 0x10
	s_load_dwordx2 s[20:21], s[4:5], 0x20
	s_lshl_b32 s14, s6, 12
	s_waitcnt lgkmcnt(0)
	s_sub_i32 s22, s0, s14
	s_cmpk_gt_i32 s22, 0xfff
	s_mov_b64 s[0:1], -1
	s_cbranch_scc0 .LBB366_2
; %bb.1:
	s_ashr_i32 s15, s14, 31
	s_lshl_b64 s[0:1], s[14:15], 3
	s_add_u32 s0, s20, s0
	s_addc_u32 s1, s21, s1
	v_lshlrev_b32_e32 v17, 6, v0
	global_load_dwordx4 v[1:4], v17, s[0:1]
	global_load_dwordx4 v[5:8], v17, s[0:1] offset:16
	global_load_dwordx4 v[9:12], v17, s[0:1] offset:32
	;; [unrolled: 1-line block ×3, first 2 shown]
	v_mov_b32_e32 v18, s1
	v_add_co_u32_e32 v17, vcc, s0, v17
	s_movk_i32 s2, 0x4000
	v_addc_co_u32_e32 v18, vcc, 0, v18, vcc
	v_add_co_u32_e32 v33, vcc, s2, v17
	v_addc_co_u32_e32 v34, vcc, 0, v18, vcc
	global_load_dwordx4 v[17:20], v[33:34], off
	global_load_dwordx4 v[21:24], v[33:34], off offset:16
	global_load_dwordx4 v[25:28], v[33:34], off offset:32
	;; [unrolled: 1-line block ×3, first 2 shown]
	s_cmp_eq_u32 s23, 0
	s_cselect_b64 s[24:25], -1, 0
	v_mov_b32_e32 v33, 0x100
	v_mov_b32_e32 v34, 0x10000
	;; [unrolled: 1-line block ×3, first 2 shown]
	s_waitcnt vmcnt(7)
	v_cmp_ne_u64_e32 vcc, s[16:17], v[1:2]
	v_cmp_ne_u64_e64 s[0:1], s[16:17], v[3:4]
	s_waitcnt vmcnt(6)
	v_cmp_ne_u64_e64 s[2:3], s[16:17], v[5:6]
	v_cmp_ne_u64_e64 s[4:5], s[16:17], v[7:8]
	s_xor_b64 s[26:27], s[24:25], vcc
	s_xor_b64 vcc, s[24:25], s[0:1]
	s_waitcnt vmcnt(5)
	v_cmp_ne_u64_e64 s[8:9], s[16:17], v[11:12]
	v_cndmask_b32_e32 v2, 0, v33, vcc
	s_xor_b64 vcc, s[24:25], s[2:3]
	s_waitcnt vmcnt(4)
	v_cmp_ne_u64_e64 s[10:11], s[16:17], v[13:14]
	v_cndmask_b32_e32 v5, 0, v34, vcc
	s_xor_b64 vcc, s[24:25], s[4:5]
	v_cmp_ne_u64_e64 s[6:7], s[16:17], v[9:10]
	v_cmp_ne_u64_e64 s[12:13], s[16:17], v[15:16]
	v_cndmask_b32_e32 v6, 0, v35, vcc
	s_xor_b64 vcc, s[24:25], s[8:9]
	v_cndmask_b32_e32 v8, 0, v33, vcc
	s_xor_b64 vcc, s[24:25], s[10:11]
	s_xor_b64 s[0:1], s[24:25], s[6:7]
	v_cndmask_b32_e32 v9, 0, v34, vcc
	s_xor_b64 vcc, s[24:25], s[12:13]
	v_cndmask_b32_e64 v7, 0, 1, s[0:1]
	v_cndmask_b32_e32 v10, 0, v35, vcc
	s_waitcnt vmcnt(3)
	v_cmp_ne_u64_e32 vcc, s[16:17], v[17:18]
	v_cmp_ne_u64_e64 s[0:1], s[16:17], v[19:20]
	v_cndmask_b32_e64 v1, 0, 1, s[26:27]
	s_waitcnt vmcnt(2)
	v_cmp_ne_u64_e64 s[2:3], s[16:17], v[21:22]
	v_or_b32_e32 v1, v2, v1
	v_cmp_ne_u64_e64 s[4:5], s[16:17], v[23:24]
	s_xor_b64 s[26:27], s[24:25], vcc
	s_xor_b64 vcc, s[24:25], s[0:1]
	v_or3_b32 v3, 0, 0, 0
	s_waitcnt vmcnt(1)
	v_cmp_ne_u64_e64 s[8:9], s[16:17], v[27:28]
	v_or3_b32 v1, v1, v5, v6
	v_cndmask_b32_e32 v6, 0, v33, vcc
	s_xor_b64 vcc, s[24:25], s[2:3]
	v_or3_b32 v2, v3, v7, v8
	s_waitcnt vmcnt(0)
	v_cmp_ne_u64_e64 s[10:11], s[16:17], v[29:30]
	v_cndmask_b32_e32 v7, 0, v34, vcc
	s_xor_b64 vcc, s[24:25], s[4:5]
	v_cmp_ne_u64_e64 s[6:7], s[16:17], v[25:26]
	v_cmp_ne_u64_e64 s[12:13], s[16:17], v[31:32]
	v_cndmask_b32_e32 v8, 0, v35, vcc
	s_xor_b64 vcc, s[24:25], s[8:9]
	v_or3_b32 v2, v2, v9, v10
	v_cndmask_b32_e64 v5, 0, 1, s[26:27]
	v_cndmask_b32_e32 v10, 0, v33, vcc
	s_xor_b64 vcc, s[24:25], s[10:11]
	s_xor_b64 s[0:1], s[24:25], s[6:7]
	v_cndmask_b32_e32 v11, 0, v34, vcc
	s_xor_b64 vcc, s[24:25], s[12:13]
	v_or_b32_e32 v5, v6, v5
	v_or3_b32 v1, v1, 0, 0
	v_cndmask_b32_e64 v9, 0, 1, s[0:1]
	s_add_u32 s0, s18, s14
	v_or3_b32 v5, v5, v7, v8
	v_lshlrev_b32_e32 v4, 3, v0
	v_cndmask_b32_e32 v12, 0, v35, vcc
	v_or3_b32 v1, v1, 0, 0
	v_or3_b32 v3, v3, v9, v10
	s_addc_u32 s1, s19, s15
	v_or3_b32 v5, v5, 0, 0
	v_or3_b32 v3, v3, v11, v12
	global_store_dwordx2 v4, v[1:2], s[0:1]
	v_or3_b32 v2, v5, 0, 0
	global_store_dwordx2 v4, v[2:3], s[0:1] offset:2048
	s_mov_b64 s[0:1], 0
.LBB366_2:
	s_andn2_b64 vcc, exec, s[0:1]
	s_cbranch_vccnz .LBB366_52
; %bb.3:
	v_mov_b32_e32 v1, 0
	v_mov_b32_e32 v4, 0
	v_cmp_gt_i32_e32 vcc, s22, v0
	v_mov_b32_e32 v2, 0
	v_or_b32_e32 v3, s14, v0
	v_mov_b32_e32 v5, 0
	v_mov_b32_e32 v34, v0
	s_and_saveexec_b64 s[2:3], vcc
	s_cbranch_execz .LBB366_5
; %bb.4:
	v_mov_b32_e32 v4, 0
	v_lshlrev_b64 v[4:5], 3, v[3:4]
	v_mov_b32_e32 v6, s21
	v_add_co_u32_e64 v4, s[0:1], s20, v4
	v_addc_co_u32_e64 v5, s[0:1], v6, v5, s[0:1]
	global_load_dwordx2 v[4:5], v[4:5], off
	v_or_b32_e32 v34, 0x100, v0
.LBB366_5:
	s_or_b64 exec, exec, s[2:3]
	v_cmp_gt_i32_e64 s[0:1], s22, v34
	s_and_saveexec_b64 s[2:3], s[0:1]
	s_cbranch_execz .LBB366_7
; %bb.6:
	v_add_u32_e32 v1, s14, v34
	v_mov_b32_e32 v2, 0
	v_lshlrev_b64 v[1:2], 3, v[1:2]
	v_mov_b32_e32 v6, s21
	v_add_co_u32_e64 v1, s[0:1], s20, v1
	v_addc_co_u32_e64 v2, s[0:1], v6, v2, s[0:1]
	global_load_dwordx2 v[1:2], v[1:2], off
	v_add_u32_e32 v34, 0x100, v34
.LBB366_7:
	s_or_b64 exec, exec, s[2:3]
	v_mov_b32_e32 v6, 0
	v_mov_b32_e32 v8, 0
	v_mov_b32_e32 v7, 0
	v_mov_b32_e32 v9, 0
	v_cmp_gt_i32_e64 s[0:1], s22, v34
	s_and_saveexec_b64 s[2:3], s[0:1]
	s_cbranch_execz .LBB366_9
; %bb.8:
	v_add_u32_e32 v8, s14, v34
	v_mov_b32_e32 v9, 0
	v_lshlrev_b64 v[8:9], 3, v[8:9]
	v_mov_b32_e32 v10, s21
	v_add_co_u32_e64 v8, s[0:1], s20, v8
	v_addc_co_u32_e64 v9, s[0:1], v10, v9, s[0:1]
	global_load_dwordx2 v[8:9], v[8:9], off
	v_add_u32_e32 v34, 0x100, v34
.LBB366_9:
	s_or_b64 exec, exec, s[2:3]
	v_cmp_gt_i32_e64 s[0:1], s22, v34
	s_and_saveexec_b64 s[2:3], s[0:1]
	s_cbranch_execz .LBB366_11
; %bb.10:
	v_add_u32_e32 v6, s14, v34
	v_mov_b32_e32 v7, 0
	v_lshlrev_b64 v[6:7], 3, v[6:7]
	v_mov_b32_e32 v10, s21
	v_add_co_u32_e64 v6, s[0:1], s20, v6
	v_addc_co_u32_e64 v7, s[0:1], v10, v7, s[0:1]
	global_load_dwordx2 v[6:7], v[6:7], off
	v_add_u32_e32 v34, 0x100, v34
.LBB366_11:
	s_or_b64 exec, exec, s[2:3]
	v_mov_b32_e32 v10, 0
	v_mov_b32_e32 v12, 0
	v_mov_b32_e32 v11, 0
	v_mov_b32_e32 v13, 0
	v_cmp_gt_i32_e64 s[0:1], s22, v34
	s_and_saveexec_b64 s[2:3], s[0:1]
	s_cbranch_execz .LBB366_13
; %bb.12:
	v_add_u32_e32 v12, s14, v34
	v_mov_b32_e32 v13, 0
	v_lshlrev_b64 v[12:13], 3, v[12:13]
	v_mov_b32_e32 v14, s21
	v_add_co_u32_e64 v12, s[0:1], s20, v12
	v_addc_co_u32_e64 v13, s[0:1], v14, v13, s[0:1]
	global_load_dwordx2 v[12:13], v[12:13], off
	v_add_u32_e32 v34, 0x100, v34
.LBB366_13:
	;; [unrolled: 32-line block ×7, first 2 shown]
	s_or_b64 exec, exec, s[2:3]
	v_cmp_gt_i32_e64 s[0:1], s22, v34
	s_and_saveexec_b64 s[2:3], s[0:1]
	s_cbranch_execz .LBB366_35
; %bb.34:
	v_add_u32_e32 v30, s14, v34
	v_mov_b32_e32 v31, 0
	v_lshlrev_b64 v[30:31], 3, v[30:31]
	v_mov_b32_e32 v34, s21
	v_add_co_u32_e64 v30, s[0:1], s20, v30
	v_addc_co_u32_e64 v31, s[0:1], v34, v31, s[0:1]
	global_load_dwordx2 v[30:31], v[30:31], off
.LBB366_35:
	s_or_b64 exec, exec, s[2:3]
	s_cmp_eq_u32 s23, 0
	s_cselect_b64 s[0:1], -1, 0
	s_and_saveexec_b64 s[2:3], vcc
	s_cbranch_execnz .LBB366_53
; %bb.36:
	s_or_b64 exec, exec, s[2:3]
	v_cmp_gt_i32_e32 vcc, s22, v0
	s_and_saveexec_b64 s[2:3], vcc
	s_cbranch_execnz .LBB366_54
.LBB366_37:
	s_or_b64 exec, exec, s[2:3]
	v_cmp_gt_i32_e32 vcc, s22, v0
	s_and_saveexec_b64 s[2:3], vcc
	s_cbranch_execnz .LBB366_55
.LBB366_38:
	s_or_b64 exec, exec, s[2:3]
	v_cmp_gt_i32_e32 vcc, s22, v0
	s_and_saveexec_b64 s[2:3], vcc
	s_cbranch_execnz .LBB366_56
.LBB366_39:
	s_or_b64 exec, exec, s[2:3]
	v_cmp_gt_i32_e32 vcc, s22, v0
	s_and_saveexec_b64 s[2:3], vcc
	s_cbranch_execnz .LBB366_57
.LBB366_40:
	s_or_b64 exec, exec, s[2:3]
	v_cmp_gt_i32_e32 vcc, s22, v0
	s_and_saveexec_b64 s[2:3], vcc
	s_cbranch_execnz .LBB366_58
.LBB366_41:
	s_or_b64 exec, exec, s[2:3]
	v_cmp_gt_i32_e32 vcc, s22, v0
	s_and_saveexec_b64 s[2:3], vcc
	s_cbranch_execnz .LBB366_59
.LBB366_42:
	s_or_b64 exec, exec, s[2:3]
	v_cmp_gt_i32_e32 vcc, s22, v0
	s_and_saveexec_b64 s[2:3], vcc
	s_cbranch_execnz .LBB366_60
.LBB366_43:
	s_or_b64 exec, exec, s[2:3]
	v_cmp_gt_i32_e32 vcc, s22, v0
	s_and_saveexec_b64 s[2:3], vcc
	s_cbranch_execnz .LBB366_61
.LBB366_44:
	s_or_b64 exec, exec, s[2:3]
	v_cmp_gt_i32_e32 vcc, s22, v0
	s_and_saveexec_b64 s[2:3], vcc
	s_cbranch_execnz .LBB366_62
.LBB366_45:
	s_or_b64 exec, exec, s[2:3]
	v_cmp_gt_i32_e32 vcc, s22, v0
	s_and_saveexec_b64 s[2:3], vcc
	s_cbranch_execnz .LBB366_63
.LBB366_46:
	s_or_b64 exec, exec, s[2:3]
	v_cmp_gt_i32_e32 vcc, s22, v0
	s_and_saveexec_b64 s[2:3], vcc
	s_cbranch_execnz .LBB366_64
.LBB366_47:
	s_or_b64 exec, exec, s[2:3]
	v_cmp_gt_i32_e32 vcc, s22, v0
	s_and_saveexec_b64 s[2:3], vcc
	s_cbranch_execnz .LBB366_65
.LBB366_48:
	s_or_b64 exec, exec, s[2:3]
	v_cmp_gt_i32_e32 vcc, s22, v0
	s_and_saveexec_b64 s[2:3], vcc
	s_cbranch_execnz .LBB366_66
.LBB366_49:
	s_or_b64 exec, exec, s[2:3]
	v_cmp_gt_i32_e32 vcc, s22, v0
	s_and_saveexec_b64 s[2:3], vcc
	s_cbranch_execnz .LBB366_67
.LBB366_50:
	s_or_b64 exec, exec, s[2:3]
	v_cmp_gt_i32_e32 vcc, s22, v0
	s_and_saveexec_b64 s[2:3], vcc
	s_cbranch_execz .LBB366_52
.LBB366_51:
	s_waitcnt vmcnt(0)
	v_cmp_ne_u64_e32 vcc, s[16:17], v[30:31]
	v_add_u32_e32 v0, s14, v0
	s_xor_b64 s[0:1], s[0:1], vcc
	v_cndmask_b32_e64 v1, 0, 1, s[0:1]
	global_store_byte v0, v1, s[18:19]
.LBB366_52:
	s_endpgm
.LBB366_53:
	s_waitcnt vmcnt(0)
	v_cmp_ne_u64_e32 vcc, s[16:17], v[4:5]
	v_or_b32_e32 v0, 0x100, v0
	s_xor_b64 s[4:5], s[0:1], vcc
	v_cndmask_b32_e64 v4, 0, 1, s[4:5]
	global_store_byte v3, v4, s[18:19]
	s_or_b64 exec, exec, s[2:3]
	v_cmp_gt_i32_e32 vcc, s22, v0
	s_and_saveexec_b64 s[2:3], vcc
	s_cbranch_execz .LBB366_37
.LBB366_54:
	s_waitcnt vmcnt(0)
	v_cmp_ne_u64_e32 vcc, s[16:17], v[1:2]
	v_add_u32_e32 v2, s14, v0
	s_xor_b64 s[4:5], s[0:1], vcc
	v_cndmask_b32_e64 v1, 0, 1, s[4:5]
	v_add_u32_e32 v0, 0x100, v0
	global_store_byte v2, v1, s[18:19]
	s_or_b64 exec, exec, s[2:3]
	v_cmp_gt_i32_e32 vcc, s22, v0
	s_and_saveexec_b64 s[2:3], vcc
	s_cbranch_execz .LBB366_38
.LBB366_55:
	s_waitcnt vmcnt(0)
	v_cmp_ne_u64_e32 vcc, s[16:17], v[8:9]
	v_add_u32_e32 v2, s14, v0
	s_xor_b64 s[4:5], s[0:1], vcc
	v_cndmask_b32_e64 v1, 0, 1, s[4:5]
	v_add_u32_e32 v0, 0x100, v0
	global_store_byte v2, v1, s[18:19]
	s_or_b64 exec, exec, s[2:3]
	v_cmp_gt_i32_e32 vcc, s22, v0
	s_and_saveexec_b64 s[2:3], vcc
	s_cbranch_execz .LBB366_39
.LBB366_56:
	s_waitcnt vmcnt(0)
	v_cmp_ne_u64_e32 vcc, s[16:17], v[6:7]
	v_add_u32_e32 v2, s14, v0
	s_xor_b64 s[4:5], s[0:1], vcc
	v_cndmask_b32_e64 v1, 0, 1, s[4:5]
	v_add_u32_e32 v0, 0x100, v0
	global_store_byte v2, v1, s[18:19]
	s_or_b64 exec, exec, s[2:3]
	v_cmp_gt_i32_e32 vcc, s22, v0
	s_and_saveexec_b64 s[2:3], vcc
	s_cbranch_execz .LBB366_40
.LBB366_57:
	s_waitcnt vmcnt(0)
	v_cmp_ne_u64_e32 vcc, s[16:17], v[12:13]
	v_add_u32_e32 v2, s14, v0
	s_xor_b64 s[4:5], s[0:1], vcc
	v_cndmask_b32_e64 v1, 0, 1, s[4:5]
	v_add_u32_e32 v0, 0x100, v0
	global_store_byte v2, v1, s[18:19]
	s_or_b64 exec, exec, s[2:3]
	v_cmp_gt_i32_e32 vcc, s22, v0
	s_and_saveexec_b64 s[2:3], vcc
	s_cbranch_execz .LBB366_41
.LBB366_58:
	s_waitcnt vmcnt(0)
	v_cmp_ne_u64_e32 vcc, s[16:17], v[10:11]
	v_add_u32_e32 v2, s14, v0
	s_xor_b64 s[4:5], s[0:1], vcc
	v_cndmask_b32_e64 v1, 0, 1, s[4:5]
	v_add_u32_e32 v0, 0x100, v0
	global_store_byte v2, v1, s[18:19]
	s_or_b64 exec, exec, s[2:3]
	v_cmp_gt_i32_e32 vcc, s22, v0
	s_and_saveexec_b64 s[2:3], vcc
	s_cbranch_execz .LBB366_42
.LBB366_59:
	s_waitcnt vmcnt(0)
	v_cmp_ne_u64_e32 vcc, s[16:17], v[16:17]
	v_add_u32_e32 v2, s14, v0
	s_xor_b64 s[4:5], s[0:1], vcc
	v_cndmask_b32_e64 v1, 0, 1, s[4:5]
	v_add_u32_e32 v0, 0x100, v0
	global_store_byte v2, v1, s[18:19]
	s_or_b64 exec, exec, s[2:3]
	v_cmp_gt_i32_e32 vcc, s22, v0
	s_and_saveexec_b64 s[2:3], vcc
	s_cbranch_execz .LBB366_43
.LBB366_60:
	s_waitcnt vmcnt(0)
	v_cmp_ne_u64_e32 vcc, s[16:17], v[14:15]
	v_add_u32_e32 v2, s14, v0
	s_xor_b64 s[4:5], s[0:1], vcc
	v_cndmask_b32_e64 v1, 0, 1, s[4:5]
	v_add_u32_e32 v0, 0x100, v0
	global_store_byte v2, v1, s[18:19]
	s_or_b64 exec, exec, s[2:3]
	v_cmp_gt_i32_e32 vcc, s22, v0
	s_and_saveexec_b64 s[2:3], vcc
	s_cbranch_execz .LBB366_44
.LBB366_61:
	s_waitcnt vmcnt(0)
	v_cmp_ne_u64_e32 vcc, s[16:17], v[20:21]
	v_add_u32_e32 v2, s14, v0
	s_xor_b64 s[4:5], s[0:1], vcc
	v_cndmask_b32_e64 v1, 0, 1, s[4:5]
	v_add_u32_e32 v0, 0x100, v0
	global_store_byte v2, v1, s[18:19]
	s_or_b64 exec, exec, s[2:3]
	v_cmp_gt_i32_e32 vcc, s22, v0
	s_and_saveexec_b64 s[2:3], vcc
	s_cbranch_execz .LBB366_45
.LBB366_62:
	s_waitcnt vmcnt(0)
	v_cmp_ne_u64_e32 vcc, s[16:17], v[18:19]
	v_add_u32_e32 v2, s14, v0
	s_xor_b64 s[4:5], s[0:1], vcc
	v_cndmask_b32_e64 v1, 0, 1, s[4:5]
	v_add_u32_e32 v0, 0x100, v0
	global_store_byte v2, v1, s[18:19]
	s_or_b64 exec, exec, s[2:3]
	v_cmp_gt_i32_e32 vcc, s22, v0
	s_and_saveexec_b64 s[2:3], vcc
	s_cbranch_execz .LBB366_46
.LBB366_63:
	s_waitcnt vmcnt(0)
	v_cmp_ne_u64_e32 vcc, s[16:17], v[24:25]
	v_add_u32_e32 v2, s14, v0
	s_xor_b64 s[4:5], s[0:1], vcc
	v_cndmask_b32_e64 v1, 0, 1, s[4:5]
	v_add_u32_e32 v0, 0x100, v0
	global_store_byte v2, v1, s[18:19]
	s_or_b64 exec, exec, s[2:3]
	v_cmp_gt_i32_e32 vcc, s22, v0
	s_and_saveexec_b64 s[2:3], vcc
	s_cbranch_execz .LBB366_47
.LBB366_64:
	s_waitcnt vmcnt(0)
	v_cmp_ne_u64_e32 vcc, s[16:17], v[22:23]
	v_add_u32_e32 v2, s14, v0
	s_xor_b64 s[4:5], s[0:1], vcc
	v_cndmask_b32_e64 v1, 0, 1, s[4:5]
	v_add_u32_e32 v0, 0x100, v0
	global_store_byte v2, v1, s[18:19]
	s_or_b64 exec, exec, s[2:3]
	v_cmp_gt_i32_e32 vcc, s22, v0
	s_and_saveexec_b64 s[2:3], vcc
	s_cbranch_execz .LBB366_48
.LBB366_65:
	s_waitcnt vmcnt(0)
	v_cmp_ne_u64_e32 vcc, s[16:17], v[28:29]
	v_add_u32_e32 v2, s14, v0
	s_xor_b64 s[4:5], s[0:1], vcc
	v_cndmask_b32_e64 v1, 0, 1, s[4:5]
	v_add_u32_e32 v0, 0x100, v0
	global_store_byte v2, v1, s[18:19]
	s_or_b64 exec, exec, s[2:3]
	v_cmp_gt_i32_e32 vcc, s22, v0
	s_and_saveexec_b64 s[2:3], vcc
	s_cbranch_execz .LBB366_49
.LBB366_66:
	s_waitcnt vmcnt(0)
	v_cmp_ne_u64_e32 vcc, s[16:17], v[26:27]
	v_add_u32_e32 v2, s14, v0
	s_xor_b64 s[4:5], s[0:1], vcc
	v_cndmask_b32_e64 v1, 0, 1, s[4:5]
	v_add_u32_e32 v0, 0x100, v0
	global_store_byte v2, v1, s[18:19]
	s_or_b64 exec, exec, s[2:3]
	v_cmp_gt_i32_e32 vcc, s22, v0
	s_and_saveexec_b64 s[2:3], vcc
	s_cbranch_execz .LBB366_50
.LBB366_67:
	s_waitcnt vmcnt(0)
	v_cmp_ne_u64_e32 vcc, s[16:17], v[32:33]
	v_add_u32_e32 v2, s14, v0
	s_xor_b64 s[4:5], s[0:1], vcc
	v_cndmask_b32_e64 v1, 0, 1, s[4:5]
	v_add_u32_e32 v0, 0x100, v0
	global_store_byte v2, v1, s[18:19]
	s_or_b64 exec, exec, s[2:3]
	v_cmp_gt_i32_e32 vcc, s22, v0
	s_and_saveexec_b64 s[2:3], vcc
	s_cbranch_execnz .LBB366_51
	s_branch .LBB366_52
	.section	.rodata,"a",@progbits
	.p2align	6, 0x0
	.amdhsa_kernel _ZN2at6native29vectorized_elementwise_kernelILi8ENS0_13AUnaryFunctorImmbNS0_12_GLOBAL__N_116CompareEqFunctorImEEEESt5arrayIPcLm2EEEEviT0_T1_
		.amdhsa_group_segment_fixed_size 0
		.amdhsa_private_segment_fixed_size 0
		.amdhsa_kernarg_size 40
		.amdhsa_user_sgpr_count 6
		.amdhsa_user_sgpr_private_segment_buffer 1
		.amdhsa_user_sgpr_dispatch_ptr 0
		.amdhsa_user_sgpr_queue_ptr 0
		.amdhsa_user_sgpr_kernarg_segment_ptr 1
		.amdhsa_user_sgpr_dispatch_id 0
		.amdhsa_user_sgpr_flat_scratch_init 0
		.amdhsa_user_sgpr_private_segment_size 0
		.amdhsa_uses_dynamic_stack 0
		.amdhsa_system_sgpr_private_segment_wavefront_offset 0
		.amdhsa_system_sgpr_workgroup_id_x 1
		.amdhsa_system_sgpr_workgroup_id_y 0
		.amdhsa_system_sgpr_workgroup_id_z 0
		.amdhsa_system_sgpr_workgroup_info 0
		.amdhsa_system_vgpr_workitem_id 0
		.amdhsa_next_free_vgpr 36
		.amdhsa_next_free_sgpr 28
		.amdhsa_reserve_vcc 1
		.amdhsa_reserve_flat_scratch 0
		.amdhsa_float_round_mode_32 0
		.amdhsa_float_round_mode_16_64 0
		.amdhsa_float_denorm_mode_32 3
		.amdhsa_float_denorm_mode_16_64 3
		.amdhsa_dx10_clamp 1
		.amdhsa_ieee_mode 1
		.amdhsa_fp16_overflow 0
		.amdhsa_exception_fp_ieee_invalid_op 0
		.amdhsa_exception_fp_denorm_src 0
		.amdhsa_exception_fp_ieee_div_zero 0
		.amdhsa_exception_fp_ieee_overflow 0
		.amdhsa_exception_fp_ieee_underflow 0
		.amdhsa_exception_fp_ieee_inexact 0
		.amdhsa_exception_int_div_zero 0
	.end_amdhsa_kernel
	.section	.text._ZN2at6native29vectorized_elementwise_kernelILi8ENS0_13AUnaryFunctorImmbNS0_12_GLOBAL__N_116CompareEqFunctorImEEEESt5arrayIPcLm2EEEEviT0_T1_,"axG",@progbits,_ZN2at6native29vectorized_elementwise_kernelILi8ENS0_13AUnaryFunctorImmbNS0_12_GLOBAL__N_116CompareEqFunctorImEEEESt5arrayIPcLm2EEEEviT0_T1_,comdat
.Lfunc_end366:
	.size	_ZN2at6native29vectorized_elementwise_kernelILi8ENS0_13AUnaryFunctorImmbNS0_12_GLOBAL__N_116CompareEqFunctorImEEEESt5arrayIPcLm2EEEEviT0_T1_, .Lfunc_end366-_ZN2at6native29vectorized_elementwise_kernelILi8ENS0_13AUnaryFunctorImmbNS0_12_GLOBAL__N_116CompareEqFunctorImEEEESt5arrayIPcLm2EEEEviT0_T1_
                                        ; -- End function
	.set _ZN2at6native29vectorized_elementwise_kernelILi8ENS0_13AUnaryFunctorImmbNS0_12_GLOBAL__N_116CompareEqFunctorImEEEESt5arrayIPcLm2EEEEviT0_T1_.num_vgpr, 36
	.set _ZN2at6native29vectorized_elementwise_kernelILi8ENS0_13AUnaryFunctorImmbNS0_12_GLOBAL__N_116CompareEqFunctorImEEEESt5arrayIPcLm2EEEEviT0_T1_.num_agpr, 0
	.set _ZN2at6native29vectorized_elementwise_kernelILi8ENS0_13AUnaryFunctorImmbNS0_12_GLOBAL__N_116CompareEqFunctorImEEEESt5arrayIPcLm2EEEEviT0_T1_.numbered_sgpr, 28
	.set _ZN2at6native29vectorized_elementwise_kernelILi8ENS0_13AUnaryFunctorImmbNS0_12_GLOBAL__N_116CompareEqFunctorImEEEESt5arrayIPcLm2EEEEviT0_T1_.num_named_barrier, 0
	.set _ZN2at6native29vectorized_elementwise_kernelILi8ENS0_13AUnaryFunctorImmbNS0_12_GLOBAL__N_116CompareEqFunctorImEEEESt5arrayIPcLm2EEEEviT0_T1_.private_seg_size, 0
	.set _ZN2at6native29vectorized_elementwise_kernelILi8ENS0_13AUnaryFunctorImmbNS0_12_GLOBAL__N_116CompareEqFunctorImEEEESt5arrayIPcLm2EEEEviT0_T1_.uses_vcc, 1
	.set _ZN2at6native29vectorized_elementwise_kernelILi8ENS0_13AUnaryFunctorImmbNS0_12_GLOBAL__N_116CompareEqFunctorImEEEESt5arrayIPcLm2EEEEviT0_T1_.uses_flat_scratch, 0
	.set _ZN2at6native29vectorized_elementwise_kernelILi8ENS0_13AUnaryFunctorImmbNS0_12_GLOBAL__N_116CompareEqFunctorImEEEESt5arrayIPcLm2EEEEviT0_T1_.has_dyn_sized_stack, 0
	.set _ZN2at6native29vectorized_elementwise_kernelILi8ENS0_13AUnaryFunctorImmbNS0_12_GLOBAL__N_116CompareEqFunctorImEEEESt5arrayIPcLm2EEEEviT0_T1_.has_recursion, 0
	.set _ZN2at6native29vectorized_elementwise_kernelILi8ENS0_13AUnaryFunctorImmbNS0_12_GLOBAL__N_116CompareEqFunctorImEEEESt5arrayIPcLm2EEEEviT0_T1_.has_indirect_call, 0
	.section	.AMDGPU.csdata,"",@progbits
; Kernel info:
; codeLenInByte = 3032
; TotalNumSgprs: 32
; NumVgprs: 36
; ScratchSize: 0
; MemoryBound: 0
; FloatMode: 240
; IeeeMode: 1
; LDSByteSize: 0 bytes/workgroup (compile time only)
; SGPRBlocks: 3
; VGPRBlocks: 8
; NumSGPRsForWavesPerEU: 32
; NumVGPRsForWavesPerEU: 36
; Occupancy: 7
; WaveLimiterHint : 1
; COMPUTE_PGM_RSRC2:SCRATCH_EN: 0
; COMPUTE_PGM_RSRC2:USER_SGPR: 6
; COMPUTE_PGM_RSRC2:TRAP_HANDLER: 0
; COMPUTE_PGM_RSRC2:TGID_X_EN: 1
; COMPUTE_PGM_RSRC2:TGID_Y_EN: 0
; COMPUTE_PGM_RSRC2:TGID_Z_EN: 0
; COMPUTE_PGM_RSRC2:TIDIG_COMP_CNT: 0
	.section	.text._ZN2at6native29vectorized_elementwise_kernelILi4ENS0_13AUnaryFunctorImmbNS0_12_GLOBAL__N_116CompareEqFunctorImEEEESt5arrayIPcLm2EEEEviT0_T1_,"axG",@progbits,_ZN2at6native29vectorized_elementwise_kernelILi4ENS0_13AUnaryFunctorImmbNS0_12_GLOBAL__N_116CompareEqFunctorImEEEESt5arrayIPcLm2EEEEviT0_T1_,comdat
	.globl	_ZN2at6native29vectorized_elementwise_kernelILi4ENS0_13AUnaryFunctorImmbNS0_12_GLOBAL__N_116CompareEqFunctorImEEEESt5arrayIPcLm2EEEEviT0_T1_ ; -- Begin function _ZN2at6native29vectorized_elementwise_kernelILi4ENS0_13AUnaryFunctorImmbNS0_12_GLOBAL__N_116CompareEqFunctorImEEEESt5arrayIPcLm2EEEEviT0_T1_
	.p2align	8
	.type	_ZN2at6native29vectorized_elementwise_kernelILi4ENS0_13AUnaryFunctorImmbNS0_12_GLOBAL__N_116CompareEqFunctorImEEEESt5arrayIPcLm2EEEEviT0_T1_,@function
_ZN2at6native29vectorized_elementwise_kernelILi4ENS0_13AUnaryFunctorImmbNS0_12_GLOBAL__N_116CompareEqFunctorImEEEESt5arrayIPcLm2EEEEviT0_T1_: ; @_ZN2at6native29vectorized_elementwise_kernelILi4ENS0_13AUnaryFunctorImmbNS0_12_GLOBAL__N_116CompareEqFunctorImEEEESt5arrayIPcLm2EEEEviT0_T1_
; %bb.0:
	s_load_dword s0, s[4:5], 0x0
	s_load_dword s31, s[4:5], 0x8
	s_load_dwordx4 s[24:27], s[4:5], 0x10
	s_load_dwordx2 s[28:29], s[4:5], 0x20
	s_lshl_b32 s22, s6, 12
	s_waitcnt lgkmcnt(0)
	s_sub_i32 s30, s0, s22
	s_cmpk_gt_i32 s30, 0xfff
	s_mov_b64 s[0:1], -1
	s_cbranch_scc0 .LBB367_2
; %bb.1:
	s_ashr_i32 s23, s22, 31
	s_lshl_b64 s[0:1], s[22:23], 3
	s_add_u32 s0, s28, s0
	s_addc_u32 s1, s29, s1
	v_lshlrev_b32_e32 v9, 5, v0
	global_load_dwordx4 v[1:4], v9, s[0:1] offset:16
	global_load_dwordx4 v[5:8], v9, s[0:1]
	v_mov_b32_e32 v10, s1
	v_add_co_u32_e32 v27, vcc, s0, v9
	v_addc_co_u32_e32 v28, vcc, 0, v10, vcc
	s_movk_i32 s0, 0x2000
	v_add_co_u32_e32 v17, vcc, s0, v27
	v_addc_co_u32_e32 v18, vcc, 0, v28, vcc
	global_load_dwordx4 v[9:12], v[17:18], off
	global_load_dwordx4 v[13:16], v[17:18], off offset:16
	s_movk_i32 s0, 0x4000
	v_add_co_u32_e32 v25, vcc, s0, v27
	v_addc_co_u32_e32 v26, vcc, 0, v28, vcc
	global_load_dwordx4 v[17:20], v[25:26], off
	global_load_dwordx4 v[21:24], v[25:26], off offset:16
	;; [unrolled: 5-line block ×3, first 2 shown]
	s_cmp_eq_u32 s31, 0
	s_cselect_b64 s[34:35], -1, 0
	v_mov_b32_e32 v33, 0x100
	v_mov_b32_e32 v34, 0x10000
	;; [unrolled: 1-line block ×3, first 2 shown]
	s_waitcnt vmcnt(7)
	v_cmp_ne_u64_e64 s[2:3], s[24:25], v[1:2]
	s_waitcnt vmcnt(6)
	v_cmp_ne_u64_e32 vcc, s[24:25], v[5:6]
	v_cmp_ne_u64_e64 s[0:1], s[24:25], v[7:8]
	v_cmp_ne_u64_e64 s[4:5], s[24:25], v[3:4]
	s_xor_b64 s[6:7], s[34:35], vcc
	s_xor_b64 vcc, s[34:35], s[0:1]
	v_cndmask_b32_e32 v2, 0, v33, vcc
	s_xor_b64 vcc, s[34:35], s[2:3]
	v_cndmask_b32_e32 v3, 0, v34, vcc
	;; [unrolled: 2-line block ×3, first 2 shown]
	s_waitcnt vmcnt(5)
	v_cmp_ne_u64_e32 vcc, s[24:25], v[9:10]
	v_cmp_ne_u64_e64 s[0:1], s[24:25], v[11:12]
	v_cndmask_b32_e64 v1, 0, 1, s[6:7]
	s_waitcnt vmcnt(4)
	v_cmp_ne_u64_e64 s[2:3], s[24:25], v[13:14]
	v_or_b32_e32 v1, v2, v1
	v_cmp_ne_u64_e64 s[4:5], s[24:25], v[15:16]
	s_xor_b64 s[36:37], s[34:35], vcc
	s_xor_b64 vcc, s[34:35], s[0:1]
	s_waitcnt vmcnt(3)
	v_cmp_ne_u64_e64 s[8:9], s[24:25], v[19:20]
	v_or3_b32 v1, v1, v3, v4
	v_cndmask_b32_e32 v3, 0, v33, vcc
	s_xor_b64 vcc, s[34:35], s[2:3]
	s_waitcnt vmcnt(2)
	v_cmp_ne_u64_e64 s[10:11], s[24:25], v[21:22]
	v_cndmask_b32_e32 v4, 0, v34, vcc
	s_xor_b64 vcc, s[34:35], s[4:5]
	v_cmp_ne_u64_e64 s[12:13], s[24:25], v[23:24]
	v_cndmask_b32_e32 v5, 0, v35, vcc
	s_xor_b64 vcc, s[34:35], s[8:9]
	s_waitcnt vmcnt(1)
	v_cmp_ne_u64_e64 s[16:17], s[24:25], v[27:28]
	v_cndmask_b32_e32 v7, 0, v33, vcc
	s_xor_b64 vcc, s[34:35], s[10:11]
	v_cmp_ne_u64_e64 s[6:7], s[24:25], v[17:18]
	s_waitcnt vmcnt(0)
	v_cmp_ne_u64_e64 s[18:19], s[24:25], v[29:30]
	v_cndmask_b32_e32 v8, 0, v34, vcc
	s_xor_b64 vcc, s[34:35], s[12:13]
	v_cmp_ne_u64_e64 s[14:15], s[24:25], v[25:26]
	v_cmp_ne_u64_e64 s[20:21], s[24:25], v[31:32]
	v_cndmask_b32_e32 v9, 0, v35, vcc
	s_xor_b64 vcc, s[34:35], s[16:17]
	s_xor_b64 s[0:1], s[34:35], s[6:7]
	v_cndmask_b32_e32 v11, 0, v33, vcc
	s_xor_b64 vcc, s[34:35], s[18:19]
	v_cndmask_b32_e64 v2, 0, 1, s[36:37]
	v_cndmask_b32_e64 v6, 0, 1, s[0:1]
	s_xor_b64 s[0:1], s[34:35], s[14:15]
	v_cndmask_b32_e32 v12, 0, v34, vcc
	s_xor_b64 vcc, s[34:35], s[20:21]
	v_cndmask_b32_e64 v10, 0, 1, s[0:1]
	v_or_b32_e32 v2, v3, v2
	s_add_u32 s0, s26, s22
	v_or_b32_e32 v3, v7, v6
	v_or_b32_e32 v6, v11, v10
	v_or3_b32 v2, v2, v4, v5
	v_cndmask_b32_e32 v4, 0, v35, vcc
	s_addc_u32 s1, s27, s23
	v_lshlrev_b32_e32 v5, 2, v0
	v_or3_b32 v3, v3, v8, v9
	v_or3_b32 v4, v6, v12, v4
	global_store_dword v5, v1, s[0:1]
	global_store_dword v5, v2, s[0:1] offset:1024
	global_store_dword v5, v3, s[0:1] offset:2048
	;; [unrolled: 1-line block ×3, first 2 shown]
	s_mov_b64 s[0:1], 0
.LBB367_2:
	s_andn2_b64 vcc, exec, s[0:1]
	s_cbranch_vccnz .LBB367_52
; %bb.3:
	v_mov_b32_e32 v1, 0
	v_mov_b32_e32 v4, 0
	v_cmp_gt_i32_e32 vcc, s30, v0
	v_mov_b32_e32 v2, 0
	v_or_b32_e32 v3, s22, v0
	v_mov_b32_e32 v5, 0
	v_mov_b32_e32 v34, v0
	s_and_saveexec_b64 s[2:3], vcc
	s_cbranch_execz .LBB367_5
; %bb.4:
	v_mov_b32_e32 v4, 0
	v_lshlrev_b64 v[4:5], 3, v[3:4]
	v_mov_b32_e32 v6, s29
	v_add_co_u32_e64 v4, s[0:1], s28, v4
	v_addc_co_u32_e64 v5, s[0:1], v6, v5, s[0:1]
	global_load_dwordx2 v[4:5], v[4:5], off
	v_or_b32_e32 v34, 0x100, v0
.LBB367_5:
	s_or_b64 exec, exec, s[2:3]
	v_cmp_gt_i32_e64 s[0:1], s30, v34
	s_and_saveexec_b64 s[2:3], s[0:1]
	s_cbranch_execz .LBB367_7
; %bb.6:
	v_add_u32_e32 v1, s22, v34
	v_mov_b32_e32 v2, 0
	v_lshlrev_b64 v[1:2], 3, v[1:2]
	v_mov_b32_e32 v6, s29
	v_add_co_u32_e64 v1, s[0:1], s28, v1
	v_addc_co_u32_e64 v2, s[0:1], v6, v2, s[0:1]
	global_load_dwordx2 v[1:2], v[1:2], off
	v_add_u32_e32 v34, 0x100, v34
.LBB367_7:
	s_or_b64 exec, exec, s[2:3]
	v_mov_b32_e32 v6, 0
	v_mov_b32_e32 v8, 0
	v_mov_b32_e32 v7, 0
	v_mov_b32_e32 v9, 0
	v_cmp_gt_i32_e64 s[0:1], s30, v34
	s_and_saveexec_b64 s[2:3], s[0:1]
	s_cbranch_execz .LBB367_9
; %bb.8:
	v_add_u32_e32 v8, s22, v34
	v_mov_b32_e32 v9, 0
	v_lshlrev_b64 v[8:9], 3, v[8:9]
	v_mov_b32_e32 v10, s29
	v_add_co_u32_e64 v8, s[0:1], s28, v8
	v_addc_co_u32_e64 v9, s[0:1], v10, v9, s[0:1]
	global_load_dwordx2 v[8:9], v[8:9], off
	v_add_u32_e32 v34, 0x100, v34
.LBB367_9:
	s_or_b64 exec, exec, s[2:3]
	v_cmp_gt_i32_e64 s[0:1], s30, v34
	s_and_saveexec_b64 s[2:3], s[0:1]
	s_cbranch_execz .LBB367_11
; %bb.10:
	v_add_u32_e32 v6, s22, v34
	v_mov_b32_e32 v7, 0
	v_lshlrev_b64 v[6:7], 3, v[6:7]
	v_mov_b32_e32 v10, s29
	v_add_co_u32_e64 v6, s[0:1], s28, v6
	v_addc_co_u32_e64 v7, s[0:1], v10, v7, s[0:1]
	global_load_dwordx2 v[6:7], v[6:7], off
	v_add_u32_e32 v34, 0x100, v34
.LBB367_11:
	s_or_b64 exec, exec, s[2:3]
	v_mov_b32_e32 v10, 0
	v_mov_b32_e32 v12, 0
	v_mov_b32_e32 v11, 0
	v_mov_b32_e32 v13, 0
	v_cmp_gt_i32_e64 s[0:1], s30, v34
	s_and_saveexec_b64 s[2:3], s[0:1]
	s_cbranch_execz .LBB367_13
; %bb.12:
	v_add_u32_e32 v12, s22, v34
	v_mov_b32_e32 v13, 0
	v_lshlrev_b64 v[12:13], 3, v[12:13]
	v_mov_b32_e32 v14, s29
	v_add_co_u32_e64 v12, s[0:1], s28, v12
	v_addc_co_u32_e64 v13, s[0:1], v14, v13, s[0:1]
	global_load_dwordx2 v[12:13], v[12:13], off
	v_add_u32_e32 v34, 0x100, v34
.LBB367_13:
	;; [unrolled: 32-line block ×7, first 2 shown]
	s_or_b64 exec, exec, s[2:3]
	v_cmp_gt_i32_e64 s[0:1], s30, v34
	s_and_saveexec_b64 s[2:3], s[0:1]
	s_cbranch_execz .LBB367_35
; %bb.34:
	v_add_u32_e32 v30, s22, v34
	v_mov_b32_e32 v31, 0
	v_lshlrev_b64 v[30:31], 3, v[30:31]
	v_mov_b32_e32 v34, s29
	v_add_co_u32_e64 v30, s[0:1], s28, v30
	v_addc_co_u32_e64 v31, s[0:1], v34, v31, s[0:1]
	global_load_dwordx2 v[30:31], v[30:31], off
.LBB367_35:
	s_or_b64 exec, exec, s[2:3]
	s_cmp_eq_u32 s31, 0
	s_cselect_b64 s[0:1], -1, 0
	s_and_saveexec_b64 s[2:3], vcc
	s_cbranch_execnz .LBB367_53
; %bb.36:
	s_or_b64 exec, exec, s[2:3]
	v_cmp_gt_i32_e32 vcc, s30, v0
	s_and_saveexec_b64 s[2:3], vcc
	s_cbranch_execnz .LBB367_54
.LBB367_37:
	s_or_b64 exec, exec, s[2:3]
	v_cmp_gt_i32_e32 vcc, s30, v0
	s_and_saveexec_b64 s[2:3], vcc
	s_cbranch_execnz .LBB367_55
.LBB367_38:
	s_or_b64 exec, exec, s[2:3]
	v_cmp_gt_i32_e32 vcc, s30, v0
	s_and_saveexec_b64 s[2:3], vcc
	s_cbranch_execnz .LBB367_56
.LBB367_39:
	s_or_b64 exec, exec, s[2:3]
	v_cmp_gt_i32_e32 vcc, s30, v0
	s_and_saveexec_b64 s[2:3], vcc
	s_cbranch_execnz .LBB367_57
.LBB367_40:
	s_or_b64 exec, exec, s[2:3]
	v_cmp_gt_i32_e32 vcc, s30, v0
	s_and_saveexec_b64 s[2:3], vcc
	s_cbranch_execnz .LBB367_58
.LBB367_41:
	s_or_b64 exec, exec, s[2:3]
	v_cmp_gt_i32_e32 vcc, s30, v0
	s_and_saveexec_b64 s[2:3], vcc
	s_cbranch_execnz .LBB367_59
.LBB367_42:
	s_or_b64 exec, exec, s[2:3]
	v_cmp_gt_i32_e32 vcc, s30, v0
	s_and_saveexec_b64 s[2:3], vcc
	s_cbranch_execnz .LBB367_60
.LBB367_43:
	s_or_b64 exec, exec, s[2:3]
	v_cmp_gt_i32_e32 vcc, s30, v0
	s_and_saveexec_b64 s[2:3], vcc
	s_cbranch_execnz .LBB367_61
.LBB367_44:
	s_or_b64 exec, exec, s[2:3]
	v_cmp_gt_i32_e32 vcc, s30, v0
	s_and_saveexec_b64 s[2:3], vcc
	s_cbranch_execnz .LBB367_62
.LBB367_45:
	s_or_b64 exec, exec, s[2:3]
	v_cmp_gt_i32_e32 vcc, s30, v0
	s_and_saveexec_b64 s[2:3], vcc
	s_cbranch_execnz .LBB367_63
.LBB367_46:
	s_or_b64 exec, exec, s[2:3]
	v_cmp_gt_i32_e32 vcc, s30, v0
	s_and_saveexec_b64 s[2:3], vcc
	s_cbranch_execnz .LBB367_64
.LBB367_47:
	s_or_b64 exec, exec, s[2:3]
	v_cmp_gt_i32_e32 vcc, s30, v0
	s_and_saveexec_b64 s[2:3], vcc
	s_cbranch_execnz .LBB367_65
.LBB367_48:
	s_or_b64 exec, exec, s[2:3]
	v_cmp_gt_i32_e32 vcc, s30, v0
	s_and_saveexec_b64 s[2:3], vcc
	s_cbranch_execnz .LBB367_66
.LBB367_49:
	s_or_b64 exec, exec, s[2:3]
	v_cmp_gt_i32_e32 vcc, s30, v0
	s_and_saveexec_b64 s[2:3], vcc
	s_cbranch_execnz .LBB367_67
.LBB367_50:
	s_or_b64 exec, exec, s[2:3]
	v_cmp_gt_i32_e32 vcc, s30, v0
	s_and_saveexec_b64 s[2:3], vcc
	s_cbranch_execz .LBB367_52
.LBB367_51:
	s_waitcnt vmcnt(0)
	v_cmp_ne_u64_e32 vcc, s[24:25], v[30:31]
	v_add_u32_e32 v0, s22, v0
	s_xor_b64 s[0:1], s[0:1], vcc
	v_cndmask_b32_e64 v1, 0, 1, s[0:1]
	global_store_byte v0, v1, s[26:27]
.LBB367_52:
	s_endpgm
.LBB367_53:
	s_waitcnt vmcnt(0)
	v_cmp_ne_u64_e32 vcc, s[24:25], v[4:5]
	v_or_b32_e32 v0, 0x100, v0
	s_xor_b64 s[4:5], s[0:1], vcc
	v_cndmask_b32_e64 v4, 0, 1, s[4:5]
	global_store_byte v3, v4, s[26:27]
	s_or_b64 exec, exec, s[2:3]
	v_cmp_gt_i32_e32 vcc, s30, v0
	s_and_saveexec_b64 s[2:3], vcc
	s_cbranch_execz .LBB367_37
.LBB367_54:
	s_waitcnt vmcnt(0)
	v_cmp_ne_u64_e32 vcc, s[24:25], v[1:2]
	v_add_u32_e32 v2, s22, v0
	s_xor_b64 s[4:5], s[0:1], vcc
	v_cndmask_b32_e64 v1, 0, 1, s[4:5]
	v_add_u32_e32 v0, 0x100, v0
	global_store_byte v2, v1, s[26:27]
	s_or_b64 exec, exec, s[2:3]
	v_cmp_gt_i32_e32 vcc, s30, v0
	s_and_saveexec_b64 s[2:3], vcc
	s_cbranch_execz .LBB367_38
.LBB367_55:
	s_waitcnt vmcnt(0)
	v_cmp_ne_u64_e32 vcc, s[24:25], v[8:9]
	v_add_u32_e32 v2, s22, v0
	s_xor_b64 s[4:5], s[0:1], vcc
	v_cndmask_b32_e64 v1, 0, 1, s[4:5]
	v_add_u32_e32 v0, 0x100, v0
	global_store_byte v2, v1, s[26:27]
	s_or_b64 exec, exec, s[2:3]
	v_cmp_gt_i32_e32 vcc, s30, v0
	s_and_saveexec_b64 s[2:3], vcc
	s_cbranch_execz .LBB367_39
.LBB367_56:
	s_waitcnt vmcnt(0)
	v_cmp_ne_u64_e32 vcc, s[24:25], v[6:7]
	v_add_u32_e32 v2, s22, v0
	s_xor_b64 s[4:5], s[0:1], vcc
	v_cndmask_b32_e64 v1, 0, 1, s[4:5]
	v_add_u32_e32 v0, 0x100, v0
	global_store_byte v2, v1, s[26:27]
	s_or_b64 exec, exec, s[2:3]
	v_cmp_gt_i32_e32 vcc, s30, v0
	s_and_saveexec_b64 s[2:3], vcc
	s_cbranch_execz .LBB367_40
.LBB367_57:
	s_waitcnt vmcnt(0)
	v_cmp_ne_u64_e32 vcc, s[24:25], v[12:13]
	v_add_u32_e32 v2, s22, v0
	s_xor_b64 s[4:5], s[0:1], vcc
	v_cndmask_b32_e64 v1, 0, 1, s[4:5]
	v_add_u32_e32 v0, 0x100, v0
	global_store_byte v2, v1, s[26:27]
	s_or_b64 exec, exec, s[2:3]
	v_cmp_gt_i32_e32 vcc, s30, v0
	s_and_saveexec_b64 s[2:3], vcc
	s_cbranch_execz .LBB367_41
.LBB367_58:
	s_waitcnt vmcnt(0)
	v_cmp_ne_u64_e32 vcc, s[24:25], v[10:11]
	v_add_u32_e32 v2, s22, v0
	s_xor_b64 s[4:5], s[0:1], vcc
	v_cndmask_b32_e64 v1, 0, 1, s[4:5]
	v_add_u32_e32 v0, 0x100, v0
	global_store_byte v2, v1, s[26:27]
	s_or_b64 exec, exec, s[2:3]
	v_cmp_gt_i32_e32 vcc, s30, v0
	s_and_saveexec_b64 s[2:3], vcc
	s_cbranch_execz .LBB367_42
.LBB367_59:
	s_waitcnt vmcnt(0)
	v_cmp_ne_u64_e32 vcc, s[24:25], v[16:17]
	v_add_u32_e32 v2, s22, v0
	s_xor_b64 s[4:5], s[0:1], vcc
	v_cndmask_b32_e64 v1, 0, 1, s[4:5]
	v_add_u32_e32 v0, 0x100, v0
	global_store_byte v2, v1, s[26:27]
	s_or_b64 exec, exec, s[2:3]
	v_cmp_gt_i32_e32 vcc, s30, v0
	s_and_saveexec_b64 s[2:3], vcc
	s_cbranch_execz .LBB367_43
.LBB367_60:
	s_waitcnt vmcnt(0)
	v_cmp_ne_u64_e32 vcc, s[24:25], v[14:15]
	v_add_u32_e32 v2, s22, v0
	s_xor_b64 s[4:5], s[0:1], vcc
	v_cndmask_b32_e64 v1, 0, 1, s[4:5]
	v_add_u32_e32 v0, 0x100, v0
	global_store_byte v2, v1, s[26:27]
	s_or_b64 exec, exec, s[2:3]
	v_cmp_gt_i32_e32 vcc, s30, v0
	s_and_saveexec_b64 s[2:3], vcc
	s_cbranch_execz .LBB367_44
.LBB367_61:
	s_waitcnt vmcnt(0)
	v_cmp_ne_u64_e32 vcc, s[24:25], v[20:21]
	v_add_u32_e32 v2, s22, v0
	s_xor_b64 s[4:5], s[0:1], vcc
	v_cndmask_b32_e64 v1, 0, 1, s[4:5]
	v_add_u32_e32 v0, 0x100, v0
	global_store_byte v2, v1, s[26:27]
	s_or_b64 exec, exec, s[2:3]
	v_cmp_gt_i32_e32 vcc, s30, v0
	s_and_saveexec_b64 s[2:3], vcc
	s_cbranch_execz .LBB367_45
.LBB367_62:
	s_waitcnt vmcnt(0)
	v_cmp_ne_u64_e32 vcc, s[24:25], v[18:19]
	v_add_u32_e32 v2, s22, v0
	s_xor_b64 s[4:5], s[0:1], vcc
	v_cndmask_b32_e64 v1, 0, 1, s[4:5]
	v_add_u32_e32 v0, 0x100, v0
	global_store_byte v2, v1, s[26:27]
	s_or_b64 exec, exec, s[2:3]
	v_cmp_gt_i32_e32 vcc, s30, v0
	s_and_saveexec_b64 s[2:3], vcc
	s_cbranch_execz .LBB367_46
.LBB367_63:
	s_waitcnt vmcnt(0)
	v_cmp_ne_u64_e32 vcc, s[24:25], v[24:25]
	v_add_u32_e32 v2, s22, v0
	s_xor_b64 s[4:5], s[0:1], vcc
	v_cndmask_b32_e64 v1, 0, 1, s[4:5]
	v_add_u32_e32 v0, 0x100, v0
	global_store_byte v2, v1, s[26:27]
	s_or_b64 exec, exec, s[2:3]
	v_cmp_gt_i32_e32 vcc, s30, v0
	s_and_saveexec_b64 s[2:3], vcc
	s_cbranch_execz .LBB367_47
.LBB367_64:
	s_waitcnt vmcnt(0)
	v_cmp_ne_u64_e32 vcc, s[24:25], v[22:23]
	v_add_u32_e32 v2, s22, v0
	s_xor_b64 s[4:5], s[0:1], vcc
	v_cndmask_b32_e64 v1, 0, 1, s[4:5]
	v_add_u32_e32 v0, 0x100, v0
	global_store_byte v2, v1, s[26:27]
	s_or_b64 exec, exec, s[2:3]
	v_cmp_gt_i32_e32 vcc, s30, v0
	s_and_saveexec_b64 s[2:3], vcc
	s_cbranch_execz .LBB367_48
.LBB367_65:
	s_waitcnt vmcnt(0)
	v_cmp_ne_u64_e32 vcc, s[24:25], v[28:29]
	v_add_u32_e32 v2, s22, v0
	s_xor_b64 s[4:5], s[0:1], vcc
	v_cndmask_b32_e64 v1, 0, 1, s[4:5]
	v_add_u32_e32 v0, 0x100, v0
	global_store_byte v2, v1, s[26:27]
	s_or_b64 exec, exec, s[2:3]
	v_cmp_gt_i32_e32 vcc, s30, v0
	s_and_saveexec_b64 s[2:3], vcc
	s_cbranch_execz .LBB367_49
.LBB367_66:
	s_waitcnt vmcnt(0)
	v_cmp_ne_u64_e32 vcc, s[24:25], v[26:27]
	v_add_u32_e32 v2, s22, v0
	s_xor_b64 s[4:5], s[0:1], vcc
	v_cndmask_b32_e64 v1, 0, 1, s[4:5]
	v_add_u32_e32 v0, 0x100, v0
	global_store_byte v2, v1, s[26:27]
	s_or_b64 exec, exec, s[2:3]
	v_cmp_gt_i32_e32 vcc, s30, v0
	s_and_saveexec_b64 s[2:3], vcc
	s_cbranch_execz .LBB367_50
.LBB367_67:
	s_waitcnt vmcnt(0)
	v_cmp_ne_u64_e32 vcc, s[24:25], v[32:33]
	v_add_u32_e32 v2, s22, v0
	s_xor_b64 s[4:5], s[0:1], vcc
	v_cndmask_b32_e64 v1, 0, 1, s[4:5]
	v_add_u32_e32 v0, 0x100, v0
	global_store_byte v2, v1, s[26:27]
	s_or_b64 exec, exec, s[2:3]
	v_cmp_gt_i32_e32 vcc, s30, v0
	s_and_saveexec_b64 s[2:3], vcc
	s_cbranch_execnz .LBB367_51
	s_branch .LBB367_52
	.section	.rodata,"a",@progbits
	.p2align	6, 0x0
	.amdhsa_kernel _ZN2at6native29vectorized_elementwise_kernelILi4ENS0_13AUnaryFunctorImmbNS0_12_GLOBAL__N_116CompareEqFunctorImEEEESt5arrayIPcLm2EEEEviT0_T1_
		.amdhsa_group_segment_fixed_size 0
		.amdhsa_private_segment_fixed_size 0
		.amdhsa_kernarg_size 40
		.amdhsa_user_sgpr_count 6
		.amdhsa_user_sgpr_private_segment_buffer 1
		.amdhsa_user_sgpr_dispatch_ptr 0
		.amdhsa_user_sgpr_queue_ptr 0
		.amdhsa_user_sgpr_kernarg_segment_ptr 1
		.amdhsa_user_sgpr_dispatch_id 0
		.amdhsa_user_sgpr_flat_scratch_init 0
		.amdhsa_user_sgpr_private_segment_size 0
		.amdhsa_uses_dynamic_stack 0
		.amdhsa_system_sgpr_private_segment_wavefront_offset 0
		.amdhsa_system_sgpr_workgroup_id_x 1
		.amdhsa_system_sgpr_workgroup_id_y 0
		.amdhsa_system_sgpr_workgroup_id_z 0
		.amdhsa_system_sgpr_workgroup_info 0
		.amdhsa_system_vgpr_workitem_id 0
		.amdhsa_next_free_vgpr 36
		.amdhsa_next_free_sgpr 38
		.amdhsa_reserve_vcc 1
		.amdhsa_reserve_flat_scratch 0
		.amdhsa_float_round_mode_32 0
		.amdhsa_float_round_mode_16_64 0
		.amdhsa_float_denorm_mode_32 3
		.amdhsa_float_denorm_mode_16_64 3
		.amdhsa_dx10_clamp 1
		.amdhsa_ieee_mode 1
		.amdhsa_fp16_overflow 0
		.amdhsa_exception_fp_ieee_invalid_op 0
		.amdhsa_exception_fp_denorm_src 0
		.amdhsa_exception_fp_ieee_div_zero 0
		.amdhsa_exception_fp_ieee_overflow 0
		.amdhsa_exception_fp_ieee_underflow 0
		.amdhsa_exception_fp_ieee_inexact 0
		.amdhsa_exception_int_div_zero 0
	.end_amdhsa_kernel
	.section	.text._ZN2at6native29vectorized_elementwise_kernelILi4ENS0_13AUnaryFunctorImmbNS0_12_GLOBAL__N_116CompareEqFunctorImEEEESt5arrayIPcLm2EEEEviT0_T1_,"axG",@progbits,_ZN2at6native29vectorized_elementwise_kernelILi4ENS0_13AUnaryFunctorImmbNS0_12_GLOBAL__N_116CompareEqFunctorImEEEESt5arrayIPcLm2EEEEviT0_T1_,comdat
.Lfunc_end367:
	.size	_ZN2at6native29vectorized_elementwise_kernelILi4ENS0_13AUnaryFunctorImmbNS0_12_GLOBAL__N_116CompareEqFunctorImEEEESt5arrayIPcLm2EEEEviT0_T1_, .Lfunc_end367-_ZN2at6native29vectorized_elementwise_kernelILi4ENS0_13AUnaryFunctorImmbNS0_12_GLOBAL__N_116CompareEqFunctorImEEEESt5arrayIPcLm2EEEEviT0_T1_
                                        ; -- End function
	.set _ZN2at6native29vectorized_elementwise_kernelILi4ENS0_13AUnaryFunctorImmbNS0_12_GLOBAL__N_116CompareEqFunctorImEEEESt5arrayIPcLm2EEEEviT0_T1_.num_vgpr, 36
	.set _ZN2at6native29vectorized_elementwise_kernelILi4ENS0_13AUnaryFunctorImmbNS0_12_GLOBAL__N_116CompareEqFunctorImEEEESt5arrayIPcLm2EEEEviT0_T1_.num_agpr, 0
	.set _ZN2at6native29vectorized_elementwise_kernelILi4ENS0_13AUnaryFunctorImmbNS0_12_GLOBAL__N_116CompareEqFunctorImEEEESt5arrayIPcLm2EEEEviT0_T1_.numbered_sgpr, 38
	.set _ZN2at6native29vectorized_elementwise_kernelILi4ENS0_13AUnaryFunctorImmbNS0_12_GLOBAL__N_116CompareEqFunctorImEEEESt5arrayIPcLm2EEEEviT0_T1_.num_named_barrier, 0
	.set _ZN2at6native29vectorized_elementwise_kernelILi4ENS0_13AUnaryFunctorImmbNS0_12_GLOBAL__N_116CompareEqFunctorImEEEESt5arrayIPcLm2EEEEviT0_T1_.private_seg_size, 0
	.set _ZN2at6native29vectorized_elementwise_kernelILi4ENS0_13AUnaryFunctorImmbNS0_12_GLOBAL__N_116CompareEqFunctorImEEEESt5arrayIPcLm2EEEEviT0_T1_.uses_vcc, 1
	.set _ZN2at6native29vectorized_elementwise_kernelILi4ENS0_13AUnaryFunctorImmbNS0_12_GLOBAL__N_116CompareEqFunctorImEEEESt5arrayIPcLm2EEEEviT0_T1_.uses_flat_scratch, 0
	.set _ZN2at6native29vectorized_elementwise_kernelILi4ENS0_13AUnaryFunctorImmbNS0_12_GLOBAL__N_116CompareEqFunctorImEEEESt5arrayIPcLm2EEEEviT0_T1_.has_dyn_sized_stack, 0
	.set _ZN2at6native29vectorized_elementwise_kernelILi4ENS0_13AUnaryFunctorImmbNS0_12_GLOBAL__N_116CompareEqFunctorImEEEESt5arrayIPcLm2EEEEviT0_T1_.has_recursion, 0
	.set _ZN2at6native29vectorized_elementwise_kernelILi4ENS0_13AUnaryFunctorImmbNS0_12_GLOBAL__N_116CompareEqFunctorImEEEESt5arrayIPcLm2EEEEviT0_T1_.has_indirect_call, 0
	.section	.AMDGPU.csdata,"",@progbits
; Kernel info:
; codeLenInByte = 3024
; TotalNumSgprs: 42
; NumVgprs: 36
; ScratchSize: 0
; MemoryBound: 0
; FloatMode: 240
; IeeeMode: 1
; LDSByteSize: 0 bytes/workgroup (compile time only)
; SGPRBlocks: 5
; VGPRBlocks: 8
; NumSGPRsForWavesPerEU: 42
; NumVGPRsForWavesPerEU: 36
; Occupancy: 7
; WaveLimiterHint : 1
; COMPUTE_PGM_RSRC2:SCRATCH_EN: 0
; COMPUTE_PGM_RSRC2:USER_SGPR: 6
; COMPUTE_PGM_RSRC2:TRAP_HANDLER: 0
; COMPUTE_PGM_RSRC2:TGID_X_EN: 1
; COMPUTE_PGM_RSRC2:TGID_Y_EN: 0
; COMPUTE_PGM_RSRC2:TGID_Z_EN: 0
; COMPUTE_PGM_RSRC2:TIDIG_COMP_CNT: 0
	.section	.text._ZN2at6native29vectorized_elementwise_kernelILi2ENS0_13AUnaryFunctorImmbNS0_12_GLOBAL__N_116CompareEqFunctorImEEEESt5arrayIPcLm2EEEEviT0_T1_,"axG",@progbits,_ZN2at6native29vectorized_elementwise_kernelILi2ENS0_13AUnaryFunctorImmbNS0_12_GLOBAL__N_116CompareEqFunctorImEEEESt5arrayIPcLm2EEEEviT0_T1_,comdat
	.globl	_ZN2at6native29vectorized_elementwise_kernelILi2ENS0_13AUnaryFunctorImmbNS0_12_GLOBAL__N_116CompareEqFunctorImEEEESt5arrayIPcLm2EEEEviT0_T1_ ; -- Begin function _ZN2at6native29vectorized_elementwise_kernelILi2ENS0_13AUnaryFunctorImmbNS0_12_GLOBAL__N_116CompareEqFunctorImEEEESt5arrayIPcLm2EEEEviT0_T1_
	.p2align	8
	.type	_ZN2at6native29vectorized_elementwise_kernelILi2ENS0_13AUnaryFunctorImmbNS0_12_GLOBAL__N_116CompareEqFunctorImEEEESt5arrayIPcLm2EEEEviT0_T1_,@function
_ZN2at6native29vectorized_elementwise_kernelILi2ENS0_13AUnaryFunctorImmbNS0_12_GLOBAL__N_116CompareEqFunctorImEEEESt5arrayIPcLm2EEEEviT0_T1_: ; @_ZN2at6native29vectorized_elementwise_kernelILi2ENS0_13AUnaryFunctorImmbNS0_12_GLOBAL__N_116CompareEqFunctorImEEEESt5arrayIPcLm2EEEEviT0_T1_
; %bb.0:
	s_load_dword s0, s[4:5], 0x0
	s_load_dword s15, s[4:5], 0x8
	s_load_dwordx4 s[8:11], s[4:5], 0x10
	s_load_dwordx2 s[12:13], s[4:5], 0x20
	s_lshl_b32 s6, s6, 12
	s_waitcnt lgkmcnt(0)
	s_sub_i32 s14, s0, s6
	s_cmpk_gt_i32 s14, 0xfff
	s_mov_b64 s[0:1], -1
	s_cbranch_scc0 .LBB368_2
; %bb.1:
	s_ashr_i32 s7, s6, 31
	s_lshl_b64 s[0:1], s[6:7], 3
	s_add_u32 s0, s12, s0
	s_addc_u32 s1, s13, s1
	v_lshlrev_b32_e32 v1, 4, v0
	v_mov_b32_e32 v2, s1
	v_add_co_u32_e32 v29, vcc, s0, v1
	v_addc_co_u32_e32 v30, vcc, 0, v2, vcc
	global_load_dwordx4 v[1:4], v1, s[0:1]
	v_add_co_u32_e32 v5, vcc, 0x1000, v29
	v_addc_co_u32_e32 v6, vcc, 0, v30, vcc
	v_add_co_u32_e32 v9, vcc, 0x2000, v29
	global_load_dwordx4 v[5:8], v[5:6], off
	v_addc_co_u32_e32 v10, vcc, 0, v30, vcc
	global_load_dwordx4 v[9:12], v[9:10], off
	v_add_co_u32_e32 v13, vcc, 0x3000, v29
	v_addc_co_u32_e32 v14, vcc, 0, v30, vcc
	v_add_co_u32_e32 v17, vcc, 0x4000, v29
	global_load_dwordx4 v[13:16], v[13:14], off
	v_addc_co_u32_e32 v18, vcc, 0, v30, vcc
	global_load_dwordx4 v[17:20], v[17:18], off
	v_add_co_u32_e32 v21, vcc, 0x5000, v29
	v_addc_co_u32_e32 v22, vcc, 0, v30, vcc
	global_load_dwordx4 v[21:24], v[21:22], off
	v_add_co_u32_e32 v25, vcc, 0x6000, v29
	;; [unrolled: 3-line block ×3, first 2 shown]
	v_addc_co_u32_e32 v30, vcc, 0, v30, vcc
	global_load_dwordx4 v[29:32], v[29:30], off
	s_cmp_eq_u32 s15, 0
	s_cselect_b64 s[16:17], -1, 0
	v_mov_b32_e32 v33, 0x100
	s_waitcnt vmcnt(7)
	v_cmp_ne_u64_e32 vcc, s[8:9], v[1:2]
	v_cmp_ne_u64_e64 s[0:1], s[8:9], v[3:4]
	s_xor_b64 s[2:3], s[16:17], vcc
	s_xor_b64 vcc, s[16:17], s[0:1]
	v_cndmask_b32_e32 v2, 0, v33, vcc
	v_cndmask_b32_e64 v1, 0, 1, s[2:3]
	v_or_b32_e32 v1, v2, v1
	s_waitcnt vmcnt(6)
	v_cmp_ne_u64_e32 vcc, s[8:9], v[5:6]
	v_cmp_ne_u64_e64 s[0:1], s[8:9], v[7:8]
	s_xor_b64 s[18:19], s[16:17], vcc
	s_waitcnt vmcnt(5)
	v_cmp_ne_u64_e64 s[2:3], s[8:9], v[9:10]
	v_cmp_ne_u64_e64 s[4:5], s[8:9], v[11:12]
	s_xor_b64 vcc, s[16:17], s[0:1]
	v_cndmask_b32_e64 v2, 0, 1, s[18:19]
	v_cndmask_b32_e32 v3, 0, v33, vcc
	s_xor_b64 s[2:3], s[16:17], s[2:3]
	v_or_b32_e32 v2, v3, v2
	s_waitcnt vmcnt(4)
	v_cmp_ne_u64_e32 vcc, s[8:9], v[13:14]
	v_cmp_ne_u64_e64 s[0:1], s[8:9], v[15:16]
	v_cndmask_b32_e64 v3, 0, 1, s[2:3]
	s_xor_b64 s[2:3], s[16:17], s[4:5]
	v_cndmask_b32_e64 v4, 0, v33, s[2:3]
	s_waitcnt vmcnt(3)
	v_cmp_ne_u64_e64 s[2:3], s[8:9], v[17:18]
	v_cmp_ne_u64_e64 s[4:5], s[8:9], v[19:20]
	s_xor_b64 s[18:19], s[16:17], vcc
	s_xor_b64 vcc, s[16:17], s[0:1]
	v_or_b32_e32 v3, v4, v3
	v_cndmask_b32_e64 v4, 0, 1, s[18:19]
	v_cndmask_b32_e32 v5, 0, v33, vcc
	s_waitcnt vmcnt(2)
	v_cmp_ne_u64_e32 vcc, s[8:9], v[21:22]
	v_cmp_ne_u64_e64 s[0:1], s[8:9], v[23:24]
	s_xor_b64 s[2:3], s[16:17], s[2:3]
	v_or_b32_e32 v4, v5, v4
	v_cndmask_b32_e64 v5, 0, 1, s[2:3]
	s_xor_b64 s[2:3], s[16:17], s[4:5]
	v_cndmask_b32_e64 v6, 0, v33, s[2:3]
	s_xor_b64 s[2:3], s[16:17], vcc
	s_xor_b64 vcc, s[16:17], s[0:1]
	v_cndmask_b32_e32 v7, 0, v33, vcc
	s_waitcnt vmcnt(1)
	v_cmp_ne_u64_e32 vcc, s[8:9], v[25:26]
	v_cmp_ne_u64_e64 s[0:1], s[8:9], v[27:28]
	v_or_b32_e32 v5, v6, v5
	v_cndmask_b32_e64 v6, 0, 1, s[2:3]
	s_xor_b64 s[2:3], s[16:17], vcc
	s_xor_b64 vcc, s[16:17], s[0:1]
	v_cndmask_b32_e32 v8, 0, v33, vcc
	s_waitcnt vmcnt(0)
	v_cmp_ne_u64_e32 vcc, s[8:9], v[29:30]
	v_cmp_ne_u64_e64 s[0:1], s[8:9], v[31:32]
	v_or_b32_e32 v6, v7, v6
	v_cndmask_b32_e64 v7, 0, 1, s[2:3]
	s_xor_b64 s[2:3], s[16:17], vcc
	s_xor_b64 vcc, s[16:17], s[0:1]
	v_or_b32_e32 v7, v8, v7
	v_cndmask_b32_e64 v8, 0, 1, s[2:3]
	v_cndmask_b32_e32 v9, 0, v33, vcc
	s_add_u32 s0, s10, s6
	v_or_b32_e32 v8, v9, v8
	s_addc_u32 s1, s11, s7
	v_lshlrev_b32_e32 v9, 1, v0
	global_store_short v9, v1, s[0:1]
	global_store_short v9, v2, s[0:1] offset:512
	global_store_short v9, v3, s[0:1] offset:1024
	;; [unrolled: 1-line block ×7, first 2 shown]
	s_mov_b64 s[0:1], 0
.LBB368_2:
	s_andn2_b64 vcc, exec, s[0:1]
	s_cbranch_vccnz .LBB368_52
; %bb.3:
	v_mov_b32_e32 v1, 0
	v_mov_b32_e32 v4, 0
	v_cmp_gt_i32_e32 vcc, s14, v0
	v_mov_b32_e32 v2, 0
	v_or_b32_e32 v3, s6, v0
	v_mov_b32_e32 v5, 0
	v_mov_b32_e32 v34, v0
	s_and_saveexec_b64 s[2:3], vcc
	s_cbranch_execz .LBB368_5
; %bb.4:
	v_mov_b32_e32 v4, 0
	v_lshlrev_b64 v[4:5], 3, v[3:4]
	v_mov_b32_e32 v6, s13
	v_add_co_u32_e64 v4, s[0:1], s12, v4
	v_addc_co_u32_e64 v5, s[0:1], v6, v5, s[0:1]
	global_load_dwordx2 v[4:5], v[4:5], off
	v_or_b32_e32 v34, 0x100, v0
.LBB368_5:
	s_or_b64 exec, exec, s[2:3]
	v_cmp_gt_i32_e64 s[0:1], s14, v34
	s_and_saveexec_b64 s[2:3], s[0:1]
	s_cbranch_execz .LBB368_7
; %bb.6:
	v_add_u32_e32 v1, s6, v34
	v_mov_b32_e32 v2, 0
	v_lshlrev_b64 v[1:2], 3, v[1:2]
	v_mov_b32_e32 v6, s13
	v_add_co_u32_e64 v1, s[0:1], s12, v1
	v_addc_co_u32_e64 v2, s[0:1], v6, v2, s[0:1]
	global_load_dwordx2 v[1:2], v[1:2], off
	v_add_u32_e32 v34, 0x100, v34
.LBB368_7:
	s_or_b64 exec, exec, s[2:3]
	v_mov_b32_e32 v6, 0
	v_mov_b32_e32 v8, 0
	v_mov_b32_e32 v7, 0
	v_mov_b32_e32 v9, 0
	v_cmp_gt_i32_e64 s[0:1], s14, v34
	s_and_saveexec_b64 s[2:3], s[0:1]
	s_cbranch_execz .LBB368_9
; %bb.8:
	v_add_u32_e32 v8, s6, v34
	v_mov_b32_e32 v9, 0
	v_lshlrev_b64 v[8:9], 3, v[8:9]
	v_mov_b32_e32 v10, s13
	v_add_co_u32_e64 v8, s[0:1], s12, v8
	v_addc_co_u32_e64 v9, s[0:1], v10, v9, s[0:1]
	global_load_dwordx2 v[8:9], v[8:9], off
	v_add_u32_e32 v34, 0x100, v34
.LBB368_9:
	s_or_b64 exec, exec, s[2:3]
	v_cmp_gt_i32_e64 s[0:1], s14, v34
	s_and_saveexec_b64 s[2:3], s[0:1]
	s_cbranch_execz .LBB368_11
; %bb.10:
	v_add_u32_e32 v6, s6, v34
	v_mov_b32_e32 v7, 0
	v_lshlrev_b64 v[6:7], 3, v[6:7]
	v_mov_b32_e32 v10, s13
	v_add_co_u32_e64 v6, s[0:1], s12, v6
	v_addc_co_u32_e64 v7, s[0:1], v10, v7, s[0:1]
	global_load_dwordx2 v[6:7], v[6:7], off
	v_add_u32_e32 v34, 0x100, v34
.LBB368_11:
	s_or_b64 exec, exec, s[2:3]
	v_mov_b32_e32 v10, 0
	v_mov_b32_e32 v12, 0
	v_mov_b32_e32 v11, 0
	v_mov_b32_e32 v13, 0
	v_cmp_gt_i32_e64 s[0:1], s14, v34
	s_and_saveexec_b64 s[2:3], s[0:1]
	s_cbranch_execz .LBB368_13
; %bb.12:
	v_add_u32_e32 v12, s6, v34
	v_mov_b32_e32 v13, 0
	v_lshlrev_b64 v[12:13], 3, v[12:13]
	v_mov_b32_e32 v14, s13
	v_add_co_u32_e64 v12, s[0:1], s12, v12
	v_addc_co_u32_e64 v13, s[0:1], v14, v13, s[0:1]
	global_load_dwordx2 v[12:13], v[12:13], off
	v_add_u32_e32 v34, 0x100, v34
.LBB368_13:
	;; [unrolled: 32-line block ×7, first 2 shown]
	s_or_b64 exec, exec, s[2:3]
	v_cmp_gt_i32_e64 s[0:1], s14, v34
	s_and_saveexec_b64 s[2:3], s[0:1]
	s_cbranch_execz .LBB368_35
; %bb.34:
	v_add_u32_e32 v30, s6, v34
	v_mov_b32_e32 v31, 0
	v_lshlrev_b64 v[30:31], 3, v[30:31]
	v_mov_b32_e32 v34, s13
	v_add_co_u32_e64 v30, s[0:1], s12, v30
	v_addc_co_u32_e64 v31, s[0:1], v34, v31, s[0:1]
	global_load_dwordx2 v[30:31], v[30:31], off
.LBB368_35:
	s_or_b64 exec, exec, s[2:3]
	s_cmp_eq_u32 s15, 0
	s_cselect_b64 s[0:1], -1, 0
	s_and_saveexec_b64 s[2:3], vcc
	s_cbranch_execnz .LBB368_53
; %bb.36:
	s_or_b64 exec, exec, s[2:3]
	v_cmp_gt_i32_e32 vcc, s14, v0
	s_and_saveexec_b64 s[2:3], vcc
	s_cbranch_execnz .LBB368_54
.LBB368_37:
	s_or_b64 exec, exec, s[2:3]
	v_cmp_gt_i32_e32 vcc, s14, v0
	s_and_saveexec_b64 s[2:3], vcc
	s_cbranch_execnz .LBB368_55
.LBB368_38:
	s_or_b64 exec, exec, s[2:3]
	v_cmp_gt_i32_e32 vcc, s14, v0
	s_and_saveexec_b64 s[2:3], vcc
	s_cbranch_execnz .LBB368_56
.LBB368_39:
	s_or_b64 exec, exec, s[2:3]
	v_cmp_gt_i32_e32 vcc, s14, v0
	s_and_saveexec_b64 s[2:3], vcc
	s_cbranch_execnz .LBB368_57
.LBB368_40:
	s_or_b64 exec, exec, s[2:3]
	v_cmp_gt_i32_e32 vcc, s14, v0
	s_and_saveexec_b64 s[2:3], vcc
	s_cbranch_execnz .LBB368_58
.LBB368_41:
	s_or_b64 exec, exec, s[2:3]
	v_cmp_gt_i32_e32 vcc, s14, v0
	s_and_saveexec_b64 s[2:3], vcc
	s_cbranch_execnz .LBB368_59
.LBB368_42:
	s_or_b64 exec, exec, s[2:3]
	v_cmp_gt_i32_e32 vcc, s14, v0
	s_and_saveexec_b64 s[2:3], vcc
	s_cbranch_execnz .LBB368_60
.LBB368_43:
	s_or_b64 exec, exec, s[2:3]
	v_cmp_gt_i32_e32 vcc, s14, v0
	s_and_saveexec_b64 s[2:3], vcc
	s_cbranch_execnz .LBB368_61
.LBB368_44:
	s_or_b64 exec, exec, s[2:3]
	v_cmp_gt_i32_e32 vcc, s14, v0
	s_and_saveexec_b64 s[2:3], vcc
	s_cbranch_execnz .LBB368_62
.LBB368_45:
	s_or_b64 exec, exec, s[2:3]
	v_cmp_gt_i32_e32 vcc, s14, v0
	s_and_saveexec_b64 s[2:3], vcc
	s_cbranch_execnz .LBB368_63
.LBB368_46:
	s_or_b64 exec, exec, s[2:3]
	v_cmp_gt_i32_e32 vcc, s14, v0
	s_and_saveexec_b64 s[2:3], vcc
	s_cbranch_execnz .LBB368_64
.LBB368_47:
	s_or_b64 exec, exec, s[2:3]
	v_cmp_gt_i32_e32 vcc, s14, v0
	s_and_saveexec_b64 s[2:3], vcc
	s_cbranch_execnz .LBB368_65
.LBB368_48:
	s_or_b64 exec, exec, s[2:3]
	v_cmp_gt_i32_e32 vcc, s14, v0
	s_and_saveexec_b64 s[2:3], vcc
	s_cbranch_execnz .LBB368_66
.LBB368_49:
	s_or_b64 exec, exec, s[2:3]
	v_cmp_gt_i32_e32 vcc, s14, v0
	s_and_saveexec_b64 s[2:3], vcc
	s_cbranch_execnz .LBB368_67
.LBB368_50:
	s_or_b64 exec, exec, s[2:3]
	v_cmp_gt_i32_e32 vcc, s14, v0
	s_and_saveexec_b64 s[2:3], vcc
	s_cbranch_execz .LBB368_52
.LBB368_51:
	s_waitcnt vmcnt(0)
	v_cmp_ne_u64_e32 vcc, s[8:9], v[30:31]
	v_add_u32_e32 v0, s6, v0
	s_xor_b64 s[0:1], s[0:1], vcc
	v_cndmask_b32_e64 v1, 0, 1, s[0:1]
	global_store_byte v0, v1, s[10:11]
.LBB368_52:
	s_endpgm
.LBB368_53:
	s_waitcnt vmcnt(0)
	v_cmp_ne_u64_e32 vcc, s[8:9], v[4:5]
	v_or_b32_e32 v0, 0x100, v0
	s_xor_b64 s[4:5], s[0:1], vcc
	v_cndmask_b32_e64 v4, 0, 1, s[4:5]
	global_store_byte v3, v4, s[10:11]
	s_or_b64 exec, exec, s[2:3]
	v_cmp_gt_i32_e32 vcc, s14, v0
	s_and_saveexec_b64 s[2:3], vcc
	s_cbranch_execz .LBB368_37
.LBB368_54:
	s_waitcnt vmcnt(0)
	v_cmp_ne_u64_e32 vcc, s[8:9], v[1:2]
	v_add_u32_e32 v2, s6, v0
	s_xor_b64 s[4:5], s[0:1], vcc
	v_cndmask_b32_e64 v1, 0, 1, s[4:5]
	v_add_u32_e32 v0, 0x100, v0
	global_store_byte v2, v1, s[10:11]
	s_or_b64 exec, exec, s[2:3]
	v_cmp_gt_i32_e32 vcc, s14, v0
	s_and_saveexec_b64 s[2:3], vcc
	s_cbranch_execz .LBB368_38
.LBB368_55:
	s_waitcnt vmcnt(0)
	v_cmp_ne_u64_e32 vcc, s[8:9], v[8:9]
	v_add_u32_e32 v2, s6, v0
	s_xor_b64 s[4:5], s[0:1], vcc
	v_cndmask_b32_e64 v1, 0, 1, s[4:5]
	v_add_u32_e32 v0, 0x100, v0
	global_store_byte v2, v1, s[10:11]
	s_or_b64 exec, exec, s[2:3]
	v_cmp_gt_i32_e32 vcc, s14, v0
	s_and_saveexec_b64 s[2:3], vcc
	s_cbranch_execz .LBB368_39
.LBB368_56:
	s_waitcnt vmcnt(0)
	v_cmp_ne_u64_e32 vcc, s[8:9], v[6:7]
	v_add_u32_e32 v2, s6, v0
	s_xor_b64 s[4:5], s[0:1], vcc
	v_cndmask_b32_e64 v1, 0, 1, s[4:5]
	v_add_u32_e32 v0, 0x100, v0
	global_store_byte v2, v1, s[10:11]
	s_or_b64 exec, exec, s[2:3]
	v_cmp_gt_i32_e32 vcc, s14, v0
	s_and_saveexec_b64 s[2:3], vcc
	s_cbranch_execz .LBB368_40
.LBB368_57:
	s_waitcnt vmcnt(0)
	v_cmp_ne_u64_e32 vcc, s[8:9], v[12:13]
	v_add_u32_e32 v2, s6, v0
	s_xor_b64 s[4:5], s[0:1], vcc
	v_cndmask_b32_e64 v1, 0, 1, s[4:5]
	v_add_u32_e32 v0, 0x100, v0
	global_store_byte v2, v1, s[10:11]
	s_or_b64 exec, exec, s[2:3]
	v_cmp_gt_i32_e32 vcc, s14, v0
	s_and_saveexec_b64 s[2:3], vcc
	s_cbranch_execz .LBB368_41
.LBB368_58:
	s_waitcnt vmcnt(0)
	v_cmp_ne_u64_e32 vcc, s[8:9], v[10:11]
	v_add_u32_e32 v2, s6, v0
	s_xor_b64 s[4:5], s[0:1], vcc
	v_cndmask_b32_e64 v1, 0, 1, s[4:5]
	v_add_u32_e32 v0, 0x100, v0
	global_store_byte v2, v1, s[10:11]
	s_or_b64 exec, exec, s[2:3]
	v_cmp_gt_i32_e32 vcc, s14, v0
	s_and_saveexec_b64 s[2:3], vcc
	s_cbranch_execz .LBB368_42
.LBB368_59:
	s_waitcnt vmcnt(0)
	v_cmp_ne_u64_e32 vcc, s[8:9], v[16:17]
	v_add_u32_e32 v2, s6, v0
	s_xor_b64 s[4:5], s[0:1], vcc
	v_cndmask_b32_e64 v1, 0, 1, s[4:5]
	v_add_u32_e32 v0, 0x100, v0
	global_store_byte v2, v1, s[10:11]
	s_or_b64 exec, exec, s[2:3]
	v_cmp_gt_i32_e32 vcc, s14, v0
	s_and_saveexec_b64 s[2:3], vcc
	s_cbranch_execz .LBB368_43
.LBB368_60:
	s_waitcnt vmcnt(0)
	v_cmp_ne_u64_e32 vcc, s[8:9], v[14:15]
	v_add_u32_e32 v2, s6, v0
	s_xor_b64 s[4:5], s[0:1], vcc
	v_cndmask_b32_e64 v1, 0, 1, s[4:5]
	v_add_u32_e32 v0, 0x100, v0
	global_store_byte v2, v1, s[10:11]
	s_or_b64 exec, exec, s[2:3]
	v_cmp_gt_i32_e32 vcc, s14, v0
	s_and_saveexec_b64 s[2:3], vcc
	s_cbranch_execz .LBB368_44
.LBB368_61:
	s_waitcnt vmcnt(0)
	v_cmp_ne_u64_e32 vcc, s[8:9], v[20:21]
	v_add_u32_e32 v2, s6, v0
	s_xor_b64 s[4:5], s[0:1], vcc
	v_cndmask_b32_e64 v1, 0, 1, s[4:5]
	v_add_u32_e32 v0, 0x100, v0
	global_store_byte v2, v1, s[10:11]
	s_or_b64 exec, exec, s[2:3]
	v_cmp_gt_i32_e32 vcc, s14, v0
	s_and_saveexec_b64 s[2:3], vcc
	s_cbranch_execz .LBB368_45
.LBB368_62:
	s_waitcnt vmcnt(0)
	v_cmp_ne_u64_e32 vcc, s[8:9], v[18:19]
	v_add_u32_e32 v2, s6, v0
	s_xor_b64 s[4:5], s[0:1], vcc
	v_cndmask_b32_e64 v1, 0, 1, s[4:5]
	v_add_u32_e32 v0, 0x100, v0
	global_store_byte v2, v1, s[10:11]
	s_or_b64 exec, exec, s[2:3]
	v_cmp_gt_i32_e32 vcc, s14, v0
	s_and_saveexec_b64 s[2:3], vcc
	s_cbranch_execz .LBB368_46
.LBB368_63:
	s_waitcnt vmcnt(0)
	v_cmp_ne_u64_e32 vcc, s[8:9], v[24:25]
	v_add_u32_e32 v2, s6, v0
	s_xor_b64 s[4:5], s[0:1], vcc
	v_cndmask_b32_e64 v1, 0, 1, s[4:5]
	v_add_u32_e32 v0, 0x100, v0
	global_store_byte v2, v1, s[10:11]
	s_or_b64 exec, exec, s[2:3]
	v_cmp_gt_i32_e32 vcc, s14, v0
	s_and_saveexec_b64 s[2:3], vcc
	s_cbranch_execz .LBB368_47
.LBB368_64:
	s_waitcnt vmcnt(0)
	v_cmp_ne_u64_e32 vcc, s[8:9], v[22:23]
	v_add_u32_e32 v2, s6, v0
	s_xor_b64 s[4:5], s[0:1], vcc
	v_cndmask_b32_e64 v1, 0, 1, s[4:5]
	v_add_u32_e32 v0, 0x100, v0
	global_store_byte v2, v1, s[10:11]
	s_or_b64 exec, exec, s[2:3]
	v_cmp_gt_i32_e32 vcc, s14, v0
	s_and_saveexec_b64 s[2:3], vcc
	s_cbranch_execz .LBB368_48
.LBB368_65:
	s_waitcnt vmcnt(0)
	v_cmp_ne_u64_e32 vcc, s[8:9], v[28:29]
	v_add_u32_e32 v2, s6, v0
	s_xor_b64 s[4:5], s[0:1], vcc
	v_cndmask_b32_e64 v1, 0, 1, s[4:5]
	v_add_u32_e32 v0, 0x100, v0
	global_store_byte v2, v1, s[10:11]
	s_or_b64 exec, exec, s[2:3]
	v_cmp_gt_i32_e32 vcc, s14, v0
	s_and_saveexec_b64 s[2:3], vcc
	s_cbranch_execz .LBB368_49
.LBB368_66:
	s_waitcnt vmcnt(0)
	v_cmp_ne_u64_e32 vcc, s[8:9], v[26:27]
	v_add_u32_e32 v2, s6, v0
	s_xor_b64 s[4:5], s[0:1], vcc
	v_cndmask_b32_e64 v1, 0, 1, s[4:5]
	v_add_u32_e32 v0, 0x100, v0
	global_store_byte v2, v1, s[10:11]
	s_or_b64 exec, exec, s[2:3]
	v_cmp_gt_i32_e32 vcc, s14, v0
	s_and_saveexec_b64 s[2:3], vcc
	s_cbranch_execz .LBB368_50
.LBB368_67:
	s_waitcnt vmcnt(0)
	v_cmp_ne_u64_e32 vcc, s[8:9], v[32:33]
	v_add_u32_e32 v2, s6, v0
	s_xor_b64 s[4:5], s[0:1], vcc
	v_cndmask_b32_e64 v1, 0, 1, s[4:5]
	v_add_u32_e32 v0, 0x100, v0
	global_store_byte v2, v1, s[10:11]
	s_or_b64 exec, exec, s[2:3]
	v_cmp_gt_i32_e32 vcc, s14, v0
	s_and_saveexec_b64 s[2:3], vcc
	s_cbranch_execnz .LBB368_51
	s_branch .LBB368_52
	.section	.rodata,"a",@progbits
	.p2align	6, 0x0
	.amdhsa_kernel _ZN2at6native29vectorized_elementwise_kernelILi2ENS0_13AUnaryFunctorImmbNS0_12_GLOBAL__N_116CompareEqFunctorImEEEESt5arrayIPcLm2EEEEviT0_T1_
		.amdhsa_group_segment_fixed_size 0
		.amdhsa_private_segment_fixed_size 0
		.amdhsa_kernarg_size 40
		.amdhsa_user_sgpr_count 6
		.amdhsa_user_sgpr_private_segment_buffer 1
		.amdhsa_user_sgpr_dispatch_ptr 0
		.amdhsa_user_sgpr_queue_ptr 0
		.amdhsa_user_sgpr_kernarg_segment_ptr 1
		.amdhsa_user_sgpr_dispatch_id 0
		.amdhsa_user_sgpr_flat_scratch_init 0
		.amdhsa_user_sgpr_private_segment_size 0
		.amdhsa_uses_dynamic_stack 0
		.amdhsa_system_sgpr_private_segment_wavefront_offset 0
		.amdhsa_system_sgpr_workgroup_id_x 1
		.amdhsa_system_sgpr_workgroup_id_y 0
		.amdhsa_system_sgpr_workgroup_id_z 0
		.amdhsa_system_sgpr_workgroup_info 0
		.amdhsa_system_vgpr_workitem_id 0
		.amdhsa_next_free_vgpr 36
		.amdhsa_next_free_sgpr 20
		.amdhsa_reserve_vcc 1
		.amdhsa_reserve_flat_scratch 0
		.amdhsa_float_round_mode_32 0
		.amdhsa_float_round_mode_16_64 0
		.amdhsa_float_denorm_mode_32 3
		.amdhsa_float_denorm_mode_16_64 3
		.amdhsa_dx10_clamp 1
		.amdhsa_ieee_mode 1
		.amdhsa_fp16_overflow 0
		.amdhsa_exception_fp_ieee_invalid_op 0
		.amdhsa_exception_fp_denorm_src 0
		.amdhsa_exception_fp_ieee_div_zero 0
		.amdhsa_exception_fp_ieee_overflow 0
		.amdhsa_exception_fp_ieee_underflow 0
		.amdhsa_exception_fp_ieee_inexact 0
		.amdhsa_exception_int_div_zero 0
	.end_amdhsa_kernel
	.section	.text._ZN2at6native29vectorized_elementwise_kernelILi2ENS0_13AUnaryFunctorImmbNS0_12_GLOBAL__N_116CompareEqFunctorImEEEESt5arrayIPcLm2EEEEviT0_T1_,"axG",@progbits,_ZN2at6native29vectorized_elementwise_kernelILi2ENS0_13AUnaryFunctorImmbNS0_12_GLOBAL__N_116CompareEqFunctorImEEEESt5arrayIPcLm2EEEEviT0_T1_,comdat
.Lfunc_end368:
	.size	_ZN2at6native29vectorized_elementwise_kernelILi2ENS0_13AUnaryFunctorImmbNS0_12_GLOBAL__N_116CompareEqFunctorImEEEESt5arrayIPcLm2EEEEviT0_T1_, .Lfunc_end368-_ZN2at6native29vectorized_elementwise_kernelILi2ENS0_13AUnaryFunctorImmbNS0_12_GLOBAL__N_116CompareEqFunctorImEEEESt5arrayIPcLm2EEEEviT0_T1_
                                        ; -- End function
	.set _ZN2at6native29vectorized_elementwise_kernelILi2ENS0_13AUnaryFunctorImmbNS0_12_GLOBAL__N_116CompareEqFunctorImEEEESt5arrayIPcLm2EEEEviT0_T1_.num_vgpr, 36
	.set _ZN2at6native29vectorized_elementwise_kernelILi2ENS0_13AUnaryFunctorImmbNS0_12_GLOBAL__N_116CompareEqFunctorImEEEESt5arrayIPcLm2EEEEviT0_T1_.num_agpr, 0
	.set _ZN2at6native29vectorized_elementwise_kernelILi2ENS0_13AUnaryFunctorImmbNS0_12_GLOBAL__N_116CompareEqFunctorImEEEESt5arrayIPcLm2EEEEviT0_T1_.numbered_sgpr, 20
	.set _ZN2at6native29vectorized_elementwise_kernelILi2ENS0_13AUnaryFunctorImmbNS0_12_GLOBAL__N_116CompareEqFunctorImEEEESt5arrayIPcLm2EEEEviT0_T1_.num_named_barrier, 0
	.set _ZN2at6native29vectorized_elementwise_kernelILi2ENS0_13AUnaryFunctorImmbNS0_12_GLOBAL__N_116CompareEqFunctorImEEEESt5arrayIPcLm2EEEEviT0_T1_.private_seg_size, 0
	.set _ZN2at6native29vectorized_elementwise_kernelILi2ENS0_13AUnaryFunctorImmbNS0_12_GLOBAL__N_116CompareEqFunctorImEEEESt5arrayIPcLm2EEEEviT0_T1_.uses_vcc, 1
	.set _ZN2at6native29vectorized_elementwise_kernelILi2ENS0_13AUnaryFunctorImmbNS0_12_GLOBAL__N_116CompareEqFunctorImEEEESt5arrayIPcLm2EEEEviT0_T1_.uses_flat_scratch, 0
	.set _ZN2at6native29vectorized_elementwise_kernelILi2ENS0_13AUnaryFunctorImmbNS0_12_GLOBAL__N_116CompareEqFunctorImEEEESt5arrayIPcLm2EEEEviT0_T1_.has_dyn_sized_stack, 0
	.set _ZN2at6native29vectorized_elementwise_kernelILi2ENS0_13AUnaryFunctorImmbNS0_12_GLOBAL__N_116CompareEqFunctorImEEEESt5arrayIPcLm2EEEEviT0_T1_.has_recursion, 0
	.set _ZN2at6native29vectorized_elementwise_kernelILi2ENS0_13AUnaryFunctorImmbNS0_12_GLOBAL__N_116CompareEqFunctorImEEEESt5arrayIPcLm2EEEEviT0_T1_.has_indirect_call, 0
	.section	.AMDGPU.csdata,"",@progbits
; Kernel info:
; codeLenInByte = 3080
; TotalNumSgprs: 24
; NumVgprs: 36
; ScratchSize: 0
; MemoryBound: 0
; FloatMode: 240
; IeeeMode: 1
; LDSByteSize: 0 bytes/workgroup (compile time only)
; SGPRBlocks: 2
; VGPRBlocks: 8
; NumSGPRsForWavesPerEU: 24
; NumVGPRsForWavesPerEU: 36
; Occupancy: 7
; WaveLimiterHint : 1
; COMPUTE_PGM_RSRC2:SCRATCH_EN: 0
; COMPUTE_PGM_RSRC2:USER_SGPR: 6
; COMPUTE_PGM_RSRC2:TRAP_HANDLER: 0
; COMPUTE_PGM_RSRC2:TGID_X_EN: 1
; COMPUTE_PGM_RSRC2:TGID_Y_EN: 0
; COMPUTE_PGM_RSRC2:TGID_Z_EN: 0
; COMPUTE_PGM_RSRC2:TIDIG_COMP_CNT: 0
	.section	.text._ZN2at6native27unrolled_elementwise_kernelINS0_13AUnaryFunctorImmbNS0_12_GLOBAL__N_116CompareEqFunctorImEEEESt5arrayIPcLm2EELi4E23TrivialOffsetCalculatorILi1EjESB_NS0_6memory15LoadWithoutCastENSC_16StoreWithoutCastEEEviT_T0_T2_T3_T4_T5_,"axG",@progbits,_ZN2at6native27unrolled_elementwise_kernelINS0_13AUnaryFunctorImmbNS0_12_GLOBAL__N_116CompareEqFunctorImEEEESt5arrayIPcLm2EELi4E23TrivialOffsetCalculatorILi1EjESB_NS0_6memory15LoadWithoutCastENSC_16StoreWithoutCastEEEviT_T0_T2_T3_T4_T5_,comdat
	.globl	_ZN2at6native27unrolled_elementwise_kernelINS0_13AUnaryFunctorImmbNS0_12_GLOBAL__N_116CompareEqFunctorImEEEESt5arrayIPcLm2EELi4E23TrivialOffsetCalculatorILi1EjESB_NS0_6memory15LoadWithoutCastENSC_16StoreWithoutCastEEEviT_T0_T2_T3_T4_T5_ ; -- Begin function _ZN2at6native27unrolled_elementwise_kernelINS0_13AUnaryFunctorImmbNS0_12_GLOBAL__N_116CompareEqFunctorImEEEESt5arrayIPcLm2EELi4E23TrivialOffsetCalculatorILi1EjESB_NS0_6memory15LoadWithoutCastENSC_16StoreWithoutCastEEEviT_T0_T2_T3_T4_T5_
	.p2align	8
	.type	_ZN2at6native27unrolled_elementwise_kernelINS0_13AUnaryFunctorImmbNS0_12_GLOBAL__N_116CompareEqFunctorImEEEESt5arrayIPcLm2EELi4E23TrivialOffsetCalculatorILi1EjESB_NS0_6memory15LoadWithoutCastENSC_16StoreWithoutCastEEEviT_T0_T2_T3_T4_T5_,@function
_ZN2at6native27unrolled_elementwise_kernelINS0_13AUnaryFunctorImmbNS0_12_GLOBAL__N_116CompareEqFunctorImEEEESt5arrayIPcLm2EELi4E23TrivialOffsetCalculatorILi1EjESB_NS0_6memory15LoadWithoutCastENSC_16StoreWithoutCastEEEviT_T0_T2_T3_T4_T5_: ; @_ZN2at6native27unrolled_elementwise_kernelINS0_13AUnaryFunctorImmbNS0_12_GLOBAL__N_116CompareEqFunctorImEEEESt5arrayIPcLm2EELi4E23TrivialOffsetCalculatorILi1EjESB_NS0_6memory15LoadWithoutCastENSC_16StoreWithoutCastEEEviT_T0_T2_T3_T4_T5_
; %bb.0:
	s_load_dword s0, s[4:5], 0x0
	s_load_dwordx2 s[2:3], s[4:5], 0x20
	s_lshl_b32 s12, s6, 10
	v_mov_b32_e32 v3, 0
	v_mov_b32_e32 v5, 0
	s_waitcnt lgkmcnt(0)
	s_sub_i32 s13, s0, s12
	v_cmp_gt_i32_e32 vcc, s13, v0
	v_mov_b32_e32 v4, 0
	v_or_b32_e32 v1, s12, v0
	v_mov_b32_e32 v6, 0
	v_mov_b32_e32 v2, v0
	s_and_saveexec_b64 s[6:7], vcc
	s_cbranch_execz .LBB369_2
; %bb.1:
	v_mov_b32_e32 v2, 0
	v_lshlrev_b64 v[5:6], 3, v[1:2]
	v_mov_b32_e32 v2, s3
	v_add_co_u32_e64 v5, s[0:1], s2, v5
	v_addc_co_u32_e64 v6, s[0:1], v2, v6, s[0:1]
	global_load_dwordx2 v[5:6], v[5:6], off
	v_or_b32_e32 v2, 0x100, v0
.LBB369_2:
	s_or_b64 exec, exec, s[6:7]
	s_load_dwordx4 s[8:11], s[4:5], 0x10
	v_cmp_gt_i32_e64 s[0:1], s13, v2
	s_and_saveexec_b64 s[6:7], s[0:1]
	s_cbranch_execz .LBB369_4
; %bb.3:
	v_add_u32_e32 v3, s12, v2
	v_mov_b32_e32 v4, 0
	v_lshlrev_b64 v[3:4], 3, v[3:4]
	v_mov_b32_e32 v7, s3
	v_add_co_u32_e64 v3, s[0:1], s2, v3
	v_addc_co_u32_e64 v4, s[0:1], v7, v4, s[0:1]
	global_load_dwordx2 v[3:4], v[3:4], off
	v_add_u32_e32 v2, 0x100, v2
.LBB369_4:
	s_or_b64 exec, exec, s[6:7]
	v_mov_b32_e32 v7, 0
	v_mov_b32_e32 v9, 0
	;; [unrolled: 1-line block ×4, first 2 shown]
	v_cmp_gt_i32_e64 s[0:1], s13, v2
	s_and_saveexec_b64 s[6:7], s[0:1]
	s_cbranch_execz .LBB369_6
; %bb.5:
	v_add_u32_e32 v9, s12, v2
	v_mov_b32_e32 v10, 0
	v_lshlrev_b64 v[9:10], 3, v[9:10]
	v_mov_b32_e32 v11, s3
	v_add_co_u32_e64 v9, s[0:1], s2, v9
	v_addc_co_u32_e64 v10, s[0:1], v11, v10, s[0:1]
	global_load_dwordx2 v[9:10], v[9:10], off
	v_add_u32_e32 v2, 0x100, v2
.LBB369_6:
	s_or_b64 exec, exec, s[6:7]
	s_load_dword s6, s[4:5], 0x8
	v_cmp_gt_i32_e64 s[0:1], s13, v2
	s_and_saveexec_b64 s[4:5], s[0:1]
	s_cbranch_execz .LBB369_8
; %bb.7:
	v_add_u32_e32 v7, s12, v2
	v_mov_b32_e32 v8, 0
	v_lshlrev_b64 v[7:8], 3, v[7:8]
	v_mov_b32_e32 v2, s3
	v_add_co_u32_e64 v7, s[0:1], s2, v7
	v_addc_co_u32_e64 v8, s[0:1], v2, v8, s[0:1]
	global_load_dwordx2 v[7:8], v[7:8], off
.LBB369_8:
	s_or_b64 exec, exec, s[4:5]
	s_waitcnt lgkmcnt(0)
	s_cmp_eq_u32 s6, 0
	s_waitcnt vmcnt(0)
	v_cmp_ne_u64_e64 s[0:1], s[8:9], v[5:6]
	s_cselect_b64 s[2:3], -1, 0
	s_xor_b64 s[0:1], s[2:3], s[0:1]
	v_cndmask_b32_e64 v2, 0, 1, s[0:1]
	v_cmp_ne_u64_e64 s[0:1], s[8:9], v[3:4]
	v_cndmask_b32_e32 v2, 0, v2, vcc
	s_xor_b64 s[0:1], s[2:3], s[0:1]
	v_cndmask_b32_e64 v4, 0, 1, s[0:1]
	v_lshlrev_b16_e32 v4, 8, v4
	v_or_b32_e32 v3, 0x100, v0
	v_or_b32_e32 v4, v2, v4
	v_and_b32_e32 v4, 0xffff, v4
	v_cmp_gt_i32_e64 s[0:1], s13, v3
	v_cndmask_b32_e64 v2, v2, v4, s[0:1]
	v_cmp_ne_u64_e64 s[0:1], s[8:9], v[9:10]
	v_or_b32_e32 v4, 0x200, v0
	s_xor_b64 s[0:1], s[2:3], s[0:1]
	v_cndmask_b32_e64 v5, 0, 1, s[0:1]
	v_lshlrev_b32_e32 v5, 16, v5
	v_or_b32_e32 v5, v2, v5
	v_cmp_gt_i32_e64 s[0:1], s13, v4
	v_cndmask_b32_e64 v2, v2, v5, s[0:1]
	s_movk_i32 s0, 0xff
	v_and_b32_sdwa v4, v2, s0 dst_sel:DWORD dst_unused:UNUSED_PAD src0_sel:WORD_1 src1_sel:DWORD
	v_cmp_ne_u64_e64 s[0:1], s[8:9], v[7:8]
	s_mov_b32 s4, 0xffff
	s_xor_b64 s[0:1], s[2:3], s[0:1]
	v_cndmask_b32_e64 v6, 0, 1, s[0:1]
	v_lshlrev_b16_e32 v6, 8, v6
	v_or_b32_e32 v5, 0x300, v0
	v_or_b32_sdwa v4, v4, v6 dst_sel:WORD_1 dst_unused:UNUSED_PAD src0_sel:DWORD src1_sel:DWORD
	v_and_or_b32 v4, v2, s4, v4
	v_cmp_gt_i32_e64 s[0:1], s13, v5
	v_cndmask_b32_e64 v2, v2, v4, s[0:1]
	s_and_saveexec_b64 s[0:1], vcc
	s_cbranch_execnz .LBB369_13
; %bb.9:
	s_or_b64 exec, exec, s[0:1]
	v_cmp_gt_i32_e32 vcc, s13, v0
	s_and_saveexec_b64 s[0:1], vcc
	s_cbranch_execnz .LBB369_14
.LBB369_10:
	s_or_b64 exec, exec, s[0:1]
	v_cmp_gt_i32_e32 vcc, s13, v0
	s_and_saveexec_b64 s[0:1], vcc
	s_cbranch_execnz .LBB369_15
.LBB369_11:
	s_or_b64 exec, exec, s[0:1]
	v_cmp_gt_i32_e32 vcc, s13, v0
	s_and_saveexec_b64 s[0:1], vcc
	s_cbranch_execnz .LBB369_16
.LBB369_12:
	s_endpgm
.LBB369_13:
	v_mov_b32_e32 v0, v3
	global_store_byte v1, v2, s[10:11]
	s_or_b64 exec, exec, s[0:1]
	v_cmp_gt_i32_e32 vcc, s13, v0
	s_and_saveexec_b64 s[0:1], vcc
	s_cbranch_execz .LBB369_10
.LBB369_14:
	v_add_u32_e32 v1, 0x100, v0
	v_add_u32_e32 v0, s12, v0
	v_lshrrev_b32_e32 v3, 8, v2
	global_store_byte v0, v3, s[10:11]
	v_mov_b32_e32 v0, v1
	s_or_b64 exec, exec, s[0:1]
	v_cmp_gt_i32_e32 vcc, s13, v0
	s_and_saveexec_b64 s[0:1], vcc
	s_cbranch_execz .LBB369_11
.LBB369_15:
	v_add_u32_e32 v1, 0x100, v0
	v_add_u32_e32 v0, s12, v0
	global_store_byte_d16_hi v0, v2, s[10:11]
	v_mov_b32_e32 v0, v1
	s_or_b64 exec, exec, s[0:1]
	v_cmp_gt_i32_e32 vcc, s13, v0
	s_and_saveexec_b64 s[0:1], vcc
	s_cbranch_execz .LBB369_12
.LBB369_16:
	v_add_u32_e32 v0, s12, v0
	v_lshrrev_b32_e32 v1, 24, v2
	global_store_byte v0, v1, s[10:11]
	s_endpgm
	.section	.rodata,"a",@progbits
	.p2align	6, 0x0
	.amdhsa_kernel _ZN2at6native27unrolled_elementwise_kernelINS0_13AUnaryFunctorImmbNS0_12_GLOBAL__N_116CompareEqFunctorImEEEESt5arrayIPcLm2EELi4E23TrivialOffsetCalculatorILi1EjESB_NS0_6memory15LoadWithoutCastENSC_16StoreWithoutCastEEEviT_T0_T2_T3_T4_T5_
		.amdhsa_group_segment_fixed_size 0
		.amdhsa_private_segment_fixed_size 0
		.amdhsa_kernarg_size 44
		.amdhsa_user_sgpr_count 6
		.amdhsa_user_sgpr_private_segment_buffer 1
		.amdhsa_user_sgpr_dispatch_ptr 0
		.amdhsa_user_sgpr_queue_ptr 0
		.amdhsa_user_sgpr_kernarg_segment_ptr 1
		.amdhsa_user_sgpr_dispatch_id 0
		.amdhsa_user_sgpr_flat_scratch_init 0
		.amdhsa_user_sgpr_private_segment_size 0
		.amdhsa_uses_dynamic_stack 0
		.amdhsa_system_sgpr_private_segment_wavefront_offset 0
		.amdhsa_system_sgpr_workgroup_id_x 1
		.amdhsa_system_sgpr_workgroup_id_y 0
		.amdhsa_system_sgpr_workgroup_id_z 0
		.amdhsa_system_sgpr_workgroup_info 0
		.amdhsa_system_vgpr_workitem_id 0
		.amdhsa_next_free_vgpr 12
		.amdhsa_next_free_sgpr 14
		.amdhsa_reserve_vcc 1
		.amdhsa_reserve_flat_scratch 0
		.amdhsa_float_round_mode_32 0
		.amdhsa_float_round_mode_16_64 0
		.amdhsa_float_denorm_mode_32 3
		.amdhsa_float_denorm_mode_16_64 3
		.amdhsa_dx10_clamp 1
		.amdhsa_ieee_mode 1
		.amdhsa_fp16_overflow 0
		.amdhsa_exception_fp_ieee_invalid_op 0
		.amdhsa_exception_fp_denorm_src 0
		.amdhsa_exception_fp_ieee_div_zero 0
		.amdhsa_exception_fp_ieee_overflow 0
		.amdhsa_exception_fp_ieee_underflow 0
		.amdhsa_exception_fp_ieee_inexact 0
		.amdhsa_exception_int_div_zero 0
	.end_amdhsa_kernel
	.section	.text._ZN2at6native27unrolled_elementwise_kernelINS0_13AUnaryFunctorImmbNS0_12_GLOBAL__N_116CompareEqFunctorImEEEESt5arrayIPcLm2EELi4E23TrivialOffsetCalculatorILi1EjESB_NS0_6memory15LoadWithoutCastENSC_16StoreWithoutCastEEEviT_T0_T2_T3_T4_T5_,"axG",@progbits,_ZN2at6native27unrolled_elementwise_kernelINS0_13AUnaryFunctorImmbNS0_12_GLOBAL__N_116CompareEqFunctorImEEEESt5arrayIPcLm2EELi4E23TrivialOffsetCalculatorILi1EjESB_NS0_6memory15LoadWithoutCastENSC_16StoreWithoutCastEEEviT_T0_T2_T3_T4_T5_,comdat
.Lfunc_end369:
	.size	_ZN2at6native27unrolled_elementwise_kernelINS0_13AUnaryFunctorImmbNS0_12_GLOBAL__N_116CompareEqFunctorImEEEESt5arrayIPcLm2EELi4E23TrivialOffsetCalculatorILi1EjESB_NS0_6memory15LoadWithoutCastENSC_16StoreWithoutCastEEEviT_T0_T2_T3_T4_T5_, .Lfunc_end369-_ZN2at6native27unrolled_elementwise_kernelINS0_13AUnaryFunctorImmbNS0_12_GLOBAL__N_116CompareEqFunctorImEEEESt5arrayIPcLm2EELi4E23TrivialOffsetCalculatorILi1EjESB_NS0_6memory15LoadWithoutCastENSC_16StoreWithoutCastEEEviT_T0_T2_T3_T4_T5_
                                        ; -- End function
	.set _ZN2at6native27unrolled_elementwise_kernelINS0_13AUnaryFunctorImmbNS0_12_GLOBAL__N_116CompareEqFunctorImEEEESt5arrayIPcLm2EELi4E23TrivialOffsetCalculatorILi1EjESB_NS0_6memory15LoadWithoutCastENSC_16StoreWithoutCastEEEviT_T0_T2_T3_T4_T5_.num_vgpr, 12
	.set _ZN2at6native27unrolled_elementwise_kernelINS0_13AUnaryFunctorImmbNS0_12_GLOBAL__N_116CompareEqFunctorImEEEESt5arrayIPcLm2EELi4E23TrivialOffsetCalculatorILi1EjESB_NS0_6memory15LoadWithoutCastENSC_16StoreWithoutCastEEEviT_T0_T2_T3_T4_T5_.num_agpr, 0
	.set _ZN2at6native27unrolled_elementwise_kernelINS0_13AUnaryFunctorImmbNS0_12_GLOBAL__N_116CompareEqFunctorImEEEESt5arrayIPcLm2EELi4E23TrivialOffsetCalculatorILi1EjESB_NS0_6memory15LoadWithoutCastENSC_16StoreWithoutCastEEEviT_T0_T2_T3_T4_T5_.numbered_sgpr, 14
	.set _ZN2at6native27unrolled_elementwise_kernelINS0_13AUnaryFunctorImmbNS0_12_GLOBAL__N_116CompareEqFunctorImEEEESt5arrayIPcLm2EELi4E23TrivialOffsetCalculatorILi1EjESB_NS0_6memory15LoadWithoutCastENSC_16StoreWithoutCastEEEviT_T0_T2_T3_T4_T5_.num_named_barrier, 0
	.set _ZN2at6native27unrolled_elementwise_kernelINS0_13AUnaryFunctorImmbNS0_12_GLOBAL__N_116CompareEqFunctorImEEEESt5arrayIPcLm2EELi4E23TrivialOffsetCalculatorILi1EjESB_NS0_6memory15LoadWithoutCastENSC_16StoreWithoutCastEEEviT_T0_T2_T3_T4_T5_.private_seg_size, 0
	.set _ZN2at6native27unrolled_elementwise_kernelINS0_13AUnaryFunctorImmbNS0_12_GLOBAL__N_116CompareEqFunctorImEEEESt5arrayIPcLm2EELi4E23TrivialOffsetCalculatorILi1EjESB_NS0_6memory15LoadWithoutCastENSC_16StoreWithoutCastEEEviT_T0_T2_T3_T4_T5_.uses_vcc, 1
	.set _ZN2at6native27unrolled_elementwise_kernelINS0_13AUnaryFunctorImmbNS0_12_GLOBAL__N_116CompareEqFunctorImEEEESt5arrayIPcLm2EELi4E23TrivialOffsetCalculatorILi1EjESB_NS0_6memory15LoadWithoutCastENSC_16StoreWithoutCastEEEviT_T0_T2_T3_T4_T5_.uses_flat_scratch, 0
	.set _ZN2at6native27unrolled_elementwise_kernelINS0_13AUnaryFunctorImmbNS0_12_GLOBAL__N_116CompareEqFunctorImEEEESt5arrayIPcLm2EELi4E23TrivialOffsetCalculatorILi1EjESB_NS0_6memory15LoadWithoutCastENSC_16StoreWithoutCastEEEviT_T0_T2_T3_T4_T5_.has_dyn_sized_stack, 0
	.set _ZN2at6native27unrolled_elementwise_kernelINS0_13AUnaryFunctorImmbNS0_12_GLOBAL__N_116CompareEqFunctorImEEEESt5arrayIPcLm2EELi4E23TrivialOffsetCalculatorILi1EjESB_NS0_6memory15LoadWithoutCastENSC_16StoreWithoutCastEEEviT_T0_T2_T3_T4_T5_.has_recursion, 0
	.set _ZN2at6native27unrolled_elementwise_kernelINS0_13AUnaryFunctorImmbNS0_12_GLOBAL__N_116CompareEqFunctorImEEEESt5arrayIPcLm2EELi4E23TrivialOffsetCalculatorILi1EjESB_NS0_6memory15LoadWithoutCastENSC_16StoreWithoutCastEEEviT_T0_T2_T3_T4_T5_.has_indirect_call, 0
	.section	.AMDGPU.csdata,"",@progbits
; Kernel info:
; codeLenInByte = 784
; TotalNumSgprs: 18
; NumVgprs: 12
; ScratchSize: 0
; MemoryBound: 0
; FloatMode: 240
; IeeeMode: 1
; LDSByteSize: 0 bytes/workgroup (compile time only)
; SGPRBlocks: 2
; VGPRBlocks: 2
; NumSGPRsForWavesPerEU: 18
; NumVGPRsForWavesPerEU: 12
; Occupancy: 10
; WaveLimiterHint : 0
; COMPUTE_PGM_RSRC2:SCRATCH_EN: 0
; COMPUTE_PGM_RSRC2:USER_SGPR: 6
; COMPUTE_PGM_RSRC2:TRAP_HANDLER: 0
; COMPUTE_PGM_RSRC2:TGID_X_EN: 1
; COMPUTE_PGM_RSRC2:TGID_Y_EN: 0
; COMPUTE_PGM_RSRC2:TGID_Z_EN: 0
; COMPUTE_PGM_RSRC2:TIDIG_COMP_CNT: 0
	.section	.text._ZN2at6native32elementwise_kernel_manual_unrollILi128ELi8EZNS0_22gpu_kernel_impl_nocastINS0_13AUnaryFunctorImmbNS0_12_GLOBAL__N_116CompareEqFunctorImEEEEEEvRNS_18TensorIteratorBaseERKT_EUlibE_EEviT1_,"axG",@progbits,_ZN2at6native32elementwise_kernel_manual_unrollILi128ELi8EZNS0_22gpu_kernel_impl_nocastINS0_13AUnaryFunctorImmbNS0_12_GLOBAL__N_116CompareEqFunctorImEEEEEEvRNS_18TensorIteratorBaseERKT_EUlibE_EEviT1_,comdat
	.globl	_ZN2at6native32elementwise_kernel_manual_unrollILi128ELi8EZNS0_22gpu_kernel_impl_nocastINS0_13AUnaryFunctorImmbNS0_12_GLOBAL__N_116CompareEqFunctorImEEEEEEvRNS_18TensorIteratorBaseERKT_EUlibE_EEviT1_ ; -- Begin function _ZN2at6native32elementwise_kernel_manual_unrollILi128ELi8EZNS0_22gpu_kernel_impl_nocastINS0_13AUnaryFunctorImmbNS0_12_GLOBAL__N_116CompareEqFunctorImEEEEEEvRNS_18TensorIteratorBaseERKT_EUlibE_EEviT1_
	.p2align	8
	.type	_ZN2at6native32elementwise_kernel_manual_unrollILi128ELi8EZNS0_22gpu_kernel_impl_nocastINS0_13AUnaryFunctorImmbNS0_12_GLOBAL__N_116CompareEqFunctorImEEEEEEvRNS_18TensorIteratorBaseERKT_EUlibE_EEviT1_,@function
_ZN2at6native32elementwise_kernel_manual_unrollILi128ELi8EZNS0_22gpu_kernel_impl_nocastINS0_13AUnaryFunctorImmbNS0_12_GLOBAL__N_116CompareEqFunctorImEEEEEEvRNS_18TensorIteratorBaseERKT_EUlibE_EEviT1_: ; @_ZN2at6native32elementwise_kernel_manual_unrollILi128ELi8EZNS0_22gpu_kernel_impl_nocastINS0_13AUnaryFunctorImmbNS0_12_GLOBAL__N_116CompareEqFunctorImEEEEEEvRNS_18TensorIteratorBaseERKT_EUlibE_EEviT1_
; %bb.0:
	s_load_dword s59, s[4:5], 0x0
	s_load_dword s33, s[4:5], 0x8
	s_add_u32 s34, s4, 8
	s_addc_u32 s35, s5, 0
	v_lshl_or_b32 v19, s6, 10, v0
	v_or_b32_e32 v25, 0x380, v19
	s_waitcnt lgkmcnt(0)
	s_add_i32 s58, s33, -1
	s_cmp_gt_u32 s58, 1
	v_cmp_le_i32_e32 vcc, s59, v25
	s_cselect_b64 s[36:37], -1, 0
	s_and_saveexec_b64 s[0:1], vcc
	s_xor_b64 s[38:39], exec, s[0:1]
	s_cbranch_execz .LBB370_7
; %bb.1:
	s_cmp_lg_u32 s33, 0
	s_cselect_b64 s[50:51], -1, 0
	s_add_u32 s48, s34, 0xc4
	s_load_dwordx4 s[20:23], s[34:35], 0x4
	s_load_dwordx2 s[44:45], s[34:35], 0x14
	s_addc_u32 s49, s35, 0
	s_min_u32 s60, s58, 15
	s_load_dword s0, s[34:35], 0x158
	s_load_dwordx4 s[24:27], s[34:35], 0xc4
	s_load_dwordx4 s[16:19], s[34:35], 0x148
	s_load_dwordx2 s[40:41], s[34:35], 0x160
	s_cmp_gt_u32 s33, 1
	s_cselect_b64 s[46:47], -1, 0
	s_waitcnt lgkmcnt(0)
	s_cmp_eq_u32 s0, 0
	s_cselect_b64 s[42:43], -1, 0
	v_cmp_gt_i32_e32 vcc, s59, v19
	s_and_saveexec_b64 s[52:53], vcc
	s_cbranch_execz .LBB370_14
; %bb.2:
	s_andn2_b64 vcc, exec, s[36:37]
	s_cbranch_vccnz .LBB370_21
; %bb.3:
	s_andn2_b64 vcc, exec, s[50:51]
	s_cbranch_vccnz .LBB370_129
; %bb.4:
	s_add_i32 s62, s60, 1
	s_cmp_eq_u32 s58, 2
	s_cbranch_scc1 .LBB370_131
; %bb.5:
	s_and_b32 s61, s62, 28
	v_mov_b32_e32 v2, 0
	s_mov_b32 s63, 0
	s_mov_b64 s[54:55], s[34:35]
	s_mov_b64 s[56:57], s[48:49]
	v_mov_b32_e32 v0, 0
	v_mov_b32_e32 v1, v19
.LBB370_6:                              ; =>This Inner Loop Header: Depth=1
	s_load_dwordx8 s[8:15], s[54:55], 0x4
	s_load_dwordx4 s[28:31], s[54:55], 0x24
	s_load_dwordx8 s[0:7], s[56:57], 0x0
	s_add_u32 s54, s54, 48
	s_addc_u32 s55, s55, 0
	s_waitcnt lgkmcnt(0)
	v_mul_hi_u32 v3, s9, v1
	s_add_i32 s63, s63, 4
	s_add_u32 s56, s56, 32
	s_addc_u32 s57, s57, 0
	v_add_u32_e32 v3, v1, v3
	v_lshrrev_b32_e32 v3, s10, v3
	v_mul_lo_u32 v4, v3, s8
	v_mul_hi_u32 v5, s12, v3
	s_cmp_lg_u32 s61, s63
	v_sub_u32_e32 v1, v1, v4
	v_add_u32_e32 v4, v3, v5
	v_mul_lo_u32 v5, v1, s0
	v_mul_lo_u32 v6, v1, s1
	v_lshrrev_b32_e32 v1, s13, v4
	v_mul_lo_u32 v4, v1, s11
	v_mul_hi_u32 v7, s15, v1
	v_sub_u32_e32 v3, v3, v4
	v_add_u32_e32 v4, v1, v7
	v_lshrrev_b32_e32 v4, s28, v4
	v_mul_hi_u32 v8, s30, v4
	v_mul_lo_u32 v9, v4, s14
	v_mul_lo_u32 v7, v3, s2
	;; [unrolled: 1-line block ×3, first 2 shown]
	v_sub_u32_e32 v9, v1, v9
	v_add_u32_e32 v1, v4, v8
	v_lshrrev_b32_e32 v1, s31, v1
	v_mul_lo_u32 v8, v1, s29
	v_mul_lo_u32 v10, v9, s4
	;; [unrolled: 1-line block ×3, first 2 shown]
	v_add3_u32 v0, v5, v0, v7
	v_sub_u32_e32 v4, v4, v8
	v_mul_lo_u32 v8, v4, s6
	v_mul_lo_u32 v4, v4, s7
	v_add3_u32 v2, v6, v2, v3
	v_add3_u32 v0, v10, v0, v8
	;; [unrolled: 1-line block ×3, first 2 shown]
	s_cbranch_scc1 .LBB370_6
	s_branch .LBB370_132
.LBB370_7:
	s_andn2_saveexec_b64 s[0:1], s[38:39]
	s_cbranch_execz .LBB370_221
.LBB370_8:
	v_cndmask_b32_e64 v0, 0, 1, s[36:37]
	v_cmp_ne_u32_e64 s[0:1], 1, v0
	s_andn2_b64 vcc, exec, s[36:37]
	s_cbranch_vccnz .LBB370_20
; %bb.9:
	s_cmp_lg_u32 s33, 0
	s_mov_b32 s26, 0
	s_cbranch_scc0 .LBB370_23
; %bb.10:
	s_min_u32 s27, s58, 15
	s_add_i32 s27, s27, 1
	s_cmp_eq_u32 s58, 2
	s_cbranch_scc1 .LBB370_24
; %bb.11:
	s_and_b32 s26, s27, 28
	s_add_u32 s2, s34, 0xc4
	s_addc_u32 s3, s35, 0
	v_mov_b32_e32 v2, 0
	s_mov_b32 s28, 0
	s_mov_b64 s[24:25], s[34:35]
	v_mov_b32_e32 v0, 0
	v_mov_b32_e32 v1, v19
.LBB370_12:                             ; =>This Inner Loop Header: Depth=1
	s_load_dwordx8 s[12:19], s[24:25], 0x4
	s_load_dwordx4 s[20:23], s[24:25], 0x24
	s_load_dwordx8 s[4:11], s[2:3], 0x0
	s_add_u32 s24, s24, 48
	s_addc_u32 s25, s25, 0
	s_waitcnt lgkmcnt(0)
	v_mul_hi_u32 v3, s13, v1
	s_add_i32 s28, s28, 4
	s_add_u32 s2, s2, 32
	s_addc_u32 s3, s3, 0
	v_add_u32_e32 v3, v1, v3
	v_lshrrev_b32_e32 v3, s14, v3
	v_mul_lo_u32 v4, v3, s12
	v_mul_hi_u32 v5, s16, v3
	s_cmp_lg_u32 s26, s28
	v_sub_u32_e32 v1, v1, v4
	v_add_u32_e32 v4, v3, v5
	v_mul_lo_u32 v5, v1, s4
	v_mul_lo_u32 v6, v1, s5
	v_lshrrev_b32_e32 v1, s17, v4
	v_mul_lo_u32 v4, v1, s15
	v_mul_hi_u32 v7, s19, v1
	v_sub_u32_e32 v3, v3, v4
	v_add_u32_e32 v4, v1, v7
	v_lshrrev_b32_e32 v4, s20, v4
	v_mul_hi_u32 v8, s22, v4
	v_mul_lo_u32 v9, v4, s18
	v_mul_lo_u32 v7, v3, s6
	;; [unrolled: 1-line block ×3, first 2 shown]
	v_sub_u32_e32 v9, v1, v9
	v_add_u32_e32 v1, v4, v8
	v_lshrrev_b32_e32 v1, s23, v1
	v_mul_lo_u32 v8, v1, s21
	v_mul_lo_u32 v10, v9, s8
	;; [unrolled: 1-line block ×3, first 2 shown]
	v_add3_u32 v0, v5, v0, v7
	v_sub_u32_e32 v4, v4, v8
	v_mul_lo_u32 v8, v4, s10
	v_mul_lo_u32 v4, v4, s11
	v_add3_u32 v2, v6, v2, v3
	v_add3_u32 v0, v10, v0, v8
	;; [unrolled: 1-line block ×3, first 2 shown]
	s_cbranch_scc1 .LBB370_12
; %bb.13:
	s_and_b32 s6, s27, 3
	s_cmp_eq_u32 s6, 0
	s_cbranch_scc0 .LBB370_25
	s_branch .LBB370_27
.LBB370_14:
	s_or_b64 exec, exec, s[52:53]
	v_cmp_gt_i32_e32 vcc, s59, v19
	s_and_saveexec_b64 s[52:53], vcc
	s_cbranch_execz .LBB370_139
.LBB370_15:
	s_andn2_b64 vcc, exec, s[36:37]
	s_cbranch_vccnz .LBB370_22
; %bb.16:
	s_andn2_b64 vcc, exec, s[50:51]
	s_cbranch_vccnz .LBB370_130
; %bb.17:
	s_add_i32 s62, s60, 1
	s_cmp_eq_u32 s58, 2
	s_cbranch_scc1 .LBB370_147
; %bb.18:
	s_and_b32 s61, s62, 28
	v_mov_b32_e32 v2, 0
	s_mov_b32 s63, 0
	s_mov_b64 s[54:55], s[34:35]
	s_mov_b64 s[56:57], s[48:49]
	v_mov_b32_e32 v0, 0
	v_mov_b32_e32 v1, v19
.LBB370_19:                             ; =>This Inner Loop Header: Depth=1
	s_load_dwordx8 s[8:15], s[54:55], 0x4
	s_load_dwordx4 s[28:31], s[54:55], 0x24
	s_load_dwordx8 s[0:7], s[56:57], 0x0
	s_add_u32 s54, s54, 48
	s_addc_u32 s55, s55, 0
	s_waitcnt lgkmcnt(0)
	v_mul_hi_u32 v3, s9, v1
	s_add_i32 s63, s63, 4
	s_add_u32 s56, s56, 32
	s_addc_u32 s57, s57, 0
	v_add_u32_e32 v3, v1, v3
	v_lshrrev_b32_e32 v3, s10, v3
	v_mul_lo_u32 v4, v3, s8
	v_mul_hi_u32 v5, s12, v3
	s_cmp_eq_u32 s61, s63
	v_sub_u32_e32 v1, v1, v4
	v_add_u32_e32 v4, v3, v5
	v_mul_lo_u32 v5, v1, s0
	v_mul_lo_u32 v6, v1, s1
	v_lshrrev_b32_e32 v1, s13, v4
	v_mul_lo_u32 v4, v1, s11
	v_mul_hi_u32 v7, s15, v1
	v_sub_u32_e32 v3, v3, v4
	v_add_u32_e32 v4, v1, v7
	v_lshrrev_b32_e32 v4, s28, v4
	v_mul_hi_u32 v8, s30, v4
	v_mul_lo_u32 v9, v4, s14
	v_mul_lo_u32 v7, v3, s2
	;; [unrolled: 1-line block ×3, first 2 shown]
	v_sub_u32_e32 v9, v1, v9
	v_add_u32_e32 v1, v4, v8
	v_lshrrev_b32_e32 v1, s31, v1
	v_mul_lo_u32 v8, v1, s29
	v_mul_lo_u32 v10, v9, s4
	;; [unrolled: 1-line block ×3, first 2 shown]
	v_add3_u32 v0, v5, v0, v7
	v_sub_u32_e32 v4, v4, v8
	v_mul_lo_u32 v8, v4, s6
	v_mul_lo_u32 v4, v4, s7
	v_add3_u32 v2, v6, v2, v3
	v_add3_u32 v0, v10, v0, v8
	;; [unrolled: 1-line block ×3, first 2 shown]
	s_cbranch_scc0 .LBB370_19
	s_branch .LBB370_148
.LBB370_20:
                                        ; implicit-def: $vgpr0
                                        ; implicit-def: $vgpr2
	s_branch .LBB370_28
.LBB370_21:
                                        ; implicit-def: $vgpr0
                                        ; implicit-def: $vgpr2
	s_branch .LBB370_136
.LBB370_22:
                                        ; implicit-def: $vgpr0
                                        ; implicit-def: $vgpr2
	s_branch .LBB370_152
.LBB370_23:
	v_mov_b32_e32 v0, 0
	v_mov_b32_e32 v2, 0
	s_branch .LBB370_27
.LBB370_24:
	v_mov_b32_e32 v0, 0
	v_mov_b32_e32 v2, 0
	;; [unrolled: 1-line block ×3, first 2 shown]
	s_and_b32 s6, s27, 3
	s_cmp_eq_u32 s6, 0
	s_cbranch_scc1 .LBB370_27
.LBB370_25:
	s_lshl_b32 s2, s26, 3
	s_add_u32 s2, s34, s2
	s_addc_u32 s3, s35, 0
	s_add_u32 s2, s2, 0xc4
	s_addc_u32 s3, s3, 0
	s_mul_i32 s4, s26, 12
	s_add_u32 s4, s34, s4
	s_addc_u32 s5, s35, 0
.LBB370_26:                             ; =>This Inner Loop Header: Depth=1
	s_load_dwordx2 s[8:9], s[4:5], 0x4
	s_load_dword s7, s[4:5], 0xc
	s_load_dwordx2 s[10:11], s[2:3], 0x0
	s_add_u32 s4, s4, 12
	s_addc_u32 s5, s5, 0
	s_waitcnt lgkmcnt(0)
	v_mul_hi_u32 v4, s9, v1
	s_add_u32 s2, s2, 8
	s_addc_u32 s3, s3, 0
	s_add_i32 s6, s6, -1
	v_add_u32_e32 v4, v1, v4
	v_lshrrev_b32_e32 v4, s7, v4
	v_mul_lo_u32 v5, v4, s8
	s_cmp_lg_u32 s6, 0
	v_sub_u32_e32 v5, v1, v5
	v_mad_u64_u32 v[0:1], s[8:9], v5, s10, v[0:1]
	v_mad_u64_u32 v[2:3], s[8:9], v5, s11, v[2:3]
	v_mov_b32_e32 v1, v4
	s_cbranch_scc1 .LBB370_26
.LBB370_27:
	s_cbranch_execnz .LBB370_30
.LBB370_28:
	s_load_dwordx4 s[4:7], s[34:35], 0x4
	s_load_dwordx2 s[2:3], s[34:35], 0xc4
	s_cmp_lt_u32 s33, 2
	s_waitcnt lgkmcnt(0)
	v_mul_hi_u32 v0, s5, v19
	v_add_u32_e32 v0, v19, v0
	v_lshrrev_b32_e32 v1, s6, v0
	v_mul_lo_u32 v0, v1, s4
	v_sub_u32_e32 v2, v19, v0
	v_mul_lo_u32 v0, v2, s2
	v_mul_lo_u32 v2, v2, s3
	s_cbranch_scc1 .LBB370_30
; %bb.29:
	s_load_dwordx4 s[4:7], s[34:35], 0x10
	s_load_dwordx2 s[2:3], s[34:35], 0xcc
	s_waitcnt lgkmcnt(0)
	v_mul_hi_u32 v3, s5, v1
	v_add_u32_e32 v3, v1, v3
	v_lshrrev_b32_e32 v3, s6, v3
	v_mul_lo_u32 v3, v3, s4
	v_sub_u32_e32 v3, v1, v3
	v_mad_u64_u32 v[0:1], s[4:5], v3, s2, v[0:1]
	v_mad_u64_u32 v[2:3], s[2:3], v3, s3, v[2:3]
.LBB370_30:
	s_and_b64 vcc, exec, s[0:1]
	v_add_u32_e32 v1, 0x80, v19
	s_cbranch_vccnz .LBB370_36
; %bb.31:
	s_cmp_lg_u32 s33, 0
	s_mov_b32 s26, 0
	s_cbranch_scc0 .LBB370_37
; %bb.32:
	s_min_u32 s27, s58, 15
	s_add_i32 s27, s27, 1
	s_cmp_eq_u32 s58, 2
	s_cbranch_scc1 .LBB370_38
; %bb.33:
	s_and_b32 s26, s27, 28
	s_add_u32 s2, s34, 0xc4
	s_addc_u32 s3, s35, 0
	v_mov_b32_e32 v5, 0
	s_mov_b32 s28, 0
	s_mov_b64 s[24:25], s[34:35]
	v_mov_b32_e32 v3, 0
	v_mov_b32_e32 v4, v1
.LBB370_34:                             ; =>This Inner Loop Header: Depth=1
	s_load_dwordx8 s[12:19], s[24:25], 0x4
	s_load_dwordx4 s[20:23], s[24:25], 0x24
	s_load_dwordx8 s[4:11], s[2:3], 0x0
	s_add_u32 s24, s24, 48
	s_addc_u32 s25, s25, 0
	s_waitcnt lgkmcnt(0)
	v_mul_hi_u32 v6, s13, v4
	s_add_i32 s28, s28, 4
	s_add_u32 s2, s2, 32
	s_addc_u32 s3, s3, 0
	v_add_u32_e32 v6, v4, v6
	v_lshrrev_b32_e32 v6, s14, v6
	v_mul_lo_u32 v7, v6, s12
	v_mul_hi_u32 v8, s16, v6
	s_cmp_lg_u32 s26, s28
	v_sub_u32_e32 v4, v4, v7
	v_add_u32_e32 v7, v6, v8
	v_mul_lo_u32 v8, v4, s4
	v_mul_lo_u32 v9, v4, s5
	v_lshrrev_b32_e32 v4, s17, v7
	v_mul_lo_u32 v7, v4, s15
	v_mul_hi_u32 v10, s19, v4
	v_sub_u32_e32 v6, v6, v7
	v_add_u32_e32 v7, v4, v10
	v_lshrrev_b32_e32 v7, s20, v7
	v_mul_hi_u32 v11, s22, v7
	v_mul_lo_u32 v12, v7, s18
	v_mul_lo_u32 v10, v6, s6
	v_mul_lo_u32 v6, v6, s7
	v_sub_u32_e32 v12, v4, v12
	v_add_u32_e32 v4, v7, v11
	v_lshrrev_b32_e32 v4, s23, v4
	v_mul_lo_u32 v11, v4, s21
	v_mul_lo_u32 v13, v12, s8
	;; [unrolled: 1-line block ×3, first 2 shown]
	v_add3_u32 v3, v8, v3, v10
	v_sub_u32_e32 v7, v7, v11
	v_mul_lo_u32 v11, v7, s10
	v_mul_lo_u32 v7, v7, s11
	v_add3_u32 v5, v9, v5, v6
	v_add3_u32 v3, v13, v3, v11
	;; [unrolled: 1-line block ×3, first 2 shown]
	s_cbranch_scc1 .LBB370_34
; %bb.35:
	s_and_b32 s6, s27, 3
	s_cmp_eq_u32 s6, 0
	s_cbranch_scc0 .LBB370_39
	s_branch .LBB370_41
.LBB370_36:
                                        ; implicit-def: $vgpr3
                                        ; implicit-def: $vgpr5
	s_branch .LBB370_42
.LBB370_37:
	v_mov_b32_e32 v3, 0
	v_mov_b32_e32 v5, 0
	s_branch .LBB370_41
.LBB370_38:
	v_mov_b32_e32 v3, 0
	v_mov_b32_e32 v5, 0
	;; [unrolled: 1-line block ×3, first 2 shown]
	s_and_b32 s6, s27, 3
	s_cmp_eq_u32 s6, 0
	s_cbranch_scc1 .LBB370_41
.LBB370_39:
	s_lshl_b32 s2, s26, 3
	s_add_u32 s2, s34, s2
	s_addc_u32 s3, s35, 0
	s_add_u32 s2, s2, 0xc4
	s_addc_u32 s3, s3, 0
	s_mul_i32 s4, s26, 12
	s_add_u32 s4, s34, s4
	s_addc_u32 s5, s35, 0
.LBB370_40:                             ; =>This Inner Loop Header: Depth=1
	s_load_dwordx2 s[8:9], s[4:5], 0x4
	s_load_dword s7, s[4:5], 0xc
	s_load_dwordx2 s[10:11], s[2:3], 0x0
	s_add_u32 s4, s4, 12
	s_addc_u32 s5, s5, 0
	s_waitcnt lgkmcnt(0)
	v_mul_hi_u32 v7, s9, v4
	s_add_u32 s2, s2, 8
	s_addc_u32 s3, s3, 0
	s_add_i32 s6, s6, -1
	v_add_u32_e32 v7, v4, v7
	v_lshrrev_b32_e32 v7, s7, v7
	v_mul_lo_u32 v8, v7, s8
	s_cmp_lg_u32 s6, 0
	v_sub_u32_e32 v8, v4, v8
	v_mad_u64_u32 v[3:4], s[8:9], v8, s10, v[3:4]
	v_mad_u64_u32 v[5:6], s[8:9], v8, s11, v[5:6]
	v_mov_b32_e32 v4, v7
	s_cbranch_scc1 .LBB370_40
.LBB370_41:
	s_cbranch_execnz .LBB370_44
.LBB370_42:
	s_load_dwordx4 s[4:7], s[34:35], 0x4
	s_load_dwordx2 s[2:3], s[34:35], 0xc4
	s_cmp_lt_u32 s33, 2
	s_waitcnt lgkmcnt(0)
	v_mul_hi_u32 v3, s5, v1
	v_add_u32_e32 v3, v1, v3
	v_lshrrev_b32_e32 v4, s6, v3
	v_mul_lo_u32 v3, v4, s4
	v_sub_u32_e32 v1, v1, v3
	v_mul_lo_u32 v3, v1, s2
	v_mul_lo_u32 v5, v1, s3
	s_cbranch_scc1 .LBB370_44
; %bb.43:
	s_load_dwordx4 s[4:7], s[34:35], 0x10
	s_load_dwordx2 s[2:3], s[34:35], 0xcc
	s_waitcnt lgkmcnt(0)
	v_mul_hi_u32 v1, s5, v4
	v_add_u32_e32 v1, v4, v1
	v_lshrrev_b32_e32 v1, s6, v1
	v_mul_lo_u32 v1, v1, s4
	v_sub_u32_e32 v1, v4, v1
	v_mad_u64_u32 v[3:4], s[4:5], v1, s2, v[3:4]
	v_mad_u64_u32 v[5:6], s[2:3], v1, s3, v[5:6]
.LBB370_44:
	s_and_b64 vcc, exec, s[0:1]
	v_add_u32_e32 v1, 0x100, v19
	s_cbranch_vccnz .LBB370_50
; %bb.45:
	s_cmp_lg_u32 s33, 0
	s_mov_b32 s26, 0
	s_cbranch_scc0 .LBB370_51
; %bb.46:
	s_min_u32 s27, s58, 15
	s_add_i32 s27, s27, 1
	s_cmp_eq_u32 s58, 2
	s_cbranch_scc1 .LBB370_52
; %bb.47:
	s_and_b32 s26, s27, 28
	s_add_u32 s2, s34, 0xc4
	s_addc_u32 s3, s35, 0
	v_mov_b32_e32 v8, 0
	s_mov_b32 s28, 0
	s_mov_b64 s[24:25], s[34:35]
	v_mov_b32_e32 v6, 0
	v_mov_b32_e32 v4, v1
.LBB370_48:                             ; =>This Inner Loop Header: Depth=1
	s_load_dwordx8 s[12:19], s[24:25], 0x4
	s_load_dwordx4 s[20:23], s[24:25], 0x24
	s_load_dwordx8 s[4:11], s[2:3], 0x0
	s_add_u32 s24, s24, 48
	s_addc_u32 s25, s25, 0
	s_waitcnt lgkmcnt(0)
	v_mul_hi_u32 v7, s13, v4
	s_add_i32 s28, s28, 4
	s_add_u32 s2, s2, 32
	s_addc_u32 s3, s3, 0
	v_add_u32_e32 v7, v4, v7
	v_lshrrev_b32_e32 v7, s14, v7
	v_mul_lo_u32 v9, v7, s12
	v_mul_hi_u32 v10, s16, v7
	s_cmp_lg_u32 s26, s28
	v_sub_u32_e32 v4, v4, v9
	v_add_u32_e32 v9, v7, v10
	v_mul_lo_u32 v10, v4, s4
	v_mul_lo_u32 v11, v4, s5
	v_lshrrev_b32_e32 v4, s17, v9
	v_mul_lo_u32 v9, v4, s15
	v_mul_hi_u32 v12, s19, v4
	v_sub_u32_e32 v7, v7, v9
	v_add_u32_e32 v9, v4, v12
	v_lshrrev_b32_e32 v9, s20, v9
	v_mul_hi_u32 v13, s22, v9
	v_mul_lo_u32 v14, v9, s18
	v_mul_lo_u32 v12, v7, s6
	;; [unrolled: 1-line block ×3, first 2 shown]
	v_sub_u32_e32 v14, v4, v14
	v_add_u32_e32 v4, v9, v13
	v_lshrrev_b32_e32 v4, s23, v4
	v_mul_lo_u32 v13, v4, s21
	v_mul_lo_u32 v15, v14, s8
	;; [unrolled: 1-line block ×3, first 2 shown]
	v_add3_u32 v6, v10, v6, v12
	v_sub_u32_e32 v9, v9, v13
	v_mul_lo_u32 v13, v9, s10
	v_mul_lo_u32 v9, v9, s11
	v_add3_u32 v7, v11, v8, v7
	v_add3_u32 v6, v15, v6, v13
	;; [unrolled: 1-line block ×3, first 2 shown]
	s_cbranch_scc1 .LBB370_48
; %bb.49:
	s_and_b32 s6, s27, 3
	s_cmp_eq_u32 s6, 0
	s_cbranch_scc0 .LBB370_53
	s_branch .LBB370_55
.LBB370_50:
                                        ; implicit-def: $vgpr6
                                        ; implicit-def: $vgpr8
	s_branch .LBB370_56
.LBB370_51:
	v_mov_b32_e32 v6, 0
	v_mov_b32_e32 v8, 0
	s_branch .LBB370_55
.LBB370_52:
	v_mov_b32_e32 v6, 0
	v_mov_b32_e32 v8, 0
	;; [unrolled: 1-line block ×3, first 2 shown]
	s_and_b32 s6, s27, 3
	s_cmp_eq_u32 s6, 0
	s_cbranch_scc1 .LBB370_55
.LBB370_53:
	s_lshl_b32 s2, s26, 3
	s_add_u32 s2, s34, s2
	s_addc_u32 s3, s35, 0
	s_add_u32 s2, s2, 0xc4
	s_addc_u32 s3, s3, 0
	s_mul_i32 s4, s26, 12
	s_add_u32 s4, s34, s4
	s_addc_u32 s5, s35, 0
.LBB370_54:                             ; =>This Inner Loop Header: Depth=1
	s_load_dwordx2 s[8:9], s[4:5], 0x4
	s_load_dword s7, s[4:5], 0xc
	s_load_dwordx2 s[10:11], s[2:3], 0x0
	s_add_u32 s4, s4, 12
	s_addc_u32 s5, s5, 0
	s_waitcnt lgkmcnt(0)
	v_mul_hi_u32 v7, s9, v4
	s_add_u32 s2, s2, 8
	s_addc_u32 s3, s3, 0
	s_add_i32 s6, s6, -1
	v_add_u32_e32 v7, v4, v7
	v_lshrrev_b32_e32 v10, s7, v7
	v_mul_lo_u32 v7, v10, s8
	s_cmp_lg_u32 s6, 0
	v_sub_u32_e32 v4, v4, v7
	v_mad_u64_u32 v[6:7], s[8:9], v4, s10, v[6:7]
	v_mad_u64_u32 v[8:9], s[8:9], v4, s11, v[8:9]
	v_mov_b32_e32 v4, v10
	s_cbranch_scc1 .LBB370_54
.LBB370_55:
	s_cbranch_execnz .LBB370_58
.LBB370_56:
	s_load_dwordx4 s[4:7], s[34:35], 0x4
	s_load_dwordx2 s[2:3], s[34:35], 0xc4
	s_cmp_lt_u32 s33, 2
	s_waitcnt lgkmcnt(0)
	v_mul_hi_u32 v4, s5, v1
	v_add_u32_e32 v4, v1, v4
	v_lshrrev_b32_e32 v4, s6, v4
	v_mul_lo_u32 v6, v4, s4
	v_sub_u32_e32 v1, v1, v6
	v_mul_lo_u32 v6, v1, s2
	v_mul_lo_u32 v8, v1, s3
	s_cbranch_scc1 .LBB370_58
; %bb.57:
	s_load_dwordx4 s[4:7], s[34:35], 0x10
	s_load_dwordx2 s[2:3], s[34:35], 0xcc
	s_waitcnt lgkmcnt(0)
	v_mul_hi_u32 v1, s5, v4
	v_add_u32_e32 v1, v4, v1
	v_lshrrev_b32_e32 v1, s6, v1
	v_mul_lo_u32 v1, v1, s4
	v_sub_u32_e32 v1, v4, v1
	v_mad_u64_u32 v[6:7], s[4:5], v1, s2, v[6:7]
	v_mad_u64_u32 v[8:9], s[2:3], v1, s3, v[8:9]
.LBB370_58:
	s_and_b64 vcc, exec, s[0:1]
	v_add_u32_e32 v1, 0x180, v19
	s_cbranch_vccnz .LBB370_64
; %bb.59:
	s_cmp_lg_u32 s33, 0
	s_mov_b32 s26, 0
	s_cbranch_scc0 .LBB370_65
; %bb.60:
	s_min_u32 s27, s58, 15
	s_add_i32 s27, s27, 1
	s_cmp_eq_u32 s58, 2
	s_cbranch_scc1 .LBB370_66
; %bb.61:
	s_and_b32 s26, s27, 28
	s_add_u32 s2, s34, 0xc4
	s_addc_u32 s3, s35, 0
	v_mov_b32_e32 v11, 0
	s_mov_b32 s28, 0
	s_mov_b64 s[24:25], s[34:35]
	v_mov_b32_e32 v9, 0
	v_mov_b32_e32 v4, v1
.LBB370_62:                             ; =>This Inner Loop Header: Depth=1
	s_load_dwordx8 s[12:19], s[24:25], 0x4
	s_load_dwordx4 s[20:23], s[24:25], 0x24
	s_load_dwordx8 s[4:11], s[2:3], 0x0
	s_add_u32 s24, s24, 48
	s_addc_u32 s25, s25, 0
	s_waitcnt lgkmcnt(0)
	v_mul_hi_u32 v7, s13, v4
	s_add_i32 s28, s28, 4
	s_add_u32 s2, s2, 32
	s_addc_u32 s3, s3, 0
	v_add_u32_e32 v7, v4, v7
	v_lshrrev_b32_e32 v7, s14, v7
	v_mul_lo_u32 v10, v7, s12
	v_mul_hi_u32 v12, s16, v7
	s_cmp_lg_u32 s26, s28
	v_sub_u32_e32 v4, v4, v10
	v_add_u32_e32 v10, v7, v12
	v_mul_lo_u32 v12, v4, s4
	v_mul_lo_u32 v13, v4, s5
	v_lshrrev_b32_e32 v4, s17, v10
	v_mul_lo_u32 v10, v4, s15
	v_mul_hi_u32 v14, s19, v4
	v_sub_u32_e32 v7, v7, v10
	v_add_u32_e32 v10, v4, v14
	v_lshrrev_b32_e32 v10, s20, v10
	v_mul_hi_u32 v15, s22, v10
	v_mul_lo_u32 v16, v10, s18
	v_mul_lo_u32 v14, v7, s6
	;; [unrolled: 1-line block ×3, first 2 shown]
	v_sub_u32_e32 v16, v4, v16
	v_add_u32_e32 v4, v10, v15
	v_lshrrev_b32_e32 v4, s23, v4
	v_mul_lo_u32 v15, v4, s21
	v_mul_lo_u32 v17, v16, s8
	v_mul_lo_u32 v16, v16, s9
	v_add3_u32 v9, v12, v9, v14
	v_sub_u32_e32 v10, v10, v15
	v_mul_lo_u32 v15, v10, s10
	v_mul_lo_u32 v10, v10, s11
	v_add3_u32 v7, v13, v11, v7
	v_add3_u32 v9, v17, v9, v15
	;; [unrolled: 1-line block ×3, first 2 shown]
	s_cbranch_scc1 .LBB370_62
; %bb.63:
	s_and_b32 s6, s27, 3
	s_cmp_eq_u32 s6, 0
	s_cbranch_scc0 .LBB370_67
	s_branch .LBB370_69
.LBB370_64:
                                        ; implicit-def: $vgpr9
                                        ; implicit-def: $vgpr11
	s_branch .LBB370_70
.LBB370_65:
	v_mov_b32_e32 v9, 0
	v_mov_b32_e32 v11, 0
	s_branch .LBB370_69
.LBB370_66:
	v_mov_b32_e32 v9, 0
	v_mov_b32_e32 v11, 0
	;; [unrolled: 1-line block ×3, first 2 shown]
	s_and_b32 s6, s27, 3
	s_cmp_eq_u32 s6, 0
	s_cbranch_scc1 .LBB370_69
.LBB370_67:
	s_lshl_b32 s2, s26, 3
	s_add_u32 s2, s34, s2
	s_addc_u32 s3, s35, 0
	s_add_u32 s2, s2, 0xc4
	s_addc_u32 s3, s3, 0
	s_mul_i32 s4, s26, 12
	s_add_u32 s4, s34, s4
	s_addc_u32 s5, s35, 0
.LBB370_68:                             ; =>This Inner Loop Header: Depth=1
	s_load_dwordx2 s[8:9], s[4:5], 0x4
	s_load_dword s7, s[4:5], 0xc
	s_load_dwordx2 s[10:11], s[2:3], 0x0
	s_add_u32 s4, s4, 12
	s_addc_u32 s5, s5, 0
	s_waitcnt lgkmcnt(0)
	v_mul_hi_u32 v7, s9, v4
	s_add_u32 s2, s2, 8
	s_addc_u32 s3, s3, 0
	s_add_i32 s6, s6, -1
	v_add_u32_e32 v7, v4, v7
	v_lshrrev_b32_e32 v7, s7, v7
	v_mul_lo_u32 v10, v7, s8
	s_cmp_lg_u32 s6, 0
	v_sub_u32_e32 v4, v4, v10
	v_mad_u64_u32 v[9:10], s[8:9], v4, s10, v[9:10]
	v_mad_u64_u32 v[11:12], s[8:9], v4, s11, v[11:12]
	v_mov_b32_e32 v4, v7
	s_cbranch_scc1 .LBB370_68
.LBB370_69:
	s_cbranch_execnz .LBB370_72
.LBB370_70:
	s_load_dwordx4 s[4:7], s[34:35], 0x4
	s_load_dwordx2 s[2:3], s[34:35], 0xc4
	s_cmp_lt_u32 s33, 2
	s_waitcnt lgkmcnt(0)
	v_mul_hi_u32 v4, s5, v1
	v_add_u32_e32 v4, v1, v4
	v_lshrrev_b32_e32 v4, s6, v4
	v_mul_lo_u32 v7, v4, s4
	v_sub_u32_e32 v1, v1, v7
	v_mul_lo_u32 v9, v1, s2
	v_mul_lo_u32 v11, v1, s3
	s_cbranch_scc1 .LBB370_72
; %bb.71:
	s_load_dwordx4 s[4:7], s[34:35], 0x10
	s_load_dwordx2 s[2:3], s[34:35], 0xcc
	s_waitcnt lgkmcnt(0)
	v_mul_hi_u32 v1, s5, v4
	v_add_u32_e32 v1, v4, v1
	v_lshrrev_b32_e32 v1, s6, v1
	v_mul_lo_u32 v1, v1, s4
	v_sub_u32_e32 v1, v4, v1
	v_mad_u64_u32 v[9:10], s[4:5], v1, s2, v[9:10]
	v_mad_u64_u32 v[11:12], s[2:3], v1, s3, v[11:12]
.LBB370_72:
	s_and_b64 vcc, exec, s[0:1]
	v_add_u32_e32 v1, 0x200, v19
	s_cbranch_vccnz .LBB370_78
; %bb.73:
	s_cmp_lg_u32 s33, 0
	s_mov_b32 s26, 0
	s_cbranch_scc0 .LBB370_79
; %bb.74:
	s_min_u32 s27, s58, 15
	s_add_i32 s27, s27, 1
	s_cmp_eq_u32 s58, 2
	s_cbranch_scc1 .LBB370_80
; %bb.75:
	s_and_b32 s26, s27, 28
	s_add_u32 s2, s34, 0xc4
	s_addc_u32 s3, s35, 0
	v_mov_b32_e32 v14, 0
	s_mov_b32 s28, 0
	s_mov_b64 s[24:25], s[34:35]
	v_mov_b32_e32 v12, 0
	v_mov_b32_e32 v4, v1
.LBB370_76:                             ; =>This Inner Loop Header: Depth=1
	s_load_dwordx8 s[12:19], s[24:25], 0x4
	s_load_dwordx4 s[20:23], s[24:25], 0x24
	s_load_dwordx8 s[4:11], s[2:3], 0x0
	s_add_u32 s24, s24, 48
	s_addc_u32 s25, s25, 0
	s_waitcnt lgkmcnt(0)
	v_mul_hi_u32 v7, s13, v4
	s_add_i32 s28, s28, 4
	s_add_u32 s2, s2, 32
	s_addc_u32 s3, s3, 0
	v_add_u32_e32 v7, v4, v7
	v_lshrrev_b32_e32 v7, s14, v7
	v_mul_lo_u32 v10, v7, s12
	v_mul_hi_u32 v13, s16, v7
	s_cmp_lg_u32 s26, s28
	v_sub_u32_e32 v4, v4, v10
	v_add_u32_e32 v10, v7, v13
	v_mul_lo_u32 v13, v4, s4
	v_mul_lo_u32 v15, v4, s5
	v_lshrrev_b32_e32 v4, s17, v10
	v_mul_lo_u32 v10, v4, s15
	v_mul_hi_u32 v16, s19, v4
	v_sub_u32_e32 v7, v7, v10
	v_add_u32_e32 v10, v4, v16
	v_lshrrev_b32_e32 v10, s20, v10
	v_mul_hi_u32 v17, s22, v10
	v_mul_lo_u32 v18, v10, s18
	v_mul_lo_u32 v16, v7, s6
	;; [unrolled: 1-line block ×3, first 2 shown]
	v_sub_u32_e32 v18, v4, v18
	v_add_u32_e32 v4, v10, v17
	v_lshrrev_b32_e32 v4, s23, v4
	v_mul_lo_u32 v17, v4, s21
	v_mul_lo_u32 v20, v18, s8
	;; [unrolled: 1-line block ×3, first 2 shown]
	v_add3_u32 v12, v13, v12, v16
	v_sub_u32_e32 v10, v10, v17
	v_mul_lo_u32 v17, v10, s10
	v_mul_lo_u32 v10, v10, s11
	v_add3_u32 v7, v15, v14, v7
	v_add3_u32 v12, v20, v12, v17
	;; [unrolled: 1-line block ×3, first 2 shown]
	s_cbranch_scc1 .LBB370_76
; %bb.77:
	s_and_b32 s6, s27, 3
	s_cmp_eq_u32 s6, 0
	s_cbranch_scc0 .LBB370_81
	s_branch .LBB370_83
.LBB370_78:
                                        ; implicit-def: $vgpr12
                                        ; implicit-def: $vgpr14
	s_branch .LBB370_84
.LBB370_79:
	v_mov_b32_e32 v12, 0
	v_mov_b32_e32 v14, 0
	s_branch .LBB370_83
.LBB370_80:
	v_mov_b32_e32 v12, 0
	v_mov_b32_e32 v14, 0
	;; [unrolled: 1-line block ×3, first 2 shown]
	s_and_b32 s6, s27, 3
	s_cmp_eq_u32 s6, 0
	s_cbranch_scc1 .LBB370_83
.LBB370_81:
	s_lshl_b32 s2, s26, 3
	s_add_u32 s2, s34, s2
	s_addc_u32 s3, s35, 0
	s_add_u32 s2, s2, 0xc4
	s_addc_u32 s3, s3, 0
	s_mul_i32 s4, s26, 12
	s_add_u32 s4, s34, s4
	s_addc_u32 s5, s35, 0
.LBB370_82:                             ; =>This Inner Loop Header: Depth=1
	s_load_dwordx2 s[8:9], s[4:5], 0x4
	s_load_dword s7, s[4:5], 0xc
	s_load_dwordx2 s[10:11], s[2:3], 0x0
	s_add_u32 s4, s4, 12
	s_addc_u32 s5, s5, 0
	s_waitcnt lgkmcnt(0)
	v_mul_hi_u32 v7, s9, v4
	s_add_u32 s2, s2, 8
	s_addc_u32 s3, s3, 0
	s_add_i32 s6, s6, -1
	v_add_u32_e32 v7, v4, v7
	v_lshrrev_b32_e32 v7, s7, v7
	v_mul_lo_u32 v10, v7, s8
	s_cmp_lg_u32 s6, 0
	v_sub_u32_e32 v4, v4, v10
	v_mad_u64_u32 v[12:13], s[8:9], v4, s10, v[12:13]
	v_mad_u64_u32 v[14:15], s[8:9], v4, s11, v[14:15]
	v_mov_b32_e32 v4, v7
	s_cbranch_scc1 .LBB370_82
.LBB370_83:
	s_cbranch_execnz .LBB370_86
.LBB370_84:
	s_load_dwordx4 s[4:7], s[34:35], 0x4
	s_load_dwordx2 s[2:3], s[34:35], 0xc4
	s_cmp_lt_u32 s33, 2
	s_waitcnt lgkmcnt(0)
	v_mul_hi_u32 v4, s5, v1
	v_add_u32_e32 v4, v1, v4
	v_lshrrev_b32_e32 v4, s6, v4
	v_mul_lo_u32 v7, v4, s4
	v_sub_u32_e32 v1, v1, v7
	v_mul_lo_u32 v12, v1, s2
	v_mul_lo_u32 v14, v1, s3
	s_cbranch_scc1 .LBB370_86
; %bb.85:
	s_load_dwordx4 s[4:7], s[34:35], 0x10
	s_load_dwordx2 s[2:3], s[34:35], 0xcc
	s_waitcnt lgkmcnt(0)
	v_mul_hi_u32 v1, s5, v4
	v_add_u32_e32 v1, v4, v1
	v_lshrrev_b32_e32 v1, s6, v1
	v_mul_lo_u32 v1, v1, s4
	v_sub_u32_e32 v1, v4, v1
	v_mad_u64_u32 v[12:13], s[4:5], v1, s2, v[12:13]
	v_mad_u64_u32 v[14:15], s[2:3], v1, s3, v[14:15]
.LBB370_86:
	s_and_b64 vcc, exec, s[0:1]
	v_add_u32_e32 v1, 0x280, v19
	s_cbranch_vccnz .LBB370_92
; %bb.87:
	s_cmp_lg_u32 s33, 0
	s_mov_b32 s26, 0
	s_cbranch_scc0 .LBB370_93
; %bb.88:
	s_min_u32 s27, s58, 15
	s_add_i32 s27, s27, 1
	s_cmp_eq_u32 s58, 2
	s_cbranch_scc1 .LBB370_94
; %bb.89:
	s_and_b32 s26, s27, 28
	s_add_u32 s2, s34, 0xc4
	s_addc_u32 s3, s35, 0
	v_mov_b32_e32 v17, 0
	s_mov_b32 s28, 0
	s_mov_b64 s[24:25], s[34:35]
	v_mov_b32_e32 v15, 0
	v_mov_b32_e32 v4, v1
.LBB370_90:                             ; =>This Inner Loop Header: Depth=1
	s_load_dwordx8 s[12:19], s[24:25], 0x4
	s_load_dwordx4 s[20:23], s[24:25], 0x24
	s_load_dwordx8 s[4:11], s[2:3], 0x0
	s_add_u32 s24, s24, 48
	s_addc_u32 s25, s25, 0
	s_waitcnt lgkmcnt(0)
	v_mul_hi_u32 v7, s13, v4
	s_add_i32 s28, s28, 4
	s_add_u32 s2, s2, 32
	s_addc_u32 s3, s3, 0
	v_add_u32_e32 v7, v4, v7
	v_lshrrev_b32_e32 v7, s14, v7
	v_mul_lo_u32 v10, v7, s12
	v_mul_hi_u32 v13, s16, v7
	s_cmp_lg_u32 s26, s28
	v_sub_u32_e32 v4, v4, v10
	v_add_u32_e32 v10, v7, v13
	v_mul_lo_u32 v13, v4, s4
	v_mul_lo_u32 v16, v4, s5
	v_lshrrev_b32_e32 v4, s17, v10
	v_mul_lo_u32 v10, v4, s15
	v_mul_hi_u32 v18, s19, v4
	v_sub_u32_e32 v7, v7, v10
	v_add_u32_e32 v10, v4, v18
	v_lshrrev_b32_e32 v10, s20, v10
	v_mul_hi_u32 v20, s22, v10
	v_mul_lo_u32 v21, v10, s18
	v_mul_lo_u32 v18, v7, s6
	;; [unrolled: 1-line block ×3, first 2 shown]
	v_sub_u32_e32 v21, v4, v21
	v_add_u32_e32 v4, v10, v20
	v_lshrrev_b32_e32 v4, s23, v4
	v_mul_lo_u32 v20, v4, s21
	v_mul_lo_u32 v22, v21, s8
	;; [unrolled: 1-line block ×3, first 2 shown]
	v_add3_u32 v13, v13, v15, v18
	v_sub_u32_e32 v10, v10, v20
	v_mul_lo_u32 v20, v10, s10
	v_mul_lo_u32 v10, v10, s11
	v_add3_u32 v7, v16, v17, v7
	v_add3_u32 v15, v22, v13, v20
	;; [unrolled: 1-line block ×3, first 2 shown]
	s_cbranch_scc1 .LBB370_90
; %bb.91:
	s_and_b32 s6, s27, 3
	s_cmp_eq_u32 s6, 0
	s_cbranch_scc0 .LBB370_95
	s_branch .LBB370_97
.LBB370_92:
                                        ; implicit-def: $vgpr15
                                        ; implicit-def: $vgpr17
	s_branch .LBB370_98
.LBB370_93:
	v_mov_b32_e32 v15, 0
	v_mov_b32_e32 v17, 0
	s_branch .LBB370_97
.LBB370_94:
	v_mov_b32_e32 v15, 0
	v_mov_b32_e32 v17, 0
	;; [unrolled: 1-line block ×3, first 2 shown]
	s_and_b32 s6, s27, 3
	s_cmp_eq_u32 s6, 0
	s_cbranch_scc1 .LBB370_97
.LBB370_95:
	s_lshl_b32 s2, s26, 3
	s_add_u32 s2, s34, s2
	s_addc_u32 s3, s35, 0
	s_add_u32 s2, s2, 0xc4
	s_addc_u32 s3, s3, 0
	s_mul_i32 s4, s26, 12
	s_add_u32 s4, s34, s4
	s_addc_u32 s5, s35, 0
.LBB370_96:                             ; =>This Inner Loop Header: Depth=1
	s_load_dwordx2 s[8:9], s[4:5], 0x4
	s_load_dword s7, s[4:5], 0xc
	s_load_dwordx2 s[10:11], s[2:3], 0x0
	s_add_u32 s4, s4, 12
	s_addc_u32 s5, s5, 0
	s_waitcnt lgkmcnt(0)
	v_mul_hi_u32 v7, s9, v4
	s_add_u32 s2, s2, 8
	s_addc_u32 s3, s3, 0
	s_add_i32 s6, s6, -1
	v_add_u32_e32 v7, v4, v7
	v_lshrrev_b32_e32 v7, s7, v7
	v_mul_lo_u32 v10, v7, s8
	s_cmp_lg_u32 s6, 0
	v_sub_u32_e32 v4, v4, v10
	v_mad_u64_u32 v[15:16], s[8:9], v4, s10, v[15:16]
	v_mad_u64_u32 v[17:18], s[8:9], v4, s11, v[17:18]
	v_mov_b32_e32 v4, v7
	s_cbranch_scc1 .LBB370_96
.LBB370_97:
	s_cbranch_execnz .LBB370_100
.LBB370_98:
	s_load_dwordx4 s[4:7], s[34:35], 0x4
	s_load_dwordx2 s[2:3], s[34:35], 0xc4
	s_cmp_lt_u32 s33, 2
	s_waitcnt lgkmcnt(0)
	v_mul_hi_u32 v4, s5, v1
	v_add_u32_e32 v4, v1, v4
	v_lshrrev_b32_e32 v4, s6, v4
	v_mul_lo_u32 v7, v4, s4
	v_sub_u32_e32 v1, v1, v7
	v_mul_lo_u32 v15, v1, s2
	v_mul_lo_u32 v17, v1, s3
	s_cbranch_scc1 .LBB370_100
; %bb.99:
	s_load_dwordx4 s[4:7], s[34:35], 0x10
	s_load_dwordx2 s[2:3], s[34:35], 0xcc
	s_waitcnt lgkmcnt(0)
	v_mul_hi_u32 v1, s5, v4
	v_add_u32_e32 v1, v4, v1
	v_lshrrev_b32_e32 v1, s6, v1
	v_mul_lo_u32 v1, v1, s4
	v_sub_u32_e32 v1, v4, v1
	v_mad_u64_u32 v[15:16], s[4:5], v1, s2, v[15:16]
	v_mad_u64_u32 v[17:18], s[2:3], v1, s3, v[17:18]
.LBB370_100:
	s_and_b64 vcc, exec, s[0:1]
	v_add_u32_e32 v1, 0x300, v19
	s_cbranch_vccnz .LBB370_106
; %bb.101:
	s_cmp_lg_u32 s33, 0
	s_mov_b32 s26, 0
	s_cbranch_scc0 .LBB370_107
; %bb.102:
	s_min_u32 s27, s58, 15
	s_add_i32 s27, s27, 1
	s_cmp_eq_u32 s58, 2
	s_cbranch_scc1 .LBB370_108
; %bb.103:
	s_and_b32 s26, s27, 28
	s_add_u32 s2, s34, 0xc4
	s_addc_u32 s3, s35, 0
	v_mov_b32_e32 v20, 0
	s_mov_b32 s28, 0
	s_mov_b64 s[24:25], s[34:35]
	v_mov_b32_e32 v18, 0
	v_mov_b32_e32 v4, v1
.LBB370_104:                            ; =>This Inner Loop Header: Depth=1
	s_load_dwordx8 s[12:19], s[24:25], 0x4
	s_load_dwordx4 s[20:23], s[24:25], 0x24
	s_load_dwordx8 s[4:11], s[2:3], 0x0
	s_add_u32 s24, s24, 48
	s_addc_u32 s25, s25, 0
	s_waitcnt lgkmcnt(0)
	v_mul_hi_u32 v7, s13, v4
	s_add_i32 s28, s28, 4
	s_add_u32 s2, s2, 32
	s_addc_u32 s3, s3, 0
	v_add_u32_e32 v7, v4, v7
	v_lshrrev_b32_e32 v7, s14, v7
	v_mul_lo_u32 v10, v7, s12
	v_mul_hi_u32 v13, s16, v7
	s_cmp_lg_u32 s26, s28
	v_sub_u32_e32 v4, v4, v10
	v_add_u32_e32 v10, v7, v13
	v_mul_lo_u32 v13, v4, s4
	v_mul_lo_u32 v16, v4, s5
	v_lshrrev_b32_e32 v4, s17, v10
	v_mul_lo_u32 v10, v4, s15
	v_mul_hi_u32 v19, s19, v4
	v_sub_u32_e32 v7, v7, v10
	v_add_u32_e32 v10, v4, v19
	v_lshrrev_b32_e32 v10, s20, v10
	v_mul_hi_u32 v21, s22, v10
	v_mul_lo_u32 v22, v10, s18
	v_mul_lo_u32 v19, v7, s6
	;; [unrolled: 1-line block ×3, first 2 shown]
	v_sub_u32_e32 v22, v4, v22
	v_add_u32_e32 v4, v10, v21
	v_lshrrev_b32_e32 v4, s23, v4
	v_mul_lo_u32 v21, v4, s21
	v_mul_lo_u32 v23, v22, s8
	;; [unrolled: 1-line block ×3, first 2 shown]
	v_add3_u32 v13, v13, v18, v19
	v_sub_u32_e32 v10, v10, v21
	v_mul_lo_u32 v21, v10, s10
	v_mul_lo_u32 v10, v10, s11
	v_add3_u32 v7, v16, v20, v7
	v_add3_u32 v18, v23, v13, v21
	;; [unrolled: 1-line block ×3, first 2 shown]
	s_cbranch_scc1 .LBB370_104
; %bb.105:
	s_and_b32 s6, s27, 3
	s_cmp_eq_u32 s6, 0
	s_cbranch_scc0 .LBB370_109
	s_branch .LBB370_111
.LBB370_106:
                                        ; implicit-def: $vgpr18
                                        ; implicit-def: $vgpr20
	s_branch .LBB370_112
.LBB370_107:
	v_mov_b32_e32 v18, 0
	v_mov_b32_e32 v20, 0
	s_branch .LBB370_111
.LBB370_108:
	v_mov_b32_e32 v18, 0
	v_mov_b32_e32 v20, 0
	;; [unrolled: 1-line block ×3, first 2 shown]
	s_and_b32 s6, s27, 3
	s_cmp_eq_u32 s6, 0
	s_cbranch_scc1 .LBB370_111
.LBB370_109:
	s_lshl_b32 s2, s26, 3
	s_add_u32 s2, s34, s2
	s_addc_u32 s3, s35, 0
	s_add_u32 s2, s2, 0xc4
	s_addc_u32 s3, s3, 0
	s_mul_i32 s4, s26, 12
	s_add_u32 s4, s34, s4
	s_addc_u32 s5, s35, 0
.LBB370_110:                            ; =>This Inner Loop Header: Depth=1
	s_load_dwordx2 s[8:9], s[4:5], 0x4
	s_load_dword s7, s[4:5], 0xc
	s_load_dwordx2 s[10:11], s[2:3], 0x0
	s_add_u32 s4, s4, 12
	s_addc_u32 s5, s5, 0
	s_waitcnt lgkmcnt(0)
	v_mul_hi_u32 v7, s9, v4
	s_add_u32 s2, s2, 8
	s_addc_u32 s3, s3, 0
	s_add_i32 s6, s6, -1
	v_add_u32_e32 v7, v4, v7
	v_lshrrev_b32_e32 v7, s7, v7
	v_mul_lo_u32 v10, v7, s8
	s_cmp_lg_u32 s6, 0
	v_sub_u32_e32 v4, v4, v10
	v_mad_u64_u32 v[18:19], s[8:9], v4, s10, v[18:19]
	v_mad_u64_u32 v[20:21], s[8:9], v4, s11, v[20:21]
	v_mov_b32_e32 v4, v7
	s_cbranch_scc1 .LBB370_110
.LBB370_111:
	s_cbranch_execnz .LBB370_114
.LBB370_112:
	s_load_dwordx4 s[4:7], s[34:35], 0x4
	s_load_dwordx2 s[2:3], s[34:35], 0xc4
	s_cmp_lt_u32 s33, 2
	s_waitcnt lgkmcnt(0)
	v_mul_hi_u32 v4, s5, v1
	v_add_u32_e32 v4, v1, v4
	v_lshrrev_b32_e32 v4, s6, v4
	v_mul_lo_u32 v7, v4, s4
	v_sub_u32_e32 v1, v1, v7
	v_mul_lo_u32 v18, v1, s2
	v_mul_lo_u32 v20, v1, s3
	s_cbranch_scc1 .LBB370_114
; %bb.113:
	s_load_dwordx4 s[4:7], s[34:35], 0x10
	s_load_dwordx2 s[2:3], s[34:35], 0xcc
	s_waitcnt lgkmcnt(0)
	v_mul_hi_u32 v1, s5, v4
	v_add_u32_e32 v1, v4, v1
	v_lshrrev_b32_e32 v1, s6, v1
	v_mul_lo_u32 v1, v1, s4
	v_sub_u32_e32 v1, v4, v1
	v_mad_u64_u32 v[18:19], s[4:5], v1, s2, v[18:19]
	v_mad_u64_u32 v[20:21], s[2:3], v1, s3, v[20:21]
.LBB370_114:
	s_and_b64 vcc, exec, s[0:1]
	s_cbranch_vccnz .LBB370_120
; %bb.115:
	s_cmp_lg_u32 s33, 0
	s_mov_b32 s24, 0
	s_cbranch_scc0 .LBB370_121
; %bb.116:
	s_min_u32 s25, s58, 15
	s_add_i32 s25, s25, 1
	s_cmp_eq_u32 s58, 2
	s_cbranch_scc1 .LBB370_122
; %bb.117:
	s_and_b32 s24, s25, 28
	s_add_u32 s20, s34, 0xc4
	s_addc_u32 s21, s35, 0
	v_mov_b32_e32 v23, 0
	s_mov_b32 s26, 0
	s_mov_b64 s[22:23], s[34:35]
	v_mov_b32_e32 v21, 0
	v_mov_b32_e32 v1, v25
.LBB370_118:                            ; =>This Inner Loop Header: Depth=1
	s_load_dwordx8 s[8:15], s[22:23], 0x4
	s_load_dwordx4 s[16:19], s[22:23], 0x24
	s_load_dwordx8 s[0:7], s[20:21], 0x0
	s_add_u32 s22, s22, 48
	s_addc_u32 s23, s23, 0
	s_waitcnt lgkmcnt(0)
	v_mul_hi_u32 v4, s9, v1
	s_add_i32 s26, s26, 4
	s_add_u32 s20, s20, 32
	s_addc_u32 s21, s21, 0
	v_add_u32_e32 v4, v1, v4
	v_lshrrev_b32_e32 v4, s10, v4
	v_mul_lo_u32 v7, v4, s8
	v_mul_hi_u32 v10, s12, v4
	s_cmp_lg_u32 s24, s26
	v_sub_u32_e32 v1, v1, v7
	v_add_u32_e32 v7, v4, v10
	v_mul_lo_u32 v10, v1, s0
	v_mul_lo_u32 v13, v1, s1
	v_lshrrev_b32_e32 v1, s13, v7
	v_mul_lo_u32 v7, v1, s11
	v_mul_hi_u32 v16, s15, v1
	v_sub_u32_e32 v4, v4, v7
	v_add_u32_e32 v7, v1, v16
	v_lshrrev_b32_e32 v7, s16, v7
	v_mul_hi_u32 v19, s18, v7
	v_mul_lo_u32 v22, v7, s14
	v_mul_lo_u32 v16, v4, s2
	;; [unrolled: 1-line block ×3, first 2 shown]
	v_sub_u32_e32 v22, v1, v22
	v_add_u32_e32 v1, v7, v19
	v_lshrrev_b32_e32 v1, s19, v1
	v_mul_lo_u32 v19, v1, s17
	v_mul_lo_u32 v24, v22, s4
	;; [unrolled: 1-line block ×3, first 2 shown]
	v_add3_u32 v10, v10, v21, v16
	v_sub_u32_e32 v7, v7, v19
	v_mul_lo_u32 v19, v7, s6
	v_mul_lo_u32 v7, v7, s7
	v_add3_u32 v4, v13, v23, v4
	v_add3_u32 v21, v24, v10, v19
	;; [unrolled: 1-line block ×3, first 2 shown]
	s_cbranch_scc1 .LBB370_118
; %bb.119:
	s_and_b32 s4, s25, 3
	s_cmp_eq_u32 s4, 0
	s_cbranch_scc0 .LBB370_123
	s_branch .LBB370_125
.LBB370_120:
                                        ; implicit-def: $vgpr21
                                        ; implicit-def: $vgpr23
	s_branch .LBB370_126
.LBB370_121:
	v_mov_b32_e32 v21, 0
	v_mov_b32_e32 v23, 0
	s_branch .LBB370_125
.LBB370_122:
	v_mov_b32_e32 v21, 0
	v_mov_b32_e32 v23, 0
	v_mov_b32_e32 v1, v25
	s_and_b32 s4, s25, 3
	s_cmp_eq_u32 s4, 0
	s_cbranch_scc1 .LBB370_125
.LBB370_123:
	s_lshl_b32 s0, s24, 3
	s_add_u32 s0, s34, s0
	s_addc_u32 s1, s35, 0
	s_add_u32 s0, s0, 0xc4
	s_addc_u32 s1, s1, 0
	s_mul_i32 s2, s24, 12
	s_add_u32 s2, s34, s2
	s_addc_u32 s3, s35, 0
.LBB370_124:                            ; =>This Inner Loop Header: Depth=1
	s_load_dwordx2 s[6:7], s[2:3], 0x4
	s_load_dword s5, s[2:3], 0xc
	s_load_dwordx2 s[8:9], s[0:1], 0x0
	s_add_u32 s2, s2, 12
	s_addc_u32 s3, s3, 0
	s_waitcnt lgkmcnt(0)
	v_mul_hi_u32 v4, s7, v1
	s_add_u32 s0, s0, 8
	s_addc_u32 s1, s1, 0
	s_add_i32 s4, s4, -1
	v_add_u32_e32 v4, v1, v4
	v_lshrrev_b32_e32 v4, s5, v4
	v_mul_lo_u32 v7, v4, s6
	s_cmp_lg_u32 s4, 0
	v_sub_u32_e32 v1, v1, v7
	v_mad_u64_u32 v[21:22], s[6:7], v1, s8, v[21:22]
	v_mad_u64_u32 v[23:24], s[6:7], v1, s9, v[23:24]
	v_mov_b32_e32 v1, v4
	s_cbranch_scc1 .LBB370_124
.LBB370_125:
	s_cbranch_execnz .LBB370_128
.LBB370_126:
	s_load_dwordx4 s[0:3], s[34:35], 0x4
	s_load_dwordx2 s[4:5], s[34:35], 0xc4
	s_cmp_lt_u32 s33, 2
	s_waitcnt lgkmcnt(0)
	v_mul_hi_u32 v1, s1, v25
	v_add_u32_e32 v1, v25, v1
	v_lshrrev_b32_e32 v1, s2, v1
	v_mul_lo_u32 v4, v1, s0
	v_sub_u32_e32 v4, v25, v4
	v_mul_lo_u32 v21, v4, s4
	v_mul_lo_u32 v23, v4, s5
	s_cbranch_scc1 .LBB370_128
; %bb.127:
	s_load_dwordx4 s[0:3], s[34:35], 0x10
	s_load_dwordx2 s[4:5], s[34:35], 0xcc
	s_waitcnt lgkmcnt(0)
	v_mul_hi_u32 v4, s1, v1
	v_add_u32_e32 v4, v1, v4
	v_lshrrev_b32_e32 v4, s2, v4
	v_mul_lo_u32 v4, v4, s0
	v_sub_u32_e32 v1, v1, v4
	v_mad_u64_u32 v[21:22], s[0:1], v1, s4, v[21:22]
	v_mad_u64_u32 v[23:24], s[0:1], v1, s5, v[23:24]
.LBB370_128:
	s_load_dwordx4 s[16:19], s[34:35], 0x148
	s_load_dword s6, s[34:35], 0x158
	s_load_dwordx2 s[12:13], s[34:35], 0x160
	s_waitcnt lgkmcnt(0)
	global_load_dwordx2 v[24:25], v2, s[18:19]
	global_load_dwordx2 v[26:27], v5, s[18:19]
	s_nop 0
	global_load_dwordx2 v[1:2], v8, s[18:19]
	global_load_dwordx2 v[4:5], v11, s[18:19]
	s_cmp_eq_u32 s6, 0
	s_cselect_b64 s[14:15], -1, 0
	s_waitcnt vmcnt(3)
	v_cmp_ne_u64_e32 vcc, s[12:13], v[24:25]
	s_waitcnt vmcnt(2)
	v_cmp_ne_u64_e64 s[0:1], s[12:13], v[26:27]
	s_waitcnt vmcnt(1)
	v_cmp_ne_u64_e64 s[2:3], s[12:13], v[1:2]
	;; [unrolled: 2-line block ×3, first 2 shown]
	global_load_dwordx2 v[1:2], v14, s[18:19]
	global_load_dwordx2 v[4:5], v17, s[18:19]
	;; [unrolled: 1-line block ×4, first 2 shown]
	s_xor_b64 s[0:1], s[14:15], s[0:1]
	s_xor_b64 s[18:19], s[14:15], vcc
	s_waitcnt vmcnt(3)
	v_cmp_ne_u64_e64 s[6:7], s[12:13], v[1:2]
	v_cndmask_b32_e64 v2, 0, 1, s[0:1]
	s_xor_b64 s[0:1], s[14:15], s[2:3]
	s_waitcnt vmcnt(2)
	v_cmp_ne_u64_e64 s[8:9], s[12:13], v[4:5]
	v_cndmask_b32_e64 v4, 0, 1, s[0:1]
	s_xor_b64 s[0:1], s[14:15], s[4:5]
	;; [unrolled: 4-line block ×4, first 2 shown]
	v_cndmask_b32_e64 v8, 0, 1, s[0:1]
	s_xor_b64 s[0:1], s[14:15], s[10:11]
	v_cndmask_b32_e64 v1, 0, 1, s[18:19]
	v_cndmask_b32_e64 v10, 0, 1, s[0:1]
	s_xor_b64 s[0:1], s[14:15], s[12:13]
	v_cndmask_b32_e64 v11, 0, 1, s[0:1]
	global_store_byte v0, v1, s[16:17]
	global_store_byte v3, v2, s[16:17]
	;; [unrolled: 1-line block ×8, first 2 shown]
	s_endpgm
.LBB370_129:
	v_mov_b32_e32 v0, 0
	v_mov_b32_e32 v2, 0
	s_branch .LBB370_135
.LBB370_130:
	v_mov_b32_e32 v0, 0
	v_mov_b32_e32 v2, 0
	s_branch .LBB370_151
.LBB370_131:
	s_mov_b32 s61, 0
	v_mov_b32_e32 v0, 0
	v_mov_b32_e32 v2, 0
	v_mov_b32_e32 v1, v19
.LBB370_132:
	s_and_b32 s4, s62, 3
	s_cmp_eq_u32 s4, 0
	s_cbranch_scc1 .LBB370_135
; %bb.133:
	s_lshl_b32 s0, s61, 3
	s_add_u32 s0, s34, s0
	s_addc_u32 s1, s35, 0
	s_add_u32 s0, s0, 0xc4
	s_addc_u32 s1, s1, 0
	s_mul_i32 s2, s61, 12
	s_add_u32 s2, s34, s2
	s_addc_u32 s3, s35, 0
.LBB370_134:                            ; =>This Inner Loop Header: Depth=1
	s_load_dwordx2 s[6:7], s[2:3], 0x4
	s_load_dword s5, s[2:3], 0xc
	s_load_dwordx2 s[8:9], s[0:1], 0x0
	s_add_u32 s2, s2, 12
	s_addc_u32 s3, s3, 0
	s_waitcnt lgkmcnt(0)
	v_mul_hi_u32 v3, s7, v1
	s_add_u32 s0, s0, 8
	s_addc_u32 s1, s1, 0
	s_add_i32 s4, s4, -1
	v_add_u32_e32 v3, v1, v3
	v_lshrrev_b32_e32 v4, s5, v3
	v_mul_lo_u32 v3, v4, s6
	s_cmp_lg_u32 s4, 0
	v_sub_u32_e32 v3, v1, v3
	v_mad_u64_u32 v[0:1], s[6:7], v3, s8, v[0:1]
	v_mad_u64_u32 v[2:3], s[6:7], v3, s9, v[2:3]
	v_mov_b32_e32 v1, v4
	s_cbranch_scc1 .LBB370_134
.LBB370_135:
	s_cbranch_execnz .LBB370_138
.LBB370_136:
	v_mul_hi_u32 v0, s21, v19
	s_andn2_b64 vcc, exec, s[46:47]
	v_add_u32_e32 v0, v19, v0
	v_lshrrev_b32_e32 v1, s22, v0
	v_mul_lo_u32 v0, v1, s20
	v_sub_u32_e32 v2, v19, v0
	v_mul_lo_u32 v0, v2, s24
	v_mul_lo_u32 v2, v2, s25
	s_cbranch_vccnz .LBB370_138
; %bb.137:
	v_mul_hi_u32 v3, s44, v1
	v_add_u32_e32 v3, v1, v3
	v_lshrrev_b32_e32 v3, s45, v3
	v_mul_lo_u32 v3, v3, s23
	v_sub_u32_e32 v3, v1, v3
	v_mad_u64_u32 v[0:1], s[0:1], v3, s26, v[0:1]
	v_mad_u64_u32 v[2:3], s[0:1], v3, s27, v[2:3]
.LBB370_138:
	global_load_dwordx2 v[1:2], v2, s[18:19]
	v_add_u32_e32 v19, 0x80, v19
	s_waitcnt vmcnt(0)
	v_cmp_ne_u64_e32 vcc, s[40:41], v[1:2]
	s_xor_b64 s[0:1], s[42:43], vcc
	v_cndmask_b32_e64 v1, 0, 1, s[0:1]
	global_store_byte v0, v1, s[16:17]
	s_or_b64 exec, exec, s[52:53]
	v_cmp_gt_i32_e32 vcc, s59, v19
	s_and_saveexec_b64 s[52:53], vcc
	s_cbranch_execnz .LBB370_15
.LBB370_139:
	s_or_b64 exec, exec, s[52:53]
	v_cmp_gt_i32_e32 vcc, s59, v19
	s_and_saveexec_b64 s[52:53], vcc
	s_cbranch_execz .LBB370_155
.LBB370_140:
	s_andn2_b64 vcc, exec, s[36:37]
	s_cbranch_vccnz .LBB370_145
; %bb.141:
	s_andn2_b64 vcc, exec, s[50:51]
	s_cbranch_vccnz .LBB370_146
; %bb.142:
	s_add_i32 s62, s60, 1
	s_cmp_eq_u32 s58, 2
	s_cbranch_scc1 .LBB370_163
; %bb.143:
	s_and_b32 s61, s62, 28
	v_mov_b32_e32 v2, 0
	s_mov_b32 s63, 0
	s_mov_b64 s[54:55], s[34:35]
	s_mov_b64 s[56:57], s[48:49]
	v_mov_b32_e32 v0, 0
	v_mov_b32_e32 v1, v19
.LBB370_144:                            ; =>This Inner Loop Header: Depth=1
	s_load_dwordx8 s[8:15], s[54:55], 0x4
	s_load_dwordx4 s[28:31], s[54:55], 0x24
	s_load_dwordx8 s[0:7], s[56:57], 0x0
	s_add_u32 s54, s54, 48
	s_addc_u32 s55, s55, 0
	s_waitcnt lgkmcnt(0)
	v_mul_hi_u32 v3, s9, v1
	s_add_i32 s63, s63, 4
	s_add_u32 s56, s56, 32
	s_addc_u32 s57, s57, 0
	v_add_u32_e32 v3, v1, v3
	v_lshrrev_b32_e32 v3, s10, v3
	v_mul_lo_u32 v4, v3, s8
	v_mul_hi_u32 v5, s12, v3
	s_cmp_eq_u32 s61, s63
	v_sub_u32_e32 v1, v1, v4
	v_add_u32_e32 v4, v3, v5
	v_mul_lo_u32 v5, v1, s0
	v_mul_lo_u32 v6, v1, s1
	v_lshrrev_b32_e32 v1, s13, v4
	v_mul_lo_u32 v4, v1, s11
	v_mul_hi_u32 v7, s15, v1
	v_sub_u32_e32 v3, v3, v4
	v_add_u32_e32 v4, v1, v7
	v_lshrrev_b32_e32 v4, s28, v4
	v_mul_hi_u32 v8, s30, v4
	v_mul_lo_u32 v9, v4, s14
	v_mul_lo_u32 v7, v3, s2
	v_mul_lo_u32 v3, v3, s3
	v_sub_u32_e32 v9, v1, v9
	v_add_u32_e32 v1, v4, v8
	v_lshrrev_b32_e32 v1, s31, v1
	v_mul_lo_u32 v8, v1, s29
	v_mul_lo_u32 v10, v9, s4
	;; [unrolled: 1-line block ×3, first 2 shown]
	v_add3_u32 v0, v5, v0, v7
	v_sub_u32_e32 v4, v4, v8
	v_mul_lo_u32 v8, v4, s6
	v_mul_lo_u32 v4, v4, s7
	v_add3_u32 v2, v6, v2, v3
	v_add3_u32 v0, v10, v0, v8
	v_add3_u32 v2, v9, v2, v4
	s_cbranch_scc0 .LBB370_144
	s_branch .LBB370_164
.LBB370_145:
                                        ; implicit-def: $vgpr0
                                        ; implicit-def: $vgpr2
	s_branch .LBB370_168
.LBB370_146:
	v_mov_b32_e32 v0, 0
	v_mov_b32_e32 v2, 0
	s_branch .LBB370_167
.LBB370_147:
	s_mov_b32 s61, 0
	v_mov_b32_e32 v0, 0
	v_mov_b32_e32 v2, 0
	;; [unrolled: 1-line block ×3, first 2 shown]
.LBB370_148:
	s_and_b32 s4, s62, 3
	s_cmp_eq_u32 s4, 0
	s_cbranch_scc1 .LBB370_151
; %bb.149:
	s_lshl_b32 s0, s61, 3
	s_add_u32 s0, s34, s0
	s_addc_u32 s1, s35, 0
	s_add_u32 s0, s0, 0xc4
	s_addc_u32 s1, s1, 0
	s_mul_i32 s2, s61, 12
	s_add_u32 s2, s34, s2
	s_addc_u32 s3, s35, 0
.LBB370_150:                            ; =>This Inner Loop Header: Depth=1
	s_load_dwordx2 s[6:7], s[2:3], 0x4
	s_load_dword s5, s[2:3], 0xc
	s_load_dwordx2 s[8:9], s[0:1], 0x0
	s_add_u32 s2, s2, 12
	s_addc_u32 s3, s3, 0
	s_waitcnt lgkmcnt(0)
	v_mul_hi_u32 v3, s7, v1
	s_add_u32 s0, s0, 8
	s_addc_u32 s1, s1, 0
	s_add_i32 s4, s4, -1
	v_add_u32_e32 v3, v1, v3
	v_lshrrev_b32_e32 v4, s5, v3
	v_mul_lo_u32 v3, v4, s6
	s_cmp_lg_u32 s4, 0
	v_sub_u32_e32 v3, v1, v3
	v_mad_u64_u32 v[0:1], s[6:7], v3, s8, v[0:1]
	v_mad_u64_u32 v[2:3], s[6:7], v3, s9, v[2:3]
	v_mov_b32_e32 v1, v4
	s_cbranch_scc1 .LBB370_150
.LBB370_151:
	s_cbranch_execnz .LBB370_154
.LBB370_152:
	v_mul_hi_u32 v0, s21, v19
	s_andn2_b64 vcc, exec, s[46:47]
	v_add_u32_e32 v0, v19, v0
	v_lshrrev_b32_e32 v1, s22, v0
	v_mul_lo_u32 v0, v1, s20
	v_sub_u32_e32 v2, v19, v0
	v_mul_lo_u32 v0, v2, s24
	v_mul_lo_u32 v2, v2, s25
	s_cbranch_vccnz .LBB370_154
; %bb.153:
	v_mul_hi_u32 v3, s44, v1
	v_add_u32_e32 v3, v1, v3
	v_lshrrev_b32_e32 v3, s45, v3
	v_mul_lo_u32 v3, v3, s23
	v_sub_u32_e32 v3, v1, v3
	v_mad_u64_u32 v[0:1], s[0:1], v3, s26, v[0:1]
	v_mad_u64_u32 v[2:3], s[0:1], v3, s27, v[2:3]
.LBB370_154:
	global_load_dwordx2 v[1:2], v2, s[18:19]
	v_add_u32_e32 v19, 0x80, v19
	s_waitcnt vmcnt(0)
	v_cmp_ne_u64_e32 vcc, s[40:41], v[1:2]
	s_xor_b64 s[0:1], s[42:43], vcc
	v_cndmask_b32_e64 v1, 0, 1, s[0:1]
	global_store_byte v0, v1, s[16:17]
	s_or_b64 exec, exec, s[52:53]
	v_cmp_gt_i32_e32 vcc, s59, v19
	s_and_saveexec_b64 s[52:53], vcc
	s_cbranch_execnz .LBB370_140
.LBB370_155:
	s_or_b64 exec, exec, s[52:53]
	v_cmp_gt_i32_e32 vcc, s59, v19
	s_and_saveexec_b64 s[52:53], vcc
	s_cbranch_execz .LBB370_171
.LBB370_156:
	s_andn2_b64 vcc, exec, s[36:37]
	s_cbranch_vccnz .LBB370_161
; %bb.157:
	s_andn2_b64 vcc, exec, s[50:51]
	s_cbranch_vccnz .LBB370_162
; %bb.158:
	s_add_i32 s62, s60, 1
	s_cmp_eq_u32 s58, 2
	s_cbranch_scc1 .LBB370_179
; %bb.159:
	s_and_b32 s61, s62, 28
	v_mov_b32_e32 v2, 0
	s_mov_b32 s63, 0
	s_mov_b64 s[54:55], s[34:35]
	s_mov_b64 s[56:57], s[48:49]
	v_mov_b32_e32 v0, 0
	v_mov_b32_e32 v1, v19
.LBB370_160:                            ; =>This Inner Loop Header: Depth=1
	s_load_dwordx8 s[8:15], s[54:55], 0x4
	s_load_dwordx4 s[28:31], s[54:55], 0x24
	s_load_dwordx8 s[0:7], s[56:57], 0x0
	s_add_u32 s54, s54, 48
	s_addc_u32 s55, s55, 0
	s_waitcnt lgkmcnt(0)
	v_mul_hi_u32 v3, s9, v1
	s_add_i32 s63, s63, 4
	s_add_u32 s56, s56, 32
	s_addc_u32 s57, s57, 0
	v_add_u32_e32 v3, v1, v3
	v_lshrrev_b32_e32 v3, s10, v3
	v_mul_lo_u32 v4, v3, s8
	v_mul_hi_u32 v5, s12, v3
	s_cmp_eq_u32 s61, s63
	v_sub_u32_e32 v1, v1, v4
	v_add_u32_e32 v4, v3, v5
	v_mul_lo_u32 v5, v1, s0
	v_mul_lo_u32 v6, v1, s1
	v_lshrrev_b32_e32 v1, s13, v4
	v_mul_lo_u32 v4, v1, s11
	v_mul_hi_u32 v7, s15, v1
	v_sub_u32_e32 v3, v3, v4
	v_add_u32_e32 v4, v1, v7
	v_lshrrev_b32_e32 v4, s28, v4
	v_mul_hi_u32 v8, s30, v4
	v_mul_lo_u32 v9, v4, s14
	v_mul_lo_u32 v7, v3, s2
	;; [unrolled: 1-line block ×3, first 2 shown]
	v_sub_u32_e32 v9, v1, v9
	v_add_u32_e32 v1, v4, v8
	v_lshrrev_b32_e32 v1, s31, v1
	v_mul_lo_u32 v8, v1, s29
	v_mul_lo_u32 v10, v9, s4
	;; [unrolled: 1-line block ×3, first 2 shown]
	v_add3_u32 v0, v5, v0, v7
	v_sub_u32_e32 v4, v4, v8
	v_mul_lo_u32 v8, v4, s6
	v_mul_lo_u32 v4, v4, s7
	v_add3_u32 v2, v6, v2, v3
	v_add3_u32 v0, v10, v0, v8
	;; [unrolled: 1-line block ×3, first 2 shown]
	s_cbranch_scc0 .LBB370_160
	s_branch .LBB370_180
.LBB370_161:
                                        ; implicit-def: $vgpr0
                                        ; implicit-def: $vgpr2
	s_branch .LBB370_184
.LBB370_162:
	v_mov_b32_e32 v0, 0
	v_mov_b32_e32 v2, 0
	s_branch .LBB370_183
.LBB370_163:
	s_mov_b32 s61, 0
	v_mov_b32_e32 v0, 0
	v_mov_b32_e32 v2, 0
	;; [unrolled: 1-line block ×3, first 2 shown]
.LBB370_164:
	s_and_b32 s4, s62, 3
	s_cmp_eq_u32 s4, 0
	s_cbranch_scc1 .LBB370_167
; %bb.165:
	s_lshl_b32 s0, s61, 3
	s_add_u32 s0, s34, s0
	s_addc_u32 s1, s35, 0
	s_add_u32 s0, s0, 0xc4
	s_addc_u32 s1, s1, 0
	s_mul_i32 s2, s61, 12
	s_add_u32 s2, s34, s2
	s_addc_u32 s3, s35, 0
.LBB370_166:                            ; =>This Inner Loop Header: Depth=1
	s_load_dwordx2 s[6:7], s[2:3], 0x4
	s_load_dword s5, s[2:3], 0xc
	s_load_dwordx2 s[8:9], s[0:1], 0x0
	s_add_u32 s2, s2, 12
	s_addc_u32 s3, s3, 0
	s_waitcnt lgkmcnt(0)
	v_mul_hi_u32 v3, s7, v1
	s_add_u32 s0, s0, 8
	s_addc_u32 s1, s1, 0
	s_add_i32 s4, s4, -1
	v_add_u32_e32 v3, v1, v3
	v_lshrrev_b32_e32 v4, s5, v3
	v_mul_lo_u32 v3, v4, s6
	s_cmp_lg_u32 s4, 0
	v_sub_u32_e32 v3, v1, v3
	v_mad_u64_u32 v[0:1], s[6:7], v3, s8, v[0:1]
	v_mad_u64_u32 v[2:3], s[6:7], v3, s9, v[2:3]
	v_mov_b32_e32 v1, v4
	s_cbranch_scc1 .LBB370_166
.LBB370_167:
	s_cbranch_execnz .LBB370_170
.LBB370_168:
	v_mul_hi_u32 v0, s21, v19
	s_andn2_b64 vcc, exec, s[46:47]
	v_add_u32_e32 v0, v19, v0
	v_lshrrev_b32_e32 v1, s22, v0
	v_mul_lo_u32 v0, v1, s20
	v_sub_u32_e32 v2, v19, v0
	v_mul_lo_u32 v0, v2, s24
	v_mul_lo_u32 v2, v2, s25
	s_cbranch_vccnz .LBB370_170
; %bb.169:
	v_mul_hi_u32 v3, s44, v1
	v_add_u32_e32 v3, v1, v3
	v_lshrrev_b32_e32 v3, s45, v3
	v_mul_lo_u32 v3, v3, s23
	v_sub_u32_e32 v3, v1, v3
	v_mad_u64_u32 v[0:1], s[0:1], v3, s26, v[0:1]
	v_mad_u64_u32 v[2:3], s[0:1], v3, s27, v[2:3]
.LBB370_170:
	global_load_dwordx2 v[1:2], v2, s[18:19]
	v_add_u32_e32 v19, 0x80, v19
	s_waitcnt vmcnt(0)
	v_cmp_ne_u64_e32 vcc, s[40:41], v[1:2]
	s_xor_b64 s[0:1], s[42:43], vcc
	v_cndmask_b32_e64 v1, 0, 1, s[0:1]
	global_store_byte v0, v1, s[16:17]
	s_or_b64 exec, exec, s[52:53]
	v_cmp_gt_i32_e32 vcc, s59, v19
	s_and_saveexec_b64 s[52:53], vcc
	s_cbranch_execnz .LBB370_156
.LBB370_171:
	s_or_b64 exec, exec, s[52:53]
	v_cmp_gt_i32_e32 vcc, s59, v19
	s_and_saveexec_b64 s[52:53], vcc
	s_cbranch_execz .LBB370_187
.LBB370_172:
	s_andn2_b64 vcc, exec, s[36:37]
	s_cbranch_vccnz .LBB370_177
; %bb.173:
	s_andn2_b64 vcc, exec, s[50:51]
	s_cbranch_vccnz .LBB370_178
; %bb.174:
	s_add_i32 s62, s60, 1
	s_cmp_eq_u32 s58, 2
	s_cbranch_scc1 .LBB370_195
; %bb.175:
	s_and_b32 s61, s62, 28
	v_mov_b32_e32 v2, 0
	s_mov_b32 s63, 0
	s_mov_b64 s[54:55], s[34:35]
	s_mov_b64 s[56:57], s[48:49]
	v_mov_b32_e32 v0, 0
	v_mov_b32_e32 v1, v19
.LBB370_176:                            ; =>This Inner Loop Header: Depth=1
	s_load_dwordx8 s[8:15], s[54:55], 0x4
	s_load_dwordx4 s[28:31], s[54:55], 0x24
	s_load_dwordx8 s[0:7], s[56:57], 0x0
	s_add_u32 s54, s54, 48
	s_addc_u32 s55, s55, 0
	s_waitcnt lgkmcnt(0)
	v_mul_hi_u32 v3, s9, v1
	s_add_i32 s63, s63, 4
	s_add_u32 s56, s56, 32
	s_addc_u32 s57, s57, 0
	v_add_u32_e32 v3, v1, v3
	v_lshrrev_b32_e32 v3, s10, v3
	v_mul_lo_u32 v4, v3, s8
	v_mul_hi_u32 v5, s12, v3
	s_cmp_eq_u32 s61, s63
	v_sub_u32_e32 v1, v1, v4
	v_add_u32_e32 v4, v3, v5
	v_mul_lo_u32 v5, v1, s0
	v_mul_lo_u32 v6, v1, s1
	v_lshrrev_b32_e32 v1, s13, v4
	v_mul_lo_u32 v4, v1, s11
	v_mul_hi_u32 v7, s15, v1
	v_sub_u32_e32 v3, v3, v4
	v_add_u32_e32 v4, v1, v7
	v_lshrrev_b32_e32 v4, s28, v4
	v_mul_hi_u32 v8, s30, v4
	v_mul_lo_u32 v9, v4, s14
	v_mul_lo_u32 v7, v3, s2
	;; [unrolled: 1-line block ×3, first 2 shown]
	v_sub_u32_e32 v9, v1, v9
	v_add_u32_e32 v1, v4, v8
	v_lshrrev_b32_e32 v1, s31, v1
	v_mul_lo_u32 v8, v1, s29
	v_mul_lo_u32 v10, v9, s4
	;; [unrolled: 1-line block ×3, first 2 shown]
	v_add3_u32 v0, v5, v0, v7
	v_sub_u32_e32 v4, v4, v8
	v_mul_lo_u32 v8, v4, s6
	v_mul_lo_u32 v4, v4, s7
	v_add3_u32 v2, v6, v2, v3
	v_add3_u32 v0, v10, v0, v8
	;; [unrolled: 1-line block ×3, first 2 shown]
	s_cbranch_scc0 .LBB370_176
	s_branch .LBB370_196
.LBB370_177:
                                        ; implicit-def: $vgpr0
                                        ; implicit-def: $vgpr2
	s_branch .LBB370_200
.LBB370_178:
	v_mov_b32_e32 v0, 0
	v_mov_b32_e32 v2, 0
	s_branch .LBB370_199
.LBB370_179:
	s_mov_b32 s61, 0
	v_mov_b32_e32 v0, 0
	v_mov_b32_e32 v2, 0
	;; [unrolled: 1-line block ×3, first 2 shown]
.LBB370_180:
	s_and_b32 s4, s62, 3
	s_cmp_eq_u32 s4, 0
	s_cbranch_scc1 .LBB370_183
; %bb.181:
	s_lshl_b32 s0, s61, 3
	s_add_u32 s0, s34, s0
	s_addc_u32 s1, s35, 0
	s_add_u32 s0, s0, 0xc4
	s_addc_u32 s1, s1, 0
	s_mul_i32 s2, s61, 12
	s_add_u32 s2, s34, s2
	s_addc_u32 s3, s35, 0
.LBB370_182:                            ; =>This Inner Loop Header: Depth=1
	s_load_dwordx2 s[6:7], s[2:3], 0x4
	s_load_dword s5, s[2:3], 0xc
	s_load_dwordx2 s[8:9], s[0:1], 0x0
	s_add_u32 s2, s2, 12
	s_addc_u32 s3, s3, 0
	s_waitcnt lgkmcnt(0)
	v_mul_hi_u32 v3, s7, v1
	s_add_u32 s0, s0, 8
	s_addc_u32 s1, s1, 0
	s_add_i32 s4, s4, -1
	v_add_u32_e32 v3, v1, v3
	v_lshrrev_b32_e32 v4, s5, v3
	v_mul_lo_u32 v3, v4, s6
	s_cmp_lg_u32 s4, 0
	v_sub_u32_e32 v3, v1, v3
	v_mad_u64_u32 v[0:1], s[6:7], v3, s8, v[0:1]
	v_mad_u64_u32 v[2:3], s[6:7], v3, s9, v[2:3]
	v_mov_b32_e32 v1, v4
	s_cbranch_scc1 .LBB370_182
.LBB370_183:
	s_cbranch_execnz .LBB370_186
.LBB370_184:
	v_mul_hi_u32 v0, s21, v19
	s_andn2_b64 vcc, exec, s[46:47]
	v_add_u32_e32 v0, v19, v0
	v_lshrrev_b32_e32 v1, s22, v0
	v_mul_lo_u32 v0, v1, s20
	v_sub_u32_e32 v2, v19, v0
	v_mul_lo_u32 v0, v2, s24
	v_mul_lo_u32 v2, v2, s25
	s_cbranch_vccnz .LBB370_186
; %bb.185:
	v_mul_hi_u32 v3, s44, v1
	v_add_u32_e32 v3, v1, v3
	v_lshrrev_b32_e32 v3, s45, v3
	v_mul_lo_u32 v3, v3, s23
	v_sub_u32_e32 v3, v1, v3
	v_mad_u64_u32 v[0:1], s[0:1], v3, s26, v[0:1]
	v_mad_u64_u32 v[2:3], s[0:1], v3, s27, v[2:3]
.LBB370_186:
	global_load_dwordx2 v[1:2], v2, s[18:19]
	v_add_u32_e32 v19, 0x80, v19
	s_waitcnt vmcnt(0)
	v_cmp_ne_u64_e32 vcc, s[40:41], v[1:2]
	s_xor_b64 s[0:1], s[42:43], vcc
	v_cndmask_b32_e64 v1, 0, 1, s[0:1]
	global_store_byte v0, v1, s[16:17]
	s_or_b64 exec, exec, s[52:53]
	v_cmp_gt_i32_e32 vcc, s59, v19
	s_and_saveexec_b64 s[52:53], vcc
	s_cbranch_execnz .LBB370_172
.LBB370_187:
	s_or_b64 exec, exec, s[52:53]
	v_cmp_gt_i32_e32 vcc, s59, v19
	s_and_saveexec_b64 s[52:53], vcc
	s_cbranch_execz .LBB370_203
.LBB370_188:
	s_andn2_b64 vcc, exec, s[36:37]
	s_cbranch_vccnz .LBB370_193
; %bb.189:
	s_andn2_b64 vcc, exec, s[50:51]
	s_cbranch_vccnz .LBB370_194
; %bb.190:
	s_add_i32 s62, s60, 1
	s_cmp_eq_u32 s58, 2
	s_cbranch_scc1 .LBB370_211
; %bb.191:
	s_and_b32 s61, s62, 28
	v_mov_b32_e32 v2, 0
	s_mov_b32 s63, 0
	s_mov_b64 s[54:55], s[34:35]
	s_mov_b64 s[56:57], s[48:49]
	v_mov_b32_e32 v0, 0
	v_mov_b32_e32 v1, v19
.LBB370_192:                            ; =>This Inner Loop Header: Depth=1
	s_load_dwordx8 s[8:15], s[54:55], 0x4
	s_load_dwordx4 s[28:31], s[54:55], 0x24
	s_load_dwordx8 s[0:7], s[56:57], 0x0
	s_add_u32 s54, s54, 48
	s_addc_u32 s55, s55, 0
	s_waitcnt lgkmcnt(0)
	v_mul_hi_u32 v3, s9, v1
	s_add_i32 s63, s63, 4
	s_add_u32 s56, s56, 32
	s_addc_u32 s57, s57, 0
	v_add_u32_e32 v3, v1, v3
	v_lshrrev_b32_e32 v3, s10, v3
	v_mul_lo_u32 v4, v3, s8
	v_mul_hi_u32 v5, s12, v3
	s_cmp_eq_u32 s61, s63
	v_sub_u32_e32 v1, v1, v4
	v_add_u32_e32 v4, v3, v5
	v_mul_lo_u32 v5, v1, s0
	v_mul_lo_u32 v6, v1, s1
	v_lshrrev_b32_e32 v1, s13, v4
	v_mul_lo_u32 v4, v1, s11
	v_mul_hi_u32 v7, s15, v1
	v_sub_u32_e32 v3, v3, v4
	v_add_u32_e32 v4, v1, v7
	v_lshrrev_b32_e32 v4, s28, v4
	v_mul_hi_u32 v8, s30, v4
	v_mul_lo_u32 v9, v4, s14
	v_mul_lo_u32 v7, v3, s2
	;; [unrolled: 1-line block ×3, first 2 shown]
	v_sub_u32_e32 v9, v1, v9
	v_add_u32_e32 v1, v4, v8
	v_lshrrev_b32_e32 v1, s31, v1
	v_mul_lo_u32 v8, v1, s29
	v_mul_lo_u32 v10, v9, s4
	;; [unrolled: 1-line block ×3, first 2 shown]
	v_add3_u32 v0, v5, v0, v7
	v_sub_u32_e32 v4, v4, v8
	v_mul_lo_u32 v8, v4, s6
	v_mul_lo_u32 v4, v4, s7
	v_add3_u32 v2, v6, v2, v3
	v_add3_u32 v0, v10, v0, v8
	;; [unrolled: 1-line block ×3, first 2 shown]
	s_cbranch_scc0 .LBB370_192
	s_branch .LBB370_212
.LBB370_193:
                                        ; implicit-def: $vgpr0
                                        ; implicit-def: $vgpr2
	s_branch .LBB370_216
.LBB370_194:
	v_mov_b32_e32 v0, 0
	v_mov_b32_e32 v2, 0
	s_branch .LBB370_215
.LBB370_195:
	s_mov_b32 s61, 0
	v_mov_b32_e32 v0, 0
	v_mov_b32_e32 v2, 0
	v_mov_b32_e32 v1, v19
.LBB370_196:
	s_and_b32 s4, s62, 3
	s_cmp_eq_u32 s4, 0
	s_cbranch_scc1 .LBB370_199
; %bb.197:
	s_lshl_b32 s0, s61, 3
	s_add_u32 s0, s34, s0
	s_addc_u32 s1, s35, 0
	s_add_u32 s0, s0, 0xc4
	s_addc_u32 s1, s1, 0
	s_mul_i32 s2, s61, 12
	s_add_u32 s2, s34, s2
	s_addc_u32 s3, s35, 0
.LBB370_198:                            ; =>This Inner Loop Header: Depth=1
	s_load_dwordx2 s[6:7], s[2:3], 0x4
	s_load_dword s5, s[2:3], 0xc
	s_load_dwordx2 s[8:9], s[0:1], 0x0
	s_add_u32 s2, s2, 12
	s_addc_u32 s3, s3, 0
	s_waitcnt lgkmcnt(0)
	v_mul_hi_u32 v3, s7, v1
	s_add_u32 s0, s0, 8
	s_addc_u32 s1, s1, 0
	s_add_i32 s4, s4, -1
	v_add_u32_e32 v3, v1, v3
	v_lshrrev_b32_e32 v4, s5, v3
	v_mul_lo_u32 v3, v4, s6
	s_cmp_lg_u32 s4, 0
	v_sub_u32_e32 v3, v1, v3
	v_mad_u64_u32 v[0:1], s[6:7], v3, s8, v[0:1]
	v_mad_u64_u32 v[2:3], s[6:7], v3, s9, v[2:3]
	v_mov_b32_e32 v1, v4
	s_cbranch_scc1 .LBB370_198
.LBB370_199:
	s_cbranch_execnz .LBB370_202
.LBB370_200:
	v_mul_hi_u32 v0, s21, v19
	s_andn2_b64 vcc, exec, s[46:47]
	v_add_u32_e32 v0, v19, v0
	v_lshrrev_b32_e32 v1, s22, v0
	v_mul_lo_u32 v0, v1, s20
	v_sub_u32_e32 v2, v19, v0
	v_mul_lo_u32 v0, v2, s24
	v_mul_lo_u32 v2, v2, s25
	s_cbranch_vccnz .LBB370_202
; %bb.201:
	v_mul_hi_u32 v3, s44, v1
	v_add_u32_e32 v3, v1, v3
	v_lshrrev_b32_e32 v3, s45, v3
	v_mul_lo_u32 v3, v3, s23
	v_sub_u32_e32 v3, v1, v3
	v_mad_u64_u32 v[0:1], s[0:1], v3, s26, v[0:1]
	v_mad_u64_u32 v[2:3], s[0:1], v3, s27, v[2:3]
.LBB370_202:
	global_load_dwordx2 v[1:2], v2, s[18:19]
	v_add_u32_e32 v19, 0x80, v19
	s_waitcnt vmcnt(0)
	v_cmp_ne_u64_e32 vcc, s[40:41], v[1:2]
	s_xor_b64 s[0:1], s[42:43], vcc
	v_cndmask_b32_e64 v1, 0, 1, s[0:1]
	global_store_byte v0, v1, s[16:17]
	s_or_b64 exec, exec, s[52:53]
	v_cmp_gt_i32_e32 vcc, s59, v19
	s_and_saveexec_b64 s[52:53], vcc
	s_cbranch_execnz .LBB370_188
.LBB370_203:
	s_or_b64 exec, exec, s[52:53]
	v_cmp_gt_i32_e32 vcc, s59, v19
	s_and_saveexec_b64 s[52:53], vcc
	s_cbranch_execz .LBB370_219
.LBB370_204:
	s_andn2_b64 vcc, exec, s[36:37]
	s_cbranch_vccnz .LBB370_209
; %bb.205:
	s_andn2_b64 vcc, exec, s[50:51]
	s_cbranch_vccnz .LBB370_210
; %bb.206:
	s_add_i32 s62, s60, 1
	s_cmp_eq_u32 s58, 2
	s_cbranch_scc1 .LBB370_222
; %bb.207:
	s_and_b32 s61, s62, 28
	v_mov_b32_e32 v2, 0
	s_mov_b32 s63, 0
	s_mov_b64 s[54:55], s[34:35]
	s_mov_b64 s[56:57], s[48:49]
	v_mov_b32_e32 v0, 0
	v_mov_b32_e32 v1, v19
.LBB370_208:                            ; =>This Inner Loop Header: Depth=1
	s_load_dwordx8 s[8:15], s[54:55], 0x4
	s_load_dwordx4 s[28:31], s[54:55], 0x24
	s_load_dwordx8 s[0:7], s[56:57], 0x0
	s_add_u32 s54, s54, 48
	s_addc_u32 s55, s55, 0
	s_waitcnt lgkmcnt(0)
	v_mul_hi_u32 v3, s9, v1
	s_add_i32 s63, s63, 4
	s_add_u32 s56, s56, 32
	s_addc_u32 s57, s57, 0
	v_add_u32_e32 v3, v1, v3
	v_lshrrev_b32_e32 v3, s10, v3
	v_mul_lo_u32 v4, v3, s8
	v_mul_hi_u32 v5, s12, v3
	s_cmp_eq_u32 s61, s63
	v_sub_u32_e32 v1, v1, v4
	v_add_u32_e32 v4, v3, v5
	v_mul_lo_u32 v5, v1, s0
	v_mul_lo_u32 v6, v1, s1
	v_lshrrev_b32_e32 v1, s13, v4
	v_mul_lo_u32 v4, v1, s11
	v_mul_hi_u32 v7, s15, v1
	v_sub_u32_e32 v3, v3, v4
	v_add_u32_e32 v4, v1, v7
	v_lshrrev_b32_e32 v4, s28, v4
	v_mul_hi_u32 v8, s30, v4
	v_mul_lo_u32 v9, v4, s14
	v_mul_lo_u32 v7, v3, s2
	;; [unrolled: 1-line block ×3, first 2 shown]
	v_sub_u32_e32 v9, v1, v9
	v_add_u32_e32 v1, v4, v8
	v_lshrrev_b32_e32 v1, s31, v1
	v_mul_lo_u32 v8, v1, s29
	v_mul_lo_u32 v10, v9, s4
	;; [unrolled: 1-line block ×3, first 2 shown]
	v_add3_u32 v0, v5, v0, v7
	v_sub_u32_e32 v4, v4, v8
	v_mul_lo_u32 v8, v4, s6
	v_mul_lo_u32 v4, v4, s7
	v_add3_u32 v2, v6, v2, v3
	v_add3_u32 v0, v10, v0, v8
	;; [unrolled: 1-line block ×3, first 2 shown]
	s_cbranch_scc0 .LBB370_208
	s_branch .LBB370_223
.LBB370_209:
                                        ; implicit-def: $vgpr0
                                        ; implicit-def: $vgpr2
	s_branch .LBB370_227
.LBB370_210:
	v_mov_b32_e32 v0, 0
	v_mov_b32_e32 v2, 0
	s_branch .LBB370_226
.LBB370_211:
	s_mov_b32 s61, 0
	v_mov_b32_e32 v0, 0
	v_mov_b32_e32 v2, 0
	;; [unrolled: 1-line block ×3, first 2 shown]
.LBB370_212:
	s_and_b32 s4, s62, 3
	s_cmp_eq_u32 s4, 0
	s_cbranch_scc1 .LBB370_215
; %bb.213:
	s_lshl_b32 s0, s61, 3
	s_add_u32 s0, s34, s0
	s_addc_u32 s1, s35, 0
	s_add_u32 s0, s0, 0xc4
	s_addc_u32 s1, s1, 0
	s_mul_i32 s2, s61, 12
	s_add_u32 s2, s34, s2
	s_addc_u32 s3, s35, 0
.LBB370_214:                            ; =>This Inner Loop Header: Depth=1
	s_load_dwordx2 s[6:7], s[2:3], 0x4
	s_load_dword s5, s[2:3], 0xc
	s_load_dwordx2 s[8:9], s[0:1], 0x0
	s_add_u32 s2, s2, 12
	s_addc_u32 s3, s3, 0
	s_waitcnt lgkmcnt(0)
	v_mul_hi_u32 v3, s7, v1
	s_add_u32 s0, s0, 8
	s_addc_u32 s1, s1, 0
	s_add_i32 s4, s4, -1
	v_add_u32_e32 v3, v1, v3
	v_lshrrev_b32_e32 v4, s5, v3
	v_mul_lo_u32 v3, v4, s6
	s_cmp_lg_u32 s4, 0
	v_sub_u32_e32 v3, v1, v3
	v_mad_u64_u32 v[0:1], s[6:7], v3, s8, v[0:1]
	v_mad_u64_u32 v[2:3], s[6:7], v3, s9, v[2:3]
	v_mov_b32_e32 v1, v4
	s_cbranch_scc1 .LBB370_214
.LBB370_215:
	s_cbranch_execnz .LBB370_218
.LBB370_216:
	v_mul_hi_u32 v0, s21, v19
	s_andn2_b64 vcc, exec, s[46:47]
	v_add_u32_e32 v0, v19, v0
	v_lshrrev_b32_e32 v1, s22, v0
	v_mul_lo_u32 v0, v1, s20
	v_sub_u32_e32 v2, v19, v0
	v_mul_lo_u32 v0, v2, s24
	v_mul_lo_u32 v2, v2, s25
	s_cbranch_vccnz .LBB370_218
; %bb.217:
	v_mul_hi_u32 v3, s44, v1
	v_add_u32_e32 v3, v1, v3
	v_lshrrev_b32_e32 v3, s45, v3
	v_mul_lo_u32 v3, v3, s23
	v_sub_u32_e32 v3, v1, v3
	v_mad_u64_u32 v[0:1], s[0:1], v3, s26, v[0:1]
	v_mad_u64_u32 v[2:3], s[0:1], v3, s27, v[2:3]
.LBB370_218:
	global_load_dwordx2 v[1:2], v2, s[18:19]
	v_add_u32_e32 v19, 0x80, v19
	s_waitcnt vmcnt(0)
	v_cmp_ne_u64_e32 vcc, s[40:41], v[1:2]
	s_xor_b64 s[0:1], s[42:43], vcc
	v_cndmask_b32_e64 v1, 0, 1, s[0:1]
	global_store_byte v0, v1, s[16:17]
	s_or_b64 exec, exec, s[52:53]
	v_cmp_gt_i32_e32 vcc, s59, v19
	s_and_saveexec_b64 s[52:53], vcc
	s_cbranch_execnz .LBB370_204
.LBB370_219:
	s_or_b64 exec, exec, s[52:53]
	v_cmp_gt_i32_e32 vcc, s59, v19
	s_and_saveexec_b64 s[52:53], vcc
	s_cbranch_execnz .LBB370_230
.LBB370_220:
	s_or_b64 exec, exec, s[52:53]
                                        ; implicit-def: $vgpr25
                                        ; implicit-def: $vgpr19
	s_andn2_saveexec_b64 s[0:1], s[38:39]
	s_cbranch_execnz .LBB370_8
.LBB370_221:
	s_endpgm
.LBB370_222:
	s_mov_b32 s61, 0
	v_mov_b32_e32 v0, 0
	v_mov_b32_e32 v2, 0
	v_mov_b32_e32 v1, v19
.LBB370_223:
	s_and_b32 s4, s62, 3
	s_cmp_eq_u32 s4, 0
	s_cbranch_scc1 .LBB370_226
; %bb.224:
	s_lshl_b32 s0, s61, 3
	s_add_u32 s0, s34, s0
	s_addc_u32 s1, s35, 0
	s_add_u32 s0, s0, 0xc4
	s_addc_u32 s1, s1, 0
	s_mul_i32 s2, s61, 12
	s_add_u32 s2, s34, s2
	s_addc_u32 s3, s35, 0
.LBB370_225:                            ; =>This Inner Loop Header: Depth=1
	s_load_dwordx2 s[6:7], s[2:3], 0x4
	s_load_dword s5, s[2:3], 0xc
	s_load_dwordx2 s[8:9], s[0:1], 0x0
	s_add_u32 s2, s2, 12
	s_addc_u32 s3, s3, 0
	s_waitcnt lgkmcnt(0)
	v_mul_hi_u32 v3, s7, v1
	s_add_u32 s0, s0, 8
	s_addc_u32 s1, s1, 0
	s_add_i32 s4, s4, -1
	v_add_u32_e32 v3, v1, v3
	v_lshrrev_b32_e32 v4, s5, v3
	v_mul_lo_u32 v3, v4, s6
	s_cmp_lg_u32 s4, 0
	v_sub_u32_e32 v3, v1, v3
	v_mad_u64_u32 v[0:1], s[6:7], v3, s8, v[0:1]
	v_mad_u64_u32 v[2:3], s[6:7], v3, s9, v[2:3]
	v_mov_b32_e32 v1, v4
	s_cbranch_scc1 .LBB370_225
.LBB370_226:
	s_cbranch_execnz .LBB370_229
.LBB370_227:
	v_mul_hi_u32 v0, s21, v19
	s_andn2_b64 vcc, exec, s[46:47]
	v_add_u32_e32 v0, v19, v0
	v_lshrrev_b32_e32 v1, s22, v0
	v_mul_lo_u32 v0, v1, s20
	v_sub_u32_e32 v2, v19, v0
	v_mul_lo_u32 v0, v2, s24
	v_mul_lo_u32 v2, v2, s25
	s_cbranch_vccnz .LBB370_229
; %bb.228:
	v_mul_hi_u32 v3, s44, v1
	v_add_u32_e32 v3, v1, v3
	v_lshrrev_b32_e32 v3, s45, v3
	v_mul_lo_u32 v3, v3, s23
	v_sub_u32_e32 v3, v1, v3
	v_mad_u64_u32 v[0:1], s[0:1], v3, s26, v[0:1]
	v_mad_u64_u32 v[2:3], s[0:1], v3, s27, v[2:3]
.LBB370_229:
	global_load_dwordx2 v[1:2], v2, s[18:19]
	v_add_u32_e32 v19, 0x80, v19
	s_waitcnt vmcnt(0)
	v_cmp_ne_u64_e32 vcc, s[40:41], v[1:2]
	s_xor_b64 s[0:1], s[42:43], vcc
	v_cndmask_b32_e64 v1, 0, 1, s[0:1]
	global_store_byte v0, v1, s[16:17]
	s_or_b64 exec, exec, s[52:53]
	v_cmp_gt_i32_e32 vcc, s59, v19
	s_and_saveexec_b64 s[52:53], vcc
	s_cbranch_execz .LBB370_220
.LBB370_230:
	s_andn2_b64 vcc, exec, s[36:37]
	s_cbranch_vccnz .LBB370_235
; %bb.231:
	s_andn2_b64 vcc, exec, s[50:51]
	s_cbranch_vccnz .LBB370_236
; %bb.232:
	s_add_i32 s60, s60, 1
	s_cmp_eq_u32 s58, 2
	s_cbranch_scc1 .LBB370_237
; %bb.233:
	s_and_b32 s54, s60, 28
	v_mov_b32_e32 v2, 0
	s_mov_b32 s55, 0
	s_mov_b64 s[50:51], s[34:35]
	v_mov_b32_e32 v0, 0
	v_mov_b32_e32 v1, v19
.LBB370_234:                            ; =>This Inner Loop Header: Depth=1
	s_load_dwordx8 s[8:15], s[50:51], 0x4
	s_load_dwordx4 s[28:31], s[50:51], 0x24
	s_load_dwordx8 s[0:7], s[48:49], 0x0
	s_add_u32 s50, s50, 48
	s_addc_u32 s51, s51, 0
	s_waitcnt lgkmcnt(0)
	v_mul_hi_u32 v3, s9, v1
	s_add_i32 s55, s55, 4
	s_add_u32 s48, s48, 32
	s_addc_u32 s49, s49, 0
	v_add_u32_e32 v3, v1, v3
	v_lshrrev_b32_e32 v3, s10, v3
	v_mul_lo_u32 v4, v3, s8
	v_mul_hi_u32 v5, s12, v3
	s_cmp_eq_u32 s54, s55
	v_sub_u32_e32 v1, v1, v4
	v_add_u32_e32 v4, v3, v5
	v_mul_lo_u32 v5, v1, s0
	v_mul_lo_u32 v6, v1, s1
	v_lshrrev_b32_e32 v1, s13, v4
	v_mul_lo_u32 v4, v1, s11
	v_mul_hi_u32 v7, s15, v1
	v_sub_u32_e32 v3, v3, v4
	v_add_u32_e32 v4, v1, v7
	v_lshrrev_b32_e32 v4, s28, v4
	v_mul_hi_u32 v8, s30, v4
	v_mul_lo_u32 v9, v4, s14
	v_mul_lo_u32 v7, v3, s2
	;; [unrolled: 1-line block ×3, first 2 shown]
	v_sub_u32_e32 v9, v1, v9
	v_add_u32_e32 v1, v4, v8
	v_lshrrev_b32_e32 v1, s31, v1
	v_mul_lo_u32 v8, v1, s29
	v_mul_lo_u32 v10, v9, s4
	;; [unrolled: 1-line block ×3, first 2 shown]
	v_add3_u32 v0, v5, v0, v7
	v_sub_u32_e32 v4, v4, v8
	v_mul_lo_u32 v8, v4, s6
	v_mul_lo_u32 v4, v4, s7
	v_add3_u32 v2, v6, v2, v3
	v_add3_u32 v0, v10, v0, v8
	;; [unrolled: 1-line block ×3, first 2 shown]
	s_cbranch_scc0 .LBB370_234
	s_branch .LBB370_238
.LBB370_235:
                                        ; implicit-def: $vgpr0
                                        ; implicit-def: $vgpr2
	s_branch .LBB370_242
.LBB370_236:
	v_mov_b32_e32 v0, 0
	v_mov_b32_e32 v2, 0
	s_branch .LBB370_241
.LBB370_237:
	s_mov_b32 s54, 0
	v_mov_b32_e32 v0, 0
	v_mov_b32_e32 v2, 0
	;; [unrolled: 1-line block ×3, first 2 shown]
.LBB370_238:
	s_and_b32 s4, s60, 3
	s_cmp_eq_u32 s4, 0
	s_cbranch_scc1 .LBB370_241
; %bb.239:
	s_lshl_b32 s0, s54, 3
	s_add_u32 s0, s34, s0
	s_addc_u32 s1, s35, 0
	s_add_u32 s0, s0, 0xc4
	s_addc_u32 s1, s1, 0
	s_mul_i32 s2, s54, 12
	s_add_u32 s2, s34, s2
	s_addc_u32 s3, s35, 0
.LBB370_240:                            ; =>This Inner Loop Header: Depth=1
	s_load_dwordx2 s[6:7], s[2:3], 0x4
	s_load_dword s5, s[2:3], 0xc
	s_load_dwordx2 s[8:9], s[0:1], 0x0
	s_add_u32 s2, s2, 12
	s_addc_u32 s3, s3, 0
	s_waitcnt lgkmcnt(0)
	v_mul_hi_u32 v3, s7, v1
	s_add_u32 s0, s0, 8
	s_addc_u32 s1, s1, 0
	s_add_i32 s4, s4, -1
	v_add_u32_e32 v3, v1, v3
	v_lshrrev_b32_e32 v4, s5, v3
	v_mul_lo_u32 v3, v4, s6
	s_cmp_lg_u32 s4, 0
	v_sub_u32_e32 v3, v1, v3
	v_mad_u64_u32 v[0:1], s[6:7], v3, s8, v[0:1]
	v_mad_u64_u32 v[2:3], s[6:7], v3, s9, v[2:3]
	v_mov_b32_e32 v1, v4
	s_cbranch_scc1 .LBB370_240
.LBB370_241:
	s_cbranch_execnz .LBB370_244
.LBB370_242:
	v_mul_hi_u32 v0, s21, v19
	s_andn2_b64 vcc, exec, s[46:47]
	v_add_u32_e32 v0, v19, v0
	v_lshrrev_b32_e32 v1, s22, v0
	v_mul_lo_u32 v0, v1, s20
	v_sub_u32_e32 v2, v19, v0
	v_mul_lo_u32 v0, v2, s24
	v_mul_lo_u32 v2, v2, s25
	s_cbranch_vccnz .LBB370_244
; %bb.243:
	v_mul_hi_u32 v3, s44, v1
	v_add_u32_e32 v3, v1, v3
	v_lshrrev_b32_e32 v3, s45, v3
	v_mul_lo_u32 v3, v3, s23
	v_sub_u32_e32 v3, v1, v3
	v_mad_u64_u32 v[0:1], s[0:1], v3, s26, v[0:1]
	v_mad_u64_u32 v[2:3], s[0:1], v3, s27, v[2:3]
.LBB370_244:
	global_load_dwordx2 v[1:2], v2, s[18:19]
	s_waitcnt vmcnt(0)
	v_cmp_ne_u64_e32 vcc, s[40:41], v[1:2]
	s_xor_b64 s[0:1], s[42:43], vcc
	v_cndmask_b32_e64 v1, 0, 1, s[0:1]
	global_store_byte v0, v1, s[16:17]
	s_or_b64 exec, exec, s[52:53]
                                        ; implicit-def: $vgpr25
                                        ; implicit-def: $vgpr19
	s_andn2_saveexec_b64 s[0:1], s[38:39]
	s_cbranch_execz .LBB370_221
	s_branch .LBB370_8
	.section	.rodata,"a",@progbits
	.p2align	6, 0x0
	.amdhsa_kernel _ZN2at6native32elementwise_kernel_manual_unrollILi128ELi8EZNS0_22gpu_kernel_impl_nocastINS0_13AUnaryFunctorImmbNS0_12_GLOBAL__N_116CompareEqFunctorImEEEEEEvRNS_18TensorIteratorBaseERKT_EUlibE_EEviT1_
		.amdhsa_group_segment_fixed_size 0
		.amdhsa_private_segment_fixed_size 0
		.amdhsa_kernarg_size 368
		.amdhsa_user_sgpr_count 6
		.amdhsa_user_sgpr_private_segment_buffer 1
		.amdhsa_user_sgpr_dispatch_ptr 0
		.amdhsa_user_sgpr_queue_ptr 0
		.amdhsa_user_sgpr_kernarg_segment_ptr 1
		.amdhsa_user_sgpr_dispatch_id 0
		.amdhsa_user_sgpr_flat_scratch_init 0
		.amdhsa_user_sgpr_private_segment_size 0
		.amdhsa_uses_dynamic_stack 0
		.amdhsa_system_sgpr_private_segment_wavefront_offset 0
		.amdhsa_system_sgpr_workgroup_id_x 1
		.amdhsa_system_sgpr_workgroup_id_y 0
		.amdhsa_system_sgpr_workgroup_id_z 0
		.amdhsa_system_sgpr_workgroup_info 0
		.amdhsa_system_vgpr_workitem_id 0
		.amdhsa_next_free_vgpr 28
		.amdhsa_next_free_sgpr 64
		.amdhsa_reserve_vcc 1
		.amdhsa_reserve_flat_scratch 0
		.amdhsa_float_round_mode_32 0
		.amdhsa_float_round_mode_16_64 0
		.amdhsa_float_denorm_mode_32 3
		.amdhsa_float_denorm_mode_16_64 3
		.amdhsa_dx10_clamp 1
		.amdhsa_ieee_mode 1
		.amdhsa_fp16_overflow 0
		.amdhsa_exception_fp_ieee_invalid_op 0
		.amdhsa_exception_fp_denorm_src 0
		.amdhsa_exception_fp_ieee_div_zero 0
		.amdhsa_exception_fp_ieee_overflow 0
		.amdhsa_exception_fp_ieee_underflow 0
		.amdhsa_exception_fp_ieee_inexact 0
		.amdhsa_exception_int_div_zero 0
	.end_amdhsa_kernel
	.section	.text._ZN2at6native32elementwise_kernel_manual_unrollILi128ELi8EZNS0_22gpu_kernel_impl_nocastINS0_13AUnaryFunctorImmbNS0_12_GLOBAL__N_116CompareEqFunctorImEEEEEEvRNS_18TensorIteratorBaseERKT_EUlibE_EEviT1_,"axG",@progbits,_ZN2at6native32elementwise_kernel_manual_unrollILi128ELi8EZNS0_22gpu_kernel_impl_nocastINS0_13AUnaryFunctorImmbNS0_12_GLOBAL__N_116CompareEqFunctorImEEEEEEvRNS_18TensorIteratorBaseERKT_EUlibE_EEviT1_,comdat
.Lfunc_end370:
	.size	_ZN2at6native32elementwise_kernel_manual_unrollILi128ELi8EZNS0_22gpu_kernel_impl_nocastINS0_13AUnaryFunctorImmbNS0_12_GLOBAL__N_116CompareEqFunctorImEEEEEEvRNS_18TensorIteratorBaseERKT_EUlibE_EEviT1_, .Lfunc_end370-_ZN2at6native32elementwise_kernel_manual_unrollILi128ELi8EZNS0_22gpu_kernel_impl_nocastINS0_13AUnaryFunctorImmbNS0_12_GLOBAL__N_116CompareEqFunctorImEEEEEEvRNS_18TensorIteratorBaseERKT_EUlibE_EEviT1_
                                        ; -- End function
	.set _ZN2at6native32elementwise_kernel_manual_unrollILi128ELi8EZNS0_22gpu_kernel_impl_nocastINS0_13AUnaryFunctorImmbNS0_12_GLOBAL__N_116CompareEqFunctorImEEEEEEvRNS_18TensorIteratorBaseERKT_EUlibE_EEviT1_.num_vgpr, 28
	.set _ZN2at6native32elementwise_kernel_manual_unrollILi128ELi8EZNS0_22gpu_kernel_impl_nocastINS0_13AUnaryFunctorImmbNS0_12_GLOBAL__N_116CompareEqFunctorImEEEEEEvRNS_18TensorIteratorBaseERKT_EUlibE_EEviT1_.num_agpr, 0
	.set _ZN2at6native32elementwise_kernel_manual_unrollILi128ELi8EZNS0_22gpu_kernel_impl_nocastINS0_13AUnaryFunctorImmbNS0_12_GLOBAL__N_116CompareEqFunctorImEEEEEEvRNS_18TensorIteratorBaseERKT_EUlibE_EEviT1_.numbered_sgpr, 64
	.set _ZN2at6native32elementwise_kernel_manual_unrollILi128ELi8EZNS0_22gpu_kernel_impl_nocastINS0_13AUnaryFunctorImmbNS0_12_GLOBAL__N_116CompareEqFunctorImEEEEEEvRNS_18TensorIteratorBaseERKT_EUlibE_EEviT1_.num_named_barrier, 0
	.set _ZN2at6native32elementwise_kernel_manual_unrollILi128ELi8EZNS0_22gpu_kernel_impl_nocastINS0_13AUnaryFunctorImmbNS0_12_GLOBAL__N_116CompareEqFunctorImEEEEEEvRNS_18TensorIteratorBaseERKT_EUlibE_EEviT1_.private_seg_size, 0
	.set _ZN2at6native32elementwise_kernel_manual_unrollILi128ELi8EZNS0_22gpu_kernel_impl_nocastINS0_13AUnaryFunctorImmbNS0_12_GLOBAL__N_116CompareEqFunctorImEEEEEEvRNS_18TensorIteratorBaseERKT_EUlibE_EEviT1_.uses_vcc, 1
	.set _ZN2at6native32elementwise_kernel_manual_unrollILi128ELi8EZNS0_22gpu_kernel_impl_nocastINS0_13AUnaryFunctorImmbNS0_12_GLOBAL__N_116CompareEqFunctorImEEEEEEvRNS_18TensorIteratorBaseERKT_EUlibE_EEviT1_.uses_flat_scratch, 0
	.set _ZN2at6native32elementwise_kernel_manual_unrollILi128ELi8EZNS0_22gpu_kernel_impl_nocastINS0_13AUnaryFunctorImmbNS0_12_GLOBAL__N_116CompareEqFunctorImEEEEEEvRNS_18TensorIteratorBaseERKT_EUlibE_EEviT1_.has_dyn_sized_stack, 0
	.set _ZN2at6native32elementwise_kernel_manual_unrollILi128ELi8EZNS0_22gpu_kernel_impl_nocastINS0_13AUnaryFunctorImmbNS0_12_GLOBAL__N_116CompareEqFunctorImEEEEEEvRNS_18TensorIteratorBaseERKT_EUlibE_EEviT1_.has_recursion, 0
	.set _ZN2at6native32elementwise_kernel_manual_unrollILi128ELi8EZNS0_22gpu_kernel_impl_nocastINS0_13AUnaryFunctorImmbNS0_12_GLOBAL__N_116CompareEqFunctorImEEEEEEvRNS_18TensorIteratorBaseERKT_EUlibE_EEviT1_.has_indirect_call, 0
	.section	.AMDGPU.csdata,"",@progbits
; Kernel info:
; codeLenInByte = 11444
; TotalNumSgprs: 68
; NumVgprs: 28
; ScratchSize: 0
; MemoryBound: 0
; FloatMode: 240
; IeeeMode: 1
; LDSByteSize: 0 bytes/workgroup (compile time only)
; SGPRBlocks: 8
; VGPRBlocks: 6
; NumSGPRsForWavesPerEU: 68
; NumVGPRsForWavesPerEU: 28
; Occupancy: 9
; WaveLimiterHint : 1
; COMPUTE_PGM_RSRC2:SCRATCH_EN: 0
; COMPUTE_PGM_RSRC2:USER_SGPR: 6
; COMPUTE_PGM_RSRC2:TRAP_HANDLER: 0
; COMPUTE_PGM_RSRC2:TGID_X_EN: 1
; COMPUTE_PGM_RSRC2:TGID_Y_EN: 0
; COMPUTE_PGM_RSRC2:TGID_Z_EN: 0
; COMPUTE_PGM_RSRC2:TIDIG_COMP_CNT: 0
	.section	.text._ZN2at6native32elementwise_kernel_manual_unrollILi128ELi4EZNS0_15gpu_kernel_implINS0_13AUnaryFunctorImmbNS0_12_GLOBAL__N_116CompareEqFunctorImEEEEEEvRNS_18TensorIteratorBaseERKT_EUlibE_EEviT1_,"axG",@progbits,_ZN2at6native32elementwise_kernel_manual_unrollILi128ELi4EZNS0_15gpu_kernel_implINS0_13AUnaryFunctorImmbNS0_12_GLOBAL__N_116CompareEqFunctorImEEEEEEvRNS_18TensorIteratorBaseERKT_EUlibE_EEviT1_,comdat
	.globl	_ZN2at6native32elementwise_kernel_manual_unrollILi128ELi4EZNS0_15gpu_kernel_implINS0_13AUnaryFunctorImmbNS0_12_GLOBAL__N_116CompareEqFunctorImEEEEEEvRNS_18TensorIteratorBaseERKT_EUlibE_EEviT1_ ; -- Begin function _ZN2at6native32elementwise_kernel_manual_unrollILi128ELi4EZNS0_15gpu_kernel_implINS0_13AUnaryFunctorImmbNS0_12_GLOBAL__N_116CompareEqFunctorImEEEEEEvRNS_18TensorIteratorBaseERKT_EUlibE_EEviT1_
	.p2align	8
	.type	_ZN2at6native32elementwise_kernel_manual_unrollILi128ELi4EZNS0_15gpu_kernel_implINS0_13AUnaryFunctorImmbNS0_12_GLOBAL__N_116CompareEqFunctorImEEEEEEvRNS_18TensorIteratorBaseERKT_EUlibE_EEviT1_,@function
_ZN2at6native32elementwise_kernel_manual_unrollILi128ELi4EZNS0_15gpu_kernel_implINS0_13AUnaryFunctorImmbNS0_12_GLOBAL__N_116CompareEqFunctorImEEEEEEvRNS_18TensorIteratorBaseERKT_EUlibE_EEviT1_: ; @_ZN2at6native32elementwise_kernel_manual_unrollILi128ELi4EZNS0_15gpu_kernel_implINS0_13AUnaryFunctorImmbNS0_12_GLOBAL__N_116CompareEqFunctorImEEEEEEvRNS_18TensorIteratorBaseERKT_EUlibE_EEviT1_
; %bb.0:
	s_load_dword s33, s[4:5], 0x30
	s_load_dwordx2 s[2:3], s[4:5], 0x28
	s_load_dword s44, s[4:5], 0x0
	s_load_dwordx8 s[8:15], s[4:5], 0x8
	v_lshl_or_b32 v10, s6, 9, v0
	v_or_b32_e32 v0, 0x180, v10
	s_waitcnt lgkmcnt(0)
	s_bfe_u32 s15, s33, 0x80008
	v_cmp_le_i32_e32 vcc, s44, v0
	s_mov_b64 s[4:5], 0
	s_mov_b64 s[16:17], 0
	s_and_saveexec_b64 s[0:1], vcc
	s_xor_b64 s[6:7], exec, s[0:1]
	s_cbranch_execz .LBB371_1011
; %bb.1:
	s_cmp_eq_u32 s14, 0
	s_cselect_b64 s[16:17], -1, 0
	v_cmp_gt_i32_e32 vcc, s44, v10
	s_mov_b64 s[24:25], -1
	s_mov_b64 s[26:27], 0
	s_mov_b64 s[20:21], 0
	;; [unrolled: 1-line block ×3, first 2 shown]
	s_and_saveexec_b64 s[22:23], vcc
	s_cbranch_execz .LBB371_248
; %bb.2:
	v_mul_lo_u32 v0, v10, s13
	v_mov_b32_e32 v1, s11
	s_and_b32 s24, 0xffff, s15
	s_cmp_lt_i32 s24, 11
	v_ashrrev_i32_e32 v2, 31, v0
	v_add_co_u32_e32 v0, vcc, s10, v0
	v_addc_co_u32_e32 v1, vcc, v1, v2, vcc
	s_cbranch_scc1 .LBB371_9
; %bb.3:
	s_cmp_gt_i32 s24, 25
	s_cbranch_scc0 .LBB371_18
; %bb.4:
	s_cmp_gt_i32 s24, 28
	s_cbranch_scc0 .LBB371_22
	;; [unrolled: 3-line block ×4, first 2 shown]
; %bb.7:
	s_cmp_eq_u32 s24, 46
	s_cbranch_scc0 .LBB371_28
; %bb.8:
	global_load_dword v2, v[0:1], off
	s_mov_b64 s[0:1], -1
	s_waitcnt vmcnt(0)
	v_lshlrev_b32_e32 v2, 16, v2
	v_trunc_f32_e32 v2, v2
	v_mul_f32_e32 v3, 0x2f800000, v2
	v_floor_f32_e32 v3, v3
	v_fmac_f32_e32 v2, 0xcf800000, v3
	v_cvt_u32_f32_e32 v2, v2
	v_cvt_u32_f32_e32 v3, v3
	s_branch .LBB371_30
.LBB371_9:
                                        ; implicit-def: $vgpr2_vgpr3
	s_mov_b64 s[0:1], 0
	s_cbranch_execnz .LBB371_199
.LBB371_10:
	s_andn2_b64 vcc, exec, s[0:1]
	s_cbranch_vccnz .LBB371_246
.LBB371_11:
	v_mul_lo_u32 v0, v10, s12
	s_waitcnt vmcnt(0)
	v_cmp_ne_u64_e32 vcc, s[2:3], v[2:3]
	v_mov_b32_e32 v1, s9
	s_xor_b64 s[18:19], s[16:17], vcc
	v_ashrrev_i32_e32 v2, 31, v0
	s_and_b32 s34, s33, 0xff
	v_add_co_u32_e32 v0, vcc, s8, v0
	s_cmp_lt_i32 s34, 11
	v_addc_co_u32_e32 v1, vcc, v1, v2, vcc
	s_cbranch_scc1 .LBB371_19
; %bb.12:
	s_and_b32 s35, 0xffff, s34
	s_cmp_gt_i32 s35, 25
	s_cbranch_scc0 .LBB371_23
; %bb.13:
	s_cmp_gt_i32 s35, 28
	s_cbranch_scc0 .LBB371_25
; %bb.14:
	;; [unrolled: 3-line block ×4, first 2 shown]
	s_mov_b64 s[28:29], 0
	s_mov_b64 s[0:1], -1
	s_cmp_eq_u32 s35, 46
	s_mov_b64 s[24:25], 0
	s_cbranch_scc0 .LBB371_34
; %bb.17:
	v_cndmask_b32_e64 v2, 0, 1.0, s[18:19]
	v_bfe_u32 v3, v2, 16, 1
	s_movk_i32 s0, 0x7fff
	v_add3_u32 v2, v2, v3, s0
	v_lshrrev_b32_e32 v2, 16, v2
	global_store_dword v[0:1], v2, off
	s_mov_b64 s[24:25], -1
	s_mov_b64 s[0:1], 0
	s_branch .LBB371_34
.LBB371_18:
	s_mov_b64 s[0:1], 0
                                        ; implicit-def: $vgpr2_vgpr3
	s_cbranch_execnz .LBB371_168
	s_branch .LBB371_198
.LBB371_19:
	s_mov_b64 s[0:1], 0
	s_mov_b64 s[24:25], 0
	s_cbranch_execnz .LBB371_103
.LBB371_20:
	s_andn2_b64 vcc, exec, s[24:25]
	s_cbranch_vccnz .LBB371_141
.LBB371_21:
	v_add_u32_e32 v10, 0x80, v10
	s_mov_b64 s[24:25], -1
	s_branch .LBB371_247
.LBB371_22:
	s_mov_b64 s[18:19], -1
	s_mov_b64 s[0:1], 0
                                        ; implicit-def: $vgpr2_vgpr3
	s_branch .LBB371_149
.LBB371_23:
	s_mov_b64 s[28:29], -1
	s_mov_b64 s[0:1], 0
	s_mov_b64 s[24:25], 0
	s_branch .LBB371_61
.LBB371_24:
	s_mov_b64 s[18:19], -1
	s_mov_b64 s[0:1], 0
                                        ; implicit-def: $vgpr2_vgpr3
	s_branch .LBB371_144
.LBB371_25:
	s_mov_b64 s[28:29], -1
	s_mov_b64 s[0:1], 0
	s_mov_b64 s[24:25], 0
	s_branch .LBB371_44
.LBB371_26:
	s_mov_b64 s[18:19], -1
	s_branch .LBB371_29
.LBB371_27:
	s_mov_b64 s[28:29], -1
	s_mov_b64 s[0:1], 0
	s_mov_b64 s[24:25], 0
	s_branch .LBB371_40
.LBB371_28:
	s_mov_b64 s[20:21], -1
.LBB371_29:
	s_mov_b64 s[0:1], 0
                                        ; implicit-def: $vgpr2_vgpr3
.LBB371_30:
	s_and_b64 vcc, exec, s[18:19]
	s_cbranch_vccz .LBB371_143
; %bb.31:
	s_cmp_eq_u32 s24, 44
	s_cbranch_scc0 .LBB371_142
; %bb.32:
	global_load_ubyte v2, v[0:1], off
	s_mov_b64 s[0:1], -1
	s_mov_b64 s[20:21], 0
	s_waitcnt vmcnt(0)
	v_lshlrev_b32_e32 v3, 23, v2
	v_trunc_f32_e32 v3, v3
	v_mul_f32_e32 v4, 0x2f800000, v3
	v_floor_f32_e32 v4, v4
	v_fmac_f32_e32 v3, 0xcf800000, v4
	v_cvt_u32_f32_e32 v4, v4
	v_cvt_u32_f32_e32 v5, v3
	v_cmp_ne_u32_e32 vcc, 0, v2
	v_cndmask_b32_e32 v3, 0, v4, vcc
	v_cndmask_b32_e32 v2, 0, v5, vcc
	s_branch .LBB371_143
.LBB371_33:
	s_mov_b64 s[28:29], -1
	s_mov_b64 s[0:1], 0
	s_mov_b64 s[24:25], 0
.LBB371_34:
	s_and_b64 vcc, exec, s[28:29]
	s_cbranch_vccz .LBB371_39
; %bb.35:
	s_cmp_eq_u32 s35, 44
	s_mov_b64 s[0:1], -1
	s_cbranch_scc0 .LBB371_39
; %bb.36:
	v_cndmask_b32_e64 v3, 0, 1.0, s[18:19]
	v_lshrrev_b32_e32 v2, 23, v3
	s_movk_i32 s0, 0xff
	v_cmp_ne_u32_e32 vcc, s0, v2
	v_mov_b32_e32 v4, 0xff
	s_and_saveexec_b64 s[24:25], vcc
; %bb.37:
	s_mov_b32 s0, 0x3fffff
	v_and_b32_e32 v4, 0x400000, v3
	v_and_or_b32 v3, v3, s0, v2
	v_cmp_ne_u32_e32 vcc, 0, v4
	v_cmp_ne_u32_e64 s[0:1], 0, v3
	s_and_b64 s[0:1], vcc, s[0:1]
	v_cndmask_b32_e64 v3, 0, 1, s[0:1]
	v_add_u32_e32 v4, v2, v3
; %bb.38:
	s_or_b64 exec, exec, s[24:25]
	s_mov_b64 s[24:25], -1
	s_mov_b64 s[0:1], 0
	global_store_byte v[0:1], v4, off
.LBB371_39:
	s_mov_b64 s[28:29], 0
.LBB371_40:
	s_and_b64 vcc, exec, s[28:29]
	s_cbranch_vccz .LBB371_43
; %bb.41:
	s_cmp_eq_u32 s35, 29
	s_mov_b64 s[0:1], -1
	s_cbranch_scc0 .LBB371_43
; %bb.42:
	s_mov_b32 s0, 0
	v_cndmask_b32_e64 v2, 0, 1, s[18:19]
	v_mov_b32_e32 v3, s0
	global_store_dwordx2 v[0:1], v[2:3], off
	s_mov_b64 s[24:25], -1
	s_mov_b64 s[0:1], 0
.LBB371_43:
	s_mov_b64 s[28:29], 0
.LBB371_44:
	s_and_b64 vcc, exec, s[28:29]
	s_cbranch_vccz .LBB371_60
; %bb.45:
	s_cmp_lt_i32 s35, 27
	s_mov_b64 s[24:25], -1
	s_cbranch_scc1 .LBB371_51
; %bb.46:
	s_cmp_gt_i32 s35, 27
	s_cbranch_scc0 .LBB371_48
; %bb.47:
	v_cndmask_b32_e64 v2, 0, 1, s[18:19]
	s_mov_b64 s[24:25], 0
	global_store_dword v[0:1], v2, off
.LBB371_48:
	s_andn2_b64 vcc, exec, s[24:25]
	s_cbranch_vccnz .LBB371_50
; %bb.49:
	v_cndmask_b32_e64 v2, 0, 1, s[18:19]
	global_store_short v[0:1], v2, off
.LBB371_50:
	s_mov_b64 s[24:25], 0
.LBB371_51:
	s_andn2_b64 vcc, exec, s[24:25]
	s_cbranch_vccnz .LBB371_59
; %bb.52:
	v_cndmask_b32_e64 v3, 0, 1.0, s[18:19]
	s_mov_b32 s24, 0x43800000
	v_cmp_gt_u32_e32 vcc, s24, v3
	v_mov_b32_e32 v4, 0x80
	s_and_saveexec_b64 s[24:25], vcc
	s_cbranch_execz .LBB371_58
; %bb.53:
	s_mov_b32 s28, 0x3bffffff
	v_cmp_lt_u32_e32 vcc, s28, v3
	s_mov_b64 s[28:29], 0
                                        ; implicit-def: $vgpr2
	s_and_saveexec_b64 s[30:31], vcc
	s_xor_b64 s[30:31], exec, s[30:31]
	s_cbranch_execz .LBB371_275
; %bb.54:
	v_bfe_u32 v2, v3, 20, 1
	s_mov_b32 s36, 0x487ffff
	v_add3_u32 v2, v3, v2, s36
	s_mov_b64 s[28:29], exec
	v_lshrrev_b32_e32 v2, 20, v2
                                        ; implicit-def: $vgpr3
	s_andn2_saveexec_b64 s[30:31], s[30:31]
	s_cbranch_execnz .LBB371_276
.LBB371_55:
	s_or_b64 exec, exec, s[30:31]
	v_mov_b32_e32 v4, 0
	s_and_saveexec_b64 s[30:31], s[28:29]
.LBB371_56:
	v_mov_b32_e32 v4, v2
.LBB371_57:
	s_or_b64 exec, exec, s[30:31]
.LBB371_58:
	s_or_b64 exec, exec, s[24:25]
	global_store_byte v[0:1], v4, off
.LBB371_59:
	s_mov_b64 s[24:25], -1
.LBB371_60:
	s_mov_b64 s[28:29], 0
.LBB371_61:
	s_and_b64 vcc, exec, s[28:29]
	s_cbranch_vccz .LBB371_102
; %bb.62:
	s_cmp_gt_i32 s35, 22
	s_mov_b64 s[28:29], -1
	s_cbranch_scc0 .LBB371_94
; %bb.63:
	s_cmp_lt_i32 s35, 24
	s_mov_b64 s[24:25], -1
	s_cbranch_scc1 .LBB371_83
; %bb.64:
	s_cmp_gt_i32 s35, 24
	s_cbranch_scc0 .LBB371_72
; %bb.65:
	v_cndmask_b32_e64 v3, 0, 1.0, s[18:19]
	s_mov_b32 s24, 0x47800000
	v_cmp_gt_u32_e32 vcc, s24, v3
	v_mov_b32_e32 v4, 0x80
	s_and_saveexec_b64 s[24:25], vcc
	s_cbranch_execz .LBB371_71
; %bb.66:
	s_mov_b32 s28, 0x37ffffff
	v_cmp_lt_u32_e32 vcc, s28, v3
	s_mov_b64 s[28:29], 0
                                        ; implicit-def: $vgpr2
	s_and_saveexec_b64 s[30:31], vcc
	s_xor_b64 s[30:31], exec, s[30:31]
	s_cbranch_execz .LBB371_279
; %bb.67:
	v_bfe_u32 v2, v3, 21, 1
	s_mov_b32 s36, 0x88fffff
	v_add3_u32 v2, v3, v2, s36
	s_mov_b64 s[28:29], exec
	v_lshrrev_b32_e32 v2, 21, v2
                                        ; implicit-def: $vgpr3
	s_andn2_saveexec_b64 s[30:31], s[30:31]
	s_cbranch_execnz .LBB371_280
.LBB371_68:
	s_or_b64 exec, exec, s[30:31]
	v_mov_b32_e32 v4, 0
	s_and_saveexec_b64 s[30:31], s[28:29]
.LBB371_69:
	v_mov_b32_e32 v4, v2
.LBB371_70:
	s_or_b64 exec, exec, s[30:31]
.LBB371_71:
	s_or_b64 exec, exec, s[24:25]
	s_mov_b64 s[24:25], 0
	global_store_byte v[0:1], v4, off
.LBB371_72:
	s_and_b64 vcc, exec, s[24:25]
	s_cbranch_vccz .LBB371_82
; %bb.73:
	v_cndmask_b32_e64 v2, 0, 1.0, s[18:19]
	s_mov_b32 s24, 0x43f00000
	v_cmp_gt_u32_e32 vcc, s24, v2
                                        ; implicit-def: $vgpr3
	s_and_saveexec_b64 s[24:25], vcc
	s_xor_b64 s[24:25], exec, s[24:25]
	s_cbranch_execz .LBB371_79
; %bb.74:
	s_mov_b32 s28, 0x3c7fffff
	v_cmp_lt_u32_e32 vcc, s28, v2
                                        ; implicit-def: $vgpr3
	s_and_saveexec_b64 s[28:29], vcc
	s_xor_b64 s[28:29], exec, s[28:29]
; %bb.75:
	v_bfe_u32 v3, v2, 20, 1
	s_mov_b32 s30, 0x407ffff
	v_add3_u32 v2, v2, v3, s30
	v_lshrrev_b32_e32 v3, 20, v2
	v_and_b32_e32 v2, 0xff00000, v2
	s_mov_b32 s30, 0x7f00000
	v_mov_b32_e32 v4, 0x7e
	v_cmp_ne_u32_e32 vcc, s30, v2
	v_cndmask_b32_e32 v3, v4, v3, vcc
                                        ; implicit-def: $vgpr2
; %bb.76:
	s_andn2_saveexec_b64 s[28:29], s[28:29]
; %bb.77:
	v_add_f32_e32 v3, 0x46800000, v2
; %bb.78:
	s_or_b64 exec, exec, s[28:29]
                                        ; implicit-def: $vgpr2
.LBB371_79:
	s_andn2_saveexec_b64 s[24:25], s[24:25]
; %bb.80:
	s_mov_b32 s28, 0x7f800000
	v_mov_b32_e32 v3, 0x7e
	v_mov_b32_e32 v4, 0x7f
	v_cmp_lt_u32_e32 vcc, s28, v2
	v_cndmask_b32_e32 v3, v3, v4, vcc
; %bb.81:
	s_or_b64 exec, exec, s[24:25]
	global_store_byte v[0:1], v3, off
.LBB371_82:
	s_mov_b64 s[24:25], 0
.LBB371_83:
	s_andn2_b64 vcc, exec, s[24:25]
	s_cbranch_vccnz .LBB371_93
; %bb.84:
	v_cndmask_b32_e64 v2, 0, 1.0, s[18:19]
	s_mov_b32 s24, 0x47800000
	v_cmp_gt_u32_e32 vcc, s24, v2
                                        ; implicit-def: $vgpr3
	s_and_saveexec_b64 s[24:25], vcc
	s_xor_b64 s[24:25], exec, s[24:25]
	s_cbranch_execz .LBB371_90
; %bb.85:
	s_mov_b32 s28, 0x387fffff
	v_cmp_lt_u32_e32 vcc, s28, v2
                                        ; implicit-def: $vgpr3
	s_and_saveexec_b64 s[28:29], vcc
	s_xor_b64 s[28:29], exec, s[28:29]
; %bb.86:
	v_bfe_u32 v3, v2, 21, 1
	s_mov_b32 s30, 0x80fffff
	v_add3_u32 v2, v2, v3, s30
	v_lshrrev_b32_e32 v3, 21, v2
                                        ; implicit-def: $vgpr2
; %bb.87:
	s_andn2_saveexec_b64 s[28:29], s[28:29]
; %bb.88:
	v_add_f32_e32 v3, 0x43000000, v2
; %bb.89:
	s_or_b64 exec, exec, s[28:29]
                                        ; implicit-def: $vgpr2
.LBB371_90:
	s_andn2_saveexec_b64 s[24:25], s[24:25]
; %bb.91:
	s_mov_b32 s28, 0x7f800000
	v_mov_b32_e32 v3, 0x7c
	v_mov_b32_e32 v4, 0x7f
	v_cmp_lt_u32_e32 vcc, s28, v2
	v_cndmask_b32_e32 v3, v3, v4, vcc
; %bb.92:
	s_or_b64 exec, exec, s[24:25]
	global_store_byte v[0:1], v3, off
.LBB371_93:
	s_mov_b64 s[28:29], 0
	s_mov_b64 s[24:25], -1
.LBB371_94:
	s_andn2_b64 vcc, exec, s[28:29]
	s_cbranch_vccnz .LBB371_102
; %bb.95:
	s_cmp_gt_i32 s35, 14
	s_mov_b64 s[28:29], -1
	s_cbranch_scc0 .LBB371_99
; %bb.96:
	s_cmp_eq_u32 s35, 15
	s_mov_b64 s[0:1], -1
	s_cbranch_scc0 .LBB371_98
; %bb.97:
	v_cndmask_b32_e64 v2, 0, 1.0, s[18:19]
	v_bfe_u32 v3, v2, 16, 1
	s_movk_i32 s0, 0x7fff
	v_add3_u32 v2, v2, v3, s0
	global_store_short_d16_hi v[0:1], v2, off
	s_mov_b64 s[24:25], -1
	s_mov_b64 s[0:1], 0
.LBB371_98:
	s_mov_b64 s[28:29], 0
.LBB371_99:
	s_and_b64 vcc, exec, s[28:29]
	s_cbranch_vccz .LBB371_102
; %bb.100:
	s_cmp_eq_u32 s35, 11
	s_mov_b64 s[0:1], -1
	s_cbranch_scc0 .LBB371_102
; %bb.101:
	v_cndmask_b32_e64 v2, 0, 1, s[18:19]
	s_mov_b64 s[24:25], -1
	s_mov_b64 s[0:1], 0
	global_store_byte v[0:1], v2, off
.LBB371_102:
	s_branch .LBB371_20
.LBB371_103:
	s_and_b32 s28, 0xffff, s34
	s_cmp_lt_i32 s28, 5
	s_mov_b64 s[24:25], -1
	s_cbranch_scc1 .LBB371_124
; %bb.104:
	s_cmp_lt_i32 s28, 8
	s_cbranch_scc1 .LBB371_114
; %bb.105:
	s_cmp_lt_i32 s28, 9
	s_cbranch_scc1 .LBB371_111
; %bb.106:
	s_cmp_gt_i32 s28, 9
	s_cbranch_scc0 .LBB371_108
; %bb.107:
	v_cndmask_b32_e64 v2, 0, 1, s[18:19]
	v_cvt_f64_u32_e32 v[2:3], v2
	v_mov_b32_e32 v4, 0
	v_mov_b32_e32 v5, v4
	s_mov_b64 s[24:25], 0
	global_store_dwordx4 v[0:1], v[2:5], off
.LBB371_108:
	s_andn2_b64 vcc, exec, s[24:25]
	s_cbranch_vccnz .LBB371_110
; %bb.109:
	v_cndmask_b32_e64 v2, 0, 1.0, s[18:19]
	v_mov_b32_e32 v3, 0
	global_store_dwordx2 v[0:1], v[2:3], off
.LBB371_110:
	s_mov_b64 s[24:25], 0
.LBB371_111:
	s_andn2_b64 vcc, exec, s[24:25]
	s_cbranch_vccnz .LBB371_113
; %bb.112:
	v_cndmask_b32_e64 v2, 0, 1.0, s[18:19]
	v_cvt_f16_f32_e32 v2, v2
	global_store_dword v[0:1], v2, off
.LBB371_113:
	s_mov_b64 s[24:25], 0
.LBB371_114:
	s_andn2_b64 vcc, exec, s[24:25]
	s_cbranch_vccnz .LBB371_123
; %bb.115:
	s_cmp_lt_i32 s28, 6
	s_mov_b64 s[24:25], -1
	s_cbranch_scc1 .LBB371_121
; %bb.116:
	s_cmp_gt_i32 s28, 6
	s_cbranch_scc0 .LBB371_118
; %bb.117:
	v_cndmask_b32_e64 v2, 0, 1, s[18:19]
	v_cvt_f64_u32_e32 v[2:3], v2
	s_mov_b64 s[24:25], 0
	global_store_dwordx2 v[0:1], v[2:3], off
.LBB371_118:
	s_andn2_b64 vcc, exec, s[24:25]
	s_cbranch_vccnz .LBB371_120
; %bb.119:
	v_cndmask_b32_e64 v2, 0, 1.0, s[18:19]
	global_store_dword v[0:1], v2, off
.LBB371_120:
	s_mov_b64 s[24:25], 0
.LBB371_121:
	s_andn2_b64 vcc, exec, s[24:25]
	s_cbranch_vccnz .LBB371_123
; %bb.122:
	v_cndmask_b32_e64 v2, 0, 1.0, s[18:19]
	v_cvt_f16_f32_e32 v2, v2
	global_store_short v[0:1], v2, off
.LBB371_123:
	s_mov_b64 s[24:25], 0
.LBB371_124:
	s_andn2_b64 vcc, exec, s[24:25]
	s_cbranch_vccnz .LBB371_140
; %bb.125:
	s_cmp_lt_i32 s28, 2
	s_mov_b64 s[24:25], -1
	s_cbranch_scc1 .LBB371_135
; %bb.126:
	s_cmp_lt_i32 s28, 3
	s_cbranch_scc1 .LBB371_132
; %bb.127:
	s_cmp_gt_i32 s28, 3
	s_cbranch_scc0 .LBB371_129
; %bb.128:
	s_mov_b32 s24, 0
	v_cndmask_b32_e64 v2, 0, 1, s[18:19]
	v_mov_b32_e32 v3, s24
	global_store_dwordx2 v[0:1], v[2:3], off
	s_mov_b64 s[24:25], 0
.LBB371_129:
	s_andn2_b64 vcc, exec, s[24:25]
	s_cbranch_vccnz .LBB371_131
; %bb.130:
	v_cndmask_b32_e64 v2, 0, 1, s[18:19]
	global_store_dword v[0:1], v2, off
.LBB371_131:
	s_mov_b64 s[24:25], 0
.LBB371_132:
	s_andn2_b64 vcc, exec, s[24:25]
	s_cbranch_vccnz .LBB371_134
; %bb.133:
	v_cndmask_b32_e64 v2, 0, 1, s[18:19]
	global_store_short v[0:1], v2, off
.LBB371_134:
	s_mov_b64 s[24:25], 0
.LBB371_135:
	s_andn2_b64 vcc, exec, s[24:25]
	s_cbranch_vccnz .LBB371_140
; %bb.136:
	s_mov_b64 s[24:25], -1
	s_cmp_gt_i32 s28, 0
	v_cndmask_b32_e64 v2, 0, 1, s[18:19]
	s_cbranch_scc0 .LBB371_138
; %bb.137:
	global_store_byte v[0:1], v2, off
	s_mov_b64 s[24:25], 0
.LBB371_138:
	s_andn2_b64 vcc, exec, s[24:25]
	s_cbranch_vccnz .LBB371_140
; %bb.139:
	global_store_byte v[0:1], v2, off
.LBB371_140:
	s_branch .LBB371_21
.LBB371_141:
	s_mov_b64 s[24:25], 0
                                        ; implicit-def: $vgpr10
	s_branch .LBB371_247
.LBB371_142:
	s_mov_b64 s[20:21], -1
                                        ; implicit-def: $vgpr2_vgpr3
.LBB371_143:
	s_mov_b64 s[18:19], 0
.LBB371_144:
	s_and_b64 vcc, exec, s[18:19]
	s_cbranch_vccz .LBB371_148
; %bb.145:
	s_cmp_eq_u32 s24, 29
	s_cbranch_scc0 .LBB371_147
; %bb.146:
	global_load_dwordx2 v[2:3], v[0:1], off
	s_mov_b64 s[0:1], -1
	s_mov_b64 s[20:21], 0
	s_branch .LBB371_148
.LBB371_147:
	s_mov_b64 s[20:21], -1
                                        ; implicit-def: $vgpr2_vgpr3
.LBB371_148:
	s_mov_b64 s[18:19], 0
.LBB371_149:
	s_and_b64 vcc, exec, s[18:19]
	s_cbranch_vccz .LBB371_167
; %bb.150:
	s_cmp_lt_i32 s24, 27
	s_cbranch_scc1 .LBB371_153
; %bb.151:
	s_cmp_gt_i32 s24, 27
	s_cbranch_scc0 .LBB371_154
; %bb.152:
	global_load_dword v2, v[0:1], off
	s_waitcnt vmcnt(1)
	v_mov_b32_e32 v3, 0
	s_mov_b64 s[0:1], 0
	s_branch .LBB371_155
.LBB371_153:
	s_mov_b64 s[0:1], -1
                                        ; implicit-def: $vgpr2_vgpr3
	s_branch .LBB371_158
.LBB371_154:
	s_mov_b64 s[0:1], -1
                                        ; implicit-def: $vgpr2_vgpr3
.LBB371_155:
	s_andn2_b64 vcc, exec, s[0:1]
	s_cbranch_vccnz .LBB371_157
; %bb.156:
	global_load_ushort v2, v[0:1], off
	s_mov_b32 s0, 0
	s_waitcnt vmcnt(1)
	v_mov_b32_e32 v3, s0
	s_waitcnt vmcnt(0)
	v_and_b32_e32 v2, 0xffff, v2
.LBB371_157:
	s_mov_b64 s[0:1], 0
.LBB371_158:
	s_andn2_b64 vcc, exec, s[0:1]
	s_cbranch_vccnz .LBB371_166
; %bb.159:
	global_load_ubyte v4, v[0:1], off
	s_movk_i32 s0, 0x7f
	s_mov_b64 s[18:19], 0
	s_waitcnt vmcnt(0)
	v_cmp_lt_i16_e32 vcc, s0, v4
	s_and_saveexec_b64 s[0:1], vcc
	s_xor_b64 s[0:1], exec, s[0:1]
; %bb.160:
	s_movk_i32 s18, 0x80
	v_cmp_ne_u16_e32 vcc, s18, v4
	s_and_b64 s[18:19], vcc, exec
; %bb.161:
	s_andn2_saveexec_b64 s[0:1], s[0:1]
; %bb.162:
	v_cmp_ne_u16_e32 vcc, 0, v4
	s_andn2_b64 s[18:19], s[18:19], exec
	s_and_b64 s[28:29], vcc, exec
	s_or_b64 s[18:19], s[18:19], s[28:29]
; %bb.163:
	s_or_b64 exec, exec, s[0:1]
	v_mov_b32_e32 v2, 0
	v_mov_b32_e32 v3, 0
	s_and_saveexec_b64 s[0:1], s[18:19]
	s_cbranch_execz .LBB371_165
; %bb.164:
	v_and_b32_e32 v3, 0xffff, v4
	v_lshlrev_b32_e32 v2, 24, v4
	v_and_b32_e32 v4, 7, v3
	v_ffbh_u32_e32 v6, v4
	v_min_u32_e32 v6, 32, v6
	v_subrev_u32_e32 v7, 28, v6
	v_bfe_u32 v5, v3, 3, 4
	v_lshlrev_b32_e32 v3, v7, v3
	v_sub_u32_e32 v6, 29, v6
	v_and_b32_e32 v3, 7, v3
	v_cmp_eq_u32_e32 vcc, 0, v5
	v_cndmask_b32_e32 v5, v5, v6, vcc
	v_cndmask_b32_e32 v3, v4, v3, vcc
	v_mov_b32_e32 v4, 0x3b800000
	v_lshlrev_b32_e32 v3, 20, v3
	v_and_b32_e32 v2, 0x80000000, v2
	v_lshl_add_u32 v4, v5, 23, v4
	v_or3_b32 v2, v2, v4, v3
	v_trunc_f32_e32 v2, v2
	v_mul_f32_e32 v3, 0x2f800000, v2
	v_floor_f32_e32 v3, v3
	v_fmac_f32_e32 v2, 0xcf800000, v3
	v_cvt_u32_f32_e32 v2, v2
	v_cvt_u32_f32_e32 v3, v3
.LBB371_165:
	s_or_b64 exec, exec, s[0:1]
.LBB371_166:
	s_mov_b64 s[0:1], -1
.LBB371_167:
	s_branch .LBB371_198
.LBB371_168:
	s_cmp_gt_i32 s24, 22
	s_cbranch_scc0 .LBB371_178
; %bb.169:
	s_cmp_lt_i32 s24, 24
	s_cbranch_scc1 .LBB371_179
; %bb.170:
	s_cmp_gt_i32 s24, 24
	s_cbranch_scc0 .LBB371_180
; %bb.171:
	global_load_ubyte v4, v[0:1], off
	s_movk_i32 s0, 0x7f
	s_mov_b64 s[18:19], 0
	s_waitcnt vmcnt(0)
	v_cmp_lt_i16_e32 vcc, s0, v4
	s_and_saveexec_b64 s[0:1], vcc
	s_xor_b64 s[0:1], exec, s[0:1]
; %bb.172:
	s_movk_i32 s18, 0x80
	v_cmp_ne_u16_e32 vcc, s18, v4
	s_and_b64 s[18:19], vcc, exec
; %bb.173:
	s_andn2_saveexec_b64 s[0:1], s[0:1]
; %bb.174:
	v_cmp_ne_u16_e32 vcc, 0, v4
	s_andn2_b64 s[18:19], s[18:19], exec
	s_and_b64 s[28:29], vcc, exec
	s_or_b64 s[18:19], s[18:19], s[28:29]
; %bb.175:
	s_or_b64 exec, exec, s[0:1]
	v_mov_b32_e32 v2, 0
	v_mov_b32_e32 v3, 0
	s_and_saveexec_b64 s[0:1], s[18:19]
	s_cbranch_execz .LBB371_177
; %bb.176:
	v_and_b32_e32 v3, 0xffff, v4
	v_lshlrev_b32_e32 v2, 24, v4
	v_and_b32_e32 v4, 3, v3
	v_ffbh_u32_e32 v6, v4
	v_min_u32_e32 v6, 32, v6
	v_subrev_u32_e32 v7, 29, v6
	v_bfe_u32 v5, v3, 2, 5
	v_lshlrev_b32_e32 v3, v7, v3
	v_sub_u32_e32 v6, 30, v6
	v_and_b32_e32 v3, 3, v3
	v_cmp_eq_u32_e32 vcc, 0, v5
	v_cndmask_b32_e32 v5, v5, v6, vcc
	v_cndmask_b32_e32 v3, v4, v3, vcc
	v_mov_b32_e32 v4, 0x37800000
	v_lshlrev_b32_e32 v3, 21, v3
	v_and_b32_e32 v2, 0x80000000, v2
	v_lshl_add_u32 v4, v5, 23, v4
	v_or3_b32 v2, v2, v4, v3
	v_trunc_f32_e32 v2, v2
	v_mul_f32_e32 v3, 0x2f800000, v2
	v_floor_f32_e32 v3, v3
	v_fmac_f32_e32 v2, 0xcf800000, v3
	v_cvt_u32_f32_e32 v2, v2
	v_cvt_u32_f32_e32 v3, v3
.LBB371_177:
	s_or_b64 exec, exec, s[0:1]
	s_mov_b64 s[0:1], 0
	s_branch .LBB371_181
.LBB371_178:
	s_mov_b64 s[18:19], -1
                                        ; implicit-def: $vgpr2_vgpr3
	s_branch .LBB371_187
.LBB371_179:
	s_mov_b64 s[0:1], -1
                                        ; implicit-def: $vgpr2_vgpr3
	s_branch .LBB371_184
.LBB371_180:
	s_mov_b64 s[0:1], -1
                                        ; implicit-def: $vgpr2_vgpr3
.LBB371_181:
	s_and_b64 vcc, exec, s[0:1]
	s_cbranch_vccz .LBB371_183
; %bb.182:
	global_load_ubyte v2, v[0:1], off
	s_mov_b32 s0, 0x7f800000
	s_brev_b32 s1, 1
	s_waitcnt vmcnt(0)
	v_lshlrev_b32_e32 v2, 24, v2
	v_and_b32_e32 v3, 0x7f000000, v2
	v_ffbh_u32_e32 v4, v3
	v_min_u32_e32 v4, 32, v4
	v_sub_u32_e64 v4, v4, 4 clamp
	v_lshlrev_b32_e32 v6, v4, v3
	v_lshlrev_b32_e32 v4, 23, v4
	v_lshrrev_b32_e32 v6, 4, v6
	v_add_u32_e32 v5, 0x1000000, v3
	v_sub_u32_e32 v4, v6, v4
	v_ashrrev_i32_e32 v5, 8, v5
	v_add_u32_e32 v4, 0x3c000000, v4
	v_and_or_b32 v4, v5, s0, v4
	v_cmp_ne_u32_e32 vcc, 0, v3
	v_cndmask_b32_e32 v3, 0, v4, vcc
	v_and_or_b32 v2, v2, s1, v3
	v_trunc_f32_e32 v2, v2
	v_mul_f32_e32 v3, 0x2f800000, v2
	v_floor_f32_e32 v3, v3
	v_fmac_f32_e32 v2, 0xcf800000, v3
	v_cvt_u32_f32_e32 v2, v2
	v_cvt_u32_f32_e32 v3, v3
.LBB371_183:
	s_mov_b64 s[0:1], 0
.LBB371_184:
	s_andn2_b64 vcc, exec, s[0:1]
	s_cbranch_vccnz .LBB371_186
; %bb.185:
	global_load_ubyte v2, v[0:1], off
	s_movk_i32 s0, 0x7f00
	s_brev_b32 s1, 16
	s_brev_b32 s18, 1
	s_waitcnt vmcnt(0)
	v_lshlrev_b16_e32 v3, 8, v2
	v_lshlrev_b32_e32 v2, 25, v2
	v_lshrrev_b32_e32 v4, 4, v2
	v_and_or_b32 v5, v3, s0, 0.5
	v_or_b32_e32 v4, 0x70000000, v4
	v_add_f32_e32 v5, -0.5, v5
	v_mul_f32_e32 v4, 0x7800000, v4
	v_cmp_gt_u32_e32 vcc, s1, v2
	v_bfe_i32 v3, v3, 0, 16
	v_cndmask_b32_e32 v2, v4, v5, vcc
	v_and_or_b32 v2, v3, s18, v2
	v_trunc_f32_e32 v2, v2
	v_mul_f32_e32 v3, 0x2f800000, v2
	v_floor_f32_e32 v3, v3
	v_fmac_f32_e32 v2, 0xcf800000, v3
	v_cvt_u32_f32_e32 v2, v2
	v_cvt_u32_f32_e32 v3, v3
.LBB371_186:
	s_mov_b64 s[18:19], 0
	s_mov_b64 s[0:1], -1
.LBB371_187:
	s_andn2_b64 vcc, exec, s[18:19]
	s_cbranch_vccnz .LBB371_198
; %bb.188:
	s_cmp_gt_i32 s24, 14
	s_cbranch_scc0 .LBB371_191
; %bb.189:
	s_cmp_eq_u32 s24, 15
	s_cbranch_scc0 .LBB371_192
; %bb.190:
	global_load_ushort v2, v[0:1], off
	s_mov_b64 s[0:1], -1
	s_mov_b64 s[20:21], 0
	s_waitcnt vmcnt(0)
	v_lshlrev_b32_e32 v2, 16, v2
	v_trunc_f32_e32 v2, v2
	v_mul_f32_e32 v3, 0x2f800000, v2
	v_floor_f32_e32 v3, v3
	v_fmac_f32_e32 v2, 0xcf800000, v3
	v_cvt_u32_f32_e32 v2, v2
	v_cvt_u32_f32_e32 v3, v3
	s_branch .LBB371_193
.LBB371_191:
	s_mov_b64 s[18:19], -1
                                        ; implicit-def: $vgpr2_vgpr3
	s_branch .LBB371_194
.LBB371_192:
	s_mov_b64 s[20:21], -1
                                        ; implicit-def: $vgpr2_vgpr3
.LBB371_193:
	s_mov_b64 s[18:19], 0
.LBB371_194:
	s_and_b64 vcc, exec, s[18:19]
	s_cbranch_vccz .LBB371_198
; %bb.195:
	s_cmp_eq_u32 s24, 11
	s_cbranch_scc0 .LBB371_197
; %bb.196:
	global_load_ubyte v2, v[0:1], off
	s_mov_b32 s18, 0
	s_mov_b64 s[0:1], -1
	s_waitcnt vmcnt(1)
	v_mov_b32_e32 v3, s18
	s_mov_b64 s[20:21], 0
	s_waitcnt vmcnt(0)
	v_cmp_ne_u16_e32 vcc, 0, v2
	v_cndmask_b32_e64 v2, 0, 1, vcc
	s_branch .LBB371_198
.LBB371_197:
	s_mov_b64 s[20:21], -1
                                        ; implicit-def: $vgpr2_vgpr3
.LBB371_198:
	s_branch .LBB371_10
.LBB371_199:
	s_cmp_lt_i32 s24, 5
	s_cbranch_scc1 .LBB371_204
; %bb.200:
	s_cmp_lt_i32 s24, 8
	s_cbranch_scc1 .LBB371_205
; %bb.201:
	;; [unrolled: 3-line block ×3, first 2 shown]
	s_cmp_gt_i32 s24, 9
	s_cbranch_scc0 .LBB371_207
; %bb.203:
	global_load_dwordx2 v[2:3], v[0:1], off
	s_movk_i32 s0, 0xffe0
	s_waitcnt vmcnt(0)
	v_trunc_f64_e32 v[2:3], v[2:3]
	v_ldexp_f64 v[4:5], v[2:3], s0
	s_mov_b32 s0, 0
	s_mov_b32 s1, 0xc1f00000
	v_floor_f64_e32 v[4:5], v[4:5]
	v_fma_f64 v[6:7], v[4:5], s[0:1], v[2:3]
	v_cvt_u32_f64_e32 v3, v[4:5]
	s_mov_b64 s[0:1], 0
	v_cvt_u32_f64_e32 v2, v[6:7]
	s_branch .LBB371_208
.LBB371_204:
                                        ; implicit-def: $vgpr2_vgpr3
	s_branch .LBB371_226
.LBB371_205:
	s_mov_b64 s[0:1], -1
                                        ; implicit-def: $vgpr2_vgpr3
	s_branch .LBB371_214
.LBB371_206:
	s_mov_b64 s[0:1], -1
                                        ; implicit-def: $vgpr2_vgpr3
	s_branch .LBB371_211
.LBB371_207:
	s_mov_b64 s[0:1], -1
                                        ; implicit-def: $vgpr2_vgpr3
.LBB371_208:
	s_andn2_b64 vcc, exec, s[0:1]
	s_cbranch_vccnz .LBB371_210
; %bb.209:
	global_load_dword v2, v[0:1], off
	s_waitcnt vmcnt(0)
	v_trunc_f32_e32 v2, v2
	v_mul_f32_e32 v3, 0x2f800000, v2
	v_floor_f32_e32 v4, v3
	v_fmac_f32_e32 v2, 0xcf800000, v4
	v_cvt_u32_f32_e32 v3, v4
	v_cvt_u32_f32_e32 v2, v2
.LBB371_210:
	s_mov_b64 s[0:1], 0
.LBB371_211:
	s_andn2_b64 vcc, exec, s[0:1]
	s_cbranch_vccnz .LBB371_213
; %bb.212:
	global_load_dword v2, v[0:1], off
	s_waitcnt vmcnt(1)
	v_mov_b32_e32 v3, 0
	s_waitcnt vmcnt(0)
	v_cvt_f32_f16_e32 v2, v2
	v_cvt_u32_f32_e32 v2, v2
.LBB371_213:
	s_mov_b64 s[0:1], 0
.LBB371_214:
	s_andn2_b64 vcc, exec, s[0:1]
	s_cbranch_vccnz .LBB371_225
; %bb.215:
	s_cmp_lt_i32 s24, 6
	s_cbranch_scc1 .LBB371_218
; %bb.216:
	s_cmp_gt_i32 s24, 6
	s_cbranch_scc0 .LBB371_219
; %bb.217:
	global_load_dwordx2 v[2:3], v[0:1], off
	s_movk_i32 s0, 0xffe0
	s_waitcnt vmcnt(0)
	v_trunc_f64_e32 v[2:3], v[2:3]
	v_ldexp_f64 v[4:5], v[2:3], s0
	s_mov_b32 s0, 0
	s_mov_b32 s1, 0xc1f00000
	v_floor_f64_e32 v[4:5], v[4:5]
	v_fma_f64 v[6:7], v[4:5], s[0:1], v[2:3]
	v_cvt_u32_f64_e32 v3, v[4:5]
	s_mov_b64 s[0:1], 0
	v_cvt_u32_f64_e32 v2, v[6:7]
	s_branch .LBB371_220
.LBB371_218:
	s_mov_b64 s[0:1], -1
                                        ; implicit-def: $vgpr2_vgpr3
	s_branch .LBB371_223
.LBB371_219:
	s_mov_b64 s[0:1], -1
                                        ; implicit-def: $vgpr2_vgpr3
.LBB371_220:
	s_andn2_b64 vcc, exec, s[0:1]
	s_cbranch_vccnz .LBB371_222
; %bb.221:
	global_load_dword v2, v[0:1], off
	s_waitcnt vmcnt(0)
	v_trunc_f32_e32 v2, v2
	v_mul_f32_e32 v3, 0x2f800000, v2
	v_floor_f32_e32 v4, v3
	v_fmac_f32_e32 v2, 0xcf800000, v4
	v_cvt_u32_f32_e32 v3, v4
	v_cvt_u32_f32_e32 v2, v2
.LBB371_222:
	s_mov_b64 s[0:1], 0
.LBB371_223:
	s_andn2_b64 vcc, exec, s[0:1]
	s_cbranch_vccnz .LBB371_225
; %bb.224:
	global_load_ushort v2, v[0:1], off
	s_waitcnt vmcnt(1)
	v_mov_b32_e32 v3, 0
	s_waitcnt vmcnt(0)
	v_cvt_f32_f16_e32 v2, v2
	v_cvt_u32_f32_e32 v2, v2
.LBB371_225:
	s_cbranch_execnz .LBB371_245
.LBB371_226:
	s_cmp_lt_i32 s24, 2
	s_cbranch_scc1 .LBB371_230
; %bb.227:
	s_cmp_lt_i32 s24, 3
	s_cbranch_scc1 .LBB371_231
; %bb.228:
	s_cmp_gt_i32 s24, 3
	s_cbranch_scc0 .LBB371_232
; %bb.229:
	global_load_dwordx2 v[2:3], v[0:1], off
	s_mov_b64 s[0:1], 0
	s_branch .LBB371_233
.LBB371_230:
	s_mov_b64 s[0:1], -1
                                        ; implicit-def: $vgpr2_vgpr3
	s_branch .LBB371_239
.LBB371_231:
	s_mov_b64 s[0:1], -1
                                        ; implicit-def: $vgpr2_vgpr3
	s_branch .LBB371_236
.LBB371_232:
	s_mov_b64 s[0:1], -1
                                        ; implicit-def: $vgpr2_vgpr3
.LBB371_233:
	s_andn2_b64 vcc, exec, s[0:1]
	s_cbranch_vccnz .LBB371_235
; %bb.234:
	global_load_dword v2, v[0:1], off
	s_waitcnt vmcnt(0)
	v_ashrrev_i32_e32 v3, 31, v2
.LBB371_235:
	s_mov_b64 s[0:1], 0
.LBB371_236:
	s_andn2_b64 vcc, exec, s[0:1]
	s_cbranch_vccnz .LBB371_238
; %bb.237:
	global_load_ushort v2, v[0:1], off
	s_waitcnt vmcnt(0)
	v_bfe_i32 v2, v2, 0, 16
	v_ashrrev_i32_e32 v3, 31, v2
.LBB371_238:
	s_mov_b64 s[0:1], 0
.LBB371_239:
	s_andn2_b64 vcc, exec, s[0:1]
	s_cbranch_vccnz .LBB371_245
; %bb.240:
	s_cmp_gt_i32 s24, 0
	s_cbranch_scc0 .LBB371_242
; %bb.241:
	global_load_sbyte v2, v[0:1], off
	s_mov_b64 s[0:1], 0
	s_waitcnt vmcnt(0)
	v_bfe_i32 v2, v2, 0, 16
	v_ashrrev_i32_e32 v3, 31, v2
	s_branch .LBB371_243
.LBB371_242:
	s_mov_b64 s[0:1], -1
                                        ; implicit-def: $vgpr2_vgpr3
.LBB371_243:
	s_andn2_b64 vcc, exec, s[0:1]
	s_cbranch_vccnz .LBB371_245
; %bb.244:
	global_load_ubyte v0, v[0:1], off
	s_mov_b32 s0, 0
	s_waitcnt vmcnt(1)
	v_mov_b32_e32 v3, s0
	s_waitcnt vmcnt(0)
	v_and_b32_e32 v2, 0xffff, v0
.LBB371_245:
	s_branch .LBB371_11
.LBB371_246:
	s_mov_b64 s[0:1], 0
                                        ; implicit-def: $vgpr10
	s_mov_b64 s[24:25], 0
.LBB371_247:
	s_and_b64 s[18:19], s[0:1], exec
	s_and_b64 s[20:21], s[20:21], exec
	s_orn2_b64 s[24:25], s[24:25], exec
.LBB371_248:
	s_or_b64 exec, exec, s[22:23]
	s_mov_b64 s[28:29], 0
	s_mov_b64 s[0:1], 0
                                        ; implicit-def: $vgpr0_vgpr1
                                        ; implicit-def: $vgpr2_vgpr3
	s_and_saveexec_b64 s[22:23], s[24:25]
	s_cbranch_execz .LBB371_257
; %bb.249:
	v_cmp_gt_i32_e32 vcc, s44, v10
	s_mov_b64 s[0:1], -1
	s_mov_b64 s[24:25], s[20:21]
	s_mov_b64 s[26:27], s[18:19]
	s_and_saveexec_b64 s[28:29], vcc
	s_cbranch_execz .LBB371_505
; %bb.250:
	v_mul_lo_u32 v0, v10, s13
	v_mov_b32_e32 v1, s11
	s_and_b32 s30, 0xffff, s15
	s_cmp_lt_i32 s30, 11
	s_waitcnt vmcnt(0)
	v_ashrrev_i32_e32 v2, 31, v0
	v_add_co_u32_e32 v0, vcc, s10, v0
	v_addc_co_u32_e32 v1, vcc, v1, v2, vcc
	s_cbranch_scc1 .LBB371_260
; %bb.251:
	s_cmp_gt_i32 s30, 25
	s_cbranch_scc0 .LBB371_269
; %bb.252:
	s_cmp_gt_i32 s30, 28
	s_cbranch_scc0 .LBB371_271
	;; [unrolled: 3-line block ×4, first 2 shown]
; %bb.255:
	s_cmp_eq_u32 s30, 46
	s_mov_b64 s[26:27], 0
	s_cbranch_scc0 .LBB371_281
; %bb.256:
	global_load_dword v2, v[0:1], off
	s_mov_b64 s[24:25], 0
	s_waitcnt vmcnt(0)
	v_lshlrev_b32_e32 v2, 16, v2
	v_trunc_f32_e32 v2, v2
	v_mul_f32_e32 v3, 0x2f800000, v2
	v_floor_f32_e32 v3, v3
	v_fmac_f32_e32 v2, 0xcf800000, v3
	v_cvt_u32_f32_e32 v2, v2
	v_cvt_u32_f32_e32 v3, v3
	s_branch .LBB371_282
.LBB371_257:
	s_or_b64 exec, exec, s[22:23]
	s_mov_b64 s[22:23], 0
	s_and_saveexec_b64 s[24:25], s[20:21]
	s_cbranch_execnz .LBB371_843
.LBB371_258:
	s_or_b64 exec, exec, s[24:25]
	s_and_saveexec_b64 s[20:21], s[26:27]
	s_xor_b64 s[20:21], exec, s[20:21]
	s_cbranch_execz .LBB371_844
.LBB371_259:
	global_load_ubyte v2, v[0:1], off
	s_mov_b32 s24, 0
	s_waitcnt vmcnt(1)
	v_mov_b32_e32 v3, s24
	s_or_b64 s[0:1], s[0:1], exec
	s_waitcnt vmcnt(0)
	v_cmp_ne_u16_e32 vcc, 0, v2
	v_cndmask_b32_e64 v2, 0, 1, vcc
	s_or_b64 exec, exec, s[20:21]
	s_and_saveexec_b64 s[20:21], s[28:29]
	s_cbranch_execz .LBB371_890
	s_branch .LBB371_845
.LBB371_260:
	s_mov_b64 s[0:1], 0
                                        ; implicit-def: $vgpr2_vgpr3
	s_mov_b64 s[24:25], s[20:21]
	s_cbranch_execnz .LBB371_455
.LBB371_261:
	s_andn2_b64 vcc, exec, s[0:1]
	s_cbranch_vccnz .LBB371_503
.LBB371_262:
	v_mul_lo_u32 v0, v10, s12
	s_waitcnt vmcnt(0)
	v_cmp_ne_u64_e32 vcc, s[2:3], v[2:3]
	v_mov_b32_e32 v1, s9
	s_xor_b64 s[26:27], s[16:17], vcc
	v_ashrrev_i32_e32 v2, 31, v0
	s_and_b32 s38, s33, 0xff
	v_add_co_u32_e32 v0, vcc, s8, v0
	s_cmp_lt_i32 s38, 11
	v_addc_co_u32_e32 v1, vcc, v1, v2, vcc
	s_cbranch_scc1 .LBB371_270
; %bb.263:
	s_and_b32 s39, 0xffff, s38
	s_cmp_gt_i32 s39, 25
	s_cbranch_scc0 .LBB371_272
; %bb.264:
	s_cmp_gt_i32 s39, 28
	s_cbranch_scc0 .LBB371_274
; %bb.265:
	;; [unrolled: 3-line block ×4, first 2 shown]
	s_mov_b64 s[34:35], 0
	s_mov_b64 s[0:1], -1
	s_cmp_eq_u32 s39, 46
	s_mov_b64 s[30:31], 0
	s_cbranch_scc0 .LBB371_286
; %bb.268:
	v_cndmask_b32_e64 v2, 0, 1.0, s[26:27]
	v_bfe_u32 v3, v2, 16, 1
	s_movk_i32 s0, 0x7fff
	v_add3_u32 v2, v2, v3, s0
	v_lshrrev_b32_e32 v2, 16, v2
	global_store_dword v[0:1], v2, off
	s_mov_b64 s[30:31], -1
	s_mov_b64 s[0:1], 0
	s_branch .LBB371_286
.LBB371_269:
	s_mov_b64 s[26:27], -1
	s_mov_b64 s[0:1], 0
	s_mov_b64 s[24:25], s[20:21]
                                        ; implicit-def: $vgpr2_vgpr3
	s_branch .LBB371_423
.LBB371_270:
	s_mov_b64 s[34:35], -1
	s_mov_b64 s[30:31], 0
	s_mov_b64 s[0:1], s[18:19]
	s_branch .LBB371_355
.LBB371_271:
	s_mov_b64 s[26:27], -1
	s_mov_b64 s[0:1], 0
	s_mov_b64 s[24:25], s[20:21]
                                        ; implicit-def: $vgpr2_vgpr3
	s_branch .LBB371_404
.LBB371_272:
	s_mov_b64 s[34:35], -1
	s_mov_b64 s[30:31], 0
	s_mov_b64 s[0:1], s[18:19]
	s_branch .LBB371_313
.LBB371_273:
	s_mov_b64 s[26:27], -1
	s_mov_b64 s[0:1], 0
	s_mov_b64 s[24:25], s[20:21]
                                        ; implicit-def: $vgpr2_vgpr3
	s_branch .LBB371_399
.LBB371_274:
	s_mov_b64 s[34:35], -1
	s_mov_b64 s[30:31], 0
	s_mov_b64 s[0:1], s[18:19]
	s_branch .LBB371_296
.LBB371_275:
	s_andn2_saveexec_b64 s[30:31], s[30:31]
	s_cbranch_execz .LBB371_55
.LBB371_276:
	v_add_f32_e32 v2, 0x46000000, v3
	v_and_b32_e32 v2, 0xff, v2
	v_cmp_ne_u32_e32 vcc, 0, v2
	s_andn2_b64 s[28:29], s[28:29], exec
	s_and_b64 s[36:37], vcc, exec
	s_or_b64 s[28:29], s[28:29], s[36:37]
	s_or_b64 exec, exec, s[30:31]
	v_mov_b32_e32 v4, 0
	s_and_saveexec_b64 s[30:31], s[28:29]
	s_cbranch_execnz .LBB371_56
	s_branch .LBB371_57
.LBB371_277:
	s_mov_b64 s[26:27], -1
	s_mov_b64 s[0:1], 0
	s_mov_b64 s[24:25], s[20:21]
                                        ; implicit-def: $vgpr2_vgpr3
	s_branch .LBB371_282
.LBB371_278:
	s_mov_b64 s[34:35], -1
	s_mov_b64 s[30:31], 0
	s_mov_b64 s[0:1], s[18:19]
	s_branch .LBB371_292
.LBB371_279:
	s_andn2_saveexec_b64 s[30:31], s[30:31]
	s_cbranch_execz .LBB371_68
.LBB371_280:
	v_add_f32_e32 v2, 0x42800000, v3
	v_and_b32_e32 v2, 0xff, v2
	v_cmp_ne_u32_e32 vcc, 0, v2
	s_andn2_b64 s[28:29], s[28:29], exec
	s_and_b64 s[36:37], vcc, exec
	s_or_b64 s[28:29], s[28:29], s[36:37]
	s_or_b64 exec, exec, s[30:31]
	v_mov_b32_e32 v4, 0
	s_and_saveexec_b64 s[30:31], s[28:29]
	s_cbranch_execnz .LBB371_69
	s_branch .LBB371_70
.LBB371_281:
	s_mov_b64 s[24:25], -1
                                        ; implicit-def: $vgpr2_vgpr3
	s_mov_b64 s[0:1], 0
.LBB371_282:
	s_and_b64 vcc, exec, s[26:27]
	s_cbranch_vccz .LBB371_398
; %bb.283:
	s_cmp_eq_u32 s30, 44
	s_cbranch_scc0 .LBB371_397
; %bb.284:
	global_load_ubyte v2, v[0:1], off
	s_mov_b64 s[0:1], -1
	s_mov_b64 s[24:25], 0
	s_waitcnt vmcnt(0)
	v_lshlrev_b32_e32 v3, 23, v2
	v_trunc_f32_e32 v3, v3
	v_mul_f32_e32 v4, 0x2f800000, v3
	v_floor_f32_e32 v4, v4
	v_fmac_f32_e32 v3, 0xcf800000, v4
	v_cvt_u32_f32_e32 v4, v4
	v_cvt_u32_f32_e32 v5, v3
	v_cmp_ne_u32_e32 vcc, 0, v2
	v_cndmask_b32_e32 v3, 0, v4, vcc
	v_cndmask_b32_e32 v2, 0, v5, vcc
	s_branch .LBB371_398
.LBB371_285:
	s_mov_b64 s[34:35], -1
	s_mov_b64 s[30:31], 0
	s_mov_b64 s[0:1], s[18:19]
.LBB371_286:
	s_and_b64 vcc, exec, s[34:35]
	s_cbranch_vccz .LBB371_291
; %bb.287:
	s_cmp_eq_u32 s39, 44
	s_mov_b64 s[0:1], -1
	s_cbranch_scc0 .LBB371_291
; %bb.288:
	v_cndmask_b32_e64 v3, 0, 1.0, s[26:27]
	v_lshrrev_b32_e32 v2, 23, v3
	s_movk_i32 s0, 0xff
	v_cmp_ne_u32_e32 vcc, s0, v2
	v_mov_b32_e32 v4, 0xff
	s_and_saveexec_b64 s[30:31], vcc
; %bb.289:
	s_mov_b32 s0, 0x3fffff
	v_and_b32_e32 v4, 0x400000, v3
	v_and_or_b32 v3, v3, s0, v2
	v_cmp_ne_u32_e32 vcc, 0, v4
	v_cmp_ne_u32_e64 s[0:1], 0, v3
	s_and_b64 s[0:1], vcc, s[0:1]
	v_cndmask_b32_e64 v3, 0, 1, s[0:1]
	v_add_u32_e32 v4, v2, v3
; %bb.290:
	s_or_b64 exec, exec, s[30:31]
	s_mov_b64 s[30:31], -1
	s_mov_b64 s[0:1], 0
	global_store_byte v[0:1], v4, off
.LBB371_291:
	s_mov_b64 s[34:35], 0
.LBB371_292:
	s_and_b64 vcc, exec, s[34:35]
	s_cbranch_vccz .LBB371_295
; %bb.293:
	s_cmp_eq_u32 s39, 29
	s_mov_b64 s[0:1], -1
	s_cbranch_scc0 .LBB371_295
; %bb.294:
	s_mov_b32 s0, 0
	v_cndmask_b32_e64 v2, 0, 1, s[26:27]
	v_mov_b32_e32 v3, s0
	global_store_dwordx2 v[0:1], v[2:3], off
	s_mov_b64 s[30:31], -1
	s_mov_b64 s[0:1], 0
.LBB371_295:
	s_mov_b64 s[34:35], 0
.LBB371_296:
	s_and_b64 vcc, exec, s[34:35]
	s_cbranch_vccz .LBB371_312
; %bb.297:
	s_cmp_lt_i32 s39, 27
	s_mov_b64 s[30:31], -1
	s_cbranch_scc1 .LBB371_303
; %bb.298:
	s_cmp_gt_i32 s39, 27
	s_cbranch_scc0 .LBB371_300
; %bb.299:
	v_cndmask_b32_e64 v2, 0, 1, s[26:27]
	s_mov_b64 s[30:31], 0
	global_store_dword v[0:1], v2, off
.LBB371_300:
	s_andn2_b64 vcc, exec, s[30:31]
	s_cbranch_vccnz .LBB371_302
; %bb.301:
	v_cndmask_b32_e64 v2, 0, 1, s[26:27]
	global_store_short v[0:1], v2, off
.LBB371_302:
	s_mov_b64 s[30:31], 0
.LBB371_303:
	s_andn2_b64 vcc, exec, s[30:31]
	s_cbranch_vccnz .LBB371_311
; %bb.304:
	v_cndmask_b32_e64 v3, 0, 1.0, s[26:27]
	s_mov_b32 s30, 0x43800000
	v_cmp_gt_u32_e32 vcc, s30, v3
	v_mov_b32_e32 v4, 0x80
	s_and_saveexec_b64 s[30:31], vcc
	s_cbranch_execz .LBB371_310
; %bb.305:
	s_mov_b32 s34, 0x3bffffff
	v_cmp_lt_u32_e32 vcc, s34, v3
	s_mov_b64 s[34:35], 0
                                        ; implicit-def: $vgpr2
	s_and_saveexec_b64 s[36:37], vcc
	s_xor_b64 s[36:37], exec, s[36:37]
	s_cbranch_execz .LBB371_518
; %bb.306:
	v_bfe_u32 v2, v3, 20, 1
	s_mov_b32 s40, 0x487ffff
	v_add3_u32 v2, v3, v2, s40
	s_mov_b64 s[34:35], exec
	v_lshrrev_b32_e32 v2, 20, v2
                                        ; implicit-def: $vgpr3
	s_andn2_saveexec_b64 s[36:37], s[36:37]
	s_cbranch_execnz .LBB371_519
.LBB371_307:
	s_or_b64 exec, exec, s[36:37]
	v_mov_b32_e32 v4, 0
	s_and_saveexec_b64 s[36:37], s[34:35]
.LBB371_308:
	v_mov_b32_e32 v4, v2
.LBB371_309:
	s_or_b64 exec, exec, s[36:37]
.LBB371_310:
	s_or_b64 exec, exec, s[30:31]
	global_store_byte v[0:1], v4, off
.LBB371_311:
	s_mov_b64 s[30:31], -1
.LBB371_312:
	s_mov_b64 s[34:35], 0
.LBB371_313:
	s_and_b64 vcc, exec, s[34:35]
	s_cbranch_vccz .LBB371_354
; %bb.314:
	s_cmp_gt_i32 s39, 22
	s_mov_b64 s[34:35], -1
	s_cbranch_scc0 .LBB371_346
; %bb.315:
	s_cmp_lt_i32 s39, 24
	s_mov_b64 s[30:31], -1
	s_cbranch_scc1 .LBB371_335
; %bb.316:
	s_cmp_gt_i32 s39, 24
	s_cbranch_scc0 .LBB371_324
; %bb.317:
	v_cndmask_b32_e64 v3, 0, 1.0, s[26:27]
	s_mov_b32 s30, 0x47800000
	v_cmp_gt_u32_e32 vcc, s30, v3
	v_mov_b32_e32 v4, 0x80
	s_and_saveexec_b64 s[30:31], vcc
	s_cbranch_execz .LBB371_323
; %bb.318:
	s_mov_b32 s34, 0x37ffffff
	v_cmp_lt_u32_e32 vcc, s34, v3
	s_mov_b64 s[34:35], 0
                                        ; implicit-def: $vgpr2
	s_and_saveexec_b64 s[36:37], vcc
	s_xor_b64 s[36:37], exec, s[36:37]
	s_cbranch_execz .LBB371_521
; %bb.319:
	v_bfe_u32 v2, v3, 21, 1
	s_mov_b32 s40, 0x88fffff
	v_add3_u32 v2, v3, v2, s40
	s_mov_b64 s[34:35], exec
	v_lshrrev_b32_e32 v2, 21, v2
                                        ; implicit-def: $vgpr3
	s_andn2_saveexec_b64 s[36:37], s[36:37]
	s_cbranch_execnz .LBB371_522
.LBB371_320:
	s_or_b64 exec, exec, s[36:37]
	v_mov_b32_e32 v4, 0
	s_and_saveexec_b64 s[36:37], s[34:35]
.LBB371_321:
	v_mov_b32_e32 v4, v2
.LBB371_322:
	s_or_b64 exec, exec, s[36:37]
.LBB371_323:
	s_or_b64 exec, exec, s[30:31]
	s_mov_b64 s[30:31], 0
	global_store_byte v[0:1], v4, off
.LBB371_324:
	s_and_b64 vcc, exec, s[30:31]
	s_cbranch_vccz .LBB371_334
; %bb.325:
	v_cndmask_b32_e64 v2, 0, 1.0, s[26:27]
	s_mov_b32 s30, 0x43f00000
	v_cmp_gt_u32_e32 vcc, s30, v2
                                        ; implicit-def: $vgpr3
	s_and_saveexec_b64 s[30:31], vcc
	s_xor_b64 s[30:31], exec, s[30:31]
	s_cbranch_execz .LBB371_331
; %bb.326:
	s_mov_b32 s34, 0x3c7fffff
	v_cmp_lt_u32_e32 vcc, s34, v2
                                        ; implicit-def: $vgpr3
	s_and_saveexec_b64 s[34:35], vcc
	s_xor_b64 s[34:35], exec, s[34:35]
; %bb.327:
	v_bfe_u32 v3, v2, 20, 1
	s_mov_b32 s36, 0x407ffff
	v_add3_u32 v2, v2, v3, s36
	v_lshrrev_b32_e32 v3, 20, v2
	v_and_b32_e32 v2, 0xff00000, v2
	s_mov_b32 s36, 0x7f00000
	v_mov_b32_e32 v4, 0x7e
	v_cmp_ne_u32_e32 vcc, s36, v2
	v_cndmask_b32_e32 v3, v4, v3, vcc
                                        ; implicit-def: $vgpr2
; %bb.328:
	s_andn2_saveexec_b64 s[34:35], s[34:35]
; %bb.329:
	v_add_f32_e32 v3, 0x46800000, v2
; %bb.330:
	s_or_b64 exec, exec, s[34:35]
                                        ; implicit-def: $vgpr2
.LBB371_331:
	s_andn2_saveexec_b64 s[30:31], s[30:31]
; %bb.332:
	s_mov_b32 s34, 0x7f800000
	v_mov_b32_e32 v3, 0x7e
	v_mov_b32_e32 v4, 0x7f
	v_cmp_lt_u32_e32 vcc, s34, v2
	v_cndmask_b32_e32 v3, v3, v4, vcc
; %bb.333:
	s_or_b64 exec, exec, s[30:31]
	global_store_byte v[0:1], v3, off
.LBB371_334:
	s_mov_b64 s[30:31], 0
.LBB371_335:
	s_andn2_b64 vcc, exec, s[30:31]
	s_cbranch_vccnz .LBB371_345
; %bb.336:
	v_cndmask_b32_e64 v2, 0, 1.0, s[26:27]
	s_mov_b32 s30, 0x47800000
	v_cmp_gt_u32_e32 vcc, s30, v2
                                        ; implicit-def: $vgpr3
	s_and_saveexec_b64 s[30:31], vcc
	s_xor_b64 s[30:31], exec, s[30:31]
	s_cbranch_execz .LBB371_342
; %bb.337:
	s_mov_b32 s34, 0x387fffff
	v_cmp_lt_u32_e32 vcc, s34, v2
                                        ; implicit-def: $vgpr3
	s_and_saveexec_b64 s[34:35], vcc
	s_xor_b64 s[34:35], exec, s[34:35]
; %bb.338:
	v_bfe_u32 v3, v2, 21, 1
	s_mov_b32 s36, 0x80fffff
	v_add3_u32 v2, v2, v3, s36
	v_lshrrev_b32_e32 v3, 21, v2
                                        ; implicit-def: $vgpr2
; %bb.339:
	s_andn2_saveexec_b64 s[34:35], s[34:35]
; %bb.340:
	v_add_f32_e32 v3, 0x43000000, v2
; %bb.341:
	s_or_b64 exec, exec, s[34:35]
                                        ; implicit-def: $vgpr2
.LBB371_342:
	s_andn2_saveexec_b64 s[30:31], s[30:31]
; %bb.343:
	s_mov_b32 s34, 0x7f800000
	v_mov_b32_e32 v3, 0x7c
	v_mov_b32_e32 v4, 0x7f
	v_cmp_lt_u32_e32 vcc, s34, v2
	v_cndmask_b32_e32 v3, v3, v4, vcc
; %bb.344:
	s_or_b64 exec, exec, s[30:31]
	global_store_byte v[0:1], v3, off
.LBB371_345:
	s_mov_b64 s[34:35], 0
	s_mov_b64 s[30:31], -1
.LBB371_346:
	s_andn2_b64 vcc, exec, s[34:35]
	s_cbranch_vccnz .LBB371_354
; %bb.347:
	s_cmp_gt_i32 s39, 14
	s_mov_b64 s[34:35], -1
	s_cbranch_scc0 .LBB371_351
; %bb.348:
	s_cmp_eq_u32 s39, 15
	s_mov_b64 s[0:1], -1
	s_cbranch_scc0 .LBB371_350
; %bb.349:
	v_cndmask_b32_e64 v2, 0, 1.0, s[26:27]
	v_bfe_u32 v3, v2, 16, 1
	s_movk_i32 s0, 0x7fff
	v_add3_u32 v2, v2, v3, s0
	global_store_short_d16_hi v[0:1], v2, off
	s_mov_b64 s[30:31], -1
	s_mov_b64 s[0:1], 0
.LBB371_350:
	s_mov_b64 s[34:35], 0
.LBB371_351:
	s_and_b64 vcc, exec, s[34:35]
	s_cbranch_vccz .LBB371_354
; %bb.352:
	s_cmp_eq_u32 s39, 11
	s_mov_b64 s[0:1], -1
	s_cbranch_scc0 .LBB371_354
; %bb.353:
	v_cndmask_b32_e64 v2, 0, 1, s[26:27]
	s_mov_b64 s[30:31], -1
	s_mov_b64 s[0:1], 0
	global_store_byte v[0:1], v2, off
.LBB371_354:
	s_mov_b64 s[34:35], 0
.LBB371_355:
	s_and_b64 vcc, exec, s[34:35]
	s_cbranch_vccz .LBB371_394
; %bb.356:
	s_and_b32 s34, 0xffff, s38
	s_cmp_lt_i32 s34, 5
	s_mov_b64 s[30:31], -1
	s_cbranch_scc1 .LBB371_377
; %bb.357:
	s_cmp_lt_i32 s34, 8
	s_cbranch_scc1 .LBB371_367
; %bb.358:
	s_cmp_lt_i32 s34, 9
	s_cbranch_scc1 .LBB371_364
; %bb.359:
	s_cmp_gt_i32 s34, 9
	s_cbranch_scc0 .LBB371_361
; %bb.360:
	v_cndmask_b32_e64 v2, 0, 1, s[26:27]
	v_cvt_f64_u32_e32 v[2:3], v2
	v_mov_b32_e32 v4, 0
	v_mov_b32_e32 v5, v4
	s_mov_b64 s[30:31], 0
	global_store_dwordx4 v[0:1], v[2:5], off
.LBB371_361:
	s_andn2_b64 vcc, exec, s[30:31]
	s_cbranch_vccnz .LBB371_363
; %bb.362:
	v_cndmask_b32_e64 v2, 0, 1.0, s[26:27]
	v_mov_b32_e32 v3, 0
	global_store_dwordx2 v[0:1], v[2:3], off
.LBB371_363:
	s_mov_b64 s[30:31], 0
.LBB371_364:
	s_andn2_b64 vcc, exec, s[30:31]
	s_cbranch_vccnz .LBB371_366
; %bb.365:
	v_cndmask_b32_e64 v2, 0, 1.0, s[26:27]
	v_cvt_f16_f32_e32 v2, v2
	global_store_dword v[0:1], v2, off
.LBB371_366:
	s_mov_b64 s[30:31], 0
.LBB371_367:
	s_andn2_b64 vcc, exec, s[30:31]
	s_cbranch_vccnz .LBB371_376
; %bb.368:
	s_cmp_lt_i32 s34, 6
	s_mov_b64 s[30:31], -1
	s_cbranch_scc1 .LBB371_374
; %bb.369:
	s_cmp_gt_i32 s34, 6
	s_cbranch_scc0 .LBB371_371
; %bb.370:
	v_cndmask_b32_e64 v2, 0, 1, s[26:27]
	v_cvt_f64_u32_e32 v[2:3], v2
	s_mov_b64 s[30:31], 0
	global_store_dwordx2 v[0:1], v[2:3], off
.LBB371_371:
	s_andn2_b64 vcc, exec, s[30:31]
	s_cbranch_vccnz .LBB371_373
; %bb.372:
	v_cndmask_b32_e64 v2, 0, 1.0, s[26:27]
	global_store_dword v[0:1], v2, off
.LBB371_373:
	s_mov_b64 s[30:31], 0
.LBB371_374:
	s_andn2_b64 vcc, exec, s[30:31]
	s_cbranch_vccnz .LBB371_376
; %bb.375:
	v_cndmask_b32_e64 v2, 0, 1.0, s[26:27]
	v_cvt_f16_f32_e32 v2, v2
	global_store_short v[0:1], v2, off
.LBB371_376:
	s_mov_b64 s[30:31], 0
.LBB371_377:
	s_andn2_b64 vcc, exec, s[30:31]
	s_cbranch_vccnz .LBB371_393
; %bb.378:
	s_cmp_lt_i32 s34, 2
	s_mov_b64 s[30:31], -1
	s_cbranch_scc1 .LBB371_388
; %bb.379:
	s_cmp_lt_i32 s34, 3
	s_cbranch_scc1 .LBB371_385
; %bb.380:
	s_cmp_gt_i32 s34, 3
	s_cbranch_scc0 .LBB371_382
; %bb.381:
	s_mov_b32 s30, 0
	v_cndmask_b32_e64 v2, 0, 1, s[26:27]
	v_mov_b32_e32 v3, s30
	s_mov_b64 s[30:31], 0
	global_store_dwordx2 v[0:1], v[2:3], off
.LBB371_382:
	s_andn2_b64 vcc, exec, s[30:31]
	s_cbranch_vccnz .LBB371_384
; %bb.383:
	v_cndmask_b32_e64 v2, 0, 1, s[26:27]
	global_store_dword v[0:1], v2, off
.LBB371_384:
	s_mov_b64 s[30:31], 0
.LBB371_385:
	s_andn2_b64 vcc, exec, s[30:31]
	s_cbranch_vccnz .LBB371_387
; %bb.386:
	v_cndmask_b32_e64 v2, 0, 1, s[26:27]
	global_store_short v[0:1], v2, off
.LBB371_387:
	s_mov_b64 s[30:31], 0
.LBB371_388:
	s_andn2_b64 vcc, exec, s[30:31]
	s_cbranch_vccnz .LBB371_393
; %bb.389:
	s_mov_b64 s[30:31], -1
	s_cmp_gt_i32 s34, 0
	v_cndmask_b32_e64 v2, 0, 1, s[26:27]
	s_cbranch_scc0 .LBB371_391
; %bb.390:
	s_mov_b64 s[30:31], 0
	global_store_byte v[0:1], v2, off
.LBB371_391:
	s_andn2_b64 vcc, exec, s[30:31]
	s_cbranch_vccnz .LBB371_393
; %bb.392:
	global_store_byte v[0:1], v2, off
.LBB371_393:
	s_mov_b64 s[30:31], -1
.LBB371_394:
	s_andn2_b64 vcc, exec, s[30:31]
	s_cbranch_vccnz .LBB371_396
; %bb.395:
	v_add_u32_e32 v10, 0x80, v10
	s_mov_b64 s[30:31], -1
	s_branch .LBB371_504
.LBB371_396:
	s_mov_b64 s[30:31], 0
                                        ; implicit-def: $vgpr10
	s_branch .LBB371_504
.LBB371_397:
	s_mov_b64 s[24:25], -1
                                        ; implicit-def: $vgpr2_vgpr3
.LBB371_398:
	s_mov_b64 s[26:27], 0
.LBB371_399:
	s_and_b64 vcc, exec, s[26:27]
	s_cbranch_vccz .LBB371_403
; %bb.400:
	s_cmp_eq_u32 s30, 29
	s_cbranch_scc0 .LBB371_402
; %bb.401:
	global_load_dwordx2 v[2:3], v[0:1], off
	s_mov_b64 s[0:1], -1
	s_mov_b64 s[24:25], 0
	s_branch .LBB371_403
.LBB371_402:
	s_mov_b64 s[24:25], -1
                                        ; implicit-def: $vgpr2_vgpr3
.LBB371_403:
	s_mov_b64 s[26:27], 0
.LBB371_404:
	s_and_b64 vcc, exec, s[26:27]
	s_cbranch_vccz .LBB371_422
; %bb.405:
	s_cmp_lt_i32 s30, 27
	s_cbranch_scc1 .LBB371_408
; %bb.406:
	s_cmp_gt_i32 s30, 27
	s_cbranch_scc0 .LBB371_409
; %bb.407:
	global_load_dword v2, v[0:1], off
	s_waitcnt vmcnt(1)
	v_mov_b32_e32 v3, 0
	s_mov_b64 s[0:1], 0
	s_branch .LBB371_410
.LBB371_408:
	s_mov_b64 s[0:1], -1
                                        ; implicit-def: $vgpr2_vgpr3
	s_branch .LBB371_413
.LBB371_409:
	s_mov_b64 s[0:1], -1
                                        ; implicit-def: $vgpr2_vgpr3
.LBB371_410:
	s_andn2_b64 vcc, exec, s[0:1]
	s_cbranch_vccnz .LBB371_412
; %bb.411:
	global_load_ushort v2, v[0:1], off
	s_mov_b32 s0, 0
	s_waitcnt vmcnt(1)
	v_mov_b32_e32 v3, s0
	s_waitcnt vmcnt(0)
	v_and_b32_e32 v2, 0xffff, v2
.LBB371_412:
	s_mov_b64 s[0:1], 0
.LBB371_413:
	s_andn2_b64 vcc, exec, s[0:1]
	s_cbranch_vccnz .LBB371_421
; %bb.414:
	global_load_ubyte v4, v[0:1], off
	s_movk_i32 s0, 0x7f
	s_mov_b64 s[26:27], 0
	s_waitcnt vmcnt(0)
	v_cmp_lt_i16_e32 vcc, s0, v4
	s_and_saveexec_b64 s[0:1], vcc
	s_xor_b64 s[0:1], exec, s[0:1]
; %bb.415:
	s_movk_i32 s26, 0x80
	v_cmp_ne_u16_e32 vcc, s26, v4
	s_and_b64 s[26:27], vcc, exec
; %bb.416:
	s_andn2_saveexec_b64 s[0:1], s[0:1]
; %bb.417:
	v_cmp_ne_u16_e32 vcc, 0, v4
	s_andn2_b64 s[26:27], s[26:27], exec
	s_and_b64 s[34:35], vcc, exec
	s_or_b64 s[26:27], s[26:27], s[34:35]
; %bb.418:
	s_or_b64 exec, exec, s[0:1]
	v_mov_b32_e32 v2, 0
	v_mov_b32_e32 v3, 0
	s_and_saveexec_b64 s[0:1], s[26:27]
	s_cbranch_execz .LBB371_420
; %bb.419:
	v_and_b32_e32 v3, 0xffff, v4
	v_lshlrev_b32_e32 v2, 24, v4
	v_and_b32_e32 v4, 7, v3
	v_ffbh_u32_e32 v6, v4
	v_min_u32_e32 v6, 32, v6
	v_subrev_u32_e32 v7, 28, v6
	v_bfe_u32 v5, v3, 3, 4
	v_lshlrev_b32_e32 v3, v7, v3
	v_sub_u32_e32 v6, 29, v6
	v_and_b32_e32 v3, 7, v3
	v_cmp_eq_u32_e32 vcc, 0, v5
	v_cndmask_b32_e32 v5, v5, v6, vcc
	v_cndmask_b32_e32 v3, v4, v3, vcc
	v_mov_b32_e32 v4, 0x3b800000
	v_lshlrev_b32_e32 v3, 20, v3
	v_and_b32_e32 v2, 0x80000000, v2
	v_lshl_add_u32 v4, v5, 23, v4
	v_or3_b32 v2, v2, v4, v3
	v_trunc_f32_e32 v2, v2
	v_mul_f32_e32 v3, 0x2f800000, v2
	v_floor_f32_e32 v3, v3
	v_fmac_f32_e32 v2, 0xcf800000, v3
	v_cvt_u32_f32_e32 v2, v2
	v_cvt_u32_f32_e32 v3, v3
.LBB371_420:
	s_or_b64 exec, exec, s[0:1]
.LBB371_421:
	s_mov_b64 s[0:1], -1
.LBB371_422:
	s_mov_b64 s[26:27], 0
.LBB371_423:
	s_and_b64 vcc, exec, s[26:27]
	s_cbranch_vccz .LBB371_454
; %bb.424:
	s_cmp_gt_i32 s30, 22
	s_cbranch_scc0 .LBB371_434
; %bb.425:
	s_cmp_lt_i32 s30, 24
	s_cbranch_scc1 .LBB371_435
; %bb.426:
	s_cmp_gt_i32 s30, 24
	s_cbranch_scc0 .LBB371_436
; %bb.427:
	global_load_ubyte v4, v[0:1], off
	s_movk_i32 s0, 0x7f
	s_mov_b64 s[26:27], 0
	s_waitcnt vmcnt(0)
	v_cmp_lt_i16_e32 vcc, s0, v4
	s_and_saveexec_b64 s[0:1], vcc
	s_xor_b64 s[0:1], exec, s[0:1]
; %bb.428:
	s_movk_i32 s26, 0x80
	v_cmp_ne_u16_e32 vcc, s26, v4
	s_and_b64 s[26:27], vcc, exec
; %bb.429:
	s_andn2_saveexec_b64 s[0:1], s[0:1]
; %bb.430:
	v_cmp_ne_u16_e32 vcc, 0, v4
	s_andn2_b64 s[26:27], s[26:27], exec
	s_and_b64 s[34:35], vcc, exec
	s_or_b64 s[26:27], s[26:27], s[34:35]
; %bb.431:
	s_or_b64 exec, exec, s[0:1]
	v_mov_b32_e32 v2, 0
	v_mov_b32_e32 v3, 0
	s_and_saveexec_b64 s[0:1], s[26:27]
	s_cbranch_execz .LBB371_433
; %bb.432:
	v_and_b32_e32 v3, 0xffff, v4
	v_lshlrev_b32_e32 v2, 24, v4
	v_and_b32_e32 v4, 3, v3
	v_ffbh_u32_e32 v6, v4
	v_min_u32_e32 v6, 32, v6
	v_subrev_u32_e32 v7, 29, v6
	v_bfe_u32 v5, v3, 2, 5
	v_lshlrev_b32_e32 v3, v7, v3
	v_sub_u32_e32 v6, 30, v6
	v_and_b32_e32 v3, 3, v3
	v_cmp_eq_u32_e32 vcc, 0, v5
	v_cndmask_b32_e32 v5, v5, v6, vcc
	v_cndmask_b32_e32 v3, v4, v3, vcc
	v_mov_b32_e32 v4, 0x37800000
	v_lshlrev_b32_e32 v3, 21, v3
	v_and_b32_e32 v2, 0x80000000, v2
	v_lshl_add_u32 v4, v5, 23, v4
	v_or3_b32 v2, v2, v4, v3
	v_trunc_f32_e32 v2, v2
	v_mul_f32_e32 v3, 0x2f800000, v2
	v_floor_f32_e32 v3, v3
	v_fmac_f32_e32 v2, 0xcf800000, v3
	v_cvt_u32_f32_e32 v2, v2
	v_cvt_u32_f32_e32 v3, v3
.LBB371_433:
	s_or_b64 exec, exec, s[0:1]
	s_mov_b64 s[0:1], 0
	s_branch .LBB371_437
.LBB371_434:
	s_mov_b64 s[26:27], -1
                                        ; implicit-def: $vgpr2_vgpr3
	s_branch .LBB371_443
.LBB371_435:
	s_mov_b64 s[0:1], -1
                                        ; implicit-def: $vgpr2_vgpr3
	s_branch .LBB371_440
.LBB371_436:
	s_mov_b64 s[0:1], -1
                                        ; implicit-def: $vgpr2_vgpr3
.LBB371_437:
	s_and_b64 vcc, exec, s[0:1]
	s_cbranch_vccz .LBB371_439
; %bb.438:
	global_load_ubyte v2, v[0:1], off
	s_mov_b32 s0, 0x7f800000
	s_brev_b32 s1, 1
	s_waitcnt vmcnt(0)
	v_lshlrev_b32_e32 v2, 24, v2
	v_and_b32_e32 v3, 0x7f000000, v2
	v_ffbh_u32_e32 v4, v3
	v_min_u32_e32 v4, 32, v4
	v_sub_u32_e64 v4, v4, 4 clamp
	v_lshlrev_b32_e32 v6, v4, v3
	v_lshlrev_b32_e32 v4, 23, v4
	v_lshrrev_b32_e32 v6, 4, v6
	v_add_u32_e32 v5, 0x1000000, v3
	v_sub_u32_e32 v4, v6, v4
	v_ashrrev_i32_e32 v5, 8, v5
	v_add_u32_e32 v4, 0x3c000000, v4
	v_and_or_b32 v4, v5, s0, v4
	v_cmp_ne_u32_e32 vcc, 0, v3
	v_cndmask_b32_e32 v3, 0, v4, vcc
	v_and_or_b32 v2, v2, s1, v3
	v_trunc_f32_e32 v2, v2
	v_mul_f32_e32 v3, 0x2f800000, v2
	v_floor_f32_e32 v3, v3
	v_fmac_f32_e32 v2, 0xcf800000, v3
	v_cvt_u32_f32_e32 v2, v2
	v_cvt_u32_f32_e32 v3, v3
.LBB371_439:
	s_mov_b64 s[0:1], 0
.LBB371_440:
	s_andn2_b64 vcc, exec, s[0:1]
	s_cbranch_vccnz .LBB371_442
; %bb.441:
	global_load_ubyte v2, v[0:1], off
	s_movk_i32 s0, 0x7f00
	s_brev_b32 s1, 16
	s_brev_b32 s26, 1
	s_waitcnt vmcnt(0)
	v_lshlrev_b16_e32 v3, 8, v2
	v_lshlrev_b32_e32 v2, 25, v2
	v_lshrrev_b32_e32 v4, 4, v2
	v_and_or_b32 v5, v3, s0, 0.5
	v_or_b32_e32 v4, 0x70000000, v4
	v_add_f32_e32 v5, -0.5, v5
	v_mul_f32_e32 v4, 0x7800000, v4
	v_cmp_gt_u32_e32 vcc, s1, v2
	v_bfe_i32 v3, v3, 0, 16
	v_cndmask_b32_e32 v2, v4, v5, vcc
	v_and_or_b32 v2, v3, s26, v2
	v_trunc_f32_e32 v2, v2
	v_mul_f32_e32 v3, 0x2f800000, v2
	v_floor_f32_e32 v3, v3
	v_fmac_f32_e32 v2, 0xcf800000, v3
	v_cvt_u32_f32_e32 v2, v2
	v_cvt_u32_f32_e32 v3, v3
.LBB371_442:
	s_mov_b64 s[26:27], 0
	s_mov_b64 s[0:1], -1
.LBB371_443:
	s_andn2_b64 vcc, exec, s[26:27]
	s_cbranch_vccnz .LBB371_454
; %bb.444:
	s_cmp_gt_i32 s30, 14
	s_cbranch_scc0 .LBB371_447
; %bb.445:
	s_cmp_eq_u32 s30, 15
	s_cbranch_scc0 .LBB371_448
; %bb.446:
	global_load_ushort v2, v[0:1], off
	s_mov_b64 s[0:1], -1
	s_mov_b64 s[24:25], 0
	s_waitcnt vmcnt(0)
	v_lshlrev_b32_e32 v2, 16, v2
	v_trunc_f32_e32 v2, v2
	v_mul_f32_e32 v3, 0x2f800000, v2
	v_floor_f32_e32 v3, v3
	v_fmac_f32_e32 v2, 0xcf800000, v3
	v_cvt_u32_f32_e32 v2, v2
	v_cvt_u32_f32_e32 v3, v3
	s_branch .LBB371_449
.LBB371_447:
	s_mov_b64 s[26:27], -1
                                        ; implicit-def: $vgpr2_vgpr3
	s_branch .LBB371_450
.LBB371_448:
	s_mov_b64 s[24:25], -1
                                        ; implicit-def: $vgpr2_vgpr3
.LBB371_449:
	s_mov_b64 s[26:27], 0
.LBB371_450:
	s_and_b64 vcc, exec, s[26:27]
	s_cbranch_vccz .LBB371_454
; %bb.451:
	s_cmp_eq_u32 s30, 11
	s_cbranch_scc0 .LBB371_453
; %bb.452:
	global_load_ubyte v2, v[0:1], off
	s_mov_b32 s24, 0
	s_mov_b64 s[0:1], -1
	s_waitcnt vmcnt(1)
	v_mov_b32_e32 v3, s24
	s_mov_b64 s[24:25], 0
	s_waitcnt vmcnt(0)
	v_cmp_ne_u16_e32 vcc, 0, v2
	v_cndmask_b32_e64 v2, 0, 1, vcc
	s_branch .LBB371_454
.LBB371_453:
	s_mov_b64 s[24:25], -1
                                        ; implicit-def: $vgpr2_vgpr3
.LBB371_454:
	s_branch .LBB371_261
.LBB371_455:
	s_cmp_lt_i32 s30, 5
	s_cbranch_scc1 .LBB371_460
; %bb.456:
	s_cmp_lt_i32 s30, 8
	s_cbranch_scc1 .LBB371_461
; %bb.457:
	;; [unrolled: 3-line block ×3, first 2 shown]
	s_cmp_gt_i32 s30, 9
	s_cbranch_scc0 .LBB371_463
; %bb.459:
	global_load_dwordx2 v[2:3], v[0:1], off
	s_movk_i32 s0, 0xffe0
	s_waitcnt vmcnt(0)
	v_trunc_f64_e32 v[2:3], v[2:3]
	v_ldexp_f64 v[4:5], v[2:3], s0
	s_mov_b32 s0, 0
	s_mov_b32 s1, 0xc1f00000
	v_floor_f64_e32 v[4:5], v[4:5]
	v_fma_f64 v[6:7], v[4:5], s[0:1], v[2:3]
	v_cvt_u32_f64_e32 v3, v[4:5]
	s_mov_b64 s[0:1], 0
	v_cvt_u32_f64_e32 v2, v[6:7]
	s_branch .LBB371_464
.LBB371_460:
	s_mov_b64 s[0:1], -1
                                        ; implicit-def: $vgpr2_vgpr3
	s_branch .LBB371_482
.LBB371_461:
	s_mov_b64 s[0:1], -1
                                        ; implicit-def: $vgpr2_vgpr3
	s_branch .LBB371_470
.LBB371_462:
	s_mov_b64 s[0:1], -1
                                        ; implicit-def: $vgpr2_vgpr3
	s_branch .LBB371_467
.LBB371_463:
	s_mov_b64 s[0:1], -1
                                        ; implicit-def: $vgpr2_vgpr3
.LBB371_464:
	s_andn2_b64 vcc, exec, s[0:1]
	s_cbranch_vccnz .LBB371_466
; %bb.465:
	global_load_dword v2, v[0:1], off
	s_waitcnt vmcnt(0)
	v_trunc_f32_e32 v2, v2
	v_mul_f32_e32 v3, 0x2f800000, v2
	v_floor_f32_e32 v4, v3
	v_fmac_f32_e32 v2, 0xcf800000, v4
	v_cvt_u32_f32_e32 v3, v4
	v_cvt_u32_f32_e32 v2, v2
.LBB371_466:
	s_mov_b64 s[0:1], 0
.LBB371_467:
	s_andn2_b64 vcc, exec, s[0:1]
	s_cbranch_vccnz .LBB371_469
; %bb.468:
	global_load_dword v2, v[0:1], off
	s_waitcnt vmcnt(1)
	v_mov_b32_e32 v3, 0
	s_waitcnt vmcnt(0)
	v_cvt_f32_f16_e32 v2, v2
	v_cvt_u32_f32_e32 v2, v2
.LBB371_469:
	s_mov_b64 s[0:1], 0
.LBB371_470:
	s_andn2_b64 vcc, exec, s[0:1]
	s_cbranch_vccnz .LBB371_481
; %bb.471:
	s_cmp_lt_i32 s30, 6
	s_cbranch_scc1 .LBB371_474
; %bb.472:
	s_cmp_gt_i32 s30, 6
	s_cbranch_scc0 .LBB371_475
; %bb.473:
	global_load_dwordx2 v[2:3], v[0:1], off
	s_movk_i32 s0, 0xffe0
	s_waitcnt vmcnt(0)
	v_trunc_f64_e32 v[2:3], v[2:3]
	v_ldexp_f64 v[4:5], v[2:3], s0
	s_mov_b32 s0, 0
	s_mov_b32 s1, 0xc1f00000
	v_floor_f64_e32 v[4:5], v[4:5]
	v_fma_f64 v[6:7], v[4:5], s[0:1], v[2:3]
	v_cvt_u32_f64_e32 v3, v[4:5]
	s_mov_b64 s[0:1], 0
	v_cvt_u32_f64_e32 v2, v[6:7]
	s_branch .LBB371_476
.LBB371_474:
	s_mov_b64 s[0:1], -1
                                        ; implicit-def: $vgpr2_vgpr3
	s_branch .LBB371_479
.LBB371_475:
	s_mov_b64 s[0:1], -1
                                        ; implicit-def: $vgpr2_vgpr3
.LBB371_476:
	s_andn2_b64 vcc, exec, s[0:1]
	s_cbranch_vccnz .LBB371_478
; %bb.477:
	global_load_dword v2, v[0:1], off
	s_waitcnt vmcnt(0)
	v_trunc_f32_e32 v2, v2
	v_mul_f32_e32 v3, 0x2f800000, v2
	v_floor_f32_e32 v4, v3
	v_fmac_f32_e32 v2, 0xcf800000, v4
	v_cvt_u32_f32_e32 v3, v4
	v_cvt_u32_f32_e32 v2, v2
.LBB371_478:
	s_mov_b64 s[0:1], 0
.LBB371_479:
	s_andn2_b64 vcc, exec, s[0:1]
	s_cbranch_vccnz .LBB371_481
; %bb.480:
	global_load_ushort v2, v[0:1], off
	s_waitcnt vmcnt(1)
	v_mov_b32_e32 v3, 0
	s_waitcnt vmcnt(0)
	v_cvt_f32_f16_e32 v2, v2
	v_cvt_u32_f32_e32 v2, v2
.LBB371_481:
	s_mov_b64 s[0:1], 0
.LBB371_482:
	s_andn2_b64 vcc, exec, s[0:1]
	s_cbranch_vccnz .LBB371_502
; %bb.483:
	s_cmp_lt_i32 s30, 2
	s_cbranch_scc1 .LBB371_487
; %bb.484:
	s_cmp_lt_i32 s30, 3
	s_cbranch_scc1 .LBB371_488
; %bb.485:
	s_cmp_gt_i32 s30, 3
	s_cbranch_scc0 .LBB371_489
; %bb.486:
	global_load_dwordx2 v[2:3], v[0:1], off
	s_mov_b64 s[0:1], 0
	s_branch .LBB371_490
.LBB371_487:
	s_mov_b64 s[0:1], -1
                                        ; implicit-def: $vgpr2_vgpr3
	s_branch .LBB371_496
.LBB371_488:
	s_mov_b64 s[0:1], -1
                                        ; implicit-def: $vgpr2_vgpr3
	s_branch .LBB371_493
.LBB371_489:
	s_mov_b64 s[0:1], -1
                                        ; implicit-def: $vgpr2_vgpr3
.LBB371_490:
	s_andn2_b64 vcc, exec, s[0:1]
	s_cbranch_vccnz .LBB371_492
; %bb.491:
	global_load_dword v2, v[0:1], off
	s_waitcnt vmcnt(0)
	v_ashrrev_i32_e32 v3, 31, v2
.LBB371_492:
	s_mov_b64 s[0:1], 0
.LBB371_493:
	s_andn2_b64 vcc, exec, s[0:1]
	s_cbranch_vccnz .LBB371_495
; %bb.494:
	global_load_ushort v2, v[0:1], off
	s_waitcnt vmcnt(0)
	v_bfe_i32 v2, v2, 0, 16
	v_ashrrev_i32_e32 v3, 31, v2
.LBB371_495:
	s_mov_b64 s[0:1], 0
.LBB371_496:
	s_andn2_b64 vcc, exec, s[0:1]
	s_cbranch_vccnz .LBB371_502
; %bb.497:
	s_cmp_gt_i32 s30, 0
	s_cbranch_scc0 .LBB371_499
; %bb.498:
	global_load_sbyte v2, v[0:1], off
	s_mov_b64 s[0:1], 0
	s_waitcnt vmcnt(0)
	v_bfe_i32 v2, v2, 0, 16
	v_ashrrev_i32_e32 v3, 31, v2
	s_branch .LBB371_500
.LBB371_499:
	s_mov_b64 s[0:1], -1
                                        ; implicit-def: $vgpr2_vgpr3
.LBB371_500:
	s_andn2_b64 vcc, exec, s[0:1]
	s_cbranch_vccnz .LBB371_502
; %bb.501:
	global_load_ubyte v0, v[0:1], off
	s_mov_b32 s0, 0
	s_waitcnt vmcnt(1)
	v_mov_b32_e32 v3, s0
	s_waitcnt vmcnt(0)
	v_and_b32_e32 v2, 0xffff, v0
.LBB371_502:
	s_branch .LBB371_262
.LBB371_503:
	s_mov_b64 s[30:31], 0
                                        ; implicit-def: $vgpr10
	s_mov_b64 s[0:1], s[18:19]
.LBB371_504:
	s_andn2_b64 s[26:27], s[18:19], exec
	s_and_b64 s[0:1], s[0:1], exec
	s_or_b64 s[26:27], s[26:27], s[0:1]
	s_andn2_b64 s[0:1], s[20:21], exec
	s_and_b64 s[24:25], s[24:25], exec
	s_or_b64 s[24:25], s[0:1], s[24:25]
	s_orn2_b64 s[0:1], s[30:31], exec
.LBB371_505:
	s_or_b64 exec, exec, s[28:29]
	s_mov_b64 s[30:31], 0
	s_mov_b64 s[34:35], 0
	;; [unrolled: 1-line block ×3, first 2 shown]
                                        ; implicit-def: $vgpr0_vgpr1
                                        ; implicit-def: $vgpr2_vgpr3
	s_and_saveexec_b64 s[28:29], s[0:1]
	s_cbranch_execz .LBB371_842
; %bb.506:
	v_cmp_gt_i32_e32 vcc, s44, v10
	s_mov_b64 s[40:41], -1
	s_mov_b64 s[0:1], s[24:25]
	s_mov_b64 s[36:37], s[26:27]
	s_and_saveexec_b64 s[30:31], vcc
	s_cbranch_execz .LBB371_760
; %bb.507:
	v_mul_lo_u32 v0, v10, s13
	v_mov_b32_e32 v1, s11
	s_and_b32 s38, 0xffff, s15
	s_cmp_lt_i32 s38, 11
	s_waitcnt vmcnt(0)
	v_ashrrev_i32_e32 v2, 31, v0
	v_add_co_u32_e32 v0, vcc, s10, v0
	v_addc_co_u32_e32 v1, vcc, v1, v2, vcc
	s_cbranch_scc1 .LBB371_514
; %bb.508:
	s_cmp_gt_i32 s38, 25
	s_cbranch_scc0 .LBB371_515
; %bb.509:
	s_cmp_gt_i32 s38, 28
	s_cbranch_scc0 .LBB371_516
	;; [unrolled: 3-line block ×4, first 2 shown]
; %bb.512:
	s_cmp_eq_u32 s38, 46
	s_mov_b64 s[36:37], 0
	s_cbranch_scc0 .LBB371_523
; %bb.513:
	global_load_dword v2, v[0:1], off
	s_mov_b64 s[0:1], -1
	s_waitcnt vmcnt(0)
	v_lshlrev_b32_e32 v2, 16, v2
	v_trunc_f32_e32 v2, v2
	v_mul_f32_e32 v3, 0x2f800000, v2
	v_floor_f32_e32 v3, v3
	v_fmac_f32_e32 v2, 0xcf800000, v3
	v_cvt_u32_f32_e32 v2, v2
	v_cvt_u32_f32_e32 v3, v3
	s_branch .LBB371_524
.LBB371_514:
	s_mov_b64 s[36:37], -1
	s_mov_b64 s[0:1], 0
                                        ; implicit-def: $vgpr2_vgpr3
	s_mov_b64 s[34:35], s[24:25]
	s_branch .LBB371_585
.LBB371_515:
	s_mov_b64 s[36:37], -1
	s_mov_b64 s[0:1], 0
	s_mov_b64 s[34:35], s[24:25]
                                        ; implicit-def: $vgpr2_vgpr3
	s_branch .LBB371_553
.LBB371_516:
	s_mov_b64 s[36:37], -1
	s_mov_b64 s[0:1], 0
	s_mov_b64 s[34:35], s[24:25]
                                        ; implicit-def: $vgpr2_vgpr3
	s_branch .LBB371_534
.LBB371_517:
	s_mov_b64 s[36:37], -1
	s_mov_b64 s[0:1], 0
	s_mov_b64 s[34:35], s[24:25]
                                        ; implicit-def: $vgpr2_vgpr3
	s_branch .LBB371_529
.LBB371_518:
	s_andn2_saveexec_b64 s[36:37], s[36:37]
	s_cbranch_execz .LBB371_307
.LBB371_519:
	v_add_f32_e32 v2, 0x46000000, v3
	v_and_b32_e32 v2, 0xff, v2
	v_cmp_ne_u32_e32 vcc, 0, v2
	s_andn2_b64 s[34:35], s[34:35], exec
	s_and_b64 s[40:41], vcc, exec
	s_or_b64 s[34:35], s[34:35], s[40:41]
	s_or_b64 exec, exec, s[36:37]
	v_mov_b32_e32 v4, 0
	s_and_saveexec_b64 s[36:37], s[34:35]
	s_cbranch_execnz .LBB371_308
	s_branch .LBB371_309
.LBB371_520:
	s_mov_b64 s[36:37], -1
	s_mov_b64 s[0:1], 0
	s_mov_b64 s[34:35], s[24:25]
                                        ; implicit-def: $vgpr2_vgpr3
	s_branch .LBB371_524
.LBB371_521:
	s_andn2_saveexec_b64 s[36:37], s[36:37]
	s_cbranch_execz .LBB371_320
.LBB371_522:
	v_add_f32_e32 v2, 0x42800000, v3
	v_and_b32_e32 v2, 0xff, v2
	v_cmp_ne_u32_e32 vcc, 0, v2
	s_andn2_b64 s[34:35], s[34:35], exec
	s_and_b64 s[40:41], vcc, exec
	s_or_b64 s[34:35], s[34:35], s[40:41]
	s_or_b64 exec, exec, s[36:37]
	v_mov_b32_e32 v4, 0
	s_and_saveexec_b64 s[36:37], s[34:35]
	s_cbranch_execnz .LBB371_321
	s_branch .LBB371_322
.LBB371_523:
	s_mov_b64 s[34:35], -1
                                        ; implicit-def: $vgpr2_vgpr3
	s_mov_b64 s[0:1], 0
.LBB371_524:
	s_and_b64 vcc, exec, s[36:37]
	s_cbranch_vccz .LBB371_528
; %bb.525:
	s_cmp_eq_u32 s38, 44
	s_cbranch_scc0 .LBB371_527
; %bb.526:
	global_load_ubyte v2, v[0:1], off
	s_mov_b64 s[0:1], -1
	s_mov_b64 s[34:35], 0
	s_waitcnt vmcnt(0)
	v_lshlrev_b32_e32 v3, 23, v2
	v_trunc_f32_e32 v3, v3
	v_mul_f32_e32 v4, 0x2f800000, v3
	v_floor_f32_e32 v4, v4
	v_fmac_f32_e32 v3, 0xcf800000, v4
	v_cvt_u32_f32_e32 v4, v4
	v_cvt_u32_f32_e32 v5, v3
	v_cmp_ne_u32_e32 vcc, 0, v2
	v_cndmask_b32_e32 v3, 0, v4, vcc
	v_cndmask_b32_e32 v2, 0, v5, vcc
	s_branch .LBB371_528
.LBB371_527:
	s_mov_b64 s[34:35], -1
                                        ; implicit-def: $vgpr2_vgpr3
.LBB371_528:
	s_mov_b64 s[36:37], 0
.LBB371_529:
	s_and_b64 vcc, exec, s[36:37]
	s_cbranch_vccz .LBB371_533
; %bb.530:
	s_cmp_eq_u32 s38, 29
	s_cbranch_scc0 .LBB371_532
; %bb.531:
	global_load_dwordx2 v[2:3], v[0:1], off
	s_mov_b64 s[0:1], -1
	s_mov_b64 s[34:35], 0
	s_branch .LBB371_533
.LBB371_532:
	s_mov_b64 s[34:35], -1
                                        ; implicit-def: $vgpr2_vgpr3
.LBB371_533:
	s_mov_b64 s[36:37], 0
.LBB371_534:
	s_and_b64 vcc, exec, s[36:37]
	s_cbranch_vccz .LBB371_552
; %bb.535:
	s_cmp_lt_i32 s38, 27
	s_cbranch_scc1 .LBB371_538
; %bb.536:
	s_cmp_gt_i32 s38, 27
	s_cbranch_scc0 .LBB371_539
; %bb.537:
	global_load_dword v2, v[0:1], off
	s_waitcnt vmcnt(1)
	v_mov_b32_e32 v3, 0
	s_mov_b64 s[0:1], 0
	s_branch .LBB371_540
.LBB371_538:
	s_mov_b64 s[0:1], -1
                                        ; implicit-def: $vgpr2_vgpr3
	s_branch .LBB371_543
.LBB371_539:
	s_mov_b64 s[0:1], -1
                                        ; implicit-def: $vgpr2_vgpr3
.LBB371_540:
	s_andn2_b64 vcc, exec, s[0:1]
	s_cbranch_vccnz .LBB371_542
; %bb.541:
	global_load_ushort v2, v[0:1], off
	s_mov_b32 s0, 0
	s_waitcnt vmcnt(1)
	v_mov_b32_e32 v3, s0
	s_waitcnt vmcnt(0)
	v_and_b32_e32 v2, 0xffff, v2
.LBB371_542:
	s_mov_b64 s[0:1], 0
.LBB371_543:
	s_andn2_b64 vcc, exec, s[0:1]
	s_cbranch_vccnz .LBB371_551
; %bb.544:
	global_load_ubyte v4, v[0:1], off
	s_movk_i32 s0, 0x7f
	s_mov_b64 s[36:37], 0
	s_waitcnt vmcnt(0)
	v_cmp_lt_i16_e32 vcc, s0, v4
	s_and_saveexec_b64 s[0:1], vcc
	s_xor_b64 s[0:1], exec, s[0:1]
; %bb.545:
	s_movk_i32 s36, 0x80
	v_cmp_ne_u16_e32 vcc, s36, v4
	s_and_b64 s[36:37], vcc, exec
; %bb.546:
	s_andn2_saveexec_b64 s[0:1], s[0:1]
; %bb.547:
	v_cmp_ne_u16_e32 vcc, 0, v4
	s_andn2_b64 s[36:37], s[36:37], exec
	s_and_b64 s[40:41], vcc, exec
	s_or_b64 s[36:37], s[36:37], s[40:41]
; %bb.548:
	s_or_b64 exec, exec, s[0:1]
	v_mov_b32_e32 v2, 0
	v_mov_b32_e32 v3, 0
	s_and_saveexec_b64 s[0:1], s[36:37]
	s_cbranch_execz .LBB371_550
; %bb.549:
	v_and_b32_e32 v3, 0xffff, v4
	v_lshlrev_b32_e32 v2, 24, v4
	v_and_b32_e32 v4, 7, v3
	v_ffbh_u32_e32 v6, v4
	v_min_u32_e32 v6, 32, v6
	v_subrev_u32_e32 v7, 28, v6
	v_bfe_u32 v5, v3, 3, 4
	v_lshlrev_b32_e32 v3, v7, v3
	v_sub_u32_e32 v6, 29, v6
	v_and_b32_e32 v3, 7, v3
	v_cmp_eq_u32_e32 vcc, 0, v5
	v_cndmask_b32_e32 v5, v5, v6, vcc
	v_cndmask_b32_e32 v3, v4, v3, vcc
	v_mov_b32_e32 v4, 0x3b800000
	v_lshlrev_b32_e32 v3, 20, v3
	v_and_b32_e32 v2, 0x80000000, v2
	v_lshl_add_u32 v4, v5, 23, v4
	v_or3_b32 v2, v2, v4, v3
	v_trunc_f32_e32 v2, v2
	v_mul_f32_e32 v3, 0x2f800000, v2
	v_floor_f32_e32 v3, v3
	v_fmac_f32_e32 v2, 0xcf800000, v3
	v_cvt_u32_f32_e32 v2, v2
	v_cvt_u32_f32_e32 v3, v3
.LBB371_550:
	s_or_b64 exec, exec, s[0:1]
.LBB371_551:
	s_mov_b64 s[0:1], -1
.LBB371_552:
	s_mov_b64 s[36:37], 0
.LBB371_553:
	s_and_b64 vcc, exec, s[36:37]
	s_cbranch_vccz .LBB371_584
; %bb.554:
	s_cmp_gt_i32 s38, 22
	s_cbranch_scc0 .LBB371_564
; %bb.555:
	s_cmp_lt_i32 s38, 24
	s_cbranch_scc1 .LBB371_565
; %bb.556:
	s_cmp_gt_i32 s38, 24
	s_cbranch_scc0 .LBB371_566
; %bb.557:
	global_load_ubyte v4, v[0:1], off
	s_movk_i32 s0, 0x7f
	s_mov_b64 s[36:37], 0
	s_waitcnt vmcnt(0)
	v_cmp_lt_i16_e32 vcc, s0, v4
	s_and_saveexec_b64 s[0:1], vcc
	s_xor_b64 s[0:1], exec, s[0:1]
; %bb.558:
	s_movk_i32 s36, 0x80
	v_cmp_ne_u16_e32 vcc, s36, v4
	s_and_b64 s[36:37], vcc, exec
; %bb.559:
	s_andn2_saveexec_b64 s[0:1], s[0:1]
; %bb.560:
	v_cmp_ne_u16_e32 vcc, 0, v4
	s_andn2_b64 s[36:37], s[36:37], exec
	s_and_b64 s[40:41], vcc, exec
	s_or_b64 s[36:37], s[36:37], s[40:41]
; %bb.561:
	s_or_b64 exec, exec, s[0:1]
	v_mov_b32_e32 v2, 0
	v_mov_b32_e32 v3, 0
	s_and_saveexec_b64 s[0:1], s[36:37]
	s_cbranch_execz .LBB371_563
; %bb.562:
	v_and_b32_e32 v3, 0xffff, v4
	v_lshlrev_b32_e32 v2, 24, v4
	v_and_b32_e32 v4, 3, v3
	v_ffbh_u32_e32 v6, v4
	v_min_u32_e32 v6, 32, v6
	v_subrev_u32_e32 v7, 29, v6
	v_bfe_u32 v5, v3, 2, 5
	v_lshlrev_b32_e32 v3, v7, v3
	v_sub_u32_e32 v6, 30, v6
	v_and_b32_e32 v3, 3, v3
	v_cmp_eq_u32_e32 vcc, 0, v5
	v_cndmask_b32_e32 v5, v5, v6, vcc
	v_cndmask_b32_e32 v3, v4, v3, vcc
	v_mov_b32_e32 v4, 0x37800000
	v_lshlrev_b32_e32 v3, 21, v3
	v_and_b32_e32 v2, 0x80000000, v2
	v_lshl_add_u32 v4, v5, 23, v4
	v_or3_b32 v2, v2, v4, v3
	v_trunc_f32_e32 v2, v2
	v_mul_f32_e32 v3, 0x2f800000, v2
	v_floor_f32_e32 v3, v3
	v_fmac_f32_e32 v2, 0xcf800000, v3
	v_cvt_u32_f32_e32 v2, v2
	v_cvt_u32_f32_e32 v3, v3
.LBB371_563:
	s_or_b64 exec, exec, s[0:1]
	s_mov_b64 s[0:1], 0
	s_branch .LBB371_567
.LBB371_564:
	s_mov_b64 s[36:37], -1
                                        ; implicit-def: $vgpr2_vgpr3
	s_branch .LBB371_573
.LBB371_565:
	s_mov_b64 s[0:1], -1
                                        ; implicit-def: $vgpr2_vgpr3
	s_branch .LBB371_570
.LBB371_566:
	s_mov_b64 s[0:1], -1
                                        ; implicit-def: $vgpr2_vgpr3
.LBB371_567:
	s_and_b64 vcc, exec, s[0:1]
	s_cbranch_vccz .LBB371_569
; %bb.568:
	global_load_ubyte v2, v[0:1], off
	s_mov_b32 s0, 0x7f800000
	s_brev_b32 s1, 1
	s_waitcnt vmcnt(0)
	v_lshlrev_b32_e32 v2, 24, v2
	v_and_b32_e32 v3, 0x7f000000, v2
	v_ffbh_u32_e32 v4, v3
	v_min_u32_e32 v4, 32, v4
	v_sub_u32_e64 v4, v4, 4 clamp
	v_lshlrev_b32_e32 v6, v4, v3
	v_lshlrev_b32_e32 v4, 23, v4
	v_lshrrev_b32_e32 v6, 4, v6
	v_add_u32_e32 v5, 0x1000000, v3
	v_sub_u32_e32 v4, v6, v4
	v_ashrrev_i32_e32 v5, 8, v5
	v_add_u32_e32 v4, 0x3c000000, v4
	v_and_or_b32 v4, v5, s0, v4
	v_cmp_ne_u32_e32 vcc, 0, v3
	v_cndmask_b32_e32 v3, 0, v4, vcc
	v_and_or_b32 v2, v2, s1, v3
	v_trunc_f32_e32 v2, v2
	v_mul_f32_e32 v3, 0x2f800000, v2
	v_floor_f32_e32 v3, v3
	v_fmac_f32_e32 v2, 0xcf800000, v3
	v_cvt_u32_f32_e32 v2, v2
	v_cvt_u32_f32_e32 v3, v3
.LBB371_569:
	s_mov_b64 s[0:1], 0
.LBB371_570:
	s_andn2_b64 vcc, exec, s[0:1]
	s_cbranch_vccnz .LBB371_572
; %bb.571:
	global_load_ubyte v2, v[0:1], off
	s_movk_i32 s0, 0x7f00
	s_brev_b32 s1, 16
	s_brev_b32 s36, 1
	s_waitcnt vmcnt(0)
	v_lshlrev_b16_e32 v3, 8, v2
	v_lshlrev_b32_e32 v2, 25, v2
	v_lshrrev_b32_e32 v4, 4, v2
	v_and_or_b32 v5, v3, s0, 0.5
	v_or_b32_e32 v4, 0x70000000, v4
	v_add_f32_e32 v5, -0.5, v5
	v_mul_f32_e32 v4, 0x7800000, v4
	v_cmp_gt_u32_e32 vcc, s1, v2
	v_bfe_i32 v3, v3, 0, 16
	v_cndmask_b32_e32 v2, v4, v5, vcc
	v_and_or_b32 v2, v3, s36, v2
	v_trunc_f32_e32 v2, v2
	v_mul_f32_e32 v3, 0x2f800000, v2
	v_floor_f32_e32 v3, v3
	v_fmac_f32_e32 v2, 0xcf800000, v3
	v_cvt_u32_f32_e32 v2, v2
	v_cvt_u32_f32_e32 v3, v3
.LBB371_572:
	s_mov_b64 s[36:37], 0
	s_mov_b64 s[0:1], -1
.LBB371_573:
	s_andn2_b64 vcc, exec, s[36:37]
	s_cbranch_vccnz .LBB371_584
; %bb.574:
	s_cmp_gt_i32 s38, 14
	s_cbranch_scc0 .LBB371_577
; %bb.575:
	s_cmp_eq_u32 s38, 15
	s_cbranch_scc0 .LBB371_578
; %bb.576:
	global_load_ushort v2, v[0:1], off
	s_mov_b64 s[0:1], -1
	s_mov_b64 s[34:35], 0
	s_waitcnt vmcnt(0)
	v_lshlrev_b32_e32 v2, 16, v2
	v_trunc_f32_e32 v2, v2
	v_mul_f32_e32 v3, 0x2f800000, v2
	v_floor_f32_e32 v3, v3
	v_fmac_f32_e32 v2, 0xcf800000, v3
	v_cvt_u32_f32_e32 v2, v2
	v_cvt_u32_f32_e32 v3, v3
	s_branch .LBB371_579
.LBB371_577:
	s_mov_b64 s[36:37], -1
                                        ; implicit-def: $vgpr2_vgpr3
	s_branch .LBB371_580
.LBB371_578:
	s_mov_b64 s[34:35], -1
                                        ; implicit-def: $vgpr2_vgpr3
.LBB371_579:
	s_mov_b64 s[36:37], 0
.LBB371_580:
	s_and_b64 vcc, exec, s[36:37]
	s_cbranch_vccz .LBB371_584
; %bb.581:
	s_cmp_eq_u32 s38, 11
	s_cbranch_scc0 .LBB371_583
; %bb.582:
	global_load_ubyte v2, v[0:1], off
	s_mov_b32 s34, 0
	s_mov_b64 s[0:1], -1
	s_waitcnt vmcnt(1)
	v_mov_b32_e32 v3, s34
	s_mov_b64 s[34:35], 0
	s_waitcnt vmcnt(0)
	v_cmp_ne_u16_e32 vcc, 0, v2
	v_cndmask_b32_e64 v2, 0, 1, vcc
	s_branch .LBB371_584
.LBB371_583:
	s_mov_b64 s[34:35], -1
                                        ; implicit-def: $vgpr2_vgpr3
.LBB371_584:
	s_mov_b64 s[36:37], 0
.LBB371_585:
	s_and_b64 vcc, exec, s[36:37]
	s_cbranch_vccz .LBB371_634
; %bb.586:
	s_cmp_lt_i32 s38, 5
	s_cbranch_scc1 .LBB371_591
; %bb.587:
	s_cmp_lt_i32 s38, 8
	s_cbranch_scc1 .LBB371_592
	;; [unrolled: 3-line block ×3, first 2 shown]
; %bb.589:
	s_cmp_gt_i32 s38, 9
	s_cbranch_scc0 .LBB371_594
; %bb.590:
	global_load_dwordx2 v[2:3], v[0:1], off
	s_movk_i32 s0, 0xffe0
	s_waitcnt vmcnt(0)
	v_trunc_f64_e32 v[2:3], v[2:3]
	v_ldexp_f64 v[4:5], v[2:3], s0
	s_mov_b32 s0, 0
	s_mov_b32 s1, 0xc1f00000
	v_floor_f64_e32 v[4:5], v[4:5]
	v_fma_f64 v[6:7], v[4:5], s[0:1], v[2:3]
	v_cvt_u32_f64_e32 v3, v[4:5]
	s_mov_b64 s[0:1], 0
	v_cvt_u32_f64_e32 v2, v[6:7]
	s_branch .LBB371_595
.LBB371_591:
	s_mov_b64 s[0:1], -1
                                        ; implicit-def: $vgpr2_vgpr3
	s_branch .LBB371_613
.LBB371_592:
	s_mov_b64 s[0:1], -1
                                        ; implicit-def: $vgpr2_vgpr3
	s_branch .LBB371_601
.LBB371_593:
	s_mov_b64 s[0:1], -1
                                        ; implicit-def: $vgpr2_vgpr3
	s_branch .LBB371_598
.LBB371_594:
	s_mov_b64 s[0:1], -1
                                        ; implicit-def: $vgpr2_vgpr3
.LBB371_595:
	s_andn2_b64 vcc, exec, s[0:1]
	s_cbranch_vccnz .LBB371_597
; %bb.596:
	global_load_dword v2, v[0:1], off
	s_waitcnt vmcnt(0)
	v_trunc_f32_e32 v2, v2
	v_mul_f32_e32 v3, 0x2f800000, v2
	v_floor_f32_e32 v4, v3
	v_fmac_f32_e32 v2, 0xcf800000, v4
	v_cvt_u32_f32_e32 v3, v4
	v_cvt_u32_f32_e32 v2, v2
.LBB371_597:
	s_mov_b64 s[0:1], 0
.LBB371_598:
	s_andn2_b64 vcc, exec, s[0:1]
	s_cbranch_vccnz .LBB371_600
; %bb.599:
	global_load_dword v2, v[0:1], off
	s_waitcnt vmcnt(1)
	v_mov_b32_e32 v3, 0
	s_waitcnt vmcnt(0)
	v_cvt_f32_f16_e32 v2, v2
	v_cvt_u32_f32_e32 v2, v2
.LBB371_600:
	s_mov_b64 s[0:1], 0
.LBB371_601:
	s_andn2_b64 vcc, exec, s[0:1]
	s_cbranch_vccnz .LBB371_612
; %bb.602:
	s_cmp_lt_i32 s38, 6
	s_cbranch_scc1 .LBB371_605
; %bb.603:
	s_cmp_gt_i32 s38, 6
	s_cbranch_scc0 .LBB371_606
; %bb.604:
	global_load_dwordx2 v[2:3], v[0:1], off
	s_movk_i32 s0, 0xffe0
	s_waitcnt vmcnt(0)
	v_trunc_f64_e32 v[2:3], v[2:3]
	v_ldexp_f64 v[4:5], v[2:3], s0
	s_mov_b32 s0, 0
	s_mov_b32 s1, 0xc1f00000
	v_floor_f64_e32 v[4:5], v[4:5]
	v_fma_f64 v[6:7], v[4:5], s[0:1], v[2:3]
	v_cvt_u32_f64_e32 v3, v[4:5]
	s_mov_b64 s[0:1], 0
	v_cvt_u32_f64_e32 v2, v[6:7]
	s_branch .LBB371_607
.LBB371_605:
	s_mov_b64 s[0:1], -1
                                        ; implicit-def: $vgpr2_vgpr3
	s_branch .LBB371_610
.LBB371_606:
	s_mov_b64 s[0:1], -1
                                        ; implicit-def: $vgpr2_vgpr3
.LBB371_607:
	s_andn2_b64 vcc, exec, s[0:1]
	s_cbranch_vccnz .LBB371_609
; %bb.608:
	global_load_dword v2, v[0:1], off
	s_waitcnt vmcnt(0)
	v_trunc_f32_e32 v2, v2
	v_mul_f32_e32 v3, 0x2f800000, v2
	v_floor_f32_e32 v4, v3
	v_fmac_f32_e32 v2, 0xcf800000, v4
	v_cvt_u32_f32_e32 v3, v4
	v_cvt_u32_f32_e32 v2, v2
.LBB371_609:
	s_mov_b64 s[0:1], 0
.LBB371_610:
	s_andn2_b64 vcc, exec, s[0:1]
	s_cbranch_vccnz .LBB371_612
; %bb.611:
	global_load_ushort v2, v[0:1], off
	s_waitcnt vmcnt(1)
	v_mov_b32_e32 v3, 0
	s_waitcnt vmcnt(0)
	v_cvt_f32_f16_e32 v2, v2
	v_cvt_u32_f32_e32 v2, v2
.LBB371_612:
	s_mov_b64 s[0:1], 0
.LBB371_613:
	s_andn2_b64 vcc, exec, s[0:1]
	s_cbranch_vccnz .LBB371_633
; %bb.614:
	s_cmp_lt_i32 s38, 2
	s_cbranch_scc1 .LBB371_618
; %bb.615:
	s_cmp_lt_i32 s38, 3
	s_cbranch_scc1 .LBB371_619
; %bb.616:
	s_cmp_gt_i32 s38, 3
	s_cbranch_scc0 .LBB371_620
; %bb.617:
	global_load_dwordx2 v[2:3], v[0:1], off
	s_mov_b64 s[0:1], 0
	s_branch .LBB371_621
.LBB371_618:
	s_mov_b64 s[0:1], -1
                                        ; implicit-def: $vgpr2_vgpr3
	s_branch .LBB371_627
.LBB371_619:
	s_mov_b64 s[0:1], -1
                                        ; implicit-def: $vgpr2_vgpr3
	s_branch .LBB371_624
.LBB371_620:
	s_mov_b64 s[0:1], -1
                                        ; implicit-def: $vgpr2_vgpr3
.LBB371_621:
	s_andn2_b64 vcc, exec, s[0:1]
	s_cbranch_vccnz .LBB371_623
; %bb.622:
	global_load_dword v2, v[0:1], off
	s_waitcnt vmcnt(0)
	v_ashrrev_i32_e32 v3, 31, v2
.LBB371_623:
	s_mov_b64 s[0:1], 0
.LBB371_624:
	s_andn2_b64 vcc, exec, s[0:1]
	s_cbranch_vccnz .LBB371_626
; %bb.625:
	global_load_ushort v2, v[0:1], off
	s_waitcnt vmcnt(0)
	v_bfe_i32 v2, v2, 0, 16
	v_ashrrev_i32_e32 v3, 31, v2
.LBB371_626:
	s_mov_b64 s[0:1], 0
.LBB371_627:
	s_andn2_b64 vcc, exec, s[0:1]
	s_cbranch_vccnz .LBB371_633
; %bb.628:
	s_cmp_gt_i32 s38, 0
	s_cbranch_scc0 .LBB371_630
; %bb.629:
	global_load_sbyte v2, v[0:1], off
	s_mov_b64 s[0:1], 0
	s_waitcnt vmcnt(0)
	v_bfe_i32 v2, v2, 0, 16
	v_ashrrev_i32_e32 v3, 31, v2
	s_branch .LBB371_631
.LBB371_630:
	s_mov_b64 s[0:1], -1
                                        ; implicit-def: $vgpr2_vgpr3
.LBB371_631:
	s_andn2_b64 vcc, exec, s[0:1]
	s_cbranch_vccnz .LBB371_633
; %bb.632:
	global_load_ubyte v0, v[0:1], off
	s_mov_b32 s0, 0
	s_waitcnt vmcnt(1)
	v_mov_b32_e32 v3, s0
	s_waitcnt vmcnt(0)
	v_and_b32_e32 v2, 0xffff, v0
.LBB371_633:
	s_mov_b64 s[0:1], -1
.LBB371_634:
	s_andn2_b64 vcc, exec, s[0:1]
	s_cbranch_vccnz .LBB371_642
; %bb.635:
	v_mul_lo_u32 v0, v10, s12
	s_waitcnt vmcnt(0)
	v_cmp_ne_u64_e32 vcc, s[2:3], v[2:3]
	v_mov_b32_e32 v1, s9
	s_xor_b64 s[36:37], s[16:17], vcc
	v_ashrrev_i32_e32 v2, 31, v0
	s_and_b32 s45, s33, 0xff
	v_add_co_u32_e32 v0, vcc, s8, v0
	s_cmp_lt_i32 s45, 11
	v_addc_co_u32_e32 v1, vcc, v1, v2, vcc
	s_cbranch_scc1 .LBB371_643
; %bb.636:
	s_and_b32 s46, 0xffff, s45
	s_cmp_gt_i32 s46, 25
	s_cbranch_scc0 .LBB371_644
; %bb.637:
	s_cmp_gt_i32 s46, 28
	s_cbranch_scc0 .LBB371_645
; %bb.638:
	;; [unrolled: 3-line block ×4, first 2 shown]
	s_mov_b64 s[40:41], 0
	s_mov_b64 s[0:1], -1
	s_cmp_eq_u32 s46, 46
	s_mov_b64 s[38:39], 0
	s_cbranch_scc0 .LBB371_648
; %bb.641:
	v_cndmask_b32_e64 v2, 0, 1.0, s[36:37]
	v_bfe_u32 v3, v2, 16, 1
	s_movk_i32 s0, 0x7fff
	v_add3_u32 v2, v2, v3, s0
	v_lshrrev_b32_e32 v2, 16, v2
	global_store_dword v[0:1], v2, off
	s_mov_b64 s[38:39], -1
	s_mov_b64 s[0:1], 0
	s_branch .LBB371_648
.LBB371_642:
	s_mov_b64 s[38:39], 0
                                        ; implicit-def: $vgpr10
	s_mov_b64 s[0:1], s[26:27]
	s_branch .LBB371_759
.LBB371_643:
	s_mov_b64 s[40:41], -1
	s_mov_b64 s[38:39], 0
	s_mov_b64 s[0:1], s[26:27]
	s_branch .LBB371_717
.LBB371_644:
	s_mov_b64 s[40:41], -1
	s_mov_b64 s[38:39], 0
	s_mov_b64 s[0:1], s[26:27]
	s_branch .LBB371_675
.LBB371_645:
	s_mov_b64 s[40:41], -1
	s_mov_b64 s[38:39], 0
	s_mov_b64 s[0:1], s[26:27]
	s_branch .LBB371_658
.LBB371_646:
	s_mov_b64 s[40:41], -1
	s_mov_b64 s[38:39], 0
	s_mov_b64 s[0:1], s[26:27]
	s_branch .LBB371_654
.LBB371_647:
	s_mov_b64 s[40:41], -1
	s_mov_b64 s[38:39], 0
	s_mov_b64 s[0:1], s[26:27]
.LBB371_648:
	s_and_b64 vcc, exec, s[40:41]
	s_cbranch_vccz .LBB371_653
; %bb.649:
	s_cmp_eq_u32 s46, 44
	s_mov_b64 s[0:1], -1
	s_cbranch_scc0 .LBB371_653
; %bb.650:
	v_cndmask_b32_e64 v3, 0, 1.0, s[36:37]
	v_lshrrev_b32_e32 v2, 23, v3
	s_movk_i32 s0, 0xff
	v_cmp_ne_u32_e32 vcc, s0, v2
	v_mov_b32_e32 v4, 0xff
	s_and_saveexec_b64 s[38:39], vcc
; %bb.651:
	s_mov_b32 s0, 0x3fffff
	v_and_b32_e32 v4, 0x400000, v3
	v_and_or_b32 v3, v3, s0, v2
	v_cmp_ne_u32_e32 vcc, 0, v4
	v_cmp_ne_u32_e64 s[0:1], 0, v3
	s_and_b64 s[0:1], vcc, s[0:1]
	v_cndmask_b32_e64 v3, 0, 1, s[0:1]
	v_add_u32_e32 v4, v2, v3
; %bb.652:
	s_or_b64 exec, exec, s[38:39]
	s_mov_b64 s[38:39], -1
	s_mov_b64 s[0:1], 0
	global_store_byte v[0:1], v4, off
.LBB371_653:
	s_mov_b64 s[40:41], 0
.LBB371_654:
	s_and_b64 vcc, exec, s[40:41]
	s_cbranch_vccz .LBB371_657
; %bb.655:
	s_cmp_eq_u32 s46, 29
	s_mov_b64 s[0:1], -1
	s_cbranch_scc0 .LBB371_657
; %bb.656:
	s_mov_b32 s0, 0
	v_cndmask_b32_e64 v2, 0, 1, s[36:37]
	v_mov_b32_e32 v3, s0
	global_store_dwordx2 v[0:1], v[2:3], off
	s_mov_b64 s[38:39], -1
	s_mov_b64 s[0:1], 0
.LBB371_657:
	s_mov_b64 s[40:41], 0
.LBB371_658:
	s_and_b64 vcc, exec, s[40:41]
	s_cbranch_vccz .LBB371_674
; %bb.659:
	s_cmp_lt_i32 s46, 27
	s_mov_b64 s[38:39], -1
	s_cbranch_scc1 .LBB371_665
; %bb.660:
	s_cmp_gt_i32 s46, 27
	s_cbranch_scc0 .LBB371_662
; %bb.661:
	v_cndmask_b32_e64 v2, 0, 1, s[36:37]
	s_mov_b64 s[38:39], 0
	global_store_dword v[0:1], v2, off
.LBB371_662:
	s_andn2_b64 vcc, exec, s[38:39]
	s_cbranch_vccnz .LBB371_664
; %bb.663:
	v_cndmask_b32_e64 v2, 0, 1, s[36:37]
	global_store_short v[0:1], v2, off
.LBB371_664:
	s_mov_b64 s[38:39], 0
.LBB371_665:
	s_andn2_b64 vcc, exec, s[38:39]
	s_cbranch_vccnz .LBB371_673
; %bb.666:
	v_cndmask_b32_e64 v3, 0, 1.0, s[36:37]
	s_mov_b32 s38, 0x43800000
	v_cmp_gt_u32_e32 vcc, s38, v3
	v_mov_b32_e32 v4, 0x80
	s_and_saveexec_b64 s[38:39], vcc
	s_cbranch_execz .LBB371_672
; %bb.667:
	s_mov_b32 s40, 0x3bffffff
	v_cmp_lt_u32_e32 vcc, s40, v3
	s_mov_b64 s[40:41], 0
                                        ; implicit-def: $vgpr2
	s_and_saveexec_b64 s[42:43], vcc
	s_xor_b64 s[42:43], exec, s[42:43]
	s_cbranch_execz .LBB371_773
; %bb.668:
	v_bfe_u32 v2, v3, 20, 1
	s_mov_b32 s47, 0x487ffff
	v_add3_u32 v2, v3, v2, s47
	s_mov_b64 s[40:41], exec
	v_lshrrev_b32_e32 v2, 20, v2
                                        ; implicit-def: $vgpr3
	s_andn2_saveexec_b64 s[42:43], s[42:43]
	s_cbranch_execnz .LBB371_774
.LBB371_669:
	s_or_b64 exec, exec, s[42:43]
	v_mov_b32_e32 v4, 0
	s_and_saveexec_b64 s[42:43], s[40:41]
.LBB371_670:
	v_mov_b32_e32 v4, v2
.LBB371_671:
	s_or_b64 exec, exec, s[42:43]
.LBB371_672:
	s_or_b64 exec, exec, s[38:39]
	global_store_byte v[0:1], v4, off
.LBB371_673:
	s_mov_b64 s[38:39], -1
.LBB371_674:
	s_mov_b64 s[40:41], 0
.LBB371_675:
	s_and_b64 vcc, exec, s[40:41]
	s_cbranch_vccz .LBB371_716
; %bb.676:
	s_cmp_gt_i32 s46, 22
	s_mov_b64 s[40:41], -1
	s_cbranch_scc0 .LBB371_708
; %bb.677:
	s_cmp_lt_i32 s46, 24
	s_mov_b64 s[38:39], -1
	s_cbranch_scc1 .LBB371_697
; %bb.678:
	s_cmp_gt_i32 s46, 24
	s_cbranch_scc0 .LBB371_686
; %bb.679:
	v_cndmask_b32_e64 v3, 0, 1.0, s[36:37]
	s_mov_b32 s38, 0x47800000
	v_cmp_gt_u32_e32 vcc, s38, v3
	v_mov_b32_e32 v4, 0x80
	s_and_saveexec_b64 s[38:39], vcc
	s_cbranch_execz .LBB371_685
; %bb.680:
	s_mov_b32 s40, 0x37ffffff
	v_cmp_lt_u32_e32 vcc, s40, v3
	s_mov_b64 s[40:41], 0
                                        ; implicit-def: $vgpr2
	s_and_saveexec_b64 s[42:43], vcc
	s_xor_b64 s[42:43], exec, s[42:43]
	s_cbranch_execz .LBB371_776
; %bb.681:
	v_bfe_u32 v2, v3, 21, 1
	s_mov_b32 s47, 0x88fffff
	v_add3_u32 v2, v3, v2, s47
	s_mov_b64 s[40:41], exec
	v_lshrrev_b32_e32 v2, 21, v2
                                        ; implicit-def: $vgpr3
	s_andn2_saveexec_b64 s[42:43], s[42:43]
	s_cbranch_execnz .LBB371_777
.LBB371_682:
	s_or_b64 exec, exec, s[42:43]
	v_mov_b32_e32 v4, 0
	s_and_saveexec_b64 s[42:43], s[40:41]
.LBB371_683:
	v_mov_b32_e32 v4, v2
.LBB371_684:
	s_or_b64 exec, exec, s[42:43]
.LBB371_685:
	s_or_b64 exec, exec, s[38:39]
	s_mov_b64 s[38:39], 0
	global_store_byte v[0:1], v4, off
.LBB371_686:
	s_and_b64 vcc, exec, s[38:39]
	s_cbranch_vccz .LBB371_696
; %bb.687:
	v_cndmask_b32_e64 v2, 0, 1.0, s[36:37]
	s_mov_b32 s38, 0x43f00000
	v_cmp_gt_u32_e32 vcc, s38, v2
                                        ; implicit-def: $vgpr3
	s_and_saveexec_b64 s[38:39], vcc
	s_xor_b64 s[38:39], exec, s[38:39]
	s_cbranch_execz .LBB371_693
; %bb.688:
	s_mov_b32 s40, 0x3c7fffff
	v_cmp_lt_u32_e32 vcc, s40, v2
                                        ; implicit-def: $vgpr3
	s_and_saveexec_b64 s[40:41], vcc
	s_xor_b64 s[40:41], exec, s[40:41]
; %bb.689:
	v_bfe_u32 v3, v2, 20, 1
	s_mov_b32 s42, 0x407ffff
	v_add3_u32 v2, v2, v3, s42
	v_lshrrev_b32_e32 v3, 20, v2
	v_and_b32_e32 v2, 0xff00000, v2
	s_mov_b32 s42, 0x7f00000
	v_mov_b32_e32 v4, 0x7e
	v_cmp_ne_u32_e32 vcc, s42, v2
	v_cndmask_b32_e32 v3, v4, v3, vcc
                                        ; implicit-def: $vgpr2
; %bb.690:
	s_andn2_saveexec_b64 s[40:41], s[40:41]
; %bb.691:
	v_add_f32_e32 v3, 0x46800000, v2
; %bb.692:
	s_or_b64 exec, exec, s[40:41]
                                        ; implicit-def: $vgpr2
.LBB371_693:
	s_andn2_saveexec_b64 s[38:39], s[38:39]
; %bb.694:
	s_mov_b32 s40, 0x7f800000
	v_mov_b32_e32 v3, 0x7e
	v_mov_b32_e32 v4, 0x7f
	v_cmp_lt_u32_e32 vcc, s40, v2
	v_cndmask_b32_e32 v3, v3, v4, vcc
; %bb.695:
	s_or_b64 exec, exec, s[38:39]
	global_store_byte v[0:1], v3, off
.LBB371_696:
	s_mov_b64 s[38:39], 0
.LBB371_697:
	s_andn2_b64 vcc, exec, s[38:39]
	s_cbranch_vccnz .LBB371_707
; %bb.698:
	v_cndmask_b32_e64 v2, 0, 1.0, s[36:37]
	s_mov_b32 s38, 0x47800000
	v_cmp_gt_u32_e32 vcc, s38, v2
                                        ; implicit-def: $vgpr3
	s_and_saveexec_b64 s[38:39], vcc
	s_xor_b64 s[38:39], exec, s[38:39]
	s_cbranch_execz .LBB371_704
; %bb.699:
	s_mov_b32 s40, 0x387fffff
	v_cmp_lt_u32_e32 vcc, s40, v2
                                        ; implicit-def: $vgpr3
	s_and_saveexec_b64 s[40:41], vcc
	s_xor_b64 s[40:41], exec, s[40:41]
; %bb.700:
	v_bfe_u32 v3, v2, 21, 1
	s_mov_b32 s42, 0x80fffff
	v_add3_u32 v2, v2, v3, s42
	v_lshrrev_b32_e32 v3, 21, v2
                                        ; implicit-def: $vgpr2
; %bb.701:
	s_andn2_saveexec_b64 s[40:41], s[40:41]
; %bb.702:
	v_add_f32_e32 v3, 0x43000000, v2
; %bb.703:
	s_or_b64 exec, exec, s[40:41]
                                        ; implicit-def: $vgpr2
.LBB371_704:
	s_andn2_saveexec_b64 s[38:39], s[38:39]
; %bb.705:
	s_mov_b32 s40, 0x7f800000
	v_mov_b32_e32 v3, 0x7c
	v_mov_b32_e32 v4, 0x7f
	v_cmp_lt_u32_e32 vcc, s40, v2
	v_cndmask_b32_e32 v3, v3, v4, vcc
; %bb.706:
	s_or_b64 exec, exec, s[38:39]
	global_store_byte v[0:1], v3, off
.LBB371_707:
	s_mov_b64 s[40:41], 0
	s_mov_b64 s[38:39], -1
.LBB371_708:
	s_andn2_b64 vcc, exec, s[40:41]
	s_cbranch_vccnz .LBB371_716
; %bb.709:
	s_cmp_gt_i32 s46, 14
	s_mov_b64 s[40:41], -1
	s_cbranch_scc0 .LBB371_713
; %bb.710:
	s_cmp_eq_u32 s46, 15
	s_mov_b64 s[0:1], -1
	s_cbranch_scc0 .LBB371_712
; %bb.711:
	v_cndmask_b32_e64 v2, 0, 1.0, s[36:37]
	v_bfe_u32 v3, v2, 16, 1
	s_movk_i32 s0, 0x7fff
	v_add3_u32 v2, v2, v3, s0
	global_store_short_d16_hi v[0:1], v2, off
	s_mov_b64 s[38:39], -1
	s_mov_b64 s[0:1], 0
.LBB371_712:
	s_mov_b64 s[40:41], 0
.LBB371_713:
	s_and_b64 vcc, exec, s[40:41]
	s_cbranch_vccz .LBB371_716
; %bb.714:
	s_cmp_eq_u32 s46, 11
	s_mov_b64 s[0:1], -1
	s_cbranch_scc0 .LBB371_716
; %bb.715:
	v_cndmask_b32_e64 v2, 0, 1, s[36:37]
	s_mov_b64 s[38:39], -1
	s_mov_b64 s[0:1], 0
	global_store_byte v[0:1], v2, off
.LBB371_716:
	s_mov_b64 s[40:41], 0
.LBB371_717:
	s_and_b64 vcc, exec, s[40:41]
	s_cbranch_vccz .LBB371_756
; %bb.718:
	s_and_b32 s40, 0xffff, s45
	s_cmp_lt_i32 s40, 5
	s_mov_b64 s[38:39], -1
	s_cbranch_scc1 .LBB371_739
; %bb.719:
	s_cmp_lt_i32 s40, 8
	s_cbranch_scc1 .LBB371_729
; %bb.720:
	s_cmp_lt_i32 s40, 9
	s_cbranch_scc1 .LBB371_726
; %bb.721:
	s_cmp_gt_i32 s40, 9
	s_cbranch_scc0 .LBB371_723
; %bb.722:
	v_cndmask_b32_e64 v2, 0, 1, s[36:37]
	v_cvt_f64_u32_e32 v[2:3], v2
	v_mov_b32_e32 v4, 0
	v_mov_b32_e32 v5, v4
	s_mov_b64 s[38:39], 0
	global_store_dwordx4 v[0:1], v[2:5], off
.LBB371_723:
	s_andn2_b64 vcc, exec, s[38:39]
	s_cbranch_vccnz .LBB371_725
; %bb.724:
	v_cndmask_b32_e64 v2, 0, 1.0, s[36:37]
	v_mov_b32_e32 v3, 0
	global_store_dwordx2 v[0:1], v[2:3], off
.LBB371_725:
	s_mov_b64 s[38:39], 0
.LBB371_726:
	s_andn2_b64 vcc, exec, s[38:39]
	s_cbranch_vccnz .LBB371_728
; %bb.727:
	v_cndmask_b32_e64 v2, 0, 1.0, s[36:37]
	v_cvt_f16_f32_e32 v2, v2
	global_store_dword v[0:1], v2, off
.LBB371_728:
	s_mov_b64 s[38:39], 0
.LBB371_729:
	s_andn2_b64 vcc, exec, s[38:39]
	s_cbranch_vccnz .LBB371_738
; %bb.730:
	s_cmp_lt_i32 s40, 6
	s_mov_b64 s[38:39], -1
	s_cbranch_scc1 .LBB371_736
; %bb.731:
	s_cmp_gt_i32 s40, 6
	s_cbranch_scc0 .LBB371_733
; %bb.732:
	v_cndmask_b32_e64 v2, 0, 1, s[36:37]
	v_cvt_f64_u32_e32 v[2:3], v2
	s_mov_b64 s[38:39], 0
	global_store_dwordx2 v[0:1], v[2:3], off
.LBB371_733:
	s_andn2_b64 vcc, exec, s[38:39]
	s_cbranch_vccnz .LBB371_735
; %bb.734:
	v_cndmask_b32_e64 v2, 0, 1.0, s[36:37]
	global_store_dword v[0:1], v2, off
.LBB371_735:
	s_mov_b64 s[38:39], 0
.LBB371_736:
	s_andn2_b64 vcc, exec, s[38:39]
	s_cbranch_vccnz .LBB371_738
; %bb.737:
	v_cndmask_b32_e64 v2, 0, 1.0, s[36:37]
	v_cvt_f16_f32_e32 v2, v2
	global_store_short v[0:1], v2, off
.LBB371_738:
	s_mov_b64 s[38:39], 0
.LBB371_739:
	s_andn2_b64 vcc, exec, s[38:39]
	s_cbranch_vccnz .LBB371_755
; %bb.740:
	s_cmp_lt_i32 s40, 2
	s_mov_b64 s[38:39], -1
	s_cbranch_scc1 .LBB371_750
; %bb.741:
	s_cmp_lt_i32 s40, 3
	s_cbranch_scc1 .LBB371_747
; %bb.742:
	s_cmp_gt_i32 s40, 3
	s_cbranch_scc0 .LBB371_744
; %bb.743:
	s_mov_b32 s38, 0
	v_cndmask_b32_e64 v2, 0, 1, s[36:37]
	v_mov_b32_e32 v3, s38
	s_mov_b64 s[38:39], 0
	global_store_dwordx2 v[0:1], v[2:3], off
.LBB371_744:
	s_andn2_b64 vcc, exec, s[38:39]
	s_cbranch_vccnz .LBB371_746
; %bb.745:
	v_cndmask_b32_e64 v2, 0, 1, s[36:37]
	global_store_dword v[0:1], v2, off
.LBB371_746:
	s_mov_b64 s[38:39], 0
.LBB371_747:
	s_andn2_b64 vcc, exec, s[38:39]
	s_cbranch_vccnz .LBB371_749
; %bb.748:
	v_cndmask_b32_e64 v2, 0, 1, s[36:37]
	global_store_short v[0:1], v2, off
.LBB371_749:
	s_mov_b64 s[38:39], 0
.LBB371_750:
	s_andn2_b64 vcc, exec, s[38:39]
	s_cbranch_vccnz .LBB371_755
; %bb.751:
	s_mov_b64 s[38:39], -1
	s_cmp_gt_i32 s40, 0
	v_cndmask_b32_e64 v2, 0, 1, s[36:37]
	s_cbranch_scc0 .LBB371_753
; %bb.752:
	s_mov_b64 s[38:39], 0
	global_store_byte v[0:1], v2, off
.LBB371_753:
	s_andn2_b64 vcc, exec, s[38:39]
	s_cbranch_vccnz .LBB371_755
; %bb.754:
	global_store_byte v[0:1], v2, off
.LBB371_755:
	s_mov_b64 s[38:39], -1
.LBB371_756:
	s_andn2_b64 vcc, exec, s[38:39]
	s_cbranch_vccnz .LBB371_758
; %bb.757:
	v_add_u32_e32 v10, 0x80, v10
	s_mov_b64 s[38:39], -1
	s_branch .LBB371_759
.LBB371_758:
	s_mov_b64 s[38:39], 0
                                        ; implicit-def: $vgpr10
.LBB371_759:
	s_andn2_b64 s[36:37], s[26:27], exec
	s_and_b64 s[0:1], s[0:1], exec
	s_or_b64 s[36:37], s[36:37], s[0:1]
	s_andn2_b64 s[0:1], s[24:25], exec
	s_and_b64 s[34:35], s[34:35], exec
	s_or_b64 s[0:1], s[0:1], s[34:35]
	s_orn2_b64 s[40:41], s[38:39], exec
.LBB371_760:
	s_or_b64 exec, exec, s[30:31]
	s_mov_b64 s[38:39], 0
	s_mov_b64 s[34:35], 0
	;; [unrolled: 1-line block ×3, first 2 shown]
                                        ; implicit-def: $vgpr0_vgpr1
                                        ; implicit-def: $vgpr2_vgpr3
	s_and_saveexec_b64 s[30:31], s[40:41]
	s_cbranch_execz .LBB371_841
; %bb.761:
	v_cmp_gt_i32_e32 vcc, s44, v10
	s_mov_b64 s[40:41], 0
	s_mov_b64 s[44:45], s[0:1]
	;; [unrolled: 1-line block ×3, first 2 shown]
                                        ; implicit-def: $vgpr0_vgpr1
                                        ; implicit-def: $vgpr2_vgpr3
	s_and_saveexec_b64 s[34:35], vcc
	s_cbranch_execz .LBB371_840
; %bb.762:
	v_mul_lo_u32 v0, v10, s13
	v_mov_b32_e32 v1, s11
	s_and_b32 s46, 0xffff, s15
	s_cmp_lt_i32 s46, 11
	s_waitcnt vmcnt(0)
	v_ashrrev_i32_e32 v2, 31, v0
	v_add_co_u32_e32 v0, vcc, s10, v0
	v_addc_co_u32_e32 v1, vcc, v1, v2, vcc
	s_cbranch_scc1 .LBB371_769
; %bb.763:
	s_cmp_gt_i32 s46, 25
	s_cbranch_scc0 .LBB371_770
; %bb.764:
	s_cmp_gt_i32 s46, 28
	s_cbranch_scc0 .LBB371_771
	;; [unrolled: 3-line block ×4, first 2 shown]
; %bb.767:
	s_cmp_eq_u32 s46, 46
	s_mov_b64 s[44:45], 0
	s_cbranch_scc0 .LBB371_778
; %bb.768:
	global_load_dword v2, v[0:1], off
	s_mov_b64 s[42:43], -1
	s_waitcnt vmcnt(0)
	v_lshlrev_b32_e32 v2, 16, v2
	v_trunc_f32_e32 v2, v2
	v_mul_f32_e32 v3, 0x2f800000, v2
	v_floor_f32_e32 v3, v3
	v_fmac_f32_e32 v2, 0xcf800000, v3
	v_cvt_u32_f32_e32 v2, v2
	v_cvt_u32_f32_e32 v3, v3
	s_branch .LBB371_780
.LBB371_769:
	s_mov_b64 s[44:45], -1
                                        ; implicit-def: $vgpr2_vgpr3
	s_mov_b64 s[38:39], s[0:1]
	s_branch .LBB371_839
.LBB371_770:
	s_mov_b64 s[44:45], -1
	s_mov_b64 s[38:39], s[0:1]
                                        ; implicit-def: $vgpr2_vgpr3
	s_branch .LBB371_809
.LBB371_771:
	s_mov_b64 s[44:45], -1
	s_mov_b64 s[38:39], s[0:1]
                                        ; implicit-def: $vgpr2_vgpr3
	s_branch .LBB371_790
.LBB371_772:
	s_mov_b64 s[44:45], -1
	s_mov_b64 s[38:39], s[0:1]
                                        ; implicit-def: $vgpr2_vgpr3
	s_branch .LBB371_785
.LBB371_773:
	s_andn2_saveexec_b64 s[42:43], s[42:43]
	s_cbranch_execz .LBB371_669
.LBB371_774:
	v_add_f32_e32 v2, 0x46000000, v3
	v_and_b32_e32 v2, 0xff, v2
	v_cmp_ne_u32_e32 vcc, 0, v2
	s_andn2_b64 s[40:41], s[40:41], exec
	s_and_b64 s[48:49], vcc, exec
	s_or_b64 s[40:41], s[40:41], s[48:49]
	s_or_b64 exec, exec, s[42:43]
	v_mov_b32_e32 v4, 0
	s_and_saveexec_b64 s[42:43], s[40:41]
	s_cbranch_execnz .LBB371_670
	s_branch .LBB371_671
.LBB371_775:
	s_mov_b64 s[44:45], -1
	s_mov_b64 s[38:39], s[0:1]
	s_branch .LBB371_779
.LBB371_776:
	s_andn2_saveexec_b64 s[42:43], s[42:43]
	s_cbranch_execz .LBB371_682
.LBB371_777:
	v_add_f32_e32 v2, 0x42800000, v3
	v_and_b32_e32 v2, 0xff, v2
	v_cmp_ne_u32_e32 vcc, 0, v2
	s_andn2_b64 s[40:41], s[40:41], exec
	s_and_b64 s[48:49], vcc, exec
	s_or_b64 s[40:41], s[40:41], s[48:49]
	s_or_b64 exec, exec, s[42:43]
	v_mov_b32_e32 v4, 0
	s_and_saveexec_b64 s[42:43], s[40:41]
	s_cbranch_execnz .LBB371_683
	s_branch .LBB371_684
.LBB371_778:
	s_mov_b64 s[38:39], -1
.LBB371_779:
                                        ; implicit-def: $vgpr2_vgpr3
.LBB371_780:
	s_and_b64 vcc, exec, s[44:45]
	s_cbranch_vccz .LBB371_784
; %bb.781:
	s_cmp_eq_u32 s46, 44
	s_cbranch_scc0 .LBB371_783
; %bb.782:
	global_load_ubyte v2, v[0:1], off
	s_mov_b64 s[38:39], 0
	s_mov_b64 s[42:43], -1
	s_waitcnt vmcnt(0)
	v_lshlrev_b32_e32 v3, 23, v2
	v_trunc_f32_e32 v3, v3
	v_mul_f32_e32 v4, 0x2f800000, v3
	v_floor_f32_e32 v4, v4
	v_fmac_f32_e32 v3, 0xcf800000, v4
	v_cvt_u32_f32_e32 v4, v4
	v_cvt_u32_f32_e32 v5, v3
	v_cmp_ne_u32_e32 vcc, 0, v2
	v_cndmask_b32_e32 v3, 0, v4, vcc
	v_cndmask_b32_e32 v2, 0, v5, vcc
	s_branch .LBB371_784
.LBB371_783:
	s_mov_b64 s[38:39], -1
                                        ; implicit-def: $vgpr2_vgpr3
.LBB371_784:
	s_mov_b64 s[44:45], 0
.LBB371_785:
	s_and_b64 vcc, exec, s[44:45]
	s_cbranch_vccz .LBB371_789
; %bb.786:
	s_cmp_eq_u32 s46, 29
	s_cbranch_scc0 .LBB371_788
; %bb.787:
	global_load_dwordx2 v[2:3], v[0:1], off
	s_mov_b64 s[38:39], 0
	s_mov_b64 s[42:43], -1
	s_branch .LBB371_789
.LBB371_788:
	s_mov_b64 s[38:39], -1
                                        ; implicit-def: $vgpr2_vgpr3
.LBB371_789:
	s_mov_b64 s[44:45], 0
.LBB371_790:
	s_and_b64 vcc, exec, s[44:45]
	s_cbranch_vccz .LBB371_808
; %bb.791:
	s_cmp_lt_i32 s46, 27
	s_cbranch_scc1 .LBB371_794
; %bb.792:
	s_cmp_gt_i32 s46, 27
	s_cbranch_scc0 .LBB371_795
; %bb.793:
	global_load_dword v2, v[0:1], off
	s_waitcnt vmcnt(1)
	v_mov_b32_e32 v3, 0
	s_mov_b64 s[42:43], 0
	s_branch .LBB371_796
.LBB371_794:
	s_mov_b64 s[42:43], -1
                                        ; implicit-def: $vgpr2_vgpr3
	s_branch .LBB371_799
.LBB371_795:
	s_mov_b64 s[42:43], -1
                                        ; implicit-def: $vgpr2_vgpr3
.LBB371_796:
	s_andn2_b64 vcc, exec, s[42:43]
	s_cbranch_vccnz .LBB371_798
; %bb.797:
	global_load_ushort v2, v[0:1], off
	s_mov_b32 s42, 0
	s_waitcnt vmcnt(1)
	v_mov_b32_e32 v3, s42
	s_waitcnt vmcnt(0)
	v_and_b32_e32 v2, 0xffff, v2
.LBB371_798:
	s_mov_b64 s[42:43], 0
.LBB371_799:
	s_andn2_b64 vcc, exec, s[42:43]
	s_cbranch_vccnz .LBB371_807
; %bb.800:
	global_load_ubyte v4, v[0:1], off
	s_movk_i32 s42, 0x7f
	s_mov_b64 s[44:45], 0
	s_waitcnt vmcnt(0)
	v_cmp_lt_i16_e32 vcc, s42, v4
	s_and_saveexec_b64 s[42:43], vcc
	s_xor_b64 s[42:43], exec, s[42:43]
; %bb.801:
	s_movk_i32 s44, 0x80
	v_cmp_ne_u16_e32 vcc, s44, v4
	s_and_b64 s[44:45], vcc, exec
; %bb.802:
	s_andn2_saveexec_b64 s[42:43], s[42:43]
; %bb.803:
	v_cmp_ne_u16_e32 vcc, 0, v4
	s_andn2_b64 s[44:45], s[44:45], exec
	s_and_b64 s[48:49], vcc, exec
	s_or_b64 s[44:45], s[44:45], s[48:49]
; %bb.804:
	s_or_b64 exec, exec, s[42:43]
	v_mov_b32_e32 v2, 0
	v_mov_b32_e32 v3, 0
	s_and_saveexec_b64 s[42:43], s[44:45]
	s_cbranch_execz .LBB371_806
; %bb.805:
	v_and_b32_e32 v3, 0xffff, v4
	v_lshlrev_b32_e32 v2, 24, v4
	v_and_b32_e32 v4, 7, v3
	v_ffbh_u32_e32 v6, v4
	v_min_u32_e32 v6, 32, v6
	v_subrev_u32_e32 v7, 28, v6
	v_bfe_u32 v5, v3, 3, 4
	v_lshlrev_b32_e32 v3, v7, v3
	v_sub_u32_e32 v6, 29, v6
	v_and_b32_e32 v3, 7, v3
	v_cmp_eq_u32_e32 vcc, 0, v5
	v_cndmask_b32_e32 v5, v5, v6, vcc
	v_cndmask_b32_e32 v3, v4, v3, vcc
	v_mov_b32_e32 v4, 0x3b800000
	v_lshlrev_b32_e32 v3, 20, v3
	v_and_b32_e32 v2, 0x80000000, v2
	v_lshl_add_u32 v4, v5, 23, v4
	v_or3_b32 v2, v2, v4, v3
	v_trunc_f32_e32 v2, v2
	v_mul_f32_e32 v3, 0x2f800000, v2
	v_floor_f32_e32 v3, v3
	v_fmac_f32_e32 v2, 0xcf800000, v3
	v_cvt_u32_f32_e32 v2, v2
	v_cvt_u32_f32_e32 v3, v3
.LBB371_806:
	s_or_b64 exec, exec, s[42:43]
.LBB371_807:
	s_mov_b64 s[42:43], -1
.LBB371_808:
	s_mov_b64 s[44:45], 0
.LBB371_809:
	s_and_b64 vcc, exec, s[44:45]
	s_cbranch_vccz .LBB371_838
; %bb.810:
	s_cmp_gt_i32 s46, 22
	s_cbranch_scc0 .LBB371_820
; %bb.811:
	s_cmp_lt_i32 s46, 24
	s_cbranch_scc1 .LBB371_821
; %bb.812:
	s_cmp_gt_i32 s46, 24
	s_cbranch_scc0 .LBB371_822
; %bb.813:
	global_load_ubyte v4, v[0:1], off
	s_movk_i32 s40, 0x7f
	s_mov_b64 s[42:43], 0
	s_waitcnt vmcnt(0)
	v_cmp_lt_i16_e32 vcc, s40, v4
	s_and_saveexec_b64 s[40:41], vcc
	s_xor_b64 s[40:41], exec, s[40:41]
; %bb.814:
	s_movk_i32 s42, 0x80
	v_cmp_ne_u16_e32 vcc, s42, v4
	s_and_b64 s[42:43], vcc, exec
; %bb.815:
	s_andn2_saveexec_b64 s[40:41], s[40:41]
; %bb.816:
	v_cmp_ne_u16_e32 vcc, 0, v4
	s_andn2_b64 s[42:43], s[42:43], exec
	s_and_b64 s[44:45], vcc, exec
	s_or_b64 s[42:43], s[42:43], s[44:45]
; %bb.817:
	s_or_b64 exec, exec, s[40:41]
	v_mov_b32_e32 v2, 0
	v_mov_b32_e32 v3, 0
	s_and_saveexec_b64 s[40:41], s[42:43]
	s_cbranch_execz .LBB371_819
; %bb.818:
	v_and_b32_e32 v3, 0xffff, v4
	v_lshlrev_b32_e32 v2, 24, v4
	v_and_b32_e32 v4, 3, v3
	v_ffbh_u32_e32 v6, v4
	v_min_u32_e32 v6, 32, v6
	v_subrev_u32_e32 v7, 29, v6
	v_bfe_u32 v5, v3, 2, 5
	v_lshlrev_b32_e32 v3, v7, v3
	v_sub_u32_e32 v6, 30, v6
	v_and_b32_e32 v3, 3, v3
	v_cmp_eq_u32_e32 vcc, 0, v5
	v_cndmask_b32_e32 v5, v5, v6, vcc
	v_cndmask_b32_e32 v3, v4, v3, vcc
	v_mov_b32_e32 v4, 0x37800000
	v_lshlrev_b32_e32 v3, 21, v3
	v_and_b32_e32 v2, 0x80000000, v2
	v_lshl_add_u32 v4, v5, 23, v4
	v_or3_b32 v2, v2, v4, v3
	v_trunc_f32_e32 v2, v2
	v_mul_f32_e32 v3, 0x2f800000, v2
	v_floor_f32_e32 v3, v3
	v_fmac_f32_e32 v2, 0xcf800000, v3
	v_cvt_u32_f32_e32 v2, v2
	v_cvt_u32_f32_e32 v3, v3
.LBB371_819:
	s_or_b64 exec, exec, s[40:41]
	s_mov_b64 s[40:41], 0
	s_branch .LBB371_823
.LBB371_820:
	s_mov_b64 s[40:41], -1
                                        ; implicit-def: $vgpr2_vgpr3
	s_branch .LBB371_829
.LBB371_821:
	s_mov_b64 s[40:41], -1
                                        ; implicit-def: $vgpr2_vgpr3
	s_branch .LBB371_826
.LBB371_822:
	s_mov_b64 s[40:41], -1
                                        ; implicit-def: $vgpr2_vgpr3
.LBB371_823:
	s_and_b64 vcc, exec, s[40:41]
	s_cbranch_vccz .LBB371_825
; %bb.824:
	global_load_ubyte v2, v[0:1], off
	s_mov_b32 s40, 0x7f800000
	s_brev_b32 s41, 1
	s_waitcnt vmcnt(0)
	v_lshlrev_b32_e32 v2, 24, v2
	v_and_b32_e32 v3, 0x7f000000, v2
	v_ffbh_u32_e32 v4, v3
	v_min_u32_e32 v4, 32, v4
	v_sub_u32_e64 v4, v4, 4 clamp
	v_lshlrev_b32_e32 v6, v4, v3
	v_lshlrev_b32_e32 v4, 23, v4
	v_lshrrev_b32_e32 v6, 4, v6
	v_add_u32_e32 v5, 0x1000000, v3
	v_sub_u32_e32 v4, v6, v4
	v_ashrrev_i32_e32 v5, 8, v5
	v_add_u32_e32 v4, 0x3c000000, v4
	v_and_or_b32 v4, v5, s40, v4
	v_cmp_ne_u32_e32 vcc, 0, v3
	v_cndmask_b32_e32 v3, 0, v4, vcc
	v_and_or_b32 v2, v2, s41, v3
	v_trunc_f32_e32 v2, v2
	v_mul_f32_e32 v3, 0x2f800000, v2
	v_floor_f32_e32 v3, v3
	v_fmac_f32_e32 v2, 0xcf800000, v3
	v_cvt_u32_f32_e32 v2, v2
	v_cvt_u32_f32_e32 v3, v3
.LBB371_825:
	s_mov_b64 s[40:41], 0
.LBB371_826:
	s_andn2_b64 vcc, exec, s[40:41]
	s_cbranch_vccnz .LBB371_828
; %bb.827:
	global_load_ubyte v2, v[0:1], off
	s_movk_i32 s40, 0x7f00
	s_brev_b32 s41, 16
	s_brev_b32 s42, 1
	s_waitcnt vmcnt(0)
	v_lshlrev_b16_e32 v3, 8, v2
	v_lshlrev_b32_e32 v2, 25, v2
	v_lshrrev_b32_e32 v4, 4, v2
	v_and_or_b32 v5, v3, s40, 0.5
	v_or_b32_e32 v4, 0x70000000, v4
	v_add_f32_e32 v5, -0.5, v5
	v_mul_f32_e32 v4, 0x7800000, v4
	v_cmp_gt_u32_e32 vcc, s41, v2
	v_bfe_i32 v3, v3, 0, 16
	v_cndmask_b32_e32 v2, v4, v5, vcc
	v_and_or_b32 v2, v3, s42, v2
	v_trunc_f32_e32 v2, v2
	v_mul_f32_e32 v3, 0x2f800000, v2
	v_floor_f32_e32 v3, v3
	v_fmac_f32_e32 v2, 0xcf800000, v3
	v_cvt_u32_f32_e32 v2, v2
	v_cvt_u32_f32_e32 v3, v3
.LBB371_828:
	s_mov_b64 s[40:41], 0
	s_mov_b64 s[42:43], -1
.LBB371_829:
	s_andn2_b64 vcc, exec, s[40:41]
	s_mov_b64 s[40:41], 0
	s_cbranch_vccnz .LBB371_838
; %bb.830:
	s_cmp_gt_i32 s46, 14
	s_cbranch_scc0 .LBB371_833
; %bb.831:
	s_cmp_eq_u32 s46, 15
	s_cbranch_scc0 .LBB371_834
; %bb.832:
	global_load_ushort v2, v[0:1], off
	s_mov_b64 s[38:39], 0
	s_mov_b64 s[42:43], -1
	s_waitcnt vmcnt(0)
	v_lshlrev_b32_e32 v2, 16, v2
	v_trunc_f32_e32 v2, v2
	v_mul_f32_e32 v3, 0x2f800000, v2
	v_floor_f32_e32 v3, v3
	v_fmac_f32_e32 v2, 0xcf800000, v3
	v_cvt_u32_f32_e32 v2, v2
	v_cvt_u32_f32_e32 v3, v3
	s_branch .LBB371_835
.LBB371_833:
	s_mov_b64 s[44:45], -1
                                        ; implicit-def: $vgpr2_vgpr3
	s_branch .LBB371_836
.LBB371_834:
	s_mov_b64 s[38:39], -1
                                        ; implicit-def: $vgpr2_vgpr3
.LBB371_835:
	s_mov_b64 s[44:45], 0
.LBB371_836:
	s_and_b64 vcc, exec, s[44:45]
	s_cbranch_vccz .LBB371_838
; %bb.837:
	s_cmp_lg_u32 s46, 11
	s_cselect_b64 s[44:45], -1, 0
	s_andn2_b64 s[38:39], s[38:39], exec
	s_and_b64 s[44:45], s[44:45], exec
	s_mov_b64 s[40:41], -1
	s_or_b64 s[38:39], s[38:39], s[44:45]
.LBB371_838:
	s_mov_b64 s[44:45], 0
.LBB371_839:
	s_and_b64 s[46:47], s[44:45], exec
	s_andn2_b64 s[44:45], s[0:1], exec
	s_and_b64 s[38:39], s[38:39], exec
	s_and_b64 s[42:43], s[42:43], exec
	;; [unrolled: 1-line block ×3, first 2 shown]
	s_or_b64 s[44:45], s[44:45], s[38:39]
.LBB371_840:
	s_or_b64 exec, exec, s[34:35]
	s_and_b64 s[38:39], s[40:41], exec
	s_andn2_b64 s[0:1], s[0:1], exec
	s_and_b64 s[40:41], s[44:45], exec
	s_and_b64 s[42:43], s[42:43], exec
	;; [unrolled: 1-line block ×3, first 2 shown]
	s_or_b64 s[0:1], s[0:1], s[40:41]
.LBB371_841:
	s_or_b64 exec, exec, s[30:31]
	s_andn2_b64 s[26:27], s[26:27], exec
	s_and_b64 s[30:31], s[36:37], exec
	s_andn2_b64 s[24:25], s[24:25], exec
	s_and_b64 s[0:1], s[0:1], exec
	s_or_b64 s[26:27], s[26:27], s[30:31]
	s_and_b64 s[36:37], s[42:43], exec
	s_and_b64 s[34:35], s[34:35], exec
	;; [unrolled: 1-line block ×3, first 2 shown]
	s_or_b64 s[24:25], s[24:25], s[0:1]
.LBB371_842:
	s_or_b64 exec, exec, s[28:29]
	s_andn2_b64 s[0:1], s[18:19], exec
	s_and_b64 s[18:19], s[26:27], exec
	s_andn2_b64 s[20:21], s[20:21], exec
	s_and_b64 s[24:25], s[24:25], exec
	s_or_b64 s[18:19], s[0:1], s[18:19]
	s_and_b64 s[0:1], s[36:37], exec
	s_and_b64 s[28:29], s[34:35], exec
	s_and_b64 s[26:27], s[30:31], exec
	s_or_b64 s[20:21], s[20:21], s[24:25]
	s_or_b64 exec, exec, s[22:23]
	s_mov_b64 s[22:23], 0
	s_and_saveexec_b64 s[24:25], s[20:21]
	s_cbranch_execz .LBB371_258
.LBB371_843:
	s_mov_b64 s[22:23], exec
	s_andn2_b64 s[26:27], s[26:27], exec
	s_trap 2
	s_or_b64 exec, exec, s[24:25]
	s_and_saveexec_b64 s[20:21], s[26:27]
	s_xor_b64 s[20:21], exec, s[20:21]
	s_cbranch_execnz .LBB371_259
.LBB371_844:
	s_or_b64 exec, exec, s[20:21]
	s_and_saveexec_b64 s[20:21], s[28:29]
	s_cbranch_execz .LBB371_890
.LBB371_845:
	s_sext_i32_i16 s24, s15
	s_cmp_lt_i32 s24, 5
	s_cbranch_scc1 .LBB371_850
; %bb.846:
	s_cmp_lt_i32 s24, 8
	s_cbranch_scc1 .LBB371_851
; %bb.847:
	;; [unrolled: 3-line block ×3, first 2 shown]
	s_cmp_gt_i32 s24, 9
	s_cbranch_scc0 .LBB371_853
; %bb.849:
	global_load_dwordx2 v[2:3], v[0:1], off
	s_movk_i32 s24, 0xffe0
	s_waitcnt vmcnt(0)
	v_trunc_f64_e32 v[2:3], v[2:3]
	v_ldexp_f64 v[4:5], v[2:3], s24
	s_mov_b32 s24, 0
	s_mov_b32 s25, 0xc1f00000
	v_floor_f64_e32 v[4:5], v[4:5]
	v_fma_f64 v[6:7], v[4:5], s[24:25], v[2:3]
	v_cvt_u32_f64_e32 v3, v[4:5]
	s_mov_b64 s[24:25], 0
	v_cvt_u32_f64_e32 v2, v[6:7]
	s_branch .LBB371_854
.LBB371_850:
                                        ; implicit-def: $vgpr2_vgpr3
	s_branch .LBB371_871
.LBB371_851:
                                        ; implicit-def: $vgpr2_vgpr3
	s_branch .LBB371_860
.LBB371_852:
	s_mov_b64 s[24:25], -1
                                        ; implicit-def: $vgpr2_vgpr3
	s_branch .LBB371_857
.LBB371_853:
	s_mov_b64 s[24:25], -1
                                        ; implicit-def: $vgpr2_vgpr3
.LBB371_854:
	s_andn2_b64 vcc, exec, s[24:25]
	s_cbranch_vccnz .LBB371_856
; %bb.855:
	global_load_dword v2, v[0:1], off
	s_waitcnt vmcnt(0)
	v_trunc_f32_e32 v2, v2
	v_mul_f32_e32 v3, 0x2f800000, v2
	v_floor_f32_e32 v4, v3
	v_fmac_f32_e32 v2, 0xcf800000, v4
	v_cvt_u32_f32_e32 v3, v4
	v_cvt_u32_f32_e32 v2, v2
.LBB371_856:
	s_mov_b64 s[24:25], 0
.LBB371_857:
	s_andn2_b64 vcc, exec, s[24:25]
	s_cbranch_vccnz .LBB371_859
; %bb.858:
	global_load_dword v2, v[0:1], off
	s_waitcnt vmcnt(1)
	v_mov_b32_e32 v3, 0
	s_waitcnt vmcnt(0)
	v_cvt_f32_f16_e32 v2, v2
	v_cvt_u32_f32_e32 v2, v2
.LBB371_859:
	s_cbranch_execnz .LBB371_870
.LBB371_860:
	s_sext_i32_i16 s24, s15
	s_cmp_lt_i32 s24, 6
	s_cbranch_scc1 .LBB371_863
; %bb.861:
	s_cmp_gt_i32 s24, 6
	s_cbranch_scc0 .LBB371_864
; %bb.862:
	global_load_dwordx2 v[2:3], v[0:1], off
	s_movk_i32 s24, 0xffe0
	s_waitcnt vmcnt(0)
	v_trunc_f64_e32 v[2:3], v[2:3]
	v_ldexp_f64 v[4:5], v[2:3], s24
	s_mov_b32 s24, 0
	s_mov_b32 s25, 0xc1f00000
	v_floor_f64_e32 v[4:5], v[4:5]
	v_fma_f64 v[6:7], v[4:5], s[24:25], v[2:3]
	v_cvt_u32_f64_e32 v3, v[4:5]
	s_mov_b64 s[24:25], 0
	v_cvt_u32_f64_e32 v2, v[6:7]
	s_branch .LBB371_865
.LBB371_863:
	s_mov_b64 s[24:25], -1
                                        ; implicit-def: $vgpr2_vgpr3
	s_branch .LBB371_868
.LBB371_864:
	s_mov_b64 s[24:25], -1
                                        ; implicit-def: $vgpr2_vgpr3
.LBB371_865:
	s_andn2_b64 vcc, exec, s[24:25]
	s_cbranch_vccnz .LBB371_867
; %bb.866:
	global_load_dword v2, v[0:1], off
	s_waitcnt vmcnt(0)
	v_trunc_f32_e32 v2, v2
	v_mul_f32_e32 v3, 0x2f800000, v2
	v_floor_f32_e32 v4, v3
	v_fmac_f32_e32 v2, 0xcf800000, v4
	v_cvt_u32_f32_e32 v3, v4
	v_cvt_u32_f32_e32 v2, v2
.LBB371_867:
	s_mov_b64 s[24:25], 0
.LBB371_868:
	s_andn2_b64 vcc, exec, s[24:25]
	s_cbranch_vccnz .LBB371_870
; %bb.869:
	global_load_ushort v2, v[0:1], off
	s_waitcnt vmcnt(1)
	v_mov_b32_e32 v3, 0
	s_waitcnt vmcnt(0)
	v_cvt_f32_f16_e32 v2, v2
	v_cvt_u32_f32_e32 v2, v2
.LBB371_870:
	s_cbranch_execnz .LBB371_889
.LBB371_871:
	s_sext_i32_i16 s24, s15
	s_cmp_lt_i32 s24, 2
	s_cbranch_scc1 .LBB371_875
; %bb.872:
	s_cmp_lt_i32 s24, 3
	s_cbranch_scc1 .LBB371_876
; %bb.873:
	s_cmp_gt_i32 s24, 3
	s_cbranch_scc0 .LBB371_877
; %bb.874:
	global_load_dwordx2 v[2:3], v[0:1], off
	s_mov_b64 s[24:25], 0
	s_branch .LBB371_878
.LBB371_875:
                                        ; implicit-def: $vgpr2_vgpr3
	s_branch .LBB371_884
.LBB371_876:
	s_mov_b64 s[24:25], -1
                                        ; implicit-def: $vgpr2_vgpr3
	s_branch .LBB371_881
.LBB371_877:
	s_mov_b64 s[24:25], -1
                                        ; implicit-def: $vgpr2_vgpr3
.LBB371_878:
	s_andn2_b64 vcc, exec, s[24:25]
	s_cbranch_vccnz .LBB371_880
; %bb.879:
	global_load_dword v2, v[0:1], off
	s_waitcnt vmcnt(0)
	v_ashrrev_i32_e32 v3, 31, v2
.LBB371_880:
	s_mov_b64 s[24:25], 0
.LBB371_881:
	s_andn2_b64 vcc, exec, s[24:25]
	s_cbranch_vccnz .LBB371_883
; %bb.882:
	global_load_ushort v2, v[0:1], off
	s_waitcnt vmcnt(0)
	v_bfe_i32 v2, v2, 0, 16
	v_ashrrev_i32_e32 v3, 31, v2
.LBB371_883:
	s_cbranch_execnz .LBB371_889
.LBB371_884:
	s_sext_i32_i16 s24, s15
	s_cmp_gt_i32 s24, 0
	s_cbranch_scc0 .LBB371_886
; %bb.885:
	global_load_sbyte v2, v[0:1], off
	s_mov_b64 s[24:25], 0
	s_waitcnt vmcnt(0)
	v_bfe_i32 v2, v2, 0, 16
	v_ashrrev_i32_e32 v3, 31, v2
	s_branch .LBB371_887
.LBB371_886:
	s_mov_b64 s[24:25], -1
                                        ; implicit-def: $vgpr2_vgpr3
.LBB371_887:
	s_andn2_b64 vcc, exec, s[24:25]
	s_cbranch_vccnz .LBB371_889
; %bb.888:
	global_load_ubyte v0, v[0:1], off
	s_mov_b32 s24, 0
	s_waitcnt vmcnt(1)
	v_mov_b32_e32 v3, s24
	s_waitcnt vmcnt(0)
	v_and_b32_e32 v2, 0xffff, v0
.LBB371_889:
	s_or_b64 s[0:1], s[0:1], exec
.LBB371_890:
	s_or_b64 exec, exec, s[20:21]
	s_mov_b64 s[28:29], 0
	s_mov_b64 s[26:27], 0
                                        ; implicit-def: $sgpr20_sgpr21
                                        ; implicit-def: $sgpr34
                                        ; implicit-def: $vgpr0_vgpr1
	s_and_saveexec_b64 s[24:25], s[0:1]
	s_cbranch_execz .LBB371_965
; %bb.891:
	v_mul_lo_u32 v0, v10, s12
	s_waitcnt vmcnt(0)
	v_cmp_ne_u64_e32 vcc, s[2:3], v[2:3]
	v_mov_b32_e32 v1, s9
	s_xor_b64 s[20:21], s[16:17], vcc
	v_ashrrev_i32_e32 v2, 31, v0
	s_and_b32 s34, s33, 0xff
	v_add_co_u32_e32 v0, vcc, s8, v0
	s_cmp_lt_i32 s34, 11
	v_addc_co_u32_e32 v1, vcc, v1, v2, vcc
	s_cbranch_scc1 .LBB371_968
; %bb.892:
	s_and_b32 s35, 0xffff, s34
	s_mov_b64 s[26:27], -1
	s_cmp_gt_i32 s35, 25
	s_mov_b64 s[0:1], s[18:19]
	s_cbranch_scc0 .LBB371_925
; %bb.893:
	s_mov_b64 s[16:17], -1
	s_cmp_gt_i32 s35, 28
	s_mov_b64 s[0:1], s[18:19]
	s_cbranch_scc0 .LBB371_909
; %bb.894:
	s_cmp_gt_i32 s35, 43
	s_mov_b64 s[0:1], s[18:19]
	s_cbranch_scc0 .LBB371_905
; %bb.895:
	;; [unrolled: 4-line block ×3, first 2 shown]
	s_cmp_eq_u32 s35, 46
	s_mov_b64 s[0:1], -1
	s_cbranch_scc0 .LBB371_898
; %bb.897:
	v_cndmask_b32_e64 v2, 0, 1.0, s[20:21]
	v_bfe_u32 v3, v2, 16, 1
	s_movk_i32 s0, 0x7fff
	v_add3_u32 v2, v2, v3, s0
	v_lshrrev_b32_e32 v2, 16, v2
	global_store_dword v[0:1], v2, off
	s_mov_b64 s[0:1], 0
.LBB371_898:
	s_mov_b64 s[16:17], 0
.LBB371_899:
	s_and_b64 vcc, exec, s[16:17]
	s_cbranch_vccz .LBB371_904
; %bb.900:
	s_cmp_eq_u32 s35, 44
	s_mov_b64 s[0:1], -1
	s_cbranch_scc0 .LBB371_904
; %bb.901:
	v_cndmask_b32_e64 v3, 0, 1.0, s[20:21]
	v_lshrrev_b32_e32 v2, 23, v3
	s_movk_i32 s0, 0xff
	v_cmp_ne_u32_e32 vcc, s0, v2
	v_mov_b32_e32 v4, 0xff
	s_and_saveexec_b64 s[16:17], vcc
; %bb.902:
	s_mov_b32 s0, 0x3fffff
	v_and_b32_e32 v4, 0x400000, v3
	v_and_or_b32 v3, v3, s0, v2
	v_cmp_ne_u32_e32 vcc, 0, v4
	v_cmp_ne_u32_e64 s[0:1], 0, v3
	s_and_b64 s[0:1], vcc, s[0:1]
	v_cndmask_b32_e64 v3, 0, 1, s[0:1]
	v_add_u32_e32 v4, v2, v3
; %bb.903:
	s_or_b64 exec, exec, s[16:17]
	s_mov_b64 s[0:1], 0
	global_store_byte v[0:1], v4, off
.LBB371_904:
	s_mov_b64 s[16:17], 0
.LBB371_905:
	s_and_b64 vcc, exec, s[16:17]
	s_cbranch_vccz .LBB371_908
; %bb.906:
	s_cmp_eq_u32 s35, 29
	s_mov_b64 s[0:1], -1
	s_cbranch_scc0 .LBB371_908
; %bb.907:
	s_mov_b32 s0, 0
	v_cndmask_b32_e64 v2, 0, 1, s[20:21]
	v_mov_b32_e32 v3, s0
	global_store_dwordx2 v[0:1], v[2:3], off
	s_mov_b64 s[0:1], 0
.LBB371_908:
	s_mov_b64 s[16:17], 0
.LBB371_909:
	s_and_b64 vcc, exec, s[16:17]
	s_cbranch_vccz .LBB371_924
; %bb.910:
	s_cmp_lt_i32 s35, 27
	s_mov_b64 s[16:17], -1
	s_cbranch_scc1 .LBB371_916
; %bb.911:
	s_cmp_gt_i32 s35, 27
	v_cndmask_b32_e64 v2, 0, 1, s[20:21]
	s_cbranch_scc0 .LBB371_913
; %bb.912:
	s_mov_b64 s[16:17], 0
	global_store_dword v[0:1], v2, off
.LBB371_913:
	s_andn2_b64 vcc, exec, s[16:17]
	s_cbranch_vccnz .LBB371_915
; %bb.914:
	global_store_short v[0:1], v2, off
.LBB371_915:
	s_mov_b64 s[16:17], 0
.LBB371_916:
	s_andn2_b64 vcc, exec, s[16:17]
	s_cbranch_vccnz .LBB371_924
; %bb.917:
	v_cndmask_b32_e64 v3, 0, 1.0, s[20:21]
	s_mov_b32 s16, 0x43800000
	v_cmp_gt_u32_e32 vcc, s16, v3
	v_mov_b32_e32 v4, 0x80
	s_and_saveexec_b64 s[16:17], vcc
	s_cbranch_execz .LBB371_923
; %bb.918:
	s_mov_b32 s26, 0x3bffffff
	v_cmp_lt_u32_e32 vcc, s26, v3
	s_mov_b64 s[26:27], 0
                                        ; implicit-def: $vgpr2
	s_and_saveexec_b64 s[28:29], vcc
	s_xor_b64 s[28:29], exec, s[28:29]
	s_cbranch_execz .LBB371_1025
; %bb.919:
	v_bfe_u32 v2, v3, 20, 1
	s_mov_b32 s30, 0x487ffff
	v_add3_u32 v2, v3, v2, s30
	s_mov_b64 s[26:27], exec
	v_lshrrev_b32_e32 v2, 20, v2
                                        ; implicit-def: $vgpr3
	s_andn2_saveexec_b64 s[28:29], s[28:29]
	s_cbranch_execnz .LBB371_1026
.LBB371_920:
	s_or_b64 exec, exec, s[28:29]
	v_mov_b32_e32 v4, 0
	s_and_saveexec_b64 s[28:29], s[26:27]
.LBB371_921:
	v_mov_b32_e32 v4, v2
.LBB371_922:
	s_or_b64 exec, exec, s[28:29]
.LBB371_923:
	s_or_b64 exec, exec, s[16:17]
	global_store_byte v[0:1], v4, off
.LBB371_924:
	s_mov_b64 s[26:27], 0
.LBB371_925:
	s_mov_b64 s[16:17], 0
	s_and_b64 vcc, exec, s[26:27]
	s_cbranch_vccz .LBB371_969
; %bb.926:
	s_cmp_gt_i32 s35, 22
	s_mov_b64 s[26:27], -1
	s_cbranch_scc0 .LBB371_958
; %bb.927:
	s_cmp_lt_i32 s35, 24
	s_cbranch_scc1 .LBB371_947
; %bb.928:
	s_cmp_gt_i32 s35, 24
	s_cbranch_scc0 .LBB371_936
; %bb.929:
	v_cndmask_b32_e64 v3, 0, 1.0, s[20:21]
	s_mov_b32 s26, 0x47800000
	v_cmp_gt_u32_e32 vcc, s26, v3
	v_mov_b32_e32 v4, 0x80
	s_and_saveexec_b64 s[26:27], vcc
	s_cbranch_execz .LBB371_935
; %bb.930:
	s_mov_b32 s28, 0x37ffffff
	v_cmp_lt_u32_e32 vcc, s28, v3
	s_mov_b64 s[28:29], 0
                                        ; implicit-def: $vgpr2
	s_and_saveexec_b64 s[30:31], vcc
	s_xor_b64 s[30:31], exec, s[30:31]
	s_cbranch_execz .LBB371_1145
; %bb.931:
	v_bfe_u32 v2, v3, 21, 1
	s_mov_b32 s36, 0x88fffff
	v_add3_u32 v2, v3, v2, s36
	s_mov_b64 s[28:29], exec
	v_lshrrev_b32_e32 v2, 21, v2
                                        ; implicit-def: $vgpr3
	s_andn2_saveexec_b64 s[30:31], s[30:31]
	s_cbranch_execnz .LBB371_1146
.LBB371_932:
	s_or_b64 exec, exec, s[30:31]
	v_mov_b32_e32 v4, 0
	s_and_saveexec_b64 s[30:31], s[28:29]
.LBB371_933:
	v_mov_b32_e32 v4, v2
.LBB371_934:
	s_or_b64 exec, exec, s[30:31]
.LBB371_935:
	s_or_b64 exec, exec, s[26:27]
	s_mov_b64 s[26:27], 0
	global_store_byte v[0:1], v4, off
.LBB371_936:
	s_and_b64 vcc, exec, s[26:27]
	s_cbranch_vccz .LBB371_946
; %bb.937:
	v_cndmask_b32_e64 v2, 0, 1.0, s[20:21]
	s_mov_b32 s26, 0x43f00000
	v_cmp_gt_u32_e32 vcc, s26, v2
                                        ; implicit-def: $vgpr3
	s_and_saveexec_b64 s[26:27], vcc
	s_xor_b64 s[26:27], exec, s[26:27]
	s_cbranch_execz .LBB371_943
; %bb.938:
	s_mov_b32 s28, 0x3c7fffff
	v_cmp_lt_u32_e32 vcc, s28, v2
                                        ; implicit-def: $vgpr3
	s_and_saveexec_b64 s[28:29], vcc
	s_xor_b64 s[28:29], exec, s[28:29]
; %bb.939:
	v_bfe_u32 v3, v2, 20, 1
	s_mov_b32 s30, 0x407ffff
	v_add3_u32 v2, v2, v3, s30
	v_lshrrev_b32_e32 v3, 20, v2
	v_and_b32_e32 v2, 0xff00000, v2
	s_mov_b32 s30, 0x7f00000
	v_mov_b32_e32 v4, 0x7e
	v_cmp_ne_u32_e32 vcc, s30, v2
	v_cndmask_b32_e32 v3, v4, v3, vcc
                                        ; implicit-def: $vgpr2
; %bb.940:
	s_andn2_saveexec_b64 s[28:29], s[28:29]
; %bb.941:
	v_add_f32_e32 v3, 0x46800000, v2
; %bb.942:
	s_or_b64 exec, exec, s[28:29]
                                        ; implicit-def: $vgpr2
.LBB371_943:
	s_andn2_saveexec_b64 s[26:27], s[26:27]
; %bb.944:
	s_mov_b32 s28, 0x7f800000
	v_mov_b32_e32 v3, 0x7e
	v_mov_b32_e32 v4, 0x7f
	v_cmp_lt_u32_e32 vcc, s28, v2
	v_cndmask_b32_e32 v3, v3, v4, vcc
; %bb.945:
	s_or_b64 exec, exec, s[26:27]
	global_store_byte v[0:1], v3, off
.LBB371_946:
	s_mov_b64 s[26:27], 0
.LBB371_947:
	s_andn2_b64 vcc, exec, s[26:27]
	s_cbranch_vccnz .LBB371_957
; %bb.948:
	v_cndmask_b32_e64 v2, 0, 1.0, s[20:21]
	s_mov_b32 s26, 0x47800000
	v_cmp_gt_u32_e32 vcc, s26, v2
                                        ; implicit-def: $vgpr3
	s_and_saveexec_b64 s[26:27], vcc
	s_xor_b64 s[26:27], exec, s[26:27]
	s_cbranch_execz .LBB371_954
; %bb.949:
	s_mov_b32 s28, 0x387fffff
	v_cmp_lt_u32_e32 vcc, s28, v2
                                        ; implicit-def: $vgpr3
	s_and_saveexec_b64 s[28:29], vcc
	s_xor_b64 s[28:29], exec, s[28:29]
; %bb.950:
	v_bfe_u32 v3, v2, 21, 1
	s_mov_b32 s30, 0x80fffff
	v_add3_u32 v2, v2, v3, s30
	v_lshrrev_b32_e32 v3, 21, v2
                                        ; implicit-def: $vgpr2
; %bb.951:
	s_andn2_saveexec_b64 s[28:29], s[28:29]
; %bb.952:
	v_add_f32_e32 v3, 0x43000000, v2
; %bb.953:
	s_or_b64 exec, exec, s[28:29]
                                        ; implicit-def: $vgpr2
.LBB371_954:
	s_andn2_saveexec_b64 s[26:27], s[26:27]
; %bb.955:
	s_mov_b32 s28, 0x7f800000
	v_mov_b32_e32 v3, 0x7c
	v_mov_b32_e32 v4, 0x7f
	v_cmp_lt_u32_e32 vcc, s28, v2
	v_cndmask_b32_e32 v3, v3, v4, vcc
; %bb.956:
	s_or_b64 exec, exec, s[26:27]
	global_store_byte v[0:1], v3, off
.LBB371_957:
	s_mov_b64 s[26:27], 0
.LBB371_958:
	s_andn2_b64 vcc, exec, s[26:27]
	s_mov_b64 s[28:29], 0
	s_cbranch_vccnz .LBB371_970
; %bb.959:
	s_cmp_gt_i32 s35, 14
	s_mov_b64 s[26:27], -1
	s_cbranch_scc0 .LBB371_963
; %bb.960:
	s_cmp_eq_u32 s35, 15
	s_mov_b64 s[0:1], -1
	s_cbranch_scc0 .LBB371_962
; %bb.961:
	v_cndmask_b32_e64 v2, 0, 1.0, s[20:21]
	v_bfe_u32 v3, v2, 16, 1
	s_movk_i32 s0, 0x7fff
	v_add3_u32 v2, v2, v3, s0
	global_store_short_d16_hi v[0:1], v2, off
	s_mov_b64 s[0:1], 0
.LBB371_962:
	s_mov_b64 s[26:27], 0
.LBB371_963:
	s_and_b64 vcc, exec, s[26:27]
	s_cbranch_vccz .LBB371_970
; %bb.964:
	s_cmp_lg_u32 s35, 11
	s_cselect_b64 s[26:27], -1, 0
	s_andn2_b64 s[0:1], s[0:1], exec
	s_and_b64 s[26:27], s[26:27], exec
	s_mov_b64 s[28:29], -1
	s_or_b64 s[0:1], s[0:1], s[26:27]
	s_branch .LBB371_970
.LBB371_965:
	s_or_b64 exec, exec, s[24:25]
	s_and_saveexec_b64 s[0:1], s[18:19]
	s_cbranch_execnz .LBB371_971
.LBB371_966:
	s_or_b64 exec, exec, s[0:1]
	s_and_saveexec_b64 s[0:1], s[28:29]
	s_xor_b64 s[0:1], exec, s[0:1]
	s_cbranch_execz .LBB371_972
.LBB371_967:
	s_waitcnt vmcnt(0)
	v_cndmask_b32_e64 v2, 0, 1, s[20:21]
	global_store_byte v[0:1], v2, off
	s_or_b64 exec, exec, s[0:1]
	s_and_saveexec_b64 s[0:1], s[26:27]
	s_xor_b64 s[0:1], exec, s[0:1]
	s_cbranch_execz .LBB371_1010
	s_branch .LBB371_973
.LBB371_968:
	s_mov_b64 s[16:17], -1
	s_mov_b64 s[0:1], s[18:19]
	s_branch .LBB371_970
.LBB371_969:
	s_mov_b64 s[28:29], 0
.LBB371_970:
	s_and_b64 s[26:27], s[16:17], exec
	s_andn2_b64 s[16:17], s[18:19], exec
	s_and_b64 s[0:1], s[0:1], exec
	s_and_b64 s[28:29], s[28:29], exec
	s_or_b64 s[18:19], s[16:17], s[0:1]
	s_or_b64 exec, exec, s[24:25]
	s_and_saveexec_b64 s[0:1], s[18:19]
	s_cbranch_execz .LBB371_966
.LBB371_971:
	s_or_b64 s[22:23], s[22:23], exec
	s_andn2_b64 s[28:29], s[28:29], exec
	s_trap 2
	s_or_b64 exec, exec, s[0:1]
	s_and_saveexec_b64 s[0:1], s[28:29]
	s_xor_b64 s[0:1], exec, s[0:1]
	s_cbranch_execnz .LBB371_967
.LBB371_972:
	s_or_b64 exec, exec, s[0:1]
	s_and_saveexec_b64 s[0:1], s[26:27]
	s_xor_b64 s[0:1], exec, s[0:1]
	s_cbranch_execz .LBB371_1010
.LBB371_973:
	s_sext_i32_i16 s18, s34
	s_cmp_lt_i32 s18, 5
	s_mov_b64 s[16:17], -1
	s_cbranch_scc1 .LBB371_994
; %bb.974:
	s_cmp_lt_i32 s18, 8
	s_cbranch_scc1 .LBB371_984
; %bb.975:
	s_cmp_lt_i32 s18, 9
	s_cbranch_scc1 .LBB371_981
; %bb.976:
	s_cmp_gt_i32 s18, 9
	s_cbranch_scc0 .LBB371_978
; %bb.977:
	s_waitcnt vmcnt(0)
	v_cndmask_b32_e64 v2, 0, 1, s[20:21]
	v_cvt_f64_u32_e32 v[2:3], v2
	v_mov_b32_e32 v4, 0
	v_mov_b32_e32 v5, v4
	s_mov_b64 s[16:17], 0
	global_store_dwordx4 v[0:1], v[2:5], off
.LBB371_978:
	s_andn2_b64 vcc, exec, s[16:17]
	s_cbranch_vccnz .LBB371_980
; %bb.979:
	s_waitcnt vmcnt(0)
	v_cndmask_b32_e64 v2, 0, 1.0, s[20:21]
	v_mov_b32_e32 v3, 0
	global_store_dwordx2 v[0:1], v[2:3], off
.LBB371_980:
	s_mov_b64 s[16:17], 0
.LBB371_981:
	s_andn2_b64 vcc, exec, s[16:17]
	s_cbranch_vccnz .LBB371_983
; %bb.982:
	s_waitcnt vmcnt(0)
	v_cndmask_b32_e64 v2, 0, 1.0, s[20:21]
	v_cvt_f16_f32_e32 v2, v2
	global_store_dword v[0:1], v2, off
.LBB371_983:
	s_mov_b64 s[16:17], 0
.LBB371_984:
	s_andn2_b64 vcc, exec, s[16:17]
	s_cbranch_vccnz .LBB371_993
; %bb.985:
	s_sext_i32_i16 s18, s34
	s_cmp_lt_i32 s18, 6
	s_mov_b64 s[16:17], -1
	s_cbranch_scc1 .LBB371_991
; %bb.986:
	s_cmp_gt_i32 s18, 6
	s_cbranch_scc0 .LBB371_988
; %bb.987:
	s_waitcnt vmcnt(0)
	v_cndmask_b32_e64 v2, 0, 1, s[20:21]
	v_cvt_f64_u32_e32 v[2:3], v2
	s_mov_b64 s[16:17], 0
	global_store_dwordx2 v[0:1], v[2:3], off
.LBB371_988:
	s_andn2_b64 vcc, exec, s[16:17]
	s_cbranch_vccnz .LBB371_990
; %bb.989:
	s_waitcnt vmcnt(0)
	v_cndmask_b32_e64 v2, 0, 1.0, s[20:21]
	global_store_dword v[0:1], v2, off
.LBB371_990:
	s_mov_b64 s[16:17], 0
.LBB371_991:
	s_andn2_b64 vcc, exec, s[16:17]
	s_cbranch_vccnz .LBB371_993
; %bb.992:
	s_waitcnt vmcnt(0)
	v_cndmask_b32_e64 v2, 0, 1.0, s[20:21]
	v_cvt_f16_f32_e32 v2, v2
	global_store_short v[0:1], v2, off
.LBB371_993:
	s_mov_b64 s[16:17], 0
.LBB371_994:
	s_andn2_b64 vcc, exec, s[16:17]
	s_cbranch_vccnz .LBB371_1010
; %bb.995:
	s_sext_i32_i16 s18, s34
	s_cmp_lt_i32 s18, 2
	s_mov_b64 s[16:17], -1
	s_cbranch_scc1 .LBB371_1005
; %bb.996:
	s_cmp_lt_i32 s18, 3
	s_cbranch_scc1 .LBB371_1002
; %bb.997:
	s_cmp_gt_i32 s18, 3
	s_cbranch_scc0 .LBB371_999
; %bb.998:
	s_mov_b32 s16, 0
	s_waitcnt vmcnt(0)
	v_cndmask_b32_e64 v2, 0, 1, s[20:21]
	v_mov_b32_e32 v3, s16
	s_mov_b64 s[16:17], 0
	global_store_dwordx2 v[0:1], v[2:3], off
.LBB371_999:
	s_andn2_b64 vcc, exec, s[16:17]
	s_cbranch_vccnz .LBB371_1001
; %bb.1000:
	s_waitcnt vmcnt(0)
	v_cndmask_b32_e64 v2, 0, 1, s[20:21]
	global_store_dword v[0:1], v2, off
.LBB371_1001:
	s_mov_b64 s[16:17], 0
.LBB371_1002:
	s_andn2_b64 vcc, exec, s[16:17]
	s_cbranch_vccnz .LBB371_1004
; %bb.1003:
	s_waitcnt vmcnt(0)
	v_cndmask_b32_e64 v2, 0, 1, s[20:21]
	global_store_short v[0:1], v2, off
.LBB371_1004:
	s_mov_b64 s[16:17], 0
.LBB371_1005:
	s_andn2_b64 vcc, exec, s[16:17]
	s_cbranch_vccnz .LBB371_1010
; %bb.1006:
	s_sext_i32_i16 s18, s34
	s_mov_b64 s[16:17], -1
	s_cmp_gt_i32 s18, 0
	s_waitcnt vmcnt(0)
	v_cndmask_b32_e64 v2, 0, 1, s[20:21]
	s_cbranch_scc0 .LBB371_1008
; %bb.1007:
	s_mov_b64 s[16:17], 0
	global_store_byte v[0:1], v2, off
.LBB371_1008:
	s_andn2_b64 vcc, exec, s[16:17]
	s_cbranch_vccnz .LBB371_1010
; %bb.1009:
	global_store_byte v[0:1], v2, off
.LBB371_1010:
	s_or_b64 exec, exec, s[0:1]
	s_and_b64 s[16:17], s[22:23], exec
                                        ; implicit-def: $vgpr10
.LBB371_1011:
	s_or_saveexec_b64 s[6:7], s[6:7]
	s_mov_b64 s[0:1], 0
                                        ; implicit-def: $sgpr20_sgpr21
                                        ; implicit-def: $sgpr26
                                        ; implicit-def: $vgpr0_vgpr1
	s_xor_b64 exec, exec, s[6:7]
	s_cbranch_execz .LBB371_1942
; %bb.1012:
	v_mul_lo_u32 v4, s13, v10
	v_mov_b32_e32 v0, s11
	s_and_b32 s15, 0xffff, s15
	s_cmp_lt_i32 s15, 11
	v_ashrrev_i32_e32 v1, 31, v4
	s_waitcnt vmcnt(0)
	v_add_co_u32_e32 v2, vcc, s10, v4
	v_addc_co_u32_e32 v3, vcc, v0, v1, vcc
	s_cbranch_scc1 .LBB371_1019
; %bb.1013:
	s_cmp_gt_i32 s15, 25
	s_cbranch_scc0 .LBB371_1021
; %bb.1014:
	s_cmp_gt_i32 s15, 28
	s_cbranch_scc0 .LBB371_1022
	;; [unrolled: 3-line block ×4, first 2 shown]
; %bb.1017:
	s_cmp_eq_u32 s15, 46
	s_mov_b64 s[18:19], 0
	s_cbranch_scc0 .LBB371_1027
; %bb.1018:
	global_load_dword v0, v[2:3], off
	s_mov_b64 s[20:21], -1
	s_waitcnt vmcnt(0)
	v_lshlrev_b32_e32 v0, 16, v0
	v_trunc_f32_e32 v0, v0
	v_mul_f32_e32 v1, 0x2f800000, v0
	v_floor_f32_e32 v1, v1
	v_fmac_f32_e32 v0, 0xcf800000, v1
	v_cvt_u32_f32_e32 v0, v0
	v_cvt_u32_f32_e32 v1, v1
	s_branch .LBB371_1028
.LBB371_1019:
	s_mov_b64 s[20:21], 0
                                        ; implicit-def: $vgpr0_vgpr1
	s_mov_b64 s[18:19], s[16:17]
	s_cbranch_execnz .LBB371_1086
.LBB371_1020:
	s_andn2_b64 vcc, exec, s[20:21]
	s_cbranch_vccz .LBB371_1131
	s_branch .LBB371_1940
.LBB371_1021:
	s_mov_b64 s[20:21], 0
                                        ; implicit-def: $vgpr0_vgpr1
	s_cbranch_execnz .LBB371_1055
	s_branch .LBB371_1082
.LBB371_1022:
	s_mov_b64 s[20:21], 0
                                        ; implicit-def: $vgpr0_vgpr1
	s_cbranch_execz .LBB371_1054
	s_branch .LBB371_1037
.LBB371_1023:
	s_mov_b64 s[20:21], 0
                                        ; implicit-def: $vgpr0_vgpr1
	s_cbranch_execnz .LBB371_1033
	s_branch .LBB371_1036
.LBB371_1024:
	s_mov_b64 s[18:19], -1
	s_mov_b64 s[20:21], 0
                                        ; implicit-def: $vgpr0_vgpr1
	s_branch .LBB371_1028
.LBB371_1025:
	s_andn2_saveexec_b64 s[28:29], s[28:29]
	s_cbranch_execz .LBB371_920
.LBB371_1026:
	v_add_f32_e32 v2, 0x46000000, v3
	v_and_b32_e32 v2, 0xff, v2
	v_cmp_ne_u32_e32 vcc, 0, v2
	s_andn2_b64 s[26:27], s[26:27], exec
	s_and_b64 s[30:31], vcc, exec
	s_or_b64 s[26:27], s[26:27], s[30:31]
	s_or_b64 exec, exec, s[28:29]
	v_mov_b32_e32 v4, 0
	s_and_saveexec_b64 s[28:29], s[26:27]
	s_cbranch_execnz .LBB371_921
	s_branch .LBB371_922
.LBB371_1027:
	s_mov_b64 s[0:1], -1
                                        ; implicit-def: $vgpr0_vgpr1
	s_mov_b64 s[20:21], 0
.LBB371_1028:
	s_and_b64 vcc, exec, s[18:19]
	s_cbranch_vccz .LBB371_1031
; %bb.1029:
	s_cmp_eq_u32 s15, 44
	s_cbranch_scc0 .LBB371_1032
; %bb.1030:
	global_load_ubyte v0, v[2:3], off
	s_mov_b64 s[0:1], 0
	s_mov_b64 s[20:21], -1
	s_waitcnt vmcnt(0)
	v_lshlrev_b32_e32 v1, 23, v0
	v_trunc_f32_e32 v1, v1
	v_mul_f32_e32 v5, 0x2f800000, v1
	v_floor_f32_e32 v5, v5
	v_fmac_f32_e32 v1, 0xcf800000, v5
	v_cvt_u32_f32_e32 v5, v5
	v_cvt_u32_f32_e32 v6, v1
	v_cmp_ne_u32_e32 vcc, 0, v0
	v_cndmask_b32_e32 v1, 0, v5, vcc
	v_cndmask_b32_e32 v0, 0, v6, vcc
.LBB371_1031:
	s_branch .LBB371_1036
.LBB371_1032:
	s_mov_b64 s[0:1], -1
                                        ; implicit-def: $vgpr0_vgpr1
	s_branch .LBB371_1036
.LBB371_1033:
	s_cmp_eq_u32 s15, 29
	s_cbranch_scc0 .LBB371_1035
; %bb.1034:
	global_load_dwordx2 v[0:1], v[2:3], off
	s_mov_b64 s[0:1], 0
	s_mov_b64 s[20:21], -1
	s_branch .LBB371_1036
.LBB371_1035:
	s_mov_b64 s[0:1], -1
                                        ; implicit-def: $vgpr0_vgpr1
.LBB371_1036:
	s_branch .LBB371_1054
.LBB371_1037:
	s_cmp_lt_i32 s15, 27
	s_cbranch_scc1 .LBB371_1040
; %bb.1038:
	s_cmp_gt_i32 s15, 27
	s_cbranch_scc0 .LBB371_1041
; %bb.1039:
	global_load_dword v0, v[2:3], off
	s_waitcnt vmcnt(1)
	v_mov_b32_e32 v1, 0
	s_mov_b64 s[18:19], 0
	s_branch .LBB371_1042
.LBB371_1040:
	s_mov_b64 s[18:19], -1
                                        ; implicit-def: $vgpr0_vgpr1
	s_branch .LBB371_1045
.LBB371_1041:
	s_mov_b64 s[18:19], -1
                                        ; implicit-def: $vgpr0_vgpr1
.LBB371_1042:
	s_andn2_b64 vcc, exec, s[18:19]
	s_cbranch_vccnz .LBB371_1044
; %bb.1043:
	global_load_ushort v0, v[2:3], off
	s_mov_b32 s18, 0
	s_waitcnt vmcnt(1)
	v_mov_b32_e32 v1, s18
	s_waitcnt vmcnt(0)
	v_and_b32_e32 v0, 0xffff, v0
.LBB371_1044:
	s_mov_b64 s[18:19], 0
.LBB371_1045:
	s_andn2_b64 vcc, exec, s[18:19]
	s_cbranch_vccnz .LBB371_1053
; %bb.1046:
	global_load_ubyte v5, v[2:3], off
	s_movk_i32 s18, 0x7f
	s_mov_b64 s[20:21], 0
	s_waitcnt vmcnt(0)
	v_cmp_lt_i16_e32 vcc, s18, v5
	s_and_saveexec_b64 s[18:19], vcc
	s_xor_b64 s[18:19], exec, s[18:19]
; %bb.1047:
	s_movk_i32 s20, 0x80
	v_cmp_ne_u16_e32 vcc, s20, v5
	s_and_b64 s[20:21], vcc, exec
; %bb.1048:
	s_andn2_saveexec_b64 s[18:19], s[18:19]
; %bb.1049:
	v_cmp_ne_u16_e32 vcc, 0, v5
	s_andn2_b64 s[20:21], s[20:21], exec
	s_and_b64 s[22:23], vcc, exec
	s_or_b64 s[20:21], s[20:21], s[22:23]
; %bb.1050:
	s_or_b64 exec, exec, s[18:19]
	v_mov_b32_e32 v0, 0
	v_mov_b32_e32 v1, 0
	s_and_saveexec_b64 s[18:19], s[20:21]
	s_cbranch_execz .LBB371_1052
; %bb.1051:
	v_and_b32_e32 v1, 0xffff, v5
	v_lshlrev_b32_e32 v0, 24, v5
	v_and_b32_e32 v5, 7, v1
	v_ffbh_u32_e32 v7, v5
	v_min_u32_e32 v7, 32, v7
	v_subrev_u32_e32 v8, 28, v7
	v_bfe_u32 v6, v1, 3, 4
	v_lshlrev_b32_e32 v1, v8, v1
	v_sub_u32_e32 v7, 29, v7
	v_and_b32_e32 v1, 7, v1
	v_cmp_eq_u32_e32 vcc, 0, v6
	v_cndmask_b32_e32 v6, v6, v7, vcc
	v_cndmask_b32_e32 v1, v5, v1, vcc
	v_mov_b32_e32 v5, 0x3b800000
	v_lshlrev_b32_e32 v1, 20, v1
	v_and_b32_e32 v0, 0x80000000, v0
	v_lshl_add_u32 v5, v6, 23, v5
	v_or3_b32 v0, v0, v5, v1
	v_trunc_f32_e32 v0, v0
	v_mul_f32_e32 v1, 0x2f800000, v0
	v_floor_f32_e32 v1, v1
	v_fmac_f32_e32 v0, 0xcf800000, v1
	v_cvt_u32_f32_e32 v0, v0
	v_cvt_u32_f32_e32 v1, v1
.LBB371_1052:
	s_or_b64 exec, exec, s[18:19]
.LBB371_1053:
	s_mov_b64 s[20:21], -1
.LBB371_1054:
	s_branch .LBB371_1082
.LBB371_1055:
	s_cmp_gt_i32 s15, 22
	s_cbranch_scc0 .LBB371_1065
; %bb.1056:
	s_cmp_lt_i32 s15, 24
	s_cbranch_scc1 .LBB371_1066
; %bb.1057:
	s_cmp_gt_i32 s15, 24
	s_cbranch_scc0 .LBB371_1067
; %bb.1058:
	global_load_ubyte v5, v[2:3], off
	s_movk_i32 s4, 0x7f
	s_mov_b64 s[18:19], 0
	s_waitcnt vmcnt(0)
	v_cmp_lt_i16_e32 vcc, s4, v5
	s_and_saveexec_b64 s[4:5], vcc
	s_xor_b64 s[4:5], exec, s[4:5]
; %bb.1059:
	s_movk_i32 s18, 0x80
	v_cmp_ne_u16_e32 vcc, s18, v5
	s_and_b64 s[18:19], vcc, exec
; %bb.1060:
	s_andn2_saveexec_b64 s[4:5], s[4:5]
; %bb.1061:
	v_cmp_ne_u16_e32 vcc, 0, v5
	s_andn2_b64 s[18:19], s[18:19], exec
	s_and_b64 s[20:21], vcc, exec
	s_or_b64 s[18:19], s[18:19], s[20:21]
; %bb.1062:
	s_or_b64 exec, exec, s[4:5]
	v_mov_b32_e32 v0, 0
	v_mov_b32_e32 v1, 0
	s_and_saveexec_b64 s[4:5], s[18:19]
	s_cbranch_execz .LBB371_1064
; %bb.1063:
	v_and_b32_e32 v1, 0xffff, v5
	v_lshlrev_b32_e32 v0, 24, v5
	v_and_b32_e32 v5, 3, v1
	v_ffbh_u32_e32 v7, v5
	v_min_u32_e32 v7, 32, v7
	v_subrev_u32_e32 v8, 29, v7
	v_bfe_u32 v6, v1, 2, 5
	v_lshlrev_b32_e32 v1, v8, v1
	v_sub_u32_e32 v7, 30, v7
	v_and_b32_e32 v1, 3, v1
	v_cmp_eq_u32_e32 vcc, 0, v6
	v_cndmask_b32_e32 v6, v6, v7, vcc
	v_cndmask_b32_e32 v1, v5, v1, vcc
	v_mov_b32_e32 v5, 0x37800000
	v_lshlrev_b32_e32 v1, 21, v1
	v_and_b32_e32 v0, 0x80000000, v0
	v_lshl_add_u32 v5, v6, 23, v5
	v_or3_b32 v0, v0, v5, v1
	v_trunc_f32_e32 v0, v0
	v_mul_f32_e32 v1, 0x2f800000, v0
	v_floor_f32_e32 v1, v1
	v_fmac_f32_e32 v0, 0xcf800000, v1
	v_cvt_u32_f32_e32 v0, v0
	v_cvt_u32_f32_e32 v1, v1
.LBB371_1064:
	s_or_b64 exec, exec, s[4:5]
	s_mov_b64 s[4:5], 0
	s_branch .LBB371_1068
.LBB371_1065:
                                        ; implicit-def: $vgpr0_vgpr1
	s_mov_b64 s[4:5], 0
	s_branch .LBB371_1074
.LBB371_1066:
	s_mov_b64 s[4:5], -1
                                        ; implicit-def: $vgpr0_vgpr1
	s_branch .LBB371_1071
.LBB371_1067:
	s_mov_b64 s[4:5], -1
                                        ; implicit-def: $vgpr0_vgpr1
.LBB371_1068:
	s_and_b64 vcc, exec, s[4:5]
	s_cbranch_vccz .LBB371_1070
; %bb.1069:
	global_load_ubyte v0, v[2:3], off
	s_mov_b32 s4, 0x7f800000
	s_brev_b32 s5, 1
	s_waitcnt vmcnt(0)
	v_lshlrev_b32_e32 v0, 24, v0
	v_and_b32_e32 v1, 0x7f000000, v0
	v_ffbh_u32_e32 v5, v1
	v_min_u32_e32 v5, 32, v5
	v_sub_u32_e64 v5, v5, 4 clamp
	v_lshlrev_b32_e32 v7, v5, v1
	v_lshlrev_b32_e32 v5, 23, v5
	v_lshrrev_b32_e32 v7, 4, v7
	v_add_u32_e32 v6, 0x1000000, v1
	v_sub_u32_e32 v5, v7, v5
	v_ashrrev_i32_e32 v6, 8, v6
	v_add_u32_e32 v5, 0x3c000000, v5
	v_and_or_b32 v5, v6, s4, v5
	v_cmp_ne_u32_e32 vcc, 0, v1
	v_cndmask_b32_e32 v1, 0, v5, vcc
	v_and_or_b32 v0, v0, s5, v1
	v_trunc_f32_e32 v0, v0
	v_mul_f32_e32 v1, 0x2f800000, v0
	v_floor_f32_e32 v1, v1
	v_fmac_f32_e32 v0, 0xcf800000, v1
	v_cvt_u32_f32_e32 v0, v0
	v_cvt_u32_f32_e32 v1, v1
.LBB371_1070:
	s_mov_b64 s[4:5], 0
.LBB371_1071:
	s_andn2_b64 vcc, exec, s[4:5]
	s_cbranch_vccnz .LBB371_1073
; %bb.1072:
	global_load_ubyte v0, v[2:3], off
	s_movk_i32 s4, 0x7f00
	s_brev_b32 s5, 16
	s_brev_b32 s18, 1
	s_waitcnt vmcnt(0)
	v_lshlrev_b16_e32 v1, 8, v0
	v_lshlrev_b32_e32 v0, 25, v0
	v_lshrrev_b32_e32 v5, 4, v0
	v_and_or_b32 v6, v1, s4, 0.5
	v_or_b32_e32 v5, 0x70000000, v5
	v_add_f32_e32 v6, -0.5, v6
	v_mul_f32_e32 v5, 0x7800000, v5
	v_cmp_gt_u32_e32 vcc, s5, v0
	v_bfe_i32 v1, v1, 0, 16
	v_cndmask_b32_e32 v0, v5, v6, vcc
	v_and_or_b32 v0, v1, s18, v0
	v_trunc_f32_e32 v0, v0
	v_mul_f32_e32 v1, 0x2f800000, v0
	v_floor_f32_e32 v1, v1
	v_fmac_f32_e32 v0, 0xcf800000, v1
	v_cvt_u32_f32_e32 v0, v0
	v_cvt_u32_f32_e32 v1, v1
.LBB371_1073:
	s_mov_b64 s[20:21], -1
	s_mov_b64 s[4:5], 0
	s_cbranch_execnz .LBB371_1082
.LBB371_1074:
	s_cmp_gt_i32 s15, 14
	s_cbranch_scc0 .LBB371_1077
; %bb.1075:
	s_cmp_eq_u32 s15, 15
	s_cbranch_scc0 .LBB371_1078
; %bb.1076:
	global_load_ushort v0, v[2:3], off
	s_mov_b64 s[0:1], 0
	s_mov_b64 s[20:21], -1
	s_waitcnt vmcnt(0)
	v_lshlrev_b32_e32 v0, 16, v0
	v_trunc_f32_e32 v0, v0
	v_mul_f32_e32 v1, 0x2f800000, v0
	v_floor_f32_e32 v1, v1
	v_fmac_f32_e32 v0, 0xcf800000, v1
	v_cvt_u32_f32_e32 v0, v0
	v_cvt_u32_f32_e32 v1, v1
	s_branch .LBB371_1079
.LBB371_1077:
	s_mov_b64 s[18:19], -1
                                        ; implicit-def: $vgpr0_vgpr1
	s_branch .LBB371_1080
.LBB371_1078:
	s_mov_b64 s[0:1], -1
                                        ; implicit-def: $vgpr0_vgpr1
.LBB371_1079:
	s_mov_b64 s[18:19], 0
.LBB371_1080:
	s_and_b64 vcc, exec, s[18:19]
	s_cbranch_vccz .LBB371_1082
; %bb.1081:
	s_cmp_lg_u32 s15, 11
	s_mov_b64 s[4:5], -1
	s_cselect_b64 s[0:1], -1, 0
.LBB371_1082:
	s_and_b64 vcc, exec, s[0:1]
	s_mov_b64 s[18:19], s[16:17]
	s_cbranch_vccnz .LBB371_1143
; %bb.1083:
	s_andn2_b64 vcc, exec, s[4:5]
	s_cbranch_vccnz .LBB371_1085
.LBB371_1084:
	global_load_ubyte v0, v[2:3], off
	s_mov_b32 s0, 0
	s_waitcnt vmcnt(1)
	v_mov_b32_e32 v1, s0
	s_mov_b64 s[20:21], -1
	s_waitcnt vmcnt(0)
	v_cmp_ne_u16_e32 vcc, 0, v0
	v_cndmask_b32_e64 v0, 0, 1, vcc
.LBB371_1085:
	s_branch .LBB371_1020
.LBB371_1086:
	s_cmp_lt_i32 s15, 5
	s_cbranch_scc1 .LBB371_1091
; %bb.1087:
	s_cmp_lt_i32 s15, 8
	s_cbranch_scc1 .LBB371_1092
; %bb.1088:
	;; [unrolled: 3-line block ×3, first 2 shown]
	s_cmp_gt_i32 s15, 9
	s_cbranch_scc0 .LBB371_1094
; %bb.1090:
	global_load_dwordx2 v[0:1], v[2:3], off
	s_movk_i32 s0, 0xffe0
	s_waitcnt vmcnt(0)
	v_trunc_f64_e32 v[0:1], v[0:1]
	v_ldexp_f64 v[5:6], v[0:1], s0
	s_mov_b32 s0, 0
	s_mov_b32 s1, 0xc1f00000
	v_floor_f64_e32 v[5:6], v[5:6]
	v_fma_f64 v[7:8], v[5:6], s[0:1], v[0:1]
	v_cvt_u32_f64_e32 v1, v[5:6]
	s_mov_b64 s[0:1], 0
	v_cvt_u32_f64_e32 v0, v[7:8]
	s_branch .LBB371_1095
.LBB371_1091:
                                        ; implicit-def: $vgpr0_vgpr1
	s_branch .LBB371_1112
.LBB371_1092:
                                        ; implicit-def: $vgpr0_vgpr1
	s_branch .LBB371_1101
.LBB371_1093:
	s_mov_b64 s[0:1], -1
                                        ; implicit-def: $vgpr0_vgpr1
	s_branch .LBB371_1098
.LBB371_1094:
	s_mov_b64 s[0:1], -1
                                        ; implicit-def: $vgpr0_vgpr1
.LBB371_1095:
	s_andn2_b64 vcc, exec, s[0:1]
	s_cbranch_vccnz .LBB371_1097
; %bb.1096:
	global_load_dword v0, v[2:3], off
	s_waitcnt vmcnt(0)
	v_trunc_f32_e32 v0, v0
	v_mul_f32_e32 v1, 0x2f800000, v0
	v_floor_f32_e32 v5, v1
	v_fmac_f32_e32 v0, 0xcf800000, v5
	v_cvt_u32_f32_e32 v1, v5
	v_cvt_u32_f32_e32 v0, v0
.LBB371_1097:
	s_mov_b64 s[0:1], 0
.LBB371_1098:
	s_andn2_b64 vcc, exec, s[0:1]
	s_cbranch_vccnz .LBB371_1100
; %bb.1099:
	global_load_dword v0, v[2:3], off
	s_waitcnt vmcnt(1)
	v_mov_b32_e32 v1, 0
	s_waitcnt vmcnt(0)
	v_cvt_f32_f16_e32 v0, v0
	v_cvt_u32_f32_e32 v0, v0
.LBB371_1100:
	s_cbranch_execnz .LBB371_1111
.LBB371_1101:
	s_cmp_lt_i32 s15, 6
	s_cbranch_scc1 .LBB371_1104
; %bb.1102:
	s_cmp_gt_i32 s15, 6
	s_cbranch_scc0 .LBB371_1105
; %bb.1103:
	global_load_dwordx2 v[0:1], v[2:3], off
	s_movk_i32 s0, 0xffe0
	s_waitcnt vmcnt(0)
	v_trunc_f64_e32 v[0:1], v[0:1]
	v_ldexp_f64 v[5:6], v[0:1], s0
	s_mov_b32 s0, 0
	s_mov_b32 s1, 0xc1f00000
	v_floor_f64_e32 v[5:6], v[5:6]
	v_fma_f64 v[7:8], v[5:6], s[0:1], v[0:1]
	v_cvt_u32_f64_e32 v1, v[5:6]
	s_mov_b64 s[0:1], 0
	v_cvt_u32_f64_e32 v0, v[7:8]
	s_branch .LBB371_1106
.LBB371_1104:
	s_mov_b64 s[0:1], -1
                                        ; implicit-def: $vgpr0_vgpr1
	s_branch .LBB371_1109
.LBB371_1105:
	s_mov_b64 s[0:1], -1
                                        ; implicit-def: $vgpr0_vgpr1
.LBB371_1106:
	s_andn2_b64 vcc, exec, s[0:1]
	s_cbranch_vccnz .LBB371_1108
; %bb.1107:
	global_load_dword v0, v[2:3], off
	s_waitcnt vmcnt(0)
	v_trunc_f32_e32 v0, v0
	v_mul_f32_e32 v1, 0x2f800000, v0
	v_floor_f32_e32 v5, v1
	v_fmac_f32_e32 v0, 0xcf800000, v5
	v_cvt_u32_f32_e32 v1, v5
	v_cvt_u32_f32_e32 v0, v0
.LBB371_1108:
	s_mov_b64 s[0:1], 0
.LBB371_1109:
	s_andn2_b64 vcc, exec, s[0:1]
	s_cbranch_vccnz .LBB371_1111
; %bb.1110:
	global_load_ushort v0, v[2:3], off
	s_waitcnt vmcnt(1)
	v_mov_b32_e32 v1, 0
	s_waitcnt vmcnt(0)
	v_cvt_f32_f16_e32 v0, v0
	v_cvt_u32_f32_e32 v0, v0
.LBB371_1111:
	s_cbranch_execnz .LBB371_1130
.LBB371_1112:
	s_cmp_lt_i32 s15, 2
	s_cbranch_scc1 .LBB371_1116
; %bb.1113:
	s_cmp_lt_i32 s15, 3
	s_cbranch_scc1 .LBB371_1117
; %bb.1114:
	s_cmp_gt_i32 s15, 3
	s_cbranch_scc0 .LBB371_1118
; %bb.1115:
	global_load_dwordx2 v[0:1], v[2:3], off
	s_mov_b64 s[0:1], 0
	s_branch .LBB371_1119
.LBB371_1116:
                                        ; implicit-def: $vgpr0_vgpr1
	s_branch .LBB371_1125
.LBB371_1117:
	s_mov_b64 s[0:1], -1
                                        ; implicit-def: $vgpr0_vgpr1
	s_branch .LBB371_1122
.LBB371_1118:
	s_mov_b64 s[0:1], -1
                                        ; implicit-def: $vgpr0_vgpr1
.LBB371_1119:
	s_andn2_b64 vcc, exec, s[0:1]
	s_cbranch_vccnz .LBB371_1121
; %bb.1120:
	global_load_dword v0, v[2:3], off
	s_waitcnt vmcnt(0)
	v_ashrrev_i32_e32 v1, 31, v0
.LBB371_1121:
	s_mov_b64 s[0:1], 0
.LBB371_1122:
	s_andn2_b64 vcc, exec, s[0:1]
	s_cbranch_vccnz .LBB371_1124
; %bb.1123:
	global_load_ushort v0, v[2:3], off
	s_waitcnt vmcnt(0)
	v_bfe_i32 v0, v0, 0, 16
	v_ashrrev_i32_e32 v1, 31, v0
.LBB371_1124:
	s_cbranch_execnz .LBB371_1130
.LBB371_1125:
	s_cmp_gt_i32 s15, 0
	s_cbranch_scc0 .LBB371_1127
; %bb.1126:
	global_load_sbyte v0, v[2:3], off
	s_mov_b64 s[0:1], 0
	s_waitcnt vmcnt(0)
	v_bfe_i32 v0, v0, 0, 16
	v_ashrrev_i32_e32 v1, 31, v0
	s_branch .LBB371_1128
.LBB371_1127:
	s_mov_b64 s[0:1], -1
                                        ; implicit-def: $vgpr0_vgpr1
.LBB371_1128:
	s_andn2_b64 vcc, exec, s[0:1]
	s_cbranch_vccnz .LBB371_1130
; %bb.1129:
	global_load_ubyte v0, v[2:3], off
	s_mov_b32 s0, 0
	s_waitcnt vmcnt(1)
	v_mov_b32_e32 v1, s0
	s_waitcnt vmcnt(0)
	v_and_b32_e32 v0, 0xffff, v0
.LBB371_1130:
.LBB371_1131:
	s_lshl_b32 s13, s13, 7
	v_add_u32_e32 v6, s13, v4
	v_ashrrev_i32_e32 v2, 31, v6
	v_mov_b32_e32 v3, s11
	v_add_co_u32_e32 v4, vcc, s10, v6
	s_cmp_lt_i32 s15, 11
	v_addc_co_u32_e32 v5, vcc, v3, v2, vcc
	s_cbranch_scc1 .LBB371_1138
; %bb.1132:
	s_cmp_gt_i32 s15, 25
	s_mov_b64 s[4:5], 0
	s_cbranch_scc0 .LBB371_1140
; %bb.1133:
	s_cmp_gt_i32 s15, 28
	s_cbranch_scc0 .LBB371_1141
; %bb.1134:
	s_cmp_gt_i32 s15, 43
	;; [unrolled: 3-line block ×3, first 2 shown]
	s_cbranch_scc0 .LBB371_1144
; %bb.1136:
	s_cmp_eq_u32 s15, 46
	s_mov_b64 s[22:23], 0
	s_cbranch_scc0 .LBB371_1147
; %bb.1137:
	global_load_dword v2, v[4:5], off
	s_mov_b64 s[0:1], 0
	s_mov_b64 s[20:21], -1
	s_waitcnt vmcnt(0)
	v_lshlrev_b32_e32 v2, 16, v2
	v_trunc_f32_e32 v2, v2
	v_mul_f32_e32 v3, 0x2f800000, v2
	v_floor_f32_e32 v3, v3
	v_fmac_f32_e32 v2, 0xcf800000, v3
	v_cvt_u32_f32_e32 v2, v2
	v_cvt_u32_f32_e32 v3, v3
	s_branch .LBB371_1148
.LBB371_1138:
	s_mov_b64 s[20:21], 0
                                        ; implicit-def: $vgpr2_vgpr3
	s_cbranch_execnz .LBB371_1209
.LBB371_1139:
	s_andn2_b64 vcc, exec, s[20:21]
	s_cbranch_vccnz .LBB371_1940
	s_branch .LBB371_1256
.LBB371_1140:
	s_mov_b64 s[20:21], 0
	s_mov_b64 s[0:1], 0
                                        ; implicit-def: $vgpr2_vgpr3
	s_cbranch_execnz .LBB371_1177
	s_branch .LBB371_1205
.LBB371_1141:
	s_mov_b64 s[22:23], -1
	s_mov_b64 s[20:21], 0
	s_mov_b64 s[0:1], 0
                                        ; implicit-def: $vgpr2_vgpr3
	s_branch .LBB371_1158
.LBB371_1142:
	s_mov_b64 s[22:23], -1
	s_mov_b64 s[20:21], 0
	s_mov_b64 s[0:1], 0
                                        ; implicit-def: $vgpr2_vgpr3
	s_branch .LBB371_1153
.LBB371_1143:
	s_or_b64 s[18:19], s[16:17], exec
	s_trap 2
	s_cbranch_execz .LBB371_1084
	s_branch .LBB371_1085
.LBB371_1144:
	s_mov_b64 s[22:23], -1
	s_mov_b64 s[20:21], 0
	s_mov_b64 s[0:1], 0
                                        ; implicit-def: $vgpr2_vgpr3
	s_branch .LBB371_1148
.LBB371_1145:
	s_andn2_saveexec_b64 s[30:31], s[30:31]
	s_cbranch_execz .LBB371_932
.LBB371_1146:
	v_add_f32_e32 v2, 0x42800000, v3
	v_and_b32_e32 v2, 0xff, v2
	v_cmp_ne_u32_e32 vcc, 0, v2
	s_andn2_b64 s[28:29], s[28:29], exec
	s_and_b64 s[36:37], vcc, exec
	s_or_b64 s[28:29], s[28:29], s[36:37]
	s_or_b64 exec, exec, s[30:31]
	v_mov_b32_e32 v4, 0
	s_and_saveexec_b64 s[30:31], s[28:29]
	s_cbranch_execnz .LBB371_933
	s_branch .LBB371_934
.LBB371_1147:
	s_mov_b64 s[0:1], -1
                                        ; implicit-def: $vgpr2_vgpr3
	s_mov_b64 s[20:21], 0
.LBB371_1148:
	s_and_b64 vcc, exec, s[22:23]
	s_cbranch_vccz .LBB371_1152
; %bb.1149:
	s_cmp_eq_u32 s15, 44
	s_cbranch_scc0 .LBB371_1151
; %bb.1150:
	global_load_ubyte v2, v[4:5], off
	s_mov_b64 s[0:1], 0
	s_mov_b64 s[20:21], -1
	s_waitcnt vmcnt(0)
	v_lshlrev_b32_e32 v3, 23, v2
	v_trunc_f32_e32 v3, v3
	v_mul_f32_e32 v7, 0x2f800000, v3
	v_floor_f32_e32 v7, v7
	v_fmac_f32_e32 v3, 0xcf800000, v7
	v_cvt_u32_f32_e32 v7, v7
	v_cvt_u32_f32_e32 v8, v3
	v_cmp_ne_u32_e32 vcc, 0, v2
	v_cndmask_b32_e32 v3, 0, v7, vcc
	v_cndmask_b32_e32 v2, 0, v8, vcc
	s_branch .LBB371_1152
.LBB371_1151:
	s_mov_b64 s[0:1], -1
                                        ; implicit-def: $vgpr2_vgpr3
.LBB371_1152:
	s_mov_b64 s[22:23], 0
.LBB371_1153:
	s_and_b64 vcc, exec, s[22:23]
	s_cbranch_vccz .LBB371_1157
; %bb.1154:
	s_cmp_eq_u32 s15, 29
	s_cbranch_scc0 .LBB371_1156
; %bb.1155:
	global_load_dwordx2 v[2:3], v[4:5], off
	s_mov_b64 s[0:1], 0
	s_mov_b64 s[20:21], -1
	s_branch .LBB371_1157
.LBB371_1156:
	s_mov_b64 s[0:1], -1
                                        ; implicit-def: $vgpr2_vgpr3
.LBB371_1157:
	s_mov_b64 s[22:23], 0
.LBB371_1158:
	s_and_b64 vcc, exec, s[22:23]
	s_cbranch_vccz .LBB371_1176
; %bb.1159:
	s_cmp_lt_i32 s15, 27
	s_cbranch_scc1 .LBB371_1162
; %bb.1160:
	s_cmp_gt_i32 s15, 27
	s_cbranch_scc0 .LBB371_1163
; %bb.1161:
	global_load_dword v2, v[4:5], off
	s_waitcnt vmcnt(1)
	v_mov_b32_e32 v3, 0
	s_mov_b64 s[20:21], 0
	s_branch .LBB371_1164
.LBB371_1162:
	s_mov_b64 s[20:21], -1
                                        ; implicit-def: $vgpr2_vgpr3
	s_branch .LBB371_1167
.LBB371_1163:
	s_mov_b64 s[20:21], -1
                                        ; implicit-def: $vgpr2_vgpr3
.LBB371_1164:
	s_andn2_b64 vcc, exec, s[20:21]
	s_cbranch_vccnz .LBB371_1166
; %bb.1165:
	global_load_ushort v2, v[4:5], off
	s_mov_b32 s20, 0
	s_waitcnt vmcnt(1)
	v_mov_b32_e32 v3, s20
	s_waitcnt vmcnt(0)
	v_and_b32_e32 v2, 0xffff, v2
.LBB371_1166:
	s_mov_b64 s[20:21], 0
.LBB371_1167:
	s_andn2_b64 vcc, exec, s[20:21]
	s_cbranch_vccnz .LBB371_1175
; %bb.1168:
	global_load_ubyte v7, v[4:5], off
	s_movk_i32 s20, 0x7f
	s_mov_b64 s[22:23], 0
	s_waitcnt vmcnt(0)
	v_cmp_lt_i16_e32 vcc, s20, v7
	s_and_saveexec_b64 s[20:21], vcc
	s_xor_b64 s[20:21], exec, s[20:21]
; %bb.1169:
	s_movk_i32 s22, 0x80
	v_cmp_ne_u16_e32 vcc, s22, v7
	s_and_b64 s[22:23], vcc, exec
; %bb.1170:
	s_andn2_saveexec_b64 s[20:21], s[20:21]
; %bb.1171:
	v_cmp_ne_u16_e32 vcc, 0, v7
	s_andn2_b64 s[22:23], s[22:23], exec
	s_and_b64 s[24:25], vcc, exec
	s_or_b64 s[22:23], s[22:23], s[24:25]
; %bb.1172:
	s_or_b64 exec, exec, s[20:21]
	v_mov_b32_e32 v2, 0
	v_mov_b32_e32 v3, 0
	s_and_saveexec_b64 s[20:21], s[22:23]
	s_cbranch_execz .LBB371_1174
; %bb.1173:
	v_and_b32_e32 v3, 0xffff, v7
	v_lshlrev_b32_e32 v2, 24, v7
	v_and_b32_e32 v7, 7, v3
	v_ffbh_u32_e32 v9, v7
	v_min_u32_e32 v9, 32, v9
	v_subrev_u32_e32 v11, 28, v9
	v_bfe_u32 v8, v3, 3, 4
	v_lshlrev_b32_e32 v3, v11, v3
	v_sub_u32_e32 v9, 29, v9
	v_and_b32_e32 v3, 7, v3
	v_cmp_eq_u32_e32 vcc, 0, v8
	v_cndmask_b32_e32 v8, v8, v9, vcc
	v_cndmask_b32_e32 v3, v7, v3, vcc
	v_mov_b32_e32 v7, 0x3b800000
	v_lshlrev_b32_e32 v3, 20, v3
	v_and_b32_e32 v2, 0x80000000, v2
	v_lshl_add_u32 v7, v8, 23, v7
	v_or3_b32 v2, v2, v7, v3
	v_trunc_f32_e32 v2, v2
	v_mul_f32_e32 v3, 0x2f800000, v2
	v_floor_f32_e32 v3, v3
	v_fmac_f32_e32 v2, 0xcf800000, v3
	v_cvt_u32_f32_e32 v2, v2
	v_cvt_u32_f32_e32 v3, v3
.LBB371_1174:
	s_or_b64 exec, exec, s[20:21]
.LBB371_1175:
	s_mov_b64 s[20:21], -1
.LBB371_1176:
	s_branch .LBB371_1205
.LBB371_1177:
	s_cmp_gt_i32 s15, 22
	s_cbranch_scc0 .LBB371_1187
; %bb.1178:
	s_cmp_lt_i32 s15, 24
	s_cbranch_scc1 .LBB371_1188
; %bb.1179:
	s_cmp_gt_i32 s15, 24
	s_cbranch_scc0 .LBB371_1189
; %bb.1180:
	global_load_ubyte v7, v[4:5], off
	s_movk_i32 s4, 0x7f
	s_mov_b64 s[20:21], 0
	s_waitcnt vmcnt(0)
	v_cmp_lt_i16_e32 vcc, s4, v7
	s_and_saveexec_b64 s[4:5], vcc
	s_xor_b64 s[4:5], exec, s[4:5]
; %bb.1181:
	s_movk_i32 s20, 0x80
	v_cmp_ne_u16_e32 vcc, s20, v7
	s_and_b64 s[20:21], vcc, exec
; %bb.1182:
	s_andn2_saveexec_b64 s[4:5], s[4:5]
; %bb.1183:
	v_cmp_ne_u16_e32 vcc, 0, v7
	s_andn2_b64 s[20:21], s[20:21], exec
	s_and_b64 s[22:23], vcc, exec
	s_or_b64 s[20:21], s[20:21], s[22:23]
; %bb.1184:
	s_or_b64 exec, exec, s[4:5]
	v_mov_b32_e32 v2, 0
	v_mov_b32_e32 v3, 0
	s_and_saveexec_b64 s[4:5], s[20:21]
	s_cbranch_execz .LBB371_1186
; %bb.1185:
	v_and_b32_e32 v3, 0xffff, v7
	v_lshlrev_b32_e32 v2, 24, v7
	v_and_b32_e32 v7, 3, v3
	v_ffbh_u32_e32 v9, v7
	v_min_u32_e32 v9, 32, v9
	v_subrev_u32_e32 v11, 29, v9
	v_bfe_u32 v8, v3, 2, 5
	v_lshlrev_b32_e32 v3, v11, v3
	v_sub_u32_e32 v9, 30, v9
	v_and_b32_e32 v3, 3, v3
	v_cmp_eq_u32_e32 vcc, 0, v8
	v_cndmask_b32_e32 v8, v8, v9, vcc
	v_cndmask_b32_e32 v3, v7, v3, vcc
	v_mov_b32_e32 v7, 0x37800000
	v_lshlrev_b32_e32 v3, 21, v3
	v_and_b32_e32 v2, 0x80000000, v2
	v_lshl_add_u32 v7, v8, 23, v7
	v_or3_b32 v2, v2, v7, v3
	v_trunc_f32_e32 v2, v2
	v_mul_f32_e32 v3, 0x2f800000, v2
	v_floor_f32_e32 v3, v3
	v_fmac_f32_e32 v2, 0xcf800000, v3
	v_cvt_u32_f32_e32 v2, v2
	v_cvt_u32_f32_e32 v3, v3
.LBB371_1186:
	s_or_b64 exec, exec, s[4:5]
	s_mov_b64 s[4:5], 0
	s_branch .LBB371_1190
.LBB371_1187:
	s_mov_b64 s[4:5], -1
                                        ; implicit-def: $vgpr2_vgpr3
	s_branch .LBB371_1196
.LBB371_1188:
	s_mov_b64 s[4:5], -1
                                        ; implicit-def: $vgpr2_vgpr3
	s_branch .LBB371_1193
.LBB371_1189:
	s_mov_b64 s[4:5], -1
                                        ; implicit-def: $vgpr2_vgpr3
.LBB371_1190:
	s_and_b64 vcc, exec, s[4:5]
	s_cbranch_vccz .LBB371_1192
; %bb.1191:
	global_load_ubyte v2, v[4:5], off
	s_mov_b32 s4, 0x7f800000
	s_brev_b32 s5, 1
	s_waitcnt vmcnt(0)
	v_lshlrev_b32_e32 v2, 24, v2
	v_and_b32_e32 v3, 0x7f000000, v2
	v_ffbh_u32_e32 v7, v3
	v_min_u32_e32 v7, 32, v7
	v_sub_u32_e64 v7, v7, 4 clamp
	v_lshlrev_b32_e32 v9, v7, v3
	v_lshlrev_b32_e32 v7, 23, v7
	v_lshrrev_b32_e32 v9, 4, v9
	v_add_u32_e32 v8, 0x1000000, v3
	v_sub_u32_e32 v7, v9, v7
	v_ashrrev_i32_e32 v8, 8, v8
	v_add_u32_e32 v7, 0x3c000000, v7
	v_and_or_b32 v7, v8, s4, v7
	v_cmp_ne_u32_e32 vcc, 0, v3
	v_cndmask_b32_e32 v3, 0, v7, vcc
	v_and_or_b32 v2, v2, s5, v3
	v_trunc_f32_e32 v2, v2
	v_mul_f32_e32 v3, 0x2f800000, v2
	v_floor_f32_e32 v3, v3
	v_fmac_f32_e32 v2, 0xcf800000, v3
	v_cvt_u32_f32_e32 v2, v2
	v_cvt_u32_f32_e32 v3, v3
.LBB371_1192:
	s_mov_b64 s[4:5], 0
.LBB371_1193:
	s_andn2_b64 vcc, exec, s[4:5]
	s_cbranch_vccnz .LBB371_1195
; %bb.1194:
	global_load_ubyte v2, v[4:5], off
	s_movk_i32 s4, 0x7f00
	s_brev_b32 s5, 16
	s_brev_b32 s20, 1
	s_waitcnt vmcnt(0)
	v_lshlrev_b16_e32 v3, 8, v2
	v_lshlrev_b32_e32 v2, 25, v2
	v_lshrrev_b32_e32 v7, 4, v2
	v_and_or_b32 v8, v3, s4, 0.5
	v_or_b32_e32 v7, 0x70000000, v7
	v_add_f32_e32 v8, -0.5, v8
	v_mul_f32_e32 v7, 0x7800000, v7
	v_cmp_gt_u32_e32 vcc, s5, v2
	v_bfe_i32 v3, v3, 0, 16
	v_cndmask_b32_e32 v2, v7, v8, vcc
	v_and_or_b32 v2, v3, s20, v2
	v_trunc_f32_e32 v2, v2
	v_mul_f32_e32 v3, 0x2f800000, v2
	v_floor_f32_e32 v3, v3
	v_fmac_f32_e32 v2, 0xcf800000, v3
	v_cvt_u32_f32_e32 v2, v2
	v_cvt_u32_f32_e32 v3, v3
.LBB371_1195:
	s_mov_b64 s[4:5], 0
	s_mov_b64 s[20:21], -1
.LBB371_1196:
	s_andn2_b64 vcc, exec, s[4:5]
	s_mov_b64 s[4:5], 0
	s_cbranch_vccnz .LBB371_1205
; %bb.1197:
	s_cmp_gt_i32 s15, 14
	s_cbranch_scc0 .LBB371_1200
; %bb.1198:
	s_cmp_eq_u32 s15, 15
	s_cbranch_scc0 .LBB371_1201
; %bb.1199:
	global_load_ushort v2, v[4:5], off
	s_mov_b64 s[0:1], 0
	s_mov_b64 s[20:21], -1
	s_waitcnt vmcnt(0)
	v_lshlrev_b32_e32 v2, 16, v2
	v_trunc_f32_e32 v2, v2
	v_mul_f32_e32 v3, 0x2f800000, v2
	v_floor_f32_e32 v3, v3
	v_fmac_f32_e32 v2, 0xcf800000, v3
	v_cvt_u32_f32_e32 v2, v2
	v_cvt_u32_f32_e32 v3, v3
	s_branch .LBB371_1202
.LBB371_1200:
	s_mov_b64 s[22:23], -1
                                        ; implicit-def: $vgpr2_vgpr3
	s_branch .LBB371_1203
.LBB371_1201:
	s_mov_b64 s[0:1], -1
                                        ; implicit-def: $vgpr2_vgpr3
.LBB371_1202:
	s_mov_b64 s[22:23], 0
.LBB371_1203:
	s_and_b64 vcc, exec, s[22:23]
	s_cbranch_vccz .LBB371_1205
; %bb.1204:
	s_cmp_lg_u32 s15, 11
	s_mov_b64 s[4:5], -1
	s_cselect_b64 s[0:1], -1, 0
.LBB371_1205:
	s_and_b64 vcc, exec, s[0:1]
	s_cbranch_vccnz .LBB371_1268
; %bb.1206:
	s_andn2_b64 vcc, exec, s[4:5]
	s_cbranch_vccnz .LBB371_1208
.LBB371_1207:
	global_load_ubyte v2, v[4:5], off
	s_mov_b32 s0, 0
	s_waitcnt vmcnt(1)
	v_mov_b32_e32 v3, s0
	s_mov_b64 s[20:21], -1
	s_waitcnt vmcnt(0)
	v_cmp_ne_u16_e32 vcc, 0, v2
	v_cndmask_b32_e64 v2, 0, 1, vcc
.LBB371_1208:
	s_branch .LBB371_1139
.LBB371_1209:
	s_cmp_lt_i32 s15, 5
	s_cbranch_scc1 .LBB371_1214
; %bb.1210:
	s_cmp_lt_i32 s15, 8
	s_cbranch_scc1 .LBB371_1215
; %bb.1211:
	;; [unrolled: 3-line block ×3, first 2 shown]
	s_cmp_gt_i32 s15, 9
	s_cbranch_scc0 .LBB371_1217
; %bb.1213:
	global_load_dwordx2 v[2:3], v[4:5], off
	s_movk_i32 s0, 0xffe0
	s_waitcnt vmcnt(0)
	v_trunc_f64_e32 v[2:3], v[2:3]
	v_ldexp_f64 v[7:8], v[2:3], s0
	s_mov_b32 s0, 0
	s_mov_b32 s1, 0xc1f00000
	v_floor_f64_e32 v[7:8], v[7:8]
	v_fma_f64 v[11:12], v[7:8], s[0:1], v[2:3]
	v_cvt_u32_f64_e32 v3, v[7:8]
	s_mov_b64 s[0:1], 0
	v_cvt_u32_f64_e32 v2, v[11:12]
	s_branch .LBB371_1218
.LBB371_1214:
                                        ; implicit-def: $vgpr2_vgpr3
	s_branch .LBB371_1236
.LBB371_1215:
	s_mov_b64 s[0:1], -1
                                        ; implicit-def: $vgpr2_vgpr3
	s_branch .LBB371_1224
.LBB371_1216:
	s_mov_b64 s[0:1], -1
                                        ; implicit-def: $vgpr2_vgpr3
	s_branch .LBB371_1221
.LBB371_1217:
	s_mov_b64 s[0:1], -1
                                        ; implicit-def: $vgpr2_vgpr3
.LBB371_1218:
	s_andn2_b64 vcc, exec, s[0:1]
	s_cbranch_vccnz .LBB371_1220
; %bb.1219:
	global_load_dword v2, v[4:5], off
	s_waitcnt vmcnt(0)
	v_trunc_f32_e32 v2, v2
	v_mul_f32_e32 v3, 0x2f800000, v2
	v_floor_f32_e32 v7, v3
	v_fmac_f32_e32 v2, 0xcf800000, v7
	v_cvt_u32_f32_e32 v3, v7
	v_cvt_u32_f32_e32 v2, v2
.LBB371_1220:
	s_mov_b64 s[0:1], 0
.LBB371_1221:
	s_andn2_b64 vcc, exec, s[0:1]
	s_cbranch_vccnz .LBB371_1223
; %bb.1222:
	global_load_dword v2, v[4:5], off
	s_waitcnt vmcnt(1)
	v_mov_b32_e32 v3, 0
	s_waitcnt vmcnt(0)
	v_cvt_f32_f16_e32 v2, v2
	v_cvt_u32_f32_e32 v2, v2
.LBB371_1223:
	s_mov_b64 s[0:1], 0
.LBB371_1224:
	s_andn2_b64 vcc, exec, s[0:1]
	s_cbranch_vccnz .LBB371_1235
; %bb.1225:
	s_cmp_lt_i32 s15, 6
	s_cbranch_scc1 .LBB371_1228
; %bb.1226:
	s_cmp_gt_i32 s15, 6
	s_cbranch_scc0 .LBB371_1229
; %bb.1227:
	global_load_dwordx2 v[2:3], v[4:5], off
	s_movk_i32 s0, 0xffe0
	s_waitcnt vmcnt(0)
	v_trunc_f64_e32 v[2:3], v[2:3]
	v_ldexp_f64 v[7:8], v[2:3], s0
	s_mov_b32 s0, 0
	s_mov_b32 s1, 0xc1f00000
	v_floor_f64_e32 v[7:8], v[7:8]
	v_fma_f64 v[11:12], v[7:8], s[0:1], v[2:3]
	v_cvt_u32_f64_e32 v3, v[7:8]
	s_mov_b64 s[0:1], 0
	v_cvt_u32_f64_e32 v2, v[11:12]
	s_branch .LBB371_1230
.LBB371_1228:
	s_mov_b64 s[0:1], -1
                                        ; implicit-def: $vgpr2_vgpr3
	s_branch .LBB371_1233
.LBB371_1229:
	s_mov_b64 s[0:1], -1
                                        ; implicit-def: $vgpr2_vgpr3
.LBB371_1230:
	s_andn2_b64 vcc, exec, s[0:1]
	s_cbranch_vccnz .LBB371_1232
; %bb.1231:
	global_load_dword v2, v[4:5], off
	s_waitcnt vmcnt(0)
	v_trunc_f32_e32 v2, v2
	v_mul_f32_e32 v3, 0x2f800000, v2
	v_floor_f32_e32 v7, v3
	v_fmac_f32_e32 v2, 0xcf800000, v7
	v_cvt_u32_f32_e32 v3, v7
	v_cvt_u32_f32_e32 v2, v2
.LBB371_1232:
	s_mov_b64 s[0:1], 0
.LBB371_1233:
	s_andn2_b64 vcc, exec, s[0:1]
	s_cbranch_vccnz .LBB371_1235
; %bb.1234:
	global_load_ushort v2, v[4:5], off
	s_waitcnt vmcnt(1)
	v_mov_b32_e32 v3, 0
	s_waitcnt vmcnt(0)
	v_cvt_f32_f16_e32 v2, v2
	v_cvt_u32_f32_e32 v2, v2
.LBB371_1235:
	s_cbranch_execnz .LBB371_1255
.LBB371_1236:
	s_cmp_lt_i32 s15, 2
	s_cbranch_scc1 .LBB371_1240
; %bb.1237:
	s_cmp_lt_i32 s15, 3
	s_cbranch_scc1 .LBB371_1241
; %bb.1238:
	s_cmp_gt_i32 s15, 3
	s_cbranch_scc0 .LBB371_1242
; %bb.1239:
	global_load_dwordx2 v[2:3], v[4:5], off
	s_mov_b64 s[0:1], 0
	s_branch .LBB371_1243
.LBB371_1240:
	s_mov_b64 s[0:1], -1
                                        ; implicit-def: $vgpr2_vgpr3
	s_branch .LBB371_1249
.LBB371_1241:
	s_mov_b64 s[0:1], -1
                                        ; implicit-def: $vgpr2_vgpr3
	s_branch .LBB371_1246
.LBB371_1242:
	s_mov_b64 s[0:1], -1
                                        ; implicit-def: $vgpr2_vgpr3
.LBB371_1243:
	s_andn2_b64 vcc, exec, s[0:1]
	s_cbranch_vccnz .LBB371_1245
; %bb.1244:
	global_load_dword v2, v[4:5], off
	s_waitcnt vmcnt(0)
	v_ashrrev_i32_e32 v3, 31, v2
.LBB371_1245:
	s_mov_b64 s[0:1], 0
.LBB371_1246:
	s_andn2_b64 vcc, exec, s[0:1]
	s_cbranch_vccnz .LBB371_1248
; %bb.1247:
	global_load_ushort v2, v[4:5], off
	s_waitcnt vmcnt(0)
	v_bfe_i32 v2, v2, 0, 16
	v_ashrrev_i32_e32 v3, 31, v2
.LBB371_1248:
	s_mov_b64 s[0:1], 0
.LBB371_1249:
	s_andn2_b64 vcc, exec, s[0:1]
	s_cbranch_vccnz .LBB371_1255
; %bb.1250:
	s_cmp_gt_i32 s15, 0
	s_cbranch_scc0 .LBB371_1252
; %bb.1251:
	global_load_sbyte v2, v[4:5], off
	s_mov_b64 s[0:1], 0
	s_waitcnt vmcnt(0)
	v_bfe_i32 v2, v2, 0, 16
	v_ashrrev_i32_e32 v3, 31, v2
	s_branch .LBB371_1253
.LBB371_1252:
	s_mov_b64 s[0:1], -1
                                        ; implicit-def: $vgpr2_vgpr3
.LBB371_1253:
	s_andn2_b64 vcc, exec, s[0:1]
	s_cbranch_vccnz .LBB371_1255
; %bb.1254:
	global_load_ubyte v2, v[4:5], off
	s_mov_b32 s0, 0
	s_waitcnt vmcnt(1)
	v_mov_b32_e32 v3, s0
	s_waitcnt vmcnt(0)
	v_and_b32_e32 v2, 0xffff, v2
.LBB371_1255:
.LBB371_1256:
	v_add_u32_e32 v8, s13, v6
	v_ashrrev_i32_e32 v4, 31, v8
	v_mov_b32_e32 v5, s11
	v_add_co_u32_e32 v6, vcc, s10, v8
	s_cmp_lt_i32 s15, 11
	v_addc_co_u32_e32 v7, vcc, v5, v4, vcc
	s_cbranch_scc1 .LBB371_1263
; %bb.1257:
	s_cmp_gt_i32 s15, 25
	s_mov_b64 s[4:5], 0
	s_cbranch_scc0 .LBB371_1265
; %bb.1258:
	s_cmp_gt_i32 s15, 28
	s_cbranch_scc0 .LBB371_1266
; %bb.1259:
	s_cmp_gt_i32 s15, 43
	;; [unrolled: 3-line block ×3, first 2 shown]
	s_cbranch_scc0 .LBB371_1269
; %bb.1261:
	s_cmp_eq_u32 s15, 46
	s_mov_b64 s[22:23], 0
	s_cbranch_scc0 .LBB371_1270
; %bb.1262:
	global_load_dword v4, v[6:7], off
	s_mov_b64 s[0:1], 0
	s_mov_b64 s[20:21], -1
	s_waitcnt vmcnt(0)
	v_lshlrev_b32_e32 v4, 16, v4
	v_trunc_f32_e32 v4, v4
	v_mul_f32_e32 v5, 0x2f800000, v4
	v_floor_f32_e32 v5, v5
	v_fmac_f32_e32 v4, 0xcf800000, v5
	v_cvt_u32_f32_e32 v4, v4
	v_cvt_u32_f32_e32 v5, v5
	s_branch .LBB371_1271
.LBB371_1263:
	s_mov_b64 s[20:21], 0
                                        ; implicit-def: $vgpr4_vgpr5
	s_cbranch_execnz .LBB371_1333
.LBB371_1264:
	s_andn2_b64 vcc, exec, s[20:21]
	s_cbranch_vccnz .LBB371_1940
	s_branch .LBB371_1381
.LBB371_1265:
	s_mov_b64 s[22:23], -1
	s_mov_b64 s[20:21], 0
	s_mov_b64 s[0:1], 0
                                        ; implicit-def: $vgpr4_vgpr5
	s_branch .LBB371_1300
.LBB371_1266:
	s_mov_b64 s[22:23], -1
	s_mov_b64 s[20:21], 0
	s_mov_b64 s[0:1], 0
                                        ; implicit-def: $vgpr4_vgpr5
	s_branch .LBB371_1281
.LBB371_1267:
	s_mov_b64 s[22:23], -1
	s_mov_b64 s[20:21], 0
	s_mov_b64 s[0:1], 0
                                        ; implicit-def: $vgpr4_vgpr5
	s_branch .LBB371_1276
.LBB371_1268:
	s_trap 2
	s_or_b64 s[18:19], s[18:19], exec
	s_cbranch_execz .LBB371_1207
	s_branch .LBB371_1208
.LBB371_1269:
	s_mov_b64 s[22:23], -1
	s_mov_b64 s[20:21], 0
	s_mov_b64 s[0:1], 0
                                        ; implicit-def: $vgpr4_vgpr5
	s_branch .LBB371_1271
.LBB371_1270:
	s_mov_b64 s[0:1], -1
                                        ; implicit-def: $vgpr4_vgpr5
	s_mov_b64 s[20:21], 0
.LBB371_1271:
	s_and_b64 vcc, exec, s[22:23]
	s_cbranch_vccz .LBB371_1275
; %bb.1272:
	s_cmp_eq_u32 s15, 44
	s_cbranch_scc0 .LBB371_1274
; %bb.1273:
	global_load_ubyte v4, v[6:7], off
	s_mov_b64 s[0:1], 0
	s_mov_b64 s[20:21], -1
	s_waitcnt vmcnt(0)
	v_lshlrev_b32_e32 v5, 23, v4
	v_trunc_f32_e32 v5, v5
	v_mul_f32_e32 v9, 0x2f800000, v5
	v_floor_f32_e32 v9, v9
	v_fmac_f32_e32 v5, 0xcf800000, v9
	v_cvt_u32_f32_e32 v9, v9
	v_cvt_u32_f32_e32 v11, v5
	v_cmp_ne_u32_e32 vcc, 0, v4
	v_cndmask_b32_e32 v5, 0, v9, vcc
	v_cndmask_b32_e32 v4, 0, v11, vcc
	s_branch .LBB371_1275
.LBB371_1274:
	s_mov_b64 s[0:1], -1
                                        ; implicit-def: $vgpr4_vgpr5
.LBB371_1275:
	s_mov_b64 s[22:23], 0
.LBB371_1276:
	s_and_b64 vcc, exec, s[22:23]
	s_cbranch_vccz .LBB371_1280
; %bb.1277:
	s_cmp_eq_u32 s15, 29
	s_cbranch_scc0 .LBB371_1279
; %bb.1278:
	global_load_dwordx2 v[4:5], v[6:7], off
	s_mov_b64 s[0:1], 0
	s_mov_b64 s[20:21], -1
	s_branch .LBB371_1280
.LBB371_1279:
	s_mov_b64 s[0:1], -1
                                        ; implicit-def: $vgpr4_vgpr5
.LBB371_1280:
	s_mov_b64 s[22:23], 0
.LBB371_1281:
	s_and_b64 vcc, exec, s[22:23]
	s_cbranch_vccz .LBB371_1299
; %bb.1282:
	s_cmp_lt_i32 s15, 27
	s_cbranch_scc1 .LBB371_1285
; %bb.1283:
	s_cmp_gt_i32 s15, 27
	s_cbranch_scc0 .LBB371_1286
; %bb.1284:
	global_load_dword v4, v[6:7], off
	s_waitcnt vmcnt(1)
	v_mov_b32_e32 v5, 0
	s_mov_b64 s[20:21], 0
	s_branch .LBB371_1287
.LBB371_1285:
	s_mov_b64 s[20:21], -1
                                        ; implicit-def: $vgpr4_vgpr5
	s_branch .LBB371_1290
.LBB371_1286:
	s_mov_b64 s[20:21], -1
                                        ; implicit-def: $vgpr4_vgpr5
.LBB371_1287:
	s_andn2_b64 vcc, exec, s[20:21]
	s_cbranch_vccnz .LBB371_1289
; %bb.1288:
	global_load_ushort v4, v[6:7], off
	s_mov_b32 s20, 0
	s_waitcnt vmcnt(1)
	v_mov_b32_e32 v5, s20
	s_waitcnt vmcnt(0)
	v_and_b32_e32 v4, 0xffff, v4
.LBB371_1289:
	s_mov_b64 s[20:21], 0
.LBB371_1290:
	s_andn2_b64 vcc, exec, s[20:21]
	s_cbranch_vccnz .LBB371_1298
; %bb.1291:
	global_load_ubyte v9, v[6:7], off
	s_movk_i32 s20, 0x7f
	s_mov_b64 s[22:23], 0
	s_waitcnt vmcnt(0)
	v_cmp_lt_i16_e32 vcc, s20, v9
	s_and_saveexec_b64 s[20:21], vcc
	s_xor_b64 s[20:21], exec, s[20:21]
; %bb.1292:
	s_movk_i32 s22, 0x80
	v_cmp_ne_u16_e32 vcc, s22, v9
	s_and_b64 s[22:23], vcc, exec
; %bb.1293:
	s_andn2_saveexec_b64 s[20:21], s[20:21]
; %bb.1294:
	v_cmp_ne_u16_e32 vcc, 0, v9
	s_andn2_b64 s[22:23], s[22:23], exec
	s_and_b64 s[24:25], vcc, exec
	s_or_b64 s[22:23], s[22:23], s[24:25]
; %bb.1295:
	s_or_b64 exec, exec, s[20:21]
	v_mov_b32_e32 v4, 0
	v_mov_b32_e32 v5, 0
	s_and_saveexec_b64 s[20:21], s[22:23]
	s_cbranch_execz .LBB371_1297
; %bb.1296:
	v_and_b32_e32 v5, 0xffff, v9
	v_lshlrev_b32_e32 v4, 24, v9
	v_and_b32_e32 v9, 7, v5
	v_ffbh_u32_e32 v12, v9
	v_min_u32_e32 v12, 32, v12
	v_subrev_u32_e32 v13, 28, v12
	v_bfe_u32 v11, v5, 3, 4
	v_lshlrev_b32_e32 v5, v13, v5
	v_sub_u32_e32 v12, 29, v12
	v_and_b32_e32 v5, 7, v5
	v_cmp_eq_u32_e32 vcc, 0, v11
	v_cndmask_b32_e32 v11, v11, v12, vcc
	v_cndmask_b32_e32 v5, v9, v5, vcc
	v_mov_b32_e32 v9, 0x3b800000
	v_lshlrev_b32_e32 v5, 20, v5
	v_and_b32_e32 v4, 0x80000000, v4
	v_lshl_add_u32 v9, v11, 23, v9
	v_or3_b32 v4, v4, v9, v5
	v_trunc_f32_e32 v4, v4
	v_mul_f32_e32 v5, 0x2f800000, v4
	v_floor_f32_e32 v5, v5
	v_fmac_f32_e32 v4, 0xcf800000, v5
	v_cvt_u32_f32_e32 v4, v4
	v_cvt_u32_f32_e32 v5, v5
.LBB371_1297:
	s_or_b64 exec, exec, s[20:21]
.LBB371_1298:
	s_mov_b64 s[20:21], -1
.LBB371_1299:
	s_mov_b64 s[22:23], 0
.LBB371_1300:
	s_and_b64 vcc, exec, s[22:23]
	s_cbranch_vccz .LBB371_1329
; %bb.1301:
	s_cmp_gt_i32 s15, 22
	s_cbranch_scc0 .LBB371_1311
; %bb.1302:
	s_cmp_lt_i32 s15, 24
	s_cbranch_scc1 .LBB371_1312
; %bb.1303:
	s_cmp_gt_i32 s15, 24
	s_cbranch_scc0 .LBB371_1313
; %bb.1304:
	global_load_ubyte v9, v[6:7], off
	s_movk_i32 s4, 0x7f
	s_mov_b64 s[20:21], 0
	s_waitcnt vmcnt(0)
	v_cmp_lt_i16_e32 vcc, s4, v9
	s_and_saveexec_b64 s[4:5], vcc
	s_xor_b64 s[4:5], exec, s[4:5]
; %bb.1305:
	s_movk_i32 s20, 0x80
	v_cmp_ne_u16_e32 vcc, s20, v9
	s_and_b64 s[20:21], vcc, exec
; %bb.1306:
	s_andn2_saveexec_b64 s[4:5], s[4:5]
; %bb.1307:
	v_cmp_ne_u16_e32 vcc, 0, v9
	s_andn2_b64 s[20:21], s[20:21], exec
	s_and_b64 s[22:23], vcc, exec
	s_or_b64 s[20:21], s[20:21], s[22:23]
; %bb.1308:
	s_or_b64 exec, exec, s[4:5]
	v_mov_b32_e32 v4, 0
	v_mov_b32_e32 v5, 0
	s_and_saveexec_b64 s[4:5], s[20:21]
	s_cbranch_execz .LBB371_1310
; %bb.1309:
	v_and_b32_e32 v5, 0xffff, v9
	v_lshlrev_b32_e32 v4, 24, v9
	v_and_b32_e32 v9, 3, v5
	v_ffbh_u32_e32 v12, v9
	v_min_u32_e32 v12, 32, v12
	v_subrev_u32_e32 v13, 29, v12
	v_bfe_u32 v11, v5, 2, 5
	v_lshlrev_b32_e32 v5, v13, v5
	v_sub_u32_e32 v12, 30, v12
	v_and_b32_e32 v5, 3, v5
	v_cmp_eq_u32_e32 vcc, 0, v11
	v_cndmask_b32_e32 v11, v11, v12, vcc
	v_cndmask_b32_e32 v5, v9, v5, vcc
	v_mov_b32_e32 v9, 0x37800000
	v_lshlrev_b32_e32 v5, 21, v5
	v_and_b32_e32 v4, 0x80000000, v4
	v_lshl_add_u32 v9, v11, 23, v9
	v_or3_b32 v4, v4, v9, v5
	v_trunc_f32_e32 v4, v4
	v_mul_f32_e32 v5, 0x2f800000, v4
	v_floor_f32_e32 v5, v5
	v_fmac_f32_e32 v4, 0xcf800000, v5
	v_cvt_u32_f32_e32 v4, v4
	v_cvt_u32_f32_e32 v5, v5
.LBB371_1310:
	s_or_b64 exec, exec, s[4:5]
	s_mov_b64 s[4:5], 0
	s_branch .LBB371_1314
.LBB371_1311:
	s_mov_b64 s[4:5], -1
                                        ; implicit-def: $vgpr4_vgpr5
	s_branch .LBB371_1320
.LBB371_1312:
	s_mov_b64 s[4:5], -1
                                        ; implicit-def: $vgpr4_vgpr5
	s_branch .LBB371_1317
.LBB371_1313:
	s_mov_b64 s[4:5], -1
                                        ; implicit-def: $vgpr4_vgpr5
.LBB371_1314:
	s_and_b64 vcc, exec, s[4:5]
	s_cbranch_vccz .LBB371_1316
; %bb.1315:
	global_load_ubyte v4, v[6:7], off
	s_mov_b32 s4, 0x7f800000
	s_brev_b32 s5, 1
	s_waitcnt vmcnt(0)
	v_lshlrev_b32_e32 v4, 24, v4
	v_and_b32_e32 v5, 0x7f000000, v4
	v_ffbh_u32_e32 v9, v5
	v_min_u32_e32 v9, 32, v9
	v_sub_u32_e64 v9, v9, 4 clamp
	v_lshlrev_b32_e32 v12, v9, v5
	v_lshlrev_b32_e32 v9, 23, v9
	v_lshrrev_b32_e32 v12, 4, v12
	v_add_u32_e32 v11, 0x1000000, v5
	v_sub_u32_e32 v9, v12, v9
	v_ashrrev_i32_e32 v11, 8, v11
	v_add_u32_e32 v9, 0x3c000000, v9
	v_and_or_b32 v9, v11, s4, v9
	v_cmp_ne_u32_e32 vcc, 0, v5
	v_cndmask_b32_e32 v5, 0, v9, vcc
	v_and_or_b32 v4, v4, s5, v5
	v_trunc_f32_e32 v4, v4
	v_mul_f32_e32 v5, 0x2f800000, v4
	v_floor_f32_e32 v5, v5
	v_fmac_f32_e32 v4, 0xcf800000, v5
	v_cvt_u32_f32_e32 v4, v4
	v_cvt_u32_f32_e32 v5, v5
.LBB371_1316:
	s_mov_b64 s[4:5], 0
.LBB371_1317:
	s_andn2_b64 vcc, exec, s[4:5]
	s_cbranch_vccnz .LBB371_1319
; %bb.1318:
	global_load_ubyte v4, v[6:7], off
	s_movk_i32 s4, 0x7f00
	s_brev_b32 s5, 16
	s_brev_b32 s20, 1
	s_waitcnt vmcnt(0)
	v_lshlrev_b16_e32 v5, 8, v4
	v_lshlrev_b32_e32 v4, 25, v4
	v_lshrrev_b32_e32 v9, 4, v4
	v_and_or_b32 v11, v5, s4, 0.5
	v_or_b32_e32 v9, 0x70000000, v9
	v_add_f32_e32 v11, -0.5, v11
	v_mul_f32_e32 v9, 0x7800000, v9
	v_cmp_gt_u32_e32 vcc, s5, v4
	v_bfe_i32 v5, v5, 0, 16
	v_cndmask_b32_e32 v4, v9, v11, vcc
	v_and_or_b32 v4, v5, s20, v4
	v_trunc_f32_e32 v4, v4
	v_mul_f32_e32 v5, 0x2f800000, v4
	v_floor_f32_e32 v5, v5
	v_fmac_f32_e32 v4, 0xcf800000, v5
	v_cvt_u32_f32_e32 v4, v4
	v_cvt_u32_f32_e32 v5, v5
.LBB371_1319:
	s_mov_b64 s[4:5], 0
	s_mov_b64 s[20:21], -1
.LBB371_1320:
	s_andn2_b64 vcc, exec, s[4:5]
	s_mov_b64 s[4:5], 0
	s_cbranch_vccnz .LBB371_1329
; %bb.1321:
	s_cmp_gt_i32 s15, 14
	s_cbranch_scc0 .LBB371_1324
; %bb.1322:
	s_cmp_eq_u32 s15, 15
	s_cbranch_scc0 .LBB371_1325
; %bb.1323:
	global_load_ushort v4, v[6:7], off
	s_mov_b64 s[0:1], 0
	s_mov_b64 s[20:21], -1
	s_waitcnt vmcnt(0)
	v_lshlrev_b32_e32 v4, 16, v4
	v_trunc_f32_e32 v4, v4
	v_mul_f32_e32 v5, 0x2f800000, v4
	v_floor_f32_e32 v5, v5
	v_fmac_f32_e32 v4, 0xcf800000, v5
	v_cvt_u32_f32_e32 v4, v4
	v_cvt_u32_f32_e32 v5, v5
	s_branch .LBB371_1326
.LBB371_1324:
	s_mov_b64 s[22:23], -1
                                        ; implicit-def: $vgpr4_vgpr5
	s_branch .LBB371_1327
.LBB371_1325:
	s_mov_b64 s[0:1], -1
                                        ; implicit-def: $vgpr4_vgpr5
.LBB371_1326:
	s_mov_b64 s[22:23], 0
.LBB371_1327:
	s_and_b64 vcc, exec, s[22:23]
	s_cbranch_vccz .LBB371_1329
; %bb.1328:
	s_cmp_lg_u32 s15, 11
	s_mov_b64 s[4:5], -1
	s_cselect_b64 s[0:1], -1, 0
.LBB371_1329:
	s_and_b64 vcc, exec, s[0:1]
	s_cbranch_vccnz .LBB371_1392
; %bb.1330:
	s_andn2_b64 vcc, exec, s[4:5]
	s_cbranch_vccnz .LBB371_1332
.LBB371_1331:
	global_load_ubyte v4, v[6:7], off
	s_mov_b32 s0, 0
	s_waitcnt vmcnt(1)
	v_mov_b32_e32 v5, s0
	s_mov_b64 s[20:21], -1
	s_waitcnt vmcnt(0)
	v_cmp_ne_u16_e32 vcc, 0, v4
	v_cndmask_b32_e64 v4, 0, 1, vcc
.LBB371_1332:
	s_branch .LBB371_1264
.LBB371_1333:
	s_cmp_lt_i32 s15, 5
	s_cbranch_scc1 .LBB371_1338
; %bb.1334:
	s_cmp_lt_i32 s15, 8
	s_cbranch_scc1 .LBB371_1339
; %bb.1335:
	;; [unrolled: 3-line block ×3, first 2 shown]
	s_cmp_gt_i32 s15, 9
	s_cbranch_scc0 .LBB371_1341
; %bb.1337:
	global_load_dwordx2 v[4:5], v[6:7], off
	s_movk_i32 s0, 0xffe0
	s_waitcnt vmcnt(0)
	v_trunc_f64_e32 v[4:5], v[4:5]
	v_ldexp_f64 v[11:12], v[4:5], s0
	s_mov_b32 s0, 0
	s_mov_b32 s1, 0xc1f00000
	v_floor_f64_e32 v[11:12], v[11:12]
	v_fma_f64 v[13:14], v[11:12], s[0:1], v[4:5]
	v_cvt_u32_f64_e32 v5, v[11:12]
	s_mov_b64 s[0:1], 0
	v_cvt_u32_f64_e32 v4, v[13:14]
	s_branch .LBB371_1342
.LBB371_1338:
	s_mov_b64 s[0:1], -1
                                        ; implicit-def: $vgpr4_vgpr5
	s_branch .LBB371_1360
.LBB371_1339:
	s_mov_b64 s[0:1], -1
                                        ; implicit-def: $vgpr4_vgpr5
	s_branch .LBB371_1348
.LBB371_1340:
	s_mov_b64 s[0:1], -1
                                        ; implicit-def: $vgpr4_vgpr5
	s_branch .LBB371_1345
.LBB371_1341:
	s_mov_b64 s[0:1], -1
                                        ; implicit-def: $vgpr4_vgpr5
.LBB371_1342:
	s_andn2_b64 vcc, exec, s[0:1]
	s_cbranch_vccnz .LBB371_1344
; %bb.1343:
	global_load_dword v4, v[6:7], off
	s_waitcnt vmcnt(0)
	v_trunc_f32_e32 v4, v4
	v_mul_f32_e32 v5, 0x2f800000, v4
	v_floor_f32_e32 v9, v5
	v_fmac_f32_e32 v4, 0xcf800000, v9
	v_cvt_u32_f32_e32 v5, v9
	v_cvt_u32_f32_e32 v4, v4
.LBB371_1344:
	s_mov_b64 s[0:1], 0
.LBB371_1345:
	s_andn2_b64 vcc, exec, s[0:1]
	s_cbranch_vccnz .LBB371_1347
; %bb.1346:
	global_load_dword v4, v[6:7], off
	s_waitcnt vmcnt(1)
	v_mov_b32_e32 v5, 0
	s_waitcnt vmcnt(0)
	v_cvt_f32_f16_e32 v4, v4
	v_cvt_u32_f32_e32 v4, v4
.LBB371_1347:
	s_mov_b64 s[0:1], 0
.LBB371_1348:
	s_andn2_b64 vcc, exec, s[0:1]
	s_cbranch_vccnz .LBB371_1359
; %bb.1349:
	s_cmp_lt_i32 s15, 6
	s_cbranch_scc1 .LBB371_1352
; %bb.1350:
	s_cmp_gt_i32 s15, 6
	s_cbranch_scc0 .LBB371_1353
; %bb.1351:
	global_load_dwordx2 v[4:5], v[6:7], off
	s_movk_i32 s0, 0xffe0
	s_waitcnt vmcnt(0)
	v_trunc_f64_e32 v[4:5], v[4:5]
	v_ldexp_f64 v[11:12], v[4:5], s0
	s_mov_b32 s0, 0
	s_mov_b32 s1, 0xc1f00000
	v_floor_f64_e32 v[11:12], v[11:12]
	v_fma_f64 v[13:14], v[11:12], s[0:1], v[4:5]
	v_cvt_u32_f64_e32 v5, v[11:12]
	s_mov_b64 s[0:1], 0
	v_cvt_u32_f64_e32 v4, v[13:14]
	s_branch .LBB371_1354
.LBB371_1352:
	s_mov_b64 s[0:1], -1
                                        ; implicit-def: $vgpr4_vgpr5
	s_branch .LBB371_1357
.LBB371_1353:
	s_mov_b64 s[0:1], -1
                                        ; implicit-def: $vgpr4_vgpr5
.LBB371_1354:
	s_andn2_b64 vcc, exec, s[0:1]
	s_cbranch_vccnz .LBB371_1356
; %bb.1355:
	global_load_dword v4, v[6:7], off
	s_waitcnt vmcnt(0)
	v_trunc_f32_e32 v4, v4
	v_mul_f32_e32 v5, 0x2f800000, v4
	v_floor_f32_e32 v9, v5
	v_fmac_f32_e32 v4, 0xcf800000, v9
	v_cvt_u32_f32_e32 v5, v9
	v_cvt_u32_f32_e32 v4, v4
.LBB371_1356:
	s_mov_b64 s[0:1], 0
.LBB371_1357:
	s_andn2_b64 vcc, exec, s[0:1]
	s_cbranch_vccnz .LBB371_1359
; %bb.1358:
	global_load_ushort v4, v[6:7], off
	s_waitcnt vmcnt(1)
	v_mov_b32_e32 v5, 0
	s_waitcnt vmcnt(0)
	v_cvt_f32_f16_e32 v4, v4
	v_cvt_u32_f32_e32 v4, v4
.LBB371_1359:
	s_mov_b64 s[0:1], 0
.LBB371_1360:
	s_andn2_b64 vcc, exec, s[0:1]
	s_cbranch_vccnz .LBB371_1380
; %bb.1361:
	s_cmp_lt_i32 s15, 2
	s_cbranch_scc1 .LBB371_1365
; %bb.1362:
	s_cmp_lt_i32 s15, 3
	s_cbranch_scc1 .LBB371_1366
; %bb.1363:
	s_cmp_gt_i32 s15, 3
	s_cbranch_scc0 .LBB371_1367
; %bb.1364:
	global_load_dwordx2 v[4:5], v[6:7], off
	s_mov_b64 s[0:1], 0
	s_branch .LBB371_1368
.LBB371_1365:
	s_mov_b64 s[0:1], -1
                                        ; implicit-def: $vgpr4_vgpr5
	s_branch .LBB371_1374
.LBB371_1366:
	s_mov_b64 s[0:1], -1
                                        ; implicit-def: $vgpr4_vgpr5
	s_branch .LBB371_1371
.LBB371_1367:
	s_mov_b64 s[0:1], -1
                                        ; implicit-def: $vgpr4_vgpr5
.LBB371_1368:
	s_andn2_b64 vcc, exec, s[0:1]
	s_cbranch_vccnz .LBB371_1370
; %bb.1369:
	global_load_dword v4, v[6:7], off
	s_waitcnt vmcnt(0)
	v_ashrrev_i32_e32 v5, 31, v4
.LBB371_1370:
	s_mov_b64 s[0:1], 0
.LBB371_1371:
	s_andn2_b64 vcc, exec, s[0:1]
	s_cbranch_vccnz .LBB371_1373
; %bb.1372:
	global_load_ushort v4, v[6:7], off
	s_waitcnt vmcnt(0)
	v_bfe_i32 v4, v4, 0, 16
	v_ashrrev_i32_e32 v5, 31, v4
.LBB371_1373:
	s_mov_b64 s[0:1], 0
.LBB371_1374:
	s_andn2_b64 vcc, exec, s[0:1]
	s_cbranch_vccnz .LBB371_1380
; %bb.1375:
	s_cmp_gt_i32 s15, 0
	s_cbranch_scc0 .LBB371_1377
; %bb.1376:
	global_load_sbyte v4, v[6:7], off
	s_mov_b64 s[0:1], 0
	s_waitcnt vmcnt(0)
	v_bfe_i32 v4, v4, 0, 16
	v_ashrrev_i32_e32 v5, 31, v4
	s_branch .LBB371_1378
.LBB371_1377:
	s_mov_b64 s[0:1], -1
                                        ; implicit-def: $vgpr4_vgpr5
.LBB371_1378:
	s_andn2_b64 vcc, exec, s[0:1]
	s_cbranch_vccnz .LBB371_1380
; %bb.1379:
	global_load_ubyte v4, v[6:7], off
	s_mov_b32 s0, 0
	s_waitcnt vmcnt(1)
	v_mov_b32_e32 v5, s0
	s_waitcnt vmcnt(0)
	v_and_b32_e32 v4, 0xffff, v4
.LBB371_1380:
.LBB371_1381:
	v_add_u32_e32 v6, s13, v8
	v_ashrrev_i32_e32 v7, 31, v6
	v_mov_b32_e32 v9, s11
	v_add_co_u32_e32 v8, vcc, s10, v6
	s_cmp_lt_i32 s15, 11
	v_addc_co_u32_e32 v9, vcc, v9, v7, vcc
	s_cbranch_scc1 .LBB371_1388
; %bb.1382:
	s_cmp_gt_i32 s15, 25
	s_mov_b64 s[4:5], 0
	s_cbranch_scc0 .LBB371_1389
; %bb.1383:
	s_cmp_gt_i32 s15, 28
	s_cbranch_scc0 .LBB371_1390
; %bb.1384:
	s_cmp_gt_i32 s15, 43
	s_cbranch_scc0 .LBB371_1391
; %bb.1385:
	s_cmp_gt_i32 s15, 45
	s_cbranch_scc0 .LBB371_1393
; %bb.1386:
	s_cmp_eq_u32 s15, 46
	s_mov_b64 s[20:21], 0
	s_cbranch_scc0 .LBB371_1394
; %bb.1387:
	global_load_dword v6, v[8:9], off
	s_mov_b64 s[0:1], 0
	s_mov_b64 s[10:11], -1
	s_waitcnt vmcnt(0)
	v_lshlrev_b32_e32 v6, 16, v6
	v_trunc_f32_e32 v6, v6
	v_mul_f32_e32 v7, 0x2f800000, v6
	v_floor_f32_e32 v7, v7
	v_fmac_f32_e32 v6, 0xcf800000, v7
	v_cvt_u32_f32_e32 v6, v6
	v_cvt_u32_f32_e32 v7, v7
	s_branch .LBB371_1395
.LBB371_1388:
	s_mov_b64 s[0:1], -1
	s_mov_b64 s[10:11], 0
                                        ; implicit-def: $vgpr6_vgpr7
	s_branch .LBB371_1457
.LBB371_1389:
	s_mov_b64 s[20:21], -1
	s_mov_b64 s[10:11], 0
	s_mov_b64 s[0:1], 0
                                        ; implicit-def: $vgpr6_vgpr7
	s_branch .LBB371_1424
.LBB371_1390:
	s_mov_b64 s[20:21], -1
	s_mov_b64 s[10:11], 0
	s_mov_b64 s[0:1], 0
                                        ; implicit-def: $vgpr6_vgpr7
	s_branch .LBB371_1405
.LBB371_1391:
	s_mov_b64 s[20:21], -1
	s_mov_b64 s[10:11], 0
	s_mov_b64 s[0:1], 0
                                        ; implicit-def: $vgpr6_vgpr7
	s_branch .LBB371_1400
.LBB371_1392:
	s_trap 2
	s_or_b64 s[18:19], s[18:19], exec
	s_cbranch_execz .LBB371_1331
	s_branch .LBB371_1332
.LBB371_1393:
	s_mov_b64 s[20:21], -1
	s_mov_b64 s[10:11], 0
	s_mov_b64 s[0:1], 0
                                        ; implicit-def: $vgpr6_vgpr7
	s_branch .LBB371_1395
.LBB371_1394:
	s_mov_b64 s[0:1], -1
                                        ; implicit-def: $vgpr6_vgpr7
	s_mov_b64 s[10:11], 0
.LBB371_1395:
	s_and_b64 vcc, exec, s[20:21]
	s_cbranch_vccz .LBB371_1399
; %bb.1396:
	s_cmp_eq_u32 s15, 44
	s_cbranch_scc0 .LBB371_1398
; %bb.1397:
	global_load_ubyte v6, v[8:9], off
	s_mov_b64 s[0:1], 0
	s_mov_b64 s[10:11], -1
	s_waitcnt vmcnt(0)
	v_lshlrev_b32_e32 v7, 23, v6
	v_trunc_f32_e32 v7, v7
	v_mul_f32_e32 v11, 0x2f800000, v7
	v_floor_f32_e32 v11, v11
	v_fmac_f32_e32 v7, 0xcf800000, v11
	v_cvt_u32_f32_e32 v11, v11
	v_cvt_u32_f32_e32 v12, v7
	v_cmp_ne_u32_e32 vcc, 0, v6
	v_cndmask_b32_e32 v7, 0, v11, vcc
	v_cndmask_b32_e32 v6, 0, v12, vcc
	s_branch .LBB371_1399
.LBB371_1398:
	s_mov_b64 s[0:1], -1
                                        ; implicit-def: $vgpr6_vgpr7
.LBB371_1399:
	s_mov_b64 s[20:21], 0
.LBB371_1400:
	s_and_b64 vcc, exec, s[20:21]
	s_cbranch_vccz .LBB371_1404
; %bb.1401:
	s_cmp_eq_u32 s15, 29
	s_cbranch_scc0 .LBB371_1403
; %bb.1402:
	global_load_dwordx2 v[6:7], v[8:9], off
	s_mov_b64 s[0:1], 0
	s_mov_b64 s[10:11], -1
	s_branch .LBB371_1404
.LBB371_1403:
	s_mov_b64 s[0:1], -1
                                        ; implicit-def: $vgpr6_vgpr7
.LBB371_1404:
	s_mov_b64 s[20:21], 0
.LBB371_1405:
	s_and_b64 vcc, exec, s[20:21]
	s_cbranch_vccz .LBB371_1423
; %bb.1406:
	s_cmp_lt_i32 s15, 27
	s_cbranch_scc1 .LBB371_1409
; %bb.1407:
	s_cmp_gt_i32 s15, 27
	s_cbranch_scc0 .LBB371_1410
; %bb.1408:
	global_load_dword v6, v[8:9], off
	s_waitcnt vmcnt(1)
	v_mov_b32_e32 v7, 0
	s_mov_b64 s[10:11], 0
	s_branch .LBB371_1411
.LBB371_1409:
	s_mov_b64 s[10:11], -1
                                        ; implicit-def: $vgpr6_vgpr7
	s_branch .LBB371_1414
.LBB371_1410:
	s_mov_b64 s[10:11], -1
                                        ; implicit-def: $vgpr6_vgpr7
.LBB371_1411:
	s_andn2_b64 vcc, exec, s[10:11]
	s_cbranch_vccnz .LBB371_1413
; %bb.1412:
	global_load_ushort v6, v[8:9], off
	s_mov_b32 s10, 0
	s_waitcnt vmcnt(1)
	v_mov_b32_e32 v7, s10
	s_waitcnt vmcnt(0)
	v_and_b32_e32 v6, 0xffff, v6
.LBB371_1413:
	s_mov_b64 s[10:11], 0
.LBB371_1414:
	s_andn2_b64 vcc, exec, s[10:11]
	s_cbranch_vccnz .LBB371_1422
; %bb.1415:
	global_load_ubyte v11, v[8:9], off
	s_movk_i32 s10, 0x7f
	s_mov_b64 s[20:21], 0
	s_waitcnt vmcnt(0)
	v_cmp_lt_i16_e32 vcc, s10, v11
	s_and_saveexec_b64 s[10:11], vcc
	s_xor_b64 s[10:11], exec, s[10:11]
; %bb.1416:
	s_movk_i32 s13, 0x80
	v_cmp_ne_u16_e32 vcc, s13, v11
	s_and_b64 s[20:21], vcc, exec
; %bb.1417:
	s_andn2_saveexec_b64 s[10:11], s[10:11]
; %bb.1418:
	v_cmp_ne_u16_e32 vcc, 0, v11
	s_andn2_b64 s[20:21], s[20:21], exec
	s_and_b64 s[22:23], vcc, exec
	s_or_b64 s[20:21], s[20:21], s[22:23]
; %bb.1419:
	s_or_b64 exec, exec, s[10:11]
	v_mov_b32_e32 v6, 0
	v_mov_b32_e32 v7, 0
	s_and_saveexec_b64 s[10:11], s[20:21]
	s_cbranch_execz .LBB371_1421
; %bb.1420:
	v_and_b32_e32 v7, 0xffff, v11
	v_lshlrev_b32_e32 v6, 24, v11
	v_and_b32_e32 v11, 7, v7
	v_ffbh_u32_e32 v13, v11
	v_min_u32_e32 v13, 32, v13
	v_subrev_u32_e32 v14, 28, v13
	v_bfe_u32 v12, v7, 3, 4
	v_lshlrev_b32_e32 v7, v14, v7
	v_sub_u32_e32 v13, 29, v13
	v_and_b32_e32 v7, 7, v7
	v_cmp_eq_u32_e32 vcc, 0, v12
	v_cndmask_b32_e32 v12, v12, v13, vcc
	v_cndmask_b32_e32 v7, v11, v7, vcc
	v_mov_b32_e32 v11, 0x3b800000
	v_lshlrev_b32_e32 v7, 20, v7
	v_and_b32_e32 v6, 0x80000000, v6
	v_lshl_add_u32 v11, v12, 23, v11
	v_or3_b32 v6, v6, v11, v7
	v_trunc_f32_e32 v6, v6
	v_mul_f32_e32 v7, 0x2f800000, v6
	v_floor_f32_e32 v7, v7
	v_fmac_f32_e32 v6, 0xcf800000, v7
	v_cvt_u32_f32_e32 v6, v6
	v_cvt_u32_f32_e32 v7, v7
.LBB371_1421:
	s_or_b64 exec, exec, s[10:11]
.LBB371_1422:
	s_mov_b64 s[10:11], -1
.LBB371_1423:
	s_mov_b64 s[20:21], 0
.LBB371_1424:
	s_and_b64 vcc, exec, s[20:21]
	s_cbranch_vccz .LBB371_1453
; %bb.1425:
	s_cmp_gt_i32 s15, 22
	s_cbranch_scc0 .LBB371_1435
; %bb.1426:
	s_cmp_lt_i32 s15, 24
	s_cbranch_scc1 .LBB371_1436
; %bb.1427:
	s_cmp_gt_i32 s15, 24
	s_cbranch_scc0 .LBB371_1437
; %bb.1428:
	global_load_ubyte v11, v[8:9], off
	s_movk_i32 s4, 0x7f
	s_mov_b64 s[10:11], 0
	s_waitcnt vmcnt(0)
	v_cmp_lt_i16_e32 vcc, s4, v11
	s_and_saveexec_b64 s[4:5], vcc
	s_xor_b64 s[4:5], exec, s[4:5]
; %bb.1429:
	s_movk_i32 s10, 0x80
	v_cmp_ne_u16_e32 vcc, s10, v11
	s_and_b64 s[10:11], vcc, exec
; %bb.1430:
	s_andn2_saveexec_b64 s[4:5], s[4:5]
; %bb.1431:
	v_cmp_ne_u16_e32 vcc, 0, v11
	s_andn2_b64 s[10:11], s[10:11], exec
	s_and_b64 s[20:21], vcc, exec
	s_or_b64 s[10:11], s[10:11], s[20:21]
; %bb.1432:
	s_or_b64 exec, exec, s[4:5]
	v_mov_b32_e32 v6, 0
	v_mov_b32_e32 v7, 0
	s_and_saveexec_b64 s[4:5], s[10:11]
	s_cbranch_execz .LBB371_1434
; %bb.1433:
	v_and_b32_e32 v7, 0xffff, v11
	v_lshlrev_b32_e32 v6, 24, v11
	v_and_b32_e32 v11, 3, v7
	v_ffbh_u32_e32 v13, v11
	v_min_u32_e32 v13, 32, v13
	v_subrev_u32_e32 v14, 29, v13
	v_bfe_u32 v12, v7, 2, 5
	v_lshlrev_b32_e32 v7, v14, v7
	v_sub_u32_e32 v13, 30, v13
	v_and_b32_e32 v7, 3, v7
	v_cmp_eq_u32_e32 vcc, 0, v12
	v_cndmask_b32_e32 v12, v12, v13, vcc
	v_cndmask_b32_e32 v7, v11, v7, vcc
	v_mov_b32_e32 v11, 0x37800000
	v_lshlrev_b32_e32 v7, 21, v7
	v_and_b32_e32 v6, 0x80000000, v6
	v_lshl_add_u32 v11, v12, 23, v11
	v_or3_b32 v6, v6, v11, v7
	v_trunc_f32_e32 v6, v6
	v_mul_f32_e32 v7, 0x2f800000, v6
	v_floor_f32_e32 v7, v7
	v_fmac_f32_e32 v6, 0xcf800000, v7
	v_cvt_u32_f32_e32 v6, v6
	v_cvt_u32_f32_e32 v7, v7
.LBB371_1434:
	s_or_b64 exec, exec, s[4:5]
	s_mov_b64 s[4:5], 0
	s_branch .LBB371_1438
.LBB371_1435:
	s_mov_b64 s[4:5], -1
                                        ; implicit-def: $vgpr6_vgpr7
	s_branch .LBB371_1444
.LBB371_1436:
	s_mov_b64 s[4:5], -1
                                        ; implicit-def: $vgpr6_vgpr7
	s_branch .LBB371_1441
.LBB371_1437:
	s_mov_b64 s[4:5], -1
                                        ; implicit-def: $vgpr6_vgpr7
.LBB371_1438:
	s_and_b64 vcc, exec, s[4:5]
	s_cbranch_vccz .LBB371_1440
; %bb.1439:
	global_load_ubyte v6, v[8:9], off
	s_mov_b32 s4, 0x7f800000
	s_brev_b32 s5, 1
	s_waitcnt vmcnt(0)
	v_lshlrev_b32_e32 v6, 24, v6
	v_and_b32_e32 v7, 0x7f000000, v6
	v_ffbh_u32_e32 v11, v7
	v_min_u32_e32 v11, 32, v11
	v_sub_u32_e64 v11, v11, 4 clamp
	v_lshlrev_b32_e32 v13, v11, v7
	v_lshlrev_b32_e32 v11, 23, v11
	v_lshrrev_b32_e32 v13, 4, v13
	v_add_u32_e32 v12, 0x1000000, v7
	v_sub_u32_e32 v11, v13, v11
	v_ashrrev_i32_e32 v12, 8, v12
	v_add_u32_e32 v11, 0x3c000000, v11
	v_and_or_b32 v11, v12, s4, v11
	v_cmp_ne_u32_e32 vcc, 0, v7
	v_cndmask_b32_e32 v7, 0, v11, vcc
	v_and_or_b32 v6, v6, s5, v7
	v_trunc_f32_e32 v6, v6
	v_mul_f32_e32 v7, 0x2f800000, v6
	v_floor_f32_e32 v7, v7
	v_fmac_f32_e32 v6, 0xcf800000, v7
	v_cvt_u32_f32_e32 v6, v6
	v_cvt_u32_f32_e32 v7, v7
.LBB371_1440:
	s_mov_b64 s[4:5], 0
.LBB371_1441:
	s_andn2_b64 vcc, exec, s[4:5]
	s_cbranch_vccnz .LBB371_1443
; %bb.1442:
	global_load_ubyte v6, v[8:9], off
	s_movk_i32 s4, 0x7f00
	s_brev_b32 s5, 16
	s_brev_b32 s10, 1
	s_waitcnt vmcnt(0)
	v_lshlrev_b16_e32 v7, 8, v6
	v_lshlrev_b32_e32 v6, 25, v6
	v_lshrrev_b32_e32 v11, 4, v6
	v_and_or_b32 v12, v7, s4, 0.5
	v_or_b32_e32 v11, 0x70000000, v11
	v_add_f32_e32 v12, -0.5, v12
	v_mul_f32_e32 v11, 0x7800000, v11
	v_cmp_gt_u32_e32 vcc, s5, v6
	v_bfe_i32 v7, v7, 0, 16
	v_cndmask_b32_e32 v6, v11, v12, vcc
	v_and_or_b32 v6, v7, s10, v6
	v_trunc_f32_e32 v6, v6
	v_mul_f32_e32 v7, 0x2f800000, v6
	v_floor_f32_e32 v7, v7
	v_fmac_f32_e32 v6, 0xcf800000, v7
	v_cvt_u32_f32_e32 v6, v6
	v_cvt_u32_f32_e32 v7, v7
.LBB371_1443:
	s_mov_b64 s[4:5], 0
	s_mov_b64 s[10:11], -1
.LBB371_1444:
	s_andn2_b64 vcc, exec, s[4:5]
	s_mov_b64 s[4:5], 0
	s_cbranch_vccnz .LBB371_1453
; %bb.1445:
	s_cmp_gt_i32 s15, 14
	s_cbranch_scc0 .LBB371_1448
; %bb.1446:
	s_cmp_eq_u32 s15, 15
	s_cbranch_scc0 .LBB371_1449
; %bb.1447:
	global_load_ushort v6, v[8:9], off
	s_mov_b64 s[0:1], 0
	s_mov_b64 s[10:11], -1
	s_waitcnt vmcnt(0)
	v_lshlrev_b32_e32 v6, 16, v6
	v_trunc_f32_e32 v6, v6
	v_mul_f32_e32 v7, 0x2f800000, v6
	v_floor_f32_e32 v7, v7
	v_fmac_f32_e32 v6, 0xcf800000, v7
	v_cvt_u32_f32_e32 v6, v6
	v_cvt_u32_f32_e32 v7, v7
	s_branch .LBB371_1450
.LBB371_1448:
	s_mov_b64 s[20:21], -1
                                        ; implicit-def: $vgpr6_vgpr7
	s_branch .LBB371_1451
.LBB371_1449:
	s_mov_b64 s[0:1], -1
                                        ; implicit-def: $vgpr6_vgpr7
.LBB371_1450:
	s_mov_b64 s[20:21], 0
.LBB371_1451:
	s_and_b64 vcc, exec, s[20:21]
	s_cbranch_vccz .LBB371_1453
; %bb.1452:
	s_cmp_lg_u32 s15, 11
	s_mov_b64 s[4:5], -1
	s_cselect_b64 s[0:1], -1, 0
.LBB371_1453:
	s_and_b64 vcc, exec, s[0:1]
	s_cbranch_vccnz .LBB371_1986
; %bb.1454:
	s_andn2_b64 vcc, exec, s[4:5]
	s_cbranch_vccnz .LBB371_1456
.LBB371_1455:
	global_load_ubyte v6, v[8:9], off
	s_mov_b32 s0, 0
	s_waitcnt vmcnt(1)
	v_mov_b32_e32 v7, s0
	s_mov_b64 s[10:11], -1
	s_waitcnt vmcnt(0)
	v_cmp_ne_u16_e32 vcc, 0, v6
	v_cndmask_b32_e64 v6, 0, 1, vcc
.LBB371_1456:
	s_mov_b64 s[0:1], 0
.LBB371_1457:
	s_and_b64 vcc, exec, s[0:1]
	s_cbranch_vccz .LBB371_1506
; %bb.1458:
	s_cmp_lt_i32 s15, 5
	s_cbranch_scc1 .LBB371_1463
; %bb.1459:
	s_cmp_lt_i32 s15, 8
	s_cbranch_scc1 .LBB371_1464
	;; [unrolled: 3-line block ×3, first 2 shown]
; %bb.1461:
	s_cmp_gt_i32 s15, 9
	s_cbranch_scc0 .LBB371_1466
; %bb.1462:
	global_load_dwordx2 v[6:7], v[8:9], off
	s_movk_i32 s0, 0xffe0
	s_waitcnt vmcnt(0)
	v_trunc_f64_e32 v[6:7], v[6:7]
	v_ldexp_f64 v[11:12], v[6:7], s0
	s_mov_b32 s0, 0
	s_mov_b32 s1, 0xc1f00000
	v_floor_f64_e32 v[11:12], v[11:12]
	v_fma_f64 v[13:14], v[11:12], s[0:1], v[6:7]
	v_cvt_u32_f64_e32 v7, v[11:12]
	s_mov_b64 s[0:1], 0
	v_cvt_u32_f64_e32 v6, v[13:14]
	s_branch .LBB371_1467
.LBB371_1463:
	s_mov_b64 s[0:1], -1
                                        ; implicit-def: $vgpr6_vgpr7
	s_branch .LBB371_1485
.LBB371_1464:
	s_mov_b64 s[0:1], -1
                                        ; implicit-def: $vgpr6_vgpr7
	s_branch .LBB371_1473
.LBB371_1465:
	s_mov_b64 s[0:1], -1
                                        ; implicit-def: $vgpr6_vgpr7
	s_branch .LBB371_1470
.LBB371_1466:
	s_mov_b64 s[0:1], -1
                                        ; implicit-def: $vgpr6_vgpr7
.LBB371_1467:
	s_andn2_b64 vcc, exec, s[0:1]
	s_cbranch_vccnz .LBB371_1469
; %bb.1468:
	global_load_dword v6, v[8:9], off
	s_waitcnt vmcnt(0)
	v_trunc_f32_e32 v6, v6
	v_mul_f32_e32 v7, 0x2f800000, v6
	v_floor_f32_e32 v11, v7
	v_fmac_f32_e32 v6, 0xcf800000, v11
	v_cvt_u32_f32_e32 v7, v11
	v_cvt_u32_f32_e32 v6, v6
.LBB371_1469:
	s_mov_b64 s[0:1], 0
.LBB371_1470:
	s_andn2_b64 vcc, exec, s[0:1]
	s_cbranch_vccnz .LBB371_1472
; %bb.1471:
	global_load_dword v6, v[8:9], off
	s_waitcnt vmcnt(1)
	v_mov_b32_e32 v7, 0
	s_waitcnt vmcnt(0)
	v_cvt_f32_f16_e32 v6, v6
	v_cvt_u32_f32_e32 v6, v6
.LBB371_1472:
	s_mov_b64 s[0:1], 0
.LBB371_1473:
	s_andn2_b64 vcc, exec, s[0:1]
	s_cbranch_vccnz .LBB371_1484
; %bb.1474:
	s_cmp_lt_i32 s15, 6
	s_cbranch_scc1 .LBB371_1477
; %bb.1475:
	s_cmp_gt_i32 s15, 6
	s_cbranch_scc0 .LBB371_1478
; %bb.1476:
	global_load_dwordx2 v[6:7], v[8:9], off
	s_movk_i32 s0, 0xffe0
	s_waitcnt vmcnt(0)
	v_trunc_f64_e32 v[6:7], v[6:7]
	v_ldexp_f64 v[11:12], v[6:7], s0
	s_mov_b32 s0, 0
	s_mov_b32 s1, 0xc1f00000
	v_floor_f64_e32 v[11:12], v[11:12]
	v_fma_f64 v[13:14], v[11:12], s[0:1], v[6:7]
	v_cvt_u32_f64_e32 v7, v[11:12]
	s_mov_b64 s[0:1], 0
	v_cvt_u32_f64_e32 v6, v[13:14]
	s_branch .LBB371_1479
.LBB371_1477:
	s_mov_b64 s[0:1], -1
                                        ; implicit-def: $vgpr6_vgpr7
	s_branch .LBB371_1482
.LBB371_1478:
	s_mov_b64 s[0:1], -1
                                        ; implicit-def: $vgpr6_vgpr7
.LBB371_1479:
	s_andn2_b64 vcc, exec, s[0:1]
	s_cbranch_vccnz .LBB371_1481
; %bb.1480:
	global_load_dword v6, v[8:9], off
	s_waitcnt vmcnt(0)
	v_trunc_f32_e32 v6, v6
	v_mul_f32_e32 v7, 0x2f800000, v6
	v_floor_f32_e32 v11, v7
	v_fmac_f32_e32 v6, 0xcf800000, v11
	v_cvt_u32_f32_e32 v7, v11
	v_cvt_u32_f32_e32 v6, v6
.LBB371_1481:
	s_mov_b64 s[0:1], 0
.LBB371_1482:
	s_andn2_b64 vcc, exec, s[0:1]
	s_cbranch_vccnz .LBB371_1484
; %bb.1483:
	global_load_ushort v6, v[8:9], off
	s_waitcnt vmcnt(1)
	v_mov_b32_e32 v7, 0
	s_waitcnt vmcnt(0)
	v_cvt_f32_f16_e32 v6, v6
	v_cvt_u32_f32_e32 v6, v6
.LBB371_1484:
	s_mov_b64 s[0:1], 0
.LBB371_1485:
	s_andn2_b64 vcc, exec, s[0:1]
	s_cbranch_vccnz .LBB371_1505
; %bb.1486:
	s_cmp_lt_i32 s15, 2
	s_cbranch_scc1 .LBB371_1490
; %bb.1487:
	s_cmp_lt_i32 s15, 3
	s_cbranch_scc1 .LBB371_1491
; %bb.1488:
	s_cmp_gt_i32 s15, 3
	s_cbranch_scc0 .LBB371_1492
; %bb.1489:
	global_load_dwordx2 v[6:7], v[8:9], off
	s_mov_b64 s[0:1], 0
	s_branch .LBB371_1493
.LBB371_1490:
	s_mov_b64 s[0:1], -1
                                        ; implicit-def: $vgpr6_vgpr7
	s_branch .LBB371_1499
.LBB371_1491:
	s_mov_b64 s[0:1], -1
                                        ; implicit-def: $vgpr6_vgpr7
	s_branch .LBB371_1496
.LBB371_1492:
	s_mov_b64 s[0:1], -1
                                        ; implicit-def: $vgpr6_vgpr7
.LBB371_1493:
	s_andn2_b64 vcc, exec, s[0:1]
	s_cbranch_vccnz .LBB371_1495
; %bb.1494:
	global_load_dword v6, v[8:9], off
	s_waitcnt vmcnt(0)
	v_ashrrev_i32_e32 v7, 31, v6
.LBB371_1495:
	s_mov_b64 s[0:1], 0
.LBB371_1496:
	s_andn2_b64 vcc, exec, s[0:1]
	s_cbranch_vccnz .LBB371_1498
; %bb.1497:
	global_load_ushort v6, v[8:9], off
	s_waitcnt vmcnt(0)
	v_bfe_i32 v6, v6, 0, 16
	v_ashrrev_i32_e32 v7, 31, v6
.LBB371_1498:
	s_mov_b64 s[0:1], 0
.LBB371_1499:
	s_andn2_b64 vcc, exec, s[0:1]
	s_cbranch_vccnz .LBB371_1505
; %bb.1500:
	s_cmp_gt_i32 s15, 0
	s_cbranch_scc0 .LBB371_1502
; %bb.1501:
	global_load_sbyte v6, v[8:9], off
	s_mov_b64 s[0:1], 0
	s_waitcnt vmcnt(0)
	v_bfe_i32 v6, v6, 0, 16
	v_ashrrev_i32_e32 v7, 31, v6
	s_branch .LBB371_1503
.LBB371_1502:
	s_mov_b64 s[0:1], -1
                                        ; implicit-def: $vgpr6_vgpr7
.LBB371_1503:
	s_andn2_b64 vcc, exec, s[0:1]
	s_cbranch_vccnz .LBB371_1505
; %bb.1504:
	global_load_ubyte v6, v[8:9], off
	s_mov_b32 s0, 0
	s_waitcnt vmcnt(1)
	v_mov_b32_e32 v7, s0
	s_waitcnt vmcnt(0)
	v_and_b32_e32 v6, 0xffff, v6
.LBB371_1505:
	s_mov_b64 s[10:11], -1
.LBB371_1506:
	s_andn2_b64 vcc, exec, s[10:11]
	s_cbranch_vccnz .LBB371_1940
; %bb.1507:
	v_mul_lo_u32 v8, s12, v10
	s_cmp_eq_u32 s14, 0
	s_waitcnt vmcnt(0)
	v_cmp_ne_u64_e32 vcc, s[2:3], v[0:1]
	s_cselect_b64 s[4:5], -1, 0
	s_xor_b64 s[10:11], s[4:5], vcc
	v_ashrrev_i32_e32 v1, 31, v8
	v_mov_b32_e32 v9, s9
	s_and_b32 s26, s33, 0xff
	v_add_co_u32_e32 v0, vcc, s8, v8
	s_cmp_lt_i32 s26, 11
	v_addc_co_u32_e32 v1, vcc, v9, v1, vcc
	s_cbranch_scc1 .LBB371_1585
; %bb.1508:
	s_and_b32 s13, 0xffff, s26
	s_mov_b64 s[22:23], -1
	s_mov_b64 s[14:15], 0
	s_cmp_gt_i32 s13, 25
	s_mov_b64 s[20:21], 0
	s_mov_b64 s[0:1], 0
	s_cbranch_scc0 .LBB371_1541
; %bb.1509:
	s_cmp_gt_i32 s13, 28
	s_cbranch_scc0 .LBB371_1524
; %bb.1510:
	s_cmp_gt_i32 s13, 43
	;; [unrolled: 3-line block ×3, first 2 shown]
	s_cbranch_scc0 .LBB371_1514
; %bb.1512:
	s_mov_b64 s[0:1], -1
	s_mov_b64 s[22:23], 0
	s_cmp_eq_u32 s13, 46
	s_cbranch_scc0 .LBB371_1514
; %bb.1513:
	v_cndmask_b32_e64 v9, 0, 1.0, s[10:11]
	v_bfe_u32 v10, v9, 16, 1
	s_movk_i32 s0, 0x7fff
	v_add3_u32 v9, v9, v10, s0
	v_lshrrev_b32_e32 v9, 16, v9
	global_store_dword v[0:1], v9, off
	s_mov_b64 s[0:1], 0
	s_mov_b64 s[20:21], -1
.LBB371_1514:
	s_and_b64 vcc, exec, s[22:23]
	s_cbranch_vccz .LBB371_1519
; %bb.1515:
	s_cmp_eq_u32 s13, 44
	s_mov_b64 s[0:1], -1
	s_cbranch_scc0 .LBB371_1519
; %bb.1516:
	v_cndmask_b32_e64 v10, 0, 1.0, s[10:11]
	v_lshrrev_b32_e32 v9, 23, v10
	s_movk_i32 s0, 0xff
	v_cmp_ne_u32_e32 vcc, s0, v9
	v_mov_b32_e32 v11, 0xff
	s_and_saveexec_b64 s[20:21], vcc
; %bb.1517:
	s_mov_b32 s0, 0x3fffff
	v_and_b32_e32 v11, 0x400000, v10
	v_and_or_b32 v10, v10, s0, v9
	v_cmp_ne_u32_e32 vcc, 0, v11
	v_cmp_ne_u32_e64 s[0:1], 0, v10
	s_and_b64 s[0:1], vcc, s[0:1]
	v_cndmask_b32_e64 v10, 0, 1, s[0:1]
	v_add_u32_e32 v11, v9, v10
; %bb.1518:
	s_or_b64 exec, exec, s[20:21]
	s_mov_b64 s[0:1], 0
	s_mov_b64 s[20:21], -1
	global_store_byte v[0:1], v11, off
.LBB371_1519:
	s_mov_b64 s[22:23], 0
.LBB371_1520:
	s_and_b64 vcc, exec, s[22:23]
	s_cbranch_vccz .LBB371_1523
; %bb.1521:
	s_cmp_eq_u32 s13, 29
	s_mov_b64 s[0:1], -1
	s_cbranch_scc0 .LBB371_1523
; %bb.1522:
	s_mov_b32 s0, 0
	v_cndmask_b32_e64 v9, 0, 1, s[10:11]
	v_mov_b32_e32 v10, s0
	global_store_dwordx2 v[0:1], v[9:10], off
	s_mov_b64 s[0:1], 0
	s_mov_b64 s[20:21], -1
.LBB371_1523:
	s_mov_b64 s[22:23], 0
.LBB371_1524:
	s_and_b64 vcc, exec, s[22:23]
	s_cbranch_vccz .LBB371_1540
; %bb.1525:
	s_cmp_lt_i32 s13, 27
	s_mov_b64 s[20:21], -1
	s_cbranch_scc1 .LBB371_1531
; %bb.1526:
	s_cmp_gt_i32 s13, 27
	s_cbranch_scc0 .LBB371_1528
; %bb.1527:
	v_cndmask_b32_e64 v9, 0, 1, s[10:11]
	s_mov_b64 s[20:21], 0
	global_store_dword v[0:1], v9, off
.LBB371_1528:
	s_andn2_b64 vcc, exec, s[20:21]
	s_cbranch_vccnz .LBB371_1530
; %bb.1529:
	v_cndmask_b32_e64 v9, 0, 1, s[10:11]
	global_store_short v[0:1], v9, off
.LBB371_1530:
	s_mov_b64 s[20:21], 0
.LBB371_1531:
	s_andn2_b64 vcc, exec, s[20:21]
	s_cbranch_vccnz .LBB371_1539
; %bb.1532:
	v_cndmask_b32_e64 v10, 0, 1.0, s[10:11]
	s_mov_b32 s20, 0x43800000
	v_cmp_gt_u32_e32 vcc, s20, v10
	v_mov_b32_e32 v11, 0x80
	s_and_saveexec_b64 s[20:21], vcc
	s_cbranch_execz .LBB371_1538
; %bb.1533:
	s_mov_b32 s22, 0x3bffffff
	v_cmp_lt_u32_e32 vcc, s22, v10
	s_mov_b64 s[22:23], 0
                                        ; implicit-def: $vgpr9
	s_and_saveexec_b64 s[24:25], vcc
	s_xor_b64 s[24:25], exec, s[24:25]
	s_cbranch_execz .LBB371_1987
; %bb.1534:
	v_bfe_u32 v9, v10, 20, 1
	s_mov_b32 s27, 0x487ffff
	v_add3_u32 v9, v10, v9, s27
	s_mov_b64 s[22:23], exec
	v_lshrrev_b32_e32 v9, 20, v9
                                        ; implicit-def: $vgpr10
	s_andn2_saveexec_b64 s[24:25], s[24:25]
	s_cbranch_execnz .LBB371_1988
.LBB371_1535:
	s_or_b64 exec, exec, s[24:25]
	v_mov_b32_e32 v11, 0
	s_and_saveexec_b64 s[24:25], s[22:23]
.LBB371_1536:
	v_mov_b32_e32 v11, v9
.LBB371_1537:
	s_or_b64 exec, exec, s[24:25]
.LBB371_1538:
	s_or_b64 exec, exec, s[20:21]
	global_store_byte v[0:1], v11, off
.LBB371_1539:
	s_mov_b64 s[20:21], -1
.LBB371_1540:
	s_mov_b64 s[22:23], 0
.LBB371_1541:
	s_and_b64 vcc, exec, s[22:23]
	s_cbranch_vccz .LBB371_1581
; %bb.1542:
	s_cmp_gt_i32 s13, 22
	s_mov_b64 s[14:15], -1
	s_cbranch_scc0 .LBB371_1574
; %bb.1543:
	s_cmp_lt_i32 s13, 24
	s_cbranch_scc1 .LBB371_1563
; %bb.1544:
	s_cmp_gt_i32 s13, 24
	s_cbranch_scc0 .LBB371_1552
; %bb.1545:
	v_cndmask_b32_e64 v10, 0, 1.0, s[10:11]
	s_mov_b32 s14, 0x47800000
	v_cmp_gt_u32_e32 vcc, s14, v10
	v_mov_b32_e32 v11, 0x80
	s_and_saveexec_b64 s[14:15], vcc
	s_cbranch_execz .LBB371_1551
; %bb.1546:
	s_mov_b32 s20, 0x37ffffff
	v_cmp_lt_u32_e32 vcc, s20, v10
	s_mov_b64 s[20:21], 0
                                        ; implicit-def: $vgpr9
	s_and_saveexec_b64 s[22:23], vcc
	s_xor_b64 s[22:23], exec, s[22:23]
	s_cbranch_execz .LBB371_1990
; %bb.1547:
	v_bfe_u32 v9, v10, 21, 1
	s_mov_b32 s24, 0x88fffff
	v_add3_u32 v9, v10, v9, s24
	s_mov_b64 s[20:21], exec
	v_lshrrev_b32_e32 v9, 21, v9
                                        ; implicit-def: $vgpr10
	s_andn2_saveexec_b64 s[22:23], s[22:23]
	s_cbranch_execnz .LBB371_1991
.LBB371_1548:
	s_or_b64 exec, exec, s[22:23]
	v_mov_b32_e32 v11, 0
	s_and_saveexec_b64 s[22:23], s[20:21]
.LBB371_1549:
	v_mov_b32_e32 v11, v9
.LBB371_1550:
	s_or_b64 exec, exec, s[22:23]
.LBB371_1551:
	s_or_b64 exec, exec, s[14:15]
	s_mov_b64 s[14:15], 0
	global_store_byte v[0:1], v11, off
.LBB371_1552:
	s_and_b64 vcc, exec, s[14:15]
	s_cbranch_vccz .LBB371_1562
; %bb.1553:
	v_cndmask_b32_e64 v9, 0, 1.0, s[10:11]
	s_mov_b32 s14, 0x43f00000
	v_cmp_gt_u32_e32 vcc, s14, v9
                                        ; implicit-def: $vgpr10
	s_and_saveexec_b64 s[14:15], vcc
	s_xor_b64 s[14:15], exec, s[14:15]
	s_cbranch_execz .LBB371_1559
; %bb.1554:
	s_mov_b32 s20, 0x3c7fffff
	v_cmp_lt_u32_e32 vcc, s20, v9
                                        ; implicit-def: $vgpr10
	s_and_saveexec_b64 s[20:21], vcc
	s_xor_b64 s[20:21], exec, s[20:21]
; %bb.1555:
	v_bfe_u32 v10, v9, 20, 1
	s_mov_b32 s22, 0x407ffff
	v_add3_u32 v9, v9, v10, s22
	v_lshrrev_b32_e32 v10, 20, v9
	v_and_b32_e32 v9, 0xff00000, v9
	s_mov_b32 s22, 0x7f00000
	v_mov_b32_e32 v11, 0x7e
	v_cmp_ne_u32_e32 vcc, s22, v9
	v_cndmask_b32_e32 v10, v11, v10, vcc
                                        ; implicit-def: $vgpr9
; %bb.1556:
	s_andn2_saveexec_b64 s[20:21], s[20:21]
; %bb.1557:
	v_add_f32_e32 v10, 0x46800000, v9
; %bb.1558:
	s_or_b64 exec, exec, s[20:21]
                                        ; implicit-def: $vgpr9
.LBB371_1559:
	s_andn2_saveexec_b64 s[14:15], s[14:15]
; %bb.1560:
	s_mov_b32 s20, 0x7f800000
	v_mov_b32_e32 v10, 0x7e
	v_mov_b32_e32 v11, 0x7f
	v_cmp_lt_u32_e32 vcc, s20, v9
	v_cndmask_b32_e32 v10, v10, v11, vcc
; %bb.1561:
	s_or_b64 exec, exec, s[14:15]
	global_store_byte v[0:1], v10, off
.LBB371_1562:
	s_mov_b64 s[14:15], 0
.LBB371_1563:
	s_andn2_b64 vcc, exec, s[14:15]
	s_cbranch_vccnz .LBB371_1573
; %bb.1564:
	v_cndmask_b32_e64 v9, 0, 1.0, s[10:11]
	s_mov_b32 s14, 0x47800000
	v_cmp_gt_u32_e32 vcc, s14, v9
                                        ; implicit-def: $vgpr10
	s_and_saveexec_b64 s[14:15], vcc
	s_xor_b64 s[14:15], exec, s[14:15]
	s_cbranch_execz .LBB371_1570
; %bb.1565:
	s_mov_b32 s20, 0x387fffff
	v_cmp_lt_u32_e32 vcc, s20, v9
                                        ; implicit-def: $vgpr10
	s_and_saveexec_b64 s[20:21], vcc
	s_xor_b64 s[20:21], exec, s[20:21]
; %bb.1566:
	v_bfe_u32 v10, v9, 21, 1
	s_mov_b32 s22, 0x80fffff
	v_add3_u32 v9, v9, v10, s22
	v_lshrrev_b32_e32 v10, 21, v9
                                        ; implicit-def: $vgpr9
; %bb.1567:
	s_andn2_saveexec_b64 s[20:21], s[20:21]
; %bb.1568:
	v_add_f32_e32 v10, 0x43000000, v9
; %bb.1569:
	s_or_b64 exec, exec, s[20:21]
                                        ; implicit-def: $vgpr9
.LBB371_1570:
	s_andn2_saveexec_b64 s[14:15], s[14:15]
; %bb.1571:
	s_mov_b32 s20, 0x7f800000
	v_mov_b32_e32 v10, 0x7c
	v_mov_b32_e32 v11, 0x7f
	v_cmp_lt_u32_e32 vcc, s20, v9
	v_cndmask_b32_e32 v10, v10, v11, vcc
; %bb.1572:
	s_or_b64 exec, exec, s[14:15]
	global_store_byte v[0:1], v10, off
.LBB371_1573:
	s_mov_b64 s[14:15], 0
	s_mov_b64 s[20:21], -1
.LBB371_1574:
	s_andn2_b64 vcc, exec, s[14:15]
	s_mov_b64 s[14:15], 0
	s_cbranch_vccnz .LBB371_1581
; %bb.1575:
	s_cmp_gt_i32 s13, 14
	s_mov_b64 s[22:23], -1
	s_cbranch_scc0 .LBB371_1579
; %bb.1576:
	s_cmp_eq_u32 s13, 15
	s_mov_b64 s[0:1], -1
	s_cbranch_scc0 .LBB371_1578
; %bb.1577:
	v_cndmask_b32_e64 v9, 0, 1.0, s[10:11]
	v_bfe_u32 v10, v9, 16, 1
	s_movk_i32 s0, 0x7fff
	v_add3_u32 v9, v9, v10, s0
	global_store_short_d16_hi v[0:1], v9, off
	s_mov_b64 s[0:1], 0
	s_mov_b64 s[20:21], -1
.LBB371_1578:
	s_mov_b64 s[22:23], 0
.LBB371_1579:
	s_and_b64 vcc, exec, s[22:23]
	s_cbranch_vccz .LBB371_1581
; %bb.1580:
	s_cmp_lg_u32 s13, 11
	s_mov_b64 s[14:15], -1
	s_cselect_b64 s[0:1], -1, 0
.LBB371_1581:
	s_and_b64 vcc, exec, s[0:1]
	s_cbranch_vccnz .LBB371_1989
; %bb.1582:
	s_andn2_b64 vcc, exec, s[14:15]
	s_cbranch_vccnz .LBB371_1584
.LBB371_1583:
	v_cndmask_b32_e64 v9, 0, 1, s[10:11]
	s_mov_b64 s[20:21], -1
	global_store_byte v[0:1], v9, off
.LBB371_1584:
	s_mov_b64 s[0:1], 0
	s_branch .LBB371_1586
.LBB371_1585:
	s_mov_b64 s[0:1], -1
	s_mov_b64 s[20:21], 0
.LBB371_1586:
	s_and_b64 vcc, exec, s[0:1]
	s_cbranch_vccz .LBB371_1625
; %bb.1587:
	s_and_b32 s13, 0xffff, s26
	s_cmp_lt_i32 s13, 5
	s_mov_b64 s[0:1], -1
	s_cbranch_scc1 .LBB371_1608
; %bb.1588:
	s_cmp_lt_i32 s13, 8
	s_cbranch_scc1 .LBB371_1598
; %bb.1589:
	s_cmp_lt_i32 s13, 9
	s_cbranch_scc1 .LBB371_1595
; %bb.1590:
	s_cmp_gt_i32 s13, 9
	s_cbranch_scc0 .LBB371_1592
; %bb.1591:
	v_cndmask_b32_e64 v9, 0, 1, s[10:11]
	v_cvt_f64_u32_e32 v[9:10], v9
	v_mov_b32_e32 v11, 0
	v_mov_b32_e32 v12, v11
	s_mov_b64 s[0:1], 0
	global_store_dwordx4 v[0:1], v[9:12], off
.LBB371_1592:
	s_andn2_b64 vcc, exec, s[0:1]
	s_cbranch_vccnz .LBB371_1594
; %bb.1593:
	v_cndmask_b32_e64 v9, 0, 1.0, s[10:11]
	v_mov_b32_e32 v10, 0
	global_store_dwordx2 v[0:1], v[9:10], off
.LBB371_1594:
	s_mov_b64 s[0:1], 0
.LBB371_1595:
	s_andn2_b64 vcc, exec, s[0:1]
	s_cbranch_vccnz .LBB371_1597
; %bb.1596:
	v_cndmask_b32_e64 v9, 0, 1.0, s[10:11]
	v_cvt_f16_f32_e32 v9, v9
	global_store_dword v[0:1], v9, off
.LBB371_1597:
	s_mov_b64 s[0:1], 0
.LBB371_1598:
	s_andn2_b64 vcc, exec, s[0:1]
	s_cbranch_vccnz .LBB371_1607
; %bb.1599:
	s_cmp_lt_i32 s13, 6
	s_mov_b64 s[0:1], -1
	s_cbranch_scc1 .LBB371_1605
; %bb.1600:
	s_cmp_gt_i32 s13, 6
	s_cbranch_scc0 .LBB371_1602
; %bb.1601:
	v_cndmask_b32_e64 v9, 0, 1, s[10:11]
	v_cvt_f64_u32_e32 v[9:10], v9
	s_mov_b64 s[0:1], 0
	global_store_dwordx2 v[0:1], v[9:10], off
.LBB371_1602:
	s_andn2_b64 vcc, exec, s[0:1]
	s_cbranch_vccnz .LBB371_1604
; %bb.1603:
	v_cndmask_b32_e64 v9, 0, 1.0, s[10:11]
	global_store_dword v[0:1], v9, off
.LBB371_1604:
	s_mov_b64 s[0:1], 0
.LBB371_1605:
	s_andn2_b64 vcc, exec, s[0:1]
	s_cbranch_vccnz .LBB371_1607
; %bb.1606:
	v_cndmask_b32_e64 v9, 0, 1.0, s[10:11]
	v_cvt_f16_f32_e32 v9, v9
	global_store_short v[0:1], v9, off
.LBB371_1607:
	s_mov_b64 s[0:1], 0
.LBB371_1608:
	s_andn2_b64 vcc, exec, s[0:1]
	s_cbranch_vccnz .LBB371_1624
; %bb.1609:
	s_cmp_lt_i32 s13, 2
	s_mov_b64 s[0:1], -1
	s_cbranch_scc1 .LBB371_1619
; %bb.1610:
	s_cmp_lt_i32 s13, 3
	s_cbranch_scc1 .LBB371_1616
; %bb.1611:
	s_cmp_gt_i32 s13, 3
	s_cbranch_scc0 .LBB371_1613
; %bb.1612:
	s_mov_b32 s0, 0
	v_cndmask_b32_e64 v9, 0, 1, s[10:11]
	v_mov_b32_e32 v10, s0
	global_store_dwordx2 v[0:1], v[9:10], off
	s_mov_b64 s[0:1], 0
.LBB371_1613:
	s_andn2_b64 vcc, exec, s[0:1]
	s_cbranch_vccnz .LBB371_1615
; %bb.1614:
	v_cndmask_b32_e64 v9, 0, 1, s[10:11]
	global_store_dword v[0:1], v9, off
.LBB371_1615:
	s_mov_b64 s[0:1], 0
.LBB371_1616:
	s_andn2_b64 vcc, exec, s[0:1]
	s_cbranch_vccnz .LBB371_1618
; %bb.1617:
	v_cndmask_b32_e64 v9, 0, 1, s[10:11]
	global_store_short v[0:1], v9, off
.LBB371_1618:
	s_mov_b64 s[0:1], 0
.LBB371_1619:
	s_andn2_b64 vcc, exec, s[0:1]
	s_cbranch_vccnz .LBB371_1624
; %bb.1620:
	s_mov_b64 s[0:1], -1
	s_cmp_gt_i32 s13, 0
	v_cndmask_b32_e64 v9, 0, 1, s[10:11]
	s_cbranch_scc0 .LBB371_1622
; %bb.1621:
	global_store_byte v[0:1], v9, off
	s_mov_b64 s[0:1], 0
.LBB371_1622:
	s_andn2_b64 vcc, exec, s[0:1]
	s_cbranch_vccnz .LBB371_1624
; %bb.1623:
	global_store_byte v[0:1], v9, off
.LBB371_1624:
	s_mov_b64 s[20:21], -1
.LBB371_1625:
	s_andn2_b64 vcc, exec, s[20:21]
	s_cbranch_vccnz .LBB371_1940
; %bb.1626:
	v_cmp_ne_u64_e32 vcc, s[2:3], v[2:3]
	s_lshl_b32 s24, s12, 7
	v_add_u32_e32 v2, s24, v8
	s_xor_b64 s[10:11], s[4:5], vcc
	v_ashrrev_i32_e32 v1, 31, v2
	v_mov_b32_e32 v3, s9
	v_add_co_u32_e32 v0, vcc, s8, v2
	s_cmp_lt_i32 s26, 11
	v_addc_co_u32_e32 v1, vcc, v3, v1, vcc
	s_cbranch_scc1 .LBB371_1704
; %bb.1627:
	s_and_b32 s25, 0xffff, s26
	s_mov_b64 s[20:21], -1
	s_mov_b64 s[12:13], 0
	s_cmp_gt_i32 s25, 25
	s_mov_b64 s[14:15], 0
	s_mov_b64 s[0:1], 0
	s_cbranch_scc0 .LBB371_1660
; %bb.1628:
	s_cmp_gt_i32 s25, 28
	s_cbranch_scc0 .LBB371_1643
; %bb.1629:
	s_cmp_gt_i32 s25, 43
	;; [unrolled: 3-line block ×3, first 2 shown]
	s_cbranch_scc0 .LBB371_1633
; %bb.1631:
	s_mov_b64 s[0:1], -1
	s_mov_b64 s[20:21], 0
	s_cmp_eq_u32 s25, 46
	s_cbranch_scc0 .LBB371_1633
; %bb.1632:
	v_cndmask_b32_e64 v3, 0, 1.0, s[10:11]
	v_bfe_u32 v8, v3, 16, 1
	s_movk_i32 s0, 0x7fff
	v_add3_u32 v3, v3, v8, s0
	v_lshrrev_b32_e32 v3, 16, v3
	global_store_dword v[0:1], v3, off
	s_mov_b64 s[0:1], 0
	s_mov_b64 s[14:15], -1
.LBB371_1633:
	s_and_b64 vcc, exec, s[20:21]
	s_cbranch_vccz .LBB371_1638
; %bb.1634:
	s_cmp_eq_u32 s25, 44
	s_mov_b64 s[0:1], -1
	s_cbranch_scc0 .LBB371_1638
; %bb.1635:
	v_cndmask_b32_e64 v8, 0, 1.0, s[10:11]
	v_lshrrev_b32_e32 v3, 23, v8
	s_movk_i32 s0, 0xff
	v_cmp_ne_u32_e32 vcc, s0, v3
	v_mov_b32_e32 v9, 0xff
	s_and_saveexec_b64 s[14:15], vcc
; %bb.1636:
	s_mov_b32 s0, 0x3fffff
	v_and_b32_e32 v9, 0x400000, v8
	v_and_or_b32 v8, v8, s0, v3
	v_cmp_ne_u32_e32 vcc, 0, v9
	v_cmp_ne_u32_e64 s[0:1], 0, v8
	s_and_b64 s[0:1], vcc, s[0:1]
	v_cndmask_b32_e64 v8, 0, 1, s[0:1]
	v_add_u32_e32 v9, v3, v8
; %bb.1637:
	s_or_b64 exec, exec, s[14:15]
	s_mov_b64 s[0:1], 0
	s_mov_b64 s[14:15], -1
	global_store_byte v[0:1], v9, off
.LBB371_1638:
	s_mov_b64 s[20:21], 0
.LBB371_1639:
	s_and_b64 vcc, exec, s[20:21]
	s_cbranch_vccz .LBB371_1642
; %bb.1640:
	s_cmp_eq_u32 s25, 29
	s_mov_b64 s[0:1], -1
	s_cbranch_scc0 .LBB371_1642
; %bb.1641:
	s_mov_b32 s0, 0
	v_cndmask_b32_e64 v8, 0, 1, s[10:11]
	v_mov_b32_e32 v9, s0
	global_store_dwordx2 v[0:1], v[8:9], off
	s_mov_b64 s[0:1], 0
	s_mov_b64 s[14:15], -1
.LBB371_1642:
	s_mov_b64 s[20:21], 0
.LBB371_1643:
	s_and_b64 vcc, exec, s[20:21]
	s_cbranch_vccz .LBB371_1659
; %bb.1644:
	s_cmp_lt_i32 s25, 27
	s_mov_b64 s[14:15], -1
	s_cbranch_scc1 .LBB371_1650
; %bb.1645:
	s_cmp_gt_i32 s25, 27
	s_cbranch_scc0 .LBB371_1647
; %bb.1646:
	v_cndmask_b32_e64 v3, 0, 1, s[10:11]
	s_mov_b64 s[14:15], 0
	global_store_dword v[0:1], v3, off
.LBB371_1647:
	s_andn2_b64 vcc, exec, s[14:15]
	s_cbranch_vccnz .LBB371_1649
; %bb.1648:
	v_cndmask_b32_e64 v3, 0, 1, s[10:11]
	global_store_short v[0:1], v3, off
.LBB371_1649:
	s_mov_b64 s[14:15], 0
.LBB371_1650:
	s_andn2_b64 vcc, exec, s[14:15]
	s_cbranch_vccnz .LBB371_1658
; %bb.1651:
	v_cndmask_b32_e64 v8, 0, 1.0, s[10:11]
	s_mov_b32 s14, 0x43800000
	v_cmp_gt_u32_e32 vcc, s14, v8
	v_mov_b32_e32 v9, 0x80
	s_and_saveexec_b64 s[14:15], vcc
	s_cbranch_execz .LBB371_1657
; %bb.1652:
	s_mov_b32 s20, 0x3bffffff
	v_cmp_lt_u32_e32 vcc, s20, v8
	s_mov_b64 s[20:21], 0
                                        ; implicit-def: $vgpr3
	s_and_saveexec_b64 s[22:23], vcc
	s_xor_b64 s[22:23], exec, s[22:23]
	s_cbranch_execz .LBB371_1992
; %bb.1653:
	v_bfe_u32 v3, v8, 20, 1
	s_mov_b32 s27, 0x487ffff
	v_add3_u32 v3, v8, v3, s27
	s_mov_b64 s[20:21], exec
	v_lshrrev_b32_e32 v3, 20, v3
                                        ; implicit-def: $vgpr8
	s_andn2_saveexec_b64 s[22:23], s[22:23]
	s_cbranch_execnz .LBB371_1993
.LBB371_1654:
	s_or_b64 exec, exec, s[22:23]
	v_mov_b32_e32 v9, 0
	s_and_saveexec_b64 s[22:23], s[20:21]
.LBB371_1655:
	v_mov_b32_e32 v9, v3
.LBB371_1656:
	s_or_b64 exec, exec, s[22:23]
.LBB371_1657:
	s_or_b64 exec, exec, s[14:15]
	global_store_byte v[0:1], v9, off
.LBB371_1658:
	s_mov_b64 s[14:15], -1
.LBB371_1659:
	s_mov_b64 s[20:21], 0
.LBB371_1660:
	s_and_b64 vcc, exec, s[20:21]
	s_cbranch_vccz .LBB371_1700
; %bb.1661:
	s_cmp_gt_i32 s25, 22
	s_mov_b64 s[12:13], -1
	s_cbranch_scc0 .LBB371_1693
; %bb.1662:
	s_cmp_lt_i32 s25, 24
	s_cbranch_scc1 .LBB371_1682
; %bb.1663:
	s_cmp_gt_i32 s25, 24
	s_cbranch_scc0 .LBB371_1671
; %bb.1664:
	v_cndmask_b32_e64 v8, 0, 1.0, s[10:11]
	s_mov_b32 s12, 0x47800000
	v_cmp_gt_u32_e32 vcc, s12, v8
	v_mov_b32_e32 v9, 0x80
	s_and_saveexec_b64 s[12:13], vcc
	s_cbranch_execz .LBB371_1670
; %bb.1665:
	s_mov_b32 s14, 0x37ffffff
	v_cmp_lt_u32_e32 vcc, s14, v8
	s_mov_b64 s[14:15], 0
                                        ; implicit-def: $vgpr3
	s_and_saveexec_b64 s[20:21], vcc
	s_xor_b64 s[20:21], exec, s[20:21]
	s_cbranch_execz .LBB371_1995
; %bb.1666:
	v_bfe_u32 v3, v8, 21, 1
	s_mov_b32 s22, 0x88fffff
	v_add3_u32 v3, v8, v3, s22
	s_mov_b64 s[14:15], exec
	v_lshrrev_b32_e32 v3, 21, v3
                                        ; implicit-def: $vgpr8
	s_andn2_saveexec_b64 s[20:21], s[20:21]
	s_cbranch_execnz .LBB371_1996
.LBB371_1667:
	s_or_b64 exec, exec, s[20:21]
	v_mov_b32_e32 v9, 0
	s_and_saveexec_b64 s[20:21], s[14:15]
.LBB371_1668:
	v_mov_b32_e32 v9, v3
.LBB371_1669:
	s_or_b64 exec, exec, s[20:21]
.LBB371_1670:
	s_or_b64 exec, exec, s[12:13]
	s_mov_b64 s[12:13], 0
	global_store_byte v[0:1], v9, off
.LBB371_1671:
	s_and_b64 vcc, exec, s[12:13]
	s_cbranch_vccz .LBB371_1681
; %bb.1672:
	v_cndmask_b32_e64 v3, 0, 1.0, s[10:11]
	s_mov_b32 s12, 0x43f00000
	v_cmp_gt_u32_e32 vcc, s12, v3
                                        ; implicit-def: $vgpr8
	s_and_saveexec_b64 s[12:13], vcc
	s_xor_b64 s[12:13], exec, s[12:13]
	s_cbranch_execz .LBB371_1678
; %bb.1673:
	s_mov_b32 s14, 0x3c7fffff
	v_cmp_lt_u32_e32 vcc, s14, v3
                                        ; implicit-def: $vgpr8
	s_and_saveexec_b64 s[14:15], vcc
	s_xor_b64 s[14:15], exec, s[14:15]
; %bb.1674:
	v_bfe_u32 v8, v3, 20, 1
	s_mov_b32 s20, 0x407ffff
	v_add3_u32 v3, v3, v8, s20
	v_lshrrev_b32_e32 v8, 20, v3
	v_and_b32_e32 v3, 0xff00000, v3
	s_mov_b32 s20, 0x7f00000
	v_mov_b32_e32 v9, 0x7e
	v_cmp_ne_u32_e32 vcc, s20, v3
	v_cndmask_b32_e32 v8, v9, v8, vcc
                                        ; implicit-def: $vgpr3
; %bb.1675:
	s_andn2_saveexec_b64 s[14:15], s[14:15]
; %bb.1676:
	v_add_f32_e32 v8, 0x46800000, v3
; %bb.1677:
	s_or_b64 exec, exec, s[14:15]
                                        ; implicit-def: $vgpr3
.LBB371_1678:
	s_andn2_saveexec_b64 s[12:13], s[12:13]
; %bb.1679:
	s_mov_b32 s14, 0x7f800000
	v_mov_b32_e32 v8, 0x7e
	v_mov_b32_e32 v9, 0x7f
	v_cmp_lt_u32_e32 vcc, s14, v3
	v_cndmask_b32_e32 v8, v8, v9, vcc
; %bb.1680:
	s_or_b64 exec, exec, s[12:13]
	global_store_byte v[0:1], v8, off
.LBB371_1681:
	s_mov_b64 s[12:13], 0
.LBB371_1682:
	s_andn2_b64 vcc, exec, s[12:13]
	s_cbranch_vccnz .LBB371_1692
; %bb.1683:
	v_cndmask_b32_e64 v3, 0, 1.0, s[10:11]
	s_mov_b32 s12, 0x47800000
	v_cmp_gt_u32_e32 vcc, s12, v3
                                        ; implicit-def: $vgpr8
	s_and_saveexec_b64 s[12:13], vcc
	s_xor_b64 s[12:13], exec, s[12:13]
	s_cbranch_execz .LBB371_1689
; %bb.1684:
	s_mov_b32 s14, 0x387fffff
	v_cmp_lt_u32_e32 vcc, s14, v3
                                        ; implicit-def: $vgpr8
	s_and_saveexec_b64 s[14:15], vcc
	s_xor_b64 s[14:15], exec, s[14:15]
; %bb.1685:
	v_bfe_u32 v8, v3, 21, 1
	s_mov_b32 s20, 0x80fffff
	v_add3_u32 v3, v3, v8, s20
	v_lshrrev_b32_e32 v8, 21, v3
                                        ; implicit-def: $vgpr3
; %bb.1686:
	s_andn2_saveexec_b64 s[14:15], s[14:15]
; %bb.1687:
	v_add_f32_e32 v8, 0x43000000, v3
; %bb.1688:
	s_or_b64 exec, exec, s[14:15]
                                        ; implicit-def: $vgpr3
.LBB371_1689:
	s_andn2_saveexec_b64 s[12:13], s[12:13]
; %bb.1690:
	s_mov_b32 s14, 0x7f800000
	v_mov_b32_e32 v8, 0x7c
	v_mov_b32_e32 v9, 0x7f
	v_cmp_lt_u32_e32 vcc, s14, v3
	v_cndmask_b32_e32 v8, v8, v9, vcc
; %bb.1691:
	s_or_b64 exec, exec, s[12:13]
	global_store_byte v[0:1], v8, off
.LBB371_1692:
	s_mov_b64 s[12:13], 0
	s_mov_b64 s[14:15], -1
.LBB371_1693:
	s_andn2_b64 vcc, exec, s[12:13]
	s_mov_b64 s[12:13], 0
	s_cbranch_vccnz .LBB371_1700
; %bb.1694:
	s_cmp_gt_i32 s25, 14
	s_mov_b64 s[20:21], -1
	s_cbranch_scc0 .LBB371_1698
; %bb.1695:
	s_cmp_eq_u32 s25, 15
	s_mov_b64 s[0:1], -1
	s_cbranch_scc0 .LBB371_1697
; %bb.1696:
	v_cndmask_b32_e64 v3, 0, 1.0, s[10:11]
	v_bfe_u32 v8, v3, 16, 1
	s_movk_i32 s0, 0x7fff
	v_add3_u32 v3, v3, v8, s0
	global_store_short_d16_hi v[0:1], v3, off
	s_mov_b64 s[0:1], 0
	s_mov_b64 s[14:15], -1
.LBB371_1697:
	s_mov_b64 s[20:21], 0
.LBB371_1698:
	s_and_b64 vcc, exec, s[20:21]
	s_cbranch_vccz .LBB371_1700
; %bb.1699:
	s_cmp_lg_u32 s25, 11
	s_mov_b64 s[12:13], -1
	s_cselect_b64 s[0:1], -1, 0
.LBB371_1700:
	s_and_b64 vcc, exec, s[0:1]
	s_cbranch_vccnz .LBB371_1994
; %bb.1701:
	s_andn2_b64 vcc, exec, s[12:13]
	s_cbranch_vccnz .LBB371_1703
.LBB371_1702:
	v_cndmask_b32_e64 v3, 0, 1, s[10:11]
	s_mov_b64 s[14:15], -1
	global_store_byte v[0:1], v3, off
.LBB371_1703:
	s_mov_b64 s[0:1], 0
	s_branch .LBB371_1705
.LBB371_1704:
	s_mov_b64 s[0:1], -1
	s_mov_b64 s[14:15], 0
.LBB371_1705:
	s_and_b64 vcc, exec, s[0:1]
	s_cbranch_vccz .LBB371_1744
; %bb.1706:
	s_and_b32 s12, 0xffff, s26
	s_cmp_lt_i32 s12, 5
	s_mov_b64 s[0:1], -1
	s_cbranch_scc1 .LBB371_1727
; %bb.1707:
	s_cmp_lt_i32 s12, 8
	s_cbranch_scc1 .LBB371_1717
; %bb.1708:
	s_cmp_lt_i32 s12, 9
	s_cbranch_scc1 .LBB371_1714
; %bb.1709:
	s_cmp_gt_i32 s12, 9
	s_cbranch_scc0 .LBB371_1711
; %bb.1710:
	v_cndmask_b32_e64 v3, 0, 1, s[10:11]
	v_cvt_f64_u32_e32 v[8:9], v3
	v_mov_b32_e32 v10, 0
	v_mov_b32_e32 v11, v10
	s_mov_b64 s[0:1], 0
	global_store_dwordx4 v[0:1], v[8:11], off
.LBB371_1711:
	s_andn2_b64 vcc, exec, s[0:1]
	s_cbranch_vccnz .LBB371_1713
; %bb.1712:
	v_cndmask_b32_e64 v8, 0, 1.0, s[10:11]
	v_mov_b32_e32 v9, 0
	global_store_dwordx2 v[0:1], v[8:9], off
.LBB371_1713:
	s_mov_b64 s[0:1], 0
.LBB371_1714:
	s_andn2_b64 vcc, exec, s[0:1]
	s_cbranch_vccnz .LBB371_1716
; %bb.1715:
	v_cndmask_b32_e64 v3, 0, 1.0, s[10:11]
	v_cvt_f16_f32_e32 v3, v3
	global_store_dword v[0:1], v3, off
.LBB371_1716:
	s_mov_b64 s[0:1], 0
.LBB371_1717:
	s_andn2_b64 vcc, exec, s[0:1]
	s_cbranch_vccnz .LBB371_1726
; %bb.1718:
	s_cmp_lt_i32 s12, 6
	s_mov_b64 s[0:1], -1
	s_cbranch_scc1 .LBB371_1724
; %bb.1719:
	s_cmp_gt_i32 s12, 6
	s_cbranch_scc0 .LBB371_1721
; %bb.1720:
	v_cndmask_b32_e64 v3, 0, 1, s[10:11]
	v_cvt_f64_u32_e32 v[8:9], v3
	s_mov_b64 s[0:1], 0
	global_store_dwordx2 v[0:1], v[8:9], off
.LBB371_1721:
	s_andn2_b64 vcc, exec, s[0:1]
	s_cbranch_vccnz .LBB371_1723
; %bb.1722:
	v_cndmask_b32_e64 v3, 0, 1.0, s[10:11]
	global_store_dword v[0:1], v3, off
.LBB371_1723:
	s_mov_b64 s[0:1], 0
.LBB371_1724:
	s_andn2_b64 vcc, exec, s[0:1]
	s_cbranch_vccnz .LBB371_1726
; %bb.1725:
	v_cndmask_b32_e64 v3, 0, 1.0, s[10:11]
	v_cvt_f16_f32_e32 v3, v3
	global_store_short v[0:1], v3, off
.LBB371_1726:
	s_mov_b64 s[0:1], 0
.LBB371_1727:
	s_andn2_b64 vcc, exec, s[0:1]
	s_cbranch_vccnz .LBB371_1743
; %bb.1728:
	s_cmp_lt_i32 s12, 2
	s_mov_b64 s[0:1], -1
	s_cbranch_scc1 .LBB371_1738
; %bb.1729:
	s_cmp_lt_i32 s12, 3
	s_cbranch_scc1 .LBB371_1735
; %bb.1730:
	s_cmp_gt_i32 s12, 3
	s_cbranch_scc0 .LBB371_1732
; %bb.1731:
	s_mov_b32 s0, 0
	v_cndmask_b32_e64 v8, 0, 1, s[10:11]
	v_mov_b32_e32 v9, s0
	global_store_dwordx2 v[0:1], v[8:9], off
	s_mov_b64 s[0:1], 0
.LBB371_1732:
	s_andn2_b64 vcc, exec, s[0:1]
	s_cbranch_vccnz .LBB371_1734
; %bb.1733:
	v_cndmask_b32_e64 v3, 0, 1, s[10:11]
	global_store_dword v[0:1], v3, off
.LBB371_1734:
	s_mov_b64 s[0:1], 0
.LBB371_1735:
	s_andn2_b64 vcc, exec, s[0:1]
	s_cbranch_vccnz .LBB371_1737
; %bb.1736:
	v_cndmask_b32_e64 v3, 0, 1, s[10:11]
	global_store_short v[0:1], v3, off
.LBB371_1737:
	s_mov_b64 s[0:1], 0
.LBB371_1738:
	s_andn2_b64 vcc, exec, s[0:1]
	s_cbranch_vccnz .LBB371_1743
; %bb.1739:
	s_mov_b64 s[0:1], -1
	s_cmp_gt_i32 s12, 0
	v_cndmask_b32_e64 v3, 0, 1, s[10:11]
	s_cbranch_scc0 .LBB371_1741
; %bb.1740:
	global_store_byte v[0:1], v3, off
	s_mov_b64 s[0:1], 0
.LBB371_1741:
	s_andn2_b64 vcc, exec, s[0:1]
	s_cbranch_vccnz .LBB371_1743
; %bb.1742:
	global_store_byte v[0:1], v3, off
.LBB371_1743:
	s_mov_b64 s[14:15], -1
.LBB371_1744:
	s_andn2_b64 vcc, exec, s[14:15]
	s_cbranch_vccnz .LBB371_1940
; %bb.1745:
	v_cmp_ne_u64_e32 vcc, s[2:3], v[4:5]
	v_add_u32_e32 v2, s24, v2
	s_xor_b64 s[10:11], s[4:5], vcc
	v_ashrrev_i32_e32 v1, 31, v2
	v_mov_b32_e32 v3, s9
	v_add_co_u32_e32 v0, vcc, s8, v2
	s_cmp_lt_i32 s26, 11
	v_addc_co_u32_e32 v1, vcc, v3, v1, vcc
	s_cbranch_scc1 .LBB371_1823
; %bb.1746:
	s_and_b32 s25, 0xffff, s26
	s_mov_b64 s[20:21], -1
	s_mov_b64 s[12:13], 0
	s_cmp_gt_i32 s25, 25
	s_mov_b64 s[14:15], 0
	s_mov_b64 s[0:1], 0
	s_cbranch_scc0 .LBB371_1779
; %bb.1747:
	s_cmp_gt_i32 s25, 28
	s_cbranch_scc0 .LBB371_1762
; %bb.1748:
	s_cmp_gt_i32 s25, 43
	;; [unrolled: 3-line block ×3, first 2 shown]
	s_cbranch_scc0 .LBB371_1752
; %bb.1750:
	s_mov_b64 s[0:1], -1
	s_mov_b64 s[20:21], 0
	s_cmp_eq_u32 s25, 46
	s_cbranch_scc0 .LBB371_1752
; %bb.1751:
	v_cndmask_b32_e64 v3, 0, 1.0, s[10:11]
	v_bfe_u32 v4, v3, 16, 1
	s_movk_i32 s0, 0x7fff
	v_add3_u32 v3, v3, v4, s0
	v_lshrrev_b32_e32 v3, 16, v3
	global_store_dword v[0:1], v3, off
	s_mov_b64 s[0:1], 0
	s_mov_b64 s[14:15], -1
.LBB371_1752:
	s_and_b64 vcc, exec, s[20:21]
	s_cbranch_vccz .LBB371_1757
; %bb.1753:
	s_cmp_eq_u32 s25, 44
	s_mov_b64 s[0:1], -1
	s_cbranch_scc0 .LBB371_1757
; %bb.1754:
	v_cndmask_b32_e64 v4, 0, 1.0, s[10:11]
	v_lshrrev_b32_e32 v3, 23, v4
	s_movk_i32 s0, 0xff
	v_cmp_ne_u32_e32 vcc, s0, v3
	v_mov_b32_e32 v5, 0xff
	s_and_saveexec_b64 s[14:15], vcc
; %bb.1755:
	s_mov_b32 s0, 0x3fffff
	v_and_b32_e32 v5, 0x400000, v4
	v_and_or_b32 v4, v4, s0, v3
	v_cmp_ne_u32_e32 vcc, 0, v5
	v_cmp_ne_u32_e64 s[0:1], 0, v4
	s_and_b64 s[0:1], vcc, s[0:1]
	v_cndmask_b32_e64 v4, 0, 1, s[0:1]
	v_add_u32_e32 v5, v3, v4
; %bb.1756:
	s_or_b64 exec, exec, s[14:15]
	s_mov_b64 s[0:1], 0
	s_mov_b64 s[14:15], -1
	global_store_byte v[0:1], v5, off
.LBB371_1757:
	s_mov_b64 s[20:21], 0
.LBB371_1758:
	s_and_b64 vcc, exec, s[20:21]
	s_cbranch_vccz .LBB371_1761
; %bb.1759:
	s_cmp_eq_u32 s25, 29
	s_mov_b64 s[0:1], -1
	s_cbranch_scc0 .LBB371_1761
; %bb.1760:
	s_mov_b32 s0, 0
	v_cndmask_b32_e64 v3, 0, 1, s[10:11]
	v_mov_b32_e32 v4, s0
	global_store_dwordx2 v[0:1], v[3:4], off
	s_mov_b64 s[0:1], 0
	s_mov_b64 s[14:15], -1
.LBB371_1761:
	s_mov_b64 s[20:21], 0
.LBB371_1762:
	s_and_b64 vcc, exec, s[20:21]
	s_cbranch_vccz .LBB371_1778
; %bb.1763:
	s_cmp_lt_i32 s25, 27
	s_mov_b64 s[14:15], -1
	s_cbranch_scc1 .LBB371_1769
; %bb.1764:
	s_cmp_gt_i32 s25, 27
	s_cbranch_scc0 .LBB371_1766
; %bb.1765:
	v_cndmask_b32_e64 v3, 0, 1, s[10:11]
	s_mov_b64 s[14:15], 0
	global_store_dword v[0:1], v3, off
.LBB371_1766:
	s_andn2_b64 vcc, exec, s[14:15]
	s_cbranch_vccnz .LBB371_1768
; %bb.1767:
	v_cndmask_b32_e64 v3, 0, 1, s[10:11]
	global_store_short v[0:1], v3, off
.LBB371_1768:
	s_mov_b64 s[14:15], 0
.LBB371_1769:
	s_andn2_b64 vcc, exec, s[14:15]
	s_cbranch_vccnz .LBB371_1777
; %bb.1770:
	v_cndmask_b32_e64 v4, 0, 1.0, s[10:11]
	s_mov_b32 s14, 0x43800000
	v_cmp_gt_u32_e32 vcc, s14, v4
	v_mov_b32_e32 v5, 0x80
	s_and_saveexec_b64 s[14:15], vcc
	s_cbranch_execz .LBB371_1776
; %bb.1771:
	s_mov_b32 s20, 0x3bffffff
	v_cmp_lt_u32_e32 vcc, s20, v4
	s_mov_b64 s[20:21], 0
                                        ; implicit-def: $vgpr3
	s_and_saveexec_b64 s[22:23], vcc
	s_xor_b64 s[22:23], exec, s[22:23]
	s_cbranch_execz .LBB371_1997
; %bb.1772:
	v_bfe_u32 v3, v4, 20, 1
	s_mov_b32 s27, 0x487ffff
	v_add3_u32 v3, v4, v3, s27
	s_mov_b64 s[20:21], exec
	v_lshrrev_b32_e32 v3, 20, v3
                                        ; implicit-def: $vgpr4
	s_andn2_saveexec_b64 s[22:23], s[22:23]
	s_cbranch_execnz .LBB371_1998
.LBB371_1773:
	s_or_b64 exec, exec, s[22:23]
	v_mov_b32_e32 v5, 0
	s_and_saveexec_b64 s[22:23], s[20:21]
.LBB371_1774:
	v_mov_b32_e32 v5, v3
.LBB371_1775:
	s_or_b64 exec, exec, s[22:23]
.LBB371_1776:
	s_or_b64 exec, exec, s[14:15]
	global_store_byte v[0:1], v5, off
.LBB371_1777:
	s_mov_b64 s[14:15], -1
.LBB371_1778:
	s_mov_b64 s[20:21], 0
.LBB371_1779:
	s_and_b64 vcc, exec, s[20:21]
	s_cbranch_vccz .LBB371_1819
; %bb.1780:
	s_cmp_gt_i32 s25, 22
	s_mov_b64 s[12:13], -1
	s_cbranch_scc0 .LBB371_1812
; %bb.1781:
	s_cmp_lt_i32 s25, 24
	s_cbranch_scc1 .LBB371_1801
; %bb.1782:
	s_cmp_gt_i32 s25, 24
	s_cbranch_scc0 .LBB371_1790
; %bb.1783:
	v_cndmask_b32_e64 v4, 0, 1.0, s[10:11]
	s_mov_b32 s12, 0x47800000
	v_cmp_gt_u32_e32 vcc, s12, v4
	v_mov_b32_e32 v5, 0x80
	s_and_saveexec_b64 s[12:13], vcc
	s_cbranch_execz .LBB371_1789
; %bb.1784:
	s_mov_b32 s14, 0x37ffffff
	v_cmp_lt_u32_e32 vcc, s14, v4
	s_mov_b64 s[14:15], 0
                                        ; implicit-def: $vgpr3
	s_and_saveexec_b64 s[20:21], vcc
	s_xor_b64 s[20:21], exec, s[20:21]
	s_cbranch_execz .LBB371_2000
; %bb.1785:
	v_bfe_u32 v3, v4, 21, 1
	s_mov_b32 s22, 0x88fffff
	v_add3_u32 v3, v4, v3, s22
	s_mov_b64 s[14:15], exec
	v_lshrrev_b32_e32 v3, 21, v3
                                        ; implicit-def: $vgpr4
	s_andn2_saveexec_b64 s[20:21], s[20:21]
	s_cbranch_execnz .LBB371_2001
.LBB371_1786:
	s_or_b64 exec, exec, s[20:21]
	v_mov_b32_e32 v5, 0
	s_and_saveexec_b64 s[20:21], s[14:15]
.LBB371_1787:
	v_mov_b32_e32 v5, v3
.LBB371_1788:
	s_or_b64 exec, exec, s[20:21]
.LBB371_1789:
	s_or_b64 exec, exec, s[12:13]
	s_mov_b64 s[12:13], 0
	global_store_byte v[0:1], v5, off
.LBB371_1790:
	s_and_b64 vcc, exec, s[12:13]
	s_cbranch_vccz .LBB371_1800
; %bb.1791:
	v_cndmask_b32_e64 v3, 0, 1.0, s[10:11]
	s_mov_b32 s12, 0x43f00000
	v_cmp_gt_u32_e32 vcc, s12, v3
                                        ; implicit-def: $vgpr4
	s_and_saveexec_b64 s[12:13], vcc
	s_xor_b64 s[12:13], exec, s[12:13]
	s_cbranch_execz .LBB371_1797
; %bb.1792:
	s_mov_b32 s14, 0x3c7fffff
	v_cmp_lt_u32_e32 vcc, s14, v3
                                        ; implicit-def: $vgpr4
	s_and_saveexec_b64 s[14:15], vcc
	s_xor_b64 s[14:15], exec, s[14:15]
; %bb.1793:
	v_bfe_u32 v4, v3, 20, 1
	s_mov_b32 s20, 0x407ffff
	v_add3_u32 v3, v3, v4, s20
	v_lshrrev_b32_e32 v4, 20, v3
	v_and_b32_e32 v3, 0xff00000, v3
	s_mov_b32 s20, 0x7f00000
	v_mov_b32_e32 v5, 0x7e
	v_cmp_ne_u32_e32 vcc, s20, v3
	v_cndmask_b32_e32 v4, v5, v4, vcc
                                        ; implicit-def: $vgpr3
; %bb.1794:
	s_andn2_saveexec_b64 s[14:15], s[14:15]
; %bb.1795:
	v_add_f32_e32 v4, 0x46800000, v3
; %bb.1796:
	s_or_b64 exec, exec, s[14:15]
                                        ; implicit-def: $vgpr3
.LBB371_1797:
	s_andn2_saveexec_b64 s[12:13], s[12:13]
; %bb.1798:
	s_mov_b32 s14, 0x7f800000
	v_mov_b32_e32 v4, 0x7e
	v_mov_b32_e32 v5, 0x7f
	v_cmp_lt_u32_e32 vcc, s14, v3
	v_cndmask_b32_e32 v4, v4, v5, vcc
; %bb.1799:
	s_or_b64 exec, exec, s[12:13]
	global_store_byte v[0:1], v4, off
.LBB371_1800:
	s_mov_b64 s[12:13], 0
.LBB371_1801:
	s_andn2_b64 vcc, exec, s[12:13]
	s_cbranch_vccnz .LBB371_1811
; %bb.1802:
	v_cndmask_b32_e64 v3, 0, 1.0, s[10:11]
	s_mov_b32 s12, 0x47800000
	v_cmp_gt_u32_e32 vcc, s12, v3
                                        ; implicit-def: $vgpr4
	s_and_saveexec_b64 s[12:13], vcc
	s_xor_b64 s[12:13], exec, s[12:13]
	s_cbranch_execz .LBB371_1808
; %bb.1803:
	s_mov_b32 s14, 0x387fffff
	v_cmp_lt_u32_e32 vcc, s14, v3
                                        ; implicit-def: $vgpr4
	s_and_saveexec_b64 s[14:15], vcc
	s_xor_b64 s[14:15], exec, s[14:15]
; %bb.1804:
	v_bfe_u32 v4, v3, 21, 1
	s_mov_b32 s20, 0x80fffff
	v_add3_u32 v3, v3, v4, s20
	v_lshrrev_b32_e32 v4, 21, v3
                                        ; implicit-def: $vgpr3
; %bb.1805:
	s_andn2_saveexec_b64 s[14:15], s[14:15]
; %bb.1806:
	v_add_f32_e32 v4, 0x43000000, v3
; %bb.1807:
	s_or_b64 exec, exec, s[14:15]
                                        ; implicit-def: $vgpr3
.LBB371_1808:
	s_andn2_saveexec_b64 s[12:13], s[12:13]
; %bb.1809:
	s_mov_b32 s14, 0x7f800000
	v_mov_b32_e32 v4, 0x7c
	v_mov_b32_e32 v5, 0x7f
	v_cmp_lt_u32_e32 vcc, s14, v3
	v_cndmask_b32_e32 v4, v4, v5, vcc
; %bb.1810:
	s_or_b64 exec, exec, s[12:13]
	global_store_byte v[0:1], v4, off
.LBB371_1811:
	s_mov_b64 s[12:13], 0
	s_mov_b64 s[14:15], -1
.LBB371_1812:
	s_andn2_b64 vcc, exec, s[12:13]
	s_mov_b64 s[12:13], 0
	s_cbranch_vccnz .LBB371_1819
; %bb.1813:
	s_cmp_gt_i32 s25, 14
	s_mov_b64 s[20:21], -1
	s_cbranch_scc0 .LBB371_1817
; %bb.1814:
	s_cmp_eq_u32 s25, 15
	s_mov_b64 s[0:1], -1
	s_cbranch_scc0 .LBB371_1816
; %bb.1815:
	v_cndmask_b32_e64 v3, 0, 1.0, s[10:11]
	v_bfe_u32 v4, v3, 16, 1
	s_movk_i32 s0, 0x7fff
	v_add3_u32 v3, v3, v4, s0
	global_store_short_d16_hi v[0:1], v3, off
	s_mov_b64 s[0:1], 0
	s_mov_b64 s[14:15], -1
.LBB371_1816:
	s_mov_b64 s[20:21], 0
.LBB371_1817:
	s_and_b64 vcc, exec, s[20:21]
	s_cbranch_vccz .LBB371_1819
; %bb.1818:
	s_cmp_lg_u32 s25, 11
	s_mov_b64 s[12:13], -1
	s_cselect_b64 s[0:1], -1, 0
.LBB371_1819:
	s_and_b64 vcc, exec, s[0:1]
	s_cbranch_vccnz .LBB371_1999
; %bb.1820:
	s_andn2_b64 vcc, exec, s[12:13]
	s_cbranch_vccnz .LBB371_1822
.LBB371_1821:
	v_cndmask_b32_e64 v3, 0, 1, s[10:11]
	s_mov_b64 s[14:15], -1
	global_store_byte v[0:1], v3, off
.LBB371_1822:
	s_mov_b64 s[0:1], 0
	s_branch .LBB371_1824
.LBB371_1823:
	s_mov_b64 s[0:1], -1
	s_mov_b64 s[14:15], 0
.LBB371_1824:
	s_and_b64 vcc, exec, s[0:1]
	s_cbranch_vccz .LBB371_1863
; %bb.1825:
	s_and_b32 s12, 0xffff, s26
	s_cmp_lt_i32 s12, 5
	s_mov_b64 s[0:1], -1
	s_cbranch_scc1 .LBB371_1846
; %bb.1826:
	s_cmp_lt_i32 s12, 8
	s_cbranch_scc1 .LBB371_1836
; %bb.1827:
	s_cmp_lt_i32 s12, 9
	s_cbranch_scc1 .LBB371_1833
; %bb.1828:
	s_cmp_gt_i32 s12, 9
	s_cbranch_scc0 .LBB371_1830
; %bb.1829:
	v_cndmask_b32_e64 v3, 0, 1, s[10:11]
	v_cvt_f64_u32_e32 v[8:9], v3
	v_mov_b32_e32 v10, 0
	v_mov_b32_e32 v11, v10
	s_mov_b64 s[0:1], 0
	global_store_dwordx4 v[0:1], v[8:11], off
.LBB371_1830:
	s_andn2_b64 vcc, exec, s[0:1]
	s_cbranch_vccnz .LBB371_1832
; %bb.1831:
	v_cndmask_b32_e64 v3, 0, 1.0, s[10:11]
	v_mov_b32_e32 v4, 0
	global_store_dwordx2 v[0:1], v[3:4], off
.LBB371_1832:
	s_mov_b64 s[0:1], 0
.LBB371_1833:
	s_andn2_b64 vcc, exec, s[0:1]
	s_cbranch_vccnz .LBB371_1835
; %bb.1834:
	v_cndmask_b32_e64 v3, 0, 1.0, s[10:11]
	v_cvt_f16_f32_e32 v3, v3
	global_store_dword v[0:1], v3, off
.LBB371_1835:
	s_mov_b64 s[0:1], 0
.LBB371_1836:
	s_andn2_b64 vcc, exec, s[0:1]
	s_cbranch_vccnz .LBB371_1845
; %bb.1837:
	s_cmp_lt_i32 s12, 6
	s_mov_b64 s[0:1], -1
	s_cbranch_scc1 .LBB371_1843
; %bb.1838:
	s_cmp_gt_i32 s12, 6
	s_cbranch_scc0 .LBB371_1840
; %bb.1839:
	v_cndmask_b32_e64 v3, 0, 1, s[10:11]
	v_cvt_f64_u32_e32 v[3:4], v3
	s_mov_b64 s[0:1], 0
	global_store_dwordx2 v[0:1], v[3:4], off
.LBB371_1840:
	s_andn2_b64 vcc, exec, s[0:1]
	s_cbranch_vccnz .LBB371_1842
; %bb.1841:
	v_cndmask_b32_e64 v3, 0, 1.0, s[10:11]
	global_store_dword v[0:1], v3, off
.LBB371_1842:
	s_mov_b64 s[0:1], 0
.LBB371_1843:
	s_andn2_b64 vcc, exec, s[0:1]
	s_cbranch_vccnz .LBB371_1845
; %bb.1844:
	v_cndmask_b32_e64 v3, 0, 1.0, s[10:11]
	v_cvt_f16_f32_e32 v3, v3
	global_store_short v[0:1], v3, off
.LBB371_1845:
	s_mov_b64 s[0:1], 0
.LBB371_1846:
	s_andn2_b64 vcc, exec, s[0:1]
	s_cbranch_vccnz .LBB371_1862
; %bb.1847:
	s_cmp_lt_i32 s12, 2
	s_mov_b64 s[0:1], -1
	s_cbranch_scc1 .LBB371_1857
; %bb.1848:
	s_cmp_lt_i32 s12, 3
	s_cbranch_scc1 .LBB371_1854
; %bb.1849:
	s_cmp_gt_i32 s12, 3
	s_cbranch_scc0 .LBB371_1851
; %bb.1850:
	s_mov_b32 s0, 0
	v_cndmask_b32_e64 v3, 0, 1, s[10:11]
	v_mov_b32_e32 v4, s0
	global_store_dwordx2 v[0:1], v[3:4], off
	s_mov_b64 s[0:1], 0
.LBB371_1851:
	s_andn2_b64 vcc, exec, s[0:1]
	s_cbranch_vccnz .LBB371_1853
; %bb.1852:
	v_cndmask_b32_e64 v3, 0, 1, s[10:11]
	global_store_dword v[0:1], v3, off
.LBB371_1853:
	s_mov_b64 s[0:1], 0
.LBB371_1854:
	s_andn2_b64 vcc, exec, s[0:1]
	s_cbranch_vccnz .LBB371_1856
; %bb.1855:
	v_cndmask_b32_e64 v3, 0, 1, s[10:11]
	global_store_short v[0:1], v3, off
.LBB371_1856:
	s_mov_b64 s[0:1], 0
.LBB371_1857:
	s_andn2_b64 vcc, exec, s[0:1]
	s_cbranch_vccnz .LBB371_1862
; %bb.1858:
	s_mov_b64 s[0:1], -1
	s_cmp_gt_i32 s12, 0
	v_cndmask_b32_e64 v3, 0, 1, s[10:11]
	s_cbranch_scc0 .LBB371_1860
; %bb.1859:
	global_store_byte v[0:1], v3, off
	s_mov_b64 s[0:1], 0
.LBB371_1860:
	s_andn2_b64 vcc, exec, s[0:1]
	s_cbranch_vccnz .LBB371_1862
; %bb.1861:
	global_store_byte v[0:1], v3, off
.LBB371_1862:
	s_mov_b64 s[14:15], -1
.LBB371_1863:
	s_andn2_b64 vcc, exec, s[14:15]
	s_cbranch_vccnz .LBB371_1940
; %bb.1864:
	v_cmp_ne_u64_e32 vcc, s[2:3], v[6:7]
	v_add_u32_e32 v0, s24, v2
	s_xor_b64 s[20:21], s[4:5], vcc
	v_ashrrev_i32_e32 v1, 31, v0
	v_mov_b32_e32 v2, s9
	v_add_co_u32_e32 v0, vcc, s8, v0
	s_cmp_lt_i32 s26, 11
	v_addc_co_u32_e32 v1, vcc, v2, v1, vcc
	s_cbranch_scc1 .LBB371_1985
; %bb.1865:
	s_and_b32 s12, 0xffff, s26
	s_mov_b64 s[4:5], -1
	s_mov_b64 s[2:3], 0
	s_cmp_gt_i32 s12, 25
	s_mov_b64 s[0:1], 0
	s_cbranch_scc0 .LBB371_1898
; %bb.1866:
	s_cmp_gt_i32 s12, 28
	s_cbranch_scc0 .LBB371_1882
; %bb.1867:
	s_cmp_gt_i32 s12, 43
	;; [unrolled: 3-line block ×3, first 2 shown]
	s_cbranch_scc0 .LBB371_1872
; %bb.1869:
	s_cmp_eq_u32 s12, 46
	s_mov_b64 s[0:1], -1
	s_cbranch_scc0 .LBB371_1871
; %bb.1870:
	v_cndmask_b32_e64 v2, 0, 1.0, s[20:21]
	v_bfe_u32 v3, v2, 16, 1
	s_movk_i32 s0, 0x7fff
	v_add3_u32 v2, v2, v3, s0
	v_lshrrev_b32_e32 v2, 16, v2
	global_store_dword v[0:1], v2, off
	s_mov_b64 s[0:1], 0
.LBB371_1871:
	s_mov_b64 s[4:5], 0
.LBB371_1872:
	s_and_b64 vcc, exec, s[4:5]
	s_cbranch_vccz .LBB371_1877
; %bb.1873:
	s_cmp_eq_u32 s12, 44
	s_mov_b64 s[0:1], -1
	s_cbranch_scc0 .LBB371_1877
; %bb.1874:
	v_cndmask_b32_e64 v3, 0, 1.0, s[20:21]
	v_lshrrev_b32_e32 v2, 23, v3
	s_movk_i32 s0, 0xff
	v_cmp_ne_u32_e32 vcc, s0, v2
	v_mov_b32_e32 v4, 0xff
	s_and_saveexec_b64 s[4:5], vcc
; %bb.1875:
	s_mov_b32 s0, 0x3fffff
	v_and_b32_e32 v4, 0x400000, v3
	v_and_or_b32 v3, v3, s0, v2
	v_cmp_ne_u32_e32 vcc, 0, v4
	v_cmp_ne_u32_e64 s[0:1], 0, v3
	s_and_b64 s[0:1], vcc, s[0:1]
	v_cndmask_b32_e64 v3, 0, 1, s[0:1]
	v_add_u32_e32 v4, v2, v3
; %bb.1876:
	s_or_b64 exec, exec, s[4:5]
	s_mov_b64 s[0:1], 0
	global_store_byte v[0:1], v4, off
.LBB371_1877:
	s_mov_b64 s[4:5], 0
.LBB371_1878:
	s_and_b64 vcc, exec, s[4:5]
	s_cbranch_vccz .LBB371_1881
; %bb.1879:
	s_cmp_eq_u32 s12, 29
	s_mov_b64 s[0:1], -1
	s_cbranch_scc0 .LBB371_1881
; %bb.1880:
	s_mov_b32 s0, 0
	v_cndmask_b32_e64 v2, 0, 1, s[20:21]
	v_mov_b32_e32 v3, s0
	global_store_dwordx2 v[0:1], v[2:3], off
	s_mov_b64 s[0:1], 0
.LBB371_1881:
	s_mov_b64 s[4:5], 0
.LBB371_1882:
	s_and_b64 vcc, exec, s[4:5]
	s_cbranch_vccz .LBB371_1897
; %bb.1883:
	s_cmp_lt_i32 s12, 27
	s_mov_b64 s[4:5], -1
	s_cbranch_scc1 .LBB371_1889
; %bb.1884:
	s_cmp_gt_i32 s12, 27
	v_cndmask_b32_e64 v2, 0, 1, s[20:21]
	s_cbranch_scc0 .LBB371_1886
; %bb.1885:
	global_store_dword v[0:1], v2, off
	s_mov_b64 s[4:5], 0
.LBB371_1886:
	s_andn2_b64 vcc, exec, s[4:5]
	s_cbranch_vccnz .LBB371_1888
; %bb.1887:
	global_store_short v[0:1], v2, off
.LBB371_1888:
	s_mov_b64 s[4:5], 0
.LBB371_1889:
	s_andn2_b64 vcc, exec, s[4:5]
	s_cbranch_vccnz .LBB371_1897
; %bb.1890:
	v_cndmask_b32_e64 v3, 0, 1.0, s[20:21]
	s_mov_b32 s4, 0x43800000
	v_cmp_gt_u32_e32 vcc, s4, v3
	v_mov_b32_e32 v4, 0x80
	s_and_saveexec_b64 s[4:5], vcc
	s_cbranch_execz .LBB371_1896
; %bb.1891:
	s_mov_b32 s8, 0x3bffffff
	v_cmp_lt_u32_e32 vcc, s8, v3
	s_mov_b64 s[8:9], 0
                                        ; implicit-def: $vgpr2
	s_and_saveexec_b64 s[10:11], vcc
	s_xor_b64 s[10:11], exec, s[10:11]
	s_cbranch_execz .LBB371_2002
; %bb.1892:
	v_bfe_u32 v2, v3, 20, 1
	s_mov_b32 s13, 0x487ffff
	v_add3_u32 v2, v3, v2, s13
	s_mov_b64 s[8:9], exec
	v_lshrrev_b32_e32 v2, 20, v2
                                        ; implicit-def: $vgpr3
	s_andn2_saveexec_b64 s[10:11], s[10:11]
	s_cbranch_execnz .LBB371_2003
.LBB371_1893:
	s_or_b64 exec, exec, s[10:11]
	v_mov_b32_e32 v4, 0
	s_and_saveexec_b64 s[10:11], s[8:9]
.LBB371_1894:
	v_mov_b32_e32 v4, v2
.LBB371_1895:
	s_or_b64 exec, exec, s[10:11]
.LBB371_1896:
	s_or_b64 exec, exec, s[4:5]
	global_store_byte v[0:1], v4, off
.LBB371_1897:
	s_mov_b64 s[4:5], 0
.LBB371_1898:
	s_and_b64 vcc, exec, s[4:5]
	s_cbranch_vccz .LBB371_1938
; %bb.1899:
	s_cmp_gt_i32 s12, 22
	s_mov_b64 s[2:3], -1
	s_cbranch_scc0 .LBB371_1931
; %bb.1900:
	s_cmp_lt_i32 s12, 24
	s_cbranch_scc1 .LBB371_1920
; %bb.1901:
	s_cmp_gt_i32 s12, 24
	s_cbranch_scc0 .LBB371_1909
; %bb.1902:
	v_cndmask_b32_e64 v3, 0, 1.0, s[20:21]
	s_mov_b32 s2, 0x47800000
	v_cmp_gt_u32_e32 vcc, s2, v3
	v_mov_b32_e32 v4, 0x80
	s_and_saveexec_b64 s[2:3], vcc
	s_cbranch_execz .LBB371_1908
; %bb.1903:
	s_mov_b32 s4, 0x37ffffff
	v_cmp_lt_u32_e32 vcc, s4, v3
	s_mov_b64 s[4:5], 0
                                        ; implicit-def: $vgpr2
	s_and_saveexec_b64 s[8:9], vcc
	s_xor_b64 s[8:9], exec, s[8:9]
	s_cbranch_execz .LBB371_2005
; %bb.1904:
	v_bfe_u32 v2, v3, 21, 1
	s_mov_b32 s10, 0x88fffff
	v_add3_u32 v2, v3, v2, s10
	s_mov_b64 s[4:5], exec
	v_lshrrev_b32_e32 v2, 21, v2
                                        ; implicit-def: $vgpr3
	s_andn2_saveexec_b64 s[8:9], s[8:9]
	s_cbranch_execnz .LBB371_2006
.LBB371_1905:
	s_or_b64 exec, exec, s[8:9]
	v_mov_b32_e32 v4, 0
	s_and_saveexec_b64 s[8:9], s[4:5]
.LBB371_1906:
	v_mov_b32_e32 v4, v2
.LBB371_1907:
	s_or_b64 exec, exec, s[8:9]
.LBB371_1908:
	s_or_b64 exec, exec, s[2:3]
	s_mov_b64 s[2:3], 0
	global_store_byte v[0:1], v4, off
.LBB371_1909:
	s_and_b64 vcc, exec, s[2:3]
	s_cbranch_vccz .LBB371_1919
; %bb.1910:
	v_cndmask_b32_e64 v2, 0, 1.0, s[20:21]
	s_mov_b32 s2, 0x43f00000
	v_cmp_gt_u32_e32 vcc, s2, v2
                                        ; implicit-def: $vgpr3
	s_and_saveexec_b64 s[2:3], vcc
	s_xor_b64 s[2:3], exec, s[2:3]
	s_cbranch_execz .LBB371_1916
; %bb.1911:
	s_mov_b32 s4, 0x3c7fffff
	v_cmp_lt_u32_e32 vcc, s4, v2
                                        ; implicit-def: $vgpr3
	s_and_saveexec_b64 s[4:5], vcc
	s_xor_b64 s[4:5], exec, s[4:5]
; %bb.1912:
	v_bfe_u32 v3, v2, 20, 1
	s_mov_b32 s8, 0x407ffff
	v_add3_u32 v2, v2, v3, s8
	v_lshrrev_b32_e32 v3, 20, v2
	v_and_b32_e32 v2, 0xff00000, v2
	s_mov_b32 s8, 0x7f00000
	v_mov_b32_e32 v4, 0x7e
	v_cmp_ne_u32_e32 vcc, s8, v2
	v_cndmask_b32_e32 v3, v4, v3, vcc
                                        ; implicit-def: $vgpr2
; %bb.1913:
	s_andn2_saveexec_b64 s[4:5], s[4:5]
; %bb.1914:
	v_add_f32_e32 v3, 0x46800000, v2
; %bb.1915:
	s_or_b64 exec, exec, s[4:5]
                                        ; implicit-def: $vgpr2
.LBB371_1916:
	s_andn2_saveexec_b64 s[2:3], s[2:3]
; %bb.1917:
	s_mov_b32 s4, 0x7f800000
	v_mov_b32_e32 v3, 0x7e
	v_mov_b32_e32 v4, 0x7f
	v_cmp_lt_u32_e32 vcc, s4, v2
	v_cndmask_b32_e32 v3, v3, v4, vcc
; %bb.1918:
	s_or_b64 exec, exec, s[2:3]
	global_store_byte v[0:1], v3, off
.LBB371_1919:
	s_mov_b64 s[2:3], 0
.LBB371_1920:
	s_andn2_b64 vcc, exec, s[2:3]
	s_cbranch_vccnz .LBB371_1930
; %bb.1921:
	v_cndmask_b32_e64 v2, 0, 1.0, s[20:21]
	s_mov_b32 s2, 0x47800000
	v_cmp_gt_u32_e32 vcc, s2, v2
                                        ; implicit-def: $vgpr3
	s_and_saveexec_b64 s[2:3], vcc
	s_xor_b64 s[2:3], exec, s[2:3]
	s_cbranch_execz .LBB371_1927
; %bb.1922:
	s_mov_b32 s4, 0x387fffff
	v_cmp_lt_u32_e32 vcc, s4, v2
                                        ; implicit-def: $vgpr3
	s_and_saveexec_b64 s[4:5], vcc
	s_xor_b64 s[4:5], exec, s[4:5]
; %bb.1923:
	v_bfe_u32 v3, v2, 21, 1
	s_mov_b32 s8, 0x80fffff
	v_add3_u32 v2, v2, v3, s8
	v_lshrrev_b32_e32 v3, 21, v2
                                        ; implicit-def: $vgpr2
; %bb.1924:
	s_andn2_saveexec_b64 s[4:5], s[4:5]
; %bb.1925:
	v_add_f32_e32 v3, 0x43000000, v2
; %bb.1926:
	s_or_b64 exec, exec, s[4:5]
                                        ; implicit-def: $vgpr2
.LBB371_1927:
	s_andn2_saveexec_b64 s[2:3], s[2:3]
; %bb.1928:
	s_mov_b32 s4, 0x7f800000
	v_mov_b32_e32 v3, 0x7c
	v_mov_b32_e32 v4, 0x7f
	v_cmp_lt_u32_e32 vcc, s4, v2
	v_cndmask_b32_e32 v3, v3, v4, vcc
; %bb.1929:
	s_or_b64 exec, exec, s[2:3]
	global_store_byte v[0:1], v3, off
.LBB371_1930:
	s_mov_b64 s[2:3], 0
.LBB371_1931:
	s_andn2_b64 vcc, exec, s[2:3]
	s_mov_b64 s[2:3], 0
	s_cbranch_vccnz .LBB371_1938
; %bb.1932:
	s_cmp_gt_i32 s12, 14
	s_mov_b64 s[4:5], -1
	s_cbranch_scc0 .LBB371_1936
; %bb.1933:
	s_cmp_eq_u32 s12, 15
	s_mov_b64 s[0:1], -1
	s_cbranch_scc0 .LBB371_1935
; %bb.1934:
	v_cndmask_b32_e64 v2, 0, 1.0, s[20:21]
	v_bfe_u32 v3, v2, 16, 1
	s_movk_i32 s0, 0x7fff
	v_add3_u32 v2, v2, v3, s0
	global_store_short_d16_hi v[0:1], v2, off
	s_mov_b64 s[0:1], 0
.LBB371_1935:
	s_mov_b64 s[4:5], 0
.LBB371_1936:
	s_and_b64 vcc, exec, s[4:5]
	s_cbranch_vccz .LBB371_1938
; %bb.1937:
	s_cmp_lg_u32 s12, 11
	s_mov_b64 s[2:3], -1
	s_cselect_b64 s[0:1], -1, 0
.LBB371_1938:
	s_and_b64 vcc, exec, s[0:1]
	s_cbranch_vccnz .LBB371_2004
.LBB371_1939:
	s_mov_b64 s[0:1], 0
	s_branch .LBB371_1941
.LBB371_1940:
	s_mov_b64 s[0:1], 0
	s_mov_b64 s[2:3], 0
                                        ; implicit-def: $sgpr20_sgpr21
                                        ; implicit-def: $sgpr26
                                        ; implicit-def: $vgpr0_vgpr1
.LBB371_1941:
	s_and_b64 s[4:5], s[2:3], exec
	s_andn2_b64 s[2:3], s[16:17], exec
	s_and_b64 s[8:9], s[18:19], exec
	s_and_b64 s[0:1], s[0:1], exec
	s_or_b64 s[16:17], s[2:3], s[8:9]
.LBB371_1942:
	s_or_b64 exec, exec, s[6:7]
	s_and_saveexec_b64 s[2:3], s[16:17]
	s_cbranch_execz .LBB371_1945
; %bb.1943:
	; divergent unreachable
	s_or_b64 exec, exec, s[2:3]
	s_and_saveexec_b64 s[2:3], s[4:5]
	s_xor_b64 s[2:3], exec, s[2:3]
	s_cbranch_execnz .LBB371_1946
.LBB371_1944:
	s_or_b64 exec, exec, s[2:3]
	s_and_saveexec_b64 s[2:3], s[0:1]
	s_cbranch_execnz .LBB371_1947
	s_branch .LBB371_1984
.LBB371_1945:
	s_or_b64 exec, exec, s[2:3]
	s_and_saveexec_b64 s[2:3], s[4:5]
	s_xor_b64 s[2:3], exec, s[2:3]
	s_cbranch_execz .LBB371_1944
.LBB371_1946:
	s_waitcnt vmcnt(0)
	v_cndmask_b32_e64 v2, 0, 1, s[20:21]
	global_store_byte v[0:1], v2, off
	s_or_b64 exec, exec, s[2:3]
	s_and_saveexec_b64 s[2:3], s[0:1]
	s_cbranch_execz .LBB371_1984
.LBB371_1947:
	s_sext_i32_i16 s2, s26
	s_cmp_lt_i32 s2, 5
	s_mov_b64 s[0:1], -1
	s_cbranch_scc1 .LBB371_1968
; %bb.1948:
	s_cmp_lt_i32 s2, 8
	s_cbranch_scc1 .LBB371_1958
; %bb.1949:
	s_cmp_lt_i32 s2, 9
	s_cbranch_scc1 .LBB371_1955
; %bb.1950:
	s_cmp_gt_i32 s2, 9
	s_cbranch_scc0 .LBB371_1952
; %bb.1951:
	s_waitcnt vmcnt(0)
	v_cndmask_b32_e64 v2, 0, 1, s[20:21]
	v_cvt_f64_u32_e32 v[2:3], v2
	v_mov_b32_e32 v4, 0
	v_mov_b32_e32 v5, v4
	s_mov_b64 s[0:1], 0
	global_store_dwordx4 v[0:1], v[2:5], off
.LBB371_1952:
	s_andn2_b64 vcc, exec, s[0:1]
	s_cbranch_vccnz .LBB371_1954
; %bb.1953:
	s_waitcnt vmcnt(0)
	v_cndmask_b32_e64 v2, 0, 1.0, s[20:21]
	v_mov_b32_e32 v3, 0
	global_store_dwordx2 v[0:1], v[2:3], off
.LBB371_1954:
	s_mov_b64 s[0:1], 0
.LBB371_1955:
	s_andn2_b64 vcc, exec, s[0:1]
	s_cbranch_vccnz .LBB371_1957
; %bb.1956:
	s_waitcnt vmcnt(0)
	v_cndmask_b32_e64 v2, 0, 1.0, s[20:21]
	v_cvt_f16_f32_e32 v2, v2
	global_store_dword v[0:1], v2, off
.LBB371_1957:
	s_mov_b64 s[0:1], 0
.LBB371_1958:
	s_andn2_b64 vcc, exec, s[0:1]
	s_cbranch_vccnz .LBB371_1967
; %bb.1959:
	s_sext_i32_i16 s2, s26
	s_cmp_lt_i32 s2, 6
	s_mov_b64 s[0:1], -1
	s_cbranch_scc1 .LBB371_1965
; %bb.1960:
	s_cmp_gt_i32 s2, 6
	s_cbranch_scc0 .LBB371_1962
; %bb.1961:
	s_waitcnt vmcnt(0)
	v_cndmask_b32_e64 v2, 0, 1, s[20:21]
	v_cvt_f64_u32_e32 v[2:3], v2
	s_mov_b64 s[0:1], 0
	global_store_dwordx2 v[0:1], v[2:3], off
.LBB371_1962:
	s_andn2_b64 vcc, exec, s[0:1]
	s_cbranch_vccnz .LBB371_1964
; %bb.1963:
	s_waitcnt vmcnt(0)
	v_cndmask_b32_e64 v2, 0, 1.0, s[20:21]
	global_store_dword v[0:1], v2, off
.LBB371_1964:
	s_mov_b64 s[0:1], 0
.LBB371_1965:
	s_andn2_b64 vcc, exec, s[0:1]
	s_cbranch_vccnz .LBB371_1967
; %bb.1966:
	s_waitcnt vmcnt(0)
	v_cndmask_b32_e64 v2, 0, 1.0, s[20:21]
	v_cvt_f16_f32_e32 v2, v2
	global_store_short v[0:1], v2, off
.LBB371_1967:
	s_mov_b64 s[0:1], 0
.LBB371_1968:
	s_andn2_b64 vcc, exec, s[0:1]
	s_cbranch_vccnz .LBB371_1984
; %bb.1969:
	s_sext_i32_i16 s2, s26
	s_cmp_lt_i32 s2, 2
	s_mov_b64 s[0:1], -1
	s_cbranch_scc1 .LBB371_1979
; %bb.1970:
	s_cmp_lt_i32 s2, 3
	s_cbranch_scc1 .LBB371_1976
; %bb.1971:
	s_cmp_gt_i32 s2, 3
	s_cbranch_scc0 .LBB371_1973
; %bb.1972:
	s_mov_b32 s0, 0
	s_waitcnt vmcnt(0)
	v_cndmask_b32_e64 v2, 0, 1, s[20:21]
	v_mov_b32_e32 v3, s0
	global_store_dwordx2 v[0:1], v[2:3], off
	s_mov_b64 s[0:1], 0
.LBB371_1973:
	s_andn2_b64 vcc, exec, s[0:1]
	s_cbranch_vccnz .LBB371_1975
; %bb.1974:
	s_waitcnt vmcnt(0)
	v_cndmask_b32_e64 v2, 0, 1, s[20:21]
	global_store_dword v[0:1], v2, off
.LBB371_1975:
	s_mov_b64 s[0:1], 0
.LBB371_1976:
	s_andn2_b64 vcc, exec, s[0:1]
	s_cbranch_vccnz .LBB371_1978
; %bb.1977:
	s_waitcnt vmcnt(0)
	v_cndmask_b32_e64 v2, 0, 1, s[20:21]
	global_store_short v[0:1], v2, off
.LBB371_1978:
	s_mov_b64 s[0:1], 0
.LBB371_1979:
	s_andn2_b64 vcc, exec, s[0:1]
	s_cbranch_vccnz .LBB371_1984
; %bb.1980:
	s_sext_i32_i16 s2, s26
	s_mov_b64 s[0:1], -1
	s_cmp_gt_i32 s2, 0
	s_waitcnt vmcnt(0)
	v_cndmask_b32_e64 v2, 0, 1, s[20:21]
	s_cbranch_scc0 .LBB371_1982
; %bb.1981:
	global_store_byte v[0:1], v2, off
	s_mov_b64 s[0:1], 0
.LBB371_1982:
	s_andn2_b64 vcc, exec, s[0:1]
	s_cbranch_vccnz .LBB371_1984
; %bb.1983:
	global_store_byte v[0:1], v2, off
	s_endpgm
.LBB371_1984:
	s_endpgm
.LBB371_1985:
	s_mov_b64 s[2:3], 0
	s_mov_b64 s[0:1], -1
	s_branch .LBB371_1941
.LBB371_1986:
	s_trap 2
	s_or_b64 s[18:19], s[18:19], exec
	s_cbranch_execz .LBB371_1455
	s_branch .LBB371_1456
.LBB371_1987:
	s_andn2_saveexec_b64 s[24:25], s[24:25]
	s_cbranch_execz .LBB371_1535
.LBB371_1988:
	v_add_f32_e32 v9, 0x46000000, v10
	v_and_b32_e32 v9, 0xff, v9
	v_cmp_ne_u32_e32 vcc, 0, v9
	s_andn2_b64 s[22:23], s[22:23], exec
	s_and_b64 s[28:29], vcc, exec
	s_or_b64 s[22:23], s[22:23], s[28:29]
	s_or_b64 exec, exec, s[24:25]
	v_mov_b32_e32 v11, 0
	s_and_saveexec_b64 s[24:25], s[22:23]
	s_cbranch_execnz .LBB371_1536
	s_branch .LBB371_1537
.LBB371_1989:
	s_trap 2
	s_or_b64 s[18:19], s[18:19], exec
	s_cbranch_execz .LBB371_1583
	s_branch .LBB371_1584
.LBB371_1990:
	s_andn2_saveexec_b64 s[22:23], s[22:23]
	s_cbranch_execz .LBB371_1548
.LBB371_1991:
	v_add_f32_e32 v9, 0x42800000, v10
	v_and_b32_e32 v9, 0xff, v9
	v_cmp_ne_u32_e32 vcc, 0, v9
	s_andn2_b64 s[20:21], s[20:21], exec
	s_and_b64 s[24:25], vcc, exec
	s_or_b64 s[20:21], s[20:21], s[24:25]
	s_or_b64 exec, exec, s[22:23]
	v_mov_b32_e32 v11, 0
	s_and_saveexec_b64 s[22:23], s[20:21]
	s_cbranch_execnz .LBB371_1549
	s_branch .LBB371_1550
.LBB371_1992:
	s_andn2_saveexec_b64 s[22:23], s[22:23]
	s_cbranch_execz .LBB371_1654
.LBB371_1993:
	v_add_f32_e32 v3, 0x46000000, v8
	v_and_b32_e32 v3, 0xff, v3
	v_cmp_ne_u32_e32 vcc, 0, v3
	s_andn2_b64 s[20:21], s[20:21], exec
	s_and_b64 s[28:29], vcc, exec
	s_or_b64 s[20:21], s[20:21], s[28:29]
	s_or_b64 exec, exec, s[22:23]
	v_mov_b32_e32 v9, 0
	s_and_saveexec_b64 s[22:23], s[20:21]
	s_cbranch_execnz .LBB371_1655
	s_branch .LBB371_1656
.LBB371_1994:
	s_trap 2
	s_or_b64 s[18:19], s[18:19], exec
	s_cbranch_execz .LBB371_1702
	s_branch .LBB371_1703
.LBB371_1995:
	s_andn2_saveexec_b64 s[20:21], s[20:21]
	s_cbranch_execz .LBB371_1667
.LBB371_1996:
	v_add_f32_e32 v3, 0x42800000, v8
	v_and_b32_e32 v3, 0xff, v3
	v_cmp_ne_u32_e32 vcc, 0, v3
	s_andn2_b64 s[14:15], s[14:15], exec
	s_and_b64 s[22:23], vcc, exec
	s_or_b64 s[14:15], s[14:15], s[22:23]
	s_or_b64 exec, exec, s[20:21]
	v_mov_b32_e32 v9, 0
	s_and_saveexec_b64 s[20:21], s[14:15]
	s_cbranch_execnz .LBB371_1668
	s_branch .LBB371_1669
.LBB371_1997:
	s_andn2_saveexec_b64 s[22:23], s[22:23]
	s_cbranch_execz .LBB371_1773
.LBB371_1998:
	v_add_f32_e32 v3, 0x46000000, v4
	v_and_b32_e32 v3, 0xff, v3
	v_cmp_ne_u32_e32 vcc, 0, v3
	s_andn2_b64 s[20:21], s[20:21], exec
	s_and_b64 s[28:29], vcc, exec
	s_or_b64 s[20:21], s[20:21], s[28:29]
	s_or_b64 exec, exec, s[22:23]
	v_mov_b32_e32 v5, 0
	s_and_saveexec_b64 s[22:23], s[20:21]
	s_cbranch_execnz .LBB371_1774
	s_branch .LBB371_1775
.LBB371_1999:
	s_trap 2
	s_or_b64 s[18:19], s[18:19], exec
	s_cbranch_execz .LBB371_1821
	s_branch .LBB371_1822
.LBB371_2000:
	s_andn2_saveexec_b64 s[20:21], s[20:21]
	s_cbranch_execz .LBB371_1786
.LBB371_2001:
	v_add_f32_e32 v3, 0x42800000, v4
	v_and_b32_e32 v3, 0xff, v3
	v_cmp_ne_u32_e32 vcc, 0, v3
	s_andn2_b64 s[14:15], s[14:15], exec
	s_and_b64 s[22:23], vcc, exec
	s_or_b64 s[14:15], s[14:15], s[22:23]
	s_or_b64 exec, exec, s[20:21]
	v_mov_b32_e32 v5, 0
	s_and_saveexec_b64 s[20:21], s[14:15]
	s_cbranch_execnz .LBB371_1787
	s_branch .LBB371_1788
.LBB371_2002:
	s_andn2_saveexec_b64 s[10:11], s[10:11]
	s_cbranch_execz .LBB371_1893
.LBB371_2003:
	v_add_f32_e32 v2, 0x46000000, v3
	v_and_b32_e32 v2, 0xff, v2
	v_cmp_ne_u32_e32 vcc, 0, v2
	s_andn2_b64 s[8:9], s[8:9], exec
	s_and_b64 s[14:15], vcc, exec
	s_or_b64 s[8:9], s[8:9], s[14:15]
	s_or_b64 exec, exec, s[10:11]
	v_mov_b32_e32 v4, 0
	s_and_saveexec_b64 s[10:11], s[8:9]
	s_cbranch_execnz .LBB371_1894
	s_branch .LBB371_1895
.LBB371_2004:
	s_mov_b64 s[2:3], 0
	s_or_b64 s[18:19], s[18:19], exec
	s_trap 2
	s_branch .LBB371_1939
.LBB371_2005:
	s_andn2_saveexec_b64 s[8:9], s[8:9]
	s_cbranch_execz .LBB371_1905
.LBB371_2006:
	v_add_f32_e32 v2, 0x42800000, v3
	v_and_b32_e32 v2, 0xff, v2
	v_cmp_ne_u32_e32 vcc, 0, v2
	s_andn2_b64 s[4:5], s[4:5], exec
	s_and_b64 s[10:11], vcc, exec
	s_or_b64 s[4:5], s[4:5], s[10:11]
	s_or_b64 exec, exec, s[8:9]
	v_mov_b32_e32 v4, 0
	s_and_saveexec_b64 s[8:9], s[4:5]
	s_cbranch_execnz .LBB371_1906
	s_branch .LBB371_1907
	.section	.rodata,"a",@progbits
	.p2align	6, 0x0
	.amdhsa_kernel _ZN2at6native32elementwise_kernel_manual_unrollILi128ELi4EZNS0_15gpu_kernel_implINS0_13AUnaryFunctorImmbNS0_12_GLOBAL__N_116CompareEqFunctorImEEEEEEvRNS_18TensorIteratorBaseERKT_EUlibE_EEviT1_
		.amdhsa_group_segment_fixed_size 0
		.amdhsa_private_segment_fixed_size 0
		.amdhsa_kernarg_size 56
		.amdhsa_user_sgpr_count 6
		.amdhsa_user_sgpr_private_segment_buffer 1
		.amdhsa_user_sgpr_dispatch_ptr 0
		.amdhsa_user_sgpr_queue_ptr 0
		.amdhsa_user_sgpr_kernarg_segment_ptr 1
		.amdhsa_user_sgpr_dispatch_id 0
		.amdhsa_user_sgpr_flat_scratch_init 0
		.amdhsa_user_sgpr_private_segment_size 0
		.amdhsa_uses_dynamic_stack 0
		.amdhsa_system_sgpr_private_segment_wavefront_offset 0
		.amdhsa_system_sgpr_workgroup_id_x 1
		.amdhsa_system_sgpr_workgroup_id_y 0
		.amdhsa_system_sgpr_workgroup_id_z 0
		.amdhsa_system_sgpr_workgroup_info 0
		.amdhsa_system_vgpr_workitem_id 0
		.amdhsa_next_free_vgpr 15
		.amdhsa_next_free_sgpr 50
		.amdhsa_reserve_vcc 1
		.amdhsa_reserve_flat_scratch 0
		.amdhsa_float_round_mode_32 0
		.amdhsa_float_round_mode_16_64 0
		.amdhsa_float_denorm_mode_32 3
		.amdhsa_float_denorm_mode_16_64 3
		.amdhsa_dx10_clamp 1
		.amdhsa_ieee_mode 1
		.amdhsa_fp16_overflow 0
		.amdhsa_exception_fp_ieee_invalid_op 0
		.amdhsa_exception_fp_denorm_src 0
		.amdhsa_exception_fp_ieee_div_zero 0
		.amdhsa_exception_fp_ieee_overflow 0
		.amdhsa_exception_fp_ieee_underflow 0
		.amdhsa_exception_fp_ieee_inexact 0
		.amdhsa_exception_int_div_zero 0
	.end_amdhsa_kernel
	.section	.text._ZN2at6native32elementwise_kernel_manual_unrollILi128ELi4EZNS0_15gpu_kernel_implINS0_13AUnaryFunctorImmbNS0_12_GLOBAL__N_116CompareEqFunctorImEEEEEEvRNS_18TensorIteratorBaseERKT_EUlibE_EEviT1_,"axG",@progbits,_ZN2at6native32elementwise_kernel_manual_unrollILi128ELi4EZNS0_15gpu_kernel_implINS0_13AUnaryFunctorImmbNS0_12_GLOBAL__N_116CompareEqFunctorImEEEEEEvRNS_18TensorIteratorBaseERKT_EUlibE_EEviT1_,comdat
.Lfunc_end371:
	.size	_ZN2at6native32elementwise_kernel_manual_unrollILi128ELi4EZNS0_15gpu_kernel_implINS0_13AUnaryFunctorImmbNS0_12_GLOBAL__N_116CompareEqFunctorImEEEEEEvRNS_18TensorIteratorBaseERKT_EUlibE_EEviT1_, .Lfunc_end371-_ZN2at6native32elementwise_kernel_manual_unrollILi128ELi4EZNS0_15gpu_kernel_implINS0_13AUnaryFunctorImmbNS0_12_GLOBAL__N_116CompareEqFunctorImEEEEEEvRNS_18TensorIteratorBaseERKT_EUlibE_EEviT1_
                                        ; -- End function
	.set _ZN2at6native32elementwise_kernel_manual_unrollILi128ELi4EZNS0_15gpu_kernel_implINS0_13AUnaryFunctorImmbNS0_12_GLOBAL__N_116CompareEqFunctorImEEEEEEvRNS_18TensorIteratorBaseERKT_EUlibE_EEviT1_.num_vgpr, 15
	.set _ZN2at6native32elementwise_kernel_manual_unrollILi128ELi4EZNS0_15gpu_kernel_implINS0_13AUnaryFunctorImmbNS0_12_GLOBAL__N_116CompareEqFunctorImEEEEEEvRNS_18TensorIteratorBaseERKT_EUlibE_EEviT1_.num_agpr, 0
	.set _ZN2at6native32elementwise_kernel_manual_unrollILi128ELi4EZNS0_15gpu_kernel_implINS0_13AUnaryFunctorImmbNS0_12_GLOBAL__N_116CompareEqFunctorImEEEEEEvRNS_18TensorIteratorBaseERKT_EUlibE_EEviT1_.numbered_sgpr, 50
	.set _ZN2at6native32elementwise_kernel_manual_unrollILi128ELi4EZNS0_15gpu_kernel_implINS0_13AUnaryFunctorImmbNS0_12_GLOBAL__N_116CompareEqFunctorImEEEEEEvRNS_18TensorIteratorBaseERKT_EUlibE_EEviT1_.num_named_barrier, 0
	.set _ZN2at6native32elementwise_kernel_manual_unrollILi128ELi4EZNS0_15gpu_kernel_implINS0_13AUnaryFunctorImmbNS0_12_GLOBAL__N_116CompareEqFunctorImEEEEEEvRNS_18TensorIteratorBaseERKT_EUlibE_EEviT1_.private_seg_size, 0
	.set _ZN2at6native32elementwise_kernel_manual_unrollILi128ELi4EZNS0_15gpu_kernel_implINS0_13AUnaryFunctorImmbNS0_12_GLOBAL__N_116CompareEqFunctorImEEEEEEvRNS_18TensorIteratorBaseERKT_EUlibE_EEviT1_.uses_vcc, 1
	.set _ZN2at6native32elementwise_kernel_manual_unrollILi128ELi4EZNS0_15gpu_kernel_implINS0_13AUnaryFunctorImmbNS0_12_GLOBAL__N_116CompareEqFunctorImEEEEEEvRNS_18TensorIteratorBaseERKT_EUlibE_EEviT1_.uses_flat_scratch, 0
	.set _ZN2at6native32elementwise_kernel_manual_unrollILi128ELi4EZNS0_15gpu_kernel_implINS0_13AUnaryFunctorImmbNS0_12_GLOBAL__N_116CompareEqFunctorImEEEEEEvRNS_18TensorIteratorBaseERKT_EUlibE_EEviT1_.has_dyn_sized_stack, 0
	.set _ZN2at6native32elementwise_kernel_manual_unrollILi128ELi4EZNS0_15gpu_kernel_implINS0_13AUnaryFunctorImmbNS0_12_GLOBAL__N_116CompareEqFunctorImEEEEEEvRNS_18TensorIteratorBaseERKT_EUlibE_EEviT1_.has_recursion, 0
	.set _ZN2at6native32elementwise_kernel_manual_unrollILi128ELi4EZNS0_15gpu_kernel_implINS0_13AUnaryFunctorImmbNS0_12_GLOBAL__N_116CompareEqFunctorImEEEEEEvRNS_18TensorIteratorBaseERKT_EUlibE_EEviT1_.has_indirect_call, 0
	.section	.AMDGPU.csdata,"",@progbits
; Kernel info:
; codeLenInByte = 32480
; TotalNumSgprs: 54
; NumVgprs: 15
; ScratchSize: 0
; MemoryBound: 1
; FloatMode: 240
; IeeeMode: 1
; LDSByteSize: 0 bytes/workgroup (compile time only)
; SGPRBlocks: 6
; VGPRBlocks: 3
; NumSGPRsForWavesPerEU: 54
; NumVGPRsForWavesPerEU: 15
; Occupancy: 10
; WaveLimiterHint : 0
; COMPUTE_PGM_RSRC2:SCRATCH_EN: 0
; COMPUTE_PGM_RSRC2:USER_SGPR: 6
; COMPUTE_PGM_RSRC2:TRAP_HANDLER: 0
; COMPUTE_PGM_RSRC2:TGID_X_EN: 1
; COMPUTE_PGM_RSRC2:TGID_Y_EN: 0
; COMPUTE_PGM_RSRC2:TGID_Z_EN: 0
; COMPUTE_PGM_RSRC2:TIDIG_COMP_CNT: 0
	.section	.text._ZN2at6native32elementwise_kernel_manual_unrollILi128ELi4EZNS0_15gpu_kernel_implINS0_13AUnaryFunctorImmbNS0_12_GLOBAL__N_116CompareEqFunctorImEEEEEEvRNS_18TensorIteratorBaseERKT_EUlibE0_EEviT1_,"axG",@progbits,_ZN2at6native32elementwise_kernel_manual_unrollILi128ELi4EZNS0_15gpu_kernel_implINS0_13AUnaryFunctorImmbNS0_12_GLOBAL__N_116CompareEqFunctorImEEEEEEvRNS_18TensorIteratorBaseERKT_EUlibE0_EEviT1_,comdat
	.globl	_ZN2at6native32elementwise_kernel_manual_unrollILi128ELi4EZNS0_15gpu_kernel_implINS0_13AUnaryFunctorImmbNS0_12_GLOBAL__N_116CompareEqFunctorImEEEEEEvRNS_18TensorIteratorBaseERKT_EUlibE0_EEviT1_ ; -- Begin function _ZN2at6native32elementwise_kernel_manual_unrollILi128ELi4EZNS0_15gpu_kernel_implINS0_13AUnaryFunctorImmbNS0_12_GLOBAL__N_116CompareEqFunctorImEEEEEEvRNS_18TensorIteratorBaseERKT_EUlibE0_EEviT1_
	.p2align	8
	.type	_ZN2at6native32elementwise_kernel_manual_unrollILi128ELi4EZNS0_15gpu_kernel_implINS0_13AUnaryFunctorImmbNS0_12_GLOBAL__N_116CompareEqFunctorImEEEEEEvRNS_18TensorIteratorBaseERKT_EUlibE0_EEviT1_,@function
_ZN2at6native32elementwise_kernel_manual_unrollILi128ELi4EZNS0_15gpu_kernel_implINS0_13AUnaryFunctorImmbNS0_12_GLOBAL__N_116CompareEqFunctorImEEEEEEvRNS_18TensorIteratorBaseERKT_EUlibE0_EEviT1_: ; @_ZN2at6native32elementwise_kernel_manual_unrollILi128ELi4EZNS0_15gpu_kernel_implINS0_13AUnaryFunctorImmbNS0_12_GLOBAL__N_116CompareEqFunctorImEEEEEEvRNS_18TensorIteratorBaseERKT_EUlibE0_EEviT1_
; %bb.0:
	s_load_dword s74, s[4:5], 0x0
	s_load_dword s33, s[4:5], 0x8
	s_add_u32 s34, s4, 8
	s_addc_u32 s35, s5, 0
	v_lshl_or_b32 v11, s6, 9, v0
	v_or_b32_e32 v15, 0x180, v11
	s_waitcnt lgkmcnt(0)
	s_add_i32 s76, s33, -1
	s_cmp_gt_u32 s76, 1
	v_cmp_le_i32_e32 vcc, s74, v15
	s_cselect_b64 s[40:41], -1, 0
	s_mov_b64 s[6:7], 0
	s_mov_b64 s[28:29], 0
	s_and_saveexec_b64 s[0:1], vcc
	s_xor_b64 s[42:43], exec, s[0:1]
	s_cbranch_execz .LBB372_1070
; %bb.1:
	s_load_dwordx4 s[28:31], s[34:35], 0x4
	s_load_dwordx2 s[48:49], s[34:35], 0x14
	s_load_dword s0, s[34:35], 0x158
	s_load_dwordx2 s[44:45], s[34:35], 0x160
	s_load_dword s77, s[34:35], 0x168
	s_cmp_lg_u32 s33, 0
	s_cselect_b64 s[54:55], -1, 0
	s_add_u32 s52, s34, 0xc4
	s_addc_u32 s53, s35, 0
	s_min_u32 s79, s76, 15
	s_load_dwordx4 s[36:39], s[34:35], 0xc4
	s_load_dwordx4 s[24:27], s[34:35], 0x148
	s_cmp_gt_u32 s33, 1
	s_cselect_b64 s[50:51], -1, 0
	s_waitcnt lgkmcnt(0)
	s_bfe_u32 s78, s77, 0x80008
	s_cmp_eq_u32 s0, 0
	s_cselect_b64 s[46:47], -1, 0
	v_cmp_gt_i32_e32 vcc, s74, v11
	s_mov_b64 s[2:3], -1
	s_mov_b64 s[64:65], 0
	s_mov_b64 s[58:59], 0
	;; [unrolled: 1-line block ×3, first 2 shown]
	s_and_saveexec_b64 s[60:61], vcc
	s_cbranch_execz .LBB372_262
; %bb.2:
	s_andn2_b64 vcc, exec, s[40:41]
	s_cbranch_vccnz .LBB372_7
; %bb.3:
	s_andn2_b64 vcc, exec, s[54:55]
	s_cbranch_vccnz .LBB372_8
; %bb.4:
	s_add_i32 s63, s79, 1
	s_cmp_eq_u32 s76, 2
	s_cbranch_scc1 .LBB372_9
; %bb.5:
	s_and_b32 s62, s63, 28
	v_mov_b32_e32 v2, 0
	s_mov_b32 s66, 0
	s_mov_b64 s[56:57], s[34:35]
	s_mov_b64 s[58:59], s[52:53]
	v_mov_b32_e32 v0, 0
	v_mov_b32_e32 v1, v11
.LBB372_6:                              ; =>This Inner Loop Header: Depth=1
	s_load_dwordx8 s[16:23], s[56:57], 0x4
	s_load_dwordx4 s[0:3], s[56:57], 0x24
	s_load_dwordx8 s[8:15], s[58:59], 0x0
	s_add_u32 s56, s56, 48
	s_addc_u32 s57, s57, 0
	s_waitcnt lgkmcnt(0)
	v_mul_hi_u32 v3, s17, v1
	s_add_i32 s66, s66, 4
	s_add_u32 s58, s58, 32
	s_addc_u32 s59, s59, 0
	v_add_u32_e32 v3, v1, v3
	v_lshrrev_b32_e32 v3, s18, v3
	v_mul_lo_u32 v4, v3, s16
	v_mul_hi_u32 v5, s20, v3
	s_cmp_lg_u32 s62, s66
	v_sub_u32_e32 v1, v1, v4
	v_add_u32_e32 v4, v3, v5
	v_mul_lo_u32 v5, v1, s8
	v_mul_lo_u32 v6, v1, s9
	v_lshrrev_b32_e32 v1, s21, v4
	v_mul_lo_u32 v4, v1, s19
	v_mul_hi_u32 v7, s23, v1
	v_sub_u32_e32 v3, v3, v4
	v_add_u32_e32 v4, v1, v7
	v_lshrrev_b32_e32 v4, s0, v4
	v_mul_hi_u32 v8, s2, v4
	v_mul_lo_u32 v9, v4, s22
	v_mul_lo_u32 v7, v3, s10
	v_mul_lo_u32 v3, v3, s11
	v_sub_u32_e32 v9, v1, v9
	v_add_u32_e32 v1, v4, v8
	v_lshrrev_b32_e32 v1, s3, v1
	v_mul_lo_u32 v8, v1, s1
	v_mul_lo_u32 v10, v9, s12
	;; [unrolled: 1-line block ×3, first 2 shown]
	v_add3_u32 v0, v5, v0, v7
	v_sub_u32_e32 v4, v4, v8
	v_mul_lo_u32 v8, v4, s14
	v_mul_lo_u32 v4, v4, s15
	v_add3_u32 v2, v6, v2, v3
	v_add3_u32 v0, v10, v0, v8
	;; [unrolled: 1-line block ×3, first 2 shown]
	s_cbranch_scc1 .LBB372_6
	s_branch .LBB372_10
.LBB372_7:
                                        ; implicit-def: $vgpr0
                                        ; implicit-def: $vgpr2
	s_branch .LBB372_14
.LBB372_8:
	v_mov_b32_e32 v0, 0
	v_mov_b32_e32 v2, 0
	s_branch .LBB372_13
.LBB372_9:
	s_mov_b32 s62, 0
	v_mov_b32_e32 v0, 0
	v_mov_b32_e32 v2, 0
	;; [unrolled: 1-line block ×3, first 2 shown]
.LBB372_10:
	s_and_b32 s8, s63, 3
	s_cmp_eq_u32 s8, 0
	s_cbranch_scc1 .LBB372_13
; %bb.11:
	s_lshl_b32 s0, s62, 3
	s_add_u32 s0, s34, s0
	s_addc_u32 s1, s35, 0
	s_add_u32 s0, s0, 0xc4
	s_addc_u32 s1, s1, 0
	s_mul_i32 s2, s62, 12
	s_add_u32 s2, s34, s2
	s_addc_u32 s3, s35, 0
.LBB372_12:                             ; =>This Inner Loop Header: Depth=1
	s_load_dwordx2 s[10:11], s[2:3], 0x4
	s_load_dword s9, s[2:3], 0xc
	s_load_dwordx2 s[12:13], s[0:1], 0x0
	s_add_u32 s2, s2, 12
	s_addc_u32 s3, s3, 0
	s_waitcnt lgkmcnt(0)
	v_mul_hi_u32 v3, s11, v1
	s_add_u32 s0, s0, 8
	s_addc_u32 s1, s1, 0
	s_add_i32 s8, s8, -1
	v_add_u32_e32 v3, v1, v3
	v_lshrrev_b32_e32 v4, s9, v3
	v_mul_lo_u32 v3, v4, s10
	s_cmp_lg_u32 s8, 0
	v_sub_u32_e32 v3, v1, v3
	v_mad_u64_u32 v[0:1], s[10:11], v3, s12, v[0:1]
	v_mad_u64_u32 v[2:3], s[10:11], v3, s13, v[2:3]
	v_mov_b32_e32 v1, v4
	s_cbranch_scc1 .LBB372_12
.LBB372_13:
	s_cbranch_execnz .LBB372_16
.LBB372_14:
	v_mul_hi_u32 v0, s29, v11
	s_andn2_b64 vcc, exec, s[50:51]
	v_add_u32_e32 v0, v11, v0
	v_lshrrev_b32_e32 v1, s30, v0
	v_mul_lo_u32 v0, v1, s28
	v_sub_u32_e32 v2, v11, v0
	v_mul_lo_u32 v0, v2, s36
	v_mul_lo_u32 v2, v2, s37
	s_cbranch_vccnz .LBB372_16
; %bb.15:
	v_mul_hi_u32 v3, s48, v1
	v_add_u32_e32 v3, v1, v3
	v_lshrrev_b32_e32 v3, s49, v3
	v_mul_lo_u32 v3, v3, s31
	v_sub_u32_e32 v3, v1, v3
	v_mad_u64_u32 v[0:1], s[0:1], v3, s38, v[0:1]
	v_mad_u64_u32 v[2:3], s[0:1], v3, s39, v[2:3]
.LBB372_16:
	v_mov_b32_e32 v3, s27
	s_and_b32 s10, 0xffff, s78
	v_add_co_u32_e32 v1, vcc, s26, v2
	s_cmp_lt_i32 s10, 11
	v_addc_co_u32_e32 v2, vcc, 0, v3, vcc
	s_cbranch_scc1 .LBB372_23
; %bb.17:
	s_cmp_gt_i32 s10, 25
	s_cbranch_scc0 .LBB372_32
; %bb.18:
	s_cmp_gt_i32 s10, 28
	s_cbranch_scc0 .LBB372_35
	;; [unrolled: 3-line block ×4, first 2 shown]
; %bb.21:
	s_cmp_eq_u32 s10, 46
	s_mov_b64 s[8:9], 0
	s_cbranch_scc0 .LBB372_41
; %bb.22:
	global_load_dword v3, v[1:2], off
	s_mov_b64 s[0:1], -1
	s_mov_b64 s[2:3], 0
	s_waitcnt vmcnt(0)
	v_lshlrev_b32_e32 v3, 16, v3
	v_trunc_f32_e32 v3, v3
	v_mul_f32_e32 v4, 0x2f800000, v3
	v_floor_f32_e32 v4, v4
	v_fmac_f32_e32 v3, 0xcf800000, v4
	v_cvt_u32_f32_e32 v3, v3
	v_cvt_u32_f32_e32 v4, v4
	s_branch .LBB372_43
.LBB372_23:
	s_mov_b64 s[2:3], 0
                                        ; implicit-def: $vgpr3_vgpr4
	s_mov_b64 s[0:1], 0
	s_cbranch_execnz .LBB372_212
.LBB372_24:
	s_andn2_b64 vcc, exec, s[0:1]
	s_cbranch_vccnz .LBB372_259
.LBB372_25:
	s_waitcnt vmcnt(0)
	v_cmp_ne_u64_e32 vcc, s[44:45], v[3:4]
	v_mov_b32_e32 v1, s25
	s_xor_b64 s[8:9], s[46:47], vcc
	s_and_b32 s16, s77, 0xff
	v_add_co_u32_e32 v0, vcc, s24, v0
	s_cmp_lt_i32 s16, 11
	v_addc_co_u32_e32 v1, vcc, 0, v1, vcc
	s_cbranch_scc1 .LBB372_33
; %bb.26:
	s_and_b32 s17, 0xffff, s16
	s_cmp_gt_i32 s17, 25
	s_cbranch_scc0 .LBB372_36
; %bb.27:
	s_cmp_gt_i32 s17, 28
	s_cbranch_scc0 .LBB372_38
; %bb.28:
	s_cmp_gt_i32 s17, 43
	s_cbranch_scc0 .LBB372_40
; %bb.29:
	s_cmp_gt_i32 s17, 45
	s_cbranch_scc0 .LBB372_46
; %bb.30:
	s_mov_b64 s[12:13], 0
	s_mov_b64 s[0:1], -1
	s_cmp_eq_u32 s17, 46
	s_mov_b64 s[10:11], 0
	s_cbranch_scc0 .LBB372_47
; %bb.31:
	v_cndmask_b32_e64 v2, 0, 1.0, s[8:9]
	v_bfe_u32 v3, v2, 16, 1
	s_movk_i32 s0, 0x7fff
	v_add3_u32 v2, v2, v3, s0
	v_lshrrev_b32_e32 v2, 16, v2
	global_store_dword v[0:1], v2, off
	s_mov_b64 s[10:11], -1
	s_mov_b64 s[0:1], 0
	s_branch .LBB372_47
.LBB372_32:
	s_mov_b64 s[2:3], 0
	s_mov_b64 s[0:1], 0
                                        ; implicit-def: $vgpr3_vgpr4
	s_cbranch_execnz .LBB372_181
	s_branch .LBB372_211
.LBB372_33:
	s_mov_b64 s[0:1], 0
	s_mov_b64 s[10:11], 0
	s_cbranch_execnz .LBB372_116
.LBB372_34:
	s_andn2_b64 vcc, exec, s[10:11]
	s_cbranch_vccnz .LBB372_260
	s_branch .LBB372_154
.LBB372_35:
	s_mov_b64 s[8:9], -1
	s_mov_b64 s[2:3], 0
	s_mov_b64 s[0:1], 0
                                        ; implicit-def: $vgpr3_vgpr4
	s_branch .LBB372_162
.LBB372_36:
	s_mov_b64 s[12:13], -1
	s_mov_b64 s[0:1], 0
	s_mov_b64 s[10:11], 0
	s_branch .LBB372_74
.LBB372_37:
	s_mov_b64 s[8:9], -1
	s_mov_b64 s[2:3], 0
	s_mov_b64 s[0:1], 0
                                        ; implicit-def: $vgpr3_vgpr4
	s_branch .LBB372_157
.LBB372_38:
	s_mov_b64 s[12:13], -1
	s_mov_b64 s[0:1], 0
	s_mov_b64 s[10:11], 0
	s_branch .LBB372_57
.LBB372_39:
	s_mov_b64 s[8:9], -1
	s_mov_b64 s[2:3], 0
	s_branch .LBB372_42
.LBB372_40:
	s_mov_b64 s[12:13], -1
	s_mov_b64 s[0:1], 0
	s_mov_b64 s[10:11], 0
	s_branch .LBB372_53
.LBB372_41:
	s_mov_b64 s[2:3], -1
.LBB372_42:
	s_mov_b64 s[0:1], 0
                                        ; implicit-def: $vgpr3_vgpr4
.LBB372_43:
	s_and_b64 vcc, exec, s[8:9]
	s_cbranch_vccz .LBB372_156
; %bb.44:
	s_cmp_eq_u32 s10, 44
	s_cbranch_scc0 .LBB372_155
; %bb.45:
	global_load_ubyte v3, v[1:2], off
	s_mov_b64 s[0:1], -1
	s_mov_b64 s[2:3], 0
	s_waitcnt vmcnt(0)
	v_lshlrev_b32_e32 v4, 23, v3
	v_trunc_f32_e32 v4, v4
	v_mul_f32_e32 v5, 0x2f800000, v4
	v_floor_f32_e32 v5, v5
	v_fmac_f32_e32 v4, 0xcf800000, v5
	v_cvt_u32_f32_e32 v5, v5
	v_cvt_u32_f32_e32 v6, v4
	v_cmp_ne_u32_e32 vcc, 0, v3
	v_cndmask_b32_e32 v4, 0, v5, vcc
	v_cndmask_b32_e32 v3, 0, v6, vcc
	s_branch .LBB372_156
.LBB372_46:
	s_mov_b64 s[12:13], -1
	s_mov_b64 s[0:1], 0
	s_mov_b64 s[10:11], 0
.LBB372_47:
	s_and_b64 vcc, exec, s[12:13]
	s_cbranch_vccz .LBB372_52
; %bb.48:
	s_cmp_eq_u32 s17, 44
	s_mov_b64 s[0:1], -1
	s_cbranch_scc0 .LBB372_52
; %bb.49:
	v_cndmask_b32_e64 v3, 0, 1.0, s[8:9]
	v_lshrrev_b32_e32 v2, 23, v3
	s_movk_i32 s0, 0xff
	v_cmp_ne_u32_e32 vcc, s0, v2
	v_mov_b32_e32 v4, 0xff
	s_and_saveexec_b64 s[10:11], vcc
; %bb.50:
	s_mov_b32 s0, 0x3fffff
	v_and_b32_e32 v4, 0x400000, v3
	v_and_or_b32 v3, v3, s0, v2
	v_cmp_ne_u32_e32 vcc, 0, v4
	v_cmp_ne_u32_e64 s[0:1], 0, v3
	s_and_b64 s[0:1], vcc, s[0:1]
	v_cndmask_b32_e64 v3, 0, 1, s[0:1]
	v_add_u32_e32 v4, v2, v3
; %bb.51:
	s_or_b64 exec, exec, s[10:11]
	s_mov_b64 s[10:11], -1
	s_mov_b64 s[0:1], 0
	global_store_byte v[0:1], v4, off
.LBB372_52:
	s_mov_b64 s[12:13], 0
.LBB372_53:
	s_and_b64 vcc, exec, s[12:13]
	s_cbranch_vccz .LBB372_56
; %bb.54:
	s_cmp_eq_u32 s17, 29
	s_mov_b64 s[0:1], -1
	s_cbranch_scc0 .LBB372_56
; %bb.55:
	s_mov_b32 s0, 0
	v_cndmask_b32_e64 v2, 0, 1, s[8:9]
	v_mov_b32_e32 v3, s0
	global_store_dwordx2 v[0:1], v[2:3], off
	s_mov_b64 s[10:11], -1
	s_mov_b64 s[0:1], 0
.LBB372_56:
	s_mov_b64 s[12:13], 0
.LBB372_57:
	s_and_b64 vcc, exec, s[12:13]
	s_cbranch_vccz .LBB372_73
; %bb.58:
	s_cmp_lt_i32 s17, 27
	s_mov_b64 s[10:11], -1
	s_cbranch_scc1 .LBB372_64
; %bb.59:
	s_cmp_gt_i32 s17, 27
	s_cbranch_scc0 .LBB372_61
; %bb.60:
	v_cndmask_b32_e64 v2, 0, 1, s[8:9]
	s_mov_b64 s[10:11], 0
	global_store_dword v[0:1], v2, off
.LBB372_61:
	s_andn2_b64 vcc, exec, s[10:11]
	s_cbranch_vccnz .LBB372_63
; %bb.62:
	v_cndmask_b32_e64 v2, 0, 1, s[8:9]
	global_store_short v[0:1], v2, off
.LBB372_63:
	s_mov_b64 s[10:11], 0
.LBB372_64:
	s_andn2_b64 vcc, exec, s[10:11]
	s_cbranch_vccnz .LBB372_72
; %bb.65:
	v_cndmask_b32_e64 v3, 0, 1.0, s[8:9]
	s_mov_b32 s10, 0x43800000
	v_cmp_gt_u32_e32 vcc, s10, v3
	v_mov_b32_e32 v4, 0x80
	s_and_saveexec_b64 s[10:11], vcc
	s_cbranch_execz .LBB372_71
; %bb.66:
	s_mov_b32 s12, 0x3bffffff
	v_cmp_lt_u32_e32 vcc, s12, v3
	s_mov_b64 s[12:13], 0
                                        ; implicit-def: $vgpr2
	s_and_saveexec_b64 s[14:15], vcc
	s_xor_b64 s[14:15], exec, s[14:15]
	s_cbranch_execz .LBB372_303
; %bb.67:
	v_bfe_u32 v2, v3, 20, 1
	s_mov_b32 s18, 0x487ffff
	v_add3_u32 v2, v3, v2, s18
	s_mov_b64 s[12:13], exec
	v_lshrrev_b32_e32 v2, 20, v2
                                        ; implicit-def: $vgpr3
	s_andn2_saveexec_b64 s[14:15], s[14:15]
	s_cbranch_execnz .LBB372_304
.LBB372_68:
	s_or_b64 exec, exec, s[14:15]
	v_mov_b32_e32 v4, 0
	s_and_saveexec_b64 s[14:15], s[12:13]
.LBB372_69:
	v_mov_b32_e32 v4, v2
.LBB372_70:
	s_or_b64 exec, exec, s[14:15]
.LBB372_71:
	s_or_b64 exec, exec, s[10:11]
	global_store_byte v[0:1], v4, off
.LBB372_72:
	s_mov_b64 s[10:11], -1
.LBB372_73:
	s_mov_b64 s[12:13], 0
.LBB372_74:
	s_and_b64 vcc, exec, s[12:13]
	s_cbranch_vccz .LBB372_115
; %bb.75:
	s_cmp_gt_i32 s17, 22
	s_mov_b64 s[12:13], -1
	s_cbranch_scc0 .LBB372_107
; %bb.76:
	s_cmp_lt_i32 s17, 24
	s_mov_b64 s[10:11], -1
	s_cbranch_scc1 .LBB372_96
; %bb.77:
	s_cmp_gt_i32 s17, 24
	s_cbranch_scc0 .LBB372_85
; %bb.78:
	v_cndmask_b32_e64 v3, 0, 1.0, s[8:9]
	s_mov_b32 s10, 0x47800000
	v_cmp_gt_u32_e32 vcc, s10, v3
	v_mov_b32_e32 v4, 0x80
	s_and_saveexec_b64 s[10:11], vcc
	s_cbranch_execz .LBB372_84
; %bb.79:
	s_mov_b32 s12, 0x37ffffff
	v_cmp_lt_u32_e32 vcc, s12, v3
	s_mov_b64 s[12:13], 0
                                        ; implicit-def: $vgpr2
	s_and_saveexec_b64 s[14:15], vcc
	s_xor_b64 s[14:15], exec, s[14:15]
	s_cbranch_execz .LBB372_307
; %bb.80:
	v_bfe_u32 v2, v3, 21, 1
	s_mov_b32 s18, 0x88fffff
	v_add3_u32 v2, v3, v2, s18
	s_mov_b64 s[12:13], exec
	v_lshrrev_b32_e32 v2, 21, v2
                                        ; implicit-def: $vgpr3
	s_andn2_saveexec_b64 s[14:15], s[14:15]
	s_cbranch_execnz .LBB372_308
.LBB372_81:
	s_or_b64 exec, exec, s[14:15]
	v_mov_b32_e32 v4, 0
	s_and_saveexec_b64 s[14:15], s[12:13]
.LBB372_82:
	v_mov_b32_e32 v4, v2
.LBB372_83:
	s_or_b64 exec, exec, s[14:15]
.LBB372_84:
	s_or_b64 exec, exec, s[10:11]
	s_mov_b64 s[10:11], 0
	global_store_byte v[0:1], v4, off
.LBB372_85:
	s_and_b64 vcc, exec, s[10:11]
	s_cbranch_vccz .LBB372_95
; %bb.86:
	v_cndmask_b32_e64 v2, 0, 1.0, s[8:9]
	s_mov_b32 s10, 0x43f00000
	v_cmp_gt_u32_e32 vcc, s10, v2
                                        ; implicit-def: $vgpr3
	s_and_saveexec_b64 s[10:11], vcc
	s_xor_b64 s[10:11], exec, s[10:11]
	s_cbranch_execz .LBB372_92
; %bb.87:
	s_mov_b32 s12, 0x3c7fffff
	v_cmp_lt_u32_e32 vcc, s12, v2
                                        ; implicit-def: $vgpr3
	s_and_saveexec_b64 s[12:13], vcc
	s_xor_b64 s[12:13], exec, s[12:13]
; %bb.88:
	v_bfe_u32 v3, v2, 20, 1
	s_mov_b32 s14, 0x407ffff
	v_add3_u32 v2, v2, v3, s14
	v_lshrrev_b32_e32 v3, 20, v2
	v_and_b32_e32 v2, 0xff00000, v2
	s_mov_b32 s14, 0x7f00000
	v_mov_b32_e32 v4, 0x7e
	v_cmp_ne_u32_e32 vcc, s14, v2
	v_cndmask_b32_e32 v3, v4, v3, vcc
                                        ; implicit-def: $vgpr2
; %bb.89:
	s_andn2_saveexec_b64 s[12:13], s[12:13]
; %bb.90:
	v_add_f32_e32 v3, 0x46800000, v2
; %bb.91:
	s_or_b64 exec, exec, s[12:13]
                                        ; implicit-def: $vgpr2
.LBB372_92:
	s_andn2_saveexec_b64 s[10:11], s[10:11]
; %bb.93:
	s_mov_b32 s12, 0x7f800000
	v_mov_b32_e32 v3, 0x7e
	v_mov_b32_e32 v4, 0x7f
	v_cmp_lt_u32_e32 vcc, s12, v2
	v_cndmask_b32_e32 v3, v3, v4, vcc
; %bb.94:
	s_or_b64 exec, exec, s[10:11]
	global_store_byte v[0:1], v3, off
.LBB372_95:
	s_mov_b64 s[10:11], 0
.LBB372_96:
	s_andn2_b64 vcc, exec, s[10:11]
	s_cbranch_vccnz .LBB372_106
; %bb.97:
	v_cndmask_b32_e64 v2, 0, 1.0, s[8:9]
	s_mov_b32 s10, 0x47800000
	v_cmp_gt_u32_e32 vcc, s10, v2
                                        ; implicit-def: $vgpr3
	s_and_saveexec_b64 s[10:11], vcc
	s_xor_b64 s[10:11], exec, s[10:11]
	s_cbranch_execz .LBB372_103
; %bb.98:
	s_mov_b32 s12, 0x387fffff
	v_cmp_lt_u32_e32 vcc, s12, v2
                                        ; implicit-def: $vgpr3
	s_and_saveexec_b64 s[12:13], vcc
	s_xor_b64 s[12:13], exec, s[12:13]
; %bb.99:
	v_bfe_u32 v3, v2, 21, 1
	s_mov_b32 s14, 0x80fffff
	v_add3_u32 v2, v2, v3, s14
	v_lshrrev_b32_e32 v3, 21, v2
                                        ; implicit-def: $vgpr2
; %bb.100:
	s_andn2_saveexec_b64 s[12:13], s[12:13]
; %bb.101:
	v_add_f32_e32 v3, 0x43000000, v2
; %bb.102:
	s_or_b64 exec, exec, s[12:13]
                                        ; implicit-def: $vgpr2
.LBB372_103:
	s_andn2_saveexec_b64 s[10:11], s[10:11]
; %bb.104:
	s_mov_b32 s12, 0x7f800000
	v_mov_b32_e32 v3, 0x7c
	v_mov_b32_e32 v4, 0x7f
	v_cmp_lt_u32_e32 vcc, s12, v2
	v_cndmask_b32_e32 v3, v3, v4, vcc
; %bb.105:
	s_or_b64 exec, exec, s[10:11]
	global_store_byte v[0:1], v3, off
.LBB372_106:
	s_mov_b64 s[12:13], 0
	s_mov_b64 s[10:11], -1
.LBB372_107:
	s_andn2_b64 vcc, exec, s[12:13]
	s_cbranch_vccnz .LBB372_115
; %bb.108:
	s_cmp_gt_i32 s17, 14
	s_mov_b64 s[12:13], -1
	s_cbranch_scc0 .LBB372_112
; %bb.109:
	s_cmp_eq_u32 s17, 15
	s_mov_b64 s[0:1], -1
	s_cbranch_scc0 .LBB372_111
; %bb.110:
	v_cndmask_b32_e64 v2, 0, 1.0, s[8:9]
	v_bfe_u32 v3, v2, 16, 1
	s_movk_i32 s0, 0x7fff
	v_add3_u32 v2, v2, v3, s0
	global_store_short_d16_hi v[0:1], v2, off
	s_mov_b64 s[10:11], -1
	s_mov_b64 s[0:1], 0
.LBB372_111:
	s_mov_b64 s[12:13], 0
.LBB372_112:
	s_and_b64 vcc, exec, s[12:13]
	s_cbranch_vccz .LBB372_115
; %bb.113:
	s_cmp_eq_u32 s17, 11
	s_mov_b64 s[0:1], -1
	s_cbranch_scc0 .LBB372_115
; %bb.114:
	v_cndmask_b32_e64 v2, 0, 1, s[8:9]
	s_mov_b64 s[10:11], -1
	s_mov_b64 s[0:1], 0
	global_store_byte v[0:1], v2, off
.LBB372_115:
	s_branch .LBB372_34
.LBB372_116:
	s_and_b32 s12, 0xffff, s16
	s_cmp_lt_i32 s12, 5
	s_mov_b64 s[10:11], -1
	s_cbranch_scc1 .LBB372_137
; %bb.117:
	s_cmp_lt_i32 s12, 8
	s_cbranch_scc1 .LBB372_127
; %bb.118:
	s_cmp_lt_i32 s12, 9
	s_cbranch_scc1 .LBB372_124
; %bb.119:
	s_cmp_gt_i32 s12, 9
	s_cbranch_scc0 .LBB372_121
; %bb.120:
	v_cndmask_b32_e64 v2, 0, 1, s[8:9]
	v_cvt_f64_u32_e32 v[2:3], v2
	v_mov_b32_e32 v4, 0
	v_mov_b32_e32 v5, v4
	s_mov_b64 s[10:11], 0
	global_store_dwordx4 v[0:1], v[2:5], off
.LBB372_121:
	s_andn2_b64 vcc, exec, s[10:11]
	s_cbranch_vccnz .LBB372_123
; %bb.122:
	v_cndmask_b32_e64 v2, 0, 1.0, s[8:9]
	v_mov_b32_e32 v3, 0
	global_store_dwordx2 v[0:1], v[2:3], off
.LBB372_123:
	s_mov_b64 s[10:11], 0
.LBB372_124:
	s_andn2_b64 vcc, exec, s[10:11]
	s_cbranch_vccnz .LBB372_126
; %bb.125:
	v_cndmask_b32_e64 v2, 0, 1.0, s[8:9]
	v_cvt_f16_f32_e32 v2, v2
	global_store_dword v[0:1], v2, off
.LBB372_126:
	s_mov_b64 s[10:11], 0
.LBB372_127:
	s_andn2_b64 vcc, exec, s[10:11]
	s_cbranch_vccnz .LBB372_136
; %bb.128:
	s_cmp_lt_i32 s12, 6
	s_mov_b64 s[10:11], -1
	s_cbranch_scc1 .LBB372_134
; %bb.129:
	s_cmp_gt_i32 s12, 6
	s_cbranch_scc0 .LBB372_131
; %bb.130:
	v_cndmask_b32_e64 v2, 0, 1, s[8:9]
	v_cvt_f64_u32_e32 v[2:3], v2
	s_mov_b64 s[10:11], 0
	global_store_dwordx2 v[0:1], v[2:3], off
.LBB372_131:
	s_andn2_b64 vcc, exec, s[10:11]
	s_cbranch_vccnz .LBB372_133
; %bb.132:
	v_cndmask_b32_e64 v2, 0, 1.0, s[8:9]
	global_store_dword v[0:1], v2, off
.LBB372_133:
	s_mov_b64 s[10:11], 0
.LBB372_134:
	s_andn2_b64 vcc, exec, s[10:11]
	s_cbranch_vccnz .LBB372_136
; %bb.135:
	v_cndmask_b32_e64 v2, 0, 1.0, s[8:9]
	v_cvt_f16_f32_e32 v2, v2
	global_store_short v[0:1], v2, off
.LBB372_136:
	s_mov_b64 s[10:11], 0
.LBB372_137:
	s_andn2_b64 vcc, exec, s[10:11]
	s_cbranch_vccnz .LBB372_153
; %bb.138:
	s_cmp_lt_i32 s12, 2
	s_mov_b64 s[10:11], -1
	s_cbranch_scc1 .LBB372_148
; %bb.139:
	s_cmp_lt_i32 s12, 3
	s_cbranch_scc1 .LBB372_145
; %bb.140:
	s_cmp_gt_i32 s12, 3
	s_cbranch_scc0 .LBB372_142
; %bb.141:
	s_mov_b32 s10, 0
	v_cndmask_b32_e64 v2, 0, 1, s[8:9]
	v_mov_b32_e32 v3, s10
	global_store_dwordx2 v[0:1], v[2:3], off
	s_mov_b64 s[10:11], 0
.LBB372_142:
	s_andn2_b64 vcc, exec, s[10:11]
	s_cbranch_vccnz .LBB372_144
; %bb.143:
	v_cndmask_b32_e64 v2, 0, 1, s[8:9]
	global_store_dword v[0:1], v2, off
.LBB372_144:
	s_mov_b64 s[10:11], 0
.LBB372_145:
	s_andn2_b64 vcc, exec, s[10:11]
	s_cbranch_vccnz .LBB372_147
; %bb.146:
	v_cndmask_b32_e64 v2, 0, 1, s[8:9]
	global_store_short v[0:1], v2, off
.LBB372_147:
	s_mov_b64 s[10:11], 0
.LBB372_148:
	s_andn2_b64 vcc, exec, s[10:11]
	s_cbranch_vccnz .LBB372_153
; %bb.149:
	s_cmp_gt_i32 s12, 0
	s_mov_b64 s[10:11], -1
	s_cbranch_scc0 .LBB372_151
; %bb.150:
	v_cndmask_b32_e64 v2, 0, 1, s[8:9]
	global_store_byte v[0:1], v2, off
	s_mov_b64 s[10:11], 0
.LBB372_151:
	s_andn2_b64 vcc, exec, s[10:11]
	s_cbranch_vccnz .LBB372_153
; %bb.152:
	v_cndmask_b32_e64 v2, 0, 1, s[8:9]
	global_store_byte v[0:1], v2, off
.LBB372_153:
.LBB372_154:
	v_add_u32_e32 v11, 0x80, v11
	s_mov_b64 s[8:9], -1
	s_branch .LBB372_261
.LBB372_155:
	s_mov_b64 s[2:3], -1
                                        ; implicit-def: $vgpr3_vgpr4
.LBB372_156:
	s_mov_b64 s[8:9], 0
.LBB372_157:
	s_and_b64 vcc, exec, s[8:9]
	s_cbranch_vccz .LBB372_161
; %bb.158:
	s_cmp_eq_u32 s10, 29
	s_cbranch_scc0 .LBB372_160
; %bb.159:
	global_load_dwordx2 v[3:4], v[1:2], off
	s_mov_b64 s[0:1], -1
	s_mov_b64 s[2:3], 0
	s_branch .LBB372_161
.LBB372_160:
	s_mov_b64 s[2:3], -1
                                        ; implicit-def: $vgpr3_vgpr4
.LBB372_161:
	s_mov_b64 s[8:9], 0
.LBB372_162:
	s_and_b64 vcc, exec, s[8:9]
	s_cbranch_vccz .LBB372_180
; %bb.163:
	s_cmp_lt_i32 s10, 27
	s_cbranch_scc1 .LBB372_166
; %bb.164:
	s_cmp_gt_i32 s10, 27
	s_cbranch_scc0 .LBB372_167
; %bb.165:
	global_load_dword v3, v[1:2], off
	s_waitcnt vmcnt(1)
	v_mov_b32_e32 v4, 0
	s_mov_b64 s[0:1], 0
	s_branch .LBB372_168
.LBB372_166:
	s_mov_b64 s[0:1], -1
                                        ; implicit-def: $vgpr3_vgpr4
	s_branch .LBB372_171
.LBB372_167:
	s_mov_b64 s[0:1], -1
                                        ; implicit-def: $vgpr3_vgpr4
.LBB372_168:
	s_andn2_b64 vcc, exec, s[0:1]
	s_cbranch_vccnz .LBB372_170
; %bb.169:
	global_load_ushort v3, v[1:2], off
	s_mov_b32 s0, 0
	s_waitcnt vmcnt(1)
	v_mov_b32_e32 v4, s0
	s_waitcnt vmcnt(0)
	v_and_b32_e32 v3, 0xffff, v3
.LBB372_170:
	s_mov_b64 s[0:1], 0
.LBB372_171:
	s_andn2_b64 vcc, exec, s[0:1]
	s_cbranch_vccnz .LBB372_179
; %bb.172:
	global_load_ubyte v5, v[1:2], off
	s_movk_i32 s0, 0x7f
	s_mov_b64 s[8:9], 0
	s_waitcnt vmcnt(0)
	v_cmp_lt_i16_e32 vcc, s0, v5
	s_and_saveexec_b64 s[0:1], vcc
	s_xor_b64 s[0:1], exec, s[0:1]
; %bb.173:
	s_movk_i32 s8, 0x80
	v_cmp_ne_u16_e32 vcc, s8, v5
	s_and_b64 s[8:9], vcc, exec
; %bb.174:
	s_andn2_saveexec_b64 s[0:1], s[0:1]
; %bb.175:
	v_cmp_ne_u16_e32 vcc, 0, v5
	s_andn2_b64 s[8:9], s[8:9], exec
	s_and_b64 s[12:13], vcc, exec
	s_or_b64 s[8:9], s[8:9], s[12:13]
; %bb.176:
	s_or_b64 exec, exec, s[0:1]
	v_mov_b32_e32 v3, 0
	v_mov_b32_e32 v4, 0
	s_and_saveexec_b64 s[0:1], s[8:9]
	s_cbranch_execz .LBB372_178
; %bb.177:
	v_and_b32_e32 v4, 0xffff, v5
	v_lshlrev_b32_e32 v3, 24, v5
	v_and_b32_e32 v5, 7, v4
	v_ffbh_u32_e32 v7, v5
	v_min_u32_e32 v7, 32, v7
	v_subrev_u32_e32 v8, 28, v7
	v_bfe_u32 v6, v4, 3, 4
	v_lshlrev_b32_e32 v4, v8, v4
	v_sub_u32_e32 v7, 29, v7
	v_and_b32_e32 v4, 7, v4
	v_cmp_eq_u32_e32 vcc, 0, v6
	v_cndmask_b32_e32 v6, v6, v7, vcc
	v_cndmask_b32_e32 v4, v5, v4, vcc
	v_mov_b32_e32 v5, 0x3b800000
	v_lshlrev_b32_e32 v4, 20, v4
	v_and_b32_e32 v3, 0x80000000, v3
	v_lshl_add_u32 v5, v6, 23, v5
	v_or3_b32 v3, v3, v5, v4
	v_trunc_f32_e32 v3, v3
	v_mul_f32_e32 v4, 0x2f800000, v3
	v_floor_f32_e32 v4, v4
	v_fmac_f32_e32 v3, 0xcf800000, v4
	v_cvt_u32_f32_e32 v3, v3
	v_cvt_u32_f32_e32 v4, v4
.LBB372_178:
	s_or_b64 exec, exec, s[0:1]
.LBB372_179:
	s_mov_b64 s[0:1], -1
.LBB372_180:
	s_branch .LBB372_211
.LBB372_181:
	s_cmp_gt_i32 s10, 22
	s_cbranch_scc0 .LBB372_191
; %bb.182:
	s_cmp_lt_i32 s10, 24
	s_cbranch_scc1 .LBB372_192
; %bb.183:
	s_cmp_gt_i32 s10, 24
	s_cbranch_scc0 .LBB372_193
; %bb.184:
	global_load_ubyte v5, v[1:2], off
	s_movk_i32 s0, 0x7f
	s_mov_b64 s[8:9], 0
	s_waitcnt vmcnt(0)
	v_cmp_lt_i16_e32 vcc, s0, v5
	s_and_saveexec_b64 s[0:1], vcc
	s_xor_b64 s[0:1], exec, s[0:1]
; %bb.185:
	s_movk_i32 s8, 0x80
	v_cmp_ne_u16_e32 vcc, s8, v5
	s_and_b64 s[8:9], vcc, exec
; %bb.186:
	s_andn2_saveexec_b64 s[0:1], s[0:1]
; %bb.187:
	v_cmp_ne_u16_e32 vcc, 0, v5
	s_andn2_b64 s[8:9], s[8:9], exec
	s_and_b64 s[12:13], vcc, exec
	s_or_b64 s[8:9], s[8:9], s[12:13]
; %bb.188:
	s_or_b64 exec, exec, s[0:1]
	v_mov_b32_e32 v3, 0
	v_mov_b32_e32 v4, 0
	s_and_saveexec_b64 s[0:1], s[8:9]
	s_cbranch_execz .LBB372_190
; %bb.189:
	v_and_b32_e32 v4, 0xffff, v5
	v_lshlrev_b32_e32 v3, 24, v5
	v_and_b32_e32 v5, 3, v4
	v_ffbh_u32_e32 v7, v5
	v_min_u32_e32 v7, 32, v7
	v_subrev_u32_e32 v8, 29, v7
	v_bfe_u32 v6, v4, 2, 5
	v_lshlrev_b32_e32 v4, v8, v4
	v_sub_u32_e32 v7, 30, v7
	v_and_b32_e32 v4, 3, v4
	v_cmp_eq_u32_e32 vcc, 0, v6
	v_cndmask_b32_e32 v6, v6, v7, vcc
	v_cndmask_b32_e32 v4, v5, v4, vcc
	v_mov_b32_e32 v5, 0x37800000
	v_lshlrev_b32_e32 v4, 21, v4
	v_and_b32_e32 v3, 0x80000000, v3
	v_lshl_add_u32 v5, v6, 23, v5
	v_or3_b32 v3, v3, v5, v4
	v_trunc_f32_e32 v3, v3
	v_mul_f32_e32 v4, 0x2f800000, v3
	v_floor_f32_e32 v4, v4
	v_fmac_f32_e32 v3, 0xcf800000, v4
	v_cvt_u32_f32_e32 v3, v3
	v_cvt_u32_f32_e32 v4, v4
.LBB372_190:
	s_or_b64 exec, exec, s[0:1]
	s_mov_b64 s[0:1], 0
	s_branch .LBB372_194
.LBB372_191:
	s_mov_b64 s[8:9], -1
                                        ; implicit-def: $vgpr3_vgpr4
	s_branch .LBB372_200
.LBB372_192:
	s_mov_b64 s[0:1], -1
                                        ; implicit-def: $vgpr3_vgpr4
	s_branch .LBB372_197
.LBB372_193:
	s_mov_b64 s[0:1], -1
                                        ; implicit-def: $vgpr3_vgpr4
.LBB372_194:
	s_and_b64 vcc, exec, s[0:1]
	s_cbranch_vccz .LBB372_196
; %bb.195:
	global_load_ubyte v3, v[1:2], off
	s_mov_b32 s0, 0x7f800000
	s_brev_b32 s1, 1
	s_waitcnt vmcnt(0)
	v_lshlrev_b32_e32 v3, 24, v3
	v_and_b32_e32 v4, 0x7f000000, v3
	v_ffbh_u32_e32 v5, v4
	v_min_u32_e32 v5, 32, v5
	v_sub_u32_e64 v5, v5, 4 clamp
	v_lshlrev_b32_e32 v7, v5, v4
	v_lshlrev_b32_e32 v5, 23, v5
	v_lshrrev_b32_e32 v7, 4, v7
	v_add_u32_e32 v6, 0x1000000, v4
	v_sub_u32_e32 v5, v7, v5
	v_ashrrev_i32_e32 v6, 8, v6
	v_add_u32_e32 v5, 0x3c000000, v5
	v_and_or_b32 v5, v6, s0, v5
	v_cmp_ne_u32_e32 vcc, 0, v4
	v_cndmask_b32_e32 v4, 0, v5, vcc
	v_and_or_b32 v3, v3, s1, v4
	v_trunc_f32_e32 v3, v3
	v_mul_f32_e32 v4, 0x2f800000, v3
	v_floor_f32_e32 v4, v4
	v_fmac_f32_e32 v3, 0xcf800000, v4
	v_cvt_u32_f32_e32 v3, v3
	v_cvt_u32_f32_e32 v4, v4
.LBB372_196:
	s_mov_b64 s[0:1], 0
.LBB372_197:
	s_andn2_b64 vcc, exec, s[0:1]
	s_cbranch_vccnz .LBB372_199
; %bb.198:
	global_load_ubyte v3, v[1:2], off
	s_movk_i32 s0, 0x7f00
	s_brev_b32 s1, 16
	s_brev_b32 s8, 1
	s_waitcnt vmcnt(0)
	v_lshlrev_b16_e32 v4, 8, v3
	v_lshlrev_b32_e32 v3, 25, v3
	v_lshrrev_b32_e32 v5, 4, v3
	v_and_or_b32 v6, v4, s0, 0.5
	v_or_b32_e32 v5, 0x70000000, v5
	v_add_f32_e32 v6, -0.5, v6
	v_mul_f32_e32 v5, 0x7800000, v5
	v_cmp_gt_u32_e32 vcc, s1, v3
	v_bfe_i32 v4, v4, 0, 16
	v_cndmask_b32_e32 v3, v5, v6, vcc
	v_and_or_b32 v3, v4, s8, v3
	v_trunc_f32_e32 v3, v3
	v_mul_f32_e32 v4, 0x2f800000, v3
	v_floor_f32_e32 v4, v4
	v_fmac_f32_e32 v3, 0xcf800000, v4
	v_cvt_u32_f32_e32 v3, v3
	v_cvt_u32_f32_e32 v4, v4
.LBB372_199:
	s_mov_b64 s[8:9], 0
	s_mov_b64 s[0:1], -1
.LBB372_200:
	s_andn2_b64 vcc, exec, s[8:9]
	s_cbranch_vccnz .LBB372_211
; %bb.201:
	s_cmp_gt_i32 s10, 14
	s_cbranch_scc0 .LBB372_204
; %bb.202:
	s_cmp_eq_u32 s10, 15
	s_cbranch_scc0 .LBB372_205
; %bb.203:
	global_load_ushort v3, v[1:2], off
	s_mov_b64 s[0:1], -1
	s_mov_b64 s[2:3], 0
	s_waitcnt vmcnt(0)
	v_lshlrev_b32_e32 v3, 16, v3
	v_trunc_f32_e32 v3, v3
	v_mul_f32_e32 v4, 0x2f800000, v3
	v_floor_f32_e32 v4, v4
	v_fmac_f32_e32 v3, 0xcf800000, v4
	v_cvt_u32_f32_e32 v3, v3
	v_cvt_u32_f32_e32 v4, v4
	s_branch .LBB372_206
.LBB372_204:
	s_mov_b64 s[8:9], -1
                                        ; implicit-def: $vgpr3_vgpr4
	s_branch .LBB372_207
.LBB372_205:
	s_mov_b64 s[2:3], -1
                                        ; implicit-def: $vgpr3_vgpr4
.LBB372_206:
	s_mov_b64 s[8:9], 0
.LBB372_207:
	s_and_b64 vcc, exec, s[8:9]
	s_cbranch_vccz .LBB372_211
; %bb.208:
	s_cmp_eq_u32 s10, 11
	s_cbranch_scc0 .LBB372_210
; %bb.209:
	global_load_ubyte v3, v[1:2], off
	s_mov_b32 s2, 0
	s_mov_b64 s[0:1], -1
	s_waitcnt vmcnt(1)
	v_mov_b32_e32 v4, s2
	s_mov_b64 s[2:3], 0
	s_waitcnt vmcnt(0)
	v_cmp_ne_u16_e32 vcc, 0, v3
	v_cndmask_b32_e64 v3, 0, 1, vcc
	s_branch .LBB372_211
.LBB372_210:
	s_mov_b64 s[2:3], -1
                                        ; implicit-def: $vgpr3_vgpr4
.LBB372_211:
	s_branch .LBB372_24
.LBB372_212:
	s_cmp_lt_i32 s10, 5
	s_cbranch_scc1 .LBB372_217
; %bb.213:
	s_cmp_lt_i32 s10, 8
	s_cbranch_scc1 .LBB372_218
; %bb.214:
	;; [unrolled: 3-line block ×3, first 2 shown]
	s_cmp_gt_i32 s10, 9
	s_cbranch_scc0 .LBB372_220
; %bb.216:
	global_load_dwordx2 v[3:4], v[1:2], off
	s_movk_i32 s0, 0xffe0
	s_waitcnt vmcnt(0)
	v_trunc_f64_e32 v[3:4], v[3:4]
	v_ldexp_f64 v[5:6], v[3:4], s0
	s_mov_b32 s0, 0
	s_mov_b32 s1, 0xc1f00000
	v_floor_f64_e32 v[5:6], v[5:6]
	v_fma_f64 v[7:8], v[5:6], s[0:1], v[3:4]
	v_cvt_u32_f64_e32 v4, v[5:6]
	s_mov_b64 s[0:1], 0
	v_cvt_u32_f64_e32 v3, v[7:8]
	s_branch .LBB372_221
.LBB372_217:
                                        ; implicit-def: $vgpr3_vgpr4
	s_branch .LBB372_239
.LBB372_218:
	s_mov_b64 s[0:1], -1
                                        ; implicit-def: $vgpr3_vgpr4
	s_branch .LBB372_227
.LBB372_219:
	s_mov_b64 s[0:1], -1
                                        ; implicit-def: $vgpr3_vgpr4
	s_branch .LBB372_224
.LBB372_220:
	s_mov_b64 s[0:1], -1
                                        ; implicit-def: $vgpr3_vgpr4
.LBB372_221:
	s_andn2_b64 vcc, exec, s[0:1]
	s_cbranch_vccnz .LBB372_223
; %bb.222:
	global_load_dword v3, v[1:2], off
	s_waitcnt vmcnt(0)
	v_trunc_f32_e32 v3, v3
	v_mul_f32_e32 v4, 0x2f800000, v3
	v_floor_f32_e32 v5, v4
	v_fmac_f32_e32 v3, 0xcf800000, v5
	v_cvt_u32_f32_e32 v4, v5
	v_cvt_u32_f32_e32 v3, v3
.LBB372_223:
	s_mov_b64 s[0:1], 0
.LBB372_224:
	s_andn2_b64 vcc, exec, s[0:1]
	s_cbranch_vccnz .LBB372_226
; %bb.225:
	global_load_dword v3, v[1:2], off
	s_waitcnt vmcnt(1)
	v_mov_b32_e32 v4, 0
	s_waitcnt vmcnt(0)
	v_cvt_f32_f16_e32 v3, v3
	v_cvt_u32_f32_e32 v3, v3
.LBB372_226:
	s_mov_b64 s[0:1], 0
.LBB372_227:
	s_andn2_b64 vcc, exec, s[0:1]
	s_cbranch_vccnz .LBB372_238
; %bb.228:
	s_cmp_lt_i32 s10, 6
	s_cbranch_scc1 .LBB372_231
; %bb.229:
	s_cmp_gt_i32 s10, 6
	s_cbranch_scc0 .LBB372_232
; %bb.230:
	global_load_dwordx2 v[3:4], v[1:2], off
	s_movk_i32 s0, 0xffe0
	s_waitcnt vmcnt(0)
	v_trunc_f64_e32 v[3:4], v[3:4]
	v_ldexp_f64 v[5:6], v[3:4], s0
	s_mov_b32 s0, 0
	s_mov_b32 s1, 0xc1f00000
	v_floor_f64_e32 v[5:6], v[5:6]
	v_fma_f64 v[7:8], v[5:6], s[0:1], v[3:4]
	v_cvt_u32_f64_e32 v4, v[5:6]
	s_mov_b64 s[0:1], 0
	v_cvt_u32_f64_e32 v3, v[7:8]
	s_branch .LBB372_233
.LBB372_231:
	s_mov_b64 s[0:1], -1
                                        ; implicit-def: $vgpr3_vgpr4
	s_branch .LBB372_236
.LBB372_232:
	s_mov_b64 s[0:1], -1
                                        ; implicit-def: $vgpr3_vgpr4
.LBB372_233:
	s_andn2_b64 vcc, exec, s[0:1]
	s_cbranch_vccnz .LBB372_235
; %bb.234:
	global_load_dword v3, v[1:2], off
	s_waitcnt vmcnt(0)
	v_trunc_f32_e32 v3, v3
	v_mul_f32_e32 v4, 0x2f800000, v3
	v_floor_f32_e32 v5, v4
	v_fmac_f32_e32 v3, 0xcf800000, v5
	v_cvt_u32_f32_e32 v4, v5
	v_cvt_u32_f32_e32 v3, v3
.LBB372_235:
	s_mov_b64 s[0:1], 0
.LBB372_236:
	s_andn2_b64 vcc, exec, s[0:1]
	s_cbranch_vccnz .LBB372_238
; %bb.237:
	global_load_ushort v3, v[1:2], off
	s_waitcnt vmcnt(1)
	v_mov_b32_e32 v4, 0
	s_waitcnt vmcnt(0)
	v_cvt_f32_f16_e32 v3, v3
	v_cvt_u32_f32_e32 v3, v3
.LBB372_238:
	s_cbranch_execnz .LBB372_258
.LBB372_239:
	s_cmp_lt_i32 s10, 2
	s_cbranch_scc1 .LBB372_243
; %bb.240:
	s_cmp_lt_i32 s10, 3
	s_cbranch_scc1 .LBB372_244
; %bb.241:
	s_cmp_gt_i32 s10, 3
	s_cbranch_scc0 .LBB372_245
; %bb.242:
	global_load_dwordx2 v[3:4], v[1:2], off
	s_mov_b64 s[0:1], 0
	s_branch .LBB372_246
.LBB372_243:
	s_mov_b64 s[0:1], -1
                                        ; implicit-def: $vgpr3_vgpr4
	s_branch .LBB372_252
.LBB372_244:
	s_mov_b64 s[0:1], -1
                                        ; implicit-def: $vgpr3_vgpr4
	s_branch .LBB372_249
.LBB372_245:
	s_mov_b64 s[0:1], -1
                                        ; implicit-def: $vgpr3_vgpr4
.LBB372_246:
	s_andn2_b64 vcc, exec, s[0:1]
	s_cbranch_vccnz .LBB372_248
; %bb.247:
	global_load_dword v3, v[1:2], off
	s_waitcnt vmcnt(0)
	v_ashrrev_i32_e32 v4, 31, v3
.LBB372_248:
	s_mov_b64 s[0:1], 0
.LBB372_249:
	s_andn2_b64 vcc, exec, s[0:1]
	s_cbranch_vccnz .LBB372_251
; %bb.250:
	global_load_ushort v3, v[1:2], off
	s_waitcnt vmcnt(0)
	v_bfe_i32 v3, v3, 0, 16
	v_ashrrev_i32_e32 v4, 31, v3
.LBB372_251:
	s_mov_b64 s[0:1], 0
.LBB372_252:
	s_andn2_b64 vcc, exec, s[0:1]
	s_cbranch_vccnz .LBB372_258
; %bb.253:
	s_cmp_gt_i32 s10, 0
	s_cbranch_scc0 .LBB372_255
; %bb.254:
	global_load_sbyte v3, v[1:2], off
	s_mov_b64 s[0:1], 0
	s_waitcnt vmcnt(0)
	v_bfe_i32 v3, v3, 0, 16
	v_ashrrev_i32_e32 v4, 31, v3
	s_branch .LBB372_256
.LBB372_255:
	s_mov_b64 s[0:1], -1
                                        ; implicit-def: $vgpr3_vgpr4
.LBB372_256:
	s_andn2_b64 vcc, exec, s[0:1]
	s_cbranch_vccnz .LBB372_258
; %bb.257:
	global_load_ubyte v1, v[1:2], off
	s_mov_b32 s0, 0
	s_waitcnt vmcnt(1)
	v_mov_b32_e32 v4, s0
	s_waitcnt vmcnt(0)
	v_and_b32_e32 v3, 0xffff, v1
.LBB372_258:
	s_branch .LBB372_25
.LBB372_259:
	s_mov_b64 s[0:1], 0
.LBB372_260:
	s_mov_b64 s[8:9], 0
                                        ; implicit-def: $vgpr11
.LBB372_261:
	s_and_b64 s[56:57], s[0:1], exec
	s_and_b64 s[58:59], s[2:3], exec
	s_orn2_b64 s[2:3], s[8:9], exec
.LBB372_262:
	s_or_b64 exec, exec, s[60:61]
	s_mov_b64 s[10:11], 0
	s_mov_b64 s[0:1], 0
                                        ; implicit-def: $vgpr1_vgpr2
                                        ; implicit-def: $vgpr0
                                        ; implicit-def: $vgpr3_vgpr4
	s_and_saveexec_b64 s[60:61], s[2:3]
	s_cbranch_execz .LBB372_269
; %bb.263:
	v_cmp_gt_i32_e32 vcc, s74, v11
	s_mov_b64 s[0:1], -1
	s_mov_b64 s[62:63], s[58:59]
	s_mov_b64 s[64:65], s[56:57]
	s_and_saveexec_b64 s[66:67], vcc
	s_cbranch_execz .LBB372_534
; %bb.264:
	s_andn2_b64 vcc, exec, s[40:41]
	s_cbranch_vccnz .LBB372_272
; %bb.265:
	s_andn2_b64 vcc, exec, s[54:55]
	s_cbranch_vccnz .LBB372_273
; %bb.266:
	s_add_i32 s69, s79, 1
	s_cmp_eq_u32 s76, 2
	s_cbranch_scc1 .LBB372_274
; %bb.267:
	s_and_b32 s68, s69, 28
	v_mov_b32_e32 v2, 0
	s_mov_b32 s70, 0
	s_mov_b64 s[62:63], s[34:35]
	s_mov_b64 s[64:65], s[52:53]
	v_mov_b32_e32 v0, 0
	v_mov_b32_e32 v1, v11
.LBB372_268:                            ; =>This Inner Loop Header: Depth=1
	s_load_dwordx8 s[16:23], s[62:63], 0x4
	s_load_dwordx4 s[0:3], s[62:63], 0x24
	s_load_dwordx8 s[8:15], s[64:65], 0x0
	s_add_u32 s62, s62, 48
	s_addc_u32 s63, s63, 0
	s_waitcnt vmcnt(0) lgkmcnt(0)
	v_mul_hi_u32 v3, s17, v1
	s_add_i32 s70, s70, 4
	s_add_u32 s64, s64, 32
	s_addc_u32 s65, s65, 0
	v_add_u32_e32 v3, v1, v3
	v_lshrrev_b32_e32 v3, s18, v3
	v_mul_lo_u32 v4, v3, s16
	v_mul_hi_u32 v5, s20, v3
	s_cmp_eq_u32 s68, s70
	v_sub_u32_e32 v1, v1, v4
	v_add_u32_e32 v4, v3, v5
	v_mul_lo_u32 v5, v1, s8
	v_mul_lo_u32 v6, v1, s9
	v_lshrrev_b32_e32 v1, s21, v4
	v_mul_lo_u32 v4, v1, s19
	v_mul_hi_u32 v7, s23, v1
	v_sub_u32_e32 v3, v3, v4
	v_add_u32_e32 v4, v1, v7
	v_lshrrev_b32_e32 v4, s0, v4
	v_mul_hi_u32 v8, s2, v4
	v_mul_lo_u32 v9, v4, s22
	v_mul_lo_u32 v7, v3, s10
	;; [unrolled: 1-line block ×3, first 2 shown]
	v_sub_u32_e32 v9, v1, v9
	v_add_u32_e32 v1, v4, v8
	v_lshrrev_b32_e32 v1, s3, v1
	v_mul_lo_u32 v8, v1, s1
	v_mul_lo_u32 v10, v9, s12
	;; [unrolled: 1-line block ×3, first 2 shown]
	v_add3_u32 v0, v5, v0, v7
	v_sub_u32_e32 v4, v4, v8
	v_mul_lo_u32 v8, v4, s14
	v_mul_lo_u32 v4, v4, s15
	v_add3_u32 v2, v6, v2, v3
	v_add3_u32 v0, v10, v0, v8
	v_add3_u32 v2, v9, v2, v4
	s_cbranch_scc0 .LBB372_268
	s_branch .LBB372_275
.LBB372_269:
	s_or_b64 exec, exec, s[60:61]
	s_mov_b64 s[2:3], 0
	s_and_saveexec_b64 s[8:9], s[58:59]
	s_cbranch_execnz .LBB372_902
.LBB372_270:
	s_or_b64 exec, exec, s[8:9]
	s_and_saveexec_b64 s[8:9], s[64:65]
	s_xor_b64 s[8:9], exec, s[8:9]
	s_cbranch_execz .LBB372_903
.LBB372_271:
	global_load_ubyte v3, v[1:2], off
	s_mov_b32 s12, 0
	s_waitcnt vmcnt(1)
	v_mov_b32_e32 v4, s12
	s_or_b64 s[0:1], s[0:1], exec
	s_waitcnt vmcnt(0)
	v_cmp_ne_u16_e32 vcc, 0, v3
	v_cndmask_b32_e64 v3, 0, 1, vcc
	s_or_b64 exec, exec, s[8:9]
	s_and_saveexec_b64 s[8:9], s[10:11]
	s_cbranch_execz .LBB372_949
	s_branch .LBB372_904
.LBB372_272:
                                        ; implicit-def: $vgpr0
                                        ; implicit-def: $vgpr2
	s_andn2_b64 vcc, exec, s[0:1]
	s_cbranch_vccz .LBB372_279
	s_branch .LBB372_281
.LBB372_273:
	v_mov_b32_e32 v0, 0
	v_mov_b32_e32 v2, 0
	s_branch .LBB372_278
.LBB372_274:
	s_mov_b32 s68, 0
	v_mov_b32_e32 v0, 0
	v_mov_b32_e32 v2, 0
	;; [unrolled: 1-line block ×3, first 2 shown]
.LBB372_275:
	s_and_b32 s8, s69, 3
	s_cmp_eq_u32 s8, 0
	s_cbranch_scc1 .LBB372_278
; %bb.276:
	s_lshl_b32 s0, s68, 3
	s_add_u32 s0, s34, s0
	s_addc_u32 s1, s35, 0
	s_add_u32 s0, s0, 0xc4
	s_addc_u32 s1, s1, 0
	s_mul_i32 s2, s68, 12
	s_add_u32 s2, s34, s2
	s_addc_u32 s3, s35, 0
.LBB372_277:                            ; =>This Inner Loop Header: Depth=1
	s_load_dwordx2 s[10:11], s[2:3], 0x4
	s_load_dword s9, s[2:3], 0xc
	s_load_dwordx2 s[12:13], s[0:1], 0x0
	s_add_u32 s2, s2, 12
	s_addc_u32 s3, s3, 0
	s_waitcnt vmcnt(0) lgkmcnt(0)
	v_mul_hi_u32 v3, s11, v1
	s_add_u32 s0, s0, 8
	s_addc_u32 s1, s1, 0
	s_add_i32 s8, s8, -1
	v_add_u32_e32 v3, v1, v3
	v_lshrrev_b32_e32 v4, s9, v3
	v_mul_lo_u32 v3, v4, s10
	s_cmp_lg_u32 s8, 0
	v_sub_u32_e32 v3, v1, v3
	v_mad_u64_u32 v[0:1], s[10:11], v3, s12, v[0:1]
	v_mad_u64_u32 v[2:3], s[10:11], v3, s13, v[2:3]
	v_mov_b32_e32 v1, v4
	s_cbranch_scc1 .LBB372_277
.LBB372_278:
	s_cbranch_execnz .LBB372_281
.LBB372_279:
	v_mul_hi_u32 v0, s29, v11
	s_andn2_b64 vcc, exec, s[50:51]
	v_add_u32_e32 v0, v11, v0
	v_lshrrev_b32_e32 v1, s30, v0
	v_mul_lo_u32 v0, v1, s28
	v_sub_u32_e32 v2, v11, v0
	v_mul_lo_u32 v0, v2, s36
	v_mul_lo_u32 v2, v2, s37
	s_cbranch_vccnz .LBB372_281
; %bb.280:
	s_waitcnt vmcnt(0)
	v_mul_hi_u32 v3, s48, v1
	v_add_u32_e32 v3, v1, v3
	v_lshrrev_b32_e32 v3, s49, v3
	v_mul_lo_u32 v3, v3, s31
	v_sub_u32_e32 v3, v1, v3
	v_mad_u64_u32 v[0:1], s[0:1], v3, s38, v[0:1]
	v_mad_u64_u32 v[2:3], s[0:1], v3, s39, v[2:3]
.LBB372_281:
	s_waitcnt vmcnt(0)
	v_mov_b32_e32 v3, s27
	s_and_b32 s10, 0xffff, s78
	v_add_co_u32_e32 v1, vcc, s26, v2
	s_cmp_lt_i32 s10, 11
	v_addc_co_u32_e32 v2, vcc, 0, v3, vcc
	s_cbranch_scc1 .LBB372_288
; %bb.282:
	s_cmp_gt_i32 s10, 25
	s_cbranch_scc0 .LBB372_297
; %bb.283:
	s_cmp_gt_i32 s10, 28
	s_cbranch_scc0 .LBB372_299
	;; [unrolled: 3-line block ×4, first 2 shown]
; %bb.286:
	s_cmp_eq_u32 s10, 46
	s_mov_b64 s[8:9], 0
	s_cbranch_scc0 .LBB372_309
; %bb.287:
	global_load_dword v3, v[1:2], off
	s_mov_b64 s[0:1], -1
	s_mov_b64 s[2:3], 0
	s_waitcnt vmcnt(0)
	v_lshlrev_b32_e32 v3, 16, v3
	v_trunc_f32_e32 v3, v3
	v_mul_f32_e32 v4, 0x2f800000, v3
	v_floor_f32_e32 v4, v4
	v_fmac_f32_e32 v3, 0xcf800000, v4
	v_cvt_u32_f32_e32 v3, v3
	v_cvt_u32_f32_e32 v4, v4
	s_branch .LBB372_310
.LBB372_288:
	s_mov_b64 s[0:1], 0
                                        ; implicit-def: $vgpr3_vgpr4
	s_mov_b64 s[2:3], s[58:59]
	s_cbranch_execnz .LBB372_483
.LBB372_289:
	s_andn2_b64 vcc, exec, s[0:1]
	s_cbranch_vccnz .LBB372_531
.LBB372_290:
	s_waitcnt vmcnt(0)
	v_cmp_ne_u64_e32 vcc, s[44:45], v[3:4]
	v_mov_b32_e32 v1, s25
	s_xor_b64 s[8:9], s[46:47], vcc
	s_and_b32 s16, s77, 0xff
	v_add_co_u32_e32 v0, vcc, s24, v0
	s_cmp_lt_i32 s16, 11
	v_addc_co_u32_e32 v1, vcc, 0, v1, vcc
	s_cbranch_scc1 .LBB372_298
; %bb.291:
	s_and_b32 s17, 0xffff, s16
	s_cmp_gt_i32 s17, 25
	s_cbranch_scc0 .LBB372_300
; %bb.292:
	s_cmp_gt_i32 s17, 28
	s_cbranch_scc0 .LBB372_302
; %bb.293:
	;; [unrolled: 3-line block ×4, first 2 shown]
	s_mov_b64 s[12:13], 0
	s_mov_b64 s[0:1], -1
	s_cmp_eq_u32 s17, 46
	s_mov_b64 s[10:11], 0
	s_cbranch_scc0 .LBB372_314
; %bb.296:
	v_cndmask_b32_e64 v2, 0, 1.0, s[8:9]
	v_bfe_u32 v3, v2, 16, 1
	s_movk_i32 s0, 0x7fff
	v_add3_u32 v2, v2, v3, s0
	v_lshrrev_b32_e32 v2, 16, v2
	global_store_dword v[0:1], v2, off
	s_mov_b64 s[10:11], -1
	s_mov_b64 s[0:1], 0
	s_branch .LBB372_314
.LBB372_297:
	s_mov_b64 s[8:9], -1
	s_mov_b64 s[0:1], 0
	s_mov_b64 s[2:3], s[58:59]
                                        ; implicit-def: $vgpr3_vgpr4
	s_branch .LBB372_451
.LBB372_298:
	s_mov_b64 s[12:13], -1
	s_mov_b64 s[10:11], 0
	s_mov_b64 s[0:1], s[56:57]
	s_branch .LBB372_383
.LBB372_299:
	s_mov_b64 s[8:9], -1
	s_mov_b64 s[0:1], 0
	s_mov_b64 s[2:3], s[58:59]
                                        ; implicit-def: $vgpr3_vgpr4
	s_branch .LBB372_432
.LBB372_300:
	s_mov_b64 s[12:13], -1
	s_mov_b64 s[10:11], 0
	s_mov_b64 s[0:1], s[56:57]
	s_branch .LBB372_341
.LBB372_301:
	s_mov_b64 s[8:9], -1
	s_mov_b64 s[0:1], 0
	s_mov_b64 s[2:3], s[58:59]
                                        ; implicit-def: $vgpr3_vgpr4
	s_branch .LBB372_427
.LBB372_302:
	s_mov_b64 s[12:13], -1
	s_mov_b64 s[10:11], 0
	s_mov_b64 s[0:1], s[56:57]
	s_branch .LBB372_324
.LBB372_303:
	s_andn2_saveexec_b64 s[14:15], s[14:15]
	s_cbranch_execz .LBB372_68
.LBB372_304:
	v_add_f32_e32 v2, 0x46000000, v3
	v_and_b32_e32 v2, 0xff, v2
	v_cmp_ne_u32_e32 vcc, 0, v2
	s_andn2_b64 s[12:13], s[12:13], exec
	s_and_b64 s[18:19], vcc, exec
	s_or_b64 s[12:13], s[12:13], s[18:19]
	s_or_b64 exec, exec, s[14:15]
	v_mov_b32_e32 v4, 0
	s_and_saveexec_b64 s[14:15], s[12:13]
	s_cbranch_execnz .LBB372_69
	s_branch .LBB372_70
.LBB372_305:
	s_mov_b64 s[8:9], -1
	s_mov_b64 s[0:1], 0
	s_mov_b64 s[2:3], s[58:59]
                                        ; implicit-def: $vgpr3_vgpr4
	s_branch .LBB372_310
.LBB372_306:
	s_mov_b64 s[12:13], -1
	s_mov_b64 s[10:11], 0
	s_mov_b64 s[0:1], s[56:57]
	s_branch .LBB372_320
.LBB372_307:
	s_andn2_saveexec_b64 s[14:15], s[14:15]
	s_cbranch_execz .LBB372_81
.LBB372_308:
	v_add_f32_e32 v2, 0x42800000, v3
	v_and_b32_e32 v2, 0xff, v2
	v_cmp_ne_u32_e32 vcc, 0, v2
	s_andn2_b64 s[12:13], s[12:13], exec
	s_and_b64 s[18:19], vcc, exec
	s_or_b64 s[12:13], s[12:13], s[18:19]
	s_or_b64 exec, exec, s[14:15]
	v_mov_b32_e32 v4, 0
	s_and_saveexec_b64 s[14:15], s[12:13]
	s_cbranch_execnz .LBB372_82
	s_branch .LBB372_83
.LBB372_309:
	s_mov_b64 s[2:3], -1
                                        ; implicit-def: $vgpr3_vgpr4
	s_mov_b64 s[0:1], 0
.LBB372_310:
	s_and_b64 vcc, exec, s[8:9]
	s_cbranch_vccz .LBB372_426
; %bb.311:
	s_cmp_eq_u32 s10, 44
	s_cbranch_scc0 .LBB372_425
; %bb.312:
	global_load_ubyte v3, v[1:2], off
	s_mov_b64 s[0:1], -1
	s_mov_b64 s[2:3], 0
	s_waitcnt vmcnt(0)
	v_lshlrev_b32_e32 v4, 23, v3
	v_trunc_f32_e32 v4, v4
	v_mul_f32_e32 v5, 0x2f800000, v4
	v_floor_f32_e32 v5, v5
	v_fmac_f32_e32 v4, 0xcf800000, v5
	v_cvt_u32_f32_e32 v5, v5
	v_cvt_u32_f32_e32 v6, v4
	v_cmp_ne_u32_e32 vcc, 0, v3
	v_cndmask_b32_e32 v4, 0, v5, vcc
	v_cndmask_b32_e32 v3, 0, v6, vcc
	s_branch .LBB372_426
.LBB372_313:
	s_mov_b64 s[12:13], -1
	s_mov_b64 s[10:11], 0
	s_mov_b64 s[0:1], s[56:57]
.LBB372_314:
	s_and_b64 vcc, exec, s[12:13]
	s_cbranch_vccz .LBB372_319
; %bb.315:
	s_cmp_eq_u32 s17, 44
	s_mov_b64 s[0:1], -1
	s_cbranch_scc0 .LBB372_319
; %bb.316:
	v_cndmask_b32_e64 v3, 0, 1.0, s[8:9]
	v_lshrrev_b32_e32 v2, 23, v3
	s_movk_i32 s0, 0xff
	v_cmp_ne_u32_e32 vcc, s0, v2
	v_mov_b32_e32 v4, 0xff
	s_and_saveexec_b64 s[10:11], vcc
; %bb.317:
	s_mov_b32 s0, 0x3fffff
	v_and_b32_e32 v4, 0x400000, v3
	v_and_or_b32 v3, v3, s0, v2
	v_cmp_ne_u32_e32 vcc, 0, v4
	v_cmp_ne_u32_e64 s[0:1], 0, v3
	s_and_b64 s[0:1], vcc, s[0:1]
	v_cndmask_b32_e64 v3, 0, 1, s[0:1]
	v_add_u32_e32 v4, v2, v3
; %bb.318:
	s_or_b64 exec, exec, s[10:11]
	s_mov_b64 s[10:11], -1
	s_mov_b64 s[0:1], 0
	global_store_byte v[0:1], v4, off
.LBB372_319:
	s_mov_b64 s[12:13], 0
.LBB372_320:
	s_and_b64 vcc, exec, s[12:13]
	s_cbranch_vccz .LBB372_323
; %bb.321:
	s_cmp_eq_u32 s17, 29
	s_mov_b64 s[0:1], -1
	s_cbranch_scc0 .LBB372_323
; %bb.322:
	s_mov_b32 s0, 0
	v_cndmask_b32_e64 v2, 0, 1, s[8:9]
	v_mov_b32_e32 v3, s0
	global_store_dwordx2 v[0:1], v[2:3], off
	s_mov_b64 s[10:11], -1
	s_mov_b64 s[0:1], 0
.LBB372_323:
	s_mov_b64 s[12:13], 0
.LBB372_324:
	s_and_b64 vcc, exec, s[12:13]
	s_cbranch_vccz .LBB372_340
; %bb.325:
	s_cmp_lt_i32 s17, 27
	s_mov_b64 s[10:11], -1
	s_cbranch_scc1 .LBB372_331
; %bb.326:
	s_cmp_gt_i32 s17, 27
	s_cbranch_scc0 .LBB372_328
; %bb.327:
	v_cndmask_b32_e64 v2, 0, 1, s[8:9]
	s_mov_b64 s[10:11], 0
	global_store_dword v[0:1], v2, off
.LBB372_328:
	s_andn2_b64 vcc, exec, s[10:11]
	s_cbranch_vccnz .LBB372_330
; %bb.329:
	v_cndmask_b32_e64 v2, 0, 1, s[8:9]
	global_store_short v[0:1], v2, off
.LBB372_330:
	s_mov_b64 s[10:11], 0
.LBB372_331:
	s_andn2_b64 vcc, exec, s[10:11]
	s_cbranch_vccnz .LBB372_339
; %bb.332:
	v_cndmask_b32_e64 v3, 0, 1.0, s[8:9]
	s_mov_b32 s10, 0x43800000
	v_cmp_gt_u32_e32 vcc, s10, v3
	v_mov_b32_e32 v4, 0x80
	s_and_saveexec_b64 s[10:11], vcc
	s_cbranch_execz .LBB372_338
; %bb.333:
	s_mov_b32 s12, 0x3bffffff
	v_cmp_lt_u32_e32 vcc, s12, v3
	s_mov_b64 s[12:13], 0
                                        ; implicit-def: $vgpr2
	s_and_saveexec_b64 s[14:15], vcc
	s_xor_b64 s[14:15], exec, s[14:15]
	s_cbranch_execz .LBB372_562
; %bb.334:
	v_bfe_u32 v2, v3, 20, 1
	s_mov_b32 s18, 0x487ffff
	v_add3_u32 v2, v3, v2, s18
	s_mov_b64 s[12:13], exec
	v_lshrrev_b32_e32 v2, 20, v2
                                        ; implicit-def: $vgpr3
	s_andn2_saveexec_b64 s[14:15], s[14:15]
	s_cbranch_execnz .LBB372_563
.LBB372_335:
	s_or_b64 exec, exec, s[14:15]
	v_mov_b32_e32 v4, 0
	s_and_saveexec_b64 s[14:15], s[12:13]
.LBB372_336:
	v_mov_b32_e32 v4, v2
.LBB372_337:
	s_or_b64 exec, exec, s[14:15]
.LBB372_338:
	s_or_b64 exec, exec, s[10:11]
	global_store_byte v[0:1], v4, off
.LBB372_339:
	s_mov_b64 s[10:11], -1
.LBB372_340:
	s_mov_b64 s[12:13], 0
.LBB372_341:
	s_and_b64 vcc, exec, s[12:13]
	s_cbranch_vccz .LBB372_382
; %bb.342:
	s_cmp_gt_i32 s17, 22
	s_mov_b64 s[12:13], -1
	s_cbranch_scc0 .LBB372_374
; %bb.343:
	s_cmp_lt_i32 s17, 24
	s_mov_b64 s[10:11], -1
	s_cbranch_scc1 .LBB372_363
; %bb.344:
	s_cmp_gt_i32 s17, 24
	s_cbranch_scc0 .LBB372_352
; %bb.345:
	v_cndmask_b32_e64 v3, 0, 1.0, s[8:9]
	s_mov_b32 s10, 0x47800000
	v_cmp_gt_u32_e32 vcc, s10, v3
	v_mov_b32_e32 v4, 0x80
	s_and_saveexec_b64 s[10:11], vcc
	s_cbranch_execz .LBB372_351
; %bb.346:
	s_mov_b32 s12, 0x37ffffff
	v_cmp_lt_u32_e32 vcc, s12, v3
	s_mov_b64 s[12:13], 0
                                        ; implicit-def: $vgpr2
	s_and_saveexec_b64 s[14:15], vcc
	s_xor_b64 s[14:15], exec, s[14:15]
	s_cbranch_execz .LBB372_565
; %bb.347:
	v_bfe_u32 v2, v3, 21, 1
	s_mov_b32 s18, 0x88fffff
	v_add3_u32 v2, v3, v2, s18
	s_mov_b64 s[12:13], exec
	v_lshrrev_b32_e32 v2, 21, v2
                                        ; implicit-def: $vgpr3
	s_andn2_saveexec_b64 s[14:15], s[14:15]
	s_cbranch_execnz .LBB372_566
.LBB372_348:
	s_or_b64 exec, exec, s[14:15]
	v_mov_b32_e32 v4, 0
	s_and_saveexec_b64 s[14:15], s[12:13]
.LBB372_349:
	v_mov_b32_e32 v4, v2
.LBB372_350:
	s_or_b64 exec, exec, s[14:15]
.LBB372_351:
	s_or_b64 exec, exec, s[10:11]
	s_mov_b64 s[10:11], 0
	global_store_byte v[0:1], v4, off
.LBB372_352:
	s_and_b64 vcc, exec, s[10:11]
	s_cbranch_vccz .LBB372_362
; %bb.353:
	v_cndmask_b32_e64 v2, 0, 1.0, s[8:9]
	s_mov_b32 s10, 0x43f00000
	v_cmp_gt_u32_e32 vcc, s10, v2
                                        ; implicit-def: $vgpr3
	s_and_saveexec_b64 s[10:11], vcc
	s_xor_b64 s[10:11], exec, s[10:11]
	s_cbranch_execz .LBB372_359
; %bb.354:
	s_mov_b32 s12, 0x3c7fffff
	v_cmp_lt_u32_e32 vcc, s12, v2
                                        ; implicit-def: $vgpr3
	s_and_saveexec_b64 s[12:13], vcc
	s_xor_b64 s[12:13], exec, s[12:13]
; %bb.355:
	v_bfe_u32 v3, v2, 20, 1
	s_mov_b32 s14, 0x407ffff
	v_add3_u32 v2, v2, v3, s14
	v_lshrrev_b32_e32 v3, 20, v2
	v_and_b32_e32 v2, 0xff00000, v2
	s_mov_b32 s14, 0x7f00000
	v_mov_b32_e32 v4, 0x7e
	v_cmp_ne_u32_e32 vcc, s14, v2
	v_cndmask_b32_e32 v3, v4, v3, vcc
                                        ; implicit-def: $vgpr2
; %bb.356:
	s_andn2_saveexec_b64 s[12:13], s[12:13]
; %bb.357:
	v_add_f32_e32 v3, 0x46800000, v2
; %bb.358:
	s_or_b64 exec, exec, s[12:13]
                                        ; implicit-def: $vgpr2
.LBB372_359:
	s_andn2_saveexec_b64 s[10:11], s[10:11]
; %bb.360:
	s_mov_b32 s12, 0x7f800000
	v_mov_b32_e32 v3, 0x7e
	v_mov_b32_e32 v4, 0x7f
	v_cmp_lt_u32_e32 vcc, s12, v2
	v_cndmask_b32_e32 v3, v3, v4, vcc
; %bb.361:
	s_or_b64 exec, exec, s[10:11]
	global_store_byte v[0:1], v3, off
.LBB372_362:
	s_mov_b64 s[10:11], 0
.LBB372_363:
	s_andn2_b64 vcc, exec, s[10:11]
	s_cbranch_vccnz .LBB372_373
; %bb.364:
	v_cndmask_b32_e64 v2, 0, 1.0, s[8:9]
	s_mov_b32 s10, 0x47800000
	v_cmp_gt_u32_e32 vcc, s10, v2
                                        ; implicit-def: $vgpr3
	s_and_saveexec_b64 s[10:11], vcc
	s_xor_b64 s[10:11], exec, s[10:11]
	s_cbranch_execz .LBB372_370
; %bb.365:
	s_mov_b32 s12, 0x387fffff
	v_cmp_lt_u32_e32 vcc, s12, v2
                                        ; implicit-def: $vgpr3
	s_and_saveexec_b64 s[12:13], vcc
	s_xor_b64 s[12:13], exec, s[12:13]
; %bb.366:
	v_bfe_u32 v3, v2, 21, 1
	s_mov_b32 s14, 0x80fffff
	v_add3_u32 v2, v2, v3, s14
	v_lshrrev_b32_e32 v3, 21, v2
                                        ; implicit-def: $vgpr2
; %bb.367:
	s_andn2_saveexec_b64 s[12:13], s[12:13]
; %bb.368:
	v_add_f32_e32 v3, 0x43000000, v2
; %bb.369:
	s_or_b64 exec, exec, s[12:13]
                                        ; implicit-def: $vgpr2
.LBB372_370:
	s_andn2_saveexec_b64 s[10:11], s[10:11]
; %bb.371:
	s_mov_b32 s12, 0x7f800000
	v_mov_b32_e32 v3, 0x7c
	v_mov_b32_e32 v4, 0x7f
	v_cmp_lt_u32_e32 vcc, s12, v2
	v_cndmask_b32_e32 v3, v3, v4, vcc
; %bb.372:
	s_or_b64 exec, exec, s[10:11]
	global_store_byte v[0:1], v3, off
.LBB372_373:
	s_mov_b64 s[12:13], 0
	s_mov_b64 s[10:11], -1
.LBB372_374:
	s_andn2_b64 vcc, exec, s[12:13]
	s_cbranch_vccnz .LBB372_382
; %bb.375:
	s_cmp_gt_i32 s17, 14
	s_mov_b64 s[12:13], -1
	s_cbranch_scc0 .LBB372_379
; %bb.376:
	s_cmp_eq_u32 s17, 15
	s_mov_b64 s[0:1], -1
	s_cbranch_scc0 .LBB372_378
; %bb.377:
	v_cndmask_b32_e64 v2, 0, 1.0, s[8:9]
	v_bfe_u32 v3, v2, 16, 1
	s_movk_i32 s0, 0x7fff
	v_add3_u32 v2, v2, v3, s0
	global_store_short_d16_hi v[0:1], v2, off
	s_mov_b64 s[10:11], -1
	s_mov_b64 s[0:1], 0
.LBB372_378:
	s_mov_b64 s[12:13], 0
.LBB372_379:
	s_and_b64 vcc, exec, s[12:13]
	s_cbranch_vccz .LBB372_382
; %bb.380:
	s_cmp_eq_u32 s17, 11
	s_mov_b64 s[0:1], -1
	s_cbranch_scc0 .LBB372_382
; %bb.381:
	v_cndmask_b32_e64 v2, 0, 1, s[8:9]
	s_mov_b64 s[10:11], -1
	s_mov_b64 s[0:1], 0
	global_store_byte v[0:1], v2, off
.LBB372_382:
	s_mov_b64 s[12:13], 0
.LBB372_383:
	s_and_b64 vcc, exec, s[12:13]
	s_cbranch_vccz .LBB372_422
; %bb.384:
	s_and_b32 s12, 0xffff, s16
	s_cmp_lt_i32 s12, 5
	s_mov_b64 s[10:11], -1
	s_cbranch_scc1 .LBB372_405
; %bb.385:
	s_cmp_lt_i32 s12, 8
	s_cbranch_scc1 .LBB372_395
; %bb.386:
	s_cmp_lt_i32 s12, 9
	s_cbranch_scc1 .LBB372_392
; %bb.387:
	s_cmp_gt_i32 s12, 9
	s_cbranch_scc0 .LBB372_389
; %bb.388:
	v_cndmask_b32_e64 v2, 0, 1, s[8:9]
	v_cvt_f64_u32_e32 v[2:3], v2
	v_mov_b32_e32 v4, 0
	v_mov_b32_e32 v5, v4
	s_mov_b64 s[10:11], 0
	global_store_dwordx4 v[0:1], v[2:5], off
.LBB372_389:
	s_andn2_b64 vcc, exec, s[10:11]
	s_cbranch_vccnz .LBB372_391
; %bb.390:
	v_cndmask_b32_e64 v2, 0, 1.0, s[8:9]
	v_mov_b32_e32 v3, 0
	global_store_dwordx2 v[0:1], v[2:3], off
.LBB372_391:
	s_mov_b64 s[10:11], 0
.LBB372_392:
	s_andn2_b64 vcc, exec, s[10:11]
	s_cbranch_vccnz .LBB372_394
; %bb.393:
	v_cndmask_b32_e64 v2, 0, 1.0, s[8:9]
	v_cvt_f16_f32_e32 v2, v2
	global_store_dword v[0:1], v2, off
.LBB372_394:
	s_mov_b64 s[10:11], 0
.LBB372_395:
	s_andn2_b64 vcc, exec, s[10:11]
	s_cbranch_vccnz .LBB372_404
; %bb.396:
	s_cmp_lt_i32 s12, 6
	s_mov_b64 s[10:11], -1
	s_cbranch_scc1 .LBB372_402
; %bb.397:
	s_cmp_gt_i32 s12, 6
	s_cbranch_scc0 .LBB372_399
; %bb.398:
	v_cndmask_b32_e64 v2, 0, 1, s[8:9]
	v_cvt_f64_u32_e32 v[2:3], v2
	s_mov_b64 s[10:11], 0
	global_store_dwordx2 v[0:1], v[2:3], off
.LBB372_399:
	s_andn2_b64 vcc, exec, s[10:11]
	s_cbranch_vccnz .LBB372_401
; %bb.400:
	v_cndmask_b32_e64 v2, 0, 1.0, s[8:9]
	global_store_dword v[0:1], v2, off
.LBB372_401:
	s_mov_b64 s[10:11], 0
.LBB372_402:
	s_andn2_b64 vcc, exec, s[10:11]
	s_cbranch_vccnz .LBB372_404
; %bb.403:
	v_cndmask_b32_e64 v2, 0, 1.0, s[8:9]
	v_cvt_f16_f32_e32 v2, v2
	global_store_short v[0:1], v2, off
.LBB372_404:
	s_mov_b64 s[10:11], 0
.LBB372_405:
	s_andn2_b64 vcc, exec, s[10:11]
	s_cbranch_vccnz .LBB372_421
; %bb.406:
	s_cmp_lt_i32 s12, 2
	s_mov_b64 s[10:11], -1
	s_cbranch_scc1 .LBB372_416
; %bb.407:
	s_cmp_lt_i32 s12, 3
	s_cbranch_scc1 .LBB372_413
; %bb.408:
	s_cmp_gt_i32 s12, 3
	s_cbranch_scc0 .LBB372_410
; %bb.409:
	s_mov_b32 s10, 0
	v_cndmask_b32_e64 v2, 0, 1, s[8:9]
	v_mov_b32_e32 v3, s10
	s_mov_b64 s[10:11], 0
	global_store_dwordx2 v[0:1], v[2:3], off
.LBB372_410:
	s_andn2_b64 vcc, exec, s[10:11]
	s_cbranch_vccnz .LBB372_412
; %bb.411:
	v_cndmask_b32_e64 v2, 0, 1, s[8:9]
	global_store_dword v[0:1], v2, off
.LBB372_412:
	s_mov_b64 s[10:11], 0
.LBB372_413:
	s_andn2_b64 vcc, exec, s[10:11]
	s_cbranch_vccnz .LBB372_415
; %bb.414:
	v_cndmask_b32_e64 v2, 0, 1, s[8:9]
	global_store_short v[0:1], v2, off
.LBB372_415:
	s_mov_b64 s[10:11], 0
.LBB372_416:
	s_andn2_b64 vcc, exec, s[10:11]
	s_cbranch_vccnz .LBB372_421
; %bb.417:
	s_mov_b64 s[10:11], -1
	s_cmp_gt_i32 s12, 0
	v_cndmask_b32_e64 v2, 0, 1, s[8:9]
	s_cbranch_scc0 .LBB372_419
; %bb.418:
	s_mov_b64 s[10:11], 0
	global_store_byte v[0:1], v2, off
.LBB372_419:
	s_andn2_b64 vcc, exec, s[10:11]
	s_cbranch_vccnz .LBB372_421
; %bb.420:
	global_store_byte v[0:1], v2, off
.LBB372_421:
	s_mov_b64 s[10:11], -1
.LBB372_422:
	s_andn2_b64 vcc, exec, s[10:11]
	s_cbranch_vccnz .LBB372_424
; %bb.423:
	v_add_u32_e32 v11, 0x80, v11
	s_mov_b64 s[8:9], -1
	s_branch .LBB372_533
.LBB372_424:
	s_mov_b64 s[8:9], 0
	s_branch .LBB372_532
.LBB372_425:
	s_mov_b64 s[2:3], -1
                                        ; implicit-def: $vgpr3_vgpr4
.LBB372_426:
	s_mov_b64 s[8:9], 0
.LBB372_427:
	s_and_b64 vcc, exec, s[8:9]
	s_cbranch_vccz .LBB372_431
; %bb.428:
	s_cmp_eq_u32 s10, 29
	s_cbranch_scc0 .LBB372_430
; %bb.429:
	global_load_dwordx2 v[3:4], v[1:2], off
	s_mov_b64 s[0:1], -1
	s_mov_b64 s[2:3], 0
	s_branch .LBB372_431
.LBB372_430:
	s_mov_b64 s[2:3], -1
                                        ; implicit-def: $vgpr3_vgpr4
.LBB372_431:
	s_mov_b64 s[8:9], 0
.LBB372_432:
	s_and_b64 vcc, exec, s[8:9]
	s_cbranch_vccz .LBB372_450
; %bb.433:
	s_cmp_lt_i32 s10, 27
	s_cbranch_scc1 .LBB372_436
; %bb.434:
	s_cmp_gt_i32 s10, 27
	s_cbranch_scc0 .LBB372_437
; %bb.435:
	global_load_dword v3, v[1:2], off
	s_waitcnt vmcnt(1)
	v_mov_b32_e32 v4, 0
	s_mov_b64 s[0:1], 0
	s_branch .LBB372_438
.LBB372_436:
	s_mov_b64 s[0:1], -1
                                        ; implicit-def: $vgpr3_vgpr4
	s_branch .LBB372_441
.LBB372_437:
	s_mov_b64 s[0:1], -1
                                        ; implicit-def: $vgpr3_vgpr4
.LBB372_438:
	s_andn2_b64 vcc, exec, s[0:1]
	s_cbranch_vccnz .LBB372_440
; %bb.439:
	global_load_ushort v3, v[1:2], off
	s_mov_b32 s0, 0
	s_waitcnt vmcnt(1)
	v_mov_b32_e32 v4, s0
	s_waitcnt vmcnt(0)
	v_and_b32_e32 v3, 0xffff, v3
.LBB372_440:
	s_mov_b64 s[0:1], 0
.LBB372_441:
	s_andn2_b64 vcc, exec, s[0:1]
	s_cbranch_vccnz .LBB372_449
; %bb.442:
	global_load_ubyte v5, v[1:2], off
	s_movk_i32 s0, 0x7f
	s_mov_b64 s[8:9], 0
	s_waitcnt vmcnt(0)
	v_cmp_lt_i16_e32 vcc, s0, v5
	s_and_saveexec_b64 s[0:1], vcc
	s_xor_b64 s[0:1], exec, s[0:1]
; %bb.443:
	s_movk_i32 s8, 0x80
	v_cmp_ne_u16_e32 vcc, s8, v5
	s_and_b64 s[8:9], vcc, exec
; %bb.444:
	s_andn2_saveexec_b64 s[0:1], s[0:1]
; %bb.445:
	v_cmp_ne_u16_e32 vcc, 0, v5
	s_andn2_b64 s[8:9], s[8:9], exec
	s_and_b64 s[12:13], vcc, exec
	s_or_b64 s[8:9], s[8:9], s[12:13]
; %bb.446:
	s_or_b64 exec, exec, s[0:1]
	v_mov_b32_e32 v3, 0
	v_mov_b32_e32 v4, 0
	s_and_saveexec_b64 s[0:1], s[8:9]
	s_cbranch_execz .LBB372_448
; %bb.447:
	v_and_b32_e32 v4, 0xffff, v5
	v_lshlrev_b32_e32 v3, 24, v5
	v_and_b32_e32 v5, 7, v4
	v_ffbh_u32_e32 v7, v5
	v_min_u32_e32 v7, 32, v7
	v_subrev_u32_e32 v8, 28, v7
	v_bfe_u32 v6, v4, 3, 4
	v_lshlrev_b32_e32 v4, v8, v4
	v_sub_u32_e32 v7, 29, v7
	v_and_b32_e32 v4, 7, v4
	v_cmp_eq_u32_e32 vcc, 0, v6
	v_cndmask_b32_e32 v6, v6, v7, vcc
	v_cndmask_b32_e32 v4, v5, v4, vcc
	v_mov_b32_e32 v5, 0x3b800000
	v_lshlrev_b32_e32 v4, 20, v4
	v_and_b32_e32 v3, 0x80000000, v3
	v_lshl_add_u32 v5, v6, 23, v5
	v_or3_b32 v3, v3, v5, v4
	v_trunc_f32_e32 v3, v3
	v_mul_f32_e32 v4, 0x2f800000, v3
	v_floor_f32_e32 v4, v4
	v_fmac_f32_e32 v3, 0xcf800000, v4
	v_cvt_u32_f32_e32 v3, v3
	v_cvt_u32_f32_e32 v4, v4
.LBB372_448:
	s_or_b64 exec, exec, s[0:1]
.LBB372_449:
	s_mov_b64 s[0:1], -1
.LBB372_450:
	s_mov_b64 s[8:9], 0
.LBB372_451:
	s_and_b64 vcc, exec, s[8:9]
	s_cbranch_vccz .LBB372_482
; %bb.452:
	s_cmp_gt_i32 s10, 22
	s_cbranch_scc0 .LBB372_462
; %bb.453:
	s_cmp_lt_i32 s10, 24
	s_cbranch_scc1 .LBB372_463
; %bb.454:
	s_cmp_gt_i32 s10, 24
	s_cbranch_scc0 .LBB372_464
; %bb.455:
	global_load_ubyte v5, v[1:2], off
	s_movk_i32 s0, 0x7f
	s_mov_b64 s[8:9], 0
	s_waitcnt vmcnt(0)
	v_cmp_lt_i16_e32 vcc, s0, v5
	s_and_saveexec_b64 s[0:1], vcc
	s_xor_b64 s[0:1], exec, s[0:1]
; %bb.456:
	s_movk_i32 s8, 0x80
	v_cmp_ne_u16_e32 vcc, s8, v5
	s_and_b64 s[8:9], vcc, exec
; %bb.457:
	s_andn2_saveexec_b64 s[0:1], s[0:1]
; %bb.458:
	v_cmp_ne_u16_e32 vcc, 0, v5
	s_andn2_b64 s[8:9], s[8:9], exec
	s_and_b64 s[12:13], vcc, exec
	s_or_b64 s[8:9], s[8:9], s[12:13]
; %bb.459:
	s_or_b64 exec, exec, s[0:1]
	v_mov_b32_e32 v3, 0
	v_mov_b32_e32 v4, 0
	s_and_saveexec_b64 s[0:1], s[8:9]
	s_cbranch_execz .LBB372_461
; %bb.460:
	v_and_b32_e32 v4, 0xffff, v5
	v_lshlrev_b32_e32 v3, 24, v5
	v_and_b32_e32 v5, 3, v4
	v_ffbh_u32_e32 v7, v5
	v_min_u32_e32 v7, 32, v7
	v_subrev_u32_e32 v8, 29, v7
	v_bfe_u32 v6, v4, 2, 5
	v_lshlrev_b32_e32 v4, v8, v4
	v_sub_u32_e32 v7, 30, v7
	v_and_b32_e32 v4, 3, v4
	v_cmp_eq_u32_e32 vcc, 0, v6
	v_cndmask_b32_e32 v6, v6, v7, vcc
	v_cndmask_b32_e32 v4, v5, v4, vcc
	v_mov_b32_e32 v5, 0x37800000
	v_lshlrev_b32_e32 v4, 21, v4
	v_and_b32_e32 v3, 0x80000000, v3
	v_lshl_add_u32 v5, v6, 23, v5
	v_or3_b32 v3, v3, v5, v4
	v_trunc_f32_e32 v3, v3
	v_mul_f32_e32 v4, 0x2f800000, v3
	v_floor_f32_e32 v4, v4
	v_fmac_f32_e32 v3, 0xcf800000, v4
	v_cvt_u32_f32_e32 v3, v3
	v_cvt_u32_f32_e32 v4, v4
.LBB372_461:
	s_or_b64 exec, exec, s[0:1]
	s_mov_b64 s[0:1], 0
	s_branch .LBB372_465
.LBB372_462:
	s_mov_b64 s[8:9], -1
                                        ; implicit-def: $vgpr3_vgpr4
	s_branch .LBB372_471
.LBB372_463:
	s_mov_b64 s[0:1], -1
                                        ; implicit-def: $vgpr3_vgpr4
	s_branch .LBB372_468
.LBB372_464:
	s_mov_b64 s[0:1], -1
                                        ; implicit-def: $vgpr3_vgpr4
.LBB372_465:
	s_and_b64 vcc, exec, s[0:1]
	s_cbranch_vccz .LBB372_467
; %bb.466:
	global_load_ubyte v3, v[1:2], off
	s_mov_b32 s0, 0x7f800000
	s_brev_b32 s1, 1
	s_waitcnt vmcnt(0)
	v_lshlrev_b32_e32 v3, 24, v3
	v_and_b32_e32 v4, 0x7f000000, v3
	v_ffbh_u32_e32 v5, v4
	v_min_u32_e32 v5, 32, v5
	v_sub_u32_e64 v5, v5, 4 clamp
	v_lshlrev_b32_e32 v7, v5, v4
	v_lshlrev_b32_e32 v5, 23, v5
	v_lshrrev_b32_e32 v7, 4, v7
	v_add_u32_e32 v6, 0x1000000, v4
	v_sub_u32_e32 v5, v7, v5
	v_ashrrev_i32_e32 v6, 8, v6
	v_add_u32_e32 v5, 0x3c000000, v5
	v_and_or_b32 v5, v6, s0, v5
	v_cmp_ne_u32_e32 vcc, 0, v4
	v_cndmask_b32_e32 v4, 0, v5, vcc
	v_and_or_b32 v3, v3, s1, v4
	v_trunc_f32_e32 v3, v3
	v_mul_f32_e32 v4, 0x2f800000, v3
	v_floor_f32_e32 v4, v4
	v_fmac_f32_e32 v3, 0xcf800000, v4
	v_cvt_u32_f32_e32 v3, v3
	v_cvt_u32_f32_e32 v4, v4
.LBB372_467:
	s_mov_b64 s[0:1], 0
.LBB372_468:
	s_andn2_b64 vcc, exec, s[0:1]
	s_cbranch_vccnz .LBB372_470
; %bb.469:
	global_load_ubyte v3, v[1:2], off
	s_movk_i32 s0, 0x7f00
	s_brev_b32 s1, 16
	s_brev_b32 s8, 1
	s_waitcnt vmcnt(0)
	v_lshlrev_b16_e32 v4, 8, v3
	v_lshlrev_b32_e32 v3, 25, v3
	v_lshrrev_b32_e32 v5, 4, v3
	v_and_or_b32 v6, v4, s0, 0.5
	v_or_b32_e32 v5, 0x70000000, v5
	v_add_f32_e32 v6, -0.5, v6
	v_mul_f32_e32 v5, 0x7800000, v5
	v_cmp_gt_u32_e32 vcc, s1, v3
	v_bfe_i32 v4, v4, 0, 16
	v_cndmask_b32_e32 v3, v5, v6, vcc
	v_and_or_b32 v3, v4, s8, v3
	v_trunc_f32_e32 v3, v3
	v_mul_f32_e32 v4, 0x2f800000, v3
	v_floor_f32_e32 v4, v4
	v_fmac_f32_e32 v3, 0xcf800000, v4
	v_cvt_u32_f32_e32 v3, v3
	v_cvt_u32_f32_e32 v4, v4
.LBB372_470:
	s_mov_b64 s[8:9], 0
	s_mov_b64 s[0:1], -1
.LBB372_471:
	s_andn2_b64 vcc, exec, s[8:9]
	s_cbranch_vccnz .LBB372_482
; %bb.472:
	s_cmp_gt_i32 s10, 14
	s_cbranch_scc0 .LBB372_475
; %bb.473:
	s_cmp_eq_u32 s10, 15
	s_cbranch_scc0 .LBB372_476
; %bb.474:
	global_load_ushort v3, v[1:2], off
	s_mov_b64 s[0:1], -1
	s_mov_b64 s[2:3], 0
	s_waitcnt vmcnt(0)
	v_lshlrev_b32_e32 v3, 16, v3
	v_trunc_f32_e32 v3, v3
	v_mul_f32_e32 v4, 0x2f800000, v3
	v_floor_f32_e32 v4, v4
	v_fmac_f32_e32 v3, 0xcf800000, v4
	v_cvt_u32_f32_e32 v3, v3
	v_cvt_u32_f32_e32 v4, v4
	s_branch .LBB372_477
.LBB372_475:
	s_mov_b64 s[8:9], -1
                                        ; implicit-def: $vgpr3_vgpr4
	s_branch .LBB372_478
.LBB372_476:
	s_mov_b64 s[2:3], -1
                                        ; implicit-def: $vgpr3_vgpr4
.LBB372_477:
	s_mov_b64 s[8:9], 0
.LBB372_478:
	s_and_b64 vcc, exec, s[8:9]
	s_cbranch_vccz .LBB372_482
; %bb.479:
	s_cmp_eq_u32 s10, 11
	s_cbranch_scc0 .LBB372_481
; %bb.480:
	global_load_ubyte v3, v[1:2], off
	s_mov_b32 s2, 0
	s_mov_b64 s[0:1], -1
	s_waitcnt vmcnt(1)
	v_mov_b32_e32 v4, s2
	s_mov_b64 s[2:3], 0
	s_waitcnt vmcnt(0)
	v_cmp_ne_u16_e32 vcc, 0, v3
	v_cndmask_b32_e64 v3, 0, 1, vcc
	s_branch .LBB372_482
.LBB372_481:
	s_mov_b64 s[2:3], -1
                                        ; implicit-def: $vgpr3_vgpr4
.LBB372_482:
	s_branch .LBB372_289
.LBB372_483:
	s_cmp_lt_i32 s10, 5
	s_cbranch_scc1 .LBB372_488
; %bb.484:
	s_cmp_lt_i32 s10, 8
	s_cbranch_scc1 .LBB372_489
; %bb.485:
	;; [unrolled: 3-line block ×3, first 2 shown]
	s_cmp_gt_i32 s10, 9
	s_cbranch_scc0 .LBB372_491
; %bb.487:
	global_load_dwordx2 v[3:4], v[1:2], off
	s_movk_i32 s0, 0xffe0
	s_waitcnt vmcnt(0)
	v_trunc_f64_e32 v[3:4], v[3:4]
	v_ldexp_f64 v[5:6], v[3:4], s0
	s_mov_b32 s0, 0
	s_mov_b32 s1, 0xc1f00000
	v_floor_f64_e32 v[5:6], v[5:6]
	v_fma_f64 v[7:8], v[5:6], s[0:1], v[3:4]
	v_cvt_u32_f64_e32 v4, v[5:6]
	s_mov_b64 s[0:1], 0
	v_cvt_u32_f64_e32 v3, v[7:8]
	s_branch .LBB372_492
.LBB372_488:
	s_mov_b64 s[0:1], -1
                                        ; implicit-def: $vgpr3_vgpr4
	s_branch .LBB372_510
.LBB372_489:
	s_mov_b64 s[0:1], -1
                                        ; implicit-def: $vgpr3_vgpr4
	s_branch .LBB372_498
.LBB372_490:
	s_mov_b64 s[0:1], -1
                                        ; implicit-def: $vgpr3_vgpr4
	s_branch .LBB372_495
.LBB372_491:
	s_mov_b64 s[0:1], -1
                                        ; implicit-def: $vgpr3_vgpr4
.LBB372_492:
	s_andn2_b64 vcc, exec, s[0:1]
	s_cbranch_vccnz .LBB372_494
; %bb.493:
	global_load_dword v3, v[1:2], off
	s_waitcnt vmcnt(0)
	v_trunc_f32_e32 v3, v3
	v_mul_f32_e32 v4, 0x2f800000, v3
	v_floor_f32_e32 v5, v4
	v_fmac_f32_e32 v3, 0xcf800000, v5
	v_cvt_u32_f32_e32 v4, v5
	v_cvt_u32_f32_e32 v3, v3
.LBB372_494:
	s_mov_b64 s[0:1], 0
.LBB372_495:
	s_andn2_b64 vcc, exec, s[0:1]
	s_cbranch_vccnz .LBB372_497
; %bb.496:
	global_load_dword v3, v[1:2], off
	s_waitcnt vmcnt(1)
	v_mov_b32_e32 v4, 0
	s_waitcnt vmcnt(0)
	v_cvt_f32_f16_e32 v3, v3
	v_cvt_u32_f32_e32 v3, v3
.LBB372_497:
	s_mov_b64 s[0:1], 0
.LBB372_498:
	s_andn2_b64 vcc, exec, s[0:1]
	s_cbranch_vccnz .LBB372_509
; %bb.499:
	s_cmp_lt_i32 s10, 6
	s_cbranch_scc1 .LBB372_502
; %bb.500:
	s_cmp_gt_i32 s10, 6
	s_cbranch_scc0 .LBB372_503
; %bb.501:
	global_load_dwordx2 v[3:4], v[1:2], off
	s_movk_i32 s0, 0xffe0
	s_waitcnt vmcnt(0)
	v_trunc_f64_e32 v[3:4], v[3:4]
	v_ldexp_f64 v[5:6], v[3:4], s0
	s_mov_b32 s0, 0
	s_mov_b32 s1, 0xc1f00000
	v_floor_f64_e32 v[5:6], v[5:6]
	v_fma_f64 v[7:8], v[5:6], s[0:1], v[3:4]
	v_cvt_u32_f64_e32 v4, v[5:6]
	s_mov_b64 s[0:1], 0
	v_cvt_u32_f64_e32 v3, v[7:8]
	s_branch .LBB372_504
.LBB372_502:
	s_mov_b64 s[0:1], -1
                                        ; implicit-def: $vgpr3_vgpr4
	s_branch .LBB372_507
.LBB372_503:
	s_mov_b64 s[0:1], -1
                                        ; implicit-def: $vgpr3_vgpr4
.LBB372_504:
	s_andn2_b64 vcc, exec, s[0:1]
	s_cbranch_vccnz .LBB372_506
; %bb.505:
	global_load_dword v3, v[1:2], off
	s_waitcnt vmcnt(0)
	v_trunc_f32_e32 v3, v3
	v_mul_f32_e32 v4, 0x2f800000, v3
	v_floor_f32_e32 v5, v4
	v_fmac_f32_e32 v3, 0xcf800000, v5
	v_cvt_u32_f32_e32 v4, v5
	v_cvt_u32_f32_e32 v3, v3
.LBB372_506:
	s_mov_b64 s[0:1], 0
.LBB372_507:
	s_andn2_b64 vcc, exec, s[0:1]
	s_cbranch_vccnz .LBB372_509
; %bb.508:
	global_load_ushort v3, v[1:2], off
	s_waitcnt vmcnt(1)
	v_mov_b32_e32 v4, 0
	s_waitcnt vmcnt(0)
	v_cvt_f32_f16_e32 v3, v3
	v_cvt_u32_f32_e32 v3, v3
.LBB372_509:
	s_mov_b64 s[0:1], 0
.LBB372_510:
	s_andn2_b64 vcc, exec, s[0:1]
	s_cbranch_vccnz .LBB372_530
; %bb.511:
	s_cmp_lt_i32 s10, 2
	s_cbranch_scc1 .LBB372_515
; %bb.512:
	s_cmp_lt_i32 s10, 3
	s_cbranch_scc1 .LBB372_516
; %bb.513:
	s_cmp_gt_i32 s10, 3
	s_cbranch_scc0 .LBB372_517
; %bb.514:
	global_load_dwordx2 v[3:4], v[1:2], off
	s_mov_b64 s[0:1], 0
	s_branch .LBB372_518
.LBB372_515:
	s_mov_b64 s[0:1], -1
                                        ; implicit-def: $vgpr3_vgpr4
	s_branch .LBB372_524
.LBB372_516:
	s_mov_b64 s[0:1], -1
                                        ; implicit-def: $vgpr3_vgpr4
	s_branch .LBB372_521
.LBB372_517:
	s_mov_b64 s[0:1], -1
                                        ; implicit-def: $vgpr3_vgpr4
.LBB372_518:
	s_andn2_b64 vcc, exec, s[0:1]
	s_cbranch_vccnz .LBB372_520
; %bb.519:
	global_load_dword v3, v[1:2], off
	s_waitcnt vmcnt(0)
	v_ashrrev_i32_e32 v4, 31, v3
.LBB372_520:
	s_mov_b64 s[0:1], 0
.LBB372_521:
	s_andn2_b64 vcc, exec, s[0:1]
	s_cbranch_vccnz .LBB372_523
; %bb.522:
	global_load_ushort v3, v[1:2], off
	s_waitcnt vmcnt(0)
	v_bfe_i32 v3, v3, 0, 16
	v_ashrrev_i32_e32 v4, 31, v3
.LBB372_523:
	s_mov_b64 s[0:1], 0
.LBB372_524:
	s_andn2_b64 vcc, exec, s[0:1]
	s_cbranch_vccnz .LBB372_530
; %bb.525:
	s_cmp_gt_i32 s10, 0
	s_cbranch_scc0 .LBB372_527
; %bb.526:
	global_load_sbyte v3, v[1:2], off
	s_mov_b64 s[0:1], 0
	s_waitcnt vmcnt(0)
	v_bfe_i32 v3, v3, 0, 16
	v_ashrrev_i32_e32 v4, 31, v3
	s_branch .LBB372_528
.LBB372_527:
	s_mov_b64 s[0:1], -1
                                        ; implicit-def: $vgpr3_vgpr4
.LBB372_528:
	s_andn2_b64 vcc, exec, s[0:1]
	s_cbranch_vccnz .LBB372_530
; %bb.529:
	global_load_ubyte v1, v[1:2], off
	s_mov_b32 s0, 0
	s_waitcnt vmcnt(1)
	v_mov_b32_e32 v4, s0
	s_waitcnt vmcnt(0)
	v_and_b32_e32 v3, 0xffff, v1
.LBB372_530:
	s_branch .LBB372_290
.LBB372_531:
	s_mov_b64 s[8:9], 0
	s_mov_b64 s[0:1], s[56:57]
.LBB372_532:
                                        ; implicit-def: $vgpr11
.LBB372_533:
	s_andn2_b64 s[10:11], s[56:57], exec
	s_and_b64 s[0:1], s[0:1], exec
	s_or_b64 s[64:65], s[10:11], s[0:1]
	s_andn2_b64 s[0:1], s[58:59], exec
	s_and_b64 s[2:3], s[2:3], exec
	s_or_b64 s[62:63], s[0:1], s[2:3]
	s_orn2_b64 s[0:1], s[8:9], exec
.LBB372_534:
	s_or_b64 exec, exec, s[66:67]
	s_mov_b64 s[2:3], 0
	s_mov_b64 s[8:9], 0
	;; [unrolled: 1-line block ×3, first 2 shown]
                                        ; implicit-def: $vgpr1_vgpr2
                                        ; implicit-def: $vgpr0
                                        ; implicit-def: $vgpr3_vgpr4
	s_and_saveexec_b64 s[66:67], s[0:1]
	s_cbranch_execz .LBB372_901
; %bb.535:
	v_cmp_gt_i32_e32 vcc, s74, v11
	s_mov_b64 s[2:3], -1
	s_mov_b64 s[70:71], s[62:63]
	s_mov_b64 s[72:73], s[64:65]
	s_and_saveexec_b64 s[68:69], vcc
	s_cbranch_execz .LBB372_805
; %bb.536:
	s_andn2_b64 vcc, exec, s[40:41]
	s_cbranch_vccnz .LBB372_541
; %bb.537:
	s_andn2_b64 vcc, exec, s[54:55]
	s_cbranch_vccnz .LBB372_542
; %bb.538:
	s_add_i32 s80, s79, 1
	s_cmp_eq_u32 s76, 2
	s_cbranch_scc1 .LBB372_543
; %bb.539:
	s_and_b32 s75, s80, 28
	v_mov_b32_e32 v2, 0
	s_mov_b32 s81, 0
	s_mov_b64 s[70:71], s[34:35]
	s_mov_b64 s[72:73], s[52:53]
	v_mov_b32_e32 v0, 0
	v_mov_b32_e32 v1, v11
.LBB372_540:                            ; =>This Inner Loop Header: Depth=1
	s_load_dwordx8 s[16:23], s[70:71], 0x4
	s_load_dwordx4 s[0:3], s[70:71], 0x24
	s_load_dwordx8 s[8:15], s[72:73], 0x0
	s_add_u32 s70, s70, 48
	s_addc_u32 s71, s71, 0
	s_waitcnt vmcnt(0) lgkmcnt(0)
	v_mul_hi_u32 v3, s17, v1
	s_add_i32 s81, s81, 4
	s_add_u32 s72, s72, 32
	s_addc_u32 s73, s73, 0
	v_add_u32_e32 v3, v1, v3
	v_lshrrev_b32_e32 v3, s18, v3
	v_mul_lo_u32 v4, v3, s16
	v_mul_hi_u32 v5, s20, v3
	s_cmp_eq_u32 s75, s81
	v_sub_u32_e32 v1, v1, v4
	v_add_u32_e32 v4, v3, v5
	v_mul_lo_u32 v5, v1, s8
	v_mul_lo_u32 v6, v1, s9
	v_lshrrev_b32_e32 v1, s21, v4
	v_mul_lo_u32 v4, v1, s19
	v_mul_hi_u32 v7, s23, v1
	v_sub_u32_e32 v3, v3, v4
	v_add_u32_e32 v4, v1, v7
	v_lshrrev_b32_e32 v4, s0, v4
	v_mul_hi_u32 v8, s2, v4
	v_mul_lo_u32 v9, v4, s22
	v_mul_lo_u32 v7, v3, s10
	;; [unrolled: 1-line block ×3, first 2 shown]
	v_sub_u32_e32 v9, v1, v9
	v_add_u32_e32 v1, v4, v8
	v_lshrrev_b32_e32 v1, s3, v1
	v_mul_lo_u32 v8, v1, s1
	v_mul_lo_u32 v10, v9, s12
	;; [unrolled: 1-line block ×3, first 2 shown]
	v_add3_u32 v0, v5, v0, v7
	v_sub_u32_e32 v4, v4, v8
	v_mul_lo_u32 v8, v4, s14
	v_mul_lo_u32 v4, v4, s15
	v_add3_u32 v2, v6, v2, v3
	v_add3_u32 v0, v10, v0, v8
	;; [unrolled: 1-line block ×3, first 2 shown]
	s_cbranch_scc0 .LBB372_540
	s_branch .LBB372_544
.LBB372_541:
	s_mov_b64 s[0:1], -1
                                        ; implicit-def: $vgpr0
                                        ; implicit-def: $vgpr2
	s_branch .LBB372_548
.LBB372_542:
	v_mov_b32_e32 v0, 0
	v_mov_b32_e32 v2, 0
	s_branch .LBB372_547
.LBB372_543:
	s_mov_b32 s75, 0
	v_mov_b32_e32 v0, 0
	v_mov_b32_e32 v2, 0
	;; [unrolled: 1-line block ×3, first 2 shown]
.LBB372_544:
	s_and_b32 s8, s80, 3
	s_cmp_eq_u32 s8, 0
	s_cbranch_scc1 .LBB372_547
; %bb.545:
	s_lshl_b32 s0, s75, 3
	s_add_u32 s0, s34, s0
	s_addc_u32 s1, s35, 0
	s_add_u32 s0, s0, 0xc4
	s_addc_u32 s1, s1, 0
	s_mul_i32 s2, s75, 12
	s_add_u32 s2, s34, s2
	s_addc_u32 s3, s35, 0
.LBB372_546:                            ; =>This Inner Loop Header: Depth=1
	s_load_dwordx2 s[10:11], s[2:3], 0x4
	s_load_dword s9, s[2:3], 0xc
	s_load_dwordx2 s[12:13], s[0:1], 0x0
	s_add_u32 s2, s2, 12
	s_addc_u32 s3, s3, 0
	s_waitcnt vmcnt(0) lgkmcnt(0)
	v_mul_hi_u32 v3, s11, v1
	s_add_u32 s0, s0, 8
	s_addc_u32 s1, s1, 0
	s_add_i32 s8, s8, -1
	v_add_u32_e32 v3, v1, v3
	v_lshrrev_b32_e32 v4, s9, v3
	v_mul_lo_u32 v3, v4, s10
	s_cmp_lg_u32 s8, 0
	v_sub_u32_e32 v3, v1, v3
	v_mad_u64_u32 v[0:1], s[10:11], v3, s12, v[0:1]
	v_mad_u64_u32 v[2:3], s[10:11], v3, s13, v[2:3]
	v_mov_b32_e32 v1, v4
	s_cbranch_scc1 .LBB372_546
.LBB372_547:
	s_mov_b64 s[0:1], 0
.LBB372_548:
	s_andn2_b64 vcc, exec, s[0:1]
	s_cbranch_vccnz .LBB372_551
; %bb.549:
	v_mul_hi_u32 v0, s29, v11
	s_andn2_b64 vcc, exec, s[50:51]
	v_add_u32_e32 v0, v11, v0
	v_lshrrev_b32_e32 v1, s30, v0
	v_mul_lo_u32 v0, v1, s28
	v_sub_u32_e32 v2, v11, v0
	v_mul_lo_u32 v0, v2, s36
	v_mul_lo_u32 v2, v2, s37
	s_cbranch_vccnz .LBB372_551
; %bb.550:
	s_waitcnt vmcnt(0)
	v_mul_hi_u32 v3, s48, v1
	v_add_u32_e32 v3, v1, v3
	v_lshrrev_b32_e32 v3, s49, v3
	v_mul_lo_u32 v3, v3, s31
	v_sub_u32_e32 v3, v1, v3
	v_mad_u64_u32 v[0:1], s[0:1], v3, s38, v[0:1]
	v_mad_u64_u32 v[2:3], s[0:1], v3, s39, v[2:3]
.LBB372_551:
	s_waitcnt vmcnt(0)
	v_mov_b32_e32 v3, s27
	s_and_b32 s10, 0xffff, s78
	v_add_co_u32_e32 v1, vcc, s26, v2
	s_cmp_lt_i32 s10, 11
	v_addc_co_u32_e32 v2, vcc, 0, v3, vcc
	s_cbranch_scc1 .LBB372_558
; %bb.552:
	s_cmp_gt_i32 s10, 25
	s_cbranch_scc0 .LBB372_559
; %bb.553:
	s_cmp_gt_i32 s10, 28
	s_cbranch_scc0 .LBB372_560
	;; [unrolled: 3-line block ×4, first 2 shown]
; %bb.556:
	s_cmp_eq_u32 s10, 46
	s_mov_b64 s[8:9], 0
	s_cbranch_scc0 .LBB372_567
; %bb.557:
	global_load_dword v3, v[1:2], off
	s_mov_b64 s[0:1], -1
	s_mov_b64 s[2:3], 0
	s_waitcnt vmcnt(0)
	v_lshlrev_b32_e32 v3, 16, v3
	v_trunc_f32_e32 v3, v3
	v_mul_f32_e32 v4, 0x2f800000, v3
	v_floor_f32_e32 v4, v4
	v_fmac_f32_e32 v3, 0xcf800000, v4
	v_cvt_u32_f32_e32 v3, v3
	v_cvt_u32_f32_e32 v4, v4
	s_branch .LBB372_568
.LBB372_558:
	s_mov_b64 s[8:9], -1
	s_mov_b64 s[0:1], 0
                                        ; implicit-def: $vgpr3_vgpr4
	s_mov_b64 s[2:3], s[62:63]
	s_branch .LBB372_629
.LBB372_559:
	s_mov_b64 s[8:9], -1
	s_mov_b64 s[0:1], 0
	s_mov_b64 s[2:3], s[62:63]
                                        ; implicit-def: $vgpr3_vgpr4
	s_branch .LBB372_597
.LBB372_560:
	s_mov_b64 s[8:9], -1
	s_mov_b64 s[0:1], 0
	s_mov_b64 s[2:3], s[62:63]
                                        ; implicit-def: $vgpr3_vgpr4
	s_branch .LBB372_578
.LBB372_561:
	s_mov_b64 s[8:9], -1
	s_mov_b64 s[0:1], 0
	s_mov_b64 s[2:3], s[62:63]
                                        ; implicit-def: $vgpr3_vgpr4
	s_branch .LBB372_573
.LBB372_562:
	s_andn2_saveexec_b64 s[14:15], s[14:15]
	s_cbranch_execz .LBB372_335
.LBB372_563:
	v_add_f32_e32 v2, 0x46000000, v3
	v_and_b32_e32 v2, 0xff, v2
	v_cmp_ne_u32_e32 vcc, 0, v2
	s_andn2_b64 s[12:13], s[12:13], exec
	s_and_b64 s[18:19], vcc, exec
	s_or_b64 s[12:13], s[12:13], s[18:19]
	s_or_b64 exec, exec, s[14:15]
	v_mov_b32_e32 v4, 0
	s_and_saveexec_b64 s[14:15], s[12:13]
	s_cbranch_execnz .LBB372_336
	s_branch .LBB372_337
.LBB372_564:
	s_mov_b64 s[8:9], -1
	s_mov_b64 s[0:1], 0
	s_mov_b64 s[2:3], s[62:63]
                                        ; implicit-def: $vgpr3_vgpr4
	s_branch .LBB372_568
.LBB372_565:
	s_andn2_saveexec_b64 s[14:15], s[14:15]
	s_cbranch_execz .LBB372_348
.LBB372_566:
	v_add_f32_e32 v2, 0x42800000, v3
	v_and_b32_e32 v2, 0xff, v2
	v_cmp_ne_u32_e32 vcc, 0, v2
	s_andn2_b64 s[12:13], s[12:13], exec
	s_and_b64 s[18:19], vcc, exec
	s_or_b64 s[12:13], s[12:13], s[18:19]
	s_or_b64 exec, exec, s[14:15]
	v_mov_b32_e32 v4, 0
	s_and_saveexec_b64 s[14:15], s[12:13]
	s_cbranch_execnz .LBB372_349
	s_branch .LBB372_350
.LBB372_567:
	s_mov_b64 s[2:3], -1
                                        ; implicit-def: $vgpr3_vgpr4
	s_mov_b64 s[0:1], 0
.LBB372_568:
	s_and_b64 vcc, exec, s[8:9]
	s_cbranch_vccz .LBB372_572
; %bb.569:
	s_cmp_eq_u32 s10, 44
	s_cbranch_scc0 .LBB372_571
; %bb.570:
	global_load_ubyte v3, v[1:2], off
	s_mov_b64 s[0:1], -1
	s_mov_b64 s[2:3], 0
	s_waitcnt vmcnt(0)
	v_lshlrev_b32_e32 v4, 23, v3
	v_trunc_f32_e32 v4, v4
	v_mul_f32_e32 v5, 0x2f800000, v4
	v_floor_f32_e32 v5, v5
	v_fmac_f32_e32 v4, 0xcf800000, v5
	v_cvt_u32_f32_e32 v5, v5
	v_cvt_u32_f32_e32 v6, v4
	v_cmp_ne_u32_e32 vcc, 0, v3
	v_cndmask_b32_e32 v4, 0, v5, vcc
	v_cndmask_b32_e32 v3, 0, v6, vcc
	s_branch .LBB372_572
.LBB372_571:
	s_mov_b64 s[2:3], -1
                                        ; implicit-def: $vgpr3_vgpr4
.LBB372_572:
	s_mov_b64 s[8:9], 0
.LBB372_573:
	s_and_b64 vcc, exec, s[8:9]
	s_cbranch_vccz .LBB372_577
; %bb.574:
	s_cmp_eq_u32 s10, 29
	s_cbranch_scc0 .LBB372_576
; %bb.575:
	global_load_dwordx2 v[3:4], v[1:2], off
	s_mov_b64 s[0:1], -1
	s_mov_b64 s[2:3], 0
	s_branch .LBB372_577
.LBB372_576:
	s_mov_b64 s[2:3], -1
                                        ; implicit-def: $vgpr3_vgpr4
.LBB372_577:
	s_mov_b64 s[8:9], 0
.LBB372_578:
	s_and_b64 vcc, exec, s[8:9]
	s_cbranch_vccz .LBB372_596
; %bb.579:
	s_cmp_lt_i32 s10, 27
	s_cbranch_scc1 .LBB372_582
; %bb.580:
	s_cmp_gt_i32 s10, 27
	s_cbranch_scc0 .LBB372_583
; %bb.581:
	global_load_dword v3, v[1:2], off
	s_waitcnt vmcnt(1)
	v_mov_b32_e32 v4, 0
	s_mov_b64 s[0:1], 0
	s_branch .LBB372_584
.LBB372_582:
	s_mov_b64 s[0:1], -1
                                        ; implicit-def: $vgpr3_vgpr4
	s_branch .LBB372_587
.LBB372_583:
	s_mov_b64 s[0:1], -1
                                        ; implicit-def: $vgpr3_vgpr4
.LBB372_584:
	s_andn2_b64 vcc, exec, s[0:1]
	s_cbranch_vccnz .LBB372_586
; %bb.585:
	global_load_ushort v3, v[1:2], off
	s_mov_b32 s0, 0
	s_waitcnt vmcnt(1)
	v_mov_b32_e32 v4, s0
	s_waitcnt vmcnt(0)
	v_and_b32_e32 v3, 0xffff, v3
.LBB372_586:
	s_mov_b64 s[0:1], 0
.LBB372_587:
	s_andn2_b64 vcc, exec, s[0:1]
	s_cbranch_vccnz .LBB372_595
; %bb.588:
	global_load_ubyte v5, v[1:2], off
	s_movk_i32 s0, 0x7f
	s_mov_b64 s[8:9], 0
	s_waitcnt vmcnt(0)
	v_cmp_lt_i16_e32 vcc, s0, v5
	s_and_saveexec_b64 s[0:1], vcc
	s_xor_b64 s[0:1], exec, s[0:1]
; %bb.589:
	s_movk_i32 s8, 0x80
	v_cmp_ne_u16_e32 vcc, s8, v5
	s_and_b64 s[8:9], vcc, exec
; %bb.590:
	s_andn2_saveexec_b64 s[0:1], s[0:1]
; %bb.591:
	v_cmp_ne_u16_e32 vcc, 0, v5
	s_andn2_b64 s[8:9], s[8:9], exec
	s_and_b64 s[12:13], vcc, exec
	s_or_b64 s[8:9], s[8:9], s[12:13]
; %bb.592:
	s_or_b64 exec, exec, s[0:1]
	v_mov_b32_e32 v3, 0
	v_mov_b32_e32 v4, 0
	s_and_saveexec_b64 s[0:1], s[8:9]
	s_cbranch_execz .LBB372_594
; %bb.593:
	v_and_b32_e32 v4, 0xffff, v5
	v_lshlrev_b32_e32 v3, 24, v5
	v_and_b32_e32 v5, 7, v4
	v_ffbh_u32_e32 v7, v5
	v_min_u32_e32 v7, 32, v7
	v_subrev_u32_e32 v8, 28, v7
	v_bfe_u32 v6, v4, 3, 4
	v_lshlrev_b32_e32 v4, v8, v4
	v_sub_u32_e32 v7, 29, v7
	v_and_b32_e32 v4, 7, v4
	v_cmp_eq_u32_e32 vcc, 0, v6
	v_cndmask_b32_e32 v6, v6, v7, vcc
	v_cndmask_b32_e32 v4, v5, v4, vcc
	v_mov_b32_e32 v5, 0x3b800000
	v_lshlrev_b32_e32 v4, 20, v4
	v_and_b32_e32 v3, 0x80000000, v3
	v_lshl_add_u32 v5, v6, 23, v5
	v_or3_b32 v3, v3, v5, v4
	v_trunc_f32_e32 v3, v3
	v_mul_f32_e32 v4, 0x2f800000, v3
	v_floor_f32_e32 v4, v4
	v_fmac_f32_e32 v3, 0xcf800000, v4
	v_cvt_u32_f32_e32 v3, v3
	v_cvt_u32_f32_e32 v4, v4
.LBB372_594:
	s_or_b64 exec, exec, s[0:1]
.LBB372_595:
	s_mov_b64 s[0:1], -1
.LBB372_596:
	s_mov_b64 s[8:9], 0
.LBB372_597:
	s_and_b64 vcc, exec, s[8:9]
	s_cbranch_vccz .LBB372_628
; %bb.598:
	s_cmp_gt_i32 s10, 22
	s_cbranch_scc0 .LBB372_608
; %bb.599:
	s_cmp_lt_i32 s10, 24
	s_cbranch_scc1 .LBB372_609
; %bb.600:
	s_cmp_gt_i32 s10, 24
	s_cbranch_scc0 .LBB372_610
; %bb.601:
	global_load_ubyte v5, v[1:2], off
	s_movk_i32 s0, 0x7f
	s_mov_b64 s[8:9], 0
	s_waitcnt vmcnt(0)
	v_cmp_lt_i16_e32 vcc, s0, v5
	s_and_saveexec_b64 s[0:1], vcc
	s_xor_b64 s[0:1], exec, s[0:1]
; %bb.602:
	s_movk_i32 s8, 0x80
	v_cmp_ne_u16_e32 vcc, s8, v5
	s_and_b64 s[8:9], vcc, exec
; %bb.603:
	s_andn2_saveexec_b64 s[0:1], s[0:1]
; %bb.604:
	v_cmp_ne_u16_e32 vcc, 0, v5
	s_andn2_b64 s[8:9], s[8:9], exec
	s_and_b64 s[12:13], vcc, exec
	s_or_b64 s[8:9], s[8:9], s[12:13]
; %bb.605:
	s_or_b64 exec, exec, s[0:1]
	v_mov_b32_e32 v3, 0
	v_mov_b32_e32 v4, 0
	s_and_saveexec_b64 s[0:1], s[8:9]
	s_cbranch_execz .LBB372_607
; %bb.606:
	v_and_b32_e32 v4, 0xffff, v5
	v_lshlrev_b32_e32 v3, 24, v5
	v_and_b32_e32 v5, 3, v4
	v_ffbh_u32_e32 v7, v5
	v_min_u32_e32 v7, 32, v7
	v_subrev_u32_e32 v8, 29, v7
	v_bfe_u32 v6, v4, 2, 5
	v_lshlrev_b32_e32 v4, v8, v4
	v_sub_u32_e32 v7, 30, v7
	v_and_b32_e32 v4, 3, v4
	v_cmp_eq_u32_e32 vcc, 0, v6
	v_cndmask_b32_e32 v6, v6, v7, vcc
	v_cndmask_b32_e32 v4, v5, v4, vcc
	v_mov_b32_e32 v5, 0x37800000
	v_lshlrev_b32_e32 v4, 21, v4
	v_and_b32_e32 v3, 0x80000000, v3
	v_lshl_add_u32 v5, v6, 23, v5
	v_or3_b32 v3, v3, v5, v4
	v_trunc_f32_e32 v3, v3
	v_mul_f32_e32 v4, 0x2f800000, v3
	v_floor_f32_e32 v4, v4
	v_fmac_f32_e32 v3, 0xcf800000, v4
	v_cvt_u32_f32_e32 v3, v3
	v_cvt_u32_f32_e32 v4, v4
.LBB372_607:
	s_or_b64 exec, exec, s[0:1]
	s_mov_b64 s[0:1], 0
	s_branch .LBB372_611
.LBB372_608:
	s_mov_b64 s[8:9], -1
                                        ; implicit-def: $vgpr3_vgpr4
	s_branch .LBB372_617
.LBB372_609:
	s_mov_b64 s[0:1], -1
                                        ; implicit-def: $vgpr3_vgpr4
	s_branch .LBB372_614
.LBB372_610:
	s_mov_b64 s[0:1], -1
                                        ; implicit-def: $vgpr3_vgpr4
.LBB372_611:
	s_and_b64 vcc, exec, s[0:1]
	s_cbranch_vccz .LBB372_613
; %bb.612:
	global_load_ubyte v3, v[1:2], off
	s_mov_b32 s0, 0x7f800000
	s_brev_b32 s1, 1
	s_waitcnt vmcnt(0)
	v_lshlrev_b32_e32 v3, 24, v3
	v_and_b32_e32 v4, 0x7f000000, v3
	v_ffbh_u32_e32 v5, v4
	v_min_u32_e32 v5, 32, v5
	v_sub_u32_e64 v5, v5, 4 clamp
	v_lshlrev_b32_e32 v7, v5, v4
	v_lshlrev_b32_e32 v5, 23, v5
	v_lshrrev_b32_e32 v7, 4, v7
	v_add_u32_e32 v6, 0x1000000, v4
	v_sub_u32_e32 v5, v7, v5
	v_ashrrev_i32_e32 v6, 8, v6
	v_add_u32_e32 v5, 0x3c000000, v5
	v_and_or_b32 v5, v6, s0, v5
	v_cmp_ne_u32_e32 vcc, 0, v4
	v_cndmask_b32_e32 v4, 0, v5, vcc
	v_and_or_b32 v3, v3, s1, v4
	v_trunc_f32_e32 v3, v3
	v_mul_f32_e32 v4, 0x2f800000, v3
	v_floor_f32_e32 v4, v4
	v_fmac_f32_e32 v3, 0xcf800000, v4
	v_cvt_u32_f32_e32 v3, v3
	v_cvt_u32_f32_e32 v4, v4
.LBB372_613:
	s_mov_b64 s[0:1], 0
.LBB372_614:
	s_andn2_b64 vcc, exec, s[0:1]
	s_cbranch_vccnz .LBB372_616
; %bb.615:
	global_load_ubyte v3, v[1:2], off
	s_movk_i32 s0, 0x7f00
	s_brev_b32 s1, 16
	s_brev_b32 s8, 1
	s_waitcnt vmcnt(0)
	v_lshlrev_b16_e32 v4, 8, v3
	v_lshlrev_b32_e32 v3, 25, v3
	v_lshrrev_b32_e32 v5, 4, v3
	v_and_or_b32 v6, v4, s0, 0.5
	v_or_b32_e32 v5, 0x70000000, v5
	v_add_f32_e32 v6, -0.5, v6
	v_mul_f32_e32 v5, 0x7800000, v5
	v_cmp_gt_u32_e32 vcc, s1, v3
	v_bfe_i32 v4, v4, 0, 16
	v_cndmask_b32_e32 v3, v5, v6, vcc
	v_and_or_b32 v3, v4, s8, v3
	v_trunc_f32_e32 v3, v3
	v_mul_f32_e32 v4, 0x2f800000, v3
	v_floor_f32_e32 v4, v4
	v_fmac_f32_e32 v3, 0xcf800000, v4
	v_cvt_u32_f32_e32 v3, v3
	v_cvt_u32_f32_e32 v4, v4
.LBB372_616:
	s_mov_b64 s[8:9], 0
	s_mov_b64 s[0:1], -1
.LBB372_617:
	s_andn2_b64 vcc, exec, s[8:9]
	s_cbranch_vccnz .LBB372_628
; %bb.618:
	s_cmp_gt_i32 s10, 14
	s_cbranch_scc0 .LBB372_621
; %bb.619:
	s_cmp_eq_u32 s10, 15
	s_cbranch_scc0 .LBB372_622
; %bb.620:
	global_load_ushort v3, v[1:2], off
	s_mov_b64 s[0:1], -1
	s_mov_b64 s[2:3], 0
	s_waitcnt vmcnt(0)
	v_lshlrev_b32_e32 v3, 16, v3
	v_trunc_f32_e32 v3, v3
	v_mul_f32_e32 v4, 0x2f800000, v3
	v_floor_f32_e32 v4, v4
	v_fmac_f32_e32 v3, 0xcf800000, v4
	v_cvt_u32_f32_e32 v3, v3
	v_cvt_u32_f32_e32 v4, v4
	s_branch .LBB372_623
.LBB372_621:
	s_mov_b64 s[8:9], -1
                                        ; implicit-def: $vgpr3_vgpr4
	s_branch .LBB372_624
.LBB372_622:
	s_mov_b64 s[2:3], -1
                                        ; implicit-def: $vgpr3_vgpr4
.LBB372_623:
	s_mov_b64 s[8:9], 0
.LBB372_624:
	s_and_b64 vcc, exec, s[8:9]
	s_cbranch_vccz .LBB372_628
; %bb.625:
	s_cmp_eq_u32 s10, 11
	s_cbranch_scc0 .LBB372_627
; %bb.626:
	global_load_ubyte v3, v[1:2], off
	s_mov_b32 s2, 0
	s_mov_b64 s[0:1], -1
	s_waitcnt vmcnt(1)
	v_mov_b32_e32 v4, s2
	s_mov_b64 s[2:3], 0
	s_waitcnt vmcnt(0)
	v_cmp_ne_u16_e32 vcc, 0, v3
	v_cndmask_b32_e64 v3, 0, 1, vcc
	s_branch .LBB372_628
.LBB372_627:
	s_mov_b64 s[2:3], -1
                                        ; implicit-def: $vgpr3_vgpr4
.LBB372_628:
	s_mov_b64 s[8:9], 0
.LBB372_629:
	s_and_b64 vcc, exec, s[8:9]
	s_cbranch_vccz .LBB372_678
; %bb.630:
	s_cmp_lt_i32 s10, 5
	s_cbranch_scc1 .LBB372_635
; %bb.631:
	s_cmp_lt_i32 s10, 8
	s_cbranch_scc1 .LBB372_636
	;; [unrolled: 3-line block ×3, first 2 shown]
; %bb.633:
	s_cmp_gt_i32 s10, 9
	s_cbranch_scc0 .LBB372_638
; %bb.634:
	global_load_dwordx2 v[3:4], v[1:2], off
	s_movk_i32 s0, 0xffe0
	s_waitcnt vmcnt(0)
	v_trunc_f64_e32 v[3:4], v[3:4]
	v_ldexp_f64 v[5:6], v[3:4], s0
	s_mov_b32 s0, 0
	s_mov_b32 s1, 0xc1f00000
	v_floor_f64_e32 v[5:6], v[5:6]
	v_fma_f64 v[7:8], v[5:6], s[0:1], v[3:4]
	v_cvt_u32_f64_e32 v4, v[5:6]
	s_mov_b64 s[0:1], 0
	v_cvt_u32_f64_e32 v3, v[7:8]
	s_branch .LBB372_639
.LBB372_635:
	s_mov_b64 s[0:1], -1
                                        ; implicit-def: $vgpr3_vgpr4
	s_branch .LBB372_657
.LBB372_636:
	s_mov_b64 s[0:1], -1
                                        ; implicit-def: $vgpr3_vgpr4
	s_branch .LBB372_645
.LBB372_637:
	s_mov_b64 s[0:1], -1
                                        ; implicit-def: $vgpr3_vgpr4
	s_branch .LBB372_642
.LBB372_638:
	s_mov_b64 s[0:1], -1
                                        ; implicit-def: $vgpr3_vgpr4
.LBB372_639:
	s_andn2_b64 vcc, exec, s[0:1]
	s_cbranch_vccnz .LBB372_641
; %bb.640:
	global_load_dword v3, v[1:2], off
	s_waitcnt vmcnt(0)
	v_trunc_f32_e32 v3, v3
	v_mul_f32_e32 v4, 0x2f800000, v3
	v_floor_f32_e32 v5, v4
	v_fmac_f32_e32 v3, 0xcf800000, v5
	v_cvt_u32_f32_e32 v4, v5
	v_cvt_u32_f32_e32 v3, v3
.LBB372_641:
	s_mov_b64 s[0:1], 0
.LBB372_642:
	s_andn2_b64 vcc, exec, s[0:1]
	s_cbranch_vccnz .LBB372_644
; %bb.643:
	global_load_dword v3, v[1:2], off
	s_waitcnt vmcnt(1)
	v_mov_b32_e32 v4, 0
	s_waitcnt vmcnt(0)
	v_cvt_f32_f16_e32 v3, v3
	v_cvt_u32_f32_e32 v3, v3
.LBB372_644:
	s_mov_b64 s[0:1], 0
.LBB372_645:
	s_andn2_b64 vcc, exec, s[0:1]
	s_cbranch_vccnz .LBB372_656
; %bb.646:
	s_cmp_lt_i32 s10, 6
	s_cbranch_scc1 .LBB372_649
; %bb.647:
	s_cmp_gt_i32 s10, 6
	s_cbranch_scc0 .LBB372_650
; %bb.648:
	global_load_dwordx2 v[3:4], v[1:2], off
	s_movk_i32 s0, 0xffe0
	s_waitcnt vmcnt(0)
	v_trunc_f64_e32 v[3:4], v[3:4]
	v_ldexp_f64 v[5:6], v[3:4], s0
	s_mov_b32 s0, 0
	s_mov_b32 s1, 0xc1f00000
	v_floor_f64_e32 v[5:6], v[5:6]
	v_fma_f64 v[7:8], v[5:6], s[0:1], v[3:4]
	v_cvt_u32_f64_e32 v4, v[5:6]
	s_mov_b64 s[0:1], 0
	v_cvt_u32_f64_e32 v3, v[7:8]
	s_branch .LBB372_651
.LBB372_649:
	s_mov_b64 s[0:1], -1
                                        ; implicit-def: $vgpr3_vgpr4
	s_branch .LBB372_654
.LBB372_650:
	s_mov_b64 s[0:1], -1
                                        ; implicit-def: $vgpr3_vgpr4
.LBB372_651:
	s_andn2_b64 vcc, exec, s[0:1]
	s_cbranch_vccnz .LBB372_653
; %bb.652:
	global_load_dword v3, v[1:2], off
	s_waitcnt vmcnt(0)
	v_trunc_f32_e32 v3, v3
	v_mul_f32_e32 v4, 0x2f800000, v3
	v_floor_f32_e32 v5, v4
	v_fmac_f32_e32 v3, 0xcf800000, v5
	v_cvt_u32_f32_e32 v4, v5
	v_cvt_u32_f32_e32 v3, v3
.LBB372_653:
	s_mov_b64 s[0:1], 0
.LBB372_654:
	s_andn2_b64 vcc, exec, s[0:1]
	s_cbranch_vccnz .LBB372_656
; %bb.655:
	global_load_ushort v3, v[1:2], off
	s_waitcnt vmcnt(1)
	v_mov_b32_e32 v4, 0
	s_waitcnt vmcnt(0)
	v_cvt_f32_f16_e32 v3, v3
	v_cvt_u32_f32_e32 v3, v3
.LBB372_656:
	s_mov_b64 s[0:1], 0
.LBB372_657:
	s_andn2_b64 vcc, exec, s[0:1]
	s_cbranch_vccnz .LBB372_677
; %bb.658:
	s_cmp_lt_i32 s10, 2
	s_cbranch_scc1 .LBB372_662
; %bb.659:
	s_cmp_lt_i32 s10, 3
	s_cbranch_scc1 .LBB372_663
; %bb.660:
	s_cmp_gt_i32 s10, 3
	s_cbranch_scc0 .LBB372_664
; %bb.661:
	global_load_dwordx2 v[3:4], v[1:2], off
	s_mov_b64 s[0:1], 0
	s_branch .LBB372_665
.LBB372_662:
	s_mov_b64 s[0:1], -1
                                        ; implicit-def: $vgpr3_vgpr4
	s_branch .LBB372_671
.LBB372_663:
	s_mov_b64 s[0:1], -1
                                        ; implicit-def: $vgpr3_vgpr4
	s_branch .LBB372_668
.LBB372_664:
	s_mov_b64 s[0:1], -1
                                        ; implicit-def: $vgpr3_vgpr4
.LBB372_665:
	s_andn2_b64 vcc, exec, s[0:1]
	s_cbranch_vccnz .LBB372_667
; %bb.666:
	global_load_dword v3, v[1:2], off
	s_waitcnt vmcnt(0)
	v_ashrrev_i32_e32 v4, 31, v3
.LBB372_667:
	s_mov_b64 s[0:1], 0
.LBB372_668:
	s_andn2_b64 vcc, exec, s[0:1]
	s_cbranch_vccnz .LBB372_670
; %bb.669:
	global_load_ushort v3, v[1:2], off
	s_waitcnt vmcnt(0)
	v_bfe_i32 v3, v3, 0, 16
	v_ashrrev_i32_e32 v4, 31, v3
.LBB372_670:
	s_mov_b64 s[0:1], 0
.LBB372_671:
	s_andn2_b64 vcc, exec, s[0:1]
	s_cbranch_vccnz .LBB372_677
; %bb.672:
	s_cmp_gt_i32 s10, 0
	s_cbranch_scc0 .LBB372_674
; %bb.673:
	global_load_sbyte v3, v[1:2], off
	s_mov_b64 s[0:1], 0
	s_waitcnt vmcnt(0)
	v_bfe_i32 v3, v3, 0, 16
	v_ashrrev_i32_e32 v4, 31, v3
	s_branch .LBB372_675
.LBB372_674:
	s_mov_b64 s[0:1], -1
                                        ; implicit-def: $vgpr3_vgpr4
.LBB372_675:
	s_andn2_b64 vcc, exec, s[0:1]
	s_cbranch_vccnz .LBB372_677
; %bb.676:
	global_load_ubyte v1, v[1:2], off
	s_mov_b32 s0, 0
	s_waitcnt vmcnt(1)
	v_mov_b32_e32 v4, s0
	s_waitcnt vmcnt(0)
	v_and_b32_e32 v3, 0xffff, v1
.LBB372_677:
	s_mov_b64 s[0:1], -1
.LBB372_678:
	s_andn2_b64 vcc, exec, s[0:1]
	s_cbranch_vccnz .LBB372_686
; %bb.679:
	s_waitcnt vmcnt(0)
	v_cmp_ne_u64_e32 vcc, s[44:45], v[3:4]
	v_mov_b32_e32 v1, s25
	s_xor_b64 s[8:9], s[46:47], vcc
	s_and_b32 s16, s77, 0xff
	v_add_co_u32_e32 v0, vcc, s24, v0
	s_cmp_lt_i32 s16, 11
	v_addc_co_u32_e32 v1, vcc, 0, v1, vcc
	s_cbranch_scc1 .LBB372_687
; %bb.680:
	s_and_b32 s17, 0xffff, s16
	s_cmp_gt_i32 s17, 25
	s_cbranch_scc0 .LBB372_688
; %bb.681:
	s_cmp_gt_i32 s17, 28
	s_cbranch_scc0 .LBB372_689
; %bb.682:
	;; [unrolled: 3-line block ×4, first 2 shown]
	s_mov_b64 s[12:13], 0
	s_mov_b64 s[0:1], -1
	s_cmp_eq_u32 s17, 46
	s_mov_b64 s[10:11], 0
	s_cbranch_scc0 .LBB372_692
; %bb.685:
	v_cndmask_b32_e64 v2, 0, 1.0, s[8:9]
	v_bfe_u32 v3, v2, 16, 1
	s_movk_i32 s0, 0x7fff
	v_add3_u32 v2, v2, v3, s0
	v_lshrrev_b32_e32 v2, 16, v2
	global_store_dword v[0:1], v2, off
	s_mov_b64 s[10:11], -1
	s_mov_b64 s[0:1], 0
	s_branch .LBB372_692
.LBB372_686:
	s_mov_b64 s[8:9], 0
	s_mov_b64 s[0:1], s[64:65]
	s_branch .LBB372_803
.LBB372_687:
	s_mov_b64 s[12:13], -1
	s_mov_b64 s[10:11], 0
	s_mov_b64 s[0:1], s[64:65]
	s_branch .LBB372_761
.LBB372_688:
	s_mov_b64 s[12:13], -1
	s_mov_b64 s[10:11], 0
	s_mov_b64 s[0:1], s[64:65]
	s_branch .LBB372_719
.LBB372_689:
	s_mov_b64 s[12:13], -1
	s_mov_b64 s[10:11], 0
	s_mov_b64 s[0:1], s[64:65]
	s_branch .LBB372_702
.LBB372_690:
	s_mov_b64 s[12:13], -1
	s_mov_b64 s[10:11], 0
	s_mov_b64 s[0:1], s[64:65]
	s_branch .LBB372_698
.LBB372_691:
	s_mov_b64 s[12:13], -1
	s_mov_b64 s[10:11], 0
	s_mov_b64 s[0:1], s[64:65]
.LBB372_692:
	s_and_b64 vcc, exec, s[12:13]
	s_cbranch_vccz .LBB372_697
; %bb.693:
	s_cmp_eq_u32 s17, 44
	s_mov_b64 s[0:1], -1
	s_cbranch_scc0 .LBB372_697
; %bb.694:
	v_cndmask_b32_e64 v3, 0, 1.0, s[8:9]
	v_lshrrev_b32_e32 v2, 23, v3
	s_movk_i32 s0, 0xff
	v_cmp_ne_u32_e32 vcc, s0, v2
	v_mov_b32_e32 v4, 0xff
	s_and_saveexec_b64 s[10:11], vcc
; %bb.695:
	s_mov_b32 s0, 0x3fffff
	v_and_b32_e32 v4, 0x400000, v3
	v_and_or_b32 v3, v3, s0, v2
	v_cmp_ne_u32_e32 vcc, 0, v4
	v_cmp_ne_u32_e64 s[0:1], 0, v3
	s_and_b64 s[0:1], vcc, s[0:1]
	v_cndmask_b32_e64 v3, 0, 1, s[0:1]
	v_add_u32_e32 v4, v2, v3
; %bb.696:
	s_or_b64 exec, exec, s[10:11]
	s_mov_b64 s[10:11], -1
	s_mov_b64 s[0:1], 0
	global_store_byte v[0:1], v4, off
.LBB372_697:
	s_mov_b64 s[12:13], 0
.LBB372_698:
	s_and_b64 vcc, exec, s[12:13]
	s_cbranch_vccz .LBB372_701
; %bb.699:
	s_cmp_eq_u32 s17, 29
	s_mov_b64 s[0:1], -1
	s_cbranch_scc0 .LBB372_701
; %bb.700:
	s_mov_b32 s0, 0
	v_cndmask_b32_e64 v2, 0, 1, s[8:9]
	v_mov_b32_e32 v3, s0
	global_store_dwordx2 v[0:1], v[2:3], off
	s_mov_b64 s[10:11], -1
	s_mov_b64 s[0:1], 0
.LBB372_701:
	s_mov_b64 s[12:13], 0
.LBB372_702:
	s_and_b64 vcc, exec, s[12:13]
	s_cbranch_vccz .LBB372_718
; %bb.703:
	s_cmp_lt_i32 s17, 27
	s_mov_b64 s[10:11], -1
	s_cbranch_scc1 .LBB372_709
; %bb.704:
	s_cmp_gt_i32 s17, 27
	s_cbranch_scc0 .LBB372_706
; %bb.705:
	v_cndmask_b32_e64 v2, 0, 1, s[8:9]
	s_mov_b64 s[10:11], 0
	global_store_dword v[0:1], v2, off
.LBB372_706:
	s_andn2_b64 vcc, exec, s[10:11]
	s_cbranch_vccnz .LBB372_708
; %bb.707:
	v_cndmask_b32_e64 v2, 0, 1, s[8:9]
	global_store_short v[0:1], v2, off
.LBB372_708:
	s_mov_b64 s[10:11], 0
.LBB372_709:
	s_andn2_b64 vcc, exec, s[10:11]
	s_cbranch_vccnz .LBB372_717
; %bb.710:
	v_cndmask_b32_e64 v3, 0, 1.0, s[8:9]
	s_mov_b32 s10, 0x43800000
	v_cmp_gt_u32_e32 vcc, s10, v3
	v_mov_b32_e32 v4, 0x80
	s_and_saveexec_b64 s[10:11], vcc
	s_cbranch_execz .LBB372_716
; %bb.711:
	s_mov_b32 s12, 0x3bffffff
	v_cmp_lt_u32_e32 vcc, s12, v3
	s_mov_b64 s[12:13], 0
                                        ; implicit-def: $vgpr2
	s_and_saveexec_b64 s[14:15], vcc
	s_xor_b64 s[14:15], exec, s[14:15]
	s_cbranch_execz .LBB372_833
; %bb.712:
	v_bfe_u32 v2, v3, 20, 1
	s_mov_b32 s18, 0x487ffff
	v_add3_u32 v2, v3, v2, s18
	s_mov_b64 s[12:13], exec
	v_lshrrev_b32_e32 v2, 20, v2
                                        ; implicit-def: $vgpr3
	s_andn2_saveexec_b64 s[14:15], s[14:15]
	s_cbranch_execnz .LBB372_834
.LBB372_713:
	s_or_b64 exec, exec, s[14:15]
	v_mov_b32_e32 v4, 0
	s_and_saveexec_b64 s[14:15], s[12:13]
.LBB372_714:
	v_mov_b32_e32 v4, v2
.LBB372_715:
	s_or_b64 exec, exec, s[14:15]
.LBB372_716:
	s_or_b64 exec, exec, s[10:11]
	global_store_byte v[0:1], v4, off
.LBB372_717:
	s_mov_b64 s[10:11], -1
.LBB372_718:
	s_mov_b64 s[12:13], 0
.LBB372_719:
	s_and_b64 vcc, exec, s[12:13]
	s_cbranch_vccz .LBB372_760
; %bb.720:
	s_cmp_gt_i32 s17, 22
	s_mov_b64 s[12:13], -1
	s_cbranch_scc0 .LBB372_752
; %bb.721:
	s_cmp_lt_i32 s17, 24
	s_mov_b64 s[10:11], -1
	s_cbranch_scc1 .LBB372_741
; %bb.722:
	s_cmp_gt_i32 s17, 24
	s_cbranch_scc0 .LBB372_730
; %bb.723:
	v_cndmask_b32_e64 v3, 0, 1.0, s[8:9]
	s_mov_b32 s10, 0x47800000
	v_cmp_gt_u32_e32 vcc, s10, v3
	v_mov_b32_e32 v4, 0x80
	s_and_saveexec_b64 s[10:11], vcc
	s_cbranch_execz .LBB372_729
; %bb.724:
	s_mov_b32 s12, 0x37ffffff
	v_cmp_lt_u32_e32 vcc, s12, v3
	s_mov_b64 s[12:13], 0
                                        ; implicit-def: $vgpr2
	s_and_saveexec_b64 s[14:15], vcc
	s_xor_b64 s[14:15], exec, s[14:15]
	s_cbranch_execz .LBB372_836
; %bb.725:
	v_bfe_u32 v2, v3, 21, 1
	s_mov_b32 s18, 0x88fffff
	v_add3_u32 v2, v3, v2, s18
	s_mov_b64 s[12:13], exec
	v_lshrrev_b32_e32 v2, 21, v2
                                        ; implicit-def: $vgpr3
	s_andn2_saveexec_b64 s[14:15], s[14:15]
	s_cbranch_execnz .LBB372_837
.LBB372_726:
	s_or_b64 exec, exec, s[14:15]
	v_mov_b32_e32 v4, 0
	s_and_saveexec_b64 s[14:15], s[12:13]
.LBB372_727:
	v_mov_b32_e32 v4, v2
.LBB372_728:
	s_or_b64 exec, exec, s[14:15]
.LBB372_729:
	s_or_b64 exec, exec, s[10:11]
	s_mov_b64 s[10:11], 0
	global_store_byte v[0:1], v4, off
.LBB372_730:
	s_and_b64 vcc, exec, s[10:11]
	s_cbranch_vccz .LBB372_740
; %bb.731:
	v_cndmask_b32_e64 v2, 0, 1.0, s[8:9]
	s_mov_b32 s10, 0x43f00000
	v_cmp_gt_u32_e32 vcc, s10, v2
                                        ; implicit-def: $vgpr3
	s_and_saveexec_b64 s[10:11], vcc
	s_xor_b64 s[10:11], exec, s[10:11]
	s_cbranch_execz .LBB372_737
; %bb.732:
	s_mov_b32 s12, 0x3c7fffff
	v_cmp_lt_u32_e32 vcc, s12, v2
                                        ; implicit-def: $vgpr3
	s_and_saveexec_b64 s[12:13], vcc
	s_xor_b64 s[12:13], exec, s[12:13]
; %bb.733:
	v_bfe_u32 v3, v2, 20, 1
	s_mov_b32 s14, 0x407ffff
	v_add3_u32 v2, v2, v3, s14
	v_lshrrev_b32_e32 v3, 20, v2
	v_and_b32_e32 v2, 0xff00000, v2
	s_mov_b32 s14, 0x7f00000
	v_mov_b32_e32 v4, 0x7e
	v_cmp_ne_u32_e32 vcc, s14, v2
	v_cndmask_b32_e32 v3, v4, v3, vcc
                                        ; implicit-def: $vgpr2
; %bb.734:
	s_andn2_saveexec_b64 s[12:13], s[12:13]
; %bb.735:
	v_add_f32_e32 v3, 0x46800000, v2
; %bb.736:
	s_or_b64 exec, exec, s[12:13]
                                        ; implicit-def: $vgpr2
.LBB372_737:
	s_andn2_saveexec_b64 s[10:11], s[10:11]
; %bb.738:
	s_mov_b32 s12, 0x7f800000
	v_mov_b32_e32 v3, 0x7e
	v_mov_b32_e32 v4, 0x7f
	v_cmp_lt_u32_e32 vcc, s12, v2
	v_cndmask_b32_e32 v3, v3, v4, vcc
; %bb.739:
	s_or_b64 exec, exec, s[10:11]
	global_store_byte v[0:1], v3, off
.LBB372_740:
	s_mov_b64 s[10:11], 0
.LBB372_741:
	s_andn2_b64 vcc, exec, s[10:11]
	s_cbranch_vccnz .LBB372_751
; %bb.742:
	v_cndmask_b32_e64 v2, 0, 1.0, s[8:9]
	s_mov_b32 s10, 0x47800000
	v_cmp_gt_u32_e32 vcc, s10, v2
                                        ; implicit-def: $vgpr3
	s_and_saveexec_b64 s[10:11], vcc
	s_xor_b64 s[10:11], exec, s[10:11]
	s_cbranch_execz .LBB372_748
; %bb.743:
	s_mov_b32 s12, 0x387fffff
	v_cmp_lt_u32_e32 vcc, s12, v2
                                        ; implicit-def: $vgpr3
	s_and_saveexec_b64 s[12:13], vcc
	s_xor_b64 s[12:13], exec, s[12:13]
; %bb.744:
	v_bfe_u32 v3, v2, 21, 1
	s_mov_b32 s14, 0x80fffff
	v_add3_u32 v2, v2, v3, s14
	v_lshrrev_b32_e32 v3, 21, v2
                                        ; implicit-def: $vgpr2
; %bb.745:
	s_andn2_saveexec_b64 s[12:13], s[12:13]
; %bb.746:
	v_add_f32_e32 v3, 0x43000000, v2
; %bb.747:
	s_or_b64 exec, exec, s[12:13]
                                        ; implicit-def: $vgpr2
.LBB372_748:
	s_andn2_saveexec_b64 s[10:11], s[10:11]
; %bb.749:
	s_mov_b32 s12, 0x7f800000
	v_mov_b32_e32 v3, 0x7c
	v_mov_b32_e32 v4, 0x7f
	v_cmp_lt_u32_e32 vcc, s12, v2
	v_cndmask_b32_e32 v3, v3, v4, vcc
; %bb.750:
	s_or_b64 exec, exec, s[10:11]
	global_store_byte v[0:1], v3, off
.LBB372_751:
	s_mov_b64 s[12:13], 0
	s_mov_b64 s[10:11], -1
.LBB372_752:
	s_andn2_b64 vcc, exec, s[12:13]
	s_cbranch_vccnz .LBB372_760
; %bb.753:
	s_cmp_gt_i32 s17, 14
	s_mov_b64 s[12:13], -1
	s_cbranch_scc0 .LBB372_757
; %bb.754:
	s_cmp_eq_u32 s17, 15
	s_mov_b64 s[0:1], -1
	s_cbranch_scc0 .LBB372_756
; %bb.755:
	v_cndmask_b32_e64 v2, 0, 1.0, s[8:9]
	v_bfe_u32 v3, v2, 16, 1
	s_movk_i32 s0, 0x7fff
	v_add3_u32 v2, v2, v3, s0
	global_store_short_d16_hi v[0:1], v2, off
	s_mov_b64 s[10:11], -1
	s_mov_b64 s[0:1], 0
.LBB372_756:
	s_mov_b64 s[12:13], 0
.LBB372_757:
	s_and_b64 vcc, exec, s[12:13]
	s_cbranch_vccz .LBB372_760
; %bb.758:
	s_cmp_eq_u32 s17, 11
	s_mov_b64 s[0:1], -1
	s_cbranch_scc0 .LBB372_760
; %bb.759:
	v_cndmask_b32_e64 v2, 0, 1, s[8:9]
	s_mov_b64 s[10:11], -1
	s_mov_b64 s[0:1], 0
	global_store_byte v[0:1], v2, off
.LBB372_760:
	s_mov_b64 s[12:13], 0
.LBB372_761:
	s_and_b64 vcc, exec, s[12:13]
	s_cbranch_vccz .LBB372_800
; %bb.762:
	s_and_b32 s12, 0xffff, s16
	s_cmp_lt_i32 s12, 5
	s_mov_b64 s[10:11], -1
	s_cbranch_scc1 .LBB372_783
; %bb.763:
	s_cmp_lt_i32 s12, 8
	s_cbranch_scc1 .LBB372_773
; %bb.764:
	s_cmp_lt_i32 s12, 9
	s_cbranch_scc1 .LBB372_770
; %bb.765:
	s_cmp_gt_i32 s12, 9
	s_cbranch_scc0 .LBB372_767
; %bb.766:
	v_cndmask_b32_e64 v2, 0, 1, s[8:9]
	v_cvt_f64_u32_e32 v[2:3], v2
	v_mov_b32_e32 v4, 0
	v_mov_b32_e32 v5, v4
	s_mov_b64 s[10:11], 0
	global_store_dwordx4 v[0:1], v[2:5], off
.LBB372_767:
	s_andn2_b64 vcc, exec, s[10:11]
	s_cbranch_vccnz .LBB372_769
; %bb.768:
	v_cndmask_b32_e64 v2, 0, 1.0, s[8:9]
	v_mov_b32_e32 v3, 0
	global_store_dwordx2 v[0:1], v[2:3], off
.LBB372_769:
	s_mov_b64 s[10:11], 0
.LBB372_770:
	s_andn2_b64 vcc, exec, s[10:11]
	s_cbranch_vccnz .LBB372_772
; %bb.771:
	v_cndmask_b32_e64 v2, 0, 1.0, s[8:9]
	v_cvt_f16_f32_e32 v2, v2
	global_store_dword v[0:1], v2, off
.LBB372_772:
	s_mov_b64 s[10:11], 0
.LBB372_773:
	s_andn2_b64 vcc, exec, s[10:11]
	s_cbranch_vccnz .LBB372_782
; %bb.774:
	s_cmp_lt_i32 s12, 6
	s_mov_b64 s[10:11], -1
	s_cbranch_scc1 .LBB372_780
; %bb.775:
	s_cmp_gt_i32 s12, 6
	s_cbranch_scc0 .LBB372_777
; %bb.776:
	v_cndmask_b32_e64 v2, 0, 1, s[8:9]
	v_cvt_f64_u32_e32 v[2:3], v2
	s_mov_b64 s[10:11], 0
	global_store_dwordx2 v[0:1], v[2:3], off
.LBB372_777:
	s_andn2_b64 vcc, exec, s[10:11]
	s_cbranch_vccnz .LBB372_779
; %bb.778:
	v_cndmask_b32_e64 v2, 0, 1.0, s[8:9]
	global_store_dword v[0:1], v2, off
.LBB372_779:
	s_mov_b64 s[10:11], 0
.LBB372_780:
	s_andn2_b64 vcc, exec, s[10:11]
	s_cbranch_vccnz .LBB372_782
; %bb.781:
	v_cndmask_b32_e64 v2, 0, 1.0, s[8:9]
	v_cvt_f16_f32_e32 v2, v2
	global_store_short v[0:1], v2, off
.LBB372_782:
	s_mov_b64 s[10:11], 0
.LBB372_783:
	s_andn2_b64 vcc, exec, s[10:11]
	s_cbranch_vccnz .LBB372_799
; %bb.784:
	s_cmp_lt_i32 s12, 2
	s_mov_b64 s[10:11], -1
	s_cbranch_scc1 .LBB372_794
; %bb.785:
	s_cmp_lt_i32 s12, 3
	s_cbranch_scc1 .LBB372_791
; %bb.786:
	s_cmp_gt_i32 s12, 3
	s_cbranch_scc0 .LBB372_788
; %bb.787:
	s_mov_b32 s10, 0
	v_cndmask_b32_e64 v2, 0, 1, s[8:9]
	v_mov_b32_e32 v3, s10
	s_mov_b64 s[10:11], 0
	global_store_dwordx2 v[0:1], v[2:3], off
.LBB372_788:
	s_andn2_b64 vcc, exec, s[10:11]
	s_cbranch_vccnz .LBB372_790
; %bb.789:
	v_cndmask_b32_e64 v2, 0, 1, s[8:9]
	global_store_dword v[0:1], v2, off
.LBB372_790:
	s_mov_b64 s[10:11], 0
.LBB372_791:
	s_andn2_b64 vcc, exec, s[10:11]
	s_cbranch_vccnz .LBB372_793
; %bb.792:
	v_cndmask_b32_e64 v2, 0, 1, s[8:9]
	global_store_short v[0:1], v2, off
.LBB372_793:
	s_mov_b64 s[10:11], 0
.LBB372_794:
	s_andn2_b64 vcc, exec, s[10:11]
	s_cbranch_vccnz .LBB372_799
; %bb.795:
	s_mov_b64 s[10:11], -1
	s_cmp_gt_i32 s12, 0
	v_cndmask_b32_e64 v2, 0, 1, s[8:9]
	s_cbranch_scc0 .LBB372_797
; %bb.796:
	s_mov_b64 s[10:11], 0
	global_store_byte v[0:1], v2, off
.LBB372_797:
	s_andn2_b64 vcc, exec, s[10:11]
	s_cbranch_vccnz .LBB372_799
; %bb.798:
	global_store_byte v[0:1], v2, off
.LBB372_799:
	s_mov_b64 s[10:11], -1
.LBB372_800:
	s_andn2_b64 vcc, exec, s[10:11]
	s_cbranch_vccnz .LBB372_802
; %bb.801:
	v_add_u32_e32 v11, 0x80, v11
	s_mov_b64 s[8:9], -1
	s_branch .LBB372_804
.LBB372_802:
	s_mov_b64 s[8:9], 0
.LBB372_803:
                                        ; implicit-def: $vgpr11
.LBB372_804:
	s_andn2_b64 s[10:11], s[64:65], exec
	s_and_b64 s[0:1], s[0:1], exec
	s_or_b64 s[72:73], s[10:11], s[0:1]
	s_andn2_b64 s[0:1], s[62:63], exec
	s_and_b64 s[2:3], s[2:3], exec
	s_or_b64 s[70:71], s[0:1], s[2:3]
	s_orn2_b64 s[2:3], s[8:9], exec
.LBB372_805:
	s_or_b64 exec, exec, s[68:69]
	s_mov_b64 s[0:1], 0
	s_mov_b64 s[8:9], 0
	;; [unrolled: 1-line block ×3, first 2 shown]
                                        ; implicit-def: $vgpr1_vgpr2
                                        ; implicit-def: $vgpr0
                                        ; implicit-def: $vgpr3_vgpr4
	s_and_saveexec_b64 s[68:69], s[2:3]
	s_cbranch_execz .LBB372_900
; %bb.806:
	v_cmp_gt_i32_e32 vcc, s74, v11
	s_mov_b64 s[2:3], 0
	s_mov_b64 s[12:13], s[70:71]
                                        ; implicit-def: $vgpr1_vgpr2
                                        ; implicit-def: $vgpr0
                                        ; implicit-def: $vgpr3_vgpr4
	s_and_saveexec_b64 s[74:75], vcc
	s_cbranch_execz .LBB372_899
; %bb.807:
	s_andn2_b64 vcc, exec, s[40:41]
	s_cbranch_vccnz .LBB372_812
; %bb.808:
	s_andn2_b64 vcc, exec, s[54:55]
	s_cbranch_vccnz .LBB372_813
; %bb.809:
	s_add_i32 s80, s79, 1
	s_cmp_eq_u32 s76, 2
	s_cbranch_scc1 .LBB372_814
; %bb.810:
	s_and_b32 s79, s80, 28
	v_mov_b32_e32 v2, 0
	s_mov_b32 s81, 0
	s_mov_b64 s[54:55], s[34:35]
	v_mov_b32_e32 v0, 0
	v_mov_b32_e32 v1, v11
.LBB372_811:                            ; =>This Inner Loop Header: Depth=1
	s_load_dwordx8 s[16:23], s[54:55], 0x4
	s_load_dwordx4 s[0:3], s[54:55], 0x24
	s_load_dwordx8 s[8:15], s[52:53], 0x0
	s_add_u32 s54, s54, 48
	s_addc_u32 s55, s55, 0
	s_waitcnt vmcnt(0) lgkmcnt(0)
	v_mul_hi_u32 v3, s17, v1
	s_add_i32 s81, s81, 4
	s_add_u32 s52, s52, 32
	s_addc_u32 s53, s53, 0
	v_add_u32_e32 v3, v1, v3
	v_lshrrev_b32_e32 v3, s18, v3
	v_mul_lo_u32 v4, v3, s16
	v_mul_hi_u32 v5, s20, v3
	s_cmp_eq_u32 s79, s81
	v_sub_u32_e32 v1, v1, v4
	v_add_u32_e32 v4, v3, v5
	v_mul_lo_u32 v5, v1, s8
	v_mul_lo_u32 v6, v1, s9
	v_lshrrev_b32_e32 v1, s21, v4
	v_mul_lo_u32 v4, v1, s19
	v_mul_hi_u32 v7, s23, v1
	v_sub_u32_e32 v3, v3, v4
	v_add_u32_e32 v4, v1, v7
	v_lshrrev_b32_e32 v4, s0, v4
	v_mul_hi_u32 v8, s2, v4
	v_mul_lo_u32 v9, v4, s22
	v_mul_lo_u32 v7, v3, s10
	;; [unrolled: 1-line block ×3, first 2 shown]
	v_sub_u32_e32 v9, v1, v9
	v_add_u32_e32 v1, v4, v8
	v_lshrrev_b32_e32 v1, s3, v1
	v_mul_lo_u32 v8, v1, s1
	v_mul_lo_u32 v10, v9, s12
	;; [unrolled: 1-line block ×3, first 2 shown]
	v_add3_u32 v0, v5, v0, v7
	v_sub_u32_e32 v4, v4, v8
	v_mul_lo_u32 v8, v4, s14
	v_mul_lo_u32 v4, v4, s15
	v_add3_u32 v2, v6, v2, v3
	v_add3_u32 v0, v10, v0, v8
	;; [unrolled: 1-line block ×3, first 2 shown]
	s_cbranch_scc0 .LBB372_811
	s_branch .LBB372_815
.LBB372_812:
	s_mov_b64 s[0:1], -1
                                        ; implicit-def: $vgpr0
                                        ; implicit-def: $vgpr2
	s_branch .LBB372_819
.LBB372_813:
	v_mov_b32_e32 v0, 0
	v_mov_b32_e32 v2, 0
	s_branch .LBB372_818
.LBB372_814:
	s_mov_b32 s79, 0
	v_mov_b32_e32 v0, 0
	v_mov_b32_e32 v2, 0
	;; [unrolled: 1-line block ×3, first 2 shown]
.LBB372_815:
	s_and_b32 s8, s80, 3
	s_cmp_eq_u32 s8, 0
	s_cbranch_scc1 .LBB372_818
; %bb.816:
	s_lshl_b32 s0, s79, 3
	s_add_u32 s0, s34, s0
	s_addc_u32 s1, s35, 0
	s_add_u32 s0, s0, 0xc4
	s_addc_u32 s1, s1, 0
	s_mul_i32 s2, s79, 12
	s_add_u32 s2, s34, s2
	s_addc_u32 s3, s35, 0
.LBB372_817:                            ; =>This Inner Loop Header: Depth=1
	s_load_dwordx2 s[10:11], s[2:3], 0x4
	s_load_dword s9, s[2:3], 0xc
	s_load_dwordx2 s[12:13], s[0:1], 0x0
	s_add_u32 s2, s2, 12
	s_addc_u32 s3, s3, 0
	s_waitcnt vmcnt(0) lgkmcnt(0)
	v_mul_hi_u32 v3, s11, v1
	s_add_u32 s0, s0, 8
	s_addc_u32 s1, s1, 0
	s_add_i32 s8, s8, -1
	v_add_u32_e32 v3, v1, v3
	v_lshrrev_b32_e32 v4, s9, v3
	v_mul_lo_u32 v3, v4, s10
	s_cmp_lg_u32 s8, 0
	v_sub_u32_e32 v3, v1, v3
	v_mad_u64_u32 v[0:1], s[10:11], v3, s12, v[0:1]
	v_mad_u64_u32 v[2:3], s[10:11], v3, s13, v[2:3]
	v_mov_b32_e32 v1, v4
	s_cbranch_scc1 .LBB372_817
.LBB372_818:
	s_mov_b64 s[0:1], 0
.LBB372_819:
	s_andn2_b64 vcc, exec, s[0:1]
	s_cbranch_vccnz .LBB372_822
; %bb.820:
	v_mul_hi_u32 v0, s29, v11
	s_andn2_b64 vcc, exec, s[50:51]
	v_add_u32_e32 v0, v11, v0
	v_lshrrev_b32_e32 v1, s30, v0
	v_mul_lo_u32 v0, v1, s28
	v_sub_u32_e32 v2, v11, v0
	v_mul_lo_u32 v0, v2, s36
	v_mul_lo_u32 v2, v2, s37
	s_cbranch_vccnz .LBB372_822
; %bb.821:
	s_waitcnt vmcnt(0)
	v_mul_hi_u32 v3, s48, v1
	v_add_u32_e32 v3, v1, v3
	v_lshrrev_b32_e32 v3, s49, v3
	v_mul_lo_u32 v3, v3, s31
	v_sub_u32_e32 v3, v1, v3
	v_mad_u64_u32 v[0:1], s[0:1], v3, s38, v[0:1]
	v_mad_u64_u32 v[2:3], s[0:1], v3, s39, v[2:3]
.LBB372_822:
	s_waitcnt vmcnt(0)
	v_mov_b32_e32 v3, s27
	s_and_b32 s12, 0xffff, s78
	v_add_co_u32_e32 v1, vcc, s26, v2
	s_cmp_lt_i32 s12, 11
	v_addc_co_u32_e32 v2, vcc, 0, v3, vcc
	s_cbranch_scc1 .LBB372_829
; %bb.823:
	s_cmp_gt_i32 s12, 25
	s_mov_b64 s[2:3], 0
	s_cbranch_scc0 .LBB372_830
; %bb.824:
	s_cmp_gt_i32 s12, 28
	s_cbranch_scc0 .LBB372_831
; %bb.825:
	s_cmp_gt_i32 s12, 43
	;; [unrolled: 3-line block ×3, first 2 shown]
	s_cbranch_scc0 .LBB372_835
; %bb.827:
	s_cmp_eq_u32 s12, 46
	s_mov_b64 s[10:11], 0
	s_cbranch_scc0 .LBB372_838
; %bb.828:
	global_load_dword v3, v[1:2], off
	s_mov_b64 s[0:1], 0
	s_mov_b64 s[8:9], -1
	s_waitcnt vmcnt(0)
	v_lshlrev_b32_e32 v3, 16, v3
	v_trunc_f32_e32 v3, v3
	v_mul_f32_e32 v4, 0x2f800000, v3
	v_floor_f32_e32 v4, v4
	v_fmac_f32_e32 v3, 0xcf800000, v4
	v_cvt_u32_f32_e32 v3, v3
	v_cvt_u32_f32_e32 v4, v4
	s_branch .LBB372_839
.LBB372_829:
	s_mov_b64 s[12:13], -1
	s_mov_b64 s[8:9], 0
	s_mov_b64 s[2:3], 0
	;; [unrolled: 1-line block ×3, first 2 shown]
                                        ; implicit-def: $vgpr3_vgpr4
	s_branch .LBB372_898
.LBB372_830:
	s_mov_b64 s[10:11], -1
	s_mov_b64 s[8:9], 0
	s_mov_b64 s[0:1], s[70:71]
                                        ; implicit-def: $vgpr3_vgpr4
	s_branch .LBB372_868
.LBB372_831:
	s_mov_b64 s[10:11], -1
	s_mov_b64 s[8:9], 0
	s_mov_b64 s[0:1], s[70:71]
                                        ; implicit-def: $vgpr3_vgpr4
	s_branch .LBB372_849
.LBB372_832:
	s_mov_b64 s[10:11], -1
	s_mov_b64 s[8:9], 0
	s_mov_b64 s[0:1], s[70:71]
                                        ; implicit-def: $vgpr3_vgpr4
	s_branch .LBB372_844
.LBB372_833:
	s_andn2_saveexec_b64 s[14:15], s[14:15]
	s_cbranch_execz .LBB372_713
.LBB372_834:
	v_add_f32_e32 v2, 0x46000000, v3
	v_and_b32_e32 v2, 0xff, v2
	v_cmp_ne_u32_e32 vcc, 0, v2
	s_andn2_b64 s[12:13], s[12:13], exec
	s_and_b64 s[18:19], vcc, exec
	s_or_b64 s[12:13], s[12:13], s[18:19]
	s_or_b64 exec, exec, s[14:15]
	v_mov_b32_e32 v4, 0
	s_and_saveexec_b64 s[14:15], s[12:13]
	s_cbranch_execnz .LBB372_714
	s_branch .LBB372_715
.LBB372_835:
	s_mov_b64 s[10:11], -1
	s_mov_b64 s[8:9], 0
	s_mov_b64 s[0:1], s[70:71]
                                        ; implicit-def: $vgpr3_vgpr4
	s_branch .LBB372_839
.LBB372_836:
	s_andn2_saveexec_b64 s[14:15], s[14:15]
	s_cbranch_execz .LBB372_726
.LBB372_837:
	v_add_f32_e32 v2, 0x42800000, v3
	v_and_b32_e32 v2, 0xff, v2
	v_cmp_ne_u32_e32 vcc, 0, v2
	s_andn2_b64 s[12:13], s[12:13], exec
	s_and_b64 s[18:19], vcc, exec
	s_or_b64 s[12:13], s[12:13], s[18:19]
	s_or_b64 exec, exec, s[14:15]
	v_mov_b32_e32 v4, 0
	s_and_saveexec_b64 s[14:15], s[12:13]
	s_cbranch_execnz .LBB372_727
	s_branch .LBB372_728
.LBB372_838:
	s_mov_b64 s[0:1], -1
                                        ; implicit-def: $vgpr3_vgpr4
	s_mov_b64 s[8:9], 0
.LBB372_839:
	s_and_b64 vcc, exec, s[10:11]
	s_cbranch_vccz .LBB372_843
; %bb.840:
	s_cmp_eq_u32 s12, 44
	s_cbranch_scc0 .LBB372_842
; %bb.841:
	global_load_ubyte v3, v[1:2], off
	s_mov_b64 s[0:1], 0
	s_mov_b64 s[8:9], -1
	s_waitcnt vmcnt(0)
	v_lshlrev_b32_e32 v4, 23, v3
	v_trunc_f32_e32 v4, v4
	v_mul_f32_e32 v5, 0x2f800000, v4
	v_floor_f32_e32 v5, v5
	v_fmac_f32_e32 v4, 0xcf800000, v5
	v_cvt_u32_f32_e32 v5, v5
	v_cvt_u32_f32_e32 v6, v4
	v_cmp_ne_u32_e32 vcc, 0, v3
	v_cndmask_b32_e32 v4, 0, v5, vcc
	v_cndmask_b32_e32 v3, 0, v6, vcc
	s_branch .LBB372_843
.LBB372_842:
	s_mov_b64 s[0:1], -1
                                        ; implicit-def: $vgpr3_vgpr4
.LBB372_843:
	s_mov_b64 s[10:11], 0
.LBB372_844:
	s_and_b64 vcc, exec, s[10:11]
	s_cbranch_vccz .LBB372_848
; %bb.845:
	s_cmp_eq_u32 s12, 29
	s_cbranch_scc0 .LBB372_847
; %bb.846:
	global_load_dwordx2 v[3:4], v[1:2], off
	s_mov_b64 s[0:1], 0
	s_mov_b64 s[8:9], -1
	s_branch .LBB372_848
.LBB372_847:
	s_mov_b64 s[0:1], -1
                                        ; implicit-def: $vgpr3_vgpr4
.LBB372_848:
	s_mov_b64 s[10:11], 0
.LBB372_849:
	s_and_b64 vcc, exec, s[10:11]
	s_cbranch_vccz .LBB372_867
; %bb.850:
	s_cmp_lt_i32 s12, 27
	s_cbranch_scc1 .LBB372_853
; %bb.851:
	s_cmp_gt_i32 s12, 27
	s_cbranch_scc0 .LBB372_854
; %bb.852:
	global_load_dword v3, v[1:2], off
	s_waitcnt vmcnt(1)
	v_mov_b32_e32 v4, 0
	s_mov_b64 s[8:9], 0
	s_branch .LBB372_855
.LBB372_853:
	s_mov_b64 s[8:9], -1
                                        ; implicit-def: $vgpr3_vgpr4
	s_branch .LBB372_858
.LBB372_854:
	s_mov_b64 s[8:9], -1
                                        ; implicit-def: $vgpr3_vgpr4
.LBB372_855:
	s_andn2_b64 vcc, exec, s[8:9]
	s_cbranch_vccnz .LBB372_857
; %bb.856:
	global_load_ushort v3, v[1:2], off
	s_mov_b32 s8, 0
	s_waitcnt vmcnt(1)
	v_mov_b32_e32 v4, s8
	s_waitcnt vmcnt(0)
	v_and_b32_e32 v3, 0xffff, v3
.LBB372_857:
	s_mov_b64 s[8:9], 0
.LBB372_858:
	s_andn2_b64 vcc, exec, s[8:9]
	s_cbranch_vccnz .LBB372_866
; %bb.859:
	global_load_ubyte v5, v[1:2], off
	s_movk_i32 s8, 0x7f
	s_mov_b64 s[10:11], 0
	s_waitcnt vmcnt(0)
	v_cmp_lt_i16_e32 vcc, s8, v5
	s_and_saveexec_b64 s[8:9], vcc
	s_xor_b64 s[8:9], exec, s[8:9]
; %bb.860:
	s_movk_i32 s10, 0x80
	v_cmp_ne_u16_e32 vcc, s10, v5
	s_and_b64 s[10:11], vcc, exec
; %bb.861:
	s_andn2_saveexec_b64 s[8:9], s[8:9]
; %bb.862:
	v_cmp_ne_u16_e32 vcc, 0, v5
	s_andn2_b64 s[10:11], s[10:11], exec
	s_and_b64 s[14:15], vcc, exec
	s_or_b64 s[10:11], s[10:11], s[14:15]
; %bb.863:
	s_or_b64 exec, exec, s[8:9]
	v_mov_b32_e32 v3, 0
	v_mov_b32_e32 v4, 0
	s_and_saveexec_b64 s[8:9], s[10:11]
	s_cbranch_execz .LBB372_865
; %bb.864:
	v_and_b32_e32 v4, 0xffff, v5
	v_lshlrev_b32_e32 v3, 24, v5
	v_and_b32_e32 v5, 7, v4
	v_ffbh_u32_e32 v7, v5
	v_min_u32_e32 v7, 32, v7
	v_subrev_u32_e32 v8, 28, v7
	v_bfe_u32 v6, v4, 3, 4
	v_lshlrev_b32_e32 v4, v8, v4
	v_sub_u32_e32 v7, 29, v7
	v_and_b32_e32 v4, 7, v4
	v_cmp_eq_u32_e32 vcc, 0, v6
	v_cndmask_b32_e32 v6, v6, v7, vcc
	v_cndmask_b32_e32 v4, v5, v4, vcc
	v_mov_b32_e32 v5, 0x3b800000
	v_lshlrev_b32_e32 v4, 20, v4
	v_and_b32_e32 v3, 0x80000000, v3
	v_lshl_add_u32 v5, v6, 23, v5
	v_or3_b32 v3, v3, v5, v4
	v_trunc_f32_e32 v3, v3
	v_mul_f32_e32 v4, 0x2f800000, v3
	v_floor_f32_e32 v4, v4
	v_fmac_f32_e32 v3, 0xcf800000, v4
	v_cvt_u32_f32_e32 v3, v3
	v_cvt_u32_f32_e32 v4, v4
.LBB372_865:
	s_or_b64 exec, exec, s[8:9]
.LBB372_866:
	s_mov_b64 s[8:9], -1
.LBB372_867:
	s_mov_b64 s[10:11], 0
.LBB372_868:
	s_and_b64 vcc, exec, s[10:11]
	s_cbranch_vccz .LBB372_897
; %bb.869:
	s_cmp_gt_i32 s12, 22
	s_cbranch_scc0 .LBB372_879
; %bb.870:
	s_cmp_lt_i32 s12, 24
	s_cbranch_scc1 .LBB372_880
; %bb.871:
	s_cmp_gt_i32 s12, 24
	s_cbranch_scc0 .LBB372_881
; %bb.872:
	global_load_ubyte v5, v[1:2], off
	s_movk_i32 s2, 0x7f
	s_mov_b64 s[8:9], 0
	s_waitcnt vmcnt(0)
	v_cmp_lt_i16_e32 vcc, s2, v5
	s_and_saveexec_b64 s[2:3], vcc
	s_xor_b64 s[2:3], exec, s[2:3]
; %bb.873:
	s_movk_i32 s8, 0x80
	v_cmp_ne_u16_e32 vcc, s8, v5
	s_and_b64 s[8:9], vcc, exec
; %bb.874:
	s_andn2_saveexec_b64 s[2:3], s[2:3]
; %bb.875:
	v_cmp_ne_u16_e32 vcc, 0, v5
	s_andn2_b64 s[8:9], s[8:9], exec
	s_and_b64 s[10:11], vcc, exec
	s_or_b64 s[8:9], s[8:9], s[10:11]
; %bb.876:
	s_or_b64 exec, exec, s[2:3]
	v_mov_b32_e32 v3, 0
	v_mov_b32_e32 v4, 0
	s_and_saveexec_b64 s[2:3], s[8:9]
	s_cbranch_execz .LBB372_878
; %bb.877:
	v_and_b32_e32 v4, 0xffff, v5
	v_lshlrev_b32_e32 v3, 24, v5
	v_and_b32_e32 v5, 3, v4
	v_ffbh_u32_e32 v7, v5
	v_min_u32_e32 v7, 32, v7
	v_subrev_u32_e32 v8, 29, v7
	v_bfe_u32 v6, v4, 2, 5
	v_lshlrev_b32_e32 v4, v8, v4
	v_sub_u32_e32 v7, 30, v7
	v_and_b32_e32 v4, 3, v4
	v_cmp_eq_u32_e32 vcc, 0, v6
	v_cndmask_b32_e32 v6, v6, v7, vcc
	v_cndmask_b32_e32 v4, v5, v4, vcc
	v_mov_b32_e32 v5, 0x37800000
	v_lshlrev_b32_e32 v4, 21, v4
	v_and_b32_e32 v3, 0x80000000, v3
	v_lshl_add_u32 v5, v6, 23, v5
	v_or3_b32 v3, v3, v5, v4
	v_trunc_f32_e32 v3, v3
	v_mul_f32_e32 v4, 0x2f800000, v3
	v_floor_f32_e32 v4, v4
	v_fmac_f32_e32 v3, 0xcf800000, v4
	v_cvt_u32_f32_e32 v3, v3
	v_cvt_u32_f32_e32 v4, v4
.LBB372_878:
	s_or_b64 exec, exec, s[2:3]
	s_mov_b64 s[2:3], 0
	s_branch .LBB372_882
.LBB372_879:
	s_mov_b64 s[2:3], -1
                                        ; implicit-def: $vgpr3_vgpr4
	s_branch .LBB372_888
.LBB372_880:
	s_mov_b64 s[2:3], -1
                                        ; implicit-def: $vgpr3_vgpr4
	s_branch .LBB372_885
.LBB372_881:
	s_mov_b64 s[2:3], -1
                                        ; implicit-def: $vgpr3_vgpr4
.LBB372_882:
	s_and_b64 vcc, exec, s[2:3]
	s_cbranch_vccz .LBB372_884
; %bb.883:
	global_load_ubyte v3, v[1:2], off
	s_mov_b32 s2, 0x7f800000
	s_brev_b32 s3, 1
	s_waitcnt vmcnt(0)
	v_lshlrev_b32_e32 v3, 24, v3
	v_and_b32_e32 v4, 0x7f000000, v3
	v_ffbh_u32_e32 v5, v4
	v_min_u32_e32 v5, 32, v5
	v_sub_u32_e64 v5, v5, 4 clamp
	v_lshlrev_b32_e32 v7, v5, v4
	v_lshlrev_b32_e32 v5, 23, v5
	v_lshrrev_b32_e32 v7, 4, v7
	v_add_u32_e32 v6, 0x1000000, v4
	v_sub_u32_e32 v5, v7, v5
	v_ashrrev_i32_e32 v6, 8, v6
	v_add_u32_e32 v5, 0x3c000000, v5
	v_and_or_b32 v5, v6, s2, v5
	v_cmp_ne_u32_e32 vcc, 0, v4
	v_cndmask_b32_e32 v4, 0, v5, vcc
	v_and_or_b32 v3, v3, s3, v4
	v_trunc_f32_e32 v3, v3
	v_mul_f32_e32 v4, 0x2f800000, v3
	v_floor_f32_e32 v4, v4
	v_fmac_f32_e32 v3, 0xcf800000, v4
	v_cvt_u32_f32_e32 v3, v3
	v_cvt_u32_f32_e32 v4, v4
.LBB372_884:
	s_mov_b64 s[2:3], 0
.LBB372_885:
	s_andn2_b64 vcc, exec, s[2:3]
	s_cbranch_vccnz .LBB372_887
; %bb.886:
	global_load_ubyte v3, v[1:2], off
	s_movk_i32 s2, 0x7f00
	s_brev_b32 s3, 16
	s_brev_b32 s8, 1
	s_waitcnt vmcnt(0)
	v_lshlrev_b16_e32 v4, 8, v3
	v_lshlrev_b32_e32 v3, 25, v3
	v_lshrrev_b32_e32 v5, 4, v3
	v_and_or_b32 v6, v4, s2, 0.5
	v_or_b32_e32 v5, 0x70000000, v5
	v_add_f32_e32 v6, -0.5, v6
	v_mul_f32_e32 v5, 0x7800000, v5
	v_cmp_gt_u32_e32 vcc, s3, v3
	v_bfe_i32 v4, v4, 0, 16
	v_cndmask_b32_e32 v3, v5, v6, vcc
	v_and_or_b32 v3, v4, s8, v3
	v_trunc_f32_e32 v3, v3
	v_mul_f32_e32 v4, 0x2f800000, v3
	v_floor_f32_e32 v4, v4
	v_fmac_f32_e32 v3, 0xcf800000, v4
	v_cvt_u32_f32_e32 v3, v3
	v_cvt_u32_f32_e32 v4, v4
.LBB372_887:
	s_mov_b64 s[2:3], 0
	s_mov_b64 s[8:9], -1
.LBB372_888:
	s_andn2_b64 vcc, exec, s[2:3]
	s_mov_b64 s[2:3], 0
	s_cbranch_vccnz .LBB372_897
; %bb.889:
	s_cmp_gt_i32 s12, 14
	s_cbranch_scc0 .LBB372_892
; %bb.890:
	s_cmp_eq_u32 s12, 15
	s_cbranch_scc0 .LBB372_893
; %bb.891:
	global_load_ushort v3, v[1:2], off
	s_mov_b64 s[0:1], 0
	s_mov_b64 s[8:9], -1
	s_waitcnt vmcnt(0)
	v_lshlrev_b32_e32 v3, 16, v3
	v_trunc_f32_e32 v3, v3
	v_mul_f32_e32 v4, 0x2f800000, v3
	v_floor_f32_e32 v4, v4
	v_fmac_f32_e32 v3, 0xcf800000, v4
	v_cvt_u32_f32_e32 v3, v3
	v_cvt_u32_f32_e32 v4, v4
	s_branch .LBB372_894
.LBB372_892:
	s_mov_b64 s[10:11], -1
                                        ; implicit-def: $vgpr3_vgpr4
	s_branch .LBB372_895
.LBB372_893:
	s_mov_b64 s[0:1], -1
                                        ; implicit-def: $vgpr3_vgpr4
.LBB372_894:
	s_mov_b64 s[10:11], 0
.LBB372_895:
	s_and_b64 vcc, exec, s[10:11]
	s_cbranch_vccz .LBB372_897
; %bb.896:
	s_cmp_lg_u32 s12, 11
	s_cselect_b64 s[10:11], -1, 0
	s_andn2_b64 s[0:1], s[0:1], exec
	s_and_b64 s[10:11], s[10:11], exec
	s_mov_b64 s[2:3], -1
	s_or_b64 s[0:1], s[0:1], s[10:11]
.LBB372_897:
	s_mov_b64 s[12:13], 0
.LBB372_898:
	s_and_b64 s[10:11], s[8:9], exec
	s_and_b64 s[8:9], s[12:13], exec
	s_andn2_b64 s[12:13], s[70:71], exec
	s_and_b64 s[0:1], s[0:1], exec
	s_and_b64 s[2:3], s[2:3], exec
	s_or_b64 s[12:13], s[12:13], s[0:1]
.LBB372_899:
	s_or_b64 exec, exec, s[74:75]
	s_and_b64 s[0:1], s[2:3], exec
	s_andn2_b64 s[2:3], s[70:71], exec
	s_and_b64 s[12:13], s[12:13], exec
	s_and_b64 s[10:11], s[10:11], exec
	;; [unrolled: 1-line block ×3, first 2 shown]
	s_or_b64 s[70:71], s[2:3], s[12:13]
.LBB372_900:
	s_or_b64 exec, exec, s[68:69]
	s_andn2_b64 s[2:3], s[64:65], exec
	s_and_b64 s[12:13], s[72:73], exec
	s_or_b64 s[64:65], s[2:3], s[12:13]
	s_and_b64 s[2:3], s[0:1], exec
	s_andn2_b64 s[0:1], s[62:63], exec
	s_and_b64 s[12:13], s[70:71], exec
	s_and_b64 s[10:11], s[10:11], exec
	;; [unrolled: 1-line block ×3, first 2 shown]
	s_or_b64 s[62:63], s[0:1], s[12:13]
.LBB372_901:
	s_or_b64 exec, exec, s[66:67]
	s_andn2_b64 s[0:1], s[56:57], exec
	s_and_b64 s[12:13], s[64:65], exec
	s_or_b64 s[56:57], s[0:1], s[12:13]
	s_and_b64 s[0:1], s[10:11], exec
	s_and_b64 s[10:11], s[8:9], exec
	;; [unrolled: 1-line block ×3, first 2 shown]
	s_andn2_b64 s[2:3], s[58:59], exec
	s_and_b64 s[8:9], s[62:63], exec
	s_or_b64 s[58:59], s[2:3], s[8:9]
	s_or_b64 exec, exec, s[60:61]
	s_mov_b64 s[2:3], 0
	s_and_saveexec_b64 s[8:9], s[58:59]
	s_cbranch_execz .LBB372_270
.LBB372_902:
	s_mov_b64 s[2:3], exec
	s_andn2_b64 s[64:65], s[64:65], exec
	s_trap 2
	s_or_b64 exec, exec, s[8:9]
	s_and_saveexec_b64 s[8:9], s[64:65]
	s_xor_b64 s[8:9], exec, s[8:9]
	s_cbranch_execnz .LBB372_271
.LBB372_903:
	s_or_b64 exec, exec, s[8:9]
	s_and_saveexec_b64 s[8:9], s[10:11]
	s_cbranch_execz .LBB372_949
.LBB372_904:
	s_sext_i32_i16 s10, s78
	s_cmp_lt_i32 s10, 5
	s_cbranch_scc1 .LBB372_909
; %bb.905:
	s_cmp_lt_i32 s10, 8
	s_cbranch_scc1 .LBB372_910
; %bb.906:
	;; [unrolled: 3-line block ×3, first 2 shown]
	s_cmp_gt_i32 s10, 9
	s_cbranch_scc0 .LBB372_912
; %bb.908:
	global_load_dwordx2 v[3:4], v[1:2], off
	s_movk_i32 s10, 0xffe0
	s_waitcnt vmcnt(0)
	v_trunc_f64_e32 v[3:4], v[3:4]
	v_ldexp_f64 v[5:6], v[3:4], s10
	s_mov_b32 s10, 0
	s_mov_b32 s11, 0xc1f00000
	v_floor_f64_e32 v[5:6], v[5:6]
	v_fma_f64 v[7:8], v[5:6], s[10:11], v[3:4]
	v_cvt_u32_f64_e32 v4, v[5:6]
	s_mov_b64 s[10:11], 0
	v_cvt_u32_f64_e32 v3, v[7:8]
	s_branch .LBB372_913
.LBB372_909:
                                        ; implicit-def: $vgpr3_vgpr4
	s_branch .LBB372_930
.LBB372_910:
                                        ; implicit-def: $vgpr3_vgpr4
	s_branch .LBB372_919
.LBB372_911:
	s_mov_b64 s[10:11], -1
                                        ; implicit-def: $vgpr3_vgpr4
	s_branch .LBB372_916
.LBB372_912:
	s_mov_b64 s[10:11], -1
                                        ; implicit-def: $vgpr3_vgpr4
.LBB372_913:
	s_andn2_b64 vcc, exec, s[10:11]
	s_cbranch_vccnz .LBB372_915
; %bb.914:
	global_load_dword v3, v[1:2], off
	s_waitcnt vmcnt(0)
	v_trunc_f32_e32 v3, v3
	v_mul_f32_e32 v4, 0x2f800000, v3
	v_floor_f32_e32 v5, v4
	v_fmac_f32_e32 v3, 0xcf800000, v5
	v_cvt_u32_f32_e32 v4, v5
	v_cvt_u32_f32_e32 v3, v3
.LBB372_915:
	s_mov_b64 s[10:11], 0
.LBB372_916:
	s_andn2_b64 vcc, exec, s[10:11]
	s_cbranch_vccnz .LBB372_918
; %bb.917:
	global_load_dword v3, v[1:2], off
	s_waitcnt vmcnt(1)
	v_mov_b32_e32 v4, 0
	s_waitcnt vmcnt(0)
	v_cvt_f32_f16_e32 v3, v3
	v_cvt_u32_f32_e32 v3, v3
.LBB372_918:
	s_cbranch_execnz .LBB372_929
.LBB372_919:
	s_sext_i32_i16 s10, s78
	s_cmp_lt_i32 s10, 6
	s_cbranch_scc1 .LBB372_922
; %bb.920:
	s_cmp_gt_i32 s10, 6
	s_cbranch_scc0 .LBB372_923
; %bb.921:
	global_load_dwordx2 v[3:4], v[1:2], off
	s_movk_i32 s10, 0xffe0
	s_waitcnt vmcnt(0)
	v_trunc_f64_e32 v[3:4], v[3:4]
	v_ldexp_f64 v[5:6], v[3:4], s10
	s_mov_b32 s10, 0
	s_mov_b32 s11, 0xc1f00000
	v_floor_f64_e32 v[5:6], v[5:6]
	v_fma_f64 v[7:8], v[5:6], s[10:11], v[3:4]
	v_cvt_u32_f64_e32 v4, v[5:6]
	s_mov_b64 s[10:11], 0
	v_cvt_u32_f64_e32 v3, v[7:8]
	s_branch .LBB372_924
.LBB372_922:
	s_mov_b64 s[10:11], -1
                                        ; implicit-def: $vgpr3_vgpr4
	s_branch .LBB372_927
.LBB372_923:
	s_mov_b64 s[10:11], -1
                                        ; implicit-def: $vgpr3_vgpr4
.LBB372_924:
	s_andn2_b64 vcc, exec, s[10:11]
	s_cbranch_vccnz .LBB372_926
; %bb.925:
	global_load_dword v3, v[1:2], off
	s_waitcnt vmcnt(0)
	v_trunc_f32_e32 v3, v3
	v_mul_f32_e32 v4, 0x2f800000, v3
	v_floor_f32_e32 v5, v4
	v_fmac_f32_e32 v3, 0xcf800000, v5
	v_cvt_u32_f32_e32 v4, v5
	v_cvt_u32_f32_e32 v3, v3
.LBB372_926:
	s_mov_b64 s[10:11], 0
.LBB372_927:
	s_andn2_b64 vcc, exec, s[10:11]
	s_cbranch_vccnz .LBB372_929
; %bb.928:
	global_load_ushort v3, v[1:2], off
	s_waitcnt vmcnt(1)
	v_mov_b32_e32 v4, 0
	s_waitcnt vmcnt(0)
	v_cvt_f32_f16_e32 v3, v3
	v_cvt_u32_f32_e32 v3, v3
.LBB372_929:
	s_cbranch_execnz .LBB372_948
.LBB372_930:
	s_sext_i32_i16 s10, s78
	s_cmp_lt_i32 s10, 2
	s_cbranch_scc1 .LBB372_934
; %bb.931:
	s_cmp_lt_i32 s10, 3
	s_cbranch_scc1 .LBB372_935
; %bb.932:
	s_cmp_gt_i32 s10, 3
	s_cbranch_scc0 .LBB372_936
; %bb.933:
	global_load_dwordx2 v[3:4], v[1:2], off
	s_mov_b64 s[10:11], 0
	s_branch .LBB372_937
.LBB372_934:
                                        ; implicit-def: $vgpr3_vgpr4
	s_branch .LBB372_943
.LBB372_935:
	s_mov_b64 s[10:11], -1
                                        ; implicit-def: $vgpr3_vgpr4
	s_branch .LBB372_940
.LBB372_936:
	s_mov_b64 s[10:11], -1
                                        ; implicit-def: $vgpr3_vgpr4
.LBB372_937:
	s_andn2_b64 vcc, exec, s[10:11]
	s_cbranch_vccnz .LBB372_939
; %bb.938:
	global_load_dword v3, v[1:2], off
	s_waitcnt vmcnt(0)
	v_ashrrev_i32_e32 v4, 31, v3
.LBB372_939:
	s_mov_b64 s[10:11], 0
.LBB372_940:
	s_andn2_b64 vcc, exec, s[10:11]
	s_cbranch_vccnz .LBB372_942
; %bb.941:
	global_load_ushort v3, v[1:2], off
	s_waitcnt vmcnt(0)
	v_bfe_i32 v3, v3, 0, 16
	v_ashrrev_i32_e32 v4, 31, v3
.LBB372_942:
	s_cbranch_execnz .LBB372_948
.LBB372_943:
	s_sext_i32_i16 s10, s78
	s_cmp_gt_i32 s10, 0
	s_cbranch_scc0 .LBB372_945
; %bb.944:
	global_load_sbyte v3, v[1:2], off
	s_mov_b64 s[10:11], 0
	s_waitcnt vmcnt(0)
	v_bfe_i32 v3, v3, 0, 16
	v_ashrrev_i32_e32 v4, 31, v3
	s_branch .LBB372_946
.LBB372_945:
	s_mov_b64 s[10:11], -1
                                        ; implicit-def: $vgpr3_vgpr4
.LBB372_946:
	s_andn2_b64 vcc, exec, s[10:11]
	s_cbranch_vccnz .LBB372_948
; %bb.947:
	global_load_ubyte v1, v[1:2], off
	s_mov_b32 s10, 0
	s_waitcnt vmcnt(1)
	v_mov_b32_e32 v4, s10
	s_waitcnt vmcnt(0)
	v_and_b32_e32 v3, 0xffff, v1
.LBB372_948:
	s_or_b64 s[0:1], s[0:1], exec
.LBB372_949:
	s_or_b64 exec, exec, s[8:9]
	s_mov_b64 s[14:15], 0
	s_mov_b64 s[12:13], 0
                                        ; implicit-def: $sgpr8_sgpr9
                                        ; implicit-def: $sgpr20
                                        ; implicit-def: $vgpr1_vgpr2
	s_and_saveexec_b64 s[10:11], s[0:1]
	s_cbranch_execz .LBB372_1024
; %bb.950:
	s_waitcnt vmcnt(0)
	v_cmp_ne_u64_e32 vcc, s[44:45], v[3:4]
	v_mov_b32_e32 v2, s25
	s_xor_b64 s[8:9], s[46:47], vcc
	s_and_b32 s20, s77, 0xff
	v_add_co_u32_e32 v1, vcc, s24, v0
	s_cmp_lt_i32 s20, 11
	v_addc_co_u32_e32 v2, vcc, 0, v2, vcc
	s_cbranch_scc1 .LBB372_1027
; %bb.951:
	s_and_b32 s21, 0xffff, s20
	s_mov_b64 s[14:15], -1
	s_cmp_gt_i32 s21, 25
	s_mov_b64 s[0:1], s[56:57]
	s_cbranch_scc0 .LBB372_984
; %bb.952:
	s_mov_b64 s[12:13], -1
	s_cmp_gt_i32 s21, 28
	s_mov_b64 s[0:1], s[56:57]
	s_cbranch_scc0 .LBB372_968
; %bb.953:
	s_cmp_gt_i32 s21, 43
	s_mov_b64 s[0:1], s[56:57]
	s_cbranch_scc0 .LBB372_964
; %bb.954:
	;; [unrolled: 4-line block ×3, first 2 shown]
	s_cmp_eq_u32 s21, 46
	s_mov_b64 s[0:1], -1
	s_cbranch_scc0 .LBB372_957
; %bb.956:
	v_cndmask_b32_e64 v0, 0, 1.0, s[8:9]
	v_bfe_u32 v3, v0, 16, 1
	s_movk_i32 s0, 0x7fff
	v_add3_u32 v0, v0, v3, s0
	v_lshrrev_b32_e32 v0, 16, v0
	global_store_dword v[1:2], v0, off
	s_mov_b64 s[0:1], 0
.LBB372_957:
	s_mov_b64 s[12:13], 0
.LBB372_958:
	s_and_b64 vcc, exec, s[12:13]
	s_cbranch_vccz .LBB372_963
; %bb.959:
	s_cmp_eq_u32 s21, 44
	s_mov_b64 s[0:1], -1
	s_cbranch_scc0 .LBB372_963
; %bb.960:
	v_cndmask_b32_e64 v3, 0, 1.0, s[8:9]
	v_lshrrev_b32_e32 v0, 23, v3
	s_movk_i32 s0, 0xff
	v_cmp_ne_u32_e32 vcc, s0, v0
	v_mov_b32_e32 v4, 0xff
	s_and_saveexec_b64 s[12:13], vcc
; %bb.961:
	s_mov_b32 s0, 0x3fffff
	v_and_b32_e32 v4, 0x400000, v3
	v_and_or_b32 v3, v3, s0, v0
	v_cmp_ne_u32_e32 vcc, 0, v4
	v_cmp_ne_u32_e64 s[0:1], 0, v3
	s_and_b64 s[0:1], vcc, s[0:1]
	v_cndmask_b32_e64 v3, 0, 1, s[0:1]
	v_add_u32_e32 v4, v0, v3
; %bb.962:
	s_or_b64 exec, exec, s[12:13]
	s_mov_b64 s[0:1], 0
	global_store_byte v[1:2], v4, off
.LBB372_963:
	s_mov_b64 s[12:13], 0
.LBB372_964:
	s_and_b64 vcc, exec, s[12:13]
	s_cbranch_vccz .LBB372_967
; %bb.965:
	s_cmp_eq_u32 s21, 29
	s_mov_b64 s[0:1], -1
	s_cbranch_scc0 .LBB372_967
; %bb.966:
	s_mov_b32 s0, 0
	v_cndmask_b32_e64 v3, 0, 1, s[8:9]
	v_mov_b32_e32 v4, s0
	global_store_dwordx2 v[1:2], v[3:4], off
	s_mov_b64 s[0:1], 0
.LBB372_967:
	s_mov_b64 s[12:13], 0
.LBB372_968:
	s_and_b64 vcc, exec, s[12:13]
	s_cbranch_vccz .LBB372_983
; %bb.969:
	s_cmp_lt_i32 s21, 27
	s_mov_b64 s[12:13], -1
	s_cbranch_scc1 .LBB372_975
; %bb.970:
	s_cmp_gt_i32 s21, 27
	s_cbranch_scc0 .LBB372_972
; %bb.971:
	v_cndmask_b32_e64 v0, 0, 1, s[8:9]
	s_mov_b64 s[12:13], 0
	global_store_dword v[1:2], v0, off
.LBB372_972:
	s_andn2_b64 vcc, exec, s[12:13]
	s_cbranch_vccnz .LBB372_974
; %bb.973:
	v_cndmask_b32_e64 v0, 0, 1, s[8:9]
	global_store_short v[1:2], v0, off
.LBB372_974:
	s_mov_b64 s[12:13], 0
.LBB372_975:
	s_andn2_b64 vcc, exec, s[12:13]
	s_cbranch_vccnz .LBB372_983
; %bb.976:
	v_cndmask_b32_e64 v3, 0, 1.0, s[8:9]
	s_mov_b32 s12, 0x43800000
	v_cmp_gt_u32_e32 vcc, s12, v3
	v_mov_b32_e32 v4, 0x80
	s_and_saveexec_b64 s[12:13], vcc
	s_cbranch_execz .LBB372_982
; %bb.977:
	s_mov_b32 s14, 0x3bffffff
	v_cmp_lt_u32_e32 vcc, s14, v3
	s_mov_b64 s[14:15], 0
                                        ; implicit-def: $vgpr0
	s_and_saveexec_b64 s[16:17], vcc
	s_xor_b64 s[16:17], exec, s[16:17]
	s_cbranch_execz .LBB372_1140
; %bb.978:
	v_bfe_u32 v0, v3, 20, 1
	s_mov_b32 s18, 0x487ffff
	v_add3_u32 v0, v3, v0, s18
	s_mov_b64 s[14:15], exec
	v_lshrrev_b32_e32 v0, 20, v0
                                        ; implicit-def: $vgpr3
	s_andn2_saveexec_b64 s[16:17], s[16:17]
	s_cbranch_execnz .LBB372_1141
.LBB372_979:
	s_or_b64 exec, exec, s[16:17]
	v_mov_b32_e32 v4, 0
	s_and_saveexec_b64 s[16:17], s[14:15]
.LBB372_980:
	v_mov_b32_e32 v4, v0
.LBB372_981:
	s_or_b64 exec, exec, s[16:17]
.LBB372_982:
	s_or_b64 exec, exec, s[12:13]
	global_store_byte v[1:2], v4, off
.LBB372_983:
	s_mov_b64 s[14:15], 0
.LBB372_984:
	s_mov_b64 s[12:13], 0
	s_and_b64 vcc, exec, s[14:15]
	s_cbranch_vccz .LBB372_1028
; %bb.985:
	s_cmp_gt_i32 s21, 22
	s_mov_b64 s[14:15], -1
	s_cbranch_scc0 .LBB372_1017
; %bb.986:
	s_cmp_lt_i32 s21, 24
	s_cbranch_scc1 .LBB372_1006
; %bb.987:
	s_cmp_gt_i32 s21, 24
	s_cbranch_scc0 .LBB372_995
; %bb.988:
	v_cndmask_b32_e64 v3, 0, 1.0, s[8:9]
	s_mov_b32 s14, 0x47800000
	v_cmp_gt_u32_e32 vcc, s14, v3
	v_mov_b32_e32 v4, 0x80
	s_and_saveexec_b64 s[14:15], vcc
	s_cbranch_execz .LBB372_994
; %bb.989:
	s_mov_b32 s16, 0x37ffffff
	v_cmp_lt_u32_e32 vcc, s16, v3
	s_mov_b64 s[16:17], 0
                                        ; implicit-def: $vgpr0
	s_and_saveexec_b64 s[18:19], vcc
	s_xor_b64 s[18:19], exec, s[18:19]
	s_cbranch_execz .LBB372_1260
; %bb.990:
	v_bfe_u32 v0, v3, 21, 1
	s_mov_b32 s22, 0x88fffff
	v_add3_u32 v0, v3, v0, s22
	s_mov_b64 s[16:17], exec
	v_lshrrev_b32_e32 v0, 21, v0
                                        ; implicit-def: $vgpr3
	s_andn2_saveexec_b64 s[18:19], s[18:19]
	s_cbranch_execnz .LBB372_1261
.LBB372_991:
	s_or_b64 exec, exec, s[18:19]
	v_mov_b32_e32 v4, 0
	s_and_saveexec_b64 s[18:19], s[16:17]
.LBB372_992:
	v_mov_b32_e32 v4, v0
.LBB372_993:
	s_or_b64 exec, exec, s[18:19]
.LBB372_994:
	s_or_b64 exec, exec, s[14:15]
	s_mov_b64 s[14:15], 0
	global_store_byte v[1:2], v4, off
.LBB372_995:
	s_and_b64 vcc, exec, s[14:15]
	s_cbranch_vccz .LBB372_1005
; %bb.996:
	v_cndmask_b32_e64 v0, 0, 1.0, s[8:9]
	s_mov_b32 s14, 0x43f00000
	v_cmp_gt_u32_e32 vcc, s14, v0
                                        ; implicit-def: $vgpr3
	s_and_saveexec_b64 s[14:15], vcc
	s_xor_b64 s[14:15], exec, s[14:15]
	s_cbranch_execz .LBB372_1002
; %bb.997:
	s_mov_b32 s16, 0x3c7fffff
	v_cmp_lt_u32_e32 vcc, s16, v0
                                        ; implicit-def: $vgpr3
	s_and_saveexec_b64 s[16:17], vcc
	s_xor_b64 s[16:17], exec, s[16:17]
; %bb.998:
	v_bfe_u32 v3, v0, 20, 1
	s_mov_b32 s18, 0x407ffff
	v_add3_u32 v0, v0, v3, s18
	v_lshrrev_b32_e32 v3, 20, v0
	v_and_b32_e32 v0, 0xff00000, v0
	s_mov_b32 s18, 0x7f00000
	v_mov_b32_e32 v4, 0x7e
	v_cmp_ne_u32_e32 vcc, s18, v0
	v_cndmask_b32_e32 v3, v4, v3, vcc
                                        ; implicit-def: $vgpr0
; %bb.999:
	s_andn2_saveexec_b64 s[16:17], s[16:17]
; %bb.1000:
	v_add_f32_e32 v3, 0x46800000, v0
; %bb.1001:
	s_or_b64 exec, exec, s[16:17]
                                        ; implicit-def: $vgpr0
.LBB372_1002:
	s_andn2_saveexec_b64 s[14:15], s[14:15]
; %bb.1003:
	s_mov_b32 s16, 0x7f800000
	v_mov_b32_e32 v3, 0x7e
	v_mov_b32_e32 v4, 0x7f
	v_cmp_lt_u32_e32 vcc, s16, v0
	v_cndmask_b32_e32 v3, v3, v4, vcc
; %bb.1004:
	s_or_b64 exec, exec, s[14:15]
	global_store_byte v[1:2], v3, off
.LBB372_1005:
	s_mov_b64 s[14:15], 0
.LBB372_1006:
	s_andn2_b64 vcc, exec, s[14:15]
	s_cbranch_vccnz .LBB372_1016
; %bb.1007:
	v_cndmask_b32_e64 v0, 0, 1.0, s[8:9]
	s_mov_b32 s14, 0x47800000
	v_cmp_gt_u32_e32 vcc, s14, v0
                                        ; implicit-def: $vgpr3
	s_and_saveexec_b64 s[14:15], vcc
	s_xor_b64 s[14:15], exec, s[14:15]
	s_cbranch_execz .LBB372_1013
; %bb.1008:
	s_mov_b32 s16, 0x387fffff
	v_cmp_lt_u32_e32 vcc, s16, v0
                                        ; implicit-def: $vgpr3
	s_and_saveexec_b64 s[16:17], vcc
	s_xor_b64 s[16:17], exec, s[16:17]
; %bb.1009:
	v_bfe_u32 v3, v0, 21, 1
	s_mov_b32 s18, 0x80fffff
	v_add3_u32 v0, v0, v3, s18
	v_lshrrev_b32_e32 v3, 21, v0
                                        ; implicit-def: $vgpr0
; %bb.1010:
	s_andn2_saveexec_b64 s[16:17], s[16:17]
; %bb.1011:
	v_add_f32_e32 v3, 0x43000000, v0
; %bb.1012:
	s_or_b64 exec, exec, s[16:17]
                                        ; implicit-def: $vgpr0
.LBB372_1013:
	s_andn2_saveexec_b64 s[14:15], s[14:15]
; %bb.1014:
	s_mov_b32 s16, 0x7f800000
	v_mov_b32_e32 v3, 0x7c
	v_mov_b32_e32 v4, 0x7f
	v_cmp_lt_u32_e32 vcc, s16, v0
	v_cndmask_b32_e32 v3, v3, v4, vcc
; %bb.1015:
	s_or_b64 exec, exec, s[14:15]
	global_store_byte v[1:2], v3, off
.LBB372_1016:
	s_mov_b64 s[14:15], 0
.LBB372_1017:
	s_andn2_b64 vcc, exec, s[14:15]
	s_mov_b64 s[14:15], 0
	s_cbranch_vccnz .LBB372_1029
; %bb.1018:
	s_cmp_gt_i32 s21, 14
	s_mov_b64 s[16:17], -1
	s_cbranch_scc0 .LBB372_1022
; %bb.1019:
	s_cmp_eq_u32 s21, 15
	s_mov_b64 s[0:1], -1
	s_cbranch_scc0 .LBB372_1021
; %bb.1020:
	v_cndmask_b32_e64 v0, 0, 1.0, s[8:9]
	v_bfe_u32 v3, v0, 16, 1
	s_movk_i32 s0, 0x7fff
	v_add3_u32 v0, v0, v3, s0
	global_store_short_d16_hi v[1:2], v0, off
	s_mov_b64 s[0:1], 0
.LBB372_1021:
	s_mov_b64 s[16:17], 0
.LBB372_1022:
	s_and_b64 vcc, exec, s[16:17]
	s_cbranch_vccz .LBB372_1029
; %bb.1023:
	s_cmp_lg_u32 s21, 11
	s_cselect_b64 s[16:17], -1, 0
	s_andn2_b64 s[0:1], s[0:1], exec
	s_and_b64 s[16:17], s[16:17], exec
	s_mov_b64 s[14:15], -1
	s_or_b64 s[0:1], s[0:1], s[16:17]
	s_branch .LBB372_1029
.LBB372_1024:
	s_or_b64 exec, exec, s[10:11]
	s_and_saveexec_b64 s[0:1], s[56:57]
	s_cbranch_execnz .LBB372_1030
.LBB372_1025:
	s_or_b64 exec, exec, s[0:1]
	s_and_saveexec_b64 s[0:1], s[14:15]
	s_xor_b64 s[0:1], exec, s[0:1]
	s_cbranch_execz .LBB372_1031
.LBB372_1026:
	v_cndmask_b32_e64 v0, 0, 1, s[8:9]
	global_store_byte v[1:2], v0, off
	s_or_b64 exec, exec, s[0:1]
	s_and_saveexec_b64 s[0:1], s[12:13]
	s_xor_b64 s[0:1], exec, s[0:1]
	s_cbranch_execz .LBB372_1069
	s_branch .LBB372_1032
.LBB372_1027:
	s_mov_b64 s[12:13], -1
	s_mov_b64 s[0:1], s[56:57]
	s_branch .LBB372_1029
.LBB372_1028:
	s_mov_b64 s[14:15], 0
.LBB372_1029:
	s_andn2_b64 s[16:17], s[56:57], exec
	s_and_b64 s[0:1], s[0:1], exec
	s_and_b64 s[12:13], s[12:13], exec
	;; [unrolled: 1-line block ×3, first 2 shown]
	s_or_b64 s[56:57], s[16:17], s[0:1]
	s_or_b64 exec, exec, s[10:11]
	s_and_saveexec_b64 s[0:1], s[56:57]
	s_cbranch_execz .LBB372_1025
.LBB372_1030:
	s_or_b64 s[2:3], s[2:3], exec
	s_andn2_b64 s[14:15], s[14:15], exec
	s_trap 2
	s_or_b64 exec, exec, s[0:1]
	s_and_saveexec_b64 s[0:1], s[14:15]
	s_xor_b64 s[0:1], exec, s[0:1]
	s_cbranch_execnz .LBB372_1026
.LBB372_1031:
	s_or_b64 exec, exec, s[0:1]
	s_and_saveexec_b64 s[0:1], s[12:13]
	s_xor_b64 s[0:1], exec, s[0:1]
	s_cbranch_execz .LBB372_1069
.LBB372_1032:
	s_sext_i32_i16 s12, s20
	s_cmp_lt_i32 s12, 5
	s_mov_b64 s[10:11], -1
	s_cbranch_scc1 .LBB372_1053
; %bb.1033:
	s_cmp_lt_i32 s12, 8
	s_cbranch_scc1 .LBB372_1043
; %bb.1034:
	s_cmp_lt_i32 s12, 9
	s_cbranch_scc1 .LBB372_1040
; %bb.1035:
	s_cmp_gt_i32 s12, 9
	s_cbranch_scc0 .LBB372_1037
; %bb.1036:
	v_cndmask_b32_e64 v0, 0, 1, s[8:9]
	s_waitcnt vmcnt(0)
	v_cvt_f64_u32_e32 v[3:4], v0
	v_mov_b32_e32 v5, 0
	v_mov_b32_e32 v6, v5
	s_mov_b64 s[10:11], 0
	global_store_dwordx4 v[1:2], v[3:6], off
.LBB372_1037:
	s_andn2_b64 vcc, exec, s[10:11]
	s_cbranch_vccnz .LBB372_1039
; %bb.1038:
	s_waitcnt vmcnt(0)
	v_cndmask_b32_e64 v3, 0, 1.0, s[8:9]
	v_mov_b32_e32 v4, 0
	global_store_dwordx2 v[1:2], v[3:4], off
.LBB372_1039:
	s_mov_b64 s[10:11], 0
.LBB372_1040:
	s_andn2_b64 vcc, exec, s[10:11]
	s_cbranch_vccnz .LBB372_1042
; %bb.1041:
	v_cndmask_b32_e64 v0, 0, 1.0, s[8:9]
	v_cvt_f16_f32_e32 v0, v0
	global_store_dword v[1:2], v0, off
.LBB372_1042:
	s_mov_b64 s[10:11], 0
.LBB372_1043:
	s_andn2_b64 vcc, exec, s[10:11]
	s_cbranch_vccnz .LBB372_1052
; %bb.1044:
	s_sext_i32_i16 s12, s20
	s_cmp_lt_i32 s12, 6
	s_mov_b64 s[10:11], -1
	s_cbranch_scc1 .LBB372_1050
; %bb.1045:
	s_cmp_gt_i32 s12, 6
	s_cbranch_scc0 .LBB372_1047
; %bb.1046:
	v_cndmask_b32_e64 v0, 0, 1, s[8:9]
	s_waitcnt vmcnt(0)
	v_cvt_f64_u32_e32 v[3:4], v0
	s_mov_b64 s[10:11], 0
	global_store_dwordx2 v[1:2], v[3:4], off
.LBB372_1047:
	s_andn2_b64 vcc, exec, s[10:11]
	s_cbranch_vccnz .LBB372_1049
; %bb.1048:
	v_cndmask_b32_e64 v0, 0, 1.0, s[8:9]
	global_store_dword v[1:2], v0, off
.LBB372_1049:
	s_mov_b64 s[10:11], 0
.LBB372_1050:
	s_andn2_b64 vcc, exec, s[10:11]
	s_cbranch_vccnz .LBB372_1052
; %bb.1051:
	v_cndmask_b32_e64 v0, 0, 1.0, s[8:9]
	v_cvt_f16_f32_e32 v0, v0
	global_store_short v[1:2], v0, off
.LBB372_1052:
	s_mov_b64 s[10:11], 0
.LBB372_1053:
	s_andn2_b64 vcc, exec, s[10:11]
	s_cbranch_vccnz .LBB372_1069
; %bb.1054:
	s_sext_i32_i16 s12, s20
	s_cmp_lt_i32 s12, 2
	s_mov_b64 s[10:11], -1
	s_cbranch_scc1 .LBB372_1064
; %bb.1055:
	s_cmp_lt_i32 s12, 3
	s_cbranch_scc1 .LBB372_1061
; %bb.1056:
	s_cmp_gt_i32 s12, 3
	s_cbranch_scc0 .LBB372_1058
; %bb.1057:
	s_mov_b32 s10, 0
	s_waitcnt vmcnt(0)
	v_cndmask_b32_e64 v3, 0, 1, s[8:9]
	v_mov_b32_e32 v4, s10
	s_mov_b64 s[10:11], 0
	global_store_dwordx2 v[1:2], v[3:4], off
.LBB372_1058:
	s_andn2_b64 vcc, exec, s[10:11]
	s_cbranch_vccnz .LBB372_1060
; %bb.1059:
	v_cndmask_b32_e64 v0, 0, 1, s[8:9]
	global_store_dword v[1:2], v0, off
.LBB372_1060:
	s_mov_b64 s[10:11], 0
.LBB372_1061:
	s_andn2_b64 vcc, exec, s[10:11]
	s_cbranch_vccnz .LBB372_1063
; %bb.1062:
	v_cndmask_b32_e64 v0, 0, 1, s[8:9]
	global_store_short v[1:2], v0, off
.LBB372_1063:
	s_mov_b64 s[10:11], 0
.LBB372_1064:
	s_andn2_b64 vcc, exec, s[10:11]
	s_cbranch_vccnz .LBB372_1069
; %bb.1065:
	s_sext_i32_i16 s10, s20
	s_cmp_gt_i32 s10, 0
	s_mov_b64 s[10:11], -1
	s_cbranch_scc0 .LBB372_1067
; %bb.1066:
	v_cndmask_b32_e64 v0, 0, 1, s[8:9]
	s_mov_b64 s[10:11], 0
	global_store_byte v[1:2], v0, off
.LBB372_1067:
	s_andn2_b64 vcc, exec, s[10:11]
	s_cbranch_vccnz .LBB372_1069
; %bb.1068:
	v_cndmask_b32_e64 v0, 0, 1, s[8:9]
	global_store_byte v[1:2], v0, off
.LBB372_1069:
	s_or_b64 exec, exec, s[0:1]
	s_and_b64 s[28:29], s[2:3], exec
                                        ; implicit-def: $vgpr15
                                        ; implicit-def: $vgpr11
.LBB372_1070:
	s_or_saveexec_b64 s[30:31], s[42:43]
	s_mov_b64 s[0:1], 0
                                        ; implicit-def: $sgpr10_sgpr11
                                        ; implicit-def: $vgpr0_vgpr1
                                        ; implicit-def: $sgpr20
	s_xor_b64 exec, exec, s[30:31]
	s_cbranch_execz .LBB372_2057
; %bb.1071:
	v_cndmask_b32_e64 v0, 0, 1, s[40:41]
	v_cmp_ne_u32_e64 s[0:1], 1, v0
	s_andn2_b64 vcc, exec, s[40:41]
	s_cbranch_vccnz .LBB372_1077
; %bb.1072:
	s_cmp_lg_u32 s33, 0
	s_mov_b32 s36, 0
	s_cbranch_scc0 .LBB372_1078
; %bb.1073:
	s_min_u32 s37, s76, 15
	s_add_i32 s37, s37, 1
	s_cmp_eq_u32 s76, 2
	s_cbranch_scc1 .LBB372_1079
; %bb.1074:
	s_and_b32 s36, s37, 28
	s_add_u32 s2, s34, 0xc4
	s_addc_u32 s3, s35, 0
	v_mov_b32_e32 v8, 0
	s_mov_b32 s38, 0
	s_mov_b64 s[6:7], s[34:35]
	v_mov_b32_e32 v6, 0
	v_mov_b32_e32 v0, v11
.LBB372_1075:                           ; =>This Inner Loop Header: Depth=1
	s_load_dwordx8 s[16:23], s[6:7], 0x4
	s_load_dwordx4 s[24:27], s[6:7], 0x24
	s_load_dwordx8 s[8:15], s[2:3], 0x0
	s_add_u32 s6, s6, 48
	s_addc_u32 s7, s7, 0
	s_waitcnt lgkmcnt(0)
	v_mul_hi_u32 v1, s17, v0
	s_add_i32 s38, s38, 4
	s_add_u32 s2, s2, 32
	s_addc_u32 s3, s3, 0
	v_add_u32_e32 v1, v0, v1
	v_lshrrev_b32_e32 v1, s18, v1
	v_mul_lo_u32 v2, v1, s16
	s_waitcnt vmcnt(0)
	v_mul_hi_u32 v3, s20, v1
	s_cmp_lg_u32 s36, s38
	v_sub_u32_e32 v0, v0, v2
	v_add_u32_e32 v2, v1, v3
	v_mul_lo_u32 v3, v0, s8
	v_mul_lo_u32 v4, v0, s9
	v_lshrrev_b32_e32 v0, s21, v2
	v_mul_lo_u32 v2, v0, s19
	v_mul_hi_u32 v5, s23, v0
	v_sub_u32_e32 v1, v1, v2
	v_add_u32_e32 v2, v0, v5
	v_lshrrev_b32_e32 v2, s24, v2
	v_mul_hi_u32 v7, s26, v2
	v_mul_lo_u32 v9, v2, s22
	v_mul_lo_u32 v5, v1, s10
	v_mul_lo_u32 v1, v1, s11
	v_sub_u32_e32 v9, v0, v9
	v_add_u32_e32 v0, v2, v7
	v_lshrrev_b32_e32 v0, s27, v0
	v_mul_lo_u32 v7, v0, s25
	v_mul_lo_u32 v10, v9, s12
	v_mul_lo_u32 v9, v9, s13
	v_add3_u32 v3, v3, v6, v5
	v_sub_u32_e32 v2, v2, v7
	v_mul_lo_u32 v7, v2, s14
	v_mul_lo_u32 v2, v2, s15
	v_add3_u32 v1, v4, v8, v1
	v_add3_u32 v6, v10, v3, v7
	;; [unrolled: 1-line block ×3, first 2 shown]
	s_cbranch_scc1 .LBB372_1075
; %bb.1076:
	s_and_b32 s8, s37, 3
	s_cmp_eq_u32 s8, 0
	s_cbranch_scc0 .LBB372_1080
	s_branch .LBB372_1082
.LBB372_1077:
                                        ; implicit-def: $vgpr6
                                        ; implicit-def: $vgpr8
	s_branch .LBB372_1083
.LBB372_1078:
	v_mov_b32_e32 v6, 0
	v_mov_b32_e32 v8, 0
	s_branch .LBB372_1082
.LBB372_1079:
	v_mov_b32_e32 v6, 0
	v_mov_b32_e32 v8, 0
	;; [unrolled: 1-line block ×3, first 2 shown]
	s_and_b32 s8, s37, 3
	s_cmp_eq_u32 s8, 0
	s_cbranch_scc1 .LBB372_1082
.LBB372_1080:
	s_lshl_b32 s2, s36, 3
	s_add_u32 s2, s34, s2
	s_addc_u32 s3, s35, 0
	s_add_u32 s2, s2, 0xc4
	s_addc_u32 s3, s3, 0
	s_mul_i32 s6, s36, 12
	s_add_u32 s6, s34, s6
	s_addc_u32 s7, s35, 0
.LBB372_1081:                           ; =>This Inner Loop Header: Depth=1
	s_load_dwordx2 s[10:11], s[6:7], 0x4
	s_load_dword s9, s[6:7], 0xc
	s_load_dwordx2 s[12:13], s[2:3], 0x0
	s_add_u32 s6, s6, 12
	s_addc_u32 s7, s7, 0
	s_waitcnt lgkmcnt(0)
	v_mul_hi_u32 v1, s11, v0
	s_add_u32 s2, s2, 8
	s_addc_u32 s3, s3, 0
	s_add_i32 s8, s8, -1
	v_add_u32_e32 v1, v0, v1
	v_lshrrev_b32_e32 v1, s9, v1
	v_mul_lo_u32 v2, v1, s10
	s_cmp_lg_u32 s8, 0
	v_sub_u32_e32 v0, v0, v2
	v_mad_u64_u32 v[6:7], s[10:11], v0, s12, v[6:7]
	v_mad_u64_u32 v[8:9], s[10:11], v0, s13, v[8:9]
	v_mov_b32_e32 v0, v1
	s_cbranch_scc1 .LBB372_1081
.LBB372_1082:
	s_cbranch_execnz .LBB372_1085
.LBB372_1083:
	s_load_dwordx4 s[8:11], s[34:35], 0x4
	s_load_dwordx2 s[2:3], s[34:35], 0xc4
	s_cmp_lt_u32 s33, 2
	s_waitcnt lgkmcnt(0)
	v_mul_hi_u32 v0, s9, v11
	v_add_u32_e32 v0, v11, v0
	v_lshrrev_b32_e32 v0, s10, v0
	v_mul_lo_u32 v1, v0, s8
	v_sub_u32_e32 v1, v11, v1
	v_mul_lo_u32 v6, v1, s2
	v_mul_lo_u32 v8, v1, s3
	s_cbranch_scc1 .LBB372_1085
; %bb.1084:
	s_load_dwordx4 s[8:11], s[34:35], 0x10
	s_load_dwordx2 s[2:3], s[34:35], 0xcc
	s_waitcnt lgkmcnt(0)
	v_mul_hi_u32 v1, s9, v0
	v_add_u32_e32 v1, v0, v1
	v_lshrrev_b32_e32 v1, s10, v1
	v_mul_lo_u32 v1, v1, s8
	v_sub_u32_e32 v0, v0, v1
	v_mad_u64_u32 v[6:7], s[6:7], v0, s2, v[6:7]
	v_mad_u64_u32 v[8:9], s[2:3], v0, s3, v[8:9]
.LBB372_1085:
	s_and_b64 vcc, exec, s[0:1]
	v_add_u32_e32 v0, 0x80, v11
	s_cbranch_vccnz .LBB372_1091
; %bb.1086:
	s_cmp_lg_u32 s33, 0
	s_mov_b32 s36, 0
	s_cbranch_scc0 .LBB372_1092
; %bb.1087:
	s_min_u32 s37, s76, 15
	s_add_i32 s37, s37, 1
	s_cmp_eq_u32 s76, 2
	s_cbranch_scc1 .LBB372_1093
; %bb.1088:
	s_and_b32 s36, s37, 28
	s_add_u32 s2, s34, 0xc4
	s_addc_u32 s3, s35, 0
	v_mov_b32_e32 v9, 0
	s_mov_b32 s38, 0
	s_mov_b64 s[6:7], s[34:35]
	s_waitcnt vmcnt(0)
	v_mov_b32_e32 v4, 0
	v_mov_b32_e32 v1, v0
.LBB372_1089:                           ; =>This Inner Loop Header: Depth=1
	s_load_dwordx8 s[16:23], s[6:7], 0x4
	s_load_dwordx4 s[24:27], s[6:7], 0x24
	s_load_dwordx8 s[8:15], s[2:3], 0x0
	s_add_u32 s6, s6, 48
	s_addc_u32 s7, s7, 0
	s_waitcnt lgkmcnt(0)
	v_mul_hi_u32 v2, s17, v1
	s_add_i32 s38, s38, 4
	s_add_u32 s2, s2, 32
	s_addc_u32 s3, s3, 0
	v_add_u32_e32 v2, v1, v2
	v_lshrrev_b32_e32 v2, s18, v2
	v_mul_lo_u32 v3, v2, s16
	v_mul_hi_u32 v5, s20, v2
	s_cmp_lg_u32 s36, s38
	v_sub_u32_e32 v1, v1, v3
	v_add_u32_e32 v3, v2, v5
	v_mul_lo_u32 v5, v1, s8
	v_mul_lo_u32 v7, v1, s9
	v_lshrrev_b32_e32 v1, s21, v3
	v_mul_lo_u32 v3, v1, s19
	v_mul_hi_u32 v10, s23, v1
	v_sub_u32_e32 v2, v2, v3
	v_add_u32_e32 v3, v1, v10
	v_lshrrev_b32_e32 v3, s24, v3
	v_mul_hi_u32 v12, s26, v3
	v_mul_lo_u32 v13, v3, s22
	v_mul_lo_u32 v10, v2, s10
	;; [unrolled: 1-line block ×3, first 2 shown]
	v_sub_u32_e32 v13, v1, v13
	v_add_u32_e32 v1, v3, v12
	v_lshrrev_b32_e32 v1, s27, v1
	v_mul_lo_u32 v12, v1, s25
	v_mul_lo_u32 v14, v13, s12
	v_mul_lo_u32 v13, v13, s13
	v_add3_u32 v4, v5, v4, v10
	v_sub_u32_e32 v3, v3, v12
	v_mul_lo_u32 v12, v3, s14
	v_mul_lo_u32 v3, v3, s15
	v_add3_u32 v2, v7, v9, v2
	v_add3_u32 v4, v14, v4, v12
	v_add3_u32 v9, v13, v2, v3
	s_cbranch_scc1 .LBB372_1089
; %bb.1090:
	s_and_b32 s8, s37, 3
	s_cmp_eq_u32 s8, 0
	s_cbranch_scc0 .LBB372_1094
	s_branch .LBB372_1096
.LBB372_1091:
                                        ; implicit-def: $vgpr4
                                        ; implicit-def: $vgpr9
	s_branch .LBB372_1097
.LBB372_1092:
	s_waitcnt vmcnt(0)
	v_mov_b32_e32 v4, 0
	v_mov_b32_e32 v9, 0
	s_branch .LBB372_1096
.LBB372_1093:
	s_waitcnt vmcnt(0)
	v_mov_b32_e32 v4, 0
	v_mov_b32_e32 v9, 0
	;; [unrolled: 1-line block ×3, first 2 shown]
	s_and_b32 s8, s37, 3
	s_cmp_eq_u32 s8, 0
	s_cbranch_scc1 .LBB372_1096
.LBB372_1094:
	s_lshl_b32 s2, s36, 3
	s_add_u32 s2, s34, s2
	s_addc_u32 s3, s35, 0
	s_add_u32 s2, s2, 0xc4
	s_addc_u32 s3, s3, 0
	s_mul_i32 s6, s36, 12
	s_add_u32 s6, s34, s6
	s_addc_u32 s7, s35, 0
.LBB372_1095:                           ; =>This Inner Loop Header: Depth=1
	s_load_dwordx2 s[10:11], s[6:7], 0x4
	s_load_dword s9, s[6:7], 0xc
	s_load_dwordx2 s[12:13], s[2:3], 0x0
	s_add_u32 s6, s6, 12
	s_addc_u32 s7, s7, 0
	s_waitcnt lgkmcnt(0)
	v_mul_hi_u32 v2, s11, v1
	s_add_u32 s2, s2, 8
	s_addc_u32 s3, s3, 0
	s_add_i32 s8, s8, -1
	v_add_u32_e32 v2, v1, v2
	v_lshrrev_b32_e32 v2, s9, v2
	v_mul_lo_u32 v3, v2, s10
	s_cmp_lg_u32 s8, 0
	v_sub_u32_e32 v1, v1, v3
	v_mad_u64_u32 v[4:5], s[10:11], v1, s12, v[4:5]
	v_mad_u64_u32 v[9:10], s[10:11], v1, s13, v[9:10]
	v_mov_b32_e32 v1, v2
	s_cbranch_scc1 .LBB372_1095
.LBB372_1096:
	s_cbranch_execnz .LBB372_1099
.LBB372_1097:
	s_load_dwordx4 s[8:11], s[34:35], 0x4
	s_load_dwordx2 s[2:3], s[34:35], 0xc4
	s_cmp_lt_u32 s33, 2
	s_waitcnt lgkmcnt(0)
	v_mul_hi_u32 v1, s9, v0
	v_add_u32_e32 v1, v0, v1
	v_lshrrev_b32_e32 v1, s10, v1
	v_mul_lo_u32 v2, v1, s8
	v_sub_u32_e32 v0, v0, v2
	s_waitcnt vmcnt(0)
	v_mul_lo_u32 v4, v0, s2
	v_mul_lo_u32 v9, v0, s3
	s_cbranch_scc1 .LBB372_1099
; %bb.1098:
	s_load_dwordx4 s[8:11], s[34:35], 0x10
	s_load_dwordx2 s[2:3], s[34:35], 0xcc
	s_waitcnt lgkmcnt(0)
	v_mul_hi_u32 v0, s9, v1
	v_add_u32_e32 v0, v1, v0
	v_lshrrev_b32_e32 v0, s10, v0
	v_mul_lo_u32 v0, v0, s8
	v_sub_u32_e32 v0, v1, v0
	v_mad_u64_u32 v[4:5], s[6:7], v0, s2, v[4:5]
	v_mad_u64_u32 v[9:10], s[2:3], v0, s3, v[9:10]
.LBB372_1099:
	s_and_b64 vcc, exec, s[0:1]
	v_add_u32_e32 v0, 0x100, v11
	s_cbranch_vccnz .LBB372_1105
; %bb.1100:
	s_cmp_lg_u32 s33, 0
	s_mov_b32 s36, 0
	s_cbranch_scc0 .LBB372_1106
; %bb.1101:
	s_min_u32 s37, s76, 15
	s_add_i32 s37, s37, 1
	s_cmp_eq_u32 s76, 2
	s_cbranch_scc1 .LBB372_1107
; %bb.1102:
	s_and_b32 s36, s37, 28
	s_add_u32 s2, s34, 0xc4
	s_addc_u32 s3, s35, 0
	v_mov_b32_e32 v11, 0
	s_mov_b32 s38, 0
	s_mov_b64 s[6:7], s[34:35]
	v_mov_b32_e32 v2, 0
	v_mov_b32_e32 v1, v0
.LBB372_1103:                           ; =>This Inner Loop Header: Depth=1
	s_load_dwordx8 s[16:23], s[6:7], 0x4
	s_load_dwordx4 s[24:27], s[6:7], 0x24
	s_load_dwordx8 s[8:15], s[2:3], 0x0
	s_add_u32 s6, s6, 48
	s_addc_u32 s7, s7, 0
	s_waitcnt vmcnt(0) lgkmcnt(0)
	v_mul_hi_u32 v3, s17, v1
	s_add_i32 s38, s38, 4
	s_add_u32 s2, s2, 32
	s_addc_u32 s3, s3, 0
	v_add_u32_e32 v3, v1, v3
	v_lshrrev_b32_e32 v3, s18, v3
	v_mul_lo_u32 v5, v3, s16
	v_mul_hi_u32 v7, s20, v3
	s_cmp_lg_u32 s36, s38
	v_sub_u32_e32 v1, v1, v5
	v_add_u32_e32 v5, v3, v7
	v_mul_lo_u32 v7, v1, s8
	v_mul_lo_u32 v10, v1, s9
	v_lshrrev_b32_e32 v1, s21, v5
	v_mul_lo_u32 v5, v1, s19
	v_mul_hi_u32 v12, s23, v1
	v_sub_u32_e32 v3, v3, v5
	v_add_u32_e32 v5, v1, v12
	v_lshrrev_b32_e32 v5, s24, v5
	v_mul_hi_u32 v13, s26, v5
	v_mul_lo_u32 v14, v5, s22
	v_mul_lo_u32 v12, v3, s10
	v_mul_lo_u32 v3, v3, s11
	v_sub_u32_e32 v14, v1, v14
	v_add_u32_e32 v1, v5, v13
	v_lshrrev_b32_e32 v1, s27, v1
	v_mul_lo_u32 v13, v1, s25
	v_mul_lo_u32 v16, v14, s12
	;; [unrolled: 1-line block ×3, first 2 shown]
	v_add3_u32 v2, v7, v2, v12
	v_sub_u32_e32 v5, v5, v13
	v_mul_lo_u32 v13, v5, s14
	v_mul_lo_u32 v5, v5, s15
	v_add3_u32 v3, v10, v11, v3
	v_add3_u32 v2, v16, v2, v13
	;; [unrolled: 1-line block ×3, first 2 shown]
	s_cbranch_scc1 .LBB372_1103
; %bb.1104:
	s_and_b32 s8, s37, 3
	s_cmp_eq_u32 s8, 0
	s_cbranch_scc0 .LBB372_1108
	s_branch .LBB372_1110
.LBB372_1105:
                                        ; implicit-def: $vgpr2
                                        ; implicit-def: $vgpr11
	s_branch .LBB372_1111
.LBB372_1106:
	v_mov_b32_e32 v2, 0
	v_mov_b32_e32 v11, 0
	s_branch .LBB372_1110
.LBB372_1107:
	v_mov_b32_e32 v2, 0
	v_mov_b32_e32 v11, 0
	;; [unrolled: 1-line block ×3, first 2 shown]
	s_and_b32 s8, s37, 3
	s_cmp_eq_u32 s8, 0
	s_cbranch_scc1 .LBB372_1110
.LBB372_1108:
	s_lshl_b32 s2, s36, 3
	s_add_u32 s2, s34, s2
	s_addc_u32 s3, s35, 0
	s_add_u32 s2, s2, 0xc4
	s_addc_u32 s3, s3, 0
	s_mul_i32 s6, s36, 12
	s_add_u32 s6, s34, s6
	s_addc_u32 s7, s35, 0
.LBB372_1109:                           ; =>This Inner Loop Header: Depth=1
	s_load_dwordx2 s[10:11], s[6:7], 0x4
	s_load_dword s9, s[6:7], 0xc
	s_load_dwordx2 s[12:13], s[2:3], 0x0
	s_add_u32 s6, s6, 12
	s_addc_u32 s7, s7, 0
	s_waitcnt vmcnt(0) lgkmcnt(0)
	v_mul_hi_u32 v3, s11, v1
	s_add_u32 s2, s2, 8
	s_addc_u32 s3, s3, 0
	s_add_i32 s8, s8, -1
	v_add_u32_e32 v3, v1, v3
	v_lshrrev_b32_e32 v5, s9, v3
	v_mul_lo_u32 v3, v5, s10
	s_cmp_lg_u32 s8, 0
	v_sub_u32_e32 v1, v1, v3
	v_mad_u64_u32 v[2:3], s[10:11], v1, s12, v[2:3]
	v_mad_u64_u32 v[11:12], s[10:11], v1, s13, v[11:12]
	v_mov_b32_e32 v1, v5
	s_cbranch_scc1 .LBB372_1109
.LBB372_1110:
	s_cbranch_execnz .LBB372_1113
.LBB372_1111:
	s_load_dwordx4 s[8:11], s[34:35], 0x4
	s_load_dwordx2 s[2:3], s[34:35], 0xc4
	s_cmp_lt_u32 s33, 2
	s_waitcnt lgkmcnt(0)
	v_mul_hi_u32 v1, s9, v0
	v_add_u32_e32 v1, v0, v1
	v_lshrrev_b32_e32 v1, s10, v1
	v_mul_lo_u32 v2, v1, s8
	v_sub_u32_e32 v0, v0, v2
	v_mul_lo_u32 v2, v0, s2
	v_mul_lo_u32 v11, v0, s3
	s_cbranch_scc1 .LBB372_1113
; %bb.1112:
	s_load_dwordx4 s[8:11], s[34:35], 0x10
	s_load_dwordx2 s[2:3], s[34:35], 0xcc
	s_waitcnt lgkmcnt(0)
	v_mul_hi_u32 v0, s9, v1
	v_add_u32_e32 v0, v1, v0
	v_lshrrev_b32_e32 v0, s10, v0
	v_mul_lo_u32 v0, v0, s8
	v_sub_u32_e32 v0, v1, v0
	s_waitcnt vmcnt(0)
	v_mad_u64_u32 v[2:3], s[6:7], v0, s2, v[2:3]
	v_mad_u64_u32 v[11:12], s[2:3], v0, s3, v[11:12]
.LBB372_1113:
	s_and_b64 vcc, exec, s[0:1]
	s_cbranch_vccnz .LBB372_1119
; %bb.1114:
	s_cmp_lg_u32 s33, 0
	s_mov_b32 s26, 0
	s_cbranch_scc0 .LBB372_1120
; %bb.1115:
	s_min_u32 s27, s76, 15
	s_add_i32 s27, s27, 1
	s_cmp_eq_u32 s76, 2
	s_cbranch_scc1 .LBB372_1121
; %bb.1116:
	s_and_b32 s26, s27, 28
	s_add_u32 s6, s34, 0xc4
	s_addc_u32 s7, s35, 0
	v_mov_b32_e32 v13, 0
	s_mov_b32 s36, 0
	s_mov_b64 s[24:25], s[34:35]
	v_mov_b32_e32 v0, 0
	v_mov_b32_e32 v1, v15
.LBB372_1117:                           ; =>This Inner Loop Header: Depth=1
	s_load_dwordx8 s[16:23], s[24:25], 0x4
	s_load_dwordx4 s[0:3], s[24:25], 0x24
	s_load_dwordx8 s[8:15], s[6:7], 0x0
	s_add_u32 s24, s24, 48
	s_addc_u32 s25, s25, 0
	s_waitcnt vmcnt(0) lgkmcnt(0)
	v_mul_hi_u32 v3, s17, v1
	s_add_i32 s36, s36, 4
	s_add_u32 s6, s6, 32
	s_addc_u32 s7, s7, 0
	v_add_u32_e32 v3, v1, v3
	v_lshrrev_b32_e32 v3, s18, v3
	v_mul_lo_u32 v5, v3, s16
	v_mul_hi_u32 v7, s20, v3
	s_cmp_lg_u32 s26, s36
	v_sub_u32_e32 v1, v1, v5
	v_add_u32_e32 v5, v3, v7
	v_mul_lo_u32 v7, v1, s8
	v_mul_lo_u32 v10, v1, s9
	v_lshrrev_b32_e32 v1, s21, v5
	v_mul_lo_u32 v5, v1, s19
	v_mul_hi_u32 v12, s23, v1
	v_sub_u32_e32 v3, v3, v5
	v_add_u32_e32 v5, v1, v12
	v_lshrrev_b32_e32 v5, s0, v5
	v_mul_hi_u32 v14, s2, v5
	v_mul_lo_u32 v16, v5, s22
	v_mul_lo_u32 v12, v3, s10
	;; [unrolled: 1-line block ×3, first 2 shown]
	v_sub_u32_e32 v16, v1, v16
	v_add_u32_e32 v1, v5, v14
	v_lshrrev_b32_e32 v1, s3, v1
	v_mul_lo_u32 v14, v1, s1
	v_mul_lo_u32 v17, v16, s12
	;; [unrolled: 1-line block ×3, first 2 shown]
	v_add3_u32 v0, v7, v0, v12
	v_sub_u32_e32 v5, v5, v14
	v_mul_lo_u32 v14, v5, s14
	v_mul_lo_u32 v5, v5, s15
	v_add3_u32 v3, v10, v13, v3
	v_add3_u32 v0, v17, v0, v14
	;; [unrolled: 1-line block ×3, first 2 shown]
	s_cbranch_scc1 .LBB372_1117
; %bb.1118:
	s_and_b32 s6, s27, 3
	s_cmp_eq_u32 s6, 0
	s_cbranch_scc0 .LBB372_1122
	s_branch .LBB372_1124
.LBB372_1119:
                                        ; implicit-def: $vgpr0
                                        ; implicit-def: $vgpr13
	s_branch .LBB372_1125
.LBB372_1120:
	v_mov_b32_e32 v0, 0
	v_mov_b32_e32 v13, 0
	s_branch .LBB372_1124
.LBB372_1121:
	v_mov_b32_e32 v0, 0
	v_mov_b32_e32 v13, 0
	;; [unrolled: 1-line block ×3, first 2 shown]
	s_and_b32 s6, s27, 3
	s_cmp_eq_u32 s6, 0
	s_cbranch_scc1 .LBB372_1124
.LBB372_1122:
	s_lshl_b32 s0, s26, 3
	s_add_u32 s0, s34, s0
	s_addc_u32 s1, s35, 0
	s_add_u32 s0, s0, 0xc4
	s_addc_u32 s1, s1, 0
	s_mul_i32 s2, s26, 12
	s_add_u32 s2, s34, s2
	s_addc_u32 s3, s35, 0
.LBB372_1123:                           ; =>This Inner Loop Header: Depth=1
	s_load_dwordx2 s[8:9], s[2:3], 0x4
	s_load_dword s7, s[2:3], 0xc
	s_load_dwordx2 s[10:11], s[0:1], 0x0
	s_add_u32 s2, s2, 12
	s_addc_u32 s3, s3, 0
	s_waitcnt vmcnt(0) lgkmcnt(0)
	v_mul_hi_u32 v3, s9, v1
	s_add_u32 s0, s0, 8
	s_addc_u32 s1, s1, 0
	s_add_i32 s6, s6, -1
	v_add_u32_e32 v3, v1, v3
	v_lshrrev_b32_e32 v3, s7, v3
	v_mul_lo_u32 v5, v3, s8
	s_cmp_lg_u32 s6, 0
	v_sub_u32_e32 v5, v1, v5
	v_mad_u64_u32 v[0:1], s[8:9], v5, s10, v[0:1]
	v_mad_u64_u32 v[13:14], s[8:9], v5, s11, v[13:14]
	v_mov_b32_e32 v1, v3
	s_cbranch_scc1 .LBB372_1123
.LBB372_1124:
	s_cbranch_execnz .LBB372_1127
.LBB372_1125:
	s_load_dwordx4 s[0:3], s[34:35], 0x4
	s_load_dwordx2 s[6:7], s[34:35], 0xc4
	s_cmp_lt_u32 s33, 2
	s_waitcnt lgkmcnt(0)
	v_mul_hi_u32 v0, s1, v15
	v_add_u32_e32 v0, v15, v0
	v_lshrrev_b32_e32 v1, s2, v0
	v_mul_lo_u32 v0, v1, s0
	s_waitcnt vmcnt(0)
	v_sub_u32_e32 v3, v15, v0
	v_mul_lo_u32 v0, v3, s6
	v_mul_lo_u32 v13, v3, s7
	s_cbranch_scc1 .LBB372_1127
; %bb.1126:
	s_load_dwordx4 s[0:3], s[34:35], 0x10
	s_load_dwordx2 s[6:7], s[34:35], 0xcc
	s_waitcnt lgkmcnt(0)
	v_mul_hi_u32 v3, s1, v1
	v_add_u32_e32 v3, v1, v3
	v_lshrrev_b32_e32 v3, s2, v3
	v_mul_lo_u32 v3, v3, s0
	v_sub_u32_e32 v3, v1, v3
	v_mad_u64_u32 v[0:1], s[0:1], v3, s6, v[0:1]
	v_mad_u64_u32 v[13:14], s[0:1], v3, s7, v[13:14]
.LBB372_1127:
	s_load_dwordx4 s[8:11], s[34:35], 0x148
	s_load_dword s12, s[4:5], 0x170
	s_waitcnt lgkmcnt(0)
	v_mov_b32_e32 v1, s11
	s_bfe_u32 s13, s12, 0x80008
	v_add_co_u32_e32 v14, vcc, s10, v8
	s_cmp_lt_i32 s13, 11
	v_addc_co_u32_e32 v15, vcc, 0, v1, vcc
	s_cbranch_scc1 .LBB372_1134
; %bb.1128:
	s_and_b32 s14, 0xffff, s13
	s_cmp_gt_i32 s14, 25
	s_mov_b64 s[4:5], 0
	s_cbranch_scc0 .LBB372_1136
; %bb.1129:
	s_cmp_gt_i32 s14, 28
	s_cbranch_scc0 .LBB372_1137
; %bb.1130:
	s_cmp_gt_i32 s14, 43
	;; [unrolled: 3-line block ×3, first 2 shown]
	s_cbranch_scc0 .LBB372_1139
; %bb.1132:
	s_cmp_eq_u32 s14, 46
	s_mov_b64 s[2:3], 0
	s_cbranch_scc0 .LBB372_1142
; %bb.1133:
	global_load_dword v1, v[14:15], off
	s_mov_b64 s[0:1], 0
	s_mov_b64 s[6:7], -1
	s_waitcnt vmcnt(0)
	v_lshlrev_b32_e32 v1, 16, v1
	v_trunc_f32_e32 v1, v1
	v_mul_f32_e32 v3, 0x2f800000, v1
	v_floor_f32_e32 v3, v3
	v_fmac_f32_e32 v1, 0xcf800000, v3
	v_cvt_u32_f32_e32 v7, v1
	v_cvt_u32_f32_e32 v8, v3
	s_branch .LBB372_1143
.LBB372_1134:
	s_mov_b64 s[6:7], 0
                                        ; implicit-def: $vgpr7_vgpr8
	s_mov_b64 s[2:3], s[28:29]
	s_cbranch_execnz .LBB372_1201
.LBB372_1135:
	s_andn2_b64 vcc, exec, s[6:7]
	s_cbranch_vccz .LBB372_1246
	s_branch .LBB372_2055
.LBB372_1136:
	s_mov_b64 s[6:7], 0
	s_mov_b64 s[0:1], 0
                                        ; implicit-def: $vgpr7_vgpr8
	s_cbranch_execnz .LBB372_1170
	s_branch .LBB372_1197
.LBB372_1137:
	s_mov_b64 s[6:7], 0
	s_mov_b64 s[0:1], 0
                                        ; implicit-def: $vgpr7_vgpr8
	s_cbranch_execz .LBB372_1169
	s_branch .LBB372_1152
.LBB372_1138:
	s_mov_b64 s[6:7], 0
	s_mov_b64 s[0:1], 0
                                        ; implicit-def: $vgpr7_vgpr8
	s_cbranch_execnz .LBB372_1148
	s_branch .LBB372_1151
.LBB372_1139:
	s_mov_b64 s[2:3], -1
	s_mov_b64 s[6:7], 0
	s_mov_b64 s[0:1], 0
                                        ; implicit-def: $vgpr7_vgpr8
	s_branch .LBB372_1143
.LBB372_1140:
	s_andn2_saveexec_b64 s[16:17], s[16:17]
	s_cbranch_execz .LBB372_979
.LBB372_1141:
	v_add_f32_e32 v0, 0x46000000, v3
	v_and_b32_e32 v0, 0xff, v0
	v_cmp_ne_u32_e32 vcc, 0, v0
	s_andn2_b64 s[14:15], s[14:15], exec
	s_and_b64 s[18:19], vcc, exec
	s_or_b64 s[14:15], s[14:15], s[18:19]
	s_or_b64 exec, exec, s[16:17]
	v_mov_b32_e32 v4, 0
	s_and_saveexec_b64 s[16:17], s[14:15]
	s_cbranch_execnz .LBB372_980
	s_branch .LBB372_981
.LBB372_1142:
	s_mov_b64 s[0:1], -1
                                        ; implicit-def: $vgpr7_vgpr8
	s_mov_b64 s[6:7], 0
.LBB372_1143:
	s_and_b64 vcc, exec, s[2:3]
	s_cbranch_vccz .LBB372_1146
; %bb.1144:
	s_cmp_eq_u32 s14, 44
	s_cbranch_scc0 .LBB372_1147
; %bb.1145:
	global_load_ubyte v1, v[14:15], off
	s_mov_b64 s[0:1], 0
	s_mov_b64 s[6:7], -1
	s_waitcnt vmcnt(0)
	v_lshlrev_b32_e32 v3, 23, v1
	v_trunc_f32_e32 v3, v3
	v_mul_f32_e32 v5, 0x2f800000, v3
	v_floor_f32_e32 v5, v5
	v_fmac_f32_e32 v3, 0xcf800000, v5
	v_cvt_u32_f32_e32 v5, v5
	v_cvt_u32_f32_e32 v3, v3
	v_cmp_ne_u32_e32 vcc, 0, v1
	v_cndmask_b32_e32 v8, 0, v5, vcc
	v_cndmask_b32_e32 v7, 0, v3, vcc
.LBB372_1146:
	s_branch .LBB372_1151
.LBB372_1147:
	s_mov_b64 s[0:1], -1
                                        ; implicit-def: $vgpr7_vgpr8
	s_branch .LBB372_1151
.LBB372_1148:
	s_cmp_eq_u32 s14, 29
	s_cbranch_scc0 .LBB372_1150
; %bb.1149:
	global_load_dwordx2 v[7:8], v[14:15], off
	s_mov_b64 s[0:1], 0
	s_mov_b64 s[6:7], -1
	s_branch .LBB372_1151
.LBB372_1150:
	s_mov_b64 s[0:1], -1
                                        ; implicit-def: $vgpr7_vgpr8
.LBB372_1151:
	s_branch .LBB372_1169
.LBB372_1152:
	s_cmp_lt_i32 s14, 27
	s_cbranch_scc1 .LBB372_1155
; %bb.1153:
	s_cmp_gt_i32 s14, 27
	s_cbranch_scc0 .LBB372_1156
; %bb.1154:
	global_load_dword v7, v[14:15], off
	s_waitcnt vmcnt(1)
	v_mov_b32_e32 v8, 0
	s_mov_b64 s[2:3], 0
	s_branch .LBB372_1157
.LBB372_1155:
	s_mov_b64 s[2:3], -1
                                        ; implicit-def: $vgpr7_vgpr8
	s_branch .LBB372_1160
.LBB372_1156:
	s_mov_b64 s[2:3], -1
                                        ; implicit-def: $vgpr7_vgpr8
.LBB372_1157:
	s_andn2_b64 vcc, exec, s[2:3]
	s_cbranch_vccnz .LBB372_1159
; %bb.1158:
	global_load_ushort v1, v[14:15], off
	s_mov_b32 s2, 0
	s_waitcnt vmcnt(1)
	v_mov_b32_e32 v8, s2
	s_waitcnt vmcnt(0)
	v_and_b32_e32 v7, 0xffff, v1
.LBB372_1159:
	s_mov_b64 s[2:3], 0
.LBB372_1160:
	s_andn2_b64 vcc, exec, s[2:3]
	s_cbranch_vccnz .LBB372_1168
; %bb.1161:
	global_load_ubyte v1, v[14:15], off
	s_movk_i32 s2, 0x7f
	s_mov_b64 s[6:7], 0
	s_waitcnt vmcnt(0)
	v_cmp_lt_i16_e32 vcc, s2, v1
	s_and_saveexec_b64 s[2:3], vcc
	s_xor_b64 s[2:3], exec, s[2:3]
; %bb.1162:
	s_movk_i32 s6, 0x80
	v_cmp_ne_u16_e32 vcc, s6, v1
	s_and_b64 s[6:7], vcc, exec
; %bb.1163:
	s_andn2_saveexec_b64 s[2:3], s[2:3]
; %bb.1164:
	v_cmp_ne_u16_e32 vcc, 0, v1
	s_andn2_b64 s[6:7], s[6:7], exec
	s_and_b64 s[16:17], vcc, exec
	s_or_b64 s[6:7], s[6:7], s[16:17]
; %bb.1165:
	s_or_b64 exec, exec, s[2:3]
	v_mov_b32_e32 v7, 0
	v_mov_b32_e32 v8, 0
	s_and_saveexec_b64 s[2:3], s[6:7]
	s_cbranch_execz .LBB372_1167
; %bb.1166:
	v_lshlrev_b32_e32 v3, 24, v1
	v_and_b32_e32 v1, 0xffff, v1
	v_and_b32_e32 v5, 7, v1
	v_ffbh_u32_e32 v8, v5
	v_min_u32_e32 v8, 32, v8
	v_subrev_u32_e32 v10, 28, v8
	v_bfe_u32 v7, v1, 3, 4
	v_lshlrev_b32_e32 v1, v10, v1
	v_sub_u32_e32 v8, 29, v8
	v_and_b32_e32 v1, 7, v1
	v_cmp_eq_u32_e32 vcc, 0, v7
	v_cndmask_b32_e32 v7, v7, v8, vcc
	v_cndmask_b32_e32 v1, v5, v1, vcc
	v_mov_b32_e32 v5, 0x3b800000
	v_lshlrev_b32_e32 v1, 20, v1
	v_and_b32_e32 v3, 0x80000000, v3
	v_lshl_add_u32 v5, v7, 23, v5
	v_or3_b32 v1, v3, v5, v1
	v_trunc_f32_e32 v1, v1
	v_mul_f32_e32 v3, 0x2f800000, v1
	v_floor_f32_e32 v3, v3
	v_fmac_f32_e32 v1, 0xcf800000, v3
	v_cvt_u32_f32_e32 v7, v1
	v_cvt_u32_f32_e32 v8, v3
.LBB372_1167:
	s_or_b64 exec, exec, s[2:3]
.LBB372_1168:
	s_mov_b64 s[6:7], -1
.LBB372_1169:
	s_branch .LBB372_1197
.LBB372_1170:
	s_cmp_gt_i32 s14, 22
	s_cbranch_scc0 .LBB372_1180
; %bb.1171:
	s_cmp_lt_i32 s14, 24
	s_cbranch_scc1 .LBB372_1181
; %bb.1172:
	s_cmp_gt_i32 s14, 24
	s_cbranch_scc0 .LBB372_1182
; %bb.1173:
	global_load_ubyte v1, v[14:15], off
	s_movk_i32 s2, 0x7f
	s_waitcnt vmcnt(0)
	v_cmp_lt_i16_e32 vcc, s2, v1
	s_and_saveexec_b64 s[2:3], vcc
	s_xor_b64 s[2:3], exec, s[2:3]
; %bb.1174:
	s_movk_i32 s4, 0x80
	v_cmp_ne_u16_e32 vcc, s4, v1
	s_and_b64 s[4:5], vcc, exec
; %bb.1175:
	s_andn2_saveexec_b64 s[2:3], s[2:3]
; %bb.1176:
	v_cmp_ne_u16_e32 vcc, 0, v1
	s_andn2_b64 s[4:5], s[4:5], exec
	s_and_b64 s[6:7], vcc, exec
	s_or_b64 s[4:5], s[4:5], s[6:7]
; %bb.1177:
	s_or_b64 exec, exec, s[2:3]
	v_mov_b32_e32 v7, 0
	v_mov_b32_e32 v8, 0
	s_and_saveexec_b64 s[2:3], s[4:5]
	s_cbranch_execz .LBB372_1179
; %bb.1178:
	v_lshlrev_b32_e32 v3, 24, v1
	v_and_b32_e32 v1, 0xffff, v1
	v_and_b32_e32 v5, 3, v1
	v_ffbh_u32_e32 v8, v5
	v_min_u32_e32 v8, 32, v8
	v_subrev_u32_e32 v10, 29, v8
	v_bfe_u32 v7, v1, 2, 5
	v_lshlrev_b32_e32 v1, v10, v1
	v_sub_u32_e32 v8, 30, v8
	v_and_b32_e32 v1, 3, v1
	v_cmp_eq_u32_e32 vcc, 0, v7
	v_cndmask_b32_e32 v7, v7, v8, vcc
	v_cndmask_b32_e32 v1, v5, v1, vcc
	v_mov_b32_e32 v5, 0x37800000
	v_lshlrev_b32_e32 v1, 21, v1
	v_and_b32_e32 v3, 0x80000000, v3
	v_lshl_add_u32 v5, v7, 23, v5
	v_or3_b32 v1, v3, v5, v1
	v_trunc_f32_e32 v1, v1
	v_mul_f32_e32 v3, 0x2f800000, v1
	v_floor_f32_e32 v3, v3
	v_fmac_f32_e32 v1, 0xcf800000, v3
	v_cvt_u32_f32_e32 v7, v1
	v_cvt_u32_f32_e32 v8, v3
.LBB372_1179:
	s_or_b64 exec, exec, s[2:3]
	s_mov_b64 s[2:3], 0
	s_branch .LBB372_1183
.LBB372_1180:
                                        ; implicit-def: $vgpr7_vgpr8
	s_mov_b64 s[4:5], 0
	s_branch .LBB372_1189
.LBB372_1181:
	s_mov_b64 s[2:3], -1
                                        ; implicit-def: $vgpr7_vgpr8
	s_branch .LBB372_1186
.LBB372_1182:
	s_mov_b64 s[2:3], -1
                                        ; implicit-def: $vgpr7_vgpr8
.LBB372_1183:
	s_and_b64 vcc, exec, s[2:3]
	s_cbranch_vccz .LBB372_1185
; %bb.1184:
	global_load_ubyte v1, v[14:15], off
	s_mov_b32 s2, 0x7f800000
	s_brev_b32 s3, 1
	s_waitcnt vmcnt(0)
	v_lshlrev_b32_e32 v1, 24, v1
	v_and_b32_e32 v3, 0x7f000000, v1
	v_ffbh_u32_e32 v5, v3
	v_min_u32_e32 v5, 32, v5
	v_sub_u32_e64 v5, v5, 4 clamp
	v_lshlrev_b32_e32 v8, v5, v3
	v_lshlrev_b32_e32 v5, 23, v5
	v_lshrrev_b32_e32 v8, 4, v8
	v_add_u32_e32 v7, 0x1000000, v3
	v_sub_u32_e32 v5, v8, v5
	v_ashrrev_i32_e32 v7, 8, v7
	v_add_u32_e32 v5, 0x3c000000, v5
	v_and_or_b32 v5, v7, s2, v5
	v_cmp_ne_u32_e32 vcc, 0, v3
	v_cndmask_b32_e32 v3, 0, v5, vcc
	v_and_or_b32 v1, v1, s3, v3
	v_trunc_f32_e32 v1, v1
	v_mul_f32_e32 v3, 0x2f800000, v1
	v_floor_f32_e32 v3, v3
	v_fmac_f32_e32 v1, 0xcf800000, v3
	v_cvt_u32_f32_e32 v7, v1
	v_cvt_u32_f32_e32 v8, v3
.LBB372_1185:
	s_mov_b64 s[2:3], 0
.LBB372_1186:
	s_andn2_b64 vcc, exec, s[2:3]
	s_cbranch_vccnz .LBB372_1188
; %bb.1187:
	global_load_ubyte v1, v[14:15], off
	s_movk_i32 s2, 0x7f00
	s_brev_b32 s3, 16
	s_brev_b32 s4, 1
	s_waitcnt vmcnt(0)
	v_lshlrev_b16_e32 v3, 8, v1
	v_lshlrev_b32_e32 v1, 25, v1
	v_lshrrev_b32_e32 v5, 4, v1
	v_and_or_b32 v7, v3, s2, 0.5
	v_or_b32_e32 v5, 0x70000000, v5
	v_add_f32_e32 v7, -0.5, v7
	v_mul_f32_e32 v5, 0x7800000, v5
	v_cmp_gt_u32_e32 vcc, s3, v1
	v_bfe_i32 v3, v3, 0, 16
	v_cndmask_b32_e32 v1, v5, v7, vcc
	v_and_or_b32 v1, v3, s4, v1
	v_trunc_f32_e32 v1, v1
	v_mul_f32_e32 v3, 0x2f800000, v1
	v_floor_f32_e32 v3, v3
	v_fmac_f32_e32 v1, 0xcf800000, v3
	v_cvt_u32_f32_e32 v7, v1
	v_cvt_u32_f32_e32 v8, v3
.LBB372_1188:
	s_mov_b64 s[6:7], -1
	s_mov_b64 s[4:5], 0
	s_cbranch_execnz .LBB372_1197
.LBB372_1189:
	s_cmp_gt_i32 s14, 14
	s_cbranch_scc0 .LBB372_1192
; %bb.1190:
	s_cmp_eq_u32 s14, 15
	s_cbranch_scc0 .LBB372_1193
; %bb.1191:
	global_load_ushort v1, v[14:15], off
	s_mov_b64 s[0:1], 0
	s_mov_b64 s[6:7], -1
	s_waitcnt vmcnt(0)
	v_lshlrev_b32_e32 v1, 16, v1
	v_trunc_f32_e32 v1, v1
	v_mul_f32_e32 v3, 0x2f800000, v1
	v_floor_f32_e32 v3, v3
	v_fmac_f32_e32 v1, 0xcf800000, v3
	v_cvt_u32_f32_e32 v7, v1
	v_cvt_u32_f32_e32 v8, v3
	s_branch .LBB372_1194
.LBB372_1192:
	s_mov_b64 s[2:3], -1
                                        ; implicit-def: $vgpr7_vgpr8
	s_branch .LBB372_1195
.LBB372_1193:
	s_mov_b64 s[0:1], -1
                                        ; implicit-def: $vgpr7_vgpr8
.LBB372_1194:
	s_mov_b64 s[2:3], 0
.LBB372_1195:
	s_and_b64 vcc, exec, s[2:3]
	s_cbranch_vccz .LBB372_1197
; %bb.1196:
	s_cmp_lg_u32 s14, 11
	s_mov_b64 s[4:5], -1
	s_cselect_b64 s[0:1], -1, 0
.LBB372_1197:
	s_and_b64 vcc, exec, s[0:1]
	s_mov_b64 s[2:3], s[28:29]
	s_cbranch_vccnz .LBB372_1258
; %bb.1198:
	s_andn2_b64 vcc, exec, s[4:5]
	s_cbranch_vccnz .LBB372_1200
.LBB372_1199:
	global_load_ubyte v1, v[14:15], off
	s_mov_b32 s0, 0
	s_waitcnt vmcnt(1)
	v_mov_b32_e32 v8, s0
	s_mov_b64 s[6:7], -1
	s_waitcnt vmcnt(0)
	v_cmp_ne_u16_e32 vcc, 0, v1
	v_cndmask_b32_e64 v7, 0, 1, vcc
.LBB372_1200:
	s_branch .LBB372_1135
.LBB372_1201:
	s_and_b32 s4, 0xffff, s13
	s_cmp_lt_i32 s4, 5
	s_cbranch_scc1 .LBB372_1206
; %bb.1202:
	s_cmp_lt_i32 s4, 8
	s_cbranch_scc1 .LBB372_1207
; %bb.1203:
	;; [unrolled: 3-line block ×3, first 2 shown]
	s_cmp_gt_i32 s4, 9
	s_cbranch_scc0 .LBB372_1209
; %bb.1205:
	global_load_dwordx2 v[7:8], v[14:15], off
	s_movk_i32 s0, 0xffe0
	s_waitcnt vmcnt(0)
	v_trunc_f64_e32 v[7:8], v[7:8]
	v_ldexp_f64 v[16:17], v[7:8], s0
	s_mov_b32 s0, 0
	s_mov_b32 s1, 0xc1f00000
	v_floor_f64_e32 v[16:17], v[16:17]
	v_fma_f64 v[18:19], v[16:17], s[0:1], v[7:8]
	v_cvt_u32_f64_e32 v8, v[16:17]
	s_mov_b64 s[0:1], 0
	v_cvt_u32_f64_e32 v7, v[18:19]
	s_branch .LBB372_1210
.LBB372_1206:
                                        ; implicit-def: $vgpr7_vgpr8
	s_branch .LBB372_1227
.LBB372_1207:
                                        ; implicit-def: $vgpr7_vgpr8
	s_branch .LBB372_1216
.LBB372_1208:
	s_mov_b64 s[0:1], -1
                                        ; implicit-def: $vgpr7_vgpr8
	s_branch .LBB372_1213
.LBB372_1209:
	s_mov_b64 s[0:1], -1
                                        ; implicit-def: $vgpr7_vgpr8
.LBB372_1210:
	s_andn2_b64 vcc, exec, s[0:1]
	s_cbranch_vccnz .LBB372_1212
; %bb.1211:
	global_load_dword v1, v[14:15], off
	s_waitcnt vmcnt(0)
	v_trunc_f32_e32 v1, v1
	v_mul_f32_e32 v3, 0x2f800000, v1
	v_floor_f32_e32 v3, v3
	v_fmac_f32_e32 v1, 0xcf800000, v3
	v_cvt_u32_f32_e32 v8, v3
	v_cvt_u32_f32_e32 v7, v1
.LBB372_1212:
	s_mov_b64 s[0:1], 0
.LBB372_1213:
	s_andn2_b64 vcc, exec, s[0:1]
	s_cbranch_vccnz .LBB372_1215
; %bb.1214:
	global_load_dword v1, v[14:15], off
	s_waitcnt vmcnt(1)
	v_mov_b32_e32 v8, 0
	s_waitcnt vmcnt(0)
	v_cvt_f32_f16_e32 v1, v1
	v_cvt_u32_f32_e32 v7, v1
.LBB372_1215:
	s_cbranch_execnz .LBB372_1226
.LBB372_1216:
	s_cmp_lt_i32 s4, 6
	s_cbranch_scc1 .LBB372_1219
; %bb.1217:
	s_cmp_gt_i32 s4, 6
	s_cbranch_scc0 .LBB372_1220
; %bb.1218:
	global_load_dwordx2 v[7:8], v[14:15], off
	s_movk_i32 s0, 0xffe0
	s_waitcnt vmcnt(0)
	v_trunc_f64_e32 v[7:8], v[7:8]
	v_ldexp_f64 v[16:17], v[7:8], s0
	s_mov_b32 s0, 0
	s_mov_b32 s1, 0xc1f00000
	v_floor_f64_e32 v[16:17], v[16:17]
	v_fma_f64 v[18:19], v[16:17], s[0:1], v[7:8]
	v_cvt_u32_f64_e32 v8, v[16:17]
	s_mov_b64 s[0:1], 0
	v_cvt_u32_f64_e32 v7, v[18:19]
	s_branch .LBB372_1221
.LBB372_1219:
	s_mov_b64 s[0:1], -1
                                        ; implicit-def: $vgpr7_vgpr8
	s_branch .LBB372_1224
.LBB372_1220:
	s_mov_b64 s[0:1], -1
                                        ; implicit-def: $vgpr7_vgpr8
.LBB372_1221:
	s_andn2_b64 vcc, exec, s[0:1]
	s_cbranch_vccnz .LBB372_1223
; %bb.1222:
	global_load_dword v1, v[14:15], off
	s_waitcnt vmcnt(0)
	v_trunc_f32_e32 v1, v1
	v_mul_f32_e32 v3, 0x2f800000, v1
	v_floor_f32_e32 v3, v3
	v_fmac_f32_e32 v1, 0xcf800000, v3
	v_cvt_u32_f32_e32 v8, v3
	v_cvt_u32_f32_e32 v7, v1
.LBB372_1223:
	s_mov_b64 s[0:1], 0
.LBB372_1224:
	s_andn2_b64 vcc, exec, s[0:1]
	s_cbranch_vccnz .LBB372_1226
; %bb.1225:
	global_load_ushort v1, v[14:15], off
	s_waitcnt vmcnt(1)
	v_mov_b32_e32 v8, 0
	s_waitcnt vmcnt(0)
	v_cvt_f32_f16_e32 v1, v1
	v_cvt_u32_f32_e32 v7, v1
.LBB372_1226:
	s_cbranch_execnz .LBB372_1245
.LBB372_1227:
	s_cmp_lt_i32 s4, 2
	s_cbranch_scc1 .LBB372_1231
; %bb.1228:
	s_cmp_lt_i32 s4, 3
	s_cbranch_scc1 .LBB372_1232
; %bb.1229:
	s_cmp_gt_i32 s4, 3
	s_cbranch_scc0 .LBB372_1233
; %bb.1230:
	global_load_dwordx2 v[7:8], v[14:15], off
	s_mov_b64 s[0:1], 0
	s_branch .LBB372_1234
.LBB372_1231:
                                        ; implicit-def: $vgpr7_vgpr8
	s_branch .LBB372_1240
.LBB372_1232:
	s_mov_b64 s[0:1], -1
                                        ; implicit-def: $vgpr7_vgpr8
	s_branch .LBB372_1237
.LBB372_1233:
	s_mov_b64 s[0:1], -1
                                        ; implicit-def: $vgpr7_vgpr8
.LBB372_1234:
	s_andn2_b64 vcc, exec, s[0:1]
	s_cbranch_vccnz .LBB372_1236
; %bb.1235:
	global_load_dword v7, v[14:15], off
	s_waitcnt vmcnt(0)
	v_ashrrev_i32_e32 v8, 31, v7
.LBB372_1236:
	s_mov_b64 s[0:1], 0
.LBB372_1237:
	s_andn2_b64 vcc, exec, s[0:1]
	s_cbranch_vccnz .LBB372_1239
; %bb.1238:
	global_load_ushort v1, v[14:15], off
	s_waitcnt vmcnt(0)
	v_bfe_i32 v7, v1, 0, 16
	v_ashrrev_i32_e32 v8, 31, v7
.LBB372_1239:
	s_cbranch_execnz .LBB372_1245
.LBB372_1240:
	s_cmp_gt_i32 s4, 0
	s_cbranch_scc0 .LBB372_1242
; %bb.1241:
	global_load_sbyte v1, v[14:15], off
	s_mov_b64 s[0:1], 0
	s_waitcnt vmcnt(0)
	v_bfe_i32 v7, v1, 0, 16
	v_ashrrev_i32_e32 v8, 31, v7
	s_branch .LBB372_1243
.LBB372_1242:
	s_mov_b64 s[0:1], -1
                                        ; implicit-def: $vgpr7_vgpr8
.LBB372_1243:
	s_andn2_b64 vcc, exec, s[0:1]
	s_cbranch_vccnz .LBB372_1245
; %bb.1244:
	global_load_ubyte v1, v[14:15], off
	s_mov_b32 s0, 0
	s_waitcnt vmcnt(1)
	v_mov_b32_e32 v8, s0
	s_waitcnt vmcnt(0)
	v_and_b32_e32 v7, 0xffff, v1
.LBB372_1245:
.LBB372_1246:
	s_lshr_b32 s0, s12, 8
	v_mov_b32_e32 v1, s11
	s_and_b32 s14, s0, 0xff
	v_add_co_u32_e32 v14, vcc, s10, v9
	s_cmp_lt_i32 s14, 11
	v_addc_co_u32_e32 v15, vcc, 0, v1, vcc
	s_cbranch_scc1 .LBB372_1253
; %bb.1247:
	s_and_b32 s15, 0xffff, s14
	s_cmp_gt_i32 s15, 25
	s_mov_b64 s[4:5], 0
	s_cbranch_scc0 .LBB372_1255
; %bb.1248:
	s_cmp_gt_i32 s15, 28
	s_cbranch_scc0 .LBB372_1256
; %bb.1249:
	s_cmp_gt_i32 s15, 43
	;; [unrolled: 3-line block ×3, first 2 shown]
	s_cbranch_scc0 .LBB372_1259
; %bb.1251:
	s_cmp_eq_u32 s15, 46
	s_mov_b64 s[12:13], 0
	s_cbranch_scc0 .LBB372_1262
; %bb.1252:
	global_load_dword v1, v[14:15], off
	s_mov_b64 s[0:1], 0
	s_mov_b64 s[6:7], -1
	s_waitcnt vmcnt(0)
	v_lshlrev_b32_e32 v1, 16, v1
	v_trunc_f32_e32 v1, v1
	v_mul_f32_e32 v3, 0x2f800000, v1
	v_floor_f32_e32 v3, v3
	v_fmac_f32_e32 v1, 0xcf800000, v3
	v_cvt_u32_f32_e32 v9, v1
	v_cvt_u32_f32_e32 v10, v3
	s_branch .LBB372_1263
.LBB372_1253:
	s_mov_b64 s[6:7], 0
                                        ; implicit-def: $vgpr9_vgpr10
	s_cbranch_execnz .LBB372_1324
.LBB372_1254:
	s_andn2_b64 vcc, exec, s[6:7]
	s_cbranch_vccnz .LBB372_2055
	s_branch .LBB372_1371
.LBB372_1255:
	s_mov_b64 s[6:7], 0
	s_mov_b64 s[0:1], 0
                                        ; implicit-def: $vgpr9_vgpr10
	s_cbranch_execnz .LBB372_1292
	s_branch .LBB372_1320
.LBB372_1256:
	s_mov_b64 s[12:13], -1
	s_mov_b64 s[6:7], 0
	s_mov_b64 s[0:1], 0
                                        ; implicit-def: $vgpr9_vgpr10
	s_branch .LBB372_1273
.LBB372_1257:
	s_mov_b64 s[12:13], -1
	s_mov_b64 s[6:7], 0
	s_mov_b64 s[0:1], 0
                                        ; implicit-def: $vgpr9_vgpr10
	s_branch .LBB372_1268
.LBB372_1258:
	s_or_b64 s[2:3], s[28:29], exec
	s_trap 2
	s_cbranch_execz .LBB372_1199
	s_branch .LBB372_1200
.LBB372_1259:
	s_mov_b64 s[12:13], -1
	s_mov_b64 s[6:7], 0
	s_mov_b64 s[0:1], 0
                                        ; implicit-def: $vgpr9_vgpr10
	s_branch .LBB372_1263
.LBB372_1260:
	s_andn2_saveexec_b64 s[18:19], s[18:19]
	s_cbranch_execz .LBB372_991
.LBB372_1261:
	v_add_f32_e32 v0, 0x42800000, v3
	v_and_b32_e32 v0, 0xff, v0
	v_cmp_ne_u32_e32 vcc, 0, v0
	s_andn2_b64 s[16:17], s[16:17], exec
	s_and_b64 s[22:23], vcc, exec
	s_or_b64 s[16:17], s[16:17], s[22:23]
	s_or_b64 exec, exec, s[18:19]
	v_mov_b32_e32 v4, 0
	s_and_saveexec_b64 s[18:19], s[16:17]
	s_cbranch_execnz .LBB372_992
	s_branch .LBB372_993
.LBB372_1262:
	s_mov_b64 s[0:1], -1
                                        ; implicit-def: $vgpr9_vgpr10
	s_mov_b64 s[6:7], 0
.LBB372_1263:
	s_and_b64 vcc, exec, s[12:13]
	s_cbranch_vccz .LBB372_1267
; %bb.1264:
	s_cmp_eq_u32 s15, 44
	s_cbranch_scc0 .LBB372_1266
; %bb.1265:
	global_load_ubyte v1, v[14:15], off
	s_mov_b64 s[0:1], 0
	s_mov_b64 s[6:7], -1
	s_waitcnt vmcnt(0)
	v_lshlrev_b32_e32 v3, 23, v1
	v_trunc_f32_e32 v3, v3
	v_mul_f32_e32 v5, 0x2f800000, v3
	v_floor_f32_e32 v5, v5
	v_fmac_f32_e32 v3, 0xcf800000, v5
	v_cvt_u32_f32_e32 v5, v5
	v_cvt_u32_f32_e32 v3, v3
	v_cmp_ne_u32_e32 vcc, 0, v1
	v_cndmask_b32_e32 v10, 0, v5, vcc
	v_cndmask_b32_e32 v9, 0, v3, vcc
	s_branch .LBB372_1267
.LBB372_1266:
	s_mov_b64 s[0:1], -1
                                        ; implicit-def: $vgpr9_vgpr10
.LBB372_1267:
	s_mov_b64 s[12:13], 0
.LBB372_1268:
	s_and_b64 vcc, exec, s[12:13]
	s_cbranch_vccz .LBB372_1272
; %bb.1269:
	s_cmp_eq_u32 s15, 29
	s_cbranch_scc0 .LBB372_1271
; %bb.1270:
	global_load_dwordx2 v[9:10], v[14:15], off
	s_mov_b64 s[0:1], 0
	s_mov_b64 s[6:7], -1
	s_branch .LBB372_1272
.LBB372_1271:
	s_mov_b64 s[0:1], -1
                                        ; implicit-def: $vgpr9_vgpr10
.LBB372_1272:
	s_mov_b64 s[12:13], 0
.LBB372_1273:
	s_and_b64 vcc, exec, s[12:13]
	s_cbranch_vccz .LBB372_1291
; %bb.1274:
	s_cmp_lt_i32 s15, 27
	s_cbranch_scc1 .LBB372_1277
; %bb.1275:
	s_cmp_gt_i32 s15, 27
	s_cbranch_scc0 .LBB372_1278
; %bb.1276:
	global_load_dword v9, v[14:15], off
	s_waitcnt vmcnt(1)
	v_mov_b32_e32 v10, 0
	s_mov_b64 s[6:7], 0
	s_branch .LBB372_1279
.LBB372_1277:
	s_mov_b64 s[6:7], -1
                                        ; implicit-def: $vgpr9_vgpr10
	s_branch .LBB372_1282
.LBB372_1278:
	s_mov_b64 s[6:7], -1
                                        ; implicit-def: $vgpr9_vgpr10
.LBB372_1279:
	s_andn2_b64 vcc, exec, s[6:7]
	s_cbranch_vccnz .LBB372_1281
; %bb.1280:
	global_load_ushort v1, v[14:15], off
	s_mov_b32 s6, 0
	s_waitcnt vmcnt(1)
	v_mov_b32_e32 v10, s6
	s_waitcnt vmcnt(0)
	v_and_b32_e32 v9, 0xffff, v1
.LBB372_1281:
	s_mov_b64 s[6:7], 0
.LBB372_1282:
	s_andn2_b64 vcc, exec, s[6:7]
	s_cbranch_vccnz .LBB372_1290
; %bb.1283:
	global_load_ubyte v1, v[14:15], off
	s_movk_i32 s6, 0x7f
	s_mov_b64 s[12:13], 0
	s_waitcnt vmcnt(0)
	v_cmp_lt_i16_e32 vcc, s6, v1
	s_and_saveexec_b64 s[6:7], vcc
	s_xor_b64 s[6:7], exec, s[6:7]
; %bb.1284:
	s_movk_i32 s12, 0x80
	v_cmp_ne_u16_e32 vcc, s12, v1
	s_and_b64 s[12:13], vcc, exec
; %bb.1285:
	s_andn2_saveexec_b64 s[6:7], s[6:7]
; %bb.1286:
	v_cmp_ne_u16_e32 vcc, 0, v1
	s_andn2_b64 s[12:13], s[12:13], exec
	s_and_b64 s[16:17], vcc, exec
	s_or_b64 s[12:13], s[12:13], s[16:17]
; %bb.1287:
	s_or_b64 exec, exec, s[6:7]
	v_mov_b32_e32 v9, 0
	v_mov_b32_e32 v10, 0
	s_and_saveexec_b64 s[6:7], s[12:13]
	s_cbranch_execz .LBB372_1289
; %bb.1288:
	v_lshlrev_b32_e32 v3, 24, v1
	v_and_b32_e32 v1, 0xffff, v1
	v_and_b32_e32 v5, 7, v1
	v_ffbh_u32_e32 v10, v5
	v_min_u32_e32 v10, 32, v10
	v_subrev_u32_e32 v12, 28, v10
	v_bfe_u32 v9, v1, 3, 4
	v_lshlrev_b32_e32 v1, v12, v1
	v_sub_u32_e32 v10, 29, v10
	v_and_b32_e32 v1, 7, v1
	v_cmp_eq_u32_e32 vcc, 0, v9
	v_cndmask_b32_e32 v9, v9, v10, vcc
	v_cndmask_b32_e32 v1, v5, v1, vcc
	v_mov_b32_e32 v5, 0x3b800000
	v_lshlrev_b32_e32 v1, 20, v1
	v_and_b32_e32 v3, 0x80000000, v3
	v_lshl_add_u32 v5, v9, 23, v5
	v_or3_b32 v1, v3, v5, v1
	v_trunc_f32_e32 v1, v1
	v_mul_f32_e32 v3, 0x2f800000, v1
	v_floor_f32_e32 v3, v3
	v_fmac_f32_e32 v1, 0xcf800000, v3
	v_cvt_u32_f32_e32 v9, v1
	v_cvt_u32_f32_e32 v10, v3
.LBB372_1289:
	s_or_b64 exec, exec, s[6:7]
.LBB372_1290:
	s_mov_b64 s[6:7], -1
.LBB372_1291:
	s_branch .LBB372_1320
.LBB372_1292:
	s_cmp_gt_i32 s15, 22
	s_cbranch_scc0 .LBB372_1302
; %bb.1293:
	s_cmp_lt_i32 s15, 24
	s_cbranch_scc1 .LBB372_1303
; %bb.1294:
	s_cmp_gt_i32 s15, 24
	s_cbranch_scc0 .LBB372_1304
; %bb.1295:
	global_load_ubyte v1, v[14:15], off
	s_movk_i32 s4, 0x7f
	s_mov_b64 s[6:7], 0
	s_waitcnt vmcnt(0)
	v_cmp_lt_i16_e32 vcc, s4, v1
	s_and_saveexec_b64 s[4:5], vcc
	s_xor_b64 s[4:5], exec, s[4:5]
; %bb.1296:
	s_movk_i32 s6, 0x80
	v_cmp_ne_u16_e32 vcc, s6, v1
	s_and_b64 s[6:7], vcc, exec
; %bb.1297:
	s_andn2_saveexec_b64 s[4:5], s[4:5]
; %bb.1298:
	v_cmp_ne_u16_e32 vcc, 0, v1
	s_andn2_b64 s[6:7], s[6:7], exec
	s_and_b64 s[12:13], vcc, exec
	s_or_b64 s[6:7], s[6:7], s[12:13]
; %bb.1299:
	s_or_b64 exec, exec, s[4:5]
	v_mov_b32_e32 v9, 0
	v_mov_b32_e32 v10, 0
	s_and_saveexec_b64 s[4:5], s[6:7]
	s_cbranch_execz .LBB372_1301
; %bb.1300:
	v_lshlrev_b32_e32 v3, 24, v1
	v_and_b32_e32 v1, 0xffff, v1
	v_and_b32_e32 v5, 3, v1
	v_ffbh_u32_e32 v10, v5
	v_min_u32_e32 v10, 32, v10
	v_subrev_u32_e32 v12, 29, v10
	v_bfe_u32 v9, v1, 2, 5
	v_lshlrev_b32_e32 v1, v12, v1
	v_sub_u32_e32 v10, 30, v10
	v_and_b32_e32 v1, 3, v1
	v_cmp_eq_u32_e32 vcc, 0, v9
	v_cndmask_b32_e32 v9, v9, v10, vcc
	v_cndmask_b32_e32 v1, v5, v1, vcc
	v_mov_b32_e32 v5, 0x37800000
	v_lshlrev_b32_e32 v1, 21, v1
	v_and_b32_e32 v3, 0x80000000, v3
	v_lshl_add_u32 v5, v9, 23, v5
	v_or3_b32 v1, v3, v5, v1
	v_trunc_f32_e32 v1, v1
	v_mul_f32_e32 v3, 0x2f800000, v1
	v_floor_f32_e32 v3, v3
	v_fmac_f32_e32 v1, 0xcf800000, v3
	v_cvt_u32_f32_e32 v9, v1
	v_cvt_u32_f32_e32 v10, v3
.LBB372_1301:
	s_or_b64 exec, exec, s[4:5]
	s_mov_b64 s[4:5], 0
	s_branch .LBB372_1305
.LBB372_1302:
	s_mov_b64 s[4:5], -1
                                        ; implicit-def: $vgpr9_vgpr10
	s_branch .LBB372_1311
.LBB372_1303:
	s_mov_b64 s[4:5], -1
                                        ; implicit-def: $vgpr9_vgpr10
	s_branch .LBB372_1308
.LBB372_1304:
	s_mov_b64 s[4:5], -1
                                        ; implicit-def: $vgpr9_vgpr10
.LBB372_1305:
	s_and_b64 vcc, exec, s[4:5]
	s_cbranch_vccz .LBB372_1307
; %bb.1306:
	global_load_ubyte v1, v[14:15], off
	s_mov_b32 s4, 0x7f800000
	s_brev_b32 s5, 1
	s_waitcnt vmcnt(0)
	v_lshlrev_b32_e32 v1, 24, v1
	v_and_b32_e32 v3, 0x7f000000, v1
	v_ffbh_u32_e32 v5, v3
	v_min_u32_e32 v5, 32, v5
	v_sub_u32_e64 v5, v5, 4 clamp
	v_lshlrev_b32_e32 v10, v5, v3
	v_lshlrev_b32_e32 v5, 23, v5
	v_lshrrev_b32_e32 v10, 4, v10
	v_add_u32_e32 v9, 0x1000000, v3
	v_sub_u32_e32 v5, v10, v5
	v_ashrrev_i32_e32 v9, 8, v9
	v_add_u32_e32 v5, 0x3c000000, v5
	v_and_or_b32 v5, v9, s4, v5
	v_cmp_ne_u32_e32 vcc, 0, v3
	v_cndmask_b32_e32 v3, 0, v5, vcc
	v_and_or_b32 v1, v1, s5, v3
	v_trunc_f32_e32 v1, v1
	v_mul_f32_e32 v3, 0x2f800000, v1
	v_floor_f32_e32 v3, v3
	v_fmac_f32_e32 v1, 0xcf800000, v3
	v_cvt_u32_f32_e32 v9, v1
	v_cvt_u32_f32_e32 v10, v3
.LBB372_1307:
	s_mov_b64 s[4:5], 0
.LBB372_1308:
	s_andn2_b64 vcc, exec, s[4:5]
	s_cbranch_vccnz .LBB372_1310
; %bb.1309:
	global_load_ubyte v1, v[14:15], off
	s_movk_i32 s4, 0x7f00
	s_brev_b32 s5, 16
	s_brev_b32 s6, 1
	s_waitcnt vmcnt(0)
	v_lshlrev_b16_e32 v3, 8, v1
	v_lshlrev_b32_e32 v1, 25, v1
	v_lshrrev_b32_e32 v5, 4, v1
	v_and_or_b32 v9, v3, s4, 0.5
	v_or_b32_e32 v5, 0x70000000, v5
	v_add_f32_e32 v9, -0.5, v9
	v_mul_f32_e32 v5, 0x7800000, v5
	v_cmp_gt_u32_e32 vcc, s5, v1
	v_bfe_i32 v3, v3, 0, 16
	v_cndmask_b32_e32 v1, v5, v9, vcc
	v_and_or_b32 v1, v3, s6, v1
	v_trunc_f32_e32 v1, v1
	v_mul_f32_e32 v3, 0x2f800000, v1
	v_floor_f32_e32 v3, v3
	v_fmac_f32_e32 v1, 0xcf800000, v3
	v_cvt_u32_f32_e32 v9, v1
	v_cvt_u32_f32_e32 v10, v3
.LBB372_1310:
	s_mov_b64 s[4:5], 0
	s_mov_b64 s[6:7], -1
.LBB372_1311:
	s_andn2_b64 vcc, exec, s[4:5]
	s_mov_b64 s[4:5], 0
	s_cbranch_vccnz .LBB372_1320
; %bb.1312:
	s_cmp_gt_i32 s15, 14
	s_cbranch_scc0 .LBB372_1315
; %bb.1313:
	s_cmp_eq_u32 s15, 15
	s_cbranch_scc0 .LBB372_1316
; %bb.1314:
	global_load_ushort v1, v[14:15], off
	s_mov_b64 s[0:1], 0
	s_mov_b64 s[6:7], -1
	s_waitcnt vmcnt(0)
	v_lshlrev_b32_e32 v1, 16, v1
	v_trunc_f32_e32 v1, v1
	v_mul_f32_e32 v3, 0x2f800000, v1
	v_floor_f32_e32 v3, v3
	v_fmac_f32_e32 v1, 0xcf800000, v3
	v_cvt_u32_f32_e32 v9, v1
	v_cvt_u32_f32_e32 v10, v3
	s_branch .LBB372_1317
.LBB372_1315:
	s_mov_b64 s[12:13], -1
                                        ; implicit-def: $vgpr9_vgpr10
	s_branch .LBB372_1318
.LBB372_1316:
	s_mov_b64 s[0:1], -1
                                        ; implicit-def: $vgpr9_vgpr10
.LBB372_1317:
	s_mov_b64 s[12:13], 0
.LBB372_1318:
	s_and_b64 vcc, exec, s[12:13]
	s_cbranch_vccz .LBB372_1320
; %bb.1319:
	s_cmp_lg_u32 s15, 11
	s_mov_b64 s[4:5], -1
	s_cselect_b64 s[0:1], -1, 0
.LBB372_1320:
	s_and_b64 vcc, exec, s[0:1]
	s_cbranch_vccnz .LBB372_1383
; %bb.1321:
	s_andn2_b64 vcc, exec, s[4:5]
	s_cbranch_vccnz .LBB372_1323
.LBB372_1322:
	global_load_ubyte v1, v[14:15], off
	s_mov_b32 s0, 0
	s_waitcnt vmcnt(1)
	v_mov_b32_e32 v10, s0
	s_mov_b64 s[6:7], -1
	s_waitcnt vmcnt(0)
	v_cmp_ne_u16_e32 vcc, 0, v1
	v_cndmask_b32_e64 v9, 0, 1, vcc
.LBB372_1323:
	s_branch .LBB372_1254
.LBB372_1324:
	s_and_b32 s4, 0xffff, s14
	s_cmp_lt_i32 s4, 5
	s_cbranch_scc1 .LBB372_1329
; %bb.1325:
	s_cmp_lt_i32 s4, 8
	s_cbranch_scc1 .LBB372_1330
; %bb.1326:
	s_cmp_lt_i32 s4, 9
	s_cbranch_scc1 .LBB372_1331
; %bb.1327:
	s_cmp_gt_i32 s4, 9
	s_cbranch_scc0 .LBB372_1332
; %bb.1328:
	global_load_dwordx2 v[9:10], v[14:15], off
	s_movk_i32 s0, 0xffe0
	s_waitcnt vmcnt(0)
	v_trunc_f64_e32 v[9:10], v[9:10]
	v_ldexp_f64 v[16:17], v[9:10], s0
	s_mov_b32 s0, 0
	s_mov_b32 s1, 0xc1f00000
	v_floor_f64_e32 v[16:17], v[16:17]
	v_fma_f64 v[18:19], v[16:17], s[0:1], v[9:10]
	v_cvt_u32_f64_e32 v10, v[16:17]
	s_mov_b64 s[0:1], 0
	v_cvt_u32_f64_e32 v9, v[18:19]
	s_branch .LBB372_1333
.LBB372_1329:
                                        ; implicit-def: $vgpr9_vgpr10
	s_branch .LBB372_1351
.LBB372_1330:
	s_mov_b64 s[0:1], -1
                                        ; implicit-def: $vgpr9_vgpr10
	s_branch .LBB372_1339
.LBB372_1331:
	s_mov_b64 s[0:1], -1
                                        ; implicit-def: $vgpr9_vgpr10
	s_branch .LBB372_1336
.LBB372_1332:
	s_mov_b64 s[0:1], -1
                                        ; implicit-def: $vgpr9_vgpr10
.LBB372_1333:
	s_andn2_b64 vcc, exec, s[0:1]
	s_cbranch_vccnz .LBB372_1335
; %bb.1334:
	global_load_dword v1, v[14:15], off
	s_waitcnt vmcnt(0)
	v_trunc_f32_e32 v1, v1
	v_mul_f32_e32 v3, 0x2f800000, v1
	v_floor_f32_e32 v3, v3
	v_fmac_f32_e32 v1, 0xcf800000, v3
	v_cvt_u32_f32_e32 v10, v3
	v_cvt_u32_f32_e32 v9, v1
.LBB372_1335:
	s_mov_b64 s[0:1], 0
.LBB372_1336:
	s_andn2_b64 vcc, exec, s[0:1]
	s_cbranch_vccnz .LBB372_1338
; %bb.1337:
	global_load_dword v1, v[14:15], off
	s_waitcnt vmcnt(1)
	v_mov_b32_e32 v10, 0
	s_waitcnt vmcnt(0)
	v_cvt_f32_f16_e32 v1, v1
	v_cvt_u32_f32_e32 v9, v1
.LBB372_1338:
	s_mov_b64 s[0:1], 0
.LBB372_1339:
	s_andn2_b64 vcc, exec, s[0:1]
	s_cbranch_vccnz .LBB372_1350
; %bb.1340:
	s_cmp_lt_i32 s4, 6
	s_cbranch_scc1 .LBB372_1343
; %bb.1341:
	s_cmp_gt_i32 s4, 6
	s_cbranch_scc0 .LBB372_1344
; %bb.1342:
	global_load_dwordx2 v[9:10], v[14:15], off
	s_movk_i32 s0, 0xffe0
	s_waitcnt vmcnt(0)
	v_trunc_f64_e32 v[9:10], v[9:10]
	v_ldexp_f64 v[16:17], v[9:10], s0
	s_mov_b32 s0, 0
	s_mov_b32 s1, 0xc1f00000
	v_floor_f64_e32 v[16:17], v[16:17]
	v_fma_f64 v[18:19], v[16:17], s[0:1], v[9:10]
	v_cvt_u32_f64_e32 v10, v[16:17]
	s_mov_b64 s[0:1], 0
	v_cvt_u32_f64_e32 v9, v[18:19]
	s_branch .LBB372_1345
.LBB372_1343:
	s_mov_b64 s[0:1], -1
                                        ; implicit-def: $vgpr9_vgpr10
	s_branch .LBB372_1348
.LBB372_1344:
	s_mov_b64 s[0:1], -1
                                        ; implicit-def: $vgpr9_vgpr10
.LBB372_1345:
	s_andn2_b64 vcc, exec, s[0:1]
	s_cbranch_vccnz .LBB372_1347
; %bb.1346:
	global_load_dword v1, v[14:15], off
	s_waitcnt vmcnt(0)
	v_trunc_f32_e32 v1, v1
	v_mul_f32_e32 v3, 0x2f800000, v1
	v_floor_f32_e32 v3, v3
	v_fmac_f32_e32 v1, 0xcf800000, v3
	v_cvt_u32_f32_e32 v10, v3
	v_cvt_u32_f32_e32 v9, v1
.LBB372_1347:
	s_mov_b64 s[0:1], 0
.LBB372_1348:
	s_andn2_b64 vcc, exec, s[0:1]
	s_cbranch_vccnz .LBB372_1350
; %bb.1349:
	global_load_ushort v1, v[14:15], off
	s_waitcnt vmcnt(1)
	v_mov_b32_e32 v10, 0
	s_waitcnt vmcnt(0)
	v_cvt_f32_f16_e32 v1, v1
	v_cvt_u32_f32_e32 v9, v1
.LBB372_1350:
	s_cbranch_execnz .LBB372_1370
.LBB372_1351:
	s_cmp_lt_i32 s4, 2
	s_cbranch_scc1 .LBB372_1355
; %bb.1352:
	s_cmp_lt_i32 s4, 3
	s_cbranch_scc1 .LBB372_1356
; %bb.1353:
	s_cmp_gt_i32 s4, 3
	s_cbranch_scc0 .LBB372_1357
; %bb.1354:
	global_load_dwordx2 v[9:10], v[14:15], off
	s_mov_b64 s[0:1], 0
	s_branch .LBB372_1358
.LBB372_1355:
	s_mov_b64 s[0:1], -1
                                        ; implicit-def: $vgpr9_vgpr10
	s_branch .LBB372_1364
.LBB372_1356:
	s_mov_b64 s[0:1], -1
                                        ; implicit-def: $vgpr9_vgpr10
	s_branch .LBB372_1361
.LBB372_1357:
	s_mov_b64 s[0:1], -1
                                        ; implicit-def: $vgpr9_vgpr10
.LBB372_1358:
	s_andn2_b64 vcc, exec, s[0:1]
	s_cbranch_vccnz .LBB372_1360
; %bb.1359:
	global_load_dword v9, v[14:15], off
	s_waitcnt vmcnt(0)
	v_ashrrev_i32_e32 v10, 31, v9
.LBB372_1360:
	s_mov_b64 s[0:1], 0
.LBB372_1361:
	s_andn2_b64 vcc, exec, s[0:1]
	s_cbranch_vccnz .LBB372_1363
; %bb.1362:
	global_load_ushort v1, v[14:15], off
	s_waitcnt vmcnt(0)
	v_bfe_i32 v9, v1, 0, 16
	v_ashrrev_i32_e32 v10, 31, v9
.LBB372_1363:
	s_mov_b64 s[0:1], 0
.LBB372_1364:
	s_andn2_b64 vcc, exec, s[0:1]
	s_cbranch_vccnz .LBB372_1370
; %bb.1365:
	s_cmp_gt_i32 s4, 0
	s_cbranch_scc0 .LBB372_1367
; %bb.1366:
	global_load_sbyte v1, v[14:15], off
	s_mov_b64 s[0:1], 0
	s_waitcnt vmcnt(0)
	v_bfe_i32 v9, v1, 0, 16
	v_ashrrev_i32_e32 v10, 31, v9
	s_branch .LBB372_1368
.LBB372_1367:
	s_mov_b64 s[0:1], -1
                                        ; implicit-def: $vgpr9_vgpr10
.LBB372_1368:
	s_andn2_b64 vcc, exec, s[0:1]
	s_cbranch_vccnz .LBB372_1370
; %bb.1369:
	global_load_ubyte v1, v[14:15], off
	s_mov_b32 s0, 0
	s_waitcnt vmcnt(1)
	v_mov_b32_e32 v10, s0
	s_waitcnt vmcnt(0)
	v_and_b32_e32 v9, 0xffff, v1
.LBB372_1370:
.LBB372_1371:
	v_mov_b32_e32 v1, s11
	v_add_co_u32_e32 v14, vcc, s10, v11
	s_cmp_lt_i32 s14, 11
	v_addc_co_u32_e32 v15, vcc, 0, v1, vcc
	s_cbranch_scc1 .LBB372_1378
; %bb.1372:
	s_and_b32 s15, 0xffff, s14
	s_cmp_gt_i32 s15, 25
	s_mov_b64 s[4:5], 0
	s_cbranch_scc0 .LBB372_1380
; %bb.1373:
	s_cmp_gt_i32 s15, 28
	s_cbranch_scc0 .LBB372_1381
; %bb.1374:
	s_cmp_gt_i32 s15, 43
	;; [unrolled: 3-line block ×3, first 2 shown]
	s_cbranch_scc0 .LBB372_1384
; %bb.1376:
	s_cmp_eq_u32 s15, 46
	s_mov_b64 s[12:13], 0
	s_cbranch_scc0 .LBB372_1385
; %bb.1377:
	global_load_dword v1, v[14:15], off
	s_mov_b64 s[0:1], 0
	s_mov_b64 s[6:7], -1
	s_waitcnt vmcnt(0)
	v_lshlrev_b32_e32 v1, 16, v1
	v_trunc_f32_e32 v1, v1
	v_mul_f32_e32 v3, 0x2f800000, v1
	v_floor_f32_e32 v3, v3
	v_fmac_f32_e32 v1, 0xcf800000, v3
	v_cvt_u32_f32_e32 v11, v1
	v_cvt_u32_f32_e32 v12, v3
	s_branch .LBB372_1386
.LBB372_1378:
	s_mov_b64 s[6:7], 0
                                        ; implicit-def: $vgpr11_vgpr12
	s_cbranch_execnz .LBB372_1448
.LBB372_1379:
	s_andn2_b64 vcc, exec, s[6:7]
	s_cbranch_vccnz .LBB372_2055
	s_branch .LBB372_1496
.LBB372_1380:
	s_mov_b64 s[12:13], -1
	s_mov_b64 s[6:7], 0
	s_mov_b64 s[0:1], 0
                                        ; implicit-def: $vgpr11_vgpr12
	s_branch .LBB372_1415
.LBB372_1381:
	s_mov_b64 s[12:13], -1
	s_mov_b64 s[6:7], 0
	s_mov_b64 s[0:1], 0
                                        ; implicit-def: $vgpr11_vgpr12
	s_branch .LBB372_1396
.LBB372_1382:
	s_mov_b64 s[12:13], -1
	s_mov_b64 s[6:7], 0
	s_mov_b64 s[0:1], 0
                                        ; implicit-def: $vgpr11_vgpr12
	s_branch .LBB372_1391
.LBB372_1383:
	s_trap 2
	s_or_b64 s[2:3], s[2:3], exec
	s_cbranch_execz .LBB372_1322
	s_branch .LBB372_1323
.LBB372_1384:
	s_mov_b64 s[12:13], -1
	s_mov_b64 s[6:7], 0
	s_mov_b64 s[0:1], 0
                                        ; implicit-def: $vgpr11_vgpr12
	s_branch .LBB372_1386
.LBB372_1385:
	s_mov_b64 s[0:1], -1
                                        ; implicit-def: $vgpr11_vgpr12
	s_mov_b64 s[6:7], 0
.LBB372_1386:
	s_and_b64 vcc, exec, s[12:13]
	s_cbranch_vccz .LBB372_1390
; %bb.1387:
	s_cmp_eq_u32 s15, 44
	s_cbranch_scc0 .LBB372_1389
; %bb.1388:
	global_load_ubyte v1, v[14:15], off
	s_mov_b64 s[0:1], 0
	s_mov_b64 s[6:7], -1
	s_waitcnt vmcnt(0)
	v_lshlrev_b32_e32 v3, 23, v1
	v_trunc_f32_e32 v3, v3
	v_mul_f32_e32 v5, 0x2f800000, v3
	v_floor_f32_e32 v5, v5
	v_fmac_f32_e32 v3, 0xcf800000, v5
	v_cvt_u32_f32_e32 v5, v5
	v_cvt_u32_f32_e32 v3, v3
	v_cmp_ne_u32_e32 vcc, 0, v1
	v_cndmask_b32_e32 v12, 0, v5, vcc
	v_cndmask_b32_e32 v11, 0, v3, vcc
	s_branch .LBB372_1390
.LBB372_1389:
	s_mov_b64 s[0:1], -1
                                        ; implicit-def: $vgpr11_vgpr12
.LBB372_1390:
	s_mov_b64 s[12:13], 0
.LBB372_1391:
	s_and_b64 vcc, exec, s[12:13]
	s_cbranch_vccz .LBB372_1395
; %bb.1392:
	s_cmp_eq_u32 s15, 29
	s_cbranch_scc0 .LBB372_1394
; %bb.1393:
	global_load_dwordx2 v[11:12], v[14:15], off
	s_mov_b64 s[0:1], 0
	s_mov_b64 s[6:7], -1
	s_branch .LBB372_1395
.LBB372_1394:
	s_mov_b64 s[0:1], -1
                                        ; implicit-def: $vgpr11_vgpr12
.LBB372_1395:
	s_mov_b64 s[12:13], 0
.LBB372_1396:
	s_and_b64 vcc, exec, s[12:13]
	s_cbranch_vccz .LBB372_1414
; %bb.1397:
	s_cmp_lt_i32 s15, 27
	s_cbranch_scc1 .LBB372_1400
; %bb.1398:
	s_cmp_gt_i32 s15, 27
	s_cbranch_scc0 .LBB372_1401
; %bb.1399:
	global_load_dword v11, v[14:15], off
	s_waitcnt vmcnt(1)
	v_mov_b32_e32 v12, 0
	s_mov_b64 s[6:7], 0
	s_branch .LBB372_1402
.LBB372_1400:
	s_mov_b64 s[6:7], -1
                                        ; implicit-def: $vgpr11_vgpr12
	s_branch .LBB372_1405
.LBB372_1401:
	s_mov_b64 s[6:7], -1
                                        ; implicit-def: $vgpr11_vgpr12
.LBB372_1402:
	s_andn2_b64 vcc, exec, s[6:7]
	s_cbranch_vccnz .LBB372_1404
; %bb.1403:
	global_load_ushort v1, v[14:15], off
	s_mov_b32 s6, 0
	s_waitcnt vmcnt(1)
	v_mov_b32_e32 v12, s6
	s_waitcnt vmcnt(0)
	v_and_b32_e32 v11, 0xffff, v1
.LBB372_1404:
	s_mov_b64 s[6:7], 0
.LBB372_1405:
	s_andn2_b64 vcc, exec, s[6:7]
	s_cbranch_vccnz .LBB372_1413
; %bb.1406:
	global_load_ubyte v1, v[14:15], off
	s_movk_i32 s6, 0x7f
	s_mov_b64 s[12:13], 0
	s_waitcnt vmcnt(0)
	v_cmp_lt_i16_e32 vcc, s6, v1
	s_and_saveexec_b64 s[6:7], vcc
	s_xor_b64 s[6:7], exec, s[6:7]
; %bb.1407:
	s_movk_i32 s12, 0x80
	v_cmp_ne_u16_e32 vcc, s12, v1
	s_and_b64 s[12:13], vcc, exec
; %bb.1408:
	s_andn2_saveexec_b64 s[6:7], s[6:7]
; %bb.1409:
	v_cmp_ne_u16_e32 vcc, 0, v1
	s_andn2_b64 s[12:13], s[12:13], exec
	s_and_b64 s[16:17], vcc, exec
	s_or_b64 s[12:13], s[12:13], s[16:17]
; %bb.1410:
	s_or_b64 exec, exec, s[6:7]
	v_mov_b32_e32 v11, 0
	v_mov_b32_e32 v12, 0
	s_and_saveexec_b64 s[6:7], s[12:13]
	s_cbranch_execz .LBB372_1412
; %bb.1411:
	v_lshlrev_b32_e32 v3, 24, v1
	v_and_b32_e32 v1, 0xffff, v1
	v_and_b32_e32 v5, 7, v1
	v_ffbh_u32_e32 v12, v5
	v_min_u32_e32 v12, 32, v12
	v_subrev_u32_e32 v16, 28, v12
	v_bfe_u32 v11, v1, 3, 4
	v_lshlrev_b32_e32 v1, v16, v1
	v_sub_u32_e32 v12, 29, v12
	v_and_b32_e32 v1, 7, v1
	v_cmp_eq_u32_e32 vcc, 0, v11
	v_cndmask_b32_e32 v11, v11, v12, vcc
	v_cndmask_b32_e32 v1, v5, v1, vcc
	v_mov_b32_e32 v5, 0x3b800000
	v_lshlrev_b32_e32 v1, 20, v1
	v_and_b32_e32 v3, 0x80000000, v3
	v_lshl_add_u32 v5, v11, 23, v5
	v_or3_b32 v1, v3, v5, v1
	v_trunc_f32_e32 v1, v1
	v_mul_f32_e32 v3, 0x2f800000, v1
	v_floor_f32_e32 v3, v3
	v_fmac_f32_e32 v1, 0xcf800000, v3
	v_cvt_u32_f32_e32 v11, v1
	v_cvt_u32_f32_e32 v12, v3
.LBB372_1412:
	s_or_b64 exec, exec, s[6:7]
.LBB372_1413:
	s_mov_b64 s[6:7], -1
.LBB372_1414:
	s_mov_b64 s[12:13], 0
.LBB372_1415:
	s_and_b64 vcc, exec, s[12:13]
	s_cbranch_vccz .LBB372_1444
; %bb.1416:
	s_cmp_gt_i32 s15, 22
	s_cbranch_scc0 .LBB372_1426
; %bb.1417:
	s_cmp_lt_i32 s15, 24
	s_cbranch_scc1 .LBB372_1427
; %bb.1418:
	s_cmp_gt_i32 s15, 24
	s_cbranch_scc0 .LBB372_1428
; %bb.1419:
	global_load_ubyte v1, v[14:15], off
	s_movk_i32 s4, 0x7f
	s_mov_b64 s[6:7], 0
	s_waitcnt vmcnt(0)
	v_cmp_lt_i16_e32 vcc, s4, v1
	s_and_saveexec_b64 s[4:5], vcc
	s_xor_b64 s[4:5], exec, s[4:5]
; %bb.1420:
	s_movk_i32 s6, 0x80
	v_cmp_ne_u16_e32 vcc, s6, v1
	s_and_b64 s[6:7], vcc, exec
; %bb.1421:
	s_andn2_saveexec_b64 s[4:5], s[4:5]
; %bb.1422:
	v_cmp_ne_u16_e32 vcc, 0, v1
	s_andn2_b64 s[6:7], s[6:7], exec
	s_and_b64 s[12:13], vcc, exec
	s_or_b64 s[6:7], s[6:7], s[12:13]
; %bb.1423:
	s_or_b64 exec, exec, s[4:5]
	v_mov_b32_e32 v11, 0
	v_mov_b32_e32 v12, 0
	s_and_saveexec_b64 s[4:5], s[6:7]
	s_cbranch_execz .LBB372_1425
; %bb.1424:
	v_lshlrev_b32_e32 v3, 24, v1
	v_and_b32_e32 v1, 0xffff, v1
	v_and_b32_e32 v5, 3, v1
	v_ffbh_u32_e32 v12, v5
	v_min_u32_e32 v12, 32, v12
	v_subrev_u32_e32 v16, 29, v12
	v_bfe_u32 v11, v1, 2, 5
	v_lshlrev_b32_e32 v1, v16, v1
	v_sub_u32_e32 v12, 30, v12
	v_and_b32_e32 v1, 3, v1
	v_cmp_eq_u32_e32 vcc, 0, v11
	v_cndmask_b32_e32 v11, v11, v12, vcc
	v_cndmask_b32_e32 v1, v5, v1, vcc
	v_mov_b32_e32 v5, 0x37800000
	v_lshlrev_b32_e32 v1, 21, v1
	v_and_b32_e32 v3, 0x80000000, v3
	v_lshl_add_u32 v5, v11, 23, v5
	v_or3_b32 v1, v3, v5, v1
	v_trunc_f32_e32 v1, v1
	v_mul_f32_e32 v3, 0x2f800000, v1
	v_floor_f32_e32 v3, v3
	v_fmac_f32_e32 v1, 0xcf800000, v3
	v_cvt_u32_f32_e32 v11, v1
	v_cvt_u32_f32_e32 v12, v3
.LBB372_1425:
	s_or_b64 exec, exec, s[4:5]
	s_mov_b64 s[4:5], 0
	s_branch .LBB372_1429
.LBB372_1426:
	s_mov_b64 s[4:5], -1
                                        ; implicit-def: $vgpr11_vgpr12
	s_branch .LBB372_1435
.LBB372_1427:
	s_mov_b64 s[4:5], -1
                                        ; implicit-def: $vgpr11_vgpr12
	s_branch .LBB372_1432
.LBB372_1428:
	s_mov_b64 s[4:5], -1
                                        ; implicit-def: $vgpr11_vgpr12
.LBB372_1429:
	s_and_b64 vcc, exec, s[4:5]
	s_cbranch_vccz .LBB372_1431
; %bb.1430:
	global_load_ubyte v1, v[14:15], off
	s_mov_b32 s4, 0x7f800000
	s_brev_b32 s5, 1
	s_waitcnt vmcnt(0)
	v_lshlrev_b32_e32 v1, 24, v1
	v_and_b32_e32 v3, 0x7f000000, v1
	v_ffbh_u32_e32 v5, v3
	v_min_u32_e32 v5, 32, v5
	v_sub_u32_e64 v5, v5, 4 clamp
	v_lshlrev_b32_e32 v12, v5, v3
	v_lshlrev_b32_e32 v5, 23, v5
	v_lshrrev_b32_e32 v12, 4, v12
	v_add_u32_e32 v11, 0x1000000, v3
	v_sub_u32_e32 v5, v12, v5
	v_ashrrev_i32_e32 v11, 8, v11
	v_add_u32_e32 v5, 0x3c000000, v5
	v_and_or_b32 v5, v11, s4, v5
	v_cmp_ne_u32_e32 vcc, 0, v3
	v_cndmask_b32_e32 v3, 0, v5, vcc
	v_and_or_b32 v1, v1, s5, v3
	v_trunc_f32_e32 v1, v1
	v_mul_f32_e32 v3, 0x2f800000, v1
	v_floor_f32_e32 v3, v3
	v_fmac_f32_e32 v1, 0xcf800000, v3
	v_cvt_u32_f32_e32 v11, v1
	v_cvt_u32_f32_e32 v12, v3
.LBB372_1431:
	s_mov_b64 s[4:5], 0
.LBB372_1432:
	s_andn2_b64 vcc, exec, s[4:5]
	s_cbranch_vccnz .LBB372_1434
; %bb.1433:
	global_load_ubyte v1, v[14:15], off
	s_movk_i32 s4, 0x7f00
	s_brev_b32 s5, 16
	s_brev_b32 s6, 1
	s_waitcnt vmcnt(0)
	v_lshlrev_b16_e32 v3, 8, v1
	v_lshlrev_b32_e32 v1, 25, v1
	v_lshrrev_b32_e32 v5, 4, v1
	v_and_or_b32 v11, v3, s4, 0.5
	v_or_b32_e32 v5, 0x70000000, v5
	v_add_f32_e32 v11, -0.5, v11
	v_mul_f32_e32 v5, 0x7800000, v5
	v_cmp_gt_u32_e32 vcc, s5, v1
	v_bfe_i32 v3, v3, 0, 16
	v_cndmask_b32_e32 v1, v5, v11, vcc
	v_and_or_b32 v1, v3, s6, v1
	v_trunc_f32_e32 v1, v1
	v_mul_f32_e32 v3, 0x2f800000, v1
	v_floor_f32_e32 v3, v3
	v_fmac_f32_e32 v1, 0xcf800000, v3
	v_cvt_u32_f32_e32 v11, v1
	v_cvt_u32_f32_e32 v12, v3
.LBB372_1434:
	s_mov_b64 s[4:5], 0
	s_mov_b64 s[6:7], -1
.LBB372_1435:
	s_andn2_b64 vcc, exec, s[4:5]
	s_mov_b64 s[4:5], 0
	s_cbranch_vccnz .LBB372_1444
; %bb.1436:
	s_cmp_gt_i32 s15, 14
	s_cbranch_scc0 .LBB372_1439
; %bb.1437:
	s_cmp_eq_u32 s15, 15
	s_cbranch_scc0 .LBB372_1440
; %bb.1438:
	global_load_ushort v1, v[14:15], off
	s_mov_b64 s[0:1], 0
	s_mov_b64 s[6:7], -1
	s_waitcnt vmcnt(0)
	v_lshlrev_b32_e32 v1, 16, v1
	v_trunc_f32_e32 v1, v1
	v_mul_f32_e32 v3, 0x2f800000, v1
	v_floor_f32_e32 v3, v3
	v_fmac_f32_e32 v1, 0xcf800000, v3
	v_cvt_u32_f32_e32 v11, v1
	v_cvt_u32_f32_e32 v12, v3
	s_branch .LBB372_1441
.LBB372_1439:
	s_mov_b64 s[12:13], -1
                                        ; implicit-def: $vgpr11_vgpr12
	s_branch .LBB372_1442
.LBB372_1440:
	s_mov_b64 s[0:1], -1
                                        ; implicit-def: $vgpr11_vgpr12
.LBB372_1441:
	s_mov_b64 s[12:13], 0
.LBB372_1442:
	s_and_b64 vcc, exec, s[12:13]
	s_cbranch_vccz .LBB372_1444
; %bb.1443:
	s_cmp_lg_u32 s15, 11
	s_mov_b64 s[4:5], -1
	s_cselect_b64 s[0:1], -1, 0
.LBB372_1444:
	s_and_b64 vcc, exec, s[0:1]
	s_cbranch_vccnz .LBB372_1507
; %bb.1445:
	s_andn2_b64 vcc, exec, s[4:5]
	s_cbranch_vccnz .LBB372_1447
.LBB372_1446:
	global_load_ubyte v1, v[14:15], off
	s_mov_b32 s0, 0
	s_waitcnt vmcnt(1)
	v_mov_b32_e32 v12, s0
	s_mov_b64 s[6:7], -1
	s_waitcnt vmcnt(0)
	v_cmp_ne_u16_e32 vcc, 0, v1
	v_cndmask_b32_e64 v11, 0, 1, vcc
.LBB372_1447:
	s_branch .LBB372_1379
.LBB372_1448:
	s_and_b32 s4, 0xffff, s14
	s_cmp_lt_i32 s4, 5
	s_cbranch_scc1 .LBB372_1453
; %bb.1449:
	s_cmp_lt_i32 s4, 8
	s_cbranch_scc1 .LBB372_1454
; %bb.1450:
	;; [unrolled: 3-line block ×3, first 2 shown]
	s_cmp_gt_i32 s4, 9
	s_cbranch_scc0 .LBB372_1456
; %bb.1452:
	global_load_dwordx2 v[11:12], v[14:15], off
	s_movk_i32 s0, 0xffe0
	s_waitcnt vmcnt(0)
	v_trunc_f64_e32 v[11:12], v[11:12]
	v_ldexp_f64 v[16:17], v[11:12], s0
	s_mov_b32 s0, 0
	s_mov_b32 s1, 0xc1f00000
	v_floor_f64_e32 v[16:17], v[16:17]
	v_fma_f64 v[18:19], v[16:17], s[0:1], v[11:12]
	v_cvt_u32_f64_e32 v12, v[16:17]
	s_mov_b64 s[0:1], 0
	v_cvt_u32_f64_e32 v11, v[18:19]
	s_branch .LBB372_1457
.LBB372_1453:
	s_mov_b64 s[0:1], -1
                                        ; implicit-def: $vgpr11_vgpr12
	s_branch .LBB372_1475
.LBB372_1454:
	s_mov_b64 s[0:1], -1
                                        ; implicit-def: $vgpr11_vgpr12
	s_branch .LBB372_1463
.LBB372_1455:
	s_mov_b64 s[0:1], -1
                                        ; implicit-def: $vgpr11_vgpr12
	s_branch .LBB372_1460
.LBB372_1456:
	s_mov_b64 s[0:1], -1
                                        ; implicit-def: $vgpr11_vgpr12
.LBB372_1457:
	s_andn2_b64 vcc, exec, s[0:1]
	s_cbranch_vccnz .LBB372_1459
; %bb.1458:
	global_load_dword v1, v[14:15], off
	s_waitcnt vmcnt(0)
	v_trunc_f32_e32 v1, v1
	v_mul_f32_e32 v3, 0x2f800000, v1
	v_floor_f32_e32 v3, v3
	v_fmac_f32_e32 v1, 0xcf800000, v3
	v_cvt_u32_f32_e32 v12, v3
	v_cvt_u32_f32_e32 v11, v1
.LBB372_1459:
	s_mov_b64 s[0:1], 0
.LBB372_1460:
	s_andn2_b64 vcc, exec, s[0:1]
	s_cbranch_vccnz .LBB372_1462
; %bb.1461:
	global_load_dword v1, v[14:15], off
	s_waitcnt vmcnt(1)
	v_mov_b32_e32 v12, 0
	s_waitcnt vmcnt(0)
	v_cvt_f32_f16_e32 v1, v1
	v_cvt_u32_f32_e32 v11, v1
.LBB372_1462:
	s_mov_b64 s[0:1], 0
.LBB372_1463:
	s_andn2_b64 vcc, exec, s[0:1]
	s_cbranch_vccnz .LBB372_1474
; %bb.1464:
	s_cmp_lt_i32 s4, 6
	s_cbranch_scc1 .LBB372_1467
; %bb.1465:
	s_cmp_gt_i32 s4, 6
	s_cbranch_scc0 .LBB372_1468
; %bb.1466:
	global_load_dwordx2 v[11:12], v[14:15], off
	s_movk_i32 s0, 0xffe0
	s_waitcnt vmcnt(0)
	v_trunc_f64_e32 v[11:12], v[11:12]
	v_ldexp_f64 v[16:17], v[11:12], s0
	s_mov_b32 s0, 0
	s_mov_b32 s1, 0xc1f00000
	v_floor_f64_e32 v[16:17], v[16:17]
	v_fma_f64 v[18:19], v[16:17], s[0:1], v[11:12]
	v_cvt_u32_f64_e32 v12, v[16:17]
	s_mov_b64 s[0:1], 0
	v_cvt_u32_f64_e32 v11, v[18:19]
	s_branch .LBB372_1469
.LBB372_1467:
	s_mov_b64 s[0:1], -1
                                        ; implicit-def: $vgpr11_vgpr12
	s_branch .LBB372_1472
.LBB372_1468:
	s_mov_b64 s[0:1], -1
                                        ; implicit-def: $vgpr11_vgpr12
.LBB372_1469:
	s_andn2_b64 vcc, exec, s[0:1]
	s_cbranch_vccnz .LBB372_1471
; %bb.1470:
	global_load_dword v1, v[14:15], off
	s_waitcnt vmcnt(0)
	v_trunc_f32_e32 v1, v1
	v_mul_f32_e32 v3, 0x2f800000, v1
	v_floor_f32_e32 v3, v3
	v_fmac_f32_e32 v1, 0xcf800000, v3
	v_cvt_u32_f32_e32 v12, v3
	v_cvt_u32_f32_e32 v11, v1
.LBB372_1471:
	s_mov_b64 s[0:1], 0
.LBB372_1472:
	s_andn2_b64 vcc, exec, s[0:1]
	s_cbranch_vccnz .LBB372_1474
; %bb.1473:
	global_load_ushort v1, v[14:15], off
	s_waitcnt vmcnt(1)
	v_mov_b32_e32 v12, 0
	s_waitcnt vmcnt(0)
	v_cvt_f32_f16_e32 v1, v1
	v_cvt_u32_f32_e32 v11, v1
.LBB372_1474:
	s_mov_b64 s[0:1], 0
.LBB372_1475:
	s_andn2_b64 vcc, exec, s[0:1]
	s_cbranch_vccnz .LBB372_1495
; %bb.1476:
	s_cmp_lt_i32 s4, 2
	s_cbranch_scc1 .LBB372_1480
; %bb.1477:
	s_cmp_lt_i32 s4, 3
	s_cbranch_scc1 .LBB372_1481
; %bb.1478:
	s_cmp_gt_i32 s4, 3
	s_cbranch_scc0 .LBB372_1482
; %bb.1479:
	global_load_dwordx2 v[11:12], v[14:15], off
	s_mov_b64 s[0:1], 0
	s_branch .LBB372_1483
.LBB372_1480:
	s_mov_b64 s[0:1], -1
                                        ; implicit-def: $vgpr11_vgpr12
	s_branch .LBB372_1489
.LBB372_1481:
	s_mov_b64 s[0:1], -1
                                        ; implicit-def: $vgpr11_vgpr12
	s_branch .LBB372_1486
.LBB372_1482:
	s_mov_b64 s[0:1], -1
                                        ; implicit-def: $vgpr11_vgpr12
.LBB372_1483:
	s_andn2_b64 vcc, exec, s[0:1]
	s_cbranch_vccnz .LBB372_1485
; %bb.1484:
	global_load_dword v11, v[14:15], off
	s_waitcnt vmcnt(0)
	v_ashrrev_i32_e32 v12, 31, v11
.LBB372_1485:
	s_mov_b64 s[0:1], 0
.LBB372_1486:
	s_andn2_b64 vcc, exec, s[0:1]
	s_cbranch_vccnz .LBB372_1488
; %bb.1487:
	global_load_ushort v1, v[14:15], off
	s_waitcnt vmcnt(0)
	v_bfe_i32 v11, v1, 0, 16
	v_ashrrev_i32_e32 v12, 31, v11
.LBB372_1488:
	s_mov_b64 s[0:1], 0
.LBB372_1489:
	s_andn2_b64 vcc, exec, s[0:1]
	s_cbranch_vccnz .LBB372_1495
; %bb.1490:
	s_cmp_gt_i32 s4, 0
	s_cbranch_scc0 .LBB372_1492
; %bb.1491:
	global_load_sbyte v1, v[14:15], off
	s_mov_b64 s[0:1], 0
	s_waitcnt vmcnt(0)
	v_bfe_i32 v11, v1, 0, 16
	v_ashrrev_i32_e32 v12, 31, v11
	s_branch .LBB372_1493
.LBB372_1492:
	s_mov_b64 s[0:1], -1
                                        ; implicit-def: $vgpr11_vgpr12
.LBB372_1493:
	s_andn2_b64 vcc, exec, s[0:1]
	s_cbranch_vccnz .LBB372_1495
; %bb.1494:
	global_load_ubyte v1, v[14:15], off
	s_mov_b32 s0, 0
	s_waitcnt vmcnt(1)
	v_mov_b32_e32 v12, s0
	s_waitcnt vmcnt(0)
	v_and_b32_e32 v11, 0xffff, v1
.LBB372_1495:
.LBB372_1496:
	v_mov_b32_e32 v1, s11
	v_add_co_u32_e32 v15, vcc, s10, v13
	s_cmp_lt_i32 s14, 11
	v_addc_co_u32_e32 v16, vcc, 0, v1, vcc
	s_cbranch_scc1 .LBB372_1503
; %bb.1497:
	s_and_b32 s12, 0xffff, s14
	s_cmp_gt_i32 s12, 25
	s_mov_b64 s[4:5], 0
	s_cbranch_scc0 .LBB372_1504
; %bb.1498:
	s_cmp_gt_i32 s12, 28
	s_cbranch_scc0 .LBB372_1505
; %bb.1499:
	s_cmp_gt_i32 s12, 43
	;; [unrolled: 3-line block ×3, first 2 shown]
	s_cbranch_scc0 .LBB372_1508
; %bb.1501:
	s_cmp_eq_u32 s12, 46
	s_mov_b64 s[10:11], 0
	s_cbranch_scc0 .LBB372_1509
; %bb.1502:
	global_load_dword v1, v[15:16], off
	s_mov_b64 s[0:1], 0
	s_mov_b64 s[6:7], -1
	s_waitcnt vmcnt(0)
	v_lshlrev_b32_e32 v1, 16, v1
	v_trunc_f32_e32 v1, v1
	v_mul_f32_e32 v3, 0x2f800000, v1
	v_floor_f32_e32 v3, v3
	v_fmac_f32_e32 v1, 0xcf800000, v3
	v_cvt_u32_f32_e32 v13, v1
	v_cvt_u32_f32_e32 v14, v3
	s_branch .LBB372_1510
.LBB372_1503:
	s_mov_b64 s[0:1], -1
	s_mov_b64 s[6:7], 0
                                        ; implicit-def: $vgpr13_vgpr14
	s_branch .LBB372_1572
.LBB372_1504:
	s_mov_b64 s[10:11], -1
	s_mov_b64 s[6:7], 0
	s_mov_b64 s[0:1], 0
                                        ; implicit-def: $vgpr13_vgpr14
	s_branch .LBB372_1539
.LBB372_1505:
	s_mov_b64 s[10:11], -1
	s_mov_b64 s[6:7], 0
	s_mov_b64 s[0:1], 0
                                        ; implicit-def: $vgpr13_vgpr14
	s_branch .LBB372_1520
.LBB372_1506:
	s_mov_b64 s[10:11], -1
	s_mov_b64 s[6:7], 0
	s_mov_b64 s[0:1], 0
                                        ; implicit-def: $vgpr13_vgpr14
	s_branch .LBB372_1515
.LBB372_1507:
	s_trap 2
	s_or_b64 s[2:3], s[2:3], exec
	s_cbranch_execz .LBB372_1446
	s_branch .LBB372_1447
.LBB372_1508:
	s_mov_b64 s[10:11], -1
	s_mov_b64 s[6:7], 0
	s_mov_b64 s[0:1], 0
                                        ; implicit-def: $vgpr13_vgpr14
	s_branch .LBB372_1510
.LBB372_1509:
	s_mov_b64 s[0:1], -1
                                        ; implicit-def: $vgpr13_vgpr14
	s_mov_b64 s[6:7], 0
.LBB372_1510:
	s_and_b64 vcc, exec, s[10:11]
	s_cbranch_vccz .LBB372_1514
; %bb.1511:
	s_cmp_eq_u32 s12, 44
	s_cbranch_scc0 .LBB372_1513
; %bb.1512:
	global_load_ubyte v1, v[15:16], off
	s_mov_b64 s[0:1], 0
	s_mov_b64 s[6:7], -1
	s_waitcnt vmcnt(0)
	v_lshlrev_b32_e32 v3, 23, v1
	v_trunc_f32_e32 v3, v3
	v_mul_f32_e32 v5, 0x2f800000, v3
	v_floor_f32_e32 v5, v5
	v_fmac_f32_e32 v3, 0xcf800000, v5
	v_cvt_u32_f32_e32 v5, v5
	v_cvt_u32_f32_e32 v3, v3
	v_cmp_ne_u32_e32 vcc, 0, v1
	v_cndmask_b32_e32 v14, 0, v5, vcc
	v_cndmask_b32_e32 v13, 0, v3, vcc
	s_branch .LBB372_1514
.LBB372_1513:
	s_mov_b64 s[0:1], -1
                                        ; implicit-def: $vgpr13_vgpr14
.LBB372_1514:
	s_mov_b64 s[10:11], 0
.LBB372_1515:
	s_and_b64 vcc, exec, s[10:11]
	s_cbranch_vccz .LBB372_1519
; %bb.1516:
	s_cmp_eq_u32 s12, 29
	s_cbranch_scc0 .LBB372_1518
; %bb.1517:
	global_load_dwordx2 v[13:14], v[15:16], off
	s_mov_b64 s[0:1], 0
	s_mov_b64 s[6:7], -1
	s_branch .LBB372_1519
.LBB372_1518:
	s_mov_b64 s[0:1], -1
                                        ; implicit-def: $vgpr13_vgpr14
.LBB372_1519:
	s_mov_b64 s[10:11], 0
.LBB372_1520:
	s_and_b64 vcc, exec, s[10:11]
	s_cbranch_vccz .LBB372_1538
; %bb.1521:
	s_cmp_lt_i32 s12, 27
	s_cbranch_scc1 .LBB372_1524
; %bb.1522:
	s_cmp_gt_i32 s12, 27
	s_cbranch_scc0 .LBB372_1525
; %bb.1523:
	global_load_dword v13, v[15:16], off
	s_waitcnt vmcnt(1)
	v_mov_b32_e32 v14, 0
	s_mov_b64 s[6:7], 0
	s_branch .LBB372_1526
.LBB372_1524:
	s_mov_b64 s[6:7], -1
                                        ; implicit-def: $vgpr13_vgpr14
	s_branch .LBB372_1529
.LBB372_1525:
	s_mov_b64 s[6:7], -1
                                        ; implicit-def: $vgpr13_vgpr14
.LBB372_1526:
	s_andn2_b64 vcc, exec, s[6:7]
	s_cbranch_vccnz .LBB372_1528
; %bb.1527:
	global_load_ushort v1, v[15:16], off
	s_mov_b32 s6, 0
	s_waitcnt vmcnt(1)
	v_mov_b32_e32 v14, s6
	s_waitcnt vmcnt(0)
	v_and_b32_e32 v13, 0xffff, v1
.LBB372_1528:
	s_mov_b64 s[6:7], 0
.LBB372_1529:
	s_andn2_b64 vcc, exec, s[6:7]
	s_cbranch_vccnz .LBB372_1537
; %bb.1530:
	global_load_ubyte v1, v[15:16], off
	s_movk_i32 s6, 0x7f
	s_mov_b64 s[10:11], 0
	s_waitcnt vmcnt(0)
	v_cmp_lt_i16_e32 vcc, s6, v1
	s_and_saveexec_b64 s[6:7], vcc
	s_xor_b64 s[6:7], exec, s[6:7]
; %bb.1531:
	s_movk_i32 s10, 0x80
	v_cmp_ne_u16_e32 vcc, s10, v1
	s_and_b64 s[10:11], vcc, exec
; %bb.1532:
	s_andn2_saveexec_b64 s[6:7], s[6:7]
; %bb.1533:
	v_cmp_ne_u16_e32 vcc, 0, v1
	s_andn2_b64 s[10:11], s[10:11], exec
	s_and_b64 s[16:17], vcc, exec
	s_or_b64 s[10:11], s[10:11], s[16:17]
; %bb.1534:
	s_or_b64 exec, exec, s[6:7]
	v_mov_b32_e32 v13, 0
	v_mov_b32_e32 v14, 0
	s_and_saveexec_b64 s[6:7], s[10:11]
	s_cbranch_execz .LBB372_1536
; %bb.1535:
	v_lshlrev_b32_e32 v3, 24, v1
	v_and_b32_e32 v1, 0xffff, v1
	v_and_b32_e32 v5, 7, v1
	v_ffbh_u32_e32 v14, v5
	v_min_u32_e32 v14, 32, v14
	v_subrev_u32_e32 v17, 28, v14
	v_bfe_u32 v13, v1, 3, 4
	v_lshlrev_b32_e32 v1, v17, v1
	v_sub_u32_e32 v14, 29, v14
	v_and_b32_e32 v1, 7, v1
	v_cmp_eq_u32_e32 vcc, 0, v13
	v_cndmask_b32_e32 v13, v13, v14, vcc
	v_cndmask_b32_e32 v1, v5, v1, vcc
	v_mov_b32_e32 v5, 0x3b800000
	v_lshlrev_b32_e32 v1, 20, v1
	v_and_b32_e32 v3, 0x80000000, v3
	v_lshl_add_u32 v5, v13, 23, v5
	v_or3_b32 v1, v3, v5, v1
	v_trunc_f32_e32 v1, v1
	v_mul_f32_e32 v3, 0x2f800000, v1
	v_floor_f32_e32 v3, v3
	v_fmac_f32_e32 v1, 0xcf800000, v3
	v_cvt_u32_f32_e32 v13, v1
	v_cvt_u32_f32_e32 v14, v3
.LBB372_1536:
	s_or_b64 exec, exec, s[6:7]
.LBB372_1537:
	s_mov_b64 s[6:7], -1
.LBB372_1538:
	s_mov_b64 s[10:11], 0
.LBB372_1539:
	s_and_b64 vcc, exec, s[10:11]
	s_cbranch_vccz .LBB372_1568
; %bb.1540:
	s_cmp_gt_i32 s12, 22
	s_cbranch_scc0 .LBB372_1550
; %bb.1541:
	s_cmp_lt_i32 s12, 24
	s_cbranch_scc1 .LBB372_1551
; %bb.1542:
	s_cmp_gt_i32 s12, 24
	s_cbranch_scc0 .LBB372_1552
; %bb.1543:
	global_load_ubyte v1, v[15:16], off
	s_movk_i32 s4, 0x7f
	s_mov_b64 s[6:7], 0
	s_waitcnt vmcnt(0)
	v_cmp_lt_i16_e32 vcc, s4, v1
	s_and_saveexec_b64 s[4:5], vcc
	s_xor_b64 s[4:5], exec, s[4:5]
; %bb.1544:
	s_movk_i32 s6, 0x80
	v_cmp_ne_u16_e32 vcc, s6, v1
	s_and_b64 s[6:7], vcc, exec
; %bb.1545:
	s_andn2_saveexec_b64 s[4:5], s[4:5]
; %bb.1546:
	v_cmp_ne_u16_e32 vcc, 0, v1
	s_andn2_b64 s[6:7], s[6:7], exec
	s_and_b64 s[10:11], vcc, exec
	s_or_b64 s[6:7], s[6:7], s[10:11]
; %bb.1547:
	s_or_b64 exec, exec, s[4:5]
	v_mov_b32_e32 v13, 0
	v_mov_b32_e32 v14, 0
	s_and_saveexec_b64 s[4:5], s[6:7]
	s_cbranch_execz .LBB372_1549
; %bb.1548:
	v_lshlrev_b32_e32 v3, 24, v1
	v_and_b32_e32 v1, 0xffff, v1
	v_and_b32_e32 v5, 3, v1
	v_ffbh_u32_e32 v14, v5
	v_min_u32_e32 v14, 32, v14
	v_subrev_u32_e32 v17, 29, v14
	v_bfe_u32 v13, v1, 2, 5
	v_lshlrev_b32_e32 v1, v17, v1
	v_sub_u32_e32 v14, 30, v14
	v_and_b32_e32 v1, 3, v1
	v_cmp_eq_u32_e32 vcc, 0, v13
	v_cndmask_b32_e32 v13, v13, v14, vcc
	v_cndmask_b32_e32 v1, v5, v1, vcc
	v_mov_b32_e32 v5, 0x37800000
	v_lshlrev_b32_e32 v1, 21, v1
	v_and_b32_e32 v3, 0x80000000, v3
	v_lshl_add_u32 v5, v13, 23, v5
	v_or3_b32 v1, v3, v5, v1
	v_trunc_f32_e32 v1, v1
	v_mul_f32_e32 v3, 0x2f800000, v1
	v_floor_f32_e32 v3, v3
	v_fmac_f32_e32 v1, 0xcf800000, v3
	v_cvt_u32_f32_e32 v13, v1
	v_cvt_u32_f32_e32 v14, v3
.LBB372_1549:
	s_or_b64 exec, exec, s[4:5]
	s_mov_b64 s[4:5], 0
	s_branch .LBB372_1553
.LBB372_1550:
	s_mov_b64 s[4:5], -1
                                        ; implicit-def: $vgpr13_vgpr14
	s_branch .LBB372_1559
.LBB372_1551:
	s_mov_b64 s[4:5], -1
                                        ; implicit-def: $vgpr13_vgpr14
	s_branch .LBB372_1556
.LBB372_1552:
	s_mov_b64 s[4:5], -1
                                        ; implicit-def: $vgpr13_vgpr14
.LBB372_1553:
	s_and_b64 vcc, exec, s[4:5]
	s_cbranch_vccz .LBB372_1555
; %bb.1554:
	global_load_ubyte v1, v[15:16], off
	s_mov_b32 s4, 0x7f800000
	s_brev_b32 s5, 1
	s_waitcnt vmcnt(0)
	v_lshlrev_b32_e32 v1, 24, v1
	v_and_b32_e32 v3, 0x7f000000, v1
	v_ffbh_u32_e32 v5, v3
	v_min_u32_e32 v5, 32, v5
	v_sub_u32_e64 v5, v5, 4 clamp
	v_lshlrev_b32_e32 v14, v5, v3
	v_lshlrev_b32_e32 v5, 23, v5
	v_lshrrev_b32_e32 v14, 4, v14
	v_add_u32_e32 v13, 0x1000000, v3
	v_sub_u32_e32 v5, v14, v5
	v_ashrrev_i32_e32 v13, 8, v13
	v_add_u32_e32 v5, 0x3c000000, v5
	v_and_or_b32 v5, v13, s4, v5
	v_cmp_ne_u32_e32 vcc, 0, v3
	v_cndmask_b32_e32 v3, 0, v5, vcc
	v_and_or_b32 v1, v1, s5, v3
	v_trunc_f32_e32 v1, v1
	v_mul_f32_e32 v3, 0x2f800000, v1
	v_floor_f32_e32 v3, v3
	v_fmac_f32_e32 v1, 0xcf800000, v3
	v_cvt_u32_f32_e32 v13, v1
	v_cvt_u32_f32_e32 v14, v3
.LBB372_1555:
	s_mov_b64 s[4:5], 0
.LBB372_1556:
	s_andn2_b64 vcc, exec, s[4:5]
	s_cbranch_vccnz .LBB372_1558
; %bb.1557:
	global_load_ubyte v1, v[15:16], off
	s_movk_i32 s4, 0x7f00
	s_brev_b32 s5, 16
	s_brev_b32 s6, 1
	s_waitcnt vmcnt(0)
	v_lshlrev_b16_e32 v3, 8, v1
	v_lshlrev_b32_e32 v1, 25, v1
	v_lshrrev_b32_e32 v5, 4, v1
	v_and_or_b32 v13, v3, s4, 0.5
	v_or_b32_e32 v5, 0x70000000, v5
	v_add_f32_e32 v13, -0.5, v13
	v_mul_f32_e32 v5, 0x7800000, v5
	v_cmp_gt_u32_e32 vcc, s5, v1
	v_bfe_i32 v3, v3, 0, 16
	v_cndmask_b32_e32 v1, v5, v13, vcc
	v_and_or_b32 v1, v3, s6, v1
	v_trunc_f32_e32 v1, v1
	v_mul_f32_e32 v3, 0x2f800000, v1
	v_floor_f32_e32 v3, v3
	v_fmac_f32_e32 v1, 0xcf800000, v3
	v_cvt_u32_f32_e32 v13, v1
	v_cvt_u32_f32_e32 v14, v3
.LBB372_1558:
	s_mov_b64 s[4:5], 0
	s_mov_b64 s[6:7], -1
.LBB372_1559:
	s_andn2_b64 vcc, exec, s[4:5]
	s_mov_b64 s[4:5], 0
	s_cbranch_vccnz .LBB372_1568
; %bb.1560:
	s_cmp_gt_i32 s12, 14
	s_cbranch_scc0 .LBB372_1563
; %bb.1561:
	s_cmp_eq_u32 s12, 15
	s_cbranch_scc0 .LBB372_1564
; %bb.1562:
	global_load_ushort v1, v[15:16], off
	s_mov_b64 s[0:1], 0
	s_mov_b64 s[6:7], -1
	s_waitcnt vmcnt(0)
	v_lshlrev_b32_e32 v1, 16, v1
	v_trunc_f32_e32 v1, v1
	v_mul_f32_e32 v3, 0x2f800000, v1
	v_floor_f32_e32 v3, v3
	v_fmac_f32_e32 v1, 0xcf800000, v3
	v_cvt_u32_f32_e32 v13, v1
	v_cvt_u32_f32_e32 v14, v3
	s_branch .LBB372_1565
.LBB372_1563:
	s_mov_b64 s[10:11], -1
                                        ; implicit-def: $vgpr13_vgpr14
	s_branch .LBB372_1566
.LBB372_1564:
	s_mov_b64 s[0:1], -1
                                        ; implicit-def: $vgpr13_vgpr14
.LBB372_1565:
	s_mov_b64 s[10:11], 0
.LBB372_1566:
	s_and_b64 vcc, exec, s[10:11]
	s_cbranch_vccz .LBB372_1568
; %bb.1567:
	s_cmp_lg_u32 s12, 11
	s_mov_b64 s[4:5], -1
	s_cselect_b64 s[0:1], -1, 0
.LBB372_1568:
	s_and_b64 vcc, exec, s[0:1]
	s_cbranch_vccnz .LBB372_2101
; %bb.1569:
	s_andn2_b64 vcc, exec, s[4:5]
	s_cbranch_vccnz .LBB372_1571
.LBB372_1570:
	global_load_ubyte v1, v[15:16], off
	s_mov_b32 s0, 0
	s_waitcnt vmcnt(1)
	v_mov_b32_e32 v14, s0
	s_mov_b64 s[6:7], -1
	s_waitcnt vmcnt(0)
	v_cmp_ne_u16_e32 vcc, 0, v1
	v_cndmask_b32_e64 v13, 0, 1, vcc
.LBB372_1571:
	s_mov_b64 s[0:1], 0
.LBB372_1572:
	s_and_b64 vcc, exec, s[0:1]
	s_cbranch_vccz .LBB372_1621
; %bb.1573:
	s_and_b32 s4, 0xffff, s14
	s_cmp_lt_i32 s4, 5
	s_cbranch_scc1 .LBB372_1578
; %bb.1574:
	s_cmp_lt_i32 s4, 8
	s_cbranch_scc1 .LBB372_1579
; %bb.1575:
	;; [unrolled: 3-line block ×3, first 2 shown]
	s_cmp_gt_i32 s4, 9
	s_cbranch_scc0 .LBB372_1581
; %bb.1577:
	global_load_dwordx2 v[13:14], v[15:16], off
	s_movk_i32 s0, 0xffe0
	s_waitcnt vmcnt(0)
	v_trunc_f64_e32 v[13:14], v[13:14]
	v_ldexp_f64 v[17:18], v[13:14], s0
	s_mov_b32 s0, 0
	s_mov_b32 s1, 0xc1f00000
	v_floor_f64_e32 v[17:18], v[17:18]
	v_fma_f64 v[19:20], v[17:18], s[0:1], v[13:14]
	v_cvt_u32_f64_e32 v14, v[17:18]
	s_mov_b64 s[0:1], 0
	v_cvt_u32_f64_e32 v13, v[19:20]
	s_branch .LBB372_1582
.LBB372_1578:
	s_mov_b64 s[0:1], -1
                                        ; implicit-def: $vgpr13_vgpr14
	s_branch .LBB372_1600
.LBB372_1579:
	s_mov_b64 s[0:1], -1
                                        ; implicit-def: $vgpr13_vgpr14
	s_branch .LBB372_1588
.LBB372_1580:
	s_mov_b64 s[0:1], -1
                                        ; implicit-def: $vgpr13_vgpr14
	s_branch .LBB372_1585
.LBB372_1581:
	s_mov_b64 s[0:1], -1
                                        ; implicit-def: $vgpr13_vgpr14
.LBB372_1582:
	s_andn2_b64 vcc, exec, s[0:1]
	s_cbranch_vccnz .LBB372_1584
; %bb.1583:
	global_load_dword v1, v[15:16], off
	s_waitcnt vmcnt(0)
	v_trunc_f32_e32 v1, v1
	v_mul_f32_e32 v3, 0x2f800000, v1
	v_floor_f32_e32 v3, v3
	v_fmac_f32_e32 v1, 0xcf800000, v3
	v_cvt_u32_f32_e32 v14, v3
	v_cvt_u32_f32_e32 v13, v1
.LBB372_1584:
	s_mov_b64 s[0:1], 0
.LBB372_1585:
	s_andn2_b64 vcc, exec, s[0:1]
	s_cbranch_vccnz .LBB372_1587
; %bb.1586:
	global_load_dword v1, v[15:16], off
	s_waitcnt vmcnt(1)
	v_mov_b32_e32 v14, 0
	s_waitcnt vmcnt(0)
	v_cvt_f32_f16_e32 v1, v1
	v_cvt_u32_f32_e32 v13, v1
.LBB372_1587:
	s_mov_b64 s[0:1], 0
.LBB372_1588:
	s_andn2_b64 vcc, exec, s[0:1]
	s_cbranch_vccnz .LBB372_1599
; %bb.1589:
	s_cmp_lt_i32 s4, 6
	s_cbranch_scc1 .LBB372_1592
; %bb.1590:
	s_cmp_gt_i32 s4, 6
	s_cbranch_scc0 .LBB372_1593
; %bb.1591:
	global_load_dwordx2 v[13:14], v[15:16], off
	s_movk_i32 s0, 0xffe0
	s_waitcnt vmcnt(0)
	v_trunc_f64_e32 v[13:14], v[13:14]
	v_ldexp_f64 v[17:18], v[13:14], s0
	s_mov_b32 s0, 0
	s_mov_b32 s1, 0xc1f00000
	v_floor_f64_e32 v[17:18], v[17:18]
	v_fma_f64 v[19:20], v[17:18], s[0:1], v[13:14]
	v_cvt_u32_f64_e32 v14, v[17:18]
	s_mov_b64 s[0:1], 0
	v_cvt_u32_f64_e32 v13, v[19:20]
	s_branch .LBB372_1594
.LBB372_1592:
	s_mov_b64 s[0:1], -1
                                        ; implicit-def: $vgpr13_vgpr14
	s_branch .LBB372_1597
.LBB372_1593:
	s_mov_b64 s[0:1], -1
                                        ; implicit-def: $vgpr13_vgpr14
.LBB372_1594:
	s_andn2_b64 vcc, exec, s[0:1]
	s_cbranch_vccnz .LBB372_1596
; %bb.1595:
	global_load_dword v1, v[15:16], off
	s_waitcnt vmcnt(0)
	v_trunc_f32_e32 v1, v1
	v_mul_f32_e32 v3, 0x2f800000, v1
	v_floor_f32_e32 v3, v3
	v_fmac_f32_e32 v1, 0xcf800000, v3
	v_cvt_u32_f32_e32 v14, v3
	v_cvt_u32_f32_e32 v13, v1
.LBB372_1596:
	s_mov_b64 s[0:1], 0
.LBB372_1597:
	s_andn2_b64 vcc, exec, s[0:1]
	s_cbranch_vccnz .LBB372_1599
; %bb.1598:
	global_load_ushort v1, v[15:16], off
	s_waitcnt vmcnt(1)
	v_mov_b32_e32 v14, 0
	s_waitcnt vmcnt(0)
	v_cvt_f32_f16_e32 v1, v1
	v_cvt_u32_f32_e32 v13, v1
.LBB372_1599:
	s_mov_b64 s[0:1], 0
.LBB372_1600:
	s_andn2_b64 vcc, exec, s[0:1]
	s_cbranch_vccnz .LBB372_1620
; %bb.1601:
	s_cmp_lt_i32 s4, 2
	s_cbranch_scc1 .LBB372_1605
; %bb.1602:
	s_cmp_lt_i32 s4, 3
	s_cbranch_scc1 .LBB372_1606
; %bb.1603:
	s_cmp_gt_i32 s4, 3
	s_cbranch_scc0 .LBB372_1607
; %bb.1604:
	global_load_dwordx2 v[13:14], v[15:16], off
	s_mov_b64 s[0:1], 0
	s_branch .LBB372_1608
.LBB372_1605:
	s_mov_b64 s[0:1], -1
                                        ; implicit-def: $vgpr13_vgpr14
	s_branch .LBB372_1614
.LBB372_1606:
	s_mov_b64 s[0:1], -1
                                        ; implicit-def: $vgpr13_vgpr14
	s_branch .LBB372_1611
.LBB372_1607:
	s_mov_b64 s[0:1], -1
                                        ; implicit-def: $vgpr13_vgpr14
.LBB372_1608:
	s_andn2_b64 vcc, exec, s[0:1]
	s_cbranch_vccnz .LBB372_1610
; %bb.1609:
	global_load_dword v13, v[15:16], off
	s_waitcnt vmcnt(0)
	v_ashrrev_i32_e32 v14, 31, v13
.LBB372_1610:
	s_mov_b64 s[0:1], 0
.LBB372_1611:
	s_andn2_b64 vcc, exec, s[0:1]
	s_cbranch_vccnz .LBB372_1613
; %bb.1612:
	global_load_ushort v1, v[15:16], off
	s_waitcnt vmcnt(0)
	v_bfe_i32 v13, v1, 0, 16
	v_ashrrev_i32_e32 v14, 31, v13
.LBB372_1613:
	s_mov_b64 s[0:1], 0
.LBB372_1614:
	s_andn2_b64 vcc, exec, s[0:1]
	s_cbranch_vccnz .LBB372_1620
; %bb.1615:
	s_cmp_gt_i32 s4, 0
	s_cbranch_scc0 .LBB372_1617
; %bb.1616:
	global_load_sbyte v1, v[15:16], off
	s_mov_b64 s[0:1], 0
	s_waitcnt vmcnt(0)
	v_bfe_i32 v13, v1, 0, 16
	v_ashrrev_i32_e32 v14, 31, v13
	s_branch .LBB372_1618
.LBB372_1617:
	s_mov_b64 s[0:1], -1
                                        ; implicit-def: $vgpr13_vgpr14
.LBB372_1618:
	s_andn2_b64 vcc, exec, s[0:1]
	s_cbranch_vccnz .LBB372_1620
; %bb.1619:
	global_load_ubyte v1, v[15:16], off
	s_mov_b32 s0, 0
	s_waitcnt vmcnt(1)
	v_mov_b32_e32 v14, s0
	s_waitcnt vmcnt(0)
	v_and_b32_e32 v13, 0xffff, v1
.LBB372_1620:
	s_mov_b64 s[6:7], -1
.LBB372_1621:
	s_andn2_b64 vcc, exec, s[6:7]
	s_cbranch_vccnz .LBB372_2055
; %bb.1622:
	s_load_dword s0, s[34:35], 0x158
	s_load_dwordx2 s[4:5], s[34:35], 0x160
	s_load_dword s1, s[34:35], 0x168
	v_mov_b32_e32 v1, s9
	s_waitcnt lgkmcnt(0)
	s_cmp_eq_u32 s0, 0
	s_waitcnt vmcnt(0)
	v_cmp_ne_u64_e32 vcc, s[4:5], v[7:8]
	s_cselect_b64 s[6:7], -1, 0
	s_and_b32 s20, s1, 0xff
	s_xor_b64 s[10:11], s[6:7], vcc
	v_add_co_u32_e32 v5, vcc, s8, v6
	s_cmp_lt_i32 s20, 11
	v_addc_co_u32_e32 v6, vcc, 0, v1, vcc
	s_cbranch_scc1 .LBB372_1700
; %bb.1623:
	s_and_b32 s21, 0xffff, s20
	s_mov_b64 s[16:17], -1
	s_mov_b64 s[12:13], 0
	s_cmp_gt_i32 s21, 25
	s_mov_b64 s[14:15], 0
	s_mov_b64 s[0:1], 0
	s_cbranch_scc0 .LBB372_1656
; %bb.1624:
	s_cmp_gt_i32 s21, 28
	s_cbranch_scc0 .LBB372_1639
; %bb.1625:
	s_cmp_gt_i32 s21, 43
	;; [unrolled: 3-line block ×3, first 2 shown]
	s_cbranch_scc0 .LBB372_1629
; %bb.1627:
	s_mov_b64 s[0:1], -1
	s_mov_b64 s[16:17], 0
	s_cmp_eq_u32 s21, 46
	s_cbranch_scc0 .LBB372_1629
; %bb.1628:
	v_cndmask_b32_e64 v1, 0, 1.0, s[10:11]
	v_bfe_u32 v3, v1, 16, 1
	s_movk_i32 s0, 0x7fff
	v_add3_u32 v1, v1, v3, s0
	v_lshrrev_b32_e32 v1, 16, v1
	global_store_dword v[5:6], v1, off
	s_mov_b64 s[0:1], 0
	s_mov_b64 s[14:15], -1
.LBB372_1629:
	s_and_b64 vcc, exec, s[16:17]
	s_cbranch_vccz .LBB372_1634
; %bb.1630:
	s_cmp_eq_u32 s21, 44
	s_mov_b64 s[0:1], -1
	s_cbranch_scc0 .LBB372_1634
; %bb.1631:
	v_cndmask_b32_e64 v3, 0, 1.0, s[10:11]
	v_lshrrev_b32_e32 v1, 23, v3
	s_movk_i32 s0, 0xff
	v_cmp_ne_u32_e32 vcc, s0, v1
	v_mov_b32_e32 v7, 0xff
	s_and_saveexec_b64 s[14:15], vcc
; %bb.1632:
	s_mov_b32 s0, 0x3fffff
	v_and_b32_e32 v7, 0x400000, v3
	v_and_or_b32 v3, v3, s0, v1
	v_cmp_ne_u32_e32 vcc, 0, v7
	v_cmp_ne_u32_e64 s[0:1], 0, v3
	s_and_b64 s[0:1], vcc, s[0:1]
	v_cndmask_b32_e64 v3, 0, 1, s[0:1]
	v_add_u32_e32 v7, v1, v3
; %bb.1633:
	s_or_b64 exec, exec, s[14:15]
	s_mov_b64 s[0:1], 0
	s_mov_b64 s[14:15], -1
	global_store_byte v[5:6], v7, off
.LBB372_1634:
	s_mov_b64 s[16:17], 0
.LBB372_1635:
	s_and_b64 vcc, exec, s[16:17]
	s_cbranch_vccz .LBB372_1638
; %bb.1636:
	s_cmp_eq_u32 s21, 29
	s_mov_b64 s[0:1], -1
	s_cbranch_scc0 .LBB372_1638
; %bb.1637:
	s_mov_b32 s0, 0
	v_cndmask_b32_e64 v7, 0, 1, s[10:11]
	v_mov_b32_e32 v8, s0
	global_store_dwordx2 v[5:6], v[7:8], off
	s_mov_b64 s[0:1], 0
	s_mov_b64 s[14:15], -1
.LBB372_1638:
	s_mov_b64 s[16:17], 0
.LBB372_1639:
	s_and_b64 vcc, exec, s[16:17]
	s_cbranch_vccz .LBB372_1655
; %bb.1640:
	s_cmp_lt_i32 s21, 27
	s_mov_b64 s[14:15], -1
	s_cbranch_scc1 .LBB372_1646
; %bb.1641:
	s_cmp_gt_i32 s21, 27
	s_cbranch_scc0 .LBB372_1643
; %bb.1642:
	v_cndmask_b32_e64 v1, 0, 1, s[10:11]
	s_mov_b64 s[14:15], 0
	global_store_dword v[5:6], v1, off
.LBB372_1643:
	s_andn2_b64 vcc, exec, s[14:15]
	s_cbranch_vccnz .LBB372_1645
; %bb.1644:
	v_cndmask_b32_e64 v1, 0, 1, s[10:11]
	global_store_short v[5:6], v1, off
.LBB372_1645:
	s_mov_b64 s[14:15], 0
.LBB372_1646:
	s_andn2_b64 vcc, exec, s[14:15]
	s_cbranch_vccnz .LBB372_1654
; %bb.1647:
	v_cndmask_b32_e64 v3, 0, 1.0, s[10:11]
	s_mov_b32 s14, 0x43800000
	v_cmp_gt_u32_e32 vcc, s14, v3
	v_mov_b32_e32 v7, 0x80
	s_and_saveexec_b64 s[14:15], vcc
	s_cbranch_execz .LBB372_1653
; %bb.1648:
	s_mov_b32 s16, 0x3bffffff
	v_cmp_lt_u32_e32 vcc, s16, v3
	s_mov_b64 s[16:17], 0
                                        ; implicit-def: $vgpr1
	s_and_saveexec_b64 s[18:19], vcc
	s_xor_b64 s[18:19], exec, s[18:19]
	s_cbranch_execz .LBB372_2102
; %bb.1649:
	v_bfe_u32 v1, v3, 20, 1
	s_mov_b32 s22, 0x487ffff
	v_add3_u32 v1, v3, v1, s22
	s_mov_b64 s[16:17], exec
	v_lshrrev_b32_e32 v1, 20, v1
                                        ; implicit-def: $vgpr3
	s_andn2_saveexec_b64 s[18:19], s[18:19]
	s_cbranch_execnz .LBB372_2103
.LBB372_1650:
	s_or_b64 exec, exec, s[18:19]
	v_mov_b32_e32 v7, 0
	s_and_saveexec_b64 s[18:19], s[16:17]
.LBB372_1651:
	v_mov_b32_e32 v7, v1
.LBB372_1652:
	s_or_b64 exec, exec, s[18:19]
.LBB372_1653:
	s_or_b64 exec, exec, s[14:15]
	global_store_byte v[5:6], v7, off
.LBB372_1654:
	s_mov_b64 s[14:15], -1
.LBB372_1655:
	s_mov_b64 s[16:17], 0
.LBB372_1656:
	s_and_b64 vcc, exec, s[16:17]
	s_cbranch_vccz .LBB372_1696
; %bb.1657:
	s_cmp_gt_i32 s21, 22
	s_mov_b64 s[12:13], -1
	s_cbranch_scc0 .LBB372_1689
; %bb.1658:
	s_cmp_lt_i32 s21, 24
	s_cbranch_scc1 .LBB372_1678
; %bb.1659:
	s_cmp_gt_i32 s21, 24
	s_cbranch_scc0 .LBB372_1667
; %bb.1660:
	v_cndmask_b32_e64 v3, 0, 1.0, s[10:11]
	s_mov_b32 s12, 0x47800000
	v_cmp_gt_u32_e32 vcc, s12, v3
	v_mov_b32_e32 v7, 0x80
	s_and_saveexec_b64 s[12:13], vcc
	s_cbranch_execz .LBB372_1666
; %bb.1661:
	s_mov_b32 s14, 0x37ffffff
	v_cmp_lt_u32_e32 vcc, s14, v3
	s_mov_b64 s[14:15], 0
                                        ; implicit-def: $vgpr1
	s_and_saveexec_b64 s[16:17], vcc
	s_xor_b64 s[16:17], exec, s[16:17]
	s_cbranch_execz .LBB372_2105
; %bb.1662:
	v_bfe_u32 v1, v3, 21, 1
	s_mov_b32 s18, 0x88fffff
	v_add3_u32 v1, v3, v1, s18
	s_mov_b64 s[14:15], exec
	v_lshrrev_b32_e32 v1, 21, v1
                                        ; implicit-def: $vgpr3
	s_andn2_saveexec_b64 s[16:17], s[16:17]
	s_cbranch_execnz .LBB372_2106
.LBB372_1663:
	s_or_b64 exec, exec, s[16:17]
	v_mov_b32_e32 v7, 0
	s_and_saveexec_b64 s[16:17], s[14:15]
.LBB372_1664:
	v_mov_b32_e32 v7, v1
.LBB372_1665:
	s_or_b64 exec, exec, s[16:17]
.LBB372_1666:
	s_or_b64 exec, exec, s[12:13]
	s_mov_b64 s[12:13], 0
	global_store_byte v[5:6], v7, off
.LBB372_1667:
	s_and_b64 vcc, exec, s[12:13]
	s_cbranch_vccz .LBB372_1677
; %bb.1668:
	v_cndmask_b32_e64 v1, 0, 1.0, s[10:11]
	s_mov_b32 s12, 0x43f00000
	v_cmp_gt_u32_e32 vcc, s12, v1
                                        ; implicit-def: $vgpr3
	s_and_saveexec_b64 s[12:13], vcc
	s_xor_b64 s[12:13], exec, s[12:13]
	s_cbranch_execz .LBB372_1674
; %bb.1669:
	s_mov_b32 s14, 0x3c7fffff
	v_cmp_lt_u32_e32 vcc, s14, v1
                                        ; implicit-def: $vgpr3
	s_and_saveexec_b64 s[14:15], vcc
	s_xor_b64 s[14:15], exec, s[14:15]
; %bb.1670:
	v_bfe_u32 v3, v1, 20, 1
	s_mov_b32 s16, 0x407ffff
	v_add3_u32 v1, v1, v3, s16
	v_lshrrev_b32_e32 v3, 20, v1
	v_and_b32_e32 v1, 0xff00000, v1
	s_mov_b32 s16, 0x7f00000
	v_mov_b32_e32 v7, 0x7e
	v_cmp_ne_u32_e32 vcc, s16, v1
	v_cndmask_b32_e32 v3, v7, v3, vcc
                                        ; implicit-def: $vgpr1
; %bb.1671:
	s_andn2_saveexec_b64 s[14:15], s[14:15]
; %bb.1672:
	v_add_f32_e32 v3, 0x46800000, v1
; %bb.1673:
	s_or_b64 exec, exec, s[14:15]
                                        ; implicit-def: $vgpr1
.LBB372_1674:
	s_andn2_saveexec_b64 s[12:13], s[12:13]
; %bb.1675:
	s_mov_b32 s14, 0x7f800000
	v_mov_b32_e32 v3, 0x7e
	v_mov_b32_e32 v7, 0x7f
	v_cmp_lt_u32_e32 vcc, s14, v1
	v_cndmask_b32_e32 v3, v3, v7, vcc
; %bb.1676:
	s_or_b64 exec, exec, s[12:13]
	global_store_byte v[5:6], v3, off
.LBB372_1677:
	s_mov_b64 s[12:13], 0
.LBB372_1678:
	s_andn2_b64 vcc, exec, s[12:13]
	s_cbranch_vccnz .LBB372_1688
; %bb.1679:
	v_cndmask_b32_e64 v1, 0, 1.0, s[10:11]
	s_mov_b32 s12, 0x47800000
	v_cmp_gt_u32_e32 vcc, s12, v1
                                        ; implicit-def: $vgpr3
	s_and_saveexec_b64 s[12:13], vcc
	s_xor_b64 s[12:13], exec, s[12:13]
	s_cbranch_execz .LBB372_1685
; %bb.1680:
	s_mov_b32 s14, 0x387fffff
	v_cmp_lt_u32_e32 vcc, s14, v1
                                        ; implicit-def: $vgpr3
	s_and_saveexec_b64 s[14:15], vcc
	s_xor_b64 s[14:15], exec, s[14:15]
; %bb.1681:
	v_bfe_u32 v3, v1, 21, 1
	s_mov_b32 s16, 0x80fffff
	v_add3_u32 v1, v1, v3, s16
	v_lshrrev_b32_e32 v3, 21, v1
                                        ; implicit-def: $vgpr1
; %bb.1682:
	s_andn2_saveexec_b64 s[14:15], s[14:15]
; %bb.1683:
	v_add_f32_e32 v3, 0x43000000, v1
; %bb.1684:
	s_or_b64 exec, exec, s[14:15]
                                        ; implicit-def: $vgpr1
.LBB372_1685:
	s_andn2_saveexec_b64 s[12:13], s[12:13]
; %bb.1686:
	s_mov_b32 s14, 0x7f800000
	v_mov_b32_e32 v3, 0x7c
	v_mov_b32_e32 v7, 0x7f
	v_cmp_lt_u32_e32 vcc, s14, v1
	v_cndmask_b32_e32 v3, v3, v7, vcc
; %bb.1687:
	s_or_b64 exec, exec, s[12:13]
	global_store_byte v[5:6], v3, off
.LBB372_1688:
	s_mov_b64 s[12:13], 0
	s_mov_b64 s[14:15], -1
.LBB372_1689:
	s_andn2_b64 vcc, exec, s[12:13]
	s_mov_b64 s[12:13], 0
	s_cbranch_vccnz .LBB372_1696
; %bb.1690:
	s_cmp_gt_i32 s21, 14
	s_mov_b64 s[16:17], -1
	s_cbranch_scc0 .LBB372_1694
; %bb.1691:
	s_cmp_eq_u32 s21, 15
	s_mov_b64 s[0:1], -1
	s_cbranch_scc0 .LBB372_1693
; %bb.1692:
	v_cndmask_b32_e64 v1, 0, 1.0, s[10:11]
	v_bfe_u32 v3, v1, 16, 1
	s_movk_i32 s0, 0x7fff
	v_add3_u32 v1, v1, v3, s0
	global_store_short_d16_hi v[5:6], v1, off
	s_mov_b64 s[0:1], 0
	s_mov_b64 s[14:15], -1
.LBB372_1693:
	s_mov_b64 s[16:17], 0
.LBB372_1694:
	s_and_b64 vcc, exec, s[16:17]
	s_cbranch_vccz .LBB372_1696
; %bb.1695:
	s_cmp_lg_u32 s21, 11
	s_mov_b64 s[12:13], -1
	s_cselect_b64 s[0:1], -1, 0
.LBB372_1696:
	s_and_b64 vcc, exec, s[0:1]
	s_cbranch_vccnz .LBB372_2104
; %bb.1697:
	s_andn2_b64 vcc, exec, s[12:13]
	s_cbranch_vccnz .LBB372_1699
.LBB372_1698:
	v_cndmask_b32_e64 v1, 0, 1, s[10:11]
	s_mov_b64 s[14:15], -1
	global_store_byte v[5:6], v1, off
.LBB372_1699:
	s_mov_b64 s[0:1], 0
	s_branch .LBB372_1701
.LBB372_1700:
	s_mov_b64 s[0:1], -1
	s_mov_b64 s[14:15], 0
.LBB372_1701:
	s_and_b64 vcc, exec, s[0:1]
	s_cbranch_vccz .LBB372_1740
; %bb.1702:
	s_and_b32 s12, 0xffff, s20
	s_cmp_lt_i32 s12, 5
	s_mov_b64 s[0:1], -1
	s_cbranch_scc1 .LBB372_1723
; %bb.1703:
	s_cmp_lt_i32 s12, 8
	s_cbranch_scc1 .LBB372_1713
; %bb.1704:
	s_cmp_lt_i32 s12, 9
	s_cbranch_scc1 .LBB372_1710
; %bb.1705:
	s_cmp_gt_i32 s12, 9
	s_cbranch_scc0 .LBB372_1707
; %bb.1706:
	v_cndmask_b32_e64 v1, 0, 1, s[10:11]
	v_cvt_f64_u32_e32 v[15:16], v1
	v_mov_b32_e32 v17, 0
	v_mov_b32_e32 v18, v17
	s_mov_b64 s[0:1], 0
	global_store_dwordx4 v[5:6], v[15:18], off
.LBB372_1707:
	s_andn2_b64 vcc, exec, s[0:1]
	s_cbranch_vccnz .LBB372_1709
; %bb.1708:
	v_cndmask_b32_e64 v7, 0, 1.0, s[10:11]
	v_mov_b32_e32 v8, 0
	global_store_dwordx2 v[5:6], v[7:8], off
.LBB372_1709:
	s_mov_b64 s[0:1], 0
.LBB372_1710:
	s_andn2_b64 vcc, exec, s[0:1]
	s_cbranch_vccnz .LBB372_1712
; %bb.1711:
	v_cndmask_b32_e64 v1, 0, 1.0, s[10:11]
	v_cvt_f16_f32_e32 v1, v1
	global_store_dword v[5:6], v1, off
.LBB372_1712:
	s_mov_b64 s[0:1], 0
.LBB372_1713:
	s_andn2_b64 vcc, exec, s[0:1]
	s_cbranch_vccnz .LBB372_1722
; %bb.1714:
	s_cmp_lt_i32 s12, 6
	s_mov_b64 s[0:1], -1
	s_cbranch_scc1 .LBB372_1720
; %bb.1715:
	s_cmp_gt_i32 s12, 6
	s_cbranch_scc0 .LBB372_1717
; %bb.1716:
	v_cndmask_b32_e64 v1, 0, 1, s[10:11]
	v_cvt_f64_u32_e32 v[7:8], v1
	s_mov_b64 s[0:1], 0
	global_store_dwordx2 v[5:6], v[7:8], off
.LBB372_1717:
	s_andn2_b64 vcc, exec, s[0:1]
	s_cbranch_vccnz .LBB372_1719
; %bb.1718:
	v_cndmask_b32_e64 v1, 0, 1.0, s[10:11]
	global_store_dword v[5:6], v1, off
.LBB372_1719:
	s_mov_b64 s[0:1], 0
.LBB372_1720:
	s_andn2_b64 vcc, exec, s[0:1]
	s_cbranch_vccnz .LBB372_1722
; %bb.1721:
	v_cndmask_b32_e64 v1, 0, 1.0, s[10:11]
	v_cvt_f16_f32_e32 v1, v1
	global_store_short v[5:6], v1, off
.LBB372_1722:
	s_mov_b64 s[0:1], 0
.LBB372_1723:
	s_andn2_b64 vcc, exec, s[0:1]
	s_cbranch_vccnz .LBB372_1739
; %bb.1724:
	s_cmp_lt_i32 s12, 2
	s_mov_b64 s[0:1], -1
	s_cbranch_scc1 .LBB372_1734
; %bb.1725:
	s_cmp_lt_i32 s12, 3
	s_cbranch_scc1 .LBB372_1731
; %bb.1726:
	s_cmp_gt_i32 s12, 3
	s_cbranch_scc0 .LBB372_1728
; %bb.1727:
	s_mov_b32 s0, 0
	v_cndmask_b32_e64 v7, 0, 1, s[10:11]
	v_mov_b32_e32 v8, s0
	global_store_dwordx2 v[5:6], v[7:8], off
	s_mov_b64 s[0:1], 0
.LBB372_1728:
	s_andn2_b64 vcc, exec, s[0:1]
	s_cbranch_vccnz .LBB372_1730
; %bb.1729:
	v_cndmask_b32_e64 v1, 0, 1, s[10:11]
	global_store_dword v[5:6], v1, off
.LBB372_1730:
	s_mov_b64 s[0:1], 0
.LBB372_1731:
	s_andn2_b64 vcc, exec, s[0:1]
	s_cbranch_vccnz .LBB372_1733
; %bb.1732:
	v_cndmask_b32_e64 v1, 0, 1, s[10:11]
	global_store_short v[5:6], v1, off
.LBB372_1733:
	s_mov_b64 s[0:1], 0
.LBB372_1734:
	s_andn2_b64 vcc, exec, s[0:1]
	s_cbranch_vccnz .LBB372_1739
; %bb.1735:
	s_mov_b64 s[0:1], -1
	s_cmp_gt_i32 s12, 0
	v_cndmask_b32_e64 v1, 0, 1, s[10:11]
	s_cbranch_scc0 .LBB372_1737
; %bb.1736:
	global_store_byte v[5:6], v1, off
	s_mov_b64 s[0:1], 0
.LBB372_1737:
	s_andn2_b64 vcc, exec, s[0:1]
	s_cbranch_vccnz .LBB372_1739
; %bb.1738:
	global_store_byte v[5:6], v1, off
.LBB372_1739:
	s_mov_b64 s[14:15], -1
.LBB372_1740:
	s_andn2_b64 vcc, exec, s[14:15]
	s_cbranch_vccnz .LBB372_2055
; %bb.1741:
	v_cmp_ne_u64_e32 vcc, s[4:5], v[9:10]
	v_mov_b32_e32 v1, s9
	s_xor_b64 s[10:11], s[6:7], vcc
	s_and_b32 s21, 0xffff, s20
	v_add_co_u32_e32 v3, vcc, s8, v4
	s_cmp_lt_i32 s21, 11
	v_addc_co_u32_e32 v4, vcc, 0, v1, vcc
	s_cbranch_scc1 .LBB372_1819
; %bb.1742:
	s_mov_b64 s[16:17], -1
	s_mov_b64 s[12:13], 0
	s_cmp_gt_i32 s21, 25
	s_mov_b64 s[14:15], 0
	s_mov_b64 s[0:1], 0
	s_cbranch_scc0 .LBB372_1775
; %bb.1743:
	s_cmp_gt_i32 s21, 28
	s_cbranch_scc0 .LBB372_1758
; %bb.1744:
	s_cmp_gt_i32 s21, 43
	;; [unrolled: 3-line block ×3, first 2 shown]
	s_cbranch_scc0 .LBB372_1748
; %bb.1746:
	s_mov_b64 s[0:1], -1
	s_mov_b64 s[16:17], 0
	s_cmp_eq_u32 s21, 46
	s_cbranch_scc0 .LBB372_1748
; %bb.1747:
	v_cndmask_b32_e64 v1, 0, 1.0, s[10:11]
	v_bfe_u32 v5, v1, 16, 1
	s_movk_i32 s0, 0x7fff
	v_add3_u32 v1, v1, v5, s0
	v_lshrrev_b32_e32 v1, 16, v1
	global_store_dword v[3:4], v1, off
	s_mov_b64 s[0:1], 0
	s_mov_b64 s[14:15], -1
.LBB372_1748:
	s_and_b64 vcc, exec, s[16:17]
	s_cbranch_vccz .LBB372_1753
; %bb.1749:
	s_cmp_eq_u32 s21, 44
	s_mov_b64 s[0:1], -1
	s_cbranch_scc0 .LBB372_1753
; %bb.1750:
	v_cndmask_b32_e64 v5, 0, 1.0, s[10:11]
	v_lshrrev_b32_e32 v1, 23, v5
	s_movk_i32 s0, 0xff
	v_cmp_ne_u32_e32 vcc, s0, v1
	v_mov_b32_e32 v6, 0xff
	s_and_saveexec_b64 s[14:15], vcc
; %bb.1751:
	s_mov_b32 s0, 0x3fffff
	v_and_b32_e32 v6, 0x400000, v5
	v_and_or_b32 v5, v5, s0, v1
	v_cmp_ne_u32_e32 vcc, 0, v6
	v_cmp_ne_u32_e64 s[0:1], 0, v5
	s_and_b64 s[0:1], vcc, s[0:1]
	v_cndmask_b32_e64 v5, 0, 1, s[0:1]
	v_add_u32_e32 v6, v1, v5
; %bb.1752:
	s_or_b64 exec, exec, s[14:15]
	s_mov_b64 s[0:1], 0
	s_mov_b64 s[14:15], -1
	global_store_byte v[3:4], v6, off
.LBB372_1753:
	s_mov_b64 s[16:17], 0
.LBB372_1754:
	s_and_b64 vcc, exec, s[16:17]
	s_cbranch_vccz .LBB372_1757
; %bb.1755:
	s_cmp_eq_u32 s21, 29
	s_mov_b64 s[0:1], -1
	s_cbranch_scc0 .LBB372_1757
; %bb.1756:
	s_mov_b32 s0, 0
	v_cndmask_b32_e64 v5, 0, 1, s[10:11]
	v_mov_b32_e32 v6, s0
	global_store_dwordx2 v[3:4], v[5:6], off
	s_mov_b64 s[0:1], 0
	s_mov_b64 s[14:15], -1
.LBB372_1757:
	s_mov_b64 s[16:17], 0
.LBB372_1758:
	s_and_b64 vcc, exec, s[16:17]
	s_cbranch_vccz .LBB372_1774
; %bb.1759:
	s_cmp_lt_i32 s21, 27
	s_mov_b64 s[14:15], -1
	s_cbranch_scc1 .LBB372_1765
; %bb.1760:
	s_cmp_gt_i32 s21, 27
	s_cbranch_scc0 .LBB372_1762
; %bb.1761:
	v_cndmask_b32_e64 v1, 0, 1, s[10:11]
	s_mov_b64 s[14:15], 0
	global_store_dword v[3:4], v1, off
.LBB372_1762:
	s_andn2_b64 vcc, exec, s[14:15]
	s_cbranch_vccnz .LBB372_1764
; %bb.1763:
	v_cndmask_b32_e64 v1, 0, 1, s[10:11]
	global_store_short v[3:4], v1, off
.LBB372_1764:
	s_mov_b64 s[14:15], 0
.LBB372_1765:
	s_andn2_b64 vcc, exec, s[14:15]
	s_cbranch_vccnz .LBB372_1773
; %bb.1766:
	v_cndmask_b32_e64 v5, 0, 1.0, s[10:11]
	s_mov_b32 s14, 0x43800000
	v_cmp_gt_u32_e32 vcc, s14, v5
	v_mov_b32_e32 v6, 0x80
	s_and_saveexec_b64 s[14:15], vcc
	s_cbranch_execz .LBB372_1772
; %bb.1767:
	s_mov_b32 s16, 0x3bffffff
	v_cmp_lt_u32_e32 vcc, s16, v5
	s_mov_b64 s[16:17], 0
                                        ; implicit-def: $vgpr1
	s_and_saveexec_b64 s[18:19], vcc
	s_xor_b64 s[18:19], exec, s[18:19]
	s_cbranch_execz .LBB372_2107
; %bb.1768:
	v_bfe_u32 v1, v5, 20, 1
	s_mov_b32 s22, 0x487ffff
	v_add3_u32 v1, v5, v1, s22
	s_mov_b64 s[16:17], exec
	v_lshrrev_b32_e32 v1, 20, v1
                                        ; implicit-def: $vgpr5
	s_andn2_saveexec_b64 s[18:19], s[18:19]
	s_cbranch_execnz .LBB372_2108
.LBB372_1769:
	s_or_b64 exec, exec, s[18:19]
	v_mov_b32_e32 v6, 0
	s_and_saveexec_b64 s[18:19], s[16:17]
.LBB372_1770:
	v_mov_b32_e32 v6, v1
.LBB372_1771:
	s_or_b64 exec, exec, s[18:19]
.LBB372_1772:
	s_or_b64 exec, exec, s[14:15]
	global_store_byte v[3:4], v6, off
.LBB372_1773:
	s_mov_b64 s[14:15], -1
.LBB372_1774:
	s_mov_b64 s[16:17], 0
.LBB372_1775:
	s_and_b64 vcc, exec, s[16:17]
	s_cbranch_vccz .LBB372_1815
; %bb.1776:
	s_cmp_gt_i32 s21, 22
	s_mov_b64 s[12:13], -1
	s_cbranch_scc0 .LBB372_1808
; %bb.1777:
	s_cmp_lt_i32 s21, 24
	s_cbranch_scc1 .LBB372_1797
; %bb.1778:
	s_cmp_gt_i32 s21, 24
	s_cbranch_scc0 .LBB372_1786
; %bb.1779:
	v_cndmask_b32_e64 v5, 0, 1.0, s[10:11]
	s_mov_b32 s12, 0x47800000
	v_cmp_gt_u32_e32 vcc, s12, v5
	v_mov_b32_e32 v6, 0x80
	s_and_saveexec_b64 s[12:13], vcc
	s_cbranch_execz .LBB372_1785
; %bb.1780:
	s_mov_b32 s14, 0x37ffffff
	v_cmp_lt_u32_e32 vcc, s14, v5
	s_mov_b64 s[14:15], 0
                                        ; implicit-def: $vgpr1
	s_and_saveexec_b64 s[16:17], vcc
	s_xor_b64 s[16:17], exec, s[16:17]
	s_cbranch_execz .LBB372_2110
; %bb.1781:
	v_bfe_u32 v1, v5, 21, 1
	s_mov_b32 s18, 0x88fffff
	v_add3_u32 v1, v5, v1, s18
	s_mov_b64 s[14:15], exec
	v_lshrrev_b32_e32 v1, 21, v1
                                        ; implicit-def: $vgpr5
	s_andn2_saveexec_b64 s[16:17], s[16:17]
	s_cbranch_execnz .LBB372_2111
.LBB372_1782:
	s_or_b64 exec, exec, s[16:17]
	v_mov_b32_e32 v6, 0
	s_and_saveexec_b64 s[16:17], s[14:15]
.LBB372_1783:
	v_mov_b32_e32 v6, v1
.LBB372_1784:
	s_or_b64 exec, exec, s[16:17]
.LBB372_1785:
	s_or_b64 exec, exec, s[12:13]
	s_mov_b64 s[12:13], 0
	global_store_byte v[3:4], v6, off
.LBB372_1786:
	s_and_b64 vcc, exec, s[12:13]
	s_cbranch_vccz .LBB372_1796
; %bb.1787:
	v_cndmask_b32_e64 v1, 0, 1.0, s[10:11]
	s_mov_b32 s12, 0x43f00000
	v_cmp_gt_u32_e32 vcc, s12, v1
                                        ; implicit-def: $vgpr5
	s_and_saveexec_b64 s[12:13], vcc
	s_xor_b64 s[12:13], exec, s[12:13]
	s_cbranch_execz .LBB372_1793
; %bb.1788:
	s_mov_b32 s14, 0x3c7fffff
	v_cmp_lt_u32_e32 vcc, s14, v1
                                        ; implicit-def: $vgpr5
	s_and_saveexec_b64 s[14:15], vcc
	s_xor_b64 s[14:15], exec, s[14:15]
; %bb.1789:
	v_bfe_u32 v5, v1, 20, 1
	s_mov_b32 s16, 0x407ffff
	v_add3_u32 v1, v1, v5, s16
	v_lshrrev_b32_e32 v5, 20, v1
	v_and_b32_e32 v1, 0xff00000, v1
	s_mov_b32 s16, 0x7f00000
	v_mov_b32_e32 v6, 0x7e
	v_cmp_ne_u32_e32 vcc, s16, v1
	v_cndmask_b32_e32 v5, v6, v5, vcc
                                        ; implicit-def: $vgpr1
; %bb.1790:
	s_andn2_saveexec_b64 s[14:15], s[14:15]
; %bb.1791:
	v_add_f32_e32 v5, 0x46800000, v1
; %bb.1792:
	s_or_b64 exec, exec, s[14:15]
                                        ; implicit-def: $vgpr1
.LBB372_1793:
	s_andn2_saveexec_b64 s[12:13], s[12:13]
; %bb.1794:
	s_mov_b32 s14, 0x7f800000
	v_mov_b32_e32 v5, 0x7e
	v_mov_b32_e32 v6, 0x7f
	v_cmp_lt_u32_e32 vcc, s14, v1
	v_cndmask_b32_e32 v5, v5, v6, vcc
; %bb.1795:
	s_or_b64 exec, exec, s[12:13]
	global_store_byte v[3:4], v5, off
.LBB372_1796:
	s_mov_b64 s[12:13], 0
.LBB372_1797:
	s_andn2_b64 vcc, exec, s[12:13]
	s_cbranch_vccnz .LBB372_1807
; %bb.1798:
	v_cndmask_b32_e64 v1, 0, 1.0, s[10:11]
	s_mov_b32 s12, 0x47800000
	v_cmp_gt_u32_e32 vcc, s12, v1
                                        ; implicit-def: $vgpr5
	s_and_saveexec_b64 s[12:13], vcc
	s_xor_b64 s[12:13], exec, s[12:13]
	s_cbranch_execz .LBB372_1804
; %bb.1799:
	s_mov_b32 s14, 0x387fffff
	v_cmp_lt_u32_e32 vcc, s14, v1
                                        ; implicit-def: $vgpr5
	s_and_saveexec_b64 s[14:15], vcc
	s_xor_b64 s[14:15], exec, s[14:15]
; %bb.1800:
	v_bfe_u32 v5, v1, 21, 1
	s_mov_b32 s16, 0x80fffff
	v_add3_u32 v1, v1, v5, s16
	v_lshrrev_b32_e32 v5, 21, v1
                                        ; implicit-def: $vgpr1
; %bb.1801:
	s_andn2_saveexec_b64 s[14:15], s[14:15]
; %bb.1802:
	v_add_f32_e32 v5, 0x43000000, v1
; %bb.1803:
	s_or_b64 exec, exec, s[14:15]
                                        ; implicit-def: $vgpr1
.LBB372_1804:
	s_andn2_saveexec_b64 s[12:13], s[12:13]
; %bb.1805:
	s_mov_b32 s14, 0x7f800000
	v_mov_b32_e32 v5, 0x7c
	v_mov_b32_e32 v6, 0x7f
	v_cmp_lt_u32_e32 vcc, s14, v1
	v_cndmask_b32_e32 v5, v5, v6, vcc
; %bb.1806:
	s_or_b64 exec, exec, s[12:13]
	global_store_byte v[3:4], v5, off
.LBB372_1807:
	s_mov_b64 s[12:13], 0
	s_mov_b64 s[14:15], -1
.LBB372_1808:
	s_andn2_b64 vcc, exec, s[12:13]
	s_mov_b64 s[12:13], 0
	s_cbranch_vccnz .LBB372_1815
; %bb.1809:
	s_cmp_gt_i32 s21, 14
	s_mov_b64 s[16:17], -1
	s_cbranch_scc0 .LBB372_1813
; %bb.1810:
	s_cmp_eq_u32 s21, 15
	s_mov_b64 s[0:1], -1
	s_cbranch_scc0 .LBB372_1812
; %bb.1811:
	v_cndmask_b32_e64 v1, 0, 1.0, s[10:11]
	v_bfe_u32 v5, v1, 16, 1
	s_movk_i32 s0, 0x7fff
	v_add3_u32 v1, v1, v5, s0
	global_store_short_d16_hi v[3:4], v1, off
	s_mov_b64 s[0:1], 0
	s_mov_b64 s[14:15], -1
.LBB372_1812:
	s_mov_b64 s[16:17], 0
.LBB372_1813:
	s_and_b64 vcc, exec, s[16:17]
	s_cbranch_vccz .LBB372_1815
; %bb.1814:
	s_cmp_lg_u32 s21, 11
	s_mov_b64 s[12:13], -1
	s_cselect_b64 s[0:1], -1, 0
.LBB372_1815:
	s_and_b64 vcc, exec, s[0:1]
	s_cbranch_vccnz .LBB372_2109
; %bb.1816:
	s_andn2_b64 vcc, exec, s[12:13]
	s_cbranch_vccnz .LBB372_1818
.LBB372_1817:
	v_cndmask_b32_e64 v1, 0, 1, s[10:11]
	s_mov_b64 s[14:15], -1
	global_store_byte v[3:4], v1, off
.LBB372_1818:
	s_mov_b64 s[0:1], 0
	s_branch .LBB372_1820
.LBB372_1819:
	s_mov_b64 s[0:1], -1
	s_mov_b64 s[14:15], 0
.LBB372_1820:
	s_and_b64 vcc, exec, s[0:1]
	s_cbranch_vccz .LBB372_1859
; %bb.1821:
	s_cmp_lt_i32 s21, 5
	s_mov_b64 s[0:1], -1
	s_cbranch_scc1 .LBB372_1842
; %bb.1822:
	s_cmp_lt_i32 s21, 8
	s_cbranch_scc1 .LBB372_1832
; %bb.1823:
	s_cmp_lt_i32 s21, 9
	s_cbranch_scc1 .LBB372_1829
; %bb.1824:
	s_cmp_gt_i32 s21, 9
	s_cbranch_scc0 .LBB372_1826
; %bb.1825:
	v_cndmask_b32_e64 v1, 0, 1, s[10:11]
	v_cvt_f64_u32_e32 v[5:6], v1
	v_mov_b32_e32 v7, 0
	v_mov_b32_e32 v8, v7
	s_mov_b64 s[0:1], 0
	global_store_dwordx4 v[3:4], v[5:8], off
.LBB372_1826:
	s_andn2_b64 vcc, exec, s[0:1]
	s_cbranch_vccnz .LBB372_1828
; %bb.1827:
	v_cndmask_b32_e64 v5, 0, 1.0, s[10:11]
	v_mov_b32_e32 v6, 0
	global_store_dwordx2 v[3:4], v[5:6], off
.LBB372_1828:
	s_mov_b64 s[0:1], 0
.LBB372_1829:
	s_andn2_b64 vcc, exec, s[0:1]
	s_cbranch_vccnz .LBB372_1831
; %bb.1830:
	v_cndmask_b32_e64 v1, 0, 1.0, s[10:11]
	v_cvt_f16_f32_e32 v1, v1
	global_store_dword v[3:4], v1, off
.LBB372_1831:
	s_mov_b64 s[0:1], 0
.LBB372_1832:
	s_andn2_b64 vcc, exec, s[0:1]
	s_cbranch_vccnz .LBB372_1841
; %bb.1833:
	s_cmp_lt_i32 s21, 6
	s_mov_b64 s[0:1], -1
	s_cbranch_scc1 .LBB372_1839
; %bb.1834:
	s_cmp_gt_i32 s21, 6
	s_cbranch_scc0 .LBB372_1836
; %bb.1835:
	v_cndmask_b32_e64 v1, 0, 1, s[10:11]
	v_cvt_f64_u32_e32 v[5:6], v1
	s_mov_b64 s[0:1], 0
	global_store_dwordx2 v[3:4], v[5:6], off
.LBB372_1836:
	s_andn2_b64 vcc, exec, s[0:1]
	s_cbranch_vccnz .LBB372_1838
; %bb.1837:
	v_cndmask_b32_e64 v1, 0, 1.0, s[10:11]
	global_store_dword v[3:4], v1, off
.LBB372_1838:
	s_mov_b64 s[0:1], 0
.LBB372_1839:
	s_andn2_b64 vcc, exec, s[0:1]
	s_cbranch_vccnz .LBB372_1841
; %bb.1840:
	v_cndmask_b32_e64 v1, 0, 1.0, s[10:11]
	v_cvt_f16_f32_e32 v1, v1
	global_store_short v[3:4], v1, off
.LBB372_1841:
	s_mov_b64 s[0:1], 0
.LBB372_1842:
	s_andn2_b64 vcc, exec, s[0:1]
	s_cbranch_vccnz .LBB372_1858
; %bb.1843:
	s_cmp_lt_i32 s21, 2
	s_mov_b64 s[0:1], -1
	s_cbranch_scc1 .LBB372_1853
; %bb.1844:
	s_cmp_lt_i32 s21, 3
	s_cbranch_scc1 .LBB372_1850
; %bb.1845:
	s_cmp_gt_i32 s21, 3
	s_cbranch_scc0 .LBB372_1847
; %bb.1846:
	s_mov_b32 s0, 0
	v_cndmask_b32_e64 v5, 0, 1, s[10:11]
	v_mov_b32_e32 v6, s0
	global_store_dwordx2 v[3:4], v[5:6], off
	s_mov_b64 s[0:1], 0
.LBB372_1847:
	s_andn2_b64 vcc, exec, s[0:1]
	s_cbranch_vccnz .LBB372_1849
; %bb.1848:
	v_cndmask_b32_e64 v1, 0, 1, s[10:11]
	global_store_dword v[3:4], v1, off
.LBB372_1849:
	s_mov_b64 s[0:1], 0
.LBB372_1850:
	s_andn2_b64 vcc, exec, s[0:1]
	s_cbranch_vccnz .LBB372_1852
; %bb.1851:
	v_cndmask_b32_e64 v1, 0, 1, s[10:11]
	global_store_short v[3:4], v1, off
.LBB372_1852:
	s_mov_b64 s[0:1], 0
.LBB372_1853:
	s_andn2_b64 vcc, exec, s[0:1]
	s_cbranch_vccnz .LBB372_1858
; %bb.1854:
	s_mov_b64 s[0:1], -1
	s_cmp_gt_i32 s21, 0
	v_cndmask_b32_e64 v1, 0, 1, s[10:11]
	s_cbranch_scc0 .LBB372_1856
; %bb.1855:
	global_store_byte v[3:4], v1, off
	s_mov_b64 s[0:1], 0
.LBB372_1856:
	s_andn2_b64 vcc, exec, s[0:1]
	s_cbranch_vccnz .LBB372_1858
; %bb.1857:
	global_store_byte v[3:4], v1, off
.LBB372_1858:
	s_mov_b64 s[14:15], -1
.LBB372_1859:
	s_andn2_b64 vcc, exec, s[14:15]
	s_cbranch_vccnz .LBB372_2055
; %bb.1860:
	v_cmp_ne_u64_e32 vcc, s[4:5], v[11:12]
	v_mov_b32_e32 v3, s9
	s_xor_b64 s[10:11], s[6:7], vcc
	v_add_co_u32_e32 v1, vcc, s8, v2
	s_cmp_lt_i32 s21, 11
	v_addc_co_u32_e32 v2, vcc, 0, v3, vcc
	s_cbranch_scc1 .LBB372_1938
; %bb.1861:
	s_mov_b64 s[16:17], -1
	s_mov_b64 s[12:13], 0
	s_cmp_gt_i32 s21, 25
	s_mov_b64 s[14:15], 0
	s_mov_b64 s[0:1], 0
	s_cbranch_scc0 .LBB372_1894
; %bb.1862:
	s_cmp_gt_i32 s21, 28
	s_cbranch_scc0 .LBB372_1877
; %bb.1863:
	s_cmp_gt_i32 s21, 43
	;; [unrolled: 3-line block ×3, first 2 shown]
	s_cbranch_scc0 .LBB372_1867
; %bb.1865:
	s_mov_b64 s[0:1], -1
	s_mov_b64 s[16:17], 0
	s_cmp_eq_u32 s21, 46
	s_cbranch_scc0 .LBB372_1867
; %bb.1866:
	v_cndmask_b32_e64 v3, 0, 1.0, s[10:11]
	v_bfe_u32 v4, v3, 16, 1
	s_movk_i32 s0, 0x7fff
	v_add3_u32 v3, v3, v4, s0
	v_lshrrev_b32_e32 v3, 16, v3
	global_store_dword v[1:2], v3, off
	s_mov_b64 s[0:1], 0
	s_mov_b64 s[14:15], -1
.LBB372_1867:
	s_and_b64 vcc, exec, s[16:17]
	s_cbranch_vccz .LBB372_1872
; %bb.1868:
	s_cmp_eq_u32 s21, 44
	s_mov_b64 s[0:1], -1
	s_cbranch_scc0 .LBB372_1872
; %bb.1869:
	v_cndmask_b32_e64 v4, 0, 1.0, s[10:11]
	v_lshrrev_b32_e32 v3, 23, v4
	s_movk_i32 s0, 0xff
	v_cmp_ne_u32_e32 vcc, s0, v3
	v_mov_b32_e32 v5, 0xff
	s_and_saveexec_b64 s[14:15], vcc
; %bb.1870:
	s_mov_b32 s0, 0x3fffff
	v_and_b32_e32 v5, 0x400000, v4
	v_and_or_b32 v4, v4, s0, v3
	v_cmp_ne_u32_e32 vcc, 0, v5
	v_cmp_ne_u32_e64 s[0:1], 0, v4
	s_and_b64 s[0:1], vcc, s[0:1]
	v_cndmask_b32_e64 v4, 0, 1, s[0:1]
	v_add_u32_e32 v5, v3, v4
; %bb.1871:
	s_or_b64 exec, exec, s[14:15]
	s_mov_b64 s[0:1], 0
	s_mov_b64 s[14:15], -1
	global_store_byte v[1:2], v5, off
.LBB372_1872:
	s_mov_b64 s[16:17], 0
.LBB372_1873:
	s_and_b64 vcc, exec, s[16:17]
	s_cbranch_vccz .LBB372_1876
; %bb.1874:
	s_cmp_eq_u32 s21, 29
	s_mov_b64 s[0:1], -1
	s_cbranch_scc0 .LBB372_1876
; %bb.1875:
	s_mov_b32 s0, 0
	v_cndmask_b32_e64 v3, 0, 1, s[10:11]
	v_mov_b32_e32 v4, s0
	global_store_dwordx2 v[1:2], v[3:4], off
	s_mov_b64 s[0:1], 0
	s_mov_b64 s[14:15], -1
.LBB372_1876:
	s_mov_b64 s[16:17], 0
.LBB372_1877:
	s_and_b64 vcc, exec, s[16:17]
	s_cbranch_vccz .LBB372_1893
; %bb.1878:
	s_cmp_lt_i32 s21, 27
	s_mov_b64 s[14:15], -1
	s_cbranch_scc1 .LBB372_1884
; %bb.1879:
	s_cmp_gt_i32 s21, 27
	s_cbranch_scc0 .LBB372_1881
; %bb.1880:
	v_cndmask_b32_e64 v3, 0, 1, s[10:11]
	s_mov_b64 s[14:15], 0
	global_store_dword v[1:2], v3, off
.LBB372_1881:
	s_andn2_b64 vcc, exec, s[14:15]
	s_cbranch_vccnz .LBB372_1883
; %bb.1882:
	v_cndmask_b32_e64 v3, 0, 1, s[10:11]
	global_store_short v[1:2], v3, off
.LBB372_1883:
	s_mov_b64 s[14:15], 0
.LBB372_1884:
	s_andn2_b64 vcc, exec, s[14:15]
	s_cbranch_vccnz .LBB372_1892
; %bb.1885:
	v_cndmask_b32_e64 v4, 0, 1.0, s[10:11]
	s_mov_b32 s14, 0x43800000
	v_cmp_gt_u32_e32 vcc, s14, v4
	v_mov_b32_e32 v5, 0x80
	s_and_saveexec_b64 s[14:15], vcc
	s_cbranch_execz .LBB372_1891
; %bb.1886:
	s_mov_b32 s16, 0x3bffffff
	v_cmp_lt_u32_e32 vcc, s16, v4
	s_mov_b64 s[16:17], 0
                                        ; implicit-def: $vgpr3
	s_and_saveexec_b64 s[18:19], vcc
	s_xor_b64 s[18:19], exec, s[18:19]
	s_cbranch_execz .LBB372_2112
; %bb.1887:
	v_bfe_u32 v3, v4, 20, 1
	s_mov_b32 s22, 0x487ffff
	v_add3_u32 v3, v4, v3, s22
	s_mov_b64 s[16:17], exec
	v_lshrrev_b32_e32 v3, 20, v3
                                        ; implicit-def: $vgpr4
	s_andn2_saveexec_b64 s[18:19], s[18:19]
	s_cbranch_execnz .LBB372_2113
.LBB372_1888:
	s_or_b64 exec, exec, s[18:19]
	v_mov_b32_e32 v5, 0
	s_and_saveexec_b64 s[18:19], s[16:17]
.LBB372_1889:
	v_mov_b32_e32 v5, v3
.LBB372_1890:
	s_or_b64 exec, exec, s[18:19]
.LBB372_1891:
	s_or_b64 exec, exec, s[14:15]
	global_store_byte v[1:2], v5, off
.LBB372_1892:
	s_mov_b64 s[14:15], -1
.LBB372_1893:
	s_mov_b64 s[16:17], 0
.LBB372_1894:
	s_and_b64 vcc, exec, s[16:17]
	s_cbranch_vccz .LBB372_1934
; %bb.1895:
	s_cmp_gt_i32 s21, 22
	s_mov_b64 s[12:13], -1
	s_cbranch_scc0 .LBB372_1927
; %bb.1896:
	s_cmp_lt_i32 s21, 24
	s_cbranch_scc1 .LBB372_1916
; %bb.1897:
	s_cmp_gt_i32 s21, 24
	s_cbranch_scc0 .LBB372_1905
; %bb.1898:
	v_cndmask_b32_e64 v4, 0, 1.0, s[10:11]
	s_mov_b32 s12, 0x47800000
	v_cmp_gt_u32_e32 vcc, s12, v4
	v_mov_b32_e32 v5, 0x80
	s_and_saveexec_b64 s[12:13], vcc
	s_cbranch_execz .LBB372_1904
; %bb.1899:
	s_mov_b32 s14, 0x37ffffff
	v_cmp_lt_u32_e32 vcc, s14, v4
	s_mov_b64 s[14:15], 0
                                        ; implicit-def: $vgpr3
	s_and_saveexec_b64 s[16:17], vcc
	s_xor_b64 s[16:17], exec, s[16:17]
	s_cbranch_execz .LBB372_2115
; %bb.1900:
	v_bfe_u32 v3, v4, 21, 1
	s_mov_b32 s18, 0x88fffff
	v_add3_u32 v3, v4, v3, s18
	s_mov_b64 s[14:15], exec
	v_lshrrev_b32_e32 v3, 21, v3
                                        ; implicit-def: $vgpr4
	s_andn2_saveexec_b64 s[16:17], s[16:17]
	s_cbranch_execnz .LBB372_2116
.LBB372_1901:
	s_or_b64 exec, exec, s[16:17]
	v_mov_b32_e32 v5, 0
	s_and_saveexec_b64 s[16:17], s[14:15]
.LBB372_1902:
	v_mov_b32_e32 v5, v3
.LBB372_1903:
	s_or_b64 exec, exec, s[16:17]
.LBB372_1904:
	s_or_b64 exec, exec, s[12:13]
	s_mov_b64 s[12:13], 0
	global_store_byte v[1:2], v5, off
.LBB372_1905:
	s_and_b64 vcc, exec, s[12:13]
	s_cbranch_vccz .LBB372_1915
; %bb.1906:
	v_cndmask_b32_e64 v3, 0, 1.0, s[10:11]
	s_mov_b32 s12, 0x43f00000
	v_cmp_gt_u32_e32 vcc, s12, v3
                                        ; implicit-def: $vgpr4
	s_and_saveexec_b64 s[12:13], vcc
	s_xor_b64 s[12:13], exec, s[12:13]
	s_cbranch_execz .LBB372_1912
; %bb.1907:
	s_mov_b32 s14, 0x3c7fffff
	v_cmp_lt_u32_e32 vcc, s14, v3
                                        ; implicit-def: $vgpr4
	s_and_saveexec_b64 s[14:15], vcc
	s_xor_b64 s[14:15], exec, s[14:15]
; %bb.1908:
	v_bfe_u32 v4, v3, 20, 1
	s_mov_b32 s16, 0x407ffff
	v_add3_u32 v3, v3, v4, s16
	v_lshrrev_b32_e32 v4, 20, v3
	v_and_b32_e32 v3, 0xff00000, v3
	s_mov_b32 s16, 0x7f00000
	v_mov_b32_e32 v5, 0x7e
	v_cmp_ne_u32_e32 vcc, s16, v3
	v_cndmask_b32_e32 v4, v5, v4, vcc
                                        ; implicit-def: $vgpr3
; %bb.1909:
	s_andn2_saveexec_b64 s[14:15], s[14:15]
; %bb.1910:
	v_add_f32_e32 v4, 0x46800000, v3
; %bb.1911:
	s_or_b64 exec, exec, s[14:15]
                                        ; implicit-def: $vgpr3
.LBB372_1912:
	s_andn2_saveexec_b64 s[12:13], s[12:13]
; %bb.1913:
	s_mov_b32 s14, 0x7f800000
	v_mov_b32_e32 v4, 0x7e
	v_mov_b32_e32 v5, 0x7f
	v_cmp_lt_u32_e32 vcc, s14, v3
	v_cndmask_b32_e32 v4, v4, v5, vcc
; %bb.1914:
	s_or_b64 exec, exec, s[12:13]
	global_store_byte v[1:2], v4, off
.LBB372_1915:
	s_mov_b64 s[12:13], 0
.LBB372_1916:
	s_andn2_b64 vcc, exec, s[12:13]
	s_cbranch_vccnz .LBB372_1926
; %bb.1917:
	v_cndmask_b32_e64 v3, 0, 1.0, s[10:11]
	s_mov_b32 s12, 0x47800000
	v_cmp_gt_u32_e32 vcc, s12, v3
                                        ; implicit-def: $vgpr4
	s_and_saveexec_b64 s[12:13], vcc
	s_xor_b64 s[12:13], exec, s[12:13]
	s_cbranch_execz .LBB372_1923
; %bb.1918:
	s_mov_b32 s14, 0x387fffff
	v_cmp_lt_u32_e32 vcc, s14, v3
                                        ; implicit-def: $vgpr4
	s_and_saveexec_b64 s[14:15], vcc
	s_xor_b64 s[14:15], exec, s[14:15]
; %bb.1919:
	v_bfe_u32 v4, v3, 21, 1
	s_mov_b32 s16, 0x80fffff
	v_add3_u32 v3, v3, v4, s16
	v_lshrrev_b32_e32 v4, 21, v3
                                        ; implicit-def: $vgpr3
; %bb.1920:
	s_andn2_saveexec_b64 s[14:15], s[14:15]
; %bb.1921:
	v_add_f32_e32 v4, 0x43000000, v3
; %bb.1922:
	s_or_b64 exec, exec, s[14:15]
                                        ; implicit-def: $vgpr3
.LBB372_1923:
	s_andn2_saveexec_b64 s[12:13], s[12:13]
; %bb.1924:
	s_mov_b32 s14, 0x7f800000
	v_mov_b32_e32 v4, 0x7c
	v_mov_b32_e32 v5, 0x7f
	v_cmp_lt_u32_e32 vcc, s14, v3
	v_cndmask_b32_e32 v4, v4, v5, vcc
; %bb.1925:
	s_or_b64 exec, exec, s[12:13]
	global_store_byte v[1:2], v4, off
.LBB372_1926:
	s_mov_b64 s[12:13], 0
	s_mov_b64 s[14:15], -1
.LBB372_1927:
	s_andn2_b64 vcc, exec, s[12:13]
	s_mov_b64 s[12:13], 0
	s_cbranch_vccnz .LBB372_1934
; %bb.1928:
	s_cmp_gt_i32 s21, 14
	s_mov_b64 s[16:17], -1
	s_cbranch_scc0 .LBB372_1932
; %bb.1929:
	s_cmp_eq_u32 s21, 15
	s_mov_b64 s[0:1], -1
	s_cbranch_scc0 .LBB372_1931
; %bb.1930:
	v_cndmask_b32_e64 v3, 0, 1.0, s[10:11]
	v_bfe_u32 v4, v3, 16, 1
	s_movk_i32 s0, 0x7fff
	v_add3_u32 v3, v3, v4, s0
	global_store_short_d16_hi v[1:2], v3, off
	s_mov_b64 s[0:1], 0
	s_mov_b64 s[14:15], -1
.LBB372_1931:
	s_mov_b64 s[16:17], 0
.LBB372_1932:
	s_and_b64 vcc, exec, s[16:17]
	s_cbranch_vccz .LBB372_1934
; %bb.1933:
	s_cmp_lg_u32 s21, 11
	s_mov_b64 s[12:13], -1
	s_cselect_b64 s[0:1], -1, 0
.LBB372_1934:
	s_and_b64 vcc, exec, s[0:1]
	s_cbranch_vccnz .LBB372_2114
; %bb.1935:
	s_andn2_b64 vcc, exec, s[12:13]
	s_cbranch_vccnz .LBB372_1937
.LBB372_1936:
	v_cndmask_b32_e64 v3, 0, 1, s[10:11]
	s_mov_b64 s[14:15], -1
	global_store_byte v[1:2], v3, off
.LBB372_1937:
	s_mov_b64 s[0:1], 0
	s_branch .LBB372_1939
.LBB372_1938:
	s_mov_b64 s[0:1], -1
	s_mov_b64 s[14:15], 0
.LBB372_1939:
	s_and_b64 vcc, exec, s[0:1]
	s_cbranch_vccz .LBB372_1978
; %bb.1940:
	s_cmp_lt_i32 s21, 5
	s_mov_b64 s[0:1], -1
	s_cbranch_scc1 .LBB372_1961
; %bb.1941:
	s_cmp_lt_i32 s21, 8
	s_cbranch_scc1 .LBB372_1951
; %bb.1942:
	s_cmp_lt_i32 s21, 9
	s_cbranch_scc1 .LBB372_1948
; %bb.1943:
	s_cmp_gt_i32 s21, 9
	s_cbranch_scc0 .LBB372_1945
; %bb.1944:
	v_cndmask_b32_e64 v3, 0, 1, s[10:11]
	v_cvt_f64_u32_e32 v[3:4], v3
	v_mov_b32_e32 v5, 0
	v_mov_b32_e32 v6, v5
	s_mov_b64 s[0:1], 0
	global_store_dwordx4 v[1:2], v[3:6], off
.LBB372_1945:
	s_andn2_b64 vcc, exec, s[0:1]
	s_cbranch_vccnz .LBB372_1947
; %bb.1946:
	v_cndmask_b32_e64 v3, 0, 1.0, s[10:11]
	v_mov_b32_e32 v4, 0
	global_store_dwordx2 v[1:2], v[3:4], off
.LBB372_1947:
	s_mov_b64 s[0:1], 0
.LBB372_1948:
	s_andn2_b64 vcc, exec, s[0:1]
	s_cbranch_vccnz .LBB372_1950
; %bb.1949:
	v_cndmask_b32_e64 v3, 0, 1.0, s[10:11]
	v_cvt_f16_f32_e32 v3, v3
	global_store_dword v[1:2], v3, off
.LBB372_1950:
	s_mov_b64 s[0:1], 0
.LBB372_1951:
	s_andn2_b64 vcc, exec, s[0:1]
	s_cbranch_vccnz .LBB372_1960
; %bb.1952:
	s_cmp_lt_i32 s21, 6
	s_mov_b64 s[0:1], -1
	s_cbranch_scc1 .LBB372_1958
; %bb.1953:
	s_cmp_gt_i32 s21, 6
	s_cbranch_scc0 .LBB372_1955
; %bb.1954:
	v_cndmask_b32_e64 v3, 0, 1, s[10:11]
	v_cvt_f64_u32_e32 v[3:4], v3
	s_mov_b64 s[0:1], 0
	global_store_dwordx2 v[1:2], v[3:4], off
.LBB372_1955:
	s_andn2_b64 vcc, exec, s[0:1]
	s_cbranch_vccnz .LBB372_1957
; %bb.1956:
	v_cndmask_b32_e64 v3, 0, 1.0, s[10:11]
	global_store_dword v[1:2], v3, off
.LBB372_1957:
	s_mov_b64 s[0:1], 0
.LBB372_1958:
	s_andn2_b64 vcc, exec, s[0:1]
	s_cbranch_vccnz .LBB372_1960
; %bb.1959:
	v_cndmask_b32_e64 v3, 0, 1.0, s[10:11]
	v_cvt_f16_f32_e32 v3, v3
	global_store_short v[1:2], v3, off
.LBB372_1960:
	s_mov_b64 s[0:1], 0
.LBB372_1961:
	s_andn2_b64 vcc, exec, s[0:1]
	s_cbranch_vccnz .LBB372_1977
; %bb.1962:
	s_cmp_lt_i32 s21, 2
	s_mov_b64 s[0:1], -1
	s_cbranch_scc1 .LBB372_1972
; %bb.1963:
	s_cmp_lt_i32 s21, 3
	s_cbranch_scc1 .LBB372_1969
; %bb.1964:
	s_cmp_gt_i32 s21, 3
	s_cbranch_scc0 .LBB372_1966
; %bb.1965:
	s_mov_b32 s0, 0
	v_cndmask_b32_e64 v3, 0, 1, s[10:11]
	v_mov_b32_e32 v4, s0
	global_store_dwordx2 v[1:2], v[3:4], off
	s_mov_b64 s[0:1], 0
.LBB372_1966:
	s_andn2_b64 vcc, exec, s[0:1]
	s_cbranch_vccnz .LBB372_1968
; %bb.1967:
	v_cndmask_b32_e64 v3, 0, 1, s[10:11]
	global_store_dword v[1:2], v3, off
.LBB372_1968:
	s_mov_b64 s[0:1], 0
.LBB372_1969:
	s_andn2_b64 vcc, exec, s[0:1]
	s_cbranch_vccnz .LBB372_1971
; %bb.1970:
	v_cndmask_b32_e64 v3, 0, 1, s[10:11]
	global_store_short v[1:2], v3, off
.LBB372_1971:
	s_mov_b64 s[0:1], 0
.LBB372_1972:
	s_andn2_b64 vcc, exec, s[0:1]
	s_cbranch_vccnz .LBB372_1977
; %bb.1973:
	s_cmp_gt_i32 s21, 0
	s_mov_b64 s[0:1], -1
	s_cbranch_scc0 .LBB372_1975
; %bb.1974:
	v_cndmask_b32_e64 v3, 0, 1, s[10:11]
	global_store_byte v[1:2], v3, off
	s_mov_b64 s[0:1], 0
.LBB372_1975:
	s_andn2_b64 vcc, exec, s[0:1]
	s_cbranch_vccnz .LBB372_1977
; %bb.1976:
	v_cndmask_b32_e64 v3, 0, 1, s[10:11]
	global_store_byte v[1:2], v3, off
.LBB372_1977:
	s_mov_b64 s[14:15], -1
.LBB372_1978:
	s_andn2_b64 vcc, exec, s[14:15]
	s_cbranch_vccnz .LBB372_2055
; %bb.1979:
	v_cmp_ne_u64_e32 vcc, s[4:5], v[13:14]
	v_mov_b32_e32 v1, s9
	s_xor_b64 s[10:11], s[6:7], vcc
	v_add_co_u32_e32 v0, vcc, s8, v0
	s_cmp_lt_i32 s21, 11
	v_addc_co_u32_e32 v1, vcc, 0, v1, vcc
	s_cbranch_scc1 .LBB372_2100
; %bb.1980:
	s_mov_b64 s[6:7], -1
	s_mov_b64 s[4:5], 0
	s_cmp_gt_i32 s21, 25
	s_mov_b64 s[0:1], 0
	s_cbranch_scc0 .LBB372_2013
; %bb.1981:
	s_cmp_gt_i32 s21, 28
	s_cbranch_scc0 .LBB372_1997
; %bb.1982:
	s_cmp_gt_i32 s21, 43
	;; [unrolled: 3-line block ×3, first 2 shown]
	s_cbranch_scc0 .LBB372_1987
; %bb.1984:
	s_cmp_eq_u32 s21, 46
	s_mov_b64 s[0:1], -1
	s_cbranch_scc0 .LBB372_1986
; %bb.1985:
	v_cndmask_b32_e64 v2, 0, 1.0, s[10:11]
	v_bfe_u32 v3, v2, 16, 1
	s_movk_i32 s0, 0x7fff
	v_add3_u32 v2, v2, v3, s0
	v_lshrrev_b32_e32 v2, 16, v2
	global_store_dword v[0:1], v2, off
	s_mov_b64 s[0:1], 0
.LBB372_1986:
	s_mov_b64 s[6:7], 0
.LBB372_1987:
	s_and_b64 vcc, exec, s[6:7]
	s_cbranch_vccz .LBB372_1992
; %bb.1988:
	s_cmp_eq_u32 s21, 44
	s_mov_b64 s[0:1], -1
	s_cbranch_scc0 .LBB372_1992
; %bb.1989:
	v_cndmask_b32_e64 v3, 0, 1.0, s[10:11]
	v_lshrrev_b32_e32 v2, 23, v3
	s_movk_i32 s0, 0xff
	v_cmp_ne_u32_e32 vcc, s0, v2
	v_mov_b32_e32 v4, 0xff
	s_and_saveexec_b64 s[6:7], vcc
; %bb.1990:
	s_mov_b32 s0, 0x3fffff
	v_and_b32_e32 v4, 0x400000, v3
	v_and_or_b32 v3, v3, s0, v2
	v_cmp_ne_u32_e32 vcc, 0, v4
	v_cmp_ne_u32_e64 s[0:1], 0, v3
	s_and_b64 s[0:1], vcc, s[0:1]
	v_cndmask_b32_e64 v3, 0, 1, s[0:1]
	v_add_u32_e32 v4, v2, v3
; %bb.1991:
	s_or_b64 exec, exec, s[6:7]
	s_mov_b64 s[0:1], 0
	global_store_byte v[0:1], v4, off
.LBB372_1992:
	s_mov_b64 s[6:7], 0
.LBB372_1993:
	s_and_b64 vcc, exec, s[6:7]
	s_cbranch_vccz .LBB372_1996
; %bb.1994:
	s_cmp_eq_u32 s21, 29
	s_mov_b64 s[0:1], -1
	s_cbranch_scc0 .LBB372_1996
; %bb.1995:
	s_mov_b32 s0, 0
	v_cndmask_b32_e64 v2, 0, 1, s[10:11]
	v_mov_b32_e32 v3, s0
	global_store_dwordx2 v[0:1], v[2:3], off
	s_mov_b64 s[0:1], 0
.LBB372_1996:
	s_mov_b64 s[6:7], 0
.LBB372_1997:
	s_and_b64 vcc, exec, s[6:7]
	s_cbranch_vccz .LBB372_2012
; %bb.1998:
	s_cmp_lt_i32 s21, 27
	s_mov_b64 s[6:7], -1
	s_cbranch_scc1 .LBB372_2004
; %bb.1999:
	s_cmp_gt_i32 s21, 27
	s_cbranch_scc0 .LBB372_2001
; %bb.2000:
	v_cndmask_b32_e64 v2, 0, 1, s[10:11]
	global_store_dword v[0:1], v2, off
	s_mov_b64 s[6:7], 0
.LBB372_2001:
	s_andn2_b64 vcc, exec, s[6:7]
	s_cbranch_vccnz .LBB372_2003
; %bb.2002:
	v_cndmask_b32_e64 v2, 0, 1, s[10:11]
	global_store_short v[0:1], v2, off
.LBB372_2003:
	s_mov_b64 s[6:7], 0
.LBB372_2004:
	s_andn2_b64 vcc, exec, s[6:7]
	s_cbranch_vccnz .LBB372_2012
; %bb.2005:
	v_cndmask_b32_e64 v3, 0, 1.0, s[10:11]
	s_mov_b32 s6, 0x43800000
	v_cmp_gt_u32_e32 vcc, s6, v3
	v_mov_b32_e32 v4, 0x80
	s_and_saveexec_b64 s[6:7], vcc
	s_cbranch_execz .LBB372_2011
; %bb.2006:
	s_mov_b32 s8, 0x3bffffff
	v_cmp_lt_u32_e32 vcc, s8, v3
	s_mov_b64 s[8:9], 0
                                        ; implicit-def: $vgpr2
	s_and_saveexec_b64 s[12:13], vcc
	s_xor_b64 s[12:13], exec, s[12:13]
	s_cbranch_execz .LBB372_2117
; %bb.2007:
	v_bfe_u32 v2, v3, 20, 1
	s_mov_b32 s14, 0x487ffff
	v_add3_u32 v2, v3, v2, s14
	s_mov_b64 s[8:9], exec
	v_lshrrev_b32_e32 v2, 20, v2
                                        ; implicit-def: $vgpr3
	s_andn2_saveexec_b64 s[12:13], s[12:13]
	s_cbranch_execnz .LBB372_2118
.LBB372_2008:
	s_or_b64 exec, exec, s[12:13]
	v_mov_b32_e32 v4, 0
	s_and_saveexec_b64 s[12:13], s[8:9]
.LBB372_2009:
	v_mov_b32_e32 v4, v2
.LBB372_2010:
	s_or_b64 exec, exec, s[12:13]
.LBB372_2011:
	s_or_b64 exec, exec, s[6:7]
	global_store_byte v[0:1], v4, off
.LBB372_2012:
	s_mov_b64 s[6:7], 0
.LBB372_2013:
	s_and_b64 vcc, exec, s[6:7]
	s_cbranch_vccz .LBB372_2053
; %bb.2014:
	s_cmp_gt_i32 s21, 22
	s_mov_b64 s[4:5], -1
	s_cbranch_scc0 .LBB372_2046
; %bb.2015:
	s_cmp_lt_i32 s21, 24
	s_cbranch_scc1 .LBB372_2035
; %bb.2016:
	s_cmp_gt_i32 s21, 24
	s_cbranch_scc0 .LBB372_2024
; %bb.2017:
	v_cndmask_b32_e64 v3, 0, 1.0, s[10:11]
	s_mov_b32 s4, 0x47800000
	v_cmp_gt_u32_e32 vcc, s4, v3
	v_mov_b32_e32 v4, 0x80
	s_and_saveexec_b64 s[4:5], vcc
	s_cbranch_execz .LBB372_2023
; %bb.2018:
	s_mov_b32 s6, 0x37ffffff
	v_cmp_lt_u32_e32 vcc, s6, v3
	s_mov_b64 s[6:7], 0
                                        ; implicit-def: $vgpr2
	s_and_saveexec_b64 s[8:9], vcc
	s_xor_b64 s[8:9], exec, s[8:9]
	s_cbranch_execz .LBB372_2120
; %bb.2019:
	v_bfe_u32 v2, v3, 21, 1
	s_mov_b32 s12, 0x88fffff
	v_add3_u32 v2, v3, v2, s12
	s_mov_b64 s[6:7], exec
	v_lshrrev_b32_e32 v2, 21, v2
                                        ; implicit-def: $vgpr3
	s_andn2_saveexec_b64 s[8:9], s[8:9]
	s_cbranch_execnz .LBB372_2121
.LBB372_2020:
	s_or_b64 exec, exec, s[8:9]
	v_mov_b32_e32 v4, 0
	s_and_saveexec_b64 s[8:9], s[6:7]
.LBB372_2021:
	v_mov_b32_e32 v4, v2
.LBB372_2022:
	s_or_b64 exec, exec, s[8:9]
.LBB372_2023:
	s_or_b64 exec, exec, s[4:5]
	s_mov_b64 s[4:5], 0
	global_store_byte v[0:1], v4, off
.LBB372_2024:
	s_and_b64 vcc, exec, s[4:5]
	s_cbranch_vccz .LBB372_2034
; %bb.2025:
	v_cndmask_b32_e64 v2, 0, 1.0, s[10:11]
	s_mov_b32 s4, 0x43f00000
	v_cmp_gt_u32_e32 vcc, s4, v2
                                        ; implicit-def: $vgpr3
	s_and_saveexec_b64 s[4:5], vcc
	s_xor_b64 s[4:5], exec, s[4:5]
	s_cbranch_execz .LBB372_2031
; %bb.2026:
	s_mov_b32 s6, 0x3c7fffff
	v_cmp_lt_u32_e32 vcc, s6, v2
                                        ; implicit-def: $vgpr3
	s_and_saveexec_b64 s[6:7], vcc
	s_xor_b64 s[6:7], exec, s[6:7]
; %bb.2027:
	v_bfe_u32 v3, v2, 20, 1
	s_mov_b32 s8, 0x407ffff
	v_add3_u32 v2, v2, v3, s8
	v_lshrrev_b32_e32 v3, 20, v2
	v_and_b32_e32 v2, 0xff00000, v2
	s_mov_b32 s8, 0x7f00000
	v_mov_b32_e32 v4, 0x7e
	v_cmp_ne_u32_e32 vcc, s8, v2
	v_cndmask_b32_e32 v3, v4, v3, vcc
                                        ; implicit-def: $vgpr2
; %bb.2028:
	s_andn2_saveexec_b64 s[6:7], s[6:7]
; %bb.2029:
	v_add_f32_e32 v3, 0x46800000, v2
; %bb.2030:
	s_or_b64 exec, exec, s[6:7]
                                        ; implicit-def: $vgpr2
.LBB372_2031:
	s_andn2_saveexec_b64 s[4:5], s[4:5]
; %bb.2032:
	s_mov_b32 s6, 0x7f800000
	v_mov_b32_e32 v3, 0x7e
	v_mov_b32_e32 v4, 0x7f
	v_cmp_lt_u32_e32 vcc, s6, v2
	v_cndmask_b32_e32 v3, v3, v4, vcc
; %bb.2033:
	s_or_b64 exec, exec, s[4:5]
	global_store_byte v[0:1], v3, off
.LBB372_2034:
	s_mov_b64 s[4:5], 0
.LBB372_2035:
	s_andn2_b64 vcc, exec, s[4:5]
	s_cbranch_vccnz .LBB372_2045
; %bb.2036:
	v_cndmask_b32_e64 v2, 0, 1.0, s[10:11]
	s_mov_b32 s4, 0x47800000
	v_cmp_gt_u32_e32 vcc, s4, v2
                                        ; implicit-def: $vgpr3
	s_and_saveexec_b64 s[4:5], vcc
	s_xor_b64 s[4:5], exec, s[4:5]
	s_cbranch_execz .LBB372_2042
; %bb.2037:
	s_mov_b32 s6, 0x387fffff
	v_cmp_lt_u32_e32 vcc, s6, v2
                                        ; implicit-def: $vgpr3
	s_and_saveexec_b64 s[6:7], vcc
	s_xor_b64 s[6:7], exec, s[6:7]
; %bb.2038:
	v_bfe_u32 v3, v2, 21, 1
	s_mov_b32 s8, 0x80fffff
	v_add3_u32 v2, v2, v3, s8
	v_lshrrev_b32_e32 v3, 21, v2
                                        ; implicit-def: $vgpr2
; %bb.2039:
	s_andn2_saveexec_b64 s[6:7], s[6:7]
; %bb.2040:
	v_add_f32_e32 v3, 0x43000000, v2
; %bb.2041:
	s_or_b64 exec, exec, s[6:7]
                                        ; implicit-def: $vgpr2
.LBB372_2042:
	s_andn2_saveexec_b64 s[4:5], s[4:5]
; %bb.2043:
	s_mov_b32 s6, 0x7f800000
	v_mov_b32_e32 v3, 0x7c
	v_mov_b32_e32 v4, 0x7f
	v_cmp_lt_u32_e32 vcc, s6, v2
	v_cndmask_b32_e32 v3, v3, v4, vcc
; %bb.2044:
	s_or_b64 exec, exec, s[4:5]
	global_store_byte v[0:1], v3, off
.LBB372_2045:
	s_mov_b64 s[4:5], 0
.LBB372_2046:
	s_andn2_b64 vcc, exec, s[4:5]
	s_mov_b64 s[4:5], 0
	s_cbranch_vccnz .LBB372_2053
; %bb.2047:
	s_cmp_gt_i32 s21, 14
	s_mov_b64 s[6:7], -1
	s_cbranch_scc0 .LBB372_2051
; %bb.2048:
	s_cmp_eq_u32 s21, 15
	s_mov_b64 s[0:1], -1
	s_cbranch_scc0 .LBB372_2050
; %bb.2049:
	v_cndmask_b32_e64 v2, 0, 1.0, s[10:11]
	v_bfe_u32 v3, v2, 16, 1
	s_movk_i32 s0, 0x7fff
	v_add3_u32 v2, v2, v3, s0
	global_store_short_d16_hi v[0:1], v2, off
	s_mov_b64 s[0:1], 0
.LBB372_2050:
	s_mov_b64 s[6:7], 0
.LBB372_2051:
	s_and_b64 vcc, exec, s[6:7]
	s_cbranch_vccz .LBB372_2053
; %bb.2052:
	s_cmp_lg_u32 s21, 11
	s_mov_b64 s[4:5], -1
	s_cselect_b64 s[0:1], -1, 0
.LBB372_2053:
	s_and_b64 vcc, exec, s[0:1]
	s_cbranch_vccnz .LBB372_2119
.LBB372_2054:
	s_mov_b64 s[0:1], 0
	s_branch .LBB372_2056
.LBB372_2055:
	s_mov_b64 s[0:1], 0
	s_mov_b64 s[4:5], 0
                                        ; implicit-def: $sgpr10_sgpr11
                                        ; implicit-def: $vgpr0_vgpr1
                                        ; implicit-def: $sgpr20
.LBB372_2056:
	s_and_b64 s[6:7], s[4:5], exec
	s_andn2_b64 s[4:5], s[28:29], exec
	s_and_b64 s[2:3], s[2:3], exec
	s_and_b64 s[0:1], s[0:1], exec
	s_or_b64 s[28:29], s[4:5], s[2:3]
.LBB372_2057:
	s_or_b64 exec, exec, s[30:31]
	s_and_saveexec_b64 s[2:3], s[28:29]
	s_cbranch_execz .LBB372_2060
; %bb.2058:
	; divergent unreachable
	s_or_b64 exec, exec, s[2:3]
	s_and_saveexec_b64 s[2:3], s[6:7]
	s_xor_b64 s[2:3], exec, s[2:3]
	s_cbranch_execnz .LBB372_2061
.LBB372_2059:
	s_or_b64 exec, exec, s[2:3]
	s_and_saveexec_b64 s[2:3], s[0:1]
	s_cbranch_execnz .LBB372_2062
	s_branch .LBB372_2099
.LBB372_2060:
	s_or_b64 exec, exec, s[2:3]
	s_and_saveexec_b64 s[2:3], s[6:7]
	s_xor_b64 s[2:3], exec, s[2:3]
	s_cbranch_execz .LBB372_2059
.LBB372_2061:
	v_cndmask_b32_e64 v2, 0, 1, s[10:11]
	global_store_byte v[0:1], v2, off
	s_or_b64 exec, exec, s[2:3]
	s_and_saveexec_b64 s[2:3], s[0:1]
	s_cbranch_execz .LBB372_2099
.LBB372_2062:
	s_sext_i32_i16 s2, s20
	s_cmp_lt_i32 s2, 5
	s_mov_b64 s[0:1], -1
	s_cbranch_scc1 .LBB372_2083
; %bb.2063:
	s_cmp_lt_i32 s2, 8
	s_cbranch_scc1 .LBB372_2073
; %bb.2064:
	s_cmp_lt_i32 s2, 9
	s_cbranch_scc1 .LBB372_2070
; %bb.2065:
	s_cmp_gt_i32 s2, 9
	s_cbranch_scc0 .LBB372_2067
; %bb.2066:
	v_cndmask_b32_e64 v2, 0, 1, s[10:11]
	s_waitcnt vmcnt(0)
	v_cvt_f64_u32_e32 v[2:3], v2
	v_mov_b32_e32 v4, 0
	v_mov_b32_e32 v5, v4
	s_mov_b64 s[0:1], 0
	global_store_dwordx4 v[0:1], v[2:5], off
.LBB372_2067:
	s_andn2_b64 vcc, exec, s[0:1]
	s_cbranch_vccnz .LBB372_2069
; %bb.2068:
	v_cndmask_b32_e64 v2, 0, 1.0, s[10:11]
	s_waitcnt vmcnt(0)
	v_mov_b32_e32 v3, 0
	global_store_dwordx2 v[0:1], v[2:3], off
.LBB372_2069:
	s_mov_b64 s[0:1], 0
.LBB372_2070:
	s_andn2_b64 vcc, exec, s[0:1]
	s_cbranch_vccnz .LBB372_2072
; %bb.2071:
	v_cndmask_b32_e64 v2, 0, 1.0, s[10:11]
	v_cvt_f16_f32_e32 v2, v2
	global_store_dword v[0:1], v2, off
.LBB372_2072:
	s_mov_b64 s[0:1], 0
.LBB372_2073:
	s_andn2_b64 vcc, exec, s[0:1]
	s_cbranch_vccnz .LBB372_2082
; %bb.2074:
	s_sext_i32_i16 s2, s20
	s_cmp_lt_i32 s2, 6
	s_mov_b64 s[0:1], -1
	s_cbranch_scc1 .LBB372_2080
; %bb.2075:
	s_cmp_gt_i32 s2, 6
	s_cbranch_scc0 .LBB372_2077
; %bb.2076:
	v_cndmask_b32_e64 v2, 0, 1, s[10:11]
	s_waitcnt vmcnt(0)
	v_cvt_f64_u32_e32 v[2:3], v2
	s_mov_b64 s[0:1], 0
	global_store_dwordx2 v[0:1], v[2:3], off
.LBB372_2077:
	s_andn2_b64 vcc, exec, s[0:1]
	s_cbranch_vccnz .LBB372_2079
; %bb.2078:
	v_cndmask_b32_e64 v2, 0, 1.0, s[10:11]
	global_store_dword v[0:1], v2, off
.LBB372_2079:
	s_mov_b64 s[0:1], 0
.LBB372_2080:
	s_andn2_b64 vcc, exec, s[0:1]
	s_cbranch_vccnz .LBB372_2082
; %bb.2081:
	v_cndmask_b32_e64 v2, 0, 1.0, s[10:11]
	v_cvt_f16_f32_e32 v2, v2
	global_store_short v[0:1], v2, off
.LBB372_2082:
	s_mov_b64 s[0:1], 0
.LBB372_2083:
	s_andn2_b64 vcc, exec, s[0:1]
	s_cbranch_vccnz .LBB372_2099
; %bb.2084:
	s_sext_i32_i16 s2, s20
	s_cmp_lt_i32 s2, 2
	s_mov_b64 s[0:1], -1
	s_cbranch_scc1 .LBB372_2094
; %bb.2085:
	s_cmp_lt_i32 s2, 3
	s_cbranch_scc1 .LBB372_2091
; %bb.2086:
	s_cmp_gt_i32 s2, 3
	s_cbranch_scc0 .LBB372_2088
; %bb.2087:
	s_mov_b32 s0, 0
	v_cndmask_b32_e64 v2, 0, 1, s[10:11]
	s_waitcnt vmcnt(0)
	v_mov_b32_e32 v3, s0
	global_store_dwordx2 v[0:1], v[2:3], off
	s_mov_b64 s[0:1], 0
.LBB372_2088:
	s_andn2_b64 vcc, exec, s[0:1]
	s_cbranch_vccnz .LBB372_2090
; %bb.2089:
	v_cndmask_b32_e64 v2, 0, 1, s[10:11]
	global_store_dword v[0:1], v2, off
.LBB372_2090:
	s_mov_b64 s[0:1], 0
.LBB372_2091:
	s_andn2_b64 vcc, exec, s[0:1]
	s_cbranch_vccnz .LBB372_2093
; %bb.2092:
	v_cndmask_b32_e64 v2, 0, 1, s[10:11]
	global_store_short v[0:1], v2, off
.LBB372_2093:
	s_mov_b64 s[0:1], 0
.LBB372_2094:
	s_andn2_b64 vcc, exec, s[0:1]
	s_cbranch_vccnz .LBB372_2099
; %bb.2095:
	s_sext_i32_i16 s0, s20
	s_cmp_gt_i32 s0, 0
	s_mov_b64 s[0:1], -1
	s_cbranch_scc0 .LBB372_2097
; %bb.2096:
	v_cndmask_b32_e64 v2, 0, 1, s[10:11]
	global_store_byte v[0:1], v2, off
	s_mov_b64 s[0:1], 0
.LBB372_2097:
	s_andn2_b64 vcc, exec, s[0:1]
	s_cbranch_vccnz .LBB372_2099
; %bb.2098:
	v_cndmask_b32_e64 v2, 0, 1, s[10:11]
	global_store_byte v[0:1], v2, off
	s_endpgm
.LBB372_2099:
	s_endpgm
.LBB372_2100:
	s_mov_b64 s[4:5], 0
	s_mov_b64 s[0:1], -1
	s_branch .LBB372_2056
.LBB372_2101:
	s_trap 2
	s_or_b64 s[2:3], s[2:3], exec
	s_cbranch_execz .LBB372_1570
	s_branch .LBB372_1571
.LBB372_2102:
	s_andn2_saveexec_b64 s[18:19], s[18:19]
	s_cbranch_execz .LBB372_1650
.LBB372_2103:
	v_add_f32_e32 v1, 0x46000000, v3
	v_and_b32_e32 v1, 0xff, v1
	v_cmp_ne_u32_e32 vcc, 0, v1
	s_andn2_b64 s[16:17], s[16:17], exec
	s_and_b64 s[22:23], vcc, exec
	s_or_b64 s[16:17], s[16:17], s[22:23]
	s_or_b64 exec, exec, s[18:19]
	v_mov_b32_e32 v7, 0
	s_and_saveexec_b64 s[18:19], s[16:17]
	s_cbranch_execnz .LBB372_1651
	s_branch .LBB372_1652
.LBB372_2104:
	s_trap 2
	s_or_b64 s[2:3], s[2:3], exec
	s_cbranch_execz .LBB372_1698
	s_branch .LBB372_1699
.LBB372_2105:
	s_andn2_saveexec_b64 s[16:17], s[16:17]
	s_cbranch_execz .LBB372_1663
.LBB372_2106:
	v_add_f32_e32 v1, 0x42800000, v3
	v_and_b32_e32 v1, 0xff, v1
	v_cmp_ne_u32_e32 vcc, 0, v1
	s_andn2_b64 s[14:15], s[14:15], exec
	s_and_b64 s[18:19], vcc, exec
	s_or_b64 s[14:15], s[14:15], s[18:19]
	s_or_b64 exec, exec, s[16:17]
	v_mov_b32_e32 v7, 0
	s_and_saveexec_b64 s[16:17], s[14:15]
	s_cbranch_execnz .LBB372_1664
	s_branch .LBB372_1665
.LBB372_2107:
	s_andn2_saveexec_b64 s[18:19], s[18:19]
	s_cbranch_execz .LBB372_1769
.LBB372_2108:
	v_add_f32_e32 v1, 0x46000000, v5
	v_and_b32_e32 v1, 0xff, v1
	v_cmp_ne_u32_e32 vcc, 0, v1
	s_andn2_b64 s[16:17], s[16:17], exec
	s_and_b64 s[22:23], vcc, exec
	s_or_b64 s[16:17], s[16:17], s[22:23]
	s_or_b64 exec, exec, s[18:19]
	v_mov_b32_e32 v6, 0
	s_and_saveexec_b64 s[18:19], s[16:17]
	s_cbranch_execnz .LBB372_1770
	s_branch .LBB372_1771
.LBB372_2109:
	s_trap 2
	s_or_b64 s[2:3], s[2:3], exec
	s_cbranch_execz .LBB372_1817
	s_branch .LBB372_1818
.LBB372_2110:
	s_andn2_saveexec_b64 s[16:17], s[16:17]
	s_cbranch_execz .LBB372_1782
.LBB372_2111:
	v_add_f32_e32 v1, 0x42800000, v5
	v_and_b32_e32 v1, 0xff, v1
	v_cmp_ne_u32_e32 vcc, 0, v1
	s_andn2_b64 s[14:15], s[14:15], exec
	s_and_b64 s[18:19], vcc, exec
	s_or_b64 s[14:15], s[14:15], s[18:19]
	s_or_b64 exec, exec, s[16:17]
	v_mov_b32_e32 v6, 0
	s_and_saveexec_b64 s[16:17], s[14:15]
	s_cbranch_execnz .LBB372_1783
	s_branch .LBB372_1784
.LBB372_2112:
	s_andn2_saveexec_b64 s[18:19], s[18:19]
	s_cbranch_execz .LBB372_1888
.LBB372_2113:
	v_add_f32_e32 v3, 0x46000000, v4
	v_and_b32_e32 v3, 0xff, v3
	v_cmp_ne_u32_e32 vcc, 0, v3
	s_andn2_b64 s[16:17], s[16:17], exec
	s_and_b64 s[22:23], vcc, exec
	s_or_b64 s[16:17], s[16:17], s[22:23]
	s_or_b64 exec, exec, s[18:19]
	v_mov_b32_e32 v5, 0
	s_and_saveexec_b64 s[18:19], s[16:17]
	s_cbranch_execnz .LBB372_1889
	s_branch .LBB372_1890
.LBB372_2114:
	s_trap 2
	s_or_b64 s[2:3], s[2:3], exec
	s_cbranch_execz .LBB372_1936
	s_branch .LBB372_1937
.LBB372_2115:
	s_andn2_saveexec_b64 s[16:17], s[16:17]
	s_cbranch_execz .LBB372_1901
.LBB372_2116:
	v_add_f32_e32 v3, 0x42800000, v4
	v_and_b32_e32 v3, 0xff, v3
	v_cmp_ne_u32_e32 vcc, 0, v3
	s_andn2_b64 s[14:15], s[14:15], exec
	s_and_b64 s[18:19], vcc, exec
	s_or_b64 s[14:15], s[14:15], s[18:19]
	s_or_b64 exec, exec, s[16:17]
	v_mov_b32_e32 v5, 0
	s_and_saveexec_b64 s[16:17], s[14:15]
	s_cbranch_execnz .LBB372_1902
	s_branch .LBB372_1903
.LBB372_2117:
	s_andn2_saveexec_b64 s[12:13], s[12:13]
	s_cbranch_execz .LBB372_2008
.LBB372_2118:
	v_add_f32_e32 v2, 0x46000000, v3
	v_and_b32_e32 v2, 0xff, v2
	v_cmp_ne_u32_e32 vcc, 0, v2
	s_andn2_b64 s[8:9], s[8:9], exec
	s_and_b64 s[14:15], vcc, exec
	s_or_b64 s[8:9], s[8:9], s[14:15]
	s_or_b64 exec, exec, s[12:13]
	v_mov_b32_e32 v4, 0
	s_and_saveexec_b64 s[12:13], s[8:9]
	s_cbranch_execnz .LBB372_2009
	s_branch .LBB372_2010
.LBB372_2119:
	s_mov_b64 s[4:5], 0
	s_or_b64 s[2:3], s[2:3], exec
	s_trap 2
	s_branch .LBB372_2054
.LBB372_2120:
	s_andn2_saveexec_b64 s[8:9], s[8:9]
	s_cbranch_execz .LBB372_2020
.LBB372_2121:
	v_add_f32_e32 v2, 0x42800000, v3
	v_and_b32_e32 v2, 0xff, v2
	v_cmp_ne_u32_e32 vcc, 0, v2
	s_andn2_b64 s[6:7], s[6:7], exec
	s_and_b64 s[12:13], vcc, exec
	s_or_b64 s[6:7], s[6:7], s[12:13]
	s_or_b64 exec, exec, s[8:9]
	v_mov_b32_e32 v4, 0
	s_and_saveexec_b64 s[8:9], s[6:7]
	s_cbranch_execnz .LBB372_2021
	s_branch .LBB372_2022
	.section	.rodata,"a",@progbits
	.p2align	6, 0x0
	.amdhsa_kernel _ZN2at6native32elementwise_kernel_manual_unrollILi128ELi4EZNS0_15gpu_kernel_implINS0_13AUnaryFunctorImmbNS0_12_GLOBAL__N_116CompareEqFunctorImEEEEEEvRNS_18TensorIteratorBaseERKT_EUlibE0_EEviT1_
		.amdhsa_group_segment_fixed_size 0
		.amdhsa_private_segment_fixed_size 0
		.amdhsa_kernarg_size 376
		.amdhsa_user_sgpr_count 6
		.amdhsa_user_sgpr_private_segment_buffer 1
		.amdhsa_user_sgpr_dispatch_ptr 0
		.amdhsa_user_sgpr_queue_ptr 0
		.amdhsa_user_sgpr_kernarg_segment_ptr 1
		.amdhsa_user_sgpr_dispatch_id 0
		.amdhsa_user_sgpr_flat_scratch_init 0
		.amdhsa_user_sgpr_private_segment_size 0
		.amdhsa_uses_dynamic_stack 0
		.amdhsa_system_sgpr_private_segment_wavefront_offset 0
		.amdhsa_system_sgpr_workgroup_id_x 1
		.amdhsa_system_sgpr_workgroup_id_y 0
		.amdhsa_system_sgpr_workgroup_id_z 0
		.amdhsa_system_sgpr_workgroup_info 0
		.amdhsa_system_vgpr_workitem_id 0
		.amdhsa_next_free_vgpr 21
		.amdhsa_next_free_sgpr 82
		.amdhsa_reserve_vcc 1
		.amdhsa_reserve_flat_scratch 0
		.amdhsa_float_round_mode_32 0
		.amdhsa_float_round_mode_16_64 0
		.amdhsa_float_denorm_mode_32 3
		.amdhsa_float_denorm_mode_16_64 3
		.amdhsa_dx10_clamp 1
		.amdhsa_ieee_mode 1
		.amdhsa_fp16_overflow 0
		.amdhsa_exception_fp_ieee_invalid_op 0
		.amdhsa_exception_fp_denorm_src 0
		.amdhsa_exception_fp_ieee_div_zero 0
		.amdhsa_exception_fp_ieee_overflow 0
		.amdhsa_exception_fp_ieee_underflow 0
		.amdhsa_exception_fp_ieee_inexact 0
		.amdhsa_exception_int_div_zero 0
	.end_amdhsa_kernel
	.section	.text._ZN2at6native32elementwise_kernel_manual_unrollILi128ELi4EZNS0_15gpu_kernel_implINS0_13AUnaryFunctorImmbNS0_12_GLOBAL__N_116CompareEqFunctorImEEEEEEvRNS_18TensorIteratorBaseERKT_EUlibE0_EEviT1_,"axG",@progbits,_ZN2at6native32elementwise_kernel_manual_unrollILi128ELi4EZNS0_15gpu_kernel_implINS0_13AUnaryFunctorImmbNS0_12_GLOBAL__N_116CompareEqFunctorImEEEEEEvRNS_18TensorIteratorBaseERKT_EUlibE0_EEviT1_,comdat
.Lfunc_end372:
	.size	_ZN2at6native32elementwise_kernel_manual_unrollILi128ELi4EZNS0_15gpu_kernel_implINS0_13AUnaryFunctorImmbNS0_12_GLOBAL__N_116CompareEqFunctorImEEEEEEvRNS_18TensorIteratorBaseERKT_EUlibE0_EEviT1_, .Lfunc_end372-_ZN2at6native32elementwise_kernel_manual_unrollILi128ELi4EZNS0_15gpu_kernel_implINS0_13AUnaryFunctorImmbNS0_12_GLOBAL__N_116CompareEqFunctorImEEEEEEvRNS_18TensorIteratorBaseERKT_EUlibE0_EEviT1_
                                        ; -- End function
	.set _ZN2at6native32elementwise_kernel_manual_unrollILi128ELi4EZNS0_15gpu_kernel_implINS0_13AUnaryFunctorImmbNS0_12_GLOBAL__N_116CompareEqFunctorImEEEEEEvRNS_18TensorIteratorBaseERKT_EUlibE0_EEviT1_.num_vgpr, 21
	.set _ZN2at6native32elementwise_kernel_manual_unrollILi128ELi4EZNS0_15gpu_kernel_implINS0_13AUnaryFunctorImmbNS0_12_GLOBAL__N_116CompareEqFunctorImEEEEEEvRNS_18TensorIteratorBaseERKT_EUlibE0_EEviT1_.num_agpr, 0
	.set _ZN2at6native32elementwise_kernel_manual_unrollILi128ELi4EZNS0_15gpu_kernel_implINS0_13AUnaryFunctorImmbNS0_12_GLOBAL__N_116CompareEqFunctorImEEEEEEvRNS_18TensorIteratorBaseERKT_EUlibE0_EEviT1_.numbered_sgpr, 82
	.set _ZN2at6native32elementwise_kernel_manual_unrollILi128ELi4EZNS0_15gpu_kernel_implINS0_13AUnaryFunctorImmbNS0_12_GLOBAL__N_116CompareEqFunctorImEEEEEEvRNS_18TensorIteratorBaseERKT_EUlibE0_EEviT1_.num_named_barrier, 0
	.set _ZN2at6native32elementwise_kernel_manual_unrollILi128ELi4EZNS0_15gpu_kernel_implINS0_13AUnaryFunctorImmbNS0_12_GLOBAL__N_116CompareEqFunctorImEEEEEEvRNS_18TensorIteratorBaseERKT_EUlibE0_EEviT1_.private_seg_size, 0
	.set _ZN2at6native32elementwise_kernel_manual_unrollILi128ELi4EZNS0_15gpu_kernel_implINS0_13AUnaryFunctorImmbNS0_12_GLOBAL__N_116CompareEqFunctorImEEEEEEvRNS_18TensorIteratorBaseERKT_EUlibE0_EEviT1_.uses_vcc, 1
	.set _ZN2at6native32elementwise_kernel_manual_unrollILi128ELi4EZNS0_15gpu_kernel_implINS0_13AUnaryFunctorImmbNS0_12_GLOBAL__N_116CompareEqFunctorImEEEEEEvRNS_18TensorIteratorBaseERKT_EUlibE0_EEviT1_.uses_flat_scratch, 0
	.set _ZN2at6native32elementwise_kernel_manual_unrollILi128ELi4EZNS0_15gpu_kernel_implINS0_13AUnaryFunctorImmbNS0_12_GLOBAL__N_116CompareEqFunctorImEEEEEEvRNS_18TensorIteratorBaseERKT_EUlibE0_EEviT1_.has_dyn_sized_stack, 0
	.set _ZN2at6native32elementwise_kernel_manual_unrollILi128ELi4EZNS0_15gpu_kernel_implINS0_13AUnaryFunctorImmbNS0_12_GLOBAL__N_116CompareEqFunctorImEEEEEEvRNS_18TensorIteratorBaseERKT_EUlibE0_EEviT1_.has_recursion, 0
	.set _ZN2at6native32elementwise_kernel_manual_unrollILi128ELi4EZNS0_15gpu_kernel_implINS0_13AUnaryFunctorImmbNS0_12_GLOBAL__N_116CompareEqFunctorImEEEEEEvRNS_18TensorIteratorBaseERKT_EUlibE0_EEviT1_.has_indirect_call, 0
	.section	.AMDGPU.csdata,"",@progbits
; Kernel info:
; codeLenInByte = 37780
; TotalNumSgprs: 86
; NumVgprs: 21
; ScratchSize: 0
; MemoryBound: 1
; FloatMode: 240
; IeeeMode: 1
; LDSByteSize: 0 bytes/workgroup (compile time only)
; SGPRBlocks: 10
; VGPRBlocks: 5
; NumSGPRsForWavesPerEU: 86
; NumVGPRsForWavesPerEU: 21
; Occupancy: 9
; WaveLimiterHint : 1
; COMPUTE_PGM_RSRC2:SCRATCH_EN: 0
; COMPUTE_PGM_RSRC2:USER_SGPR: 6
; COMPUTE_PGM_RSRC2:TRAP_HANDLER: 0
; COMPUTE_PGM_RSRC2:TGID_X_EN: 1
; COMPUTE_PGM_RSRC2:TGID_Y_EN: 0
; COMPUTE_PGM_RSRC2:TGID_Z_EN: 0
; COMPUTE_PGM_RSRC2:TIDIG_COMP_CNT: 0
	.section	.text._ZN2at6native29vectorized_elementwise_kernelILi16ENS0_13BinaryFunctorIN3c1016Float4_e2m1fn_x2ES4_bNS0_12_GLOBAL__N_116CompareEqFunctorIS4_EEEESt5arrayIPcLm3EEEEviT0_T1_,"axG",@progbits,_ZN2at6native29vectorized_elementwise_kernelILi16ENS0_13BinaryFunctorIN3c1016Float4_e2m1fn_x2ES4_bNS0_12_GLOBAL__N_116CompareEqFunctorIS4_EEEESt5arrayIPcLm3EEEEviT0_T1_,comdat
	.globl	_ZN2at6native29vectorized_elementwise_kernelILi16ENS0_13BinaryFunctorIN3c1016Float4_e2m1fn_x2ES4_bNS0_12_GLOBAL__N_116CompareEqFunctorIS4_EEEESt5arrayIPcLm3EEEEviT0_T1_ ; -- Begin function _ZN2at6native29vectorized_elementwise_kernelILi16ENS0_13BinaryFunctorIN3c1016Float4_e2m1fn_x2ES4_bNS0_12_GLOBAL__N_116CompareEqFunctorIS4_EEEESt5arrayIPcLm3EEEEviT0_T1_
	.p2align	8
	.type	_ZN2at6native29vectorized_elementwise_kernelILi16ENS0_13BinaryFunctorIN3c1016Float4_e2m1fn_x2ES4_bNS0_12_GLOBAL__N_116CompareEqFunctorIS4_EEEESt5arrayIPcLm3EEEEviT0_T1_,@function
_ZN2at6native29vectorized_elementwise_kernelILi16ENS0_13BinaryFunctorIN3c1016Float4_e2m1fn_x2ES4_bNS0_12_GLOBAL__N_116CompareEqFunctorIS4_EEEESt5arrayIPcLm3EEEEviT0_T1_: ; @_ZN2at6native29vectorized_elementwise_kernelILi16ENS0_13BinaryFunctorIN3c1016Float4_e2m1fn_x2ES4_bNS0_12_GLOBAL__N_116CompareEqFunctorIS4_EEEESt5arrayIPcLm3EEEEviT0_T1_
; %bb.0:
	s_load_dwordx2 s[12:13], s[4:5], 0x0
	s_load_dwordx4 s[8:11], s[4:5], 0x8
	s_load_dwordx2 s[14:15], s[4:5], 0x18
	s_lshl_b32 s33, s6, 12
	s_mov_b64 s[0:1], -1
	s_waitcnt lgkmcnt(0)
	s_sub_i32 s12, s12, s33
	s_cmpk_gt_i32 s12, 0xfff
	s_cbranch_scc0 .LBB373_2
; %bb.1:
	s_ashr_i32 s2, s33, 31
	s_add_u32 s0, s10, s33
	s_addc_u32 s1, s11, s2
	v_lshlrev_b32_e32 v9, 4, v0
	global_load_dwordx4 v[1:4], v9, s[0:1]
	s_add_u32 s0, s14, s33
	s_addc_u32 s1, s15, s2
	global_load_dwordx4 v[5:8], v9, s[0:1]
	s_movk_i32 s0, 0xff
	s_cmp_eq_u32 s13, 0
	s_cselect_b64 s[16:17], -1, 0
	s_add_u32 s6, s8, s33
	s_addc_u32 s7, s9, s2
	s_waitcnt vmcnt(1)
	v_and_b32_sdwa v10, v1, s0 dst_sel:DWORD dst_unused:UNUSED_PAD src0_sel:WORD_1 src1_sel:DWORD
	v_and_b32_sdwa v11, v2, s0 dst_sel:DWORD dst_unused:UNUSED_PAD src0_sel:WORD_1 src1_sel:DWORD
	;; [unrolled: 1-line block ×4, first 2 shown]
	s_waitcnt vmcnt(0)
	v_and_b32_sdwa v14, v5, s0 dst_sel:DWORD dst_unused:UNUSED_PAD src0_sel:WORD_1 src1_sel:DWORD
	v_and_b32_sdwa v15, v6, s0 dst_sel:DWORD dst_unused:UNUSED_PAD src0_sel:WORD_1 src1_sel:DWORD
	;; [unrolled: 1-line block ×4, first 2 shown]
	v_cmp_ne_u16_sdwa s[0:1], v1, v5 src0_sel:BYTE_1 src1_sel:BYTE_1
	v_cmp_ne_u16_sdwa s[2:3], v1, v5 src0_sel:BYTE_0 src1_sel:BYTE_0
	v_cmp_ne_u16_sdwa s[18:19], v2, v6 src0_sel:BYTE_1 src1_sel:BYTE_1
	s_xor_b64 s[0:1], s[16:17], s[0:1]
	v_cmp_ne_u16_sdwa s[4:5], v1, v5 src0_sel:BYTE_3 src1_sel:BYTE_3
	v_cmp_ne_u16_sdwa s[20:21], v2, v6 src0_sel:BYTE_0 src1_sel:BYTE_0
	v_cmp_ne_u16_sdwa s[24:25], v3, v7 src0_sel:BYTE_1 src1_sel:BYTE_1
	v_cndmask_b32_e64 v1, 0, 1, s[0:1]
	s_xor_b64 s[0:1], s[16:17], s[2:3]
	s_xor_b64 s[2:3], s[16:17], s[18:19]
	v_cmp_ne_u16_sdwa s[22:23], v2, v6 src0_sel:BYTE_3 src1_sel:BYTE_3
	v_cmp_ne_u16_sdwa s[26:27], v3, v7 src0_sel:BYTE_0 src1_sel:BYTE_0
	v_cmp_ne_u16_sdwa s[30:31], v4, v8 src0_sel:BYTE_1 src1_sel:BYTE_1
	v_cmp_ne_u16_sdwa s[34:35], v4, v8 src0_sel:BYTE_0 src1_sel:BYTE_0
	v_cmp_ne_u16_sdwa s[36:37], v4, v8 src0_sel:BYTE_3 src1_sel:BYTE_3
	v_cndmask_b32_e64 v2, 0, 1, s[0:1]
	s_xor_b64 s[0:1], s[16:17], s[4:5]
	v_cndmask_b32_e64 v4, 0, 1, s[2:3]
	s_xor_b64 s[2:3], s[16:17], s[20:21]
	s_xor_b64 s[4:5], s[16:17], s[24:25]
	v_cmp_ne_u16_sdwa s[28:29], v3, v7 src0_sel:BYTE_3 src1_sel:BYTE_3
	v_cndmask_b32_e64 v3, 0, 1, s[0:1]
	v_cmp_ne_u16_e64 s[0:1], v11, v15
	v_cndmask_b32_e64 v5, 0, 1, s[2:3]
	s_xor_b64 s[2:3], s[16:17], s[22:23]
	v_cndmask_b32_e64 v7, 0, 1, s[4:5]
	s_xor_b64 s[4:5], s[16:17], s[26:27]
	s_xor_b64 s[18:19], s[16:17], s[30:31]
	v_cndmask_b32_e64 v6, 0, 1, s[2:3]
	v_cmp_ne_u16_e64 s[2:3], v12, v16
	v_cndmask_b32_e64 v8, 0, 1, s[4:5]
	s_xor_b64 s[4:5], s[16:17], s[28:29]
	v_cndmask_b32_e64 v11, 0, 1, s[18:19]
	s_xor_b64 s[18:19], s[16:17], s[34:35]
	s_xor_b64 s[0:1], s[16:17], s[0:1]
	v_cmp_ne_u16_e32 vcc, v10, v14
	v_cndmask_b32_e64 v10, 0, 1, s[4:5]
	v_cmp_ne_u16_e64 s[4:5], v13, v17
	v_cndmask_b32_e64 v12, 0, 1, s[18:19]
	s_xor_b64 s[18:19], s[16:17], s[36:37]
	v_cndmask_b32_e64 v15, 0, 1, s[0:1]
	s_xor_b64 s[0:1], s[16:17], s[2:3]
	v_cndmask_b32_e64 v13, 0, 1, s[18:19]
	s_xor_b64 s[18:19], s[16:17], vcc
	v_cndmask_b32_e64 v16, 0, 1, s[0:1]
	s_xor_b64 s[0:1], s[16:17], s[4:5]
	v_lshlrev_b16_e32 v1, 8, v1
	v_lshlrev_b16_e32 v3, 8, v3
	v_cndmask_b32_e64 v14, 0, 1, s[18:19]
	v_lshlrev_b16_e32 v4, 8, v4
	v_lshlrev_b16_e32 v6, 8, v6
	;; [unrolled: 1-line block ×6, first 2 shown]
	v_cndmask_b32_e64 v17, 0, 1, s[0:1]
	v_or_b32_e32 v1, v2, v1
	v_or_b32_sdwa v2, v14, v3 dst_sel:WORD_1 dst_unused:UNUSED_PAD src0_sel:DWORD src1_sel:DWORD
	v_or_b32_e32 v3, v5, v4
	v_or_b32_sdwa v4, v15, v6 dst_sel:WORD_1 dst_unused:UNUSED_PAD src0_sel:DWORD src1_sel:DWORD
	;; [unrolled: 2-line block ×4, first 2 shown]
	v_or_b32_sdwa v1, v1, v2 dst_sel:DWORD dst_unused:UNUSED_PAD src0_sel:WORD_0 src1_sel:DWORD
	v_or_b32_sdwa v2, v3, v4 dst_sel:DWORD dst_unused:UNUSED_PAD src0_sel:WORD_0 src1_sel:DWORD
	;; [unrolled: 1-line block ×4, first 2 shown]
	global_store_dwordx4 v9, v[1:4], s[6:7]
	s_mov_b64 s[0:1], 0
.LBB373_2:
	s_andn2_b64 vcc, exec, s[0:1]
	s_cbranch_vccnz .LBB373_54
; %bb.3:
	v_cmp_gt_i32_e32 vcc, s12, v0
	v_cmp_le_i32_e64 s[0:1], s12, v0
                                        ; implicit-def: $vgpr5
	s_and_saveexec_b64 s[2:3], s[0:1]
	s_xor_b64 s[0:1], exec, s[2:3]
; %bb.4:
	v_or_b32_e32 v5, 0x100, v0
; %bb.5:
	s_or_saveexec_b64 s[2:3], s[0:1]
	v_mov_b32_e32 v36, 0
	s_mov_b64 s[4:5], 0
	v_or_b32_e32 v6, s33, v0
	v_mov_b32_e32 v35, 0
	v_mov_b32_e32 v34, 0
	;; [unrolled: 1-line block ×29, first 2 shown]
	s_xor_b64 exec, exec, s[2:3]
	s_cbranch_execz .LBB373_37
; %bb.6:
	global_load_ubyte v7, v6, s[10:11]
	global_load_ubyte v8, v6, s[14:15]
	v_or_b32_e32 v5, 0x100, v0
	v_cmp_gt_u32_e64 s[0:1], s12, v5
	s_mov_b64 s[6:7], 0
	v_mov_b32_e32 v9, 0
	v_mov_b32_e32 v10, 0
	v_mov_b32_e32 v11, 0
	v_mov_b32_e32 v13, 0
	v_mov_b32_e32 v12, 0
	v_mov_b32_e32 v15, 0
	v_mov_b32_e32 v16, 0
	v_mov_b32_e32 v17, 0
	v_mov_b32_e32 v18, 0
	v_mov_b32_e32 v21, 0
	v_mov_b32_e32 v14, 0
	v_mov_b32_e32 v19, 0
	v_mov_b32_e32 v20, 0
	v_mov_b32_e32 v22, 0
	v_mov_b32_e32 v23, 0
	v_mov_b32_e32 v24, 0
	v_mov_b32_e32 v25, 0
	v_mov_b32_e32 v26, 0
	v_mov_b32_e32 v27, 0
	v_mov_b32_e32 v28, 0
	v_mov_b32_e32 v29, 0
	v_mov_b32_e32 v30, 0
	v_mov_b32_e32 v31, 0
	v_mov_b32_e32 v32, 0
	v_mov_b32_e32 v33, 0
	v_mov_b32_e32 v34, 0
	v_mov_b32_e32 v35, 0
	v_mov_b32_e32 v36, 0
	s_and_saveexec_b64 s[4:5], s[0:1]
	s_cbranch_execz .LBB373_36
; %bb.7:
	v_add_u32_e32 v3, s33, v0
	global_load_ubyte v10, v3, s[10:11] offset:256
	global_load_ubyte v9, v3, s[14:15] offset:256
	v_or_b32_e32 v1, 0x200, v0
	v_mov_b32_e32 v11, 0
	v_cmp_gt_u32_e64 s[0:1], s12, v1
	s_mov_b64 s[16:17], 0
	v_mov_b32_e32 v13, 0
	v_mov_b32_e32 v12, 0
	;; [unrolled: 1-line block ×25, first 2 shown]
	s_and_saveexec_b64 s[6:7], s[0:1]
	s_cbranch_execz .LBB373_35
; %bb.8:
	v_mov_b32_e32 v2, s11
	v_add_co_u32_e64 v1, s[0:1], s10, v3
	v_addc_co_u32_e64 v2, s[0:1], 0, v2, s[0:1]
	v_mov_b32_e32 v4, s15
	v_add_co_u32_e64 v3, s[0:1], s14, v3
	v_addc_co_u32_e64 v4, s[0:1], 0, v4, s[0:1]
	global_load_ubyte v13, v[1:2], off offset:512
	global_load_ubyte v11, v[3:4], off offset:512
	v_or_b32_e32 v12, 0x300, v0
	v_cmp_gt_u32_e64 s[0:1], s12, v12
	s_mov_b64 s[14:15], 0
	v_mov_b32_e32 v12, 0
	v_mov_b32_e32 v15, 0
	v_mov_b32_e32 v16, 0
	v_mov_b32_e32 v17, 0
	v_mov_b32_e32 v18, 0
	v_mov_b32_e32 v21, 0
	v_mov_b32_e32 v14, 0
	v_mov_b32_e32 v19, 0
	v_mov_b32_e32 v20, 0
	v_mov_b32_e32 v22, 0
	v_mov_b32_e32 v23, 0
	v_mov_b32_e32 v24, 0
	v_mov_b32_e32 v25, 0
	v_mov_b32_e32 v26, 0
	v_mov_b32_e32 v27, 0
	v_mov_b32_e32 v28, 0
	v_mov_b32_e32 v29, 0
	v_mov_b32_e32 v30, 0
	v_mov_b32_e32 v31, 0
	v_mov_b32_e32 v32, 0
	v_mov_b32_e32 v33, 0
	v_mov_b32_e32 v34, 0
	v_mov_b32_e32 v35, 0
	v_mov_b32_e32 v36, 0
	s_and_saveexec_b64 s[10:11], s[0:1]
	s_cbranch_execz .LBB373_34
; %bb.9:
	global_load_ubyte v15, v[1:2], off offset:768
	global_load_ubyte v12, v[3:4], off offset:768
	v_or_b32_e32 v14, 0x400, v0
	v_cmp_gt_u32_e64 s[0:1], s12, v14
	v_mov_b32_e32 v16, 0
	v_mov_b32_e32 v17, 0
	;; [unrolled: 1-line block ×22, first 2 shown]
	s_and_saveexec_b64 s[14:15], s[0:1]
	s_cbranch_execz .LBB373_33
; %bb.10:
	global_load_ubyte v17, v[1:2], off offset:1024
	global_load_ubyte v16, v[3:4], off offset:1024
	v_or_b32_e32 v14, 0x500, v0
	v_cmp_gt_u32_e64 s[0:1], s12, v14
	s_mov_b64 s[18:19], 0
	v_mov_b32_e32 v18, 0
	v_mov_b32_e32 v21, 0
	;; [unrolled: 1-line block ×20, first 2 shown]
	s_and_saveexec_b64 s[16:17], s[0:1]
	s_cbranch_execz .LBB373_32
; %bb.11:
	global_load_ubyte v21, v[1:2], off offset:1280
	global_load_ubyte v18, v[3:4], off offset:1280
	v_or_b32_e32 v14, 0x600, v0
	v_cmp_gt_u32_e64 s[0:1], s12, v14
	s_mov_b64 s[20:21], 0
	v_mov_b32_e32 v14, 0
	v_mov_b32_e32 v19, 0
	;; [unrolled: 1-line block ×18, first 2 shown]
	s_and_saveexec_b64 s[18:19], s[0:1]
	s_cbranch_execz .LBB373_31
; %bb.12:
	global_load_ubyte v19, v[1:2], off offset:1536
	global_load_ubyte v14, v[3:4], off offset:1536
	v_or_b32_e32 v20, 0x700, v0
	v_cmp_gt_u32_e64 s[0:1], s12, v20
	s_mov_b64 s[22:23], 0
	v_mov_b32_e32 v20, 0
	v_mov_b32_e32 v22, 0
	;; [unrolled: 1-line block ×16, first 2 shown]
	s_and_saveexec_b64 s[20:21], s[0:1]
	s_cbranch_execz .LBB373_30
; %bb.13:
	global_load_ubyte v22, v[1:2], off offset:1792
	global_load_ubyte v20, v[3:4], off offset:1792
	v_or_b32_e32 v23, 0x800, v0
	v_cmp_gt_u32_e64 s[0:1], s12, v23
	s_mov_b64 s[24:25], 0
	v_mov_b32_e32 v23, 0
	v_mov_b32_e32 v24, 0
	;; [unrolled: 1-line block ×14, first 2 shown]
	s_and_saveexec_b64 s[22:23], s[0:1]
	s_cbranch_execz .LBB373_29
; %bb.14:
	global_load_ubyte v24, v[1:2], off offset:2048
	global_load_ubyte v23, v[3:4], off offset:2048
	v_or_b32_e32 v25, 0x900, v0
	v_cmp_gt_u32_e64 s[0:1], s12, v25
	s_mov_b64 s[26:27], 0
	v_mov_b32_e32 v25, 0
	v_mov_b32_e32 v26, 0
	;; [unrolled: 1-line block ×12, first 2 shown]
	s_and_saveexec_b64 s[24:25], s[0:1]
	s_cbranch_execz .LBB373_28
; %bb.15:
	global_load_ubyte v26, v[1:2], off offset:2304
	global_load_ubyte v25, v[3:4], off offset:2304
	v_or_b32_e32 v27, 0xa00, v0
	v_cmp_gt_u32_e64 s[0:1], s12, v27
	s_mov_b64 s[28:29], 0
	v_mov_b32_e32 v27, 0
	v_mov_b32_e32 v28, 0
	;; [unrolled: 1-line block ×10, first 2 shown]
	s_and_saveexec_b64 s[26:27], s[0:1]
	s_cbranch_execz .LBB373_27
; %bb.16:
	global_load_ubyte v28, v[1:2], off offset:2560
	global_load_ubyte v27, v[3:4], off offset:2560
	v_or_b32_e32 v29, 0xb00, v0
	v_cmp_gt_u32_e64 s[0:1], s12, v29
	s_mov_b64 s[30:31], 0
	v_mov_b32_e32 v29, 0
	v_mov_b32_e32 v30, 0
	;; [unrolled: 1-line block ×8, first 2 shown]
	s_and_saveexec_b64 s[28:29], s[0:1]
	s_cbranch_execz .LBB373_26
; %bb.17:
	global_load_ubyte v30, v[1:2], off offset:2816
	global_load_ubyte v29, v[3:4], off offset:2816
	v_or_b32_e32 v31, 0xc00, v0
	v_cmp_gt_u32_e64 s[0:1], s12, v31
	s_mov_b64 s[34:35], 0
	v_mov_b32_e32 v31, 0
	v_mov_b32_e32 v32, 0
	;; [unrolled: 1-line block ×6, first 2 shown]
	s_and_saveexec_b64 s[30:31], s[0:1]
	s_cbranch_execz .LBB373_25
; %bb.18:
	global_load_ubyte v32, v[1:2], off offset:3072
	global_load_ubyte v31, v[3:4], off offset:3072
	v_or_b32_e32 v33, 0xd00, v0
	v_cmp_gt_u32_e64 s[0:1], s12, v33
	s_mov_b64 s[36:37], 0
	v_mov_b32_e32 v33, 0
	v_mov_b32_e32 v34, 0
	;; [unrolled: 1-line block ×4, first 2 shown]
	s_and_saveexec_b64 s[34:35], s[0:1]
	s_cbranch_execz .LBB373_24
; %bb.19:
	global_load_ubyte v34, v[1:2], off offset:3328
	global_load_ubyte v33, v[3:4], off offset:3328
	v_or_b32_e32 v35, 0xe00, v0
	v_cmp_gt_u32_e64 s[0:1], s12, v35
	s_mov_b64 s[38:39], 0
	v_mov_b32_e32 v35, 0
	v_mov_b32_e32 v36, 0
	s_and_saveexec_b64 s[36:37], s[0:1]
	s_cbranch_execz .LBB373_23
; %bb.20:
	global_load_ubyte v36, v[1:2], off offset:3584
	global_load_ubyte v35, v[3:4], off offset:3584
	v_or_b32_e32 v37, 0xf00, v0
	v_cmp_gt_u32_e64 s[0:1], s12, v37
	s_mov_b64 s[40:41], 0
	s_and_saveexec_b64 s[38:39], s[0:1]
	s_cbranch_execz .LBB373_22
; %bb.21:
	global_load_ubyte v37, v[1:2], off offset:3840
	global_load_ubyte v38, v[3:4], off offset:3840
	s_waitcnt vmcnt(0)
	v_cmp_ne_u16_e64 s[0:1], v37, v38
	s_and_b64 s[40:41], s[0:1], exec
.LBB373_22:
	s_or_b64 exec, exec, s[38:39]
	s_and_b64 s[38:39], s[40:41], exec
.LBB373_23:
	s_or_b64 exec, exec, s[36:37]
	s_and_b64 s[36:37], s[38:39], exec
.LBB373_24:
	s_or_b64 exec, exec, s[34:35]
	s_and_b64 s[34:35], s[36:37], exec
.LBB373_25:
	s_or_b64 exec, exec, s[30:31]
	s_and_b64 s[30:31], s[34:35], exec
.LBB373_26:
	s_or_b64 exec, exec, s[28:29]
	s_and_b64 s[28:29], s[30:31], exec
.LBB373_27:
	s_or_b64 exec, exec, s[26:27]
	s_and_b64 s[26:27], s[28:29], exec
.LBB373_28:
	s_or_b64 exec, exec, s[24:25]
	s_and_b64 s[24:25], s[26:27], exec
.LBB373_29:
	s_or_b64 exec, exec, s[22:23]
	s_and_b64 s[22:23], s[24:25], exec
.LBB373_30:
	s_or_b64 exec, exec, s[20:21]
	s_and_b64 s[20:21], s[22:23], exec
.LBB373_31:
	s_or_b64 exec, exec, s[18:19]
	s_and_b64 s[18:19], s[20:21], exec
.LBB373_32:
	s_or_b64 exec, exec, s[16:17]
	s_and_b64 s[16:17], s[18:19], exec
.LBB373_33:
	s_or_b64 exec, exec, s[14:15]
	s_and_b64 s[14:15], s[16:17], exec
.LBB373_34:
	s_or_b64 exec, exec, s[10:11]
	s_and_b64 s[16:17], s[14:15], exec
.LBB373_35:
	s_or_b64 exec, exec, s[6:7]
	s_and_b64 s[6:7], s[16:17], exec
.LBB373_36:
	s_or_b64 exec, exec, s[4:5]
	s_and_b64 s[4:5], s[6:7], exec
.LBB373_37:
	s_or_b64 exec, exec, s[2:3]
	s_cmp_eq_u32 s13, 0
	s_cselect_b64 s[2:3], -1, 0
	s_waitcnt vmcnt(0)
	v_cmp_ne_u16_sdwa s[0:1], v7, v8 src0_sel:BYTE_0 src1_sel:BYTE_0
	s_xor_b64 s[0:1], s[2:3], s[0:1]
	v_cndmask_b32_e64 v1, 0, 1, s[0:1]
	v_cmp_ne_u16_sdwa s[0:1], v10, v9 src0_sel:BYTE_0 src1_sel:BYTE_0
	s_xor_b64 s[0:1], s[2:3], s[0:1]
	v_cndmask_b32_e64 v2, 0, 1, s[0:1]
	v_cndmask_b32_e32 v1, 0, v1, vcc
	v_lshlrev_b16_e32 v2, 8, v2
	v_or_b32_e32 v2, v1, v2
	v_and_b32_e32 v2, 0xffff, v2
	v_cmp_gt_i32_e64 s[0:1], s12, v5
	v_cndmask_b32_e64 v1, v1, v2, s[0:1]
	v_cmp_ne_u16_sdwa s[0:1], v13, v11 src0_sel:BYTE_0 src1_sel:BYTE_0
	s_xor_b64 s[0:1], s[2:3], s[0:1]
	v_or_b32_e32 v2, 0x200, v0
	v_cndmask_b32_e64 v3, 0, 1, s[0:1]
	v_lshl_or_b32 v3, v3, 16, v1
	v_cmp_gt_i32_e64 s[0:1], s12, v2
	v_cndmask_b32_e64 v1, v1, v3, s[0:1]
	v_cmp_ne_u16_sdwa s[0:1], v15, v12 src0_sel:BYTE_0 src1_sel:BYTE_0
	s_xor_b64 s[0:1], s[2:3], s[0:1]
	s_movk_i32 s6, 0xff
	v_cndmask_b32_e64 v4, 0, 1, s[0:1]
	v_and_b32_sdwa v2, v1, s6 dst_sel:DWORD dst_unused:UNUSED_PAD src0_sel:WORD_1 src1_sel:DWORD
	v_lshlrev_b16_e32 v4, 8, v4
	s_mov_b32 s7, 0xffff
	v_or_b32_e32 v3, 0x300, v0
	v_or_b32_sdwa v2, v2, v4 dst_sel:WORD_1 dst_unused:UNUSED_PAD src0_sel:DWORD src1_sel:DWORD
	v_and_or_b32 v2, v1, s7, v2
	v_cmp_gt_i32_e64 s[0:1], s12, v3
	v_cndmask_b32_e64 v4, v1, v2, s[0:1]
	v_cmp_ne_u16_sdwa s[0:1], v17, v16 src0_sel:BYTE_0 src1_sel:BYTE_0
	s_xor_b64 s[0:1], s[2:3], s[0:1]
	v_cndmask_b32_e64 v1, 0, 1, s[0:1]
	v_or_b32_e32 v2, 0x400, v0
	v_and_b32_e32 v1, 0xffff, v1
	v_cmp_gt_i32_e64 s[0:1], s12, v2
	v_cndmask_b32_e64 v1, 0, v1, s[0:1]
	v_cmp_ne_u16_sdwa s[0:1], v21, v18 src0_sel:BYTE_0 src1_sel:BYTE_0
	s_xor_b64 s[0:1], s[2:3], s[0:1]
	v_cndmask_b32_e64 v3, 0, 1, s[0:1]
	v_lshlrev_b16_e32 v3, 8, v3
	v_or_b32_e32 v2, 0x500, v0
	v_or_b32_sdwa v3, v1, v3 dst_sel:DWORD dst_unused:UNUSED_PAD src0_sel:BYTE_0 src1_sel:DWORD
	v_and_b32_e32 v3, 0xffff, v3
	v_cmp_gt_i32_e64 s[0:1], s12, v2
	v_cndmask_b32_e64 v1, v1, v3, s[0:1]
	v_cmp_ne_u16_sdwa s[0:1], v19, v14 src0_sel:BYTE_0 src1_sel:BYTE_0
	s_movk_i32 s10, 0xff00
	s_xor_b64 s[0:1], s[2:3], s[0:1]
	v_and_b32_sdwa v2, v1, s10 dst_sel:DWORD dst_unused:UNUSED_PAD src0_sel:WORD_1 src1_sel:DWORD
	v_cndmask_b32_e64 v3, 0, 1, s[0:1]
	v_or_b32_sdwa v2, v3, v2 dst_sel:WORD_1 dst_unused:UNUSED_PAD src0_sel:DWORD src1_sel:DWORD
	v_or_b32_e32 v3, 0x600, v0
	v_and_or_b32 v2, v1, s7, v2
	v_cmp_gt_i32_e64 s[0:1], s12, v3
	v_cndmask_b32_e64 v1, v1, v2, s[0:1]
	v_cmp_ne_u16_sdwa s[0:1], v22, v20 src0_sel:BYTE_0 src1_sel:BYTE_0
	s_xor_b64 s[0:1], s[2:3], s[0:1]
	v_cndmask_b32_e64 v7, 0, 1, s[0:1]
	v_and_b32_sdwa v2, v1, s6 dst_sel:DWORD dst_unused:UNUSED_PAD src0_sel:WORD_1 src1_sel:DWORD
	v_lshlrev_b16_e32 v7, 8, v7
	v_or_b32_e32 v3, 0x700, v0
	v_or_b32_sdwa v2, v2, v7 dst_sel:WORD_1 dst_unused:UNUSED_PAD src0_sel:DWORD src1_sel:DWORD
	v_and_or_b32 v2, v1, s7, v2
	v_cmp_gt_i32_e64 s[0:1], s12, v3
	v_cndmask_b32_e64 v3, v1, v2, s[0:1]
	v_cmp_ne_u16_sdwa s[0:1], v24, v23 src0_sel:BYTE_0 src1_sel:BYTE_0
	v_or_b32_e32 v1, 0x800, v0
	s_xor_b64 s[0:1], s[2:3], s[0:1]
	v_cndmask_b32_e64 v2, 0, 1, s[0:1]
	v_cmp_gt_i32_e64 s[0:1], s12, v1
	v_cndmask_b32_e64 v1, 0, v2, s[0:1]
	v_cmp_ne_u16_sdwa s[0:1], v26, v25 src0_sel:BYTE_0 src1_sel:BYTE_0
	s_xor_b64 s[0:1], s[2:3], s[0:1]
	v_cndmask_b32_e64 v7, 0, 1, s[0:1]
	v_lshlrev_b16_e32 v7, 8, v7
	v_or_b32_e32 v2, 0x900, v0
	v_or_b32_e32 v7, v1, v7
	v_and_b32_e32 v7, 0xffff, v7
	v_cmp_gt_i32_e64 s[0:1], s12, v2
	v_cndmask_b32_e64 v1, v1, v7, s[0:1]
	v_cmp_ne_u16_sdwa s[0:1], v28, v27 src0_sel:BYTE_0 src1_sel:BYTE_0
	s_xor_b64 s[0:1], s[2:3], s[0:1]
	v_cndmask_b32_e64 v7, 0, 1, s[0:1]
	v_or_b32_e32 v2, 0xa00, v0
	v_lshlrev_b32_e32 v7, 16, v7
	s_movk_i32 s0, 0x1ff
	v_and_or_b32 v7, v1, s0, v7
	v_cmp_gt_i32_e64 s[0:1], s12, v2
	v_cndmask_b32_e64 v1, v1, v7, s[0:1]
	v_cmp_ne_u16_sdwa s[0:1], v30, v29 src0_sel:BYTE_0 src1_sel:BYTE_0
	s_xor_b64 s[0:1], s[2:3], s[0:1]
	v_cndmask_b32_e64 v8, 0, 1, s[0:1]
	v_and_b32_sdwa v2, v1, s6 dst_sel:DWORD dst_unused:UNUSED_PAD src0_sel:WORD_1 src1_sel:DWORD
	v_lshlrev_b16_e32 v8, 8, v8
	v_or_b32_e32 v7, 0xb00, v0
	v_or_b32_sdwa v2, v2, v8 dst_sel:WORD_1 dst_unused:UNUSED_PAD src0_sel:DWORD src1_sel:DWORD
	v_and_or_b32 v2, v1, s7, v2
	v_cmp_gt_i32_e64 s[0:1], s12, v7
	v_cndmask_b32_e64 v2, v1, v2, s[0:1]
	v_cmp_ne_u16_sdwa s[0:1], v32, v31 src0_sel:BYTE_0 src1_sel:BYTE_0
	v_or_b32_e32 v1, 0xc00, v0
	s_xor_b64 s[0:1], s[2:3], s[0:1]
	v_cndmask_b32_e64 v7, 0, 1, s[0:1]
	v_cmp_gt_i32_e64 s[0:1], s12, v1
	v_cndmask_b32_e64 v1, 0, v7, s[0:1]
	v_cmp_ne_u16_sdwa s[0:1], v34, v33 src0_sel:BYTE_0 src1_sel:BYTE_0
	s_xor_b64 s[0:1], s[2:3], s[0:1]
	v_cndmask_b32_e64 v8, 0, 1, s[0:1]
	v_lshlrev_b16_e32 v8, 8, v8
	v_or_b32_e32 v7, 0xd00, v0
	v_or_b32_sdwa v8, v1, v8 dst_sel:DWORD dst_unused:UNUSED_PAD src0_sel:BYTE_0 src1_sel:DWORD
	v_and_b32_e32 v8, 0xffff, v8
	v_cmp_gt_i32_e64 s[0:1], s12, v7
	v_cndmask_b32_e64 v1, v1, v8, s[0:1]
	v_cmp_ne_u16_sdwa s[0:1], v36, v35 src0_sel:BYTE_0 src1_sel:BYTE_0
	s_xor_b64 s[0:1], s[2:3], s[0:1]
	v_and_b32_sdwa v7, v1, s10 dst_sel:DWORD dst_unused:UNUSED_PAD src0_sel:WORD_1 src1_sel:DWORD
	v_cndmask_b32_e64 v8, 0, 1, s[0:1]
	v_or_b32_sdwa v7, v8, v7 dst_sel:WORD_1 dst_unused:UNUSED_PAD src0_sel:DWORD src1_sel:DWORD
	v_or_b32_e32 v8, 0xe00, v0
	v_and_or_b32 v7, v1, s7, v7
	v_cmp_gt_i32_e64 s[0:1], s12, v8
	v_cndmask_b32_e64 v1, v1, v7, s[0:1]
	s_xor_b64 s[0:1], s[2:3], s[4:5]
	v_cndmask_b32_e64 v9, 0, 1, s[0:1]
	v_and_b32_sdwa v7, v1, s6 dst_sel:DWORD dst_unused:UNUSED_PAD src0_sel:WORD_1 src1_sel:DWORD
	v_lshlrev_b16_e32 v9, 8, v9
	v_or_b32_e32 v8, 0xf00, v0
	v_or_b32_sdwa v7, v7, v9 dst_sel:WORD_1 dst_unused:UNUSED_PAD src0_sel:DWORD src1_sel:DWORD
	v_and_or_b32 v7, v1, s7, v7
	v_cmp_gt_i32_e64 s[0:1], s12, v8
	v_cndmask_b32_e64 v1, v1, v7, s[0:1]
	s_and_saveexec_b64 s[0:1], vcc
	s_cbranch_execnz .LBB373_55
; %bb.38:
	s_or_b64 exec, exec, s[0:1]
	v_cmp_gt_i32_e32 vcc, s12, v0
	s_and_saveexec_b64 s[0:1], vcc
	s_cbranch_execnz .LBB373_56
.LBB373_39:
	s_or_b64 exec, exec, s[0:1]
	v_cmp_gt_i32_e32 vcc, s12, v0
	s_and_saveexec_b64 s[0:1], vcc
	s_cbranch_execnz .LBB373_57
.LBB373_40:
	s_or_b64 exec, exec, s[0:1]
	v_cmp_gt_i32_e32 vcc, s12, v0
	s_and_saveexec_b64 s[0:1], vcc
	s_cbranch_execnz .LBB373_58
.LBB373_41:
	s_or_b64 exec, exec, s[0:1]
	v_cmp_gt_i32_e32 vcc, s12, v0
	s_and_saveexec_b64 s[0:1], vcc
	s_cbranch_execnz .LBB373_59
.LBB373_42:
	s_or_b64 exec, exec, s[0:1]
	v_cmp_gt_i32_e32 vcc, s12, v0
	s_and_saveexec_b64 s[0:1], vcc
	s_cbranch_execnz .LBB373_60
.LBB373_43:
	s_or_b64 exec, exec, s[0:1]
	v_cmp_gt_i32_e32 vcc, s12, v0
	s_and_saveexec_b64 s[0:1], vcc
	s_cbranch_execnz .LBB373_61
.LBB373_44:
	s_or_b64 exec, exec, s[0:1]
	v_cmp_gt_i32_e32 vcc, s12, v0
	s_and_saveexec_b64 s[0:1], vcc
	s_cbranch_execnz .LBB373_62
.LBB373_45:
	s_or_b64 exec, exec, s[0:1]
	v_cmp_gt_i32_e32 vcc, s12, v0
	s_and_saveexec_b64 s[0:1], vcc
	s_cbranch_execnz .LBB373_63
.LBB373_46:
	s_or_b64 exec, exec, s[0:1]
	v_cmp_gt_i32_e32 vcc, s12, v0
	s_and_saveexec_b64 s[0:1], vcc
	s_cbranch_execnz .LBB373_64
.LBB373_47:
	s_or_b64 exec, exec, s[0:1]
	v_cmp_gt_i32_e32 vcc, s12, v0
	s_and_saveexec_b64 s[0:1], vcc
	s_cbranch_execnz .LBB373_65
.LBB373_48:
	s_or_b64 exec, exec, s[0:1]
	v_cmp_gt_i32_e32 vcc, s12, v0
	s_and_saveexec_b64 s[0:1], vcc
	s_cbranch_execnz .LBB373_66
.LBB373_49:
	s_or_b64 exec, exec, s[0:1]
	v_cmp_gt_i32_e32 vcc, s12, v0
	s_and_saveexec_b64 s[0:1], vcc
	s_cbranch_execnz .LBB373_67
.LBB373_50:
	s_or_b64 exec, exec, s[0:1]
	v_cmp_gt_i32_e32 vcc, s12, v0
	s_and_saveexec_b64 s[0:1], vcc
	s_cbranch_execnz .LBB373_68
.LBB373_51:
	s_or_b64 exec, exec, s[0:1]
	v_cmp_gt_i32_e32 vcc, s12, v0
	s_and_saveexec_b64 s[0:1], vcc
	s_cbranch_execnz .LBB373_69
.LBB373_52:
	s_or_b64 exec, exec, s[0:1]
	v_cmp_gt_i32_e32 vcc, s12, v0
	s_and_saveexec_b64 s[0:1], vcc
	s_cbranch_execz .LBB373_54
.LBB373_53:
	v_lshrrev_b32_e32 v1, 24, v1
	v_add_u32_e32 v0, s33, v0
	global_store_byte v0, v1, s[8:9]
.LBB373_54:
	s_endpgm
.LBB373_55:
	v_mov_b32_e32 v0, v5
	global_store_byte v6, v4, s[8:9]
	s_or_b64 exec, exec, s[0:1]
	v_cmp_gt_i32_e32 vcc, s12, v0
	s_and_saveexec_b64 s[0:1], vcc
	s_cbranch_execz .LBB373_39
.LBB373_56:
	v_lshrrev_b32_e32 v5, 8, v4
	v_add_u32_e32 v6, s33, v0
	v_add_u32_e32 v0, 0x100, v0
	global_store_byte v6, v5, s[8:9]
	s_or_b64 exec, exec, s[0:1]
	v_cmp_gt_i32_e32 vcc, s12, v0
	s_and_saveexec_b64 s[0:1], vcc
	s_cbranch_execz .LBB373_40
.LBB373_57:
	v_add_u32_e32 v5, s33, v0
	v_add_u32_e32 v0, 0x100, v0
	global_store_byte_d16_hi v5, v4, s[8:9]
	s_or_b64 exec, exec, s[0:1]
	v_cmp_gt_i32_e32 vcc, s12, v0
	s_and_saveexec_b64 s[0:1], vcc
	s_cbranch_execz .LBB373_41
.LBB373_58:
	v_lshrrev_b32_e32 v4, 24, v4
	v_add_u32_e32 v5, s33, v0
	v_add_u32_e32 v0, 0x100, v0
	global_store_byte v5, v4, s[8:9]
	s_or_b64 exec, exec, s[0:1]
	v_cmp_gt_i32_e32 vcc, s12, v0
	s_and_saveexec_b64 s[0:1], vcc
	s_cbranch_execz .LBB373_42
.LBB373_59:
	v_add_u32_e32 v4, s33, v0
	v_add_u32_e32 v0, 0x100, v0
	global_store_byte v4, v3, s[8:9]
	s_or_b64 exec, exec, s[0:1]
	v_cmp_gt_i32_e32 vcc, s12, v0
	s_and_saveexec_b64 s[0:1], vcc
	s_cbranch_execz .LBB373_43
.LBB373_60:
	v_lshrrev_b32_e32 v4, 8, v3
	v_add_u32_e32 v5, s33, v0
	v_add_u32_e32 v0, 0x100, v0
	global_store_byte v5, v4, s[8:9]
	s_or_b64 exec, exec, s[0:1]
	v_cmp_gt_i32_e32 vcc, s12, v0
	s_and_saveexec_b64 s[0:1], vcc
	s_cbranch_execz .LBB373_44
.LBB373_61:
	v_add_u32_e32 v4, s33, v0
	v_add_u32_e32 v0, 0x100, v0
	global_store_byte_d16_hi v4, v3, s[8:9]
	s_or_b64 exec, exec, s[0:1]
	v_cmp_gt_i32_e32 vcc, s12, v0
	s_and_saveexec_b64 s[0:1], vcc
	s_cbranch_execz .LBB373_45
.LBB373_62:
	v_lshrrev_b32_e32 v3, 24, v3
	v_add_u32_e32 v4, s33, v0
	v_add_u32_e32 v0, 0x100, v0
	global_store_byte v4, v3, s[8:9]
	s_or_b64 exec, exec, s[0:1]
	v_cmp_gt_i32_e32 vcc, s12, v0
	s_and_saveexec_b64 s[0:1], vcc
	s_cbranch_execz .LBB373_46
.LBB373_63:
	v_add_u32_e32 v3, s33, v0
	v_add_u32_e32 v0, 0x100, v0
	global_store_byte v3, v2, s[8:9]
	s_or_b64 exec, exec, s[0:1]
	v_cmp_gt_i32_e32 vcc, s12, v0
	s_and_saveexec_b64 s[0:1], vcc
	s_cbranch_execz .LBB373_47
.LBB373_64:
	v_lshrrev_b32_e32 v3, 8, v2
	v_add_u32_e32 v4, s33, v0
	v_add_u32_e32 v0, 0x100, v0
	global_store_byte v4, v3, s[8:9]
	s_or_b64 exec, exec, s[0:1]
	v_cmp_gt_i32_e32 vcc, s12, v0
	s_and_saveexec_b64 s[0:1], vcc
	s_cbranch_execz .LBB373_48
.LBB373_65:
	v_add_u32_e32 v3, s33, v0
	v_add_u32_e32 v0, 0x100, v0
	global_store_byte_d16_hi v3, v2, s[8:9]
	s_or_b64 exec, exec, s[0:1]
	v_cmp_gt_i32_e32 vcc, s12, v0
	s_and_saveexec_b64 s[0:1], vcc
	s_cbranch_execz .LBB373_49
.LBB373_66:
	v_lshrrev_b32_e32 v2, 24, v2
	v_add_u32_e32 v3, s33, v0
	v_add_u32_e32 v0, 0x100, v0
	global_store_byte v3, v2, s[8:9]
	s_or_b64 exec, exec, s[0:1]
	v_cmp_gt_i32_e32 vcc, s12, v0
	s_and_saveexec_b64 s[0:1], vcc
	s_cbranch_execz .LBB373_50
.LBB373_67:
	v_add_u32_e32 v2, s33, v0
	v_add_u32_e32 v0, 0x100, v0
	global_store_byte v2, v1, s[8:9]
	s_or_b64 exec, exec, s[0:1]
	v_cmp_gt_i32_e32 vcc, s12, v0
	s_and_saveexec_b64 s[0:1], vcc
	s_cbranch_execz .LBB373_51
.LBB373_68:
	v_lshrrev_b32_e32 v2, 8, v1
	v_add_u32_e32 v3, s33, v0
	v_add_u32_e32 v0, 0x100, v0
	global_store_byte v3, v2, s[8:9]
	s_or_b64 exec, exec, s[0:1]
	v_cmp_gt_i32_e32 vcc, s12, v0
	s_and_saveexec_b64 s[0:1], vcc
	s_cbranch_execz .LBB373_52
.LBB373_69:
	v_add_u32_e32 v2, s33, v0
	v_add_u32_e32 v0, 0x100, v0
	global_store_byte_d16_hi v2, v1, s[8:9]
	s_or_b64 exec, exec, s[0:1]
	v_cmp_gt_i32_e32 vcc, s12, v0
	s_and_saveexec_b64 s[0:1], vcc
	s_cbranch_execnz .LBB373_53
	s_branch .LBB373_54
	.section	.rodata,"a",@progbits
	.p2align	6, 0x0
	.amdhsa_kernel _ZN2at6native29vectorized_elementwise_kernelILi16ENS0_13BinaryFunctorIN3c1016Float4_e2m1fn_x2ES4_bNS0_12_GLOBAL__N_116CompareEqFunctorIS4_EEEESt5arrayIPcLm3EEEEviT0_T1_
		.amdhsa_group_segment_fixed_size 0
		.amdhsa_private_segment_fixed_size 0
		.amdhsa_kernarg_size 32
		.amdhsa_user_sgpr_count 6
		.amdhsa_user_sgpr_private_segment_buffer 1
		.amdhsa_user_sgpr_dispatch_ptr 0
		.amdhsa_user_sgpr_queue_ptr 0
		.amdhsa_user_sgpr_kernarg_segment_ptr 1
		.amdhsa_user_sgpr_dispatch_id 0
		.amdhsa_user_sgpr_flat_scratch_init 0
		.amdhsa_user_sgpr_private_segment_size 0
		.amdhsa_uses_dynamic_stack 0
		.amdhsa_system_sgpr_private_segment_wavefront_offset 0
		.amdhsa_system_sgpr_workgroup_id_x 1
		.amdhsa_system_sgpr_workgroup_id_y 0
		.amdhsa_system_sgpr_workgroup_id_z 0
		.amdhsa_system_sgpr_workgroup_info 0
		.amdhsa_system_vgpr_workitem_id 0
		.amdhsa_next_free_vgpr 39
		.amdhsa_next_free_sgpr 42
		.amdhsa_reserve_vcc 1
		.amdhsa_reserve_flat_scratch 0
		.amdhsa_float_round_mode_32 0
		.amdhsa_float_round_mode_16_64 0
		.amdhsa_float_denorm_mode_32 3
		.amdhsa_float_denorm_mode_16_64 3
		.amdhsa_dx10_clamp 1
		.amdhsa_ieee_mode 1
		.amdhsa_fp16_overflow 0
		.amdhsa_exception_fp_ieee_invalid_op 0
		.amdhsa_exception_fp_denorm_src 0
		.amdhsa_exception_fp_ieee_div_zero 0
		.amdhsa_exception_fp_ieee_overflow 0
		.amdhsa_exception_fp_ieee_underflow 0
		.amdhsa_exception_fp_ieee_inexact 0
		.amdhsa_exception_int_div_zero 0
	.end_amdhsa_kernel
	.section	.text._ZN2at6native29vectorized_elementwise_kernelILi16ENS0_13BinaryFunctorIN3c1016Float4_e2m1fn_x2ES4_bNS0_12_GLOBAL__N_116CompareEqFunctorIS4_EEEESt5arrayIPcLm3EEEEviT0_T1_,"axG",@progbits,_ZN2at6native29vectorized_elementwise_kernelILi16ENS0_13BinaryFunctorIN3c1016Float4_e2m1fn_x2ES4_bNS0_12_GLOBAL__N_116CompareEqFunctorIS4_EEEESt5arrayIPcLm3EEEEviT0_T1_,comdat
.Lfunc_end373:
	.size	_ZN2at6native29vectorized_elementwise_kernelILi16ENS0_13BinaryFunctorIN3c1016Float4_e2m1fn_x2ES4_bNS0_12_GLOBAL__N_116CompareEqFunctorIS4_EEEESt5arrayIPcLm3EEEEviT0_T1_, .Lfunc_end373-_ZN2at6native29vectorized_elementwise_kernelILi16ENS0_13BinaryFunctorIN3c1016Float4_e2m1fn_x2ES4_bNS0_12_GLOBAL__N_116CompareEqFunctorIS4_EEEESt5arrayIPcLm3EEEEviT0_T1_
                                        ; -- End function
	.set _ZN2at6native29vectorized_elementwise_kernelILi16ENS0_13BinaryFunctorIN3c1016Float4_e2m1fn_x2ES4_bNS0_12_GLOBAL__N_116CompareEqFunctorIS4_EEEESt5arrayIPcLm3EEEEviT0_T1_.num_vgpr, 39
	.set _ZN2at6native29vectorized_elementwise_kernelILi16ENS0_13BinaryFunctorIN3c1016Float4_e2m1fn_x2ES4_bNS0_12_GLOBAL__N_116CompareEqFunctorIS4_EEEESt5arrayIPcLm3EEEEviT0_T1_.num_agpr, 0
	.set _ZN2at6native29vectorized_elementwise_kernelILi16ENS0_13BinaryFunctorIN3c1016Float4_e2m1fn_x2ES4_bNS0_12_GLOBAL__N_116CompareEqFunctorIS4_EEEESt5arrayIPcLm3EEEEviT0_T1_.numbered_sgpr, 42
	.set _ZN2at6native29vectorized_elementwise_kernelILi16ENS0_13BinaryFunctorIN3c1016Float4_e2m1fn_x2ES4_bNS0_12_GLOBAL__N_116CompareEqFunctorIS4_EEEESt5arrayIPcLm3EEEEviT0_T1_.num_named_barrier, 0
	.set _ZN2at6native29vectorized_elementwise_kernelILi16ENS0_13BinaryFunctorIN3c1016Float4_e2m1fn_x2ES4_bNS0_12_GLOBAL__N_116CompareEqFunctorIS4_EEEESt5arrayIPcLm3EEEEviT0_T1_.private_seg_size, 0
	.set _ZN2at6native29vectorized_elementwise_kernelILi16ENS0_13BinaryFunctorIN3c1016Float4_e2m1fn_x2ES4_bNS0_12_GLOBAL__N_116CompareEqFunctorIS4_EEEESt5arrayIPcLm3EEEEviT0_T1_.uses_vcc, 1
	.set _ZN2at6native29vectorized_elementwise_kernelILi16ENS0_13BinaryFunctorIN3c1016Float4_e2m1fn_x2ES4_bNS0_12_GLOBAL__N_116CompareEqFunctorIS4_EEEESt5arrayIPcLm3EEEEviT0_T1_.uses_flat_scratch, 0
	.set _ZN2at6native29vectorized_elementwise_kernelILi16ENS0_13BinaryFunctorIN3c1016Float4_e2m1fn_x2ES4_bNS0_12_GLOBAL__N_116CompareEqFunctorIS4_EEEESt5arrayIPcLm3EEEEviT0_T1_.has_dyn_sized_stack, 0
	.set _ZN2at6native29vectorized_elementwise_kernelILi16ENS0_13BinaryFunctorIN3c1016Float4_e2m1fn_x2ES4_bNS0_12_GLOBAL__N_116CompareEqFunctorIS4_EEEESt5arrayIPcLm3EEEEviT0_T1_.has_recursion, 0
	.set _ZN2at6native29vectorized_elementwise_kernelILi16ENS0_13BinaryFunctorIN3c1016Float4_e2m1fn_x2ES4_bNS0_12_GLOBAL__N_116CompareEqFunctorIS4_EEEESt5arrayIPcLm3EEEEviT0_T1_.has_indirect_call, 0
	.section	.AMDGPU.csdata,"",@progbits
; Kernel info:
; codeLenInByte = 4284
; TotalNumSgprs: 46
; NumVgprs: 39
; ScratchSize: 0
; MemoryBound: 0
; FloatMode: 240
; IeeeMode: 1
; LDSByteSize: 0 bytes/workgroup (compile time only)
; SGPRBlocks: 5
; VGPRBlocks: 9
; NumSGPRsForWavesPerEU: 46
; NumVGPRsForWavesPerEU: 39
; Occupancy: 6
; WaveLimiterHint : 0
; COMPUTE_PGM_RSRC2:SCRATCH_EN: 0
; COMPUTE_PGM_RSRC2:USER_SGPR: 6
; COMPUTE_PGM_RSRC2:TRAP_HANDLER: 0
; COMPUTE_PGM_RSRC2:TGID_X_EN: 1
; COMPUTE_PGM_RSRC2:TGID_Y_EN: 0
; COMPUTE_PGM_RSRC2:TGID_Z_EN: 0
; COMPUTE_PGM_RSRC2:TIDIG_COMP_CNT: 0
	.section	.text._ZN2at6native29vectorized_elementwise_kernelILi8ENS0_13BinaryFunctorIN3c1016Float4_e2m1fn_x2ES4_bNS0_12_GLOBAL__N_116CompareEqFunctorIS4_EEEESt5arrayIPcLm3EEEEviT0_T1_,"axG",@progbits,_ZN2at6native29vectorized_elementwise_kernelILi8ENS0_13BinaryFunctorIN3c1016Float4_e2m1fn_x2ES4_bNS0_12_GLOBAL__N_116CompareEqFunctorIS4_EEEESt5arrayIPcLm3EEEEviT0_T1_,comdat
	.globl	_ZN2at6native29vectorized_elementwise_kernelILi8ENS0_13BinaryFunctorIN3c1016Float4_e2m1fn_x2ES4_bNS0_12_GLOBAL__N_116CompareEqFunctorIS4_EEEESt5arrayIPcLm3EEEEviT0_T1_ ; -- Begin function _ZN2at6native29vectorized_elementwise_kernelILi8ENS0_13BinaryFunctorIN3c1016Float4_e2m1fn_x2ES4_bNS0_12_GLOBAL__N_116CompareEqFunctorIS4_EEEESt5arrayIPcLm3EEEEviT0_T1_
	.p2align	8
	.type	_ZN2at6native29vectorized_elementwise_kernelILi8ENS0_13BinaryFunctorIN3c1016Float4_e2m1fn_x2ES4_bNS0_12_GLOBAL__N_116CompareEqFunctorIS4_EEEESt5arrayIPcLm3EEEEviT0_T1_,@function
_ZN2at6native29vectorized_elementwise_kernelILi8ENS0_13BinaryFunctorIN3c1016Float4_e2m1fn_x2ES4_bNS0_12_GLOBAL__N_116CompareEqFunctorIS4_EEEESt5arrayIPcLm3EEEEviT0_T1_: ; @_ZN2at6native29vectorized_elementwise_kernelILi8ENS0_13BinaryFunctorIN3c1016Float4_e2m1fn_x2ES4_bNS0_12_GLOBAL__N_116CompareEqFunctorIS4_EEEESt5arrayIPcLm3EEEEviT0_T1_
; %bb.0:
	s_load_dwordx2 s[14:15], s[4:5], 0x0
	s_load_dwordx4 s[16:19], s[4:5], 0x8
	s_load_dwordx2 s[20:21], s[4:5], 0x18
	s_lshl_b32 s33, s6, 12
	s_mov_b64 s[0:1], -1
	s_waitcnt lgkmcnt(0)
	s_sub_i32 s14, s14, s33
	s_cmpk_gt_i32 s14, 0xfff
	s_cbranch_scc0 .LBB374_2
; %bb.1:
	s_ashr_i32 s34, s33, 31
	s_add_u32 s0, s18, s33
	s_addc_u32 s1, s19, s34
	v_lshlrev_b32_e32 v9, 3, v0
	global_load_dwordx2 v[1:2], v9, s[0:1]
	global_load_dwordx2 v[3:4], v9, s[0:1] offset:2048
	s_add_u32 s0, s20, s33
	s_addc_u32 s1, s21, s34
	global_load_dwordx2 v[5:6], v9, s[0:1]
	global_load_dwordx2 v[7:8], v9, s[0:1] offset:2048
	s_movk_i32 s0, 0xff
	s_cmp_eq_u32 s15, 0
	s_cselect_b64 s[22:23], -1, 0
	s_mov_b32 s12, 0xffffff
	s_waitcnt vmcnt(3)
	v_and_b32_sdwa v11, v1, s0 dst_sel:DWORD dst_unused:UNUSED_PAD src0_sel:WORD_1 src1_sel:DWORD
	v_and_b32_sdwa v13, v2, s0 dst_sel:DWORD dst_unused:UNUSED_PAD src0_sel:WORD_1 src1_sel:DWORD
	s_waitcnt vmcnt(2)
	v_and_b32_sdwa v15, v3, s0 dst_sel:DWORD dst_unused:UNUSED_PAD src0_sel:WORD_1 src1_sel:DWORD
	v_and_b32_sdwa v17, v4, s0 dst_sel:DWORD dst_unused:UNUSED_PAD src0_sel:WORD_1 src1_sel:DWORD
	;; [unrolled: 3-line block ×4, first 2 shown]
	v_cmp_ne_u16_sdwa s[0:1], v1, v5 src0_sel:BYTE_0 src1_sel:BYTE_0
	v_lshrrev_b32_e32 v10, 8, v1
	v_xor_b32_e32 v1, v5, v1
	s_xor_b64 s[0:1], s[22:23], s[0:1]
	v_lshrrev_b32_e32 v12, 8, v2
	v_lshrrev_b32_e32 v18, 8, v5
	;; [unrolled: 1-line block ×3, first 2 shown]
	v_cmp_ne_u16_sdwa s[2:3], v2, v6 src0_sel:BYTE_0 src1_sel:BYTE_0
	v_cndmask_b32_e64 v5, 0, 1, s[0:1]
	v_cmp_lt_u32_e64 s[0:1], s12, v1
	s_xor_b64 s[2:3], s[22:23], s[2:3]
	v_cmp_ne_u16_sdwa s[26:27], v12, v20 src0_sel:BYTE_0 src1_sel:BYTE_0
	s_xor_b64 s[0:1], s[22:23], s[0:1]
	v_lshrrev_b32_e32 v14, 8, v3
	v_lshrrev_b32_e32 v16, 8, v4
	;; [unrolled: 1-line block ×3, first 2 shown]
	v_xor_b32_e32 v2, v6, v2
	v_cmp_ne_u16_sdwa s[6:7], v3, v7 src0_sel:BYTE_0 src1_sel:BYTE_0
	v_xor_b32_e32 v3, v7, v3
	v_cmp_ne_u16_sdwa s[10:11], v4, v8 src0_sel:BYTE_0 src1_sel:BYTE_0
	v_xor_b32_e32 v4, v8, v4
	v_cndmask_b32_e64 v6, 0, 1, s[2:3]
	v_cmp_ne_u16_e64 s[2:3], v13, v21
	v_cndmask_b32_e64 v8, 0, 1, s[0:1]
	s_xor_b64 s[0:1], s[22:23], s[26:27]
	v_lshrrev_b32_e32 v22, 8, v7
	v_cmp_lt_u32_e64 s[4:5], s12, v2
	v_cmp_lt_u32_e64 s[8:9], s12, v3
	;; [unrolled: 1-line block ×3, first 2 shown]
	v_cndmask_b32_e64 v4, 0, 1, s[0:1]
	s_xor_b64 s[0:1], s[22:23], s[2:3]
	v_cmp_ne_u16_sdwa s[24:25], v10, v18 src0_sel:BYTE_0 src1_sel:BYTE_0
	s_xor_b64 s[6:7], s[22:23], s[6:7]
	v_cmp_ne_u16_sdwa s[28:29], v14, v22 src0_sel:BYTE_0 src1_sel:BYTE_0
	v_cndmask_b32_e64 v10, 0, 1, s[0:1]
	s_xor_b64 s[0:1], s[22:23], s[4:5]
	v_cmp_ne_u16_e32 vcc, v11, v19
	v_cndmask_b32_e64 v1, 0, 1, s[6:7]
	v_cmp_ne_u16_e64 s[6:7], v15, v23
	v_cndmask_b32_e64 v11, 0, 1, s[0:1]
	s_xor_b64 s[0:1], s[22:23], s[28:29]
	v_cndmask_b32_e64 v12, 0, 1, s[0:1]
	s_xor_b64 s[0:1], s[22:23], s[6:7]
	s_xor_b64 s[10:11], s[22:23], s[10:11]
	v_cmp_ne_u16_sdwa s[30:31], v16, v24 src0_sel:BYTE_0 src1_sel:BYTE_0
	v_cndmask_b32_e64 v13, 0, 1, s[0:1]
	s_xor_b64 s[0:1], s[22:23], s[8:9]
	v_cndmask_b32_e64 v2, 0, 1, s[10:11]
	v_cmp_ne_u16_e64 s[10:11], v17, v25
	s_xor_b64 s[24:25], s[22:23], s[24:25]
	v_cndmask_b32_e64 v14, 0, 1, s[0:1]
	s_xor_b64 s[0:1], s[22:23], s[30:31]
	v_cndmask_b32_e64 v3, 0, 1, s[24:25]
	v_cndmask_b32_e64 v15, 0, 1, s[0:1]
	s_xor_b64 s[0:1], s[22:23], s[10:11]
	s_xor_b64 s[24:25], s[22:23], vcc
	v_cndmask_b32_e64 v16, 0, 1, s[0:1]
	s_xor_b64 s[0:1], s[22:23], s[12:13]
	v_lshlrev_b16_e32 v4, 8, v4
	v_lshlrev_b16_e32 v3, 8, v3
	v_cndmask_b32_e64 v7, 0, 1, s[24:25]
	v_cndmask_b32_e64 v17, 0, 1, s[0:1]
	v_or_b32_e32 v4, v6, v4
	v_lshlrev_b16_e32 v6, 8, v11
	v_or_b32_e32 v3, v5, v3
	v_lshlrev_b16_e32 v5, 8, v8
	v_lshlrev_b16_e32 v15, 8, v15
	;; [unrolled: 1-line block ×5, first 2 shown]
	v_or_b32_sdwa v6, v10, v6 dst_sel:WORD_1 dst_unused:UNUSED_PAD src0_sel:DWORD src1_sel:DWORD
	v_or_b32_sdwa v5, v7, v5 dst_sel:WORD_1 dst_unused:UNUSED_PAD src0_sel:DWORD src1_sel:DWORD
	s_add_u32 s0, s16, s33
	v_or_b32_e32 v2, v2, v15
	v_or_b32_sdwa v15, v16, v17 dst_sel:WORD_1 dst_unused:UNUSED_PAD src0_sel:DWORD src1_sel:DWORD
	v_or_b32_e32 v1, v1, v12
	v_or_b32_sdwa v12, v13, v14 dst_sel:WORD_1 dst_unused:UNUSED_PAD src0_sel:DWORD src1_sel:DWORD
	v_or_b32_sdwa v4, v4, v6 dst_sel:DWORD dst_unused:UNUSED_PAD src0_sel:WORD_0 src1_sel:DWORD
	v_or_b32_sdwa v3, v3, v5 dst_sel:DWORD dst_unused:UNUSED_PAD src0_sel:WORD_0 src1_sel:DWORD
	s_addc_u32 s1, s17, s34
	v_or_b32_sdwa v2, v2, v15 dst_sel:DWORD dst_unused:UNUSED_PAD src0_sel:WORD_0 src1_sel:DWORD
	v_or_b32_sdwa v1, v1, v12 dst_sel:DWORD dst_unused:UNUSED_PAD src0_sel:WORD_0 src1_sel:DWORD
	global_store_dwordx2 v9, v[3:4], s[0:1]
	global_store_dwordx2 v9, v[1:2], s[0:1] offset:2048
	s_mov_b64 s[0:1], 0
.LBB374_2:
	s_andn2_b64 vcc, exec, s[0:1]
	s_cbranch_vccnz .LBB374_54
; %bb.3:
	v_cmp_gt_i32_e32 vcc, s14, v0
	v_cmp_le_i32_e64 s[0:1], s14, v0
                                        ; implicit-def: $vgpr5
	s_and_saveexec_b64 s[2:3], s[0:1]
	s_xor_b64 s[0:1], exec, s[2:3]
; %bb.4:
	v_or_b32_e32 v5, 0x100, v0
; %bb.5:
	s_or_saveexec_b64 s[2:3], s[0:1]
	v_mov_b32_e32 v36, 0
	s_mov_b64 s[4:5], 0
	v_or_b32_e32 v6, s33, v0
	v_mov_b32_e32 v35, 0
	v_mov_b32_e32 v34, 0
	;; [unrolled: 1-line block ×29, first 2 shown]
	s_xor_b64 exec, exec, s[2:3]
	s_cbranch_execz .LBB374_37
; %bb.6:
	global_load_ubyte v7, v6, s[18:19]
	global_load_ubyte v8, v6, s[20:21]
	v_or_b32_e32 v5, 0x100, v0
	v_cmp_gt_u32_e64 s[0:1], s14, v5
	s_mov_b64 s[6:7], 0
	v_mov_b32_e32 v9, 0
	v_mov_b32_e32 v10, 0
	;; [unrolled: 1-line block ×28, first 2 shown]
	s_and_saveexec_b64 s[4:5], s[0:1]
	s_cbranch_execz .LBB374_36
; %bb.7:
	v_add_u32_e32 v3, s33, v0
	global_load_ubyte v10, v3, s[18:19] offset:256
	global_load_ubyte v9, v3, s[20:21] offset:256
	v_or_b32_e32 v1, 0x200, v0
	v_mov_b32_e32 v11, 0
	v_cmp_gt_u32_e64 s[0:1], s14, v1
	s_mov_b64 s[8:9], 0
	v_mov_b32_e32 v13, 0
	v_mov_b32_e32 v12, 0
	;; [unrolled: 1-line block ×25, first 2 shown]
	s_and_saveexec_b64 s[6:7], s[0:1]
	s_cbranch_execz .LBB374_35
; %bb.8:
	v_mov_b32_e32 v2, s19
	v_add_co_u32_e64 v1, s[0:1], s18, v3
	v_addc_co_u32_e64 v2, s[0:1], 0, v2, s[0:1]
	v_mov_b32_e32 v4, s21
	v_add_co_u32_e64 v3, s[0:1], s20, v3
	v_addc_co_u32_e64 v4, s[0:1], 0, v4, s[0:1]
	global_load_ubyte v13, v[1:2], off offset:512
	global_load_ubyte v11, v[3:4], off offset:512
	v_or_b32_e32 v12, 0x300, v0
	v_cmp_gt_u32_e64 s[0:1], s14, v12
	s_mov_b64 s[10:11], 0
	v_mov_b32_e32 v12, 0
	v_mov_b32_e32 v15, 0
	;; [unrolled: 1-line block ×24, first 2 shown]
	s_and_saveexec_b64 s[8:9], s[0:1]
	s_cbranch_execz .LBB374_34
; %bb.9:
	global_load_ubyte v15, v[1:2], off offset:768
	global_load_ubyte v12, v[3:4], off offset:768
	v_or_b32_e32 v14, 0x400, v0
	v_cmp_gt_u32_e64 s[0:1], s14, v14
	s_mov_b64 s[12:13], 0
	v_mov_b32_e32 v16, 0
	v_mov_b32_e32 v17, 0
	;; [unrolled: 1-line block ×22, first 2 shown]
	s_and_saveexec_b64 s[10:11], s[0:1]
	s_cbranch_execz .LBB374_33
; %bb.10:
	global_load_ubyte v17, v[1:2], off offset:1024
	global_load_ubyte v16, v[3:4], off offset:1024
	v_or_b32_e32 v14, 0x500, v0
	v_cmp_gt_u32_e64 s[0:1], s14, v14
	s_mov_b64 s[18:19], 0
	v_mov_b32_e32 v18, 0
	v_mov_b32_e32 v21, 0
	v_mov_b32_e32 v14, 0
	v_mov_b32_e32 v19, 0
	v_mov_b32_e32 v20, 0
	v_mov_b32_e32 v22, 0
	v_mov_b32_e32 v23, 0
	v_mov_b32_e32 v24, 0
	v_mov_b32_e32 v25, 0
	v_mov_b32_e32 v26, 0
	v_mov_b32_e32 v27, 0
	v_mov_b32_e32 v28, 0
	v_mov_b32_e32 v29, 0
	v_mov_b32_e32 v30, 0
	v_mov_b32_e32 v31, 0
	v_mov_b32_e32 v32, 0
	v_mov_b32_e32 v33, 0
	v_mov_b32_e32 v34, 0
	v_mov_b32_e32 v35, 0
	v_mov_b32_e32 v36, 0
	s_and_saveexec_b64 s[12:13], s[0:1]
	s_cbranch_execz .LBB374_32
; %bb.11:
	global_load_ubyte v21, v[1:2], off offset:1280
	global_load_ubyte v18, v[3:4], off offset:1280
	v_or_b32_e32 v14, 0x600, v0
	v_cmp_gt_u32_e64 s[0:1], s14, v14
	s_mov_b64 s[20:21], 0
	v_mov_b32_e32 v14, 0
	v_mov_b32_e32 v19, 0
	;; [unrolled: 1-line block ×18, first 2 shown]
	s_and_saveexec_b64 s[18:19], s[0:1]
	s_cbranch_execz .LBB374_31
; %bb.12:
	global_load_ubyte v19, v[1:2], off offset:1536
	global_load_ubyte v14, v[3:4], off offset:1536
	v_or_b32_e32 v20, 0x700, v0
	v_cmp_gt_u32_e64 s[0:1], s14, v20
	s_mov_b64 s[22:23], 0
	v_mov_b32_e32 v20, 0
	v_mov_b32_e32 v22, 0
	;; [unrolled: 1-line block ×16, first 2 shown]
	s_and_saveexec_b64 s[20:21], s[0:1]
	s_cbranch_execz .LBB374_30
; %bb.13:
	global_load_ubyte v22, v[1:2], off offset:1792
	global_load_ubyte v20, v[3:4], off offset:1792
	v_or_b32_e32 v23, 0x800, v0
	v_cmp_gt_u32_e64 s[0:1], s14, v23
	s_mov_b64 s[24:25], 0
	v_mov_b32_e32 v23, 0
	v_mov_b32_e32 v24, 0
	;; [unrolled: 1-line block ×14, first 2 shown]
	s_and_saveexec_b64 s[22:23], s[0:1]
	s_cbranch_execz .LBB374_29
; %bb.14:
	global_load_ubyte v24, v[1:2], off offset:2048
	global_load_ubyte v23, v[3:4], off offset:2048
	v_or_b32_e32 v25, 0x900, v0
	v_cmp_gt_u32_e64 s[0:1], s14, v25
	s_mov_b64 s[26:27], 0
	v_mov_b32_e32 v25, 0
	v_mov_b32_e32 v26, 0
	;; [unrolled: 1-line block ×12, first 2 shown]
	s_and_saveexec_b64 s[24:25], s[0:1]
	s_cbranch_execz .LBB374_28
; %bb.15:
	global_load_ubyte v26, v[1:2], off offset:2304
	global_load_ubyte v25, v[3:4], off offset:2304
	v_or_b32_e32 v27, 0xa00, v0
	v_cmp_gt_u32_e64 s[0:1], s14, v27
	s_mov_b64 s[28:29], 0
	v_mov_b32_e32 v27, 0
	v_mov_b32_e32 v28, 0
	;; [unrolled: 1-line block ×10, first 2 shown]
	s_and_saveexec_b64 s[26:27], s[0:1]
	s_cbranch_execz .LBB374_27
; %bb.16:
	global_load_ubyte v28, v[1:2], off offset:2560
	global_load_ubyte v27, v[3:4], off offset:2560
	v_or_b32_e32 v29, 0xb00, v0
	v_cmp_gt_u32_e64 s[0:1], s14, v29
	s_mov_b64 s[30:31], 0
	v_mov_b32_e32 v29, 0
	v_mov_b32_e32 v30, 0
	v_mov_b32_e32 v31, 0
	v_mov_b32_e32 v32, 0
	v_mov_b32_e32 v33, 0
	v_mov_b32_e32 v34, 0
	v_mov_b32_e32 v35, 0
	v_mov_b32_e32 v36, 0
	s_and_saveexec_b64 s[28:29], s[0:1]
	s_cbranch_execz .LBB374_26
; %bb.17:
	global_load_ubyte v30, v[1:2], off offset:2816
	global_load_ubyte v29, v[3:4], off offset:2816
	v_or_b32_e32 v31, 0xc00, v0
	v_cmp_gt_u32_e64 s[0:1], s14, v31
	s_mov_b64 s[34:35], 0
	v_mov_b32_e32 v31, 0
	v_mov_b32_e32 v32, 0
	;; [unrolled: 1-line block ×6, first 2 shown]
	s_and_saveexec_b64 s[30:31], s[0:1]
	s_cbranch_execz .LBB374_25
; %bb.18:
	global_load_ubyte v32, v[1:2], off offset:3072
	global_load_ubyte v31, v[3:4], off offset:3072
	v_or_b32_e32 v33, 0xd00, v0
	v_cmp_gt_u32_e64 s[0:1], s14, v33
	s_mov_b64 s[36:37], 0
	v_mov_b32_e32 v33, 0
	v_mov_b32_e32 v34, 0
	v_mov_b32_e32 v35, 0
	v_mov_b32_e32 v36, 0
	s_and_saveexec_b64 s[34:35], s[0:1]
	s_cbranch_execz .LBB374_24
; %bb.19:
	global_load_ubyte v34, v[1:2], off offset:3328
	global_load_ubyte v33, v[3:4], off offset:3328
	v_or_b32_e32 v35, 0xe00, v0
	v_cmp_gt_u32_e64 s[0:1], s14, v35
	s_mov_b64 s[38:39], 0
	v_mov_b32_e32 v35, 0
	v_mov_b32_e32 v36, 0
	s_and_saveexec_b64 s[36:37], s[0:1]
	s_cbranch_execz .LBB374_23
; %bb.20:
	global_load_ubyte v36, v[1:2], off offset:3584
	global_load_ubyte v35, v[3:4], off offset:3584
	v_or_b32_e32 v37, 0xf00, v0
	v_cmp_gt_u32_e64 s[0:1], s14, v37
	s_mov_b64 s[40:41], 0
	s_and_saveexec_b64 s[38:39], s[0:1]
	s_cbranch_execz .LBB374_22
; %bb.21:
	global_load_ubyte v37, v[1:2], off offset:3840
	global_load_ubyte v38, v[3:4], off offset:3840
	s_waitcnt vmcnt(0)
	v_cmp_ne_u16_e64 s[0:1], v37, v38
	s_and_b64 s[40:41], s[0:1], exec
.LBB374_22:
	s_or_b64 exec, exec, s[38:39]
	s_and_b64 s[38:39], s[40:41], exec
.LBB374_23:
	s_or_b64 exec, exec, s[36:37]
	s_and_b64 s[36:37], s[38:39], exec
.LBB374_24:
	s_or_b64 exec, exec, s[34:35]
	s_and_b64 s[34:35], s[36:37], exec
.LBB374_25:
	s_or_b64 exec, exec, s[30:31]
	s_and_b64 s[30:31], s[34:35], exec
.LBB374_26:
	s_or_b64 exec, exec, s[28:29]
	s_and_b64 s[28:29], s[30:31], exec
.LBB374_27:
	s_or_b64 exec, exec, s[26:27]
	s_and_b64 s[26:27], s[28:29], exec
.LBB374_28:
	s_or_b64 exec, exec, s[24:25]
	s_and_b64 s[24:25], s[26:27], exec
.LBB374_29:
	s_or_b64 exec, exec, s[22:23]
	s_and_b64 s[22:23], s[24:25], exec
.LBB374_30:
	s_or_b64 exec, exec, s[20:21]
	s_and_b64 s[20:21], s[22:23], exec
.LBB374_31:
	s_or_b64 exec, exec, s[18:19]
	s_and_b64 s[18:19], s[20:21], exec
.LBB374_32:
	s_or_b64 exec, exec, s[12:13]
	s_and_b64 s[12:13], s[18:19], exec
.LBB374_33:
	s_or_b64 exec, exec, s[10:11]
	s_and_b64 s[10:11], s[12:13], exec
.LBB374_34:
	s_or_b64 exec, exec, s[8:9]
	s_and_b64 s[8:9], s[10:11], exec
.LBB374_35:
	s_or_b64 exec, exec, s[6:7]
	s_and_b64 s[6:7], s[8:9], exec
.LBB374_36:
	s_or_b64 exec, exec, s[4:5]
	s_and_b64 s[4:5], s[6:7], exec
.LBB374_37:
	s_or_b64 exec, exec, s[2:3]
	s_cmp_eq_u32 s15, 0
	s_cselect_b64 s[2:3], -1, 0
	s_waitcnt vmcnt(0)
	v_cmp_ne_u16_sdwa s[0:1], v7, v8 src0_sel:BYTE_0 src1_sel:BYTE_0
	s_xor_b64 s[0:1], s[2:3], s[0:1]
	v_cndmask_b32_e64 v1, 0, 1, s[0:1]
	v_cmp_ne_u16_sdwa s[0:1], v10, v9 src0_sel:BYTE_0 src1_sel:BYTE_0
	s_xor_b64 s[0:1], s[2:3], s[0:1]
	v_cndmask_b32_e64 v2, 0, 1, s[0:1]
	v_cndmask_b32_e32 v1, 0, v1, vcc
	v_lshlrev_b16_e32 v2, 8, v2
	v_or_b32_e32 v2, v1, v2
	v_and_b32_e32 v2, 0xffff, v2
	v_cmp_gt_i32_e64 s[0:1], s14, v5
	v_cndmask_b32_e64 v1, v1, v2, s[0:1]
	v_cmp_ne_u16_sdwa s[0:1], v13, v11 src0_sel:BYTE_0 src1_sel:BYTE_0
	s_xor_b64 s[0:1], s[2:3], s[0:1]
	v_or_b32_e32 v2, 0x200, v0
	v_cndmask_b32_e64 v3, 0, 1, s[0:1]
	v_lshl_or_b32 v3, v3, 16, v1
	v_cmp_gt_i32_e64 s[0:1], s14, v2
	v_cndmask_b32_e64 v1, v1, v3, s[0:1]
	v_cmp_ne_u16_sdwa s[0:1], v15, v12 src0_sel:BYTE_0 src1_sel:BYTE_0
	s_xor_b64 s[0:1], s[2:3], s[0:1]
	s_movk_i32 s6, 0xff
	v_cndmask_b32_e64 v4, 0, 1, s[0:1]
	v_and_b32_sdwa v2, v1, s6 dst_sel:DWORD dst_unused:UNUSED_PAD src0_sel:WORD_1 src1_sel:DWORD
	v_lshlrev_b16_e32 v4, 8, v4
	s_mov_b32 s7, 0xffff
	v_or_b32_e32 v3, 0x300, v0
	v_or_b32_sdwa v2, v2, v4 dst_sel:WORD_1 dst_unused:UNUSED_PAD src0_sel:DWORD src1_sel:DWORD
	v_and_or_b32 v2, v1, s7, v2
	v_cmp_gt_i32_e64 s[0:1], s14, v3
	v_cndmask_b32_e64 v4, v1, v2, s[0:1]
	v_cmp_ne_u16_sdwa s[0:1], v17, v16 src0_sel:BYTE_0 src1_sel:BYTE_0
	s_xor_b64 s[0:1], s[2:3], s[0:1]
	v_cndmask_b32_e64 v1, 0, 1, s[0:1]
	v_or_b32_e32 v2, 0x400, v0
	v_and_b32_e32 v1, 0xffff, v1
	v_cmp_gt_i32_e64 s[0:1], s14, v2
	v_cndmask_b32_e64 v1, 0, v1, s[0:1]
	v_cmp_ne_u16_sdwa s[0:1], v21, v18 src0_sel:BYTE_0 src1_sel:BYTE_0
	s_xor_b64 s[0:1], s[2:3], s[0:1]
	v_cndmask_b32_e64 v3, 0, 1, s[0:1]
	v_lshlrev_b16_e32 v3, 8, v3
	v_or_b32_e32 v2, 0x500, v0
	v_or_b32_sdwa v3, v1, v3 dst_sel:DWORD dst_unused:UNUSED_PAD src0_sel:BYTE_0 src1_sel:DWORD
	v_and_b32_e32 v3, 0xffff, v3
	v_cmp_gt_i32_e64 s[0:1], s14, v2
	v_cndmask_b32_e64 v1, v1, v3, s[0:1]
	v_cmp_ne_u16_sdwa s[0:1], v19, v14 src0_sel:BYTE_0 src1_sel:BYTE_0
	s_movk_i32 s8, 0xff00
	s_xor_b64 s[0:1], s[2:3], s[0:1]
	v_and_b32_sdwa v2, v1, s8 dst_sel:DWORD dst_unused:UNUSED_PAD src0_sel:WORD_1 src1_sel:DWORD
	v_cndmask_b32_e64 v3, 0, 1, s[0:1]
	v_or_b32_sdwa v2, v3, v2 dst_sel:WORD_1 dst_unused:UNUSED_PAD src0_sel:DWORD src1_sel:DWORD
	v_or_b32_e32 v3, 0x600, v0
	v_and_or_b32 v2, v1, s7, v2
	v_cmp_gt_i32_e64 s[0:1], s14, v3
	v_cndmask_b32_e64 v1, v1, v2, s[0:1]
	v_cmp_ne_u16_sdwa s[0:1], v22, v20 src0_sel:BYTE_0 src1_sel:BYTE_0
	s_xor_b64 s[0:1], s[2:3], s[0:1]
	v_cndmask_b32_e64 v7, 0, 1, s[0:1]
	v_and_b32_sdwa v2, v1, s6 dst_sel:DWORD dst_unused:UNUSED_PAD src0_sel:WORD_1 src1_sel:DWORD
	v_lshlrev_b16_e32 v7, 8, v7
	v_or_b32_e32 v3, 0x700, v0
	v_or_b32_sdwa v2, v2, v7 dst_sel:WORD_1 dst_unused:UNUSED_PAD src0_sel:DWORD src1_sel:DWORD
	v_and_or_b32 v2, v1, s7, v2
	v_cmp_gt_i32_e64 s[0:1], s14, v3
	v_cndmask_b32_e64 v3, v1, v2, s[0:1]
	v_cmp_ne_u16_sdwa s[0:1], v24, v23 src0_sel:BYTE_0 src1_sel:BYTE_0
	v_or_b32_e32 v1, 0x800, v0
	s_xor_b64 s[0:1], s[2:3], s[0:1]
	v_cndmask_b32_e64 v2, 0, 1, s[0:1]
	v_cmp_gt_i32_e64 s[0:1], s14, v1
	v_cndmask_b32_e64 v1, 0, v2, s[0:1]
	v_cmp_ne_u16_sdwa s[0:1], v26, v25 src0_sel:BYTE_0 src1_sel:BYTE_0
	s_xor_b64 s[0:1], s[2:3], s[0:1]
	v_cndmask_b32_e64 v7, 0, 1, s[0:1]
	v_lshlrev_b16_e32 v7, 8, v7
	v_or_b32_e32 v2, 0x900, v0
	v_or_b32_e32 v7, v1, v7
	v_and_b32_e32 v7, 0xffff, v7
	v_cmp_gt_i32_e64 s[0:1], s14, v2
	v_cndmask_b32_e64 v1, v1, v7, s[0:1]
	v_cmp_ne_u16_sdwa s[0:1], v28, v27 src0_sel:BYTE_0 src1_sel:BYTE_0
	s_xor_b64 s[0:1], s[2:3], s[0:1]
	v_cndmask_b32_e64 v7, 0, 1, s[0:1]
	v_or_b32_e32 v2, 0xa00, v0
	v_lshlrev_b32_e32 v7, 16, v7
	s_movk_i32 s0, 0x1ff
	v_and_or_b32 v7, v1, s0, v7
	v_cmp_gt_i32_e64 s[0:1], s14, v2
	v_cndmask_b32_e64 v1, v1, v7, s[0:1]
	v_cmp_ne_u16_sdwa s[0:1], v30, v29 src0_sel:BYTE_0 src1_sel:BYTE_0
	s_xor_b64 s[0:1], s[2:3], s[0:1]
	v_cndmask_b32_e64 v8, 0, 1, s[0:1]
	v_and_b32_sdwa v2, v1, s6 dst_sel:DWORD dst_unused:UNUSED_PAD src0_sel:WORD_1 src1_sel:DWORD
	v_lshlrev_b16_e32 v8, 8, v8
	v_or_b32_e32 v7, 0xb00, v0
	v_or_b32_sdwa v2, v2, v8 dst_sel:WORD_1 dst_unused:UNUSED_PAD src0_sel:DWORD src1_sel:DWORD
	v_and_or_b32 v2, v1, s7, v2
	v_cmp_gt_i32_e64 s[0:1], s14, v7
	v_cndmask_b32_e64 v2, v1, v2, s[0:1]
	v_cmp_ne_u16_sdwa s[0:1], v32, v31 src0_sel:BYTE_0 src1_sel:BYTE_0
	v_or_b32_e32 v1, 0xc00, v0
	s_xor_b64 s[0:1], s[2:3], s[0:1]
	v_cndmask_b32_e64 v7, 0, 1, s[0:1]
	v_cmp_gt_i32_e64 s[0:1], s14, v1
	v_cndmask_b32_e64 v1, 0, v7, s[0:1]
	v_cmp_ne_u16_sdwa s[0:1], v34, v33 src0_sel:BYTE_0 src1_sel:BYTE_0
	s_xor_b64 s[0:1], s[2:3], s[0:1]
	v_cndmask_b32_e64 v8, 0, 1, s[0:1]
	v_lshlrev_b16_e32 v8, 8, v8
	v_or_b32_e32 v7, 0xd00, v0
	v_or_b32_sdwa v8, v1, v8 dst_sel:DWORD dst_unused:UNUSED_PAD src0_sel:BYTE_0 src1_sel:DWORD
	v_and_b32_e32 v8, 0xffff, v8
	v_cmp_gt_i32_e64 s[0:1], s14, v7
	v_cndmask_b32_e64 v1, v1, v8, s[0:1]
	v_cmp_ne_u16_sdwa s[0:1], v36, v35 src0_sel:BYTE_0 src1_sel:BYTE_0
	s_xor_b64 s[0:1], s[2:3], s[0:1]
	v_and_b32_sdwa v7, v1, s8 dst_sel:DWORD dst_unused:UNUSED_PAD src0_sel:WORD_1 src1_sel:DWORD
	v_cndmask_b32_e64 v8, 0, 1, s[0:1]
	v_or_b32_sdwa v7, v8, v7 dst_sel:WORD_1 dst_unused:UNUSED_PAD src0_sel:DWORD src1_sel:DWORD
	v_or_b32_e32 v8, 0xe00, v0
	v_and_or_b32 v7, v1, s7, v7
	v_cmp_gt_i32_e64 s[0:1], s14, v8
	v_cndmask_b32_e64 v1, v1, v7, s[0:1]
	s_xor_b64 s[0:1], s[2:3], s[4:5]
	v_cndmask_b32_e64 v9, 0, 1, s[0:1]
	v_and_b32_sdwa v7, v1, s6 dst_sel:DWORD dst_unused:UNUSED_PAD src0_sel:WORD_1 src1_sel:DWORD
	v_lshlrev_b16_e32 v9, 8, v9
	v_or_b32_e32 v8, 0xf00, v0
	v_or_b32_sdwa v7, v7, v9 dst_sel:WORD_1 dst_unused:UNUSED_PAD src0_sel:DWORD src1_sel:DWORD
	v_and_or_b32 v7, v1, s7, v7
	v_cmp_gt_i32_e64 s[0:1], s14, v8
	v_cndmask_b32_e64 v1, v1, v7, s[0:1]
	s_and_saveexec_b64 s[0:1], vcc
	s_cbranch_execnz .LBB374_55
; %bb.38:
	s_or_b64 exec, exec, s[0:1]
	v_cmp_gt_i32_e32 vcc, s14, v0
	s_and_saveexec_b64 s[0:1], vcc
	s_cbranch_execnz .LBB374_56
.LBB374_39:
	s_or_b64 exec, exec, s[0:1]
	v_cmp_gt_i32_e32 vcc, s14, v0
	s_and_saveexec_b64 s[0:1], vcc
	s_cbranch_execnz .LBB374_57
.LBB374_40:
	s_or_b64 exec, exec, s[0:1]
	v_cmp_gt_i32_e32 vcc, s14, v0
	s_and_saveexec_b64 s[0:1], vcc
	s_cbranch_execnz .LBB374_58
.LBB374_41:
	s_or_b64 exec, exec, s[0:1]
	v_cmp_gt_i32_e32 vcc, s14, v0
	s_and_saveexec_b64 s[0:1], vcc
	s_cbranch_execnz .LBB374_59
.LBB374_42:
	s_or_b64 exec, exec, s[0:1]
	v_cmp_gt_i32_e32 vcc, s14, v0
	s_and_saveexec_b64 s[0:1], vcc
	s_cbranch_execnz .LBB374_60
.LBB374_43:
	s_or_b64 exec, exec, s[0:1]
	v_cmp_gt_i32_e32 vcc, s14, v0
	s_and_saveexec_b64 s[0:1], vcc
	s_cbranch_execnz .LBB374_61
.LBB374_44:
	s_or_b64 exec, exec, s[0:1]
	v_cmp_gt_i32_e32 vcc, s14, v0
	s_and_saveexec_b64 s[0:1], vcc
	s_cbranch_execnz .LBB374_62
.LBB374_45:
	s_or_b64 exec, exec, s[0:1]
	v_cmp_gt_i32_e32 vcc, s14, v0
	s_and_saveexec_b64 s[0:1], vcc
	s_cbranch_execnz .LBB374_63
.LBB374_46:
	s_or_b64 exec, exec, s[0:1]
	v_cmp_gt_i32_e32 vcc, s14, v0
	s_and_saveexec_b64 s[0:1], vcc
	s_cbranch_execnz .LBB374_64
.LBB374_47:
	s_or_b64 exec, exec, s[0:1]
	v_cmp_gt_i32_e32 vcc, s14, v0
	s_and_saveexec_b64 s[0:1], vcc
	s_cbranch_execnz .LBB374_65
.LBB374_48:
	s_or_b64 exec, exec, s[0:1]
	v_cmp_gt_i32_e32 vcc, s14, v0
	s_and_saveexec_b64 s[0:1], vcc
	s_cbranch_execnz .LBB374_66
.LBB374_49:
	s_or_b64 exec, exec, s[0:1]
	v_cmp_gt_i32_e32 vcc, s14, v0
	s_and_saveexec_b64 s[0:1], vcc
	s_cbranch_execnz .LBB374_67
.LBB374_50:
	s_or_b64 exec, exec, s[0:1]
	v_cmp_gt_i32_e32 vcc, s14, v0
	s_and_saveexec_b64 s[0:1], vcc
	s_cbranch_execnz .LBB374_68
.LBB374_51:
	s_or_b64 exec, exec, s[0:1]
	v_cmp_gt_i32_e32 vcc, s14, v0
	s_and_saveexec_b64 s[0:1], vcc
	s_cbranch_execnz .LBB374_69
.LBB374_52:
	s_or_b64 exec, exec, s[0:1]
	v_cmp_gt_i32_e32 vcc, s14, v0
	s_and_saveexec_b64 s[0:1], vcc
	s_cbranch_execz .LBB374_54
.LBB374_53:
	v_lshrrev_b32_e32 v1, 24, v1
	v_add_u32_e32 v0, s33, v0
	global_store_byte v0, v1, s[16:17]
.LBB374_54:
	s_endpgm
.LBB374_55:
	v_mov_b32_e32 v0, v5
	global_store_byte v6, v4, s[16:17]
	s_or_b64 exec, exec, s[0:1]
	v_cmp_gt_i32_e32 vcc, s14, v0
	s_and_saveexec_b64 s[0:1], vcc
	s_cbranch_execz .LBB374_39
.LBB374_56:
	v_lshrrev_b32_e32 v5, 8, v4
	v_add_u32_e32 v6, s33, v0
	v_add_u32_e32 v0, 0x100, v0
	global_store_byte v6, v5, s[16:17]
	s_or_b64 exec, exec, s[0:1]
	v_cmp_gt_i32_e32 vcc, s14, v0
	s_and_saveexec_b64 s[0:1], vcc
	s_cbranch_execz .LBB374_40
.LBB374_57:
	v_add_u32_e32 v5, s33, v0
	v_add_u32_e32 v0, 0x100, v0
	global_store_byte_d16_hi v5, v4, s[16:17]
	s_or_b64 exec, exec, s[0:1]
	v_cmp_gt_i32_e32 vcc, s14, v0
	s_and_saveexec_b64 s[0:1], vcc
	s_cbranch_execz .LBB374_41
.LBB374_58:
	v_lshrrev_b32_e32 v4, 24, v4
	v_add_u32_e32 v5, s33, v0
	v_add_u32_e32 v0, 0x100, v0
	global_store_byte v5, v4, s[16:17]
	s_or_b64 exec, exec, s[0:1]
	v_cmp_gt_i32_e32 vcc, s14, v0
	s_and_saveexec_b64 s[0:1], vcc
	s_cbranch_execz .LBB374_42
.LBB374_59:
	v_add_u32_e32 v4, s33, v0
	v_add_u32_e32 v0, 0x100, v0
	global_store_byte v4, v3, s[16:17]
	s_or_b64 exec, exec, s[0:1]
	v_cmp_gt_i32_e32 vcc, s14, v0
	s_and_saveexec_b64 s[0:1], vcc
	s_cbranch_execz .LBB374_43
.LBB374_60:
	v_lshrrev_b32_e32 v4, 8, v3
	v_add_u32_e32 v5, s33, v0
	v_add_u32_e32 v0, 0x100, v0
	global_store_byte v5, v4, s[16:17]
	s_or_b64 exec, exec, s[0:1]
	v_cmp_gt_i32_e32 vcc, s14, v0
	s_and_saveexec_b64 s[0:1], vcc
	s_cbranch_execz .LBB374_44
.LBB374_61:
	v_add_u32_e32 v4, s33, v0
	v_add_u32_e32 v0, 0x100, v0
	global_store_byte_d16_hi v4, v3, s[16:17]
	s_or_b64 exec, exec, s[0:1]
	v_cmp_gt_i32_e32 vcc, s14, v0
	s_and_saveexec_b64 s[0:1], vcc
	s_cbranch_execz .LBB374_45
.LBB374_62:
	v_lshrrev_b32_e32 v3, 24, v3
	v_add_u32_e32 v4, s33, v0
	v_add_u32_e32 v0, 0x100, v0
	global_store_byte v4, v3, s[16:17]
	s_or_b64 exec, exec, s[0:1]
	v_cmp_gt_i32_e32 vcc, s14, v0
	s_and_saveexec_b64 s[0:1], vcc
	s_cbranch_execz .LBB374_46
.LBB374_63:
	v_add_u32_e32 v3, s33, v0
	v_add_u32_e32 v0, 0x100, v0
	global_store_byte v3, v2, s[16:17]
	s_or_b64 exec, exec, s[0:1]
	v_cmp_gt_i32_e32 vcc, s14, v0
	s_and_saveexec_b64 s[0:1], vcc
	s_cbranch_execz .LBB374_47
.LBB374_64:
	v_lshrrev_b32_e32 v3, 8, v2
	v_add_u32_e32 v4, s33, v0
	v_add_u32_e32 v0, 0x100, v0
	global_store_byte v4, v3, s[16:17]
	s_or_b64 exec, exec, s[0:1]
	v_cmp_gt_i32_e32 vcc, s14, v0
	s_and_saveexec_b64 s[0:1], vcc
	s_cbranch_execz .LBB374_48
.LBB374_65:
	v_add_u32_e32 v3, s33, v0
	v_add_u32_e32 v0, 0x100, v0
	global_store_byte_d16_hi v3, v2, s[16:17]
	s_or_b64 exec, exec, s[0:1]
	v_cmp_gt_i32_e32 vcc, s14, v0
	s_and_saveexec_b64 s[0:1], vcc
	s_cbranch_execz .LBB374_49
.LBB374_66:
	v_lshrrev_b32_e32 v2, 24, v2
	v_add_u32_e32 v3, s33, v0
	v_add_u32_e32 v0, 0x100, v0
	global_store_byte v3, v2, s[16:17]
	s_or_b64 exec, exec, s[0:1]
	v_cmp_gt_i32_e32 vcc, s14, v0
	s_and_saveexec_b64 s[0:1], vcc
	s_cbranch_execz .LBB374_50
.LBB374_67:
	v_add_u32_e32 v2, s33, v0
	v_add_u32_e32 v0, 0x100, v0
	global_store_byte v2, v1, s[16:17]
	s_or_b64 exec, exec, s[0:1]
	v_cmp_gt_i32_e32 vcc, s14, v0
	s_and_saveexec_b64 s[0:1], vcc
	s_cbranch_execz .LBB374_51
.LBB374_68:
	v_lshrrev_b32_e32 v2, 8, v1
	v_add_u32_e32 v3, s33, v0
	v_add_u32_e32 v0, 0x100, v0
	global_store_byte v3, v2, s[16:17]
	s_or_b64 exec, exec, s[0:1]
	v_cmp_gt_i32_e32 vcc, s14, v0
	s_and_saveexec_b64 s[0:1], vcc
	s_cbranch_execz .LBB374_52
.LBB374_69:
	v_add_u32_e32 v2, s33, v0
	v_add_u32_e32 v0, 0x100, v0
	global_store_byte_d16_hi v2, v1, s[16:17]
	s_or_b64 exec, exec, s[0:1]
	v_cmp_gt_i32_e32 vcc, s14, v0
	s_and_saveexec_b64 s[0:1], vcc
	s_cbranch_execnz .LBB374_53
	s_branch .LBB374_54
	.section	.rodata,"a",@progbits
	.p2align	6, 0x0
	.amdhsa_kernel _ZN2at6native29vectorized_elementwise_kernelILi8ENS0_13BinaryFunctorIN3c1016Float4_e2m1fn_x2ES4_bNS0_12_GLOBAL__N_116CompareEqFunctorIS4_EEEESt5arrayIPcLm3EEEEviT0_T1_
		.amdhsa_group_segment_fixed_size 0
		.amdhsa_private_segment_fixed_size 0
		.amdhsa_kernarg_size 32
		.amdhsa_user_sgpr_count 6
		.amdhsa_user_sgpr_private_segment_buffer 1
		.amdhsa_user_sgpr_dispatch_ptr 0
		.amdhsa_user_sgpr_queue_ptr 0
		.amdhsa_user_sgpr_kernarg_segment_ptr 1
		.amdhsa_user_sgpr_dispatch_id 0
		.amdhsa_user_sgpr_flat_scratch_init 0
		.amdhsa_user_sgpr_private_segment_size 0
		.amdhsa_uses_dynamic_stack 0
		.amdhsa_system_sgpr_private_segment_wavefront_offset 0
		.amdhsa_system_sgpr_workgroup_id_x 1
		.amdhsa_system_sgpr_workgroup_id_y 0
		.amdhsa_system_sgpr_workgroup_id_z 0
		.amdhsa_system_sgpr_workgroup_info 0
		.amdhsa_system_vgpr_workitem_id 0
		.amdhsa_next_free_vgpr 39
		.amdhsa_next_free_sgpr 42
		.amdhsa_reserve_vcc 1
		.amdhsa_reserve_flat_scratch 0
		.amdhsa_float_round_mode_32 0
		.amdhsa_float_round_mode_16_64 0
		.amdhsa_float_denorm_mode_32 3
		.amdhsa_float_denorm_mode_16_64 3
		.amdhsa_dx10_clamp 1
		.amdhsa_ieee_mode 1
		.amdhsa_fp16_overflow 0
		.amdhsa_exception_fp_ieee_invalid_op 0
		.amdhsa_exception_fp_denorm_src 0
		.amdhsa_exception_fp_ieee_div_zero 0
		.amdhsa_exception_fp_ieee_overflow 0
		.amdhsa_exception_fp_ieee_underflow 0
		.amdhsa_exception_fp_ieee_inexact 0
		.amdhsa_exception_int_div_zero 0
	.end_amdhsa_kernel
	.section	.text._ZN2at6native29vectorized_elementwise_kernelILi8ENS0_13BinaryFunctorIN3c1016Float4_e2m1fn_x2ES4_bNS0_12_GLOBAL__N_116CompareEqFunctorIS4_EEEESt5arrayIPcLm3EEEEviT0_T1_,"axG",@progbits,_ZN2at6native29vectorized_elementwise_kernelILi8ENS0_13BinaryFunctorIN3c1016Float4_e2m1fn_x2ES4_bNS0_12_GLOBAL__N_116CompareEqFunctorIS4_EEEESt5arrayIPcLm3EEEEviT0_T1_,comdat
.Lfunc_end374:
	.size	_ZN2at6native29vectorized_elementwise_kernelILi8ENS0_13BinaryFunctorIN3c1016Float4_e2m1fn_x2ES4_bNS0_12_GLOBAL__N_116CompareEqFunctorIS4_EEEESt5arrayIPcLm3EEEEviT0_T1_, .Lfunc_end374-_ZN2at6native29vectorized_elementwise_kernelILi8ENS0_13BinaryFunctorIN3c1016Float4_e2m1fn_x2ES4_bNS0_12_GLOBAL__N_116CompareEqFunctorIS4_EEEESt5arrayIPcLm3EEEEviT0_T1_
                                        ; -- End function
	.set _ZN2at6native29vectorized_elementwise_kernelILi8ENS0_13BinaryFunctorIN3c1016Float4_e2m1fn_x2ES4_bNS0_12_GLOBAL__N_116CompareEqFunctorIS4_EEEESt5arrayIPcLm3EEEEviT0_T1_.num_vgpr, 39
	.set _ZN2at6native29vectorized_elementwise_kernelILi8ENS0_13BinaryFunctorIN3c1016Float4_e2m1fn_x2ES4_bNS0_12_GLOBAL__N_116CompareEqFunctorIS4_EEEESt5arrayIPcLm3EEEEviT0_T1_.num_agpr, 0
	.set _ZN2at6native29vectorized_elementwise_kernelILi8ENS0_13BinaryFunctorIN3c1016Float4_e2m1fn_x2ES4_bNS0_12_GLOBAL__N_116CompareEqFunctorIS4_EEEESt5arrayIPcLm3EEEEviT0_T1_.numbered_sgpr, 42
	.set _ZN2at6native29vectorized_elementwise_kernelILi8ENS0_13BinaryFunctorIN3c1016Float4_e2m1fn_x2ES4_bNS0_12_GLOBAL__N_116CompareEqFunctorIS4_EEEESt5arrayIPcLm3EEEEviT0_T1_.num_named_barrier, 0
	.set _ZN2at6native29vectorized_elementwise_kernelILi8ENS0_13BinaryFunctorIN3c1016Float4_e2m1fn_x2ES4_bNS0_12_GLOBAL__N_116CompareEqFunctorIS4_EEEESt5arrayIPcLm3EEEEviT0_T1_.private_seg_size, 0
	.set _ZN2at6native29vectorized_elementwise_kernelILi8ENS0_13BinaryFunctorIN3c1016Float4_e2m1fn_x2ES4_bNS0_12_GLOBAL__N_116CompareEqFunctorIS4_EEEESt5arrayIPcLm3EEEEviT0_T1_.uses_vcc, 1
	.set _ZN2at6native29vectorized_elementwise_kernelILi8ENS0_13BinaryFunctorIN3c1016Float4_e2m1fn_x2ES4_bNS0_12_GLOBAL__N_116CompareEqFunctorIS4_EEEESt5arrayIPcLm3EEEEviT0_T1_.uses_flat_scratch, 0
	.set _ZN2at6native29vectorized_elementwise_kernelILi8ENS0_13BinaryFunctorIN3c1016Float4_e2m1fn_x2ES4_bNS0_12_GLOBAL__N_116CompareEqFunctorIS4_EEEESt5arrayIPcLm3EEEEviT0_T1_.has_dyn_sized_stack, 0
	.set _ZN2at6native29vectorized_elementwise_kernelILi8ENS0_13BinaryFunctorIN3c1016Float4_e2m1fn_x2ES4_bNS0_12_GLOBAL__N_116CompareEqFunctorIS4_EEEESt5arrayIPcLm3EEEEviT0_T1_.has_recursion, 0
	.set _ZN2at6native29vectorized_elementwise_kernelILi8ENS0_13BinaryFunctorIN3c1016Float4_e2m1fn_x2ES4_bNS0_12_GLOBAL__N_116CompareEqFunctorIS4_EEEESt5arrayIPcLm3EEEEviT0_T1_.has_indirect_call, 0
	.section	.AMDGPU.csdata,"",@progbits
; Kernel info:
; codeLenInByte = 4376
; TotalNumSgprs: 46
; NumVgprs: 39
; ScratchSize: 0
; MemoryBound: 0
; FloatMode: 240
; IeeeMode: 1
; LDSByteSize: 0 bytes/workgroup (compile time only)
; SGPRBlocks: 5
; VGPRBlocks: 9
; NumSGPRsForWavesPerEU: 46
; NumVGPRsForWavesPerEU: 39
; Occupancy: 6
; WaveLimiterHint : 1
; COMPUTE_PGM_RSRC2:SCRATCH_EN: 0
; COMPUTE_PGM_RSRC2:USER_SGPR: 6
; COMPUTE_PGM_RSRC2:TRAP_HANDLER: 0
; COMPUTE_PGM_RSRC2:TGID_X_EN: 1
; COMPUTE_PGM_RSRC2:TGID_Y_EN: 0
; COMPUTE_PGM_RSRC2:TGID_Z_EN: 0
; COMPUTE_PGM_RSRC2:TIDIG_COMP_CNT: 0
	.section	.text._ZN2at6native29vectorized_elementwise_kernelILi4ENS0_13BinaryFunctorIN3c1016Float4_e2m1fn_x2ES4_bNS0_12_GLOBAL__N_116CompareEqFunctorIS4_EEEESt5arrayIPcLm3EEEEviT0_T1_,"axG",@progbits,_ZN2at6native29vectorized_elementwise_kernelILi4ENS0_13BinaryFunctorIN3c1016Float4_e2m1fn_x2ES4_bNS0_12_GLOBAL__N_116CompareEqFunctorIS4_EEEESt5arrayIPcLm3EEEEviT0_T1_,comdat
	.globl	_ZN2at6native29vectorized_elementwise_kernelILi4ENS0_13BinaryFunctorIN3c1016Float4_e2m1fn_x2ES4_bNS0_12_GLOBAL__N_116CompareEqFunctorIS4_EEEESt5arrayIPcLm3EEEEviT0_T1_ ; -- Begin function _ZN2at6native29vectorized_elementwise_kernelILi4ENS0_13BinaryFunctorIN3c1016Float4_e2m1fn_x2ES4_bNS0_12_GLOBAL__N_116CompareEqFunctorIS4_EEEESt5arrayIPcLm3EEEEviT0_T1_
	.p2align	8
	.type	_ZN2at6native29vectorized_elementwise_kernelILi4ENS0_13BinaryFunctorIN3c1016Float4_e2m1fn_x2ES4_bNS0_12_GLOBAL__N_116CompareEqFunctorIS4_EEEESt5arrayIPcLm3EEEEviT0_T1_,@function
_ZN2at6native29vectorized_elementwise_kernelILi4ENS0_13BinaryFunctorIN3c1016Float4_e2m1fn_x2ES4_bNS0_12_GLOBAL__N_116CompareEqFunctorIS4_EEEESt5arrayIPcLm3EEEEviT0_T1_: ; @_ZN2at6native29vectorized_elementwise_kernelILi4ENS0_13BinaryFunctorIN3c1016Float4_e2m1fn_x2ES4_bNS0_12_GLOBAL__N_116CompareEqFunctorIS4_EEEESt5arrayIPcLm3EEEEviT0_T1_
; %bb.0:
	s_load_dwordx2 s[14:15], s[4:5], 0x0
	s_load_dwordx4 s[16:19], s[4:5], 0x8
	s_load_dwordx2 s[20:21], s[4:5], 0x18
	s_lshl_b32 s33, s6, 12
	s_mov_b64 s[0:1], -1
	s_waitcnt lgkmcnt(0)
	s_sub_i32 s14, s14, s33
	s_cmpk_gt_i32 s14, 0xfff
	s_cbranch_scc0 .LBB375_2
; %bb.1:
	s_ashr_i32 s34, s33, 31
	s_add_u32 s0, s18, s33
	s_addc_u32 s1, s19, s34
	v_lshlrev_b32_e32 v1, 2, v0
	global_load_dword v2, v1, s[0:1]
	global_load_dword v3, v1, s[0:1] offset:1024
	global_load_dword v4, v1, s[0:1] offset:2048
	;; [unrolled: 1-line block ×3, first 2 shown]
	s_add_u32 s0, s20, s33
	s_addc_u32 s1, s21, s34
	global_load_dword v6, v1, s[0:1]
	global_load_dword v7, v1, s[0:1] offset:1024
	global_load_dword v8, v1, s[0:1] offset:2048
	;; [unrolled: 1-line block ×3, first 2 shown]
	s_movk_i32 s0, 0xff
	s_cmp_eq_u32 s15, 0
	s_cselect_b64 s[22:23], -1, 0
	s_mov_b32 s12, 0xffffff
	s_waitcnt vmcnt(7)
	v_and_b32_sdwa v11, v2, s0 dst_sel:DWORD dst_unused:UNUSED_PAD src0_sel:WORD_1 src1_sel:DWORD
	s_waitcnt vmcnt(6)
	v_and_b32_sdwa v13, v3, s0 dst_sel:DWORD dst_unused:UNUSED_PAD src0_sel:WORD_1 src1_sel:DWORD
	;; [unrolled: 2-line block ×8, first 2 shown]
	v_cmp_ne_u16_sdwa s[0:1], v2, v6 src0_sel:BYTE_0 src1_sel:BYTE_0
	v_lshrrev_b32_e32 v10, 8, v2
	v_xor_b32_e32 v2, v6, v2
	s_xor_b64 s[0:1], s[22:23], s[0:1]
	v_lshrrev_b32_e32 v12, 8, v3
	v_lshrrev_b32_e32 v18, 8, v6
	;; [unrolled: 1-line block ×3, first 2 shown]
	v_cmp_ne_u16_sdwa s[2:3], v3, v7 src0_sel:BYTE_0 src1_sel:BYTE_0
	v_cndmask_b32_e64 v6, 0, 1, s[0:1]
	v_cmp_lt_u32_e64 s[0:1], s12, v2
	s_xor_b64 s[2:3], s[22:23], s[2:3]
	v_cmp_ne_u16_sdwa s[26:27], v12, v20 src0_sel:BYTE_0 src1_sel:BYTE_0
	s_xor_b64 s[0:1], s[22:23], s[0:1]
	v_lshrrev_b32_e32 v14, 8, v4
	v_lshrrev_b32_e32 v22, 8, v8
	v_xor_b32_e32 v3, v7, v3
	v_cmp_ne_u16_sdwa s[6:7], v4, v8 src0_sel:BYTE_0 src1_sel:BYTE_0
	v_xor_b32_e32 v4, v8, v4
	v_cndmask_b32_e64 v2, 0, 1, s[2:3]
	v_cmp_ne_u16_e64 s[2:3], v13, v21
	v_cndmask_b32_e64 v8, 0, 1, s[0:1]
	s_xor_b64 s[0:1], s[22:23], s[26:27]
	v_lshrrev_b32_e32 v16, 8, v5
	v_lshrrev_b32_e32 v24, 8, v9
	v_cmp_ne_u16_sdwa s[10:11], v5, v9 src0_sel:BYTE_0 src1_sel:BYTE_0
	v_xor_b32_e32 v5, v9, v5
	v_cmp_lt_u32_e64 s[4:5], s12, v3
	v_cndmask_b32_e64 v9, 0, 1, s[0:1]
	s_xor_b64 s[0:1], s[22:23], s[2:3]
	v_cmp_ne_u16_sdwa s[24:25], v10, v18 src0_sel:BYTE_0 src1_sel:BYTE_0
	s_xor_b64 s[6:7], s[22:23], s[6:7]
	v_cmp_ne_u16_sdwa s[28:29], v14, v22 src0_sel:BYTE_0 src1_sel:BYTE_0
	v_cndmask_b32_e64 v10, 0, 1, s[0:1]
	s_xor_b64 s[0:1], s[22:23], s[4:5]
	v_cmp_ne_u16_e32 vcc, v11, v19
	v_cndmask_b32_e64 v3, 0, 1, s[6:7]
	v_cmp_ne_u16_e64 s[6:7], v15, v23
	v_cndmask_b32_e64 v11, 0, 1, s[0:1]
	s_xor_b64 s[0:1], s[22:23], s[28:29]
	v_cmp_lt_u32_e64 s[8:9], s12, v4
	v_cndmask_b32_e64 v12, 0, 1, s[0:1]
	s_xor_b64 s[0:1], s[22:23], s[6:7]
	s_xor_b64 s[10:11], s[22:23], s[10:11]
	v_cmp_ne_u16_sdwa s[30:31], v16, v24 src0_sel:BYTE_0 src1_sel:BYTE_0
	v_cndmask_b32_e64 v13, 0, 1, s[0:1]
	s_xor_b64 s[0:1], s[22:23], s[8:9]
	v_cndmask_b32_e64 v4, 0, 1, s[10:11]
	v_cmp_ne_u16_e64 s[10:11], v17, v25
	s_xor_b64 s[24:25], s[22:23], s[24:25]
	v_cndmask_b32_e64 v14, 0, 1, s[0:1]
	s_xor_b64 s[0:1], s[22:23], s[30:31]
	v_cmp_lt_u32_e64 s[12:13], s12, v5
	v_cndmask_b32_e64 v5, 0, 1, s[24:25]
	v_cndmask_b32_e64 v15, 0, 1, s[0:1]
	s_xor_b64 s[0:1], s[22:23], s[10:11]
	s_xor_b64 s[24:25], s[22:23], vcc
	v_cndmask_b32_e64 v16, 0, 1, s[0:1]
	s_xor_b64 s[0:1], s[22:23], s[12:13]
	v_lshlrev_b16_e32 v5, 8, v5
	v_cndmask_b32_e64 v7, 0, 1, s[24:25]
	v_cndmask_b32_e64 v17, 0, 1, s[0:1]
	v_lshlrev_b16_e32 v12, 8, v12
	v_lshlrev_b16_e32 v9, 8, v9
	v_or_b32_e32 v5, v6, v5
	v_lshlrev_b16_e32 v6, 8, v8
	v_lshlrev_b16_e32 v15, 8, v15
	;; [unrolled: 1-line block ×3, first 2 shown]
	v_or_b32_e32 v3, v3, v12
	v_lshlrev_b16_e32 v12, 8, v14
	v_or_b32_e32 v2, v2, v9
	v_lshlrev_b16_e32 v9, 8, v11
	v_or_b32_sdwa v6, v7, v6 dst_sel:WORD_1 dst_unused:UNUSED_PAD src0_sel:DWORD src1_sel:DWORD
	s_add_u32 s0, s16, s33
	v_or_b32_e32 v4, v4, v15
	v_or_b32_sdwa v15, v16, v17 dst_sel:WORD_1 dst_unused:UNUSED_PAD src0_sel:DWORD src1_sel:DWORD
	v_or_b32_sdwa v12, v13, v12 dst_sel:WORD_1 dst_unused:UNUSED_PAD src0_sel:DWORD src1_sel:DWORD
	;; [unrolled: 1-line block ×3, first 2 shown]
	v_or_b32_sdwa v5, v5, v6 dst_sel:DWORD dst_unused:UNUSED_PAD src0_sel:WORD_0 src1_sel:DWORD
	s_addc_u32 s1, s17, s34
	v_or_b32_sdwa v4, v4, v15 dst_sel:DWORD dst_unused:UNUSED_PAD src0_sel:WORD_0 src1_sel:DWORD
	v_or_b32_sdwa v3, v3, v12 dst_sel:DWORD dst_unused:UNUSED_PAD src0_sel:WORD_0 src1_sel:DWORD
	;; [unrolled: 1-line block ×3, first 2 shown]
	global_store_dword v1, v5, s[0:1]
	global_store_dword v1, v2, s[0:1] offset:1024
	global_store_dword v1, v3, s[0:1] offset:2048
	;; [unrolled: 1-line block ×3, first 2 shown]
	s_mov_b64 s[0:1], 0
.LBB375_2:
	s_andn2_b64 vcc, exec, s[0:1]
	s_cbranch_vccnz .LBB375_54
; %bb.3:
	v_cmp_gt_i32_e32 vcc, s14, v0
	v_cmp_le_i32_e64 s[0:1], s14, v0
                                        ; implicit-def: $vgpr5
	s_and_saveexec_b64 s[2:3], s[0:1]
	s_xor_b64 s[0:1], exec, s[2:3]
; %bb.4:
	v_or_b32_e32 v5, 0x100, v0
; %bb.5:
	s_or_saveexec_b64 s[2:3], s[0:1]
	v_mov_b32_e32 v36, 0
	s_mov_b64 s[4:5], 0
	v_or_b32_e32 v6, s33, v0
	v_mov_b32_e32 v35, 0
	v_mov_b32_e32 v34, 0
	v_mov_b32_e32 v33, 0
	v_mov_b32_e32 v32, 0
	v_mov_b32_e32 v31, 0
	v_mov_b32_e32 v30, 0
	v_mov_b32_e32 v29, 0
	v_mov_b32_e32 v28, 0
	v_mov_b32_e32 v27, 0
	v_mov_b32_e32 v26, 0
	v_mov_b32_e32 v25, 0
	v_mov_b32_e32 v24, 0
	v_mov_b32_e32 v23, 0
	v_mov_b32_e32 v22, 0
	v_mov_b32_e32 v20, 0
	v_mov_b32_e32 v19, 0
	v_mov_b32_e32 v14, 0
	v_mov_b32_e32 v21, 0
	v_mov_b32_e32 v18, 0
	v_mov_b32_e32 v17, 0
	v_mov_b32_e32 v16, 0
	v_mov_b32_e32 v15, 0
	v_mov_b32_e32 v12, 0
	v_mov_b32_e32 v13, 0
	v_mov_b32_e32 v11, 0
	v_mov_b32_e32 v10, 0
	v_mov_b32_e32 v9, 0
	v_mov_b32_e32 v7, 0
	v_mov_b32_e32 v8, 0
	s_xor_b64 exec, exec, s[2:3]
	s_cbranch_execz .LBB375_37
; %bb.6:
	global_load_ubyte v7, v6, s[18:19]
	global_load_ubyte v8, v6, s[20:21]
	v_or_b32_e32 v5, 0x100, v0
	v_cmp_gt_u32_e64 s[0:1], s14, v5
	s_mov_b64 s[6:7], 0
	v_mov_b32_e32 v9, 0
	v_mov_b32_e32 v10, 0
	v_mov_b32_e32 v11, 0
	v_mov_b32_e32 v13, 0
	v_mov_b32_e32 v12, 0
	v_mov_b32_e32 v15, 0
	v_mov_b32_e32 v16, 0
	v_mov_b32_e32 v17, 0
	v_mov_b32_e32 v18, 0
	v_mov_b32_e32 v21, 0
	v_mov_b32_e32 v14, 0
	v_mov_b32_e32 v19, 0
	v_mov_b32_e32 v20, 0
	v_mov_b32_e32 v22, 0
	v_mov_b32_e32 v23, 0
	v_mov_b32_e32 v24, 0
	v_mov_b32_e32 v25, 0
	v_mov_b32_e32 v26, 0
	v_mov_b32_e32 v27, 0
	v_mov_b32_e32 v28, 0
	v_mov_b32_e32 v29, 0
	v_mov_b32_e32 v30, 0
	v_mov_b32_e32 v31, 0
	v_mov_b32_e32 v32, 0
	v_mov_b32_e32 v33, 0
	v_mov_b32_e32 v34, 0
	v_mov_b32_e32 v35, 0
	v_mov_b32_e32 v36, 0
	s_and_saveexec_b64 s[4:5], s[0:1]
	s_cbranch_execz .LBB375_36
; %bb.7:
	v_add_u32_e32 v3, s33, v0
	global_load_ubyte v10, v3, s[18:19] offset:256
	global_load_ubyte v9, v3, s[20:21] offset:256
	v_or_b32_e32 v1, 0x200, v0
	v_mov_b32_e32 v11, 0
	v_cmp_gt_u32_e64 s[0:1], s14, v1
	s_mov_b64 s[8:9], 0
	v_mov_b32_e32 v13, 0
	v_mov_b32_e32 v12, 0
	;; [unrolled: 1-line block ×25, first 2 shown]
	s_and_saveexec_b64 s[6:7], s[0:1]
	s_cbranch_execz .LBB375_35
; %bb.8:
	v_mov_b32_e32 v2, s19
	v_add_co_u32_e64 v1, s[0:1], s18, v3
	v_addc_co_u32_e64 v2, s[0:1], 0, v2, s[0:1]
	v_mov_b32_e32 v4, s21
	v_add_co_u32_e64 v3, s[0:1], s20, v3
	v_addc_co_u32_e64 v4, s[0:1], 0, v4, s[0:1]
	global_load_ubyte v13, v[1:2], off offset:512
	global_load_ubyte v11, v[3:4], off offset:512
	v_or_b32_e32 v12, 0x300, v0
	v_cmp_gt_u32_e64 s[0:1], s14, v12
	s_mov_b64 s[10:11], 0
	v_mov_b32_e32 v12, 0
	v_mov_b32_e32 v15, 0
	;; [unrolled: 1-line block ×24, first 2 shown]
	s_and_saveexec_b64 s[8:9], s[0:1]
	s_cbranch_execz .LBB375_34
; %bb.9:
	global_load_ubyte v15, v[1:2], off offset:768
	global_load_ubyte v12, v[3:4], off offset:768
	v_or_b32_e32 v14, 0x400, v0
	v_cmp_gt_u32_e64 s[0:1], s14, v14
	s_mov_b64 s[12:13], 0
	v_mov_b32_e32 v16, 0
	v_mov_b32_e32 v17, 0
	;; [unrolled: 1-line block ×22, first 2 shown]
	s_and_saveexec_b64 s[10:11], s[0:1]
	s_cbranch_execz .LBB375_33
; %bb.10:
	global_load_ubyte v17, v[1:2], off offset:1024
	global_load_ubyte v16, v[3:4], off offset:1024
	v_or_b32_e32 v14, 0x500, v0
	v_cmp_gt_u32_e64 s[0:1], s14, v14
	s_mov_b64 s[18:19], 0
	v_mov_b32_e32 v18, 0
	v_mov_b32_e32 v21, 0
	;; [unrolled: 1-line block ×20, first 2 shown]
	s_and_saveexec_b64 s[12:13], s[0:1]
	s_cbranch_execz .LBB375_32
; %bb.11:
	global_load_ubyte v21, v[1:2], off offset:1280
	global_load_ubyte v18, v[3:4], off offset:1280
	v_or_b32_e32 v14, 0x600, v0
	v_cmp_gt_u32_e64 s[0:1], s14, v14
	s_mov_b64 s[20:21], 0
	v_mov_b32_e32 v14, 0
	v_mov_b32_e32 v19, 0
	;; [unrolled: 1-line block ×18, first 2 shown]
	s_and_saveexec_b64 s[18:19], s[0:1]
	s_cbranch_execz .LBB375_31
; %bb.12:
	global_load_ubyte v19, v[1:2], off offset:1536
	global_load_ubyte v14, v[3:4], off offset:1536
	v_or_b32_e32 v20, 0x700, v0
	v_cmp_gt_u32_e64 s[0:1], s14, v20
	s_mov_b64 s[22:23], 0
	v_mov_b32_e32 v20, 0
	v_mov_b32_e32 v22, 0
	;; [unrolled: 1-line block ×16, first 2 shown]
	s_and_saveexec_b64 s[20:21], s[0:1]
	s_cbranch_execz .LBB375_30
; %bb.13:
	global_load_ubyte v22, v[1:2], off offset:1792
	global_load_ubyte v20, v[3:4], off offset:1792
	v_or_b32_e32 v23, 0x800, v0
	v_cmp_gt_u32_e64 s[0:1], s14, v23
	s_mov_b64 s[24:25], 0
	v_mov_b32_e32 v23, 0
	v_mov_b32_e32 v24, 0
	;; [unrolled: 1-line block ×14, first 2 shown]
	s_and_saveexec_b64 s[22:23], s[0:1]
	s_cbranch_execz .LBB375_29
; %bb.14:
	global_load_ubyte v24, v[1:2], off offset:2048
	global_load_ubyte v23, v[3:4], off offset:2048
	v_or_b32_e32 v25, 0x900, v0
	v_cmp_gt_u32_e64 s[0:1], s14, v25
	s_mov_b64 s[26:27], 0
	v_mov_b32_e32 v25, 0
	v_mov_b32_e32 v26, 0
	;; [unrolled: 1-line block ×12, first 2 shown]
	s_and_saveexec_b64 s[24:25], s[0:1]
	s_cbranch_execz .LBB375_28
; %bb.15:
	global_load_ubyte v26, v[1:2], off offset:2304
	global_load_ubyte v25, v[3:4], off offset:2304
	v_or_b32_e32 v27, 0xa00, v0
	v_cmp_gt_u32_e64 s[0:1], s14, v27
	s_mov_b64 s[28:29], 0
	v_mov_b32_e32 v27, 0
	v_mov_b32_e32 v28, 0
	;; [unrolled: 1-line block ×10, first 2 shown]
	s_and_saveexec_b64 s[26:27], s[0:1]
	s_cbranch_execz .LBB375_27
; %bb.16:
	global_load_ubyte v28, v[1:2], off offset:2560
	global_load_ubyte v27, v[3:4], off offset:2560
	v_or_b32_e32 v29, 0xb00, v0
	v_cmp_gt_u32_e64 s[0:1], s14, v29
	s_mov_b64 s[30:31], 0
	v_mov_b32_e32 v29, 0
	v_mov_b32_e32 v30, 0
	;; [unrolled: 1-line block ×8, first 2 shown]
	s_and_saveexec_b64 s[28:29], s[0:1]
	s_cbranch_execz .LBB375_26
; %bb.17:
	global_load_ubyte v30, v[1:2], off offset:2816
	global_load_ubyte v29, v[3:4], off offset:2816
	v_or_b32_e32 v31, 0xc00, v0
	v_cmp_gt_u32_e64 s[0:1], s14, v31
	s_mov_b64 s[34:35], 0
	v_mov_b32_e32 v31, 0
	v_mov_b32_e32 v32, 0
	;; [unrolled: 1-line block ×6, first 2 shown]
	s_and_saveexec_b64 s[30:31], s[0:1]
	s_cbranch_execz .LBB375_25
; %bb.18:
	global_load_ubyte v32, v[1:2], off offset:3072
	global_load_ubyte v31, v[3:4], off offset:3072
	v_or_b32_e32 v33, 0xd00, v0
	v_cmp_gt_u32_e64 s[0:1], s14, v33
	s_mov_b64 s[36:37], 0
	v_mov_b32_e32 v33, 0
	v_mov_b32_e32 v34, 0
	;; [unrolled: 1-line block ×4, first 2 shown]
	s_and_saveexec_b64 s[34:35], s[0:1]
	s_cbranch_execz .LBB375_24
; %bb.19:
	global_load_ubyte v34, v[1:2], off offset:3328
	global_load_ubyte v33, v[3:4], off offset:3328
	v_or_b32_e32 v35, 0xe00, v0
	v_cmp_gt_u32_e64 s[0:1], s14, v35
	s_mov_b64 s[38:39], 0
	v_mov_b32_e32 v35, 0
	v_mov_b32_e32 v36, 0
	s_and_saveexec_b64 s[36:37], s[0:1]
	s_cbranch_execz .LBB375_23
; %bb.20:
	global_load_ubyte v36, v[1:2], off offset:3584
	global_load_ubyte v35, v[3:4], off offset:3584
	v_or_b32_e32 v37, 0xf00, v0
	v_cmp_gt_u32_e64 s[0:1], s14, v37
	s_mov_b64 s[40:41], 0
	s_and_saveexec_b64 s[38:39], s[0:1]
	s_cbranch_execz .LBB375_22
; %bb.21:
	global_load_ubyte v37, v[1:2], off offset:3840
	global_load_ubyte v38, v[3:4], off offset:3840
	s_waitcnt vmcnt(0)
	v_cmp_ne_u16_e64 s[0:1], v37, v38
	s_and_b64 s[40:41], s[0:1], exec
.LBB375_22:
	s_or_b64 exec, exec, s[38:39]
	s_and_b64 s[38:39], s[40:41], exec
.LBB375_23:
	s_or_b64 exec, exec, s[36:37]
	s_and_b64 s[36:37], s[38:39], exec
.LBB375_24:
	s_or_b64 exec, exec, s[34:35]
	s_and_b64 s[34:35], s[36:37], exec
.LBB375_25:
	s_or_b64 exec, exec, s[30:31]
	s_and_b64 s[30:31], s[34:35], exec
.LBB375_26:
	s_or_b64 exec, exec, s[28:29]
	s_and_b64 s[28:29], s[30:31], exec
.LBB375_27:
	s_or_b64 exec, exec, s[26:27]
	s_and_b64 s[26:27], s[28:29], exec
.LBB375_28:
	s_or_b64 exec, exec, s[24:25]
	s_and_b64 s[24:25], s[26:27], exec
.LBB375_29:
	s_or_b64 exec, exec, s[22:23]
	s_and_b64 s[22:23], s[24:25], exec
.LBB375_30:
	s_or_b64 exec, exec, s[20:21]
	s_and_b64 s[20:21], s[22:23], exec
.LBB375_31:
	s_or_b64 exec, exec, s[18:19]
	s_and_b64 s[18:19], s[20:21], exec
.LBB375_32:
	s_or_b64 exec, exec, s[12:13]
	s_and_b64 s[12:13], s[18:19], exec
.LBB375_33:
	s_or_b64 exec, exec, s[10:11]
	s_and_b64 s[10:11], s[12:13], exec
.LBB375_34:
	s_or_b64 exec, exec, s[8:9]
	s_and_b64 s[8:9], s[10:11], exec
.LBB375_35:
	s_or_b64 exec, exec, s[6:7]
	s_and_b64 s[6:7], s[8:9], exec
.LBB375_36:
	s_or_b64 exec, exec, s[4:5]
	s_and_b64 s[4:5], s[6:7], exec
.LBB375_37:
	s_or_b64 exec, exec, s[2:3]
	s_cmp_eq_u32 s15, 0
	s_cselect_b64 s[2:3], -1, 0
	s_waitcnt vmcnt(0)
	v_cmp_ne_u16_sdwa s[0:1], v7, v8 src0_sel:BYTE_0 src1_sel:BYTE_0
	s_xor_b64 s[0:1], s[2:3], s[0:1]
	v_cndmask_b32_e64 v1, 0, 1, s[0:1]
	v_cmp_ne_u16_sdwa s[0:1], v10, v9 src0_sel:BYTE_0 src1_sel:BYTE_0
	s_xor_b64 s[0:1], s[2:3], s[0:1]
	v_cndmask_b32_e64 v2, 0, 1, s[0:1]
	v_cndmask_b32_e32 v1, 0, v1, vcc
	v_lshlrev_b16_e32 v2, 8, v2
	v_or_b32_e32 v2, v1, v2
	v_and_b32_e32 v2, 0xffff, v2
	v_cmp_gt_i32_e64 s[0:1], s14, v5
	v_cndmask_b32_e64 v1, v1, v2, s[0:1]
	v_cmp_ne_u16_sdwa s[0:1], v13, v11 src0_sel:BYTE_0 src1_sel:BYTE_0
	s_xor_b64 s[0:1], s[2:3], s[0:1]
	v_or_b32_e32 v2, 0x200, v0
	v_cndmask_b32_e64 v3, 0, 1, s[0:1]
	v_lshl_or_b32 v3, v3, 16, v1
	v_cmp_gt_i32_e64 s[0:1], s14, v2
	v_cndmask_b32_e64 v1, v1, v3, s[0:1]
	v_cmp_ne_u16_sdwa s[0:1], v15, v12 src0_sel:BYTE_0 src1_sel:BYTE_0
	s_xor_b64 s[0:1], s[2:3], s[0:1]
	s_movk_i32 s6, 0xff
	v_cndmask_b32_e64 v4, 0, 1, s[0:1]
	v_and_b32_sdwa v2, v1, s6 dst_sel:DWORD dst_unused:UNUSED_PAD src0_sel:WORD_1 src1_sel:DWORD
	v_lshlrev_b16_e32 v4, 8, v4
	s_mov_b32 s7, 0xffff
	v_or_b32_e32 v3, 0x300, v0
	v_or_b32_sdwa v2, v2, v4 dst_sel:WORD_1 dst_unused:UNUSED_PAD src0_sel:DWORD src1_sel:DWORD
	v_and_or_b32 v2, v1, s7, v2
	v_cmp_gt_i32_e64 s[0:1], s14, v3
	v_cndmask_b32_e64 v4, v1, v2, s[0:1]
	v_cmp_ne_u16_sdwa s[0:1], v17, v16 src0_sel:BYTE_0 src1_sel:BYTE_0
	s_xor_b64 s[0:1], s[2:3], s[0:1]
	v_cndmask_b32_e64 v1, 0, 1, s[0:1]
	v_or_b32_e32 v2, 0x400, v0
	v_and_b32_e32 v1, 0xffff, v1
	v_cmp_gt_i32_e64 s[0:1], s14, v2
	v_cndmask_b32_e64 v1, 0, v1, s[0:1]
	v_cmp_ne_u16_sdwa s[0:1], v21, v18 src0_sel:BYTE_0 src1_sel:BYTE_0
	s_xor_b64 s[0:1], s[2:3], s[0:1]
	v_cndmask_b32_e64 v3, 0, 1, s[0:1]
	v_lshlrev_b16_e32 v3, 8, v3
	v_or_b32_e32 v2, 0x500, v0
	v_or_b32_sdwa v3, v1, v3 dst_sel:DWORD dst_unused:UNUSED_PAD src0_sel:BYTE_0 src1_sel:DWORD
	v_and_b32_e32 v3, 0xffff, v3
	v_cmp_gt_i32_e64 s[0:1], s14, v2
	v_cndmask_b32_e64 v1, v1, v3, s[0:1]
	v_cmp_ne_u16_sdwa s[0:1], v19, v14 src0_sel:BYTE_0 src1_sel:BYTE_0
	s_movk_i32 s8, 0xff00
	s_xor_b64 s[0:1], s[2:3], s[0:1]
	v_and_b32_sdwa v2, v1, s8 dst_sel:DWORD dst_unused:UNUSED_PAD src0_sel:WORD_1 src1_sel:DWORD
	v_cndmask_b32_e64 v3, 0, 1, s[0:1]
	v_or_b32_sdwa v2, v3, v2 dst_sel:WORD_1 dst_unused:UNUSED_PAD src0_sel:DWORD src1_sel:DWORD
	v_or_b32_e32 v3, 0x600, v0
	v_and_or_b32 v2, v1, s7, v2
	v_cmp_gt_i32_e64 s[0:1], s14, v3
	v_cndmask_b32_e64 v1, v1, v2, s[0:1]
	v_cmp_ne_u16_sdwa s[0:1], v22, v20 src0_sel:BYTE_0 src1_sel:BYTE_0
	s_xor_b64 s[0:1], s[2:3], s[0:1]
	v_cndmask_b32_e64 v7, 0, 1, s[0:1]
	v_and_b32_sdwa v2, v1, s6 dst_sel:DWORD dst_unused:UNUSED_PAD src0_sel:WORD_1 src1_sel:DWORD
	v_lshlrev_b16_e32 v7, 8, v7
	v_or_b32_e32 v3, 0x700, v0
	v_or_b32_sdwa v2, v2, v7 dst_sel:WORD_1 dst_unused:UNUSED_PAD src0_sel:DWORD src1_sel:DWORD
	v_and_or_b32 v2, v1, s7, v2
	v_cmp_gt_i32_e64 s[0:1], s14, v3
	v_cndmask_b32_e64 v3, v1, v2, s[0:1]
	v_cmp_ne_u16_sdwa s[0:1], v24, v23 src0_sel:BYTE_0 src1_sel:BYTE_0
	v_or_b32_e32 v1, 0x800, v0
	s_xor_b64 s[0:1], s[2:3], s[0:1]
	v_cndmask_b32_e64 v2, 0, 1, s[0:1]
	v_cmp_gt_i32_e64 s[0:1], s14, v1
	v_cndmask_b32_e64 v1, 0, v2, s[0:1]
	v_cmp_ne_u16_sdwa s[0:1], v26, v25 src0_sel:BYTE_0 src1_sel:BYTE_0
	s_xor_b64 s[0:1], s[2:3], s[0:1]
	v_cndmask_b32_e64 v7, 0, 1, s[0:1]
	v_lshlrev_b16_e32 v7, 8, v7
	v_or_b32_e32 v2, 0x900, v0
	v_or_b32_e32 v7, v1, v7
	v_and_b32_e32 v7, 0xffff, v7
	v_cmp_gt_i32_e64 s[0:1], s14, v2
	v_cndmask_b32_e64 v1, v1, v7, s[0:1]
	v_cmp_ne_u16_sdwa s[0:1], v28, v27 src0_sel:BYTE_0 src1_sel:BYTE_0
	s_xor_b64 s[0:1], s[2:3], s[0:1]
	v_cndmask_b32_e64 v7, 0, 1, s[0:1]
	v_or_b32_e32 v2, 0xa00, v0
	v_lshlrev_b32_e32 v7, 16, v7
	s_movk_i32 s0, 0x1ff
	v_and_or_b32 v7, v1, s0, v7
	v_cmp_gt_i32_e64 s[0:1], s14, v2
	v_cndmask_b32_e64 v1, v1, v7, s[0:1]
	v_cmp_ne_u16_sdwa s[0:1], v30, v29 src0_sel:BYTE_0 src1_sel:BYTE_0
	s_xor_b64 s[0:1], s[2:3], s[0:1]
	v_cndmask_b32_e64 v8, 0, 1, s[0:1]
	v_and_b32_sdwa v2, v1, s6 dst_sel:DWORD dst_unused:UNUSED_PAD src0_sel:WORD_1 src1_sel:DWORD
	v_lshlrev_b16_e32 v8, 8, v8
	v_or_b32_e32 v7, 0xb00, v0
	v_or_b32_sdwa v2, v2, v8 dst_sel:WORD_1 dst_unused:UNUSED_PAD src0_sel:DWORD src1_sel:DWORD
	v_and_or_b32 v2, v1, s7, v2
	v_cmp_gt_i32_e64 s[0:1], s14, v7
	v_cndmask_b32_e64 v2, v1, v2, s[0:1]
	v_cmp_ne_u16_sdwa s[0:1], v32, v31 src0_sel:BYTE_0 src1_sel:BYTE_0
	v_or_b32_e32 v1, 0xc00, v0
	s_xor_b64 s[0:1], s[2:3], s[0:1]
	v_cndmask_b32_e64 v7, 0, 1, s[0:1]
	v_cmp_gt_i32_e64 s[0:1], s14, v1
	v_cndmask_b32_e64 v1, 0, v7, s[0:1]
	v_cmp_ne_u16_sdwa s[0:1], v34, v33 src0_sel:BYTE_0 src1_sel:BYTE_0
	s_xor_b64 s[0:1], s[2:3], s[0:1]
	v_cndmask_b32_e64 v8, 0, 1, s[0:1]
	v_lshlrev_b16_e32 v8, 8, v8
	v_or_b32_e32 v7, 0xd00, v0
	v_or_b32_sdwa v8, v1, v8 dst_sel:DWORD dst_unused:UNUSED_PAD src0_sel:BYTE_0 src1_sel:DWORD
	v_and_b32_e32 v8, 0xffff, v8
	v_cmp_gt_i32_e64 s[0:1], s14, v7
	v_cndmask_b32_e64 v1, v1, v8, s[0:1]
	v_cmp_ne_u16_sdwa s[0:1], v36, v35 src0_sel:BYTE_0 src1_sel:BYTE_0
	s_xor_b64 s[0:1], s[2:3], s[0:1]
	v_and_b32_sdwa v7, v1, s8 dst_sel:DWORD dst_unused:UNUSED_PAD src0_sel:WORD_1 src1_sel:DWORD
	v_cndmask_b32_e64 v8, 0, 1, s[0:1]
	v_or_b32_sdwa v7, v8, v7 dst_sel:WORD_1 dst_unused:UNUSED_PAD src0_sel:DWORD src1_sel:DWORD
	v_or_b32_e32 v8, 0xe00, v0
	v_and_or_b32 v7, v1, s7, v7
	v_cmp_gt_i32_e64 s[0:1], s14, v8
	v_cndmask_b32_e64 v1, v1, v7, s[0:1]
	s_xor_b64 s[0:1], s[2:3], s[4:5]
	v_cndmask_b32_e64 v9, 0, 1, s[0:1]
	v_and_b32_sdwa v7, v1, s6 dst_sel:DWORD dst_unused:UNUSED_PAD src0_sel:WORD_1 src1_sel:DWORD
	v_lshlrev_b16_e32 v9, 8, v9
	v_or_b32_e32 v8, 0xf00, v0
	v_or_b32_sdwa v7, v7, v9 dst_sel:WORD_1 dst_unused:UNUSED_PAD src0_sel:DWORD src1_sel:DWORD
	v_and_or_b32 v7, v1, s7, v7
	v_cmp_gt_i32_e64 s[0:1], s14, v8
	v_cndmask_b32_e64 v1, v1, v7, s[0:1]
	s_and_saveexec_b64 s[0:1], vcc
	s_cbranch_execnz .LBB375_55
; %bb.38:
	s_or_b64 exec, exec, s[0:1]
	v_cmp_gt_i32_e32 vcc, s14, v0
	s_and_saveexec_b64 s[0:1], vcc
	s_cbranch_execnz .LBB375_56
.LBB375_39:
	s_or_b64 exec, exec, s[0:1]
	v_cmp_gt_i32_e32 vcc, s14, v0
	s_and_saveexec_b64 s[0:1], vcc
	s_cbranch_execnz .LBB375_57
.LBB375_40:
	s_or_b64 exec, exec, s[0:1]
	v_cmp_gt_i32_e32 vcc, s14, v0
	s_and_saveexec_b64 s[0:1], vcc
	s_cbranch_execnz .LBB375_58
.LBB375_41:
	s_or_b64 exec, exec, s[0:1]
	v_cmp_gt_i32_e32 vcc, s14, v0
	s_and_saveexec_b64 s[0:1], vcc
	s_cbranch_execnz .LBB375_59
.LBB375_42:
	s_or_b64 exec, exec, s[0:1]
	v_cmp_gt_i32_e32 vcc, s14, v0
	s_and_saveexec_b64 s[0:1], vcc
	s_cbranch_execnz .LBB375_60
.LBB375_43:
	s_or_b64 exec, exec, s[0:1]
	v_cmp_gt_i32_e32 vcc, s14, v0
	s_and_saveexec_b64 s[0:1], vcc
	s_cbranch_execnz .LBB375_61
.LBB375_44:
	s_or_b64 exec, exec, s[0:1]
	v_cmp_gt_i32_e32 vcc, s14, v0
	s_and_saveexec_b64 s[0:1], vcc
	s_cbranch_execnz .LBB375_62
.LBB375_45:
	s_or_b64 exec, exec, s[0:1]
	v_cmp_gt_i32_e32 vcc, s14, v0
	s_and_saveexec_b64 s[0:1], vcc
	s_cbranch_execnz .LBB375_63
.LBB375_46:
	s_or_b64 exec, exec, s[0:1]
	v_cmp_gt_i32_e32 vcc, s14, v0
	s_and_saveexec_b64 s[0:1], vcc
	s_cbranch_execnz .LBB375_64
.LBB375_47:
	s_or_b64 exec, exec, s[0:1]
	v_cmp_gt_i32_e32 vcc, s14, v0
	s_and_saveexec_b64 s[0:1], vcc
	s_cbranch_execnz .LBB375_65
.LBB375_48:
	s_or_b64 exec, exec, s[0:1]
	v_cmp_gt_i32_e32 vcc, s14, v0
	s_and_saveexec_b64 s[0:1], vcc
	s_cbranch_execnz .LBB375_66
.LBB375_49:
	s_or_b64 exec, exec, s[0:1]
	v_cmp_gt_i32_e32 vcc, s14, v0
	s_and_saveexec_b64 s[0:1], vcc
	s_cbranch_execnz .LBB375_67
.LBB375_50:
	s_or_b64 exec, exec, s[0:1]
	v_cmp_gt_i32_e32 vcc, s14, v0
	s_and_saveexec_b64 s[0:1], vcc
	s_cbranch_execnz .LBB375_68
.LBB375_51:
	s_or_b64 exec, exec, s[0:1]
	v_cmp_gt_i32_e32 vcc, s14, v0
	s_and_saveexec_b64 s[0:1], vcc
	s_cbranch_execnz .LBB375_69
.LBB375_52:
	s_or_b64 exec, exec, s[0:1]
	v_cmp_gt_i32_e32 vcc, s14, v0
	s_and_saveexec_b64 s[0:1], vcc
	s_cbranch_execz .LBB375_54
.LBB375_53:
	v_lshrrev_b32_e32 v1, 24, v1
	v_add_u32_e32 v0, s33, v0
	global_store_byte v0, v1, s[16:17]
.LBB375_54:
	s_endpgm
.LBB375_55:
	v_mov_b32_e32 v0, v5
	global_store_byte v6, v4, s[16:17]
	s_or_b64 exec, exec, s[0:1]
	v_cmp_gt_i32_e32 vcc, s14, v0
	s_and_saveexec_b64 s[0:1], vcc
	s_cbranch_execz .LBB375_39
.LBB375_56:
	v_lshrrev_b32_e32 v5, 8, v4
	v_add_u32_e32 v6, s33, v0
	v_add_u32_e32 v0, 0x100, v0
	global_store_byte v6, v5, s[16:17]
	s_or_b64 exec, exec, s[0:1]
	v_cmp_gt_i32_e32 vcc, s14, v0
	s_and_saveexec_b64 s[0:1], vcc
	s_cbranch_execz .LBB375_40
.LBB375_57:
	v_add_u32_e32 v5, s33, v0
	v_add_u32_e32 v0, 0x100, v0
	global_store_byte_d16_hi v5, v4, s[16:17]
	s_or_b64 exec, exec, s[0:1]
	v_cmp_gt_i32_e32 vcc, s14, v0
	s_and_saveexec_b64 s[0:1], vcc
	s_cbranch_execz .LBB375_41
.LBB375_58:
	v_lshrrev_b32_e32 v4, 24, v4
	v_add_u32_e32 v5, s33, v0
	v_add_u32_e32 v0, 0x100, v0
	global_store_byte v5, v4, s[16:17]
	s_or_b64 exec, exec, s[0:1]
	v_cmp_gt_i32_e32 vcc, s14, v0
	s_and_saveexec_b64 s[0:1], vcc
	s_cbranch_execz .LBB375_42
.LBB375_59:
	v_add_u32_e32 v4, s33, v0
	v_add_u32_e32 v0, 0x100, v0
	global_store_byte v4, v3, s[16:17]
	s_or_b64 exec, exec, s[0:1]
	v_cmp_gt_i32_e32 vcc, s14, v0
	s_and_saveexec_b64 s[0:1], vcc
	s_cbranch_execz .LBB375_43
.LBB375_60:
	v_lshrrev_b32_e32 v4, 8, v3
	v_add_u32_e32 v5, s33, v0
	v_add_u32_e32 v0, 0x100, v0
	global_store_byte v5, v4, s[16:17]
	s_or_b64 exec, exec, s[0:1]
	v_cmp_gt_i32_e32 vcc, s14, v0
	s_and_saveexec_b64 s[0:1], vcc
	s_cbranch_execz .LBB375_44
.LBB375_61:
	v_add_u32_e32 v4, s33, v0
	v_add_u32_e32 v0, 0x100, v0
	global_store_byte_d16_hi v4, v3, s[16:17]
	s_or_b64 exec, exec, s[0:1]
	v_cmp_gt_i32_e32 vcc, s14, v0
	s_and_saveexec_b64 s[0:1], vcc
	s_cbranch_execz .LBB375_45
.LBB375_62:
	v_lshrrev_b32_e32 v3, 24, v3
	v_add_u32_e32 v4, s33, v0
	v_add_u32_e32 v0, 0x100, v0
	global_store_byte v4, v3, s[16:17]
	s_or_b64 exec, exec, s[0:1]
	v_cmp_gt_i32_e32 vcc, s14, v0
	s_and_saveexec_b64 s[0:1], vcc
	s_cbranch_execz .LBB375_46
.LBB375_63:
	v_add_u32_e32 v3, s33, v0
	v_add_u32_e32 v0, 0x100, v0
	global_store_byte v3, v2, s[16:17]
	s_or_b64 exec, exec, s[0:1]
	v_cmp_gt_i32_e32 vcc, s14, v0
	s_and_saveexec_b64 s[0:1], vcc
	s_cbranch_execz .LBB375_47
.LBB375_64:
	v_lshrrev_b32_e32 v3, 8, v2
	v_add_u32_e32 v4, s33, v0
	v_add_u32_e32 v0, 0x100, v0
	global_store_byte v4, v3, s[16:17]
	s_or_b64 exec, exec, s[0:1]
	v_cmp_gt_i32_e32 vcc, s14, v0
	s_and_saveexec_b64 s[0:1], vcc
	s_cbranch_execz .LBB375_48
.LBB375_65:
	v_add_u32_e32 v3, s33, v0
	v_add_u32_e32 v0, 0x100, v0
	global_store_byte_d16_hi v3, v2, s[16:17]
	s_or_b64 exec, exec, s[0:1]
	v_cmp_gt_i32_e32 vcc, s14, v0
	s_and_saveexec_b64 s[0:1], vcc
	s_cbranch_execz .LBB375_49
.LBB375_66:
	v_lshrrev_b32_e32 v2, 24, v2
	v_add_u32_e32 v3, s33, v0
	v_add_u32_e32 v0, 0x100, v0
	global_store_byte v3, v2, s[16:17]
	s_or_b64 exec, exec, s[0:1]
	v_cmp_gt_i32_e32 vcc, s14, v0
	s_and_saveexec_b64 s[0:1], vcc
	s_cbranch_execz .LBB375_50
.LBB375_67:
	v_add_u32_e32 v2, s33, v0
	v_add_u32_e32 v0, 0x100, v0
	global_store_byte v2, v1, s[16:17]
	s_or_b64 exec, exec, s[0:1]
	v_cmp_gt_i32_e32 vcc, s14, v0
	s_and_saveexec_b64 s[0:1], vcc
	s_cbranch_execz .LBB375_51
.LBB375_68:
	v_lshrrev_b32_e32 v2, 8, v1
	v_add_u32_e32 v3, s33, v0
	v_add_u32_e32 v0, 0x100, v0
	global_store_byte v3, v2, s[16:17]
	s_or_b64 exec, exec, s[0:1]
	v_cmp_gt_i32_e32 vcc, s14, v0
	s_and_saveexec_b64 s[0:1], vcc
	s_cbranch_execz .LBB375_52
.LBB375_69:
	v_add_u32_e32 v2, s33, v0
	v_add_u32_e32 v0, 0x100, v0
	global_store_byte_d16_hi v2, v1, s[16:17]
	s_or_b64 exec, exec, s[0:1]
	v_cmp_gt_i32_e32 vcc, s14, v0
	s_and_saveexec_b64 s[0:1], vcc
	s_cbranch_execnz .LBB375_53
	s_branch .LBB375_54
	.section	.rodata,"a",@progbits
	.p2align	6, 0x0
	.amdhsa_kernel _ZN2at6native29vectorized_elementwise_kernelILi4ENS0_13BinaryFunctorIN3c1016Float4_e2m1fn_x2ES4_bNS0_12_GLOBAL__N_116CompareEqFunctorIS4_EEEESt5arrayIPcLm3EEEEviT0_T1_
		.amdhsa_group_segment_fixed_size 0
		.amdhsa_private_segment_fixed_size 0
		.amdhsa_kernarg_size 32
		.amdhsa_user_sgpr_count 6
		.amdhsa_user_sgpr_private_segment_buffer 1
		.amdhsa_user_sgpr_dispatch_ptr 0
		.amdhsa_user_sgpr_queue_ptr 0
		.amdhsa_user_sgpr_kernarg_segment_ptr 1
		.amdhsa_user_sgpr_dispatch_id 0
		.amdhsa_user_sgpr_flat_scratch_init 0
		.amdhsa_user_sgpr_private_segment_size 0
		.amdhsa_uses_dynamic_stack 0
		.amdhsa_system_sgpr_private_segment_wavefront_offset 0
		.amdhsa_system_sgpr_workgroup_id_x 1
		.amdhsa_system_sgpr_workgroup_id_y 0
		.amdhsa_system_sgpr_workgroup_id_z 0
		.amdhsa_system_sgpr_workgroup_info 0
		.amdhsa_system_vgpr_workitem_id 0
		.amdhsa_next_free_vgpr 39
		.amdhsa_next_free_sgpr 42
		.amdhsa_reserve_vcc 1
		.amdhsa_reserve_flat_scratch 0
		.amdhsa_float_round_mode_32 0
		.amdhsa_float_round_mode_16_64 0
		.amdhsa_float_denorm_mode_32 3
		.amdhsa_float_denorm_mode_16_64 3
		.amdhsa_dx10_clamp 1
		.amdhsa_ieee_mode 1
		.amdhsa_fp16_overflow 0
		.amdhsa_exception_fp_ieee_invalid_op 0
		.amdhsa_exception_fp_denorm_src 0
		.amdhsa_exception_fp_ieee_div_zero 0
		.amdhsa_exception_fp_ieee_overflow 0
		.amdhsa_exception_fp_ieee_underflow 0
		.amdhsa_exception_fp_ieee_inexact 0
		.amdhsa_exception_int_div_zero 0
	.end_amdhsa_kernel
	.section	.text._ZN2at6native29vectorized_elementwise_kernelILi4ENS0_13BinaryFunctorIN3c1016Float4_e2m1fn_x2ES4_bNS0_12_GLOBAL__N_116CompareEqFunctorIS4_EEEESt5arrayIPcLm3EEEEviT0_T1_,"axG",@progbits,_ZN2at6native29vectorized_elementwise_kernelILi4ENS0_13BinaryFunctorIN3c1016Float4_e2m1fn_x2ES4_bNS0_12_GLOBAL__N_116CompareEqFunctorIS4_EEEESt5arrayIPcLm3EEEEviT0_T1_,comdat
.Lfunc_end375:
	.size	_ZN2at6native29vectorized_elementwise_kernelILi4ENS0_13BinaryFunctorIN3c1016Float4_e2m1fn_x2ES4_bNS0_12_GLOBAL__N_116CompareEqFunctorIS4_EEEESt5arrayIPcLm3EEEEviT0_T1_, .Lfunc_end375-_ZN2at6native29vectorized_elementwise_kernelILi4ENS0_13BinaryFunctorIN3c1016Float4_e2m1fn_x2ES4_bNS0_12_GLOBAL__N_116CompareEqFunctorIS4_EEEESt5arrayIPcLm3EEEEviT0_T1_
                                        ; -- End function
	.set _ZN2at6native29vectorized_elementwise_kernelILi4ENS0_13BinaryFunctorIN3c1016Float4_e2m1fn_x2ES4_bNS0_12_GLOBAL__N_116CompareEqFunctorIS4_EEEESt5arrayIPcLm3EEEEviT0_T1_.num_vgpr, 39
	.set _ZN2at6native29vectorized_elementwise_kernelILi4ENS0_13BinaryFunctorIN3c1016Float4_e2m1fn_x2ES4_bNS0_12_GLOBAL__N_116CompareEqFunctorIS4_EEEESt5arrayIPcLm3EEEEviT0_T1_.num_agpr, 0
	.set _ZN2at6native29vectorized_elementwise_kernelILi4ENS0_13BinaryFunctorIN3c1016Float4_e2m1fn_x2ES4_bNS0_12_GLOBAL__N_116CompareEqFunctorIS4_EEEESt5arrayIPcLm3EEEEviT0_T1_.numbered_sgpr, 42
	.set _ZN2at6native29vectorized_elementwise_kernelILi4ENS0_13BinaryFunctorIN3c1016Float4_e2m1fn_x2ES4_bNS0_12_GLOBAL__N_116CompareEqFunctorIS4_EEEESt5arrayIPcLm3EEEEviT0_T1_.num_named_barrier, 0
	.set _ZN2at6native29vectorized_elementwise_kernelILi4ENS0_13BinaryFunctorIN3c1016Float4_e2m1fn_x2ES4_bNS0_12_GLOBAL__N_116CompareEqFunctorIS4_EEEESt5arrayIPcLm3EEEEviT0_T1_.private_seg_size, 0
	.set _ZN2at6native29vectorized_elementwise_kernelILi4ENS0_13BinaryFunctorIN3c1016Float4_e2m1fn_x2ES4_bNS0_12_GLOBAL__N_116CompareEqFunctorIS4_EEEESt5arrayIPcLm3EEEEviT0_T1_.uses_vcc, 1
	.set _ZN2at6native29vectorized_elementwise_kernelILi4ENS0_13BinaryFunctorIN3c1016Float4_e2m1fn_x2ES4_bNS0_12_GLOBAL__N_116CompareEqFunctorIS4_EEEESt5arrayIPcLm3EEEEviT0_T1_.uses_flat_scratch, 0
	.set _ZN2at6native29vectorized_elementwise_kernelILi4ENS0_13BinaryFunctorIN3c1016Float4_e2m1fn_x2ES4_bNS0_12_GLOBAL__N_116CompareEqFunctorIS4_EEEESt5arrayIPcLm3EEEEviT0_T1_.has_dyn_sized_stack, 0
	.set _ZN2at6native29vectorized_elementwise_kernelILi4ENS0_13BinaryFunctorIN3c1016Float4_e2m1fn_x2ES4_bNS0_12_GLOBAL__N_116CompareEqFunctorIS4_EEEESt5arrayIPcLm3EEEEviT0_T1_.has_recursion, 0
	.set _ZN2at6native29vectorized_elementwise_kernelILi4ENS0_13BinaryFunctorIN3c1016Float4_e2m1fn_x2ES4_bNS0_12_GLOBAL__N_116CompareEqFunctorIS4_EEEESt5arrayIPcLm3EEEEviT0_T1_.has_indirect_call, 0
	.section	.AMDGPU.csdata,"",@progbits
; Kernel info:
; codeLenInByte = 4440
; TotalNumSgprs: 46
; NumVgprs: 39
; ScratchSize: 0
; MemoryBound: 0
; FloatMode: 240
; IeeeMode: 1
; LDSByteSize: 0 bytes/workgroup (compile time only)
; SGPRBlocks: 5
; VGPRBlocks: 9
; NumSGPRsForWavesPerEU: 46
; NumVGPRsForWavesPerEU: 39
; Occupancy: 6
; WaveLimiterHint : 1
; COMPUTE_PGM_RSRC2:SCRATCH_EN: 0
; COMPUTE_PGM_RSRC2:USER_SGPR: 6
; COMPUTE_PGM_RSRC2:TRAP_HANDLER: 0
; COMPUTE_PGM_RSRC2:TGID_X_EN: 1
; COMPUTE_PGM_RSRC2:TGID_Y_EN: 0
; COMPUTE_PGM_RSRC2:TGID_Z_EN: 0
; COMPUTE_PGM_RSRC2:TIDIG_COMP_CNT: 0
	.section	.text._ZN2at6native29vectorized_elementwise_kernelILi2ENS0_13BinaryFunctorIN3c1016Float4_e2m1fn_x2ES4_bNS0_12_GLOBAL__N_116CompareEqFunctorIS4_EEEESt5arrayIPcLm3EEEEviT0_T1_,"axG",@progbits,_ZN2at6native29vectorized_elementwise_kernelILi2ENS0_13BinaryFunctorIN3c1016Float4_e2m1fn_x2ES4_bNS0_12_GLOBAL__N_116CompareEqFunctorIS4_EEEESt5arrayIPcLm3EEEEviT0_T1_,comdat
	.globl	_ZN2at6native29vectorized_elementwise_kernelILi2ENS0_13BinaryFunctorIN3c1016Float4_e2m1fn_x2ES4_bNS0_12_GLOBAL__N_116CompareEqFunctorIS4_EEEESt5arrayIPcLm3EEEEviT0_T1_ ; -- Begin function _ZN2at6native29vectorized_elementwise_kernelILi2ENS0_13BinaryFunctorIN3c1016Float4_e2m1fn_x2ES4_bNS0_12_GLOBAL__N_116CompareEqFunctorIS4_EEEESt5arrayIPcLm3EEEEviT0_T1_
	.p2align	8
	.type	_ZN2at6native29vectorized_elementwise_kernelILi2ENS0_13BinaryFunctorIN3c1016Float4_e2m1fn_x2ES4_bNS0_12_GLOBAL__N_116CompareEqFunctorIS4_EEEESt5arrayIPcLm3EEEEviT0_T1_,@function
_ZN2at6native29vectorized_elementwise_kernelILi2ENS0_13BinaryFunctorIN3c1016Float4_e2m1fn_x2ES4_bNS0_12_GLOBAL__N_116CompareEqFunctorIS4_EEEESt5arrayIPcLm3EEEEviT0_T1_: ; @_ZN2at6native29vectorized_elementwise_kernelILi2ENS0_13BinaryFunctorIN3c1016Float4_e2m1fn_x2ES4_bNS0_12_GLOBAL__N_116CompareEqFunctorIS4_EEEESt5arrayIPcLm3EEEEviT0_T1_
; %bb.0:
	s_load_dwordx2 s[14:15], s[4:5], 0x0
	s_load_dwordx4 s[16:19], s[4:5], 0x8
	s_load_dwordx2 s[20:21], s[4:5], 0x18
	s_lshl_b32 s33, s6, 12
	s_mov_b64 s[0:1], -1
	s_waitcnt lgkmcnt(0)
	s_sub_i32 s14, s14, s33
	s_cmpk_gt_i32 s14, 0xfff
	s_cbranch_scc0 .LBB376_2
; %bb.1:
	s_ashr_i32 s26, s33, 31
	s_add_u32 s0, s18, s33
	s_addc_u32 s1, s19, s26
	s_add_u32 s2, s20, s33
	v_lshlrev_b32_e32 v1, 1, v0
	s_addc_u32 s3, s21, s26
	global_load_ushort v2, v1, s[2:3]
	global_load_ushort v3, v1, s[0:1]
	global_load_ushort v4, v1, s[0:1] offset:512
	global_load_ushort v5, v1, s[2:3] offset:512
	;; [unrolled: 1-line block ×13, first 2 shown]
                                        ; kill: killed $sgpr0 killed $sgpr1
	global_load_ushort v17, v1, s[2:3] offset:3584
	s_cmp_eq_u32 s15, 0
	s_cselect_b64 s[22:23], -1, 0
	s_movk_i32 s27, 0xff
	s_waitcnt vmcnt(14)
	v_cmp_ne_u16_sdwa s[0:1], v3, v2 src0_sel:BYTE_0 src1_sel:BYTE_0
	s_xor_b64 s[0:1], s[22:23], s[0:1]
	s_waitcnt vmcnt(12)
	v_cmp_ne_u16_sdwa s[2:3], v4, v5 src0_sel:BYTE_0 src1_sel:BYTE_0
	v_xor_b32_e32 v2, v2, v3
	v_xor_b32_e32 v3, v5, v4
	s_waitcnt vmcnt(10)
	v_cmp_ne_u16_sdwa s[4:5], v7, v6 src0_sel:BYTE_0 src1_sel:BYTE_0
	v_xor_b32_e32 v4, v6, v7
	s_waitcnt vmcnt(8)
	v_cmp_ne_u16_sdwa s[6:7], v8, v9 src0_sel:BYTE_0 src1_sel:BYTE_0
	s_waitcnt vmcnt(6)
	v_cmp_ne_u16_sdwa s[8:9], v11, v10 src0_sel:BYTE_0 src1_sel:BYTE_0
	v_xor_b32_e32 v6, v10, v11
	v_cndmask_b32_e64 v10, 0, 1, s[0:1]
	s_xor_b64 s[0:1], s[22:23], s[2:3]
	v_cmp_lt_u16_e32 vcc, s27, v2
	v_cndmask_b32_e64 v2, 0, 1, s[0:1]
	v_cmp_lt_u16_e64 s[0:1], s27, v3
	s_xor_b64 s[2:3], s[22:23], s[4:5]
	v_xor_b32_e32 v5, v9, v8
	v_cndmask_b32_e64 v3, 0, 1, s[2:3]
	v_cmp_lt_u16_e64 s[2:3], s27, v4
	s_xor_b64 s[4:5], s[22:23], s[6:7]
	s_xor_b64 s[0:1], s[22:23], s[0:1]
	s_waitcnt vmcnt(4)
	v_cmp_ne_u16_sdwa s[10:11], v12, v13 src0_sel:BYTE_0 src1_sel:BYTE_0
	v_cndmask_b32_e64 v4, 0, 1, s[4:5]
	v_cmp_lt_u16_e64 s[4:5], s27, v5
	s_xor_b64 s[6:7], s[22:23], s[8:9]
	v_cndmask_b32_e64 v11, 0, 1, s[0:1]
	s_xor_b64 s[0:1], s[22:23], s[2:3]
	v_xor_b32_e32 v7, v13, v12
	s_waitcnt vmcnt(2)
	v_cmp_ne_u16_sdwa s[12:13], v15, v14 src0_sel:BYTE_0 src1_sel:BYTE_0
	v_cndmask_b32_e64 v5, 0, 1, s[6:7]
	v_cmp_lt_u16_e64 s[6:7], s27, v6
	s_xor_b64 s[8:9], s[22:23], s[10:11]
	v_cndmask_b32_e64 v12, 0, 1, s[0:1]
	s_xor_b64 s[0:1], s[22:23], s[4:5]
	v_xor_b32_e32 v8, v14, v15
	;; [unrolled: 8-line block ×3, first 2 shown]
	v_cndmask_b32_e64 v7, 0, 1, s[10:11]
	v_cmp_lt_u16_e64 s[10:11], s27, v8
	s_xor_b64 s[12:13], s[22:23], s[24:25]
	v_cndmask_b32_e64 v14, 0, 1, s[0:1]
	s_xor_b64 s[0:1], s[22:23], s[8:9]
	v_cndmask_b32_e64 v8, 0, 1, s[12:13]
	v_cmp_lt_u16_e64 s[12:13], s27, v9
	s_xor_b64 s[24:25], s[22:23], vcc
	v_cndmask_b32_e64 v15, 0, 1, s[0:1]
	s_xor_b64 s[0:1], s[22:23], s[10:11]
	v_cndmask_b32_e64 v9, 0, 1, s[24:25]
	v_cndmask_b32_e64 v16, 0, 1, s[0:1]
	s_xor_b64 s[0:1], s[22:23], s[12:13]
	v_cndmask_b32_e64 v17, 0, 1, s[0:1]
	v_lshlrev_b16_e32 v9, 8, v9
	s_add_u32 s0, s16, s33
	v_lshlrev_b16_e32 v17, 8, v17
	v_lshlrev_b16_e32 v16, 8, v16
	;; [unrolled: 1-line block ×7, first 2 shown]
	v_or_b32_e32 v9, v10, v9
	s_addc_u32 s1, s17, s26
	v_or_b32_e32 v8, v8, v17
	v_or_b32_e32 v7, v7, v16
	;; [unrolled: 1-line block ×7, first 2 shown]
	global_store_short v1, v9, s[0:1]
	global_store_short v1, v2, s[0:1] offset:512
	global_store_short v1, v3, s[0:1] offset:1024
	;; [unrolled: 1-line block ×7, first 2 shown]
	s_mov_b64 s[0:1], 0
.LBB376_2:
	s_andn2_b64 vcc, exec, s[0:1]
	s_cbranch_vccnz .LBB376_54
; %bb.3:
	v_cmp_gt_i32_e32 vcc, s14, v0
	v_cmp_le_i32_e64 s[0:1], s14, v0
                                        ; implicit-def: $vgpr5
	s_and_saveexec_b64 s[2:3], s[0:1]
	s_xor_b64 s[0:1], exec, s[2:3]
; %bb.4:
	v_or_b32_e32 v5, 0x100, v0
; %bb.5:
	s_or_saveexec_b64 s[2:3], s[0:1]
	v_mov_b32_e32 v36, 0
	s_mov_b64 s[4:5], 0
	v_or_b32_e32 v6, s33, v0
	v_mov_b32_e32 v35, 0
	v_mov_b32_e32 v34, 0
	;; [unrolled: 1-line block ×29, first 2 shown]
	s_xor_b64 exec, exec, s[2:3]
	s_cbranch_execz .LBB376_37
; %bb.6:
	global_load_ubyte v7, v6, s[18:19]
	global_load_ubyte v8, v6, s[20:21]
	v_or_b32_e32 v5, 0x100, v0
	v_cmp_gt_u32_e64 s[0:1], s14, v5
	s_mov_b64 s[6:7], 0
	v_mov_b32_e32 v9, 0
	v_mov_b32_e32 v10, 0
	;; [unrolled: 1-line block ×28, first 2 shown]
	s_and_saveexec_b64 s[4:5], s[0:1]
	s_cbranch_execz .LBB376_36
; %bb.7:
	v_add_u32_e32 v3, s33, v0
	global_load_ubyte v10, v3, s[18:19] offset:256
	global_load_ubyte v9, v3, s[20:21] offset:256
	v_or_b32_e32 v1, 0x200, v0
	v_mov_b32_e32 v11, 0
	v_cmp_gt_u32_e64 s[0:1], s14, v1
	s_mov_b64 s[8:9], 0
	v_mov_b32_e32 v13, 0
	v_mov_b32_e32 v12, 0
	v_mov_b32_e32 v15, 0
	v_mov_b32_e32 v16, 0
	v_mov_b32_e32 v17, 0
	v_mov_b32_e32 v18, 0
	v_mov_b32_e32 v21, 0
	v_mov_b32_e32 v14, 0
	v_mov_b32_e32 v19, 0
	v_mov_b32_e32 v20, 0
	v_mov_b32_e32 v22, 0
	v_mov_b32_e32 v23, 0
	v_mov_b32_e32 v24, 0
	v_mov_b32_e32 v25, 0
	v_mov_b32_e32 v26, 0
	v_mov_b32_e32 v27, 0
	v_mov_b32_e32 v28, 0
	v_mov_b32_e32 v29, 0
	v_mov_b32_e32 v30, 0
	v_mov_b32_e32 v31, 0
	v_mov_b32_e32 v32, 0
	v_mov_b32_e32 v33, 0
	v_mov_b32_e32 v34, 0
	v_mov_b32_e32 v35, 0
	v_mov_b32_e32 v36, 0
	s_and_saveexec_b64 s[6:7], s[0:1]
	s_cbranch_execz .LBB376_35
; %bb.8:
	v_mov_b32_e32 v2, s19
	v_add_co_u32_e64 v1, s[0:1], s18, v3
	v_addc_co_u32_e64 v2, s[0:1], 0, v2, s[0:1]
	v_mov_b32_e32 v4, s21
	v_add_co_u32_e64 v3, s[0:1], s20, v3
	v_addc_co_u32_e64 v4, s[0:1], 0, v4, s[0:1]
	global_load_ubyte v13, v[1:2], off offset:512
	global_load_ubyte v11, v[3:4], off offset:512
	v_or_b32_e32 v12, 0x300, v0
	v_cmp_gt_u32_e64 s[0:1], s14, v12
	s_mov_b64 s[10:11], 0
	v_mov_b32_e32 v12, 0
	v_mov_b32_e32 v15, 0
	;; [unrolled: 1-line block ×24, first 2 shown]
	s_and_saveexec_b64 s[8:9], s[0:1]
	s_cbranch_execz .LBB376_34
; %bb.9:
	global_load_ubyte v15, v[1:2], off offset:768
	global_load_ubyte v12, v[3:4], off offset:768
	v_or_b32_e32 v14, 0x400, v0
	v_cmp_gt_u32_e64 s[0:1], s14, v14
	s_mov_b64 s[12:13], 0
	v_mov_b32_e32 v16, 0
	v_mov_b32_e32 v17, 0
	;; [unrolled: 1-line block ×22, first 2 shown]
	s_and_saveexec_b64 s[10:11], s[0:1]
	s_cbranch_execz .LBB376_33
; %bb.10:
	global_load_ubyte v17, v[1:2], off offset:1024
	global_load_ubyte v16, v[3:4], off offset:1024
	v_or_b32_e32 v14, 0x500, v0
	v_cmp_gt_u32_e64 s[0:1], s14, v14
	s_mov_b64 s[18:19], 0
	v_mov_b32_e32 v18, 0
	v_mov_b32_e32 v21, 0
	;; [unrolled: 1-line block ×20, first 2 shown]
	s_and_saveexec_b64 s[12:13], s[0:1]
	s_cbranch_execz .LBB376_32
; %bb.11:
	global_load_ubyte v21, v[1:2], off offset:1280
	global_load_ubyte v18, v[3:4], off offset:1280
	v_or_b32_e32 v14, 0x600, v0
	v_cmp_gt_u32_e64 s[0:1], s14, v14
	s_mov_b64 s[20:21], 0
	v_mov_b32_e32 v14, 0
	v_mov_b32_e32 v19, 0
	;; [unrolled: 1-line block ×18, first 2 shown]
	s_and_saveexec_b64 s[18:19], s[0:1]
	s_cbranch_execz .LBB376_31
; %bb.12:
	global_load_ubyte v19, v[1:2], off offset:1536
	global_load_ubyte v14, v[3:4], off offset:1536
	v_or_b32_e32 v20, 0x700, v0
	v_cmp_gt_u32_e64 s[0:1], s14, v20
	s_mov_b64 s[22:23], 0
	v_mov_b32_e32 v20, 0
	v_mov_b32_e32 v22, 0
	;; [unrolled: 1-line block ×16, first 2 shown]
	s_and_saveexec_b64 s[20:21], s[0:1]
	s_cbranch_execz .LBB376_30
; %bb.13:
	global_load_ubyte v22, v[1:2], off offset:1792
	global_load_ubyte v20, v[3:4], off offset:1792
	v_or_b32_e32 v23, 0x800, v0
	v_cmp_gt_u32_e64 s[0:1], s14, v23
	s_mov_b64 s[24:25], 0
	v_mov_b32_e32 v23, 0
	v_mov_b32_e32 v24, 0
	;; [unrolled: 1-line block ×14, first 2 shown]
	s_and_saveexec_b64 s[22:23], s[0:1]
	s_cbranch_execz .LBB376_29
; %bb.14:
	global_load_ubyte v24, v[1:2], off offset:2048
	global_load_ubyte v23, v[3:4], off offset:2048
	v_or_b32_e32 v25, 0x900, v0
	v_cmp_gt_u32_e64 s[0:1], s14, v25
	s_mov_b64 s[26:27], 0
	v_mov_b32_e32 v25, 0
	v_mov_b32_e32 v26, 0
	;; [unrolled: 1-line block ×12, first 2 shown]
	s_and_saveexec_b64 s[24:25], s[0:1]
	s_cbranch_execz .LBB376_28
; %bb.15:
	global_load_ubyte v26, v[1:2], off offset:2304
	global_load_ubyte v25, v[3:4], off offset:2304
	v_or_b32_e32 v27, 0xa00, v0
	v_cmp_gt_u32_e64 s[0:1], s14, v27
	s_mov_b64 s[28:29], 0
	v_mov_b32_e32 v27, 0
	v_mov_b32_e32 v28, 0
	;; [unrolled: 1-line block ×10, first 2 shown]
	s_and_saveexec_b64 s[26:27], s[0:1]
	s_cbranch_execz .LBB376_27
; %bb.16:
	global_load_ubyte v28, v[1:2], off offset:2560
	global_load_ubyte v27, v[3:4], off offset:2560
	v_or_b32_e32 v29, 0xb00, v0
	v_cmp_gt_u32_e64 s[0:1], s14, v29
	s_mov_b64 s[30:31], 0
	v_mov_b32_e32 v29, 0
	v_mov_b32_e32 v30, 0
	;; [unrolled: 1-line block ×8, first 2 shown]
	s_and_saveexec_b64 s[28:29], s[0:1]
	s_cbranch_execz .LBB376_26
; %bb.17:
	global_load_ubyte v30, v[1:2], off offset:2816
	global_load_ubyte v29, v[3:4], off offset:2816
	v_or_b32_e32 v31, 0xc00, v0
	v_cmp_gt_u32_e64 s[0:1], s14, v31
	s_mov_b64 s[34:35], 0
	v_mov_b32_e32 v31, 0
	v_mov_b32_e32 v32, 0
	;; [unrolled: 1-line block ×6, first 2 shown]
	s_and_saveexec_b64 s[30:31], s[0:1]
	s_cbranch_execz .LBB376_25
; %bb.18:
	global_load_ubyte v32, v[1:2], off offset:3072
	global_load_ubyte v31, v[3:4], off offset:3072
	v_or_b32_e32 v33, 0xd00, v0
	v_cmp_gt_u32_e64 s[0:1], s14, v33
	s_mov_b64 s[36:37], 0
	v_mov_b32_e32 v33, 0
	v_mov_b32_e32 v34, 0
	;; [unrolled: 1-line block ×4, first 2 shown]
	s_and_saveexec_b64 s[34:35], s[0:1]
	s_cbranch_execz .LBB376_24
; %bb.19:
	global_load_ubyte v34, v[1:2], off offset:3328
	global_load_ubyte v33, v[3:4], off offset:3328
	v_or_b32_e32 v35, 0xe00, v0
	v_cmp_gt_u32_e64 s[0:1], s14, v35
	s_mov_b64 s[38:39], 0
	v_mov_b32_e32 v35, 0
	v_mov_b32_e32 v36, 0
	s_and_saveexec_b64 s[36:37], s[0:1]
	s_cbranch_execz .LBB376_23
; %bb.20:
	global_load_ubyte v36, v[1:2], off offset:3584
	global_load_ubyte v35, v[3:4], off offset:3584
	v_or_b32_e32 v37, 0xf00, v0
	v_cmp_gt_u32_e64 s[0:1], s14, v37
	s_mov_b64 s[40:41], 0
	s_and_saveexec_b64 s[38:39], s[0:1]
	s_cbranch_execz .LBB376_22
; %bb.21:
	global_load_ubyte v37, v[1:2], off offset:3840
	global_load_ubyte v38, v[3:4], off offset:3840
	s_waitcnt vmcnt(0)
	v_cmp_ne_u16_e64 s[0:1], v37, v38
	s_and_b64 s[40:41], s[0:1], exec
.LBB376_22:
	s_or_b64 exec, exec, s[38:39]
	s_and_b64 s[38:39], s[40:41], exec
.LBB376_23:
	s_or_b64 exec, exec, s[36:37]
	s_and_b64 s[36:37], s[38:39], exec
.LBB376_24:
	s_or_b64 exec, exec, s[34:35]
	s_and_b64 s[34:35], s[36:37], exec
.LBB376_25:
	s_or_b64 exec, exec, s[30:31]
	s_and_b64 s[30:31], s[34:35], exec
.LBB376_26:
	s_or_b64 exec, exec, s[28:29]
	s_and_b64 s[28:29], s[30:31], exec
.LBB376_27:
	s_or_b64 exec, exec, s[26:27]
	s_and_b64 s[26:27], s[28:29], exec
.LBB376_28:
	s_or_b64 exec, exec, s[24:25]
	s_and_b64 s[24:25], s[26:27], exec
.LBB376_29:
	s_or_b64 exec, exec, s[22:23]
	s_and_b64 s[22:23], s[24:25], exec
.LBB376_30:
	s_or_b64 exec, exec, s[20:21]
	s_and_b64 s[20:21], s[22:23], exec
.LBB376_31:
	s_or_b64 exec, exec, s[18:19]
	s_and_b64 s[18:19], s[20:21], exec
.LBB376_32:
	s_or_b64 exec, exec, s[12:13]
	s_and_b64 s[12:13], s[18:19], exec
.LBB376_33:
	s_or_b64 exec, exec, s[10:11]
	s_and_b64 s[10:11], s[12:13], exec
.LBB376_34:
	s_or_b64 exec, exec, s[8:9]
	s_and_b64 s[8:9], s[10:11], exec
.LBB376_35:
	s_or_b64 exec, exec, s[6:7]
	s_and_b64 s[6:7], s[8:9], exec
.LBB376_36:
	s_or_b64 exec, exec, s[4:5]
	s_and_b64 s[4:5], s[6:7], exec
.LBB376_37:
	s_or_b64 exec, exec, s[2:3]
	s_cmp_eq_u32 s15, 0
	s_cselect_b64 s[2:3], -1, 0
	s_waitcnt vmcnt(0)
	v_cmp_ne_u16_sdwa s[0:1], v7, v8 src0_sel:BYTE_0 src1_sel:BYTE_0
	s_xor_b64 s[0:1], s[2:3], s[0:1]
	v_cndmask_b32_e64 v1, 0, 1, s[0:1]
	v_cmp_ne_u16_sdwa s[0:1], v10, v9 src0_sel:BYTE_0 src1_sel:BYTE_0
	s_xor_b64 s[0:1], s[2:3], s[0:1]
	v_cndmask_b32_e64 v2, 0, 1, s[0:1]
	v_cndmask_b32_e32 v1, 0, v1, vcc
	v_lshlrev_b16_e32 v2, 8, v2
	v_or_b32_e32 v2, v1, v2
	v_and_b32_e32 v2, 0xffff, v2
	v_cmp_gt_i32_e64 s[0:1], s14, v5
	v_cndmask_b32_e64 v1, v1, v2, s[0:1]
	v_cmp_ne_u16_sdwa s[0:1], v13, v11 src0_sel:BYTE_0 src1_sel:BYTE_0
	s_xor_b64 s[0:1], s[2:3], s[0:1]
	v_or_b32_e32 v2, 0x200, v0
	v_cndmask_b32_e64 v3, 0, 1, s[0:1]
	v_lshl_or_b32 v3, v3, 16, v1
	v_cmp_gt_i32_e64 s[0:1], s14, v2
	v_cndmask_b32_e64 v1, v1, v3, s[0:1]
	v_cmp_ne_u16_sdwa s[0:1], v15, v12 src0_sel:BYTE_0 src1_sel:BYTE_0
	s_xor_b64 s[0:1], s[2:3], s[0:1]
	s_movk_i32 s6, 0xff
	v_cndmask_b32_e64 v4, 0, 1, s[0:1]
	v_and_b32_sdwa v2, v1, s6 dst_sel:DWORD dst_unused:UNUSED_PAD src0_sel:WORD_1 src1_sel:DWORD
	v_lshlrev_b16_e32 v4, 8, v4
	s_mov_b32 s7, 0xffff
	v_or_b32_e32 v3, 0x300, v0
	v_or_b32_sdwa v2, v2, v4 dst_sel:WORD_1 dst_unused:UNUSED_PAD src0_sel:DWORD src1_sel:DWORD
	v_and_or_b32 v2, v1, s7, v2
	v_cmp_gt_i32_e64 s[0:1], s14, v3
	v_cndmask_b32_e64 v4, v1, v2, s[0:1]
	v_cmp_ne_u16_sdwa s[0:1], v17, v16 src0_sel:BYTE_0 src1_sel:BYTE_0
	s_xor_b64 s[0:1], s[2:3], s[0:1]
	v_cndmask_b32_e64 v1, 0, 1, s[0:1]
	v_or_b32_e32 v2, 0x400, v0
	v_and_b32_e32 v1, 0xffff, v1
	v_cmp_gt_i32_e64 s[0:1], s14, v2
	v_cndmask_b32_e64 v1, 0, v1, s[0:1]
	v_cmp_ne_u16_sdwa s[0:1], v21, v18 src0_sel:BYTE_0 src1_sel:BYTE_0
	s_xor_b64 s[0:1], s[2:3], s[0:1]
	v_cndmask_b32_e64 v3, 0, 1, s[0:1]
	v_lshlrev_b16_e32 v3, 8, v3
	v_or_b32_e32 v2, 0x500, v0
	v_or_b32_sdwa v3, v1, v3 dst_sel:DWORD dst_unused:UNUSED_PAD src0_sel:BYTE_0 src1_sel:DWORD
	v_and_b32_e32 v3, 0xffff, v3
	v_cmp_gt_i32_e64 s[0:1], s14, v2
	v_cndmask_b32_e64 v1, v1, v3, s[0:1]
	v_cmp_ne_u16_sdwa s[0:1], v19, v14 src0_sel:BYTE_0 src1_sel:BYTE_0
	s_movk_i32 s8, 0xff00
	s_xor_b64 s[0:1], s[2:3], s[0:1]
	v_and_b32_sdwa v2, v1, s8 dst_sel:DWORD dst_unused:UNUSED_PAD src0_sel:WORD_1 src1_sel:DWORD
	v_cndmask_b32_e64 v3, 0, 1, s[0:1]
	v_or_b32_sdwa v2, v3, v2 dst_sel:WORD_1 dst_unused:UNUSED_PAD src0_sel:DWORD src1_sel:DWORD
	v_or_b32_e32 v3, 0x600, v0
	v_and_or_b32 v2, v1, s7, v2
	v_cmp_gt_i32_e64 s[0:1], s14, v3
	v_cndmask_b32_e64 v1, v1, v2, s[0:1]
	v_cmp_ne_u16_sdwa s[0:1], v22, v20 src0_sel:BYTE_0 src1_sel:BYTE_0
	s_xor_b64 s[0:1], s[2:3], s[0:1]
	v_cndmask_b32_e64 v7, 0, 1, s[0:1]
	v_and_b32_sdwa v2, v1, s6 dst_sel:DWORD dst_unused:UNUSED_PAD src0_sel:WORD_1 src1_sel:DWORD
	v_lshlrev_b16_e32 v7, 8, v7
	v_or_b32_e32 v3, 0x700, v0
	v_or_b32_sdwa v2, v2, v7 dst_sel:WORD_1 dst_unused:UNUSED_PAD src0_sel:DWORD src1_sel:DWORD
	v_and_or_b32 v2, v1, s7, v2
	v_cmp_gt_i32_e64 s[0:1], s14, v3
	v_cndmask_b32_e64 v3, v1, v2, s[0:1]
	v_cmp_ne_u16_sdwa s[0:1], v24, v23 src0_sel:BYTE_0 src1_sel:BYTE_0
	v_or_b32_e32 v1, 0x800, v0
	s_xor_b64 s[0:1], s[2:3], s[0:1]
	v_cndmask_b32_e64 v2, 0, 1, s[0:1]
	v_cmp_gt_i32_e64 s[0:1], s14, v1
	v_cndmask_b32_e64 v1, 0, v2, s[0:1]
	v_cmp_ne_u16_sdwa s[0:1], v26, v25 src0_sel:BYTE_0 src1_sel:BYTE_0
	s_xor_b64 s[0:1], s[2:3], s[0:1]
	v_cndmask_b32_e64 v7, 0, 1, s[0:1]
	v_lshlrev_b16_e32 v7, 8, v7
	v_or_b32_e32 v2, 0x900, v0
	v_or_b32_e32 v7, v1, v7
	v_and_b32_e32 v7, 0xffff, v7
	v_cmp_gt_i32_e64 s[0:1], s14, v2
	v_cndmask_b32_e64 v1, v1, v7, s[0:1]
	v_cmp_ne_u16_sdwa s[0:1], v28, v27 src0_sel:BYTE_0 src1_sel:BYTE_0
	s_xor_b64 s[0:1], s[2:3], s[0:1]
	v_cndmask_b32_e64 v7, 0, 1, s[0:1]
	v_or_b32_e32 v2, 0xa00, v0
	v_lshlrev_b32_e32 v7, 16, v7
	s_movk_i32 s0, 0x1ff
	v_and_or_b32 v7, v1, s0, v7
	v_cmp_gt_i32_e64 s[0:1], s14, v2
	v_cndmask_b32_e64 v1, v1, v7, s[0:1]
	v_cmp_ne_u16_sdwa s[0:1], v30, v29 src0_sel:BYTE_0 src1_sel:BYTE_0
	s_xor_b64 s[0:1], s[2:3], s[0:1]
	v_cndmask_b32_e64 v8, 0, 1, s[0:1]
	v_and_b32_sdwa v2, v1, s6 dst_sel:DWORD dst_unused:UNUSED_PAD src0_sel:WORD_1 src1_sel:DWORD
	v_lshlrev_b16_e32 v8, 8, v8
	v_or_b32_e32 v7, 0xb00, v0
	v_or_b32_sdwa v2, v2, v8 dst_sel:WORD_1 dst_unused:UNUSED_PAD src0_sel:DWORD src1_sel:DWORD
	v_and_or_b32 v2, v1, s7, v2
	v_cmp_gt_i32_e64 s[0:1], s14, v7
	v_cndmask_b32_e64 v2, v1, v2, s[0:1]
	v_cmp_ne_u16_sdwa s[0:1], v32, v31 src0_sel:BYTE_0 src1_sel:BYTE_0
	v_or_b32_e32 v1, 0xc00, v0
	s_xor_b64 s[0:1], s[2:3], s[0:1]
	v_cndmask_b32_e64 v7, 0, 1, s[0:1]
	v_cmp_gt_i32_e64 s[0:1], s14, v1
	v_cndmask_b32_e64 v1, 0, v7, s[0:1]
	v_cmp_ne_u16_sdwa s[0:1], v34, v33 src0_sel:BYTE_0 src1_sel:BYTE_0
	s_xor_b64 s[0:1], s[2:3], s[0:1]
	v_cndmask_b32_e64 v8, 0, 1, s[0:1]
	v_lshlrev_b16_e32 v8, 8, v8
	v_or_b32_e32 v7, 0xd00, v0
	v_or_b32_sdwa v8, v1, v8 dst_sel:DWORD dst_unused:UNUSED_PAD src0_sel:BYTE_0 src1_sel:DWORD
	v_and_b32_e32 v8, 0xffff, v8
	v_cmp_gt_i32_e64 s[0:1], s14, v7
	v_cndmask_b32_e64 v1, v1, v8, s[0:1]
	v_cmp_ne_u16_sdwa s[0:1], v36, v35 src0_sel:BYTE_0 src1_sel:BYTE_0
	s_xor_b64 s[0:1], s[2:3], s[0:1]
	v_and_b32_sdwa v7, v1, s8 dst_sel:DWORD dst_unused:UNUSED_PAD src0_sel:WORD_1 src1_sel:DWORD
	v_cndmask_b32_e64 v8, 0, 1, s[0:1]
	v_or_b32_sdwa v7, v8, v7 dst_sel:WORD_1 dst_unused:UNUSED_PAD src0_sel:DWORD src1_sel:DWORD
	v_or_b32_e32 v8, 0xe00, v0
	v_and_or_b32 v7, v1, s7, v7
	v_cmp_gt_i32_e64 s[0:1], s14, v8
	v_cndmask_b32_e64 v1, v1, v7, s[0:1]
	s_xor_b64 s[0:1], s[2:3], s[4:5]
	v_cndmask_b32_e64 v9, 0, 1, s[0:1]
	v_and_b32_sdwa v7, v1, s6 dst_sel:DWORD dst_unused:UNUSED_PAD src0_sel:WORD_1 src1_sel:DWORD
	v_lshlrev_b16_e32 v9, 8, v9
	v_or_b32_e32 v8, 0xf00, v0
	v_or_b32_sdwa v7, v7, v9 dst_sel:WORD_1 dst_unused:UNUSED_PAD src0_sel:DWORD src1_sel:DWORD
	v_and_or_b32 v7, v1, s7, v7
	v_cmp_gt_i32_e64 s[0:1], s14, v8
	v_cndmask_b32_e64 v1, v1, v7, s[0:1]
	s_and_saveexec_b64 s[0:1], vcc
	s_cbranch_execnz .LBB376_55
; %bb.38:
	s_or_b64 exec, exec, s[0:1]
	v_cmp_gt_i32_e32 vcc, s14, v0
	s_and_saveexec_b64 s[0:1], vcc
	s_cbranch_execnz .LBB376_56
.LBB376_39:
	s_or_b64 exec, exec, s[0:1]
	v_cmp_gt_i32_e32 vcc, s14, v0
	s_and_saveexec_b64 s[0:1], vcc
	s_cbranch_execnz .LBB376_57
.LBB376_40:
	s_or_b64 exec, exec, s[0:1]
	v_cmp_gt_i32_e32 vcc, s14, v0
	s_and_saveexec_b64 s[0:1], vcc
	s_cbranch_execnz .LBB376_58
.LBB376_41:
	s_or_b64 exec, exec, s[0:1]
	v_cmp_gt_i32_e32 vcc, s14, v0
	s_and_saveexec_b64 s[0:1], vcc
	s_cbranch_execnz .LBB376_59
.LBB376_42:
	s_or_b64 exec, exec, s[0:1]
	v_cmp_gt_i32_e32 vcc, s14, v0
	s_and_saveexec_b64 s[0:1], vcc
	s_cbranch_execnz .LBB376_60
.LBB376_43:
	s_or_b64 exec, exec, s[0:1]
	v_cmp_gt_i32_e32 vcc, s14, v0
	s_and_saveexec_b64 s[0:1], vcc
	s_cbranch_execnz .LBB376_61
.LBB376_44:
	s_or_b64 exec, exec, s[0:1]
	v_cmp_gt_i32_e32 vcc, s14, v0
	s_and_saveexec_b64 s[0:1], vcc
	s_cbranch_execnz .LBB376_62
.LBB376_45:
	s_or_b64 exec, exec, s[0:1]
	v_cmp_gt_i32_e32 vcc, s14, v0
	s_and_saveexec_b64 s[0:1], vcc
	s_cbranch_execnz .LBB376_63
.LBB376_46:
	s_or_b64 exec, exec, s[0:1]
	v_cmp_gt_i32_e32 vcc, s14, v0
	s_and_saveexec_b64 s[0:1], vcc
	s_cbranch_execnz .LBB376_64
.LBB376_47:
	s_or_b64 exec, exec, s[0:1]
	v_cmp_gt_i32_e32 vcc, s14, v0
	s_and_saveexec_b64 s[0:1], vcc
	s_cbranch_execnz .LBB376_65
.LBB376_48:
	s_or_b64 exec, exec, s[0:1]
	v_cmp_gt_i32_e32 vcc, s14, v0
	s_and_saveexec_b64 s[0:1], vcc
	s_cbranch_execnz .LBB376_66
.LBB376_49:
	s_or_b64 exec, exec, s[0:1]
	v_cmp_gt_i32_e32 vcc, s14, v0
	s_and_saveexec_b64 s[0:1], vcc
	s_cbranch_execnz .LBB376_67
.LBB376_50:
	s_or_b64 exec, exec, s[0:1]
	v_cmp_gt_i32_e32 vcc, s14, v0
	s_and_saveexec_b64 s[0:1], vcc
	s_cbranch_execnz .LBB376_68
.LBB376_51:
	s_or_b64 exec, exec, s[0:1]
	v_cmp_gt_i32_e32 vcc, s14, v0
	s_and_saveexec_b64 s[0:1], vcc
	s_cbranch_execnz .LBB376_69
.LBB376_52:
	s_or_b64 exec, exec, s[0:1]
	v_cmp_gt_i32_e32 vcc, s14, v0
	s_and_saveexec_b64 s[0:1], vcc
	s_cbranch_execz .LBB376_54
.LBB376_53:
	v_lshrrev_b32_e32 v1, 24, v1
	v_add_u32_e32 v0, s33, v0
	global_store_byte v0, v1, s[16:17]
.LBB376_54:
	s_endpgm
.LBB376_55:
	v_mov_b32_e32 v0, v5
	global_store_byte v6, v4, s[16:17]
	s_or_b64 exec, exec, s[0:1]
	v_cmp_gt_i32_e32 vcc, s14, v0
	s_and_saveexec_b64 s[0:1], vcc
	s_cbranch_execz .LBB376_39
.LBB376_56:
	v_lshrrev_b32_e32 v5, 8, v4
	v_add_u32_e32 v6, s33, v0
	v_add_u32_e32 v0, 0x100, v0
	global_store_byte v6, v5, s[16:17]
	s_or_b64 exec, exec, s[0:1]
	v_cmp_gt_i32_e32 vcc, s14, v0
	s_and_saveexec_b64 s[0:1], vcc
	s_cbranch_execz .LBB376_40
.LBB376_57:
	v_add_u32_e32 v5, s33, v0
	v_add_u32_e32 v0, 0x100, v0
	global_store_byte_d16_hi v5, v4, s[16:17]
	s_or_b64 exec, exec, s[0:1]
	v_cmp_gt_i32_e32 vcc, s14, v0
	s_and_saveexec_b64 s[0:1], vcc
	s_cbranch_execz .LBB376_41
.LBB376_58:
	v_lshrrev_b32_e32 v4, 24, v4
	v_add_u32_e32 v5, s33, v0
	v_add_u32_e32 v0, 0x100, v0
	global_store_byte v5, v4, s[16:17]
	s_or_b64 exec, exec, s[0:1]
	v_cmp_gt_i32_e32 vcc, s14, v0
	s_and_saveexec_b64 s[0:1], vcc
	s_cbranch_execz .LBB376_42
.LBB376_59:
	v_add_u32_e32 v4, s33, v0
	v_add_u32_e32 v0, 0x100, v0
	global_store_byte v4, v3, s[16:17]
	s_or_b64 exec, exec, s[0:1]
	v_cmp_gt_i32_e32 vcc, s14, v0
	s_and_saveexec_b64 s[0:1], vcc
	s_cbranch_execz .LBB376_43
.LBB376_60:
	v_lshrrev_b32_e32 v4, 8, v3
	v_add_u32_e32 v5, s33, v0
	v_add_u32_e32 v0, 0x100, v0
	global_store_byte v5, v4, s[16:17]
	s_or_b64 exec, exec, s[0:1]
	v_cmp_gt_i32_e32 vcc, s14, v0
	s_and_saveexec_b64 s[0:1], vcc
	s_cbranch_execz .LBB376_44
.LBB376_61:
	v_add_u32_e32 v4, s33, v0
	v_add_u32_e32 v0, 0x100, v0
	global_store_byte_d16_hi v4, v3, s[16:17]
	s_or_b64 exec, exec, s[0:1]
	v_cmp_gt_i32_e32 vcc, s14, v0
	s_and_saveexec_b64 s[0:1], vcc
	s_cbranch_execz .LBB376_45
.LBB376_62:
	v_lshrrev_b32_e32 v3, 24, v3
	v_add_u32_e32 v4, s33, v0
	v_add_u32_e32 v0, 0x100, v0
	global_store_byte v4, v3, s[16:17]
	s_or_b64 exec, exec, s[0:1]
	v_cmp_gt_i32_e32 vcc, s14, v0
	s_and_saveexec_b64 s[0:1], vcc
	s_cbranch_execz .LBB376_46
.LBB376_63:
	v_add_u32_e32 v3, s33, v0
	v_add_u32_e32 v0, 0x100, v0
	global_store_byte v3, v2, s[16:17]
	s_or_b64 exec, exec, s[0:1]
	v_cmp_gt_i32_e32 vcc, s14, v0
	s_and_saveexec_b64 s[0:1], vcc
	s_cbranch_execz .LBB376_47
.LBB376_64:
	v_lshrrev_b32_e32 v3, 8, v2
	v_add_u32_e32 v4, s33, v0
	v_add_u32_e32 v0, 0x100, v0
	global_store_byte v4, v3, s[16:17]
	s_or_b64 exec, exec, s[0:1]
	v_cmp_gt_i32_e32 vcc, s14, v0
	s_and_saveexec_b64 s[0:1], vcc
	s_cbranch_execz .LBB376_48
.LBB376_65:
	v_add_u32_e32 v3, s33, v0
	v_add_u32_e32 v0, 0x100, v0
	global_store_byte_d16_hi v3, v2, s[16:17]
	s_or_b64 exec, exec, s[0:1]
	v_cmp_gt_i32_e32 vcc, s14, v0
	s_and_saveexec_b64 s[0:1], vcc
	s_cbranch_execz .LBB376_49
.LBB376_66:
	v_lshrrev_b32_e32 v2, 24, v2
	v_add_u32_e32 v3, s33, v0
	v_add_u32_e32 v0, 0x100, v0
	global_store_byte v3, v2, s[16:17]
	s_or_b64 exec, exec, s[0:1]
	v_cmp_gt_i32_e32 vcc, s14, v0
	s_and_saveexec_b64 s[0:1], vcc
	s_cbranch_execz .LBB376_50
.LBB376_67:
	v_add_u32_e32 v2, s33, v0
	v_add_u32_e32 v0, 0x100, v0
	global_store_byte v2, v1, s[16:17]
	s_or_b64 exec, exec, s[0:1]
	v_cmp_gt_i32_e32 vcc, s14, v0
	s_and_saveexec_b64 s[0:1], vcc
	s_cbranch_execz .LBB376_51
.LBB376_68:
	v_lshrrev_b32_e32 v2, 8, v1
	v_add_u32_e32 v3, s33, v0
	v_add_u32_e32 v0, 0x100, v0
	global_store_byte v3, v2, s[16:17]
	s_or_b64 exec, exec, s[0:1]
	v_cmp_gt_i32_e32 vcc, s14, v0
	s_and_saveexec_b64 s[0:1], vcc
	s_cbranch_execz .LBB376_52
.LBB376_69:
	v_add_u32_e32 v2, s33, v0
	v_add_u32_e32 v0, 0x100, v0
	global_store_byte_d16_hi v2, v1, s[16:17]
	s_or_b64 exec, exec, s[0:1]
	v_cmp_gt_i32_e32 vcc, s14, v0
	s_and_saveexec_b64 s[0:1], vcc
	s_cbranch_execnz .LBB376_53
	s_branch .LBB376_54
	.section	.rodata,"a",@progbits
	.p2align	6, 0x0
	.amdhsa_kernel _ZN2at6native29vectorized_elementwise_kernelILi2ENS0_13BinaryFunctorIN3c1016Float4_e2m1fn_x2ES4_bNS0_12_GLOBAL__N_116CompareEqFunctorIS4_EEEESt5arrayIPcLm3EEEEviT0_T1_
		.amdhsa_group_segment_fixed_size 0
		.amdhsa_private_segment_fixed_size 0
		.amdhsa_kernarg_size 32
		.amdhsa_user_sgpr_count 6
		.amdhsa_user_sgpr_private_segment_buffer 1
		.amdhsa_user_sgpr_dispatch_ptr 0
		.amdhsa_user_sgpr_queue_ptr 0
		.amdhsa_user_sgpr_kernarg_segment_ptr 1
		.amdhsa_user_sgpr_dispatch_id 0
		.amdhsa_user_sgpr_flat_scratch_init 0
		.amdhsa_user_sgpr_private_segment_size 0
		.amdhsa_uses_dynamic_stack 0
		.amdhsa_system_sgpr_private_segment_wavefront_offset 0
		.amdhsa_system_sgpr_workgroup_id_x 1
		.amdhsa_system_sgpr_workgroup_id_y 0
		.amdhsa_system_sgpr_workgroup_id_z 0
		.amdhsa_system_sgpr_workgroup_info 0
		.amdhsa_system_vgpr_workitem_id 0
		.amdhsa_next_free_vgpr 39
		.amdhsa_next_free_sgpr 42
		.amdhsa_reserve_vcc 1
		.amdhsa_reserve_flat_scratch 0
		.amdhsa_float_round_mode_32 0
		.amdhsa_float_round_mode_16_64 0
		.amdhsa_float_denorm_mode_32 3
		.amdhsa_float_denorm_mode_16_64 3
		.amdhsa_dx10_clamp 1
		.amdhsa_ieee_mode 1
		.amdhsa_fp16_overflow 0
		.amdhsa_exception_fp_ieee_invalid_op 0
		.amdhsa_exception_fp_denorm_src 0
		.amdhsa_exception_fp_ieee_div_zero 0
		.amdhsa_exception_fp_ieee_overflow 0
		.amdhsa_exception_fp_ieee_underflow 0
		.amdhsa_exception_fp_ieee_inexact 0
		.amdhsa_exception_int_div_zero 0
	.end_amdhsa_kernel
	.section	.text._ZN2at6native29vectorized_elementwise_kernelILi2ENS0_13BinaryFunctorIN3c1016Float4_e2m1fn_x2ES4_bNS0_12_GLOBAL__N_116CompareEqFunctorIS4_EEEESt5arrayIPcLm3EEEEviT0_T1_,"axG",@progbits,_ZN2at6native29vectorized_elementwise_kernelILi2ENS0_13BinaryFunctorIN3c1016Float4_e2m1fn_x2ES4_bNS0_12_GLOBAL__N_116CompareEqFunctorIS4_EEEESt5arrayIPcLm3EEEEviT0_T1_,comdat
.Lfunc_end376:
	.size	_ZN2at6native29vectorized_elementwise_kernelILi2ENS0_13BinaryFunctorIN3c1016Float4_e2m1fn_x2ES4_bNS0_12_GLOBAL__N_116CompareEqFunctorIS4_EEEESt5arrayIPcLm3EEEEviT0_T1_, .Lfunc_end376-_ZN2at6native29vectorized_elementwise_kernelILi2ENS0_13BinaryFunctorIN3c1016Float4_e2m1fn_x2ES4_bNS0_12_GLOBAL__N_116CompareEqFunctorIS4_EEEESt5arrayIPcLm3EEEEviT0_T1_
                                        ; -- End function
	.set _ZN2at6native29vectorized_elementwise_kernelILi2ENS0_13BinaryFunctorIN3c1016Float4_e2m1fn_x2ES4_bNS0_12_GLOBAL__N_116CompareEqFunctorIS4_EEEESt5arrayIPcLm3EEEEviT0_T1_.num_vgpr, 39
	.set _ZN2at6native29vectorized_elementwise_kernelILi2ENS0_13BinaryFunctorIN3c1016Float4_e2m1fn_x2ES4_bNS0_12_GLOBAL__N_116CompareEqFunctorIS4_EEEESt5arrayIPcLm3EEEEviT0_T1_.num_agpr, 0
	.set _ZN2at6native29vectorized_elementwise_kernelILi2ENS0_13BinaryFunctorIN3c1016Float4_e2m1fn_x2ES4_bNS0_12_GLOBAL__N_116CompareEqFunctorIS4_EEEESt5arrayIPcLm3EEEEviT0_T1_.numbered_sgpr, 42
	.set _ZN2at6native29vectorized_elementwise_kernelILi2ENS0_13BinaryFunctorIN3c1016Float4_e2m1fn_x2ES4_bNS0_12_GLOBAL__N_116CompareEqFunctorIS4_EEEESt5arrayIPcLm3EEEEviT0_T1_.num_named_barrier, 0
	.set _ZN2at6native29vectorized_elementwise_kernelILi2ENS0_13BinaryFunctorIN3c1016Float4_e2m1fn_x2ES4_bNS0_12_GLOBAL__N_116CompareEqFunctorIS4_EEEESt5arrayIPcLm3EEEEviT0_T1_.private_seg_size, 0
	.set _ZN2at6native29vectorized_elementwise_kernelILi2ENS0_13BinaryFunctorIN3c1016Float4_e2m1fn_x2ES4_bNS0_12_GLOBAL__N_116CompareEqFunctorIS4_EEEESt5arrayIPcLm3EEEEviT0_T1_.uses_vcc, 1
	.set _ZN2at6native29vectorized_elementwise_kernelILi2ENS0_13BinaryFunctorIN3c1016Float4_e2m1fn_x2ES4_bNS0_12_GLOBAL__N_116CompareEqFunctorIS4_EEEESt5arrayIPcLm3EEEEviT0_T1_.uses_flat_scratch, 0
	.set _ZN2at6native29vectorized_elementwise_kernelILi2ENS0_13BinaryFunctorIN3c1016Float4_e2m1fn_x2ES4_bNS0_12_GLOBAL__N_116CompareEqFunctorIS4_EEEESt5arrayIPcLm3EEEEviT0_T1_.has_dyn_sized_stack, 0
	.set _ZN2at6native29vectorized_elementwise_kernelILi2ENS0_13BinaryFunctorIN3c1016Float4_e2m1fn_x2ES4_bNS0_12_GLOBAL__N_116CompareEqFunctorIS4_EEEESt5arrayIPcLm3EEEEviT0_T1_.has_recursion, 0
	.set _ZN2at6native29vectorized_elementwise_kernelILi2ENS0_13BinaryFunctorIN3c1016Float4_e2m1fn_x2ES4_bNS0_12_GLOBAL__N_116CompareEqFunctorIS4_EEEESt5arrayIPcLm3EEEEviT0_T1_.has_indirect_call, 0
	.section	.AMDGPU.csdata,"",@progbits
; Kernel info:
; codeLenInByte = 4400
; TotalNumSgprs: 46
; NumVgprs: 39
; ScratchSize: 0
; MemoryBound: 0
; FloatMode: 240
; IeeeMode: 1
; LDSByteSize: 0 bytes/workgroup (compile time only)
; SGPRBlocks: 5
; VGPRBlocks: 9
; NumSGPRsForWavesPerEU: 46
; NumVGPRsForWavesPerEU: 39
; Occupancy: 6
; WaveLimiterHint : 1
; COMPUTE_PGM_RSRC2:SCRATCH_EN: 0
; COMPUTE_PGM_RSRC2:USER_SGPR: 6
; COMPUTE_PGM_RSRC2:TRAP_HANDLER: 0
; COMPUTE_PGM_RSRC2:TGID_X_EN: 1
; COMPUTE_PGM_RSRC2:TGID_Y_EN: 0
; COMPUTE_PGM_RSRC2:TGID_Z_EN: 0
; COMPUTE_PGM_RSRC2:TIDIG_COMP_CNT: 0
	.section	.text._ZN2at6native27unrolled_elementwise_kernelINS0_13BinaryFunctorIN3c1016Float4_e2m1fn_x2ES4_bNS0_12_GLOBAL__N_116CompareEqFunctorIS4_EEEESt5arrayIPcLm3EELi4E23TrivialOffsetCalculatorILi2EjESC_ILi1EjENS0_6memory15LoadWithoutCastENSF_16StoreWithoutCastEEEviT_T0_T2_T3_T4_T5_,"axG",@progbits,_ZN2at6native27unrolled_elementwise_kernelINS0_13BinaryFunctorIN3c1016Float4_e2m1fn_x2ES4_bNS0_12_GLOBAL__N_116CompareEqFunctorIS4_EEEESt5arrayIPcLm3EELi4E23TrivialOffsetCalculatorILi2EjESC_ILi1EjENS0_6memory15LoadWithoutCastENSF_16StoreWithoutCastEEEviT_T0_T2_T3_T4_T5_,comdat
	.globl	_ZN2at6native27unrolled_elementwise_kernelINS0_13BinaryFunctorIN3c1016Float4_e2m1fn_x2ES4_bNS0_12_GLOBAL__N_116CompareEqFunctorIS4_EEEESt5arrayIPcLm3EELi4E23TrivialOffsetCalculatorILi2EjESC_ILi1EjENS0_6memory15LoadWithoutCastENSF_16StoreWithoutCastEEEviT_T0_T2_T3_T4_T5_ ; -- Begin function _ZN2at6native27unrolled_elementwise_kernelINS0_13BinaryFunctorIN3c1016Float4_e2m1fn_x2ES4_bNS0_12_GLOBAL__N_116CompareEqFunctorIS4_EEEESt5arrayIPcLm3EELi4E23TrivialOffsetCalculatorILi2EjESC_ILi1EjENS0_6memory15LoadWithoutCastENSF_16StoreWithoutCastEEEviT_T0_T2_T3_T4_T5_
	.p2align	8
	.type	_ZN2at6native27unrolled_elementwise_kernelINS0_13BinaryFunctorIN3c1016Float4_e2m1fn_x2ES4_bNS0_12_GLOBAL__N_116CompareEqFunctorIS4_EEEESt5arrayIPcLm3EELi4E23TrivialOffsetCalculatorILi2EjESC_ILi1EjENS0_6memory15LoadWithoutCastENSF_16StoreWithoutCastEEEviT_T0_T2_T3_T4_T5_,@function
_ZN2at6native27unrolled_elementwise_kernelINS0_13BinaryFunctorIN3c1016Float4_e2m1fn_x2ES4_bNS0_12_GLOBAL__N_116CompareEqFunctorIS4_EEEESt5arrayIPcLm3EELi4E23TrivialOffsetCalculatorILi2EjESC_ILi1EjENS0_6memory15LoadWithoutCastENSF_16StoreWithoutCastEEEviT_T0_T2_T3_T4_T5_: ; @_ZN2at6native27unrolled_elementwise_kernelINS0_13BinaryFunctorIN3c1016Float4_e2m1fn_x2ES4_bNS0_12_GLOBAL__N_116CompareEqFunctorIS4_EEEESt5arrayIPcLm3EELi4E23TrivialOffsetCalculatorILi2EjESC_ILi1EjENS0_6memory15LoadWithoutCastENSF_16StoreWithoutCastEEEviT_T0_T2_T3_T4_T5_
; %bb.0:
	s_load_dwordx2 s[2:3], s[4:5], 0x0
	s_load_dwordx4 s[8:11], s[4:5], 0x8
	s_load_dwordx2 s[12:13], s[4:5], 0x18
	s_lshl_b32 s20, s6, 10
                                        ; implicit-def: $vgpr1
	s_waitcnt lgkmcnt(0)
	s_sub_i32 s2, s2, s20
	v_cmp_gt_i32_e32 vcc, s2, v0
	v_cmp_le_i32_e64 s[0:1], s2, v0
	s_and_saveexec_b64 s[4:5], s[0:1]
	s_xor_b64 s[0:1], exec, s[4:5]
; %bb.1:
	v_or_b32_e32 v1, 0x100, v0
; %bb.2:
	s_or_saveexec_b64 s[4:5], s[0:1]
	v_mov_b32_e32 v3, 0
	s_mov_b64 s[6:7], 0
	v_or_b32_e32 v2, s20, v0
	v_mov_b32_e32 v5, 0
	v_mov_b32_e32 v7, 0
	;; [unrolled: 1-line block ×5, first 2 shown]
	s_xor_b64 exec, exec, s[4:5]
	s_cbranch_execz .LBB377_10
; %bb.3:
	global_load_ubyte v4, v2, s[10:11]
	global_load_ubyte v8, v2, s[12:13]
	v_or_b32_e32 v1, 0x100, v0
	v_cmp_gt_u32_e64 s[0:1], s2, v1
	s_mov_b64 s[14:15], 0
	v_mov_b32_e32 v6, 0
	v_mov_b32_e32 v7, 0
	;; [unrolled: 1-line block ×4, first 2 shown]
	s_and_saveexec_b64 s[6:7], s[0:1]
	s_cbranch_execz .LBB377_9
; %bb.4:
	v_add_u32_e32 v3, s20, v1
	global_load_ubyte v7, v3, s[10:11]
	global_load_ubyte v6, v3, s[12:13]
	v_or_b32_e32 v9, 0x200, v0
	v_cmp_gt_u32_e64 s[0:1], s2, v9
	s_mov_b64 s[16:17], 0
	v_mov_b32_e32 v5, 0
	v_mov_b32_e32 v3, 0
	s_and_saveexec_b64 s[14:15], s[0:1]
	s_cbranch_execz .LBB377_8
; %bb.5:
	v_add_u32_e32 v9, s20, v9
	global_load_ubyte v3, v9, s[10:11]
	global_load_ubyte v5, v9, s[12:13]
	v_or_b32_e32 v9, 0x300, v0
	v_cmp_gt_u32_e64 s[0:1], s2, v9
	s_mov_b64 s[18:19], 0
	s_and_saveexec_b64 s[16:17], s[0:1]
	s_cbranch_execz .LBB377_7
; %bb.6:
	v_add_u32_e32 v9, s20, v9
	global_load_ubyte v10, v9, s[10:11]
	global_load_ubyte v11, v9, s[12:13]
	s_waitcnt vmcnt(0)
	v_cmp_ne_u16_e64 s[0:1], v10, v11
	s_and_b64 s[18:19], s[0:1], exec
.LBB377_7:
	s_or_b64 exec, exec, s[16:17]
	s_and_b64 s[16:17], s[18:19], exec
.LBB377_8:
	s_or_b64 exec, exec, s[14:15]
	s_and_b64 s[14:15], s[16:17], exec
.LBB377_9:
	s_or_b64 exec, exec, s[6:7]
	s_and_b64 s[6:7], s[14:15], exec
.LBB377_10:
	s_or_b64 exec, exec, s[4:5]
	s_cmp_eq_u32 s3, 0
	s_cselect_b64 s[4:5], -1, 0
	s_waitcnt vmcnt(0)
	v_cmp_ne_u16_sdwa s[0:1], v4, v8 src0_sel:BYTE_0 src1_sel:BYTE_0
	s_xor_b64 s[0:1], s[4:5], s[0:1]
	v_cndmask_b32_e64 v4, 0, 1, s[0:1]
	v_cmp_ne_u16_sdwa s[0:1], v7, v6 src0_sel:BYTE_0 src1_sel:BYTE_0
	s_xor_b64 s[0:1], s[4:5], s[0:1]
	v_cndmask_b32_e64 v6, 0, 1, s[0:1]
	v_cndmask_b32_e32 v4, 0, v4, vcc
	v_lshlrev_b16_e32 v6, 8, v6
	v_or_b32_e32 v6, v4, v6
	v_and_b32_e32 v6, 0xffff, v6
	v_cmp_gt_i32_e64 s[0:1], s2, v1
	v_cndmask_b32_e64 v4, v4, v6, s[0:1]
	v_cmp_ne_u16_sdwa s[0:1], v3, v5 src0_sel:BYTE_0 src1_sel:BYTE_0
	s_xor_b64 s[0:1], s[4:5], s[0:1]
	v_cndmask_b32_e64 v3, 0, 1, s[0:1]
	v_or_b32_e32 v6, 0x200, v0
	v_lshlrev_b32_e32 v3, 16, v3
	v_or_b32_e32 v3, v4, v3
	v_cmp_gt_i32_e64 s[0:1], s2, v6
	v_cndmask_b32_e64 v3, v4, v3, s[0:1]
	s_xor_b64 s[0:1], s[4:5], s[6:7]
	s_movk_i32 s3, 0xff
	v_cndmask_b32_e64 v6, 0, 1, s[0:1]
	v_and_b32_sdwa v4, v3, s3 dst_sel:DWORD dst_unused:UNUSED_PAD src0_sel:WORD_1 src1_sel:DWORD
	v_lshlrev_b16_e32 v6, 8, v6
	s_mov_b32 s10, 0xffff
	v_or_b32_e32 v5, 0x300, v0
	v_or_b32_sdwa v4, v4, v6 dst_sel:WORD_1 dst_unused:UNUSED_PAD src0_sel:DWORD src1_sel:DWORD
	v_and_or_b32 v4, v3, s10, v4
	v_cmp_gt_i32_e64 s[0:1], s2, v5
	v_cndmask_b32_e64 v3, v3, v4, s[0:1]
	s_and_saveexec_b64 s[0:1], vcc
	s_cbranch_execnz .LBB377_15
; %bb.11:
	s_or_b64 exec, exec, s[0:1]
	v_cmp_gt_i32_e32 vcc, s2, v0
	s_and_saveexec_b64 s[0:1], vcc
	s_cbranch_execnz .LBB377_16
.LBB377_12:
	s_or_b64 exec, exec, s[0:1]
	v_cmp_gt_i32_e32 vcc, s2, v0
	s_and_saveexec_b64 s[0:1], vcc
	s_cbranch_execnz .LBB377_17
.LBB377_13:
	s_or_b64 exec, exec, s[0:1]
	v_cmp_gt_i32_e32 vcc, s2, v0
	s_and_saveexec_b64 s[0:1], vcc
	s_cbranch_execnz .LBB377_18
.LBB377_14:
	s_endpgm
.LBB377_15:
	v_mov_b32_e32 v0, v1
	global_store_byte v2, v3, s[8:9]
	s_or_b64 exec, exec, s[0:1]
	v_cmp_gt_i32_e32 vcc, s2, v0
	s_and_saveexec_b64 s[0:1], vcc
	s_cbranch_execz .LBB377_12
.LBB377_16:
	v_add_u32_e32 v1, 0x100, v0
	v_add_u32_e32 v0, s20, v0
	v_lshrrev_b32_e32 v2, 8, v3
	global_store_byte v0, v2, s[8:9]
	v_mov_b32_e32 v0, v1
	s_or_b64 exec, exec, s[0:1]
	v_cmp_gt_i32_e32 vcc, s2, v0
	s_and_saveexec_b64 s[0:1], vcc
	s_cbranch_execz .LBB377_13
.LBB377_17:
	v_add_u32_e32 v1, 0x100, v0
	v_add_u32_e32 v0, s20, v0
	global_store_byte_d16_hi v0, v3, s[8:9]
	v_mov_b32_e32 v0, v1
	s_or_b64 exec, exec, s[0:1]
	v_cmp_gt_i32_e32 vcc, s2, v0
	s_and_saveexec_b64 s[0:1], vcc
	s_cbranch_execz .LBB377_14
.LBB377_18:
	v_add_u32_e32 v0, s20, v0
	v_lshrrev_b32_e32 v1, 24, v3
	global_store_byte v0, v1, s[8:9]
	s_endpgm
	.section	.rodata,"a",@progbits
	.p2align	6, 0x0
	.amdhsa_kernel _ZN2at6native27unrolled_elementwise_kernelINS0_13BinaryFunctorIN3c1016Float4_e2m1fn_x2ES4_bNS0_12_GLOBAL__N_116CompareEqFunctorIS4_EEEESt5arrayIPcLm3EELi4E23TrivialOffsetCalculatorILi2EjESC_ILi1EjENS0_6memory15LoadWithoutCastENSF_16StoreWithoutCastEEEviT_T0_T2_T3_T4_T5_
		.amdhsa_group_segment_fixed_size 0
		.amdhsa_private_segment_fixed_size 0
		.amdhsa_kernarg_size 36
		.amdhsa_user_sgpr_count 6
		.amdhsa_user_sgpr_private_segment_buffer 1
		.amdhsa_user_sgpr_dispatch_ptr 0
		.amdhsa_user_sgpr_queue_ptr 0
		.amdhsa_user_sgpr_kernarg_segment_ptr 1
		.amdhsa_user_sgpr_dispatch_id 0
		.amdhsa_user_sgpr_flat_scratch_init 0
		.amdhsa_user_sgpr_private_segment_size 0
		.amdhsa_uses_dynamic_stack 0
		.amdhsa_system_sgpr_private_segment_wavefront_offset 0
		.amdhsa_system_sgpr_workgroup_id_x 1
		.amdhsa_system_sgpr_workgroup_id_y 0
		.amdhsa_system_sgpr_workgroup_id_z 0
		.amdhsa_system_sgpr_workgroup_info 0
		.amdhsa_system_vgpr_workitem_id 0
		.amdhsa_next_free_vgpr 12
		.amdhsa_next_free_sgpr 21
		.amdhsa_reserve_vcc 1
		.amdhsa_reserve_flat_scratch 0
		.amdhsa_float_round_mode_32 0
		.amdhsa_float_round_mode_16_64 0
		.amdhsa_float_denorm_mode_32 3
		.amdhsa_float_denorm_mode_16_64 3
		.amdhsa_dx10_clamp 1
		.amdhsa_ieee_mode 1
		.amdhsa_fp16_overflow 0
		.amdhsa_exception_fp_ieee_invalid_op 0
		.amdhsa_exception_fp_denorm_src 0
		.amdhsa_exception_fp_ieee_div_zero 0
		.amdhsa_exception_fp_ieee_overflow 0
		.amdhsa_exception_fp_ieee_underflow 0
		.amdhsa_exception_fp_ieee_inexact 0
		.amdhsa_exception_int_div_zero 0
	.end_amdhsa_kernel
	.section	.text._ZN2at6native27unrolled_elementwise_kernelINS0_13BinaryFunctorIN3c1016Float4_e2m1fn_x2ES4_bNS0_12_GLOBAL__N_116CompareEqFunctorIS4_EEEESt5arrayIPcLm3EELi4E23TrivialOffsetCalculatorILi2EjESC_ILi1EjENS0_6memory15LoadWithoutCastENSF_16StoreWithoutCastEEEviT_T0_T2_T3_T4_T5_,"axG",@progbits,_ZN2at6native27unrolled_elementwise_kernelINS0_13BinaryFunctorIN3c1016Float4_e2m1fn_x2ES4_bNS0_12_GLOBAL__N_116CompareEqFunctorIS4_EEEESt5arrayIPcLm3EELi4E23TrivialOffsetCalculatorILi2EjESC_ILi1EjENS0_6memory15LoadWithoutCastENSF_16StoreWithoutCastEEEviT_T0_T2_T3_T4_T5_,comdat
.Lfunc_end377:
	.size	_ZN2at6native27unrolled_elementwise_kernelINS0_13BinaryFunctorIN3c1016Float4_e2m1fn_x2ES4_bNS0_12_GLOBAL__N_116CompareEqFunctorIS4_EEEESt5arrayIPcLm3EELi4E23TrivialOffsetCalculatorILi2EjESC_ILi1EjENS0_6memory15LoadWithoutCastENSF_16StoreWithoutCastEEEviT_T0_T2_T3_T4_T5_, .Lfunc_end377-_ZN2at6native27unrolled_elementwise_kernelINS0_13BinaryFunctorIN3c1016Float4_e2m1fn_x2ES4_bNS0_12_GLOBAL__N_116CompareEqFunctorIS4_EEEESt5arrayIPcLm3EELi4E23TrivialOffsetCalculatorILi2EjESC_ILi1EjENS0_6memory15LoadWithoutCastENSF_16StoreWithoutCastEEEviT_T0_T2_T3_T4_T5_
                                        ; -- End function
	.set _ZN2at6native27unrolled_elementwise_kernelINS0_13BinaryFunctorIN3c1016Float4_e2m1fn_x2ES4_bNS0_12_GLOBAL__N_116CompareEqFunctorIS4_EEEESt5arrayIPcLm3EELi4E23TrivialOffsetCalculatorILi2EjESC_ILi1EjENS0_6memory15LoadWithoutCastENSF_16StoreWithoutCastEEEviT_T0_T2_T3_T4_T5_.num_vgpr, 12
	.set _ZN2at6native27unrolled_elementwise_kernelINS0_13BinaryFunctorIN3c1016Float4_e2m1fn_x2ES4_bNS0_12_GLOBAL__N_116CompareEqFunctorIS4_EEEESt5arrayIPcLm3EELi4E23TrivialOffsetCalculatorILi2EjESC_ILi1EjENS0_6memory15LoadWithoutCastENSF_16StoreWithoutCastEEEviT_T0_T2_T3_T4_T5_.num_agpr, 0
	.set _ZN2at6native27unrolled_elementwise_kernelINS0_13BinaryFunctorIN3c1016Float4_e2m1fn_x2ES4_bNS0_12_GLOBAL__N_116CompareEqFunctorIS4_EEEESt5arrayIPcLm3EELi4E23TrivialOffsetCalculatorILi2EjESC_ILi1EjENS0_6memory15LoadWithoutCastENSF_16StoreWithoutCastEEEviT_T0_T2_T3_T4_T5_.numbered_sgpr, 21
	.set _ZN2at6native27unrolled_elementwise_kernelINS0_13BinaryFunctorIN3c1016Float4_e2m1fn_x2ES4_bNS0_12_GLOBAL__N_116CompareEqFunctorIS4_EEEESt5arrayIPcLm3EELi4E23TrivialOffsetCalculatorILi2EjESC_ILi1EjENS0_6memory15LoadWithoutCastENSF_16StoreWithoutCastEEEviT_T0_T2_T3_T4_T5_.num_named_barrier, 0
	.set _ZN2at6native27unrolled_elementwise_kernelINS0_13BinaryFunctorIN3c1016Float4_e2m1fn_x2ES4_bNS0_12_GLOBAL__N_116CompareEqFunctorIS4_EEEESt5arrayIPcLm3EELi4E23TrivialOffsetCalculatorILi2EjESC_ILi1EjENS0_6memory15LoadWithoutCastENSF_16StoreWithoutCastEEEviT_T0_T2_T3_T4_T5_.private_seg_size, 0
	.set _ZN2at6native27unrolled_elementwise_kernelINS0_13BinaryFunctorIN3c1016Float4_e2m1fn_x2ES4_bNS0_12_GLOBAL__N_116CompareEqFunctorIS4_EEEESt5arrayIPcLm3EELi4E23TrivialOffsetCalculatorILi2EjESC_ILi1EjENS0_6memory15LoadWithoutCastENSF_16StoreWithoutCastEEEviT_T0_T2_T3_T4_T5_.uses_vcc, 1
	.set _ZN2at6native27unrolled_elementwise_kernelINS0_13BinaryFunctorIN3c1016Float4_e2m1fn_x2ES4_bNS0_12_GLOBAL__N_116CompareEqFunctorIS4_EEEESt5arrayIPcLm3EELi4E23TrivialOffsetCalculatorILi2EjESC_ILi1EjENS0_6memory15LoadWithoutCastENSF_16StoreWithoutCastEEEviT_T0_T2_T3_T4_T5_.uses_flat_scratch, 0
	.set _ZN2at6native27unrolled_elementwise_kernelINS0_13BinaryFunctorIN3c1016Float4_e2m1fn_x2ES4_bNS0_12_GLOBAL__N_116CompareEqFunctorIS4_EEEESt5arrayIPcLm3EELi4E23TrivialOffsetCalculatorILi2EjESC_ILi1EjENS0_6memory15LoadWithoutCastENSF_16StoreWithoutCastEEEviT_T0_T2_T3_T4_T5_.has_dyn_sized_stack, 0
	.set _ZN2at6native27unrolled_elementwise_kernelINS0_13BinaryFunctorIN3c1016Float4_e2m1fn_x2ES4_bNS0_12_GLOBAL__N_116CompareEqFunctorIS4_EEEESt5arrayIPcLm3EELi4E23TrivialOffsetCalculatorILi2EjESC_ILi1EjENS0_6memory15LoadWithoutCastENSF_16StoreWithoutCastEEEviT_T0_T2_T3_T4_T5_.has_recursion, 0
	.set _ZN2at6native27unrolled_elementwise_kernelINS0_13BinaryFunctorIN3c1016Float4_e2m1fn_x2ES4_bNS0_12_GLOBAL__N_116CompareEqFunctorIS4_EEEESt5arrayIPcLm3EELi4E23TrivialOffsetCalculatorILi2EjESC_ILi1EjENS0_6memory15LoadWithoutCastENSF_16StoreWithoutCastEEEviT_T0_T2_T3_T4_T5_.has_indirect_call, 0
	.section	.AMDGPU.csdata,"",@progbits
; Kernel info:
; codeLenInByte = 744
; TotalNumSgprs: 25
; NumVgprs: 12
; ScratchSize: 0
; MemoryBound: 0
; FloatMode: 240
; IeeeMode: 1
; LDSByteSize: 0 bytes/workgroup (compile time only)
; SGPRBlocks: 3
; VGPRBlocks: 2
; NumSGPRsForWavesPerEU: 25
; NumVGPRsForWavesPerEU: 12
; Occupancy: 10
; WaveLimiterHint : 0
; COMPUTE_PGM_RSRC2:SCRATCH_EN: 0
; COMPUTE_PGM_RSRC2:USER_SGPR: 6
; COMPUTE_PGM_RSRC2:TRAP_HANDLER: 0
; COMPUTE_PGM_RSRC2:TGID_X_EN: 1
; COMPUTE_PGM_RSRC2:TGID_Y_EN: 0
; COMPUTE_PGM_RSRC2:TGID_Z_EN: 0
; COMPUTE_PGM_RSRC2:TIDIG_COMP_CNT: 0
	.section	.text._ZN2at6native32elementwise_kernel_manual_unrollILi128ELi8EZNS0_22gpu_kernel_impl_nocastINS0_13BinaryFunctorIN3c1016Float4_e2m1fn_x2ES5_bNS0_12_GLOBAL__N_116CompareEqFunctorIS5_EEEEEEvRNS_18TensorIteratorBaseERKT_EUlibE_EEviT1_,"axG",@progbits,_ZN2at6native32elementwise_kernel_manual_unrollILi128ELi8EZNS0_22gpu_kernel_impl_nocastINS0_13BinaryFunctorIN3c1016Float4_e2m1fn_x2ES5_bNS0_12_GLOBAL__N_116CompareEqFunctorIS5_EEEEEEvRNS_18TensorIteratorBaseERKT_EUlibE_EEviT1_,comdat
	.globl	_ZN2at6native32elementwise_kernel_manual_unrollILi128ELi8EZNS0_22gpu_kernel_impl_nocastINS0_13BinaryFunctorIN3c1016Float4_e2m1fn_x2ES5_bNS0_12_GLOBAL__N_116CompareEqFunctorIS5_EEEEEEvRNS_18TensorIteratorBaseERKT_EUlibE_EEviT1_ ; -- Begin function _ZN2at6native32elementwise_kernel_manual_unrollILi128ELi8EZNS0_22gpu_kernel_impl_nocastINS0_13BinaryFunctorIN3c1016Float4_e2m1fn_x2ES5_bNS0_12_GLOBAL__N_116CompareEqFunctorIS5_EEEEEEvRNS_18TensorIteratorBaseERKT_EUlibE_EEviT1_
	.p2align	8
	.type	_ZN2at6native32elementwise_kernel_manual_unrollILi128ELi8EZNS0_22gpu_kernel_impl_nocastINS0_13BinaryFunctorIN3c1016Float4_e2m1fn_x2ES5_bNS0_12_GLOBAL__N_116CompareEqFunctorIS5_EEEEEEvRNS_18TensorIteratorBaseERKT_EUlibE_EEviT1_,@function
_ZN2at6native32elementwise_kernel_manual_unrollILi128ELi8EZNS0_22gpu_kernel_impl_nocastINS0_13BinaryFunctorIN3c1016Float4_e2m1fn_x2ES5_bNS0_12_GLOBAL__N_116CompareEqFunctorIS5_EEEEEEvRNS_18TensorIteratorBaseERKT_EUlibE_EEviT1_: ; @_ZN2at6native32elementwise_kernel_manual_unrollILi128ELi8EZNS0_22gpu_kernel_impl_nocastINS0_13BinaryFunctorIN3c1016Float4_e2m1fn_x2ES5_bNS0_12_GLOBAL__N_116CompareEqFunctorIS5_EEEEEEvRNS_18TensorIteratorBaseERKT_EUlibE_EEviT1_
; %bb.0:
	s_load_dword s38, s[4:5], 0x0
	s_load_dword s33, s[4:5], 0x8
	s_add_u32 s12, s4, 8
	s_addc_u32 s13, s5, 0
	v_lshl_or_b32 v31, s6, 10, v0
	v_or_b32_e32 v41, 0x380, v31
	s_waitcnt lgkmcnt(0)
	s_add_i32 s36, s33, -1
	s_cmp_gt_u32 s36, 1
	v_cmp_le_i32_e32 vcc, s38, v41
	s_cselect_b64 s[14:15], -1, 0
	s_and_saveexec_b64 s[0:1], vcc
	s_xor_b64 s[16:17], exec, s[0:1]
	s_cbranch_execz .LBB378_106
; %bb.1:
	s_load_dwordx4 s[8:11], s[12:13], 0x4
	s_load_dwordx2 s[24:25], s[12:13], 0x14
	s_load_dwordx4 s[4:7], s[12:13], 0xc4
	s_load_dwordx2 s[22:23], s[12:13], 0xd4
	s_load_dword s20, s[12:13], 0x1a0
	s_cmp_lg_u32 s33, 0
	s_load_dwordx2 s[18:19], s[12:13], 0x198
	s_load_dwordx4 s[0:3], s[12:13], 0x188
	s_cselect_b64 s[28:29], -1, 0
	s_min_u32 s37, s36, 15
	s_cmp_gt_u32 s33, 1
	s_cselect_b64 s[26:27], -1, 0
	s_waitcnt lgkmcnt(0)
	s_cmp_eq_u32 s20, 0
	s_cselect_b64 s[20:21], -1, 0
	v_cmp_gt_i32_e32 vcc, s38, v31
	s_and_saveexec_b64 s[30:31], vcc
	s_cbranch_execnz .LBB378_9
; %bb.2:
	s_or_b64 exec, exec, s[30:31]
	v_cmp_gt_i32_e32 vcc, s38, v31
	s_and_saveexec_b64 s[30:31], vcc
	s_cbranch_execnz .LBB378_21
.LBB378_3:
	s_or_b64 exec, exec, s[30:31]
	v_cmp_gt_i32_e32 vcc, s38, v31
	s_and_saveexec_b64 s[30:31], vcc
	s_cbranch_execnz .LBB378_33
.LBB378_4:
	s_or_b64 exec, exec, s[30:31]
	v_cmp_gt_i32_e32 vcc, s38, v31
	s_and_saveexec_b64 s[30:31], vcc
	s_cbranch_execnz .LBB378_45
.LBB378_5:
	s_or_b64 exec, exec, s[30:31]
	v_cmp_gt_i32_e32 vcc, s38, v31
	s_and_saveexec_b64 s[30:31], vcc
	s_cbranch_execnz .LBB378_57
.LBB378_6:
	s_or_b64 exec, exec, s[30:31]
	v_cmp_gt_i32_e32 vcc, s38, v31
	s_and_saveexec_b64 s[30:31], vcc
	s_cbranch_execnz .LBB378_69
.LBB378_7:
	s_or_b64 exec, exec, s[30:31]
	v_cmp_gt_i32_e32 vcc, s38, v31
	s_and_saveexec_b64 s[30:31], vcc
	s_cbranch_execnz .LBB378_81
.LBB378_8:
	s_or_b64 exec, exec, s[30:31]
	v_cmp_gt_i32_e32 vcc, s38, v31
	s_and_saveexec_b64 s[30:31], vcc
	s_cbranch_execnz .LBB378_93
	s_branch .LBB378_105
.LBB378_9:
	s_andn2_b64 vcc, exec, s[14:15]
	s_cbranch_vccnz .LBB378_15
; %bb.10:
	s_andn2_b64 vcc, exec, s[28:29]
	s_cbranch_vccnz .LBB378_16
; %bb.11:
	s_add_i32 s34, s37, 1
	s_and_b32 s39, s34, 30
	s_add_u32 s34, s12, 0xffffffe8
	s_addc_u32 s35, s13, -1
	v_mov_b32_e32 v2, 0
	v_mov_b32_e32 v4, 0
	v_mov_b32_e32 v0, 0
	v_mov_b32_e32 v1, v31
.LBB378_12:                             ; =>This Inner Loop Header: Depth=1
	s_load_dwordx4 s[40:43], s[34:35], 0x1c
	s_load_dwordx2 s[48:49], s[34:35], 0x2c
	s_load_dwordx2 s[50:51], s[34:35], 0xec
	s_load_dwordx4 s[44:47], s[34:35], 0xdc
	s_add_u32 s34, s34, 24
	s_waitcnt lgkmcnt(0)
	v_mul_hi_u32 v3, s41, v1
	s_addc_u32 s35, s35, 0
	s_add_i32 s39, s39, -2
	s_cmp_lg_u32 s39, 0
	v_add_u32_e32 v3, v1, v3
	v_lshrrev_b32_e32 v3, s42, v3
	v_mul_lo_u32 v5, v3, s40
	v_mul_hi_u32 v6, s48, v3
	v_sub_u32_e32 v5, v1, v5
	v_add_u32_e32 v1, v3, v6
	v_lshrrev_b32_e32 v1, s49, v1
	v_mul_lo_u32 v8, v1, s43
	v_mul_lo_u32 v6, v5, s44
	;; [unrolled: 1-line block ×4, first 2 shown]
	v_sub_u32_e32 v3, v3, v8
	v_mul_lo_u32 v8, v3, s47
	v_mul_lo_u32 v9, v3, s50
	;; [unrolled: 1-line block ×3, first 2 shown]
	v_add3_u32 v0, v6, v0, v8
	v_add3_u32 v4, v7, v4, v9
	;; [unrolled: 1-line block ×3, first 2 shown]
	s_cbranch_scc1 .LBB378_12
; %bb.13:
	s_bitcmp1_b32 s37, 0
	s_cselect_b64 s[40:41], -1, 0
	s_and_b64 vcc, exec, s[40:41]
	s_cbranch_vccnz .LBB378_17
; %bb.14:
	s_load_dwordx2 s[40:41], s[34:35], 0x1c
	s_load_dword s39, s[34:35], 0x24
	s_load_dwordx2 s[42:43], s[34:35], 0xdc
	s_waitcnt lgkmcnt(0)
	v_mul_hi_u32 v3, s41, v1
	v_add_u32_e32 v3, v1, v3
	v_lshrrev_b32_e32 v3, s39, v3
	v_mul_lo_u32 v3, v3, s40
	s_load_dword s39, s[34:35], 0xe4
	v_sub_u32_e32 v3, v1, v3
	v_mad_u64_u32 v[0:1], s[34:35], v3, s42, v[0:1]
	v_mad_u64_u32 v[4:5], s[34:35], v3, s43, v[4:5]
	s_waitcnt lgkmcnt(0)
	v_mad_u64_u32 v[2:3], s[34:35], v3, s39, v[2:3]
	s_cbranch_execz .LBB378_18
	s_branch .LBB378_20
.LBB378_15:
                                        ; implicit-def: $vgpr0
                                        ; implicit-def: $vgpr4
                                        ; implicit-def: $vgpr2
	s_branch .LBB378_18
.LBB378_16:
	v_mov_b32_e32 v0, 0
	v_mov_b32_e32 v4, 0
	;; [unrolled: 1-line block ×3, first 2 shown]
.LBB378_17:
	s_cbranch_execnz .LBB378_20
.LBB378_18:
	v_mul_hi_u32 v0, s9, v31
	s_andn2_b64 vcc, exec, s[26:27]
	v_add_u32_e32 v0, v31, v0
	v_lshrrev_b32_e32 v1, s10, v0
	v_mul_lo_u32 v0, v1, s8
	v_sub_u32_e32 v2, v31, v0
	v_mul_lo_u32 v0, v2, s4
	v_mul_lo_u32 v4, v2, s5
	;; [unrolled: 1-line block ×3, first 2 shown]
	s_cbranch_vccnz .LBB378_20
; %bb.19:
	v_mul_hi_u32 v3, s24, v1
	v_add_u32_e32 v3, v1, v3
	v_lshrrev_b32_e32 v3, s25, v3
	v_mul_lo_u32 v3, v3, s11
	v_sub_u32_e32 v3, v1, v3
	v_mad_u64_u32 v[0:1], s[34:35], v3, s7, v[0:1]
	v_mad_u64_u32 v[4:5], s[34:35], v3, s22, v[4:5]
	;; [unrolled: 1-line block ×3, first 2 shown]
.LBB378_20:
	global_load_ubyte v1, v4, s[2:3]
	global_load_ubyte v3, v2, s[18:19]
	v_add_u32_e32 v31, 0x80, v31
	s_waitcnt vmcnt(0)
	v_cmp_ne_u16_e32 vcc, v1, v3
	s_xor_b64 s[34:35], s[20:21], vcc
	v_cndmask_b32_e64 v1, 0, 1, s[34:35]
	global_store_byte v0, v1, s[0:1]
	s_or_b64 exec, exec, s[30:31]
	v_cmp_gt_i32_e32 vcc, s38, v31
	s_and_saveexec_b64 s[30:31], vcc
	s_cbranch_execz .LBB378_3
.LBB378_21:
	s_andn2_b64 vcc, exec, s[14:15]
	s_cbranch_vccnz .LBB378_27
; %bb.22:
	s_andn2_b64 vcc, exec, s[28:29]
	s_cbranch_vccnz .LBB378_28
; %bb.23:
	s_add_i32 s34, s37, 1
	s_and_b32 s39, s34, 30
	s_add_u32 s34, s12, 0xffffffe8
	s_addc_u32 s35, s13, -1
	v_mov_b32_e32 v2, 0
	v_mov_b32_e32 v4, 0
	;; [unrolled: 1-line block ×4, first 2 shown]
.LBB378_24:                             ; =>This Inner Loop Header: Depth=1
	s_load_dwordx4 s[40:43], s[34:35], 0x1c
	s_load_dwordx2 s[48:49], s[34:35], 0x2c
	s_load_dwordx2 s[50:51], s[34:35], 0xec
	s_load_dwordx4 s[44:47], s[34:35], 0xdc
	s_add_u32 s34, s34, 24
	s_waitcnt lgkmcnt(0)
	v_mul_hi_u32 v3, s41, v1
	s_addc_u32 s35, s35, 0
	s_add_i32 s39, s39, -2
	s_cmp_eq_u32 s39, 0
	v_add_u32_e32 v3, v1, v3
	v_lshrrev_b32_e32 v3, s42, v3
	v_mul_lo_u32 v5, v3, s40
	v_mul_hi_u32 v6, s48, v3
	v_sub_u32_e32 v5, v1, v5
	v_add_u32_e32 v1, v3, v6
	v_lshrrev_b32_e32 v1, s49, v1
	v_mul_lo_u32 v8, v1, s43
	v_mul_lo_u32 v6, v5, s44
	;; [unrolled: 1-line block ×4, first 2 shown]
	v_sub_u32_e32 v3, v3, v8
	v_mul_lo_u32 v8, v3, s47
	v_mul_lo_u32 v9, v3, s50
	;; [unrolled: 1-line block ×3, first 2 shown]
	v_add3_u32 v0, v6, v0, v8
	v_add3_u32 v4, v7, v4, v9
	;; [unrolled: 1-line block ×3, first 2 shown]
	s_cbranch_scc0 .LBB378_24
; %bb.25:
	s_bitcmp1_b32 s37, 0
	s_cselect_b64 s[40:41], -1, 0
	s_and_b64 vcc, exec, s[40:41]
	s_cbranch_vccnz .LBB378_29
; %bb.26:
	s_load_dwordx2 s[40:41], s[34:35], 0x1c
	s_load_dword s39, s[34:35], 0x24
	s_load_dwordx2 s[42:43], s[34:35], 0xdc
	s_waitcnt lgkmcnt(0)
	v_mul_hi_u32 v3, s41, v1
	v_add_u32_e32 v3, v1, v3
	v_lshrrev_b32_e32 v3, s39, v3
	v_mul_lo_u32 v3, v3, s40
	s_load_dword s39, s[34:35], 0xe4
	v_sub_u32_e32 v3, v1, v3
	v_mad_u64_u32 v[0:1], s[34:35], v3, s42, v[0:1]
	v_mad_u64_u32 v[4:5], s[34:35], v3, s43, v[4:5]
	s_waitcnt lgkmcnt(0)
	v_mad_u64_u32 v[2:3], s[34:35], v3, s39, v[2:3]
	s_branch .LBB378_29
.LBB378_27:
                                        ; implicit-def: $vgpr0
                                        ; implicit-def: $vgpr4
                                        ; implicit-def: $vgpr2
	s_branch .LBB378_30
.LBB378_28:
	v_mov_b32_e32 v0, 0
	v_mov_b32_e32 v4, 0
	;; [unrolled: 1-line block ×3, first 2 shown]
.LBB378_29:
	s_cbranch_execnz .LBB378_32
.LBB378_30:
	v_mul_hi_u32 v0, s9, v31
	s_andn2_b64 vcc, exec, s[26:27]
	v_add_u32_e32 v0, v31, v0
	v_lshrrev_b32_e32 v1, s10, v0
	v_mul_lo_u32 v0, v1, s8
	v_sub_u32_e32 v2, v31, v0
	v_mul_lo_u32 v0, v2, s4
	v_mul_lo_u32 v4, v2, s5
	;; [unrolled: 1-line block ×3, first 2 shown]
	s_cbranch_vccnz .LBB378_32
; %bb.31:
	v_mul_hi_u32 v3, s24, v1
	v_add_u32_e32 v3, v1, v3
	v_lshrrev_b32_e32 v3, s25, v3
	v_mul_lo_u32 v3, v3, s11
	v_sub_u32_e32 v3, v1, v3
	v_mad_u64_u32 v[0:1], s[34:35], v3, s7, v[0:1]
	v_mad_u64_u32 v[4:5], s[34:35], v3, s22, v[4:5]
	;; [unrolled: 1-line block ×3, first 2 shown]
.LBB378_32:
	global_load_ubyte v1, v4, s[2:3]
	global_load_ubyte v3, v2, s[18:19]
	v_add_u32_e32 v31, 0x80, v31
	s_waitcnt vmcnt(0)
	v_cmp_ne_u16_e32 vcc, v1, v3
	s_xor_b64 s[34:35], s[20:21], vcc
	v_cndmask_b32_e64 v1, 0, 1, s[34:35]
	global_store_byte v0, v1, s[0:1]
	s_or_b64 exec, exec, s[30:31]
	v_cmp_gt_i32_e32 vcc, s38, v31
	s_and_saveexec_b64 s[30:31], vcc
	s_cbranch_execz .LBB378_4
.LBB378_33:
	s_andn2_b64 vcc, exec, s[14:15]
	s_cbranch_vccnz .LBB378_39
; %bb.34:
	s_andn2_b64 vcc, exec, s[28:29]
	s_cbranch_vccnz .LBB378_40
; %bb.35:
	s_add_i32 s34, s37, 1
	s_and_b32 s39, s34, 30
	s_add_u32 s34, s12, 0xffffffe8
	s_addc_u32 s35, s13, -1
	v_mov_b32_e32 v2, 0
	v_mov_b32_e32 v4, 0
	;; [unrolled: 1-line block ×4, first 2 shown]
.LBB378_36:                             ; =>This Inner Loop Header: Depth=1
	s_load_dwordx4 s[40:43], s[34:35], 0x1c
	s_load_dwordx2 s[48:49], s[34:35], 0x2c
	s_load_dwordx2 s[50:51], s[34:35], 0xec
	s_load_dwordx4 s[44:47], s[34:35], 0xdc
	s_add_u32 s34, s34, 24
	s_waitcnt lgkmcnt(0)
	v_mul_hi_u32 v3, s41, v1
	s_addc_u32 s35, s35, 0
	s_add_i32 s39, s39, -2
	s_cmp_eq_u32 s39, 0
	v_add_u32_e32 v3, v1, v3
	v_lshrrev_b32_e32 v3, s42, v3
	v_mul_lo_u32 v5, v3, s40
	v_mul_hi_u32 v6, s48, v3
	v_sub_u32_e32 v5, v1, v5
	v_add_u32_e32 v1, v3, v6
	v_lshrrev_b32_e32 v1, s49, v1
	v_mul_lo_u32 v8, v1, s43
	v_mul_lo_u32 v6, v5, s44
	;; [unrolled: 1-line block ×4, first 2 shown]
	v_sub_u32_e32 v3, v3, v8
	v_mul_lo_u32 v8, v3, s47
	v_mul_lo_u32 v9, v3, s50
	v_mul_lo_u32 v3, v3, s51
	v_add3_u32 v0, v6, v0, v8
	v_add3_u32 v4, v7, v4, v9
	v_add3_u32 v2, v5, v2, v3
	s_cbranch_scc0 .LBB378_36
; %bb.37:
	s_bitcmp1_b32 s37, 0
	s_cselect_b64 s[40:41], -1, 0
	s_and_b64 vcc, exec, s[40:41]
	s_cbranch_vccnz .LBB378_41
; %bb.38:
	s_load_dwordx2 s[40:41], s[34:35], 0x1c
	s_load_dword s39, s[34:35], 0x24
	s_load_dwordx2 s[42:43], s[34:35], 0xdc
	s_waitcnt lgkmcnt(0)
	v_mul_hi_u32 v3, s41, v1
	v_add_u32_e32 v3, v1, v3
	v_lshrrev_b32_e32 v3, s39, v3
	v_mul_lo_u32 v3, v3, s40
	s_load_dword s39, s[34:35], 0xe4
	v_sub_u32_e32 v3, v1, v3
	v_mad_u64_u32 v[0:1], s[34:35], v3, s42, v[0:1]
	v_mad_u64_u32 v[4:5], s[34:35], v3, s43, v[4:5]
	s_waitcnt lgkmcnt(0)
	v_mad_u64_u32 v[2:3], s[34:35], v3, s39, v[2:3]
	s_branch .LBB378_41
.LBB378_39:
                                        ; implicit-def: $vgpr0
                                        ; implicit-def: $vgpr4
                                        ; implicit-def: $vgpr2
	s_branch .LBB378_42
.LBB378_40:
	v_mov_b32_e32 v0, 0
	v_mov_b32_e32 v4, 0
	;; [unrolled: 1-line block ×3, first 2 shown]
.LBB378_41:
	s_cbranch_execnz .LBB378_44
.LBB378_42:
	v_mul_hi_u32 v0, s9, v31
	s_andn2_b64 vcc, exec, s[26:27]
	v_add_u32_e32 v0, v31, v0
	v_lshrrev_b32_e32 v1, s10, v0
	v_mul_lo_u32 v0, v1, s8
	v_sub_u32_e32 v2, v31, v0
	v_mul_lo_u32 v0, v2, s4
	v_mul_lo_u32 v4, v2, s5
	;; [unrolled: 1-line block ×3, first 2 shown]
	s_cbranch_vccnz .LBB378_44
; %bb.43:
	v_mul_hi_u32 v3, s24, v1
	v_add_u32_e32 v3, v1, v3
	v_lshrrev_b32_e32 v3, s25, v3
	v_mul_lo_u32 v3, v3, s11
	v_sub_u32_e32 v3, v1, v3
	v_mad_u64_u32 v[0:1], s[34:35], v3, s7, v[0:1]
	v_mad_u64_u32 v[4:5], s[34:35], v3, s22, v[4:5]
	;; [unrolled: 1-line block ×3, first 2 shown]
.LBB378_44:
	global_load_ubyte v1, v4, s[2:3]
	global_load_ubyte v3, v2, s[18:19]
	v_add_u32_e32 v31, 0x80, v31
	s_waitcnt vmcnt(0)
	v_cmp_ne_u16_e32 vcc, v1, v3
	s_xor_b64 s[34:35], s[20:21], vcc
	v_cndmask_b32_e64 v1, 0, 1, s[34:35]
	global_store_byte v0, v1, s[0:1]
	s_or_b64 exec, exec, s[30:31]
	v_cmp_gt_i32_e32 vcc, s38, v31
	s_and_saveexec_b64 s[30:31], vcc
	s_cbranch_execz .LBB378_5
.LBB378_45:
	s_andn2_b64 vcc, exec, s[14:15]
	s_cbranch_vccnz .LBB378_51
; %bb.46:
	s_andn2_b64 vcc, exec, s[28:29]
	s_cbranch_vccnz .LBB378_52
; %bb.47:
	s_add_i32 s34, s37, 1
	s_and_b32 s39, s34, 30
	s_add_u32 s34, s12, 0xffffffe8
	s_addc_u32 s35, s13, -1
	v_mov_b32_e32 v2, 0
	v_mov_b32_e32 v4, 0
	;; [unrolled: 1-line block ×4, first 2 shown]
.LBB378_48:                             ; =>This Inner Loop Header: Depth=1
	s_load_dwordx4 s[40:43], s[34:35], 0x1c
	s_load_dwordx2 s[48:49], s[34:35], 0x2c
	s_load_dwordx2 s[50:51], s[34:35], 0xec
	s_load_dwordx4 s[44:47], s[34:35], 0xdc
	s_add_u32 s34, s34, 24
	s_waitcnt lgkmcnt(0)
	v_mul_hi_u32 v3, s41, v1
	s_addc_u32 s35, s35, 0
	s_add_i32 s39, s39, -2
	s_cmp_eq_u32 s39, 0
	v_add_u32_e32 v3, v1, v3
	v_lshrrev_b32_e32 v3, s42, v3
	v_mul_lo_u32 v5, v3, s40
	v_mul_hi_u32 v6, s48, v3
	v_sub_u32_e32 v5, v1, v5
	v_add_u32_e32 v1, v3, v6
	v_lshrrev_b32_e32 v1, s49, v1
	v_mul_lo_u32 v8, v1, s43
	v_mul_lo_u32 v6, v5, s44
	;; [unrolled: 1-line block ×4, first 2 shown]
	v_sub_u32_e32 v3, v3, v8
	v_mul_lo_u32 v8, v3, s47
	v_mul_lo_u32 v9, v3, s50
	;; [unrolled: 1-line block ×3, first 2 shown]
	v_add3_u32 v0, v6, v0, v8
	v_add3_u32 v4, v7, v4, v9
	;; [unrolled: 1-line block ×3, first 2 shown]
	s_cbranch_scc0 .LBB378_48
; %bb.49:
	s_bitcmp1_b32 s37, 0
	s_cselect_b64 s[40:41], -1, 0
	s_and_b64 vcc, exec, s[40:41]
	s_cbranch_vccnz .LBB378_53
; %bb.50:
	s_load_dwordx2 s[40:41], s[34:35], 0x1c
	s_load_dword s39, s[34:35], 0x24
	s_load_dwordx2 s[42:43], s[34:35], 0xdc
	s_waitcnt lgkmcnt(0)
	v_mul_hi_u32 v3, s41, v1
	v_add_u32_e32 v3, v1, v3
	v_lshrrev_b32_e32 v3, s39, v3
	v_mul_lo_u32 v3, v3, s40
	s_load_dword s39, s[34:35], 0xe4
	v_sub_u32_e32 v3, v1, v3
	v_mad_u64_u32 v[0:1], s[34:35], v3, s42, v[0:1]
	v_mad_u64_u32 v[4:5], s[34:35], v3, s43, v[4:5]
	s_waitcnt lgkmcnt(0)
	v_mad_u64_u32 v[2:3], s[34:35], v3, s39, v[2:3]
	s_branch .LBB378_53
.LBB378_51:
                                        ; implicit-def: $vgpr0
                                        ; implicit-def: $vgpr4
                                        ; implicit-def: $vgpr2
	s_branch .LBB378_54
.LBB378_52:
	v_mov_b32_e32 v0, 0
	v_mov_b32_e32 v4, 0
	v_mov_b32_e32 v2, 0
.LBB378_53:
	s_cbranch_execnz .LBB378_56
.LBB378_54:
	v_mul_hi_u32 v0, s9, v31
	s_andn2_b64 vcc, exec, s[26:27]
	v_add_u32_e32 v0, v31, v0
	v_lshrrev_b32_e32 v1, s10, v0
	v_mul_lo_u32 v0, v1, s8
	v_sub_u32_e32 v2, v31, v0
	v_mul_lo_u32 v0, v2, s4
	v_mul_lo_u32 v4, v2, s5
	;; [unrolled: 1-line block ×3, first 2 shown]
	s_cbranch_vccnz .LBB378_56
; %bb.55:
	v_mul_hi_u32 v3, s24, v1
	v_add_u32_e32 v3, v1, v3
	v_lshrrev_b32_e32 v3, s25, v3
	v_mul_lo_u32 v3, v3, s11
	v_sub_u32_e32 v3, v1, v3
	v_mad_u64_u32 v[0:1], s[34:35], v3, s7, v[0:1]
	v_mad_u64_u32 v[4:5], s[34:35], v3, s22, v[4:5]
	;; [unrolled: 1-line block ×3, first 2 shown]
.LBB378_56:
	global_load_ubyte v1, v4, s[2:3]
	global_load_ubyte v3, v2, s[18:19]
	v_add_u32_e32 v31, 0x80, v31
	s_waitcnt vmcnt(0)
	v_cmp_ne_u16_e32 vcc, v1, v3
	s_xor_b64 s[34:35], s[20:21], vcc
	v_cndmask_b32_e64 v1, 0, 1, s[34:35]
	global_store_byte v0, v1, s[0:1]
	s_or_b64 exec, exec, s[30:31]
	v_cmp_gt_i32_e32 vcc, s38, v31
	s_and_saveexec_b64 s[30:31], vcc
	s_cbranch_execz .LBB378_6
.LBB378_57:
	s_andn2_b64 vcc, exec, s[14:15]
	s_cbranch_vccnz .LBB378_63
; %bb.58:
	s_andn2_b64 vcc, exec, s[28:29]
	s_cbranch_vccnz .LBB378_64
; %bb.59:
	s_add_i32 s34, s37, 1
	s_and_b32 s39, s34, 30
	s_add_u32 s34, s12, 0xffffffe8
	s_addc_u32 s35, s13, -1
	v_mov_b32_e32 v2, 0
	v_mov_b32_e32 v4, 0
	;; [unrolled: 1-line block ×4, first 2 shown]
.LBB378_60:                             ; =>This Inner Loop Header: Depth=1
	s_load_dwordx4 s[40:43], s[34:35], 0x1c
	s_load_dwordx2 s[48:49], s[34:35], 0x2c
	s_load_dwordx2 s[50:51], s[34:35], 0xec
	s_load_dwordx4 s[44:47], s[34:35], 0xdc
	s_add_u32 s34, s34, 24
	s_waitcnt lgkmcnt(0)
	v_mul_hi_u32 v3, s41, v1
	s_addc_u32 s35, s35, 0
	s_add_i32 s39, s39, -2
	s_cmp_eq_u32 s39, 0
	v_add_u32_e32 v3, v1, v3
	v_lshrrev_b32_e32 v3, s42, v3
	v_mul_lo_u32 v5, v3, s40
	v_mul_hi_u32 v6, s48, v3
	v_sub_u32_e32 v5, v1, v5
	v_add_u32_e32 v1, v3, v6
	v_lshrrev_b32_e32 v1, s49, v1
	v_mul_lo_u32 v8, v1, s43
	v_mul_lo_u32 v6, v5, s44
	;; [unrolled: 1-line block ×4, first 2 shown]
	v_sub_u32_e32 v3, v3, v8
	v_mul_lo_u32 v8, v3, s47
	v_mul_lo_u32 v9, v3, s50
	;; [unrolled: 1-line block ×3, first 2 shown]
	v_add3_u32 v0, v6, v0, v8
	v_add3_u32 v4, v7, v4, v9
	;; [unrolled: 1-line block ×3, first 2 shown]
	s_cbranch_scc0 .LBB378_60
; %bb.61:
	s_bitcmp1_b32 s37, 0
	s_cselect_b64 s[40:41], -1, 0
	s_and_b64 vcc, exec, s[40:41]
	s_cbranch_vccnz .LBB378_65
; %bb.62:
	s_load_dwordx2 s[40:41], s[34:35], 0x1c
	s_load_dword s39, s[34:35], 0x24
	s_load_dwordx2 s[42:43], s[34:35], 0xdc
	s_waitcnt lgkmcnt(0)
	v_mul_hi_u32 v3, s41, v1
	v_add_u32_e32 v3, v1, v3
	v_lshrrev_b32_e32 v3, s39, v3
	v_mul_lo_u32 v3, v3, s40
	s_load_dword s39, s[34:35], 0xe4
	v_sub_u32_e32 v3, v1, v3
	v_mad_u64_u32 v[0:1], s[34:35], v3, s42, v[0:1]
	v_mad_u64_u32 v[4:5], s[34:35], v3, s43, v[4:5]
	s_waitcnt lgkmcnt(0)
	v_mad_u64_u32 v[2:3], s[34:35], v3, s39, v[2:3]
	s_branch .LBB378_65
.LBB378_63:
                                        ; implicit-def: $vgpr0
                                        ; implicit-def: $vgpr4
                                        ; implicit-def: $vgpr2
	s_branch .LBB378_66
.LBB378_64:
	v_mov_b32_e32 v0, 0
	v_mov_b32_e32 v4, 0
	;; [unrolled: 1-line block ×3, first 2 shown]
.LBB378_65:
	s_cbranch_execnz .LBB378_68
.LBB378_66:
	v_mul_hi_u32 v0, s9, v31
	s_andn2_b64 vcc, exec, s[26:27]
	v_add_u32_e32 v0, v31, v0
	v_lshrrev_b32_e32 v1, s10, v0
	v_mul_lo_u32 v0, v1, s8
	v_sub_u32_e32 v2, v31, v0
	v_mul_lo_u32 v0, v2, s4
	v_mul_lo_u32 v4, v2, s5
	;; [unrolled: 1-line block ×3, first 2 shown]
	s_cbranch_vccnz .LBB378_68
; %bb.67:
	v_mul_hi_u32 v3, s24, v1
	v_add_u32_e32 v3, v1, v3
	v_lshrrev_b32_e32 v3, s25, v3
	v_mul_lo_u32 v3, v3, s11
	v_sub_u32_e32 v3, v1, v3
	v_mad_u64_u32 v[0:1], s[34:35], v3, s7, v[0:1]
	v_mad_u64_u32 v[4:5], s[34:35], v3, s22, v[4:5]
	;; [unrolled: 1-line block ×3, first 2 shown]
.LBB378_68:
	global_load_ubyte v1, v4, s[2:3]
	global_load_ubyte v3, v2, s[18:19]
	v_add_u32_e32 v31, 0x80, v31
	s_waitcnt vmcnt(0)
	v_cmp_ne_u16_e32 vcc, v1, v3
	s_xor_b64 s[34:35], s[20:21], vcc
	v_cndmask_b32_e64 v1, 0, 1, s[34:35]
	global_store_byte v0, v1, s[0:1]
	s_or_b64 exec, exec, s[30:31]
	v_cmp_gt_i32_e32 vcc, s38, v31
	s_and_saveexec_b64 s[30:31], vcc
	s_cbranch_execz .LBB378_7
.LBB378_69:
	s_andn2_b64 vcc, exec, s[14:15]
	s_cbranch_vccnz .LBB378_75
; %bb.70:
	s_andn2_b64 vcc, exec, s[28:29]
	s_cbranch_vccnz .LBB378_76
; %bb.71:
	s_add_i32 s34, s37, 1
	s_and_b32 s39, s34, 30
	s_add_u32 s34, s12, 0xffffffe8
	s_addc_u32 s35, s13, -1
	v_mov_b32_e32 v2, 0
	v_mov_b32_e32 v4, 0
	;; [unrolled: 1-line block ×4, first 2 shown]
.LBB378_72:                             ; =>This Inner Loop Header: Depth=1
	s_load_dwordx4 s[40:43], s[34:35], 0x1c
	s_load_dwordx2 s[48:49], s[34:35], 0x2c
	s_load_dwordx2 s[50:51], s[34:35], 0xec
	s_load_dwordx4 s[44:47], s[34:35], 0xdc
	s_add_u32 s34, s34, 24
	s_waitcnt lgkmcnt(0)
	v_mul_hi_u32 v3, s41, v1
	s_addc_u32 s35, s35, 0
	s_add_i32 s39, s39, -2
	s_cmp_eq_u32 s39, 0
	v_add_u32_e32 v3, v1, v3
	v_lshrrev_b32_e32 v3, s42, v3
	v_mul_lo_u32 v5, v3, s40
	v_mul_hi_u32 v6, s48, v3
	v_sub_u32_e32 v5, v1, v5
	v_add_u32_e32 v1, v3, v6
	v_lshrrev_b32_e32 v1, s49, v1
	v_mul_lo_u32 v8, v1, s43
	v_mul_lo_u32 v6, v5, s44
	;; [unrolled: 1-line block ×4, first 2 shown]
	v_sub_u32_e32 v3, v3, v8
	v_mul_lo_u32 v8, v3, s47
	v_mul_lo_u32 v9, v3, s50
	;; [unrolled: 1-line block ×3, first 2 shown]
	v_add3_u32 v0, v6, v0, v8
	v_add3_u32 v4, v7, v4, v9
	;; [unrolled: 1-line block ×3, first 2 shown]
	s_cbranch_scc0 .LBB378_72
; %bb.73:
	s_bitcmp1_b32 s37, 0
	s_cselect_b64 s[40:41], -1, 0
	s_and_b64 vcc, exec, s[40:41]
	s_cbranch_vccnz .LBB378_77
; %bb.74:
	s_load_dwordx2 s[40:41], s[34:35], 0x1c
	s_load_dword s39, s[34:35], 0x24
	s_load_dwordx2 s[42:43], s[34:35], 0xdc
	s_waitcnt lgkmcnt(0)
	v_mul_hi_u32 v3, s41, v1
	v_add_u32_e32 v3, v1, v3
	v_lshrrev_b32_e32 v3, s39, v3
	v_mul_lo_u32 v3, v3, s40
	s_load_dword s39, s[34:35], 0xe4
	v_sub_u32_e32 v3, v1, v3
	v_mad_u64_u32 v[0:1], s[34:35], v3, s42, v[0:1]
	v_mad_u64_u32 v[4:5], s[34:35], v3, s43, v[4:5]
	s_waitcnt lgkmcnt(0)
	v_mad_u64_u32 v[2:3], s[34:35], v3, s39, v[2:3]
	s_branch .LBB378_77
.LBB378_75:
                                        ; implicit-def: $vgpr0
                                        ; implicit-def: $vgpr4
                                        ; implicit-def: $vgpr2
	s_branch .LBB378_78
.LBB378_76:
	v_mov_b32_e32 v0, 0
	v_mov_b32_e32 v4, 0
	v_mov_b32_e32 v2, 0
.LBB378_77:
	s_cbranch_execnz .LBB378_80
.LBB378_78:
	v_mul_hi_u32 v0, s9, v31
	s_andn2_b64 vcc, exec, s[26:27]
	v_add_u32_e32 v0, v31, v0
	v_lshrrev_b32_e32 v1, s10, v0
	v_mul_lo_u32 v0, v1, s8
	v_sub_u32_e32 v2, v31, v0
	v_mul_lo_u32 v0, v2, s4
	v_mul_lo_u32 v4, v2, s5
	;; [unrolled: 1-line block ×3, first 2 shown]
	s_cbranch_vccnz .LBB378_80
; %bb.79:
	v_mul_hi_u32 v3, s24, v1
	v_add_u32_e32 v3, v1, v3
	v_lshrrev_b32_e32 v3, s25, v3
	v_mul_lo_u32 v3, v3, s11
	v_sub_u32_e32 v3, v1, v3
	v_mad_u64_u32 v[0:1], s[34:35], v3, s7, v[0:1]
	v_mad_u64_u32 v[4:5], s[34:35], v3, s22, v[4:5]
	;; [unrolled: 1-line block ×3, first 2 shown]
.LBB378_80:
	global_load_ubyte v1, v4, s[2:3]
	global_load_ubyte v3, v2, s[18:19]
	v_add_u32_e32 v31, 0x80, v31
	s_waitcnt vmcnt(0)
	v_cmp_ne_u16_e32 vcc, v1, v3
	s_xor_b64 s[34:35], s[20:21], vcc
	v_cndmask_b32_e64 v1, 0, 1, s[34:35]
	global_store_byte v0, v1, s[0:1]
	s_or_b64 exec, exec, s[30:31]
	v_cmp_gt_i32_e32 vcc, s38, v31
	s_and_saveexec_b64 s[30:31], vcc
	s_cbranch_execz .LBB378_8
.LBB378_81:
	s_andn2_b64 vcc, exec, s[14:15]
	s_cbranch_vccnz .LBB378_87
; %bb.82:
	s_andn2_b64 vcc, exec, s[28:29]
	s_cbranch_vccnz .LBB378_88
; %bb.83:
	s_add_i32 s34, s37, 1
	s_and_b32 s39, s34, 30
	s_add_u32 s34, s12, 0xffffffe8
	s_addc_u32 s35, s13, -1
	v_mov_b32_e32 v2, 0
	v_mov_b32_e32 v4, 0
	;; [unrolled: 1-line block ×4, first 2 shown]
.LBB378_84:                             ; =>This Inner Loop Header: Depth=1
	s_load_dwordx4 s[40:43], s[34:35], 0x1c
	s_load_dwordx2 s[48:49], s[34:35], 0x2c
	s_load_dwordx2 s[50:51], s[34:35], 0xec
	s_load_dwordx4 s[44:47], s[34:35], 0xdc
	s_add_u32 s34, s34, 24
	s_waitcnt lgkmcnt(0)
	v_mul_hi_u32 v3, s41, v1
	s_addc_u32 s35, s35, 0
	s_add_i32 s39, s39, -2
	s_cmp_eq_u32 s39, 0
	v_add_u32_e32 v3, v1, v3
	v_lshrrev_b32_e32 v3, s42, v3
	v_mul_lo_u32 v5, v3, s40
	v_mul_hi_u32 v6, s48, v3
	v_sub_u32_e32 v5, v1, v5
	v_add_u32_e32 v1, v3, v6
	v_lshrrev_b32_e32 v1, s49, v1
	v_mul_lo_u32 v8, v1, s43
	v_mul_lo_u32 v6, v5, s44
	;; [unrolled: 1-line block ×4, first 2 shown]
	v_sub_u32_e32 v3, v3, v8
	v_mul_lo_u32 v8, v3, s47
	v_mul_lo_u32 v9, v3, s50
	;; [unrolled: 1-line block ×3, first 2 shown]
	v_add3_u32 v0, v6, v0, v8
	v_add3_u32 v4, v7, v4, v9
	;; [unrolled: 1-line block ×3, first 2 shown]
	s_cbranch_scc0 .LBB378_84
; %bb.85:
	s_bitcmp1_b32 s37, 0
	s_cselect_b64 s[40:41], -1, 0
	s_and_b64 vcc, exec, s[40:41]
	s_cbranch_vccnz .LBB378_89
; %bb.86:
	s_load_dwordx2 s[40:41], s[34:35], 0x1c
	s_load_dword s39, s[34:35], 0x24
	s_load_dwordx2 s[42:43], s[34:35], 0xdc
	s_waitcnt lgkmcnt(0)
	v_mul_hi_u32 v3, s41, v1
	v_add_u32_e32 v3, v1, v3
	v_lshrrev_b32_e32 v3, s39, v3
	v_mul_lo_u32 v3, v3, s40
	s_load_dword s39, s[34:35], 0xe4
	v_sub_u32_e32 v3, v1, v3
	v_mad_u64_u32 v[0:1], s[34:35], v3, s42, v[0:1]
	v_mad_u64_u32 v[4:5], s[34:35], v3, s43, v[4:5]
	s_waitcnt lgkmcnt(0)
	v_mad_u64_u32 v[2:3], s[34:35], v3, s39, v[2:3]
	s_branch .LBB378_89
.LBB378_87:
                                        ; implicit-def: $vgpr0
                                        ; implicit-def: $vgpr4
                                        ; implicit-def: $vgpr2
	s_branch .LBB378_90
.LBB378_88:
	v_mov_b32_e32 v0, 0
	v_mov_b32_e32 v4, 0
	;; [unrolled: 1-line block ×3, first 2 shown]
.LBB378_89:
	s_cbranch_execnz .LBB378_92
.LBB378_90:
	v_mul_hi_u32 v0, s9, v31
	s_andn2_b64 vcc, exec, s[26:27]
	v_add_u32_e32 v0, v31, v0
	v_lshrrev_b32_e32 v1, s10, v0
	v_mul_lo_u32 v0, v1, s8
	v_sub_u32_e32 v2, v31, v0
	v_mul_lo_u32 v0, v2, s4
	v_mul_lo_u32 v4, v2, s5
	;; [unrolled: 1-line block ×3, first 2 shown]
	s_cbranch_vccnz .LBB378_92
; %bb.91:
	v_mul_hi_u32 v3, s24, v1
	v_add_u32_e32 v3, v1, v3
	v_lshrrev_b32_e32 v3, s25, v3
	v_mul_lo_u32 v3, v3, s11
	v_sub_u32_e32 v3, v1, v3
	v_mad_u64_u32 v[0:1], s[34:35], v3, s7, v[0:1]
	v_mad_u64_u32 v[4:5], s[34:35], v3, s22, v[4:5]
	;; [unrolled: 1-line block ×3, first 2 shown]
.LBB378_92:
	global_load_ubyte v1, v4, s[2:3]
	global_load_ubyte v3, v2, s[18:19]
	v_add_u32_e32 v31, 0x80, v31
	s_waitcnt vmcnt(0)
	v_cmp_ne_u16_e32 vcc, v1, v3
	s_xor_b64 s[34:35], s[20:21], vcc
	v_cndmask_b32_e64 v1, 0, 1, s[34:35]
	global_store_byte v0, v1, s[0:1]
	s_or_b64 exec, exec, s[30:31]
	v_cmp_gt_i32_e32 vcc, s38, v31
	s_and_saveexec_b64 s[30:31], vcc
	s_cbranch_execz .LBB378_105
.LBB378_93:
	s_andn2_b64 vcc, exec, s[14:15]
	s_cbranch_vccnz .LBB378_99
; %bb.94:
	s_andn2_b64 vcc, exec, s[28:29]
	s_cbranch_vccnz .LBB378_100
; %bb.95:
	s_add_i32 s28, s37, 1
	s_and_b32 s34, s28, 30
	s_add_u32 s28, s12, 0xffffffe8
	s_addc_u32 s29, s13, -1
	v_mov_b32_e32 v4, 0
	v_mov_b32_e32 v2, 0
	v_mov_b32_e32 v0, 0
	v_mov_b32_e32 v1, v31
.LBB378_96:                             ; =>This Inner Loop Header: Depth=1
	s_load_dwordx4 s[40:43], s[28:29], 0x1c
	s_load_dwordx2 s[38:39], s[28:29], 0x2c
	s_load_dwordx2 s[48:49], s[28:29], 0xec
	s_load_dwordx4 s[44:47], s[28:29], 0xdc
	s_add_u32 s28, s28, 24
	s_waitcnt lgkmcnt(0)
	v_mul_hi_u32 v3, s41, v1
	s_addc_u32 s29, s29, 0
	s_add_i32 s34, s34, -2
	s_cmp_eq_u32 s34, 0
	v_add_u32_e32 v3, v1, v3
	v_lshrrev_b32_e32 v3, s42, v3
	v_mul_lo_u32 v5, v3, s40
	v_mul_hi_u32 v6, s38, v3
	v_sub_u32_e32 v5, v1, v5
	v_add_u32_e32 v1, v3, v6
	v_lshrrev_b32_e32 v1, s39, v1
	v_mul_lo_u32 v8, v1, s43
	v_mul_lo_u32 v6, v5, s44
	;; [unrolled: 1-line block ×4, first 2 shown]
	v_sub_u32_e32 v3, v3, v8
	v_mul_lo_u32 v8, v3, s47
	v_mul_lo_u32 v9, v3, s48
	;; [unrolled: 1-line block ×3, first 2 shown]
	v_add3_u32 v0, v6, v0, v8
	v_add3_u32 v2, v7, v2, v9
	;; [unrolled: 1-line block ×3, first 2 shown]
	s_cbranch_scc0 .LBB378_96
; %bb.97:
	s_bitcmp1_b32 s37, 0
	s_cselect_b64 s[34:35], -1, 0
	s_and_b64 vcc, exec, s[34:35]
	s_cbranch_vccnz .LBB378_101
; %bb.98:
	s_load_dwordx2 s[34:35], s[28:29], 0x1c
	s_load_dword s37, s[28:29], 0x24
	s_load_dwordx2 s[38:39], s[28:29], 0xdc
	s_waitcnt lgkmcnt(0)
	v_mul_hi_u32 v3, s35, v1
	v_add_u32_e32 v3, v1, v3
	v_lshrrev_b32_e32 v3, s37, v3
	v_mul_lo_u32 v3, v3, s34
	s_load_dword s34, s[28:29], 0xe4
	v_sub_u32_e32 v5, v1, v3
	v_mad_u64_u32 v[0:1], s[28:29], v5, s38, v[0:1]
	v_mad_u64_u32 v[2:3], s[28:29], v5, s39, v[2:3]
	s_waitcnt lgkmcnt(0)
	v_mad_u64_u32 v[4:5], s[28:29], v5, s34, v[4:5]
	s_branch .LBB378_101
.LBB378_99:
                                        ; implicit-def: $vgpr0
                                        ; implicit-def: $vgpr2
                                        ; implicit-def: $vgpr4
	s_branch .LBB378_102
.LBB378_100:
	v_mov_b32_e32 v0, 0
	v_mov_b32_e32 v2, 0
	;; [unrolled: 1-line block ×3, first 2 shown]
.LBB378_101:
	s_cbranch_execnz .LBB378_104
.LBB378_102:
	v_mul_hi_u32 v0, s9, v31
	s_andn2_b64 vcc, exec, s[26:27]
	v_add_u32_e32 v0, v31, v0
	v_lshrrev_b32_e32 v1, s10, v0
	v_mul_lo_u32 v0, v1, s8
	v_sub_u32_e32 v3, v31, v0
	v_mul_lo_u32 v0, v3, s4
	v_mul_lo_u32 v2, v3, s5
	;; [unrolled: 1-line block ×3, first 2 shown]
	s_cbranch_vccnz .LBB378_104
; %bb.103:
	v_mul_hi_u32 v3, s24, v1
	v_add_u32_e32 v3, v1, v3
	v_lshrrev_b32_e32 v3, s25, v3
	v_mul_lo_u32 v3, v3, s11
	v_sub_u32_e32 v5, v1, v3
	v_mad_u64_u32 v[0:1], s[4:5], v5, s7, v[0:1]
	v_mad_u64_u32 v[2:3], s[4:5], v5, s22, v[2:3]
	;; [unrolled: 1-line block ×3, first 2 shown]
.LBB378_104:
	global_load_ubyte v1, v2, s[2:3]
	global_load_ubyte v3, v4, s[18:19]
	s_waitcnt vmcnt(0)
	v_cmp_ne_u16_e32 vcc, v1, v3
	s_xor_b64 s[2:3], s[20:21], vcc
	v_cndmask_b32_e64 v1, 0, 1, s[2:3]
	global_store_byte v0, v1, s[0:1]
.LBB378_105:
	s_or_b64 exec, exec, s[30:31]
                                        ; implicit-def: $vgpr41
                                        ; implicit-def: $vgpr31
.LBB378_106:
	s_andn2_saveexec_b64 s[0:1], s[16:17]
	s_cbranch_execz .LBB378_113
; %bb.107:
	v_cndmask_b32_e64 v0, 0, 1, s[14:15]
	v_cmp_ne_u32_e64 s[0:1], 1, v0
	s_andn2_b64 vcc, exec, s[14:15]
	s_cbranch_vccnz .LBB378_114
; %bb.108:
	s_cmp_lg_u32 s33, 0
	s_cbranch_scc0 .LBB378_115
; %bb.109:
	s_min_u32 s4, s36, 15
	s_add_i32 s2, s4, 1
	s_and_b32 s5, s2, 30
	s_add_u32 s2, s12, 0xffffffe8
	s_addc_u32 s3, s13, -1
	v_mov_b32_e32 v2, 0
	v_mov_b32_e32 v4, 0
	;; [unrolled: 1-line block ×4, first 2 shown]
.LBB378_110:                            ; =>This Inner Loop Header: Depth=1
	s_load_dwordx4 s[8:11], s[2:3], 0x1c
	s_load_dwordx2 s[6:7], s[2:3], 0x2c
	s_load_dwordx2 s[14:15], s[2:3], 0xec
	s_load_dwordx4 s[16:19], s[2:3], 0xdc
	s_add_u32 s2, s2, 24
	s_waitcnt lgkmcnt(0)
	v_mul_hi_u32 v3, s9, v1
	s_addc_u32 s3, s3, 0
	s_add_i32 s5, s5, -2
	s_cmp_lg_u32 s5, 0
	v_add_u32_e32 v3, v1, v3
	v_lshrrev_b32_e32 v3, s10, v3
	v_mul_lo_u32 v5, v3, s8
	v_mul_hi_u32 v6, s6, v3
	v_sub_u32_e32 v5, v1, v5
	v_add_u32_e32 v1, v3, v6
	v_lshrrev_b32_e32 v1, s7, v1
	v_mul_lo_u32 v8, v1, s11
	v_mul_lo_u32 v6, v5, s16
	;; [unrolled: 1-line block ×4, first 2 shown]
	v_sub_u32_e32 v3, v3, v8
	v_mul_lo_u32 v8, v3, s19
	v_mul_lo_u32 v9, v3, s14
	;; [unrolled: 1-line block ×3, first 2 shown]
	v_add3_u32 v0, v6, v0, v8
	v_add3_u32 v4, v7, v4, v9
	;; [unrolled: 1-line block ×3, first 2 shown]
	s_cbranch_scc1 .LBB378_110
; %bb.111:
	s_bitcmp1_b32 s4, 0
	s_cselect_b64 s[4:5], -1, 0
	s_and_b64 vcc, exec, s[4:5]
	s_cbranch_vccnz .LBB378_116
; %bb.112:
	s_load_dwordx2 s[4:5], s[2:3], 0x1c
	s_load_dword s8, s[2:3], 0x24
	s_load_dwordx2 s[6:7], s[2:3], 0xdc
	s_waitcnt lgkmcnt(0)
	v_mul_hi_u32 v3, s5, v1
	v_add_u32_e32 v3, v1, v3
	v_lshrrev_b32_e32 v3, s8, v3
	v_mul_lo_u32 v3, v3, s4
	s_load_dword s4, s[2:3], 0xe4
	v_sub_u32_e32 v3, v1, v3
	v_mad_u64_u32 v[0:1], s[2:3], v3, s6, v[0:1]
	v_mad_u64_u32 v[4:5], s[2:3], v3, s7, v[4:5]
	s_waitcnt lgkmcnt(0)
	v_mad_u64_u32 v[2:3], s[2:3], v3, s4, v[2:3]
	s_cbranch_execz .LBB378_117
	s_branch .LBB378_119
.LBB378_113:
	s_endpgm
.LBB378_114:
                                        ; implicit-def: $vgpr0
                                        ; implicit-def: $vgpr4
                                        ; implicit-def: $vgpr2
	s_branch .LBB378_117
.LBB378_115:
	v_mov_b32_e32 v0, 0
	v_mov_b32_e32 v4, 0
	v_mov_b32_e32 v2, 0
.LBB378_116:
	s_cbranch_execnz .LBB378_119
.LBB378_117:
	s_load_dwordx4 s[4:7], s[12:13], 0x4
	s_load_dwordx4 s[8:11], s[12:13], 0xc4
	s_cmp_lt_u32 s33, 2
	s_waitcnt lgkmcnt(0)
	v_mul_hi_u32 v0, s5, v31
	v_add_u32_e32 v0, v31, v0
	v_lshrrev_b32_e32 v1, s6, v0
	v_mul_lo_u32 v0, v1, s4
	v_sub_u32_e32 v2, v31, v0
	v_mul_lo_u32 v0, v2, s8
	v_mul_lo_u32 v4, v2, s9
	;; [unrolled: 1-line block ×3, first 2 shown]
	s_cbranch_scc1 .LBB378_119
; %bb.118:
	s_load_dwordx4 s[4:7], s[12:13], 0x10
	s_load_dwordx4 s[8:11], s[12:13], 0xd0
	s_waitcnt lgkmcnt(0)
	v_mul_hi_u32 v3, s5, v1
	v_add_u32_e32 v3, v1, v3
	v_lshrrev_b32_e32 v3, s6, v3
	v_mul_lo_u32 v3, v3, s4
	v_sub_u32_e32 v3, v1, v3
	v_mad_u64_u32 v[0:1], s[2:3], v3, s8, v[0:1]
	v_mad_u64_u32 v[4:5], s[2:3], v3, s9, v[4:5]
	;; [unrolled: 1-line block ×3, first 2 shown]
.LBB378_119:
	s_and_b64 vcc, exec, s[0:1]
	v_add_u32_e32 v1, 0x80, v31
	s_cbranch_vccnz .LBB378_125
; %bb.120:
	s_cmp_lg_u32 s33, 0
	s_cbranch_scc0 .LBB378_126
; %bb.121:
	s_min_u32 s4, s36, 15
	s_add_i32 s2, s4, 1
	s_and_b32 s5, s2, 30
	s_add_u32 s2, s12, 0xffffffe8
	s_addc_u32 s3, s13, -1
	v_mov_b32_e32 v7, 0
	v_mov_b32_e32 v9, 0
	;; [unrolled: 1-line block ×4, first 2 shown]
.LBB378_122:                            ; =>This Inner Loop Header: Depth=1
	s_load_dwordx4 s[8:11], s[2:3], 0x1c
	s_load_dwordx2 s[6:7], s[2:3], 0x2c
	s_load_dwordx2 s[14:15], s[2:3], 0xec
	s_load_dwordx4 s[16:19], s[2:3], 0xdc
	s_add_u32 s2, s2, 24
	s_waitcnt lgkmcnt(0)
	v_mul_hi_u32 v6, s9, v3
	s_addc_u32 s3, s3, 0
	s_add_i32 s5, s5, -2
	s_cmp_lg_u32 s5, 0
	v_add_u32_e32 v6, v3, v6
	v_lshrrev_b32_e32 v6, s10, v6
	v_mul_lo_u32 v8, v6, s8
	v_mul_hi_u32 v10, s6, v6
	v_sub_u32_e32 v8, v3, v8
	v_add_u32_e32 v3, v6, v10
	v_lshrrev_b32_e32 v3, s7, v3
	v_mul_lo_u32 v12, v3, s11
	v_mul_lo_u32 v10, v8, s16
	;; [unrolled: 1-line block ×4, first 2 shown]
	v_sub_u32_e32 v6, v6, v12
	v_mul_lo_u32 v12, v6, s19
	v_mul_lo_u32 v13, v6, s14
	;; [unrolled: 1-line block ×3, first 2 shown]
	v_add3_u32 v5, v10, v5, v12
	v_add3_u32 v9, v11, v9, v13
	;; [unrolled: 1-line block ×3, first 2 shown]
	s_cbranch_scc1 .LBB378_122
; %bb.123:
	s_bitcmp1_b32 s4, 0
	s_cselect_b64 s[4:5], -1, 0
	s_and_b64 vcc, exec, s[4:5]
	s_cbranch_vccnz .LBB378_127
; %bb.124:
	s_load_dwordx2 s[4:5], s[2:3], 0x1c
	s_load_dword s8, s[2:3], 0x24
	s_load_dwordx2 s[6:7], s[2:3], 0xdc
	s_waitcnt lgkmcnt(0)
	v_mul_hi_u32 v6, s5, v3
	v_add_u32_e32 v6, v3, v6
	v_lshrrev_b32_e32 v6, s8, v6
	v_mul_lo_u32 v6, v6, s4
	s_load_dword s4, s[2:3], 0xe4
	v_sub_u32_e32 v3, v3, v6
	v_mad_u64_u32 v[5:6], s[2:3], v3, s6, v[5:6]
	v_mad_u64_u32 v[9:10], s[2:3], v3, s7, v[9:10]
	s_waitcnt lgkmcnt(0)
	v_mad_u64_u32 v[7:8], s[2:3], v3, s4, v[7:8]
	s_cbranch_execz .LBB378_128
	s_branch .LBB378_130
.LBB378_125:
                                        ; implicit-def: $vgpr5
                                        ; implicit-def: $vgpr9
                                        ; implicit-def: $vgpr7
	s_branch .LBB378_128
.LBB378_126:
	v_mov_b32_e32 v5, 0
	v_mov_b32_e32 v9, 0
	;; [unrolled: 1-line block ×3, first 2 shown]
.LBB378_127:
	s_cbranch_execnz .LBB378_130
.LBB378_128:
	s_load_dwordx4 s[4:7], s[12:13], 0x4
	s_load_dwordx4 s[8:11], s[12:13], 0xc4
	s_cmp_lt_u32 s33, 2
	s_waitcnt lgkmcnt(0)
	v_mul_hi_u32 v3, s5, v1
	v_add_u32_e32 v3, v1, v3
	v_lshrrev_b32_e32 v3, s6, v3
	v_mul_lo_u32 v5, v3, s4
	v_sub_u32_e32 v1, v1, v5
	v_mul_lo_u32 v5, v1, s8
	v_mul_lo_u32 v9, v1, s9
	;; [unrolled: 1-line block ×3, first 2 shown]
	s_cbranch_scc1 .LBB378_130
; %bb.129:
	s_load_dwordx4 s[4:7], s[12:13], 0x10
	s_load_dwordx4 s[8:11], s[12:13], 0xd0
	s_waitcnt lgkmcnt(0)
	v_mul_hi_u32 v1, s5, v3
	v_add_u32_e32 v1, v3, v1
	v_lshrrev_b32_e32 v1, s6, v1
	v_mul_lo_u32 v1, v1, s4
	v_sub_u32_e32 v1, v3, v1
	v_mad_u64_u32 v[5:6], s[2:3], v1, s8, v[5:6]
	v_mad_u64_u32 v[9:10], s[2:3], v1, s9, v[9:10]
	;; [unrolled: 1-line block ×3, first 2 shown]
.LBB378_130:
	s_and_b64 vcc, exec, s[0:1]
	v_add_u32_e32 v1, 0x100, v31
	s_cbranch_vccnz .LBB378_136
; %bb.131:
	s_cmp_lg_u32 s33, 0
	s_cbranch_scc0 .LBB378_137
; %bb.132:
	s_min_u32 s4, s36, 15
	s_add_i32 s2, s4, 1
	s_and_b32 s5, s2, 30
	s_add_u32 s2, s12, 0xffffffe8
	s_addc_u32 s3, s13, -1
	v_mov_b32_e32 v12, 0
	v_mov_b32_e32 v14, 0
	;; [unrolled: 1-line block ×4, first 2 shown]
.LBB378_133:                            ; =>This Inner Loop Header: Depth=1
	s_load_dwordx4 s[8:11], s[2:3], 0x1c
	s_load_dwordx2 s[6:7], s[2:3], 0x2c
	s_load_dwordx2 s[14:15], s[2:3], 0xec
	s_load_dwordx4 s[16:19], s[2:3], 0xdc
	s_add_u32 s2, s2, 24
	s_waitcnt lgkmcnt(0)
	v_mul_hi_u32 v6, s9, v3
	s_addc_u32 s3, s3, 0
	s_add_i32 s5, s5, -2
	s_cmp_lg_u32 s5, 0
	v_add_u32_e32 v6, v3, v6
	v_lshrrev_b32_e32 v6, s10, v6
	v_mul_lo_u32 v8, v6, s8
	v_mul_hi_u32 v11, s6, v6
	v_sub_u32_e32 v8, v3, v8
	v_add_u32_e32 v3, v6, v11
	v_lshrrev_b32_e32 v3, s7, v3
	v_mul_lo_u32 v15, v3, s11
	v_mul_lo_u32 v11, v8, s16
	;; [unrolled: 1-line block ×4, first 2 shown]
	v_sub_u32_e32 v6, v6, v15
	v_mul_lo_u32 v15, v6, s19
	v_mul_lo_u32 v16, v6, s14
	;; [unrolled: 1-line block ×3, first 2 shown]
	v_add3_u32 v10, v11, v10, v15
	v_add3_u32 v14, v13, v14, v16
	v_add3_u32 v12, v8, v12, v6
	s_cbranch_scc1 .LBB378_133
; %bb.134:
	s_bitcmp1_b32 s4, 0
	s_cselect_b64 s[4:5], -1, 0
	s_and_b64 vcc, exec, s[4:5]
	s_cbranch_vccnz .LBB378_138
; %bb.135:
	s_load_dwordx2 s[4:5], s[2:3], 0x1c
	s_load_dword s8, s[2:3], 0x24
	s_load_dwordx2 s[6:7], s[2:3], 0xdc
	s_waitcnt lgkmcnt(0)
	v_mul_hi_u32 v6, s5, v3
	v_add_u32_e32 v6, v3, v6
	v_lshrrev_b32_e32 v6, s8, v6
	v_mul_lo_u32 v6, v6, s4
	s_load_dword s4, s[2:3], 0xe4
	v_sub_u32_e32 v3, v3, v6
	v_mad_u64_u32 v[10:11], s[2:3], v3, s6, v[10:11]
	v_mad_u64_u32 v[14:15], s[2:3], v3, s7, v[14:15]
	s_waitcnt lgkmcnt(0)
	v_mad_u64_u32 v[12:13], s[2:3], v3, s4, v[12:13]
	s_cbranch_execz .LBB378_139
	s_branch .LBB378_141
.LBB378_136:
                                        ; implicit-def: $vgpr10
                                        ; implicit-def: $vgpr14
                                        ; implicit-def: $vgpr12
	s_branch .LBB378_139
.LBB378_137:
	v_mov_b32_e32 v10, 0
	v_mov_b32_e32 v14, 0
	;; [unrolled: 1-line block ×3, first 2 shown]
.LBB378_138:
	s_cbranch_execnz .LBB378_141
.LBB378_139:
	s_load_dwordx4 s[4:7], s[12:13], 0x4
	s_load_dwordx4 s[8:11], s[12:13], 0xc4
	s_cmp_lt_u32 s33, 2
	s_waitcnt lgkmcnt(0)
	v_mul_hi_u32 v3, s5, v1
	v_add_u32_e32 v3, v1, v3
	v_lshrrev_b32_e32 v3, s6, v3
	v_mul_lo_u32 v6, v3, s4
	v_sub_u32_e32 v1, v1, v6
	v_mul_lo_u32 v10, v1, s8
	v_mul_lo_u32 v14, v1, s9
	;; [unrolled: 1-line block ×3, first 2 shown]
	s_cbranch_scc1 .LBB378_141
; %bb.140:
	s_load_dwordx4 s[4:7], s[12:13], 0x10
	s_load_dwordx4 s[8:11], s[12:13], 0xd0
	s_waitcnt lgkmcnt(0)
	v_mul_hi_u32 v1, s5, v3
	v_add_u32_e32 v1, v3, v1
	v_lshrrev_b32_e32 v1, s6, v1
	v_mul_lo_u32 v1, v1, s4
	v_sub_u32_e32 v1, v3, v1
	v_mad_u64_u32 v[10:11], s[2:3], v1, s8, v[10:11]
	v_mad_u64_u32 v[14:15], s[2:3], v1, s9, v[14:15]
	;; [unrolled: 1-line block ×3, first 2 shown]
.LBB378_141:
	s_and_b64 vcc, exec, s[0:1]
	v_add_u32_e32 v1, 0x180, v31
	s_cbranch_vccnz .LBB378_147
; %bb.142:
	s_cmp_lg_u32 s33, 0
	s_cbranch_scc0 .LBB378_148
; %bb.143:
	s_min_u32 s4, s36, 15
	s_add_i32 s2, s4, 1
	s_and_b32 s5, s2, 30
	s_add_u32 s2, s12, 0xffffffe8
	s_addc_u32 s3, s13, -1
	v_mov_b32_e32 v17, 0
	v_mov_b32_e32 v19, 0
	v_mov_b32_e32 v15, 0
	v_mov_b32_e32 v3, v1
.LBB378_144:                            ; =>This Inner Loop Header: Depth=1
	s_load_dwordx4 s[8:11], s[2:3], 0x1c
	s_load_dwordx2 s[6:7], s[2:3], 0x2c
	s_load_dwordx2 s[14:15], s[2:3], 0xec
	s_load_dwordx4 s[16:19], s[2:3], 0xdc
	s_add_u32 s2, s2, 24
	s_waitcnt lgkmcnt(0)
	v_mul_hi_u32 v6, s9, v3
	s_addc_u32 s3, s3, 0
	s_add_i32 s5, s5, -2
	s_cmp_lg_u32 s5, 0
	v_add_u32_e32 v6, v3, v6
	v_lshrrev_b32_e32 v6, s10, v6
	v_mul_lo_u32 v8, v6, s8
	v_mul_hi_u32 v11, s6, v6
	v_sub_u32_e32 v8, v3, v8
	v_add_u32_e32 v3, v6, v11
	v_lshrrev_b32_e32 v3, s7, v3
	v_mul_lo_u32 v16, v3, s11
	v_mul_lo_u32 v11, v8, s16
	;; [unrolled: 1-line block ×4, first 2 shown]
	v_sub_u32_e32 v6, v6, v16
	v_mul_lo_u32 v16, v6, s19
	v_mul_lo_u32 v18, v6, s14
	;; [unrolled: 1-line block ×3, first 2 shown]
	v_add3_u32 v15, v11, v15, v16
	v_add3_u32 v19, v13, v19, v18
	;; [unrolled: 1-line block ×3, first 2 shown]
	s_cbranch_scc1 .LBB378_144
; %bb.145:
	s_bitcmp1_b32 s4, 0
	s_cselect_b64 s[4:5], -1, 0
	s_and_b64 vcc, exec, s[4:5]
	s_cbranch_vccnz .LBB378_149
; %bb.146:
	s_load_dwordx2 s[4:5], s[2:3], 0x1c
	s_load_dword s8, s[2:3], 0x24
	s_load_dwordx2 s[6:7], s[2:3], 0xdc
	s_waitcnt lgkmcnt(0)
	v_mul_hi_u32 v6, s5, v3
	v_add_u32_e32 v6, v3, v6
	v_lshrrev_b32_e32 v6, s8, v6
	v_mul_lo_u32 v6, v6, s4
	s_load_dword s4, s[2:3], 0xe4
	v_sub_u32_e32 v3, v3, v6
	v_mad_u64_u32 v[15:16], s[2:3], v3, s6, v[15:16]
	v_mad_u64_u32 v[19:20], s[2:3], v3, s7, v[19:20]
	s_waitcnt lgkmcnt(0)
	v_mad_u64_u32 v[17:18], s[2:3], v3, s4, v[17:18]
	s_cbranch_execz .LBB378_150
	s_branch .LBB378_152
.LBB378_147:
                                        ; implicit-def: $vgpr15
                                        ; implicit-def: $vgpr19
                                        ; implicit-def: $vgpr17
	s_branch .LBB378_150
.LBB378_148:
	v_mov_b32_e32 v15, 0
	v_mov_b32_e32 v19, 0
	;; [unrolled: 1-line block ×3, first 2 shown]
.LBB378_149:
	s_cbranch_execnz .LBB378_152
.LBB378_150:
	s_load_dwordx4 s[4:7], s[12:13], 0x4
	s_load_dwordx4 s[8:11], s[12:13], 0xc4
	s_cmp_lt_u32 s33, 2
	s_waitcnt lgkmcnt(0)
	v_mul_hi_u32 v3, s5, v1
	v_add_u32_e32 v3, v1, v3
	v_lshrrev_b32_e32 v3, s6, v3
	v_mul_lo_u32 v6, v3, s4
	v_sub_u32_e32 v1, v1, v6
	v_mul_lo_u32 v15, v1, s8
	v_mul_lo_u32 v19, v1, s9
	;; [unrolled: 1-line block ×3, first 2 shown]
	s_cbranch_scc1 .LBB378_152
; %bb.151:
	s_load_dwordx4 s[4:7], s[12:13], 0x10
	s_load_dwordx4 s[8:11], s[12:13], 0xd0
	s_waitcnt lgkmcnt(0)
	v_mul_hi_u32 v1, s5, v3
	v_add_u32_e32 v1, v3, v1
	v_lshrrev_b32_e32 v1, s6, v1
	v_mul_lo_u32 v1, v1, s4
	v_sub_u32_e32 v1, v3, v1
	v_mad_u64_u32 v[15:16], s[2:3], v1, s8, v[15:16]
	v_mad_u64_u32 v[19:20], s[2:3], v1, s9, v[19:20]
	;; [unrolled: 1-line block ×3, first 2 shown]
.LBB378_152:
	s_and_b64 vcc, exec, s[0:1]
	v_add_u32_e32 v1, 0x200, v31
	s_cbranch_vccnz .LBB378_158
; %bb.153:
	s_cmp_lg_u32 s33, 0
	s_cbranch_scc0 .LBB378_159
; %bb.154:
	s_min_u32 s4, s36, 15
	s_add_i32 s2, s4, 1
	s_and_b32 s5, s2, 30
	s_add_u32 s2, s12, 0xffffffe8
	s_addc_u32 s3, s13, -1
	v_mov_b32_e32 v22, 0
	v_mov_b32_e32 v24, 0
	v_mov_b32_e32 v20, 0
	v_mov_b32_e32 v3, v1
.LBB378_155:                            ; =>This Inner Loop Header: Depth=1
	s_load_dwordx4 s[8:11], s[2:3], 0x1c
	s_load_dwordx2 s[6:7], s[2:3], 0x2c
	s_load_dwordx2 s[14:15], s[2:3], 0xec
	s_load_dwordx4 s[16:19], s[2:3], 0xdc
	s_add_u32 s2, s2, 24
	s_waitcnt lgkmcnt(0)
	v_mul_hi_u32 v6, s9, v3
	s_addc_u32 s3, s3, 0
	s_add_i32 s5, s5, -2
	s_cmp_lg_u32 s5, 0
	v_add_u32_e32 v6, v3, v6
	v_lshrrev_b32_e32 v6, s10, v6
	v_mul_lo_u32 v8, v6, s8
	v_mul_hi_u32 v11, s6, v6
	v_sub_u32_e32 v8, v3, v8
	v_add_u32_e32 v3, v6, v11
	v_lshrrev_b32_e32 v3, s7, v3
	v_mul_lo_u32 v16, v3, s11
	v_mul_lo_u32 v11, v8, s16
	;; [unrolled: 1-line block ×4, first 2 shown]
	v_sub_u32_e32 v6, v6, v16
	v_mul_lo_u32 v16, v6, s19
	v_mul_lo_u32 v18, v6, s14
	;; [unrolled: 1-line block ×3, first 2 shown]
	v_add3_u32 v20, v11, v20, v16
	v_add3_u32 v24, v13, v24, v18
	;; [unrolled: 1-line block ×3, first 2 shown]
	s_cbranch_scc1 .LBB378_155
; %bb.156:
	s_bitcmp1_b32 s4, 0
	s_cselect_b64 s[4:5], -1, 0
	s_and_b64 vcc, exec, s[4:5]
	s_cbranch_vccnz .LBB378_160
; %bb.157:
	s_load_dwordx2 s[4:5], s[2:3], 0x1c
	s_load_dword s8, s[2:3], 0x24
	s_load_dwordx2 s[6:7], s[2:3], 0xdc
	s_waitcnt lgkmcnt(0)
	v_mul_hi_u32 v6, s5, v3
	v_add_u32_e32 v6, v3, v6
	v_lshrrev_b32_e32 v6, s8, v6
	v_mul_lo_u32 v6, v6, s4
	s_load_dword s4, s[2:3], 0xe4
	v_sub_u32_e32 v3, v3, v6
	v_mad_u64_u32 v[20:21], s[2:3], v3, s6, v[20:21]
	v_mad_u64_u32 v[24:25], s[2:3], v3, s7, v[24:25]
	s_waitcnt lgkmcnt(0)
	v_mad_u64_u32 v[22:23], s[2:3], v3, s4, v[22:23]
	s_cbranch_execz .LBB378_161
	s_branch .LBB378_163
.LBB378_158:
                                        ; implicit-def: $vgpr20
                                        ; implicit-def: $vgpr24
                                        ; implicit-def: $vgpr22
	s_branch .LBB378_161
.LBB378_159:
	v_mov_b32_e32 v20, 0
	v_mov_b32_e32 v24, 0
	;; [unrolled: 1-line block ×3, first 2 shown]
.LBB378_160:
	s_cbranch_execnz .LBB378_163
.LBB378_161:
	s_load_dwordx4 s[4:7], s[12:13], 0x4
	s_load_dwordx4 s[8:11], s[12:13], 0xc4
	s_cmp_lt_u32 s33, 2
	s_waitcnt lgkmcnt(0)
	v_mul_hi_u32 v3, s5, v1
	v_add_u32_e32 v3, v1, v3
	v_lshrrev_b32_e32 v3, s6, v3
	v_mul_lo_u32 v6, v3, s4
	v_sub_u32_e32 v1, v1, v6
	v_mul_lo_u32 v20, v1, s8
	v_mul_lo_u32 v24, v1, s9
	;; [unrolled: 1-line block ×3, first 2 shown]
	s_cbranch_scc1 .LBB378_163
; %bb.162:
	s_load_dwordx4 s[4:7], s[12:13], 0x10
	s_load_dwordx4 s[8:11], s[12:13], 0xd0
	s_waitcnt lgkmcnt(0)
	v_mul_hi_u32 v1, s5, v3
	v_add_u32_e32 v1, v3, v1
	v_lshrrev_b32_e32 v1, s6, v1
	v_mul_lo_u32 v1, v1, s4
	v_sub_u32_e32 v1, v3, v1
	v_mad_u64_u32 v[20:21], s[2:3], v1, s8, v[20:21]
	v_mad_u64_u32 v[24:25], s[2:3], v1, s9, v[24:25]
	v_mad_u64_u32 v[22:23], s[2:3], v1, s10, v[22:23]
.LBB378_163:
	s_and_b64 vcc, exec, s[0:1]
	v_add_u32_e32 v1, 0x280, v31
	s_cbranch_vccnz .LBB378_169
; %bb.164:
	s_cmp_lg_u32 s33, 0
	s_cbranch_scc0 .LBB378_170
; %bb.165:
	s_min_u32 s4, s36, 15
	s_add_i32 s2, s4, 1
	s_and_b32 s5, s2, 30
	s_add_u32 s2, s12, 0xffffffe8
	s_addc_u32 s3, s13, -1
	v_mov_b32_e32 v27, 0
	v_mov_b32_e32 v29, 0
	v_mov_b32_e32 v25, 0
	v_mov_b32_e32 v3, v1
.LBB378_166:                            ; =>This Inner Loop Header: Depth=1
	s_load_dwordx4 s[8:11], s[2:3], 0x1c
	s_load_dwordx2 s[6:7], s[2:3], 0x2c
	s_load_dwordx2 s[14:15], s[2:3], 0xec
	s_load_dwordx4 s[16:19], s[2:3], 0xdc
	s_add_u32 s2, s2, 24
	s_waitcnt lgkmcnt(0)
	v_mul_hi_u32 v6, s9, v3
	s_addc_u32 s3, s3, 0
	s_add_i32 s5, s5, -2
	s_cmp_lg_u32 s5, 0
	v_add_u32_e32 v6, v3, v6
	v_lshrrev_b32_e32 v6, s10, v6
	v_mul_lo_u32 v8, v6, s8
	v_mul_hi_u32 v11, s6, v6
	v_sub_u32_e32 v8, v3, v8
	v_add_u32_e32 v3, v6, v11
	v_lshrrev_b32_e32 v3, s7, v3
	v_mul_lo_u32 v16, v3, s11
	v_mul_lo_u32 v11, v8, s16
	;; [unrolled: 1-line block ×4, first 2 shown]
	v_sub_u32_e32 v6, v6, v16
	v_mul_lo_u32 v16, v6, s19
	v_mul_lo_u32 v18, v6, s14
	;; [unrolled: 1-line block ×3, first 2 shown]
	v_add3_u32 v25, v11, v25, v16
	v_add3_u32 v29, v13, v29, v18
	;; [unrolled: 1-line block ×3, first 2 shown]
	s_cbranch_scc1 .LBB378_166
; %bb.167:
	s_bitcmp1_b32 s4, 0
	s_cselect_b64 s[4:5], -1, 0
	s_and_b64 vcc, exec, s[4:5]
	s_cbranch_vccnz .LBB378_171
; %bb.168:
	s_load_dwordx2 s[4:5], s[2:3], 0x1c
	s_load_dword s8, s[2:3], 0x24
	s_load_dwordx2 s[6:7], s[2:3], 0xdc
	s_waitcnt lgkmcnt(0)
	v_mul_hi_u32 v6, s5, v3
	v_add_u32_e32 v6, v3, v6
	v_lshrrev_b32_e32 v6, s8, v6
	v_mul_lo_u32 v6, v6, s4
	s_load_dword s4, s[2:3], 0xe4
	v_sub_u32_e32 v3, v3, v6
	v_mad_u64_u32 v[25:26], s[2:3], v3, s6, v[25:26]
	v_mad_u64_u32 v[29:30], s[2:3], v3, s7, v[29:30]
	s_waitcnt lgkmcnt(0)
	v_mad_u64_u32 v[27:28], s[2:3], v3, s4, v[27:28]
	s_cbranch_execz .LBB378_172
	s_branch .LBB378_174
.LBB378_169:
                                        ; implicit-def: $vgpr25
                                        ; implicit-def: $vgpr29
                                        ; implicit-def: $vgpr27
	s_branch .LBB378_172
.LBB378_170:
	v_mov_b32_e32 v25, 0
	v_mov_b32_e32 v29, 0
	;; [unrolled: 1-line block ×3, first 2 shown]
.LBB378_171:
	s_cbranch_execnz .LBB378_174
.LBB378_172:
	s_load_dwordx4 s[4:7], s[12:13], 0x4
	s_load_dwordx4 s[8:11], s[12:13], 0xc4
	s_cmp_lt_u32 s33, 2
	s_waitcnt lgkmcnt(0)
	v_mul_hi_u32 v3, s5, v1
	v_add_u32_e32 v3, v1, v3
	v_lshrrev_b32_e32 v3, s6, v3
	v_mul_lo_u32 v6, v3, s4
	v_sub_u32_e32 v1, v1, v6
	v_mul_lo_u32 v25, v1, s8
	v_mul_lo_u32 v29, v1, s9
	;; [unrolled: 1-line block ×3, first 2 shown]
	s_cbranch_scc1 .LBB378_174
; %bb.173:
	s_load_dwordx4 s[4:7], s[12:13], 0x10
	s_load_dwordx4 s[8:11], s[12:13], 0xd0
	s_waitcnt lgkmcnt(0)
	v_mul_hi_u32 v1, s5, v3
	v_add_u32_e32 v1, v3, v1
	v_lshrrev_b32_e32 v1, s6, v1
	v_mul_lo_u32 v1, v1, s4
	v_sub_u32_e32 v1, v3, v1
	v_mad_u64_u32 v[25:26], s[2:3], v1, s8, v[25:26]
	v_mad_u64_u32 v[29:30], s[2:3], v1, s9, v[29:30]
	;; [unrolled: 1-line block ×3, first 2 shown]
.LBB378_174:
	s_and_b64 vcc, exec, s[0:1]
	v_add_u32_e32 v1, 0x300, v31
	s_cbranch_vccnz .LBB378_180
; %bb.175:
	s_cmp_lg_u32 s33, 0
	s_cbranch_scc0 .LBB378_181
; %bb.176:
	s_min_u32 s4, s36, 15
	s_add_i32 s2, s4, 1
	s_and_b32 s5, s2, 30
	s_add_u32 s2, s12, 0xffffffe8
	s_addc_u32 s3, s13, -1
	v_mov_b32_e32 v34, 0
	v_mov_b32_e32 v32, 0
	;; [unrolled: 1-line block ×4, first 2 shown]
.LBB378_177:                            ; =>This Inner Loop Header: Depth=1
	s_load_dwordx4 s[8:11], s[2:3], 0x1c
	s_load_dwordx2 s[6:7], s[2:3], 0x2c
	s_load_dwordx2 s[14:15], s[2:3], 0xec
	s_load_dwordx4 s[16:19], s[2:3], 0xdc
	s_add_u32 s2, s2, 24
	s_waitcnt lgkmcnt(0)
	v_mul_hi_u32 v6, s9, v3
	s_addc_u32 s3, s3, 0
	s_add_i32 s5, s5, -2
	s_cmp_lg_u32 s5, 0
	v_add_u32_e32 v6, v3, v6
	v_lshrrev_b32_e32 v6, s10, v6
	v_mul_lo_u32 v8, v6, s8
	v_mul_hi_u32 v11, s6, v6
	v_sub_u32_e32 v8, v3, v8
	v_add_u32_e32 v3, v6, v11
	v_lshrrev_b32_e32 v3, s7, v3
	v_mul_lo_u32 v16, v3, s11
	v_mul_lo_u32 v11, v8, s16
	v_mul_lo_u32 v13, v8, s17
	v_mul_lo_u32 v8, v8, s18
	v_sub_u32_e32 v6, v6, v16
	v_mul_lo_u32 v16, v6, s19
	v_mul_lo_u32 v18, v6, s14
	;; [unrolled: 1-line block ×3, first 2 shown]
	v_add3_u32 v30, v11, v30, v16
	v_add3_u32 v32, v13, v32, v18
	;; [unrolled: 1-line block ×3, first 2 shown]
	s_cbranch_scc1 .LBB378_177
; %bb.178:
	s_bitcmp1_b32 s4, 0
	s_cselect_b64 s[4:5], -1, 0
	s_and_b64 vcc, exec, s[4:5]
	s_cbranch_vccnz .LBB378_182
; %bb.179:
	s_load_dwordx2 s[4:5], s[2:3], 0x1c
	s_load_dword s8, s[2:3], 0x24
	s_load_dwordx2 s[6:7], s[2:3], 0xdc
	s_waitcnt lgkmcnt(0)
	v_mul_hi_u32 v6, s5, v3
	v_add_u32_e32 v6, v3, v6
	v_lshrrev_b32_e32 v6, s8, v6
	v_mul_lo_u32 v6, v6, s4
	s_load_dword s4, s[2:3], 0xe4
	v_sub_u32_e32 v3, v3, v6
	v_mad_u64_u32 v[30:31], s[2:3], v3, s6, v[30:31]
	v_mad_u64_u32 v[32:33], s[2:3], v3, s7, v[32:33]
	s_waitcnt lgkmcnt(0)
	v_mad_u64_u32 v[34:35], s[2:3], v3, s4, v[34:35]
	s_cbranch_execz .LBB378_183
	s_branch .LBB378_185
.LBB378_180:
                                        ; implicit-def: $vgpr30
                                        ; implicit-def: $vgpr32
                                        ; implicit-def: $vgpr34
	s_branch .LBB378_183
.LBB378_181:
	v_mov_b32_e32 v30, 0
	v_mov_b32_e32 v32, 0
	;; [unrolled: 1-line block ×3, first 2 shown]
.LBB378_182:
	s_cbranch_execnz .LBB378_185
.LBB378_183:
	s_load_dwordx4 s[4:7], s[12:13], 0x4
	s_load_dwordx4 s[8:11], s[12:13], 0xc4
	s_cmp_lt_u32 s33, 2
	s_waitcnt lgkmcnt(0)
	v_mul_hi_u32 v3, s5, v1
	v_add_u32_e32 v3, v1, v3
	v_lshrrev_b32_e32 v3, s6, v3
	v_mul_lo_u32 v6, v3, s4
	v_sub_u32_e32 v1, v1, v6
	v_mul_lo_u32 v30, v1, s8
	v_mul_lo_u32 v32, v1, s9
	;; [unrolled: 1-line block ×3, first 2 shown]
	s_cbranch_scc1 .LBB378_185
; %bb.184:
	s_load_dwordx4 s[4:7], s[12:13], 0x10
	s_load_dwordx4 s[8:11], s[12:13], 0xd0
	s_waitcnt lgkmcnt(0)
	v_mul_hi_u32 v1, s5, v3
	v_add_u32_e32 v1, v3, v1
	v_lshrrev_b32_e32 v1, s6, v1
	v_mul_lo_u32 v1, v1, s4
	v_sub_u32_e32 v1, v3, v1
	v_mad_u64_u32 v[30:31], s[2:3], v1, s8, v[30:31]
	v_mad_u64_u32 v[32:33], s[2:3], v1, s9, v[32:33]
	;; [unrolled: 1-line block ×3, first 2 shown]
.LBB378_185:
	s_and_b64 vcc, exec, s[0:1]
	s_cbranch_vccnz .LBB378_191
; %bb.186:
	s_cmp_lg_u32 s33, 0
	s_cbranch_scc0 .LBB378_192
; %bb.187:
	s_min_u32 s2, s36, 15
	s_add_i32 s0, s2, 1
	s_and_b32 s3, s0, 30
	s_add_u32 s0, s12, 0xffffffe8
	s_addc_u32 s1, s13, -1
	v_mov_b32_e32 v39, 0
	v_mov_b32_e32 v37, 0
	v_mov_b32_e32 v35, 0
	v_mov_b32_e32 v1, v41
.LBB378_188:                            ; =>This Inner Loop Header: Depth=1
	s_load_dwordx4 s[4:7], s[0:1], 0x1c
	s_load_dwordx2 s[14:15], s[0:1], 0x2c
	s_load_dwordx2 s[16:17], s[0:1], 0xec
	s_load_dwordx4 s[8:11], s[0:1], 0xdc
	s_add_u32 s0, s0, 24
	s_waitcnt lgkmcnt(0)
	v_mul_hi_u32 v3, s5, v1
	s_addc_u32 s1, s1, 0
	s_add_i32 s3, s3, -2
	s_cmp_lg_u32 s3, 0
	v_add_u32_e32 v3, v1, v3
	v_lshrrev_b32_e32 v3, s6, v3
	v_mul_lo_u32 v6, v3, s4
	v_mul_hi_u32 v8, s14, v3
	v_sub_u32_e32 v6, v1, v6
	v_add_u32_e32 v1, v3, v8
	v_lshrrev_b32_e32 v1, s15, v1
	v_mul_lo_u32 v13, v1, s7
	v_mul_lo_u32 v8, v6, s8
	;; [unrolled: 1-line block ×4, first 2 shown]
	v_sub_u32_e32 v3, v3, v13
	v_mul_lo_u32 v13, v3, s11
	v_mul_lo_u32 v16, v3, s16
	;; [unrolled: 1-line block ×3, first 2 shown]
	v_add3_u32 v35, v8, v35, v13
	v_add3_u32 v37, v11, v37, v16
	;; [unrolled: 1-line block ×3, first 2 shown]
	s_cbranch_scc1 .LBB378_188
; %bb.189:
	s_bitcmp1_b32 s2, 0
	s_cselect_b64 s[2:3], -1, 0
	s_and_b64 vcc, exec, s[2:3]
	s_cbranch_vccnz .LBB378_193
; %bb.190:
	s_load_dwordx2 s[2:3], s[0:1], 0x1c
	s_load_dword s6, s[0:1], 0x24
	s_load_dwordx2 s[4:5], s[0:1], 0xdc
	s_waitcnt lgkmcnt(0)
	v_mul_hi_u32 v3, s3, v1
	v_add_u32_e32 v3, v1, v3
	v_lshrrev_b32_e32 v3, s6, v3
	v_mul_lo_u32 v3, v3, s2
	s_load_dword s2, s[0:1], 0xe4
	v_sub_u32_e32 v1, v1, v3
	v_mad_u64_u32 v[35:36], s[0:1], v1, s4, v[35:36]
	v_mad_u64_u32 v[37:38], s[0:1], v1, s5, v[37:38]
	s_waitcnt lgkmcnt(0)
	v_mad_u64_u32 v[39:40], s[0:1], v1, s2, v[39:40]
	s_cbranch_execz .LBB378_194
	s_branch .LBB378_196
.LBB378_191:
                                        ; implicit-def: $vgpr35
                                        ; implicit-def: $vgpr37
                                        ; implicit-def: $vgpr39
	s_branch .LBB378_194
.LBB378_192:
	v_mov_b32_e32 v35, 0
	v_mov_b32_e32 v37, 0
	;; [unrolled: 1-line block ×3, first 2 shown]
.LBB378_193:
	s_cbranch_execnz .LBB378_196
.LBB378_194:
	s_load_dwordx4 s[0:3], s[12:13], 0x4
	s_load_dwordx4 s[4:7], s[12:13], 0xc4
	s_cmp_lt_u32 s33, 2
	s_waitcnt lgkmcnt(0)
	v_mul_hi_u32 v1, s1, v41
	v_add_u32_e32 v1, v41, v1
	v_lshrrev_b32_e32 v1, s2, v1
	v_mul_lo_u32 v3, v1, s0
	v_sub_u32_e32 v3, v41, v3
	v_mul_lo_u32 v35, v3, s4
	v_mul_lo_u32 v37, v3, s5
	;; [unrolled: 1-line block ×3, first 2 shown]
	s_cbranch_scc1 .LBB378_196
; %bb.195:
	s_load_dwordx4 s[0:3], s[12:13], 0x10
	s_load_dwordx4 s[4:7], s[12:13], 0xd0
	s_waitcnt lgkmcnt(0)
	v_mul_hi_u32 v3, s1, v1
	v_add_u32_e32 v3, v1, v3
	v_lshrrev_b32_e32 v3, s2, v3
	v_mul_lo_u32 v3, v3, s0
	v_sub_u32_e32 v1, v1, v3
	v_mad_u64_u32 v[35:36], s[0:1], v1, s4, v[35:36]
	v_mad_u64_u32 v[37:38], s[0:1], v1, s5, v[37:38]
	;; [unrolled: 1-line block ×3, first 2 shown]
.LBB378_196:
	s_load_dwordx4 s[16:19], s[12:13], 0x188
	s_load_dwordx2 s[0:1], s[12:13], 0x198
	s_waitcnt lgkmcnt(0)
	global_load_ubyte v1, v4, s[18:19]
	s_nop 0
	global_load_ubyte v3, v2, s[0:1]
	global_load_ubyte v6, v9, s[18:19]
	;; [unrolled: 1-line block ×7, first 2 shown]
                                        ; kill: killed $vgpr4
                                        ; kill: killed $vgpr9
                                        ; kill: killed $vgpr2
                                        ; kill: killed $vgpr14
                                        ; kill: killed $vgpr7
                                        ; kill: killed $vgpr19
                                        ; kill: killed $vgpr12
                                        ; kill: killed $vgpr17
	global_load_ubyte v2, v24, s[18:19]
	global_load_ubyte v4, v22, s[0:1]
	;; [unrolled: 1-line block ×8, first 2 shown]
	s_load_dword s0, s[12:13], 0x1a0
	s_waitcnt lgkmcnt(0)
	s_cmp_eq_u32 s0, 0
	s_cselect_b64 s[14:15], -1, 0
	s_waitcnt vmcnt(14)
	v_cmp_ne_u16_e32 vcc, v1, v3
	s_xor_b64 s[18:19], s[14:15], vcc
	s_waitcnt vmcnt(12)
	v_cmp_ne_u16_e64 s[0:1], v6, v8
	s_xor_b64 s[0:1], s[14:15], s[0:1]
	s_waitcnt vmcnt(10)
	v_cmp_ne_u16_e64 s[2:3], v11, v13
	v_cndmask_b32_e64 v1, 0, 1, s[18:19]
	s_waitcnt vmcnt(8)
	v_cmp_ne_u16_e64 s[4:5], v16, v18
	s_waitcnt vmcnt(6)
	v_cmp_ne_u16_e64 s[6:7], v2, v4
	v_cndmask_b32_e64 v2, 0, 1, s[0:1]
	s_xor_b64 s[0:1], s[14:15], s[2:3]
	v_cndmask_b32_e64 v3, 0, 1, s[0:1]
	s_xor_b64 s[0:1], s[14:15], s[4:5]
	s_waitcnt vmcnt(4)
	v_cmp_ne_u16_e64 s[8:9], v7, v9
	v_cndmask_b32_e64 v4, 0, 1, s[0:1]
	s_xor_b64 s[0:1], s[14:15], s[6:7]
	s_waitcnt vmcnt(2)
	v_cmp_ne_u16_e64 s[10:11], v12, v14
	;; [unrolled: 4-line block ×3, first 2 shown]
	v_cndmask_b32_e64 v7, 0, 1, s[0:1]
	s_xor_b64 s[0:1], s[14:15], s[10:11]
	v_cndmask_b32_e64 v8, 0, 1, s[0:1]
	s_xor_b64 s[0:1], s[14:15], s[12:13]
	v_cndmask_b32_e64 v9, 0, 1, s[0:1]
	global_store_byte v0, v1, s[16:17]
	global_store_byte v5, v2, s[16:17]
	global_store_byte v10, v3, s[16:17]
	global_store_byte v15, v4, s[16:17]
	global_store_byte v20, v6, s[16:17]
	global_store_byte v25, v7, s[16:17]
	global_store_byte v30, v8, s[16:17]
	global_store_byte v35, v9, s[16:17]
	s_endpgm
	.section	.rodata,"a",@progbits
	.p2align	6, 0x0
	.amdhsa_kernel _ZN2at6native32elementwise_kernel_manual_unrollILi128ELi8EZNS0_22gpu_kernel_impl_nocastINS0_13BinaryFunctorIN3c1016Float4_e2m1fn_x2ES5_bNS0_12_GLOBAL__N_116CompareEqFunctorIS5_EEEEEEvRNS_18TensorIteratorBaseERKT_EUlibE_EEviT1_
		.amdhsa_group_segment_fixed_size 0
		.amdhsa_private_segment_fixed_size 0
		.amdhsa_kernarg_size 432
		.amdhsa_user_sgpr_count 6
		.amdhsa_user_sgpr_private_segment_buffer 1
		.amdhsa_user_sgpr_dispatch_ptr 0
		.amdhsa_user_sgpr_queue_ptr 0
		.amdhsa_user_sgpr_kernarg_segment_ptr 1
		.amdhsa_user_sgpr_dispatch_id 0
		.amdhsa_user_sgpr_flat_scratch_init 0
		.amdhsa_user_sgpr_private_segment_size 0
		.amdhsa_uses_dynamic_stack 0
		.amdhsa_system_sgpr_private_segment_wavefront_offset 0
		.amdhsa_system_sgpr_workgroup_id_x 1
		.amdhsa_system_sgpr_workgroup_id_y 0
		.amdhsa_system_sgpr_workgroup_id_z 0
		.amdhsa_system_sgpr_workgroup_info 0
		.amdhsa_system_vgpr_workitem_id 0
		.amdhsa_next_free_vgpr 42
		.amdhsa_next_free_sgpr 52
		.amdhsa_reserve_vcc 1
		.amdhsa_reserve_flat_scratch 0
		.amdhsa_float_round_mode_32 0
		.amdhsa_float_round_mode_16_64 0
		.amdhsa_float_denorm_mode_32 3
		.amdhsa_float_denorm_mode_16_64 3
		.amdhsa_dx10_clamp 1
		.amdhsa_ieee_mode 1
		.amdhsa_fp16_overflow 0
		.amdhsa_exception_fp_ieee_invalid_op 0
		.amdhsa_exception_fp_denorm_src 0
		.amdhsa_exception_fp_ieee_div_zero 0
		.amdhsa_exception_fp_ieee_overflow 0
		.amdhsa_exception_fp_ieee_underflow 0
		.amdhsa_exception_fp_ieee_inexact 0
		.amdhsa_exception_int_div_zero 0
	.end_amdhsa_kernel
	.section	.text._ZN2at6native32elementwise_kernel_manual_unrollILi128ELi8EZNS0_22gpu_kernel_impl_nocastINS0_13BinaryFunctorIN3c1016Float4_e2m1fn_x2ES5_bNS0_12_GLOBAL__N_116CompareEqFunctorIS5_EEEEEEvRNS_18TensorIteratorBaseERKT_EUlibE_EEviT1_,"axG",@progbits,_ZN2at6native32elementwise_kernel_manual_unrollILi128ELi8EZNS0_22gpu_kernel_impl_nocastINS0_13BinaryFunctorIN3c1016Float4_e2m1fn_x2ES5_bNS0_12_GLOBAL__N_116CompareEqFunctorIS5_EEEEEEvRNS_18TensorIteratorBaseERKT_EUlibE_EEviT1_,comdat
.Lfunc_end378:
	.size	_ZN2at6native32elementwise_kernel_manual_unrollILi128ELi8EZNS0_22gpu_kernel_impl_nocastINS0_13BinaryFunctorIN3c1016Float4_e2m1fn_x2ES5_bNS0_12_GLOBAL__N_116CompareEqFunctorIS5_EEEEEEvRNS_18TensorIteratorBaseERKT_EUlibE_EEviT1_, .Lfunc_end378-_ZN2at6native32elementwise_kernel_manual_unrollILi128ELi8EZNS0_22gpu_kernel_impl_nocastINS0_13BinaryFunctorIN3c1016Float4_e2m1fn_x2ES5_bNS0_12_GLOBAL__N_116CompareEqFunctorIS5_EEEEEEvRNS_18TensorIteratorBaseERKT_EUlibE_EEviT1_
                                        ; -- End function
	.set _ZN2at6native32elementwise_kernel_manual_unrollILi128ELi8EZNS0_22gpu_kernel_impl_nocastINS0_13BinaryFunctorIN3c1016Float4_e2m1fn_x2ES5_bNS0_12_GLOBAL__N_116CompareEqFunctorIS5_EEEEEEvRNS_18TensorIteratorBaseERKT_EUlibE_EEviT1_.num_vgpr, 42
	.set _ZN2at6native32elementwise_kernel_manual_unrollILi128ELi8EZNS0_22gpu_kernel_impl_nocastINS0_13BinaryFunctorIN3c1016Float4_e2m1fn_x2ES5_bNS0_12_GLOBAL__N_116CompareEqFunctorIS5_EEEEEEvRNS_18TensorIteratorBaseERKT_EUlibE_EEviT1_.num_agpr, 0
	.set _ZN2at6native32elementwise_kernel_manual_unrollILi128ELi8EZNS0_22gpu_kernel_impl_nocastINS0_13BinaryFunctorIN3c1016Float4_e2m1fn_x2ES5_bNS0_12_GLOBAL__N_116CompareEqFunctorIS5_EEEEEEvRNS_18TensorIteratorBaseERKT_EUlibE_EEviT1_.numbered_sgpr, 52
	.set _ZN2at6native32elementwise_kernel_manual_unrollILi128ELi8EZNS0_22gpu_kernel_impl_nocastINS0_13BinaryFunctorIN3c1016Float4_e2m1fn_x2ES5_bNS0_12_GLOBAL__N_116CompareEqFunctorIS5_EEEEEEvRNS_18TensorIteratorBaseERKT_EUlibE_EEviT1_.num_named_barrier, 0
	.set _ZN2at6native32elementwise_kernel_manual_unrollILi128ELi8EZNS0_22gpu_kernel_impl_nocastINS0_13BinaryFunctorIN3c1016Float4_e2m1fn_x2ES5_bNS0_12_GLOBAL__N_116CompareEqFunctorIS5_EEEEEEvRNS_18TensorIteratorBaseERKT_EUlibE_EEviT1_.private_seg_size, 0
	.set _ZN2at6native32elementwise_kernel_manual_unrollILi128ELi8EZNS0_22gpu_kernel_impl_nocastINS0_13BinaryFunctorIN3c1016Float4_e2m1fn_x2ES5_bNS0_12_GLOBAL__N_116CompareEqFunctorIS5_EEEEEEvRNS_18TensorIteratorBaseERKT_EUlibE_EEviT1_.uses_vcc, 1
	.set _ZN2at6native32elementwise_kernel_manual_unrollILi128ELi8EZNS0_22gpu_kernel_impl_nocastINS0_13BinaryFunctorIN3c1016Float4_e2m1fn_x2ES5_bNS0_12_GLOBAL__N_116CompareEqFunctorIS5_EEEEEEvRNS_18TensorIteratorBaseERKT_EUlibE_EEviT1_.uses_flat_scratch, 0
	.set _ZN2at6native32elementwise_kernel_manual_unrollILi128ELi8EZNS0_22gpu_kernel_impl_nocastINS0_13BinaryFunctorIN3c1016Float4_e2m1fn_x2ES5_bNS0_12_GLOBAL__N_116CompareEqFunctorIS5_EEEEEEvRNS_18TensorIteratorBaseERKT_EUlibE_EEviT1_.has_dyn_sized_stack, 0
	.set _ZN2at6native32elementwise_kernel_manual_unrollILi128ELi8EZNS0_22gpu_kernel_impl_nocastINS0_13BinaryFunctorIN3c1016Float4_e2m1fn_x2ES5_bNS0_12_GLOBAL__N_116CompareEqFunctorIS5_EEEEEEvRNS_18TensorIteratorBaseERKT_EUlibE_EEviT1_.has_recursion, 0
	.set _ZN2at6native32elementwise_kernel_manual_unrollILi128ELi8EZNS0_22gpu_kernel_impl_nocastINS0_13BinaryFunctorIN3c1016Float4_e2m1fn_x2ES5_bNS0_12_GLOBAL__N_116CompareEqFunctorIS5_EEEEEEvRNS_18TensorIteratorBaseERKT_EUlibE_EEviT1_.has_indirect_call, 0
	.section	.AMDGPU.csdata,"",@progbits
; Kernel info:
; codeLenInByte = 9384
; TotalNumSgprs: 56
; NumVgprs: 42
; ScratchSize: 0
; MemoryBound: 0
; FloatMode: 240
; IeeeMode: 1
; LDSByteSize: 0 bytes/workgroup (compile time only)
; SGPRBlocks: 6
; VGPRBlocks: 10
; NumSGPRsForWavesPerEU: 56
; NumVGPRsForWavesPerEU: 42
; Occupancy: 5
; WaveLimiterHint : 1
; COMPUTE_PGM_RSRC2:SCRATCH_EN: 0
; COMPUTE_PGM_RSRC2:USER_SGPR: 6
; COMPUTE_PGM_RSRC2:TRAP_HANDLER: 0
; COMPUTE_PGM_RSRC2:TGID_X_EN: 1
; COMPUTE_PGM_RSRC2:TGID_Y_EN: 0
; COMPUTE_PGM_RSRC2:TGID_Z_EN: 0
; COMPUTE_PGM_RSRC2:TIDIG_COMP_CNT: 0
	.section	.text._ZN2at6native32elementwise_kernel_manual_unrollILi128ELi4EZNS0_15gpu_kernel_implINS0_13BinaryFunctorIN3c1016Float4_e2m1fn_x2ES5_bNS0_12_GLOBAL__N_116CompareEqFunctorIS5_EEEEEEvRNS_18TensorIteratorBaseERKT_EUlibE_EEviT1_,"axG",@progbits,_ZN2at6native32elementwise_kernel_manual_unrollILi128ELi4EZNS0_15gpu_kernel_implINS0_13BinaryFunctorIN3c1016Float4_e2m1fn_x2ES5_bNS0_12_GLOBAL__N_116CompareEqFunctorIS5_EEEEEEvRNS_18TensorIteratorBaseERKT_EUlibE_EEviT1_,comdat
	.globl	_ZN2at6native32elementwise_kernel_manual_unrollILi128ELi4EZNS0_15gpu_kernel_implINS0_13BinaryFunctorIN3c1016Float4_e2m1fn_x2ES5_bNS0_12_GLOBAL__N_116CompareEqFunctorIS5_EEEEEEvRNS_18TensorIteratorBaseERKT_EUlibE_EEviT1_ ; -- Begin function _ZN2at6native32elementwise_kernel_manual_unrollILi128ELi4EZNS0_15gpu_kernel_implINS0_13BinaryFunctorIN3c1016Float4_e2m1fn_x2ES5_bNS0_12_GLOBAL__N_116CompareEqFunctorIS5_EEEEEEvRNS_18TensorIteratorBaseERKT_EUlibE_EEviT1_
	.p2align	8
	.type	_ZN2at6native32elementwise_kernel_manual_unrollILi128ELi4EZNS0_15gpu_kernel_implINS0_13BinaryFunctorIN3c1016Float4_e2m1fn_x2ES5_bNS0_12_GLOBAL__N_116CompareEqFunctorIS5_EEEEEEvRNS_18TensorIteratorBaseERKT_EUlibE_EEviT1_,@function
_ZN2at6native32elementwise_kernel_manual_unrollILi128ELi4EZNS0_15gpu_kernel_implINS0_13BinaryFunctorIN3c1016Float4_e2m1fn_x2ES5_bNS0_12_GLOBAL__N_116CompareEqFunctorIS5_EEEEEEvRNS_18TensorIteratorBaseERKT_EUlibE_EEviT1_: ; @_ZN2at6native32elementwise_kernel_manual_unrollILi128ELi4EZNS0_15gpu_kernel_implINS0_13BinaryFunctorIN3c1016Float4_e2m1fn_x2ES5_bNS0_12_GLOBAL__N_116CompareEqFunctorIS5_EEEEEEvRNS_18TensorIteratorBaseERKT_EUlibE_EEviT1_
; %bb.0:
	s_load_dword s33, s[4:5], 0x30
	s_load_dword s50, s[4:5], 0x0
	s_load_dwordx4 s[8:11], s[4:5], 0x8
	s_load_dwordx2 s[2:3], s[4:5], 0x18
	s_load_dwordx4 s[12:15], s[4:5], 0x20
	v_lshl_or_b32 v14, s6, 9, v0
	v_or_b32_e32 v0, 0x180, v14
	s_waitcnt lgkmcnt(0)
	s_lshr_b32 s57, s33, 8
	s_lshr_b32 s56, s33, 16
	v_cmp_le_i32_e32 vcc, s50, v0
	s_mov_b64 s[4:5], 0
	s_mov_b64 s[16:17], 0
	s_and_saveexec_b64 s[0:1], vcc
	s_xor_b64 s[6:7], exec, s[0:1]
	s_cbranch_execz .LBB379_1512
; %bb.1:
	s_cmp_eq_u32 s15, 0
	s_cselect_b64 s[16:17], -1, 0
	v_cmp_gt_i32_e32 vcc, s50, v14
	s_mov_b64 s[0:1], -1
	s_mov_b64 s[28:29], 0
	s_mov_b64 s[22:23], 0
	;; [unrolled: 1-line block ×4, first 2 shown]
	s_and_saveexec_b64 s[24:25], vcc
	s_cbranch_execz .LBB379_375
; %bb.2:
	v_mul_lo_u32 v0, v14, s13
	v_mov_b32_e32 v1, s11
	s_and_b32 s20, s57, 0xff
	s_cmp_lt_i32 s20, 11
	v_ashrrev_i32_e32 v3, 31, v0
	v_add_co_u32_e32 v2, vcc, s10, v0
	v_addc_co_u32_e32 v3, vcc, v1, v3, vcc
	s_cbranch_scc1 .LBB379_9
; %bb.3:
	s_and_b32 s21, 0xffff, s20
	s_cmp_gt_i32 s21, 25
	s_cbranch_scc0 .LBB379_18
; %bb.4:
	s_cmp_gt_i32 s21, 28
	s_cbranch_scc0 .LBB379_28
; %bb.5:
	;; [unrolled: 3-line block ×4, first 2 shown]
	s_cmp_eq_u32 s21, 46
	s_cbranch_scc0 .LBB379_37
; %bb.8:
	global_load_dword v0, v[2:3], off
	s_waitcnt vmcnt(0)
	v_lshlrev_b32_e32 v0, 16, v0
	v_cvt_i32_f32_e32 v0, v0
	s_branch .LBB379_39
.LBB379_9:
                                        ; implicit-def: $vgpr0
	s_mov_b64 s[0:1], 0
	s_cbranch_execnz .LBB379_101
.LBB379_10:
	s_andn2_b64 vcc, exec, s[0:1]
	s_cbranch_vccnz .LBB379_148
.LBB379_11:
	s_waitcnt vmcnt(0)
	v_mul_lo_u32 v1, v14, s14
	v_mov_b32_e32 v2, s3
	s_and_b32 s26, s56, 0xff
	s_cmp_lt_i32 s26, 11
	v_ashrrev_i32_e32 v3, 31, v1
	v_add_co_u32_e32 v1, vcc, s2, v1
	v_addc_co_u32_e32 v2, vcc, v2, v3, vcc
	s_cbranch_scc1 .LBB379_19
; %bb.12:
	s_and_b32 s27, 0xffff, s26
	s_cmp_gt_i32 s27, 25
	s_cbranch_scc0 .LBB379_29
; %bb.13:
	s_cmp_gt_i32 s27, 28
	s_cbranch_scc0 .LBB379_32
; %bb.14:
	;; [unrolled: 3-line block ×4, first 2 shown]
	s_cmp_eq_u32 s27, 46
	s_mov_b64 s[18:19], 0
	s_cbranch_scc0 .LBB379_149
; %bb.17:
	global_load_dword v3, v[1:2], off
	s_mov_b64 s[0:1], -1
	s_mov_b64 s[20:21], 0
	s_waitcnt vmcnt(0)
	v_lshlrev_b32_e32 v3, 16, v3
	v_cvt_i32_f32_e32 v3, v3
	s_branch .LBB379_151
.LBB379_18:
	s_mov_b64 s[0:1], 0
                                        ; implicit-def: $vgpr0
	s_cbranch_execnz .LBB379_68
	s_branch .LBB379_100
.LBB379_19:
	s_mov_b64 s[20:21], 0
                                        ; implicit-def: $vgpr3
	s_mov_b64 s[0:1], 0
	s_cbranch_execnz .LBB379_324
.LBB379_20:
	s_andn2_b64 vcc, exec, s[0:1]
	s_cbranch_vccnz .LBB379_372
.LBB379_21:
	v_mul_lo_u32 v1, v14, s12
	s_waitcnt vmcnt(0)
	v_cmp_ne_u16_sdwa s[0:1], v0, v3 src0_sel:BYTE_0 src1_sel:BYTE_0
	v_mov_b32_e32 v2, s9
	s_xor_b64 s[18:19], s[16:17], s[0:1]
	v_ashrrev_i32_e32 v3, 31, v1
	s_and_b32 s36, s33, 0xff
	v_add_co_u32_e32 v0, vcc, s8, v1
	s_cmp_lt_i32 s36, 11
	v_addc_co_u32_e32 v1, vcc, v2, v3, vcc
	s_cbranch_scc1 .LBB379_30
; %bb.22:
	s_and_b32 s37, 0xffff, s36
	s_cmp_gt_i32 s37, 25
	s_cbranch_scc0 .LBB379_33
; %bb.23:
	s_cmp_gt_i32 s37, 28
	s_cbranch_scc0 .LBB379_36
; %bb.24:
	;; [unrolled: 3-line block ×4, first 2 shown]
	s_mov_b64 s[30:31], 0
	s_mov_b64 s[0:1], -1
	s_cmp_eq_u32 s37, 46
	s_mov_b64 s[26:27], 0
	s_cbranch_scc0 .LBB379_155
; %bb.27:
	v_cndmask_b32_e64 v2, 0, 1.0, s[18:19]
	v_bfe_u32 v3, v2, 16, 1
	s_movk_i32 s0, 0x7fff
	v_add3_u32 v2, v2, v3, s0
	v_lshrrev_b32_e32 v2, 16, v2
	global_store_dword v[0:1], v2, off
	s_mov_b64 s[26:27], -1
	s_mov_b64 s[0:1], 0
	s_branch .LBB379_155
.LBB379_28:
	s_mov_b64 s[18:19], -1
	s_mov_b64 s[0:1], 0
                                        ; implicit-def: $vgpr0
	s_branch .LBB379_51
.LBB379_29:
	s_mov_b64 s[18:19], -1
	s_mov_b64 s[20:21], 0
	s_mov_b64 s[0:1], 0
                                        ; implicit-def: $vgpr3
	s_branch .LBB379_290
.LBB379_30:
	s_mov_b64 s[30:31], -1
	s_mov_b64 s[0:1], 0
	s_mov_b64 s[26:27], 0
	s_branch .LBB379_224
.LBB379_31:
	s_mov_b64 s[18:19], -1
	s_mov_b64 s[0:1], 0
                                        ; implicit-def: $vgpr0
	s_branch .LBB379_46
.LBB379_32:
	s_mov_b64 s[18:19], -1
	s_mov_b64 s[20:21], 0
	s_mov_b64 s[0:1], 0
                                        ; implicit-def: $vgpr3
	s_branch .LBB379_273
.LBB379_33:
	s_mov_b64 s[30:31], -1
	s_mov_b64 s[0:1], 0
	s_mov_b64 s[26:27], 0
	s_branch .LBB379_182
.LBB379_34:
	s_mov_b64 s[18:19], -1
	s_branch .LBB379_38
.LBB379_35:
	s_mov_b64 s[18:19], -1
	s_mov_b64 s[20:21], 0
	s_mov_b64 s[0:1], 0
                                        ; implicit-def: $vgpr3
	s_branch .LBB379_268
.LBB379_36:
	s_mov_b64 s[30:31], -1
	s_mov_b64 s[0:1], 0
	s_mov_b64 s[26:27], 0
	s_branch .LBB379_165
.LBB379_37:
	s_mov_b64 s[22:23], -1
.LBB379_38:
	s_mov_b64 s[0:1], 0
                                        ; implicit-def: $vgpr0
.LBB379_39:
	s_and_b64 vcc, exec, s[18:19]
	s_cbranch_vccz .LBB379_45
; %bb.40:
	s_cmp_eq_u32 s21, 44
	s_cbranch_scc0 .LBB379_44
; %bb.41:
	global_load_ubyte v0, v[2:3], off
	s_mov_b64 s[0:1], -1
	s_mov_b64 s[22:23], 0
	s_waitcnt vmcnt(0)
	v_lshlrev_b32_e32 v1, 23, v0
	v_cvt_i32_f32_e32 v1, v1
	v_cmp_ne_u32_e32 vcc, 0, v0
	v_cndmask_b32_e32 v0, 0, v1, vcc
	s_branch .LBB379_45
.LBB379_42:
	s_mov_b64 s[18:19], -1
	s_mov_b64 s[20:21], 0
	s_branch .LBB379_150
.LBB379_43:
	s_mov_b64 s[30:31], -1
	s_mov_b64 s[0:1], 0
	s_mov_b64 s[26:27], 0
	s_branch .LBB379_161
.LBB379_44:
	s_mov_b64 s[22:23], -1
                                        ; implicit-def: $vgpr0
.LBB379_45:
	s_mov_b64 s[18:19], 0
.LBB379_46:
	s_and_b64 vcc, exec, s[18:19]
	s_cbranch_vccz .LBB379_50
; %bb.47:
	s_cmp_eq_u32 s21, 29
	s_cbranch_scc0 .LBB379_49
; %bb.48:
	global_load_dwordx2 v[0:1], v[2:3], off
	s_mov_b64 s[0:1], -1
	s_mov_b64 s[22:23], 0
	s_branch .LBB379_50
.LBB379_49:
	s_mov_b64 s[22:23], -1
                                        ; implicit-def: $vgpr0
.LBB379_50:
	s_mov_b64 s[18:19], 0
.LBB379_51:
	s_and_b64 vcc, exec, s[18:19]
	s_cbranch_vccz .LBB379_67
; %bb.52:
	s_cmp_lt_i32 s21, 27
	s_cbranch_scc1 .LBB379_55
; %bb.53:
	s_cmp_gt_i32 s21, 27
	s_cbranch_scc0 .LBB379_56
; %bb.54:
	global_load_dword v0, v[2:3], off
	s_mov_b64 s[0:1], 0
	s_branch .LBB379_57
.LBB379_55:
	s_mov_b64 s[0:1], -1
                                        ; implicit-def: $vgpr0
	s_branch .LBB379_60
.LBB379_56:
	s_mov_b64 s[0:1], -1
                                        ; implicit-def: $vgpr0
.LBB379_57:
	s_andn2_b64 vcc, exec, s[0:1]
	s_cbranch_vccnz .LBB379_59
; %bb.58:
	global_load_ushort v0, v[2:3], off
.LBB379_59:
	s_mov_b64 s[0:1], 0
.LBB379_60:
	s_andn2_b64 vcc, exec, s[0:1]
	s_cbranch_vccnz .LBB379_66
; %bb.61:
	global_load_ubyte v1, v[2:3], off
	s_movk_i32 s0, 0x7f
	s_mov_b64 s[18:19], 0
	s_waitcnt vmcnt(0)
	v_cmp_lt_i16_e32 vcc, s0, v1
	s_and_saveexec_b64 s[0:1], vcc
	s_xor_b64 s[0:1], exec, s[0:1]
	s_cbranch_execz .LBB379_77
; %bb.62:
	s_movk_i32 s18, 0x80
	v_cmp_ne_u16_e32 vcc, s18, v1
	s_and_b64 s[18:19], vcc, exec
	s_andn2_saveexec_b64 s[0:1], s[0:1]
	s_cbranch_execnz .LBB379_78
.LBB379_63:
	s_or_b64 exec, exec, s[0:1]
	v_mov_b32_e32 v0, 0
	s_and_saveexec_b64 s[0:1], s[18:19]
	s_cbranch_execz .LBB379_65
.LBB379_64:
	v_lshlrev_b32_e32 v0, 24, v1
	v_and_b32_e32 v1, 0xffff, v1
	v_and_b32_e32 v4, 7, v1
	v_ffbh_u32_e32 v6, v4
	v_min_u32_e32 v6, 32, v6
	v_subrev_u32_e32 v7, 28, v6
	v_bfe_u32 v5, v1, 3, 4
	v_lshlrev_b32_e32 v1, v7, v1
	v_sub_u32_e32 v6, 29, v6
	v_and_b32_e32 v1, 7, v1
	v_cmp_eq_u32_e32 vcc, 0, v5
	v_cndmask_b32_e32 v5, v5, v6, vcc
	v_cndmask_b32_e32 v1, v4, v1, vcc
	v_mov_b32_e32 v4, 0x3b800000
	v_lshlrev_b32_e32 v1, 20, v1
	v_and_b32_e32 v0, 0x80000000, v0
	v_lshl_add_u32 v4, v5, 23, v4
	v_or3_b32 v0, v0, v4, v1
	v_cvt_i32_f32_e32 v0, v0
.LBB379_65:
	s_or_b64 exec, exec, s[0:1]
.LBB379_66:
	s_mov_b64 s[0:1], -1
.LBB379_67:
	s_branch .LBB379_100
.LBB379_68:
	s_cmp_gt_i32 s21, 22
	s_cbranch_scc0 .LBB379_76
; %bb.69:
	s_cmp_lt_i32 s21, 24
	s_cbranch_scc1 .LBB379_79
; %bb.70:
	s_cmp_gt_i32 s21, 24
	s_cbranch_scc0 .LBB379_80
; %bb.71:
	global_load_ubyte v1, v[2:3], off
	s_movk_i32 s0, 0x7f
	s_mov_b64 s[18:19], 0
	s_waitcnt vmcnt(0)
	v_cmp_lt_i16_e32 vcc, s0, v1
	s_and_saveexec_b64 s[0:1], vcc
	s_xor_b64 s[0:1], exec, s[0:1]
	s_cbranch_execz .LBB379_92
; %bb.72:
	s_movk_i32 s18, 0x80
	v_cmp_ne_u16_e32 vcc, s18, v1
	s_and_b64 s[18:19], vcc, exec
	s_andn2_saveexec_b64 s[0:1], s[0:1]
	s_cbranch_execnz .LBB379_93
.LBB379_73:
	s_or_b64 exec, exec, s[0:1]
	v_mov_b32_e32 v0, 0
	s_and_saveexec_b64 s[0:1], s[18:19]
	s_cbranch_execz .LBB379_75
.LBB379_74:
	v_lshlrev_b32_e32 v0, 24, v1
	v_and_b32_e32 v1, 0xffff, v1
	v_and_b32_e32 v4, 3, v1
	v_ffbh_u32_e32 v6, v4
	v_min_u32_e32 v6, 32, v6
	v_subrev_u32_e32 v7, 29, v6
	v_bfe_u32 v5, v1, 2, 5
	v_lshlrev_b32_e32 v1, v7, v1
	v_sub_u32_e32 v6, 30, v6
	v_and_b32_e32 v1, 3, v1
	v_cmp_eq_u32_e32 vcc, 0, v5
	v_cndmask_b32_e32 v5, v5, v6, vcc
	v_cndmask_b32_e32 v1, v4, v1, vcc
	v_mov_b32_e32 v4, 0x37800000
	v_lshlrev_b32_e32 v1, 21, v1
	v_and_b32_e32 v0, 0x80000000, v0
	v_lshl_add_u32 v4, v5, 23, v4
	v_or3_b32 v0, v0, v4, v1
	v_cvt_i32_f32_e32 v0, v0
.LBB379_75:
	s_or_b64 exec, exec, s[0:1]
	s_mov_b64 s[0:1], 0
	s_branch .LBB379_81
.LBB379_76:
	s_mov_b64 s[18:19], -1
                                        ; implicit-def: $vgpr0
	s_branch .LBB379_87
.LBB379_77:
	s_andn2_saveexec_b64 s[0:1], s[0:1]
	s_cbranch_execz .LBB379_63
.LBB379_78:
	v_cmp_ne_u16_e32 vcc, 0, v1
	s_andn2_b64 s[18:19], s[18:19], exec
	s_and_b64 s[26:27], vcc, exec
	s_or_b64 s[18:19], s[18:19], s[26:27]
	s_or_b64 exec, exec, s[0:1]
	v_mov_b32_e32 v0, 0
	s_and_saveexec_b64 s[0:1], s[18:19]
	s_cbranch_execnz .LBB379_64
	s_branch .LBB379_65
.LBB379_79:
	s_mov_b64 s[0:1], -1
                                        ; implicit-def: $vgpr0
	s_branch .LBB379_84
.LBB379_80:
	s_mov_b64 s[0:1], -1
                                        ; implicit-def: $vgpr0
.LBB379_81:
	s_and_b64 vcc, exec, s[0:1]
	s_cbranch_vccz .LBB379_83
; %bb.82:
	global_load_ubyte v0, v[2:3], off
	s_mov_b32 s0, 0x7f800000
	s_waitcnt vmcnt(0)
	v_lshlrev_b32_e32 v0, 24, v0
	v_and_b32_e32 v1, 0x7f000000, v0
	v_ffbh_u32_e32 v4, v1
	v_min_u32_e32 v4, 32, v4
	v_sub_u32_e64 v4, v4, 4 clamp
	v_lshlrev_b32_e32 v6, v4, v1
	v_lshlrev_b32_e32 v4, 23, v4
	v_lshrrev_b32_e32 v6, 4, v6
	v_add_u32_e32 v5, 0x1000000, v1
	v_sub_u32_e32 v4, v6, v4
	v_ashrrev_i32_e32 v5, 8, v5
	v_add_u32_e32 v4, 0x3c000000, v4
	v_and_or_b32 v4, v5, s0, v4
	v_cmp_ne_u32_e32 vcc, 0, v1
	v_cndmask_b32_e32 v1, 0, v4, vcc
	s_brev_b32 s0, 1
	v_and_or_b32 v0, v0, s0, v1
	v_cvt_i32_f32_e32 v0, v0
.LBB379_83:
	s_mov_b64 s[0:1], 0
.LBB379_84:
	s_andn2_b64 vcc, exec, s[0:1]
	s_cbranch_vccnz .LBB379_86
; %bb.85:
	global_load_ubyte v0, v[2:3], off
	s_movk_i32 s0, 0x7f00
	s_brev_b32 s1, 16
	s_waitcnt vmcnt(0)
	v_lshlrev_b16_e32 v1, 8, v0
	v_lshlrev_b32_e32 v0, 25, v0
	v_lshrrev_b32_e32 v4, 4, v0
	v_and_or_b32 v5, v1, s0, 0.5
	v_or_b32_e32 v4, 0x70000000, v4
	v_add_f32_e32 v5, -0.5, v5
	v_mul_f32_e32 v4, 0x7800000, v4
	v_cmp_gt_u32_e32 vcc, s1, v0
	v_bfe_i32 v1, v1, 0, 16
	v_cndmask_b32_e32 v0, v4, v5, vcc
	s_brev_b32 s0, 1
	v_and_or_b32 v0, v1, s0, v0
	v_cvt_i32_f32_e32 v0, v0
.LBB379_86:
	s_mov_b64 s[18:19], 0
	s_mov_b64 s[0:1], -1
.LBB379_87:
	s_andn2_b64 vcc, exec, s[18:19]
	s_cbranch_vccnz .LBB379_100
; %bb.88:
	s_cmp_gt_i32 s21, 14
	s_cbranch_scc0 .LBB379_91
; %bb.89:
	s_cmp_eq_u32 s21, 15
	s_cbranch_scc0 .LBB379_94
; %bb.90:
	global_load_ushort v0, v[2:3], off
	s_mov_b64 s[0:1], -1
	s_mov_b64 s[22:23], 0
	s_waitcnt vmcnt(0)
	v_lshlrev_b32_e32 v0, 16, v0
	v_cvt_i32_f32_e32 v0, v0
	s_branch .LBB379_95
.LBB379_91:
	s_mov_b64 s[18:19], -1
                                        ; implicit-def: $vgpr0
	s_branch .LBB379_96
.LBB379_92:
	s_andn2_saveexec_b64 s[0:1], s[0:1]
	s_cbranch_execz .LBB379_73
.LBB379_93:
	v_cmp_ne_u16_e32 vcc, 0, v1
	s_andn2_b64 s[18:19], s[18:19], exec
	s_and_b64 s[26:27], vcc, exec
	s_or_b64 s[18:19], s[18:19], s[26:27]
	s_or_b64 exec, exec, s[0:1]
	v_mov_b32_e32 v0, 0
	s_and_saveexec_b64 s[0:1], s[18:19]
	s_cbranch_execnz .LBB379_74
	s_branch .LBB379_75
.LBB379_94:
	s_mov_b64 s[22:23], -1
                                        ; implicit-def: $vgpr0
.LBB379_95:
	s_mov_b64 s[18:19], 0
.LBB379_96:
	s_and_b64 vcc, exec, s[18:19]
	s_cbranch_vccz .LBB379_100
; %bb.97:
	s_cmp_eq_u32 s21, 11
	s_cbranch_scc0 .LBB379_99
; %bb.98:
	global_load_ubyte v0, v[2:3], off
	s_mov_b64 s[0:1], -1
	s_mov_b64 s[22:23], 0
	s_waitcnt vmcnt(0)
	v_cmp_ne_u16_e32 vcc, 0, v0
	v_cndmask_b32_e64 v0, 0, 1, vcc
	s_branch .LBB379_100
.LBB379_99:
	s_mov_b64 s[22:23], -1
                                        ; implicit-def: $vgpr0
.LBB379_100:
	s_branch .LBB379_10
.LBB379_101:
	s_and_b32 s18, 0xffff, s20
	s_cmp_lt_i32 s18, 5
	s_cbranch_scc1 .LBB379_106
; %bb.102:
	s_cmp_lt_i32 s18, 8
	s_cbranch_scc1 .LBB379_107
; %bb.103:
	;; [unrolled: 3-line block ×3, first 2 shown]
	s_cmp_gt_i32 s18, 9
	s_cbranch_scc0 .LBB379_109
; %bb.105:
	global_load_dwordx2 v[0:1], v[2:3], off
	s_mov_b64 s[0:1], 0
	s_waitcnt vmcnt(0)
	v_cvt_i32_f64_e32 v0, v[0:1]
	s_branch .LBB379_110
.LBB379_106:
                                        ; implicit-def: $vgpr0
	s_branch .LBB379_128
.LBB379_107:
	s_mov_b64 s[0:1], -1
                                        ; implicit-def: $vgpr0
	s_branch .LBB379_116
.LBB379_108:
	s_mov_b64 s[0:1], -1
                                        ; implicit-def: $vgpr0
	s_branch .LBB379_113
.LBB379_109:
	s_mov_b64 s[0:1], -1
                                        ; implicit-def: $vgpr0
.LBB379_110:
	s_andn2_b64 vcc, exec, s[0:1]
	s_cbranch_vccnz .LBB379_112
; %bb.111:
	global_load_dword v0, v[2:3], off
	s_waitcnt vmcnt(0)
	v_cvt_i32_f32_e32 v0, v0
.LBB379_112:
	s_mov_b64 s[0:1], 0
.LBB379_113:
	s_andn2_b64 vcc, exec, s[0:1]
	s_cbranch_vccnz .LBB379_115
; %bb.114:
	global_load_dword v0, v[2:3], off
	s_waitcnt vmcnt(0)
	v_cvt_i16_f16_e32 v0, v0
.LBB379_115:
	s_mov_b64 s[0:1], 0
.LBB379_116:
	s_andn2_b64 vcc, exec, s[0:1]
	s_cbranch_vccnz .LBB379_127
; %bb.117:
	s_cmp_lt_i32 s18, 6
	s_cbranch_scc1 .LBB379_120
; %bb.118:
	s_cmp_gt_i32 s18, 6
	s_cbranch_scc0 .LBB379_121
; %bb.119:
	global_load_dwordx2 v[0:1], v[2:3], off
	s_mov_b64 s[0:1], 0
	s_waitcnt vmcnt(0)
	v_cvt_i32_f64_e32 v0, v[0:1]
	s_branch .LBB379_122
.LBB379_120:
	s_mov_b64 s[0:1], -1
                                        ; implicit-def: $vgpr0
	s_branch .LBB379_125
.LBB379_121:
	s_mov_b64 s[0:1], -1
                                        ; implicit-def: $vgpr0
.LBB379_122:
	s_andn2_b64 vcc, exec, s[0:1]
	s_cbranch_vccnz .LBB379_124
; %bb.123:
	global_load_dword v0, v[2:3], off
	s_waitcnt vmcnt(0)
	v_cvt_i32_f32_e32 v0, v0
.LBB379_124:
	s_mov_b64 s[0:1], 0
.LBB379_125:
	s_andn2_b64 vcc, exec, s[0:1]
	s_cbranch_vccnz .LBB379_127
; %bb.126:
	global_load_ushort v0, v[2:3], off
	s_waitcnt vmcnt(0)
	v_cvt_i16_f16_e32 v0, v0
.LBB379_127:
	s_cbranch_execnz .LBB379_147
.LBB379_128:
	s_cmp_lt_i32 s18, 2
	s_cbranch_scc1 .LBB379_132
; %bb.129:
	s_cmp_lt_i32 s18, 3
	s_cbranch_scc1 .LBB379_133
; %bb.130:
	s_cmp_gt_i32 s18, 3
	s_cbranch_scc0 .LBB379_134
; %bb.131:
	global_load_dwordx2 v[0:1], v[2:3], off
	s_mov_b64 s[0:1], 0
	s_branch .LBB379_135
.LBB379_132:
	s_mov_b64 s[0:1], -1
                                        ; implicit-def: $vgpr0
	s_branch .LBB379_141
.LBB379_133:
	s_mov_b64 s[0:1], -1
                                        ; implicit-def: $vgpr0
	s_branch .LBB379_138
.LBB379_134:
	s_mov_b64 s[0:1], -1
                                        ; implicit-def: $vgpr0
.LBB379_135:
	s_andn2_b64 vcc, exec, s[0:1]
	s_cbranch_vccnz .LBB379_137
; %bb.136:
	global_load_dword v0, v[2:3], off
.LBB379_137:
	s_mov_b64 s[0:1], 0
.LBB379_138:
	s_andn2_b64 vcc, exec, s[0:1]
	s_cbranch_vccnz .LBB379_140
; %bb.139:
	global_load_ushort v0, v[2:3], off
.LBB379_140:
	s_mov_b64 s[0:1], 0
.LBB379_141:
	s_andn2_b64 vcc, exec, s[0:1]
	s_cbranch_vccnz .LBB379_147
; %bb.142:
	s_cmp_gt_i32 s18, 0
	s_cbranch_scc0 .LBB379_144
; %bb.143:
	global_load_ubyte v0, v[2:3], off
	s_mov_b64 s[0:1], 0
	s_branch .LBB379_145
.LBB379_144:
	s_mov_b64 s[0:1], -1
                                        ; implicit-def: $vgpr0
.LBB379_145:
	s_andn2_b64 vcc, exec, s[0:1]
	s_cbranch_vccnz .LBB379_147
; %bb.146:
	global_load_ubyte v0, v[2:3], off
.LBB379_147:
	s_branch .LBB379_11
.LBB379_148:
	s_mov_b64 s[0:1], 0
	s_mov_b64 s[20:21], 0
	s_branch .LBB379_373
.LBB379_149:
	s_mov_b64 s[20:21], -1
.LBB379_150:
	s_mov_b64 s[0:1], 0
                                        ; implicit-def: $vgpr3
.LBB379_151:
	s_and_b64 vcc, exec, s[18:19]
	s_cbranch_vccz .LBB379_267
; %bb.152:
	s_cmp_eq_u32 s27, 44
	s_cbranch_scc0 .LBB379_266
; %bb.153:
	global_load_ubyte v3, v[1:2], off
	s_mov_b64 s[0:1], -1
	s_mov_b64 s[20:21], 0
	s_waitcnt vmcnt(0)
	v_lshlrev_b32_e32 v4, 23, v3
	v_cvt_i32_f32_e32 v4, v4
	v_cmp_ne_u32_e32 vcc, 0, v3
	v_cndmask_b32_e32 v3, 0, v4, vcc
	s_branch .LBB379_267
.LBB379_154:
	s_mov_b64 s[30:31], -1
	s_mov_b64 s[0:1], 0
	s_mov_b64 s[26:27], 0
.LBB379_155:
	s_and_b64 vcc, exec, s[30:31]
	s_cbranch_vccz .LBB379_160
; %bb.156:
	s_cmp_eq_u32 s37, 44
	s_mov_b64 s[0:1], -1
	s_cbranch_scc0 .LBB379_160
; %bb.157:
	v_cndmask_b32_e64 v3, 0, 1.0, s[18:19]
	v_lshrrev_b32_e32 v2, 23, v3
	s_movk_i32 s0, 0xff
	v_cmp_ne_u32_e32 vcc, s0, v2
	v_mov_b32_e32 v4, 0xff
	s_and_saveexec_b64 s[26:27], vcc
; %bb.158:
	s_mov_b32 s0, 0x3fffff
	v_and_b32_e32 v4, 0x400000, v3
	v_and_or_b32 v3, v3, s0, v2
	v_cmp_ne_u32_e32 vcc, 0, v4
	v_cmp_ne_u32_e64 s[0:1], 0, v3
	s_and_b64 s[0:1], vcc, s[0:1]
	v_cndmask_b32_e64 v3, 0, 1, s[0:1]
	v_add_u32_e32 v4, v2, v3
; %bb.159:
	s_or_b64 exec, exec, s[26:27]
	s_mov_b64 s[26:27], -1
	s_mov_b64 s[0:1], 0
	global_store_byte v[0:1], v4, off
.LBB379_160:
	s_mov_b64 s[30:31], 0
.LBB379_161:
	s_and_b64 vcc, exec, s[30:31]
	s_cbranch_vccz .LBB379_164
; %bb.162:
	s_cmp_eq_u32 s37, 29
	s_mov_b64 s[0:1], -1
	s_cbranch_scc0 .LBB379_164
; %bb.163:
	s_mov_b32 s0, 0
	v_cndmask_b32_e64 v2, 0, 1, s[18:19]
	v_mov_b32_e32 v3, s0
	global_store_dwordx2 v[0:1], v[2:3], off
	s_mov_b64 s[26:27], -1
	s_mov_b64 s[0:1], 0
.LBB379_164:
	s_mov_b64 s[30:31], 0
.LBB379_165:
	s_and_b64 vcc, exec, s[30:31]
	s_cbranch_vccz .LBB379_181
; %bb.166:
	s_cmp_lt_i32 s37, 27
	s_mov_b64 s[26:27], -1
	s_cbranch_scc1 .LBB379_172
; %bb.167:
	s_cmp_gt_i32 s37, 27
	s_cbranch_scc0 .LBB379_169
; %bb.168:
	v_cndmask_b32_e64 v2, 0, 1, s[18:19]
	s_mov_b64 s[26:27], 0
	global_store_dword v[0:1], v2, off
.LBB379_169:
	s_andn2_b64 vcc, exec, s[26:27]
	s_cbranch_vccnz .LBB379_171
; %bb.170:
	v_cndmask_b32_e64 v2, 0, 1, s[18:19]
	global_store_short v[0:1], v2, off
.LBB379_171:
	s_mov_b64 s[26:27], 0
.LBB379_172:
	s_andn2_b64 vcc, exec, s[26:27]
	s_cbranch_vccnz .LBB379_180
; %bb.173:
	v_cndmask_b32_e64 v3, 0, 1.0, s[18:19]
	s_mov_b32 s26, 0x43800000
	v_cmp_gt_u32_e32 vcc, s26, v3
	v_mov_b32_e32 v4, 0x80
	s_and_saveexec_b64 s[26:27], vcc
	s_cbranch_execz .LBB379_179
; %bb.174:
	s_mov_b32 s30, 0x3bffffff
	v_cmp_lt_u32_e32 vcc, s30, v3
	s_mov_b64 s[30:31], 0
                                        ; implicit-def: $vgpr2
	s_and_saveexec_b64 s[34:35], vcc
	s_xor_b64 s[34:35], exec, s[34:35]
	s_cbranch_execz .LBB379_404
; %bb.175:
	v_bfe_u32 v2, v3, 20, 1
	s_mov_b32 s38, 0x487ffff
	v_add3_u32 v2, v3, v2, s38
	s_mov_b64 s[30:31], exec
	v_lshrrev_b32_e32 v2, 20, v2
                                        ; implicit-def: $vgpr3
	s_andn2_saveexec_b64 s[34:35], s[34:35]
	s_cbranch_execnz .LBB379_405
.LBB379_176:
	s_or_b64 exec, exec, s[34:35]
	v_mov_b32_e32 v4, 0
	s_and_saveexec_b64 s[34:35], s[30:31]
.LBB379_177:
	v_mov_b32_e32 v4, v2
.LBB379_178:
	s_or_b64 exec, exec, s[34:35]
.LBB379_179:
	s_or_b64 exec, exec, s[26:27]
	global_store_byte v[0:1], v4, off
.LBB379_180:
	s_mov_b64 s[26:27], -1
.LBB379_181:
	s_mov_b64 s[30:31], 0
.LBB379_182:
	s_and_b64 vcc, exec, s[30:31]
	s_cbranch_vccz .LBB379_223
; %bb.183:
	s_cmp_gt_i32 s37, 22
	s_mov_b64 s[30:31], -1
	s_cbranch_scc0 .LBB379_215
; %bb.184:
	s_cmp_lt_i32 s37, 24
	s_mov_b64 s[26:27], -1
	s_cbranch_scc1 .LBB379_204
; %bb.185:
	s_cmp_gt_i32 s37, 24
	s_cbranch_scc0 .LBB379_193
; %bb.186:
	v_cndmask_b32_e64 v3, 0, 1.0, s[18:19]
	s_mov_b32 s26, 0x47800000
	v_cmp_gt_u32_e32 vcc, s26, v3
	v_mov_b32_e32 v4, 0x80
	s_and_saveexec_b64 s[26:27], vcc
	s_cbranch_execz .LBB379_192
; %bb.187:
	s_mov_b32 s30, 0x37ffffff
	v_cmp_lt_u32_e32 vcc, s30, v3
	s_mov_b64 s[30:31], 0
                                        ; implicit-def: $vgpr2
	s_and_saveexec_b64 s[34:35], vcc
	s_xor_b64 s[34:35], exec, s[34:35]
	s_cbranch_execz .LBB379_519
; %bb.188:
	v_bfe_u32 v2, v3, 21, 1
	s_mov_b32 s38, 0x88fffff
	v_add3_u32 v2, v3, v2, s38
	s_mov_b64 s[30:31], exec
	v_lshrrev_b32_e32 v2, 21, v2
                                        ; implicit-def: $vgpr3
	s_andn2_saveexec_b64 s[34:35], s[34:35]
	s_cbranch_execnz .LBB379_520
.LBB379_189:
	s_or_b64 exec, exec, s[34:35]
	v_mov_b32_e32 v4, 0
	s_and_saveexec_b64 s[34:35], s[30:31]
.LBB379_190:
	v_mov_b32_e32 v4, v2
.LBB379_191:
	s_or_b64 exec, exec, s[34:35]
.LBB379_192:
	s_or_b64 exec, exec, s[26:27]
	s_mov_b64 s[26:27], 0
	global_store_byte v[0:1], v4, off
.LBB379_193:
	s_and_b64 vcc, exec, s[26:27]
	s_cbranch_vccz .LBB379_203
; %bb.194:
	v_cndmask_b32_e64 v2, 0, 1.0, s[18:19]
	s_mov_b32 s26, 0x43f00000
	v_cmp_gt_u32_e32 vcc, s26, v2
                                        ; implicit-def: $vgpr3
	s_and_saveexec_b64 s[26:27], vcc
	s_xor_b64 s[26:27], exec, s[26:27]
	s_cbranch_execz .LBB379_200
; %bb.195:
	s_mov_b32 s30, 0x3c7fffff
	v_cmp_lt_u32_e32 vcc, s30, v2
                                        ; implicit-def: $vgpr3
	s_and_saveexec_b64 s[30:31], vcc
	s_xor_b64 s[30:31], exec, s[30:31]
; %bb.196:
	v_bfe_u32 v3, v2, 20, 1
	s_mov_b32 s34, 0x407ffff
	v_add3_u32 v2, v2, v3, s34
	v_lshrrev_b32_e32 v3, 20, v2
	v_and_b32_e32 v2, 0xff00000, v2
	s_mov_b32 s34, 0x7f00000
	v_mov_b32_e32 v4, 0x7e
	v_cmp_ne_u32_e32 vcc, s34, v2
	v_cndmask_b32_e32 v3, v4, v3, vcc
                                        ; implicit-def: $vgpr2
; %bb.197:
	s_andn2_saveexec_b64 s[30:31], s[30:31]
; %bb.198:
	v_add_f32_e32 v3, 0x46800000, v2
; %bb.199:
	s_or_b64 exec, exec, s[30:31]
                                        ; implicit-def: $vgpr2
.LBB379_200:
	s_andn2_saveexec_b64 s[26:27], s[26:27]
; %bb.201:
	s_mov_b32 s30, 0x7f800000
	v_mov_b32_e32 v3, 0x7e
	v_mov_b32_e32 v4, 0x7f
	v_cmp_lt_u32_e32 vcc, s30, v2
	v_cndmask_b32_e32 v3, v3, v4, vcc
; %bb.202:
	s_or_b64 exec, exec, s[26:27]
	global_store_byte v[0:1], v3, off
.LBB379_203:
	s_mov_b64 s[26:27], 0
.LBB379_204:
	s_andn2_b64 vcc, exec, s[26:27]
	s_cbranch_vccnz .LBB379_214
; %bb.205:
	v_cndmask_b32_e64 v2, 0, 1.0, s[18:19]
	s_mov_b32 s26, 0x47800000
	v_cmp_gt_u32_e32 vcc, s26, v2
                                        ; implicit-def: $vgpr3
	s_and_saveexec_b64 s[26:27], vcc
	s_xor_b64 s[26:27], exec, s[26:27]
	s_cbranch_execz .LBB379_211
; %bb.206:
	s_mov_b32 s30, 0x387fffff
	v_cmp_lt_u32_e32 vcc, s30, v2
                                        ; implicit-def: $vgpr3
	s_and_saveexec_b64 s[30:31], vcc
	s_xor_b64 s[30:31], exec, s[30:31]
; %bb.207:
	v_bfe_u32 v3, v2, 21, 1
	s_mov_b32 s34, 0x80fffff
	v_add3_u32 v2, v2, v3, s34
	v_lshrrev_b32_e32 v3, 21, v2
                                        ; implicit-def: $vgpr2
; %bb.208:
	s_andn2_saveexec_b64 s[30:31], s[30:31]
; %bb.209:
	v_add_f32_e32 v3, 0x43000000, v2
; %bb.210:
	s_or_b64 exec, exec, s[30:31]
                                        ; implicit-def: $vgpr2
.LBB379_211:
	s_andn2_saveexec_b64 s[26:27], s[26:27]
; %bb.212:
	s_mov_b32 s30, 0x7f800000
	v_mov_b32_e32 v3, 0x7c
	v_mov_b32_e32 v4, 0x7f
	v_cmp_lt_u32_e32 vcc, s30, v2
	v_cndmask_b32_e32 v3, v3, v4, vcc
; %bb.213:
	s_or_b64 exec, exec, s[26:27]
	global_store_byte v[0:1], v3, off
.LBB379_214:
	s_mov_b64 s[30:31], 0
	s_mov_b64 s[26:27], -1
.LBB379_215:
	s_andn2_b64 vcc, exec, s[30:31]
	s_cbranch_vccnz .LBB379_223
; %bb.216:
	s_cmp_gt_i32 s37, 14
	s_mov_b64 s[30:31], -1
	s_cbranch_scc0 .LBB379_220
; %bb.217:
	s_cmp_eq_u32 s37, 15
	s_mov_b64 s[0:1], -1
	s_cbranch_scc0 .LBB379_219
; %bb.218:
	v_cndmask_b32_e64 v2, 0, 1.0, s[18:19]
	v_bfe_u32 v3, v2, 16, 1
	s_movk_i32 s0, 0x7fff
	v_add3_u32 v2, v2, v3, s0
	global_store_short_d16_hi v[0:1], v2, off
	s_mov_b64 s[26:27], -1
	s_mov_b64 s[0:1], 0
.LBB379_219:
	s_mov_b64 s[30:31], 0
.LBB379_220:
	s_and_b64 vcc, exec, s[30:31]
	s_cbranch_vccz .LBB379_223
; %bb.221:
	s_cmp_eq_u32 s37, 11
	s_mov_b64 s[0:1], -1
	s_cbranch_scc0 .LBB379_223
; %bb.222:
	v_cndmask_b32_e64 v2, 0, 1, s[18:19]
	s_mov_b64 s[26:27], -1
	s_mov_b64 s[0:1], 0
	global_store_byte v[0:1], v2, off
.LBB379_223:
	s_mov_b64 s[30:31], 0
.LBB379_224:
	s_and_b64 vcc, exec, s[30:31]
	s_cbranch_vccz .LBB379_263
; %bb.225:
	s_and_b32 s30, 0xffff, s36
	s_cmp_lt_i32 s30, 5
	s_mov_b64 s[26:27], -1
	s_cbranch_scc1 .LBB379_246
; %bb.226:
	s_cmp_lt_i32 s30, 8
	s_cbranch_scc1 .LBB379_236
; %bb.227:
	s_cmp_lt_i32 s30, 9
	s_cbranch_scc1 .LBB379_233
; %bb.228:
	s_cmp_gt_i32 s30, 9
	s_cbranch_scc0 .LBB379_230
; %bb.229:
	v_cndmask_b32_e64 v2, 0, 1, s[18:19]
	v_cvt_f64_u32_e32 v[2:3], v2
	v_mov_b32_e32 v4, 0
	v_mov_b32_e32 v5, v4
	s_mov_b64 s[26:27], 0
	global_store_dwordx4 v[0:1], v[2:5], off
.LBB379_230:
	s_andn2_b64 vcc, exec, s[26:27]
	s_cbranch_vccnz .LBB379_232
; %bb.231:
	v_cndmask_b32_e64 v2, 0, 1.0, s[18:19]
	v_mov_b32_e32 v3, 0
	global_store_dwordx2 v[0:1], v[2:3], off
.LBB379_232:
	s_mov_b64 s[26:27], 0
.LBB379_233:
	s_andn2_b64 vcc, exec, s[26:27]
	s_cbranch_vccnz .LBB379_235
; %bb.234:
	v_cndmask_b32_e64 v2, 0, 1.0, s[18:19]
	v_cvt_f16_f32_e32 v2, v2
	global_store_dword v[0:1], v2, off
.LBB379_235:
	s_mov_b64 s[26:27], 0
.LBB379_236:
	s_andn2_b64 vcc, exec, s[26:27]
	s_cbranch_vccnz .LBB379_245
; %bb.237:
	s_cmp_lt_i32 s30, 6
	s_mov_b64 s[26:27], -1
	s_cbranch_scc1 .LBB379_243
; %bb.238:
	s_cmp_gt_i32 s30, 6
	s_cbranch_scc0 .LBB379_240
; %bb.239:
	v_cndmask_b32_e64 v2, 0, 1, s[18:19]
	v_cvt_f64_u32_e32 v[2:3], v2
	s_mov_b64 s[26:27], 0
	global_store_dwordx2 v[0:1], v[2:3], off
.LBB379_240:
	s_andn2_b64 vcc, exec, s[26:27]
	s_cbranch_vccnz .LBB379_242
; %bb.241:
	v_cndmask_b32_e64 v2, 0, 1.0, s[18:19]
	global_store_dword v[0:1], v2, off
.LBB379_242:
	s_mov_b64 s[26:27], 0
.LBB379_243:
	s_andn2_b64 vcc, exec, s[26:27]
	s_cbranch_vccnz .LBB379_245
; %bb.244:
	v_cndmask_b32_e64 v2, 0, 1.0, s[18:19]
	v_cvt_f16_f32_e32 v2, v2
	global_store_short v[0:1], v2, off
.LBB379_245:
	s_mov_b64 s[26:27], 0
.LBB379_246:
	s_andn2_b64 vcc, exec, s[26:27]
	s_cbranch_vccnz .LBB379_262
; %bb.247:
	s_cmp_lt_i32 s30, 2
	s_mov_b64 s[26:27], -1
	s_cbranch_scc1 .LBB379_257
; %bb.248:
	s_cmp_lt_i32 s30, 3
	s_cbranch_scc1 .LBB379_254
; %bb.249:
	s_cmp_gt_i32 s30, 3
	s_cbranch_scc0 .LBB379_251
; %bb.250:
	s_mov_b32 s26, 0
	v_cndmask_b32_e64 v2, 0, 1, s[18:19]
	v_mov_b32_e32 v3, s26
	global_store_dwordx2 v[0:1], v[2:3], off
	s_mov_b64 s[26:27], 0
.LBB379_251:
	s_andn2_b64 vcc, exec, s[26:27]
	s_cbranch_vccnz .LBB379_253
; %bb.252:
	v_cndmask_b32_e64 v2, 0, 1, s[18:19]
	global_store_dword v[0:1], v2, off
.LBB379_253:
	s_mov_b64 s[26:27], 0
.LBB379_254:
	s_andn2_b64 vcc, exec, s[26:27]
	s_cbranch_vccnz .LBB379_256
; %bb.255:
	v_cndmask_b32_e64 v2, 0, 1, s[18:19]
	global_store_short v[0:1], v2, off
.LBB379_256:
	s_mov_b64 s[26:27], 0
.LBB379_257:
	s_andn2_b64 vcc, exec, s[26:27]
	s_cbranch_vccnz .LBB379_262
; %bb.258:
	s_mov_b64 s[26:27], -1
	s_cmp_gt_i32 s30, 0
	v_cndmask_b32_e64 v2, 0, 1, s[18:19]
	s_cbranch_scc0 .LBB379_260
; %bb.259:
	global_store_byte v[0:1], v2, off
	s_mov_b64 s[26:27], 0
.LBB379_260:
	s_andn2_b64 vcc, exec, s[26:27]
	s_cbranch_vccnz .LBB379_262
; %bb.261:
	global_store_byte v[0:1], v2, off
.LBB379_262:
	s_mov_b64 s[26:27], -1
.LBB379_263:
	s_andn2_b64 vcc, exec, s[26:27]
	s_cbranch_vccnz .LBB379_265
; %bb.264:
	v_add_u32_e32 v14, 0x80, v14
	s_mov_b64 s[26:27], -1
	s_branch .LBB379_374
.LBB379_265:
	s_mov_b64 s[26:27], 0
                                        ; implicit-def: $vgpr14
	s_branch .LBB379_374
.LBB379_266:
	s_mov_b64 s[20:21], -1
                                        ; implicit-def: $vgpr3
.LBB379_267:
	s_mov_b64 s[18:19], 0
.LBB379_268:
	s_and_b64 vcc, exec, s[18:19]
	s_cbranch_vccz .LBB379_272
; %bb.269:
	s_cmp_eq_u32 s27, 29
	s_cbranch_scc0 .LBB379_271
; %bb.270:
	global_load_dwordx2 v[3:4], v[1:2], off
	s_mov_b64 s[0:1], -1
	s_mov_b64 s[20:21], 0
	s_branch .LBB379_272
.LBB379_271:
	s_mov_b64 s[20:21], -1
                                        ; implicit-def: $vgpr3
.LBB379_272:
	s_mov_b64 s[18:19], 0
.LBB379_273:
	s_and_b64 vcc, exec, s[18:19]
	s_cbranch_vccz .LBB379_289
; %bb.274:
	s_cmp_lt_i32 s27, 27
	s_cbranch_scc1 .LBB379_277
; %bb.275:
	s_cmp_gt_i32 s27, 27
	s_cbranch_scc0 .LBB379_278
; %bb.276:
	global_load_dword v3, v[1:2], off
	s_mov_b64 s[0:1], 0
	s_branch .LBB379_279
.LBB379_277:
	s_mov_b64 s[0:1], -1
                                        ; implicit-def: $vgpr3
	s_branch .LBB379_282
.LBB379_278:
	s_mov_b64 s[0:1], -1
                                        ; implicit-def: $vgpr3
.LBB379_279:
	s_andn2_b64 vcc, exec, s[0:1]
	s_cbranch_vccnz .LBB379_281
; %bb.280:
	global_load_ushort v3, v[1:2], off
.LBB379_281:
	s_mov_b64 s[0:1], 0
.LBB379_282:
	s_andn2_b64 vcc, exec, s[0:1]
	s_cbranch_vccnz .LBB379_288
; %bb.283:
	global_load_ubyte v4, v[1:2], off
	s_movk_i32 s0, 0x7f
	s_mov_b64 s[18:19], 0
	s_waitcnt vmcnt(0)
	v_cmp_lt_i16_e32 vcc, s0, v4
	s_and_saveexec_b64 s[0:1], vcc
	s_xor_b64 s[0:1], exec, s[0:1]
	s_cbranch_execz .LBB379_300
; %bb.284:
	s_movk_i32 s18, 0x80
	v_cmp_ne_u16_e32 vcc, s18, v4
	s_and_b64 s[18:19], vcc, exec
	s_andn2_saveexec_b64 s[0:1], s[0:1]
	s_cbranch_execnz .LBB379_301
.LBB379_285:
	s_or_b64 exec, exec, s[0:1]
	v_mov_b32_e32 v3, 0
	s_and_saveexec_b64 s[0:1], s[18:19]
	s_cbranch_execz .LBB379_287
.LBB379_286:
	v_lshlrev_b32_e32 v3, 24, v4
	v_and_b32_e32 v4, 0xffff, v4
	v_and_b32_e32 v5, 7, v4
	v_ffbh_u32_e32 v7, v5
	v_min_u32_e32 v7, 32, v7
	v_subrev_u32_e32 v8, 28, v7
	v_bfe_u32 v6, v4, 3, 4
	v_lshlrev_b32_e32 v4, v8, v4
	v_sub_u32_e32 v7, 29, v7
	v_and_b32_e32 v4, 7, v4
	v_cmp_eq_u32_e32 vcc, 0, v6
	v_cndmask_b32_e32 v6, v6, v7, vcc
	v_cndmask_b32_e32 v4, v5, v4, vcc
	v_mov_b32_e32 v5, 0x3b800000
	v_lshlrev_b32_e32 v4, 20, v4
	v_and_b32_e32 v3, 0x80000000, v3
	v_lshl_add_u32 v5, v6, 23, v5
	v_or3_b32 v3, v3, v5, v4
	v_cvt_i32_f32_e32 v3, v3
.LBB379_287:
	s_or_b64 exec, exec, s[0:1]
.LBB379_288:
	s_mov_b64 s[0:1], -1
.LBB379_289:
	s_mov_b64 s[18:19], 0
.LBB379_290:
	s_and_b64 vcc, exec, s[18:19]
	s_cbranch_vccz .LBB379_323
; %bb.291:
	s_cmp_gt_i32 s27, 22
	s_cbranch_scc0 .LBB379_299
; %bb.292:
	s_cmp_lt_i32 s27, 24
	s_cbranch_scc1 .LBB379_302
; %bb.293:
	s_cmp_gt_i32 s27, 24
	s_cbranch_scc0 .LBB379_303
; %bb.294:
	global_load_ubyte v4, v[1:2], off
	s_movk_i32 s0, 0x7f
	s_mov_b64 s[18:19], 0
	s_waitcnt vmcnt(0)
	v_cmp_lt_i16_e32 vcc, s0, v4
	s_and_saveexec_b64 s[0:1], vcc
	s_xor_b64 s[0:1], exec, s[0:1]
	s_cbranch_execz .LBB379_315
; %bb.295:
	s_movk_i32 s18, 0x80
	v_cmp_ne_u16_e32 vcc, s18, v4
	s_and_b64 s[18:19], vcc, exec
	s_andn2_saveexec_b64 s[0:1], s[0:1]
	s_cbranch_execnz .LBB379_316
.LBB379_296:
	s_or_b64 exec, exec, s[0:1]
	v_mov_b32_e32 v3, 0
	s_and_saveexec_b64 s[0:1], s[18:19]
	s_cbranch_execz .LBB379_298
.LBB379_297:
	v_lshlrev_b32_e32 v3, 24, v4
	v_and_b32_e32 v4, 0xffff, v4
	v_and_b32_e32 v5, 3, v4
	v_ffbh_u32_e32 v7, v5
	v_min_u32_e32 v7, 32, v7
	v_subrev_u32_e32 v8, 29, v7
	v_bfe_u32 v6, v4, 2, 5
	v_lshlrev_b32_e32 v4, v8, v4
	v_sub_u32_e32 v7, 30, v7
	v_and_b32_e32 v4, 3, v4
	v_cmp_eq_u32_e32 vcc, 0, v6
	v_cndmask_b32_e32 v6, v6, v7, vcc
	v_cndmask_b32_e32 v4, v5, v4, vcc
	v_mov_b32_e32 v5, 0x37800000
	v_lshlrev_b32_e32 v4, 21, v4
	v_and_b32_e32 v3, 0x80000000, v3
	v_lshl_add_u32 v5, v6, 23, v5
	v_or3_b32 v3, v3, v5, v4
	v_cvt_i32_f32_e32 v3, v3
.LBB379_298:
	s_or_b64 exec, exec, s[0:1]
	s_mov_b64 s[0:1], 0
	s_branch .LBB379_304
.LBB379_299:
	s_mov_b64 s[18:19], -1
                                        ; implicit-def: $vgpr3
	s_branch .LBB379_310
.LBB379_300:
	s_andn2_saveexec_b64 s[0:1], s[0:1]
	s_cbranch_execz .LBB379_285
.LBB379_301:
	v_cmp_ne_u16_e32 vcc, 0, v4
	s_andn2_b64 s[18:19], s[18:19], exec
	s_and_b64 s[30:31], vcc, exec
	s_or_b64 s[18:19], s[18:19], s[30:31]
	s_or_b64 exec, exec, s[0:1]
	v_mov_b32_e32 v3, 0
	s_and_saveexec_b64 s[0:1], s[18:19]
	s_cbranch_execnz .LBB379_286
	s_branch .LBB379_287
.LBB379_302:
	s_mov_b64 s[0:1], -1
                                        ; implicit-def: $vgpr3
	s_branch .LBB379_307
.LBB379_303:
	s_mov_b64 s[0:1], -1
                                        ; implicit-def: $vgpr3
.LBB379_304:
	s_and_b64 vcc, exec, s[0:1]
	s_cbranch_vccz .LBB379_306
; %bb.305:
	global_load_ubyte v3, v[1:2], off
	s_mov_b32 s0, 0x7f800000
	s_waitcnt vmcnt(0)
	v_lshlrev_b32_e32 v3, 24, v3
	v_and_b32_e32 v4, 0x7f000000, v3
	v_ffbh_u32_e32 v5, v4
	v_min_u32_e32 v5, 32, v5
	v_sub_u32_e64 v5, v5, 4 clamp
	v_lshlrev_b32_e32 v7, v5, v4
	v_lshlrev_b32_e32 v5, 23, v5
	v_lshrrev_b32_e32 v7, 4, v7
	v_add_u32_e32 v6, 0x1000000, v4
	v_sub_u32_e32 v5, v7, v5
	v_ashrrev_i32_e32 v6, 8, v6
	v_add_u32_e32 v5, 0x3c000000, v5
	v_and_or_b32 v5, v6, s0, v5
	v_cmp_ne_u32_e32 vcc, 0, v4
	v_cndmask_b32_e32 v4, 0, v5, vcc
	s_brev_b32 s0, 1
	v_and_or_b32 v3, v3, s0, v4
	v_cvt_i32_f32_e32 v3, v3
.LBB379_306:
	s_mov_b64 s[0:1], 0
.LBB379_307:
	s_andn2_b64 vcc, exec, s[0:1]
	s_cbranch_vccnz .LBB379_309
; %bb.308:
	global_load_ubyte v3, v[1:2], off
	s_movk_i32 s0, 0x7f00
	s_brev_b32 s1, 16
	s_waitcnt vmcnt(0)
	v_lshlrev_b16_e32 v4, 8, v3
	v_lshlrev_b32_e32 v3, 25, v3
	v_lshrrev_b32_e32 v5, 4, v3
	v_and_or_b32 v6, v4, s0, 0.5
	v_or_b32_e32 v5, 0x70000000, v5
	v_add_f32_e32 v6, -0.5, v6
	v_mul_f32_e32 v5, 0x7800000, v5
	v_cmp_gt_u32_e32 vcc, s1, v3
	v_bfe_i32 v4, v4, 0, 16
	v_cndmask_b32_e32 v3, v5, v6, vcc
	s_brev_b32 s0, 1
	v_and_or_b32 v3, v4, s0, v3
	v_cvt_i32_f32_e32 v3, v3
.LBB379_309:
	s_mov_b64 s[18:19], 0
	s_mov_b64 s[0:1], -1
.LBB379_310:
	s_andn2_b64 vcc, exec, s[18:19]
	s_cbranch_vccnz .LBB379_323
; %bb.311:
	s_cmp_gt_i32 s27, 14
	s_cbranch_scc0 .LBB379_314
; %bb.312:
	s_cmp_eq_u32 s27, 15
	s_cbranch_scc0 .LBB379_317
; %bb.313:
	global_load_ushort v3, v[1:2], off
	s_mov_b64 s[0:1], -1
	s_mov_b64 s[20:21], 0
	s_waitcnt vmcnt(0)
	v_lshlrev_b32_e32 v3, 16, v3
	v_cvt_i32_f32_e32 v3, v3
	s_branch .LBB379_318
.LBB379_314:
	s_mov_b64 s[18:19], -1
                                        ; implicit-def: $vgpr3
	s_branch .LBB379_319
.LBB379_315:
	s_andn2_saveexec_b64 s[0:1], s[0:1]
	s_cbranch_execz .LBB379_296
.LBB379_316:
	v_cmp_ne_u16_e32 vcc, 0, v4
	s_andn2_b64 s[18:19], s[18:19], exec
	s_and_b64 s[30:31], vcc, exec
	s_or_b64 s[18:19], s[18:19], s[30:31]
	s_or_b64 exec, exec, s[0:1]
	v_mov_b32_e32 v3, 0
	s_and_saveexec_b64 s[0:1], s[18:19]
	s_cbranch_execnz .LBB379_297
	s_branch .LBB379_298
.LBB379_317:
	s_mov_b64 s[20:21], -1
                                        ; implicit-def: $vgpr3
.LBB379_318:
	s_mov_b64 s[18:19], 0
.LBB379_319:
	s_and_b64 vcc, exec, s[18:19]
	s_cbranch_vccz .LBB379_323
; %bb.320:
	s_cmp_eq_u32 s27, 11
	s_cbranch_scc0 .LBB379_322
; %bb.321:
	global_load_ubyte v3, v[1:2], off
	s_mov_b64 s[0:1], -1
	s_mov_b64 s[20:21], 0
	s_waitcnt vmcnt(0)
	v_cmp_ne_u16_e32 vcc, 0, v3
	v_cndmask_b32_e64 v3, 0, 1, vcc
	s_branch .LBB379_323
.LBB379_322:
	s_mov_b64 s[20:21], -1
                                        ; implicit-def: $vgpr3
.LBB379_323:
	s_branch .LBB379_20
.LBB379_324:
	s_and_b32 s18, 0xffff, s26
	s_cmp_lt_i32 s18, 5
	s_cbranch_scc1 .LBB379_329
; %bb.325:
	s_cmp_lt_i32 s18, 8
	s_cbranch_scc1 .LBB379_330
; %bb.326:
	;; [unrolled: 3-line block ×3, first 2 shown]
	s_cmp_gt_i32 s18, 9
	s_cbranch_scc0 .LBB379_332
; %bb.328:
	global_load_dwordx2 v[3:4], v[1:2], off
	s_mov_b64 s[0:1], 0
	s_waitcnt vmcnt(0)
	v_cvt_i32_f64_e32 v3, v[3:4]
	s_branch .LBB379_333
.LBB379_329:
	s_mov_b64 s[0:1], -1
                                        ; implicit-def: $vgpr3
	s_branch .LBB379_351
.LBB379_330:
	s_mov_b64 s[0:1], -1
                                        ; implicit-def: $vgpr3
	s_branch .LBB379_339
.LBB379_331:
	s_mov_b64 s[0:1], -1
                                        ; implicit-def: $vgpr3
	s_branch .LBB379_336
.LBB379_332:
	s_mov_b64 s[0:1], -1
                                        ; implicit-def: $vgpr3
.LBB379_333:
	s_andn2_b64 vcc, exec, s[0:1]
	s_cbranch_vccnz .LBB379_335
; %bb.334:
	global_load_dword v3, v[1:2], off
	s_waitcnt vmcnt(0)
	v_cvt_i32_f32_e32 v3, v3
.LBB379_335:
	s_mov_b64 s[0:1], 0
.LBB379_336:
	s_andn2_b64 vcc, exec, s[0:1]
	s_cbranch_vccnz .LBB379_338
; %bb.337:
	global_load_dword v3, v[1:2], off
	s_waitcnt vmcnt(0)
	v_cvt_i16_f16_e32 v3, v3
.LBB379_338:
	s_mov_b64 s[0:1], 0
.LBB379_339:
	s_andn2_b64 vcc, exec, s[0:1]
	s_cbranch_vccnz .LBB379_350
; %bb.340:
	s_cmp_lt_i32 s18, 6
	s_cbranch_scc1 .LBB379_343
; %bb.341:
	s_cmp_gt_i32 s18, 6
	s_cbranch_scc0 .LBB379_344
; %bb.342:
	global_load_dwordx2 v[3:4], v[1:2], off
	s_mov_b64 s[0:1], 0
	s_waitcnt vmcnt(0)
	v_cvt_i32_f64_e32 v3, v[3:4]
	s_branch .LBB379_345
.LBB379_343:
	s_mov_b64 s[0:1], -1
                                        ; implicit-def: $vgpr3
	s_branch .LBB379_348
.LBB379_344:
	s_mov_b64 s[0:1], -1
                                        ; implicit-def: $vgpr3
.LBB379_345:
	s_andn2_b64 vcc, exec, s[0:1]
	s_cbranch_vccnz .LBB379_347
; %bb.346:
	global_load_dword v3, v[1:2], off
	s_waitcnt vmcnt(0)
	v_cvt_i32_f32_e32 v3, v3
.LBB379_347:
	s_mov_b64 s[0:1], 0
.LBB379_348:
	s_andn2_b64 vcc, exec, s[0:1]
	s_cbranch_vccnz .LBB379_350
; %bb.349:
	global_load_ushort v3, v[1:2], off
	s_waitcnt vmcnt(0)
	v_cvt_i16_f16_e32 v3, v3
.LBB379_350:
	s_mov_b64 s[0:1], 0
.LBB379_351:
	s_andn2_b64 vcc, exec, s[0:1]
	s_cbranch_vccnz .LBB379_371
; %bb.352:
	s_cmp_lt_i32 s18, 2
	s_cbranch_scc1 .LBB379_356
; %bb.353:
	s_cmp_lt_i32 s18, 3
	s_cbranch_scc1 .LBB379_357
; %bb.354:
	s_cmp_gt_i32 s18, 3
	s_cbranch_scc0 .LBB379_358
; %bb.355:
	global_load_dwordx2 v[3:4], v[1:2], off
	s_mov_b64 s[0:1], 0
	s_branch .LBB379_359
.LBB379_356:
	s_mov_b64 s[0:1], -1
                                        ; implicit-def: $vgpr3
	s_branch .LBB379_365
.LBB379_357:
	s_mov_b64 s[0:1], -1
                                        ; implicit-def: $vgpr3
	s_branch .LBB379_362
.LBB379_358:
	s_mov_b64 s[0:1], -1
                                        ; implicit-def: $vgpr3
.LBB379_359:
	s_andn2_b64 vcc, exec, s[0:1]
	s_cbranch_vccnz .LBB379_361
; %bb.360:
	global_load_dword v3, v[1:2], off
.LBB379_361:
	s_mov_b64 s[0:1], 0
.LBB379_362:
	s_andn2_b64 vcc, exec, s[0:1]
	s_cbranch_vccnz .LBB379_364
; %bb.363:
	global_load_ushort v3, v[1:2], off
.LBB379_364:
	s_mov_b64 s[0:1], 0
.LBB379_365:
	s_andn2_b64 vcc, exec, s[0:1]
	s_cbranch_vccnz .LBB379_371
; %bb.366:
	s_cmp_gt_i32 s18, 0
	s_cbranch_scc0 .LBB379_368
; %bb.367:
	global_load_ubyte v3, v[1:2], off
	s_mov_b64 s[0:1], 0
	s_branch .LBB379_369
.LBB379_368:
	s_mov_b64 s[0:1], -1
                                        ; implicit-def: $vgpr3
.LBB379_369:
	s_andn2_b64 vcc, exec, s[0:1]
	s_cbranch_vccnz .LBB379_371
; %bb.370:
	global_load_ubyte v3, v[1:2], off
.LBB379_371:
	s_branch .LBB379_21
.LBB379_372:
	s_mov_b64 s[0:1], 0
.LBB379_373:
                                        ; implicit-def: $vgpr14
	s_mov_b64 s[26:27], 0
.LBB379_374:
	s_and_b64 s[18:19], s[0:1], exec
	s_and_b64 s[20:21], s[20:21], exec
	;; [unrolled: 1-line block ×3, first 2 shown]
	s_orn2_b64 s[0:1], s[26:27], exec
.LBB379_375:
	s_or_b64 exec, exec, s[24:25]
	s_mov_b64 s[34:35], 0
	s_mov_b64 s[30:31], 0
                                        ; implicit-def: $sgpr58
                                        ; implicit-def: $vgpr2_vgpr3
                                        ; implicit-def: $vgpr0
	s_and_saveexec_b64 s[24:25], s[0:1]
	s_cbranch_execz .LBB379_384
; %bb.376:
	v_cmp_gt_i32_e32 vcc, s50, v14
	s_mov_b64 s[0:1], -1
	s_mov_b64 s[26:27], s[22:23]
	s_mov_b64 s[28:29], s[20:21]
	s_mov_b64 s[30:31], s[18:19]
	s_and_saveexec_b64 s[34:35], vcc
	s_cbranch_execz .LBB379_757
; %bb.377:
	s_waitcnt vmcnt(0)
	v_mul_lo_u32 v0, v14, s13
	v_mov_b32_e32 v1, s11
	s_and_b32 s30, s57, 0xff
	s_cmp_lt_i32 s30, 11
	v_ashrrev_i32_e32 v3, 31, v0
	v_add_co_u32_e32 v2, vcc, s10, v0
	v_addc_co_u32_e32 v3, vcc, v1, v3, vcc
	s_cbranch_scc1 .LBB379_387
; %bb.378:
	s_and_b32 s31, 0xffff, s30
	s_cmp_gt_i32 s31, 25
	s_cbranch_scc0 .LBB379_396
; %bb.379:
	s_cmp_gt_i32 s31, 28
	s_cbranch_scc0 .LBB379_398
; %bb.380:
	;; [unrolled: 3-line block ×4, first 2 shown]
	s_cmp_eq_u32 s31, 46
	s_mov_b64 s[28:29], 0
	s_cbranch_scc0 .LBB379_406
; %bb.383:
	global_load_dword v0, v[2:3], off
	s_mov_b64 s[26:27], 0
	s_waitcnt vmcnt(0)
	v_lshlrev_b32_e32 v0, 16, v0
	v_cvt_i32_f32_e32 v0, v0
	s_branch .LBB379_407
.LBB379_384:
	s_or_b64 exec, exec, s[24:25]
	s_mov_b64 s[24:25], 0
	s_and_saveexec_b64 s[0:1], s[22:23]
	s_cbranch_execnz .LBB379_1220
.LBB379_385:
	s_or_b64 exec, exec, s[0:1]
	s_and_saveexec_b64 s[0:1], s[28:29]
	s_xor_b64 s[0:1], exec, s[0:1]
	s_cbranch_execz .LBB379_1221
.LBB379_386:
	s_waitcnt vmcnt(0)
	global_load_ubyte v0, v[2:3], off
	s_or_b64 s[30:31], s[30:31], exec
	s_waitcnt vmcnt(0)
	v_cmp_ne_u16_e32 vcc, 0, v0
	v_cndmask_b32_e64 v0, 0, 1, vcc
	s_or_b64 exec, exec, s[0:1]
	s_and_saveexec_b64 s[0:1], s[34:35]
	s_cbranch_execz .LBB379_1267
	s_branch .LBB379_1222
.LBB379_387:
	s_mov_b64 s[0:1], 0
                                        ; implicit-def: $vgpr0
	s_mov_b64 s[26:27], s[22:23]
	s_cbranch_execnz .LBB379_469
.LBB379_388:
	s_andn2_b64 vcc, exec, s[0:1]
	s_cbranch_vccnz .LBB379_517
.LBB379_389:
	s_waitcnt vmcnt(0)
	v_mul_lo_u32 v1, v14, s14
	v_mov_b32_e32 v2, s3
	s_and_b32 s36, s56, 0xff
	s_cmp_lt_i32 s36, 11
	v_ashrrev_i32_e32 v3, 31, v1
	v_add_co_u32_e32 v1, vcc, s2, v1
	v_addc_co_u32_e32 v2, vcc, v2, v3, vcc
	s_cbranch_scc1 .LBB379_397
; %bb.390:
	s_and_b32 s37, 0xffff, s36
	s_cmp_gt_i32 s37, 25
	s_cbranch_scc0 .LBB379_399
; %bb.391:
	s_cmp_gt_i32 s37, 28
	s_cbranch_scc0 .LBB379_401
; %bb.392:
	;; [unrolled: 3-line block ×4, first 2 shown]
	s_cmp_eq_u32 s37, 46
	s_mov_b64 s[30:31], 0
	s_cbranch_scc0 .LBB379_521
; %bb.395:
	global_load_dword v3, v[1:2], off
	s_mov_b64 s[0:1], -1
	s_mov_b64 s[28:29], 0
	s_waitcnt vmcnt(0)
	v_lshlrev_b32_e32 v3, 16, v3
	v_cvt_i32_f32_e32 v3, v3
	s_branch .LBB379_522
.LBB379_396:
	s_mov_b64 s[28:29], -1
	s_mov_b64 s[0:1], 0
	s_mov_b64 s[26:27], s[22:23]
                                        ; implicit-def: $vgpr0
	s_branch .LBB379_435
.LBB379_397:
	s_mov_b64 s[30:31], -1
	s_mov_b64 s[0:1], 0
                                        ; implicit-def: $vgpr3
	s_mov_b64 s[28:29], s[20:21]
	s_branch .LBB379_583
.LBB379_398:
	s_mov_b64 s[28:29], -1
	s_mov_b64 s[0:1], 0
	s_mov_b64 s[26:27], s[22:23]
                                        ; implicit-def: $vgpr0
	s_branch .LBB379_418
.LBB379_399:
	s_mov_b64 s[30:31], -1
	s_mov_b64 s[0:1], 0
	s_mov_b64 s[28:29], s[20:21]
                                        ; implicit-def: $vgpr3
	s_branch .LBB379_549
.LBB379_400:
	s_mov_b64 s[28:29], -1
	s_mov_b64 s[0:1], 0
	s_mov_b64 s[26:27], s[22:23]
                                        ; implicit-def: $vgpr0
	s_branch .LBB379_413
.LBB379_401:
	s_mov_b64 s[30:31], -1
	s_mov_b64 s[0:1], 0
	s_mov_b64 s[28:29], s[20:21]
                                        ; implicit-def: $vgpr3
	s_branch .LBB379_532
.LBB379_402:
	s_mov_b64 s[28:29], -1
	s_mov_b64 s[0:1], 0
	s_mov_b64 s[26:27], s[22:23]
                                        ; implicit-def: $vgpr0
	s_branch .LBB379_407
.LBB379_403:
	s_mov_b64 s[30:31], -1
	s_mov_b64 s[0:1], 0
	s_mov_b64 s[28:29], s[20:21]
                                        ; implicit-def: $vgpr3
	s_branch .LBB379_527
.LBB379_404:
	s_andn2_saveexec_b64 s[34:35], s[34:35]
	s_cbranch_execz .LBB379_176
.LBB379_405:
	v_add_f32_e32 v2, 0x46000000, v3
	v_and_b32_e32 v2, 0xff, v2
	v_cmp_ne_u32_e32 vcc, 0, v2
	s_andn2_b64 s[30:31], s[30:31], exec
	s_and_b64 s[38:39], vcc, exec
	s_or_b64 s[30:31], s[30:31], s[38:39]
	s_or_b64 exec, exec, s[34:35]
	v_mov_b32_e32 v4, 0
	s_and_saveexec_b64 s[34:35], s[30:31]
	s_cbranch_execnz .LBB379_177
	s_branch .LBB379_178
.LBB379_406:
	s_mov_b64 s[26:27], -1
                                        ; implicit-def: $vgpr0
	s_mov_b64 s[0:1], 0
.LBB379_407:
	s_and_b64 vcc, exec, s[28:29]
	s_cbranch_vccz .LBB379_412
; %bb.408:
	s_cmp_eq_u32 s31, 44
	s_cbranch_scc0 .LBB379_411
; %bb.409:
	global_load_ubyte v0, v[2:3], off
	s_mov_b64 s[0:1], -1
	s_mov_b64 s[26:27], 0
	s_waitcnt vmcnt(0)
	v_lshlrev_b32_e32 v1, 23, v0
	v_cvt_i32_f32_e32 v1, v1
	v_cmp_ne_u32_e32 vcc, 0, v0
	v_cndmask_b32_e32 v0, 0, v1, vcc
	s_branch .LBB379_412
.LBB379_410:
	s_mov_b64 s[30:31], -1
	s_mov_b64 s[0:1], 0
	s_mov_b64 s[28:29], s[20:21]
                                        ; implicit-def: $vgpr3
	s_branch .LBB379_522
.LBB379_411:
	s_mov_b64 s[26:27], -1
                                        ; implicit-def: $vgpr0
.LBB379_412:
	s_mov_b64 s[28:29], 0
.LBB379_413:
	s_and_b64 vcc, exec, s[28:29]
	s_cbranch_vccz .LBB379_417
; %bb.414:
	s_cmp_eq_u32 s31, 29
	s_cbranch_scc0 .LBB379_416
; %bb.415:
	global_load_dwordx2 v[0:1], v[2:3], off
	s_mov_b64 s[0:1], -1
	s_mov_b64 s[26:27], 0
	s_branch .LBB379_417
.LBB379_416:
	s_mov_b64 s[26:27], -1
                                        ; implicit-def: $vgpr0
.LBB379_417:
	s_mov_b64 s[28:29], 0
.LBB379_418:
	s_and_b64 vcc, exec, s[28:29]
	s_cbranch_vccz .LBB379_434
; %bb.419:
	s_cmp_lt_i32 s31, 27
	s_cbranch_scc1 .LBB379_422
; %bb.420:
	s_cmp_gt_i32 s31, 27
	s_cbranch_scc0 .LBB379_423
; %bb.421:
	global_load_dword v0, v[2:3], off
	s_mov_b64 s[0:1], 0
	s_branch .LBB379_424
.LBB379_422:
	s_mov_b64 s[0:1], -1
                                        ; implicit-def: $vgpr0
	s_branch .LBB379_427
.LBB379_423:
	s_mov_b64 s[0:1], -1
                                        ; implicit-def: $vgpr0
.LBB379_424:
	s_andn2_b64 vcc, exec, s[0:1]
	s_cbranch_vccnz .LBB379_426
; %bb.425:
	global_load_ushort v0, v[2:3], off
.LBB379_426:
	s_mov_b64 s[0:1], 0
.LBB379_427:
	s_andn2_b64 vcc, exec, s[0:1]
	s_cbranch_vccnz .LBB379_433
; %bb.428:
	global_load_ubyte v1, v[2:3], off
	s_movk_i32 s0, 0x7f
	s_mov_b64 s[28:29], 0
	s_waitcnt vmcnt(0)
	v_cmp_lt_i16_e32 vcc, s0, v1
	s_and_saveexec_b64 s[0:1], vcc
	s_xor_b64 s[0:1], exec, s[0:1]
	s_cbranch_execz .LBB379_445
; %bb.429:
	s_movk_i32 s28, 0x80
	v_cmp_ne_u16_e32 vcc, s28, v1
	s_and_b64 s[28:29], vcc, exec
	s_andn2_saveexec_b64 s[0:1], s[0:1]
	s_cbranch_execnz .LBB379_446
.LBB379_430:
	s_or_b64 exec, exec, s[0:1]
	v_mov_b32_e32 v0, 0
	s_and_saveexec_b64 s[0:1], s[28:29]
	s_cbranch_execz .LBB379_432
.LBB379_431:
	v_lshlrev_b32_e32 v0, 24, v1
	v_and_b32_e32 v1, 0xffff, v1
	v_and_b32_e32 v4, 7, v1
	v_ffbh_u32_e32 v6, v4
	v_min_u32_e32 v6, 32, v6
	v_subrev_u32_e32 v7, 28, v6
	v_bfe_u32 v5, v1, 3, 4
	v_lshlrev_b32_e32 v1, v7, v1
	v_sub_u32_e32 v6, 29, v6
	v_and_b32_e32 v1, 7, v1
	v_cmp_eq_u32_e32 vcc, 0, v5
	v_cndmask_b32_e32 v5, v5, v6, vcc
	v_cndmask_b32_e32 v1, v4, v1, vcc
	v_mov_b32_e32 v4, 0x3b800000
	v_lshlrev_b32_e32 v1, 20, v1
	v_and_b32_e32 v0, 0x80000000, v0
	v_lshl_add_u32 v4, v5, 23, v4
	v_or3_b32 v0, v0, v4, v1
	v_cvt_i32_f32_e32 v0, v0
.LBB379_432:
	s_or_b64 exec, exec, s[0:1]
.LBB379_433:
	s_mov_b64 s[0:1], -1
.LBB379_434:
	s_mov_b64 s[28:29], 0
.LBB379_435:
	s_and_b64 vcc, exec, s[28:29]
	s_cbranch_vccz .LBB379_468
; %bb.436:
	s_cmp_gt_i32 s31, 22
	s_cbranch_scc0 .LBB379_444
; %bb.437:
	s_cmp_lt_i32 s31, 24
	s_cbranch_scc1 .LBB379_447
; %bb.438:
	s_cmp_gt_i32 s31, 24
	s_cbranch_scc0 .LBB379_448
; %bb.439:
	global_load_ubyte v1, v[2:3], off
	s_movk_i32 s0, 0x7f
	s_mov_b64 s[28:29], 0
	s_waitcnt vmcnt(0)
	v_cmp_lt_i16_e32 vcc, s0, v1
	s_and_saveexec_b64 s[0:1], vcc
	s_xor_b64 s[0:1], exec, s[0:1]
	s_cbranch_execz .LBB379_460
; %bb.440:
	s_movk_i32 s28, 0x80
	v_cmp_ne_u16_e32 vcc, s28, v1
	s_and_b64 s[28:29], vcc, exec
	s_andn2_saveexec_b64 s[0:1], s[0:1]
	s_cbranch_execnz .LBB379_461
.LBB379_441:
	s_or_b64 exec, exec, s[0:1]
	v_mov_b32_e32 v0, 0
	s_and_saveexec_b64 s[0:1], s[28:29]
	s_cbranch_execz .LBB379_443
.LBB379_442:
	v_lshlrev_b32_e32 v0, 24, v1
	v_and_b32_e32 v1, 0xffff, v1
	v_and_b32_e32 v4, 3, v1
	v_ffbh_u32_e32 v6, v4
	v_min_u32_e32 v6, 32, v6
	v_subrev_u32_e32 v7, 29, v6
	v_bfe_u32 v5, v1, 2, 5
	v_lshlrev_b32_e32 v1, v7, v1
	v_sub_u32_e32 v6, 30, v6
	v_and_b32_e32 v1, 3, v1
	v_cmp_eq_u32_e32 vcc, 0, v5
	v_cndmask_b32_e32 v5, v5, v6, vcc
	v_cndmask_b32_e32 v1, v4, v1, vcc
	v_mov_b32_e32 v4, 0x37800000
	v_lshlrev_b32_e32 v1, 21, v1
	v_and_b32_e32 v0, 0x80000000, v0
	v_lshl_add_u32 v4, v5, 23, v4
	v_or3_b32 v0, v0, v4, v1
	v_cvt_i32_f32_e32 v0, v0
.LBB379_443:
	s_or_b64 exec, exec, s[0:1]
	s_mov_b64 s[0:1], 0
	s_branch .LBB379_449
.LBB379_444:
	s_mov_b64 s[28:29], -1
                                        ; implicit-def: $vgpr0
	s_branch .LBB379_455
.LBB379_445:
	s_andn2_saveexec_b64 s[0:1], s[0:1]
	s_cbranch_execz .LBB379_430
.LBB379_446:
	v_cmp_ne_u16_e32 vcc, 0, v1
	s_andn2_b64 s[28:29], s[28:29], exec
	s_and_b64 s[36:37], vcc, exec
	s_or_b64 s[28:29], s[28:29], s[36:37]
	s_or_b64 exec, exec, s[0:1]
	v_mov_b32_e32 v0, 0
	s_and_saveexec_b64 s[0:1], s[28:29]
	s_cbranch_execnz .LBB379_431
	s_branch .LBB379_432
.LBB379_447:
	s_mov_b64 s[0:1], -1
                                        ; implicit-def: $vgpr0
	s_branch .LBB379_452
.LBB379_448:
	s_mov_b64 s[0:1], -1
                                        ; implicit-def: $vgpr0
.LBB379_449:
	s_and_b64 vcc, exec, s[0:1]
	s_cbranch_vccz .LBB379_451
; %bb.450:
	global_load_ubyte v0, v[2:3], off
	s_mov_b32 s0, 0x7f800000
	s_waitcnt vmcnt(0)
	v_lshlrev_b32_e32 v0, 24, v0
	v_and_b32_e32 v1, 0x7f000000, v0
	v_ffbh_u32_e32 v4, v1
	v_min_u32_e32 v4, 32, v4
	v_sub_u32_e64 v4, v4, 4 clamp
	v_lshlrev_b32_e32 v6, v4, v1
	v_lshlrev_b32_e32 v4, 23, v4
	v_lshrrev_b32_e32 v6, 4, v6
	v_add_u32_e32 v5, 0x1000000, v1
	v_sub_u32_e32 v4, v6, v4
	v_ashrrev_i32_e32 v5, 8, v5
	v_add_u32_e32 v4, 0x3c000000, v4
	v_and_or_b32 v4, v5, s0, v4
	v_cmp_ne_u32_e32 vcc, 0, v1
	v_cndmask_b32_e32 v1, 0, v4, vcc
	s_brev_b32 s0, 1
	v_and_or_b32 v0, v0, s0, v1
	v_cvt_i32_f32_e32 v0, v0
.LBB379_451:
	s_mov_b64 s[0:1], 0
.LBB379_452:
	s_andn2_b64 vcc, exec, s[0:1]
	s_cbranch_vccnz .LBB379_454
; %bb.453:
	global_load_ubyte v0, v[2:3], off
	s_movk_i32 s0, 0x7f00
	s_brev_b32 s1, 16
	s_waitcnt vmcnt(0)
	v_lshlrev_b16_e32 v1, 8, v0
	v_lshlrev_b32_e32 v0, 25, v0
	v_lshrrev_b32_e32 v4, 4, v0
	v_and_or_b32 v5, v1, s0, 0.5
	v_or_b32_e32 v4, 0x70000000, v4
	v_add_f32_e32 v5, -0.5, v5
	v_mul_f32_e32 v4, 0x7800000, v4
	v_cmp_gt_u32_e32 vcc, s1, v0
	v_bfe_i32 v1, v1, 0, 16
	v_cndmask_b32_e32 v0, v4, v5, vcc
	s_brev_b32 s0, 1
	v_and_or_b32 v0, v1, s0, v0
	v_cvt_i32_f32_e32 v0, v0
.LBB379_454:
	s_mov_b64 s[28:29], 0
	s_mov_b64 s[0:1], -1
.LBB379_455:
	s_andn2_b64 vcc, exec, s[28:29]
	s_cbranch_vccnz .LBB379_468
; %bb.456:
	s_cmp_gt_i32 s31, 14
	s_cbranch_scc0 .LBB379_459
; %bb.457:
	s_cmp_eq_u32 s31, 15
	s_cbranch_scc0 .LBB379_462
; %bb.458:
	global_load_ushort v0, v[2:3], off
	s_mov_b64 s[0:1], -1
	s_mov_b64 s[26:27], 0
	s_waitcnt vmcnt(0)
	v_lshlrev_b32_e32 v0, 16, v0
	v_cvt_i32_f32_e32 v0, v0
	s_branch .LBB379_463
.LBB379_459:
	s_mov_b64 s[28:29], -1
                                        ; implicit-def: $vgpr0
	s_branch .LBB379_464
.LBB379_460:
	s_andn2_saveexec_b64 s[0:1], s[0:1]
	s_cbranch_execz .LBB379_441
.LBB379_461:
	v_cmp_ne_u16_e32 vcc, 0, v1
	s_andn2_b64 s[28:29], s[28:29], exec
	s_and_b64 s[36:37], vcc, exec
	s_or_b64 s[28:29], s[28:29], s[36:37]
	s_or_b64 exec, exec, s[0:1]
	v_mov_b32_e32 v0, 0
	s_and_saveexec_b64 s[0:1], s[28:29]
	s_cbranch_execnz .LBB379_442
	s_branch .LBB379_443
.LBB379_462:
	s_mov_b64 s[26:27], -1
                                        ; implicit-def: $vgpr0
.LBB379_463:
	s_mov_b64 s[28:29], 0
.LBB379_464:
	s_and_b64 vcc, exec, s[28:29]
	s_cbranch_vccz .LBB379_468
; %bb.465:
	s_cmp_eq_u32 s31, 11
	s_cbranch_scc0 .LBB379_467
; %bb.466:
	global_load_ubyte v0, v[2:3], off
	s_mov_b64 s[0:1], -1
	s_mov_b64 s[26:27], 0
	s_waitcnt vmcnt(0)
	v_cmp_ne_u16_e32 vcc, 0, v0
	v_cndmask_b32_e64 v0, 0, 1, vcc
	s_branch .LBB379_468
.LBB379_467:
	s_mov_b64 s[26:27], -1
                                        ; implicit-def: $vgpr0
.LBB379_468:
	s_branch .LBB379_388
.LBB379_469:
	s_and_b32 s28, 0xffff, s30
	s_cmp_lt_i32 s28, 5
	s_cbranch_scc1 .LBB379_474
; %bb.470:
	s_cmp_lt_i32 s28, 8
	s_cbranch_scc1 .LBB379_475
; %bb.471:
	;; [unrolled: 3-line block ×3, first 2 shown]
	s_cmp_gt_i32 s28, 9
	s_cbranch_scc0 .LBB379_477
; %bb.473:
	global_load_dwordx2 v[0:1], v[2:3], off
	s_mov_b64 s[0:1], 0
	s_waitcnt vmcnt(0)
	v_cvt_i32_f64_e32 v0, v[0:1]
	s_branch .LBB379_478
.LBB379_474:
	s_mov_b64 s[0:1], -1
                                        ; implicit-def: $vgpr0
	s_branch .LBB379_496
.LBB379_475:
	s_mov_b64 s[0:1], -1
                                        ; implicit-def: $vgpr0
	s_branch .LBB379_484
.LBB379_476:
	s_mov_b64 s[0:1], -1
                                        ; implicit-def: $vgpr0
	s_branch .LBB379_481
.LBB379_477:
	s_mov_b64 s[0:1], -1
                                        ; implicit-def: $vgpr0
.LBB379_478:
	s_andn2_b64 vcc, exec, s[0:1]
	s_cbranch_vccnz .LBB379_480
; %bb.479:
	global_load_dword v0, v[2:3], off
	s_waitcnt vmcnt(0)
	v_cvt_i32_f32_e32 v0, v0
.LBB379_480:
	s_mov_b64 s[0:1], 0
.LBB379_481:
	s_andn2_b64 vcc, exec, s[0:1]
	s_cbranch_vccnz .LBB379_483
; %bb.482:
	global_load_dword v0, v[2:3], off
	s_waitcnt vmcnt(0)
	v_cvt_i16_f16_e32 v0, v0
.LBB379_483:
	s_mov_b64 s[0:1], 0
.LBB379_484:
	s_andn2_b64 vcc, exec, s[0:1]
	s_cbranch_vccnz .LBB379_495
; %bb.485:
	s_cmp_lt_i32 s28, 6
	s_cbranch_scc1 .LBB379_488
; %bb.486:
	s_cmp_gt_i32 s28, 6
	s_cbranch_scc0 .LBB379_489
; %bb.487:
	global_load_dwordx2 v[0:1], v[2:3], off
	s_mov_b64 s[0:1], 0
	s_waitcnt vmcnt(0)
	v_cvt_i32_f64_e32 v0, v[0:1]
	s_branch .LBB379_490
.LBB379_488:
	s_mov_b64 s[0:1], -1
                                        ; implicit-def: $vgpr0
	s_branch .LBB379_493
.LBB379_489:
	s_mov_b64 s[0:1], -1
                                        ; implicit-def: $vgpr0
.LBB379_490:
	s_andn2_b64 vcc, exec, s[0:1]
	s_cbranch_vccnz .LBB379_492
; %bb.491:
	global_load_dword v0, v[2:3], off
	s_waitcnt vmcnt(0)
	v_cvt_i32_f32_e32 v0, v0
.LBB379_492:
	s_mov_b64 s[0:1], 0
.LBB379_493:
	s_andn2_b64 vcc, exec, s[0:1]
	s_cbranch_vccnz .LBB379_495
; %bb.494:
	global_load_ushort v0, v[2:3], off
	s_waitcnt vmcnt(0)
	v_cvt_i16_f16_e32 v0, v0
.LBB379_495:
	s_mov_b64 s[0:1], 0
.LBB379_496:
	s_andn2_b64 vcc, exec, s[0:1]
	s_cbranch_vccnz .LBB379_516
; %bb.497:
	s_cmp_lt_i32 s28, 2
	s_cbranch_scc1 .LBB379_501
; %bb.498:
	s_cmp_lt_i32 s28, 3
	s_cbranch_scc1 .LBB379_502
; %bb.499:
	s_cmp_gt_i32 s28, 3
	s_cbranch_scc0 .LBB379_503
; %bb.500:
	global_load_dwordx2 v[0:1], v[2:3], off
	s_mov_b64 s[0:1], 0
	s_branch .LBB379_504
.LBB379_501:
	s_mov_b64 s[0:1], -1
                                        ; implicit-def: $vgpr0
	s_branch .LBB379_510
.LBB379_502:
	s_mov_b64 s[0:1], -1
                                        ; implicit-def: $vgpr0
	s_branch .LBB379_507
.LBB379_503:
	s_mov_b64 s[0:1], -1
                                        ; implicit-def: $vgpr0
.LBB379_504:
	s_andn2_b64 vcc, exec, s[0:1]
	s_cbranch_vccnz .LBB379_506
; %bb.505:
	global_load_dword v0, v[2:3], off
.LBB379_506:
	s_mov_b64 s[0:1], 0
.LBB379_507:
	s_andn2_b64 vcc, exec, s[0:1]
	s_cbranch_vccnz .LBB379_509
; %bb.508:
	global_load_ushort v0, v[2:3], off
.LBB379_509:
	s_mov_b64 s[0:1], 0
.LBB379_510:
	s_andn2_b64 vcc, exec, s[0:1]
	s_cbranch_vccnz .LBB379_516
; %bb.511:
	s_cmp_gt_i32 s28, 0
	s_cbranch_scc0 .LBB379_513
; %bb.512:
	global_load_ubyte v0, v[2:3], off
	s_mov_b64 s[0:1], 0
	s_branch .LBB379_514
.LBB379_513:
	s_mov_b64 s[0:1], -1
                                        ; implicit-def: $vgpr0
.LBB379_514:
	s_andn2_b64 vcc, exec, s[0:1]
	s_cbranch_vccnz .LBB379_516
; %bb.515:
	global_load_ubyte v0, v[2:3], off
.LBB379_516:
	s_branch .LBB379_389
.LBB379_517:
	s_mov_b64 s[36:37], 0
	s_mov_b64 s[0:1], s[18:19]
	;; [unrolled: 1-line block ×3, first 2 shown]
.LBB379_518:
                                        ; implicit-def: $vgpr14
	s_branch .LBB379_756
.LBB379_519:
	s_andn2_saveexec_b64 s[34:35], s[34:35]
	s_cbranch_execz .LBB379_189
.LBB379_520:
	v_add_f32_e32 v2, 0x42800000, v3
	v_and_b32_e32 v2, 0xff, v2
	v_cmp_ne_u32_e32 vcc, 0, v2
	s_andn2_b64 s[30:31], s[30:31], exec
	s_and_b64 s[38:39], vcc, exec
	s_or_b64 s[30:31], s[30:31], s[38:39]
	s_or_b64 exec, exec, s[34:35]
	v_mov_b32_e32 v4, 0
	s_and_saveexec_b64 s[34:35], s[30:31]
	s_cbranch_execnz .LBB379_190
	s_branch .LBB379_191
.LBB379_521:
	s_mov_b64 s[28:29], -1
                                        ; implicit-def: $vgpr3
	s_mov_b64 s[0:1], 0
.LBB379_522:
	s_and_b64 vcc, exec, s[30:31]
	s_cbranch_vccz .LBB379_526
; %bb.523:
	s_cmp_eq_u32 s37, 44
	s_cbranch_scc0 .LBB379_525
; %bb.524:
	global_load_ubyte v3, v[1:2], off
	s_mov_b64 s[0:1], -1
	s_mov_b64 s[28:29], 0
	s_waitcnt vmcnt(0)
	v_lshlrev_b32_e32 v4, 23, v3
	v_cvt_i32_f32_e32 v4, v4
	v_cmp_ne_u32_e32 vcc, 0, v3
	v_cndmask_b32_e32 v3, 0, v4, vcc
	s_branch .LBB379_526
.LBB379_525:
	s_mov_b64 s[28:29], -1
                                        ; implicit-def: $vgpr3
.LBB379_526:
	s_mov_b64 s[30:31], 0
.LBB379_527:
	s_and_b64 vcc, exec, s[30:31]
	s_cbranch_vccz .LBB379_531
; %bb.528:
	s_cmp_eq_u32 s37, 29
	s_cbranch_scc0 .LBB379_530
; %bb.529:
	global_load_dwordx2 v[3:4], v[1:2], off
	s_mov_b64 s[0:1], -1
	s_mov_b64 s[28:29], 0
	s_branch .LBB379_531
.LBB379_530:
	s_mov_b64 s[28:29], -1
                                        ; implicit-def: $vgpr3
.LBB379_531:
	s_mov_b64 s[30:31], 0
.LBB379_532:
	s_and_b64 vcc, exec, s[30:31]
	s_cbranch_vccz .LBB379_548
; %bb.533:
	s_cmp_lt_i32 s37, 27
	s_cbranch_scc1 .LBB379_536
; %bb.534:
	s_cmp_gt_i32 s37, 27
	s_cbranch_scc0 .LBB379_537
; %bb.535:
	global_load_dword v3, v[1:2], off
	s_mov_b64 s[0:1], 0
	s_branch .LBB379_538
.LBB379_536:
	s_mov_b64 s[0:1], -1
                                        ; implicit-def: $vgpr3
	s_branch .LBB379_541
.LBB379_537:
	s_mov_b64 s[0:1], -1
                                        ; implicit-def: $vgpr3
.LBB379_538:
	s_andn2_b64 vcc, exec, s[0:1]
	s_cbranch_vccnz .LBB379_540
; %bb.539:
	global_load_ushort v3, v[1:2], off
.LBB379_540:
	s_mov_b64 s[0:1], 0
.LBB379_541:
	s_andn2_b64 vcc, exec, s[0:1]
	s_cbranch_vccnz .LBB379_547
; %bb.542:
	global_load_ubyte v4, v[1:2], off
	s_movk_i32 s0, 0x7f
	s_mov_b64 s[30:31], 0
	s_waitcnt vmcnt(0)
	v_cmp_lt_i16_e32 vcc, s0, v4
	s_and_saveexec_b64 s[0:1], vcc
	s_xor_b64 s[0:1], exec, s[0:1]
	s_cbranch_execz .LBB379_559
; %bb.543:
	s_movk_i32 s30, 0x80
	v_cmp_ne_u16_e32 vcc, s30, v4
	s_and_b64 s[30:31], vcc, exec
	s_andn2_saveexec_b64 s[0:1], s[0:1]
	s_cbranch_execnz .LBB379_560
.LBB379_544:
	s_or_b64 exec, exec, s[0:1]
	v_mov_b32_e32 v3, 0
	s_and_saveexec_b64 s[0:1], s[30:31]
	s_cbranch_execz .LBB379_546
.LBB379_545:
	v_lshlrev_b32_e32 v3, 24, v4
	v_and_b32_e32 v4, 0xffff, v4
	v_and_b32_e32 v5, 7, v4
	v_ffbh_u32_e32 v7, v5
	v_min_u32_e32 v7, 32, v7
	v_subrev_u32_e32 v8, 28, v7
	v_bfe_u32 v6, v4, 3, 4
	v_lshlrev_b32_e32 v4, v8, v4
	v_sub_u32_e32 v7, 29, v7
	v_and_b32_e32 v4, 7, v4
	v_cmp_eq_u32_e32 vcc, 0, v6
	v_cndmask_b32_e32 v6, v6, v7, vcc
	v_cndmask_b32_e32 v4, v5, v4, vcc
	v_mov_b32_e32 v5, 0x3b800000
	v_lshlrev_b32_e32 v4, 20, v4
	v_and_b32_e32 v3, 0x80000000, v3
	v_lshl_add_u32 v5, v6, 23, v5
	v_or3_b32 v3, v3, v5, v4
	v_cvt_i32_f32_e32 v3, v3
.LBB379_546:
	s_or_b64 exec, exec, s[0:1]
.LBB379_547:
	s_mov_b64 s[0:1], -1
.LBB379_548:
	s_mov_b64 s[30:31], 0
.LBB379_549:
	s_and_b64 vcc, exec, s[30:31]
	s_cbranch_vccz .LBB379_582
; %bb.550:
	s_cmp_gt_i32 s37, 22
	s_cbranch_scc0 .LBB379_558
; %bb.551:
	s_cmp_lt_i32 s37, 24
	s_cbranch_scc1 .LBB379_561
; %bb.552:
	s_cmp_gt_i32 s37, 24
	s_cbranch_scc0 .LBB379_562
; %bb.553:
	global_load_ubyte v4, v[1:2], off
	s_movk_i32 s0, 0x7f
	s_mov_b64 s[30:31], 0
	s_waitcnt vmcnt(0)
	v_cmp_lt_i16_e32 vcc, s0, v4
	s_and_saveexec_b64 s[0:1], vcc
	s_xor_b64 s[0:1], exec, s[0:1]
	s_cbranch_execz .LBB379_574
; %bb.554:
	s_movk_i32 s30, 0x80
	v_cmp_ne_u16_e32 vcc, s30, v4
	s_and_b64 s[30:31], vcc, exec
	s_andn2_saveexec_b64 s[0:1], s[0:1]
	s_cbranch_execnz .LBB379_575
.LBB379_555:
	s_or_b64 exec, exec, s[0:1]
	v_mov_b32_e32 v3, 0
	s_and_saveexec_b64 s[0:1], s[30:31]
	s_cbranch_execz .LBB379_557
.LBB379_556:
	v_lshlrev_b32_e32 v3, 24, v4
	v_and_b32_e32 v4, 0xffff, v4
	v_and_b32_e32 v5, 3, v4
	v_ffbh_u32_e32 v7, v5
	v_min_u32_e32 v7, 32, v7
	v_subrev_u32_e32 v8, 29, v7
	v_bfe_u32 v6, v4, 2, 5
	v_lshlrev_b32_e32 v4, v8, v4
	v_sub_u32_e32 v7, 30, v7
	v_and_b32_e32 v4, 3, v4
	v_cmp_eq_u32_e32 vcc, 0, v6
	v_cndmask_b32_e32 v6, v6, v7, vcc
	v_cndmask_b32_e32 v4, v5, v4, vcc
	v_mov_b32_e32 v5, 0x37800000
	v_lshlrev_b32_e32 v4, 21, v4
	v_and_b32_e32 v3, 0x80000000, v3
	v_lshl_add_u32 v5, v6, 23, v5
	v_or3_b32 v3, v3, v5, v4
	v_cvt_i32_f32_e32 v3, v3
.LBB379_557:
	s_or_b64 exec, exec, s[0:1]
	s_mov_b64 s[0:1], 0
	s_branch .LBB379_563
.LBB379_558:
	s_mov_b64 s[30:31], -1
                                        ; implicit-def: $vgpr3
	s_branch .LBB379_569
.LBB379_559:
	s_andn2_saveexec_b64 s[0:1], s[0:1]
	s_cbranch_execz .LBB379_544
.LBB379_560:
	v_cmp_ne_u16_e32 vcc, 0, v4
	s_andn2_b64 s[30:31], s[30:31], exec
	s_and_b64 s[38:39], vcc, exec
	s_or_b64 s[30:31], s[30:31], s[38:39]
	s_or_b64 exec, exec, s[0:1]
	v_mov_b32_e32 v3, 0
	s_and_saveexec_b64 s[0:1], s[30:31]
	s_cbranch_execnz .LBB379_545
	s_branch .LBB379_546
.LBB379_561:
	s_mov_b64 s[0:1], -1
                                        ; implicit-def: $vgpr3
	s_branch .LBB379_566
.LBB379_562:
	s_mov_b64 s[0:1], -1
                                        ; implicit-def: $vgpr3
.LBB379_563:
	s_and_b64 vcc, exec, s[0:1]
	s_cbranch_vccz .LBB379_565
; %bb.564:
	global_load_ubyte v3, v[1:2], off
	s_mov_b32 s0, 0x7f800000
	s_waitcnt vmcnt(0)
	v_lshlrev_b32_e32 v3, 24, v3
	v_and_b32_e32 v4, 0x7f000000, v3
	v_ffbh_u32_e32 v5, v4
	v_min_u32_e32 v5, 32, v5
	v_sub_u32_e64 v5, v5, 4 clamp
	v_lshlrev_b32_e32 v7, v5, v4
	v_lshlrev_b32_e32 v5, 23, v5
	v_lshrrev_b32_e32 v7, 4, v7
	v_add_u32_e32 v6, 0x1000000, v4
	v_sub_u32_e32 v5, v7, v5
	v_ashrrev_i32_e32 v6, 8, v6
	v_add_u32_e32 v5, 0x3c000000, v5
	v_and_or_b32 v5, v6, s0, v5
	v_cmp_ne_u32_e32 vcc, 0, v4
	v_cndmask_b32_e32 v4, 0, v5, vcc
	s_brev_b32 s0, 1
	v_and_or_b32 v3, v3, s0, v4
	v_cvt_i32_f32_e32 v3, v3
.LBB379_565:
	s_mov_b64 s[0:1], 0
.LBB379_566:
	s_andn2_b64 vcc, exec, s[0:1]
	s_cbranch_vccnz .LBB379_568
; %bb.567:
	global_load_ubyte v3, v[1:2], off
	s_movk_i32 s0, 0x7f00
	s_brev_b32 s1, 16
	s_waitcnt vmcnt(0)
	v_lshlrev_b16_e32 v4, 8, v3
	v_lshlrev_b32_e32 v3, 25, v3
	v_lshrrev_b32_e32 v5, 4, v3
	v_and_or_b32 v6, v4, s0, 0.5
	v_or_b32_e32 v5, 0x70000000, v5
	v_add_f32_e32 v6, -0.5, v6
	v_mul_f32_e32 v5, 0x7800000, v5
	v_cmp_gt_u32_e32 vcc, s1, v3
	v_bfe_i32 v4, v4, 0, 16
	v_cndmask_b32_e32 v3, v5, v6, vcc
	s_brev_b32 s0, 1
	v_and_or_b32 v3, v4, s0, v3
	v_cvt_i32_f32_e32 v3, v3
.LBB379_568:
	s_mov_b64 s[30:31], 0
	s_mov_b64 s[0:1], -1
.LBB379_569:
	s_andn2_b64 vcc, exec, s[30:31]
	s_cbranch_vccnz .LBB379_582
; %bb.570:
	s_cmp_gt_i32 s37, 14
	s_cbranch_scc0 .LBB379_573
; %bb.571:
	s_cmp_eq_u32 s37, 15
	s_cbranch_scc0 .LBB379_576
; %bb.572:
	global_load_ushort v3, v[1:2], off
	s_mov_b64 s[0:1], -1
	s_mov_b64 s[28:29], 0
	s_waitcnt vmcnt(0)
	v_lshlrev_b32_e32 v3, 16, v3
	v_cvt_i32_f32_e32 v3, v3
	s_branch .LBB379_577
.LBB379_573:
	s_mov_b64 s[30:31], -1
                                        ; implicit-def: $vgpr3
	s_branch .LBB379_578
.LBB379_574:
	s_andn2_saveexec_b64 s[0:1], s[0:1]
	s_cbranch_execz .LBB379_555
.LBB379_575:
	v_cmp_ne_u16_e32 vcc, 0, v4
	s_andn2_b64 s[30:31], s[30:31], exec
	s_and_b64 s[38:39], vcc, exec
	s_or_b64 s[30:31], s[30:31], s[38:39]
	s_or_b64 exec, exec, s[0:1]
	v_mov_b32_e32 v3, 0
	s_and_saveexec_b64 s[0:1], s[30:31]
	s_cbranch_execnz .LBB379_556
	s_branch .LBB379_557
.LBB379_576:
	s_mov_b64 s[28:29], -1
                                        ; implicit-def: $vgpr3
.LBB379_577:
	s_mov_b64 s[30:31], 0
.LBB379_578:
	s_and_b64 vcc, exec, s[30:31]
	s_cbranch_vccz .LBB379_582
; %bb.579:
	s_cmp_eq_u32 s37, 11
	s_cbranch_scc0 .LBB379_581
; %bb.580:
	global_load_ubyte v3, v[1:2], off
	s_mov_b64 s[0:1], -1
	s_mov_b64 s[28:29], 0
	s_waitcnt vmcnt(0)
	v_cmp_ne_u16_e32 vcc, 0, v3
	v_cndmask_b32_e64 v3, 0, 1, vcc
	s_branch .LBB379_582
.LBB379_581:
	s_mov_b64 s[28:29], -1
                                        ; implicit-def: $vgpr3
.LBB379_582:
	s_mov_b64 s[30:31], 0
.LBB379_583:
	s_and_b64 vcc, exec, s[30:31]
	s_cbranch_vccz .LBB379_632
; %bb.584:
	s_and_b32 s30, 0xffff, s36
	s_cmp_lt_i32 s30, 5
	s_cbranch_scc1 .LBB379_589
; %bb.585:
	s_cmp_lt_i32 s30, 8
	s_cbranch_scc1 .LBB379_590
; %bb.586:
	;; [unrolled: 3-line block ×3, first 2 shown]
	s_cmp_gt_i32 s30, 9
	s_cbranch_scc0 .LBB379_592
; %bb.588:
	global_load_dwordx2 v[3:4], v[1:2], off
	s_mov_b64 s[0:1], 0
	s_waitcnt vmcnt(0)
	v_cvt_i32_f64_e32 v3, v[3:4]
	s_branch .LBB379_593
.LBB379_589:
	s_mov_b64 s[0:1], -1
                                        ; implicit-def: $vgpr3
	s_branch .LBB379_611
.LBB379_590:
	s_mov_b64 s[0:1], -1
                                        ; implicit-def: $vgpr3
	s_branch .LBB379_599
.LBB379_591:
	s_mov_b64 s[0:1], -1
                                        ; implicit-def: $vgpr3
	s_branch .LBB379_596
.LBB379_592:
	s_mov_b64 s[0:1], -1
                                        ; implicit-def: $vgpr3
.LBB379_593:
	s_andn2_b64 vcc, exec, s[0:1]
	s_cbranch_vccnz .LBB379_595
; %bb.594:
	global_load_dword v3, v[1:2], off
	s_waitcnt vmcnt(0)
	v_cvt_i32_f32_e32 v3, v3
.LBB379_595:
	s_mov_b64 s[0:1], 0
.LBB379_596:
	s_andn2_b64 vcc, exec, s[0:1]
	s_cbranch_vccnz .LBB379_598
; %bb.597:
	global_load_dword v3, v[1:2], off
	s_waitcnt vmcnt(0)
	v_cvt_i16_f16_e32 v3, v3
.LBB379_598:
	s_mov_b64 s[0:1], 0
.LBB379_599:
	s_andn2_b64 vcc, exec, s[0:1]
	s_cbranch_vccnz .LBB379_610
; %bb.600:
	s_cmp_lt_i32 s30, 6
	s_cbranch_scc1 .LBB379_603
; %bb.601:
	s_cmp_gt_i32 s30, 6
	s_cbranch_scc0 .LBB379_604
; %bb.602:
	global_load_dwordx2 v[3:4], v[1:2], off
	s_mov_b64 s[0:1], 0
	s_waitcnt vmcnt(0)
	v_cvt_i32_f64_e32 v3, v[3:4]
	s_branch .LBB379_605
.LBB379_603:
	s_mov_b64 s[0:1], -1
                                        ; implicit-def: $vgpr3
	s_branch .LBB379_608
.LBB379_604:
	s_mov_b64 s[0:1], -1
                                        ; implicit-def: $vgpr3
.LBB379_605:
	s_andn2_b64 vcc, exec, s[0:1]
	s_cbranch_vccnz .LBB379_607
; %bb.606:
	global_load_dword v3, v[1:2], off
	s_waitcnt vmcnt(0)
	v_cvt_i32_f32_e32 v3, v3
.LBB379_607:
	s_mov_b64 s[0:1], 0
.LBB379_608:
	s_andn2_b64 vcc, exec, s[0:1]
	s_cbranch_vccnz .LBB379_610
; %bb.609:
	global_load_ushort v3, v[1:2], off
	s_waitcnt vmcnt(0)
	v_cvt_i16_f16_e32 v3, v3
.LBB379_610:
	s_mov_b64 s[0:1], 0
.LBB379_611:
	s_andn2_b64 vcc, exec, s[0:1]
	s_cbranch_vccnz .LBB379_631
; %bb.612:
	s_cmp_lt_i32 s30, 2
	s_cbranch_scc1 .LBB379_616
; %bb.613:
	s_cmp_lt_i32 s30, 3
	s_cbranch_scc1 .LBB379_617
; %bb.614:
	s_cmp_gt_i32 s30, 3
	s_cbranch_scc0 .LBB379_618
; %bb.615:
	global_load_dwordx2 v[3:4], v[1:2], off
	s_mov_b64 s[0:1], 0
	s_branch .LBB379_619
.LBB379_616:
	s_mov_b64 s[0:1], -1
                                        ; implicit-def: $vgpr3
	s_branch .LBB379_625
.LBB379_617:
	s_mov_b64 s[0:1], -1
                                        ; implicit-def: $vgpr3
	s_branch .LBB379_622
.LBB379_618:
	s_mov_b64 s[0:1], -1
                                        ; implicit-def: $vgpr3
.LBB379_619:
	s_andn2_b64 vcc, exec, s[0:1]
	s_cbranch_vccnz .LBB379_621
; %bb.620:
	global_load_dword v3, v[1:2], off
.LBB379_621:
	s_mov_b64 s[0:1], 0
.LBB379_622:
	s_andn2_b64 vcc, exec, s[0:1]
	s_cbranch_vccnz .LBB379_624
; %bb.623:
	global_load_ushort v3, v[1:2], off
.LBB379_624:
	s_mov_b64 s[0:1], 0
.LBB379_625:
	s_andn2_b64 vcc, exec, s[0:1]
	s_cbranch_vccnz .LBB379_631
; %bb.626:
	s_cmp_gt_i32 s30, 0
	s_cbranch_scc0 .LBB379_628
; %bb.627:
	global_load_ubyte v3, v[1:2], off
	s_mov_b64 s[0:1], 0
	s_branch .LBB379_629
.LBB379_628:
	s_mov_b64 s[0:1], -1
                                        ; implicit-def: $vgpr3
.LBB379_629:
	s_andn2_b64 vcc, exec, s[0:1]
	s_cbranch_vccnz .LBB379_631
; %bb.630:
	global_load_ubyte v3, v[1:2], off
.LBB379_631:
	s_mov_b64 s[0:1], -1
.LBB379_632:
	s_andn2_b64 vcc, exec, s[0:1]
	s_cbranch_vccnz .LBB379_640
; %bb.633:
	v_mul_lo_u32 v1, v14, s12
	s_waitcnt vmcnt(0)
	v_cmp_ne_u16_sdwa s[0:1], v0, v3 src0_sel:BYTE_0 src1_sel:BYTE_0
	v_mov_b32_e32 v2, s9
	s_xor_b64 s[30:31], s[16:17], s[0:1]
	v_ashrrev_i32_e32 v3, 31, v1
	s_and_b32 s42, s33, 0xff
	v_add_co_u32_e32 v0, vcc, s8, v1
	s_cmp_lt_i32 s42, 11
	v_addc_co_u32_e32 v1, vcc, v2, v3, vcc
	s_cbranch_scc1 .LBB379_641
; %bb.634:
	s_and_b32 s43, 0xffff, s42
	s_cmp_gt_i32 s43, 25
	s_cbranch_scc0 .LBB379_642
; %bb.635:
	s_cmp_gt_i32 s43, 28
	s_cbranch_scc0 .LBB379_643
; %bb.636:
	;; [unrolled: 3-line block ×4, first 2 shown]
	s_mov_b64 s[38:39], 0
	s_mov_b64 s[0:1], -1
	s_cmp_eq_u32 s43, 46
	s_mov_b64 s[36:37], 0
	s_cbranch_scc0 .LBB379_646
; %bb.639:
	v_cndmask_b32_e64 v2, 0, 1.0, s[30:31]
	v_bfe_u32 v3, v2, 16, 1
	s_movk_i32 s0, 0x7fff
	v_add3_u32 v2, v2, v3, s0
	v_lshrrev_b32_e32 v2, 16, v2
	global_store_dword v[0:1], v2, off
	s_mov_b64 s[36:37], -1
	s_mov_b64 s[0:1], 0
	s_branch .LBB379_646
.LBB379_640:
	s_mov_b64 s[36:37], 0
                                        ; implicit-def: $vgpr14
	s_mov_b64 s[0:1], s[18:19]
	s_branch .LBB379_756
.LBB379_641:
	s_mov_b64 s[38:39], -1
	s_mov_b64 s[36:37], 0
	s_mov_b64 s[0:1], s[18:19]
	s_branch .LBB379_715
.LBB379_642:
	s_mov_b64 s[38:39], -1
	s_mov_b64 s[36:37], 0
	s_mov_b64 s[0:1], s[18:19]
	s_branch .LBB379_673
.LBB379_643:
	s_mov_b64 s[38:39], -1
	s_mov_b64 s[36:37], 0
	s_mov_b64 s[0:1], s[18:19]
	s_branch .LBB379_656
.LBB379_644:
	s_mov_b64 s[38:39], -1
	s_mov_b64 s[36:37], 0
	s_mov_b64 s[0:1], s[18:19]
	s_branch .LBB379_652
.LBB379_645:
	s_mov_b64 s[38:39], -1
	s_mov_b64 s[36:37], 0
	s_mov_b64 s[0:1], s[18:19]
.LBB379_646:
	s_and_b64 vcc, exec, s[38:39]
	s_cbranch_vccz .LBB379_651
; %bb.647:
	s_cmp_eq_u32 s43, 44
	s_mov_b64 s[0:1], -1
	s_cbranch_scc0 .LBB379_651
; %bb.648:
	v_cndmask_b32_e64 v3, 0, 1.0, s[30:31]
	v_lshrrev_b32_e32 v2, 23, v3
	s_movk_i32 s0, 0xff
	v_cmp_ne_u32_e32 vcc, s0, v2
	v_mov_b32_e32 v4, 0xff
	s_and_saveexec_b64 s[36:37], vcc
; %bb.649:
	s_mov_b32 s0, 0x3fffff
	v_and_b32_e32 v4, 0x400000, v3
	v_and_or_b32 v3, v3, s0, v2
	v_cmp_ne_u32_e32 vcc, 0, v4
	v_cmp_ne_u32_e64 s[0:1], 0, v3
	s_and_b64 s[0:1], vcc, s[0:1]
	v_cndmask_b32_e64 v3, 0, 1, s[0:1]
	v_add_u32_e32 v4, v2, v3
; %bb.650:
	s_or_b64 exec, exec, s[36:37]
	s_mov_b64 s[36:37], -1
	s_mov_b64 s[0:1], 0
	global_store_byte v[0:1], v4, off
.LBB379_651:
	s_mov_b64 s[38:39], 0
.LBB379_652:
	s_and_b64 vcc, exec, s[38:39]
	s_cbranch_vccz .LBB379_655
; %bb.653:
	s_cmp_eq_u32 s43, 29
	s_mov_b64 s[0:1], -1
	s_cbranch_scc0 .LBB379_655
; %bb.654:
	s_mov_b32 s0, 0
	v_cndmask_b32_e64 v2, 0, 1, s[30:31]
	v_mov_b32_e32 v3, s0
	global_store_dwordx2 v[0:1], v[2:3], off
	s_mov_b64 s[36:37], -1
	s_mov_b64 s[0:1], 0
.LBB379_655:
	s_mov_b64 s[38:39], 0
.LBB379_656:
	s_and_b64 vcc, exec, s[38:39]
	s_cbranch_vccz .LBB379_672
; %bb.657:
	s_cmp_lt_i32 s43, 27
	s_mov_b64 s[36:37], -1
	s_cbranch_scc1 .LBB379_663
; %bb.658:
	s_cmp_gt_i32 s43, 27
	s_cbranch_scc0 .LBB379_660
; %bb.659:
	v_cndmask_b32_e64 v2, 0, 1, s[30:31]
	s_mov_b64 s[36:37], 0
	global_store_dword v[0:1], v2, off
.LBB379_660:
	s_andn2_b64 vcc, exec, s[36:37]
	s_cbranch_vccnz .LBB379_662
; %bb.661:
	v_cndmask_b32_e64 v2, 0, 1, s[30:31]
	global_store_short v[0:1], v2, off
.LBB379_662:
	s_mov_b64 s[36:37], 0
.LBB379_663:
	s_andn2_b64 vcc, exec, s[36:37]
	s_cbranch_vccnz .LBB379_671
; %bb.664:
	v_cndmask_b32_e64 v3, 0, 1.0, s[30:31]
	s_mov_b32 s36, 0x43800000
	v_cmp_gt_u32_e32 vcc, s36, v3
	v_mov_b32_e32 v4, 0x80
	s_and_saveexec_b64 s[36:37], vcc
	s_cbranch_execz .LBB379_670
; %bb.665:
	s_mov_b32 s38, 0x3bffffff
	v_cmp_lt_u32_e32 vcc, s38, v3
	s_mov_b64 s[38:39], 0
                                        ; implicit-def: $vgpr2
	s_and_saveexec_b64 s[40:41], vcc
	s_xor_b64 s[40:41], exec, s[40:41]
	s_cbranch_execz .LBB379_772
; %bb.666:
	v_bfe_u32 v2, v3, 20, 1
	s_mov_b32 s44, 0x487ffff
	v_add3_u32 v2, v3, v2, s44
	s_mov_b64 s[38:39], exec
	v_lshrrev_b32_e32 v2, 20, v2
                                        ; implicit-def: $vgpr3
	s_andn2_saveexec_b64 s[40:41], s[40:41]
	s_cbranch_execnz .LBB379_773
.LBB379_667:
	s_or_b64 exec, exec, s[40:41]
	v_mov_b32_e32 v4, 0
	s_and_saveexec_b64 s[40:41], s[38:39]
.LBB379_668:
	v_mov_b32_e32 v4, v2
.LBB379_669:
	s_or_b64 exec, exec, s[40:41]
.LBB379_670:
	s_or_b64 exec, exec, s[36:37]
	global_store_byte v[0:1], v4, off
.LBB379_671:
	s_mov_b64 s[36:37], -1
.LBB379_672:
	s_mov_b64 s[38:39], 0
.LBB379_673:
	s_and_b64 vcc, exec, s[38:39]
	s_cbranch_vccz .LBB379_714
; %bb.674:
	s_cmp_gt_i32 s43, 22
	s_mov_b64 s[38:39], -1
	s_cbranch_scc0 .LBB379_706
; %bb.675:
	s_cmp_lt_i32 s43, 24
	s_mov_b64 s[36:37], -1
	s_cbranch_scc1 .LBB379_695
; %bb.676:
	s_cmp_gt_i32 s43, 24
	s_cbranch_scc0 .LBB379_684
; %bb.677:
	v_cndmask_b32_e64 v3, 0, 1.0, s[30:31]
	s_mov_b32 s36, 0x47800000
	v_cmp_gt_u32_e32 vcc, s36, v3
	v_mov_b32_e32 v4, 0x80
	s_and_saveexec_b64 s[36:37], vcc
	s_cbranch_execz .LBB379_683
; %bb.678:
	s_mov_b32 s38, 0x37ffffff
	v_cmp_lt_u32_e32 vcc, s38, v3
	s_mov_b64 s[38:39], 0
                                        ; implicit-def: $vgpr2
	s_and_saveexec_b64 s[40:41], vcc
	s_xor_b64 s[40:41], exec, s[40:41]
	s_cbranch_execz .LBB379_900
; %bb.679:
	v_bfe_u32 v2, v3, 21, 1
	s_mov_b32 s44, 0x88fffff
	v_add3_u32 v2, v3, v2, s44
	s_mov_b64 s[38:39], exec
	v_lshrrev_b32_e32 v2, 21, v2
                                        ; implicit-def: $vgpr3
	s_andn2_saveexec_b64 s[40:41], s[40:41]
	s_cbranch_execnz .LBB379_901
.LBB379_680:
	s_or_b64 exec, exec, s[40:41]
	v_mov_b32_e32 v4, 0
	s_and_saveexec_b64 s[40:41], s[38:39]
.LBB379_681:
	v_mov_b32_e32 v4, v2
.LBB379_682:
	s_or_b64 exec, exec, s[40:41]
.LBB379_683:
	s_or_b64 exec, exec, s[36:37]
	s_mov_b64 s[36:37], 0
	global_store_byte v[0:1], v4, off
.LBB379_684:
	s_and_b64 vcc, exec, s[36:37]
	s_cbranch_vccz .LBB379_694
; %bb.685:
	v_cndmask_b32_e64 v2, 0, 1.0, s[30:31]
	s_mov_b32 s36, 0x43f00000
	v_cmp_gt_u32_e32 vcc, s36, v2
                                        ; implicit-def: $vgpr3
	s_and_saveexec_b64 s[36:37], vcc
	s_xor_b64 s[36:37], exec, s[36:37]
	s_cbranch_execz .LBB379_691
; %bb.686:
	s_mov_b32 s38, 0x3c7fffff
	v_cmp_lt_u32_e32 vcc, s38, v2
                                        ; implicit-def: $vgpr3
	s_and_saveexec_b64 s[38:39], vcc
	s_xor_b64 s[38:39], exec, s[38:39]
; %bb.687:
	v_bfe_u32 v3, v2, 20, 1
	s_mov_b32 s40, 0x407ffff
	v_add3_u32 v2, v2, v3, s40
	v_lshrrev_b32_e32 v3, 20, v2
	v_and_b32_e32 v2, 0xff00000, v2
	s_mov_b32 s40, 0x7f00000
	v_mov_b32_e32 v4, 0x7e
	v_cmp_ne_u32_e32 vcc, s40, v2
	v_cndmask_b32_e32 v3, v4, v3, vcc
                                        ; implicit-def: $vgpr2
; %bb.688:
	s_andn2_saveexec_b64 s[38:39], s[38:39]
; %bb.689:
	v_add_f32_e32 v3, 0x46800000, v2
; %bb.690:
	s_or_b64 exec, exec, s[38:39]
                                        ; implicit-def: $vgpr2
.LBB379_691:
	s_andn2_saveexec_b64 s[36:37], s[36:37]
; %bb.692:
	s_mov_b32 s38, 0x7f800000
	v_mov_b32_e32 v3, 0x7e
	v_mov_b32_e32 v4, 0x7f
	v_cmp_lt_u32_e32 vcc, s38, v2
	v_cndmask_b32_e32 v3, v3, v4, vcc
; %bb.693:
	s_or_b64 exec, exec, s[36:37]
	global_store_byte v[0:1], v3, off
.LBB379_694:
	s_mov_b64 s[36:37], 0
.LBB379_695:
	s_andn2_b64 vcc, exec, s[36:37]
	s_cbranch_vccnz .LBB379_705
; %bb.696:
	v_cndmask_b32_e64 v2, 0, 1.0, s[30:31]
	s_mov_b32 s36, 0x47800000
	v_cmp_gt_u32_e32 vcc, s36, v2
                                        ; implicit-def: $vgpr3
	s_and_saveexec_b64 s[36:37], vcc
	s_xor_b64 s[36:37], exec, s[36:37]
	s_cbranch_execz .LBB379_702
; %bb.697:
	s_mov_b32 s38, 0x387fffff
	v_cmp_lt_u32_e32 vcc, s38, v2
                                        ; implicit-def: $vgpr3
	s_and_saveexec_b64 s[38:39], vcc
	s_xor_b64 s[38:39], exec, s[38:39]
; %bb.698:
	v_bfe_u32 v3, v2, 21, 1
	s_mov_b32 s40, 0x80fffff
	v_add3_u32 v2, v2, v3, s40
	v_lshrrev_b32_e32 v3, 21, v2
                                        ; implicit-def: $vgpr2
; %bb.699:
	s_andn2_saveexec_b64 s[38:39], s[38:39]
; %bb.700:
	v_add_f32_e32 v3, 0x43000000, v2
; %bb.701:
	s_or_b64 exec, exec, s[38:39]
                                        ; implicit-def: $vgpr2
.LBB379_702:
	s_andn2_saveexec_b64 s[36:37], s[36:37]
; %bb.703:
	s_mov_b32 s38, 0x7f800000
	v_mov_b32_e32 v3, 0x7c
	v_mov_b32_e32 v4, 0x7f
	v_cmp_lt_u32_e32 vcc, s38, v2
	v_cndmask_b32_e32 v3, v3, v4, vcc
; %bb.704:
	s_or_b64 exec, exec, s[36:37]
	global_store_byte v[0:1], v3, off
.LBB379_705:
	s_mov_b64 s[38:39], 0
	s_mov_b64 s[36:37], -1
.LBB379_706:
	s_andn2_b64 vcc, exec, s[38:39]
	s_cbranch_vccnz .LBB379_714
; %bb.707:
	s_cmp_gt_i32 s43, 14
	s_mov_b64 s[38:39], -1
	s_cbranch_scc0 .LBB379_711
; %bb.708:
	s_cmp_eq_u32 s43, 15
	s_mov_b64 s[0:1], -1
	s_cbranch_scc0 .LBB379_710
; %bb.709:
	v_cndmask_b32_e64 v2, 0, 1.0, s[30:31]
	v_bfe_u32 v3, v2, 16, 1
	s_movk_i32 s0, 0x7fff
	v_add3_u32 v2, v2, v3, s0
	global_store_short_d16_hi v[0:1], v2, off
	s_mov_b64 s[36:37], -1
	s_mov_b64 s[0:1], 0
.LBB379_710:
	s_mov_b64 s[38:39], 0
.LBB379_711:
	s_and_b64 vcc, exec, s[38:39]
	s_cbranch_vccz .LBB379_714
; %bb.712:
	s_cmp_eq_u32 s43, 11
	s_mov_b64 s[0:1], -1
	s_cbranch_scc0 .LBB379_714
; %bb.713:
	v_cndmask_b32_e64 v2, 0, 1, s[30:31]
	s_mov_b64 s[36:37], -1
	s_mov_b64 s[0:1], 0
	global_store_byte v[0:1], v2, off
.LBB379_714:
	s_mov_b64 s[38:39], 0
.LBB379_715:
	s_and_b64 vcc, exec, s[38:39]
	s_cbranch_vccz .LBB379_754
; %bb.716:
	s_and_b32 s38, 0xffff, s42
	s_cmp_lt_i32 s38, 5
	s_mov_b64 s[36:37], -1
	s_cbranch_scc1 .LBB379_737
; %bb.717:
	s_cmp_lt_i32 s38, 8
	s_cbranch_scc1 .LBB379_727
; %bb.718:
	s_cmp_lt_i32 s38, 9
	s_cbranch_scc1 .LBB379_724
; %bb.719:
	s_cmp_gt_i32 s38, 9
	s_cbranch_scc0 .LBB379_721
; %bb.720:
	v_cndmask_b32_e64 v2, 0, 1, s[30:31]
	v_cvt_f64_u32_e32 v[2:3], v2
	v_mov_b32_e32 v4, 0
	v_mov_b32_e32 v5, v4
	s_mov_b64 s[36:37], 0
	global_store_dwordx4 v[0:1], v[2:5], off
.LBB379_721:
	s_andn2_b64 vcc, exec, s[36:37]
	s_cbranch_vccnz .LBB379_723
; %bb.722:
	v_cndmask_b32_e64 v2, 0, 1.0, s[30:31]
	v_mov_b32_e32 v3, 0
	global_store_dwordx2 v[0:1], v[2:3], off
.LBB379_723:
	s_mov_b64 s[36:37], 0
.LBB379_724:
	s_andn2_b64 vcc, exec, s[36:37]
	s_cbranch_vccnz .LBB379_726
; %bb.725:
	v_cndmask_b32_e64 v2, 0, 1.0, s[30:31]
	v_cvt_f16_f32_e32 v2, v2
	global_store_dword v[0:1], v2, off
.LBB379_726:
	s_mov_b64 s[36:37], 0
.LBB379_727:
	s_andn2_b64 vcc, exec, s[36:37]
	s_cbranch_vccnz .LBB379_736
; %bb.728:
	s_cmp_lt_i32 s38, 6
	s_mov_b64 s[36:37], -1
	s_cbranch_scc1 .LBB379_734
; %bb.729:
	s_cmp_gt_i32 s38, 6
	s_cbranch_scc0 .LBB379_731
; %bb.730:
	v_cndmask_b32_e64 v2, 0, 1, s[30:31]
	v_cvt_f64_u32_e32 v[2:3], v2
	s_mov_b64 s[36:37], 0
	global_store_dwordx2 v[0:1], v[2:3], off
.LBB379_731:
	s_andn2_b64 vcc, exec, s[36:37]
	s_cbranch_vccnz .LBB379_733
; %bb.732:
	v_cndmask_b32_e64 v2, 0, 1.0, s[30:31]
	global_store_dword v[0:1], v2, off
.LBB379_733:
	s_mov_b64 s[36:37], 0
.LBB379_734:
	s_andn2_b64 vcc, exec, s[36:37]
	s_cbranch_vccnz .LBB379_736
; %bb.735:
	v_cndmask_b32_e64 v2, 0, 1.0, s[30:31]
	v_cvt_f16_f32_e32 v2, v2
	global_store_short v[0:1], v2, off
.LBB379_736:
	s_mov_b64 s[36:37], 0
.LBB379_737:
	s_andn2_b64 vcc, exec, s[36:37]
	s_cbranch_vccnz .LBB379_753
; %bb.738:
	s_cmp_lt_i32 s38, 2
	s_mov_b64 s[36:37], -1
	s_cbranch_scc1 .LBB379_748
; %bb.739:
	s_cmp_lt_i32 s38, 3
	s_cbranch_scc1 .LBB379_745
; %bb.740:
	s_cmp_gt_i32 s38, 3
	s_cbranch_scc0 .LBB379_742
; %bb.741:
	s_mov_b32 s36, 0
	v_cndmask_b32_e64 v2, 0, 1, s[30:31]
	v_mov_b32_e32 v3, s36
	s_mov_b64 s[36:37], 0
	global_store_dwordx2 v[0:1], v[2:3], off
.LBB379_742:
	s_andn2_b64 vcc, exec, s[36:37]
	s_cbranch_vccnz .LBB379_744
; %bb.743:
	v_cndmask_b32_e64 v2, 0, 1, s[30:31]
	global_store_dword v[0:1], v2, off
.LBB379_744:
	s_mov_b64 s[36:37], 0
.LBB379_745:
	s_andn2_b64 vcc, exec, s[36:37]
	s_cbranch_vccnz .LBB379_747
; %bb.746:
	v_cndmask_b32_e64 v2, 0, 1, s[30:31]
	global_store_short v[0:1], v2, off
.LBB379_747:
	s_mov_b64 s[36:37], 0
.LBB379_748:
	s_andn2_b64 vcc, exec, s[36:37]
	s_cbranch_vccnz .LBB379_753
; %bb.749:
	s_mov_b64 s[36:37], -1
	s_cmp_gt_i32 s38, 0
	v_cndmask_b32_e64 v2, 0, 1, s[30:31]
	s_cbranch_scc0 .LBB379_751
; %bb.750:
	s_mov_b64 s[36:37], 0
	global_store_byte v[0:1], v2, off
.LBB379_751:
	s_andn2_b64 vcc, exec, s[36:37]
	s_cbranch_vccnz .LBB379_753
; %bb.752:
	global_store_byte v[0:1], v2, off
.LBB379_753:
	s_mov_b64 s[36:37], -1
.LBB379_754:
	s_andn2_b64 vcc, exec, s[36:37]
	s_cbranch_vccnz .LBB379_767
; %bb.755:
	v_add_u32_e32 v14, 0x80, v14
	s_mov_b64 s[36:37], -1
.LBB379_756:
	s_andn2_b64 s[30:31], s[18:19], exec
	s_and_b64 s[0:1], s[0:1], exec
	s_or_b64 s[30:31], s[30:31], s[0:1]
	s_andn2_b64 s[0:1], s[20:21], exec
	s_and_b64 s[28:29], s[28:29], exec
	s_or_b64 s[28:29], s[0:1], s[28:29]
	s_andn2_b64 s[0:1], s[22:23], exec
	s_and_b64 s[26:27], s[26:27], exec
	s_or_b64 s[26:27], s[0:1], s[26:27]
	s_orn2_b64 s[0:1], s[36:37], exec
.LBB379_757:
	s_or_b64 exec, exec, s[34:35]
	s_mov_b64 s[36:37], 0
	s_mov_b64 s[38:39], 0
	s_mov_b64 s[40:41], 0
                                        ; implicit-def: $sgpr58
                                        ; implicit-def: $vgpr2_vgpr3
                                        ; implicit-def: $vgpr0
	s_and_saveexec_b64 s[34:35], s[0:1]
	s_cbranch_execz .LBB379_1219
; %bb.758:
	v_cmp_gt_i32_e32 vcc, s50, v14
	s_mov_b64 s[48:49], -1
	s_mov_b64 s[0:1], s[26:27]
	s_mov_b64 s[40:41], s[28:29]
	;; [unrolled: 1-line block ×3, first 2 shown]
	s_and_saveexec_b64 s[36:37], vcc
	s_cbranch_execz .LBB379_1138
; %bb.759:
	s_waitcnt vmcnt(0)
	v_mul_lo_u32 v0, v14, s13
	v_mov_b32_e32 v1, s11
	s_and_b32 s42, s57, 0xff
	s_cmp_lt_i32 s42, 11
	v_ashrrev_i32_e32 v3, 31, v0
	v_add_co_u32_e32 v2, vcc, s10, v0
	v_addc_co_u32_e32 v3, vcc, v1, v3, vcc
	s_cbranch_scc1 .LBB379_766
; %bb.760:
	s_and_b32 s43, 0xffff, s42
	s_cmp_gt_i32 s43, 25
	s_cbranch_scc0 .LBB379_768
; %bb.761:
	s_cmp_gt_i32 s43, 28
	s_cbranch_scc0 .LBB379_769
; %bb.762:
	;; [unrolled: 3-line block ×4, first 2 shown]
	s_cmp_eq_u32 s43, 46
	s_mov_b64 s[40:41], 0
	s_cbranch_scc0 .LBB379_774
; %bb.765:
	global_load_dword v0, v[2:3], off
	s_mov_b64 s[0:1], -1
	s_waitcnt vmcnt(0)
	v_lshlrev_b32_e32 v0, 16, v0
	v_cvt_i32_f32_e32 v0, v0
	s_branch .LBB379_775
.LBB379_766:
	s_mov_b64 s[40:41], -1
	s_mov_b64 s[0:1], 0
                                        ; implicit-def: $vgpr0
	s_mov_b64 s[38:39], s[26:27]
	s_branch .LBB379_836
.LBB379_767:
	s_mov_b64 s[36:37], 0
	s_branch .LBB379_518
.LBB379_768:
	s_mov_b64 s[40:41], -1
	s_mov_b64 s[0:1], 0
	s_mov_b64 s[38:39], s[26:27]
                                        ; implicit-def: $vgpr0
	s_branch .LBB379_802
.LBB379_769:
	s_mov_b64 s[40:41], -1
	s_mov_b64 s[0:1], 0
	s_mov_b64 s[38:39], s[26:27]
                                        ; implicit-def: $vgpr0
	s_branch .LBB379_785
.LBB379_770:
	s_mov_b64 s[40:41], -1
	s_mov_b64 s[0:1], 0
	s_mov_b64 s[38:39], s[26:27]
                                        ; implicit-def: $vgpr0
	s_branch .LBB379_780
.LBB379_771:
	s_mov_b64 s[40:41], -1
	s_mov_b64 s[0:1], 0
	s_mov_b64 s[38:39], s[26:27]
                                        ; implicit-def: $vgpr0
	s_branch .LBB379_775
.LBB379_772:
	s_andn2_saveexec_b64 s[40:41], s[40:41]
	s_cbranch_execz .LBB379_667
.LBB379_773:
	v_add_f32_e32 v2, 0x46000000, v3
	v_and_b32_e32 v2, 0xff, v2
	v_cmp_ne_u32_e32 vcc, 0, v2
	s_andn2_b64 s[38:39], s[38:39], exec
	s_and_b64 s[44:45], vcc, exec
	s_or_b64 s[38:39], s[38:39], s[44:45]
	s_or_b64 exec, exec, s[40:41]
	v_mov_b32_e32 v4, 0
	s_and_saveexec_b64 s[40:41], s[38:39]
	s_cbranch_execnz .LBB379_668
	s_branch .LBB379_669
.LBB379_774:
	s_mov_b64 s[38:39], -1
                                        ; implicit-def: $vgpr0
	s_mov_b64 s[0:1], 0
.LBB379_775:
	s_and_b64 vcc, exec, s[40:41]
	s_cbranch_vccz .LBB379_779
; %bb.776:
	s_cmp_eq_u32 s43, 44
	s_cbranch_scc0 .LBB379_778
; %bb.777:
	global_load_ubyte v0, v[2:3], off
	s_mov_b64 s[0:1], -1
	s_mov_b64 s[38:39], 0
	s_waitcnt vmcnt(0)
	v_lshlrev_b32_e32 v1, 23, v0
	v_cvt_i32_f32_e32 v1, v1
	v_cmp_ne_u32_e32 vcc, 0, v0
	v_cndmask_b32_e32 v0, 0, v1, vcc
	s_branch .LBB379_779
.LBB379_778:
	s_mov_b64 s[38:39], -1
                                        ; implicit-def: $vgpr0
.LBB379_779:
	s_mov_b64 s[40:41], 0
.LBB379_780:
	s_and_b64 vcc, exec, s[40:41]
	s_cbranch_vccz .LBB379_784
; %bb.781:
	s_cmp_eq_u32 s43, 29
	s_cbranch_scc0 .LBB379_783
; %bb.782:
	global_load_dwordx2 v[0:1], v[2:3], off
	s_mov_b64 s[0:1], -1
	s_mov_b64 s[38:39], 0
	s_branch .LBB379_784
.LBB379_783:
	s_mov_b64 s[38:39], -1
                                        ; implicit-def: $vgpr0
.LBB379_784:
	s_mov_b64 s[40:41], 0
.LBB379_785:
	s_and_b64 vcc, exec, s[40:41]
	s_cbranch_vccz .LBB379_801
; %bb.786:
	s_cmp_lt_i32 s43, 27
	s_cbranch_scc1 .LBB379_789
; %bb.787:
	s_cmp_gt_i32 s43, 27
	s_cbranch_scc0 .LBB379_790
; %bb.788:
	global_load_dword v0, v[2:3], off
	s_mov_b64 s[0:1], 0
	s_branch .LBB379_791
.LBB379_789:
	s_mov_b64 s[0:1], -1
                                        ; implicit-def: $vgpr0
	s_branch .LBB379_794
.LBB379_790:
	s_mov_b64 s[0:1], -1
                                        ; implicit-def: $vgpr0
.LBB379_791:
	s_andn2_b64 vcc, exec, s[0:1]
	s_cbranch_vccnz .LBB379_793
; %bb.792:
	global_load_ushort v0, v[2:3], off
.LBB379_793:
	s_mov_b64 s[0:1], 0
.LBB379_794:
	s_andn2_b64 vcc, exec, s[0:1]
	s_cbranch_vccnz .LBB379_800
; %bb.795:
	global_load_ubyte v1, v[2:3], off
	s_movk_i32 s0, 0x7f
	s_mov_b64 s[40:41], 0
	s_waitcnt vmcnt(0)
	v_cmp_lt_i16_e32 vcc, s0, v1
	s_and_saveexec_b64 s[0:1], vcc
	s_xor_b64 s[0:1], exec, s[0:1]
	s_cbranch_execz .LBB379_812
; %bb.796:
	s_movk_i32 s40, 0x80
	v_cmp_ne_u16_e32 vcc, s40, v1
	s_and_b64 s[40:41], vcc, exec
	s_andn2_saveexec_b64 s[0:1], s[0:1]
	s_cbranch_execnz .LBB379_813
.LBB379_797:
	s_or_b64 exec, exec, s[0:1]
	v_mov_b32_e32 v0, 0
	s_and_saveexec_b64 s[0:1], s[40:41]
	s_cbranch_execz .LBB379_799
.LBB379_798:
	v_lshlrev_b32_e32 v0, 24, v1
	v_and_b32_e32 v1, 0xffff, v1
	v_and_b32_e32 v4, 7, v1
	v_ffbh_u32_e32 v6, v4
	v_min_u32_e32 v6, 32, v6
	v_subrev_u32_e32 v7, 28, v6
	v_bfe_u32 v5, v1, 3, 4
	v_lshlrev_b32_e32 v1, v7, v1
	v_sub_u32_e32 v6, 29, v6
	v_and_b32_e32 v1, 7, v1
	v_cmp_eq_u32_e32 vcc, 0, v5
	v_cndmask_b32_e32 v5, v5, v6, vcc
	v_cndmask_b32_e32 v1, v4, v1, vcc
	v_mov_b32_e32 v4, 0x3b800000
	v_lshlrev_b32_e32 v1, 20, v1
	v_and_b32_e32 v0, 0x80000000, v0
	v_lshl_add_u32 v4, v5, 23, v4
	v_or3_b32 v0, v0, v4, v1
	v_cvt_i32_f32_e32 v0, v0
.LBB379_799:
	s_or_b64 exec, exec, s[0:1]
.LBB379_800:
	s_mov_b64 s[0:1], -1
.LBB379_801:
	s_mov_b64 s[40:41], 0
.LBB379_802:
	s_and_b64 vcc, exec, s[40:41]
	s_cbranch_vccz .LBB379_835
; %bb.803:
	s_cmp_gt_i32 s43, 22
	s_cbranch_scc0 .LBB379_811
; %bb.804:
	s_cmp_lt_i32 s43, 24
	s_cbranch_scc1 .LBB379_814
; %bb.805:
	s_cmp_gt_i32 s43, 24
	s_cbranch_scc0 .LBB379_815
; %bb.806:
	global_load_ubyte v1, v[2:3], off
	s_movk_i32 s0, 0x7f
	s_mov_b64 s[40:41], 0
	s_waitcnt vmcnt(0)
	v_cmp_lt_i16_e32 vcc, s0, v1
	s_and_saveexec_b64 s[0:1], vcc
	s_xor_b64 s[0:1], exec, s[0:1]
	s_cbranch_execz .LBB379_827
; %bb.807:
	s_movk_i32 s40, 0x80
	v_cmp_ne_u16_e32 vcc, s40, v1
	s_and_b64 s[40:41], vcc, exec
	s_andn2_saveexec_b64 s[0:1], s[0:1]
	s_cbranch_execnz .LBB379_828
.LBB379_808:
	s_or_b64 exec, exec, s[0:1]
	v_mov_b32_e32 v0, 0
	s_and_saveexec_b64 s[0:1], s[40:41]
	s_cbranch_execz .LBB379_810
.LBB379_809:
	v_lshlrev_b32_e32 v0, 24, v1
	v_and_b32_e32 v1, 0xffff, v1
	v_and_b32_e32 v4, 3, v1
	v_ffbh_u32_e32 v6, v4
	v_min_u32_e32 v6, 32, v6
	v_subrev_u32_e32 v7, 29, v6
	v_bfe_u32 v5, v1, 2, 5
	v_lshlrev_b32_e32 v1, v7, v1
	v_sub_u32_e32 v6, 30, v6
	v_and_b32_e32 v1, 3, v1
	v_cmp_eq_u32_e32 vcc, 0, v5
	v_cndmask_b32_e32 v5, v5, v6, vcc
	v_cndmask_b32_e32 v1, v4, v1, vcc
	v_mov_b32_e32 v4, 0x37800000
	v_lshlrev_b32_e32 v1, 21, v1
	v_and_b32_e32 v0, 0x80000000, v0
	v_lshl_add_u32 v4, v5, 23, v4
	v_or3_b32 v0, v0, v4, v1
	v_cvt_i32_f32_e32 v0, v0
.LBB379_810:
	s_or_b64 exec, exec, s[0:1]
	s_mov_b64 s[0:1], 0
	s_branch .LBB379_816
.LBB379_811:
	s_mov_b64 s[40:41], -1
                                        ; implicit-def: $vgpr0
	s_branch .LBB379_822
.LBB379_812:
	s_andn2_saveexec_b64 s[0:1], s[0:1]
	s_cbranch_execz .LBB379_797
.LBB379_813:
	v_cmp_ne_u16_e32 vcc, 0, v1
	s_andn2_b64 s[40:41], s[40:41], exec
	s_and_b64 s[44:45], vcc, exec
	s_or_b64 s[40:41], s[40:41], s[44:45]
	s_or_b64 exec, exec, s[0:1]
	v_mov_b32_e32 v0, 0
	s_and_saveexec_b64 s[0:1], s[40:41]
	s_cbranch_execnz .LBB379_798
	s_branch .LBB379_799
.LBB379_814:
	s_mov_b64 s[0:1], -1
                                        ; implicit-def: $vgpr0
	s_branch .LBB379_819
.LBB379_815:
	s_mov_b64 s[0:1], -1
                                        ; implicit-def: $vgpr0
.LBB379_816:
	s_and_b64 vcc, exec, s[0:1]
	s_cbranch_vccz .LBB379_818
; %bb.817:
	global_load_ubyte v0, v[2:3], off
	s_mov_b32 s0, 0x7f800000
	s_waitcnt vmcnt(0)
	v_lshlrev_b32_e32 v0, 24, v0
	v_and_b32_e32 v1, 0x7f000000, v0
	v_ffbh_u32_e32 v4, v1
	v_min_u32_e32 v4, 32, v4
	v_sub_u32_e64 v4, v4, 4 clamp
	v_lshlrev_b32_e32 v6, v4, v1
	v_lshlrev_b32_e32 v4, 23, v4
	v_lshrrev_b32_e32 v6, 4, v6
	v_add_u32_e32 v5, 0x1000000, v1
	v_sub_u32_e32 v4, v6, v4
	v_ashrrev_i32_e32 v5, 8, v5
	v_add_u32_e32 v4, 0x3c000000, v4
	v_and_or_b32 v4, v5, s0, v4
	v_cmp_ne_u32_e32 vcc, 0, v1
	v_cndmask_b32_e32 v1, 0, v4, vcc
	s_brev_b32 s0, 1
	v_and_or_b32 v0, v0, s0, v1
	v_cvt_i32_f32_e32 v0, v0
.LBB379_818:
	s_mov_b64 s[0:1], 0
.LBB379_819:
	s_andn2_b64 vcc, exec, s[0:1]
	s_cbranch_vccnz .LBB379_821
; %bb.820:
	global_load_ubyte v0, v[2:3], off
	s_movk_i32 s0, 0x7f00
	s_brev_b32 s1, 16
	s_waitcnt vmcnt(0)
	v_lshlrev_b16_e32 v1, 8, v0
	v_lshlrev_b32_e32 v0, 25, v0
	v_lshrrev_b32_e32 v4, 4, v0
	v_and_or_b32 v5, v1, s0, 0.5
	v_or_b32_e32 v4, 0x70000000, v4
	v_add_f32_e32 v5, -0.5, v5
	v_mul_f32_e32 v4, 0x7800000, v4
	v_cmp_gt_u32_e32 vcc, s1, v0
	v_bfe_i32 v1, v1, 0, 16
	v_cndmask_b32_e32 v0, v4, v5, vcc
	s_brev_b32 s0, 1
	v_and_or_b32 v0, v1, s0, v0
	v_cvt_i32_f32_e32 v0, v0
.LBB379_821:
	s_mov_b64 s[40:41], 0
	s_mov_b64 s[0:1], -1
.LBB379_822:
	s_andn2_b64 vcc, exec, s[40:41]
	s_cbranch_vccnz .LBB379_835
; %bb.823:
	s_cmp_gt_i32 s43, 14
	s_cbranch_scc0 .LBB379_826
; %bb.824:
	s_cmp_eq_u32 s43, 15
	s_cbranch_scc0 .LBB379_829
; %bb.825:
	global_load_ushort v0, v[2:3], off
	s_mov_b64 s[0:1], -1
	s_mov_b64 s[38:39], 0
	s_waitcnt vmcnt(0)
	v_lshlrev_b32_e32 v0, 16, v0
	v_cvt_i32_f32_e32 v0, v0
	s_branch .LBB379_830
.LBB379_826:
	s_mov_b64 s[40:41], -1
                                        ; implicit-def: $vgpr0
	s_branch .LBB379_831
.LBB379_827:
	s_andn2_saveexec_b64 s[0:1], s[0:1]
	s_cbranch_execz .LBB379_808
.LBB379_828:
	v_cmp_ne_u16_e32 vcc, 0, v1
	s_andn2_b64 s[40:41], s[40:41], exec
	s_and_b64 s[44:45], vcc, exec
	s_or_b64 s[40:41], s[40:41], s[44:45]
	s_or_b64 exec, exec, s[0:1]
	v_mov_b32_e32 v0, 0
	s_and_saveexec_b64 s[0:1], s[40:41]
	s_cbranch_execnz .LBB379_809
	s_branch .LBB379_810
.LBB379_829:
	s_mov_b64 s[38:39], -1
                                        ; implicit-def: $vgpr0
.LBB379_830:
	s_mov_b64 s[40:41], 0
.LBB379_831:
	s_and_b64 vcc, exec, s[40:41]
	s_cbranch_vccz .LBB379_835
; %bb.832:
	s_cmp_eq_u32 s43, 11
	s_cbranch_scc0 .LBB379_834
; %bb.833:
	global_load_ubyte v0, v[2:3], off
	s_mov_b64 s[0:1], -1
	s_mov_b64 s[38:39], 0
	s_waitcnt vmcnt(0)
	v_cmp_ne_u16_e32 vcc, 0, v0
	v_cndmask_b32_e64 v0, 0, 1, vcc
	s_branch .LBB379_835
.LBB379_834:
	s_mov_b64 s[38:39], -1
                                        ; implicit-def: $vgpr0
.LBB379_835:
	s_mov_b64 s[40:41], 0
.LBB379_836:
	s_and_b64 vcc, exec, s[40:41]
	s_cbranch_vccz .LBB379_885
; %bb.837:
	s_and_b32 s40, 0xffff, s42
	s_cmp_lt_i32 s40, 5
	s_cbranch_scc1 .LBB379_842
; %bb.838:
	s_cmp_lt_i32 s40, 8
	s_cbranch_scc1 .LBB379_843
; %bb.839:
	;; [unrolled: 3-line block ×3, first 2 shown]
	s_cmp_gt_i32 s40, 9
	s_cbranch_scc0 .LBB379_845
; %bb.841:
	global_load_dwordx2 v[0:1], v[2:3], off
	s_mov_b64 s[0:1], 0
	s_waitcnt vmcnt(0)
	v_cvt_i32_f64_e32 v0, v[0:1]
	s_branch .LBB379_846
.LBB379_842:
	s_mov_b64 s[0:1], -1
                                        ; implicit-def: $vgpr0
	s_branch .LBB379_864
.LBB379_843:
	s_mov_b64 s[0:1], -1
                                        ; implicit-def: $vgpr0
	s_branch .LBB379_852
.LBB379_844:
	s_mov_b64 s[0:1], -1
                                        ; implicit-def: $vgpr0
	s_branch .LBB379_849
.LBB379_845:
	s_mov_b64 s[0:1], -1
                                        ; implicit-def: $vgpr0
.LBB379_846:
	s_andn2_b64 vcc, exec, s[0:1]
	s_cbranch_vccnz .LBB379_848
; %bb.847:
	global_load_dword v0, v[2:3], off
	s_waitcnt vmcnt(0)
	v_cvt_i32_f32_e32 v0, v0
.LBB379_848:
	s_mov_b64 s[0:1], 0
.LBB379_849:
	s_andn2_b64 vcc, exec, s[0:1]
	s_cbranch_vccnz .LBB379_851
; %bb.850:
	global_load_dword v0, v[2:3], off
	s_waitcnt vmcnt(0)
	v_cvt_i16_f16_e32 v0, v0
.LBB379_851:
	s_mov_b64 s[0:1], 0
.LBB379_852:
	s_andn2_b64 vcc, exec, s[0:1]
	s_cbranch_vccnz .LBB379_863
; %bb.853:
	s_cmp_lt_i32 s40, 6
	s_cbranch_scc1 .LBB379_856
; %bb.854:
	s_cmp_gt_i32 s40, 6
	s_cbranch_scc0 .LBB379_857
; %bb.855:
	global_load_dwordx2 v[0:1], v[2:3], off
	s_mov_b64 s[0:1], 0
	s_waitcnt vmcnt(0)
	v_cvt_i32_f64_e32 v0, v[0:1]
	s_branch .LBB379_858
.LBB379_856:
	s_mov_b64 s[0:1], -1
                                        ; implicit-def: $vgpr0
	s_branch .LBB379_861
.LBB379_857:
	s_mov_b64 s[0:1], -1
                                        ; implicit-def: $vgpr0
.LBB379_858:
	s_andn2_b64 vcc, exec, s[0:1]
	s_cbranch_vccnz .LBB379_860
; %bb.859:
	global_load_dword v0, v[2:3], off
	s_waitcnt vmcnt(0)
	v_cvt_i32_f32_e32 v0, v0
.LBB379_860:
	s_mov_b64 s[0:1], 0
.LBB379_861:
	s_andn2_b64 vcc, exec, s[0:1]
	s_cbranch_vccnz .LBB379_863
; %bb.862:
	global_load_ushort v0, v[2:3], off
	s_waitcnt vmcnt(0)
	v_cvt_i16_f16_e32 v0, v0
.LBB379_863:
	s_mov_b64 s[0:1], 0
.LBB379_864:
	s_andn2_b64 vcc, exec, s[0:1]
	s_cbranch_vccnz .LBB379_884
; %bb.865:
	s_cmp_lt_i32 s40, 2
	s_cbranch_scc1 .LBB379_869
; %bb.866:
	s_cmp_lt_i32 s40, 3
	s_cbranch_scc1 .LBB379_870
; %bb.867:
	s_cmp_gt_i32 s40, 3
	s_cbranch_scc0 .LBB379_871
; %bb.868:
	global_load_dwordx2 v[0:1], v[2:3], off
	s_mov_b64 s[0:1], 0
	s_branch .LBB379_872
.LBB379_869:
	s_mov_b64 s[0:1], -1
                                        ; implicit-def: $vgpr0
	s_branch .LBB379_878
.LBB379_870:
	s_mov_b64 s[0:1], -1
                                        ; implicit-def: $vgpr0
	s_branch .LBB379_875
.LBB379_871:
	s_mov_b64 s[0:1], -1
                                        ; implicit-def: $vgpr0
.LBB379_872:
	s_andn2_b64 vcc, exec, s[0:1]
	s_cbranch_vccnz .LBB379_874
; %bb.873:
	global_load_dword v0, v[2:3], off
.LBB379_874:
	s_mov_b64 s[0:1], 0
.LBB379_875:
	s_andn2_b64 vcc, exec, s[0:1]
	s_cbranch_vccnz .LBB379_877
; %bb.876:
	global_load_ushort v0, v[2:3], off
.LBB379_877:
	s_mov_b64 s[0:1], 0
.LBB379_878:
	s_andn2_b64 vcc, exec, s[0:1]
	s_cbranch_vccnz .LBB379_884
; %bb.879:
	s_cmp_gt_i32 s40, 0
	s_cbranch_scc0 .LBB379_881
; %bb.880:
	global_load_ubyte v0, v[2:3], off
	s_mov_b64 s[0:1], 0
	s_branch .LBB379_882
.LBB379_881:
	s_mov_b64 s[0:1], -1
                                        ; implicit-def: $vgpr0
.LBB379_882:
	s_andn2_b64 vcc, exec, s[0:1]
	s_cbranch_vccnz .LBB379_884
; %bb.883:
	global_load_ubyte v0, v[2:3], off
.LBB379_884:
	s_mov_b64 s[0:1], -1
.LBB379_885:
	s_andn2_b64 vcc, exec, s[0:1]
	s_cbranch_vccnz .LBB379_893
; %bb.886:
	s_waitcnt vmcnt(0)
	v_mul_lo_u32 v1, v14, s14
	v_mov_b32_e32 v2, s3
	s_and_b32 s44, s56, 0xff
	s_cmp_lt_i32 s44, 11
	v_ashrrev_i32_e32 v3, 31, v1
	v_add_co_u32_e32 v1, vcc, s2, v1
	v_addc_co_u32_e32 v2, vcc, v2, v3, vcc
	s_cbranch_scc1 .LBB379_895
; %bb.887:
	s_and_b32 s45, 0xffff, s44
	s_cmp_gt_i32 s45, 25
	s_cbranch_scc0 .LBB379_896
; %bb.888:
	s_cmp_gt_i32 s45, 28
	s_cbranch_scc0 .LBB379_897
; %bb.889:
	;; [unrolled: 3-line block ×4, first 2 shown]
	s_cmp_eq_u32 s45, 46
	s_mov_b64 s[42:43], 0
	s_cbranch_scc0 .LBB379_902
; %bb.892:
	global_load_dword v3, v[1:2], off
	s_mov_b64 s[0:1], -1
	s_mov_b64 s[40:41], 0
	s_waitcnt vmcnt(0)
	v_lshlrev_b32_e32 v3, 16, v3
	v_cvt_i32_f32_e32 v3, v3
	s_branch .LBB379_903
.LBB379_893:
	s_mov_b64 s[44:45], 0
	s_mov_b64 s[0:1], s[30:31]
	s_mov_b64 s[40:41], s[28:29]
.LBB379_894:
                                        ; implicit-def: $vgpr14
	s_branch .LBB379_1137
.LBB379_895:
	s_mov_b64 s[42:43], -1
	s_mov_b64 s[0:1], 0
                                        ; implicit-def: $vgpr3
	s_mov_b64 s[40:41], s[28:29]
	s_branch .LBB379_964
.LBB379_896:
	s_mov_b64 s[42:43], -1
	s_mov_b64 s[0:1], 0
	s_mov_b64 s[40:41], s[28:29]
                                        ; implicit-def: $vgpr3
	s_branch .LBB379_930
.LBB379_897:
	s_mov_b64 s[42:43], -1
	s_mov_b64 s[0:1], 0
	s_mov_b64 s[40:41], s[28:29]
                                        ; implicit-def: $vgpr3
	s_branch .LBB379_913
.LBB379_898:
	s_mov_b64 s[42:43], -1
	s_mov_b64 s[0:1], 0
	s_mov_b64 s[40:41], s[28:29]
                                        ; implicit-def: $vgpr3
	s_branch .LBB379_908
.LBB379_899:
	s_mov_b64 s[42:43], -1
	s_mov_b64 s[0:1], 0
	s_mov_b64 s[40:41], s[28:29]
                                        ; implicit-def: $vgpr3
	s_branch .LBB379_903
.LBB379_900:
	s_andn2_saveexec_b64 s[40:41], s[40:41]
	s_cbranch_execz .LBB379_680
.LBB379_901:
	v_add_f32_e32 v2, 0x42800000, v3
	v_and_b32_e32 v2, 0xff, v2
	v_cmp_ne_u32_e32 vcc, 0, v2
	s_andn2_b64 s[38:39], s[38:39], exec
	s_and_b64 s[44:45], vcc, exec
	s_or_b64 s[38:39], s[38:39], s[44:45]
	s_or_b64 exec, exec, s[40:41]
	v_mov_b32_e32 v4, 0
	s_and_saveexec_b64 s[40:41], s[38:39]
	s_cbranch_execnz .LBB379_681
	s_branch .LBB379_682
.LBB379_902:
	s_mov_b64 s[40:41], -1
                                        ; implicit-def: $vgpr3
	s_mov_b64 s[0:1], 0
.LBB379_903:
	s_and_b64 vcc, exec, s[42:43]
	s_cbranch_vccz .LBB379_907
; %bb.904:
	s_cmp_eq_u32 s45, 44
	s_cbranch_scc0 .LBB379_906
; %bb.905:
	global_load_ubyte v3, v[1:2], off
	s_mov_b64 s[0:1], -1
	s_mov_b64 s[40:41], 0
	s_waitcnt vmcnt(0)
	v_lshlrev_b32_e32 v4, 23, v3
	v_cvt_i32_f32_e32 v4, v4
	v_cmp_ne_u32_e32 vcc, 0, v3
	v_cndmask_b32_e32 v3, 0, v4, vcc
	s_branch .LBB379_907
.LBB379_906:
	s_mov_b64 s[40:41], -1
                                        ; implicit-def: $vgpr3
.LBB379_907:
	s_mov_b64 s[42:43], 0
.LBB379_908:
	s_and_b64 vcc, exec, s[42:43]
	s_cbranch_vccz .LBB379_912
; %bb.909:
	s_cmp_eq_u32 s45, 29
	s_cbranch_scc0 .LBB379_911
; %bb.910:
	global_load_dwordx2 v[3:4], v[1:2], off
	s_mov_b64 s[0:1], -1
	s_mov_b64 s[40:41], 0
	s_branch .LBB379_912
.LBB379_911:
	s_mov_b64 s[40:41], -1
                                        ; implicit-def: $vgpr3
.LBB379_912:
	s_mov_b64 s[42:43], 0
.LBB379_913:
	s_and_b64 vcc, exec, s[42:43]
	s_cbranch_vccz .LBB379_929
; %bb.914:
	s_cmp_lt_i32 s45, 27
	s_cbranch_scc1 .LBB379_917
; %bb.915:
	s_cmp_gt_i32 s45, 27
	s_cbranch_scc0 .LBB379_918
; %bb.916:
	global_load_dword v3, v[1:2], off
	s_mov_b64 s[0:1], 0
	s_branch .LBB379_919
.LBB379_917:
	s_mov_b64 s[0:1], -1
                                        ; implicit-def: $vgpr3
	s_branch .LBB379_922
.LBB379_918:
	s_mov_b64 s[0:1], -1
                                        ; implicit-def: $vgpr3
.LBB379_919:
	s_andn2_b64 vcc, exec, s[0:1]
	s_cbranch_vccnz .LBB379_921
; %bb.920:
	global_load_ushort v3, v[1:2], off
.LBB379_921:
	s_mov_b64 s[0:1], 0
.LBB379_922:
	s_andn2_b64 vcc, exec, s[0:1]
	s_cbranch_vccnz .LBB379_928
; %bb.923:
	global_load_ubyte v4, v[1:2], off
	s_movk_i32 s0, 0x7f
	s_mov_b64 s[42:43], 0
	s_waitcnt vmcnt(0)
	v_cmp_lt_i16_e32 vcc, s0, v4
	s_and_saveexec_b64 s[0:1], vcc
	s_xor_b64 s[0:1], exec, s[0:1]
	s_cbranch_execz .LBB379_940
; %bb.924:
	s_movk_i32 s42, 0x80
	v_cmp_ne_u16_e32 vcc, s42, v4
	s_and_b64 s[42:43], vcc, exec
	s_andn2_saveexec_b64 s[0:1], s[0:1]
	s_cbranch_execnz .LBB379_941
.LBB379_925:
	s_or_b64 exec, exec, s[0:1]
	v_mov_b32_e32 v3, 0
	s_and_saveexec_b64 s[0:1], s[42:43]
	s_cbranch_execz .LBB379_927
.LBB379_926:
	v_lshlrev_b32_e32 v3, 24, v4
	v_and_b32_e32 v4, 0xffff, v4
	v_and_b32_e32 v5, 7, v4
	v_ffbh_u32_e32 v7, v5
	v_min_u32_e32 v7, 32, v7
	v_subrev_u32_e32 v8, 28, v7
	v_bfe_u32 v6, v4, 3, 4
	v_lshlrev_b32_e32 v4, v8, v4
	v_sub_u32_e32 v7, 29, v7
	v_and_b32_e32 v4, 7, v4
	v_cmp_eq_u32_e32 vcc, 0, v6
	v_cndmask_b32_e32 v6, v6, v7, vcc
	v_cndmask_b32_e32 v4, v5, v4, vcc
	v_mov_b32_e32 v5, 0x3b800000
	v_lshlrev_b32_e32 v4, 20, v4
	v_and_b32_e32 v3, 0x80000000, v3
	v_lshl_add_u32 v5, v6, 23, v5
	v_or3_b32 v3, v3, v5, v4
	v_cvt_i32_f32_e32 v3, v3
.LBB379_927:
	s_or_b64 exec, exec, s[0:1]
.LBB379_928:
	s_mov_b64 s[0:1], -1
.LBB379_929:
	s_mov_b64 s[42:43], 0
.LBB379_930:
	s_and_b64 vcc, exec, s[42:43]
	s_cbranch_vccz .LBB379_963
; %bb.931:
	s_cmp_gt_i32 s45, 22
	s_cbranch_scc0 .LBB379_939
; %bb.932:
	s_cmp_lt_i32 s45, 24
	s_cbranch_scc1 .LBB379_942
; %bb.933:
	s_cmp_gt_i32 s45, 24
	s_cbranch_scc0 .LBB379_943
; %bb.934:
	global_load_ubyte v4, v[1:2], off
	s_movk_i32 s0, 0x7f
	s_mov_b64 s[42:43], 0
	s_waitcnt vmcnt(0)
	v_cmp_lt_i16_e32 vcc, s0, v4
	s_and_saveexec_b64 s[0:1], vcc
	s_xor_b64 s[0:1], exec, s[0:1]
	s_cbranch_execz .LBB379_955
; %bb.935:
	s_movk_i32 s42, 0x80
	v_cmp_ne_u16_e32 vcc, s42, v4
	s_and_b64 s[42:43], vcc, exec
	s_andn2_saveexec_b64 s[0:1], s[0:1]
	s_cbranch_execnz .LBB379_956
.LBB379_936:
	s_or_b64 exec, exec, s[0:1]
	v_mov_b32_e32 v3, 0
	s_and_saveexec_b64 s[0:1], s[42:43]
	s_cbranch_execz .LBB379_938
.LBB379_937:
	v_lshlrev_b32_e32 v3, 24, v4
	v_and_b32_e32 v4, 0xffff, v4
	v_and_b32_e32 v5, 3, v4
	v_ffbh_u32_e32 v7, v5
	v_min_u32_e32 v7, 32, v7
	v_subrev_u32_e32 v8, 29, v7
	v_bfe_u32 v6, v4, 2, 5
	v_lshlrev_b32_e32 v4, v8, v4
	v_sub_u32_e32 v7, 30, v7
	v_and_b32_e32 v4, 3, v4
	v_cmp_eq_u32_e32 vcc, 0, v6
	v_cndmask_b32_e32 v6, v6, v7, vcc
	v_cndmask_b32_e32 v4, v5, v4, vcc
	v_mov_b32_e32 v5, 0x37800000
	v_lshlrev_b32_e32 v4, 21, v4
	v_and_b32_e32 v3, 0x80000000, v3
	v_lshl_add_u32 v5, v6, 23, v5
	v_or3_b32 v3, v3, v5, v4
	v_cvt_i32_f32_e32 v3, v3
.LBB379_938:
	s_or_b64 exec, exec, s[0:1]
	s_mov_b64 s[0:1], 0
	s_branch .LBB379_944
.LBB379_939:
	s_mov_b64 s[42:43], -1
                                        ; implicit-def: $vgpr3
	s_branch .LBB379_950
.LBB379_940:
	s_andn2_saveexec_b64 s[0:1], s[0:1]
	s_cbranch_execz .LBB379_925
.LBB379_941:
	v_cmp_ne_u16_e32 vcc, 0, v4
	s_andn2_b64 s[42:43], s[42:43], exec
	s_and_b64 s[46:47], vcc, exec
	s_or_b64 s[42:43], s[42:43], s[46:47]
	s_or_b64 exec, exec, s[0:1]
	v_mov_b32_e32 v3, 0
	s_and_saveexec_b64 s[0:1], s[42:43]
	s_cbranch_execnz .LBB379_926
	s_branch .LBB379_927
.LBB379_942:
	s_mov_b64 s[0:1], -1
                                        ; implicit-def: $vgpr3
	s_branch .LBB379_947
.LBB379_943:
	s_mov_b64 s[0:1], -1
                                        ; implicit-def: $vgpr3
.LBB379_944:
	s_and_b64 vcc, exec, s[0:1]
	s_cbranch_vccz .LBB379_946
; %bb.945:
	global_load_ubyte v3, v[1:2], off
	s_mov_b32 s0, 0x7f800000
	s_waitcnt vmcnt(0)
	v_lshlrev_b32_e32 v3, 24, v3
	v_and_b32_e32 v4, 0x7f000000, v3
	v_ffbh_u32_e32 v5, v4
	v_min_u32_e32 v5, 32, v5
	v_sub_u32_e64 v5, v5, 4 clamp
	v_lshlrev_b32_e32 v7, v5, v4
	v_lshlrev_b32_e32 v5, 23, v5
	v_lshrrev_b32_e32 v7, 4, v7
	v_add_u32_e32 v6, 0x1000000, v4
	v_sub_u32_e32 v5, v7, v5
	v_ashrrev_i32_e32 v6, 8, v6
	v_add_u32_e32 v5, 0x3c000000, v5
	v_and_or_b32 v5, v6, s0, v5
	v_cmp_ne_u32_e32 vcc, 0, v4
	v_cndmask_b32_e32 v4, 0, v5, vcc
	s_brev_b32 s0, 1
	v_and_or_b32 v3, v3, s0, v4
	v_cvt_i32_f32_e32 v3, v3
.LBB379_946:
	s_mov_b64 s[0:1], 0
.LBB379_947:
	s_andn2_b64 vcc, exec, s[0:1]
	s_cbranch_vccnz .LBB379_949
; %bb.948:
	global_load_ubyte v3, v[1:2], off
	s_movk_i32 s0, 0x7f00
	s_brev_b32 s1, 16
	s_waitcnt vmcnt(0)
	v_lshlrev_b16_e32 v4, 8, v3
	v_lshlrev_b32_e32 v3, 25, v3
	v_lshrrev_b32_e32 v5, 4, v3
	v_and_or_b32 v6, v4, s0, 0.5
	v_or_b32_e32 v5, 0x70000000, v5
	v_add_f32_e32 v6, -0.5, v6
	v_mul_f32_e32 v5, 0x7800000, v5
	v_cmp_gt_u32_e32 vcc, s1, v3
	v_bfe_i32 v4, v4, 0, 16
	v_cndmask_b32_e32 v3, v5, v6, vcc
	s_brev_b32 s0, 1
	v_and_or_b32 v3, v4, s0, v3
	v_cvt_i32_f32_e32 v3, v3
.LBB379_949:
	s_mov_b64 s[42:43], 0
	s_mov_b64 s[0:1], -1
.LBB379_950:
	s_andn2_b64 vcc, exec, s[42:43]
	s_cbranch_vccnz .LBB379_963
; %bb.951:
	s_cmp_gt_i32 s45, 14
	s_cbranch_scc0 .LBB379_954
; %bb.952:
	s_cmp_eq_u32 s45, 15
	s_cbranch_scc0 .LBB379_957
; %bb.953:
	global_load_ushort v3, v[1:2], off
	s_mov_b64 s[0:1], -1
	s_mov_b64 s[40:41], 0
	s_waitcnt vmcnt(0)
	v_lshlrev_b32_e32 v3, 16, v3
	v_cvt_i32_f32_e32 v3, v3
	s_branch .LBB379_958
.LBB379_954:
	s_mov_b64 s[42:43], -1
                                        ; implicit-def: $vgpr3
	s_branch .LBB379_959
.LBB379_955:
	s_andn2_saveexec_b64 s[0:1], s[0:1]
	s_cbranch_execz .LBB379_936
.LBB379_956:
	v_cmp_ne_u16_e32 vcc, 0, v4
	s_andn2_b64 s[42:43], s[42:43], exec
	s_and_b64 s[46:47], vcc, exec
	s_or_b64 s[42:43], s[42:43], s[46:47]
	s_or_b64 exec, exec, s[0:1]
	v_mov_b32_e32 v3, 0
	s_and_saveexec_b64 s[0:1], s[42:43]
	s_cbranch_execnz .LBB379_937
	s_branch .LBB379_938
.LBB379_957:
	s_mov_b64 s[40:41], -1
                                        ; implicit-def: $vgpr3
.LBB379_958:
	s_mov_b64 s[42:43], 0
.LBB379_959:
	s_and_b64 vcc, exec, s[42:43]
	s_cbranch_vccz .LBB379_963
; %bb.960:
	s_cmp_eq_u32 s45, 11
	s_cbranch_scc0 .LBB379_962
; %bb.961:
	global_load_ubyte v3, v[1:2], off
	s_mov_b64 s[0:1], -1
	s_mov_b64 s[40:41], 0
	s_waitcnt vmcnt(0)
	v_cmp_ne_u16_e32 vcc, 0, v3
	v_cndmask_b32_e64 v3, 0, 1, vcc
	s_branch .LBB379_963
.LBB379_962:
	s_mov_b64 s[40:41], -1
                                        ; implicit-def: $vgpr3
.LBB379_963:
	s_mov_b64 s[42:43], 0
.LBB379_964:
	s_and_b64 vcc, exec, s[42:43]
	s_cbranch_vccz .LBB379_1013
; %bb.965:
	s_and_b32 s42, 0xffff, s44
	s_cmp_lt_i32 s42, 5
	s_cbranch_scc1 .LBB379_970
; %bb.966:
	s_cmp_lt_i32 s42, 8
	s_cbranch_scc1 .LBB379_971
; %bb.967:
	;; [unrolled: 3-line block ×3, first 2 shown]
	s_cmp_gt_i32 s42, 9
	s_cbranch_scc0 .LBB379_973
; %bb.969:
	global_load_dwordx2 v[3:4], v[1:2], off
	s_mov_b64 s[0:1], 0
	s_waitcnt vmcnt(0)
	v_cvt_i32_f64_e32 v3, v[3:4]
	s_branch .LBB379_974
.LBB379_970:
	s_mov_b64 s[0:1], -1
                                        ; implicit-def: $vgpr3
	s_branch .LBB379_992
.LBB379_971:
	s_mov_b64 s[0:1], -1
                                        ; implicit-def: $vgpr3
	s_branch .LBB379_980
.LBB379_972:
	s_mov_b64 s[0:1], -1
                                        ; implicit-def: $vgpr3
	s_branch .LBB379_977
.LBB379_973:
	s_mov_b64 s[0:1], -1
                                        ; implicit-def: $vgpr3
.LBB379_974:
	s_andn2_b64 vcc, exec, s[0:1]
	s_cbranch_vccnz .LBB379_976
; %bb.975:
	global_load_dword v3, v[1:2], off
	s_waitcnt vmcnt(0)
	v_cvt_i32_f32_e32 v3, v3
.LBB379_976:
	s_mov_b64 s[0:1], 0
.LBB379_977:
	s_andn2_b64 vcc, exec, s[0:1]
	s_cbranch_vccnz .LBB379_979
; %bb.978:
	global_load_dword v3, v[1:2], off
	s_waitcnt vmcnt(0)
	v_cvt_i16_f16_e32 v3, v3
.LBB379_979:
	s_mov_b64 s[0:1], 0
.LBB379_980:
	s_andn2_b64 vcc, exec, s[0:1]
	s_cbranch_vccnz .LBB379_991
; %bb.981:
	s_cmp_lt_i32 s42, 6
	s_cbranch_scc1 .LBB379_984
; %bb.982:
	s_cmp_gt_i32 s42, 6
	s_cbranch_scc0 .LBB379_985
; %bb.983:
	global_load_dwordx2 v[3:4], v[1:2], off
	s_mov_b64 s[0:1], 0
	s_waitcnt vmcnt(0)
	v_cvt_i32_f64_e32 v3, v[3:4]
	s_branch .LBB379_986
.LBB379_984:
	s_mov_b64 s[0:1], -1
                                        ; implicit-def: $vgpr3
	s_branch .LBB379_989
.LBB379_985:
	s_mov_b64 s[0:1], -1
                                        ; implicit-def: $vgpr3
.LBB379_986:
	s_andn2_b64 vcc, exec, s[0:1]
	s_cbranch_vccnz .LBB379_988
; %bb.987:
	global_load_dword v3, v[1:2], off
	s_waitcnt vmcnt(0)
	v_cvt_i32_f32_e32 v3, v3
.LBB379_988:
	s_mov_b64 s[0:1], 0
.LBB379_989:
	s_andn2_b64 vcc, exec, s[0:1]
	s_cbranch_vccnz .LBB379_991
; %bb.990:
	global_load_ushort v3, v[1:2], off
	s_waitcnt vmcnt(0)
	v_cvt_i16_f16_e32 v3, v3
.LBB379_991:
	s_mov_b64 s[0:1], 0
.LBB379_992:
	s_andn2_b64 vcc, exec, s[0:1]
	s_cbranch_vccnz .LBB379_1012
; %bb.993:
	s_cmp_lt_i32 s42, 2
	s_cbranch_scc1 .LBB379_997
; %bb.994:
	s_cmp_lt_i32 s42, 3
	s_cbranch_scc1 .LBB379_998
; %bb.995:
	s_cmp_gt_i32 s42, 3
	s_cbranch_scc0 .LBB379_999
; %bb.996:
	global_load_dwordx2 v[3:4], v[1:2], off
	s_mov_b64 s[0:1], 0
	s_branch .LBB379_1000
.LBB379_997:
	s_mov_b64 s[0:1], -1
                                        ; implicit-def: $vgpr3
	s_branch .LBB379_1006
.LBB379_998:
	s_mov_b64 s[0:1], -1
                                        ; implicit-def: $vgpr3
	s_branch .LBB379_1003
.LBB379_999:
	s_mov_b64 s[0:1], -1
                                        ; implicit-def: $vgpr3
.LBB379_1000:
	s_andn2_b64 vcc, exec, s[0:1]
	s_cbranch_vccnz .LBB379_1002
; %bb.1001:
	global_load_dword v3, v[1:2], off
.LBB379_1002:
	s_mov_b64 s[0:1], 0
.LBB379_1003:
	s_andn2_b64 vcc, exec, s[0:1]
	s_cbranch_vccnz .LBB379_1005
; %bb.1004:
	global_load_ushort v3, v[1:2], off
.LBB379_1005:
	s_mov_b64 s[0:1], 0
.LBB379_1006:
	s_andn2_b64 vcc, exec, s[0:1]
	s_cbranch_vccnz .LBB379_1012
; %bb.1007:
	s_cmp_gt_i32 s42, 0
	s_cbranch_scc0 .LBB379_1009
; %bb.1008:
	global_load_ubyte v3, v[1:2], off
	s_mov_b64 s[0:1], 0
	s_branch .LBB379_1010
.LBB379_1009:
	s_mov_b64 s[0:1], -1
                                        ; implicit-def: $vgpr3
.LBB379_1010:
	s_andn2_b64 vcc, exec, s[0:1]
	s_cbranch_vccnz .LBB379_1012
; %bb.1011:
	global_load_ubyte v3, v[1:2], off
.LBB379_1012:
	s_mov_b64 s[0:1], -1
.LBB379_1013:
	s_andn2_b64 vcc, exec, s[0:1]
	s_cbranch_vccnz .LBB379_1021
; %bb.1014:
	v_mul_lo_u32 v1, v14, s12
	s_waitcnt vmcnt(0)
	v_cmp_ne_u16_sdwa s[0:1], v0, v3 src0_sel:BYTE_0 src1_sel:BYTE_0
	v_mov_b32_e32 v2, s9
	s_xor_b64 s[42:43], s[16:17], s[0:1]
	v_ashrrev_i32_e32 v3, 31, v1
	s_and_b32 s51, s33, 0xff
	v_add_co_u32_e32 v0, vcc, s8, v1
	s_cmp_lt_i32 s51, 11
	v_addc_co_u32_e32 v1, vcc, v2, v3, vcc
	s_cbranch_scc1 .LBB379_1022
; %bb.1015:
	s_and_b32 s52, 0xffff, s51
	s_cmp_gt_i32 s52, 25
	s_cbranch_scc0 .LBB379_1023
; %bb.1016:
	s_cmp_gt_i32 s52, 28
	s_cbranch_scc0 .LBB379_1024
; %bb.1017:
	s_cmp_gt_i32 s52, 43
	s_cbranch_scc0 .LBB379_1025
; %bb.1018:
	s_cmp_gt_i32 s52, 45
	s_cbranch_scc0 .LBB379_1026
; %bb.1019:
	s_mov_b64 s[46:47], 0
	s_mov_b64 s[0:1], -1
	s_cmp_eq_u32 s52, 46
	s_mov_b64 s[44:45], 0
	s_cbranch_scc0 .LBB379_1027
; %bb.1020:
	v_cndmask_b32_e64 v2, 0, 1.0, s[42:43]
	v_bfe_u32 v3, v2, 16, 1
	s_movk_i32 s0, 0x7fff
	v_add3_u32 v2, v2, v3, s0
	v_lshrrev_b32_e32 v2, 16, v2
	global_store_dword v[0:1], v2, off
	s_mov_b64 s[44:45], -1
	s_mov_b64 s[0:1], 0
	s_branch .LBB379_1027
.LBB379_1021:
	s_mov_b64 s[44:45], 0
                                        ; implicit-def: $vgpr14
	s_mov_b64 s[0:1], s[30:31]
	s_branch .LBB379_1137
.LBB379_1022:
	s_mov_b64 s[46:47], -1
	s_mov_b64 s[44:45], 0
	s_mov_b64 s[0:1], s[30:31]
	s_branch .LBB379_1096
.LBB379_1023:
	s_mov_b64 s[46:47], -1
	s_mov_b64 s[44:45], 0
	s_mov_b64 s[0:1], s[30:31]
	s_branch .LBB379_1054
.LBB379_1024:
	s_mov_b64 s[46:47], -1
	s_mov_b64 s[44:45], 0
	s_mov_b64 s[0:1], s[30:31]
	s_branch .LBB379_1037
.LBB379_1025:
	s_mov_b64 s[46:47], -1
	s_mov_b64 s[44:45], 0
	s_mov_b64 s[0:1], s[30:31]
	s_branch .LBB379_1033
.LBB379_1026:
	s_mov_b64 s[46:47], -1
	s_mov_b64 s[44:45], 0
	s_mov_b64 s[0:1], s[30:31]
.LBB379_1027:
	s_and_b64 vcc, exec, s[46:47]
	s_cbranch_vccz .LBB379_1032
; %bb.1028:
	s_cmp_eq_u32 s52, 44
	s_mov_b64 s[0:1], -1
	s_cbranch_scc0 .LBB379_1032
; %bb.1029:
	v_cndmask_b32_e64 v3, 0, 1.0, s[42:43]
	v_lshrrev_b32_e32 v2, 23, v3
	s_movk_i32 s0, 0xff
	v_cmp_ne_u32_e32 vcc, s0, v2
	v_mov_b32_e32 v4, 0xff
	s_and_saveexec_b64 s[44:45], vcc
; %bb.1030:
	s_mov_b32 s0, 0x3fffff
	v_and_b32_e32 v4, 0x400000, v3
	v_and_or_b32 v3, v3, s0, v2
	v_cmp_ne_u32_e32 vcc, 0, v4
	v_cmp_ne_u32_e64 s[0:1], 0, v3
	s_and_b64 s[0:1], vcc, s[0:1]
	v_cndmask_b32_e64 v3, 0, 1, s[0:1]
	v_add_u32_e32 v4, v2, v3
; %bb.1031:
	s_or_b64 exec, exec, s[44:45]
	s_mov_b64 s[44:45], -1
	s_mov_b64 s[0:1], 0
	global_store_byte v[0:1], v4, off
.LBB379_1032:
	s_mov_b64 s[46:47], 0
.LBB379_1033:
	s_and_b64 vcc, exec, s[46:47]
	s_cbranch_vccz .LBB379_1036
; %bb.1034:
	s_cmp_eq_u32 s52, 29
	s_mov_b64 s[0:1], -1
	s_cbranch_scc0 .LBB379_1036
; %bb.1035:
	s_mov_b32 s0, 0
	v_cndmask_b32_e64 v2, 0, 1, s[42:43]
	v_mov_b32_e32 v3, s0
	global_store_dwordx2 v[0:1], v[2:3], off
	s_mov_b64 s[44:45], -1
	s_mov_b64 s[0:1], 0
.LBB379_1036:
	s_mov_b64 s[46:47], 0
.LBB379_1037:
	s_and_b64 vcc, exec, s[46:47]
	s_cbranch_vccz .LBB379_1053
; %bb.1038:
	s_cmp_lt_i32 s52, 27
	s_mov_b64 s[44:45], -1
	s_cbranch_scc1 .LBB379_1044
; %bb.1039:
	s_cmp_gt_i32 s52, 27
	s_cbranch_scc0 .LBB379_1041
; %bb.1040:
	v_cndmask_b32_e64 v2, 0, 1, s[42:43]
	s_mov_b64 s[44:45], 0
	global_store_dword v[0:1], v2, off
.LBB379_1041:
	s_andn2_b64 vcc, exec, s[44:45]
	s_cbranch_vccnz .LBB379_1043
; %bb.1042:
	v_cndmask_b32_e64 v2, 0, 1, s[42:43]
	global_store_short v[0:1], v2, off
.LBB379_1043:
	s_mov_b64 s[44:45], 0
.LBB379_1044:
	s_andn2_b64 vcc, exec, s[44:45]
	s_cbranch_vccnz .LBB379_1052
; %bb.1045:
	v_cndmask_b32_e64 v3, 0, 1.0, s[42:43]
	s_mov_b32 s44, 0x43800000
	v_cmp_gt_u32_e32 vcc, s44, v3
	v_mov_b32_e32 v4, 0x80
	s_and_saveexec_b64 s[44:45], vcc
	s_cbranch_execz .LBB379_1051
; %bb.1046:
	s_mov_b32 s46, 0x3bffffff
	v_cmp_lt_u32_e32 vcc, s46, v3
	s_mov_b64 s[46:47], 0
                                        ; implicit-def: $vgpr2
	s_and_saveexec_b64 s[48:49], vcc
	s_xor_b64 s[48:49], exec, s[48:49]
	s_cbranch_execz .LBB379_1153
; %bb.1047:
	v_bfe_u32 v2, v3, 20, 1
	s_mov_b32 s53, 0x487ffff
	v_add3_u32 v2, v3, v2, s53
	s_mov_b64 s[46:47], exec
	v_lshrrev_b32_e32 v2, 20, v2
                                        ; implicit-def: $vgpr3
	s_andn2_saveexec_b64 s[48:49], s[48:49]
	s_cbranch_execnz .LBB379_1154
.LBB379_1048:
	s_or_b64 exec, exec, s[48:49]
	v_mov_b32_e32 v4, 0
	s_and_saveexec_b64 s[48:49], s[46:47]
.LBB379_1049:
	v_mov_b32_e32 v4, v2
.LBB379_1050:
	s_or_b64 exec, exec, s[48:49]
.LBB379_1051:
	s_or_b64 exec, exec, s[44:45]
	global_store_byte v[0:1], v4, off
.LBB379_1052:
	s_mov_b64 s[44:45], -1
.LBB379_1053:
	s_mov_b64 s[46:47], 0
.LBB379_1054:
	s_and_b64 vcc, exec, s[46:47]
	s_cbranch_vccz .LBB379_1095
; %bb.1055:
	s_cmp_gt_i32 s52, 22
	s_mov_b64 s[46:47], -1
	s_cbranch_scc0 .LBB379_1087
; %bb.1056:
	s_cmp_lt_i32 s52, 24
	s_mov_b64 s[44:45], -1
	s_cbranch_scc1 .LBB379_1076
; %bb.1057:
	s_cmp_gt_i32 s52, 24
	s_cbranch_scc0 .LBB379_1065
; %bb.1058:
	v_cndmask_b32_e64 v3, 0, 1.0, s[42:43]
	s_mov_b32 s44, 0x47800000
	v_cmp_gt_u32_e32 vcc, s44, v3
	v_mov_b32_e32 v4, 0x80
	s_and_saveexec_b64 s[44:45], vcc
	s_cbranch_execz .LBB379_1064
; %bb.1059:
	s_mov_b32 s46, 0x37ffffff
	v_cmp_lt_u32_e32 vcc, s46, v3
	s_mov_b64 s[46:47], 0
                                        ; implicit-def: $vgpr2
	s_and_saveexec_b64 s[48:49], vcc
	s_xor_b64 s[48:49], exec, s[48:49]
	s_cbranch_execz .LBB379_2147
; %bb.1060:
	v_bfe_u32 v2, v3, 21, 1
	s_mov_b32 s53, 0x88fffff
	v_add3_u32 v2, v3, v2, s53
	s_mov_b64 s[46:47], exec
	v_lshrrev_b32_e32 v2, 21, v2
                                        ; implicit-def: $vgpr3
	s_andn2_saveexec_b64 s[48:49], s[48:49]
	s_cbranch_execnz .LBB379_2148
.LBB379_1061:
	s_or_b64 exec, exec, s[48:49]
	v_mov_b32_e32 v4, 0
	s_and_saveexec_b64 s[48:49], s[46:47]
.LBB379_1062:
	v_mov_b32_e32 v4, v2
.LBB379_1063:
	s_or_b64 exec, exec, s[48:49]
.LBB379_1064:
	s_or_b64 exec, exec, s[44:45]
	s_mov_b64 s[44:45], 0
	global_store_byte v[0:1], v4, off
.LBB379_1065:
	s_and_b64 vcc, exec, s[44:45]
	s_cbranch_vccz .LBB379_1075
; %bb.1066:
	v_cndmask_b32_e64 v2, 0, 1.0, s[42:43]
	s_mov_b32 s44, 0x43f00000
	v_cmp_gt_u32_e32 vcc, s44, v2
                                        ; implicit-def: $vgpr3
	s_and_saveexec_b64 s[44:45], vcc
	s_xor_b64 s[44:45], exec, s[44:45]
	s_cbranch_execz .LBB379_1072
; %bb.1067:
	s_mov_b32 s46, 0x3c7fffff
	v_cmp_lt_u32_e32 vcc, s46, v2
                                        ; implicit-def: $vgpr3
	s_and_saveexec_b64 s[46:47], vcc
	s_xor_b64 s[46:47], exec, s[46:47]
; %bb.1068:
	v_bfe_u32 v3, v2, 20, 1
	s_mov_b32 s48, 0x407ffff
	v_add3_u32 v2, v2, v3, s48
	v_lshrrev_b32_e32 v3, 20, v2
	v_and_b32_e32 v2, 0xff00000, v2
	s_mov_b32 s48, 0x7f00000
	v_mov_b32_e32 v4, 0x7e
	v_cmp_ne_u32_e32 vcc, s48, v2
	v_cndmask_b32_e32 v3, v4, v3, vcc
                                        ; implicit-def: $vgpr2
; %bb.1069:
	s_andn2_saveexec_b64 s[46:47], s[46:47]
; %bb.1070:
	v_add_f32_e32 v3, 0x46800000, v2
; %bb.1071:
	s_or_b64 exec, exec, s[46:47]
                                        ; implicit-def: $vgpr2
.LBB379_1072:
	s_andn2_saveexec_b64 s[44:45], s[44:45]
; %bb.1073:
	s_mov_b32 s46, 0x7f800000
	v_mov_b32_e32 v3, 0x7e
	v_mov_b32_e32 v4, 0x7f
	v_cmp_lt_u32_e32 vcc, s46, v2
	v_cndmask_b32_e32 v3, v3, v4, vcc
; %bb.1074:
	s_or_b64 exec, exec, s[44:45]
	global_store_byte v[0:1], v3, off
.LBB379_1075:
	s_mov_b64 s[44:45], 0
.LBB379_1076:
	s_andn2_b64 vcc, exec, s[44:45]
	s_cbranch_vccnz .LBB379_1086
; %bb.1077:
	v_cndmask_b32_e64 v2, 0, 1.0, s[42:43]
	s_mov_b32 s44, 0x47800000
	v_cmp_gt_u32_e32 vcc, s44, v2
                                        ; implicit-def: $vgpr3
	s_and_saveexec_b64 s[44:45], vcc
	s_xor_b64 s[44:45], exec, s[44:45]
	s_cbranch_execz .LBB379_1083
; %bb.1078:
	s_mov_b32 s46, 0x387fffff
	v_cmp_lt_u32_e32 vcc, s46, v2
                                        ; implicit-def: $vgpr3
	s_and_saveexec_b64 s[46:47], vcc
	s_xor_b64 s[46:47], exec, s[46:47]
; %bb.1079:
	v_bfe_u32 v3, v2, 21, 1
	s_mov_b32 s48, 0x80fffff
	v_add3_u32 v2, v2, v3, s48
	v_lshrrev_b32_e32 v3, 21, v2
                                        ; implicit-def: $vgpr2
; %bb.1080:
	s_andn2_saveexec_b64 s[46:47], s[46:47]
; %bb.1081:
	v_add_f32_e32 v3, 0x43000000, v2
; %bb.1082:
	s_or_b64 exec, exec, s[46:47]
                                        ; implicit-def: $vgpr2
.LBB379_1083:
	s_andn2_saveexec_b64 s[44:45], s[44:45]
; %bb.1084:
	s_mov_b32 s46, 0x7f800000
	v_mov_b32_e32 v3, 0x7c
	v_mov_b32_e32 v4, 0x7f
	v_cmp_lt_u32_e32 vcc, s46, v2
	v_cndmask_b32_e32 v3, v3, v4, vcc
; %bb.1085:
	s_or_b64 exec, exec, s[44:45]
	global_store_byte v[0:1], v3, off
.LBB379_1086:
	s_mov_b64 s[46:47], 0
	s_mov_b64 s[44:45], -1
.LBB379_1087:
	s_andn2_b64 vcc, exec, s[46:47]
	s_cbranch_vccnz .LBB379_1095
; %bb.1088:
	s_cmp_gt_i32 s52, 14
	s_mov_b64 s[46:47], -1
	s_cbranch_scc0 .LBB379_1092
; %bb.1089:
	s_cmp_eq_u32 s52, 15
	s_mov_b64 s[0:1], -1
	s_cbranch_scc0 .LBB379_1091
; %bb.1090:
	v_cndmask_b32_e64 v2, 0, 1.0, s[42:43]
	v_bfe_u32 v3, v2, 16, 1
	s_movk_i32 s0, 0x7fff
	v_add3_u32 v2, v2, v3, s0
	global_store_short_d16_hi v[0:1], v2, off
	s_mov_b64 s[44:45], -1
	s_mov_b64 s[0:1], 0
.LBB379_1091:
	s_mov_b64 s[46:47], 0
.LBB379_1092:
	s_and_b64 vcc, exec, s[46:47]
	s_cbranch_vccz .LBB379_1095
; %bb.1093:
	s_cmp_eq_u32 s52, 11
	s_mov_b64 s[0:1], -1
	s_cbranch_scc0 .LBB379_1095
; %bb.1094:
	v_cndmask_b32_e64 v2, 0, 1, s[42:43]
	s_mov_b64 s[44:45], -1
	s_mov_b64 s[0:1], 0
	global_store_byte v[0:1], v2, off
.LBB379_1095:
	s_mov_b64 s[46:47], 0
.LBB379_1096:
	s_and_b64 vcc, exec, s[46:47]
	s_cbranch_vccz .LBB379_1135
; %bb.1097:
	s_and_b32 s46, 0xffff, s51
	s_cmp_lt_i32 s46, 5
	s_mov_b64 s[44:45], -1
	s_cbranch_scc1 .LBB379_1118
; %bb.1098:
	s_cmp_lt_i32 s46, 8
	s_cbranch_scc1 .LBB379_1108
; %bb.1099:
	s_cmp_lt_i32 s46, 9
	s_cbranch_scc1 .LBB379_1105
; %bb.1100:
	s_cmp_gt_i32 s46, 9
	s_cbranch_scc0 .LBB379_1102
; %bb.1101:
	v_cndmask_b32_e64 v2, 0, 1, s[42:43]
	v_cvt_f64_u32_e32 v[2:3], v2
	v_mov_b32_e32 v4, 0
	v_mov_b32_e32 v5, v4
	s_mov_b64 s[44:45], 0
	global_store_dwordx4 v[0:1], v[2:5], off
.LBB379_1102:
	s_andn2_b64 vcc, exec, s[44:45]
	s_cbranch_vccnz .LBB379_1104
; %bb.1103:
	v_cndmask_b32_e64 v2, 0, 1.0, s[42:43]
	v_mov_b32_e32 v3, 0
	global_store_dwordx2 v[0:1], v[2:3], off
.LBB379_1104:
	s_mov_b64 s[44:45], 0
.LBB379_1105:
	s_andn2_b64 vcc, exec, s[44:45]
	s_cbranch_vccnz .LBB379_1107
; %bb.1106:
	v_cndmask_b32_e64 v2, 0, 1.0, s[42:43]
	v_cvt_f16_f32_e32 v2, v2
	global_store_dword v[0:1], v2, off
.LBB379_1107:
	s_mov_b64 s[44:45], 0
.LBB379_1108:
	s_andn2_b64 vcc, exec, s[44:45]
	s_cbranch_vccnz .LBB379_1117
; %bb.1109:
	s_cmp_lt_i32 s46, 6
	s_mov_b64 s[44:45], -1
	s_cbranch_scc1 .LBB379_1115
; %bb.1110:
	s_cmp_gt_i32 s46, 6
	s_cbranch_scc0 .LBB379_1112
; %bb.1111:
	v_cndmask_b32_e64 v2, 0, 1, s[42:43]
	v_cvt_f64_u32_e32 v[2:3], v2
	s_mov_b64 s[44:45], 0
	global_store_dwordx2 v[0:1], v[2:3], off
.LBB379_1112:
	s_andn2_b64 vcc, exec, s[44:45]
	s_cbranch_vccnz .LBB379_1114
; %bb.1113:
	v_cndmask_b32_e64 v2, 0, 1.0, s[42:43]
	global_store_dword v[0:1], v2, off
.LBB379_1114:
	s_mov_b64 s[44:45], 0
.LBB379_1115:
	s_andn2_b64 vcc, exec, s[44:45]
	s_cbranch_vccnz .LBB379_1117
; %bb.1116:
	v_cndmask_b32_e64 v2, 0, 1.0, s[42:43]
	v_cvt_f16_f32_e32 v2, v2
	global_store_short v[0:1], v2, off
.LBB379_1117:
	s_mov_b64 s[44:45], 0
.LBB379_1118:
	s_andn2_b64 vcc, exec, s[44:45]
	s_cbranch_vccnz .LBB379_1134
; %bb.1119:
	s_cmp_lt_i32 s46, 2
	s_mov_b64 s[44:45], -1
	s_cbranch_scc1 .LBB379_1129
; %bb.1120:
	s_cmp_lt_i32 s46, 3
	s_cbranch_scc1 .LBB379_1126
; %bb.1121:
	s_cmp_gt_i32 s46, 3
	s_cbranch_scc0 .LBB379_1123
; %bb.1122:
	s_mov_b32 s44, 0
	v_cndmask_b32_e64 v2, 0, 1, s[42:43]
	v_mov_b32_e32 v3, s44
	s_mov_b64 s[44:45], 0
	global_store_dwordx2 v[0:1], v[2:3], off
.LBB379_1123:
	s_andn2_b64 vcc, exec, s[44:45]
	s_cbranch_vccnz .LBB379_1125
; %bb.1124:
	v_cndmask_b32_e64 v2, 0, 1, s[42:43]
	global_store_dword v[0:1], v2, off
.LBB379_1125:
	s_mov_b64 s[44:45], 0
.LBB379_1126:
	s_andn2_b64 vcc, exec, s[44:45]
	s_cbranch_vccnz .LBB379_1128
; %bb.1127:
	v_cndmask_b32_e64 v2, 0, 1, s[42:43]
	global_store_short v[0:1], v2, off
.LBB379_1128:
	s_mov_b64 s[44:45], 0
.LBB379_1129:
	s_andn2_b64 vcc, exec, s[44:45]
	s_cbranch_vccnz .LBB379_1134
; %bb.1130:
	s_mov_b64 s[44:45], -1
	s_cmp_gt_i32 s46, 0
	v_cndmask_b32_e64 v2, 0, 1, s[42:43]
	s_cbranch_scc0 .LBB379_1132
; %bb.1131:
	s_mov_b64 s[44:45], 0
	global_store_byte v[0:1], v2, off
.LBB379_1132:
	s_andn2_b64 vcc, exec, s[44:45]
	s_cbranch_vccnz .LBB379_1134
; %bb.1133:
	global_store_byte v[0:1], v2, off
.LBB379_1134:
	s_mov_b64 s[44:45], -1
.LBB379_1135:
	s_andn2_b64 vcc, exec, s[44:45]
	s_cbranch_vccnz .LBB379_1148
; %bb.1136:
	v_add_u32_e32 v14, 0x80, v14
	s_mov_b64 s[44:45], -1
.LBB379_1137:
	s_andn2_b64 s[42:43], s[30:31], exec
	s_and_b64 s[0:1], s[0:1], exec
	s_or_b64 s[42:43], s[42:43], s[0:1]
	s_andn2_b64 s[0:1], s[28:29], exec
	s_and_b64 s[40:41], s[40:41], exec
	s_or_b64 s[40:41], s[0:1], s[40:41]
	;; [unrolled: 3-line block ×3, first 2 shown]
	s_orn2_b64 s[48:49], s[44:45], exec
.LBB379_1138:
	s_or_b64 exec, exec, s[36:37]
	s_mov_b64 s[44:45], 0
	s_mov_b64 s[38:39], 0
	;; [unrolled: 1-line block ×3, first 2 shown]
                                        ; implicit-def: $sgpr58
                                        ; implicit-def: $vgpr2_vgpr3
                                        ; implicit-def: $vgpr0
	s_and_saveexec_b64 s[36:37], s[48:49]
	s_cbranch_execz .LBB379_1218
; %bb.1139:
	v_cmp_gt_i32_e32 vcc, s50, v14
	s_mov_b64 s[48:49], 0
	s_mov_b64 s[50:51], s[0:1]
	;; [unrolled: 1-line block ×4, first 2 shown]
                                        ; implicit-def: $sgpr58
                                        ; implicit-def: $vgpr2_vgpr3
                                        ; implicit-def: $vgpr0
	s_and_saveexec_b64 s[38:39], vcc
	s_cbranch_execz .LBB379_1217
; %bb.1140:
	s_waitcnt vmcnt(0)
	v_mul_lo_u32 v0, v14, s13
	v_mov_b32_e32 v1, s11
	s_and_b32 s58, s57, 0xff
	s_cmp_lt_i32 s58, 11
	v_ashrrev_i32_e32 v3, 31, v0
	v_add_co_u32_e32 v2, vcc, s10, v0
	v_addc_co_u32_e32 v3, vcc, v1, v3, vcc
	s_cbranch_scc1 .LBB379_1147
; %bb.1141:
	s_and_b32 s52, 0xffff, s58
	s_cmp_gt_i32 s52, 25
	s_cbranch_scc0 .LBB379_1149
; %bb.1142:
	s_cmp_gt_i32 s52, 28
	s_cbranch_scc0 .LBB379_1150
; %bb.1143:
	;; [unrolled: 3-line block ×4, first 2 shown]
	s_cmp_eq_u32 s52, 46
	s_mov_b64 s[50:51], 0
	s_cbranch_scc0 .LBB379_1155
; %bb.1146:
	global_load_dword v0, v[2:3], off
	s_mov_b64 s[48:49], -1
	s_waitcnt vmcnt(0)
	v_lshlrev_b32_e32 v0, 16, v0
	v_cvt_i32_f32_e32 v0, v0
	s_branch .LBB379_1157
.LBB379_1147:
	s_mov_b64 s[50:51], -1
                                        ; implicit-def: $vgpr0
	s_mov_b64 s[44:45], s[0:1]
	s_branch .LBB379_1216
.LBB379_1148:
	s_mov_b64 s[44:45], 0
	s_branch .LBB379_894
.LBB379_1149:
	s_mov_b64 s[50:51], -1
	s_mov_b64 s[44:45], s[0:1]
                                        ; implicit-def: $vgpr0
	s_branch .LBB379_1184
.LBB379_1150:
	s_mov_b64 s[50:51], -1
	s_mov_b64 s[44:45], s[0:1]
                                        ; implicit-def: $vgpr0
	s_branch .LBB379_1167
.LBB379_1151:
	s_mov_b64 s[50:51], -1
	s_mov_b64 s[44:45], s[0:1]
                                        ; implicit-def: $vgpr0
	s_branch .LBB379_1162
.LBB379_1152:
	s_mov_b64 s[50:51], -1
	s_mov_b64 s[44:45], s[0:1]
	s_branch .LBB379_1156
.LBB379_1153:
	s_andn2_saveexec_b64 s[48:49], s[48:49]
	s_cbranch_execz .LBB379_1048
.LBB379_1154:
	v_add_f32_e32 v2, 0x46000000, v3
	v_and_b32_e32 v2, 0xff, v2
	v_cmp_ne_u32_e32 vcc, 0, v2
	s_andn2_b64 s[46:47], s[46:47], exec
	s_and_b64 s[54:55], vcc, exec
	s_or_b64 s[46:47], s[46:47], s[54:55]
	s_or_b64 exec, exec, s[48:49]
	v_mov_b32_e32 v4, 0
	s_and_saveexec_b64 s[48:49], s[46:47]
	s_cbranch_execnz .LBB379_1049
	s_branch .LBB379_1050
.LBB379_1155:
	s_mov_b64 s[44:45], -1
.LBB379_1156:
                                        ; implicit-def: $vgpr0
.LBB379_1157:
	s_and_b64 vcc, exec, s[50:51]
	s_cbranch_vccz .LBB379_1161
; %bb.1158:
	s_cmp_eq_u32 s52, 44
	s_cbranch_scc0 .LBB379_1160
; %bb.1159:
	global_load_ubyte v0, v[2:3], off
	s_mov_b64 s[44:45], 0
	s_mov_b64 s[48:49], -1
	s_waitcnt vmcnt(0)
	v_lshlrev_b32_e32 v1, 23, v0
	v_cvt_i32_f32_e32 v1, v1
	v_cmp_ne_u32_e32 vcc, 0, v0
	v_cndmask_b32_e32 v0, 0, v1, vcc
	s_branch .LBB379_1161
.LBB379_1160:
	s_mov_b64 s[44:45], -1
                                        ; implicit-def: $vgpr0
.LBB379_1161:
	s_mov_b64 s[50:51], 0
.LBB379_1162:
	s_and_b64 vcc, exec, s[50:51]
	s_cbranch_vccz .LBB379_1166
; %bb.1163:
	s_cmp_eq_u32 s52, 29
	s_cbranch_scc0 .LBB379_1165
; %bb.1164:
	global_load_dwordx2 v[0:1], v[2:3], off
	s_mov_b64 s[44:45], 0
	s_mov_b64 s[48:49], -1
	s_branch .LBB379_1166
.LBB379_1165:
	s_mov_b64 s[44:45], -1
                                        ; implicit-def: $vgpr0
.LBB379_1166:
	s_mov_b64 s[50:51], 0
.LBB379_1167:
	s_and_b64 vcc, exec, s[50:51]
	s_cbranch_vccz .LBB379_1183
; %bb.1168:
	s_cmp_lt_i32 s52, 27
	s_cbranch_scc1 .LBB379_1171
; %bb.1169:
	s_cmp_gt_i32 s52, 27
	s_cbranch_scc0 .LBB379_1172
; %bb.1170:
	global_load_dword v0, v[2:3], off
	s_mov_b64 s[48:49], 0
	s_branch .LBB379_1173
.LBB379_1171:
	s_mov_b64 s[48:49], -1
                                        ; implicit-def: $vgpr0
	s_branch .LBB379_1176
.LBB379_1172:
	s_mov_b64 s[48:49], -1
                                        ; implicit-def: $vgpr0
.LBB379_1173:
	s_andn2_b64 vcc, exec, s[48:49]
	s_cbranch_vccnz .LBB379_1175
; %bb.1174:
	global_load_ushort v0, v[2:3], off
.LBB379_1175:
	s_mov_b64 s[48:49], 0
.LBB379_1176:
	s_andn2_b64 vcc, exec, s[48:49]
	s_cbranch_vccnz .LBB379_1182
; %bb.1177:
	global_load_ubyte v1, v[2:3], off
	s_movk_i32 s48, 0x7f
	s_mov_b64 s[50:51], 0
	s_waitcnt vmcnt(0)
	v_cmp_lt_i16_e32 vcc, s48, v1
	s_and_saveexec_b64 s[48:49], vcc
	s_xor_b64 s[48:49], exec, s[48:49]
	s_cbranch_execz .LBB379_1194
; %bb.1178:
	s_movk_i32 s50, 0x80
	v_cmp_ne_u16_e32 vcc, s50, v1
	s_and_b64 s[50:51], vcc, exec
	s_andn2_saveexec_b64 s[48:49], s[48:49]
	s_cbranch_execnz .LBB379_1195
.LBB379_1179:
	s_or_b64 exec, exec, s[48:49]
	v_mov_b32_e32 v0, 0
	s_and_saveexec_b64 s[48:49], s[50:51]
	s_cbranch_execz .LBB379_1181
.LBB379_1180:
	v_lshlrev_b32_e32 v0, 24, v1
	v_and_b32_e32 v1, 0xffff, v1
	v_and_b32_e32 v4, 7, v1
	v_ffbh_u32_e32 v6, v4
	v_min_u32_e32 v6, 32, v6
	v_subrev_u32_e32 v7, 28, v6
	v_bfe_u32 v5, v1, 3, 4
	v_lshlrev_b32_e32 v1, v7, v1
	v_sub_u32_e32 v6, 29, v6
	v_and_b32_e32 v1, 7, v1
	v_cmp_eq_u32_e32 vcc, 0, v5
	v_cndmask_b32_e32 v5, v5, v6, vcc
	v_cndmask_b32_e32 v1, v4, v1, vcc
	v_mov_b32_e32 v4, 0x3b800000
	v_lshlrev_b32_e32 v1, 20, v1
	v_and_b32_e32 v0, 0x80000000, v0
	v_lshl_add_u32 v4, v5, 23, v4
	v_or3_b32 v0, v0, v4, v1
	v_cvt_i32_f32_e32 v0, v0
.LBB379_1181:
	s_or_b64 exec, exec, s[48:49]
.LBB379_1182:
	s_mov_b64 s[48:49], -1
.LBB379_1183:
	s_mov_b64 s[50:51], 0
.LBB379_1184:
	s_and_b64 vcc, exec, s[50:51]
	s_cbranch_vccz .LBB379_1215
; %bb.1185:
	s_cmp_gt_i32 s52, 22
	s_cbranch_scc0 .LBB379_1193
; %bb.1186:
	s_cmp_lt_i32 s52, 24
	s_cbranch_scc1 .LBB379_1196
; %bb.1187:
	s_cmp_gt_i32 s52, 24
	s_cbranch_scc0 .LBB379_1197
; %bb.1188:
	global_load_ubyte v1, v[2:3], off
	s_movk_i32 s46, 0x7f
	s_mov_b64 s[48:49], 0
	s_waitcnt vmcnt(0)
	v_cmp_lt_i16_e32 vcc, s46, v1
	s_and_saveexec_b64 s[46:47], vcc
	s_xor_b64 s[46:47], exec, s[46:47]
	s_cbranch_execz .LBB379_1209
; %bb.1189:
	s_movk_i32 s48, 0x80
	v_cmp_ne_u16_e32 vcc, s48, v1
	s_and_b64 s[48:49], vcc, exec
	s_andn2_saveexec_b64 s[46:47], s[46:47]
	s_cbranch_execnz .LBB379_1210
.LBB379_1190:
	s_or_b64 exec, exec, s[46:47]
	v_mov_b32_e32 v0, 0
	s_and_saveexec_b64 s[46:47], s[48:49]
	s_cbranch_execz .LBB379_1192
.LBB379_1191:
	v_lshlrev_b32_e32 v0, 24, v1
	v_and_b32_e32 v1, 0xffff, v1
	v_and_b32_e32 v4, 3, v1
	v_ffbh_u32_e32 v6, v4
	v_min_u32_e32 v6, 32, v6
	v_subrev_u32_e32 v7, 29, v6
	v_bfe_u32 v5, v1, 2, 5
	v_lshlrev_b32_e32 v1, v7, v1
	v_sub_u32_e32 v6, 30, v6
	v_and_b32_e32 v1, 3, v1
	v_cmp_eq_u32_e32 vcc, 0, v5
	v_cndmask_b32_e32 v5, v5, v6, vcc
	v_cndmask_b32_e32 v1, v4, v1, vcc
	v_mov_b32_e32 v4, 0x37800000
	v_lshlrev_b32_e32 v1, 21, v1
	v_and_b32_e32 v0, 0x80000000, v0
	v_lshl_add_u32 v4, v5, 23, v4
	v_or3_b32 v0, v0, v4, v1
	v_cvt_i32_f32_e32 v0, v0
.LBB379_1192:
	s_or_b64 exec, exec, s[46:47]
	s_mov_b64 s[46:47], 0
	s_branch .LBB379_1198
.LBB379_1193:
	s_mov_b64 s[46:47], -1
                                        ; implicit-def: $vgpr0
	s_branch .LBB379_1204
.LBB379_1194:
	s_andn2_saveexec_b64 s[48:49], s[48:49]
	s_cbranch_execz .LBB379_1179
.LBB379_1195:
	v_cmp_ne_u16_e32 vcc, 0, v1
	s_andn2_b64 s[50:51], s[50:51], exec
	s_and_b64 s[54:55], vcc, exec
	s_or_b64 s[50:51], s[50:51], s[54:55]
	s_or_b64 exec, exec, s[48:49]
	v_mov_b32_e32 v0, 0
	s_and_saveexec_b64 s[48:49], s[50:51]
	s_cbranch_execnz .LBB379_1180
	s_branch .LBB379_1181
.LBB379_1196:
	s_mov_b64 s[46:47], -1
                                        ; implicit-def: $vgpr0
	s_branch .LBB379_1201
.LBB379_1197:
	s_mov_b64 s[46:47], -1
                                        ; implicit-def: $vgpr0
.LBB379_1198:
	s_and_b64 vcc, exec, s[46:47]
	s_cbranch_vccz .LBB379_1200
; %bb.1199:
	global_load_ubyte v0, v[2:3], off
	s_mov_b32 s46, 0x7f800000
	s_waitcnt vmcnt(0)
	v_lshlrev_b32_e32 v0, 24, v0
	v_and_b32_e32 v1, 0x7f000000, v0
	v_ffbh_u32_e32 v4, v1
	v_min_u32_e32 v4, 32, v4
	v_sub_u32_e64 v4, v4, 4 clamp
	v_lshlrev_b32_e32 v6, v4, v1
	v_lshlrev_b32_e32 v4, 23, v4
	v_lshrrev_b32_e32 v6, 4, v6
	v_add_u32_e32 v5, 0x1000000, v1
	v_sub_u32_e32 v4, v6, v4
	v_ashrrev_i32_e32 v5, 8, v5
	v_add_u32_e32 v4, 0x3c000000, v4
	v_and_or_b32 v4, v5, s46, v4
	v_cmp_ne_u32_e32 vcc, 0, v1
	v_cndmask_b32_e32 v1, 0, v4, vcc
	s_brev_b32 s46, 1
	v_and_or_b32 v0, v0, s46, v1
	v_cvt_i32_f32_e32 v0, v0
.LBB379_1200:
	s_mov_b64 s[46:47], 0
.LBB379_1201:
	s_andn2_b64 vcc, exec, s[46:47]
	s_cbranch_vccnz .LBB379_1203
; %bb.1202:
	global_load_ubyte v0, v[2:3], off
	s_movk_i32 s46, 0x7f00
	s_brev_b32 s47, 16
	s_waitcnt vmcnt(0)
	v_lshlrev_b16_e32 v1, 8, v0
	v_lshlrev_b32_e32 v0, 25, v0
	v_lshrrev_b32_e32 v4, 4, v0
	v_and_or_b32 v5, v1, s46, 0.5
	v_or_b32_e32 v4, 0x70000000, v4
	v_add_f32_e32 v5, -0.5, v5
	v_mul_f32_e32 v4, 0x7800000, v4
	v_cmp_gt_u32_e32 vcc, s47, v0
	v_bfe_i32 v1, v1, 0, 16
	v_cndmask_b32_e32 v0, v4, v5, vcc
	s_brev_b32 s46, 1
	v_and_or_b32 v0, v1, s46, v0
	v_cvt_i32_f32_e32 v0, v0
.LBB379_1203:
	s_mov_b64 s[46:47], 0
	s_mov_b64 s[48:49], -1
.LBB379_1204:
	s_andn2_b64 vcc, exec, s[46:47]
	s_mov_b64 s[46:47], 0
	s_cbranch_vccnz .LBB379_1215
; %bb.1205:
	s_cmp_gt_i32 s52, 14
	s_cbranch_scc0 .LBB379_1208
; %bb.1206:
	s_cmp_eq_u32 s52, 15
	s_cbranch_scc0 .LBB379_1211
; %bb.1207:
	global_load_ushort v0, v[2:3], off
	s_mov_b64 s[44:45], 0
	s_mov_b64 s[48:49], -1
	s_waitcnt vmcnt(0)
	v_lshlrev_b32_e32 v0, 16, v0
	v_cvt_i32_f32_e32 v0, v0
	s_branch .LBB379_1212
.LBB379_1208:
	s_mov_b64 s[50:51], -1
                                        ; implicit-def: $vgpr0
	s_branch .LBB379_1213
.LBB379_1209:
	s_andn2_saveexec_b64 s[46:47], s[46:47]
	s_cbranch_execz .LBB379_1190
.LBB379_1210:
	v_cmp_ne_u16_e32 vcc, 0, v1
	s_andn2_b64 s[48:49], s[48:49], exec
	s_and_b64 s[50:51], vcc, exec
	s_or_b64 s[48:49], s[48:49], s[50:51]
	s_or_b64 exec, exec, s[46:47]
	v_mov_b32_e32 v0, 0
	s_and_saveexec_b64 s[46:47], s[48:49]
	s_cbranch_execnz .LBB379_1191
	s_branch .LBB379_1192
.LBB379_1211:
	s_mov_b64 s[44:45], -1
                                        ; implicit-def: $vgpr0
.LBB379_1212:
	s_mov_b64 s[50:51], 0
.LBB379_1213:
	s_and_b64 vcc, exec, s[50:51]
	s_cbranch_vccz .LBB379_1215
; %bb.1214:
	s_cmp_lg_u32 s52, 11
	s_cselect_b64 s[50:51], -1, 0
	s_andn2_b64 s[44:45], s[44:45], exec
	s_and_b64 s[50:51], s[50:51], exec
	s_mov_b64 s[46:47], -1
	s_or_b64 s[44:45], s[44:45], s[50:51]
.LBB379_1215:
	s_mov_b64 s[50:51], 0
.LBB379_1216:
	s_and_b64 s[54:55], s[48:49], exec
	s_and_b64 s[48:49], s[46:47], exec
	s_andn2_b64 s[46:47], s[0:1], exec
	s_and_b64 s[44:45], s[44:45], exec
	s_and_b64 s[52:53], s[50:51], exec
	s_or_b64 s[50:51], s[46:47], s[44:45]
.LBB379_1217:
	s_or_b64 exec, exec, s[38:39]
	s_and_b64 s[44:45], s[48:49], exec
	s_andn2_b64 s[0:1], s[0:1], exec
	s_and_b64 s[48:49], s[50:51], exec
	s_and_b64 s[46:47], s[54:55], exec
	;; [unrolled: 1-line block ×3, first 2 shown]
	s_or_b64 s[0:1], s[0:1], s[48:49]
.LBB379_1218:
	s_or_b64 exec, exec, s[36:37]
	s_andn2_b64 s[30:31], s[30:31], exec
	s_and_b64 s[36:37], s[42:43], exec
	s_or_b64 s[30:31], s[30:31], s[36:37]
	s_andn2_b64 s[28:29], s[28:29], exec
	s_and_b64 s[36:37], s[40:41], exec
	s_andn2_b64 s[26:27], s[26:27], exec
	s_and_b64 s[0:1], s[0:1], exec
	s_or_b64 s[28:29], s[28:29], s[36:37]
	s_and_b64 s[40:41], s[46:47], exec
	s_and_b64 s[38:39], s[38:39], exec
	;; [unrolled: 1-line block ×3, first 2 shown]
	s_or_b64 s[26:27], s[26:27], s[0:1]
.LBB379_1219:
	s_or_b64 exec, exec, s[34:35]
	s_andn2_b64 s[0:1], s[18:19], exec
	s_and_b64 s[18:19], s[30:31], exec
	s_or_b64 s[18:19], s[0:1], s[18:19]
	s_andn2_b64 s[0:1], s[20:21], exec
	s_and_b64 s[20:21], s[28:29], exec
	s_or_b64 s[20:21], s[0:1], s[20:21]
	s_andn2_b64 s[0:1], s[22:23], exec
	s_and_b64 s[22:23], s[26:27], exec
	s_and_b64 s[30:31], s[40:41], exec
	;; [unrolled: 1-line block ×4, first 2 shown]
	s_or_b64 s[22:23], s[0:1], s[22:23]
	s_or_b64 exec, exec, s[24:25]
	s_mov_b64 s[24:25], 0
	s_and_saveexec_b64 s[0:1], s[22:23]
	s_cbranch_execz .LBB379_385
.LBB379_1220:
	s_mov_b64 s[24:25], exec
	s_andn2_b64 s[28:29], s[28:29], exec
	s_trap 2
	s_or_b64 exec, exec, s[0:1]
	s_and_saveexec_b64 s[0:1], s[28:29]
	s_xor_b64 s[0:1], exec, s[0:1]
	s_cbranch_execnz .LBB379_386
.LBB379_1221:
	s_or_b64 exec, exec, s[0:1]
	s_and_saveexec_b64 s[0:1], s[34:35]
	s_cbranch_execz .LBB379_1267
.LBB379_1222:
	s_sext_i32_i16 s22, s58
	s_cmp_lt_i32 s22, 5
	s_cbranch_scc1 .LBB379_1227
; %bb.1223:
	s_cmp_lt_i32 s22, 8
	s_cbranch_scc1 .LBB379_1228
; %bb.1224:
	;; [unrolled: 3-line block ×3, first 2 shown]
	s_cmp_gt_i32 s22, 9
	s_cbranch_scc0 .LBB379_1230
; %bb.1226:
	s_waitcnt vmcnt(0)
	global_load_dwordx2 v[0:1], v[2:3], off
	s_mov_b64 s[22:23], 0
	s_waitcnt vmcnt(0)
	v_cvt_i32_f64_e32 v0, v[0:1]
	s_branch .LBB379_1231
.LBB379_1227:
                                        ; implicit-def: $vgpr0
	s_branch .LBB379_1248
.LBB379_1228:
                                        ; implicit-def: $vgpr0
	s_branch .LBB379_1237
.LBB379_1229:
	s_mov_b64 s[22:23], -1
                                        ; implicit-def: $vgpr0
	s_branch .LBB379_1234
.LBB379_1230:
	s_mov_b64 s[22:23], -1
                                        ; implicit-def: $vgpr0
.LBB379_1231:
	s_andn2_b64 vcc, exec, s[22:23]
	s_cbranch_vccnz .LBB379_1233
; %bb.1232:
	s_waitcnt vmcnt(0)
	global_load_dword v0, v[2:3], off
	s_waitcnt vmcnt(0)
	v_cvt_i32_f32_e32 v0, v0
.LBB379_1233:
	s_mov_b64 s[22:23], 0
.LBB379_1234:
	s_andn2_b64 vcc, exec, s[22:23]
	s_cbranch_vccnz .LBB379_1236
; %bb.1235:
	s_waitcnt vmcnt(0)
	global_load_dword v0, v[2:3], off
	s_waitcnt vmcnt(0)
	v_cvt_i16_f16_e32 v0, v0
.LBB379_1236:
	s_cbranch_execnz .LBB379_1247
.LBB379_1237:
	s_sext_i32_i16 s22, s58
	s_cmp_lt_i32 s22, 6
	s_cbranch_scc1 .LBB379_1240
; %bb.1238:
	s_cmp_gt_i32 s22, 6
	s_cbranch_scc0 .LBB379_1241
; %bb.1239:
	s_waitcnt vmcnt(0)
	global_load_dwordx2 v[0:1], v[2:3], off
	s_mov_b64 s[22:23], 0
	s_waitcnt vmcnt(0)
	v_cvt_i32_f64_e32 v0, v[0:1]
	s_branch .LBB379_1242
.LBB379_1240:
	s_mov_b64 s[22:23], -1
                                        ; implicit-def: $vgpr0
	s_branch .LBB379_1245
.LBB379_1241:
	s_mov_b64 s[22:23], -1
                                        ; implicit-def: $vgpr0
.LBB379_1242:
	s_andn2_b64 vcc, exec, s[22:23]
	s_cbranch_vccnz .LBB379_1244
; %bb.1243:
	s_waitcnt vmcnt(0)
	global_load_dword v0, v[2:3], off
	s_waitcnt vmcnt(0)
	v_cvt_i32_f32_e32 v0, v0
.LBB379_1244:
	s_mov_b64 s[22:23], 0
.LBB379_1245:
	s_andn2_b64 vcc, exec, s[22:23]
	s_cbranch_vccnz .LBB379_1247
; %bb.1246:
	s_waitcnt vmcnt(0)
	global_load_ushort v0, v[2:3], off
	s_waitcnt vmcnt(0)
	v_cvt_i16_f16_e32 v0, v0
.LBB379_1247:
	s_cbranch_execnz .LBB379_1266
.LBB379_1248:
	s_sext_i32_i16 s22, s58
	s_cmp_lt_i32 s22, 2
	s_cbranch_scc1 .LBB379_1252
; %bb.1249:
	s_cmp_lt_i32 s22, 3
	s_cbranch_scc1 .LBB379_1253
; %bb.1250:
	s_cmp_gt_i32 s22, 3
	s_cbranch_scc0 .LBB379_1254
; %bb.1251:
	s_waitcnt vmcnt(0)
	global_load_dwordx2 v[0:1], v[2:3], off
	s_mov_b64 s[22:23], 0
	s_branch .LBB379_1255
.LBB379_1252:
                                        ; implicit-def: $vgpr0
	s_branch .LBB379_1261
.LBB379_1253:
	s_mov_b64 s[22:23], -1
                                        ; implicit-def: $vgpr0
	s_branch .LBB379_1258
.LBB379_1254:
	s_mov_b64 s[22:23], -1
                                        ; implicit-def: $vgpr0
.LBB379_1255:
	s_andn2_b64 vcc, exec, s[22:23]
	s_cbranch_vccnz .LBB379_1257
; %bb.1256:
	s_waitcnt vmcnt(0)
	global_load_dword v0, v[2:3], off
.LBB379_1257:
	s_mov_b64 s[22:23], 0
.LBB379_1258:
	s_andn2_b64 vcc, exec, s[22:23]
	s_cbranch_vccnz .LBB379_1260
; %bb.1259:
	s_waitcnt vmcnt(0)
	global_load_ushort v0, v[2:3], off
.LBB379_1260:
	s_cbranch_execnz .LBB379_1266
.LBB379_1261:
	s_sext_i32_i16 s22, s58
	s_cmp_gt_i32 s22, 0
	s_cbranch_scc0 .LBB379_1263
; %bb.1262:
	s_waitcnt vmcnt(0)
	global_load_ubyte v0, v[2:3], off
	s_mov_b64 s[22:23], 0
	s_branch .LBB379_1264
.LBB379_1263:
	s_mov_b64 s[22:23], -1
                                        ; implicit-def: $vgpr0
.LBB379_1264:
	s_andn2_b64 vcc, exec, s[22:23]
	s_cbranch_vccnz .LBB379_1266
; %bb.1265:
	s_waitcnt vmcnt(0)
	global_load_ubyte v0, v[2:3], off
.LBB379_1266:
	s_or_b64 s[30:31], s[30:31], exec
.LBB379_1267:
	s_or_b64 exec, exec, s[0:1]
	s_mov_b64 s[28:29], 0
	s_mov_b64 s[34:35], 0
	;; [unrolled: 1-line block ×3, first 2 shown]
                                        ; implicit-def: $sgpr36
                                        ; implicit-def: $vgpr1_vgpr2
                                        ; implicit-def: $vgpr3
	s_and_saveexec_b64 s[0:1], s[30:31]
	s_cbranch_execz .LBB379_1275
; %bb.1268:
	s_waitcnt vmcnt(0)
	v_mul_lo_u32 v1, v14, s14
	v_mov_b32_e32 v2, s3
	s_and_b32 s36, s56, 0xff
	s_cmp_lt_i32 s36, 11
	v_ashrrev_i32_e32 v3, 31, v1
	v_add_co_u32_e32 v1, vcc, s2, v1
	v_addc_co_u32_e32 v2, vcc, v2, v3, vcc
	s_cbranch_scc1 .LBB379_1278
; %bb.1269:
	s_and_b32 s34, 0xffff, s36
	s_cmp_gt_i32 s34, 25
	s_cbranch_scc0 .LBB379_1279
; %bb.1270:
	s_cmp_gt_i32 s34, 28
	s_cbranch_scc0 .LBB379_1280
; %bb.1271:
	s_cmp_gt_i32 s34, 43
	s_cbranch_scc0 .LBB379_1281
; %bb.1272:
	s_cmp_gt_i32 s34, 45
	s_cbranch_scc0 .LBB379_1282
; %bb.1273:
	s_cmp_eq_u32 s34, 46
	s_mov_b64 s[30:31], 0
	s_cbranch_scc0 .LBB379_1283
; %bb.1274:
	global_load_dword v3, v[1:2], off
	s_mov_b64 s[22:23], 0
	s_mov_b64 s[26:27], -1
	s_waitcnt vmcnt(0)
	v_lshlrev_b32_e32 v3, 16, v3
	v_cvt_i32_f32_e32 v3, v3
	s_branch .LBB379_1285
.LBB379_1275:
	s_or_b64 exec, exec, s[0:1]
	s_and_saveexec_b64 s[0:1], s[20:21]
	s_cbranch_execnz .LBB379_1344
.LBB379_1276:
	s_or_b64 exec, exec, s[0:1]
	s_and_saveexec_b64 s[0:1], s[28:29]
	s_xor_b64 s[0:1], exec, s[0:1]
	s_cbranch_execz .LBB379_1345
.LBB379_1277:
	s_waitcnt vmcnt(0)
	global_load_ubyte v3, v[1:2], off
	s_or_b64 s[26:27], s[26:27], exec
	s_waitcnt vmcnt(0)
	v_cmp_ne_u16_e32 vcc, 0, v3
	v_cndmask_b32_e64 v3, 0, 1, vcc
	s_or_b64 exec, exec, s[0:1]
	s_and_saveexec_b64 s[0:1], s[34:35]
	s_cbranch_execz .LBB379_1391
	s_branch .LBB379_1346
.LBB379_1278:
	s_mov_b64 s[30:31], -1
                                        ; implicit-def: $vgpr3
	s_mov_b64 s[22:23], s[20:21]
	s_branch .LBB379_1343
.LBB379_1279:
	s_mov_b64 s[22:23], s[20:21]
                                        ; implicit-def: $vgpr3
	s_cbranch_execnz .LBB379_1312
	s_branch .LBB379_1342
.LBB379_1280:
	s_mov_b64 s[30:31], -1
	s_mov_b64 s[22:23], s[20:21]
                                        ; implicit-def: $vgpr3
	s_branch .LBB379_1295
.LBB379_1281:
	s_mov_b64 s[30:31], -1
	s_mov_b64 s[22:23], s[20:21]
                                        ; implicit-def: $vgpr3
	s_branch .LBB379_1290
.LBB379_1282:
	s_mov_b64 s[30:31], -1
	s_mov_b64 s[22:23], s[20:21]
	s_branch .LBB379_1284
.LBB379_1283:
	s_mov_b64 s[22:23], -1
.LBB379_1284:
                                        ; implicit-def: $vgpr3
.LBB379_1285:
	s_and_b64 vcc, exec, s[30:31]
	s_cbranch_vccz .LBB379_1289
; %bb.1286:
	s_cmp_eq_u32 s34, 44
	s_cbranch_scc0 .LBB379_1288
; %bb.1287:
	global_load_ubyte v3, v[1:2], off
	s_mov_b64 s[22:23], 0
	s_mov_b64 s[26:27], -1
	s_waitcnt vmcnt(0)
	v_lshlrev_b32_e32 v4, 23, v3
	v_cvt_i32_f32_e32 v4, v4
	v_cmp_ne_u32_e32 vcc, 0, v3
	v_cndmask_b32_e32 v3, 0, v4, vcc
	s_branch .LBB379_1289
.LBB379_1288:
	s_mov_b64 s[22:23], -1
                                        ; implicit-def: $vgpr3
.LBB379_1289:
	s_mov_b64 s[30:31], 0
.LBB379_1290:
	s_and_b64 vcc, exec, s[30:31]
	s_cbranch_vccz .LBB379_1294
; %bb.1291:
	s_cmp_eq_u32 s34, 29
	s_cbranch_scc0 .LBB379_1293
; %bb.1292:
	global_load_dwordx2 v[3:4], v[1:2], off
	s_mov_b64 s[22:23], 0
	s_mov_b64 s[26:27], -1
	s_branch .LBB379_1294
.LBB379_1293:
	s_mov_b64 s[22:23], -1
                                        ; implicit-def: $vgpr3
.LBB379_1294:
	s_mov_b64 s[30:31], 0
.LBB379_1295:
	s_and_b64 vcc, exec, s[30:31]
	s_cbranch_vccz .LBB379_1311
; %bb.1296:
	s_cmp_lt_i32 s34, 27
	s_cbranch_scc1 .LBB379_1299
; %bb.1297:
	s_cmp_gt_i32 s34, 27
	s_cbranch_scc0 .LBB379_1300
; %bb.1298:
	global_load_dword v3, v[1:2], off
	s_mov_b64 s[26:27], 0
	s_branch .LBB379_1301
.LBB379_1299:
	s_mov_b64 s[26:27], -1
                                        ; implicit-def: $vgpr3
	s_branch .LBB379_1304
.LBB379_1300:
	s_mov_b64 s[26:27], -1
                                        ; implicit-def: $vgpr3
.LBB379_1301:
	s_andn2_b64 vcc, exec, s[26:27]
	s_cbranch_vccnz .LBB379_1303
; %bb.1302:
	global_load_ushort v3, v[1:2], off
.LBB379_1303:
	s_mov_b64 s[26:27], 0
.LBB379_1304:
	s_andn2_b64 vcc, exec, s[26:27]
	s_cbranch_vccnz .LBB379_1310
; %bb.1305:
	global_load_ubyte v4, v[1:2], off
	s_movk_i32 s26, 0x7f
	s_mov_b64 s[30:31], 0
	s_waitcnt vmcnt(0)
	v_cmp_lt_i16_e32 vcc, s26, v4
	s_and_saveexec_b64 s[26:27], vcc
	s_xor_b64 s[26:27], exec, s[26:27]
	s_cbranch_execz .LBB379_1321
; %bb.1306:
	s_movk_i32 s30, 0x80
	v_cmp_ne_u16_e32 vcc, s30, v4
	s_and_b64 s[30:31], vcc, exec
	s_andn2_saveexec_b64 s[26:27], s[26:27]
	s_cbranch_execnz .LBB379_1322
.LBB379_1307:
	s_or_b64 exec, exec, s[26:27]
	v_mov_b32_e32 v3, 0
	s_and_saveexec_b64 s[26:27], s[30:31]
	s_cbranch_execz .LBB379_1309
.LBB379_1308:
	v_lshlrev_b32_e32 v3, 24, v4
	v_and_b32_e32 v4, 0xffff, v4
	v_and_b32_e32 v5, 7, v4
	v_ffbh_u32_e32 v7, v5
	v_min_u32_e32 v7, 32, v7
	v_subrev_u32_e32 v8, 28, v7
	v_bfe_u32 v6, v4, 3, 4
	v_lshlrev_b32_e32 v4, v8, v4
	v_sub_u32_e32 v7, 29, v7
	v_and_b32_e32 v4, 7, v4
	v_cmp_eq_u32_e32 vcc, 0, v6
	v_cndmask_b32_e32 v6, v6, v7, vcc
	v_cndmask_b32_e32 v4, v5, v4, vcc
	v_mov_b32_e32 v5, 0x3b800000
	v_lshlrev_b32_e32 v4, 20, v4
	v_and_b32_e32 v3, 0x80000000, v3
	v_lshl_add_u32 v5, v6, 23, v5
	v_or3_b32 v3, v3, v5, v4
	v_cvt_i32_f32_e32 v3, v3
.LBB379_1309:
	s_or_b64 exec, exec, s[26:27]
.LBB379_1310:
	s_mov_b64 s[26:27], -1
.LBB379_1311:
	s_branch .LBB379_1342
.LBB379_1312:
	s_cmp_gt_i32 s34, 22
	s_cbranch_scc0 .LBB379_1320
; %bb.1313:
	s_cmp_lt_i32 s34, 24
	s_cbranch_scc1 .LBB379_1323
; %bb.1314:
	s_cmp_gt_i32 s34, 24
	s_cbranch_scc0 .LBB379_1324
; %bb.1315:
	global_load_ubyte v4, v[1:2], off
	s_movk_i32 s26, 0x7f
	s_waitcnt vmcnt(0)
	v_cmp_lt_i16_e32 vcc, s26, v4
	s_and_saveexec_b64 s[26:27], vcc
	s_xor_b64 s[26:27], exec, s[26:27]
	s_cbranch_execz .LBB379_1336
; %bb.1316:
	s_movk_i32 s28, 0x80
	v_cmp_ne_u16_e32 vcc, s28, v4
	s_and_b64 s[28:29], vcc, exec
	s_andn2_saveexec_b64 s[26:27], s[26:27]
	s_cbranch_execnz .LBB379_1337
.LBB379_1317:
	s_or_b64 exec, exec, s[26:27]
	v_mov_b32_e32 v3, 0
	s_and_saveexec_b64 s[26:27], s[28:29]
	s_cbranch_execz .LBB379_1319
.LBB379_1318:
	v_lshlrev_b32_e32 v3, 24, v4
	v_and_b32_e32 v4, 0xffff, v4
	v_and_b32_e32 v5, 3, v4
	v_ffbh_u32_e32 v7, v5
	v_min_u32_e32 v7, 32, v7
	v_subrev_u32_e32 v8, 29, v7
	v_bfe_u32 v6, v4, 2, 5
	v_lshlrev_b32_e32 v4, v8, v4
	v_sub_u32_e32 v7, 30, v7
	v_and_b32_e32 v4, 3, v4
	v_cmp_eq_u32_e32 vcc, 0, v6
	v_cndmask_b32_e32 v6, v6, v7, vcc
	v_cndmask_b32_e32 v4, v5, v4, vcc
	v_mov_b32_e32 v5, 0x37800000
	v_lshlrev_b32_e32 v4, 21, v4
	v_and_b32_e32 v3, 0x80000000, v3
	v_lshl_add_u32 v5, v6, 23, v5
	v_or3_b32 v3, v3, v5, v4
	v_cvt_i32_f32_e32 v3, v3
.LBB379_1319:
	s_or_b64 exec, exec, s[26:27]
	s_mov_b64 s[26:27], 0
	s_branch .LBB379_1325
.LBB379_1320:
	s_mov_b64 s[28:29], -1
                                        ; implicit-def: $vgpr3
	s_branch .LBB379_1331
.LBB379_1321:
	s_andn2_saveexec_b64 s[26:27], s[26:27]
	s_cbranch_execz .LBB379_1307
.LBB379_1322:
	v_cmp_ne_u16_e32 vcc, 0, v4
	s_andn2_b64 s[30:31], s[30:31], exec
	s_and_b64 s[38:39], vcc, exec
	s_or_b64 s[30:31], s[30:31], s[38:39]
	s_or_b64 exec, exec, s[26:27]
	v_mov_b32_e32 v3, 0
	s_and_saveexec_b64 s[26:27], s[30:31]
	s_cbranch_execnz .LBB379_1308
	s_branch .LBB379_1309
.LBB379_1323:
	s_mov_b64 s[26:27], -1
                                        ; implicit-def: $vgpr3
	s_branch .LBB379_1328
.LBB379_1324:
	s_mov_b64 s[26:27], -1
                                        ; implicit-def: $vgpr3
.LBB379_1325:
	s_and_b64 vcc, exec, s[26:27]
	s_cbranch_vccz .LBB379_1327
; %bb.1326:
	global_load_ubyte v3, v[1:2], off
	s_mov_b32 s26, 0x7f800000
	s_waitcnt vmcnt(0)
	v_lshlrev_b32_e32 v3, 24, v3
	v_and_b32_e32 v4, 0x7f000000, v3
	v_ffbh_u32_e32 v5, v4
	v_min_u32_e32 v5, 32, v5
	v_sub_u32_e64 v5, v5, 4 clamp
	v_lshlrev_b32_e32 v7, v5, v4
	v_lshlrev_b32_e32 v5, 23, v5
	v_lshrrev_b32_e32 v7, 4, v7
	v_add_u32_e32 v6, 0x1000000, v4
	v_sub_u32_e32 v5, v7, v5
	v_ashrrev_i32_e32 v6, 8, v6
	v_add_u32_e32 v5, 0x3c000000, v5
	v_and_or_b32 v5, v6, s26, v5
	v_cmp_ne_u32_e32 vcc, 0, v4
	v_cndmask_b32_e32 v4, 0, v5, vcc
	s_brev_b32 s26, 1
	v_and_or_b32 v3, v3, s26, v4
	v_cvt_i32_f32_e32 v3, v3
.LBB379_1327:
	s_mov_b64 s[26:27], 0
.LBB379_1328:
	s_andn2_b64 vcc, exec, s[26:27]
	s_cbranch_vccnz .LBB379_1330
; %bb.1329:
	global_load_ubyte v3, v[1:2], off
	s_movk_i32 s26, 0x7f00
	s_brev_b32 s27, 16
	s_waitcnt vmcnt(0)
	v_lshlrev_b16_e32 v4, 8, v3
	v_lshlrev_b32_e32 v3, 25, v3
	v_lshrrev_b32_e32 v5, 4, v3
	v_and_or_b32 v6, v4, s26, 0.5
	v_or_b32_e32 v5, 0x70000000, v5
	v_add_f32_e32 v6, -0.5, v6
	v_mul_f32_e32 v5, 0x7800000, v5
	v_cmp_gt_u32_e32 vcc, s27, v3
	v_bfe_i32 v4, v4, 0, 16
	v_cndmask_b32_e32 v3, v5, v6, vcc
	s_brev_b32 s26, 1
	v_and_or_b32 v3, v4, s26, v3
	v_cvt_i32_f32_e32 v3, v3
.LBB379_1330:
	s_mov_b64 s[28:29], 0
	s_mov_b64 s[26:27], -1
.LBB379_1331:
	s_andn2_b64 vcc, exec, s[28:29]
	s_mov_b64 s[28:29], 0
	s_cbranch_vccnz .LBB379_1342
; %bb.1332:
	s_cmp_gt_i32 s34, 14
	s_cbranch_scc0 .LBB379_1335
; %bb.1333:
	s_cmp_eq_u32 s34, 15
	s_cbranch_scc0 .LBB379_1338
; %bb.1334:
	global_load_ushort v3, v[1:2], off
	s_mov_b64 s[22:23], 0
	s_mov_b64 s[26:27], -1
	s_waitcnt vmcnt(0)
	v_lshlrev_b32_e32 v3, 16, v3
	v_cvt_i32_f32_e32 v3, v3
	s_branch .LBB379_1339
.LBB379_1335:
	s_mov_b64 s[30:31], -1
                                        ; implicit-def: $vgpr3
	s_branch .LBB379_1340
.LBB379_1336:
	s_andn2_saveexec_b64 s[26:27], s[26:27]
	s_cbranch_execz .LBB379_1317
.LBB379_1337:
	v_cmp_ne_u16_e32 vcc, 0, v4
	s_andn2_b64 s[28:29], s[28:29], exec
	s_and_b64 s[30:31], vcc, exec
	s_or_b64 s[28:29], s[28:29], s[30:31]
	s_or_b64 exec, exec, s[26:27]
	v_mov_b32_e32 v3, 0
	s_and_saveexec_b64 s[26:27], s[28:29]
	s_cbranch_execnz .LBB379_1318
	s_branch .LBB379_1319
.LBB379_1338:
	s_mov_b64 s[22:23], -1
                                        ; implicit-def: $vgpr3
.LBB379_1339:
	s_mov_b64 s[30:31], 0
.LBB379_1340:
	s_and_b64 vcc, exec, s[30:31]
	s_cbranch_vccz .LBB379_1342
; %bb.1341:
	s_cmp_lg_u32 s34, 11
	s_cselect_b64 s[30:31], -1, 0
	s_andn2_b64 s[22:23], s[22:23], exec
	s_and_b64 s[30:31], s[30:31], exec
	s_mov_b64 s[28:29], -1
	s_or_b64 s[22:23], s[22:23], s[30:31]
.LBB379_1342:
	s_mov_b64 s[30:31], 0
.LBB379_1343:
	s_andn2_b64 s[20:21], s[20:21], exec
	s_and_b64 s[22:23], s[22:23], exec
	s_and_b64 s[26:27], s[26:27], exec
	;; [unrolled: 1-line block ×4, first 2 shown]
	s_or_b64 s[20:21], s[20:21], s[22:23]
	s_or_b64 exec, exec, s[0:1]
	s_and_saveexec_b64 s[0:1], s[20:21]
	s_cbranch_execz .LBB379_1276
.LBB379_1344:
	s_or_b64 s[24:25], s[24:25], exec
	s_andn2_b64 s[28:29], s[28:29], exec
	s_trap 2
	s_or_b64 exec, exec, s[0:1]
	s_and_saveexec_b64 s[0:1], s[28:29]
	s_xor_b64 s[0:1], exec, s[0:1]
	s_cbranch_execnz .LBB379_1277
.LBB379_1345:
	s_or_b64 exec, exec, s[0:1]
	s_and_saveexec_b64 s[0:1], s[34:35]
	s_cbranch_execz .LBB379_1391
.LBB379_1346:
	s_sext_i32_i16 s20, s36
	s_cmp_lt_i32 s20, 5
	s_cbranch_scc1 .LBB379_1351
; %bb.1347:
	s_cmp_lt_i32 s20, 8
	s_cbranch_scc1 .LBB379_1352
; %bb.1348:
	;; [unrolled: 3-line block ×3, first 2 shown]
	s_cmp_gt_i32 s20, 9
	s_cbranch_scc0 .LBB379_1354
; %bb.1350:
	s_waitcnt vmcnt(0)
	global_load_dwordx2 v[3:4], v[1:2], off
	s_mov_b64 s[20:21], 0
	s_waitcnt vmcnt(0)
	v_cvt_i32_f64_e32 v3, v[3:4]
	s_branch .LBB379_1355
.LBB379_1351:
                                        ; implicit-def: $vgpr3
	s_branch .LBB379_1372
.LBB379_1352:
                                        ; implicit-def: $vgpr3
	s_branch .LBB379_1361
.LBB379_1353:
	s_mov_b64 s[20:21], -1
                                        ; implicit-def: $vgpr3
	s_branch .LBB379_1358
.LBB379_1354:
	s_mov_b64 s[20:21], -1
                                        ; implicit-def: $vgpr3
.LBB379_1355:
	s_andn2_b64 vcc, exec, s[20:21]
	s_cbranch_vccnz .LBB379_1357
; %bb.1356:
	s_waitcnt vmcnt(0)
	global_load_dword v3, v[1:2], off
	s_waitcnt vmcnt(0)
	v_cvt_i32_f32_e32 v3, v3
.LBB379_1357:
	s_mov_b64 s[20:21], 0
.LBB379_1358:
	s_andn2_b64 vcc, exec, s[20:21]
	s_cbranch_vccnz .LBB379_1360
; %bb.1359:
	s_waitcnt vmcnt(0)
	global_load_dword v3, v[1:2], off
	s_waitcnt vmcnt(0)
	v_cvt_i16_f16_e32 v3, v3
.LBB379_1360:
	s_cbranch_execnz .LBB379_1371
.LBB379_1361:
	s_sext_i32_i16 s20, s36
	s_cmp_lt_i32 s20, 6
	s_cbranch_scc1 .LBB379_1364
; %bb.1362:
	s_cmp_gt_i32 s20, 6
	s_cbranch_scc0 .LBB379_1365
; %bb.1363:
	s_waitcnt vmcnt(0)
	global_load_dwordx2 v[3:4], v[1:2], off
	s_mov_b64 s[20:21], 0
	s_waitcnt vmcnt(0)
	v_cvt_i32_f64_e32 v3, v[3:4]
	s_branch .LBB379_1366
.LBB379_1364:
	s_mov_b64 s[20:21], -1
                                        ; implicit-def: $vgpr3
	s_branch .LBB379_1369
.LBB379_1365:
	s_mov_b64 s[20:21], -1
                                        ; implicit-def: $vgpr3
.LBB379_1366:
	s_andn2_b64 vcc, exec, s[20:21]
	s_cbranch_vccnz .LBB379_1368
; %bb.1367:
	s_waitcnt vmcnt(0)
	global_load_dword v3, v[1:2], off
	s_waitcnt vmcnt(0)
	v_cvt_i32_f32_e32 v3, v3
.LBB379_1368:
	s_mov_b64 s[20:21], 0
.LBB379_1369:
	s_andn2_b64 vcc, exec, s[20:21]
	s_cbranch_vccnz .LBB379_1371
; %bb.1370:
	s_waitcnt vmcnt(0)
	global_load_ushort v3, v[1:2], off
	s_waitcnt vmcnt(0)
	v_cvt_i16_f16_e32 v3, v3
.LBB379_1371:
	s_cbranch_execnz .LBB379_1390
.LBB379_1372:
	s_sext_i32_i16 s20, s36
	s_cmp_lt_i32 s20, 2
	s_cbranch_scc1 .LBB379_1376
; %bb.1373:
	s_cmp_lt_i32 s20, 3
	s_cbranch_scc1 .LBB379_1377
; %bb.1374:
	s_cmp_gt_i32 s20, 3
	s_cbranch_scc0 .LBB379_1378
; %bb.1375:
	s_waitcnt vmcnt(0)
	global_load_dwordx2 v[3:4], v[1:2], off
	s_mov_b64 s[20:21], 0
	s_branch .LBB379_1379
.LBB379_1376:
                                        ; implicit-def: $vgpr3
	s_branch .LBB379_1385
.LBB379_1377:
	s_mov_b64 s[20:21], -1
                                        ; implicit-def: $vgpr3
	s_branch .LBB379_1382
.LBB379_1378:
	s_mov_b64 s[20:21], -1
                                        ; implicit-def: $vgpr3
.LBB379_1379:
	s_andn2_b64 vcc, exec, s[20:21]
	s_cbranch_vccnz .LBB379_1381
; %bb.1380:
	s_waitcnt vmcnt(0)
	global_load_dword v3, v[1:2], off
.LBB379_1381:
	s_mov_b64 s[20:21], 0
.LBB379_1382:
	s_andn2_b64 vcc, exec, s[20:21]
	s_cbranch_vccnz .LBB379_1384
; %bb.1383:
	s_waitcnt vmcnt(0)
	global_load_ushort v3, v[1:2], off
.LBB379_1384:
	s_cbranch_execnz .LBB379_1390
.LBB379_1385:
	s_sext_i32_i16 s20, s36
	s_cmp_gt_i32 s20, 0
	s_cbranch_scc0 .LBB379_1387
; %bb.1386:
	s_waitcnt vmcnt(0)
	global_load_ubyte v3, v[1:2], off
	s_mov_b64 s[20:21], 0
	s_branch .LBB379_1388
.LBB379_1387:
	s_mov_b64 s[20:21], -1
                                        ; implicit-def: $vgpr3
.LBB379_1388:
	s_andn2_b64 vcc, exec, s[20:21]
	s_cbranch_vccnz .LBB379_1390
; %bb.1389:
	s_waitcnt vmcnt(0)
	global_load_ubyte v3, v[1:2], off
.LBB379_1390:
	s_or_b64 s[26:27], s[26:27], exec
.LBB379_1391:
	s_or_b64 exec, exec, s[0:1]
	s_mov_b64 s[30:31], 0
	s_mov_b64 s[28:29], 0
                                        ; implicit-def: $sgpr20_sgpr21
                                        ; implicit-def: $sgpr34
                                        ; implicit-def: $vgpr1_vgpr2
	s_and_saveexec_b64 s[22:23], s[26:27]
	s_cbranch_execz .LBB379_1466
; %bb.1392:
	s_waitcnt vmcnt(0)
	v_mul_lo_u32 v1, v14, s12
	v_cmp_ne_u16_sdwa s[0:1], v0, v3 src0_sel:BYTE_0 src1_sel:BYTE_0
	v_mov_b32_e32 v0, s9
	s_xor_b64 s[20:21], s[16:17], s[0:1]
	v_ashrrev_i32_e32 v2, 31, v1
	s_and_b32 s34, s33, 0xff
	v_add_co_u32_e32 v1, vcc, s8, v1
	s_cmp_lt_i32 s34, 11
	v_addc_co_u32_e32 v2, vcc, v0, v2, vcc
	s_cbranch_scc1 .LBB379_1469
; %bb.1393:
	s_and_b32 s35, 0xffff, s34
	s_mov_b64 s[26:27], -1
	s_cmp_gt_i32 s35, 25
	s_mov_b64 s[0:1], s[18:19]
	s_cbranch_scc0 .LBB379_1426
; %bb.1394:
	s_mov_b64 s[16:17], -1
	s_cmp_gt_i32 s35, 28
	s_mov_b64 s[0:1], s[18:19]
	s_cbranch_scc0 .LBB379_1410
; %bb.1395:
	s_cmp_gt_i32 s35, 43
	s_mov_b64 s[0:1], s[18:19]
	s_cbranch_scc0 .LBB379_1406
; %bb.1396:
	;; [unrolled: 4-line block ×3, first 2 shown]
	s_cmp_eq_u32 s35, 46
	s_mov_b64 s[0:1], -1
	s_cbranch_scc0 .LBB379_1399
; %bb.1398:
	v_cndmask_b32_e64 v0, 0, 1.0, s[20:21]
	v_bfe_u32 v3, v0, 16, 1
	s_movk_i32 s0, 0x7fff
	v_add3_u32 v0, v0, v3, s0
	v_lshrrev_b32_e32 v0, 16, v0
	global_store_dword v[1:2], v0, off
	s_mov_b64 s[0:1], 0
.LBB379_1399:
	s_mov_b64 s[16:17], 0
.LBB379_1400:
	s_and_b64 vcc, exec, s[16:17]
	s_cbranch_vccz .LBB379_1405
; %bb.1401:
	s_cmp_eq_u32 s35, 44
	s_mov_b64 s[0:1], -1
	s_cbranch_scc0 .LBB379_1405
; %bb.1402:
	v_cndmask_b32_e64 v3, 0, 1.0, s[20:21]
	v_lshrrev_b32_e32 v0, 23, v3
	s_movk_i32 s0, 0xff
	v_cmp_ne_u32_e32 vcc, s0, v0
	v_mov_b32_e32 v4, 0xff
	s_and_saveexec_b64 s[16:17], vcc
; %bb.1403:
	s_mov_b32 s0, 0x3fffff
	v_and_b32_e32 v4, 0x400000, v3
	v_and_or_b32 v3, v3, s0, v0
	v_cmp_ne_u32_e32 vcc, 0, v4
	v_cmp_ne_u32_e64 s[0:1], 0, v3
	s_and_b64 s[0:1], vcc, s[0:1]
	v_cndmask_b32_e64 v3, 0, 1, s[0:1]
	v_add_u32_e32 v4, v0, v3
; %bb.1404:
	s_or_b64 exec, exec, s[16:17]
	s_mov_b64 s[0:1], 0
	global_store_byte v[1:2], v4, off
.LBB379_1405:
	s_mov_b64 s[16:17], 0
.LBB379_1406:
	s_and_b64 vcc, exec, s[16:17]
	s_cbranch_vccz .LBB379_1409
; %bb.1407:
	s_cmp_eq_u32 s35, 29
	s_mov_b64 s[0:1], -1
	s_cbranch_scc0 .LBB379_1409
; %bb.1408:
	s_mov_b32 s0, 0
	v_cndmask_b32_e64 v3, 0, 1, s[20:21]
	v_mov_b32_e32 v4, s0
	global_store_dwordx2 v[1:2], v[3:4], off
	s_mov_b64 s[0:1], 0
.LBB379_1409:
	s_mov_b64 s[16:17], 0
.LBB379_1410:
	s_and_b64 vcc, exec, s[16:17]
	s_cbranch_vccz .LBB379_1425
; %bb.1411:
	s_cmp_lt_i32 s35, 27
	s_mov_b64 s[16:17], -1
	s_cbranch_scc1 .LBB379_1417
; %bb.1412:
	s_cmp_gt_i32 s35, 27
	v_cndmask_b32_e64 v0, 0, 1, s[20:21]
	s_cbranch_scc0 .LBB379_1414
; %bb.1413:
	s_mov_b64 s[16:17], 0
	global_store_dword v[1:2], v0, off
.LBB379_1414:
	s_andn2_b64 vcc, exec, s[16:17]
	s_cbranch_vccnz .LBB379_1416
; %bb.1415:
	global_store_short v[1:2], v0, off
.LBB379_1416:
	s_mov_b64 s[16:17], 0
.LBB379_1417:
	s_andn2_b64 vcc, exec, s[16:17]
	s_cbranch_vccnz .LBB379_1425
; %bb.1418:
	v_cndmask_b32_e64 v3, 0, 1.0, s[20:21]
	s_mov_b32 s16, 0x43800000
	v_cmp_gt_u32_e32 vcc, s16, v3
	v_mov_b32_e32 v4, 0x80
	s_and_saveexec_b64 s[16:17], vcc
	s_cbranch_execz .LBB379_1424
; %bb.1419:
	s_mov_b32 s26, 0x3bffffff
	v_cmp_lt_u32_e32 vcc, s26, v3
	s_mov_b64 s[26:27], 0
                                        ; implicit-def: $vgpr0
	s_and_saveexec_b64 s[28:29], vcc
	s_xor_b64 s[28:29], exec, s[28:29]
	s_cbranch_execz .LBB379_1526
; %bb.1420:
	v_bfe_u32 v0, v3, 20, 1
	s_mov_b32 s30, 0x487ffff
	v_add3_u32 v0, v3, v0, s30
	s_mov_b64 s[26:27], exec
	v_lshrrev_b32_e32 v0, 20, v0
                                        ; implicit-def: $vgpr3
	s_andn2_saveexec_b64 s[28:29], s[28:29]
	s_cbranch_execnz .LBB379_1527
.LBB379_1421:
	s_or_b64 exec, exec, s[28:29]
	v_mov_b32_e32 v4, 0
	s_and_saveexec_b64 s[28:29], s[26:27]
.LBB379_1422:
	v_mov_b32_e32 v4, v0
.LBB379_1423:
	s_or_b64 exec, exec, s[28:29]
.LBB379_1424:
	s_or_b64 exec, exec, s[16:17]
	global_store_byte v[1:2], v4, off
.LBB379_1425:
	s_mov_b64 s[26:27], 0
.LBB379_1426:
	s_mov_b64 s[16:17], 0
	s_and_b64 vcc, exec, s[26:27]
	s_cbranch_vccz .LBB379_1470
; %bb.1427:
	s_cmp_gt_i32 s35, 22
	s_mov_b64 s[26:27], -1
	s_cbranch_scc0 .LBB379_1459
; %bb.1428:
	s_cmp_lt_i32 s35, 24
	s_cbranch_scc1 .LBB379_1448
; %bb.1429:
	s_cmp_gt_i32 s35, 24
	s_cbranch_scc0 .LBB379_1437
; %bb.1430:
	v_cndmask_b32_e64 v3, 0, 1.0, s[20:21]
	s_mov_b32 s26, 0x47800000
	v_cmp_gt_u32_e32 vcc, s26, v3
	v_mov_b32_e32 v4, 0x80
	s_and_saveexec_b64 s[26:27], vcc
	s_cbranch_execz .LBB379_1436
; %bb.1431:
	s_mov_b32 s28, 0x37ffffff
	v_cmp_lt_u32_e32 vcc, s28, v3
	s_mov_b64 s[28:29], 0
                                        ; implicit-def: $vgpr0
	s_and_saveexec_b64 s[30:31], vcc
	s_xor_b64 s[30:31], exec, s[30:31]
	s_cbranch_execz .LBB379_1646
; %bb.1432:
	v_bfe_u32 v0, v3, 21, 1
	s_mov_b32 s36, 0x88fffff
	v_add3_u32 v0, v3, v0, s36
	s_mov_b64 s[28:29], exec
	v_lshrrev_b32_e32 v0, 21, v0
                                        ; implicit-def: $vgpr3
	s_andn2_saveexec_b64 s[30:31], s[30:31]
	s_cbranch_execnz .LBB379_1647
.LBB379_1433:
	s_or_b64 exec, exec, s[30:31]
	v_mov_b32_e32 v4, 0
	s_and_saveexec_b64 s[30:31], s[28:29]
.LBB379_1434:
	v_mov_b32_e32 v4, v0
.LBB379_1435:
	s_or_b64 exec, exec, s[30:31]
.LBB379_1436:
	s_or_b64 exec, exec, s[26:27]
	s_mov_b64 s[26:27], 0
	global_store_byte v[1:2], v4, off
.LBB379_1437:
	s_and_b64 vcc, exec, s[26:27]
	s_cbranch_vccz .LBB379_1447
; %bb.1438:
	v_cndmask_b32_e64 v0, 0, 1.0, s[20:21]
	s_mov_b32 s26, 0x43f00000
	v_cmp_gt_u32_e32 vcc, s26, v0
                                        ; implicit-def: $vgpr3
	s_and_saveexec_b64 s[26:27], vcc
	s_xor_b64 s[26:27], exec, s[26:27]
	s_cbranch_execz .LBB379_1444
; %bb.1439:
	s_mov_b32 s28, 0x3c7fffff
	v_cmp_lt_u32_e32 vcc, s28, v0
                                        ; implicit-def: $vgpr3
	s_and_saveexec_b64 s[28:29], vcc
	s_xor_b64 s[28:29], exec, s[28:29]
; %bb.1440:
	v_bfe_u32 v3, v0, 20, 1
	s_mov_b32 s30, 0x407ffff
	v_add3_u32 v0, v0, v3, s30
	v_lshrrev_b32_e32 v3, 20, v0
	v_and_b32_e32 v0, 0xff00000, v0
	s_mov_b32 s30, 0x7f00000
	v_mov_b32_e32 v4, 0x7e
	v_cmp_ne_u32_e32 vcc, s30, v0
	v_cndmask_b32_e32 v3, v4, v3, vcc
                                        ; implicit-def: $vgpr0
; %bb.1441:
	s_andn2_saveexec_b64 s[28:29], s[28:29]
; %bb.1442:
	v_add_f32_e32 v3, 0x46800000, v0
; %bb.1443:
	s_or_b64 exec, exec, s[28:29]
                                        ; implicit-def: $vgpr0
.LBB379_1444:
	s_andn2_saveexec_b64 s[26:27], s[26:27]
; %bb.1445:
	s_mov_b32 s28, 0x7f800000
	v_mov_b32_e32 v3, 0x7e
	v_mov_b32_e32 v4, 0x7f
	v_cmp_lt_u32_e32 vcc, s28, v0
	v_cndmask_b32_e32 v3, v3, v4, vcc
; %bb.1446:
	s_or_b64 exec, exec, s[26:27]
	global_store_byte v[1:2], v3, off
.LBB379_1447:
	s_mov_b64 s[26:27], 0
.LBB379_1448:
	s_andn2_b64 vcc, exec, s[26:27]
	s_cbranch_vccnz .LBB379_1458
; %bb.1449:
	v_cndmask_b32_e64 v0, 0, 1.0, s[20:21]
	s_mov_b32 s26, 0x47800000
	v_cmp_gt_u32_e32 vcc, s26, v0
                                        ; implicit-def: $vgpr3
	s_and_saveexec_b64 s[26:27], vcc
	s_xor_b64 s[26:27], exec, s[26:27]
	s_cbranch_execz .LBB379_1455
; %bb.1450:
	s_mov_b32 s28, 0x387fffff
	v_cmp_lt_u32_e32 vcc, s28, v0
                                        ; implicit-def: $vgpr3
	s_and_saveexec_b64 s[28:29], vcc
	s_xor_b64 s[28:29], exec, s[28:29]
; %bb.1451:
	v_bfe_u32 v3, v0, 21, 1
	s_mov_b32 s30, 0x80fffff
	v_add3_u32 v0, v0, v3, s30
	v_lshrrev_b32_e32 v3, 21, v0
                                        ; implicit-def: $vgpr0
; %bb.1452:
	s_andn2_saveexec_b64 s[28:29], s[28:29]
; %bb.1453:
	v_add_f32_e32 v3, 0x43000000, v0
; %bb.1454:
	s_or_b64 exec, exec, s[28:29]
                                        ; implicit-def: $vgpr0
.LBB379_1455:
	s_andn2_saveexec_b64 s[26:27], s[26:27]
; %bb.1456:
	s_mov_b32 s28, 0x7f800000
	v_mov_b32_e32 v3, 0x7c
	v_mov_b32_e32 v4, 0x7f
	v_cmp_lt_u32_e32 vcc, s28, v0
	v_cndmask_b32_e32 v3, v3, v4, vcc
; %bb.1457:
	s_or_b64 exec, exec, s[26:27]
	global_store_byte v[1:2], v3, off
.LBB379_1458:
	s_mov_b64 s[26:27], 0
.LBB379_1459:
	s_andn2_b64 vcc, exec, s[26:27]
	s_mov_b64 s[26:27], 0
	s_cbranch_vccnz .LBB379_1471
; %bb.1460:
	s_cmp_gt_i32 s35, 14
	s_mov_b64 s[28:29], -1
	s_cbranch_scc0 .LBB379_1464
; %bb.1461:
	s_cmp_eq_u32 s35, 15
	s_mov_b64 s[0:1], -1
	s_cbranch_scc0 .LBB379_1463
; %bb.1462:
	v_cndmask_b32_e64 v0, 0, 1.0, s[20:21]
	v_bfe_u32 v3, v0, 16, 1
	s_movk_i32 s0, 0x7fff
	v_add3_u32 v0, v0, v3, s0
	global_store_short_d16_hi v[1:2], v0, off
	s_mov_b64 s[0:1], 0
.LBB379_1463:
	s_mov_b64 s[28:29], 0
.LBB379_1464:
	s_and_b64 vcc, exec, s[28:29]
	s_cbranch_vccz .LBB379_1471
; %bb.1465:
	s_cmp_lg_u32 s35, 11
	s_cselect_b64 s[28:29], -1, 0
	s_andn2_b64 s[0:1], s[0:1], exec
	s_and_b64 s[28:29], s[28:29], exec
	s_mov_b64 s[26:27], -1
	s_or_b64 s[0:1], s[0:1], s[28:29]
	s_branch .LBB379_1471
.LBB379_1466:
	s_or_b64 exec, exec, s[22:23]
	s_and_saveexec_b64 s[0:1], s[18:19]
	s_cbranch_execnz .LBB379_1472
.LBB379_1467:
	s_or_b64 exec, exec, s[0:1]
	s_and_saveexec_b64 s[0:1], s[30:31]
	s_xor_b64 s[0:1], exec, s[0:1]
	s_cbranch_execz .LBB379_1473
.LBB379_1468:
	s_waitcnt vmcnt(0)
	v_cndmask_b32_e64 v0, 0, 1, s[20:21]
	global_store_byte v[1:2], v0, off
	s_or_b64 exec, exec, s[0:1]
	s_and_saveexec_b64 s[0:1], s[28:29]
	s_xor_b64 s[0:1], exec, s[0:1]
	s_cbranch_execz .LBB379_1511
	s_branch .LBB379_1474
.LBB379_1469:
	s_mov_b64 s[26:27], 0
	s_mov_b64 s[16:17], -1
	s_mov_b64 s[0:1], s[18:19]
	s_branch .LBB379_1471
.LBB379_1470:
	s_mov_b64 s[26:27], 0
.LBB379_1471:
	s_and_b64 s[28:29], s[16:17], exec
	s_andn2_b64 s[16:17], s[18:19], exec
	s_and_b64 s[0:1], s[0:1], exec
	s_and_b64 s[30:31], s[26:27], exec
	s_or_b64 s[18:19], s[16:17], s[0:1]
	s_or_b64 exec, exec, s[22:23]
	s_and_saveexec_b64 s[0:1], s[18:19]
	s_cbranch_execz .LBB379_1467
.LBB379_1472:
	s_or_b64 s[24:25], s[24:25], exec
	s_andn2_b64 s[30:31], s[30:31], exec
	s_trap 2
	s_or_b64 exec, exec, s[0:1]
	s_and_saveexec_b64 s[0:1], s[30:31]
	s_xor_b64 s[0:1], exec, s[0:1]
	s_cbranch_execnz .LBB379_1468
.LBB379_1473:
	s_or_b64 exec, exec, s[0:1]
	s_and_saveexec_b64 s[0:1], s[28:29]
	s_xor_b64 s[0:1], exec, s[0:1]
	s_cbranch_execz .LBB379_1511
.LBB379_1474:
	s_sext_i32_i16 s18, s34
	s_cmp_lt_i32 s18, 5
	s_mov_b64 s[16:17], -1
	s_cbranch_scc1 .LBB379_1495
; %bb.1475:
	s_cmp_lt_i32 s18, 8
	s_cbranch_scc1 .LBB379_1485
; %bb.1476:
	s_cmp_lt_i32 s18, 9
	s_cbranch_scc1 .LBB379_1482
; %bb.1477:
	s_cmp_gt_i32 s18, 9
	s_cbranch_scc0 .LBB379_1479
; %bb.1478:
	s_waitcnt vmcnt(0)
	v_cndmask_b32_e64 v0, 0, 1, s[20:21]
	v_cvt_f64_u32_e32 v[3:4], v0
	v_mov_b32_e32 v5, 0
	v_mov_b32_e32 v6, v5
	s_mov_b64 s[16:17], 0
	global_store_dwordx4 v[1:2], v[3:6], off
.LBB379_1479:
	s_andn2_b64 vcc, exec, s[16:17]
	s_cbranch_vccnz .LBB379_1481
; %bb.1480:
	s_waitcnt vmcnt(0)
	v_cndmask_b32_e64 v3, 0, 1.0, s[20:21]
	v_mov_b32_e32 v4, 0
	global_store_dwordx2 v[1:2], v[3:4], off
.LBB379_1481:
	s_mov_b64 s[16:17], 0
.LBB379_1482:
	s_andn2_b64 vcc, exec, s[16:17]
	s_cbranch_vccnz .LBB379_1484
; %bb.1483:
	s_waitcnt vmcnt(0)
	v_cndmask_b32_e64 v0, 0, 1.0, s[20:21]
	v_cvt_f16_f32_e32 v0, v0
	global_store_dword v[1:2], v0, off
.LBB379_1484:
	s_mov_b64 s[16:17], 0
.LBB379_1485:
	s_andn2_b64 vcc, exec, s[16:17]
	s_cbranch_vccnz .LBB379_1494
; %bb.1486:
	s_sext_i32_i16 s18, s34
	s_cmp_lt_i32 s18, 6
	s_mov_b64 s[16:17], -1
	s_cbranch_scc1 .LBB379_1492
; %bb.1487:
	s_cmp_gt_i32 s18, 6
	s_cbranch_scc0 .LBB379_1489
; %bb.1488:
	s_waitcnt vmcnt(0)
	v_cndmask_b32_e64 v0, 0, 1, s[20:21]
	v_cvt_f64_u32_e32 v[3:4], v0
	s_mov_b64 s[16:17], 0
	global_store_dwordx2 v[1:2], v[3:4], off
.LBB379_1489:
	s_andn2_b64 vcc, exec, s[16:17]
	s_cbranch_vccnz .LBB379_1491
; %bb.1490:
	s_waitcnt vmcnt(0)
	v_cndmask_b32_e64 v0, 0, 1.0, s[20:21]
	global_store_dword v[1:2], v0, off
.LBB379_1491:
	s_mov_b64 s[16:17], 0
.LBB379_1492:
	s_andn2_b64 vcc, exec, s[16:17]
	s_cbranch_vccnz .LBB379_1494
; %bb.1493:
	s_waitcnt vmcnt(0)
	v_cndmask_b32_e64 v0, 0, 1.0, s[20:21]
	v_cvt_f16_f32_e32 v0, v0
	global_store_short v[1:2], v0, off
.LBB379_1494:
	s_mov_b64 s[16:17], 0
.LBB379_1495:
	s_andn2_b64 vcc, exec, s[16:17]
	s_cbranch_vccnz .LBB379_1511
; %bb.1496:
	s_sext_i32_i16 s18, s34
	s_cmp_lt_i32 s18, 2
	s_mov_b64 s[16:17], -1
	s_cbranch_scc1 .LBB379_1506
; %bb.1497:
	s_cmp_lt_i32 s18, 3
	s_cbranch_scc1 .LBB379_1503
; %bb.1498:
	s_cmp_gt_i32 s18, 3
	s_cbranch_scc0 .LBB379_1500
; %bb.1499:
	s_mov_b32 s16, 0
	s_waitcnt vmcnt(0)
	v_cndmask_b32_e64 v3, 0, 1, s[20:21]
	v_mov_b32_e32 v4, s16
	s_mov_b64 s[16:17], 0
	global_store_dwordx2 v[1:2], v[3:4], off
.LBB379_1500:
	s_andn2_b64 vcc, exec, s[16:17]
	s_cbranch_vccnz .LBB379_1502
; %bb.1501:
	s_waitcnt vmcnt(0)
	v_cndmask_b32_e64 v0, 0, 1, s[20:21]
	global_store_dword v[1:2], v0, off
.LBB379_1502:
	s_mov_b64 s[16:17], 0
.LBB379_1503:
	s_andn2_b64 vcc, exec, s[16:17]
	s_cbranch_vccnz .LBB379_1505
; %bb.1504:
	s_waitcnt vmcnt(0)
	v_cndmask_b32_e64 v0, 0, 1, s[20:21]
	global_store_short v[1:2], v0, off
.LBB379_1505:
	s_mov_b64 s[16:17], 0
.LBB379_1506:
	s_andn2_b64 vcc, exec, s[16:17]
	s_cbranch_vccnz .LBB379_1511
; %bb.1507:
	s_sext_i32_i16 s18, s34
	s_mov_b64 s[16:17], -1
	s_cmp_gt_i32 s18, 0
	s_waitcnt vmcnt(0)
	v_cndmask_b32_e64 v0, 0, 1, s[20:21]
	s_cbranch_scc0 .LBB379_1509
; %bb.1508:
	s_mov_b64 s[16:17], 0
	global_store_byte v[1:2], v0, off
.LBB379_1509:
	s_andn2_b64 vcc, exec, s[16:17]
	s_cbranch_vccnz .LBB379_1511
; %bb.1510:
	global_store_byte v[1:2], v0, off
.LBB379_1511:
	s_or_b64 exec, exec, s[0:1]
	s_and_b64 s[16:17], s[24:25], exec
                                        ; implicit-def: $vgpr14
.LBB379_1512:
	s_or_saveexec_b64 s[6:7], s[6:7]
	s_mov_b64 s[0:1], 0
                                        ; implicit-def: $sgpr20_sgpr21
                                        ; implicit-def: $sgpr24
                                        ; implicit-def: $vgpr0_vgpr1
	s_xor_b64 exec, exec, s[6:7]
	s_cbranch_execz .LBB379_2949
; %bb.1513:
	v_mul_lo_u32 v5, s13, v14
	s_waitcnt vmcnt(0)
	v_mov_b32_e32 v0, s11
	s_and_b32 s24, s57, 0xff
	s_cmp_lt_i32 s24, 11
	v_ashrrev_i32_e32 v1, 31, v5
	v_add_co_u32_e32 v2, vcc, s10, v5
	v_addc_co_u32_e32 v3, vcc, v0, v1, vcc
	s_cbranch_scc1 .LBB379_1520
; %bb.1514:
	s_and_b32 s22, 0xffff, s24
	s_cmp_gt_i32 s22, 25
	s_cbranch_scc0 .LBB379_1522
; %bb.1515:
	s_cmp_gt_i32 s22, 28
	s_cbranch_scc0 .LBB379_1523
; %bb.1516:
	;; [unrolled: 3-line block ×4, first 2 shown]
	s_cmp_eq_u32 s22, 46
	s_mov_b64 s[18:19], 0
	s_cbranch_scc0 .LBB379_1528
; %bb.1519:
	global_load_dword v0, v[2:3], off
	s_mov_b64 s[20:21], -1
	s_waitcnt vmcnt(0)
	v_lshlrev_b32_e32 v0, 16, v0
	v_cvt_i32_f32_e32 v0, v0
	s_branch .LBB379_1529
.LBB379_1520:
	s_mov_b64 s[20:21], 0
                                        ; implicit-def: $vgpr0
	s_mov_b64 s[18:19], s[16:17]
	s_cbranch_execnz .LBB379_1587
.LBB379_1521:
	s_andn2_b64 vcc, exec, s[20:21]
	s_cbranch_vccz .LBB379_1632
	s_branch .LBB379_2947
.LBB379_1522:
	s_mov_b64 s[20:21], 0
                                        ; implicit-def: $vgpr0
	s_cbranch_execnz .LBB379_1554
	s_branch .LBB379_1583
.LBB379_1523:
	s_mov_b64 s[20:21], 0
                                        ; implicit-def: $vgpr0
	s_cbranch_execz .LBB379_1553
	s_branch .LBB379_1538
.LBB379_1524:
	s_mov_b64 s[20:21], 0
                                        ; implicit-def: $vgpr0
	s_cbranch_execnz .LBB379_1534
	s_branch .LBB379_1537
.LBB379_1525:
	s_mov_b64 s[18:19], -1
	s_mov_b64 s[20:21], 0
                                        ; implicit-def: $vgpr0
	s_branch .LBB379_1529
.LBB379_1526:
	s_andn2_saveexec_b64 s[28:29], s[28:29]
	s_cbranch_execz .LBB379_1421
.LBB379_1527:
	v_add_f32_e32 v0, 0x46000000, v3
	v_and_b32_e32 v0, 0xff, v0
	v_cmp_ne_u32_e32 vcc, 0, v0
	s_andn2_b64 s[26:27], s[26:27], exec
	s_and_b64 s[30:31], vcc, exec
	s_or_b64 s[26:27], s[26:27], s[30:31]
	s_or_b64 exec, exec, s[28:29]
	v_mov_b32_e32 v4, 0
	s_and_saveexec_b64 s[28:29], s[26:27]
	s_cbranch_execnz .LBB379_1422
	s_branch .LBB379_1423
.LBB379_1528:
	s_mov_b64 s[0:1], -1
                                        ; implicit-def: $vgpr0
	s_mov_b64 s[20:21], 0
.LBB379_1529:
	s_and_b64 vcc, exec, s[18:19]
	s_cbranch_vccz .LBB379_1532
; %bb.1530:
	s_cmp_eq_u32 s22, 44
	s_cbranch_scc0 .LBB379_1533
; %bb.1531:
	global_load_ubyte v0, v[2:3], off
	s_mov_b64 s[0:1], 0
	s_mov_b64 s[20:21], -1
	s_waitcnt vmcnt(0)
	v_lshlrev_b32_e32 v1, 23, v0
	v_cvt_i32_f32_e32 v1, v1
	v_cmp_ne_u32_e32 vcc, 0, v0
	v_cndmask_b32_e32 v0, 0, v1, vcc
.LBB379_1532:
	s_branch .LBB379_1537
.LBB379_1533:
	s_mov_b64 s[0:1], -1
                                        ; implicit-def: $vgpr0
	s_branch .LBB379_1537
.LBB379_1534:
	s_cmp_eq_u32 s22, 29
	s_cbranch_scc0 .LBB379_1536
; %bb.1535:
	global_load_dwordx2 v[0:1], v[2:3], off
	s_mov_b64 s[0:1], 0
	s_mov_b64 s[20:21], -1
	s_branch .LBB379_1537
.LBB379_1536:
	s_mov_b64 s[0:1], -1
                                        ; implicit-def: $vgpr0
.LBB379_1537:
	s_branch .LBB379_1553
.LBB379_1538:
	s_cmp_lt_i32 s22, 27
	s_cbranch_scc1 .LBB379_1541
; %bb.1539:
	s_cmp_gt_i32 s22, 27
	s_cbranch_scc0 .LBB379_1542
; %bb.1540:
	global_load_dword v0, v[2:3], off
	s_mov_b64 s[18:19], 0
	s_branch .LBB379_1543
.LBB379_1541:
	s_mov_b64 s[18:19], -1
                                        ; implicit-def: $vgpr0
	s_branch .LBB379_1546
.LBB379_1542:
	s_mov_b64 s[18:19], -1
                                        ; implicit-def: $vgpr0
.LBB379_1543:
	s_andn2_b64 vcc, exec, s[18:19]
	s_cbranch_vccnz .LBB379_1545
; %bb.1544:
	global_load_ushort v0, v[2:3], off
.LBB379_1545:
	s_mov_b64 s[18:19], 0
.LBB379_1546:
	s_andn2_b64 vcc, exec, s[18:19]
	s_cbranch_vccnz .LBB379_1552
; %bb.1547:
	global_load_ubyte v1, v[2:3], off
	s_movk_i32 s18, 0x7f
	s_mov_b64 s[20:21], 0
	s_waitcnt vmcnt(0)
	v_cmp_lt_i16_e32 vcc, s18, v1
	s_and_saveexec_b64 s[18:19], vcc
	s_xor_b64 s[18:19], exec, s[18:19]
	s_cbranch_execz .LBB379_1563
; %bb.1548:
	s_movk_i32 s20, 0x80
	v_cmp_ne_u16_e32 vcc, s20, v1
	s_and_b64 s[20:21], vcc, exec
	s_andn2_saveexec_b64 s[18:19], s[18:19]
	s_cbranch_execnz .LBB379_1564
.LBB379_1549:
	s_or_b64 exec, exec, s[18:19]
	v_mov_b32_e32 v0, 0
	s_and_saveexec_b64 s[18:19], s[20:21]
	s_cbranch_execz .LBB379_1551
.LBB379_1550:
	v_lshlrev_b32_e32 v0, 24, v1
	v_and_b32_e32 v1, 0xffff, v1
	v_and_b32_e32 v4, 7, v1
	v_ffbh_u32_e32 v7, v4
	v_min_u32_e32 v7, 32, v7
	v_subrev_u32_e32 v8, 28, v7
	v_bfe_u32 v6, v1, 3, 4
	v_lshlrev_b32_e32 v1, v8, v1
	v_sub_u32_e32 v7, 29, v7
	v_and_b32_e32 v1, 7, v1
	v_cmp_eq_u32_e32 vcc, 0, v6
	v_cndmask_b32_e32 v6, v6, v7, vcc
	v_cndmask_b32_e32 v1, v4, v1, vcc
	v_mov_b32_e32 v4, 0x3b800000
	v_lshlrev_b32_e32 v1, 20, v1
	v_and_b32_e32 v0, 0x80000000, v0
	v_lshl_add_u32 v4, v6, 23, v4
	v_or3_b32 v0, v0, v4, v1
	v_cvt_i32_f32_e32 v0, v0
.LBB379_1551:
	s_or_b64 exec, exec, s[18:19]
.LBB379_1552:
	s_mov_b64 s[20:21], -1
.LBB379_1553:
	s_branch .LBB379_1583
.LBB379_1554:
	s_cmp_gt_i32 s22, 22
	s_cbranch_scc0 .LBB379_1562
; %bb.1555:
	s_cmp_lt_i32 s22, 24
	s_cbranch_scc1 .LBB379_1565
; %bb.1556:
	s_cmp_gt_i32 s22, 24
	s_cbranch_scc0 .LBB379_1566
; %bb.1557:
	global_load_ubyte v1, v[2:3], off
	s_movk_i32 s4, 0x7f
	s_mov_b64 s[18:19], 0
	s_waitcnt vmcnt(0)
	v_cmp_lt_i16_e32 vcc, s4, v1
	s_and_saveexec_b64 s[4:5], vcc
	s_xor_b64 s[4:5], exec, s[4:5]
	s_cbranch_execz .LBB379_1577
; %bb.1558:
	s_movk_i32 s18, 0x80
	v_cmp_ne_u16_e32 vcc, s18, v1
	s_and_b64 s[18:19], vcc, exec
	s_andn2_saveexec_b64 s[4:5], s[4:5]
	s_cbranch_execnz .LBB379_1578
.LBB379_1559:
	s_or_b64 exec, exec, s[4:5]
	v_mov_b32_e32 v0, 0
	s_and_saveexec_b64 s[4:5], s[18:19]
	s_cbranch_execz .LBB379_1561
.LBB379_1560:
	v_lshlrev_b32_e32 v0, 24, v1
	v_and_b32_e32 v1, 0xffff, v1
	v_and_b32_e32 v4, 3, v1
	v_ffbh_u32_e32 v7, v4
	v_min_u32_e32 v7, 32, v7
	v_subrev_u32_e32 v8, 29, v7
	v_bfe_u32 v6, v1, 2, 5
	v_lshlrev_b32_e32 v1, v8, v1
	v_sub_u32_e32 v7, 30, v7
	v_and_b32_e32 v1, 3, v1
	v_cmp_eq_u32_e32 vcc, 0, v6
	v_cndmask_b32_e32 v6, v6, v7, vcc
	v_cndmask_b32_e32 v1, v4, v1, vcc
	v_mov_b32_e32 v4, 0x37800000
	v_lshlrev_b32_e32 v1, 21, v1
	v_and_b32_e32 v0, 0x80000000, v0
	v_lshl_add_u32 v4, v6, 23, v4
	v_or3_b32 v0, v0, v4, v1
	v_cvt_i32_f32_e32 v0, v0
.LBB379_1561:
	s_or_b64 exec, exec, s[4:5]
	s_mov_b64 s[4:5], 0
	s_branch .LBB379_1567
.LBB379_1562:
                                        ; implicit-def: $vgpr0
	s_mov_b64 s[4:5], 0
	s_branch .LBB379_1573
.LBB379_1563:
	s_andn2_saveexec_b64 s[18:19], s[18:19]
	s_cbranch_execz .LBB379_1549
.LBB379_1564:
	v_cmp_ne_u16_e32 vcc, 0, v1
	s_andn2_b64 s[20:21], s[20:21], exec
	s_and_b64 s[26:27], vcc, exec
	s_or_b64 s[20:21], s[20:21], s[26:27]
	s_or_b64 exec, exec, s[18:19]
	v_mov_b32_e32 v0, 0
	s_and_saveexec_b64 s[18:19], s[20:21]
	s_cbranch_execnz .LBB379_1550
	s_branch .LBB379_1551
.LBB379_1565:
	s_mov_b64 s[4:5], -1
                                        ; implicit-def: $vgpr0
	s_branch .LBB379_1570
.LBB379_1566:
	s_mov_b64 s[4:5], -1
                                        ; implicit-def: $vgpr0
.LBB379_1567:
	s_and_b64 vcc, exec, s[4:5]
	s_cbranch_vccz .LBB379_1569
; %bb.1568:
	global_load_ubyte v0, v[2:3], off
	s_mov_b32 s4, 0x7f800000
	s_waitcnt vmcnt(0)
	v_lshlrev_b32_e32 v0, 24, v0
	v_and_b32_e32 v1, 0x7f000000, v0
	v_ffbh_u32_e32 v4, v1
	v_min_u32_e32 v4, 32, v4
	v_sub_u32_e64 v4, v4, 4 clamp
	v_lshlrev_b32_e32 v7, v4, v1
	v_lshlrev_b32_e32 v4, 23, v4
	v_lshrrev_b32_e32 v7, 4, v7
	v_add_u32_e32 v6, 0x1000000, v1
	v_sub_u32_e32 v4, v7, v4
	v_ashrrev_i32_e32 v6, 8, v6
	v_add_u32_e32 v4, 0x3c000000, v4
	v_and_or_b32 v4, v6, s4, v4
	v_cmp_ne_u32_e32 vcc, 0, v1
	v_cndmask_b32_e32 v1, 0, v4, vcc
	s_brev_b32 s4, 1
	v_and_or_b32 v0, v0, s4, v1
	v_cvt_i32_f32_e32 v0, v0
.LBB379_1569:
	s_mov_b64 s[4:5], 0
.LBB379_1570:
	s_andn2_b64 vcc, exec, s[4:5]
	s_cbranch_vccnz .LBB379_1572
; %bb.1571:
	global_load_ubyte v0, v[2:3], off
	s_movk_i32 s4, 0x7f00
	s_brev_b32 s5, 16
	s_waitcnt vmcnt(0)
	v_lshlrev_b16_e32 v1, 8, v0
	v_lshlrev_b32_e32 v0, 25, v0
	v_lshrrev_b32_e32 v4, 4, v0
	v_and_or_b32 v6, v1, s4, 0.5
	v_or_b32_e32 v4, 0x70000000, v4
	v_add_f32_e32 v6, -0.5, v6
	v_mul_f32_e32 v4, 0x7800000, v4
	v_cmp_gt_u32_e32 vcc, s5, v0
	v_bfe_i32 v1, v1, 0, 16
	v_cndmask_b32_e32 v0, v4, v6, vcc
	s_brev_b32 s4, 1
	v_and_or_b32 v0, v1, s4, v0
	v_cvt_i32_f32_e32 v0, v0
.LBB379_1572:
	s_mov_b64 s[20:21], -1
	s_mov_b64 s[4:5], 0
	s_cbranch_execnz .LBB379_1583
.LBB379_1573:
	s_cmp_gt_i32 s22, 14
	s_cbranch_scc0 .LBB379_1576
; %bb.1574:
	s_cmp_eq_u32 s22, 15
	s_cbranch_scc0 .LBB379_1579
; %bb.1575:
	global_load_ushort v0, v[2:3], off
	s_mov_b64 s[0:1], 0
	s_mov_b64 s[20:21], -1
	s_waitcnt vmcnt(0)
	v_lshlrev_b32_e32 v0, 16, v0
	v_cvt_i32_f32_e32 v0, v0
	s_branch .LBB379_1580
.LBB379_1576:
	s_mov_b64 s[18:19], -1
                                        ; implicit-def: $vgpr0
	s_branch .LBB379_1581
.LBB379_1577:
	s_andn2_saveexec_b64 s[4:5], s[4:5]
	s_cbranch_execz .LBB379_1559
.LBB379_1578:
	v_cmp_ne_u16_e32 vcc, 0, v1
	s_andn2_b64 s[18:19], s[18:19], exec
	s_and_b64 s[20:21], vcc, exec
	s_or_b64 s[18:19], s[18:19], s[20:21]
	s_or_b64 exec, exec, s[4:5]
	v_mov_b32_e32 v0, 0
	s_and_saveexec_b64 s[4:5], s[18:19]
	s_cbranch_execnz .LBB379_1560
	s_branch .LBB379_1561
.LBB379_1579:
	s_mov_b64 s[0:1], -1
                                        ; implicit-def: $vgpr0
.LBB379_1580:
	s_mov_b64 s[18:19], 0
.LBB379_1581:
	s_and_b64 vcc, exec, s[18:19]
	s_cbranch_vccz .LBB379_1583
; %bb.1582:
	s_cmp_lg_u32 s22, 11
	s_mov_b64 s[4:5], -1
	s_cselect_b64 s[0:1], -1, 0
.LBB379_1583:
	s_and_b64 vcc, exec, s[0:1]
	s_mov_b64 s[18:19], s[16:17]
	s_cbranch_vccnz .LBB379_1644
; %bb.1584:
	s_andn2_b64 vcc, exec, s[4:5]
	s_cbranch_vccnz .LBB379_1586
.LBB379_1585:
	global_load_ubyte v0, v[2:3], off
	s_mov_b64 s[20:21], -1
	s_waitcnt vmcnt(0)
	v_cmp_ne_u16_e32 vcc, 0, v0
	v_cndmask_b32_e64 v0, 0, 1, vcc
.LBB379_1586:
	s_branch .LBB379_1521
.LBB379_1587:
	s_and_b32 s4, 0xffff, s24
	s_cmp_lt_i32 s4, 5
	s_cbranch_scc1 .LBB379_1592
; %bb.1588:
	s_cmp_lt_i32 s4, 8
	s_cbranch_scc1 .LBB379_1593
; %bb.1589:
	;; [unrolled: 3-line block ×3, first 2 shown]
	s_cmp_gt_i32 s4, 9
	s_cbranch_scc0 .LBB379_1595
; %bb.1591:
	global_load_dwordx2 v[0:1], v[2:3], off
	s_mov_b64 s[0:1], 0
	s_waitcnt vmcnt(0)
	v_cvt_i32_f64_e32 v0, v[0:1]
	s_branch .LBB379_1596
.LBB379_1592:
                                        ; implicit-def: $vgpr0
	s_branch .LBB379_1613
.LBB379_1593:
                                        ; implicit-def: $vgpr0
	s_branch .LBB379_1602
.LBB379_1594:
	s_mov_b64 s[0:1], -1
                                        ; implicit-def: $vgpr0
	s_branch .LBB379_1599
.LBB379_1595:
	s_mov_b64 s[0:1], -1
                                        ; implicit-def: $vgpr0
.LBB379_1596:
	s_andn2_b64 vcc, exec, s[0:1]
	s_cbranch_vccnz .LBB379_1598
; %bb.1597:
	global_load_dword v0, v[2:3], off
	s_waitcnt vmcnt(0)
	v_cvt_i32_f32_e32 v0, v0
.LBB379_1598:
	s_mov_b64 s[0:1], 0
.LBB379_1599:
	s_andn2_b64 vcc, exec, s[0:1]
	s_cbranch_vccnz .LBB379_1601
; %bb.1600:
	global_load_dword v0, v[2:3], off
	s_waitcnt vmcnt(0)
	v_cvt_i16_f16_e32 v0, v0
.LBB379_1601:
	s_cbranch_execnz .LBB379_1612
.LBB379_1602:
	s_cmp_lt_i32 s4, 6
	s_cbranch_scc1 .LBB379_1605
; %bb.1603:
	s_cmp_gt_i32 s4, 6
	s_cbranch_scc0 .LBB379_1606
; %bb.1604:
	global_load_dwordx2 v[0:1], v[2:3], off
	s_mov_b64 s[0:1], 0
	s_waitcnt vmcnt(0)
	v_cvt_i32_f64_e32 v0, v[0:1]
	s_branch .LBB379_1607
.LBB379_1605:
	s_mov_b64 s[0:1], -1
                                        ; implicit-def: $vgpr0
	s_branch .LBB379_1610
.LBB379_1606:
	s_mov_b64 s[0:1], -1
                                        ; implicit-def: $vgpr0
.LBB379_1607:
	s_andn2_b64 vcc, exec, s[0:1]
	s_cbranch_vccnz .LBB379_1609
; %bb.1608:
	global_load_dword v0, v[2:3], off
	s_waitcnt vmcnt(0)
	v_cvt_i32_f32_e32 v0, v0
.LBB379_1609:
	s_mov_b64 s[0:1], 0
.LBB379_1610:
	s_andn2_b64 vcc, exec, s[0:1]
	s_cbranch_vccnz .LBB379_1612
; %bb.1611:
	global_load_ushort v0, v[2:3], off
	s_waitcnt vmcnt(0)
	v_cvt_i16_f16_e32 v0, v0
.LBB379_1612:
	s_cbranch_execnz .LBB379_1631
.LBB379_1613:
	s_cmp_lt_i32 s4, 2
	s_cbranch_scc1 .LBB379_1617
; %bb.1614:
	s_cmp_lt_i32 s4, 3
	s_cbranch_scc1 .LBB379_1618
; %bb.1615:
	s_cmp_gt_i32 s4, 3
	s_cbranch_scc0 .LBB379_1619
; %bb.1616:
	global_load_dwordx2 v[0:1], v[2:3], off
	s_mov_b64 s[0:1], 0
	s_branch .LBB379_1620
.LBB379_1617:
                                        ; implicit-def: $vgpr0
	s_branch .LBB379_1626
.LBB379_1618:
	s_mov_b64 s[0:1], -1
                                        ; implicit-def: $vgpr0
	s_branch .LBB379_1623
.LBB379_1619:
	s_mov_b64 s[0:1], -1
                                        ; implicit-def: $vgpr0
.LBB379_1620:
	s_andn2_b64 vcc, exec, s[0:1]
	s_cbranch_vccnz .LBB379_1622
; %bb.1621:
	global_load_dword v0, v[2:3], off
.LBB379_1622:
	s_mov_b64 s[0:1], 0
.LBB379_1623:
	s_andn2_b64 vcc, exec, s[0:1]
	s_cbranch_vccnz .LBB379_1625
; %bb.1624:
	global_load_ushort v0, v[2:3], off
.LBB379_1625:
	s_cbranch_execnz .LBB379_1631
.LBB379_1626:
	s_cmp_gt_i32 s4, 0
	s_cbranch_scc0 .LBB379_1628
; %bb.1627:
	global_load_ubyte v0, v[2:3], off
	s_mov_b64 s[0:1], 0
	s_branch .LBB379_1629
.LBB379_1628:
	s_mov_b64 s[0:1], -1
                                        ; implicit-def: $vgpr0
.LBB379_1629:
	s_andn2_b64 vcc, exec, s[0:1]
	s_cbranch_vccnz .LBB379_1631
; %bb.1630:
	global_load_ubyte v0, v[2:3], off
.LBB379_1631:
.LBB379_1632:
	v_mul_lo_u32 v6, s14, v14
	v_mov_b32_e32 v2, s3
	s_and_b32 s25, s56, 0xff
	s_cmp_lt_i32 s25, 11
	v_ashrrev_i32_e32 v3, 31, v6
	s_waitcnt vmcnt(0)
	v_add_co_u32_e32 v1, vcc, s2, v6
	v_addc_co_u32_e32 v2, vcc, v2, v3, vcc
	s_cbranch_scc1 .LBB379_1639
; %bb.1633:
	s_and_b32 s26, 0xffff, s25
	s_cmp_gt_i32 s26, 25
	s_mov_b64 s[4:5], 0
	s_cbranch_scc0 .LBB379_1641
; %bb.1634:
	s_cmp_gt_i32 s26, 28
	s_cbranch_scc0 .LBB379_1642
; %bb.1635:
	s_cmp_gt_i32 s26, 43
	;; [unrolled: 3-line block ×3, first 2 shown]
	s_cbranch_scc0 .LBB379_1645
; %bb.1637:
	s_cmp_eq_u32 s26, 46
	s_mov_b64 s[22:23], 0
	s_cbranch_scc0 .LBB379_1648
; %bb.1638:
	global_load_dword v3, v[1:2], off
	s_mov_b64 s[0:1], 0
	s_mov_b64 s[20:21], -1
	s_waitcnt vmcnt(0)
	v_lshlrev_b32_e32 v3, 16, v3
	v_cvt_i32_f32_e32 v3, v3
	s_branch .LBB379_1649
.LBB379_1639:
	s_mov_b64 s[20:21], 0
                                        ; implicit-def: $vgpr3
	s_cbranch_execnz .LBB379_1710
.LBB379_1640:
	s_andn2_b64 vcc, exec, s[20:21]
	s_cbranch_vccnz .LBB379_2947
	s_branch .LBB379_1757
.LBB379_1641:
	s_mov_b64 s[20:21], 0
	s_mov_b64 s[0:1], 0
                                        ; implicit-def: $vgpr3
	s_cbranch_execnz .LBB379_1676
	s_branch .LBB379_1706
.LBB379_1642:
	s_mov_b64 s[22:23], -1
	s_mov_b64 s[20:21], 0
	s_mov_b64 s[0:1], 0
                                        ; implicit-def: $vgpr3
	s_branch .LBB379_1659
.LBB379_1643:
	s_mov_b64 s[22:23], -1
	s_mov_b64 s[20:21], 0
	s_mov_b64 s[0:1], 0
                                        ; implicit-def: $vgpr3
	s_branch .LBB379_1654
.LBB379_1644:
	s_or_b64 s[18:19], s[16:17], exec
	s_trap 2
	s_cbranch_execz .LBB379_1585
	s_branch .LBB379_1586
.LBB379_1645:
	s_mov_b64 s[22:23], -1
	s_mov_b64 s[20:21], 0
	s_mov_b64 s[0:1], 0
                                        ; implicit-def: $vgpr3
	s_branch .LBB379_1649
.LBB379_1646:
	s_andn2_saveexec_b64 s[30:31], s[30:31]
	s_cbranch_execz .LBB379_1433
.LBB379_1647:
	v_add_f32_e32 v0, 0x42800000, v3
	v_and_b32_e32 v0, 0xff, v0
	v_cmp_ne_u32_e32 vcc, 0, v0
	s_andn2_b64 s[28:29], s[28:29], exec
	s_and_b64 s[36:37], vcc, exec
	s_or_b64 s[28:29], s[28:29], s[36:37]
	s_or_b64 exec, exec, s[30:31]
	v_mov_b32_e32 v4, 0
	s_and_saveexec_b64 s[30:31], s[28:29]
	s_cbranch_execnz .LBB379_1434
	s_branch .LBB379_1435
.LBB379_1648:
	s_mov_b64 s[0:1], -1
                                        ; implicit-def: $vgpr3
	s_mov_b64 s[20:21], 0
.LBB379_1649:
	s_and_b64 vcc, exec, s[22:23]
	s_cbranch_vccz .LBB379_1653
; %bb.1650:
	s_cmp_eq_u32 s26, 44
	s_cbranch_scc0 .LBB379_1652
; %bb.1651:
	global_load_ubyte v3, v[1:2], off
	s_mov_b64 s[0:1], 0
	s_mov_b64 s[20:21], -1
	s_waitcnt vmcnt(0)
	v_lshlrev_b32_e32 v4, 23, v3
	v_cvt_i32_f32_e32 v4, v4
	v_cmp_ne_u32_e32 vcc, 0, v3
	v_cndmask_b32_e32 v3, 0, v4, vcc
	s_branch .LBB379_1653
.LBB379_1652:
	s_mov_b64 s[0:1], -1
                                        ; implicit-def: $vgpr3
.LBB379_1653:
	s_mov_b64 s[22:23], 0
.LBB379_1654:
	s_and_b64 vcc, exec, s[22:23]
	s_cbranch_vccz .LBB379_1658
; %bb.1655:
	s_cmp_eq_u32 s26, 29
	s_cbranch_scc0 .LBB379_1657
; %bb.1656:
	global_load_dwordx2 v[3:4], v[1:2], off
	s_mov_b64 s[0:1], 0
	s_mov_b64 s[20:21], -1
	s_branch .LBB379_1658
.LBB379_1657:
	s_mov_b64 s[0:1], -1
                                        ; implicit-def: $vgpr3
.LBB379_1658:
	s_mov_b64 s[22:23], 0
.LBB379_1659:
	s_and_b64 vcc, exec, s[22:23]
	s_cbranch_vccz .LBB379_1675
; %bb.1660:
	s_cmp_lt_i32 s26, 27
	s_cbranch_scc1 .LBB379_1663
; %bb.1661:
	s_cmp_gt_i32 s26, 27
	s_cbranch_scc0 .LBB379_1664
; %bb.1662:
	global_load_dword v3, v[1:2], off
	s_mov_b64 s[20:21], 0
	s_branch .LBB379_1665
.LBB379_1663:
	s_mov_b64 s[20:21], -1
                                        ; implicit-def: $vgpr3
	s_branch .LBB379_1668
.LBB379_1664:
	s_mov_b64 s[20:21], -1
                                        ; implicit-def: $vgpr3
.LBB379_1665:
	s_andn2_b64 vcc, exec, s[20:21]
	s_cbranch_vccnz .LBB379_1667
; %bb.1666:
	global_load_ushort v3, v[1:2], off
.LBB379_1667:
	s_mov_b64 s[20:21], 0
.LBB379_1668:
	s_andn2_b64 vcc, exec, s[20:21]
	s_cbranch_vccnz .LBB379_1674
; %bb.1669:
	global_load_ubyte v4, v[1:2], off
	s_movk_i32 s20, 0x7f
	s_mov_b64 s[22:23], 0
	s_waitcnt vmcnt(0)
	v_cmp_lt_i16_e32 vcc, s20, v4
	s_and_saveexec_b64 s[20:21], vcc
	s_xor_b64 s[20:21], exec, s[20:21]
	s_cbranch_execz .LBB379_1685
; %bb.1670:
	s_movk_i32 s22, 0x80
	v_cmp_ne_u16_e32 vcc, s22, v4
	s_and_b64 s[22:23], vcc, exec
	s_andn2_saveexec_b64 s[20:21], s[20:21]
	s_cbranch_execnz .LBB379_1686
.LBB379_1671:
	s_or_b64 exec, exec, s[20:21]
	v_mov_b32_e32 v3, 0
	s_and_saveexec_b64 s[20:21], s[22:23]
	s_cbranch_execz .LBB379_1673
.LBB379_1672:
	v_lshlrev_b32_e32 v3, 24, v4
	v_and_b32_e32 v4, 0xffff, v4
	v_and_b32_e32 v7, 7, v4
	v_ffbh_u32_e32 v9, v7
	v_min_u32_e32 v9, 32, v9
	v_subrev_u32_e32 v10, 28, v9
	v_bfe_u32 v8, v4, 3, 4
	v_lshlrev_b32_e32 v4, v10, v4
	v_sub_u32_e32 v9, 29, v9
	v_and_b32_e32 v4, 7, v4
	v_cmp_eq_u32_e32 vcc, 0, v8
	v_cndmask_b32_e32 v8, v8, v9, vcc
	v_cndmask_b32_e32 v4, v7, v4, vcc
	v_mov_b32_e32 v7, 0x3b800000
	v_lshlrev_b32_e32 v4, 20, v4
	v_and_b32_e32 v3, 0x80000000, v3
	v_lshl_add_u32 v7, v8, 23, v7
	v_or3_b32 v3, v3, v7, v4
	v_cvt_i32_f32_e32 v3, v3
.LBB379_1673:
	s_or_b64 exec, exec, s[20:21]
.LBB379_1674:
	s_mov_b64 s[20:21], -1
.LBB379_1675:
	s_branch .LBB379_1706
.LBB379_1676:
	s_cmp_gt_i32 s26, 22
	s_cbranch_scc0 .LBB379_1684
; %bb.1677:
	s_cmp_lt_i32 s26, 24
	s_cbranch_scc1 .LBB379_1687
; %bb.1678:
	s_cmp_gt_i32 s26, 24
	s_cbranch_scc0 .LBB379_1688
; %bb.1679:
	global_load_ubyte v4, v[1:2], off
	s_movk_i32 s4, 0x7f
	s_mov_b64 s[20:21], 0
	s_waitcnt vmcnt(0)
	v_cmp_lt_i16_e32 vcc, s4, v4
	s_and_saveexec_b64 s[4:5], vcc
	s_xor_b64 s[4:5], exec, s[4:5]
	s_cbranch_execz .LBB379_1700
; %bb.1680:
	s_movk_i32 s20, 0x80
	v_cmp_ne_u16_e32 vcc, s20, v4
	s_and_b64 s[20:21], vcc, exec
	s_andn2_saveexec_b64 s[4:5], s[4:5]
	s_cbranch_execnz .LBB379_1701
.LBB379_1681:
	s_or_b64 exec, exec, s[4:5]
	v_mov_b32_e32 v3, 0
	s_and_saveexec_b64 s[4:5], s[20:21]
	s_cbranch_execz .LBB379_1683
.LBB379_1682:
	v_lshlrev_b32_e32 v3, 24, v4
	v_and_b32_e32 v4, 0xffff, v4
	v_and_b32_e32 v7, 3, v4
	v_ffbh_u32_e32 v9, v7
	v_min_u32_e32 v9, 32, v9
	v_subrev_u32_e32 v10, 29, v9
	v_bfe_u32 v8, v4, 2, 5
	v_lshlrev_b32_e32 v4, v10, v4
	v_sub_u32_e32 v9, 30, v9
	v_and_b32_e32 v4, 3, v4
	v_cmp_eq_u32_e32 vcc, 0, v8
	v_cndmask_b32_e32 v8, v8, v9, vcc
	v_cndmask_b32_e32 v4, v7, v4, vcc
	v_mov_b32_e32 v7, 0x37800000
	v_lshlrev_b32_e32 v4, 21, v4
	v_and_b32_e32 v3, 0x80000000, v3
	v_lshl_add_u32 v7, v8, 23, v7
	v_or3_b32 v3, v3, v7, v4
	v_cvt_i32_f32_e32 v3, v3
.LBB379_1683:
	s_or_b64 exec, exec, s[4:5]
	s_mov_b64 s[4:5], 0
	s_branch .LBB379_1689
.LBB379_1684:
	s_mov_b64 s[4:5], -1
                                        ; implicit-def: $vgpr3
	s_branch .LBB379_1695
.LBB379_1685:
	s_andn2_saveexec_b64 s[20:21], s[20:21]
	s_cbranch_execz .LBB379_1671
.LBB379_1686:
	v_cmp_ne_u16_e32 vcc, 0, v4
	s_andn2_b64 s[22:23], s[22:23], exec
	s_and_b64 s[28:29], vcc, exec
	s_or_b64 s[22:23], s[22:23], s[28:29]
	s_or_b64 exec, exec, s[20:21]
	v_mov_b32_e32 v3, 0
	s_and_saveexec_b64 s[20:21], s[22:23]
	s_cbranch_execnz .LBB379_1672
	s_branch .LBB379_1673
.LBB379_1687:
	s_mov_b64 s[4:5], -1
                                        ; implicit-def: $vgpr3
	s_branch .LBB379_1692
.LBB379_1688:
	s_mov_b64 s[4:5], -1
                                        ; implicit-def: $vgpr3
.LBB379_1689:
	s_and_b64 vcc, exec, s[4:5]
	s_cbranch_vccz .LBB379_1691
; %bb.1690:
	global_load_ubyte v3, v[1:2], off
	s_mov_b32 s4, 0x7f800000
	s_waitcnt vmcnt(0)
	v_lshlrev_b32_e32 v3, 24, v3
	v_and_b32_e32 v4, 0x7f000000, v3
	v_ffbh_u32_e32 v7, v4
	v_min_u32_e32 v7, 32, v7
	v_sub_u32_e64 v7, v7, 4 clamp
	v_lshlrev_b32_e32 v9, v7, v4
	v_lshlrev_b32_e32 v7, 23, v7
	v_lshrrev_b32_e32 v9, 4, v9
	v_add_u32_e32 v8, 0x1000000, v4
	v_sub_u32_e32 v7, v9, v7
	v_ashrrev_i32_e32 v8, 8, v8
	v_add_u32_e32 v7, 0x3c000000, v7
	v_and_or_b32 v7, v8, s4, v7
	v_cmp_ne_u32_e32 vcc, 0, v4
	v_cndmask_b32_e32 v4, 0, v7, vcc
	s_brev_b32 s4, 1
	v_and_or_b32 v3, v3, s4, v4
	v_cvt_i32_f32_e32 v3, v3
.LBB379_1691:
	s_mov_b64 s[4:5], 0
.LBB379_1692:
	s_andn2_b64 vcc, exec, s[4:5]
	s_cbranch_vccnz .LBB379_1694
; %bb.1693:
	global_load_ubyte v3, v[1:2], off
	s_movk_i32 s4, 0x7f00
	s_brev_b32 s5, 16
	s_waitcnt vmcnt(0)
	v_lshlrev_b16_e32 v4, 8, v3
	v_lshlrev_b32_e32 v3, 25, v3
	v_lshrrev_b32_e32 v7, 4, v3
	v_and_or_b32 v8, v4, s4, 0.5
	v_or_b32_e32 v7, 0x70000000, v7
	v_add_f32_e32 v8, -0.5, v8
	v_mul_f32_e32 v7, 0x7800000, v7
	v_cmp_gt_u32_e32 vcc, s5, v3
	v_bfe_i32 v4, v4, 0, 16
	v_cndmask_b32_e32 v3, v7, v8, vcc
	s_brev_b32 s4, 1
	v_and_or_b32 v3, v4, s4, v3
	v_cvt_i32_f32_e32 v3, v3
.LBB379_1694:
	s_mov_b64 s[4:5], 0
	s_mov_b64 s[20:21], -1
.LBB379_1695:
	s_andn2_b64 vcc, exec, s[4:5]
	s_mov_b64 s[4:5], 0
	s_cbranch_vccnz .LBB379_1706
; %bb.1696:
	s_cmp_gt_i32 s26, 14
	s_cbranch_scc0 .LBB379_1699
; %bb.1697:
	s_cmp_eq_u32 s26, 15
	s_cbranch_scc0 .LBB379_1702
; %bb.1698:
	global_load_ushort v3, v[1:2], off
	s_mov_b64 s[0:1], 0
	s_mov_b64 s[20:21], -1
	s_waitcnt vmcnt(0)
	v_lshlrev_b32_e32 v3, 16, v3
	v_cvt_i32_f32_e32 v3, v3
	s_branch .LBB379_1703
.LBB379_1699:
	s_mov_b64 s[22:23], -1
                                        ; implicit-def: $vgpr3
	s_branch .LBB379_1704
.LBB379_1700:
	s_andn2_saveexec_b64 s[4:5], s[4:5]
	s_cbranch_execz .LBB379_1681
.LBB379_1701:
	v_cmp_ne_u16_e32 vcc, 0, v4
	s_andn2_b64 s[20:21], s[20:21], exec
	s_and_b64 s[22:23], vcc, exec
	s_or_b64 s[20:21], s[20:21], s[22:23]
	s_or_b64 exec, exec, s[4:5]
	v_mov_b32_e32 v3, 0
	s_and_saveexec_b64 s[4:5], s[20:21]
	s_cbranch_execnz .LBB379_1682
	s_branch .LBB379_1683
.LBB379_1702:
	s_mov_b64 s[0:1], -1
                                        ; implicit-def: $vgpr3
.LBB379_1703:
	s_mov_b64 s[22:23], 0
.LBB379_1704:
	s_and_b64 vcc, exec, s[22:23]
	s_cbranch_vccz .LBB379_1706
; %bb.1705:
	s_cmp_lg_u32 s26, 11
	s_mov_b64 s[4:5], -1
	s_cselect_b64 s[0:1], -1, 0
.LBB379_1706:
	s_and_b64 vcc, exec, s[0:1]
	s_cbranch_vccnz .LBB379_1769
; %bb.1707:
	s_andn2_b64 vcc, exec, s[4:5]
	s_cbranch_vccnz .LBB379_1709
.LBB379_1708:
	global_load_ubyte v3, v[1:2], off
	s_mov_b64 s[20:21], -1
	s_waitcnt vmcnt(0)
	v_cmp_ne_u16_e32 vcc, 0, v3
	v_cndmask_b32_e64 v3, 0, 1, vcc
.LBB379_1709:
	s_branch .LBB379_1640
.LBB379_1710:
	s_and_b32 s4, 0xffff, s25
	s_cmp_lt_i32 s4, 5
	s_cbranch_scc1 .LBB379_1715
; %bb.1711:
	s_cmp_lt_i32 s4, 8
	s_cbranch_scc1 .LBB379_1716
; %bb.1712:
	;; [unrolled: 3-line block ×3, first 2 shown]
	s_cmp_gt_i32 s4, 9
	s_cbranch_scc0 .LBB379_1718
; %bb.1714:
	global_load_dwordx2 v[3:4], v[1:2], off
	s_mov_b64 s[0:1], 0
	s_waitcnt vmcnt(0)
	v_cvt_i32_f64_e32 v3, v[3:4]
	s_branch .LBB379_1719
.LBB379_1715:
                                        ; implicit-def: $vgpr3
	s_branch .LBB379_1737
.LBB379_1716:
	s_mov_b64 s[0:1], -1
                                        ; implicit-def: $vgpr3
	s_branch .LBB379_1725
.LBB379_1717:
	s_mov_b64 s[0:1], -1
                                        ; implicit-def: $vgpr3
	s_branch .LBB379_1722
.LBB379_1718:
	s_mov_b64 s[0:1], -1
                                        ; implicit-def: $vgpr3
.LBB379_1719:
	s_andn2_b64 vcc, exec, s[0:1]
	s_cbranch_vccnz .LBB379_1721
; %bb.1720:
	global_load_dword v3, v[1:2], off
	s_waitcnt vmcnt(0)
	v_cvt_i32_f32_e32 v3, v3
.LBB379_1721:
	s_mov_b64 s[0:1], 0
.LBB379_1722:
	s_andn2_b64 vcc, exec, s[0:1]
	s_cbranch_vccnz .LBB379_1724
; %bb.1723:
	global_load_dword v3, v[1:2], off
	s_waitcnt vmcnt(0)
	v_cvt_i16_f16_e32 v3, v3
.LBB379_1724:
	s_mov_b64 s[0:1], 0
.LBB379_1725:
	s_andn2_b64 vcc, exec, s[0:1]
	s_cbranch_vccnz .LBB379_1736
; %bb.1726:
	s_cmp_lt_i32 s4, 6
	s_cbranch_scc1 .LBB379_1729
; %bb.1727:
	s_cmp_gt_i32 s4, 6
	s_cbranch_scc0 .LBB379_1730
; %bb.1728:
	global_load_dwordx2 v[3:4], v[1:2], off
	s_mov_b64 s[0:1], 0
	s_waitcnt vmcnt(0)
	v_cvt_i32_f64_e32 v3, v[3:4]
	s_branch .LBB379_1731
.LBB379_1729:
	s_mov_b64 s[0:1], -1
                                        ; implicit-def: $vgpr3
	s_branch .LBB379_1734
.LBB379_1730:
	s_mov_b64 s[0:1], -1
                                        ; implicit-def: $vgpr3
.LBB379_1731:
	s_andn2_b64 vcc, exec, s[0:1]
	s_cbranch_vccnz .LBB379_1733
; %bb.1732:
	global_load_dword v3, v[1:2], off
	s_waitcnt vmcnt(0)
	v_cvt_i32_f32_e32 v3, v3
.LBB379_1733:
	s_mov_b64 s[0:1], 0
.LBB379_1734:
	s_andn2_b64 vcc, exec, s[0:1]
	s_cbranch_vccnz .LBB379_1736
; %bb.1735:
	global_load_ushort v3, v[1:2], off
	s_waitcnt vmcnt(0)
	v_cvt_i16_f16_e32 v3, v3
.LBB379_1736:
	s_cbranch_execnz .LBB379_1756
.LBB379_1737:
	s_cmp_lt_i32 s4, 2
	s_cbranch_scc1 .LBB379_1741
; %bb.1738:
	s_cmp_lt_i32 s4, 3
	s_cbranch_scc1 .LBB379_1742
; %bb.1739:
	s_cmp_gt_i32 s4, 3
	s_cbranch_scc0 .LBB379_1743
; %bb.1740:
	global_load_dwordx2 v[3:4], v[1:2], off
	s_mov_b64 s[0:1], 0
	s_branch .LBB379_1744
.LBB379_1741:
	s_mov_b64 s[0:1], -1
                                        ; implicit-def: $vgpr3
	s_branch .LBB379_1750
.LBB379_1742:
	s_mov_b64 s[0:1], -1
                                        ; implicit-def: $vgpr3
	s_branch .LBB379_1747
.LBB379_1743:
	s_mov_b64 s[0:1], -1
                                        ; implicit-def: $vgpr3
.LBB379_1744:
	s_andn2_b64 vcc, exec, s[0:1]
	s_cbranch_vccnz .LBB379_1746
; %bb.1745:
	global_load_dword v3, v[1:2], off
.LBB379_1746:
	s_mov_b64 s[0:1], 0
.LBB379_1747:
	s_andn2_b64 vcc, exec, s[0:1]
	s_cbranch_vccnz .LBB379_1749
; %bb.1748:
	global_load_ushort v3, v[1:2], off
.LBB379_1749:
	s_mov_b64 s[0:1], 0
.LBB379_1750:
	s_andn2_b64 vcc, exec, s[0:1]
	s_cbranch_vccnz .LBB379_1756
; %bb.1751:
	s_cmp_gt_i32 s4, 0
	s_cbranch_scc0 .LBB379_1753
; %bb.1752:
	global_load_ubyte v3, v[1:2], off
	s_mov_b64 s[0:1], 0
	s_branch .LBB379_1754
.LBB379_1753:
	s_mov_b64 s[0:1], -1
                                        ; implicit-def: $vgpr3
.LBB379_1754:
	s_andn2_b64 vcc, exec, s[0:1]
	s_cbranch_vccnz .LBB379_1756
; %bb.1755:
	global_load_ubyte v3, v[1:2], off
.LBB379_1756:
.LBB379_1757:
	s_lshl_b32 s13, s13, 7
	v_add_u32_e32 v8, s13, v5
	v_ashrrev_i32_e32 v1, 31, v8
	v_mov_b32_e32 v2, s11
	s_waitcnt vmcnt(0)
	v_add_co_u32_e32 v4, vcc, s10, v8
	s_cmp_lt_i32 s24, 11
	v_addc_co_u32_e32 v5, vcc, v2, v1, vcc
	s_cbranch_scc1 .LBB379_1764
; %bb.1758:
	s_and_b32 s26, 0xffff, s24
	s_cmp_gt_i32 s26, 25
	s_mov_b64 s[4:5], 0
	s_cbranch_scc0 .LBB379_1766
; %bb.1759:
	s_cmp_gt_i32 s26, 28
	s_cbranch_scc0 .LBB379_1767
; %bb.1760:
	s_cmp_gt_i32 s26, 43
	;; [unrolled: 3-line block ×3, first 2 shown]
	s_cbranch_scc0 .LBB379_1770
; %bb.1762:
	s_cmp_eq_u32 s26, 46
	s_mov_b64 s[22:23], 0
	s_cbranch_scc0 .LBB379_1771
; %bb.1763:
	global_load_dword v1, v[4:5], off
	s_mov_b64 s[0:1], 0
	s_mov_b64 s[20:21], -1
	s_waitcnt vmcnt(0)
	v_lshlrev_b32_e32 v1, 16, v1
	v_cvt_i32_f32_e32 v1, v1
	s_branch .LBB379_1772
.LBB379_1764:
	s_mov_b64 s[20:21], 0
                                        ; implicit-def: $vgpr1
	s_cbranch_execnz .LBB379_1834
.LBB379_1765:
	s_andn2_b64 vcc, exec, s[20:21]
	s_cbranch_vccnz .LBB379_2947
	s_branch .LBB379_1882
.LBB379_1766:
	s_mov_b64 s[22:23], -1
	s_mov_b64 s[20:21], 0
	s_mov_b64 s[0:1], 0
                                        ; implicit-def: $vgpr1
	s_branch .LBB379_1799
.LBB379_1767:
	s_mov_b64 s[22:23], -1
	s_mov_b64 s[20:21], 0
	s_mov_b64 s[0:1], 0
                                        ; implicit-def: $vgpr1
	s_branch .LBB379_1782
.LBB379_1768:
	s_mov_b64 s[22:23], -1
	s_mov_b64 s[20:21], 0
	s_mov_b64 s[0:1], 0
                                        ; implicit-def: $vgpr1
	s_branch .LBB379_1777
.LBB379_1769:
	s_trap 2
	s_or_b64 s[18:19], s[18:19], exec
	s_cbranch_execz .LBB379_1708
	s_branch .LBB379_1709
.LBB379_1770:
	s_mov_b64 s[22:23], -1
	s_mov_b64 s[20:21], 0
	s_mov_b64 s[0:1], 0
                                        ; implicit-def: $vgpr1
	s_branch .LBB379_1772
.LBB379_1771:
	s_mov_b64 s[0:1], -1
                                        ; implicit-def: $vgpr1
	s_mov_b64 s[20:21], 0
.LBB379_1772:
	s_and_b64 vcc, exec, s[22:23]
	s_cbranch_vccz .LBB379_1776
; %bb.1773:
	s_cmp_eq_u32 s26, 44
	s_cbranch_scc0 .LBB379_1775
; %bb.1774:
	global_load_ubyte v1, v[4:5], off
	s_mov_b64 s[0:1], 0
	s_mov_b64 s[20:21], -1
	s_waitcnt vmcnt(0)
	v_lshlrev_b32_e32 v2, 23, v1
	v_cvt_i32_f32_e32 v2, v2
	v_cmp_ne_u32_e32 vcc, 0, v1
	v_cndmask_b32_e32 v1, 0, v2, vcc
	s_branch .LBB379_1776
.LBB379_1775:
	s_mov_b64 s[0:1], -1
                                        ; implicit-def: $vgpr1
.LBB379_1776:
	s_mov_b64 s[22:23], 0
.LBB379_1777:
	s_and_b64 vcc, exec, s[22:23]
	s_cbranch_vccz .LBB379_1781
; %bb.1778:
	s_cmp_eq_u32 s26, 29
	s_cbranch_scc0 .LBB379_1780
; %bb.1779:
	global_load_dwordx2 v[1:2], v[4:5], off
	s_mov_b64 s[0:1], 0
	s_mov_b64 s[20:21], -1
	s_branch .LBB379_1781
.LBB379_1780:
	s_mov_b64 s[0:1], -1
                                        ; implicit-def: $vgpr1
.LBB379_1781:
	s_mov_b64 s[22:23], 0
.LBB379_1782:
	s_and_b64 vcc, exec, s[22:23]
	s_cbranch_vccz .LBB379_1798
; %bb.1783:
	s_cmp_lt_i32 s26, 27
	s_cbranch_scc1 .LBB379_1786
; %bb.1784:
	s_cmp_gt_i32 s26, 27
	s_cbranch_scc0 .LBB379_1787
; %bb.1785:
	global_load_dword v1, v[4:5], off
	s_mov_b64 s[20:21], 0
	s_branch .LBB379_1788
.LBB379_1786:
	s_mov_b64 s[20:21], -1
                                        ; implicit-def: $vgpr1
	s_branch .LBB379_1791
.LBB379_1787:
	s_mov_b64 s[20:21], -1
                                        ; implicit-def: $vgpr1
.LBB379_1788:
	s_andn2_b64 vcc, exec, s[20:21]
	s_cbranch_vccnz .LBB379_1790
; %bb.1789:
	global_load_ushort v1, v[4:5], off
.LBB379_1790:
	s_mov_b64 s[20:21], 0
.LBB379_1791:
	s_andn2_b64 vcc, exec, s[20:21]
	s_cbranch_vccnz .LBB379_1797
; %bb.1792:
	global_load_ubyte v2, v[4:5], off
	s_movk_i32 s20, 0x7f
	s_mov_b64 s[22:23], 0
	s_waitcnt vmcnt(0)
	v_cmp_lt_i16_e32 vcc, s20, v2
	s_and_saveexec_b64 s[20:21], vcc
	s_xor_b64 s[20:21], exec, s[20:21]
	s_cbranch_execz .LBB379_1809
; %bb.1793:
	s_movk_i32 s22, 0x80
	v_cmp_ne_u16_e32 vcc, s22, v2
	s_and_b64 s[22:23], vcc, exec
	s_andn2_saveexec_b64 s[20:21], s[20:21]
	s_cbranch_execnz .LBB379_1810
.LBB379_1794:
	s_or_b64 exec, exec, s[20:21]
	v_mov_b32_e32 v1, 0
	s_and_saveexec_b64 s[20:21], s[22:23]
	s_cbranch_execz .LBB379_1796
.LBB379_1795:
	v_lshlrev_b32_e32 v1, 24, v2
	v_and_b32_e32 v2, 0xffff, v2
	v_and_b32_e32 v7, 7, v2
	v_ffbh_u32_e32 v10, v7
	v_min_u32_e32 v10, 32, v10
	v_subrev_u32_e32 v11, 28, v10
	v_bfe_u32 v9, v2, 3, 4
	v_lshlrev_b32_e32 v2, v11, v2
	v_sub_u32_e32 v10, 29, v10
	v_and_b32_e32 v2, 7, v2
	v_cmp_eq_u32_e32 vcc, 0, v9
	v_cndmask_b32_e32 v9, v9, v10, vcc
	v_cndmask_b32_e32 v2, v7, v2, vcc
	v_mov_b32_e32 v7, 0x3b800000
	v_lshlrev_b32_e32 v2, 20, v2
	v_and_b32_e32 v1, 0x80000000, v1
	v_lshl_add_u32 v7, v9, 23, v7
	v_or3_b32 v1, v1, v7, v2
	v_cvt_i32_f32_e32 v1, v1
.LBB379_1796:
	s_or_b64 exec, exec, s[20:21]
.LBB379_1797:
	s_mov_b64 s[20:21], -1
.LBB379_1798:
	s_mov_b64 s[22:23], 0
.LBB379_1799:
	s_and_b64 vcc, exec, s[22:23]
	s_cbranch_vccz .LBB379_1830
; %bb.1800:
	s_cmp_gt_i32 s26, 22
	s_cbranch_scc0 .LBB379_1808
; %bb.1801:
	s_cmp_lt_i32 s26, 24
	s_cbranch_scc1 .LBB379_1811
; %bb.1802:
	s_cmp_gt_i32 s26, 24
	s_cbranch_scc0 .LBB379_1812
; %bb.1803:
	global_load_ubyte v2, v[4:5], off
	s_movk_i32 s4, 0x7f
	s_mov_b64 s[20:21], 0
	s_waitcnt vmcnt(0)
	v_cmp_lt_i16_e32 vcc, s4, v2
	s_and_saveexec_b64 s[4:5], vcc
	s_xor_b64 s[4:5], exec, s[4:5]
	s_cbranch_execz .LBB379_1824
; %bb.1804:
	s_movk_i32 s20, 0x80
	v_cmp_ne_u16_e32 vcc, s20, v2
	s_and_b64 s[20:21], vcc, exec
	s_andn2_saveexec_b64 s[4:5], s[4:5]
	s_cbranch_execnz .LBB379_1825
.LBB379_1805:
	s_or_b64 exec, exec, s[4:5]
	v_mov_b32_e32 v1, 0
	s_and_saveexec_b64 s[4:5], s[20:21]
	s_cbranch_execz .LBB379_1807
.LBB379_1806:
	v_lshlrev_b32_e32 v1, 24, v2
	v_and_b32_e32 v2, 0xffff, v2
	v_and_b32_e32 v7, 3, v2
	v_ffbh_u32_e32 v10, v7
	v_min_u32_e32 v10, 32, v10
	v_subrev_u32_e32 v11, 29, v10
	v_bfe_u32 v9, v2, 2, 5
	v_lshlrev_b32_e32 v2, v11, v2
	v_sub_u32_e32 v10, 30, v10
	v_and_b32_e32 v2, 3, v2
	v_cmp_eq_u32_e32 vcc, 0, v9
	v_cndmask_b32_e32 v9, v9, v10, vcc
	v_cndmask_b32_e32 v2, v7, v2, vcc
	v_mov_b32_e32 v7, 0x37800000
	v_lshlrev_b32_e32 v2, 21, v2
	v_and_b32_e32 v1, 0x80000000, v1
	v_lshl_add_u32 v7, v9, 23, v7
	v_or3_b32 v1, v1, v7, v2
	v_cvt_i32_f32_e32 v1, v1
.LBB379_1807:
	s_or_b64 exec, exec, s[4:5]
	s_mov_b64 s[4:5], 0
	s_branch .LBB379_1813
.LBB379_1808:
	s_mov_b64 s[4:5], -1
                                        ; implicit-def: $vgpr1
	s_branch .LBB379_1819
.LBB379_1809:
	s_andn2_saveexec_b64 s[20:21], s[20:21]
	s_cbranch_execz .LBB379_1794
.LBB379_1810:
	v_cmp_ne_u16_e32 vcc, 0, v2
	s_andn2_b64 s[22:23], s[22:23], exec
	s_and_b64 s[28:29], vcc, exec
	s_or_b64 s[22:23], s[22:23], s[28:29]
	s_or_b64 exec, exec, s[20:21]
	v_mov_b32_e32 v1, 0
	s_and_saveexec_b64 s[20:21], s[22:23]
	s_cbranch_execnz .LBB379_1795
	s_branch .LBB379_1796
.LBB379_1811:
	s_mov_b64 s[4:5], -1
                                        ; implicit-def: $vgpr1
	s_branch .LBB379_1816
.LBB379_1812:
	s_mov_b64 s[4:5], -1
                                        ; implicit-def: $vgpr1
.LBB379_1813:
	s_and_b64 vcc, exec, s[4:5]
	s_cbranch_vccz .LBB379_1815
; %bb.1814:
	global_load_ubyte v1, v[4:5], off
	s_mov_b32 s4, 0x7f800000
	s_waitcnt vmcnt(0)
	v_lshlrev_b32_e32 v1, 24, v1
	v_and_b32_e32 v2, 0x7f000000, v1
	v_ffbh_u32_e32 v7, v2
	v_min_u32_e32 v7, 32, v7
	v_sub_u32_e64 v7, v7, 4 clamp
	v_lshlrev_b32_e32 v10, v7, v2
	v_lshlrev_b32_e32 v7, 23, v7
	v_lshrrev_b32_e32 v10, 4, v10
	v_add_u32_e32 v9, 0x1000000, v2
	v_sub_u32_e32 v7, v10, v7
	v_ashrrev_i32_e32 v9, 8, v9
	v_add_u32_e32 v7, 0x3c000000, v7
	v_and_or_b32 v7, v9, s4, v7
	v_cmp_ne_u32_e32 vcc, 0, v2
	v_cndmask_b32_e32 v2, 0, v7, vcc
	s_brev_b32 s4, 1
	v_and_or_b32 v1, v1, s4, v2
	v_cvt_i32_f32_e32 v1, v1
.LBB379_1815:
	s_mov_b64 s[4:5], 0
.LBB379_1816:
	s_andn2_b64 vcc, exec, s[4:5]
	s_cbranch_vccnz .LBB379_1818
; %bb.1817:
	global_load_ubyte v1, v[4:5], off
	s_movk_i32 s4, 0x7f00
	s_brev_b32 s5, 16
	s_waitcnt vmcnt(0)
	v_lshlrev_b16_e32 v2, 8, v1
	v_lshlrev_b32_e32 v1, 25, v1
	v_lshrrev_b32_e32 v7, 4, v1
	v_and_or_b32 v9, v2, s4, 0.5
	v_or_b32_e32 v7, 0x70000000, v7
	v_add_f32_e32 v9, -0.5, v9
	v_mul_f32_e32 v7, 0x7800000, v7
	v_cmp_gt_u32_e32 vcc, s5, v1
	v_bfe_i32 v2, v2, 0, 16
	v_cndmask_b32_e32 v1, v7, v9, vcc
	s_brev_b32 s4, 1
	v_and_or_b32 v1, v2, s4, v1
	v_cvt_i32_f32_e32 v1, v1
.LBB379_1818:
	s_mov_b64 s[4:5], 0
	s_mov_b64 s[20:21], -1
.LBB379_1819:
	s_andn2_b64 vcc, exec, s[4:5]
	s_mov_b64 s[4:5], 0
	s_cbranch_vccnz .LBB379_1830
; %bb.1820:
	s_cmp_gt_i32 s26, 14
	s_cbranch_scc0 .LBB379_1823
; %bb.1821:
	s_cmp_eq_u32 s26, 15
	s_cbranch_scc0 .LBB379_1826
; %bb.1822:
	global_load_ushort v1, v[4:5], off
	s_mov_b64 s[0:1], 0
	s_mov_b64 s[20:21], -1
	s_waitcnt vmcnt(0)
	v_lshlrev_b32_e32 v1, 16, v1
	v_cvt_i32_f32_e32 v1, v1
	s_branch .LBB379_1827
.LBB379_1823:
	s_mov_b64 s[22:23], -1
                                        ; implicit-def: $vgpr1
	s_branch .LBB379_1828
.LBB379_1824:
	s_andn2_saveexec_b64 s[4:5], s[4:5]
	s_cbranch_execz .LBB379_1805
.LBB379_1825:
	v_cmp_ne_u16_e32 vcc, 0, v2
	s_andn2_b64 s[20:21], s[20:21], exec
	s_and_b64 s[22:23], vcc, exec
	s_or_b64 s[20:21], s[20:21], s[22:23]
	s_or_b64 exec, exec, s[4:5]
	v_mov_b32_e32 v1, 0
	s_and_saveexec_b64 s[4:5], s[20:21]
	s_cbranch_execnz .LBB379_1806
	s_branch .LBB379_1807
.LBB379_1826:
	s_mov_b64 s[0:1], -1
                                        ; implicit-def: $vgpr1
.LBB379_1827:
	s_mov_b64 s[22:23], 0
.LBB379_1828:
	s_and_b64 vcc, exec, s[22:23]
	s_cbranch_vccz .LBB379_1830
; %bb.1829:
	s_cmp_lg_u32 s26, 11
	s_mov_b64 s[4:5], -1
	s_cselect_b64 s[0:1], -1, 0
.LBB379_1830:
	s_and_b64 vcc, exec, s[0:1]
	s_cbranch_vccnz .LBB379_1893
; %bb.1831:
	s_andn2_b64 vcc, exec, s[4:5]
	s_cbranch_vccnz .LBB379_1833
.LBB379_1832:
	global_load_ubyte v1, v[4:5], off
	s_mov_b64 s[20:21], -1
	s_waitcnt vmcnt(0)
	v_cmp_ne_u16_e32 vcc, 0, v1
	v_cndmask_b32_e64 v1, 0, 1, vcc
.LBB379_1833:
	s_branch .LBB379_1765
.LBB379_1834:
	s_and_b32 s4, 0xffff, s24
	s_cmp_lt_i32 s4, 5
	s_cbranch_scc1 .LBB379_1839
; %bb.1835:
	s_cmp_lt_i32 s4, 8
	s_cbranch_scc1 .LBB379_1840
; %bb.1836:
	;; [unrolled: 3-line block ×3, first 2 shown]
	s_cmp_gt_i32 s4, 9
	s_cbranch_scc0 .LBB379_1842
; %bb.1838:
	global_load_dwordx2 v[1:2], v[4:5], off
	s_mov_b64 s[0:1], 0
	s_waitcnt vmcnt(0)
	v_cvt_i32_f64_e32 v1, v[1:2]
	s_branch .LBB379_1843
.LBB379_1839:
	s_mov_b64 s[0:1], -1
                                        ; implicit-def: $vgpr1
	s_branch .LBB379_1861
.LBB379_1840:
	s_mov_b64 s[0:1], -1
                                        ; implicit-def: $vgpr1
	s_branch .LBB379_1849
.LBB379_1841:
	s_mov_b64 s[0:1], -1
                                        ; implicit-def: $vgpr1
	s_branch .LBB379_1846
.LBB379_1842:
	s_mov_b64 s[0:1], -1
                                        ; implicit-def: $vgpr1
.LBB379_1843:
	s_andn2_b64 vcc, exec, s[0:1]
	s_cbranch_vccnz .LBB379_1845
; %bb.1844:
	global_load_dword v1, v[4:5], off
	s_waitcnt vmcnt(0)
	v_cvt_i32_f32_e32 v1, v1
.LBB379_1845:
	s_mov_b64 s[0:1], 0
.LBB379_1846:
	s_andn2_b64 vcc, exec, s[0:1]
	s_cbranch_vccnz .LBB379_1848
; %bb.1847:
	global_load_dword v1, v[4:5], off
	s_waitcnt vmcnt(0)
	v_cvt_i16_f16_e32 v1, v1
.LBB379_1848:
	s_mov_b64 s[0:1], 0
.LBB379_1849:
	s_andn2_b64 vcc, exec, s[0:1]
	s_cbranch_vccnz .LBB379_1860
; %bb.1850:
	s_cmp_lt_i32 s4, 6
	s_cbranch_scc1 .LBB379_1853
; %bb.1851:
	s_cmp_gt_i32 s4, 6
	s_cbranch_scc0 .LBB379_1854
; %bb.1852:
	global_load_dwordx2 v[1:2], v[4:5], off
	s_mov_b64 s[0:1], 0
	s_waitcnt vmcnt(0)
	v_cvt_i32_f64_e32 v1, v[1:2]
	s_branch .LBB379_1855
.LBB379_1853:
	s_mov_b64 s[0:1], -1
                                        ; implicit-def: $vgpr1
	s_branch .LBB379_1858
.LBB379_1854:
	s_mov_b64 s[0:1], -1
                                        ; implicit-def: $vgpr1
.LBB379_1855:
	s_andn2_b64 vcc, exec, s[0:1]
	s_cbranch_vccnz .LBB379_1857
; %bb.1856:
	global_load_dword v1, v[4:5], off
	s_waitcnt vmcnt(0)
	v_cvt_i32_f32_e32 v1, v1
.LBB379_1857:
	s_mov_b64 s[0:1], 0
.LBB379_1858:
	s_andn2_b64 vcc, exec, s[0:1]
	s_cbranch_vccnz .LBB379_1860
; %bb.1859:
	global_load_ushort v1, v[4:5], off
	s_waitcnt vmcnt(0)
	v_cvt_i16_f16_e32 v1, v1
.LBB379_1860:
	s_mov_b64 s[0:1], 0
.LBB379_1861:
	s_andn2_b64 vcc, exec, s[0:1]
	s_cbranch_vccnz .LBB379_1881
; %bb.1862:
	s_cmp_lt_i32 s4, 2
	s_cbranch_scc1 .LBB379_1866
; %bb.1863:
	s_cmp_lt_i32 s4, 3
	s_cbranch_scc1 .LBB379_1867
; %bb.1864:
	s_cmp_gt_i32 s4, 3
	s_cbranch_scc0 .LBB379_1868
; %bb.1865:
	global_load_dwordx2 v[1:2], v[4:5], off
	s_mov_b64 s[0:1], 0
	s_branch .LBB379_1869
.LBB379_1866:
	s_mov_b64 s[0:1], -1
                                        ; implicit-def: $vgpr1
	s_branch .LBB379_1875
.LBB379_1867:
	s_mov_b64 s[0:1], -1
                                        ; implicit-def: $vgpr1
	s_branch .LBB379_1872
.LBB379_1868:
	s_mov_b64 s[0:1], -1
                                        ; implicit-def: $vgpr1
.LBB379_1869:
	s_andn2_b64 vcc, exec, s[0:1]
	s_cbranch_vccnz .LBB379_1871
; %bb.1870:
	global_load_dword v1, v[4:5], off
.LBB379_1871:
	s_mov_b64 s[0:1], 0
.LBB379_1872:
	s_andn2_b64 vcc, exec, s[0:1]
	s_cbranch_vccnz .LBB379_1874
; %bb.1873:
	global_load_ushort v1, v[4:5], off
.LBB379_1874:
	s_mov_b64 s[0:1], 0
.LBB379_1875:
	s_andn2_b64 vcc, exec, s[0:1]
	s_cbranch_vccnz .LBB379_1881
; %bb.1876:
	s_cmp_gt_i32 s4, 0
	s_cbranch_scc0 .LBB379_1878
; %bb.1877:
	global_load_ubyte v1, v[4:5], off
	s_mov_b64 s[0:1], 0
	s_branch .LBB379_1879
.LBB379_1878:
	s_mov_b64 s[0:1], -1
                                        ; implicit-def: $vgpr1
.LBB379_1879:
	s_andn2_b64 vcc, exec, s[0:1]
	s_cbranch_vccnz .LBB379_1881
; %bb.1880:
	global_load_ubyte v1, v[4:5], off
.LBB379_1881:
.LBB379_1882:
	s_lshl_b32 s14, s14, 7
	s_waitcnt vmcnt(0)
	v_add_u32_e32 v2, s14, v6
	v_ashrrev_i32_e32 v5, 31, v2
	v_mov_b32_e32 v6, s3
	v_add_co_u32_e32 v4, vcc, s2, v2
	s_cmp_lt_i32 s25, 11
	v_addc_co_u32_e32 v5, vcc, v6, v5, vcc
	s_cbranch_scc1 .LBB379_1889
; %bb.1883:
	s_and_b32 s26, 0xffff, s25
	s_cmp_gt_i32 s26, 25
	s_mov_b64 s[4:5], 0
	s_cbranch_scc0 .LBB379_1890
; %bb.1884:
	s_cmp_gt_i32 s26, 28
	s_cbranch_scc0 .LBB379_1891
; %bb.1885:
	s_cmp_gt_i32 s26, 43
	;; [unrolled: 3-line block ×3, first 2 shown]
	s_cbranch_scc0 .LBB379_1894
; %bb.1887:
	s_cmp_eq_u32 s26, 46
	s_mov_b64 s[22:23], 0
	s_cbranch_scc0 .LBB379_1895
; %bb.1888:
	global_load_dword v6, v[4:5], off
	s_mov_b64 s[0:1], 0
	s_mov_b64 s[20:21], -1
	s_waitcnt vmcnt(0)
	v_lshlrev_b32_e32 v6, 16, v6
	v_cvt_i32_f32_e32 v6, v6
	s_branch .LBB379_1896
.LBB379_1889:
	s_mov_b64 s[0:1], -1
	s_mov_b64 s[20:21], 0
                                        ; implicit-def: $vgpr6
	s_branch .LBB379_1958
.LBB379_1890:
	s_mov_b64 s[22:23], -1
	s_mov_b64 s[20:21], 0
	s_mov_b64 s[0:1], 0
                                        ; implicit-def: $vgpr6
	s_branch .LBB379_1923
.LBB379_1891:
	s_mov_b64 s[22:23], -1
	s_mov_b64 s[20:21], 0
	s_mov_b64 s[0:1], 0
                                        ; implicit-def: $vgpr6
	s_branch .LBB379_1906
.LBB379_1892:
	s_mov_b64 s[22:23], -1
	s_mov_b64 s[20:21], 0
	s_mov_b64 s[0:1], 0
                                        ; implicit-def: $vgpr6
	s_branch .LBB379_1901
.LBB379_1893:
	s_trap 2
	s_or_b64 s[18:19], s[18:19], exec
	s_cbranch_execz .LBB379_1832
	s_branch .LBB379_1833
.LBB379_1894:
	s_mov_b64 s[22:23], -1
	s_mov_b64 s[20:21], 0
	s_mov_b64 s[0:1], 0
                                        ; implicit-def: $vgpr6
	s_branch .LBB379_1896
.LBB379_1895:
	s_mov_b64 s[0:1], -1
                                        ; implicit-def: $vgpr6
	s_mov_b64 s[20:21], 0
.LBB379_1896:
	s_and_b64 vcc, exec, s[22:23]
	s_cbranch_vccz .LBB379_1900
; %bb.1897:
	s_cmp_eq_u32 s26, 44
	s_cbranch_scc0 .LBB379_1899
; %bb.1898:
	global_load_ubyte v6, v[4:5], off
	s_mov_b64 s[0:1], 0
	s_mov_b64 s[20:21], -1
	s_waitcnt vmcnt(0)
	v_lshlrev_b32_e32 v7, 23, v6
	v_cvt_i32_f32_e32 v7, v7
	v_cmp_ne_u32_e32 vcc, 0, v6
	v_cndmask_b32_e32 v6, 0, v7, vcc
	s_branch .LBB379_1900
.LBB379_1899:
	s_mov_b64 s[0:1], -1
                                        ; implicit-def: $vgpr6
.LBB379_1900:
	s_mov_b64 s[22:23], 0
.LBB379_1901:
	s_and_b64 vcc, exec, s[22:23]
	s_cbranch_vccz .LBB379_1905
; %bb.1902:
	s_cmp_eq_u32 s26, 29
	s_cbranch_scc0 .LBB379_1904
; %bb.1903:
	global_load_dwordx2 v[6:7], v[4:5], off
	s_mov_b64 s[0:1], 0
	s_mov_b64 s[20:21], -1
	s_branch .LBB379_1905
.LBB379_1904:
	s_mov_b64 s[0:1], -1
                                        ; implicit-def: $vgpr6
.LBB379_1905:
	s_mov_b64 s[22:23], 0
.LBB379_1906:
	s_and_b64 vcc, exec, s[22:23]
	s_cbranch_vccz .LBB379_1922
; %bb.1907:
	s_cmp_lt_i32 s26, 27
	s_cbranch_scc1 .LBB379_1910
; %bb.1908:
	s_cmp_gt_i32 s26, 27
	s_cbranch_scc0 .LBB379_1911
; %bb.1909:
	global_load_dword v6, v[4:5], off
	s_mov_b64 s[20:21], 0
	s_branch .LBB379_1912
.LBB379_1910:
	s_mov_b64 s[20:21], -1
                                        ; implicit-def: $vgpr6
	s_branch .LBB379_1915
.LBB379_1911:
	s_mov_b64 s[20:21], -1
                                        ; implicit-def: $vgpr6
.LBB379_1912:
	s_andn2_b64 vcc, exec, s[20:21]
	s_cbranch_vccnz .LBB379_1914
; %bb.1913:
	global_load_ushort v6, v[4:5], off
.LBB379_1914:
	s_mov_b64 s[20:21], 0
.LBB379_1915:
	s_andn2_b64 vcc, exec, s[20:21]
	s_cbranch_vccnz .LBB379_1921
; %bb.1916:
	global_load_ubyte v7, v[4:5], off
	s_movk_i32 s20, 0x7f
	s_mov_b64 s[22:23], 0
	s_waitcnt vmcnt(0)
	v_cmp_lt_i16_e32 vcc, s20, v7
	s_and_saveexec_b64 s[20:21], vcc
	s_xor_b64 s[20:21], exec, s[20:21]
	s_cbranch_execz .LBB379_1933
; %bb.1917:
	s_movk_i32 s22, 0x80
	v_cmp_ne_u16_e32 vcc, s22, v7
	s_and_b64 s[22:23], vcc, exec
	s_andn2_saveexec_b64 s[20:21], s[20:21]
	s_cbranch_execnz .LBB379_1934
.LBB379_1918:
	s_or_b64 exec, exec, s[20:21]
	v_mov_b32_e32 v6, 0
	s_and_saveexec_b64 s[20:21], s[22:23]
	s_cbranch_execz .LBB379_1920
.LBB379_1919:
	v_lshlrev_b32_e32 v6, 24, v7
	v_and_b32_e32 v7, 0xffff, v7
	v_and_b32_e32 v9, 7, v7
	v_ffbh_u32_e32 v11, v9
	v_min_u32_e32 v11, 32, v11
	v_subrev_u32_e32 v12, 28, v11
	v_bfe_u32 v10, v7, 3, 4
	v_lshlrev_b32_e32 v7, v12, v7
	v_sub_u32_e32 v11, 29, v11
	v_and_b32_e32 v7, 7, v7
	v_cmp_eq_u32_e32 vcc, 0, v10
	v_cndmask_b32_e32 v10, v10, v11, vcc
	v_cndmask_b32_e32 v7, v9, v7, vcc
	v_mov_b32_e32 v9, 0x3b800000
	v_lshlrev_b32_e32 v7, 20, v7
	v_and_b32_e32 v6, 0x80000000, v6
	v_lshl_add_u32 v9, v10, 23, v9
	v_or3_b32 v6, v6, v9, v7
	v_cvt_i32_f32_e32 v6, v6
.LBB379_1920:
	s_or_b64 exec, exec, s[20:21]
.LBB379_1921:
	s_mov_b64 s[20:21], -1
.LBB379_1922:
	s_mov_b64 s[22:23], 0
.LBB379_1923:
	s_and_b64 vcc, exec, s[22:23]
	s_cbranch_vccz .LBB379_1954
; %bb.1924:
	s_cmp_gt_i32 s26, 22
	s_cbranch_scc0 .LBB379_1932
; %bb.1925:
	s_cmp_lt_i32 s26, 24
	s_cbranch_scc1 .LBB379_1935
; %bb.1926:
	s_cmp_gt_i32 s26, 24
	s_cbranch_scc0 .LBB379_1936
; %bb.1927:
	global_load_ubyte v7, v[4:5], off
	s_movk_i32 s4, 0x7f
	s_mov_b64 s[20:21], 0
	s_waitcnt vmcnt(0)
	v_cmp_lt_i16_e32 vcc, s4, v7
	s_and_saveexec_b64 s[4:5], vcc
	s_xor_b64 s[4:5], exec, s[4:5]
	s_cbranch_execz .LBB379_1948
; %bb.1928:
	s_movk_i32 s20, 0x80
	v_cmp_ne_u16_e32 vcc, s20, v7
	s_and_b64 s[20:21], vcc, exec
	s_andn2_saveexec_b64 s[4:5], s[4:5]
	s_cbranch_execnz .LBB379_1949
.LBB379_1929:
	s_or_b64 exec, exec, s[4:5]
	v_mov_b32_e32 v6, 0
	s_and_saveexec_b64 s[4:5], s[20:21]
	s_cbranch_execz .LBB379_1931
.LBB379_1930:
	v_lshlrev_b32_e32 v6, 24, v7
	v_and_b32_e32 v7, 0xffff, v7
	v_and_b32_e32 v9, 3, v7
	v_ffbh_u32_e32 v11, v9
	v_min_u32_e32 v11, 32, v11
	v_subrev_u32_e32 v12, 29, v11
	v_bfe_u32 v10, v7, 2, 5
	v_lshlrev_b32_e32 v7, v12, v7
	v_sub_u32_e32 v11, 30, v11
	v_and_b32_e32 v7, 3, v7
	v_cmp_eq_u32_e32 vcc, 0, v10
	v_cndmask_b32_e32 v10, v10, v11, vcc
	v_cndmask_b32_e32 v7, v9, v7, vcc
	v_mov_b32_e32 v9, 0x37800000
	v_lshlrev_b32_e32 v7, 21, v7
	v_and_b32_e32 v6, 0x80000000, v6
	v_lshl_add_u32 v9, v10, 23, v9
	v_or3_b32 v6, v6, v9, v7
	v_cvt_i32_f32_e32 v6, v6
.LBB379_1931:
	s_or_b64 exec, exec, s[4:5]
	s_mov_b64 s[4:5], 0
	s_branch .LBB379_1937
.LBB379_1932:
	s_mov_b64 s[4:5], -1
                                        ; implicit-def: $vgpr6
	s_branch .LBB379_1943
.LBB379_1933:
	s_andn2_saveexec_b64 s[20:21], s[20:21]
	s_cbranch_execz .LBB379_1918
.LBB379_1934:
	v_cmp_ne_u16_e32 vcc, 0, v7
	s_andn2_b64 s[22:23], s[22:23], exec
	s_and_b64 s[28:29], vcc, exec
	s_or_b64 s[22:23], s[22:23], s[28:29]
	s_or_b64 exec, exec, s[20:21]
	v_mov_b32_e32 v6, 0
	s_and_saveexec_b64 s[20:21], s[22:23]
	s_cbranch_execnz .LBB379_1919
	s_branch .LBB379_1920
.LBB379_1935:
	s_mov_b64 s[4:5], -1
                                        ; implicit-def: $vgpr6
	s_branch .LBB379_1940
.LBB379_1936:
	s_mov_b64 s[4:5], -1
                                        ; implicit-def: $vgpr6
.LBB379_1937:
	s_and_b64 vcc, exec, s[4:5]
	s_cbranch_vccz .LBB379_1939
; %bb.1938:
	global_load_ubyte v6, v[4:5], off
	s_mov_b32 s4, 0x7f800000
	s_waitcnt vmcnt(0)
	v_lshlrev_b32_e32 v6, 24, v6
	v_and_b32_e32 v7, 0x7f000000, v6
	v_ffbh_u32_e32 v9, v7
	v_min_u32_e32 v9, 32, v9
	v_sub_u32_e64 v9, v9, 4 clamp
	v_lshlrev_b32_e32 v11, v9, v7
	v_lshlrev_b32_e32 v9, 23, v9
	v_lshrrev_b32_e32 v11, 4, v11
	v_add_u32_e32 v10, 0x1000000, v7
	v_sub_u32_e32 v9, v11, v9
	v_ashrrev_i32_e32 v10, 8, v10
	v_add_u32_e32 v9, 0x3c000000, v9
	v_and_or_b32 v9, v10, s4, v9
	v_cmp_ne_u32_e32 vcc, 0, v7
	v_cndmask_b32_e32 v7, 0, v9, vcc
	s_brev_b32 s4, 1
	v_and_or_b32 v6, v6, s4, v7
	v_cvt_i32_f32_e32 v6, v6
.LBB379_1939:
	s_mov_b64 s[4:5], 0
.LBB379_1940:
	s_andn2_b64 vcc, exec, s[4:5]
	s_cbranch_vccnz .LBB379_1942
; %bb.1941:
	global_load_ubyte v6, v[4:5], off
	s_movk_i32 s4, 0x7f00
	s_brev_b32 s5, 16
	s_waitcnt vmcnt(0)
	v_lshlrev_b16_e32 v7, 8, v6
	v_lshlrev_b32_e32 v6, 25, v6
	v_lshrrev_b32_e32 v9, 4, v6
	v_and_or_b32 v10, v7, s4, 0.5
	v_or_b32_e32 v9, 0x70000000, v9
	v_add_f32_e32 v10, -0.5, v10
	v_mul_f32_e32 v9, 0x7800000, v9
	v_cmp_gt_u32_e32 vcc, s5, v6
	v_bfe_i32 v7, v7, 0, 16
	v_cndmask_b32_e32 v6, v9, v10, vcc
	s_brev_b32 s4, 1
	v_and_or_b32 v6, v7, s4, v6
	v_cvt_i32_f32_e32 v6, v6
.LBB379_1942:
	s_mov_b64 s[4:5], 0
	s_mov_b64 s[20:21], -1
.LBB379_1943:
	s_andn2_b64 vcc, exec, s[4:5]
	s_mov_b64 s[4:5], 0
	s_cbranch_vccnz .LBB379_1954
; %bb.1944:
	s_cmp_gt_i32 s26, 14
	s_cbranch_scc0 .LBB379_1947
; %bb.1945:
	s_cmp_eq_u32 s26, 15
	s_cbranch_scc0 .LBB379_1950
; %bb.1946:
	global_load_ushort v6, v[4:5], off
	s_mov_b64 s[0:1], 0
	s_mov_b64 s[20:21], -1
	s_waitcnt vmcnt(0)
	v_lshlrev_b32_e32 v6, 16, v6
	v_cvt_i32_f32_e32 v6, v6
	s_branch .LBB379_1951
.LBB379_1947:
	s_mov_b64 s[22:23], -1
                                        ; implicit-def: $vgpr6
	s_branch .LBB379_1952
.LBB379_1948:
	s_andn2_saveexec_b64 s[4:5], s[4:5]
	s_cbranch_execz .LBB379_1929
.LBB379_1949:
	v_cmp_ne_u16_e32 vcc, 0, v7
	s_andn2_b64 s[20:21], s[20:21], exec
	s_and_b64 s[22:23], vcc, exec
	s_or_b64 s[20:21], s[20:21], s[22:23]
	s_or_b64 exec, exec, s[4:5]
	v_mov_b32_e32 v6, 0
	s_and_saveexec_b64 s[4:5], s[20:21]
	s_cbranch_execnz .LBB379_1930
	s_branch .LBB379_1931
.LBB379_1950:
	s_mov_b64 s[0:1], -1
                                        ; implicit-def: $vgpr6
.LBB379_1951:
	s_mov_b64 s[22:23], 0
.LBB379_1952:
	s_and_b64 vcc, exec, s[22:23]
	s_cbranch_vccz .LBB379_1954
; %bb.1953:
	s_cmp_lg_u32 s26, 11
	s_mov_b64 s[4:5], -1
	s_cselect_b64 s[0:1], -1, 0
.LBB379_1954:
	s_and_b64 vcc, exec, s[0:1]
	s_cbranch_vccnz .LBB379_2019
; %bb.1955:
	s_andn2_b64 vcc, exec, s[4:5]
	s_cbranch_vccnz .LBB379_1957
.LBB379_1956:
	global_load_ubyte v6, v[4:5], off
	s_mov_b64 s[20:21], -1
	s_waitcnt vmcnt(0)
	v_cmp_ne_u16_e32 vcc, 0, v6
	v_cndmask_b32_e64 v6, 0, 1, vcc
.LBB379_1957:
	s_mov_b64 s[0:1], 0
.LBB379_1958:
	s_and_b64 vcc, exec, s[0:1]
	s_cbranch_vccz .LBB379_2007
; %bb.1959:
	s_and_b32 s4, 0xffff, s25
	s_cmp_lt_i32 s4, 5
	s_cbranch_scc1 .LBB379_1964
; %bb.1960:
	s_cmp_lt_i32 s4, 8
	s_cbranch_scc1 .LBB379_1965
; %bb.1961:
	;; [unrolled: 3-line block ×3, first 2 shown]
	s_cmp_gt_i32 s4, 9
	s_cbranch_scc0 .LBB379_1967
; %bb.1963:
	global_load_dwordx2 v[6:7], v[4:5], off
	s_mov_b64 s[0:1], 0
	s_waitcnt vmcnt(0)
	v_cvt_i32_f64_e32 v6, v[6:7]
	s_branch .LBB379_1968
.LBB379_1964:
	s_mov_b64 s[0:1], -1
                                        ; implicit-def: $vgpr6
	s_branch .LBB379_1986
.LBB379_1965:
	s_mov_b64 s[0:1], -1
                                        ; implicit-def: $vgpr6
	s_branch .LBB379_1974
.LBB379_1966:
	s_mov_b64 s[0:1], -1
                                        ; implicit-def: $vgpr6
	s_branch .LBB379_1971
.LBB379_1967:
	s_mov_b64 s[0:1], -1
                                        ; implicit-def: $vgpr6
.LBB379_1968:
	s_andn2_b64 vcc, exec, s[0:1]
	s_cbranch_vccnz .LBB379_1970
; %bb.1969:
	global_load_dword v6, v[4:5], off
	s_waitcnt vmcnt(0)
	v_cvt_i32_f32_e32 v6, v6
.LBB379_1970:
	s_mov_b64 s[0:1], 0
.LBB379_1971:
	s_andn2_b64 vcc, exec, s[0:1]
	s_cbranch_vccnz .LBB379_1973
; %bb.1972:
	global_load_dword v6, v[4:5], off
	s_waitcnt vmcnt(0)
	v_cvt_i16_f16_e32 v6, v6
.LBB379_1973:
	s_mov_b64 s[0:1], 0
.LBB379_1974:
	s_andn2_b64 vcc, exec, s[0:1]
	s_cbranch_vccnz .LBB379_1985
; %bb.1975:
	s_cmp_lt_i32 s4, 6
	s_cbranch_scc1 .LBB379_1978
; %bb.1976:
	s_cmp_gt_i32 s4, 6
	s_cbranch_scc0 .LBB379_1979
; %bb.1977:
	global_load_dwordx2 v[6:7], v[4:5], off
	s_mov_b64 s[0:1], 0
	s_waitcnt vmcnt(0)
	v_cvt_i32_f64_e32 v6, v[6:7]
	s_branch .LBB379_1980
.LBB379_1978:
	s_mov_b64 s[0:1], -1
                                        ; implicit-def: $vgpr6
	s_branch .LBB379_1983
.LBB379_1979:
	s_mov_b64 s[0:1], -1
                                        ; implicit-def: $vgpr6
.LBB379_1980:
	s_andn2_b64 vcc, exec, s[0:1]
	s_cbranch_vccnz .LBB379_1982
; %bb.1981:
	global_load_dword v6, v[4:5], off
	s_waitcnt vmcnt(0)
	v_cvt_i32_f32_e32 v6, v6
.LBB379_1982:
	s_mov_b64 s[0:1], 0
.LBB379_1983:
	s_andn2_b64 vcc, exec, s[0:1]
	s_cbranch_vccnz .LBB379_1985
; %bb.1984:
	global_load_ushort v6, v[4:5], off
	s_waitcnt vmcnt(0)
	v_cvt_i16_f16_e32 v6, v6
.LBB379_1985:
	s_mov_b64 s[0:1], 0
.LBB379_1986:
	s_andn2_b64 vcc, exec, s[0:1]
	s_cbranch_vccnz .LBB379_2006
; %bb.1987:
	s_cmp_lt_i32 s4, 2
	s_cbranch_scc1 .LBB379_1991
; %bb.1988:
	s_cmp_lt_i32 s4, 3
	s_cbranch_scc1 .LBB379_1992
; %bb.1989:
	s_cmp_gt_i32 s4, 3
	s_cbranch_scc0 .LBB379_1993
; %bb.1990:
	global_load_dwordx2 v[6:7], v[4:5], off
	s_mov_b64 s[0:1], 0
	s_branch .LBB379_1994
.LBB379_1991:
	s_mov_b64 s[0:1], -1
                                        ; implicit-def: $vgpr6
	s_branch .LBB379_2000
.LBB379_1992:
	s_mov_b64 s[0:1], -1
                                        ; implicit-def: $vgpr6
	s_branch .LBB379_1997
.LBB379_1993:
	s_mov_b64 s[0:1], -1
                                        ; implicit-def: $vgpr6
.LBB379_1994:
	s_andn2_b64 vcc, exec, s[0:1]
	s_cbranch_vccnz .LBB379_1996
; %bb.1995:
	global_load_dword v6, v[4:5], off
.LBB379_1996:
	s_mov_b64 s[0:1], 0
.LBB379_1997:
	s_andn2_b64 vcc, exec, s[0:1]
	s_cbranch_vccnz .LBB379_1999
; %bb.1998:
	global_load_ushort v6, v[4:5], off
.LBB379_1999:
	s_mov_b64 s[0:1], 0
.LBB379_2000:
	s_andn2_b64 vcc, exec, s[0:1]
	s_cbranch_vccnz .LBB379_2006
; %bb.2001:
	s_cmp_gt_i32 s4, 0
	s_cbranch_scc0 .LBB379_2003
; %bb.2002:
	global_load_ubyte v6, v[4:5], off
	s_mov_b64 s[0:1], 0
	s_branch .LBB379_2004
.LBB379_2003:
	s_mov_b64 s[0:1], -1
                                        ; implicit-def: $vgpr6
.LBB379_2004:
	s_andn2_b64 vcc, exec, s[0:1]
	s_cbranch_vccnz .LBB379_2006
; %bb.2005:
	global_load_ubyte v6, v[4:5], off
.LBB379_2006:
	s_mov_b64 s[20:21], -1
.LBB379_2007:
	s_andn2_b64 vcc, exec, s[20:21]
	s_cbranch_vccnz .LBB379_2947
; %bb.2008:
	v_add_u32_e32 v11, s13, v8
	v_ashrrev_i32_e32 v4, 31, v11
	v_mov_b32_e32 v5, s11
	s_waitcnt vmcnt(0)
	v_add_co_u32_e32 v7, vcc, s10, v11
	s_cmp_lt_i32 s24, 11
	v_addc_co_u32_e32 v8, vcc, v5, v4, vcc
	s_cbranch_scc1 .LBB379_2015
; %bb.2009:
	s_and_b32 s26, 0xffff, s24
	s_cmp_gt_i32 s26, 25
	s_mov_b64 s[4:5], 0
	s_cbranch_scc0 .LBB379_2016
; %bb.2010:
	s_cmp_gt_i32 s26, 28
	s_cbranch_scc0 .LBB379_2017
; %bb.2011:
	s_cmp_gt_i32 s26, 43
	;; [unrolled: 3-line block ×3, first 2 shown]
	s_cbranch_scc0 .LBB379_2020
; %bb.2013:
	s_cmp_eq_u32 s26, 46
	s_mov_b64 s[22:23], 0
	s_cbranch_scc0 .LBB379_2021
; %bb.2014:
	global_load_dword v4, v[7:8], off
	s_mov_b64 s[0:1], 0
	s_mov_b64 s[20:21], -1
	s_waitcnt vmcnt(0)
	v_lshlrev_b32_e32 v4, 16, v4
	v_cvt_i32_f32_e32 v4, v4
	s_branch .LBB379_2022
.LBB379_2015:
	s_mov_b64 s[0:1], -1
	s_mov_b64 s[20:21], 0
                                        ; implicit-def: $vgpr4
	s_branch .LBB379_2084
.LBB379_2016:
	s_mov_b64 s[22:23], -1
	s_mov_b64 s[20:21], 0
	s_mov_b64 s[0:1], 0
                                        ; implicit-def: $vgpr4
	s_branch .LBB379_2049
.LBB379_2017:
	s_mov_b64 s[22:23], -1
	s_mov_b64 s[20:21], 0
	s_mov_b64 s[0:1], 0
                                        ; implicit-def: $vgpr4
	s_branch .LBB379_2032
.LBB379_2018:
	s_mov_b64 s[22:23], -1
	s_mov_b64 s[20:21], 0
	s_mov_b64 s[0:1], 0
                                        ; implicit-def: $vgpr4
	s_branch .LBB379_2027
.LBB379_2019:
	s_trap 2
	s_or_b64 s[18:19], s[18:19], exec
	s_cbranch_execz .LBB379_1956
	s_branch .LBB379_1957
.LBB379_2020:
	s_mov_b64 s[22:23], -1
	s_mov_b64 s[20:21], 0
	s_mov_b64 s[0:1], 0
                                        ; implicit-def: $vgpr4
	s_branch .LBB379_2022
.LBB379_2021:
	s_mov_b64 s[0:1], -1
                                        ; implicit-def: $vgpr4
	s_mov_b64 s[20:21], 0
.LBB379_2022:
	s_and_b64 vcc, exec, s[22:23]
	s_cbranch_vccz .LBB379_2026
; %bb.2023:
	s_cmp_eq_u32 s26, 44
	s_cbranch_scc0 .LBB379_2025
; %bb.2024:
	global_load_ubyte v4, v[7:8], off
	s_mov_b64 s[0:1], 0
	s_mov_b64 s[20:21], -1
	s_waitcnt vmcnt(0)
	v_lshlrev_b32_e32 v5, 23, v4
	v_cvt_i32_f32_e32 v5, v5
	v_cmp_ne_u32_e32 vcc, 0, v4
	v_cndmask_b32_e32 v4, 0, v5, vcc
	s_branch .LBB379_2026
.LBB379_2025:
	s_mov_b64 s[0:1], -1
                                        ; implicit-def: $vgpr4
.LBB379_2026:
	s_mov_b64 s[22:23], 0
.LBB379_2027:
	s_and_b64 vcc, exec, s[22:23]
	s_cbranch_vccz .LBB379_2031
; %bb.2028:
	s_cmp_eq_u32 s26, 29
	s_cbranch_scc0 .LBB379_2030
; %bb.2029:
	global_load_dwordx2 v[4:5], v[7:8], off
	s_mov_b64 s[0:1], 0
	s_mov_b64 s[20:21], -1
	s_branch .LBB379_2031
.LBB379_2030:
	s_mov_b64 s[0:1], -1
                                        ; implicit-def: $vgpr4
.LBB379_2031:
	s_mov_b64 s[22:23], 0
.LBB379_2032:
	s_and_b64 vcc, exec, s[22:23]
	s_cbranch_vccz .LBB379_2048
; %bb.2033:
	s_cmp_lt_i32 s26, 27
	s_cbranch_scc1 .LBB379_2036
; %bb.2034:
	s_cmp_gt_i32 s26, 27
	s_cbranch_scc0 .LBB379_2037
; %bb.2035:
	global_load_dword v4, v[7:8], off
	s_mov_b64 s[20:21], 0
	s_branch .LBB379_2038
.LBB379_2036:
	s_mov_b64 s[20:21], -1
                                        ; implicit-def: $vgpr4
	s_branch .LBB379_2041
.LBB379_2037:
	s_mov_b64 s[20:21], -1
                                        ; implicit-def: $vgpr4
.LBB379_2038:
	s_andn2_b64 vcc, exec, s[20:21]
	s_cbranch_vccnz .LBB379_2040
; %bb.2039:
	global_load_ushort v4, v[7:8], off
.LBB379_2040:
	s_mov_b64 s[20:21], 0
.LBB379_2041:
	s_andn2_b64 vcc, exec, s[20:21]
	s_cbranch_vccnz .LBB379_2047
; %bb.2042:
	global_load_ubyte v5, v[7:8], off
	s_movk_i32 s20, 0x7f
	s_mov_b64 s[22:23], 0
	s_waitcnt vmcnt(0)
	v_cmp_lt_i16_e32 vcc, s20, v5
	s_and_saveexec_b64 s[20:21], vcc
	s_xor_b64 s[20:21], exec, s[20:21]
	s_cbranch_execz .LBB379_2059
; %bb.2043:
	s_movk_i32 s22, 0x80
	v_cmp_ne_u16_e32 vcc, s22, v5
	s_and_b64 s[22:23], vcc, exec
	s_andn2_saveexec_b64 s[20:21], s[20:21]
	s_cbranch_execnz .LBB379_2060
.LBB379_2044:
	s_or_b64 exec, exec, s[20:21]
	v_mov_b32_e32 v4, 0
	s_and_saveexec_b64 s[20:21], s[22:23]
	s_cbranch_execz .LBB379_2046
.LBB379_2045:
	v_lshlrev_b32_e32 v4, 24, v5
	v_and_b32_e32 v5, 0xffff, v5
	v_and_b32_e32 v9, 7, v5
	v_ffbh_u32_e32 v12, v9
	v_min_u32_e32 v12, 32, v12
	v_subrev_u32_e32 v13, 28, v12
	v_bfe_u32 v10, v5, 3, 4
	v_lshlrev_b32_e32 v5, v13, v5
	v_sub_u32_e32 v12, 29, v12
	v_and_b32_e32 v5, 7, v5
	v_cmp_eq_u32_e32 vcc, 0, v10
	v_cndmask_b32_e32 v10, v10, v12, vcc
	v_cndmask_b32_e32 v5, v9, v5, vcc
	v_mov_b32_e32 v9, 0x3b800000
	v_lshlrev_b32_e32 v5, 20, v5
	v_and_b32_e32 v4, 0x80000000, v4
	v_lshl_add_u32 v9, v10, 23, v9
	v_or3_b32 v4, v4, v9, v5
	v_cvt_i32_f32_e32 v4, v4
.LBB379_2046:
	s_or_b64 exec, exec, s[20:21]
.LBB379_2047:
	s_mov_b64 s[20:21], -1
.LBB379_2048:
	s_mov_b64 s[22:23], 0
.LBB379_2049:
	s_and_b64 vcc, exec, s[22:23]
	s_cbranch_vccz .LBB379_2080
; %bb.2050:
	s_cmp_gt_i32 s26, 22
	s_cbranch_scc0 .LBB379_2058
; %bb.2051:
	s_cmp_lt_i32 s26, 24
	s_cbranch_scc1 .LBB379_2061
; %bb.2052:
	s_cmp_gt_i32 s26, 24
	s_cbranch_scc0 .LBB379_2062
; %bb.2053:
	global_load_ubyte v5, v[7:8], off
	s_movk_i32 s4, 0x7f
	s_mov_b64 s[20:21], 0
	s_waitcnt vmcnt(0)
	v_cmp_lt_i16_e32 vcc, s4, v5
	s_and_saveexec_b64 s[4:5], vcc
	s_xor_b64 s[4:5], exec, s[4:5]
	s_cbranch_execz .LBB379_2074
; %bb.2054:
	s_movk_i32 s20, 0x80
	v_cmp_ne_u16_e32 vcc, s20, v5
	s_and_b64 s[20:21], vcc, exec
	s_andn2_saveexec_b64 s[4:5], s[4:5]
	s_cbranch_execnz .LBB379_2075
.LBB379_2055:
	s_or_b64 exec, exec, s[4:5]
	v_mov_b32_e32 v4, 0
	s_and_saveexec_b64 s[4:5], s[20:21]
	s_cbranch_execz .LBB379_2057
.LBB379_2056:
	v_lshlrev_b32_e32 v4, 24, v5
	v_and_b32_e32 v5, 0xffff, v5
	v_and_b32_e32 v9, 3, v5
	v_ffbh_u32_e32 v12, v9
	v_min_u32_e32 v12, 32, v12
	v_subrev_u32_e32 v13, 29, v12
	v_bfe_u32 v10, v5, 2, 5
	v_lshlrev_b32_e32 v5, v13, v5
	v_sub_u32_e32 v12, 30, v12
	v_and_b32_e32 v5, 3, v5
	v_cmp_eq_u32_e32 vcc, 0, v10
	v_cndmask_b32_e32 v10, v10, v12, vcc
	v_cndmask_b32_e32 v5, v9, v5, vcc
	v_mov_b32_e32 v9, 0x37800000
	v_lshlrev_b32_e32 v5, 21, v5
	v_and_b32_e32 v4, 0x80000000, v4
	v_lshl_add_u32 v9, v10, 23, v9
	v_or3_b32 v4, v4, v9, v5
	v_cvt_i32_f32_e32 v4, v4
.LBB379_2057:
	s_or_b64 exec, exec, s[4:5]
	s_mov_b64 s[4:5], 0
	s_branch .LBB379_2063
.LBB379_2058:
	s_mov_b64 s[4:5], -1
                                        ; implicit-def: $vgpr4
	s_branch .LBB379_2069
.LBB379_2059:
	s_andn2_saveexec_b64 s[20:21], s[20:21]
	s_cbranch_execz .LBB379_2044
.LBB379_2060:
	v_cmp_ne_u16_e32 vcc, 0, v5
	s_andn2_b64 s[22:23], s[22:23], exec
	s_and_b64 s[28:29], vcc, exec
	s_or_b64 s[22:23], s[22:23], s[28:29]
	s_or_b64 exec, exec, s[20:21]
	v_mov_b32_e32 v4, 0
	s_and_saveexec_b64 s[20:21], s[22:23]
	s_cbranch_execnz .LBB379_2045
	s_branch .LBB379_2046
.LBB379_2061:
	s_mov_b64 s[4:5], -1
                                        ; implicit-def: $vgpr4
	s_branch .LBB379_2066
.LBB379_2062:
	s_mov_b64 s[4:5], -1
                                        ; implicit-def: $vgpr4
.LBB379_2063:
	s_and_b64 vcc, exec, s[4:5]
	s_cbranch_vccz .LBB379_2065
; %bb.2064:
	global_load_ubyte v4, v[7:8], off
	s_mov_b32 s4, 0x7f800000
	s_waitcnt vmcnt(0)
	v_lshlrev_b32_e32 v4, 24, v4
	v_and_b32_e32 v5, 0x7f000000, v4
	v_ffbh_u32_e32 v9, v5
	v_min_u32_e32 v9, 32, v9
	v_sub_u32_e64 v9, v9, 4 clamp
	v_lshlrev_b32_e32 v12, v9, v5
	v_lshlrev_b32_e32 v9, 23, v9
	v_lshrrev_b32_e32 v12, 4, v12
	v_add_u32_e32 v10, 0x1000000, v5
	v_sub_u32_e32 v9, v12, v9
	v_ashrrev_i32_e32 v10, 8, v10
	v_add_u32_e32 v9, 0x3c000000, v9
	v_and_or_b32 v9, v10, s4, v9
	v_cmp_ne_u32_e32 vcc, 0, v5
	v_cndmask_b32_e32 v5, 0, v9, vcc
	s_brev_b32 s4, 1
	v_and_or_b32 v4, v4, s4, v5
	v_cvt_i32_f32_e32 v4, v4
.LBB379_2065:
	s_mov_b64 s[4:5], 0
.LBB379_2066:
	s_andn2_b64 vcc, exec, s[4:5]
	s_cbranch_vccnz .LBB379_2068
; %bb.2067:
	global_load_ubyte v4, v[7:8], off
	s_movk_i32 s4, 0x7f00
	s_brev_b32 s5, 16
	s_waitcnt vmcnt(0)
	v_lshlrev_b16_e32 v5, 8, v4
	v_lshlrev_b32_e32 v4, 25, v4
	v_lshrrev_b32_e32 v9, 4, v4
	v_and_or_b32 v10, v5, s4, 0.5
	v_or_b32_e32 v9, 0x70000000, v9
	v_add_f32_e32 v10, -0.5, v10
	v_mul_f32_e32 v9, 0x7800000, v9
	v_cmp_gt_u32_e32 vcc, s5, v4
	v_bfe_i32 v5, v5, 0, 16
	v_cndmask_b32_e32 v4, v9, v10, vcc
	s_brev_b32 s4, 1
	v_and_or_b32 v4, v5, s4, v4
	v_cvt_i32_f32_e32 v4, v4
.LBB379_2068:
	s_mov_b64 s[4:5], 0
	s_mov_b64 s[20:21], -1
.LBB379_2069:
	s_andn2_b64 vcc, exec, s[4:5]
	s_mov_b64 s[4:5], 0
	s_cbranch_vccnz .LBB379_2080
; %bb.2070:
	s_cmp_gt_i32 s26, 14
	s_cbranch_scc0 .LBB379_2073
; %bb.2071:
	s_cmp_eq_u32 s26, 15
	s_cbranch_scc0 .LBB379_2076
; %bb.2072:
	global_load_ushort v4, v[7:8], off
	s_mov_b64 s[0:1], 0
	s_mov_b64 s[20:21], -1
	s_waitcnt vmcnt(0)
	v_lshlrev_b32_e32 v4, 16, v4
	v_cvt_i32_f32_e32 v4, v4
	s_branch .LBB379_2077
.LBB379_2073:
	s_mov_b64 s[22:23], -1
                                        ; implicit-def: $vgpr4
	s_branch .LBB379_2078
.LBB379_2074:
	s_andn2_saveexec_b64 s[4:5], s[4:5]
	s_cbranch_execz .LBB379_2055
.LBB379_2075:
	v_cmp_ne_u16_e32 vcc, 0, v5
	s_andn2_b64 s[20:21], s[20:21], exec
	s_and_b64 s[22:23], vcc, exec
	s_or_b64 s[20:21], s[20:21], s[22:23]
	s_or_b64 exec, exec, s[4:5]
	v_mov_b32_e32 v4, 0
	s_and_saveexec_b64 s[4:5], s[20:21]
	s_cbranch_execnz .LBB379_2056
	s_branch .LBB379_2057
.LBB379_2076:
	s_mov_b64 s[0:1], -1
                                        ; implicit-def: $vgpr4
.LBB379_2077:
	s_mov_b64 s[22:23], 0
.LBB379_2078:
	s_and_b64 vcc, exec, s[22:23]
	s_cbranch_vccz .LBB379_2080
; %bb.2079:
	s_cmp_lg_u32 s26, 11
	s_mov_b64 s[4:5], -1
	s_cselect_b64 s[0:1], -1, 0
.LBB379_2080:
	s_and_b64 vcc, exec, s[0:1]
	s_cbranch_vccnz .LBB379_2145
; %bb.2081:
	s_andn2_b64 vcc, exec, s[4:5]
	s_cbranch_vccnz .LBB379_2083
.LBB379_2082:
	global_load_ubyte v4, v[7:8], off
	s_mov_b64 s[20:21], -1
	s_waitcnt vmcnt(0)
	v_cmp_ne_u16_e32 vcc, 0, v4
	v_cndmask_b32_e64 v4, 0, 1, vcc
.LBB379_2083:
	s_mov_b64 s[0:1], 0
.LBB379_2084:
	s_and_b64 vcc, exec, s[0:1]
	s_cbranch_vccz .LBB379_2133
; %bb.2085:
	s_and_b32 s4, 0xffff, s24
	s_cmp_lt_i32 s4, 5
	s_cbranch_scc1 .LBB379_2090
; %bb.2086:
	s_cmp_lt_i32 s4, 8
	s_cbranch_scc1 .LBB379_2091
; %bb.2087:
	;; [unrolled: 3-line block ×3, first 2 shown]
	s_cmp_gt_i32 s4, 9
	s_cbranch_scc0 .LBB379_2093
; %bb.2089:
	global_load_dwordx2 v[4:5], v[7:8], off
	s_mov_b64 s[0:1], 0
	s_waitcnt vmcnt(0)
	v_cvt_i32_f64_e32 v4, v[4:5]
	s_branch .LBB379_2094
.LBB379_2090:
	s_mov_b64 s[0:1], -1
                                        ; implicit-def: $vgpr4
	s_branch .LBB379_2112
.LBB379_2091:
	s_mov_b64 s[0:1], -1
                                        ; implicit-def: $vgpr4
	s_branch .LBB379_2100
.LBB379_2092:
	s_mov_b64 s[0:1], -1
                                        ; implicit-def: $vgpr4
	s_branch .LBB379_2097
.LBB379_2093:
	s_mov_b64 s[0:1], -1
                                        ; implicit-def: $vgpr4
.LBB379_2094:
	s_andn2_b64 vcc, exec, s[0:1]
	s_cbranch_vccnz .LBB379_2096
; %bb.2095:
	global_load_dword v4, v[7:8], off
	s_waitcnt vmcnt(0)
	v_cvt_i32_f32_e32 v4, v4
.LBB379_2096:
	s_mov_b64 s[0:1], 0
.LBB379_2097:
	s_andn2_b64 vcc, exec, s[0:1]
	s_cbranch_vccnz .LBB379_2099
; %bb.2098:
	global_load_dword v4, v[7:8], off
	s_waitcnt vmcnt(0)
	v_cvt_i16_f16_e32 v4, v4
.LBB379_2099:
	s_mov_b64 s[0:1], 0
.LBB379_2100:
	s_andn2_b64 vcc, exec, s[0:1]
	s_cbranch_vccnz .LBB379_2111
; %bb.2101:
	s_cmp_lt_i32 s4, 6
	s_cbranch_scc1 .LBB379_2104
; %bb.2102:
	s_cmp_gt_i32 s4, 6
	s_cbranch_scc0 .LBB379_2105
; %bb.2103:
	global_load_dwordx2 v[4:5], v[7:8], off
	s_mov_b64 s[0:1], 0
	s_waitcnt vmcnt(0)
	v_cvt_i32_f64_e32 v4, v[4:5]
	s_branch .LBB379_2106
.LBB379_2104:
	s_mov_b64 s[0:1], -1
                                        ; implicit-def: $vgpr4
	s_branch .LBB379_2109
.LBB379_2105:
	s_mov_b64 s[0:1], -1
                                        ; implicit-def: $vgpr4
.LBB379_2106:
	s_andn2_b64 vcc, exec, s[0:1]
	s_cbranch_vccnz .LBB379_2108
; %bb.2107:
	global_load_dword v4, v[7:8], off
	s_waitcnt vmcnt(0)
	v_cvt_i32_f32_e32 v4, v4
.LBB379_2108:
	s_mov_b64 s[0:1], 0
.LBB379_2109:
	s_andn2_b64 vcc, exec, s[0:1]
	s_cbranch_vccnz .LBB379_2111
; %bb.2110:
	global_load_ushort v4, v[7:8], off
	s_waitcnt vmcnt(0)
	v_cvt_i16_f16_e32 v4, v4
.LBB379_2111:
	s_mov_b64 s[0:1], 0
.LBB379_2112:
	s_andn2_b64 vcc, exec, s[0:1]
	s_cbranch_vccnz .LBB379_2132
; %bb.2113:
	s_cmp_lt_i32 s4, 2
	s_cbranch_scc1 .LBB379_2117
; %bb.2114:
	s_cmp_lt_i32 s4, 3
	s_cbranch_scc1 .LBB379_2118
; %bb.2115:
	s_cmp_gt_i32 s4, 3
	s_cbranch_scc0 .LBB379_2119
; %bb.2116:
	global_load_dwordx2 v[4:5], v[7:8], off
	s_mov_b64 s[0:1], 0
	s_branch .LBB379_2120
.LBB379_2117:
	s_mov_b64 s[0:1], -1
                                        ; implicit-def: $vgpr4
	s_branch .LBB379_2126
.LBB379_2118:
	s_mov_b64 s[0:1], -1
                                        ; implicit-def: $vgpr4
	s_branch .LBB379_2123
.LBB379_2119:
	s_mov_b64 s[0:1], -1
                                        ; implicit-def: $vgpr4
.LBB379_2120:
	s_andn2_b64 vcc, exec, s[0:1]
	s_cbranch_vccnz .LBB379_2122
; %bb.2121:
	global_load_dword v4, v[7:8], off
.LBB379_2122:
	s_mov_b64 s[0:1], 0
.LBB379_2123:
	s_andn2_b64 vcc, exec, s[0:1]
	s_cbranch_vccnz .LBB379_2125
; %bb.2124:
	global_load_ushort v4, v[7:8], off
.LBB379_2125:
	s_mov_b64 s[0:1], 0
.LBB379_2126:
	s_andn2_b64 vcc, exec, s[0:1]
	s_cbranch_vccnz .LBB379_2132
; %bb.2127:
	s_cmp_gt_i32 s4, 0
	s_cbranch_scc0 .LBB379_2129
; %bb.2128:
	global_load_ubyte v4, v[7:8], off
	s_mov_b64 s[0:1], 0
	s_branch .LBB379_2130
.LBB379_2129:
	s_mov_b64 s[0:1], -1
                                        ; implicit-def: $vgpr4
.LBB379_2130:
	s_andn2_b64 vcc, exec, s[0:1]
	s_cbranch_vccnz .LBB379_2132
; %bb.2131:
	global_load_ubyte v4, v[7:8], off
.LBB379_2132:
	s_mov_b64 s[20:21], -1
.LBB379_2133:
	s_andn2_b64 vcc, exec, s[20:21]
	s_cbranch_vccnz .LBB379_2947
; %bb.2134:
	v_add_u32_e32 v2, s14, v2
	s_waitcnt vmcnt(0)
	v_ashrrev_i32_e32 v5, 31, v2
	v_mov_b32_e32 v8, s3
	v_add_co_u32_e32 v7, vcc, s2, v2
	s_cmp_lt_i32 s25, 11
	v_addc_co_u32_e32 v8, vcc, v8, v5, vcc
	s_cbranch_scc1 .LBB379_2141
; %bb.2135:
	s_and_b32 s26, 0xffff, s25
	s_cmp_gt_i32 s26, 25
	s_mov_b64 s[4:5], 0
	s_cbranch_scc0 .LBB379_2142
; %bb.2136:
	s_cmp_gt_i32 s26, 28
	s_cbranch_scc0 .LBB379_2143
; %bb.2137:
	s_cmp_gt_i32 s26, 43
	;; [unrolled: 3-line block ×3, first 2 shown]
	s_cbranch_scc0 .LBB379_2146
; %bb.2139:
	s_cmp_eq_u32 s26, 46
	s_mov_b64 s[22:23], 0
	s_cbranch_scc0 .LBB379_2149
; %bb.2140:
	global_load_dword v5, v[7:8], off
	s_mov_b64 s[0:1], 0
	s_mov_b64 s[20:21], -1
	s_waitcnt vmcnt(0)
	v_lshlrev_b32_e32 v5, 16, v5
	v_cvt_i32_f32_e32 v9, v5
	s_branch .LBB379_2150
.LBB379_2141:
	s_mov_b64 s[0:1], -1
	s_mov_b64 s[20:21], 0
                                        ; implicit-def: $vgpr9
	s_branch .LBB379_2212
.LBB379_2142:
	s_mov_b64 s[22:23], -1
	s_mov_b64 s[20:21], 0
	s_mov_b64 s[0:1], 0
                                        ; implicit-def: $vgpr9
	s_branch .LBB379_2177
.LBB379_2143:
	s_mov_b64 s[22:23], -1
	s_mov_b64 s[20:21], 0
	s_mov_b64 s[0:1], 0
                                        ; implicit-def: $vgpr9
	s_branch .LBB379_2160
.LBB379_2144:
	s_mov_b64 s[22:23], -1
	s_mov_b64 s[20:21], 0
	s_mov_b64 s[0:1], 0
                                        ; implicit-def: $vgpr9
	s_branch .LBB379_2155
.LBB379_2145:
	s_trap 2
	s_or_b64 s[18:19], s[18:19], exec
	s_cbranch_execz .LBB379_2082
	s_branch .LBB379_2083
.LBB379_2146:
	s_mov_b64 s[22:23], -1
	s_mov_b64 s[20:21], 0
	s_mov_b64 s[0:1], 0
                                        ; implicit-def: $vgpr9
	s_branch .LBB379_2150
.LBB379_2147:
	s_andn2_saveexec_b64 s[48:49], s[48:49]
	s_cbranch_execz .LBB379_1061
.LBB379_2148:
	v_add_f32_e32 v2, 0x42800000, v3
	v_and_b32_e32 v2, 0xff, v2
	v_cmp_ne_u32_e32 vcc, 0, v2
	s_andn2_b64 s[46:47], s[46:47], exec
	s_and_b64 s[54:55], vcc, exec
	s_or_b64 s[46:47], s[46:47], s[54:55]
	s_or_b64 exec, exec, s[48:49]
	v_mov_b32_e32 v4, 0
	s_and_saveexec_b64 s[48:49], s[46:47]
	s_cbranch_execnz .LBB379_1062
	s_branch .LBB379_1063
.LBB379_2149:
	s_mov_b64 s[0:1], -1
                                        ; implicit-def: $vgpr9
	s_mov_b64 s[20:21], 0
.LBB379_2150:
	s_and_b64 vcc, exec, s[22:23]
	s_cbranch_vccz .LBB379_2154
; %bb.2151:
	s_cmp_eq_u32 s26, 44
	s_cbranch_scc0 .LBB379_2153
; %bb.2152:
	global_load_ubyte v5, v[7:8], off
	s_mov_b64 s[0:1], 0
	s_mov_b64 s[20:21], -1
	s_waitcnt vmcnt(0)
	v_lshlrev_b32_e32 v9, 23, v5
	v_cvt_i32_f32_e32 v9, v9
	v_cmp_ne_u32_e32 vcc, 0, v5
	v_cndmask_b32_e32 v9, 0, v9, vcc
	s_branch .LBB379_2154
.LBB379_2153:
	s_mov_b64 s[0:1], -1
                                        ; implicit-def: $vgpr9
.LBB379_2154:
	s_mov_b64 s[22:23], 0
.LBB379_2155:
	s_and_b64 vcc, exec, s[22:23]
	s_cbranch_vccz .LBB379_2159
; %bb.2156:
	s_cmp_eq_u32 s26, 29
	s_cbranch_scc0 .LBB379_2158
; %bb.2157:
	global_load_dwordx2 v[9:10], v[7:8], off
	s_mov_b64 s[0:1], 0
	s_mov_b64 s[20:21], -1
	s_branch .LBB379_2159
.LBB379_2158:
	s_mov_b64 s[0:1], -1
                                        ; implicit-def: $vgpr9
.LBB379_2159:
	s_mov_b64 s[22:23], 0
.LBB379_2160:
	s_and_b64 vcc, exec, s[22:23]
	s_cbranch_vccz .LBB379_2176
; %bb.2161:
	s_cmp_lt_i32 s26, 27
	s_cbranch_scc1 .LBB379_2164
; %bb.2162:
	s_cmp_gt_i32 s26, 27
	s_cbranch_scc0 .LBB379_2165
; %bb.2163:
	global_load_dword v9, v[7:8], off
	s_mov_b64 s[20:21], 0
	s_branch .LBB379_2166
.LBB379_2164:
	s_mov_b64 s[20:21], -1
                                        ; implicit-def: $vgpr9
	s_branch .LBB379_2169
.LBB379_2165:
	s_mov_b64 s[20:21], -1
                                        ; implicit-def: $vgpr9
.LBB379_2166:
	s_andn2_b64 vcc, exec, s[20:21]
	s_cbranch_vccnz .LBB379_2168
; %bb.2167:
	global_load_ushort v9, v[7:8], off
.LBB379_2168:
	s_mov_b64 s[20:21], 0
.LBB379_2169:
	s_andn2_b64 vcc, exec, s[20:21]
	s_cbranch_vccnz .LBB379_2175
; %bb.2170:
	global_load_ubyte v5, v[7:8], off
	s_movk_i32 s20, 0x7f
	s_mov_b64 s[22:23], 0
	s_waitcnt vmcnt(0)
	v_cmp_lt_i16_e32 vcc, s20, v5
	s_and_saveexec_b64 s[20:21], vcc
	s_xor_b64 s[20:21], exec, s[20:21]
	s_cbranch_execz .LBB379_2187
; %bb.2171:
	s_movk_i32 s22, 0x80
	v_cmp_ne_u16_e32 vcc, s22, v5
	s_and_b64 s[22:23], vcc, exec
	s_andn2_saveexec_b64 s[20:21], s[20:21]
	s_cbranch_execnz .LBB379_2188
.LBB379_2172:
	s_or_b64 exec, exec, s[20:21]
	v_mov_b32_e32 v9, 0
	s_and_saveexec_b64 s[20:21], s[22:23]
	s_cbranch_execz .LBB379_2174
.LBB379_2173:
	v_lshlrev_b32_e32 v9, 24, v5
	v_and_b32_e32 v5, 0xffff, v5
	v_and_b32_e32 v10, 7, v5
	v_ffbh_u32_e32 v13, v10
	v_min_u32_e32 v13, 32, v13
	v_subrev_u32_e32 v15, 28, v13
	v_bfe_u32 v12, v5, 3, 4
	v_lshlrev_b32_e32 v5, v15, v5
	v_sub_u32_e32 v13, 29, v13
	v_and_b32_e32 v5, 7, v5
	v_cmp_eq_u32_e32 vcc, 0, v12
	v_cndmask_b32_e32 v12, v12, v13, vcc
	v_cndmask_b32_e32 v5, v10, v5, vcc
	v_mov_b32_e32 v10, 0x3b800000
	v_lshlrev_b32_e32 v5, 20, v5
	v_and_b32_e32 v9, 0x80000000, v9
	v_lshl_add_u32 v10, v12, 23, v10
	v_or3_b32 v5, v9, v10, v5
	v_cvt_i32_f32_e32 v9, v5
.LBB379_2174:
	s_or_b64 exec, exec, s[20:21]
.LBB379_2175:
	s_mov_b64 s[20:21], -1
.LBB379_2176:
	s_mov_b64 s[22:23], 0
.LBB379_2177:
	s_and_b64 vcc, exec, s[22:23]
	s_cbranch_vccz .LBB379_2208
; %bb.2178:
	s_cmp_gt_i32 s26, 22
	s_cbranch_scc0 .LBB379_2186
; %bb.2179:
	s_cmp_lt_i32 s26, 24
	s_cbranch_scc1 .LBB379_2189
; %bb.2180:
	s_cmp_gt_i32 s26, 24
	s_cbranch_scc0 .LBB379_2190
; %bb.2181:
	global_load_ubyte v5, v[7:8], off
	s_movk_i32 s4, 0x7f
	s_mov_b64 s[20:21], 0
	s_waitcnt vmcnt(0)
	v_cmp_lt_i16_e32 vcc, s4, v5
	s_and_saveexec_b64 s[4:5], vcc
	s_xor_b64 s[4:5], exec, s[4:5]
	s_cbranch_execz .LBB379_2202
; %bb.2182:
	s_movk_i32 s20, 0x80
	v_cmp_ne_u16_e32 vcc, s20, v5
	s_and_b64 s[20:21], vcc, exec
	s_andn2_saveexec_b64 s[4:5], s[4:5]
	s_cbranch_execnz .LBB379_2203
.LBB379_2183:
	s_or_b64 exec, exec, s[4:5]
	v_mov_b32_e32 v9, 0
	s_and_saveexec_b64 s[4:5], s[20:21]
	s_cbranch_execz .LBB379_2185
.LBB379_2184:
	v_lshlrev_b32_e32 v9, 24, v5
	v_and_b32_e32 v5, 0xffff, v5
	v_and_b32_e32 v10, 3, v5
	v_ffbh_u32_e32 v13, v10
	v_min_u32_e32 v13, 32, v13
	v_subrev_u32_e32 v15, 29, v13
	v_bfe_u32 v12, v5, 2, 5
	v_lshlrev_b32_e32 v5, v15, v5
	v_sub_u32_e32 v13, 30, v13
	v_and_b32_e32 v5, 3, v5
	v_cmp_eq_u32_e32 vcc, 0, v12
	v_cndmask_b32_e32 v12, v12, v13, vcc
	v_cndmask_b32_e32 v5, v10, v5, vcc
	v_mov_b32_e32 v10, 0x37800000
	v_lshlrev_b32_e32 v5, 21, v5
	v_and_b32_e32 v9, 0x80000000, v9
	v_lshl_add_u32 v10, v12, 23, v10
	v_or3_b32 v5, v9, v10, v5
	v_cvt_i32_f32_e32 v9, v5
.LBB379_2185:
	s_or_b64 exec, exec, s[4:5]
	s_mov_b64 s[4:5], 0
	s_branch .LBB379_2191
.LBB379_2186:
	s_mov_b64 s[4:5], -1
                                        ; implicit-def: $vgpr9
	s_branch .LBB379_2197
.LBB379_2187:
	s_andn2_saveexec_b64 s[20:21], s[20:21]
	s_cbranch_execz .LBB379_2172
.LBB379_2188:
	v_cmp_ne_u16_e32 vcc, 0, v5
	s_andn2_b64 s[22:23], s[22:23], exec
	s_and_b64 s[28:29], vcc, exec
	s_or_b64 s[22:23], s[22:23], s[28:29]
	s_or_b64 exec, exec, s[20:21]
	v_mov_b32_e32 v9, 0
	s_and_saveexec_b64 s[20:21], s[22:23]
	s_cbranch_execnz .LBB379_2173
	s_branch .LBB379_2174
.LBB379_2189:
	s_mov_b64 s[4:5], -1
                                        ; implicit-def: $vgpr9
	s_branch .LBB379_2194
.LBB379_2190:
	s_mov_b64 s[4:5], -1
                                        ; implicit-def: $vgpr9
.LBB379_2191:
	s_and_b64 vcc, exec, s[4:5]
	s_cbranch_vccz .LBB379_2193
; %bb.2192:
	global_load_ubyte v5, v[7:8], off
	s_mov_b32 s4, 0x7f800000
	s_waitcnt vmcnt(0)
	v_lshlrev_b32_e32 v5, 24, v5
	v_and_b32_e32 v9, 0x7f000000, v5
	v_ffbh_u32_e32 v10, v9
	v_min_u32_e32 v10, 32, v10
	v_sub_u32_e64 v10, v10, 4 clamp
	v_lshlrev_b32_e32 v13, v10, v9
	v_lshlrev_b32_e32 v10, 23, v10
	v_lshrrev_b32_e32 v13, 4, v13
	v_add_u32_e32 v12, 0x1000000, v9
	v_sub_u32_e32 v10, v13, v10
	v_ashrrev_i32_e32 v12, 8, v12
	v_add_u32_e32 v10, 0x3c000000, v10
	v_and_or_b32 v10, v12, s4, v10
	v_cmp_ne_u32_e32 vcc, 0, v9
	v_cndmask_b32_e32 v9, 0, v10, vcc
	s_brev_b32 s4, 1
	v_and_or_b32 v5, v5, s4, v9
	v_cvt_i32_f32_e32 v9, v5
.LBB379_2193:
	s_mov_b64 s[4:5], 0
.LBB379_2194:
	s_andn2_b64 vcc, exec, s[4:5]
	s_cbranch_vccnz .LBB379_2196
; %bb.2195:
	global_load_ubyte v5, v[7:8], off
	s_movk_i32 s4, 0x7f00
	s_brev_b32 s5, 16
	s_waitcnt vmcnt(0)
	v_lshlrev_b16_e32 v9, 8, v5
	v_lshlrev_b32_e32 v5, 25, v5
	v_lshrrev_b32_e32 v10, 4, v5
	v_and_or_b32 v12, v9, s4, 0.5
	v_or_b32_e32 v10, 0x70000000, v10
	v_add_f32_e32 v12, -0.5, v12
	v_mul_f32_e32 v10, 0x7800000, v10
	v_cmp_gt_u32_e32 vcc, s5, v5
	v_bfe_i32 v9, v9, 0, 16
	v_cndmask_b32_e32 v5, v10, v12, vcc
	s_brev_b32 s4, 1
	v_and_or_b32 v5, v9, s4, v5
	v_cvt_i32_f32_e32 v9, v5
.LBB379_2196:
	s_mov_b64 s[4:5], 0
	s_mov_b64 s[20:21], -1
.LBB379_2197:
	s_andn2_b64 vcc, exec, s[4:5]
	s_mov_b64 s[4:5], 0
	s_cbranch_vccnz .LBB379_2208
; %bb.2198:
	s_cmp_gt_i32 s26, 14
	s_cbranch_scc0 .LBB379_2201
; %bb.2199:
	s_cmp_eq_u32 s26, 15
	s_cbranch_scc0 .LBB379_2204
; %bb.2200:
	global_load_ushort v5, v[7:8], off
	s_mov_b64 s[0:1], 0
	s_mov_b64 s[20:21], -1
	s_waitcnt vmcnt(0)
	v_lshlrev_b32_e32 v5, 16, v5
	v_cvt_i32_f32_e32 v9, v5
	s_branch .LBB379_2205
.LBB379_2201:
	s_mov_b64 s[22:23], -1
                                        ; implicit-def: $vgpr9
	s_branch .LBB379_2206
.LBB379_2202:
	s_andn2_saveexec_b64 s[4:5], s[4:5]
	s_cbranch_execz .LBB379_2183
.LBB379_2203:
	v_cmp_ne_u16_e32 vcc, 0, v5
	s_andn2_b64 s[20:21], s[20:21], exec
	s_and_b64 s[22:23], vcc, exec
	s_or_b64 s[20:21], s[20:21], s[22:23]
	s_or_b64 exec, exec, s[4:5]
	v_mov_b32_e32 v9, 0
	s_and_saveexec_b64 s[4:5], s[20:21]
	s_cbranch_execnz .LBB379_2184
	s_branch .LBB379_2185
.LBB379_2204:
	s_mov_b64 s[0:1], -1
                                        ; implicit-def: $vgpr9
.LBB379_2205:
	s_mov_b64 s[22:23], 0
.LBB379_2206:
	s_and_b64 vcc, exec, s[22:23]
	s_cbranch_vccz .LBB379_2208
; %bb.2207:
	s_cmp_lg_u32 s26, 11
	s_mov_b64 s[4:5], -1
	s_cselect_b64 s[0:1], -1, 0
.LBB379_2208:
	s_and_b64 vcc, exec, s[0:1]
	s_cbranch_vccnz .LBB379_2273
; %bb.2209:
	s_andn2_b64 vcc, exec, s[4:5]
	s_cbranch_vccnz .LBB379_2211
.LBB379_2210:
	global_load_ubyte v5, v[7:8], off
	s_mov_b64 s[20:21], -1
	s_waitcnt vmcnt(0)
	v_cmp_ne_u16_e32 vcc, 0, v5
	v_cndmask_b32_e64 v9, 0, 1, vcc
.LBB379_2211:
	s_mov_b64 s[0:1], 0
.LBB379_2212:
	s_and_b64 vcc, exec, s[0:1]
	s_cbranch_vccz .LBB379_2261
; %bb.2213:
	s_and_b32 s4, 0xffff, s25
	s_cmp_lt_i32 s4, 5
	s_cbranch_scc1 .LBB379_2218
; %bb.2214:
	s_cmp_lt_i32 s4, 8
	s_cbranch_scc1 .LBB379_2219
; %bb.2215:
	;; [unrolled: 3-line block ×3, first 2 shown]
	s_cmp_gt_i32 s4, 9
	s_cbranch_scc0 .LBB379_2221
; %bb.2217:
	global_load_dwordx2 v[9:10], v[7:8], off
	s_mov_b64 s[0:1], 0
	s_waitcnt vmcnt(0)
	v_cvt_i32_f64_e32 v9, v[9:10]
	s_branch .LBB379_2222
.LBB379_2218:
	s_mov_b64 s[0:1], -1
                                        ; implicit-def: $vgpr9
	s_branch .LBB379_2240
.LBB379_2219:
	s_mov_b64 s[0:1], -1
                                        ; implicit-def: $vgpr9
	s_branch .LBB379_2228
.LBB379_2220:
	s_mov_b64 s[0:1], -1
                                        ; implicit-def: $vgpr9
	s_branch .LBB379_2225
.LBB379_2221:
	s_mov_b64 s[0:1], -1
                                        ; implicit-def: $vgpr9
.LBB379_2222:
	s_andn2_b64 vcc, exec, s[0:1]
	s_cbranch_vccnz .LBB379_2224
; %bb.2223:
	global_load_dword v5, v[7:8], off
	s_waitcnt vmcnt(0)
	v_cvt_i32_f32_e32 v9, v5
.LBB379_2224:
	s_mov_b64 s[0:1], 0
.LBB379_2225:
	s_andn2_b64 vcc, exec, s[0:1]
	s_cbranch_vccnz .LBB379_2227
; %bb.2226:
	global_load_dword v5, v[7:8], off
	s_waitcnt vmcnt(0)
	v_cvt_i16_f16_e32 v9, v5
.LBB379_2227:
	s_mov_b64 s[0:1], 0
.LBB379_2228:
	s_andn2_b64 vcc, exec, s[0:1]
	s_cbranch_vccnz .LBB379_2239
; %bb.2229:
	s_cmp_lt_i32 s4, 6
	s_cbranch_scc1 .LBB379_2232
; %bb.2230:
	s_cmp_gt_i32 s4, 6
	s_cbranch_scc0 .LBB379_2233
; %bb.2231:
	global_load_dwordx2 v[9:10], v[7:8], off
	s_mov_b64 s[0:1], 0
	s_waitcnt vmcnt(0)
	v_cvt_i32_f64_e32 v9, v[9:10]
	s_branch .LBB379_2234
.LBB379_2232:
	s_mov_b64 s[0:1], -1
                                        ; implicit-def: $vgpr9
	s_branch .LBB379_2237
.LBB379_2233:
	s_mov_b64 s[0:1], -1
                                        ; implicit-def: $vgpr9
.LBB379_2234:
	s_andn2_b64 vcc, exec, s[0:1]
	s_cbranch_vccnz .LBB379_2236
; %bb.2235:
	global_load_dword v5, v[7:8], off
	s_waitcnt vmcnt(0)
	v_cvt_i32_f32_e32 v9, v5
.LBB379_2236:
	s_mov_b64 s[0:1], 0
.LBB379_2237:
	s_andn2_b64 vcc, exec, s[0:1]
	s_cbranch_vccnz .LBB379_2239
; %bb.2238:
	global_load_ushort v5, v[7:8], off
	s_waitcnt vmcnt(0)
	v_cvt_i16_f16_e32 v9, v5
.LBB379_2239:
	s_mov_b64 s[0:1], 0
.LBB379_2240:
	s_andn2_b64 vcc, exec, s[0:1]
	s_cbranch_vccnz .LBB379_2260
; %bb.2241:
	s_cmp_lt_i32 s4, 2
	s_cbranch_scc1 .LBB379_2245
; %bb.2242:
	s_cmp_lt_i32 s4, 3
	s_cbranch_scc1 .LBB379_2246
; %bb.2243:
	s_cmp_gt_i32 s4, 3
	s_cbranch_scc0 .LBB379_2247
; %bb.2244:
	global_load_dwordx2 v[9:10], v[7:8], off
	s_mov_b64 s[0:1], 0
	s_branch .LBB379_2248
.LBB379_2245:
	s_mov_b64 s[0:1], -1
                                        ; implicit-def: $vgpr9
	s_branch .LBB379_2254
.LBB379_2246:
	s_mov_b64 s[0:1], -1
                                        ; implicit-def: $vgpr9
	s_branch .LBB379_2251
.LBB379_2247:
	s_mov_b64 s[0:1], -1
                                        ; implicit-def: $vgpr9
.LBB379_2248:
	s_andn2_b64 vcc, exec, s[0:1]
	s_cbranch_vccnz .LBB379_2250
; %bb.2249:
	global_load_dword v9, v[7:8], off
.LBB379_2250:
	s_mov_b64 s[0:1], 0
.LBB379_2251:
	s_andn2_b64 vcc, exec, s[0:1]
	s_cbranch_vccnz .LBB379_2253
; %bb.2252:
	global_load_ushort v9, v[7:8], off
.LBB379_2253:
	s_mov_b64 s[0:1], 0
.LBB379_2254:
	s_andn2_b64 vcc, exec, s[0:1]
	s_cbranch_vccnz .LBB379_2260
; %bb.2255:
	s_cmp_gt_i32 s4, 0
	s_cbranch_scc0 .LBB379_2257
; %bb.2256:
	global_load_ubyte v9, v[7:8], off
	s_mov_b64 s[0:1], 0
	s_branch .LBB379_2258
.LBB379_2257:
	s_mov_b64 s[0:1], -1
                                        ; implicit-def: $vgpr9
.LBB379_2258:
	s_andn2_b64 vcc, exec, s[0:1]
	s_cbranch_vccnz .LBB379_2260
; %bb.2259:
	global_load_ubyte v9, v[7:8], off
.LBB379_2260:
	s_mov_b64 s[20:21], -1
.LBB379_2261:
	s_andn2_b64 vcc, exec, s[20:21]
	s_cbranch_vccnz .LBB379_2947
; %bb.2262:
	v_add_u32_e32 v5, s13, v11
	v_ashrrev_i32_e32 v7, 31, v5
	v_mov_b32_e32 v8, s11
	s_waitcnt vmcnt(0)
	v_add_co_u32_e32 v10, vcc, s10, v5
	s_cmp_lt_i32 s24, 11
	v_addc_co_u32_e32 v11, vcc, v8, v7, vcc
	s_cbranch_scc1 .LBB379_2269
; %bb.2263:
	s_and_b32 s13, 0xffff, s24
	s_cmp_gt_i32 s13, 25
	s_mov_b64 s[4:5], 0
	s_cbranch_scc0 .LBB379_2270
; %bb.2264:
	s_cmp_gt_i32 s13, 28
	s_cbranch_scc0 .LBB379_2271
; %bb.2265:
	s_cmp_gt_i32 s13, 43
	;; [unrolled: 3-line block ×3, first 2 shown]
	s_cbranch_scc0 .LBB379_2274
; %bb.2267:
	s_cmp_eq_u32 s13, 46
	s_mov_b64 s[20:21], 0
	s_cbranch_scc0 .LBB379_2275
; %bb.2268:
	global_load_dword v5, v[10:11], off
	s_mov_b64 s[0:1], 0
	s_mov_b64 s[10:11], -1
	s_waitcnt vmcnt(0)
	v_lshlrev_b32_e32 v5, 16, v5
	v_cvt_i32_f32_e32 v7, v5
	s_branch .LBB379_2276
.LBB379_2269:
	s_mov_b64 s[0:1], -1
	s_mov_b64 s[10:11], 0
                                        ; implicit-def: $vgpr7
	s_branch .LBB379_2338
.LBB379_2270:
	s_mov_b64 s[20:21], -1
	s_mov_b64 s[10:11], 0
	s_mov_b64 s[0:1], 0
                                        ; implicit-def: $vgpr7
	s_branch .LBB379_2303
.LBB379_2271:
	s_mov_b64 s[20:21], -1
	s_mov_b64 s[10:11], 0
	s_mov_b64 s[0:1], 0
                                        ; implicit-def: $vgpr7
	s_branch .LBB379_2286
.LBB379_2272:
	s_mov_b64 s[20:21], -1
	s_mov_b64 s[10:11], 0
	s_mov_b64 s[0:1], 0
                                        ; implicit-def: $vgpr7
	s_branch .LBB379_2281
.LBB379_2273:
	s_trap 2
	s_or_b64 s[18:19], s[18:19], exec
	s_cbranch_execz .LBB379_2210
	s_branch .LBB379_2211
.LBB379_2274:
	s_mov_b64 s[20:21], -1
	s_mov_b64 s[10:11], 0
	s_mov_b64 s[0:1], 0
                                        ; implicit-def: $vgpr7
	s_branch .LBB379_2276
.LBB379_2275:
	s_mov_b64 s[0:1], -1
                                        ; implicit-def: $vgpr7
	s_mov_b64 s[10:11], 0
.LBB379_2276:
	s_and_b64 vcc, exec, s[20:21]
	s_cbranch_vccz .LBB379_2280
; %bb.2277:
	s_cmp_eq_u32 s13, 44
	s_cbranch_scc0 .LBB379_2279
; %bb.2278:
	global_load_ubyte v5, v[10:11], off
	s_mov_b64 s[0:1], 0
	s_mov_b64 s[10:11], -1
	s_waitcnt vmcnt(0)
	v_lshlrev_b32_e32 v7, 23, v5
	v_cvt_i32_f32_e32 v7, v7
	v_cmp_ne_u32_e32 vcc, 0, v5
	v_cndmask_b32_e32 v7, 0, v7, vcc
	s_branch .LBB379_2280
.LBB379_2279:
	s_mov_b64 s[0:1], -1
                                        ; implicit-def: $vgpr7
.LBB379_2280:
	s_mov_b64 s[20:21], 0
.LBB379_2281:
	s_and_b64 vcc, exec, s[20:21]
	s_cbranch_vccz .LBB379_2285
; %bb.2282:
	s_cmp_eq_u32 s13, 29
	s_cbranch_scc0 .LBB379_2284
; %bb.2283:
	global_load_dwordx2 v[7:8], v[10:11], off
	s_mov_b64 s[0:1], 0
	s_mov_b64 s[10:11], -1
	s_branch .LBB379_2285
.LBB379_2284:
	s_mov_b64 s[0:1], -1
                                        ; implicit-def: $vgpr7
.LBB379_2285:
	s_mov_b64 s[20:21], 0
.LBB379_2286:
	s_and_b64 vcc, exec, s[20:21]
	s_cbranch_vccz .LBB379_2302
; %bb.2287:
	s_cmp_lt_i32 s13, 27
	s_cbranch_scc1 .LBB379_2290
; %bb.2288:
	s_cmp_gt_i32 s13, 27
	s_cbranch_scc0 .LBB379_2291
; %bb.2289:
	global_load_dword v7, v[10:11], off
	s_mov_b64 s[10:11], 0
	s_branch .LBB379_2292
.LBB379_2290:
	s_mov_b64 s[10:11], -1
                                        ; implicit-def: $vgpr7
	s_branch .LBB379_2295
.LBB379_2291:
	s_mov_b64 s[10:11], -1
                                        ; implicit-def: $vgpr7
.LBB379_2292:
	s_andn2_b64 vcc, exec, s[10:11]
	s_cbranch_vccnz .LBB379_2294
; %bb.2293:
	global_load_ushort v7, v[10:11], off
.LBB379_2294:
	s_mov_b64 s[10:11], 0
.LBB379_2295:
	s_andn2_b64 vcc, exec, s[10:11]
	s_cbranch_vccnz .LBB379_2301
; %bb.2296:
	global_load_ubyte v5, v[10:11], off
	s_movk_i32 s10, 0x7f
	s_mov_b64 s[20:21], 0
	s_waitcnt vmcnt(0)
	v_cmp_lt_i16_e32 vcc, s10, v5
	s_and_saveexec_b64 s[10:11], vcc
	s_xor_b64 s[10:11], exec, s[10:11]
	s_cbranch_execz .LBB379_2313
; %bb.2297:
	s_movk_i32 s20, 0x80
	v_cmp_ne_u16_e32 vcc, s20, v5
	s_and_b64 s[20:21], vcc, exec
	s_andn2_saveexec_b64 s[10:11], s[10:11]
	s_cbranch_execnz .LBB379_2314
.LBB379_2298:
	s_or_b64 exec, exec, s[10:11]
	v_mov_b32_e32 v7, 0
	s_and_saveexec_b64 s[10:11], s[20:21]
	s_cbranch_execz .LBB379_2300
.LBB379_2299:
	v_lshlrev_b32_e32 v7, 24, v5
	v_and_b32_e32 v5, 0xffff, v5
	v_and_b32_e32 v8, 7, v5
	v_ffbh_u32_e32 v13, v8
	v_min_u32_e32 v13, 32, v13
	v_subrev_u32_e32 v15, 28, v13
	v_bfe_u32 v12, v5, 3, 4
	v_lshlrev_b32_e32 v5, v15, v5
	v_sub_u32_e32 v13, 29, v13
	v_and_b32_e32 v5, 7, v5
	v_cmp_eq_u32_e32 vcc, 0, v12
	v_cndmask_b32_e32 v12, v12, v13, vcc
	v_cndmask_b32_e32 v5, v8, v5, vcc
	v_mov_b32_e32 v8, 0x3b800000
	v_lshlrev_b32_e32 v5, 20, v5
	v_and_b32_e32 v7, 0x80000000, v7
	v_lshl_add_u32 v8, v12, 23, v8
	v_or3_b32 v5, v7, v8, v5
	v_cvt_i32_f32_e32 v7, v5
.LBB379_2300:
	s_or_b64 exec, exec, s[10:11]
.LBB379_2301:
	s_mov_b64 s[10:11], -1
.LBB379_2302:
	s_mov_b64 s[20:21], 0
.LBB379_2303:
	s_and_b64 vcc, exec, s[20:21]
	s_cbranch_vccz .LBB379_2334
; %bb.2304:
	s_cmp_gt_i32 s13, 22
	s_cbranch_scc0 .LBB379_2312
; %bb.2305:
	s_cmp_lt_i32 s13, 24
	s_cbranch_scc1 .LBB379_2315
; %bb.2306:
	s_cmp_gt_i32 s13, 24
	s_cbranch_scc0 .LBB379_2316
; %bb.2307:
	global_load_ubyte v5, v[10:11], off
	s_movk_i32 s4, 0x7f
	s_mov_b64 s[10:11], 0
	s_waitcnt vmcnt(0)
	v_cmp_lt_i16_e32 vcc, s4, v5
	s_and_saveexec_b64 s[4:5], vcc
	s_xor_b64 s[4:5], exec, s[4:5]
	s_cbranch_execz .LBB379_2328
; %bb.2308:
	s_movk_i32 s10, 0x80
	v_cmp_ne_u16_e32 vcc, s10, v5
	s_and_b64 s[10:11], vcc, exec
	s_andn2_saveexec_b64 s[4:5], s[4:5]
	s_cbranch_execnz .LBB379_2329
.LBB379_2309:
	s_or_b64 exec, exec, s[4:5]
	v_mov_b32_e32 v7, 0
	s_and_saveexec_b64 s[4:5], s[10:11]
	s_cbranch_execz .LBB379_2311
.LBB379_2310:
	v_lshlrev_b32_e32 v7, 24, v5
	v_and_b32_e32 v5, 0xffff, v5
	v_and_b32_e32 v8, 3, v5
	v_ffbh_u32_e32 v13, v8
	v_min_u32_e32 v13, 32, v13
	v_subrev_u32_e32 v15, 29, v13
	v_bfe_u32 v12, v5, 2, 5
	v_lshlrev_b32_e32 v5, v15, v5
	v_sub_u32_e32 v13, 30, v13
	v_and_b32_e32 v5, 3, v5
	v_cmp_eq_u32_e32 vcc, 0, v12
	v_cndmask_b32_e32 v12, v12, v13, vcc
	v_cndmask_b32_e32 v5, v8, v5, vcc
	v_mov_b32_e32 v8, 0x37800000
	v_lshlrev_b32_e32 v5, 21, v5
	v_and_b32_e32 v7, 0x80000000, v7
	v_lshl_add_u32 v8, v12, 23, v8
	v_or3_b32 v5, v7, v8, v5
	v_cvt_i32_f32_e32 v7, v5
.LBB379_2311:
	s_or_b64 exec, exec, s[4:5]
	s_mov_b64 s[4:5], 0
	s_branch .LBB379_2317
.LBB379_2312:
	s_mov_b64 s[4:5], -1
                                        ; implicit-def: $vgpr7
	s_branch .LBB379_2323
.LBB379_2313:
	s_andn2_saveexec_b64 s[10:11], s[10:11]
	s_cbranch_execz .LBB379_2298
.LBB379_2314:
	v_cmp_ne_u16_e32 vcc, 0, v5
	s_andn2_b64 s[20:21], s[20:21], exec
	s_and_b64 s[22:23], vcc, exec
	s_or_b64 s[20:21], s[20:21], s[22:23]
	s_or_b64 exec, exec, s[10:11]
	v_mov_b32_e32 v7, 0
	s_and_saveexec_b64 s[10:11], s[20:21]
	s_cbranch_execnz .LBB379_2299
	s_branch .LBB379_2300
.LBB379_2315:
	s_mov_b64 s[4:5], -1
                                        ; implicit-def: $vgpr7
	s_branch .LBB379_2320
.LBB379_2316:
	s_mov_b64 s[4:5], -1
                                        ; implicit-def: $vgpr7
.LBB379_2317:
	s_and_b64 vcc, exec, s[4:5]
	s_cbranch_vccz .LBB379_2319
; %bb.2318:
	global_load_ubyte v5, v[10:11], off
	s_mov_b32 s4, 0x7f800000
	s_waitcnt vmcnt(0)
	v_lshlrev_b32_e32 v5, 24, v5
	v_and_b32_e32 v7, 0x7f000000, v5
	v_ffbh_u32_e32 v8, v7
	v_min_u32_e32 v8, 32, v8
	v_sub_u32_e64 v8, v8, 4 clamp
	v_lshlrev_b32_e32 v13, v8, v7
	v_lshlrev_b32_e32 v8, 23, v8
	v_lshrrev_b32_e32 v13, 4, v13
	v_add_u32_e32 v12, 0x1000000, v7
	v_sub_u32_e32 v8, v13, v8
	v_ashrrev_i32_e32 v12, 8, v12
	v_add_u32_e32 v8, 0x3c000000, v8
	v_and_or_b32 v8, v12, s4, v8
	v_cmp_ne_u32_e32 vcc, 0, v7
	v_cndmask_b32_e32 v7, 0, v8, vcc
	s_brev_b32 s4, 1
	v_and_or_b32 v5, v5, s4, v7
	v_cvt_i32_f32_e32 v7, v5
.LBB379_2319:
	s_mov_b64 s[4:5], 0
.LBB379_2320:
	s_andn2_b64 vcc, exec, s[4:5]
	s_cbranch_vccnz .LBB379_2322
; %bb.2321:
	global_load_ubyte v5, v[10:11], off
	s_movk_i32 s4, 0x7f00
	s_brev_b32 s5, 16
	s_waitcnt vmcnt(0)
	v_lshlrev_b16_e32 v7, 8, v5
	v_lshlrev_b32_e32 v5, 25, v5
	v_lshrrev_b32_e32 v8, 4, v5
	v_and_or_b32 v12, v7, s4, 0.5
	v_or_b32_e32 v8, 0x70000000, v8
	v_add_f32_e32 v12, -0.5, v12
	v_mul_f32_e32 v8, 0x7800000, v8
	v_cmp_gt_u32_e32 vcc, s5, v5
	v_bfe_i32 v7, v7, 0, 16
	v_cndmask_b32_e32 v5, v8, v12, vcc
	s_brev_b32 s4, 1
	v_and_or_b32 v5, v7, s4, v5
	v_cvt_i32_f32_e32 v7, v5
.LBB379_2322:
	s_mov_b64 s[4:5], 0
	s_mov_b64 s[10:11], -1
.LBB379_2323:
	s_andn2_b64 vcc, exec, s[4:5]
	s_mov_b64 s[4:5], 0
	s_cbranch_vccnz .LBB379_2334
; %bb.2324:
	s_cmp_gt_i32 s13, 14
	s_cbranch_scc0 .LBB379_2327
; %bb.2325:
	s_cmp_eq_u32 s13, 15
	s_cbranch_scc0 .LBB379_2330
; %bb.2326:
	global_load_ushort v5, v[10:11], off
	s_mov_b64 s[0:1], 0
	s_mov_b64 s[10:11], -1
	s_waitcnt vmcnt(0)
	v_lshlrev_b32_e32 v5, 16, v5
	v_cvt_i32_f32_e32 v7, v5
	s_branch .LBB379_2331
.LBB379_2327:
	s_mov_b64 s[20:21], -1
                                        ; implicit-def: $vgpr7
	s_branch .LBB379_2332
.LBB379_2328:
	s_andn2_saveexec_b64 s[4:5], s[4:5]
	s_cbranch_execz .LBB379_2309
.LBB379_2329:
	v_cmp_ne_u16_e32 vcc, 0, v5
	s_andn2_b64 s[10:11], s[10:11], exec
	s_and_b64 s[20:21], vcc, exec
	s_or_b64 s[10:11], s[10:11], s[20:21]
	s_or_b64 exec, exec, s[4:5]
	v_mov_b32_e32 v7, 0
	s_and_saveexec_b64 s[4:5], s[10:11]
	s_cbranch_execnz .LBB379_2310
	s_branch .LBB379_2311
.LBB379_2330:
	s_mov_b64 s[0:1], -1
                                        ; implicit-def: $vgpr7
.LBB379_2331:
	s_mov_b64 s[20:21], 0
.LBB379_2332:
	s_and_b64 vcc, exec, s[20:21]
	s_cbranch_vccz .LBB379_2334
; %bb.2333:
	s_cmp_lg_u32 s13, 11
	s_mov_b64 s[4:5], -1
	s_cselect_b64 s[0:1], -1, 0
.LBB379_2334:
	s_and_b64 vcc, exec, s[0:1]
	s_cbranch_vccnz .LBB379_2399
; %bb.2335:
	s_andn2_b64 vcc, exec, s[4:5]
	s_cbranch_vccnz .LBB379_2337
.LBB379_2336:
	global_load_ubyte v5, v[10:11], off
	s_mov_b64 s[10:11], -1
	s_waitcnt vmcnt(0)
	v_cmp_ne_u16_e32 vcc, 0, v5
	v_cndmask_b32_e64 v7, 0, 1, vcc
.LBB379_2337:
	s_mov_b64 s[0:1], 0
.LBB379_2338:
	s_and_b64 vcc, exec, s[0:1]
	s_cbranch_vccz .LBB379_2387
; %bb.2339:
	s_and_b32 s4, 0xffff, s24
	s_cmp_lt_i32 s4, 5
	s_cbranch_scc1 .LBB379_2344
; %bb.2340:
	s_cmp_lt_i32 s4, 8
	s_cbranch_scc1 .LBB379_2345
; %bb.2341:
	;; [unrolled: 3-line block ×3, first 2 shown]
	s_cmp_gt_i32 s4, 9
	s_cbranch_scc0 .LBB379_2347
; %bb.2343:
	global_load_dwordx2 v[7:8], v[10:11], off
	s_mov_b64 s[0:1], 0
	s_waitcnt vmcnt(0)
	v_cvt_i32_f64_e32 v7, v[7:8]
	s_branch .LBB379_2348
.LBB379_2344:
	s_mov_b64 s[0:1], -1
                                        ; implicit-def: $vgpr7
	s_branch .LBB379_2366
.LBB379_2345:
	s_mov_b64 s[0:1], -1
                                        ; implicit-def: $vgpr7
	s_branch .LBB379_2354
.LBB379_2346:
	s_mov_b64 s[0:1], -1
                                        ; implicit-def: $vgpr7
	s_branch .LBB379_2351
.LBB379_2347:
	s_mov_b64 s[0:1], -1
                                        ; implicit-def: $vgpr7
.LBB379_2348:
	s_andn2_b64 vcc, exec, s[0:1]
	s_cbranch_vccnz .LBB379_2350
; %bb.2349:
	global_load_dword v5, v[10:11], off
	s_waitcnt vmcnt(0)
	v_cvt_i32_f32_e32 v7, v5
.LBB379_2350:
	s_mov_b64 s[0:1], 0
.LBB379_2351:
	s_andn2_b64 vcc, exec, s[0:1]
	s_cbranch_vccnz .LBB379_2353
; %bb.2352:
	global_load_dword v5, v[10:11], off
	s_waitcnt vmcnt(0)
	v_cvt_i16_f16_e32 v7, v5
.LBB379_2353:
	s_mov_b64 s[0:1], 0
.LBB379_2354:
	s_andn2_b64 vcc, exec, s[0:1]
	s_cbranch_vccnz .LBB379_2365
; %bb.2355:
	s_cmp_lt_i32 s4, 6
	s_cbranch_scc1 .LBB379_2358
; %bb.2356:
	s_cmp_gt_i32 s4, 6
	s_cbranch_scc0 .LBB379_2359
; %bb.2357:
	global_load_dwordx2 v[7:8], v[10:11], off
	s_mov_b64 s[0:1], 0
	s_waitcnt vmcnt(0)
	v_cvt_i32_f64_e32 v7, v[7:8]
	s_branch .LBB379_2360
.LBB379_2358:
	s_mov_b64 s[0:1], -1
                                        ; implicit-def: $vgpr7
	s_branch .LBB379_2363
.LBB379_2359:
	s_mov_b64 s[0:1], -1
                                        ; implicit-def: $vgpr7
.LBB379_2360:
	s_andn2_b64 vcc, exec, s[0:1]
	s_cbranch_vccnz .LBB379_2362
; %bb.2361:
	global_load_dword v5, v[10:11], off
	s_waitcnt vmcnt(0)
	v_cvt_i32_f32_e32 v7, v5
.LBB379_2362:
	s_mov_b64 s[0:1], 0
.LBB379_2363:
	s_andn2_b64 vcc, exec, s[0:1]
	s_cbranch_vccnz .LBB379_2365
; %bb.2364:
	global_load_ushort v5, v[10:11], off
	s_waitcnt vmcnt(0)
	v_cvt_i16_f16_e32 v7, v5
.LBB379_2365:
	s_mov_b64 s[0:1], 0
.LBB379_2366:
	s_andn2_b64 vcc, exec, s[0:1]
	s_cbranch_vccnz .LBB379_2386
; %bb.2367:
	s_cmp_lt_i32 s4, 2
	s_cbranch_scc1 .LBB379_2371
; %bb.2368:
	s_cmp_lt_i32 s4, 3
	s_cbranch_scc1 .LBB379_2372
; %bb.2369:
	s_cmp_gt_i32 s4, 3
	s_cbranch_scc0 .LBB379_2373
; %bb.2370:
	global_load_dwordx2 v[7:8], v[10:11], off
	s_mov_b64 s[0:1], 0
	s_branch .LBB379_2374
.LBB379_2371:
	s_mov_b64 s[0:1], -1
                                        ; implicit-def: $vgpr7
	s_branch .LBB379_2380
.LBB379_2372:
	s_mov_b64 s[0:1], -1
                                        ; implicit-def: $vgpr7
	s_branch .LBB379_2377
.LBB379_2373:
	s_mov_b64 s[0:1], -1
                                        ; implicit-def: $vgpr7
.LBB379_2374:
	s_andn2_b64 vcc, exec, s[0:1]
	s_cbranch_vccnz .LBB379_2376
; %bb.2375:
	global_load_dword v7, v[10:11], off
.LBB379_2376:
	s_mov_b64 s[0:1], 0
.LBB379_2377:
	s_andn2_b64 vcc, exec, s[0:1]
	s_cbranch_vccnz .LBB379_2379
; %bb.2378:
	global_load_ushort v7, v[10:11], off
.LBB379_2379:
	s_mov_b64 s[0:1], 0
.LBB379_2380:
	s_andn2_b64 vcc, exec, s[0:1]
	s_cbranch_vccnz .LBB379_2386
; %bb.2381:
	s_cmp_gt_i32 s4, 0
	s_cbranch_scc0 .LBB379_2383
; %bb.2382:
	global_load_ubyte v7, v[10:11], off
	s_mov_b64 s[0:1], 0
	s_branch .LBB379_2384
.LBB379_2383:
	s_mov_b64 s[0:1], -1
                                        ; implicit-def: $vgpr7
.LBB379_2384:
	s_andn2_b64 vcc, exec, s[0:1]
	s_cbranch_vccnz .LBB379_2386
; %bb.2385:
	global_load_ubyte v7, v[10:11], off
.LBB379_2386:
	s_mov_b64 s[10:11], -1
.LBB379_2387:
	s_andn2_b64 vcc, exec, s[10:11]
	s_cbranch_vccnz .LBB379_2947
; %bb.2388:
	v_add_u32_e32 v2, s14, v2
	v_ashrrev_i32_e32 v5, 31, v2
	s_waitcnt vmcnt(0)
	v_mov_b32_e32 v8, s3
	v_add_co_u32_e32 v12, vcc, s2, v2
	s_cmp_lt_i32 s25, 11
	v_addc_co_u32_e32 v13, vcc, v8, v5, vcc
	s_cbranch_scc1 .LBB379_2395
; %bb.2389:
	s_and_b32 s13, 0xffff, s25
	s_cmp_gt_i32 s13, 25
	s_mov_b64 s[2:3], 0
	s_cbranch_scc0 .LBB379_2396
; %bb.2390:
	s_cmp_gt_i32 s13, 28
	s_cbranch_scc0 .LBB379_2397
; %bb.2391:
	s_cmp_gt_i32 s13, 43
	;; [unrolled: 3-line block ×3, first 2 shown]
	s_cbranch_scc0 .LBB379_2400
; %bb.2393:
	s_cmp_eq_u32 s13, 46
	s_mov_b64 s[10:11], 0
	s_cbranch_scc0 .LBB379_2401
; %bb.2394:
	global_load_dword v2, v[12:13], off
	s_mov_b64 s[0:1], 0
	s_mov_b64 s[4:5], -1
	s_waitcnt vmcnt(0)
	v_lshlrev_b32_e32 v2, 16, v2
	v_cvt_i32_f32_e32 v10, v2
	s_branch .LBB379_2402
.LBB379_2395:
	s_mov_b64 s[0:1], -1
	s_mov_b64 s[4:5], 0
                                        ; implicit-def: $vgpr10
	s_branch .LBB379_2464
.LBB379_2396:
	s_mov_b64 s[10:11], -1
	s_mov_b64 s[4:5], 0
	s_mov_b64 s[0:1], 0
                                        ; implicit-def: $vgpr10
	s_branch .LBB379_2429
.LBB379_2397:
	s_mov_b64 s[10:11], -1
	s_mov_b64 s[4:5], 0
	s_mov_b64 s[0:1], 0
                                        ; implicit-def: $vgpr10
	s_branch .LBB379_2412
.LBB379_2398:
	s_mov_b64 s[10:11], -1
	s_mov_b64 s[4:5], 0
	s_mov_b64 s[0:1], 0
                                        ; implicit-def: $vgpr10
	s_branch .LBB379_2407
.LBB379_2399:
	s_trap 2
	s_or_b64 s[18:19], s[18:19], exec
	s_cbranch_execz .LBB379_2336
	s_branch .LBB379_2337
.LBB379_2400:
	s_mov_b64 s[10:11], -1
	s_mov_b64 s[4:5], 0
	s_mov_b64 s[0:1], 0
                                        ; implicit-def: $vgpr10
	s_branch .LBB379_2402
.LBB379_2401:
	s_mov_b64 s[0:1], -1
                                        ; implicit-def: $vgpr10
	s_mov_b64 s[4:5], 0
.LBB379_2402:
	s_and_b64 vcc, exec, s[10:11]
	s_cbranch_vccz .LBB379_2406
; %bb.2403:
	s_cmp_eq_u32 s13, 44
	s_cbranch_scc0 .LBB379_2405
; %bb.2404:
	global_load_ubyte v2, v[12:13], off
	s_mov_b64 s[0:1], 0
	s_mov_b64 s[4:5], -1
	s_waitcnt vmcnt(0)
	v_lshlrev_b32_e32 v5, 23, v2
	v_cvt_i32_f32_e32 v5, v5
	v_cmp_ne_u32_e32 vcc, 0, v2
	v_cndmask_b32_e32 v10, 0, v5, vcc
	s_branch .LBB379_2406
.LBB379_2405:
	s_mov_b64 s[0:1], -1
                                        ; implicit-def: $vgpr10
.LBB379_2406:
	s_mov_b64 s[10:11], 0
.LBB379_2407:
	s_and_b64 vcc, exec, s[10:11]
	s_cbranch_vccz .LBB379_2411
; %bb.2408:
	s_cmp_eq_u32 s13, 29
	s_cbranch_scc0 .LBB379_2410
; %bb.2409:
	global_load_dwordx2 v[10:11], v[12:13], off
	s_mov_b64 s[0:1], 0
	s_mov_b64 s[4:5], -1
	s_branch .LBB379_2411
.LBB379_2410:
	s_mov_b64 s[0:1], -1
                                        ; implicit-def: $vgpr10
.LBB379_2411:
	s_mov_b64 s[10:11], 0
.LBB379_2412:
	s_and_b64 vcc, exec, s[10:11]
	s_cbranch_vccz .LBB379_2428
; %bb.2413:
	s_cmp_lt_i32 s13, 27
	s_cbranch_scc1 .LBB379_2416
; %bb.2414:
	s_cmp_gt_i32 s13, 27
	s_cbranch_scc0 .LBB379_2417
; %bb.2415:
	global_load_dword v10, v[12:13], off
	s_mov_b64 s[4:5], 0
	s_branch .LBB379_2418
.LBB379_2416:
	s_mov_b64 s[4:5], -1
                                        ; implicit-def: $vgpr10
	s_branch .LBB379_2421
.LBB379_2417:
	s_mov_b64 s[4:5], -1
                                        ; implicit-def: $vgpr10
.LBB379_2418:
	s_andn2_b64 vcc, exec, s[4:5]
	s_cbranch_vccnz .LBB379_2420
; %bb.2419:
	global_load_ushort v10, v[12:13], off
.LBB379_2420:
	s_mov_b64 s[4:5], 0
.LBB379_2421:
	s_andn2_b64 vcc, exec, s[4:5]
	s_cbranch_vccnz .LBB379_2427
; %bb.2422:
	global_load_ubyte v2, v[12:13], off
	s_movk_i32 s4, 0x7f
	s_mov_b64 s[10:11], 0
	s_waitcnt vmcnt(0)
	v_cmp_lt_i16_e32 vcc, s4, v2
	s_and_saveexec_b64 s[4:5], vcc
	s_xor_b64 s[4:5], exec, s[4:5]
	s_cbranch_execz .LBB379_2439
; %bb.2423:
	s_movk_i32 s10, 0x80
	v_cmp_ne_u16_e32 vcc, s10, v2
	s_and_b64 s[10:11], vcc, exec
	s_andn2_saveexec_b64 s[4:5], s[4:5]
	s_cbranch_execnz .LBB379_2440
.LBB379_2424:
	s_or_b64 exec, exec, s[4:5]
	v_mov_b32_e32 v10, 0
	s_and_saveexec_b64 s[4:5], s[10:11]
	s_cbranch_execz .LBB379_2426
.LBB379_2425:
	v_lshlrev_b32_e32 v5, 24, v2
	v_and_b32_e32 v2, 0xffff, v2
	v_and_b32_e32 v8, 7, v2
	v_ffbh_u32_e32 v11, v8
	v_min_u32_e32 v11, 32, v11
	v_subrev_u32_e32 v15, 28, v11
	v_bfe_u32 v10, v2, 3, 4
	v_lshlrev_b32_e32 v2, v15, v2
	v_sub_u32_e32 v11, 29, v11
	v_and_b32_e32 v2, 7, v2
	v_cmp_eq_u32_e32 vcc, 0, v10
	v_cndmask_b32_e32 v10, v10, v11, vcc
	v_cndmask_b32_e32 v2, v8, v2, vcc
	v_mov_b32_e32 v8, 0x3b800000
	v_lshlrev_b32_e32 v2, 20, v2
	v_and_b32_e32 v5, 0x80000000, v5
	v_lshl_add_u32 v8, v10, 23, v8
	v_or3_b32 v2, v5, v8, v2
	v_cvt_i32_f32_e32 v10, v2
.LBB379_2426:
	s_or_b64 exec, exec, s[4:5]
.LBB379_2427:
	s_mov_b64 s[4:5], -1
.LBB379_2428:
	s_mov_b64 s[10:11], 0
.LBB379_2429:
	s_and_b64 vcc, exec, s[10:11]
	s_cbranch_vccz .LBB379_2460
; %bb.2430:
	s_cmp_gt_i32 s13, 22
	s_cbranch_scc0 .LBB379_2438
; %bb.2431:
	s_cmp_lt_i32 s13, 24
	s_cbranch_scc1 .LBB379_2441
; %bb.2432:
	s_cmp_gt_i32 s13, 24
	s_cbranch_scc0 .LBB379_2442
; %bb.2433:
	global_load_ubyte v2, v[12:13], off
	s_movk_i32 s2, 0x7f
	s_mov_b64 s[4:5], 0
	s_waitcnt vmcnt(0)
	v_cmp_lt_i16_e32 vcc, s2, v2
	s_and_saveexec_b64 s[2:3], vcc
	s_xor_b64 s[2:3], exec, s[2:3]
	s_cbranch_execz .LBB379_2454
; %bb.2434:
	s_movk_i32 s4, 0x80
	v_cmp_ne_u16_e32 vcc, s4, v2
	s_and_b64 s[4:5], vcc, exec
	s_andn2_saveexec_b64 s[2:3], s[2:3]
	s_cbranch_execnz .LBB379_2455
.LBB379_2435:
	s_or_b64 exec, exec, s[2:3]
	v_mov_b32_e32 v10, 0
	s_and_saveexec_b64 s[2:3], s[4:5]
	s_cbranch_execz .LBB379_2437
.LBB379_2436:
	v_lshlrev_b32_e32 v5, 24, v2
	v_and_b32_e32 v2, 0xffff, v2
	v_and_b32_e32 v8, 3, v2
	v_ffbh_u32_e32 v11, v8
	v_min_u32_e32 v11, 32, v11
	v_subrev_u32_e32 v15, 29, v11
	v_bfe_u32 v10, v2, 2, 5
	v_lshlrev_b32_e32 v2, v15, v2
	v_sub_u32_e32 v11, 30, v11
	v_and_b32_e32 v2, 3, v2
	v_cmp_eq_u32_e32 vcc, 0, v10
	v_cndmask_b32_e32 v10, v10, v11, vcc
	v_cndmask_b32_e32 v2, v8, v2, vcc
	v_mov_b32_e32 v8, 0x37800000
	v_lshlrev_b32_e32 v2, 21, v2
	v_and_b32_e32 v5, 0x80000000, v5
	v_lshl_add_u32 v8, v10, 23, v8
	v_or3_b32 v2, v5, v8, v2
	v_cvt_i32_f32_e32 v10, v2
.LBB379_2437:
	s_or_b64 exec, exec, s[2:3]
	s_mov_b64 s[2:3], 0
	s_branch .LBB379_2443
.LBB379_2438:
	s_mov_b64 s[2:3], -1
                                        ; implicit-def: $vgpr10
	s_branch .LBB379_2449
.LBB379_2439:
	s_andn2_saveexec_b64 s[4:5], s[4:5]
	s_cbranch_execz .LBB379_2424
.LBB379_2440:
	v_cmp_ne_u16_e32 vcc, 0, v2
	s_andn2_b64 s[10:11], s[10:11], exec
	s_and_b64 s[20:21], vcc, exec
	s_or_b64 s[10:11], s[10:11], s[20:21]
	s_or_b64 exec, exec, s[4:5]
	v_mov_b32_e32 v10, 0
	s_and_saveexec_b64 s[4:5], s[10:11]
	s_cbranch_execnz .LBB379_2425
	s_branch .LBB379_2426
.LBB379_2441:
	s_mov_b64 s[2:3], -1
                                        ; implicit-def: $vgpr10
	s_branch .LBB379_2446
.LBB379_2442:
	s_mov_b64 s[2:3], -1
                                        ; implicit-def: $vgpr10
.LBB379_2443:
	s_and_b64 vcc, exec, s[2:3]
	s_cbranch_vccz .LBB379_2445
; %bb.2444:
	global_load_ubyte v2, v[12:13], off
	s_mov_b32 s2, 0x7f800000
	s_waitcnt vmcnt(0)
	v_lshlrev_b32_e32 v2, 24, v2
	v_and_b32_e32 v5, 0x7f000000, v2
	v_ffbh_u32_e32 v8, v5
	v_min_u32_e32 v8, 32, v8
	v_sub_u32_e64 v8, v8, 4 clamp
	v_lshlrev_b32_e32 v11, v8, v5
	v_lshlrev_b32_e32 v8, 23, v8
	v_lshrrev_b32_e32 v11, 4, v11
	v_add_u32_e32 v10, 0x1000000, v5
	v_sub_u32_e32 v8, v11, v8
	v_ashrrev_i32_e32 v10, 8, v10
	v_add_u32_e32 v8, 0x3c000000, v8
	v_and_or_b32 v8, v10, s2, v8
	v_cmp_ne_u32_e32 vcc, 0, v5
	v_cndmask_b32_e32 v5, 0, v8, vcc
	s_brev_b32 s2, 1
	v_and_or_b32 v2, v2, s2, v5
	v_cvt_i32_f32_e32 v10, v2
.LBB379_2445:
	s_mov_b64 s[2:3], 0
.LBB379_2446:
	s_andn2_b64 vcc, exec, s[2:3]
	s_cbranch_vccnz .LBB379_2448
; %bb.2447:
	global_load_ubyte v2, v[12:13], off
	s_movk_i32 s2, 0x7f00
	s_brev_b32 s3, 16
	s_waitcnt vmcnt(0)
	v_lshlrev_b16_e32 v5, 8, v2
	v_lshlrev_b32_e32 v2, 25, v2
	v_lshrrev_b32_e32 v8, 4, v2
	v_and_or_b32 v10, v5, s2, 0.5
	v_or_b32_e32 v8, 0x70000000, v8
	v_add_f32_e32 v10, -0.5, v10
	v_mul_f32_e32 v8, 0x7800000, v8
	v_cmp_gt_u32_e32 vcc, s3, v2
	v_bfe_i32 v5, v5, 0, 16
	v_cndmask_b32_e32 v2, v8, v10, vcc
	s_brev_b32 s2, 1
	v_and_or_b32 v2, v5, s2, v2
	v_cvt_i32_f32_e32 v10, v2
.LBB379_2448:
	s_mov_b64 s[2:3], 0
	s_mov_b64 s[4:5], -1
.LBB379_2449:
	s_andn2_b64 vcc, exec, s[2:3]
	s_mov_b64 s[2:3], 0
	s_cbranch_vccnz .LBB379_2460
; %bb.2450:
	s_cmp_gt_i32 s13, 14
	s_cbranch_scc0 .LBB379_2453
; %bb.2451:
	s_cmp_eq_u32 s13, 15
	s_cbranch_scc0 .LBB379_2456
; %bb.2452:
	global_load_ushort v2, v[12:13], off
	s_mov_b64 s[0:1], 0
	s_mov_b64 s[4:5], -1
	s_waitcnt vmcnt(0)
	v_lshlrev_b32_e32 v2, 16, v2
	v_cvt_i32_f32_e32 v10, v2
	s_branch .LBB379_2457
.LBB379_2453:
	s_mov_b64 s[10:11], -1
                                        ; implicit-def: $vgpr10
	s_branch .LBB379_2458
.LBB379_2454:
	s_andn2_saveexec_b64 s[2:3], s[2:3]
	s_cbranch_execz .LBB379_2435
.LBB379_2455:
	v_cmp_ne_u16_e32 vcc, 0, v2
	s_andn2_b64 s[4:5], s[4:5], exec
	s_and_b64 s[10:11], vcc, exec
	s_or_b64 s[4:5], s[4:5], s[10:11]
	s_or_b64 exec, exec, s[2:3]
	v_mov_b32_e32 v10, 0
	s_and_saveexec_b64 s[2:3], s[4:5]
	s_cbranch_execnz .LBB379_2436
	s_branch .LBB379_2437
.LBB379_2456:
	s_mov_b64 s[0:1], -1
                                        ; implicit-def: $vgpr10
.LBB379_2457:
	s_mov_b64 s[10:11], 0
.LBB379_2458:
	s_and_b64 vcc, exec, s[10:11]
	s_cbranch_vccz .LBB379_2460
; %bb.2459:
	s_cmp_lg_u32 s13, 11
	s_mov_b64 s[2:3], -1
	s_cselect_b64 s[0:1], -1, 0
.LBB379_2460:
	s_and_b64 vcc, exec, s[0:1]
	s_cbranch_vccnz .LBB379_2993
; %bb.2461:
	s_andn2_b64 vcc, exec, s[2:3]
	s_cbranch_vccnz .LBB379_2463
.LBB379_2462:
	global_load_ubyte v2, v[12:13], off
	s_mov_b64 s[4:5], -1
	s_waitcnt vmcnt(0)
	v_cmp_ne_u16_e32 vcc, 0, v2
	v_cndmask_b32_e64 v10, 0, 1, vcc
.LBB379_2463:
	s_mov_b64 s[0:1], 0
.LBB379_2464:
	s_and_b64 vcc, exec, s[0:1]
	s_cbranch_vccz .LBB379_2513
; %bb.2465:
	s_and_b32 s2, 0xffff, s25
	s_cmp_lt_i32 s2, 5
	s_cbranch_scc1 .LBB379_2470
; %bb.2466:
	s_cmp_lt_i32 s2, 8
	s_cbranch_scc1 .LBB379_2471
; %bb.2467:
	;; [unrolled: 3-line block ×3, first 2 shown]
	s_cmp_gt_i32 s2, 9
	s_cbranch_scc0 .LBB379_2473
; %bb.2469:
	global_load_dwordx2 v[10:11], v[12:13], off
	s_mov_b64 s[0:1], 0
	s_waitcnt vmcnt(0)
	v_cvt_i32_f64_e32 v10, v[10:11]
	s_branch .LBB379_2474
.LBB379_2470:
	s_mov_b64 s[0:1], -1
                                        ; implicit-def: $vgpr10
	s_branch .LBB379_2492
.LBB379_2471:
	s_mov_b64 s[0:1], -1
                                        ; implicit-def: $vgpr10
	s_branch .LBB379_2480
.LBB379_2472:
	s_mov_b64 s[0:1], -1
                                        ; implicit-def: $vgpr10
	s_branch .LBB379_2477
.LBB379_2473:
	s_mov_b64 s[0:1], -1
                                        ; implicit-def: $vgpr10
.LBB379_2474:
	s_andn2_b64 vcc, exec, s[0:1]
	s_cbranch_vccnz .LBB379_2476
; %bb.2475:
	global_load_dword v2, v[12:13], off
	s_waitcnt vmcnt(0)
	v_cvt_i32_f32_e32 v10, v2
.LBB379_2476:
	s_mov_b64 s[0:1], 0
.LBB379_2477:
	s_andn2_b64 vcc, exec, s[0:1]
	s_cbranch_vccnz .LBB379_2479
; %bb.2478:
	global_load_dword v2, v[12:13], off
	s_waitcnt vmcnt(0)
	v_cvt_i16_f16_e32 v10, v2
.LBB379_2479:
	s_mov_b64 s[0:1], 0
.LBB379_2480:
	s_andn2_b64 vcc, exec, s[0:1]
	s_cbranch_vccnz .LBB379_2491
; %bb.2481:
	s_cmp_lt_i32 s2, 6
	s_cbranch_scc1 .LBB379_2484
; %bb.2482:
	s_cmp_gt_i32 s2, 6
	s_cbranch_scc0 .LBB379_2485
; %bb.2483:
	global_load_dwordx2 v[10:11], v[12:13], off
	s_mov_b64 s[0:1], 0
	s_waitcnt vmcnt(0)
	v_cvt_i32_f64_e32 v10, v[10:11]
	s_branch .LBB379_2486
.LBB379_2484:
	s_mov_b64 s[0:1], -1
                                        ; implicit-def: $vgpr10
	s_branch .LBB379_2489
.LBB379_2485:
	s_mov_b64 s[0:1], -1
                                        ; implicit-def: $vgpr10
.LBB379_2486:
	s_andn2_b64 vcc, exec, s[0:1]
	s_cbranch_vccnz .LBB379_2488
; %bb.2487:
	global_load_dword v2, v[12:13], off
	s_waitcnt vmcnt(0)
	v_cvt_i32_f32_e32 v10, v2
.LBB379_2488:
	s_mov_b64 s[0:1], 0
.LBB379_2489:
	s_andn2_b64 vcc, exec, s[0:1]
	s_cbranch_vccnz .LBB379_2491
; %bb.2490:
	global_load_ushort v2, v[12:13], off
	s_waitcnt vmcnt(0)
	v_cvt_i16_f16_e32 v10, v2
.LBB379_2491:
	s_mov_b64 s[0:1], 0
.LBB379_2492:
	s_andn2_b64 vcc, exec, s[0:1]
	s_cbranch_vccnz .LBB379_2512
; %bb.2493:
	s_cmp_lt_i32 s2, 2
	s_cbranch_scc1 .LBB379_2497
; %bb.2494:
	s_cmp_lt_i32 s2, 3
	s_cbranch_scc1 .LBB379_2498
; %bb.2495:
	s_cmp_gt_i32 s2, 3
	s_cbranch_scc0 .LBB379_2499
; %bb.2496:
	global_load_dwordx2 v[10:11], v[12:13], off
	s_mov_b64 s[0:1], 0
	s_branch .LBB379_2500
.LBB379_2497:
	s_mov_b64 s[0:1], -1
                                        ; implicit-def: $vgpr10
	s_branch .LBB379_2506
.LBB379_2498:
	s_mov_b64 s[0:1], -1
                                        ; implicit-def: $vgpr10
	s_branch .LBB379_2503
.LBB379_2499:
	s_mov_b64 s[0:1], -1
                                        ; implicit-def: $vgpr10
.LBB379_2500:
	s_andn2_b64 vcc, exec, s[0:1]
	s_cbranch_vccnz .LBB379_2502
; %bb.2501:
	global_load_dword v10, v[12:13], off
.LBB379_2502:
	s_mov_b64 s[0:1], 0
.LBB379_2503:
	s_andn2_b64 vcc, exec, s[0:1]
	s_cbranch_vccnz .LBB379_2505
; %bb.2504:
	global_load_ushort v10, v[12:13], off
.LBB379_2505:
	s_mov_b64 s[0:1], 0
.LBB379_2506:
	s_andn2_b64 vcc, exec, s[0:1]
	s_cbranch_vccnz .LBB379_2512
; %bb.2507:
	s_cmp_gt_i32 s2, 0
	s_cbranch_scc0 .LBB379_2509
; %bb.2508:
	global_load_ubyte v10, v[12:13], off
	s_mov_b64 s[0:1], 0
	s_branch .LBB379_2510
.LBB379_2509:
	s_mov_b64 s[0:1], -1
                                        ; implicit-def: $vgpr10
.LBB379_2510:
	s_andn2_b64 vcc, exec, s[0:1]
	s_cbranch_vccnz .LBB379_2512
; %bb.2511:
	global_load_ubyte v10, v[12:13], off
.LBB379_2512:
	s_mov_b64 s[4:5], -1
.LBB379_2513:
	s_andn2_b64 vcc, exec, s[4:5]
	s_cbranch_vccnz .LBB379_2947
; %bb.2514:
	v_mul_lo_u32 v5, s12, v14
	s_cmp_eq_u32 s15, 0
	s_cselect_b64 s[2:3], -1, 0
	v_cmp_ne_u16_sdwa s[0:1], v0, v3 src0_sel:BYTE_0 src1_sel:BYTE_0
	s_xor_b64 s[4:5], s[2:3], s[0:1]
	v_ashrrev_i32_e32 v0, 31, v5
	v_mov_b32_e32 v3, s9
	s_and_b32 s24, s33, 0xff
	v_add_co_u32_e32 v2, vcc, s8, v5
	s_cmp_lt_i32 s24, 11
	v_addc_co_u32_e32 v3, vcc, v3, v0, vcc
	s_cbranch_scc1 .LBB379_2592
; %bb.2515:
	s_and_b32 s13, 0xffff, s24
	s_mov_b64 s[20:21], -1
	s_mov_b64 s[10:11], 0
	s_cmp_gt_i32 s13, 25
	s_mov_b64 s[14:15], 0
	s_mov_b64 s[0:1], 0
	s_cbranch_scc0 .LBB379_2548
; %bb.2516:
	s_cmp_gt_i32 s13, 28
	s_cbranch_scc0 .LBB379_2531
; %bb.2517:
	s_cmp_gt_i32 s13, 43
	;; [unrolled: 3-line block ×3, first 2 shown]
	s_cbranch_scc0 .LBB379_2521
; %bb.2519:
	s_mov_b64 s[0:1], -1
	s_mov_b64 s[20:21], 0
	s_cmp_eq_u32 s13, 46
	s_cbranch_scc0 .LBB379_2521
; %bb.2520:
	v_cndmask_b32_e64 v0, 0, 1.0, s[4:5]
	v_bfe_u32 v8, v0, 16, 1
	s_movk_i32 s0, 0x7fff
	v_add3_u32 v0, v0, v8, s0
	v_lshrrev_b32_e32 v0, 16, v0
	global_store_dword v[2:3], v0, off
	s_mov_b64 s[0:1], 0
	s_mov_b64 s[14:15], -1
.LBB379_2521:
	s_and_b64 vcc, exec, s[20:21]
	s_cbranch_vccz .LBB379_2526
; %bb.2522:
	s_cmp_eq_u32 s13, 44
	s_mov_b64 s[0:1], -1
	s_cbranch_scc0 .LBB379_2526
; %bb.2523:
	v_cndmask_b32_e64 v8, 0, 1.0, s[4:5]
	v_lshrrev_b32_e32 v0, 23, v8
	s_movk_i32 s0, 0xff
	v_cmp_ne_u32_e32 vcc, s0, v0
	s_waitcnt vmcnt(0)
	v_mov_b32_e32 v11, 0xff
	s_and_saveexec_b64 s[14:15], vcc
; %bb.2524:
	s_mov_b32 s0, 0x3fffff
	v_and_b32_e32 v11, 0x400000, v8
	v_and_or_b32 v8, v8, s0, v0
	v_cmp_ne_u32_e32 vcc, 0, v11
	v_cmp_ne_u32_e64 s[0:1], 0, v8
	s_and_b64 s[0:1], vcc, s[0:1]
	v_cndmask_b32_e64 v8, 0, 1, s[0:1]
	v_add_u32_e32 v11, v0, v8
; %bb.2525:
	s_or_b64 exec, exec, s[14:15]
	s_mov_b64 s[0:1], 0
	s_mov_b64 s[14:15], -1
	global_store_byte v[2:3], v11, off
.LBB379_2526:
	s_mov_b64 s[20:21], 0
.LBB379_2527:
	s_and_b64 vcc, exec, s[20:21]
	s_cbranch_vccz .LBB379_2530
; %bb.2528:
	s_cmp_eq_u32 s13, 29
	s_mov_b64 s[0:1], -1
	s_cbranch_scc0 .LBB379_2530
; %bb.2529:
	s_mov_b32 s0, 0
	s_waitcnt vmcnt(0)
	v_cndmask_b32_e64 v11, 0, 1, s[4:5]
	v_mov_b32_e32 v12, s0
	global_store_dwordx2 v[2:3], v[11:12], off
	s_mov_b64 s[0:1], 0
	s_mov_b64 s[14:15], -1
.LBB379_2530:
	s_mov_b64 s[20:21], 0
.LBB379_2531:
	s_and_b64 vcc, exec, s[20:21]
	s_cbranch_vccz .LBB379_2547
; %bb.2532:
	s_cmp_lt_i32 s13, 27
	s_mov_b64 s[14:15], -1
	s_cbranch_scc1 .LBB379_2538
; %bb.2533:
	s_cmp_gt_i32 s13, 27
	s_cbranch_scc0 .LBB379_2535
; %bb.2534:
	v_cndmask_b32_e64 v0, 0, 1, s[4:5]
	s_mov_b64 s[14:15], 0
	global_store_dword v[2:3], v0, off
.LBB379_2535:
	s_andn2_b64 vcc, exec, s[14:15]
	s_cbranch_vccnz .LBB379_2537
; %bb.2536:
	v_cndmask_b32_e64 v0, 0, 1, s[4:5]
	global_store_short v[2:3], v0, off
.LBB379_2537:
	s_mov_b64 s[14:15], 0
.LBB379_2538:
	s_andn2_b64 vcc, exec, s[14:15]
	s_cbranch_vccnz .LBB379_2546
; %bb.2539:
	v_cndmask_b32_e64 v8, 0, 1.0, s[4:5]
	s_mov_b32 s14, 0x43800000
	v_cmp_gt_u32_e32 vcc, s14, v8
	s_waitcnt vmcnt(0)
	v_mov_b32_e32 v11, 0x80
	s_and_saveexec_b64 s[14:15], vcc
	s_cbranch_execz .LBB379_2545
; %bb.2540:
	s_mov_b32 s20, 0x3bffffff
	v_cmp_lt_u32_e32 vcc, s20, v8
	s_mov_b64 s[20:21], 0
                                        ; implicit-def: $vgpr0
	s_and_saveexec_b64 s[22:23], vcc
	s_xor_b64 s[22:23], exec, s[22:23]
	s_cbranch_execz .LBB379_2994
; %bb.2541:
	v_bfe_u32 v0, v8, 20, 1
	s_mov_b32 s25, 0x487ffff
	v_add3_u32 v0, v8, v0, s25
	s_mov_b64 s[20:21], exec
	v_lshrrev_b32_e32 v0, 20, v0
                                        ; implicit-def: $vgpr8
	s_andn2_saveexec_b64 s[22:23], s[22:23]
	s_cbranch_execnz .LBB379_2995
.LBB379_2542:
	s_or_b64 exec, exec, s[22:23]
	v_mov_b32_e32 v11, 0
	s_and_saveexec_b64 s[22:23], s[20:21]
.LBB379_2543:
	v_mov_b32_e32 v11, v0
.LBB379_2544:
	s_or_b64 exec, exec, s[22:23]
.LBB379_2545:
	s_or_b64 exec, exec, s[14:15]
	global_store_byte v[2:3], v11, off
.LBB379_2546:
	s_mov_b64 s[14:15], -1
.LBB379_2547:
	s_mov_b64 s[20:21], 0
.LBB379_2548:
	s_and_b64 vcc, exec, s[20:21]
	s_cbranch_vccz .LBB379_2588
; %bb.2549:
	s_cmp_gt_i32 s13, 22
	s_mov_b64 s[10:11], -1
	s_cbranch_scc0 .LBB379_2581
; %bb.2550:
	s_cmp_lt_i32 s13, 24
	s_cbranch_scc1 .LBB379_2570
; %bb.2551:
	s_cmp_gt_i32 s13, 24
	s_cbranch_scc0 .LBB379_2559
; %bb.2552:
	v_cndmask_b32_e64 v8, 0, 1.0, s[4:5]
	s_mov_b32 s10, 0x47800000
	v_cmp_gt_u32_e32 vcc, s10, v8
	s_waitcnt vmcnt(0)
	v_mov_b32_e32 v11, 0x80
	s_and_saveexec_b64 s[10:11], vcc
	s_cbranch_execz .LBB379_2558
; %bb.2553:
	s_mov_b32 s14, 0x37ffffff
	v_cmp_lt_u32_e32 vcc, s14, v8
	s_mov_b64 s[14:15], 0
                                        ; implicit-def: $vgpr0
	s_and_saveexec_b64 s[20:21], vcc
	s_xor_b64 s[20:21], exec, s[20:21]
	s_cbranch_execz .LBB379_2997
; %bb.2554:
	v_bfe_u32 v0, v8, 21, 1
	s_mov_b32 s22, 0x88fffff
	v_add3_u32 v0, v8, v0, s22
	s_mov_b64 s[14:15], exec
	v_lshrrev_b32_e32 v0, 21, v0
                                        ; implicit-def: $vgpr8
	s_andn2_saveexec_b64 s[20:21], s[20:21]
	s_cbranch_execnz .LBB379_2998
.LBB379_2555:
	s_or_b64 exec, exec, s[20:21]
	v_mov_b32_e32 v11, 0
	s_and_saveexec_b64 s[20:21], s[14:15]
.LBB379_2556:
	v_mov_b32_e32 v11, v0
.LBB379_2557:
	s_or_b64 exec, exec, s[20:21]
.LBB379_2558:
	s_or_b64 exec, exec, s[10:11]
	s_mov_b64 s[10:11], 0
	global_store_byte v[2:3], v11, off
.LBB379_2559:
	s_and_b64 vcc, exec, s[10:11]
	s_cbranch_vccz .LBB379_2569
; %bb.2560:
	v_cndmask_b32_e64 v0, 0, 1.0, s[4:5]
	s_mov_b32 s10, 0x43f00000
	v_cmp_gt_u32_e32 vcc, s10, v0
                                        ; implicit-def: $vgpr8
	s_and_saveexec_b64 s[10:11], vcc
	s_xor_b64 s[10:11], exec, s[10:11]
	s_cbranch_execz .LBB379_2566
; %bb.2561:
	s_mov_b32 s14, 0x3c7fffff
	v_cmp_lt_u32_e32 vcc, s14, v0
                                        ; implicit-def: $vgpr8
	s_and_saveexec_b64 s[14:15], vcc
	s_xor_b64 s[14:15], exec, s[14:15]
	s_cbranch_execz .LBB379_2563
; %bb.2562:
	v_bfe_u32 v8, v0, 20, 1
	s_mov_b32 s20, 0x407ffff
	v_add3_u32 v0, v0, v8, s20
	v_lshrrev_b32_e32 v8, 20, v0
	v_and_b32_e32 v0, 0xff00000, v0
	s_mov_b32 s20, 0x7f00000
	s_waitcnt vmcnt(0)
	v_mov_b32_e32 v11, 0x7e
	v_cmp_ne_u32_e32 vcc, s20, v0
	v_cndmask_b32_e32 v8, v11, v8, vcc
                                        ; implicit-def: $vgpr0
.LBB379_2563:
	s_andn2_saveexec_b64 s[14:15], s[14:15]
; %bb.2564:
	v_add_f32_e32 v8, 0x46800000, v0
; %bb.2565:
	s_or_b64 exec, exec, s[14:15]
                                        ; implicit-def: $vgpr0
.LBB379_2566:
	s_andn2_saveexec_b64 s[10:11], s[10:11]
	s_cbranch_execz .LBB379_2568
; %bb.2567:
	s_mov_b32 s14, 0x7f800000
	v_mov_b32_e32 v8, 0x7e
	s_waitcnt vmcnt(0)
	v_mov_b32_e32 v11, 0x7f
	v_cmp_lt_u32_e32 vcc, s14, v0
	v_cndmask_b32_e32 v8, v8, v11, vcc
.LBB379_2568:
	s_or_b64 exec, exec, s[10:11]
	global_store_byte v[2:3], v8, off
.LBB379_2569:
	s_mov_b64 s[10:11], 0
.LBB379_2570:
	s_andn2_b64 vcc, exec, s[10:11]
	s_cbranch_vccnz .LBB379_2580
; %bb.2571:
	v_cndmask_b32_e64 v0, 0, 1.0, s[4:5]
	s_mov_b32 s10, 0x47800000
	v_cmp_gt_u32_e32 vcc, s10, v0
                                        ; implicit-def: $vgpr8
	s_and_saveexec_b64 s[10:11], vcc
	s_xor_b64 s[10:11], exec, s[10:11]
	s_cbranch_execz .LBB379_2577
; %bb.2572:
	s_mov_b32 s14, 0x387fffff
	v_cmp_lt_u32_e32 vcc, s14, v0
                                        ; implicit-def: $vgpr8
	s_and_saveexec_b64 s[14:15], vcc
	s_xor_b64 s[14:15], exec, s[14:15]
; %bb.2573:
	v_bfe_u32 v8, v0, 21, 1
	s_mov_b32 s20, 0x80fffff
	v_add3_u32 v0, v0, v8, s20
	v_lshrrev_b32_e32 v8, 21, v0
                                        ; implicit-def: $vgpr0
; %bb.2574:
	s_andn2_saveexec_b64 s[14:15], s[14:15]
; %bb.2575:
	v_add_f32_e32 v8, 0x43000000, v0
; %bb.2576:
	s_or_b64 exec, exec, s[14:15]
                                        ; implicit-def: $vgpr0
.LBB379_2577:
	s_andn2_saveexec_b64 s[10:11], s[10:11]
	s_cbranch_execz .LBB379_2579
; %bb.2578:
	s_mov_b32 s14, 0x7f800000
	v_mov_b32_e32 v8, 0x7c
	s_waitcnt vmcnt(0)
	v_mov_b32_e32 v11, 0x7f
	v_cmp_lt_u32_e32 vcc, s14, v0
	v_cndmask_b32_e32 v8, v8, v11, vcc
.LBB379_2579:
	s_or_b64 exec, exec, s[10:11]
	global_store_byte v[2:3], v8, off
.LBB379_2580:
	s_mov_b64 s[10:11], 0
	s_mov_b64 s[14:15], -1
.LBB379_2581:
	s_andn2_b64 vcc, exec, s[10:11]
	s_mov_b64 s[10:11], 0
	s_cbranch_vccnz .LBB379_2588
; %bb.2582:
	s_cmp_gt_i32 s13, 14
	s_mov_b64 s[20:21], -1
	s_cbranch_scc0 .LBB379_2586
; %bb.2583:
	s_cmp_eq_u32 s13, 15
	s_mov_b64 s[0:1], -1
	s_cbranch_scc0 .LBB379_2585
; %bb.2584:
	v_cndmask_b32_e64 v0, 0, 1.0, s[4:5]
	v_bfe_u32 v8, v0, 16, 1
	s_movk_i32 s0, 0x7fff
	v_add3_u32 v0, v0, v8, s0
	global_store_short_d16_hi v[2:3], v0, off
	s_mov_b64 s[0:1], 0
	s_mov_b64 s[14:15], -1
.LBB379_2585:
	s_mov_b64 s[20:21], 0
.LBB379_2586:
	s_and_b64 vcc, exec, s[20:21]
	s_cbranch_vccz .LBB379_2588
; %bb.2587:
	s_cmp_lg_u32 s13, 11
	s_mov_b64 s[10:11], -1
	s_cselect_b64 s[0:1], -1, 0
.LBB379_2588:
	s_and_b64 vcc, exec, s[0:1]
	s_cbranch_vccnz .LBB379_2996
; %bb.2589:
	s_andn2_b64 vcc, exec, s[10:11]
	s_cbranch_vccnz .LBB379_2591
.LBB379_2590:
	v_cndmask_b32_e64 v0, 0, 1, s[4:5]
	s_mov_b64 s[14:15], -1
	global_store_byte v[2:3], v0, off
.LBB379_2591:
	s_mov_b64 s[0:1], 0
	s_branch .LBB379_2593
.LBB379_2592:
	s_mov_b64 s[0:1], -1
	s_mov_b64 s[14:15], 0
.LBB379_2593:
	s_and_b64 vcc, exec, s[0:1]
	s_cbranch_vccz .LBB379_2632
; %bb.2594:
	s_and_b32 s10, 0xffff, s24
	s_cmp_lt_i32 s10, 5
	s_mov_b64 s[0:1], -1
	s_cbranch_scc1 .LBB379_2615
; %bb.2595:
	s_cmp_lt_i32 s10, 8
	s_cbranch_scc1 .LBB379_2605
; %bb.2596:
	s_cmp_lt_i32 s10, 9
	s_cbranch_scc1 .LBB379_2602
; %bb.2597:
	s_cmp_gt_i32 s10, 9
	s_cbranch_scc0 .LBB379_2599
; %bb.2598:
	v_cndmask_b32_e64 v0, 0, 1, s[4:5]
	s_waitcnt vmcnt(0)
	v_cvt_f64_u32_e32 v[11:12], v0
	v_mov_b32_e32 v13, 0
	v_mov_b32_e32 v14, v13
	s_mov_b64 s[0:1], 0
	global_store_dwordx4 v[2:3], v[11:14], off
.LBB379_2599:
	s_andn2_b64 vcc, exec, s[0:1]
	s_cbranch_vccnz .LBB379_2601
; %bb.2600:
	s_waitcnt vmcnt(0)
	v_cndmask_b32_e64 v11, 0, 1.0, s[4:5]
	v_mov_b32_e32 v12, 0
	global_store_dwordx2 v[2:3], v[11:12], off
.LBB379_2601:
	s_mov_b64 s[0:1], 0
.LBB379_2602:
	s_andn2_b64 vcc, exec, s[0:1]
	s_cbranch_vccnz .LBB379_2604
; %bb.2603:
	v_cndmask_b32_e64 v0, 0, 1.0, s[4:5]
	v_cvt_f16_f32_e32 v0, v0
	global_store_dword v[2:3], v0, off
.LBB379_2604:
	s_mov_b64 s[0:1], 0
.LBB379_2605:
	s_andn2_b64 vcc, exec, s[0:1]
	s_cbranch_vccnz .LBB379_2614
; %bb.2606:
	s_cmp_lt_i32 s10, 6
	s_mov_b64 s[0:1], -1
	s_cbranch_scc1 .LBB379_2612
; %bb.2607:
	s_cmp_gt_i32 s10, 6
	s_cbranch_scc0 .LBB379_2609
; %bb.2608:
	v_cndmask_b32_e64 v0, 0, 1, s[4:5]
	s_waitcnt vmcnt(0)
	v_cvt_f64_u32_e32 v[11:12], v0
	s_mov_b64 s[0:1], 0
	global_store_dwordx2 v[2:3], v[11:12], off
.LBB379_2609:
	s_andn2_b64 vcc, exec, s[0:1]
	s_cbranch_vccnz .LBB379_2611
; %bb.2610:
	v_cndmask_b32_e64 v0, 0, 1.0, s[4:5]
	global_store_dword v[2:3], v0, off
.LBB379_2611:
	s_mov_b64 s[0:1], 0
.LBB379_2612:
	s_andn2_b64 vcc, exec, s[0:1]
	s_cbranch_vccnz .LBB379_2614
; %bb.2613:
	v_cndmask_b32_e64 v0, 0, 1.0, s[4:5]
	v_cvt_f16_f32_e32 v0, v0
	global_store_short v[2:3], v0, off
.LBB379_2614:
	s_mov_b64 s[0:1], 0
.LBB379_2615:
	s_andn2_b64 vcc, exec, s[0:1]
	s_cbranch_vccnz .LBB379_2631
; %bb.2616:
	s_cmp_lt_i32 s10, 2
	s_mov_b64 s[0:1], -1
	s_cbranch_scc1 .LBB379_2626
; %bb.2617:
	s_cmp_lt_i32 s10, 3
	s_cbranch_scc1 .LBB379_2623
; %bb.2618:
	s_cmp_gt_i32 s10, 3
	s_cbranch_scc0 .LBB379_2620
; %bb.2619:
	s_mov_b32 s0, 0
	s_waitcnt vmcnt(0)
	v_cndmask_b32_e64 v11, 0, 1, s[4:5]
	v_mov_b32_e32 v12, s0
	global_store_dwordx2 v[2:3], v[11:12], off
	s_mov_b64 s[0:1], 0
.LBB379_2620:
	s_andn2_b64 vcc, exec, s[0:1]
	s_cbranch_vccnz .LBB379_2622
; %bb.2621:
	v_cndmask_b32_e64 v0, 0, 1, s[4:5]
	global_store_dword v[2:3], v0, off
.LBB379_2622:
	s_mov_b64 s[0:1], 0
.LBB379_2623:
	s_andn2_b64 vcc, exec, s[0:1]
	s_cbranch_vccnz .LBB379_2625
; %bb.2624:
	v_cndmask_b32_e64 v0, 0, 1, s[4:5]
	global_store_short v[2:3], v0, off
.LBB379_2625:
	s_mov_b64 s[0:1], 0
.LBB379_2626:
	s_andn2_b64 vcc, exec, s[0:1]
	s_cbranch_vccnz .LBB379_2631
; %bb.2627:
	s_mov_b64 s[0:1], -1
	s_cmp_gt_i32 s10, 0
	v_cndmask_b32_e64 v0, 0, 1, s[4:5]
	s_cbranch_scc0 .LBB379_2629
; %bb.2628:
	global_store_byte v[2:3], v0, off
	s_mov_b64 s[0:1], 0
.LBB379_2629:
	s_andn2_b64 vcc, exec, s[0:1]
	s_cbranch_vccnz .LBB379_2631
; %bb.2630:
	global_store_byte v[2:3], v0, off
.LBB379_2631:
	s_mov_b64 s[14:15], -1
.LBB379_2632:
	s_andn2_b64 vcc, exec, s[14:15]
	s_cbranch_vccnz .LBB379_2947
; %bb.2633:
	s_lshl_b32 s22, s12, 7
	v_cmp_ne_u16_sdwa s[0:1], v1, v6 src0_sel:BYTE_0 src1_sel:BYTE_0
	v_add_u32_e32 v2, s22, v5
	s_xor_b64 s[4:5], s[2:3], s[0:1]
	v_ashrrev_i32_e32 v1, 31, v2
	v_mov_b32_e32 v3, s9
	v_add_co_u32_e32 v0, vcc, s8, v2
	s_cmp_lt_i32 s24, 11
	v_addc_co_u32_e32 v1, vcc, v3, v1, vcc
	s_cbranch_scc1 .LBB379_2711
; %bb.2634:
	s_and_b32 s23, 0xffff, s24
	s_mov_b64 s[14:15], -1
	s_mov_b64 s[10:11], 0
	s_cmp_gt_i32 s23, 25
	s_mov_b64 s[12:13], 0
	s_mov_b64 s[0:1], 0
	s_cbranch_scc0 .LBB379_2667
; %bb.2635:
	s_cmp_gt_i32 s23, 28
	s_cbranch_scc0 .LBB379_2650
; %bb.2636:
	s_cmp_gt_i32 s23, 43
	s_cbranch_scc0 .LBB379_2646
; %bb.2637:
	s_cmp_gt_i32 s23, 45
	s_cbranch_scc0 .LBB379_2640
; %bb.2638:
	s_mov_b64 s[0:1], -1
	s_mov_b64 s[14:15], 0
	s_cmp_eq_u32 s23, 46
	s_cbranch_scc0 .LBB379_2640
; %bb.2639:
	v_cndmask_b32_e64 v3, 0, 1.0, s[4:5]
	v_bfe_u32 v5, v3, 16, 1
	s_movk_i32 s0, 0x7fff
	v_add3_u32 v3, v3, v5, s0
	v_lshrrev_b32_e32 v3, 16, v3
	global_store_dword v[0:1], v3, off
	s_mov_b64 s[0:1], 0
	s_mov_b64 s[12:13], -1
.LBB379_2640:
	s_and_b64 vcc, exec, s[14:15]
	s_cbranch_vccz .LBB379_2645
; %bb.2641:
	s_cmp_eq_u32 s23, 44
	s_mov_b64 s[0:1], -1
	s_cbranch_scc0 .LBB379_2645
; %bb.2642:
	v_cndmask_b32_e64 v5, 0, 1.0, s[4:5]
	v_lshrrev_b32_e32 v3, 23, v5
	s_movk_i32 s0, 0xff
	v_cmp_ne_u32_e32 vcc, s0, v3
	v_mov_b32_e32 v6, 0xff
	s_and_saveexec_b64 s[12:13], vcc
; %bb.2643:
	s_mov_b32 s0, 0x3fffff
	v_and_b32_e32 v6, 0x400000, v5
	v_and_or_b32 v5, v5, s0, v3
	v_cmp_ne_u32_e32 vcc, 0, v6
	v_cmp_ne_u32_e64 s[0:1], 0, v5
	s_and_b64 s[0:1], vcc, s[0:1]
	v_cndmask_b32_e64 v5, 0, 1, s[0:1]
	v_add_u32_e32 v6, v3, v5
; %bb.2644:
	s_or_b64 exec, exec, s[12:13]
	s_mov_b64 s[0:1], 0
	s_mov_b64 s[12:13], -1
	global_store_byte v[0:1], v6, off
.LBB379_2645:
	s_mov_b64 s[14:15], 0
.LBB379_2646:
	s_and_b64 vcc, exec, s[14:15]
	s_cbranch_vccz .LBB379_2649
; %bb.2647:
	s_cmp_eq_u32 s23, 29
	s_mov_b64 s[0:1], -1
	s_cbranch_scc0 .LBB379_2649
; %bb.2648:
	s_mov_b32 s0, 0
	v_cndmask_b32_e64 v5, 0, 1, s[4:5]
	v_mov_b32_e32 v6, s0
	global_store_dwordx2 v[0:1], v[5:6], off
	s_mov_b64 s[0:1], 0
	s_mov_b64 s[12:13], -1
.LBB379_2649:
	s_mov_b64 s[14:15], 0
.LBB379_2650:
	s_and_b64 vcc, exec, s[14:15]
	s_cbranch_vccz .LBB379_2666
; %bb.2651:
	s_cmp_lt_i32 s23, 27
	s_mov_b64 s[12:13], -1
	s_cbranch_scc1 .LBB379_2657
; %bb.2652:
	s_cmp_gt_i32 s23, 27
	s_cbranch_scc0 .LBB379_2654
; %bb.2653:
	v_cndmask_b32_e64 v3, 0, 1, s[4:5]
	s_mov_b64 s[12:13], 0
	global_store_dword v[0:1], v3, off
.LBB379_2654:
	s_andn2_b64 vcc, exec, s[12:13]
	s_cbranch_vccnz .LBB379_2656
; %bb.2655:
	v_cndmask_b32_e64 v3, 0, 1, s[4:5]
	global_store_short v[0:1], v3, off
.LBB379_2656:
	s_mov_b64 s[12:13], 0
.LBB379_2657:
	s_andn2_b64 vcc, exec, s[12:13]
	s_cbranch_vccnz .LBB379_2665
; %bb.2658:
	v_cndmask_b32_e64 v5, 0, 1.0, s[4:5]
	s_mov_b32 s12, 0x43800000
	v_cmp_gt_u32_e32 vcc, s12, v5
	v_mov_b32_e32 v6, 0x80
	s_and_saveexec_b64 s[12:13], vcc
	s_cbranch_execz .LBB379_2664
; %bb.2659:
	s_mov_b32 s14, 0x3bffffff
	v_cmp_lt_u32_e32 vcc, s14, v5
	s_mov_b64 s[14:15], 0
                                        ; implicit-def: $vgpr3
	s_and_saveexec_b64 s[20:21], vcc
	s_xor_b64 s[20:21], exec, s[20:21]
	s_cbranch_execz .LBB379_2999
; %bb.2660:
	v_bfe_u32 v3, v5, 20, 1
	s_mov_b32 s25, 0x487ffff
	v_add3_u32 v3, v5, v3, s25
	s_mov_b64 s[14:15], exec
	v_lshrrev_b32_e32 v3, 20, v3
                                        ; implicit-def: $vgpr5
	s_andn2_saveexec_b64 s[20:21], s[20:21]
	s_cbranch_execnz .LBB379_3000
.LBB379_2661:
	s_or_b64 exec, exec, s[20:21]
	v_mov_b32_e32 v6, 0
	s_and_saveexec_b64 s[20:21], s[14:15]
.LBB379_2662:
	v_mov_b32_e32 v6, v3
.LBB379_2663:
	s_or_b64 exec, exec, s[20:21]
.LBB379_2664:
	s_or_b64 exec, exec, s[12:13]
	global_store_byte v[0:1], v6, off
.LBB379_2665:
	s_mov_b64 s[12:13], -1
.LBB379_2666:
	s_mov_b64 s[14:15], 0
.LBB379_2667:
	s_and_b64 vcc, exec, s[14:15]
	s_cbranch_vccz .LBB379_2707
; %bb.2668:
	s_cmp_gt_i32 s23, 22
	s_mov_b64 s[10:11], -1
	s_cbranch_scc0 .LBB379_2700
; %bb.2669:
	s_cmp_lt_i32 s23, 24
	s_cbranch_scc1 .LBB379_2689
; %bb.2670:
	s_cmp_gt_i32 s23, 24
	s_cbranch_scc0 .LBB379_2678
; %bb.2671:
	v_cndmask_b32_e64 v5, 0, 1.0, s[4:5]
	s_mov_b32 s10, 0x47800000
	v_cmp_gt_u32_e32 vcc, s10, v5
	v_mov_b32_e32 v6, 0x80
	s_and_saveexec_b64 s[10:11], vcc
	s_cbranch_execz .LBB379_2677
; %bb.2672:
	s_mov_b32 s12, 0x37ffffff
	v_cmp_lt_u32_e32 vcc, s12, v5
	s_mov_b64 s[12:13], 0
                                        ; implicit-def: $vgpr3
	s_and_saveexec_b64 s[14:15], vcc
	s_xor_b64 s[14:15], exec, s[14:15]
	s_cbranch_execz .LBB379_3002
; %bb.2673:
	v_bfe_u32 v3, v5, 21, 1
	s_mov_b32 s20, 0x88fffff
	v_add3_u32 v3, v5, v3, s20
	s_mov_b64 s[12:13], exec
	v_lshrrev_b32_e32 v3, 21, v3
                                        ; implicit-def: $vgpr5
	s_andn2_saveexec_b64 s[14:15], s[14:15]
	s_cbranch_execnz .LBB379_3003
.LBB379_2674:
	s_or_b64 exec, exec, s[14:15]
	v_mov_b32_e32 v6, 0
	s_and_saveexec_b64 s[14:15], s[12:13]
.LBB379_2675:
	v_mov_b32_e32 v6, v3
.LBB379_2676:
	s_or_b64 exec, exec, s[14:15]
.LBB379_2677:
	s_or_b64 exec, exec, s[10:11]
	s_mov_b64 s[10:11], 0
	global_store_byte v[0:1], v6, off
.LBB379_2678:
	s_and_b64 vcc, exec, s[10:11]
	s_cbranch_vccz .LBB379_2688
; %bb.2679:
	v_cndmask_b32_e64 v3, 0, 1.0, s[4:5]
	s_mov_b32 s10, 0x43f00000
	v_cmp_gt_u32_e32 vcc, s10, v3
                                        ; implicit-def: $vgpr5
	s_and_saveexec_b64 s[10:11], vcc
	s_xor_b64 s[10:11], exec, s[10:11]
	s_cbranch_execz .LBB379_2685
; %bb.2680:
	s_mov_b32 s12, 0x3c7fffff
	v_cmp_lt_u32_e32 vcc, s12, v3
                                        ; implicit-def: $vgpr5
	s_and_saveexec_b64 s[12:13], vcc
	s_xor_b64 s[12:13], exec, s[12:13]
; %bb.2681:
	v_bfe_u32 v5, v3, 20, 1
	s_mov_b32 s14, 0x407ffff
	v_add3_u32 v3, v3, v5, s14
	v_lshrrev_b32_e32 v5, 20, v3
	v_and_b32_e32 v3, 0xff00000, v3
	s_mov_b32 s14, 0x7f00000
	v_mov_b32_e32 v6, 0x7e
	v_cmp_ne_u32_e32 vcc, s14, v3
	v_cndmask_b32_e32 v5, v6, v5, vcc
                                        ; implicit-def: $vgpr3
; %bb.2682:
	s_andn2_saveexec_b64 s[12:13], s[12:13]
; %bb.2683:
	v_add_f32_e32 v5, 0x46800000, v3
; %bb.2684:
	s_or_b64 exec, exec, s[12:13]
                                        ; implicit-def: $vgpr3
.LBB379_2685:
	s_andn2_saveexec_b64 s[10:11], s[10:11]
; %bb.2686:
	s_mov_b32 s12, 0x7f800000
	v_mov_b32_e32 v5, 0x7e
	v_mov_b32_e32 v6, 0x7f
	v_cmp_lt_u32_e32 vcc, s12, v3
	v_cndmask_b32_e32 v5, v5, v6, vcc
; %bb.2687:
	s_or_b64 exec, exec, s[10:11]
	global_store_byte v[0:1], v5, off
.LBB379_2688:
	s_mov_b64 s[10:11], 0
.LBB379_2689:
	s_andn2_b64 vcc, exec, s[10:11]
	s_cbranch_vccnz .LBB379_2699
; %bb.2690:
	v_cndmask_b32_e64 v3, 0, 1.0, s[4:5]
	s_mov_b32 s10, 0x47800000
	v_cmp_gt_u32_e32 vcc, s10, v3
                                        ; implicit-def: $vgpr5
	s_and_saveexec_b64 s[10:11], vcc
	s_xor_b64 s[10:11], exec, s[10:11]
	s_cbranch_execz .LBB379_2696
; %bb.2691:
	s_mov_b32 s12, 0x387fffff
	v_cmp_lt_u32_e32 vcc, s12, v3
                                        ; implicit-def: $vgpr5
	s_and_saveexec_b64 s[12:13], vcc
	s_xor_b64 s[12:13], exec, s[12:13]
; %bb.2692:
	v_bfe_u32 v5, v3, 21, 1
	s_mov_b32 s14, 0x80fffff
	v_add3_u32 v3, v3, v5, s14
	v_lshrrev_b32_e32 v5, 21, v3
                                        ; implicit-def: $vgpr3
; %bb.2693:
	s_andn2_saveexec_b64 s[12:13], s[12:13]
; %bb.2694:
	v_add_f32_e32 v5, 0x43000000, v3
; %bb.2695:
	s_or_b64 exec, exec, s[12:13]
                                        ; implicit-def: $vgpr3
.LBB379_2696:
	s_andn2_saveexec_b64 s[10:11], s[10:11]
; %bb.2697:
	s_mov_b32 s12, 0x7f800000
	v_mov_b32_e32 v5, 0x7c
	v_mov_b32_e32 v6, 0x7f
	v_cmp_lt_u32_e32 vcc, s12, v3
	v_cndmask_b32_e32 v5, v5, v6, vcc
; %bb.2698:
	s_or_b64 exec, exec, s[10:11]
	global_store_byte v[0:1], v5, off
.LBB379_2699:
	s_mov_b64 s[10:11], 0
	s_mov_b64 s[12:13], -1
.LBB379_2700:
	s_andn2_b64 vcc, exec, s[10:11]
	s_mov_b64 s[10:11], 0
	s_cbranch_vccnz .LBB379_2707
; %bb.2701:
	s_cmp_gt_i32 s23, 14
	s_mov_b64 s[14:15], -1
	s_cbranch_scc0 .LBB379_2705
; %bb.2702:
	s_cmp_eq_u32 s23, 15
	s_mov_b64 s[0:1], -1
	s_cbranch_scc0 .LBB379_2704
; %bb.2703:
	v_cndmask_b32_e64 v3, 0, 1.0, s[4:5]
	v_bfe_u32 v5, v3, 16, 1
	s_movk_i32 s0, 0x7fff
	v_add3_u32 v3, v3, v5, s0
	global_store_short_d16_hi v[0:1], v3, off
	s_mov_b64 s[0:1], 0
	s_mov_b64 s[12:13], -1
.LBB379_2704:
	s_mov_b64 s[14:15], 0
.LBB379_2705:
	s_and_b64 vcc, exec, s[14:15]
	s_cbranch_vccz .LBB379_2707
; %bb.2706:
	s_cmp_lg_u32 s23, 11
	s_mov_b64 s[10:11], -1
	s_cselect_b64 s[0:1], -1, 0
.LBB379_2707:
	s_and_b64 vcc, exec, s[0:1]
	s_cbranch_vccnz .LBB379_3001
; %bb.2708:
	s_andn2_b64 vcc, exec, s[10:11]
	s_cbranch_vccnz .LBB379_2710
.LBB379_2709:
	v_cndmask_b32_e64 v3, 0, 1, s[4:5]
	s_mov_b64 s[12:13], -1
	global_store_byte v[0:1], v3, off
.LBB379_2710:
	s_mov_b64 s[0:1], 0
	s_branch .LBB379_2712
.LBB379_2711:
	s_mov_b64 s[0:1], -1
	s_mov_b64 s[12:13], 0
.LBB379_2712:
	s_and_b64 vcc, exec, s[0:1]
	s_cbranch_vccz .LBB379_2751
; %bb.2713:
	s_and_b32 s10, 0xffff, s24
	s_cmp_lt_i32 s10, 5
	s_mov_b64 s[0:1], -1
	s_cbranch_scc1 .LBB379_2734
; %bb.2714:
	s_cmp_lt_i32 s10, 8
	s_cbranch_scc1 .LBB379_2724
; %bb.2715:
	s_cmp_lt_i32 s10, 9
	s_cbranch_scc1 .LBB379_2721
; %bb.2716:
	s_cmp_gt_i32 s10, 9
	s_cbranch_scc0 .LBB379_2718
; %bb.2717:
	v_cndmask_b32_e64 v3, 0, 1, s[4:5]
	s_waitcnt vmcnt(0)
	v_cvt_f64_u32_e32 v[11:12], v3
	v_mov_b32_e32 v13, 0
	v_mov_b32_e32 v14, v13
	s_mov_b64 s[0:1], 0
	global_store_dwordx4 v[0:1], v[11:14], off
.LBB379_2718:
	s_andn2_b64 vcc, exec, s[0:1]
	s_cbranch_vccnz .LBB379_2720
; %bb.2719:
	v_cndmask_b32_e64 v5, 0, 1.0, s[4:5]
	v_mov_b32_e32 v6, 0
	global_store_dwordx2 v[0:1], v[5:6], off
.LBB379_2720:
	s_mov_b64 s[0:1], 0
.LBB379_2721:
	s_andn2_b64 vcc, exec, s[0:1]
	s_cbranch_vccnz .LBB379_2723
; %bb.2722:
	v_cndmask_b32_e64 v3, 0, 1.0, s[4:5]
	v_cvt_f16_f32_e32 v3, v3
	global_store_dword v[0:1], v3, off
.LBB379_2723:
	s_mov_b64 s[0:1], 0
.LBB379_2724:
	s_andn2_b64 vcc, exec, s[0:1]
	s_cbranch_vccnz .LBB379_2733
; %bb.2725:
	s_cmp_lt_i32 s10, 6
	s_mov_b64 s[0:1], -1
	s_cbranch_scc1 .LBB379_2731
; %bb.2726:
	s_cmp_gt_i32 s10, 6
	s_cbranch_scc0 .LBB379_2728
; %bb.2727:
	v_cndmask_b32_e64 v3, 0, 1, s[4:5]
	v_cvt_f64_u32_e32 v[5:6], v3
	s_mov_b64 s[0:1], 0
	global_store_dwordx2 v[0:1], v[5:6], off
.LBB379_2728:
	s_andn2_b64 vcc, exec, s[0:1]
	s_cbranch_vccnz .LBB379_2730
; %bb.2729:
	v_cndmask_b32_e64 v3, 0, 1.0, s[4:5]
	global_store_dword v[0:1], v3, off
.LBB379_2730:
	s_mov_b64 s[0:1], 0
.LBB379_2731:
	s_andn2_b64 vcc, exec, s[0:1]
	s_cbranch_vccnz .LBB379_2733
; %bb.2732:
	v_cndmask_b32_e64 v3, 0, 1.0, s[4:5]
	v_cvt_f16_f32_e32 v3, v3
	global_store_short v[0:1], v3, off
.LBB379_2733:
	s_mov_b64 s[0:1], 0
.LBB379_2734:
	s_andn2_b64 vcc, exec, s[0:1]
	s_cbranch_vccnz .LBB379_2750
; %bb.2735:
	s_cmp_lt_i32 s10, 2
	s_mov_b64 s[0:1], -1
	s_cbranch_scc1 .LBB379_2745
; %bb.2736:
	s_cmp_lt_i32 s10, 3
	s_cbranch_scc1 .LBB379_2742
; %bb.2737:
	s_cmp_gt_i32 s10, 3
	s_cbranch_scc0 .LBB379_2739
; %bb.2738:
	s_mov_b32 s0, 0
	v_cndmask_b32_e64 v5, 0, 1, s[4:5]
	v_mov_b32_e32 v6, s0
	global_store_dwordx2 v[0:1], v[5:6], off
	s_mov_b64 s[0:1], 0
.LBB379_2739:
	s_andn2_b64 vcc, exec, s[0:1]
	s_cbranch_vccnz .LBB379_2741
; %bb.2740:
	v_cndmask_b32_e64 v3, 0, 1, s[4:5]
	global_store_dword v[0:1], v3, off
.LBB379_2741:
	s_mov_b64 s[0:1], 0
.LBB379_2742:
	s_andn2_b64 vcc, exec, s[0:1]
	s_cbranch_vccnz .LBB379_2744
; %bb.2743:
	v_cndmask_b32_e64 v3, 0, 1, s[4:5]
	global_store_short v[0:1], v3, off
.LBB379_2744:
	s_mov_b64 s[0:1], 0
.LBB379_2745:
	s_andn2_b64 vcc, exec, s[0:1]
	s_cbranch_vccnz .LBB379_2750
; %bb.2746:
	s_mov_b64 s[0:1], -1
	s_cmp_gt_i32 s10, 0
	v_cndmask_b32_e64 v3, 0, 1, s[4:5]
	s_cbranch_scc0 .LBB379_2748
; %bb.2747:
	global_store_byte v[0:1], v3, off
	s_mov_b64 s[0:1], 0
.LBB379_2748:
	s_andn2_b64 vcc, exec, s[0:1]
	s_cbranch_vccnz .LBB379_2750
; %bb.2749:
	global_store_byte v[0:1], v3, off
.LBB379_2750:
	s_mov_b64 s[12:13], -1
.LBB379_2751:
	s_andn2_b64 vcc, exec, s[12:13]
	s_cbranch_vccnz .LBB379_2947
; %bb.2752:
	v_cmp_ne_u16_sdwa s[0:1], v4, v9 src0_sel:BYTE_0 src1_sel:BYTE_0
	v_add_u32_e32 v2, s22, v2
	s_xor_b64 s[4:5], s[2:3], s[0:1]
	v_ashrrev_i32_e32 v1, 31, v2
	v_mov_b32_e32 v3, s9
	v_add_co_u32_e32 v0, vcc, s8, v2
	s_cmp_lt_i32 s24, 11
	v_addc_co_u32_e32 v1, vcc, v3, v1, vcc
	s_cbranch_scc1 .LBB379_2830
; %bb.2753:
	s_and_b32 s23, 0xffff, s24
	s_mov_b64 s[14:15], -1
	s_mov_b64 s[10:11], 0
	s_cmp_gt_i32 s23, 25
	s_mov_b64 s[12:13], 0
	s_mov_b64 s[0:1], 0
	s_cbranch_scc0 .LBB379_2786
; %bb.2754:
	s_cmp_gt_i32 s23, 28
	s_cbranch_scc0 .LBB379_2769
; %bb.2755:
	s_cmp_gt_i32 s23, 43
	;; [unrolled: 3-line block ×3, first 2 shown]
	s_cbranch_scc0 .LBB379_2759
; %bb.2757:
	s_mov_b64 s[0:1], -1
	s_mov_b64 s[14:15], 0
	s_cmp_eq_u32 s23, 46
	s_cbranch_scc0 .LBB379_2759
; %bb.2758:
	v_cndmask_b32_e64 v3, 0, 1.0, s[4:5]
	v_bfe_u32 v4, v3, 16, 1
	s_movk_i32 s0, 0x7fff
	v_add3_u32 v3, v3, v4, s0
	v_lshrrev_b32_e32 v3, 16, v3
	global_store_dword v[0:1], v3, off
	s_mov_b64 s[0:1], 0
	s_mov_b64 s[12:13], -1
.LBB379_2759:
	s_and_b64 vcc, exec, s[14:15]
	s_cbranch_vccz .LBB379_2764
; %bb.2760:
	s_cmp_eq_u32 s23, 44
	s_mov_b64 s[0:1], -1
	s_cbranch_scc0 .LBB379_2764
; %bb.2761:
	v_cndmask_b32_e64 v4, 0, 1.0, s[4:5]
	v_lshrrev_b32_e32 v3, 23, v4
	s_movk_i32 s0, 0xff
	v_cmp_ne_u32_e32 vcc, s0, v3
	v_mov_b32_e32 v5, 0xff
	s_and_saveexec_b64 s[12:13], vcc
; %bb.2762:
	s_mov_b32 s0, 0x3fffff
	v_and_b32_e32 v5, 0x400000, v4
	v_and_or_b32 v4, v4, s0, v3
	v_cmp_ne_u32_e32 vcc, 0, v5
	v_cmp_ne_u32_e64 s[0:1], 0, v4
	s_and_b64 s[0:1], vcc, s[0:1]
	v_cndmask_b32_e64 v4, 0, 1, s[0:1]
	v_add_u32_e32 v5, v3, v4
; %bb.2763:
	s_or_b64 exec, exec, s[12:13]
	s_mov_b64 s[0:1], 0
	s_mov_b64 s[12:13], -1
	global_store_byte v[0:1], v5, off
.LBB379_2764:
	s_mov_b64 s[14:15], 0
.LBB379_2765:
	s_and_b64 vcc, exec, s[14:15]
	s_cbranch_vccz .LBB379_2768
; %bb.2766:
	s_cmp_eq_u32 s23, 29
	s_mov_b64 s[0:1], -1
	s_cbranch_scc0 .LBB379_2768
; %bb.2767:
	s_mov_b32 s0, 0
	v_cndmask_b32_e64 v3, 0, 1, s[4:5]
	v_mov_b32_e32 v4, s0
	global_store_dwordx2 v[0:1], v[3:4], off
	s_mov_b64 s[0:1], 0
	s_mov_b64 s[12:13], -1
.LBB379_2768:
	s_mov_b64 s[14:15], 0
.LBB379_2769:
	s_and_b64 vcc, exec, s[14:15]
	s_cbranch_vccz .LBB379_2785
; %bb.2770:
	s_cmp_lt_i32 s23, 27
	s_mov_b64 s[12:13], -1
	s_cbranch_scc1 .LBB379_2776
; %bb.2771:
	s_cmp_gt_i32 s23, 27
	s_cbranch_scc0 .LBB379_2773
; %bb.2772:
	v_cndmask_b32_e64 v3, 0, 1, s[4:5]
	s_mov_b64 s[12:13], 0
	global_store_dword v[0:1], v3, off
.LBB379_2773:
	s_andn2_b64 vcc, exec, s[12:13]
	s_cbranch_vccnz .LBB379_2775
; %bb.2774:
	v_cndmask_b32_e64 v3, 0, 1, s[4:5]
	global_store_short v[0:1], v3, off
.LBB379_2775:
	s_mov_b64 s[12:13], 0
.LBB379_2776:
	s_andn2_b64 vcc, exec, s[12:13]
	s_cbranch_vccnz .LBB379_2784
; %bb.2777:
	v_cndmask_b32_e64 v4, 0, 1.0, s[4:5]
	s_mov_b32 s12, 0x43800000
	v_cmp_gt_u32_e32 vcc, s12, v4
	v_mov_b32_e32 v5, 0x80
	s_and_saveexec_b64 s[12:13], vcc
	s_cbranch_execz .LBB379_2783
; %bb.2778:
	s_mov_b32 s14, 0x3bffffff
	v_cmp_lt_u32_e32 vcc, s14, v4
	s_mov_b64 s[14:15], 0
                                        ; implicit-def: $vgpr3
	s_and_saveexec_b64 s[20:21], vcc
	s_xor_b64 s[20:21], exec, s[20:21]
	s_cbranch_execz .LBB379_3004
; %bb.2779:
	v_bfe_u32 v3, v4, 20, 1
	s_mov_b32 s25, 0x487ffff
	v_add3_u32 v3, v4, v3, s25
	s_mov_b64 s[14:15], exec
	v_lshrrev_b32_e32 v3, 20, v3
                                        ; implicit-def: $vgpr4
	s_andn2_saveexec_b64 s[20:21], s[20:21]
	s_cbranch_execnz .LBB379_3005
.LBB379_2780:
	s_or_b64 exec, exec, s[20:21]
	v_mov_b32_e32 v5, 0
	s_and_saveexec_b64 s[20:21], s[14:15]
.LBB379_2781:
	v_mov_b32_e32 v5, v3
.LBB379_2782:
	s_or_b64 exec, exec, s[20:21]
.LBB379_2783:
	s_or_b64 exec, exec, s[12:13]
	global_store_byte v[0:1], v5, off
.LBB379_2784:
	s_mov_b64 s[12:13], -1
.LBB379_2785:
	s_mov_b64 s[14:15], 0
.LBB379_2786:
	s_and_b64 vcc, exec, s[14:15]
	s_cbranch_vccz .LBB379_2826
; %bb.2787:
	s_cmp_gt_i32 s23, 22
	s_mov_b64 s[10:11], -1
	s_cbranch_scc0 .LBB379_2819
; %bb.2788:
	s_cmp_lt_i32 s23, 24
	s_cbranch_scc1 .LBB379_2808
; %bb.2789:
	s_cmp_gt_i32 s23, 24
	s_cbranch_scc0 .LBB379_2797
; %bb.2790:
	v_cndmask_b32_e64 v4, 0, 1.0, s[4:5]
	s_mov_b32 s10, 0x47800000
	v_cmp_gt_u32_e32 vcc, s10, v4
	v_mov_b32_e32 v5, 0x80
	s_and_saveexec_b64 s[10:11], vcc
	s_cbranch_execz .LBB379_2796
; %bb.2791:
	s_mov_b32 s12, 0x37ffffff
	v_cmp_lt_u32_e32 vcc, s12, v4
	s_mov_b64 s[12:13], 0
                                        ; implicit-def: $vgpr3
	s_and_saveexec_b64 s[14:15], vcc
	s_xor_b64 s[14:15], exec, s[14:15]
	s_cbranch_execz .LBB379_3007
; %bb.2792:
	v_bfe_u32 v3, v4, 21, 1
	s_mov_b32 s20, 0x88fffff
	v_add3_u32 v3, v4, v3, s20
	s_mov_b64 s[12:13], exec
	v_lshrrev_b32_e32 v3, 21, v3
                                        ; implicit-def: $vgpr4
	s_andn2_saveexec_b64 s[14:15], s[14:15]
	s_cbranch_execnz .LBB379_3008
.LBB379_2793:
	s_or_b64 exec, exec, s[14:15]
	v_mov_b32_e32 v5, 0
	s_and_saveexec_b64 s[14:15], s[12:13]
.LBB379_2794:
	v_mov_b32_e32 v5, v3
.LBB379_2795:
	s_or_b64 exec, exec, s[14:15]
.LBB379_2796:
	s_or_b64 exec, exec, s[10:11]
	s_mov_b64 s[10:11], 0
	global_store_byte v[0:1], v5, off
.LBB379_2797:
	s_and_b64 vcc, exec, s[10:11]
	s_cbranch_vccz .LBB379_2807
; %bb.2798:
	v_cndmask_b32_e64 v3, 0, 1.0, s[4:5]
	s_mov_b32 s10, 0x43f00000
	v_cmp_gt_u32_e32 vcc, s10, v3
                                        ; implicit-def: $vgpr4
	s_and_saveexec_b64 s[10:11], vcc
	s_xor_b64 s[10:11], exec, s[10:11]
	s_cbranch_execz .LBB379_2804
; %bb.2799:
	s_mov_b32 s12, 0x3c7fffff
	v_cmp_lt_u32_e32 vcc, s12, v3
                                        ; implicit-def: $vgpr4
	s_and_saveexec_b64 s[12:13], vcc
	s_xor_b64 s[12:13], exec, s[12:13]
; %bb.2800:
	v_bfe_u32 v4, v3, 20, 1
	s_mov_b32 s14, 0x407ffff
	v_add3_u32 v3, v3, v4, s14
	v_lshrrev_b32_e32 v4, 20, v3
	v_and_b32_e32 v3, 0xff00000, v3
	s_mov_b32 s14, 0x7f00000
	v_mov_b32_e32 v5, 0x7e
	v_cmp_ne_u32_e32 vcc, s14, v3
	v_cndmask_b32_e32 v4, v5, v4, vcc
                                        ; implicit-def: $vgpr3
; %bb.2801:
	s_andn2_saveexec_b64 s[12:13], s[12:13]
; %bb.2802:
	v_add_f32_e32 v4, 0x46800000, v3
; %bb.2803:
	s_or_b64 exec, exec, s[12:13]
                                        ; implicit-def: $vgpr3
.LBB379_2804:
	s_andn2_saveexec_b64 s[10:11], s[10:11]
; %bb.2805:
	s_mov_b32 s12, 0x7f800000
	v_mov_b32_e32 v4, 0x7e
	v_mov_b32_e32 v5, 0x7f
	v_cmp_lt_u32_e32 vcc, s12, v3
	v_cndmask_b32_e32 v4, v4, v5, vcc
; %bb.2806:
	s_or_b64 exec, exec, s[10:11]
	global_store_byte v[0:1], v4, off
.LBB379_2807:
	s_mov_b64 s[10:11], 0
.LBB379_2808:
	s_andn2_b64 vcc, exec, s[10:11]
	s_cbranch_vccnz .LBB379_2818
; %bb.2809:
	v_cndmask_b32_e64 v3, 0, 1.0, s[4:5]
	s_mov_b32 s10, 0x47800000
	v_cmp_gt_u32_e32 vcc, s10, v3
                                        ; implicit-def: $vgpr4
	s_and_saveexec_b64 s[10:11], vcc
	s_xor_b64 s[10:11], exec, s[10:11]
	s_cbranch_execz .LBB379_2815
; %bb.2810:
	s_mov_b32 s12, 0x387fffff
	v_cmp_lt_u32_e32 vcc, s12, v3
                                        ; implicit-def: $vgpr4
	s_and_saveexec_b64 s[12:13], vcc
	s_xor_b64 s[12:13], exec, s[12:13]
; %bb.2811:
	v_bfe_u32 v4, v3, 21, 1
	s_mov_b32 s14, 0x80fffff
	v_add3_u32 v3, v3, v4, s14
	v_lshrrev_b32_e32 v4, 21, v3
                                        ; implicit-def: $vgpr3
; %bb.2812:
	s_andn2_saveexec_b64 s[12:13], s[12:13]
; %bb.2813:
	v_add_f32_e32 v4, 0x43000000, v3
; %bb.2814:
	s_or_b64 exec, exec, s[12:13]
                                        ; implicit-def: $vgpr3
.LBB379_2815:
	s_andn2_saveexec_b64 s[10:11], s[10:11]
; %bb.2816:
	s_mov_b32 s12, 0x7f800000
	v_mov_b32_e32 v4, 0x7c
	v_mov_b32_e32 v5, 0x7f
	v_cmp_lt_u32_e32 vcc, s12, v3
	v_cndmask_b32_e32 v4, v4, v5, vcc
; %bb.2817:
	s_or_b64 exec, exec, s[10:11]
	global_store_byte v[0:1], v4, off
.LBB379_2818:
	s_mov_b64 s[10:11], 0
	s_mov_b64 s[12:13], -1
.LBB379_2819:
	s_andn2_b64 vcc, exec, s[10:11]
	s_mov_b64 s[10:11], 0
	s_cbranch_vccnz .LBB379_2826
; %bb.2820:
	s_cmp_gt_i32 s23, 14
	s_mov_b64 s[14:15], -1
	s_cbranch_scc0 .LBB379_2824
; %bb.2821:
	s_cmp_eq_u32 s23, 15
	s_mov_b64 s[0:1], -1
	s_cbranch_scc0 .LBB379_2823
; %bb.2822:
	v_cndmask_b32_e64 v3, 0, 1.0, s[4:5]
	v_bfe_u32 v4, v3, 16, 1
	s_movk_i32 s0, 0x7fff
	v_add3_u32 v3, v3, v4, s0
	global_store_short_d16_hi v[0:1], v3, off
	s_mov_b64 s[0:1], 0
	s_mov_b64 s[12:13], -1
.LBB379_2823:
	s_mov_b64 s[14:15], 0
.LBB379_2824:
	s_and_b64 vcc, exec, s[14:15]
	s_cbranch_vccz .LBB379_2826
; %bb.2825:
	s_cmp_lg_u32 s23, 11
	s_mov_b64 s[10:11], -1
	s_cselect_b64 s[0:1], -1, 0
.LBB379_2826:
	s_and_b64 vcc, exec, s[0:1]
	s_cbranch_vccnz .LBB379_3006
; %bb.2827:
	s_andn2_b64 vcc, exec, s[10:11]
	s_cbranch_vccnz .LBB379_2829
.LBB379_2828:
	v_cndmask_b32_e64 v3, 0, 1, s[4:5]
	s_mov_b64 s[12:13], -1
	global_store_byte v[0:1], v3, off
.LBB379_2829:
	s_mov_b64 s[0:1], 0
	s_branch .LBB379_2831
.LBB379_2830:
	s_mov_b64 s[0:1], -1
	s_mov_b64 s[12:13], 0
.LBB379_2831:
	s_and_b64 vcc, exec, s[0:1]
	s_cbranch_vccz .LBB379_2870
; %bb.2832:
	s_and_b32 s10, 0xffff, s24
	s_cmp_lt_i32 s10, 5
	s_mov_b64 s[0:1], -1
	s_cbranch_scc1 .LBB379_2853
; %bb.2833:
	s_cmp_lt_i32 s10, 8
	s_cbranch_scc1 .LBB379_2843
; %bb.2834:
	s_cmp_lt_i32 s10, 9
	s_cbranch_scc1 .LBB379_2840
; %bb.2835:
	s_cmp_gt_i32 s10, 9
	s_cbranch_scc0 .LBB379_2837
; %bb.2836:
	v_cndmask_b32_e64 v3, 0, 1, s[4:5]
	v_cvt_f64_u32_e32 v[3:4], v3
	v_mov_b32_e32 v5, 0
	v_mov_b32_e32 v6, v5
	s_mov_b64 s[0:1], 0
	global_store_dwordx4 v[0:1], v[3:6], off
.LBB379_2837:
	s_andn2_b64 vcc, exec, s[0:1]
	s_cbranch_vccnz .LBB379_2839
; %bb.2838:
	v_cndmask_b32_e64 v3, 0, 1.0, s[4:5]
	v_mov_b32_e32 v4, 0
	global_store_dwordx2 v[0:1], v[3:4], off
.LBB379_2839:
	s_mov_b64 s[0:1], 0
.LBB379_2840:
	s_andn2_b64 vcc, exec, s[0:1]
	s_cbranch_vccnz .LBB379_2842
; %bb.2841:
	v_cndmask_b32_e64 v3, 0, 1.0, s[4:5]
	v_cvt_f16_f32_e32 v3, v3
	global_store_dword v[0:1], v3, off
.LBB379_2842:
	s_mov_b64 s[0:1], 0
.LBB379_2843:
	s_andn2_b64 vcc, exec, s[0:1]
	s_cbranch_vccnz .LBB379_2852
; %bb.2844:
	s_cmp_lt_i32 s10, 6
	s_mov_b64 s[0:1], -1
	s_cbranch_scc1 .LBB379_2850
; %bb.2845:
	s_cmp_gt_i32 s10, 6
	s_cbranch_scc0 .LBB379_2847
; %bb.2846:
	v_cndmask_b32_e64 v3, 0, 1, s[4:5]
	v_cvt_f64_u32_e32 v[3:4], v3
	s_mov_b64 s[0:1], 0
	global_store_dwordx2 v[0:1], v[3:4], off
.LBB379_2847:
	s_andn2_b64 vcc, exec, s[0:1]
	s_cbranch_vccnz .LBB379_2849
; %bb.2848:
	v_cndmask_b32_e64 v3, 0, 1.0, s[4:5]
	global_store_dword v[0:1], v3, off
.LBB379_2849:
	s_mov_b64 s[0:1], 0
.LBB379_2850:
	s_andn2_b64 vcc, exec, s[0:1]
	s_cbranch_vccnz .LBB379_2852
; %bb.2851:
	v_cndmask_b32_e64 v3, 0, 1.0, s[4:5]
	v_cvt_f16_f32_e32 v3, v3
	global_store_short v[0:1], v3, off
.LBB379_2852:
	s_mov_b64 s[0:1], 0
.LBB379_2853:
	s_andn2_b64 vcc, exec, s[0:1]
	s_cbranch_vccnz .LBB379_2869
; %bb.2854:
	s_cmp_lt_i32 s10, 2
	s_mov_b64 s[0:1], -1
	s_cbranch_scc1 .LBB379_2864
; %bb.2855:
	s_cmp_lt_i32 s10, 3
	s_cbranch_scc1 .LBB379_2861
; %bb.2856:
	s_cmp_gt_i32 s10, 3
	s_cbranch_scc0 .LBB379_2858
; %bb.2857:
	s_mov_b32 s0, 0
	v_cndmask_b32_e64 v3, 0, 1, s[4:5]
	v_mov_b32_e32 v4, s0
	global_store_dwordx2 v[0:1], v[3:4], off
	s_mov_b64 s[0:1], 0
.LBB379_2858:
	s_andn2_b64 vcc, exec, s[0:1]
	s_cbranch_vccnz .LBB379_2860
; %bb.2859:
	v_cndmask_b32_e64 v3, 0, 1, s[4:5]
	global_store_dword v[0:1], v3, off
.LBB379_2860:
	s_mov_b64 s[0:1], 0
.LBB379_2861:
	s_andn2_b64 vcc, exec, s[0:1]
	s_cbranch_vccnz .LBB379_2863
; %bb.2862:
	v_cndmask_b32_e64 v3, 0, 1, s[4:5]
	global_store_short v[0:1], v3, off
.LBB379_2863:
	s_mov_b64 s[0:1], 0
.LBB379_2864:
	s_andn2_b64 vcc, exec, s[0:1]
	s_cbranch_vccnz .LBB379_2869
; %bb.2865:
	s_mov_b64 s[0:1], -1
	s_cmp_gt_i32 s10, 0
	v_cndmask_b32_e64 v3, 0, 1, s[4:5]
	s_cbranch_scc0 .LBB379_2867
; %bb.2866:
	global_store_byte v[0:1], v3, off
	s_mov_b64 s[0:1], 0
.LBB379_2867:
	s_andn2_b64 vcc, exec, s[0:1]
	s_cbranch_vccnz .LBB379_2869
; %bb.2868:
	global_store_byte v[0:1], v3, off
.LBB379_2869:
	s_mov_b64 s[12:13], -1
.LBB379_2870:
	s_andn2_b64 vcc, exec, s[12:13]
	s_cbranch_vccnz .LBB379_2947
; %bb.2871:
	s_waitcnt vmcnt(0)
	v_cmp_ne_u16_sdwa s[0:1], v7, v10 src0_sel:BYTE_0 src1_sel:BYTE_0
	v_add_u32_e32 v0, s22, v2
	s_xor_b64 s[20:21], s[2:3], s[0:1]
	v_ashrrev_i32_e32 v1, 31, v0
	v_mov_b32_e32 v2, s9
	v_add_co_u32_e32 v0, vcc, s8, v0
	s_cmp_lt_i32 s24, 11
	v_addc_co_u32_e32 v1, vcc, v2, v1, vcc
	s_cbranch_scc1 .LBB379_2992
; %bb.2872:
	s_and_b32 s12, 0xffff, s24
	s_mov_b64 s[4:5], -1
	s_mov_b64 s[2:3], 0
	s_cmp_gt_i32 s12, 25
	s_mov_b64 s[0:1], 0
	s_cbranch_scc0 .LBB379_2905
; %bb.2873:
	s_cmp_gt_i32 s12, 28
	s_cbranch_scc0 .LBB379_2889
; %bb.2874:
	s_cmp_gt_i32 s12, 43
	;; [unrolled: 3-line block ×3, first 2 shown]
	s_cbranch_scc0 .LBB379_2879
; %bb.2876:
	s_cmp_eq_u32 s12, 46
	s_mov_b64 s[0:1], -1
	s_cbranch_scc0 .LBB379_2878
; %bb.2877:
	v_cndmask_b32_e64 v2, 0, 1.0, s[20:21]
	v_bfe_u32 v3, v2, 16, 1
	s_movk_i32 s0, 0x7fff
	v_add3_u32 v2, v2, v3, s0
	v_lshrrev_b32_e32 v2, 16, v2
	global_store_dword v[0:1], v2, off
	s_mov_b64 s[0:1], 0
.LBB379_2878:
	s_mov_b64 s[4:5], 0
.LBB379_2879:
	s_and_b64 vcc, exec, s[4:5]
	s_cbranch_vccz .LBB379_2884
; %bb.2880:
	s_cmp_eq_u32 s12, 44
	s_mov_b64 s[0:1], -1
	s_cbranch_scc0 .LBB379_2884
; %bb.2881:
	v_cndmask_b32_e64 v3, 0, 1.0, s[20:21]
	v_lshrrev_b32_e32 v2, 23, v3
	s_movk_i32 s0, 0xff
	v_cmp_ne_u32_e32 vcc, s0, v2
	v_mov_b32_e32 v4, 0xff
	s_and_saveexec_b64 s[4:5], vcc
; %bb.2882:
	s_mov_b32 s0, 0x3fffff
	v_and_b32_e32 v4, 0x400000, v3
	v_and_or_b32 v3, v3, s0, v2
	v_cmp_ne_u32_e32 vcc, 0, v4
	v_cmp_ne_u32_e64 s[0:1], 0, v3
	s_and_b64 s[0:1], vcc, s[0:1]
	v_cndmask_b32_e64 v3, 0, 1, s[0:1]
	v_add_u32_e32 v4, v2, v3
; %bb.2883:
	s_or_b64 exec, exec, s[4:5]
	s_mov_b64 s[0:1], 0
	global_store_byte v[0:1], v4, off
.LBB379_2884:
	s_mov_b64 s[4:5], 0
.LBB379_2885:
	s_and_b64 vcc, exec, s[4:5]
	s_cbranch_vccz .LBB379_2888
; %bb.2886:
	s_cmp_eq_u32 s12, 29
	s_mov_b64 s[0:1], -1
	s_cbranch_scc0 .LBB379_2888
; %bb.2887:
	s_mov_b32 s0, 0
	v_cndmask_b32_e64 v2, 0, 1, s[20:21]
	v_mov_b32_e32 v3, s0
	global_store_dwordx2 v[0:1], v[2:3], off
	s_mov_b64 s[0:1], 0
.LBB379_2888:
	s_mov_b64 s[4:5], 0
.LBB379_2889:
	s_and_b64 vcc, exec, s[4:5]
	s_cbranch_vccz .LBB379_2904
; %bb.2890:
	s_cmp_lt_i32 s12, 27
	s_mov_b64 s[4:5], -1
	s_cbranch_scc1 .LBB379_2896
; %bb.2891:
	s_cmp_gt_i32 s12, 27
	v_cndmask_b32_e64 v2, 0, 1, s[20:21]
	s_cbranch_scc0 .LBB379_2893
; %bb.2892:
	global_store_dword v[0:1], v2, off
	s_mov_b64 s[4:5], 0
.LBB379_2893:
	s_andn2_b64 vcc, exec, s[4:5]
	s_cbranch_vccnz .LBB379_2895
; %bb.2894:
	global_store_short v[0:1], v2, off
.LBB379_2895:
	s_mov_b64 s[4:5], 0
.LBB379_2896:
	s_andn2_b64 vcc, exec, s[4:5]
	s_cbranch_vccnz .LBB379_2904
; %bb.2897:
	v_cndmask_b32_e64 v3, 0, 1.0, s[20:21]
	s_mov_b32 s4, 0x43800000
	v_cmp_gt_u32_e32 vcc, s4, v3
	v_mov_b32_e32 v4, 0x80
	s_and_saveexec_b64 s[4:5], vcc
	s_cbranch_execz .LBB379_2903
; %bb.2898:
	s_mov_b32 s8, 0x3bffffff
	v_cmp_lt_u32_e32 vcc, s8, v3
	s_mov_b64 s[8:9], 0
                                        ; implicit-def: $vgpr2
	s_and_saveexec_b64 s[10:11], vcc
	s_xor_b64 s[10:11], exec, s[10:11]
	s_cbranch_execz .LBB379_3009
; %bb.2899:
	v_bfe_u32 v2, v3, 20, 1
	s_mov_b32 s13, 0x487ffff
	v_add3_u32 v2, v3, v2, s13
	s_mov_b64 s[8:9], exec
	v_lshrrev_b32_e32 v2, 20, v2
                                        ; implicit-def: $vgpr3
	s_andn2_saveexec_b64 s[10:11], s[10:11]
	s_cbranch_execnz .LBB379_3010
.LBB379_2900:
	s_or_b64 exec, exec, s[10:11]
	v_mov_b32_e32 v4, 0
	s_and_saveexec_b64 s[10:11], s[8:9]
.LBB379_2901:
	v_mov_b32_e32 v4, v2
.LBB379_2902:
	s_or_b64 exec, exec, s[10:11]
.LBB379_2903:
	s_or_b64 exec, exec, s[4:5]
	global_store_byte v[0:1], v4, off
.LBB379_2904:
	s_mov_b64 s[4:5], 0
.LBB379_2905:
	s_and_b64 vcc, exec, s[4:5]
	s_cbranch_vccz .LBB379_2945
; %bb.2906:
	s_cmp_gt_i32 s12, 22
	s_mov_b64 s[2:3], -1
	s_cbranch_scc0 .LBB379_2938
; %bb.2907:
	s_cmp_lt_i32 s12, 24
	s_cbranch_scc1 .LBB379_2927
; %bb.2908:
	s_cmp_gt_i32 s12, 24
	s_cbranch_scc0 .LBB379_2916
; %bb.2909:
	v_cndmask_b32_e64 v3, 0, 1.0, s[20:21]
	s_mov_b32 s2, 0x47800000
	v_cmp_gt_u32_e32 vcc, s2, v3
	v_mov_b32_e32 v4, 0x80
	s_and_saveexec_b64 s[2:3], vcc
	s_cbranch_execz .LBB379_2915
; %bb.2910:
	s_mov_b32 s4, 0x37ffffff
	v_cmp_lt_u32_e32 vcc, s4, v3
	s_mov_b64 s[4:5], 0
                                        ; implicit-def: $vgpr2
	s_and_saveexec_b64 s[8:9], vcc
	s_xor_b64 s[8:9], exec, s[8:9]
	s_cbranch_execz .LBB379_3012
; %bb.2911:
	v_bfe_u32 v2, v3, 21, 1
	s_mov_b32 s10, 0x88fffff
	v_add3_u32 v2, v3, v2, s10
	s_mov_b64 s[4:5], exec
	v_lshrrev_b32_e32 v2, 21, v2
                                        ; implicit-def: $vgpr3
	s_andn2_saveexec_b64 s[8:9], s[8:9]
	s_cbranch_execnz .LBB379_3013
.LBB379_2912:
	s_or_b64 exec, exec, s[8:9]
	v_mov_b32_e32 v4, 0
	s_and_saveexec_b64 s[8:9], s[4:5]
.LBB379_2913:
	v_mov_b32_e32 v4, v2
.LBB379_2914:
	s_or_b64 exec, exec, s[8:9]
.LBB379_2915:
	s_or_b64 exec, exec, s[2:3]
	s_mov_b64 s[2:3], 0
	global_store_byte v[0:1], v4, off
.LBB379_2916:
	s_and_b64 vcc, exec, s[2:3]
	s_cbranch_vccz .LBB379_2926
; %bb.2917:
	v_cndmask_b32_e64 v2, 0, 1.0, s[20:21]
	s_mov_b32 s2, 0x43f00000
	v_cmp_gt_u32_e32 vcc, s2, v2
                                        ; implicit-def: $vgpr3
	s_and_saveexec_b64 s[2:3], vcc
	s_xor_b64 s[2:3], exec, s[2:3]
	s_cbranch_execz .LBB379_2923
; %bb.2918:
	s_mov_b32 s4, 0x3c7fffff
	v_cmp_lt_u32_e32 vcc, s4, v2
                                        ; implicit-def: $vgpr3
	s_and_saveexec_b64 s[4:5], vcc
	s_xor_b64 s[4:5], exec, s[4:5]
; %bb.2919:
	v_bfe_u32 v3, v2, 20, 1
	s_mov_b32 s8, 0x407ffff
	v_add3_u32 v2, v2, v3, s8
	v_lshrrev_b32_e32 v3, 20, v2
	v_and_b32_e32 v2, 0xff00000, v2
	s_mov_b32 s8, 0x7f00000
	v_mov_b32_e32 v4, 0x7e
	v_cmp_ne_u32_e32 vcc, s8, v2
	v_cndmask_b32_e32 v3, v4, v3, vcc
                                        ; implicit-def: $vgpr2
; %bb.2920:
	s_andn2_saveexec_b64 s[4:5], s[4:5]
; %bb.2921:
	v_add_f32_e32 v3, 0x46800000, v2
; %bb.2922:
	s_or_b64 exec, exec, s[4:5]
                                        ; implicit-def: $vgpr2
.LBB379_2923:
	s_andn2_saveexec_b64 s[2:3], s[2:3]
; %bb.2924:
	s_mov_b32 s4, 0x7f800000
	v_mov_b32_e32 v3, 0x7e
	v_mov_b32_e32 v4, 0x7f
	v_cmp_lt_u32_e32 vcc, s4, v2
	v_cndmask_b32_e32 v3, v3, v4, vcc
; %bb.2925:
	s_or_b64 exec, exec, s[2:3]
	global_store_byte v[0:1], v3, off
.LBB379_2926:
	s_mov_b64 s[2:3], 0
.LBB379_2927:
	s_andn2_b64 vcc, exec, s[2:3]
	s_cbranch_vccnz .LBB379_2937
; %bb.2928:
	v_cndmask_b32_e64 v2, 0, 1.0, s[20:21]
	s_mov_b32 s2, 0x47800000
	v_cmp_gt_u32_e32 vcc, s2, v2
                                        ; implicit-def: $vgpr3
	s_and_saveexec_b64 s[2:3], vcc
	s_xor_b64 s[2:3], exec, s[2:3]
	s_cbranch_execz .LBB379_2934
; %bb.2929:
	s_mov_b32 s4, 0x387fffff
	v_cmp_lt_u32_e32 vcc, s4, v2
                                        ; implicit-def: $vgpr3
	s_and_saveexec_b64 s[4:5], vcc
	s_xor_b64 s[4:5], exec, s[4:5]
; %bb.2930:
	v_bfe_u32 v3, v2, 21, 1
	s_mov_b32 s8, 0x80fffff
	v_add3_u32 v2, v2, v3, s8
	v_lshrrev_b32_e32 v3, 21, v2
                                        ; implicit-def: $vgpr2
; %bb.2931:
	s_andn2_saveexec_b64 s[4:5], s[4:5]
; %bb.2932:
	v_add_f32_e32 v3, 0x43000000, v2
; %bb.2933:
	s_or_b64 exec, exec, s[4:5]
                                        ; implicit-def: $vgpr2
.LBB379_2934:
	s_andn2_saveexec_b64 s[2:3], s[2:3]
; %bb.2935:
	s_mov_b32 s4, 0x7f800000
	v_mov_b32_e32 v3, 0x7c
	v_mov_b32_e32 v4, 0x7f
	v_cmp_lt_u32_e32 vcc, s4, v2
	v_cndmask_b32_e32 v3, v3, v4, vcc
; %bb.2936:
	s_or_b64 exec, exec, s[2:3]
	global_store_byte v[0:1], v3, off
.LBB379_2937:
	s_mov_b64 s[2:3], 0
.LBB379_2938:
	s_andn2_b64 vcc, exec, s[2:3]
	s_mov_b64 s[2:3], 0
	s_cbranch_vccnz .LBB379_2945
; %bb.2939:
	s_cmp_gt_i32 s12, 14
	s_mov_b64 s[4:5], -1
	s_cbranch_scc0 .LBB379_2943
; %bb.2940:
	s_cmp_eq_u32 s12, 15
	s_mov_b64 s[0:1], -1
	s_cbranch_scc0 .LBB379_2942
; %bb.2941:
	v_cndmask_b32_e64 v2, 0, 1.0, s[20:21]
	v_bfe_u32 v3, v2, 16, 1
	s_movk_i32 s0, 0x7fff
	v_add3_u32 v2, v2, v3, s0
	global_store_short_d16_hi v[0:1], v2, off
	s_mov_b64 s[0:1], 0
.LBB379_2942:
	s_mov_b64 s[4:5], 0
.LBB379_2943:
	s_and_b64 vcc, exec, s[4:5]
	s_cbranch_vccz .LBB379_2945
; %bb.2944:
	s_cmp_lg_u32 s12, 11
	s_mov_b64 s[2:3], -1
	s_cselect_b64 s[0:1], -1, 0
.LBB379_2945:
	s_and_b64 vcc, exec, s[0:1]
	s_cbranch_vccnz .LBB379_3011
.LBB379_2946:
	s_mov_b64 s[0:1], 0
	s_branch .LBB379_2948
.LBB379_2947:
	s_mov_b64 s[0:1], 0
	s_mov_b64 s[2:3], 0
                                        ; implicit-def: $sgpr20_sgpr21
                                        ; implicit-def: $sgpr24
                                        ; implicit-def: $vgpr0_vgpr1
.LBB379_2948:
	s_and_b64 s[4:5], s[2:3], exec
	s_andn2_b64 s[2:3], s[16:17], exec
	s_and_b64 s[8:9], s[18:19], exec
	s_and_b64 s[0:1], s[0:1], exec
	s_or_b64 s[16:17], s[2:3], s[8:9]
.LBB379_2949:
	s_or_b64 exec, exec, s[6:7]
	s_and_saveexec_b64 s[2:3], s[16:17]
	s_cbranch_execz .LBB379_2952
; %bb.2950:
	; divergent unreachable
	s_or_b64 exec, exec, s[2:3]
	s_and_saveexec_b64 s[2:3], s[4:5]
	s_xor_b64 s[2:3], exec, s[2:3]
	s_cbranch_execnz .LBB379_2953
.LBB379_2951:
	s_or_b64 exec, exec, s[2:3]
	s_and_saveexec_b64 s[2:3], s[0:1]
	s_cbranch_execnz .LBB379_2954
	s_branch .LBB379_2991
.LBB379_2952:
	s_or_b64 exec, exec, s[2:3]
	s_and_saveexec_b64 s[2:3], s[4:5]
	s_xor_b64 s[2:3], exec, s[2:3]
	s_cbranch_execz .LBB379_2951
.LBB379_2953:
	s_waitcnt vmcnt(0)
	v_cndmask_b32_e64 v2, 0, 1, s[20:21]
	global_store_byte v[0:1], v2, off
	s_or_b64 exec, exec, s[2:3]
	s_and_saveexec_b64 s[2:3], s[0:1]
	s_cbranch_execz .LBB379_2991
.LBB379_2954:
	s_sext_i32_i16 s2, s24
	s_cmp_lt_i32 s2, 5
	s_mov_b64 s[0:1], -1
	s_cbranch_scc1 .LBB379_2975
; %bb.2955:
	s_cmp_lt_i32 s2, 8
	s_cbranch_scc1 .LBB379_2965
; %bb.2956:
	s_cmp_lt_i32 s2, 9
	s_cbranch_scc1 .LBB379_2962
; %bb.2957:
	s_cmp_gt_i32 s2, 9
	s_cbranch_scc0 .LBB379_2959
; %bb.2958:
	s_waitcnt vmcnt(0)
	v_cndmask_b32_e64 v2, 0, 1, s[20:21]
	v_cvt_f64_u32_e32 v[2:3], v2
	v_mov_b32_e32 v4, 0
	v_mov_b32_e32 v5, v4
	s_mov_b64 s[0:1], 0
	global_store_dwordx4 v[0:1], v[2:5], off
.LBB379_2959:
	s_andn2_b64 vcc, exec, s[0:1]
	s_cbranch_vccnz .LBB379_2961
; %bb.2960:
	s_waitcnt vmcnt(0)
	v_cndmask_b32_e64 v2, 0, 1.0, s[20:21]
	v_mov_b32_e32 v3, 0
	global_store_dwordx2 v[0:1], v[2:3], off
.LBB379_2961:
	s_mov_b64 s[0:1], 0
.LBB379_2962:
	s_andn2_b64 vcc, exec, s[0:1]
	s_cbranch_vccnz .LBB379_2964
; %bb.2963:
	s_waitcnt vmcnt(0)
	v_cndmask_b32_e64 v2, 0, 1.0, s[20:21]
	v_cvt_f16_f32_e32 v2, v2
	global_store_dword v[0:1], v2, off
.LBB379_2964:
	s_mov_b64 s[0:1], 0
.LBB379_2965:
	s_andn2_b64 vcc, exec, s[0:1]
	s_cbranch_vccnz .LBB379_2974
; %bb.2966:
	s_sext_i32_i16 s2, s24
	s_cmp_lt_i32 s2, 6
	s_mov_b64 s[0:1], -1
	s_cbranch_scc1 .LBB379_2972
; %bb.2967:
	s_cmp_gt_i32 s2, 6
	s_cbranch_scc0 .LBB379_2969
; %bb.2968:
	s_waitcnt vmcnt(0)
	v_cndmask_b32_e64 v2, 0, 1, s[20:21]
	v_cvt_f64_u32_e32 v[2:3], v2
	s_mov_b64 s[0:1], 0
	global_store_dwordx2 v[0:1], v[2:3], off
.LBB379_2969:
	s_andn2_b64 vcc, exec, s[0:1]
	s_cbranch_vccnz .LBB379_2971
; %bb.2970:
	s_waitcnt vmcnt(0)
	v_cndmask_b32_e64 v2, 0, 1.0, s[20:21]
	global_store_dword v[0:1], v2, off
.LBB379_2971:
	s_mov_b64 s[0:1], 0
.LBB379_2972:
	s_andn2_b64 vcc, exec, s[0:1]
	s_cbranch_vccnz .LBB379_2974
; %bb.2973:
	s_waitcnt vmcnt(0)
	v_cndmask_b32_e64 v2, 0, 1.0, s[20:21]
	v_cvt_f16_f32_e32 v2, v2
	global_store_short v[0:1], v2, off
.LBB379_2974:
	s_mov_b64 s[0:1], 0
.LBB379_2975:
	s_andn2_b64 vcc, exec, s[0:1]
	s_cbranch_vccnz .LBB379_2991
; %bb.2976:
	s_sext_i32_i16 s2, s24
	s_cmp_lt_i32 s2, 2
	s_mov_b64 s[0:1], -1
	s_cbranch_scc1 .LBB379_2986
; %bb.2977:
	s_cmp_lt_i32 s2, 3
	s_cbranch_scc1 .LBB379_2983
; %bb.2978:
	s_cmp_gt_i32 s2, 3
	s_cbranch_scc0 .LBB379_2980
; %bb.2979:
	s_mov_b32 s0, 0
	s_waitcnt vmcnt(0)
	v_cndmask_b32_e64 v2, 0, 1, s[20:21]
	v_mov_b32_e32 v3, s0
	global_store_dwordx2 v[0:1], v[2:3], off
	s_mov_b64 s[0:1], 0
.LBB379_2980:
	s_andn2_b64 vcc, exec, s[0:1]
	s_cbranch_vccnz .LBB379_2982
; %bb.2981:
	s_waitcnt vmcnt(0)
	v_cndmask_b32_e64 v2, 0, 1, s[20:21]
	global_store_dword v[0:1], v2, off
.LBB379_2982:
	s_mov_b64 s[0:1], 0
.LBB379_2983:
	s_andn2_b64 vcc, exec, s[0:1]
	s_cbranch_vccnz .LBB379_2985
; %bb.2984:
	s_waitcnt vmcnt(0)
	v_cndmask_b32_e64 v2, 0, 1, s[20:21]
	global_store_short v[0:1], v2, off
.LBB379_2985:
	s_mov_b64 s[0:1], 0
.LBB379_2986:
	s_andn2_b64 vcc, exec, s[0:1]
	s_cbranch_vccnz .LBB379_2991
; %bb.2987:
	s_sext_i32_i16 s2, s24
	s_mov_b64 s[0:1], -1
	s_cmp_gt_i32 s2, 0
	s_waitcnt vmcnt(0)
	v_cndmask_b32_e64 v2, 0, 1, s[20:21]
	s_cbranch_scc0 .LBB379_2989
; %bb.2988:
	global_store_byte v[0:1], v2, off
	s_mov_b64 s[0:1], 0
.LBB379_2989:
	s_andn2_b64 vcc, exec, s[0:1]
	s_cbranch_vccnz .LBB379_2991
; %bb.2990:
	global_store_byte v[0:1], v2, off
	s_endpgm
.LBB379_2991:
	s_endpgm
.LBB379_2992:
	s_mov_b64 s[2:3], 0
	s_mov_b64 s[0:1], -1
	s_branch .LBB379_2948
.LBB379_2993:
	s_trap 2
	s_or_b64 s[18:19], s[18:19], exec
	s_cbranch_execz .LBB379_2462
	s_branch .LBB379_2463
.LBB379_2994:
	s_andn2_saveexec_b64 s[22:23], s[22:23]
	s_cbranch_execz .LBB379_2542
.LBB379_2995:
	v_add_f32_e32 v0, 0x46000000, v8
	v_and_b32_e32 v0, 0xff, v0
	v_cmp_ne_u32_e32 vcc, 0, v0
	s_andn2_b64 s[20:21], s[20:21], exec
	s_and_b64 s[26:27], vcc, exec
	s_or_b64 s[20:21], s[20:21], s[26:27]
	s_or_b64 exec, exec, s[22:23]
	v_mov_b32_e32 v11, 0
	s_and_saveexec_b64 s[22:23], s[20:21]
	s_cbranch_execnz .LBB379_2543
	s_branch .LBB379_2544
.LBB379_2996:
	s_trap 2
	s_or_b64 s[18:19], s[18:19], exec
	s_cbranch_execz .LBB379_2590
	s_branch .LBB379_2591
.LBB379_2997:
	s_andn2_saveexec_b64 s[20:21], s[20:21]
	s_cbranch_execz .LBB379_2555
.LBB379_2998:
	v_add_f32_e32 v0, 0x42800000, v8
	v_and_b32_e32 v0, 0xff, v0
	v_cmp_ne_u32_e32 vcc, 0, v0
	s_andn2_b64 s[14:15], s[14:15], exec
	s_and_b64 s[22:23], vcc, exec
	s_or_b64 s[14:15], s[14:15], s[22:23]
	s_or_b64 exec, exec, s[20:21]
	v_mov_b32_e32 v11, 0
	s_and_saveexec_b64 s[20:21], s[14:15]
	s_cbranch_execnz .LBB379_2556
	s_branch .LBB379_2557
.LBB379_2999:
	s_andn2_saveexec_b64 s[20:21], s[20:21]
	s_cbranch_execz .LBB379_2661
.LBB379_3000:
	v_add_f32_e32 v3, 0x46000000, v5
	v_and_b32_e32 v3, 0xff, v3
	v_cmp_ne_u32_e32 vcc, 0, v3
	s_andn2_b64 s[14:15], s[14:15], exec
	s_and_b64 s[26:27], vcc, exec
	s_or_b64 s[14:15], s[14:15], s[26:27]
	s_or_b64 exec, exec, s[20:21]
	v_mov_b32_e32 v6, 0
	s_and_saveexec_b64 s[20:21], s[14:15]
	s_cbranch_execnz .LBB379_2662
	s_branch .LBB379_2663
.LBB379_3001:
	s_trap 2
	s_or_b64 s[18:19], s[18:19], exec
	s_cbranch_execz .LBB379_2709
	s_branch .LBB379_2710
.LBB379_3002:
	s_andn2_saveexec_b64 s[14:15], s[14:15]
	s_cbranch_execz .LBB379_2674
.LBB379_3003:
	v_add_f32_e32 v3, 0x42800000, v5
	v_and_b32_e32 v3, 0xff, v3
	v_cmp_ne_u32_e32 vcc, 0, v3
	s_andn2_b64 s[12:13], s[12:13], exec
	s_and_b64 s[20:21], vcc, exec
	s_or_b64 s[12:13], s[12:13], s[20:21]
	s_or_b64 exec, exec, s[14:15]
	v_mov_b32_e32 v6, 0
	s_and_saveexec_b64 s[14:15], s[12:13]
	s_cbranch_execnz .LBB379_2675
	s_branch .LBB379_2676
.LBB379_3004:
	s_andn2_saveexec_b64 s[20:21], s[20:21]
	s_cbranch_execz .LBB379_2780
.LBB379_3005:
	v_add_f32_e32 v3, 0x46000000, v4
	v_and_b32_e32 v3, 0xff, v3
	v_cmp_ne_u32_e32 vcc, 0, v3
	s_andn2_b64 s[14:15], s[14:15], exec
	s_and_b64 s[26:27], vcc, exec
	s_or_b64 s[14:15], s[14:15], s[26:27]
	s_or_b64 exec, exec, s[20:21]
	v_mov_b32_e32 v5, 0
	s_and_saveexec_b64 s[20:21], s[14:15]
	s_cbranch_execnz .LBB379_2781
	s_branch .LBB379_2782
.LBB379_3006:
	s_trap 2
	s_or_b64 s[18:19], s[18:19], exec
	s_cbranch_execz .LBB379_2828
	s_branch .LBB379_2829
.LBB379_3007:
	s_andn2_saveexec_b64 s[14:15], s[14:15]
	s_cbranch_execz .LBB379_2793
.LBB379_3008:
	v_add_f32_e32 v3, 0x42800000, v4
	v_and_b32_e32 v3, 0xff, v3
	v_cmp_ne_u32_e32 vcc, 0, v3
	s_andn2_b64 s[12:13], s[12:13], exec
	s_and_b64 s[20:21], vcc, exec
	s_or_b64 s[12:13], s[12:13], s[20:21]
	s_or_b64 exec, exec, s[14:15]
	v_mov_b32_e32 v5, 0
	s_and_saveexec_b64 s[14:15], s[12:13]
	s_cbranch_execnz .LBB379_2794
	s_branch .LBB379_2795
.LBB379_3009:
	s_andn2_saveexec_b64 s[10:11], s[10:11]
	s_cbranch_execz .LBB379_2900
.LBB379_3010:
	v_add_f32_e32 v2, 0x46000000, v3
	v_and_b32_e32 v2, 0xff, v2
	v_cmp_ne_u32_e32 vcc, 0, v2
	s_andn2_b64 s[8:9], s[8:9], exec
	s_and_b64 s[14:15], vcc, exec
	s_or_b64 s[8:9], s[8:9], s[14:15]
	s_or_b64 exec, exec, s[10:11]
	v_mov_b32_e32 v4, 0
	s_and_saveexec_b64 s[10:11], s[8:9]
	s_cbranch_execnz .LBB379_2901
	s_branch .LBB379_2902
.LBB379_3011:
	s_mov_b64 s[2:3], 0
	s_or_b64 s[18:19], s[18:19], exec
	s_trap 2
	s_branch .LBB379_2946
.LBB379_3012:
	s_andn2_saveexec_b64 s[8:9], s[8:9]
	s_cbranch_execz .LBB379_2912
.LBB379_3013:
	v_add_f32_e32 v2, 0x42800000, v3
	v_and_b32_e32 v2, 0xff, v2
	v_cmp_ne_u32_e32 vcc, 0, v2
	s_andn2_b64 s[4:5], s[4:5], exec
	s_and_b64 s[10:11], vcc, exec
	s_or_b64 s[4:5], s[4:5], s[10:11]
	s_or_b64 exec, exec, s[8:9]
	v_mov_b32_e32 v4, 0
	s_and_saveexec_b64 s[8:9], s[4:5]
	s_cbranch_execnz .LBB379_2913
	s_branch .LBB379_2914
	.section	.rodata,"a",@progbits
	.p2align	6, 0x0
	.amdhsa_kernel _ZN2at6native32elementwise_kernel_manual_unrollILi128ELi4EZNS0_15gpu_kernel_implINS0_13BinaryFunctorIN3c1016Float4_e2m1fn_x2ES5_bNS0_12_GLOBAL__N_116CompareEqFunctorIS5_EEEEEEvRNS_18TensorIteratorBaseERKT_EUlibE_EEviT1_
		.amdhsa_group_segment_fixed_size 0
		.amdhsa_private_segment_fixed_size 0
		.amdhsa_kernarg_size 56
		.amdhsa_user_sgpr_count 6
		.amdhsa_user_sgpr_private_segment_buffer 1
		.amdhsa_user_sgpr_dispatch_ptr 0
		.amdhsa_user_sgpr_queue_ptr 0
		.amdhsa_user_sgpr_kernarg_segment_ptr 1
		.amdhsa_user_sgpr_dispatch_id 0
		.amdhsa_user_sgpr_flat_scratch_init 0
		.amdhsa_user_sgpr_private_segment_size 0
		.amdhsa_uses_dynamic_stack 0
		.amdhsa_system_sgpr_private_segment_wavefront_offset 0
		.amdhsa_system_sgpr_workgroup_id_x 1
		.amdhsa_system_sgpr_workgroup_id_y 0
		.amdhsa_system_sgpr_workgroup_id_z 0
		.amdhsa_system_sgpr_workgroup_info 0
		.amdhsa_system_vgpr_workitem_id 0
		.amdhsa_next_free_vgpr 16
		.amdhsa_next_free_sgpr 59
		.amdhsa_reserve_vcc 1
		.amdhsa_reserve_flat_scratch 0
		.amdhsa_float_round_mode_32 0
		.amdhsa_float_round_mode_16_64 0
		.amdhsa_float_denorm_mode_32 3
		.amdhsa_float_denorm_mode_16_64 3
		.amdhsa_dx10_clamp 1
		.amdhsa_ieee_mode 1
		.amdhsa_fp16_overflow 0
		.amdhsa_exception_fp_ieee_invalid_op 0
		.amdhsa_exception_fp_denorm_src 0
		.amdhsa_exception_fp_ieee_div_zero 0
		.amdhsa_exception_fp_ieee_overflow 0
		.amdhsa_exception_fp_ieee_underflow 0
		.amdhsa_exception_fp_ieee_inexact 0
		.amdhsa_exception_int_div_zero 0
	.end_amdhsa_kernel
	.section	.text._ZN2at6native32elementwise_kernel_manual_unrollILi128ELi4EZNS0_15gpu_kernel_implINS0_13BinaryFunctorIN3c1016Float4_e2m1fn_x2ES5_bNS0_12_GLOBAL__N_116CompareEqFunctorIS5_EEEEEEvRNS_18TensorIteratorBaseERKT_EUlibE_EEviT1_,"axG",@progbits,_ZN2at6native32elementwise_kernel_manual_unrollILi128ELi4EZNS0_15gpu_kernel_implINS0_13BinaryFunctorIN3c1016Float4_e2m1fn_x2ES5_bNS0_12_GLOBAL__N_116CompareEqFunctorIS5_EEEEEEvRNS_18TensorIteratorBaseERKT_EUlibE_EEviT1_,comdat
.Lfunc_end379:
	.size	_ZN2at6native32elementwise_kernel_manual_unrollILi128ELi4EZNS0_15gpu_kernel_implINS0_13BinaryFunctorIN3c1016Float4_e2m1fn_x2ES5_bNS0_12_GLOBAL__N_116CompareEqFunctorIS5_EEEEEEvRNS_18TensorIteratorBaseERKT_EUlibE_EEviT1_, .Lfunc_end379-_ZN2at6native32elementwise_kernel_manual_unrollILi128ELi4EZNS0_15gpu_kernel_implINS0_13BinaryFunctorIN3c1016Float4_e2m1fn_x2ES5_bNS0_12_GLOBAL__N_116CompareEqFunctorIS5_EEEEEEvRNS_18TensorIteratorBaseERKT_EUlibE_EEviT1_
                                        ; -- End function
	.set _ZN2at6native32elementwise_kernel_manual_unrollILi128ELi4EZNS0_15gpu_kernel_implINS0_13BinaryFunctorIN3c1016Float4_e2m1fn_x2ES5_bNS0_12_GLOBAL__N_116CompareEqFunctorIS5_EEEEEEvRNS_18TensorIteratorBaseERKT_EUlibE_EEviT1_.num_vgpr, 16
	.set _ZN2at6native32elementwise_kernel_manual_unrollILi128ELi4EZNS0_15gpu_kernel_implINS0_13BinaryFunctorIN3c1016Float4_e2m1fn_x2ES5_bNS0_12_GLOBAL__N_116CompareEqFunctorIS5_EEEEEEvRNS_18TensorIteratorBaseERKT_EUlibE_EEviT1_.num_agpr, 0
	.set _ZN2at6native32elementwise_kernel_manual_unrollILi128ELi4EZNS0_15gpu_kernel_implINS0_13BinaryFunctorIN3c1016Float4_e2m1fn_x2ES5_bNS0_12_GLOBAL__N_116CompareEqFunctorIS5_EEEEEEvRNS_18TensorIteratorBaseERKT_EUlibE_EEviT1_.numbered_sgpr, 59
	.set _ZN2at6native32elementwise_kernel_manual_unrollILi128ELi4EZNS0_15gpu_kernel_implINS0_13BinaryFunctorIN3c1016Float4_e2m1fn_x2ES5_bNS0_12_GLOBAL__N_116CompareEqFunctorIS5_EEEEEEvRNS_18TensorIteratorBaseERKT_EUlibE_EEviT1_.num_named_barrier, 0
	.set _ZN2at6native32elementwise_kernel_manual_unrollILi128ELi4EZNS0_15gpu_kernel_implINS0_13BinaryFunctorIN3c1016Float4_e2m1fn_x2ES5_bNS0_12_GLOBAL__N_116CompareEqFunctorIS5_EEEEEEvRNS_18TensorIteratorBaseERKT_EUlibE_EEviT1_.private_seg_size, 0
	.set _ZN2at6native32elementwise_kernel_manual_unrollILi128ELi4EZNS0_15gpu_kernel_implINS0_13BinaryFunctorIN3c1016Float4_e2m1fn_x2ES5_bNS0_12_GLOBAL__N_116CompareEqFunctorIS5_EEEEEEvRNS_18TensorIteratorBaseERKT_EUlibE_EEviT1_.uses_vcc, 1
	.set _ZN2at6native32elementwise_kernel_manual_unrollILi128ELi4EZNS0_15gpu_kernel_implINS0_13BinaryFunctorIN3c1016Float4_e2m1fn_x2ES5_bNS0_12_GLOBAL__N_116CompareEqFunctorIS5_EEEEEEvRNS_18TensorIteratorBaseERKT_EUlibE_EEviT1_.uses_flat_scratch, 0
	.set _ZN2at6native32elementwise_kernel_manual_unrollILi128ELi4EZNS0_15gpu_kernel_implINS0_13BinaryFunctorIN3c1016Float4_e2m1fn_x2ES5_bNS0_12_GLOBAL__N_116CompareEqFunctorIS5_EEEEEEvRNS_18TensorIteratorBaseERKT_EUlibE_EEviT1_.has_dyn_sized_stack, 0
	.set _ZN2at6native32elementwise_kernel_manual_unrollILi128ELi4EZNS0_15gpu_kernel_implINS0_13BinaryFunctorIN3c1016Float4_e2m1fn_x2ES5_bNS0_12_GLOBAL__N_116CompareEqFunctorIS5_EEEEEEvRNS_18TensorIteratorBaseERKT_EUlibE_EEviT1_.has_recursion, 0
	.set _ZN2at6native32elementwise_kernel_manual_unrollILi128ELi4EZNS0_15gpu_kernel_implINS0_13BinaryFunctorIN3c1016Float4_e2m1fn_x2ES5_bNS0_12_GLOBAL__N_116CompareEqFunctorIS5_EEEEEEvRNS_18TensorIteratorBaseERKT_EUlibE_EEviT1_.has_indirect_call, 0
	.section	.AMDGPU.csdata,"",@progbits
; Kernel info:
; codeLenInByte = 43564
; TotalNumSgprs: 63
; NumVgprs: 16
; ScratchSize: 0
; MemoryBound: 1
; FloatMode: 240
; IeeeMode: 1
; LDSByteSize: 0 bytes/workgroup (compile time only)
; SGPRBlocks: 7
; VGPRBlocks: 3
; NumSGPRsForWavesPerEU: 63
; NumVGPRsForWavesPerEU: 16
; Occupancy: 10
; WaveLimiterHint : 0
; COMPUTE_PGM_RSRC2:SCRATCH_EN: 0
; COMPUTE_PGM_RSRC2:USER_SGPR: 6
; COMPUTE_PGM_RSRC2:TRAP_HANDLER: 0
; COMPUTE_PGM_RSRC2:TGID_X_EN: 1
; COMPUTE_PGM_RSRC2:TGID_Y_EN: 0
; COMPUTE_PGM_RSRC2:TGID_Z_EN: 0
; COMPUTE_PGM_RSRC2:TIDIG_COMP_CNT: 0
	.section	.text._ZN2at6native32elementwise_kernel_manual_unrollILi128ELi4EZNS0_15gpu_kernel_implINS0_13BinaryFunctorIN3c1016Float4_e2m1fn_x2ES5_bNS0_12_GLOBAL__N_116CompareEqFunctorIS5_EEEEEEvRNS_18TensorIteratorBaseERKT_EUlibE0_EEviT1_,"axG",@progbits,_ZN2at6native32elementwise_kernel_manual_unrollILi128ELi4EZNS0_15gpu_kernel_implINS0_13BinaryFunctorIN3c1016Float4_e2m1fn_x2ES5_bNS0_12_GLOBAL__N_116CompareEqFunctorIS5_EEEEEEvRNS_18TensorIteratorBaseERKT_EUlibE0_EEviT1_,comdat
	.globl	_ZN2at6native32elementwise_kernel_manual_unrollILi128ELi4EZNS0_15gpu_kernel_implINS0_13BinaryFunctorIN3c1016Float4_e2m1fn_x2ES5_bNS0_12_GLOBAL__N_116CompareEqFunctorIS5_EEEEEEvRNS_18TensorIteratorBaseERKT_EUlibE0_EEviT1_ ; -- Begin function _ZN2at6native32elementwise_kernel_manual_unrollILi128ELi4EZNS0_15gpu_kernel_implINS0_13BinaryFunctorIN3c1016Float4_e2m1fn_x2ES5_bNS0_12_GLOBAL__N_116CompareEqFunctorIS5_EEEEEEvRNS_18TensorIteratorBaseERKT_EUlibE0_EEviT1_
	.p2align	8
	.type	_ZN2at6native32elementwise_kernel_manual_unrollILi128ELi4EZNS0_15gpu_kernel_implINS0_13BinaryFunctorIN3c1016Float4_e2m1fn_x2ES5_bNS0_12_GLOBAL__N_116CompareEqFunctorIS5_EEEEEEvRNS_18TensorIteratorBaseERKT_EUlibE0_EEviT1_,@function
_ZN2at6native32elementwise_kernel_manual_unrollILi128ELi4EZNS0_15gpu_kernel_implINS0_13BinaryFunctorIN3c1016Float4_e2m1fn_x2ES5_bNS0_12_GLOBAL__N_116CompareEqFunctorIS5_EEEEEEvRNS_18TensorIteratorBaseERKT_EUlibE0_EEviT1_: ; @_ZN2at6native32elementwise_kernel_manual_unrollILi128ELi4EZNS0_15gpu_kernel_implINS0_13BinaryFunctorIN3c1016Float4_e2m1fn_x2ES5_bNS0_12_GLOBAL__N_116CompareEqFunctorIS5_EEEEEEvRNS_18TensorIteratorBaseERKT_EUlibE0_EEviT1_
; %bb.0:
	s_load_dword s70, s[4:5], 0x0
	s_load_dword s33, s[4:5], 0x8
	s_add_u32 s2, s4, 8
	s_addc_u32 s3, s5, 0
	v_lshl_or_b32 v10, s6, 9, v0
	v_or_b32_e32 v21, 0x180, v10
	s_waitcnt lgkmcnt(0)
	s_add_i32 s72, s33, -1
	s_cmp_gt_u32 s72, 1
	v_cmp_le_i32_e32 vcc, s70, v21
	s_cselect_b64 s[24:25], -1, 0
	s_mov_b64 s[6:7], 0
	s_mov_b64 s[12:13], 0
	s_and_saveexec_b64 s[0:1], vcc
	s_xor_b64 s[26:27], exec, s[0:1]
	s_cbranch_execz .LBB380_1557
; %bb.1:
	s_cmp_lg_u32 s33, 0
	s_load_dwordx4 s[16:19], s[2:3], 0x4
	s_load_dwordx2 s[34:35], s[2:3], 0x14
	s_load_dwordx8 s[8:15], s[2:3], 0x188
	s_load_dwordx4 s[20:23], s[2:3], 0xc4
	s_load_dwordx2 s[30:31], s[2:3], 0xd4
	s_cselect_b64 s[38:39], -1, 0
	s_min_u32 s75, s72, 15
	s_cmp_gt_u32 s33, 1
	s_cselect_b64 s[36:37], -1, 0
	s_waitcnt lgkmcnt(0)
	s_lshr_b32 s74, s15, 8
	s_lshr_b32 s73, s15, 16
	s_cmp_eq_u32 s14, 0
	s_cselect_b64 s[28:29], -1, 0
	v_cmp_gt_i32_e32 vcc, s70, v10
	s_mov_b64 s[0:1], -1
	s_mov_b64 s[50:51], 0
	s_mov_b64 s[44:45], 0
	;; [unrolled: 1-line block ×4, first 2 shown]
	s_and_saveexec_b64 s[46:47], vcc
	s_cbranch_execz .LBB380_386
; %bb.2:
	s_andn2_b64 vcc, exec, s[24:25]
	s_cbranch_vccnz .LBB380_8
; %bb.3:
	s_andn2_b64 vcc, exec, s[38:39]
	s_cbranch_vccnz .LBB380_9
; %bb.4:
	s_add_i32 s0, s75, 1
	s_and_b32 s14, s0, 30
	s_add_u32 s0, s2, 0xffffffe8
	s_addc_u32 s1, s3, -1
	v_mov_b32_e32 v3, 0
	v_mov_b32_e32 v5, 0
	;; [unrolled: 1-line block ×4, first 2 shown]
.LBB380_5:                              ; =>This Inner Loop Header: Depth=1
	s_load_dwordx4 s[40:43], s[0:1], 0x1c
	s_load_dwordx2 s[44:45], s[0:1], 0x2c
	s_load_dwordx2 s[48:49], s[0:1], 0xec
	s_load_dwordx4 s[52:55], s[0:1], 0xdc
	s_add_u32 s0, s0, 24
	s_waitcnt lgkmcnt(0)
	v_mul_hi_u32 v2, s41, v1
	s_addc_u32 s1, s1, 0
	s_add_i32 s14, s14, -2
	s_cmp_lg_u32 s14, 0
	v_add_u32_e32 v2, v1, v2
	v_lshrrev_b32_e32 v2, s42, v2
	v_mul_lo_u32 v4, v2, s40
	v_mul_hi_u32 v6, s44, v2
	v_sub_u32_e32 v4, v1, v4
	v_add_u32_e32 v1, v2, v6
	v_lshrrev_b32_e32 v1, s45, v1
	v_mul_lo_u32 v8, v1, s43
	v_mul_lo_u32 v6, v4, s52
	;; [unrolled: 1-line block ×4, first 2 shown]
	v_sub_u32_e32 v2, v2, v8
	v_mul_lo_u32 v8, v2, s55
	v_mul_lo_u32 v9, v2, s48
	;; [unrolled: 1-line block ×3, first 2 shown]
	v_add3_u32 v0, v6, v0, v8
	v_add3_u32 v5, v7, v5, v9
	;; [unrolled: 1-line block ×3, first 2 shown]
	s_cbranch_scc1 .LBB380_5
; %bb.6:
	s_bitcmp1_b32 s75, 0
	s_cselect_b64 s[40:41], -1, 0
	s_and_b64 vcc, exec, s[40:41]
	s_cbranch_vccnz .LBB380_10
; %bb.7:
	s_load_dwordx2 s[40:41], s[0:1], 0x1c
	s_load_dword s14, s[0:1], 0x24
	s_load_dwordx2 s[42:43], s[0:1], 0xdc
	s_waitcnt lgkmcnt(0)
	v_mul_hi_u32 v2, s41, v1
	v_add_u32_e32 v2, v1, v2
	v_lshrrev_b32_e32 v2, s14, v2
	v_mul_lo_u32 v2, v2, s40
	s_load_dword s14, s[0:1], 0xe4
	v_sub_u32_e32 v2, v1, v2
	v_mad_u64_u32 v[0:1], s[0:1], v2, s42, v[0:1]
	v_mad_u64_u32 v[5:6], s[0:1], v2, s43, v[5:6]
	s_waitcnt lgkmcnt(0)
	v_mad_u64_u32 v[3:4], s[0:1], v2, s14, v[3:4]
	s_cbranch_execz .LBB380_11
	s_branch .LBB380_13
.LBB380_8:
                                        ; implicit-def: $vgpr0
                                        ; implicit-def: $vgpr5
                                        ; implicit-def: $vgpr3
	s_andn2_b64 vcc, exec, s[0:1]
	s_cbranch_vccz .LBB380_11
	s_branch .LBB380_13
.LBB380_9:
	v_mov_b32_e32 v0, 0
	v_mov_b32_e32 v5, 0
	;; [unrolled: 1-line block ×3, first 2 shown]
.LBB380_10:
	s_cbranch_execnz .LBB380_13
.LBB380_11:
	v_mul_hi_u32 v0, s17, v10
	s_andn2_b64 vcc, exec, s[36:37]
	v_add_u32_e32 v0, v10, v0
	v_lshrrev_b32_e32 v1, s18, v0
	v_mul_lo_u32 v0, v1, s16
	v_sub_u32_e32 v2, v10, v0
	v_mul_lo_u32 v0, v2, s20
	v_mul_lo_u32 v5, v2, s21
	;; [unrolled: 1-line block ×3, first 2 shown]
	s_cbranch_vccnz .LBB380_13
; %bb.12:
	v_mul_hi_u32 v2, s34, v1
	v_add_u32_e32 v2, v1, v2
	v_lshrrev_b32_e32 v2, s35, v2
	v_mul_lo_u32 v2, v2, s19
	v_sub_u32_e32 v2, v1, v2
	v_mad_u64_u32 v[0:1], s[0:1], v2, s23, v[0:1]
	v_mad_u64_u32 v[5:6], s[0:1], v2, s30, v[5:6]
	;; [unrolled: 1-line block ×3, first 2 shown]
.LBB380_13:
	v_mov_b32_e32 v1, s11
	s_and_b32 s14, s74, 0xff
	v_add_co_u32_e32 v4, vcc, s10, v5
	s_cmp_lt_i32 s14, 11
	v_addc_co_u32_e32 v5, vcc, 0, v1, vcc
	s_cbranch_scc1 .LBB380_20
; %bb.14:
	s_and_b32 s42, 0xffff, s14
	s_cmp_gt_i32 s42, 25
	s_cbranch_scc0 .LBB380_29
; %bb.15:
	s_cmp_gt_i32 s42, 28
	s_cbranch_scc0 .LBB380_39
; %bb.16:
	;; [unrolled: 3-line block ×4, first 2 shown]
	s_cmp_eq_u32 s42, 46
	s_mov_b64 s[40:41], 0
	s_cbranch_scc0 .LBB380_48
; %bb.19:
	global_load_dword v1, v[4:5], off
	s_mov_b64 s[0:1], -1
	s_mov_b64 s[44:45], 0
	s_waitcnt vmcnt(0)
	v_lshlrev_b32_e32 v1, 16, v1
	v_cvt_i32_f32_e32 v1, v1
	s_branch .LBB380_50
.LBB380_20:
	s_mov_b64 s[44:45], 0
                                        ; implicit-def: $vgpr1
	s_mov_b64 s[0:1], 0
	s_cbranch_execnz .LBB380_112
.LBB380_21:
	s_andn2_b64 vcc, exec, s[0:1]
	s_cbranch_vccnz .LBB380_159
.LBB380_22:
	v_mov_b32_e32 v4, s13
	s_and_b32 s14, s73, 0xff
	s_waitcnt vmcnt(0)
	v_add_co_u32_e32 v2, vcc, s12, v3
	s_cmp_lt_i32 s14, 11
	v_addc_co_u32_e32 v3, vcc, 0, v4, vcc
	s_cbranch_scc1 .LBB380_30
; %bb.23:
	s_and_b32 s48, 0xffff, s14
	s_cmp_gt_i32 s48, 25
	s_cbranch_scc0 .LBB380_40
; %bb.24:
	s_cmp_gt_i32 s48, 28
	s_cbranch_scc0 .LBB380_43
; %bb.25:
	;; [unrolled: 3-line block ×4, first 2 shown]
	s_cmp_eq_u32 s48, 46
	s_mov_b64 s[40:41], 0
	s_cbranch_scc0 .LBB380_160
; %bb.28:
	global_load_dword v4, v[2:3], off
	s_mov_b64 s[0:1], -1
	s_mov_b64 s[42:43], 0
	s_waitcnt vmcnt(0)
	v_lshlrev_b32_e32 v4, 16, v4
	v_cvt_i32_f32_e32 v4, v4
	s_branch .LBB380_162
.LBB380_29:
	s_mov_b64 s[44:45], 0
	s_mov_b64 s[0:1], 0
                                        ; implicit-def: $vgpr1
	s_cbranch_execnz .LBB380_79
	s_branch .LBB380_111
.LBB380_30:
	s_mov_b64 s[42:43], 0
                                        ; implicit-def: $vgpr4
	s_mov_b64 s[0:1], 0
	s_cbranch_execnz .LBB380_335
.LBB380_31:
	s_andn2_b64 vcc, exec, s[0:1]
	s_cbranch_vccnz .LBB380_383
.LBB380_32:
	s_waitcnt vmcnt(0)
	v_cmp_ne_u16_sdwa s[0:1], v1, v4 src0_sel:BYTE_0 src1_sel:BYTE_0
	s_xor_b64 s[40:41], s[28:29], s[0:1]
	v_mov_b32_e32 v1, s9
	s_and_b32 s14, s15, 0xff
	v_add_co_u32_e32 v0, vcc, s8, v0
	s_cmp_lt_i32 s14, 11
	v_addc_co_u32_e32 v1, vcc, 0, v1, vcc
	s_cbranch_scc1 .LBB380_41
; %bb.33:
	s_and_b32 s56, 0xffff, s14
	s_cmp_gt_i32 s56, 25
	s_cbranch_scc0 .LBB380_44
; %bb.34:
	s_cmp_gt_i32 s56, 28
	s_cbranch_scc0 .LBB380_47
; %bb.35:
	;; [unrolled: 3-line block ×4, first 2 shown]
	s_mov_b64 s[52:53], 0
	s_mov_b64 s[0:1], -1
	s_cmp_eq_u32 s56, 46
	s_mov_b64 s[48:49], 0
	s_cbranch_scc0 .LBB380_166
; %bb.38:
	v_cndmask_b32_e64 v2, 0, 1.0, s[40:41]
	v_bfe_u32 v3, v2, 16, 1
	s_movk_i32 s0, 0x7fff
	v_add3_u32 v2, v2, v3, s0
	v_lshrrev_b32_e32 v2, 16, v2
	global_store_dword v[0:1], v2, off
	s_mov_b64 s[48:49], -1
	s_mov_b64 s[0:1], 0
	s_branch .LBB380_166
.LBB380_39:
	s_mov_b64 s[40:41], -1
	s_mov_b64 s[44:45], 0
	s_mov_b64 s[0:1], 0
                                        ; implicit-def: $vgpr1
	s_branch .LBB380_62
.LBB380_40:
	s_mov_b64 s[40:41], -1
	s_mov_b64 s[42:43], 0
	s_mov_b64 s[0:1], 0
                                        ; implicit-def: $vgpr4
	s_branch .LBB380_301
.LBB380_41:
	s_mov_b64 s[52:53], -1
	s_mov_b64 s[0:1], 0
	s_mov_b64 s[48:49], 0
	s_branch .LBB380_235
.LBB380_42:
	s_mov_b64 s[40:41], -1
	s_mov_b64 s[44:45], 0
	s_mov_b64 s[0:1], 0
                                        ; implicit-def: $vgpr1
	s_branch .LBB380_57
.LBB380_43:
	s_mov_b64 s[40:41], -1
	s_mov_b64 s[42:43], 0
	s_mov_b64 s[0:1], 0
                                        ; implicit-def: $vgpr4
	s_branch .LBB380_284
.LBB380_44:
	s_mov_b64 s[52:53], -1
	s_mov_b64 s[0:1], 0
	s_mov_b64 s[48:49], 0
	s_branch .LBB380_193
.LBB380_45:
	s_mov_b64 s[40:41], -1
	s_mov_b64 s[44:45], 0
	s_branch .LBB380_49
.LBB380_46:
	s_mov_b64 s[40:41], -1
	s_mov_b64 s[42:43], 0
	s_mov_b64 s[0:1], 0
                                        ; implicit-def: $vgpr4
	s_branch .LBB380_279
.LBB380_47:
	s_mov_b64 s[52:53], -1
	s_mov_b64 s[0:1], 0
	s_mov_b64 s[48:49], 0
	s_branch .LBB380_176
.LBB380_48:
	s_mov_b64 s[44:45], -1
.LBB380_49:
	s_mov_b64 s[0:1], 0
                                        ; implicit-def: $vgpr1
.LBB380_50:
	s_and_b64 vcc, exec, s[40:41]
	s_cbranch_vccz .LBB380_56
; %bb.51:
	s_cmp_eq_u32 s42, 44
	s_cbranch_scc0 .LBB380_55
; %bb.52:
	global_load_ubyte v1, v[4:5], off
	s_mov_b64 s[0:1], -1
	s_mov_b64 s[44:45], 0
	s_waitcnt vmcnt(0)
	v_lshlrev_b32_e32 v2, 23, v1
	v_cvt_i32_f32_e32 v2, v2
	v_cmp_ne_u32_e32 vcc, 0, v1
	v_cndmask_b32_e32 v1, 0, v2, vcc
	s_branch .LBB380_56
.LBB380_53:
	s_mov_b64 s[40:41], -1
	s_mov_b64 s[42:43], 0
	s_branch .LBB380_161
.LBB380_54:
	s_mov_b64 s[52:53], -1
	s_mov_b64 s[0:1], 0
	s_mov_b64 s[48:49], 0
	s_branch .LBB380_172
.LBB380_55:
	s_mov_b64 s[44:45], -1
                                        ; implicit-def: $vgpr1
.LBB380_56:
	s_mov_b64 s[40:41], 0
.LBB380_57:
	s_and_b64 vcc, exec, s[40:41]
	s_cbranch_vccz .LBB380_61
; %bb.58:
	s_cmp_eq_u32 s42, 29
	s_cbranch_scc0 .LBB380_60
; %bb.59:
	global_load_dwordx2 v[1:2], v[4:5], off
	s_mov_b64 s[0:1], -1
	s_mov_b64 s[44:45], 0
	s_branch .LBB380_61
.LBB380_60:
	s_mov_b64 s[44:45], -1
                                        ; implicit-def: $vgpr1
.LBB380_61:
	s_mov_b64 s[40:41], 0
.LBB380_62:
	s_and_b64 vcc, exec, s[40:41]
	s_cbranch_vccz .LBB380_78
; %bb.63:
	s_cmp_lt_i32 s42, 27
	s_cbranch_scc1 .LBB380_66
; %bb.64:
	s_cmp_gt_i32 s42, 27
	s_cbranch_scc0 .LBB380_67
; %bb.65:
	global_load_dword v1, v[4:5], off
	s_mov_b64 s[0:1], 0
	s_branch .LBB380_68
.LBB380_66:
	s_mov_b64 s[0:1], -1
                                        ; implicit-def: $vgpr1
	s_branch .LBB380_71
.LBB380_67:
	s_mov_b64 s[0:1], -1
                                        ; implicit-def: $vgpr1
.LBB380_68:
	s_andn2_b64 vcc, exec, s[0:1]
	s_cbranch_vccnz .LBB380_70
; %bb.69:
	global_load_ushort v1, v[4:5], off
.LBB380_70:
	s_mov_b64 s[0:1], 0
.LBB380_71:
	s_andn2_b64 vcc, exec, s[0:1]
	s_cbranch_vccnz .LBB380_77
; %bb.72:
	global_load_ubyte v2, v[4:5], off
	s_movk_i32 s0, 0x7f
	s_mov_b64 s[40:41], 0
	s_waitcnt vmcnt(0)
	v_cmp_lt_i16_e32 vcc, s0, v2
	s_and_saveexec_b64 s[0:1], vcc
	s_xor_b64 s[0:1], exec, s[0:1]
	s_cbranch_execz .LBB380_88
; %bb.73:
	s_movk_i32 s40, 0x80
	v_cmp_ne_u16_e32 vcc, s40, v2
	s_and_b64 s[40:41], vcc, exec
	s_andn2_saveexec_b64 s[0:1], s[0:1]
	s_cbranch_execnz .LBB380_89
.LBB380_74:
	s_or_b64 exec, exec, s[0:1]
	v_mov_b32_e32 v1, 0
	s_and_saveexec_b64 s[0:1], s[40:41]
	s_cbranch_execz .LBB380_76
.LBB380_75:
	v_lshlrev_b32_e32 v1, 24, v2
	v_and_b32_e32 v2, 0xffff, v2
	v_and_b32_e32 v6, 7, v2
	v_ffbh_u32_e32 v8, v6
	v_min_u32_e32 v8, 32, v8
	v_subrev_u32_e32 v9, 28, v8
	v_bfe_u32 v7, v2, 3, 4
	v_lshlrev_b32_e32 v2, v9, v2
	v_sub_u32_e32 v8, 29, v8
	v_and_b32_e32 v2, 7, v2
	v_cmp_eq_u32_e32 vcc, 0, v7
	v_cndmask_b32_e32 v7, v7, v8, vcc
	v_cndmask_b32_e32 v2, v6, v2, vcc
	v_mov_b32_e32 v6, 0x3b800000
	v_lshlrev_b32_e32 v2, 20, v2
	v_and_b32_e32 v1, 0x80000000, v1
	v_lshl_add_u32 v6, v7, 23, v6
	v_or3_b32 v1, v1, v6, v2
	v_cvt_i32_f32_e32 v1, v1
.LBB380_76:
	s_or_b64 exec, exec, s[0:1]
.LBB380_77:
	s_mov_b64 s[0:1], -1
.LBB380_78:
	s_branch .LBB380_111
.LBB380_79:
	s_cmp_gt_i32 s42, 22
	s_cbranch_scc0 .LBB380_87
; %bb.80:
	s_cmp_lt_i32 s42, 24
	s_cbranch_scc1 .LBB380_90
; %bb.81:
	s_cmp_gt_i32 s42, 24
	s_cbranch_scc0 .LBB380_91
; %bb.82:
	global_load_ubyte v2, v[4:5], off
	s_movk_i32 s0, 0x7f
	s_mov_b64 s[40:41], 0
	s_waitcnt vmcnt(0)
	v_cmp_lt_i16_e32 vcc, s0, v2
	s_and_saveexec_b64 s[0:1], vcc
	s_xor_b64 s[0:1], exec, s[0:1]
	s_cbranch_execz .LBB380_103
; %bb.83:
	s_movk_i32 s40, 0x80
	v_cmp_ne_u16_e32 vcc, s40, v2
	s_and_b64 s[40:41], vcc, exec
	s_andn2_saveexec_b64 s[0:1], s[0:1]
	s_cbranch_execnz .LBB380_104
.LBB380_84:
	s_or_b64 exec, exec, s[0:1]
	v_mov_b32_e32 v1, 0
	s_and_saveexec_b64 s[0:1], s[40:41]
	s_cbranch_execz .LBB380_86
.LBB380_85:
	v_lshlrev_b32_e32 v1, 24, v2
	v_and_b32_e32 v2, 0xffff, v2
	v_and_b32_e32 v6, 3, v2
	v_ffbh_u32_e32 v8, v6
	v_min_u32_e32 v8, 32, v8
	v_subrev_u32_e32 v9, 29, v8
	v_bfe_u32 v7, v2, 2, 5
	v_lshlrev_b32_e32 v2, v9, v2
	v_sub_u32_e32 v8, 30, v8
	v_and_b32_e32 v2, 3, v2
	v_cmp_eq_u32_e32 vcc, 0, v7
	v_cndmask_b32_e32 v7, v7, v8, vcc
	v_cndmask_b32_e32 v2, v6, v2, vcc
	v_mov_b32_e32 v6, 0x37800000
	v_lshlrev_b32_e32 v2, 21, v2
	v_and_b32_e32 v1, 0x80000000, v1
	v_lshl_add_u32 v6, v7, 23, v6
	v_or3_b32 v1, v1, v6, v2
	v_cvt_i32_f32_e32 v1, v1
.LBB380_86:
	s_or_b64 exec, exec, s[0:1]
	s_mov_b64 s[0:1], 0
	s_branch .LBB380_92
.LBB380_87:
	s_mov_b64 s[40:41], -1
                                        ; implicit-def: $vgpr1
	s_branch .LBB380_98
.LBB380_88:
	s_andn2_saveexec_b64 s[0:1], s[0:1]
	s_cbranch_execz .LBB380_74
.LBB380_89:
	v_cmp_ne_u16_e32 vcc, 0, v2
	s_andn2_b64 s[40:41], s[40:41], exec
	s_and_b64 s[48:49], vcc, exec
	s_or_b64 s[40:41], s[40:41], s[48:49]
	s_or_b64 exec, exec, s[0:1]
	v_mov_b32_e32 v1, 0
	s_and_saveexec_b64 s[0:1], s[40:41]
	s_cbranch_execnz .LBB380_75
	s_branch .LBB380_76
.LBB380_90:
	s_mov_b64 s[0:1], -1
                                        ; implicit-def: $vgpr1
	s_branch .LBB380_95
.LBB380_91:
	s_mov_b64 s[0:1], -1
                                        ; implicit-def: $vgpr1
.LBB380_92:
	s_and_b64 vcc, exec, s[0:1]
	s_cbranch_vccz .LBB380_94
; %bb.93:
	global_load_ubyte v1, v[4:5], off
	s_mov_b32 s0, 0x7f800000
	s_waitcnt vmcnt(0)
	v_lshlrev_b32_e32 v1, 24, v1
	v_and_b32_e32 v2, 0x7f000000, v1
	v_ffbh_u32_e32 v6, v2
	v_min_u32_e32 v6, 32, v6
	v_sub_u32_e64 v6, v6, 4 clamp
	v_lshlrev_b32_e32 v8, v6, v2
	v_lshlrev_b32_e32 v6, 23, v6
	v_lshrrev_b32_e32 v8, 4, v8
	v_add_u32_e32 v7, 0x1000000, v2
	v_sub_u32_e32 v6, v8, v6
	v_ashrrev_i32_e32 v7, 8, v7
	v_add_u32_e32 v6, 0x3c000000, v6
	v_and_or_b32 v6, v7, s0, v6
	v_cmp_ne_u32_e32 vcc, 0, v2
	v_cndmask_b32_e32 v2, 0, v6, vcc
	s_brev_b32 s0, 1
	v_and_or_b32 v1, v1, s0, v2
	v_cvt_i32_f32_e32 v1, v1
.LBB380_94:
	s_mov_b64 s[0:1], 0
.LBB380_95:
	s_andn2_b64 vcc, exec, s[0:1]
	s_cbranch_vccnz .LBB380_97
; %bb.96:
	global_load_ubyte v1, v[4:5], off
	s_movk_i32 s0, 0x7f00
	s_brev_b32 s1, 16
	s_waitcnt vmcnt(0)
	v_lshlrev_b16_e32 v2, 8, v1
	v_lshlrev_b32_e32 v1, 25, v1
	v_lshrrev_b32_e32 v6, 4, v1
	v_and_or_b32 v7, v2, s0, 0.5
	v_or_b32_e32 v6, 0x70000000, v6
	v_add_f32_e32 v7, -0.5, v7
	v_mul_f32_e32 v6, 0x7800000, v6
	v_cmp_gt_u32_e32 vcc, s1, v1
	v_bfe_i32 v2, v2, 0, 16
	v_cndmask_b32_e32 v1, v6, v7, vcc
	s_brev_b32 s0, 1
	v_and_or_b32 v1, v2, s0, v1
	v_cvt_i32_f32_e32 v1, v1
.LBB380_97:
	s_mov_b64 s[40:41], 0
	s_mov_b64 s[0:1], -1
.LBB380_98:
	s_andn2_b64 vcc, exec, s[40:41]
	s_cbranch_vccnz .LBB380_111
; %bb.99:
	s_cmp_gt_i32 s42, 14
	s_cbranch_scc0 .LBB380_102
; %bb.100:
	s_cmp_eq_u32 s42, 15
	s_cbranch_scc0 .LBB380_105
; %bb.101:
	global_load_ushort v1, v[4:5], off
	s_mov_b64 s[0:1], -1
	s_mov_b64 s[44:45], 0
	s_waitcnt vmcnt(0)
	v_lshlrev_b32_e32 v1, 16, v1
	v_cvt_i32_f32_e32 v1, v1
	s_branch .LBB380_106
.LBB380_102:
	s_mov_b64 s[40:41], -1
                                        ; implicit-def: $vgpr1
	s_branch .LBB380_107
.LBB380_103:
	s_andn2_saveexec_b64 s[0:1], s[0:1]
	s_cbranch_execz .LBB380_84
.LBB380_104:
	v_cmp_ne_u16_e32 vcc, 0, v2
	s_andn2_b64 s[40:41], s[40:41], exec
	s_and_b64 s[48:49], vcc, exec
	s_or_b64 s[40:41], s[40:41], s[48:49]
	s_or_b64 exec, exec, s[0:1]
	v_mov_b32_e32 v1, 0
	s_and_saveexec_b64 s[0:1], s[40:41]
	s_cbranch_execnz .LBB380_85
	s_branch .LBB380_86
.LBB380_105:
	s_mov_b64 s[44:45], -1
                                        ; implicit-def: $vgpr1
.LBB380_106:
	s_mov_b64 s[40:41], 0
.LBB380_107:
	s_and_b64 vcc, exec, s[40:41]
	s_cbranch_vccz .LBB380_111
; %bb.108:
	s_cmp_eq_u32 s42, 11
	s_cbranch_scc0 .LBB380_110
; %bb.109:
	global_load_ubyte v1, v[4:5], off
	s_mov_b64 s[0:1], -1
	s_mov_b64 s[44:45], 0
	s_waitcnt vmcnt(0)
	v_cmp_ne_u16_e32 vcc, 0, v1
	v_cndmask_b32_e64 v1, 0, 1, vcc
	s_branch .LBB380_111
.LBB380_110:
	s_mov_b64 s[44:45], -1
                                        ; implicit-def: $vgpr1
.LBB380_111:
	s_branch .LBB380_21
.LBB380_112:
	s_and_b32 s14, 0xffff, s14
	s_cmp_lt_i32 s14, 5
	s_cbranch_scc1 .LBB380_117
; %bb.113:
	s_cmp_lt_i32 s14, 8
	s_cbranch_scc1 .LBB380_118
; %bb.114:
	s_cmp_lt_i32 s14, 9
	s_cbranch_scc1 .LBB380_119
; %bb.115:
	s_cmp_gt_i32 s14, 9
	s_cbranch_scc0 .LBB380_120
; %bb.116:
	global_load_dwordx2 v[1:2], v[4:5], off
	s_mov_b64 s[0:1], 0
	s_waitcnt vmcnt(0)
	v_cvt_i32_f64_e32 v1, v[1:2]
	s_branch .LBB380_121
.LBB380_117:
                                        ; implicit-def: $vgpr1
	s_branch .LBB380_139
.LBB380_118:
	s_mov_b64 s[0:1], -1
                                        ; implicit-def: $vgpr1
	s_branch .LBB380_127
.LBB380_119:
	s_mov_b64 s[0:1], -1
                                        ; implicit-def: $vgpr1
	s_branch .LBB380_124
.LBB380_120:
	s_mov_b64 s[0:1], -1
                                        ; implicit-def: $vgpr1
.LBB380_121:
	s_andn2_b64 vcc, exec, s[0:1]
	s_cbranch_vccnz .LBB380_123
; %bb.122:
	global_load_dword v1, v[4:5], off
	s_waitcnt vmcnt(0)
	v_cvt_i32_f32_e32 v1, v1
.LBB380_123:
	s_mov_b64 s[0:1], 0
.LBB380_124:
	s_andn2_b64 vcc, exec, s[0:1]
	s_cbranch_vccnz .LBB380_126
; %bb.125:
	global_load_dword v1, v[4:5], off
	s_waitcnt vmcnt(0)
	v_cvt_i16_f16_e32 v1, v1
.LBB380_126:
	s_mov_b64 s[0:1], 0
.LBB380_127:
	s_andn2_b64 vcc, exec, s[0:1]
	s_cbranch_vccnz .LBB380_138
; %bb.128:
	s_cmp_lt_i32 s14, 6
	s_cbranch_scc1 .LBB380_131
; %bb.129:
	s_cmp_gt_i32 s14, 6
	s_cbranch_scc0 .LBB380_132
; %bb.130:
	global_load_dwordx2 v[1:2], v[4:5], off
	s_mov_b64 s[0:1], 0
	s_waitcnt vmcnt(0)
	v_cvt_i32_f64_e32 v1, v[1:2]
	s_branch .LBB380_133
.LBB380_131:
	s_mov_b64 s[0:1], -1
                                        ; implicit-def: $vgpr1
	s_branch .LBB380_136
.LBB380_132:
	s_mov_b64 s[0:1], -1
                                        ; implicit-def: $vgpr1
.LBB380_133:
	s_andn2_b64 vcc, exec, s[0:1]
	s_cbranch_vccnz .LBB380_135
; %bb.134:
	global_load_dword v1, v[4:5], off
	s_waitcnt vmcnt(0)
	v_cvt_i32_f32_e32 v1, v1
.LBB380_135:
	s_mov_b64 s[0:1], 0
.LBB380_136:
	s_andn2_b64 vcc, exec, s[0:1]
	s_cbranch_vccnz .LBB380_138
; %bb.137:
	global_load_ushort v1, v[4:5], off
	s_waitcnt vmcnt(0)
	v_cvt_i16_f16_e32 v1, v1
.LBB380_138:
	s_cbranch_execnz .LBB380_158
.LBB380_139:
	s_cmp_lt_i32 s14, 2
	s_cbranch_scc1 .LBB380_143
; %bb.140:
	s_cmp_lt_i32 s14, 3
	s_cbranch_scc1 .LBB380_144
; %bb.141:
	s_cmp_gt_i32 s14, 3
	s_cbranch_scc0 .LBB380_145
; %bb.142:
	global_load_dwordx2 v[1:2], v[4:5], off
	s_mov_b64 s[0:1], 0
	s_branch .LBB380_146
.LBB380_143:
	s_mov_b64 s[0:1], -1
                                        ; implicit-def: $vgpr1
	s_branch .LBB380_152
.LBB380_144:
	s_mov_b64 s[0:1], -1
                                        ; implicit-def: $vgpr1
	s_branch .LBB380_149
.LBB380_145:
	s_mov_b64 s[0:1], -1
                                        ; implicit-def: $vgpr1
.LBB380_146:
	s_andn2_b64 vcc, exec, s[0:1]
	s_cbranch_vccnz .LBB380_148
; %bb.147:
	global_load_dword v1, v[4:5], off
.LBB380_148:
	s_mov_b64 s[0:1], 0
.LBB380_149:
	s_andn2_b64 vcc, exec, s[0:1]
	s_cbranch_vccnz .LBB380_151
; %bb.150:
	global_load_ushort v1, v[4:5], off
.LBB380_151:
	s_mov_b64 s[0:1], 0
.LBB380_152:
	s_andn2_b64 vcc, exec, s[0:1]
	s_cbranch_vccnz .LBB380_158
; %bb.153:
	s_cmp_gt_i32 s14, 0
	s_cbranch_scc0 .LBB380_155
; %bb.154:
	global_load_ubyte v1, v[4:5], off
	s_mov_b64 s[0:1], 0
	s_branch .LBB380_156
.LBB380_155:
	s_mov_b64 s[0:1], -1
                                        ; implicit-def: $vgpr1
.LBB380_156:
	s_andn2_b64 vcc, exec, s[0:1]
	s_cbranch_vccnz .LBB380_158
; %bb.157:
	global_load_ubyte v1, v[4:5], off
.LBB380_158:
	s_branch .LBB380_22
.LBB380_159:
	s_mov_b64 s[0:1], 0
	s_mov_b64 s[42:43], 0
	s_branch .LBB380_384
.LBB380_160:
	s_mov_b64 s[42:43], -1
.LBB380_161:
	s_mov_b64 s[0:1], 0
                                        ; implicit-def: $vgpr4
.LBB380_162:
	s_and_b64 vcc, exec, s[40:41]
	s_cbranch_vccz .LBB380_278
; %bb.163:
	s_cmp_eq_u32 s48, 44
	s_cbranch_scc0 .LBB380_277
; %bb.164:
	global_load_ubyte v4, v[2:3], off
	s_mov_b64 s[0:1], -1
	s_mov_b64 s[42:43], 0
	s_waitcnt vmcnt(0)
	v_lshlrev_b32_e32 v5, 23, v4
	v_cvt_i32_f32_e32 v5, v5
	v_cmp_ne_u32_e32 vcc, 0, v4
	v_cndmask_b32_e32 v4, 0, v5, vcc
	s_branch .LBB380_278
.LBB380_165:
	s_mov_b64 s[52:53], -1
	s_mov_b64 s[0:1], 0
	s_mov_b64 s[48:49], 0
.LBB380_166:
	s_and_b64 vcc, exec, s[52:53]
	s_cbranch_vccz .LBB380_171
; %bb.167:
	s_cmp_eq_u32 s56, 44
	s_mov_b64 s[0:1], -1
	s_cbranch_scc0 .LBB380_171
; %bb.168:
	v_cndmask_b32_e64 v3, 0, 1.0, s[40:41]
	v_lshrrev_b32_e32 v2, 23, v3
	s_movk_i32 s0, 0xff
	v_cmp_ne_u32_e32 vcc, s0, v2
	v_mov_b32_e32 v4, 0xff
	s_and_saveexec_b64 s[48:49], vcc
; %bb.169:
	s_mov_b32 s0, 0x3fffff
	v_and_b32_e32 v4, 0x400000, v3
	v_and_or_b32 v3, v3, s0, v2
	v_cmp_ne_u32_e32 vcc, 0, v4
	v_cmp_ne_u32_e64 s[0:1], 0, v3
	s_and_b64 s[0:1], vcc, s[0:1]
	v_cndmask_b32_e64 v3, 0, 1, s[0:1]
	v_add_u32_e32 v4, v2, v3
; %bb.170:
	s_or_b64 exec, exec, s[48:49]
	s_mov_b64 s[48:49], -1
	s_mov_b64 s[0:1], 0
	global_store_byte v[0:1], v4, off
.LBB380_171:
	s_mov_b64 s[52:53], 0
.LBB380_172:
	s_and_b64 vcc, exec, s[52:53]
	s_cbranch_vccz .LBB380_175
; %bb.173:
	s_cmp_eq_u32 s56, 29
	s_mov_b64 s[0:1], -1
	s_cbranch_scc0 .LBB380_175
; %bb.174:
	s_mov_b32 s0, 0
	v_cndmask_b32_e64 v2, 0, 1, s[40:41]
	v_mov_b32_e32 v3, s0
	global_store_dwordx2 v[0:1], v[2:3], off
	s_mov_b64 s[48:49], -1
	s_mov_b64 s[0:1], 0
.LBB380_175:
	s_mov_b64 s[52:53], 0
.LBB380_176:
	s_and_b64 vcc, exec, s[52:53]
	s_cbranch_vccz .LBB380_192
; %bb.177:
	s_cmp_lt_i32 s56, 27
	s_mov_b64 s[48:49], -1
	s_cbranch_scc1 .LBB380_183
; %bb.178:
	s_cmp_gt_i32 s56, 27
	s_cbranch_scc0 .LBB380_180
; %bb.179:
	v_cndmask_b32_e64 v2, 0, 1, s[40:41]
	s_mov_b64 s[48:49], 0
	global_store_dword v[0:1], v2, off
.LBB380_180:
	s_andn2_b64 vcc, exec, s[48:49]
	s_cbranch_vccnz .LBB380_182
; %bb.181:
	v_cndmask_b32_e64 v2, 0, 1, s[40:41]
	global_store_short v[0:1], v2, off
.LBB380_182:
	s_mov_b64 s[48:49], 0
.LBB380_183:
	s_andn2_b64 vcc, exec, s[48:49]
	s_cbranch_vccnz .LBB380_191
; %bb.184:
	v_cndmask_b32_e64 v3, 0, 1.0, s[40:41]
	s_mov_b32 s48, 0x43800000
	v_cmp_gt_u32_e32 vcc, s48, v3
	v_mov_b32_e32 v4, 0x80
	s_and_saveexec_b64 s[48:49], vcc
	s_cbranch_execz .LBB380_190
; %bb.185:
	s_mov_b32 s52, 0x3bffffff
	v_cmp_lt_u32_e32 vcc, s52, v3
	s_mov_b64 s[52:53], 0
                                        ; implicit-def: $vgpr2
	s_and_saveexec_b64 s[54:55], vcc
	s_xor_b64 s[54:55], exec, s[54:55]
	s_cbranch_execz .LBB380_426
; %bb.186:
	v_bfe_u32 v2, v3, 20, 1
	s_mov_b32 s57, 0x487ffff
	v_add3_u32 v2, v3, v2, s57
	s_mov_b64 s[52:53], exec
	v_lshrrev_b32_e32 v2, 20, v2
                                        ; implicit-def: $vgpr3
	s_andn2_saveexec_b64 s[54:55], s[54:55]
	s_cbranch_execnz .LBB380_427
.LBB380_187:
	s_or_b64 exec, exec, s[54:55]
	v_mov_b32_e32 v4, 0
	s_and_saveexec_b64 s[54:55], s[52:53]
.LBB380_188:
	v_mov_b32_e32 v4, v2
.LBB380_189:
	s_or_b64 exec, exec, s[54:55]
.LBB380_190:
	s_or_b64 exec, exec, s[48:49]
	global_store_byte v[0:1], v4, off
.LBB380_191:
	s_mov_b64 s[48:49], -1
.LBB380_192:
	s_mov_b64 s[52:53], 0
.LBB380_193:
	s_and_b64 vcc, exec, s[52:53]
	s_cbranch_vccz .LBB380_234
; %bb.194:
	s_cmp_gt_i32 s56, 22
	s_mov_b64 s[52:53], -1
	s_cbranch_scc0 .LBB380_226
; %bb.195:
	s_cmp_lt_i32 s56, 24
	s_mov_b64 s[48:49], -1
	s_cbranch_scc1 .LBB380_215
; %bb.196:
	s_cmp_gt_i32 s56, 24
	s_cbranch_scc0 .LBB380_204
; %bb.197:
	v_cndmask_b32_e64 v3, 0, 1.0, s[40:41]
	s_mov_b32 s48, 0x47800000
	v_cmp_gt_u32_e32 vcc, s48, v3
	v_mov_b32_e32 v4, 0x80
	s_and_saveexec_b64 s[48:49], vcc
	s_cbranch_execz .LBB380_203
; %bb.198:
	s_mov_b32 s52, 0x37ffffff
	v_cmp_lt_u32_e32 vcc, s52, v3
	s_mov_b64 s[52:53], 0
                                        ; implicit-def: $vgpr2
	s_and_saveexec_b64 s[54:55], vcc
	s_xor_b64 s[54:55], exec, s[54:55]
	s_cbranch_execz .LBB380_541
; %bb.199:
	v_bfe_u32 v2, v3, 21, 1
	s_mov_b32 s57, 0x88fffff
	v_add3_u32 v2, v3, v2, s57
	s_mov_b64 s[52:53], exec
	v_lshrrev_b32_e32 v2, 21, v2
                                        ; implicit-def: $vgpr3
	s_andn2_saveexec_b64 s[54:55], s[54:55]
	s_cbranch_execnz .LBB380_542
.LBB380_200:
	s_or_b64 exec, exec, s[54:55]
	v_mov_b32_e32 v4, 0
	s_and_saveexec_b64 s[54:55], s[52:53]
.LBB380_201:
	v_mov_b32_e32 v4, v2
.LBB380_202:
	s_or_b64 exec, exec, s[54:55]
.LBB380_203:
	s_or_b64 exec, exec, s[48:49]
	s_mov_b64 s[48:49], 0
	global_store_byte v[0:1], v4, off
.LBB380_204:
	s_and_b64 vcc, exec, s[48:49]
	s_cbranch_vccz .LBB380_214
; %bb.205:
	v_cndmask_b32_e64 v2, 0, 1.0, s[40:41]
	s_mov_b32 s48, 0x43f00000
	v_cmp_gt_u32_e32 vcc, s48, v2
                                        ; implicit-def: $vgpr3
	s_and_saveexec_b64 s[48:49], vcc
	s_xor_b64 s[48:49], exec, s[48:49]
	s_cbranch_execz .LBB380_211
; %bb.206:
	s_mov_b32 s52, 0x3c7fffff
	v_cmp_lt_u32_e32 vcc, s52, v2
                                        ; implicit-def: $vgpr3
	s_and_saveexec_b64 s[52:53], vcc
	s_xor_b64 s[52:53], exec, s[52:53]
; %bb.207:
	v_bfe_u32 v3, v2, 20, 1
	s_mov_b32 s54, 0x407ffff
	v_add3_u32 v2, v2, v3, s54
	v_lshrrev_b32_e32 v3, 20, v2
	v_and_b32_e32 v2, 0xff00000, v2
	s_mov_b32 s54, 0x7f00000
	v_mov_b32_e32 v4, 0x7e
	v_cmp_ne_u32_e32 vcc, s54, v2
	v_cndmask_b32_e32 v3, v4, v3, vcc
                                        ; implicit-def: $vgpr2
; %bb.208:
	s_andn2_saveexec_b64 s[52:53], s[52:53]
; %bb.209:
	v_add_f32_e32 v3, 0x46800000, v2
; %bb.210:
	s_or_b64 exec, exec, s[52:53]
                                        ; implicit-def: $vgpr2
.LBB380_211:
	s_andn2_saveexec_b64 s[48:49], s[48:49]
; %bb.212:
	s_mov_b32 s52, 0x7f800000
	v_mov_b32_e32 v3, 0x7e
	v_mov_b32_e32 v4, 0x7f
	v_cmp_lt_u32_e32 vcc, s52, v2
	v_cndmask_b32_e32 v3, v3, v4, vcc
; %bb.213:
	s_or_b64 exec, exec, s[48:49]
	global_store_byte v[0:1], v3, off
.LBB380_214:
	s_mov_b64 s[48:49], 0
.LBB380_215:
	s_andn2_b64 vcc, exec, s[48:49]
	s_cbranch_vccnz .LBB380_225
; %bb.216:
	v_cndmask_b32_e64 v2, 0, 1.0, s[40:41]
	s_mov_b32 s48, 0x47800000
	v_cmp_gt_u32_e32 vcc, s48, v2
                                        ; implicit-def: $vgpr3
	s_and_saveexec_b64 s[48:49], vcc
	s_xor_b64 s[48:49], exec, s[48:49]
	s_cbranch_execz .LBB380_222
; %bb.217:
	s_mov_b32 s52, 0x387fffff
	v_cmp_lt_u32_e32 vcc, s52, v2
                                        ; implicit-def: $vgpr3
	s_and_saveexec_b64 s[52:53], vcc
	s_xor_b64 s[52:53], exec, s[52:53]
; %bb.218:
	v_bfe_u32 v3, v2, 21, 1
	s_mov_b32 s54, 0x80fffff
	v_add3_u32 v2, v2, v3, s54
	v_lshrrev_b32_e32 v3, 21, v2
                                        ; implicit-def: $vgpr2
; %bb.219:
	s_andn2_saveexec_b64 s[52:53], s[52:53]
; %bb.220:
	v_add_f32_e32 v3, 0x43000000, v2
; %bb.221:
	s_or_b64 exec, exec, s[52:53]
                                        ; implicit-def: $vgpr2
.LBB380_222:
	s_andn2_saveexec_b64 s[48:49], s[48:49]
; %bb.223:
	s_mov_b32 s52, 0x7f800000
	v_mov_b32_e32 v3, 0x7c
	v_mov_b32_e32 v4, 0x7f
	v_cmp_lt_u32_e32 vcc, s52, v2
	v_cndmask_b32_e32 v3, v3, v4, vcc
; %bb.224:
	s_or_b64 exec, exec, s[48:49]
	global_store_byte v[0:1], v3, off
.LBB380_225:
	s_mov_b64 s[52:53], 0
	s_mov_b64 s[48:49], -1
.LBB380_226:
	s_andn2_b64 vcc, exec, s[52:53]
	s_cbranch_vccnz .LBB380_234
; %bb.227:
	s_cmp_gt_i32 s56, 14
	s_mov_b64 s[52:53], -1
	s_cbranch_scc0 .LBB380_231
; %bb.228:
	s_cmp_eq_u32 s56, 15
	s_mov_b64 s[0:1], -1
	s_cbranch_scc0 .LBB380_230
; %bb.229:
	v_cndmask_b32_e64 v2, 0, 1.0, s[40:41]
	v_bfe_u32 v3, v2, 16, 1
	s_movk_i32 s0, 0x7fff
	v_add3_u32 v2, v2, v3, s0
	global_store_short_d16_hi v[0:1], v2, off
	s_mov_b64 s[48:49], -1
	s_mov_b64 s[0:1], 0
.LBB380_230:
	s_mov_b64 s[52:53], 0
.LBB380_231:
	s_and_b64 vcc, exec, s[52:53]
	s_cbranch_vccz .LBB380_234
; %bb.232:
	s_cmp_eq_u32 s56, 11
	s_mov_b64 s[0:1], -1
	s_cbranch_scc0 .LBB380_234
; %bb.233:
	v_cndmask_b32_e64 v2, 0, 1, s[40:41]
	s_mov_b64 s[48:49], -1
	s_mov_b64 s[0:1], 0
	global_store_byte v[0:1], v2, off
.LBB380_234:
	s_mov_b64 s[52:53], 0
.LBB380_235:
	s_and_b64 vcc, exec, s[52:53]
	s_cbranch_vccz .LBB380_274
; %bb.236:
	s_and_b32 s14, 0xffff, s14
	s_cmp_lt_i32 s14, 5
	s_mov_b64 s[48:49], -1
	s_cbranch_scc1 .LBB380_257
; %bb.237:
	s_cmp_lt_i32 s14, 8
	s_cbranch_scc1 .LBB380_247
; %bb.238:
	s_cmp_lt_i32 s14, 9
	s_cbranch_scc1 .LBB380_244
; %bb.239:
	s_cmp_gt_i32 s14, 9
	s_cbranch_scc0 .LBB380_241
; %bb.240:
	v_cndmask_b32_e64 v2, 0, 1, s[40:41]
	v_cvt_f64_u32_e32 v[2:3], v2
	v_mov_b32_e32 v4, 0
	v_mov_b32_e32 v5, v4
	s_mov_b64 s[48:49], 0
	global_store_dwordx4 v[0:1], v[2:5], off
.LBB380_241:
	s_andn2_b64 vcc, exec, s[48:49]
	s_cbranch_vccnz .LBB380_243
; %bb.242:
	v_cndmask_b32_e64 v2, 0, 1.0, s[40:41]
	v_mov_b32_e32 v3, 0
	global_store_dwordx2 v[0:1], v[2:3], off
.LBB380_243:
	s_mov_b64 s[48:49], 0
.LBB380_244:
	s_andn2_b64 vcc, exec, s[48:49]
	s_cbranch_vccnz .LBB380_246
; %bb.245:
	v_cndmask_b32_e64 v2, 0, 1.0, s[40:41]
	v_cvt_f16_f32_e32 v2, v2
	global_store_dword v[0:1], v2, off
.LBB380_246:
	s_mov_b64 s[48:49], 0
.LBB380_247:
	s_andn2_b64 vcc, exec, s[48:49]
	s_cbranch_vccnz .LBB380_256
; %bb.248:
	s_cmp_lt_i32 s14, 6
	s_mov_b64 s[48:49], -1
	s_cbranch_scc1 .LBB380_254
; %bb.249:
	s_cmp_gt_i32 s14, 6
	s_cbranch_scc0 .LBB380_251
; %bb.250:
	v_cndmask_b32_e64 v2, 0, 1, s[40:41]
	v_cvt_f64_u32_e32 v[2:3], v2
	s_mov_b64 s[48:49], 0
	global_store_dwordx2 v[0:1], v[2:3], off
.LBB380_251:
	s_andn2_b64 vcc, exec, s[48:49]
	s_cbranch_vccnz .LBB380_253
; %bb.252:
	v_cndmask_b32_e64 v2, 0, 1.0, s[40:41]
	global_store_dword v[0:1], v2, off
.LBB380_253:
	s_mov_b64 s[48:49], 0
.LBB380_254:
	s_andn2_b64 vcc, exec, s[48:49]
	s_cbranch_vccnz .LBB380_256
; %bb.255:
	v_cndmask_b32_e64 v2, 0, 1.0, s[40:41]
	v_cvt_f16_f32_e32 v2, v2
	global_store_short v[0:1], v2, off
.LBB380_256:
	s_mov_b64 s[48:49], 0
.LBB380_257:
	s_andn2_b64 vcc, exec, s[48:49]
	s_cbranch_vccnz .LBB380_273
; %bb.258:
	s_cmp_lt_i32 s14, 2
	s_mov_b64 s[48:49], -1
	s_cbranch_scc1 .LBB380_268
; %bb.259:
	s_cmp_lt_i32 s14, 3
	s_cbranch_scc1 .LBB380_265
; %bb.260:
	s_cmp_gt_i32 s14, 3
	s_cbranch_scc0 .LBB380_262
; %bb.261:
	s_mov_b32 s48, 0
	v_cndmask_b32_e64 v2, 0, 1, s[40:41]
	v_mov_b32_e32 v3, s48
	global_store_dwordx2 v[0:1], v[2:3], off
	s_mov_b64 s[48:49], 0
.LBB380_262:
	s_andn2_b64 vcc, exec, s[48:49]
	s_cbranch_vccnz .LBB380_264
; %bb.263:
	v_cndmask_b32_e64 v2, 0, 1, s[40:41]
	global_store_dword v[0:1], v2, off
.LBB380_264:
	s_mov_b64 s[48:49], 0
.LBB380_265:
	s_andn2_b64 vcc, exec, s[48:49]
	s_cbranch_vccnz .LBB380_267
; %bb.266:
	v_cndmask_b32_e64 v2, 0, 1, s[40:41]
	global_store_short v[0:1], v2, off
.LBB380_267:
	s_mov_b64 s[48:49], 0
.LBB380_268:
	s_andn2_b64 vcc, exec, s[48:49]
	s_cbranch_vccnz .LBB380_273
; %bb.269:
	s_cmp_gt_i32 s14, 0
	s_mov_b64 s[48:49], -1
	s_cbranch_scc0 .LBB380_271
; %bb.270:
	v_cndmask_b32_e64 v2, 0, 1, s[40:41]
	global_store_byte v[0:1], v2, off
	s_mov_b64 s[48:49], 0
.LBB380_271:
	s_andn2_b64 vcc, exec, s[48:49]
	s_cbranch_vccnz .LBB380_273
; %bb.272:
	v_cndmask_b32_e64 v2, 0, 1, s[40:41]
	global_store_byte v[0:1], v2, off
.LBB380_273:
	s_mov_b64 s[48:49], -1
.LBB380_274:
	s_andn2_b64 vcc, exec, s[48:49]
	s_cbranch_vccnz .LBB380_276
; %bb.275:
	v_add_u32_e32 v10, 0x80, v10
	s_mov_b64 s[48:49], -1
	s_branch .LBB380_385
.LBB380_276:
	s_mov_b64 s[48:49], 0
                                        ; implicit-def: $vgpr10
	s_branch .LBB380_385
.LBB380_277:
	s_mov_b64 s[42:43], -1
                                        ; implicit-def: $vgpr4
.LBB380_278:
	s_mov_b64 s[40:41], 0
.LBB380_279:
	s_and_b64 vcc, exec, s[40:41]
	s_cbranch_vccz .LBB380_283
; %bb.280:
	s_cmp_eq_u32 s48, 29
	s_cbranch_scc0 .LBB380_282
; %bb.281:
	global_load_dwordx2 v[4:5], v[2:3], off
	s_mov_b64 s[0:1], -1
	s_mov_b64 s[42:43], 0
	s_branch .LBB380_283
.LBB380_282:
	s_mov_b64 s[42:43], -1
                                        ; implicit-def: $vgpr4
.LBB380_283:
	s_mov_b64 s[40:41], 0
.LBB380_284:
	s_and_b64 vcc, exec, s[40:41]
	s_cbranch_vccz .LBB380_300
; %bb.285:
	s_cmp_lt_i32 s48, 27
	s_cbranch_scc1 .LBB380_288
; %bb.286:
	s_cmp_gt_i32 s48, 27
	s_cbranch_scc0 .LBB380_289
; %bb.287:
	global_load_dword v4, v[2:3], off
	s_mov_b64 s[0:1], 0
	s_branch .LBB380_290
.LBB380_288:
	s_mov_b64 s[0:1], -1
                                        ; implicit-def: $vgpr4
	s_branch .LBB380_293
.LBB380_289:
	s_mov_b64 s[0:1], -1
                                        ; implicit-def: $vgpr4
.LBB380_290:
	s_andn2_b64 vcc, exec, s[0:1]
	s_cbranch_vccnz .LBB380_292
; %bb.291:
	global_load_ushort v4, v[2:3], off
.LBB380_292:
	s_mov_b64 s[0:1], 0
.LBB380_293:
	s_andn2_b64 vcc, exec, s[0:1]
	s_cbranch_vccnz .LBB380_299
; %bb.294:
	global_load_ubyte v5, v[2:3], off
	s_movk_i32 s0, 0x7f
	s_mov_b64 s[40:41], 0
	s_waitcnt vmcnt(0)
	v_cmp_lt_i16_e32 vcc, s0, v5
	s_and_saveexec_b64 s[0:1], vcc
	s_xor_b64 s[0:1], exec, s[0:1]
	s_cbranch_execz .LBB380_311
; %bb.295:
	s_movk_i32 s40, 0x80
	v_cmp_ne_u16_e32 vcc, s40, v5
	s_and_b64 s[40:41], vcc, exec
	s_andn2_saveexec_b64 s[0:1], s[0:1]
	s_cbranch_execnz .LBB380_312
.LBB380_296:
	s_or_b64 exec, exec, s[0:1]
	v_mov_b32_e32 v4, 0
	s_and_saveexec_b64 s[0:1], s[40:41]
	s_cbranch_execz .LBB380_298
.LBB380_297:
	v_lshlrev_b32_e32 v4, 24, v5
	v_and_b32_e32 v5, 0xffff, v5
	v_and_b32_e32 v6, 7, v5
	v_ffbh_u32_e32 v8, v6
	v_min_u32_e32 v8, 32, v8
	v_subrev_u32_e32 v9, 28, v8
	v_bfe_u32 v7, v5, 3, 4
	v_lshlrev_b32_e32 v5, v9, v5
	v_sub_u32_e32 v8, 29, v8
	v_and_b32_e32 v5, 7, v5
	v_cmp_eq_u32_e32 vcc, 0, v7
	v_cndmask_b32_e32 v7, v7, v8, vcc
	v_cndmask_b32_e32 v5, v6, v5, vcc
	v_mov_b32_e32 v6, 0x3b800000
	v_lshlrev_b32_e32 v5, 20, v5
	v_and_b32_e32 v4, 0x80000000, v4
	v_lshl_add_u32 v6, v7, 23, v6
	v_or3_b32 v4, v4, v6, v5
	v_cvt_i32_f32_e32 v4, v4
.LBB380_298:
	s_or_b64 exec, exec, s[0:1]
.LBB380_299:
	s_mov_b64 s[0:1], -1
.LBB380_300:
	s_mov_b64 s[40:41], 0
.LBB380_301:
	s_and_b64 vcc, exec, s[40:41]
	s_cbranch_vccz .LBB380_334
; %bb.302:
	s_cmp_gt_i32 s48, 22
	s_cbranch_scc0 .LBB380_310
; %bb.303:
	s_cmp_lt_i32 s48, 24
	s_cbranch_scc1 .LBB380_313
; %bb.304:
	s_cmp_gt_i32 s48, 24
	s_cbranch_scc0 .LBB380_314
; %bb.305:
	global_load_ubyte v5, v[2:3], off
	s_movk_i32 s0, 0x7f
	s_mov_b64 s[40:41], 0
	s_waitcnt vmcnt(0)
	v_cmp_lt_i16_e32 vcc, s0, v5
	s_and_saveexec_b64 s[0:1], vcc
	s_xor_b64 s[0:1], exec, s[0:1]
	s_cbranch_execz .LBB380_326
; %bb.306:
	s_movk_i32 s40, 0x80
	v_cmp_ne_u16_e32 vcc, s40, v5
	s_and_b64 s[40:41], vcc, exec
	s_andn2_saveexec_b64 s[0:1], s[0:1]
	s_cbranch_execnz .LBB380_327
.LBB380_307:
	s_or_b64 exec, exec, s[0:1]
	v_mov_b32_e32 v4, 0
	s_and_saveexec_b64 s[0:1], s[40:41]
	s_cbranch_execz .LBB380_309
.LBB380_308:
	v_lshlrev_b32_e32 v4, 24, v5
	v_and_b32_e32 v5, 0xffff, v5
	v_and_b32_e32 v6, 3, v5
	v_ffbh_u32_e32 v8, v6
	v_min_u32_e32 v8, 32, v8
	v_subrev_u32_e32 v9, 29, v8
	v_bfe_u32 v7, v5, 2, 5
	v_lshlrev_b32_e32 v5, v9, v5
	v_sub_u32_e32 v8, 30, v8
	v_and_b32_e32 v5, 3, v5
	v_cmp_eq_u32_e32 vcc, 0, v7
	v_cndmask_b32_e32 v7, v7, v8, vcc
	v_cndmask_b32_e32 v5, v6, v5, vcc
	v_mov_b32_e32 v6, 0x37800000
	v_lshlrev_b32_e32 v5, 21, v5
	v_and_b32_e32 v4, 0x80000000, v4
	v_lshl_add_u32 v6, v7, 23, v6
	v_or3_b32 v4, v4, v6, v5
	v_cvt_i32_f32_e32 v4, v4
.LBB380_309:
	s_or_b64 exec, exec, s[0:1]
	s_mov_b64 s[0:1], 0
	s_branch .LBB380_315
.LBB380_310:
	s_mov_b64 s[40:41], -1
                                        ; implicit-def: $vgpr4
	s_branch .LBB380_321
.LBB380_311:
	s_andn2_saveexec_b64 s[0:1], s[0:1]
	s_cbranch_execz .LBB380_296
.LBB380_312:
	v_cmp_ne_u16_e32 vcc, 0, v5
	s_andn2_b64 s[40:41], s[40:41], exec
	s_and_b64 s[52:53], vcc, exec
	s_or_b64 s[40:41], s[40:41], s[52:53]
	s_or_b64 exec, exec, s[0:1]
	v_mov_b32_e32 v4, 0
	s_and_saveexec_b64 s[0:1], s[40:41]
	s_cbranch_execnz .LBB380_297
	s_branch .LBB380_298
.LBB380_313:
	s_mov_b64 s[0:1], -1
                                        ; implicit-def: $vgpr4
	s_branch .LBB380_318
.LBB380_314:
	s_mov_b64 s[0:1], -1
                                        ; implicit-def: $vgpr4
.LBB380_315:
	s_and_b64 vcc, exec, s[0:1]
	s_cbranch_vccz .LBB380_317
; %bb.316:
	global_load_ubyte v4, v[2:3], off
	s_mov_b32 s0, 0x7f800000
	s_waitcnt vmcnt(0)
	v_lshlrev_b32_e32 v4, 24, v4
	v_and_b32_e32 v5, 0x7f000000, v4
	v_ffbh_u32_e32 v6, v5
	v_min_u32_e32 v6, 32, v6
	v_sub_u32_e64 v6, v6, 4 clamp
	v_lshlrev_b32_e32 v8, v6, v5
	v_lshlrev_b32_e32 v6, 23, v6
	v_lshrrev_b32_e32 v8, 4, v8
	v_add_u32_e32 v7, 0x1000000, v5
	v_sub_u32_e32 v6, v8, v6
	v_ashrrev_i32_e32 v7, 8, v7
	v_add_u32_e32 v6, 0x3c000000, v6
	v_and_or_b32 v6, v7, s0, v6
	v_cmp_ne_u32_e32 vcc, 0, v5
	v_cndmask_b32_e32 v5, 0, v6, vcc
	s_brev_b32 s0, 1
	v_and_or_b32 v4, v4, s0, v5
	v_cvt_i32_f32_e32 v4, v4
.LBB380_317:
	s_mov_b64 s[0:1], 0
.LBB380_318:
	s_andn2_b64 vcc, exec, s[0:1]
	s_cbranch_vccnz .LBB380_320
; %bb.319:
	global_load_ubyte v4, v[2:3], off
	s_movk_i32 s0, 0x7f00
	s_brev_b32 s1, 16
	s_waitcnt vmcnt(0)
	v_lshlrev_b16_e32 v5, 8, v4
	v_lshlrev_b32_e32 v4, 25, v4
	v_lshrrev_b32_e32 v6, 4, v4
	v_and_or_b32 v7, v5, s0, 0.5
	v_or_b32_e32 v6, 0x70000000, v6
	v_add_f32_e32 v7, -0.5, v7
	v_mul_f32_e32 v6, 0x7800000, v6
	v_cmp_gt_u32_e32 vcc, s1, v4
	v_bfe_i32 v5, v5, 0, 16
	v_cndmask_b32_e32 v4, v6, v7, vcc
	s_brev_b32 s0, 1
	v_and_or_b32 v4, v5, s0, v4
	v_cvt_i32_f32_e32 v4, v4
.LBB380_320:
	s_mov_b64 s[40:41], 0
	s_mov_b64 s[0:1], -1
.LBB380_321:
	s_andn2_b64 vcc, exec, s[40:41]
	s_cbranch_vccnz .LBB380_334
; %bb.322:
	s_cmp_gt_i32 s48, 14
	s_cbranch_scc0 .LBB380_325
; %bb.323:
	s_cmp_eq_u32 s48, 15
	s_cbranch_scc0 .LBB380_328
; %bb.324:
	global_load_ushort v4, v[2:3], off
	s_mov_b64 s[0:1], -1
	s_mov_b64 s[42:43], 0
	s_waitcnt vmcnt(0)
	v_lshlrev_b32_e32 v4, 16, v4
	v_cvt_i32_f32_e32 v4, v4
	s_branch .LBB380_329
.LBB380_325:
	s_mov_b64 s[40:41], -1
                                        ; implicit-def: $vgpr4
	s_branch .LBB380_330
.LBB380_326:
	s_andn2_saveexec_b64 s[0:1], s[0:1]
	s_cbranch_execz .LBB380_307
.LBB380_327:
	v_cmp_ne_u16_e32 vcc, 0, v5
	s_andn2_b64 s[40:41], s[40:41], exec
	s_and_b64 s[52:53], vcc, exec
	s_or_b64 s[40:41], s[40:41], s[52:53]
	s_or_b64 exec, exec, s[0:1]
	v_mov_b32_e32 v4, 0
	s_and_saveexec_b64 s[0:1], s[40:41]
	s_cbranch_execnz .LBB380_308
	s_branch .LBB380_309
.LBB380_328:
	s_mov_b64 s[42:43], -1
                                        ; implicit-def: $vgpr4
.LBB380_329:
	s_mov_b64 s[40:41], 0
.LBB380_330:
	s_and_b64 vcc, exec, s[40:41]
	s_cbranch_vccz .LBB380_334
; %bb.331:
	s_cmp_eq_u32 s48, 11
	s_cbranch_scc0 .LBB380_333
; %bb.332:
	global_load_ubyte v4, v[2:3], off
	s_mov_b64 s[0:1], -1
	s_mov_b64 s[42:43], 0
	s_waitcnt vmcnt(0)
	v_cmp_ne_u16_e32 vcc, 0, v4
	v_cndmask_b32_e64 v4, 0, 1, vcc
	s_branch .LBB380_334
.LBB380_333:
	s_mov_b64 s[42:43], -1
                                        ; implicit-def: $vgpr4
.LBB380_334:
	s_branch .LBB380_31
.LBB380_335:
	s_and_b32 s14, 0xffff, s14
	s_cmp_lt_i32 s14, 5
	s_cbranch_scc1 .LBB380_340
; %bb.336:
	s_cmp_lt_i32 s14, 8
	s_cbranch_scc1 .LBB380_341
; %bb.337:
	;; [unrolled: 3-line block ×3, first 2 shown]
	s_cmp_gt_i32 s14, 9
	s_cbranch_scc0 .LBB380_343
; %bb.339:
	global_load_dwordx2 v[4:5], v[2:3], off
	s_mov_b64 s[0:1], 0
	s_waitcnt vmcnt(0)
	v_cvt_i32_f64_e32 v4, v[4:5]
	s_branch .LBB380_344
.LBB380_340:
	s_mov_b64 s[0:1], -1
                                        ; implicit-def: $vgpr4
	s_branch .LBB380_362
.LBB380_341:
	s_mov_b64 s[0:1], -1
                                        ; implicit-def: $vgpr4
	s_branch .LBB380_350
.LBB380_342:
	s_mov_b64 s[0:1], -1
                                        ; implicit-def: $vgpr4
	s_branch .LBB380_347
.LBB380_343:
	s_mov_b64 s[0:1], -1
                                        ; implicit-def: $vgpr4
.LBB380_344:
	s_andn2_b64 vcc, exec, s[0:1]
	s_cbranch_vccnz .LBB380_346
; %bb.345:
	global_load_dword v4, v[2:3], off
	s_waitcnt vmcnt(0)
	v_cvt_i32_f32_e32 v4, v4
.LBB380_346:
	s_mov_b64 s[0:1], 0
.LBB380_347:
	s_andn2_b64 vcc, exec, s[0:1]
	s_cbranch_vccnz .LBB380_349
; %bb.348:
	global_load_dword v4, v[2:3], off
	s_waitcnt vmcnt(0)
	v_cvt_i16_f16_e32 v4, v4
.LBB380_349:
	s_mov_b64 s[0:1], 0
.LBB380_350:
	s_andn2_b64 vcc, exec, s[0:1]
	s_cbranch_vccnz .LBB380_361
; %bb.351:
	s_cmp_lt_i32 s14, 6
	s_cbranch_scc1 .LBB380_354
; %bb.352:
	s_cmp_gt_i32 s14, 6
	s_cbranch_scc0 .LBB380_355
; %bb.353:
	global_load_dwordx2 v[4:5], v[2:3], off
	s_mov_b64 s[0:1], 0
	s_waitcnt vmcnt(0)
	v_cvt_i32_f64_e32 v4, v[4:5]
	s_branch .LBB380_356
.LBB380_354:
	s_mov_b64 s[0:1], -1
                                        ; implicit-def: $vgpr4
	s_branch .LBB380_359
.LBB380_355:
	s_mov_b64 s[0:1], -1
                                        ; implicit-def: $vgpr4
.LBB380_356:
	s_andn2_b64 vcc, exec, s[0:1]
	s_cbranch_vccnz .LBB380_358
; %bb.357:
	global_load_dword v4, v[2:3], off
	s_waitcnt vmcnt(0)
	v_cvt_i32_f32_e32 v4, v4
.LBB380_358:
	s_mov_b64 s[0:1], 0
.LBB380_359:
	s_andn2_b64 vcc, exec, s[0:1]
	s_cbranch_vccnz .LBB380_361
; %bb.360:
	global_load_ushort v4, v[2:3], off
	s_waitcnt vmcnt(0)
	v_cvt_i16_f16_e32 v4, v4
.LBB380_361:
	s_mov_b64 s[0:1], 0
.LBB380_362:
	s_andn2_b64 vcc, exec, s[0:1]
	s_cbranch_vccnz .LBB380_382
; %bb.363:
	s_cmp_lt_i32 s14, 2
	s_cbranch_scc1 .LBB380_367
; %bb.364:
	s_cmp_lt_i32 s14, 3
	s_cbranch_scc1 .LBB380_368
; %bb.365:
	s_cmp_gt_i32 s14, 3
	s_cbranch_scc0 .LBB380_369
; %bb.366:
	global_load_dwordx2 v[4:5], v[2:3], off
	s_mov_b64 s[0:1], 0
	s_branch .LBB380_370
.LBB380_367:
	s_mov_b64 s[0:1], -1
                                        ; implicit-def: $vgpr4
	s_branch .LBB380_376
.LBB380_368:
	s_mov_b64 s[0:1], -1
                                        ; implicit-def: $vgpr4
	s_branch .LBB380_373
.LBB380_369:
	s_mov_b64 s[0:1], -1
                                        ; implicit-def: $vgpr4
.LBB380_370:
	s_andn2_b64 vcc, exec, s[0:1]
	s_cbranch_vccnz .LBB380_372
; %bb.371:
	global_load_dword v4, v[2:3], off
.LBB380_372:
	s_mov_b64 s[0:1], 0
.LBB380_373:
	s_andn2_b64 vcc, exec, s[0:1]
	s_cbranch_vccnz .LBB380_375
; %bb.374:
	global_load_ushort v4, v[2:3], off
.LBB380_375:
	s_mov_b64 s[0:1], 0
.LBB380_376:
	s_andn2_b64 vcc, exec, s[0:1]
	s_cbranch_vccnz .LBB380_382
; %bb.377:
	s_cmp_gt_i32 s14, 0
	s_cbranch_scc0 .LBB380_379
; %bb.378:
	global_load_ubyte v4, v[2:3], off
	s_mov_b64 s[0:1], 0
	s_branch .LBB380_380
.LBB380_379:
	s_mov_b64 s[0:1], -1
                                        ; implicit-def: $vgpr4
.LBB380_380:
	s_andn2_b64 vcc, exec, s[0:1]
	s_cbranch_vccnz .LBB380_382
; %bb.381:
	global_load_ubyte v4, v[2:3], off
.LBB380_382:
	s_branch .LBB380_32
.LBB380_383:
	s_mov_b64 s[0:1], 0
.LBB380_384:
                                        ; implicit-def: $vgpr10
	s_mov_b64 s[48:49], 0
.LBB380_385:
	s_and_b64 s[40:41], s[0:1], exec
	s_and_b64 s[42:43], s[42:43], exec
	;; [unrolled: 1-line block ×3, first 2 shown]
	s_orn2_b64 s[0:1], s[48:49], exec
.LBB380_386:
	s_or_b64 exec, exec, s[46:47]
	s_mov_b64 s[54:55], 0
	s_mov_b64 s[52:53], 0
                                        ; implicit-def: $sgpr14
                                        ; implicit-def: $vgpr4_vgpr5
                                        ; implicit-def: $vgpr0
                                        ; implicit-def: $vgpr3
                                        ; implicit-def: $vgpr1
	s_and_saveexec_b64 s[46:47], s[0:1]
	s_cbranch_execz .LBB380_394
; %bb.387:
	v_cmp_gt_i32_e32 vcc, s70, v10
	s_mov_b64 s[0:1], -1
	s_mov_b64 s[48:49], s[44:45]
	s_mov_b64 s[50:51], s[42:43]
	;; [unrolled: 1-line block ×3, first 2 shown]
	s_and_saveexec_b64 s[54:55], vcc
	s_cbranch_execz .LBB380_779
; %bb.388:
	s_andn2_b64 vcc, exec, s[24:25]
	s_cbranch_vccnz .LBB380_397
; %bb.389:
	s_andn2_b64 vcc, exec, s[38:39]
	s_cbranch_vccnz .LBB380_398
; %bb.390:
	s_add_i32 s0, s75, 1
	s_and_b32 s14, s0, 30
	s_add_u32 s0, s2, 0xffffffe8
	s_addc_u32 s1, s3, -1
	v_mov_b32_e32 v3, 0
	s_waitcnt vmcnt(0)
	v_mov_b32_e32 v5, 0
	v_mov_b32_e32 v0, 0
	;; [unrolled: 1-line block ×3, first 2 shown]
.LBB380_391:                            ; =>This Inner Loop Header: Depth=1
	s_load_dwordx4 s[48:51], s[0:1], 0x1c
	s_load_dwordx2 s[52:53], s[0:1], 0x2c
	s_load_dwordx2 s[60:61], s[0:1], 0xec
	s_load_dwordx4 s[56:59], s[0:1], 0xdc
	s_add_u32 s0, s0, 24
	s_waitcnt lgkmcnt(0)
	v_mul_hi_u32 v2, s49, v1
	s_addc_u32 s1, s1, 0
	s_add_i32 s14, s14, -2
	s_cmp_eq_u32 s14, 0
	v_add_u32_e32 v2, v1, v2
	v_lshrrev_b32_e32 v2, s50, v2
	v_mul_lo_u32 v4, v2, s48
	v_mul_hi_u32 v6, s52, v2
	v_sub_u32_e32 v4, v1, v4
	v_add_u32_e32 v1, v2, v6
	v_lshrrev_b32_e32 v1, s53, v1
	v_mul_lo_u32 v8, v1, s51
	v_mul_lo_u32 v6, v4, s56
	;; [unrolled: 1-line block ×4, first 2 shown]
	v_sub_u32_e32 v2, v2, v8
	v_mul_lo_u32 v8, v2, s59
	v_mul_lo_u32 v9, v2, s60
	;; [unrolled: 1-line block ×3, first 2 shown]
	v_add3_u32 v0, v6, v0, v8
	v_add3_u32 v5, v7, v5, v9
	;; [unrolled: 1-line block ×3, first 2 shown]
	s_cbranch_scc0 .LBB380_391
; %bb.392:
	s_bitcmp1_b32 s75, 0
	s_cselect_b64 s[48:49], -1, 0
	s_and_b64 vcc, exec, s[48:49]
	s_cbranch_vccnz .LBB380_399
; %bb.393:
	s_load_dwordx2 s[48:49], s[0:1], 0x1c
	s_load_dword s14, s[0:1], 0x24
	s_load_dwordx2 s[50:51], s[0:1], 0xdc
	s_waitcnt lgkmcnt(0)
	v_mul_hi_u32 v2, s49, v1
	v_add_u32_e32 v2, v1, v2
	v_lshrrev_b32_e32 v2, s14, v2
	v_mul_lo_u32 v2, v2, s48
	s_load_dword s14, s[0:1], 0xe4
	v_sub_u32_e32 v2, v1, v2
	v_mad_u64_u32 v[0:1], s[0:1], v2, s50, v[0:1]
	v_mad_u64_u32 v[5:6], s[0:1], v2, s51, v[5:6]
	s_waitcnt lgkmcnt(0)
	v_mad_u64_u32 v[3:4], s[0:1], v2, s14, v[3:4]
	s_branch .LBB380_399
.LBB380_394:
	s_or_b64 exec, exec, s[46:47]
	s_mov_b64 s[10:11], 0
	s_and_saveexec_b64 s[0:1], s[44:45]
	s_cbranch_execnz .LBB380_1265
.LBB380_395:
	s_or_b64 exec, exec, s[0:1]
	s_and_saveexec_b64 s[0:1], s[50:51]
	s_xor_b64 s[0:1], exec, s[0:1]
	s_cbranch_execz .LBB380_1266
.LBB380_396:
	s_waitcnt vmcnt(0)
	global_load_ubyte v1, v[4:5], off
	s_or_b64 s[52:53], s[52:53], exec
	s_waitcnt vmcnt(0)
	v_cmp_ne_u16_e32 vcc, 0, v1
	v_cndmask_b32_e64 v1, 0, 1, vcc
	s_or_b64 exec, exec, s[0:1]
	s_and_saveexec_b64 s[0:1], s[54:55]
	s_cbranch_execz .LBB380_1312
	s_branch .LBB380_1267
.LBB380_397:
                                        ; implicit-def: $vgpr0
                                        ; implicit-def: $vgpr5
                                        ; implicit-def: $vgpr3
	s_andn2_b64 vcc, exec, s[0:1]
	s_cbranch_vccz .LBB380_400
	s_branch .LBB380_402
.LBB380_398:
	v_mov_b32_e32 v0, 0
	s_waitcnt vmcnt(0)
	v_mov_b32_e32 v5, 0
	v_mov_b32_e32 v3, 0
.LBB380_399:
	s_cbranch_execnz .LBB380_402
.LBB380_400:
	v_mul_hi_u32 v0, s17, v10
	s_andn2_b64 vcc, exec, s[36:37]
	v_add_u32_e32 v0, v10, v0
	s_waitcnt vmcnt(0)
	v_lshrrev_b32_e32 v1, s18, v0
	v_mul_lo_u32 v0, v1, s16
	v_sub_u32_e32 v2, v10, v0
	v_mul_lo_u32 v0, v2, s20
	v_mul_lo_u32 v5, v2, s21
	;; [unrolled: 1-line block ×3, first 2 shown]
	s_cbranch_vccnz .LBB380_402
; %bb.401:
	v_mul_hi_u32 v2, s34, v1
	v_add_u32_e32 v2, v1, v2
	v_lshrrev_b32_e32 v2, s35, v2
	v_mul_lo_u32 v2, v2, s19
	v_sub_u32_e32 v2, v1, v2
	v_mad_u64_u32 v[0:1], s[0:1], v2, s23, v[0:1]
	v_mad_u64_u32 v[5:6], s[0:1], v2, s30, v[5:6]
	;; [unrolled: 1-line block ×3, first 2 shown]
.LBB380_402:
	s_waitcnt vmcnt(0)
	v_mov_b32_e32 v1, s11
	s_and_b32 s14, s74, 0xff
	v_add_co_u32_e32 v4, vcc, s10, v5
	s_cmp_lt_i32 s14, 11
	v_addc_co_u32_e32 v5, vcc, 0, v1, vcc
	s_cbranch_scc1 .LBB380_409
; %bb.403:
	s_and_b32 s52, 0xffff, s14
	s_cmp_gt_i32 s52, 25
	s_cbranch_scc0 .LBB380_418
; %bb.404:
	s_cmp_gt_i32 s52, 28
	s_cbranch_scc0 .LBB380_420
; %bb.405:
	;; [unrolled: 3-line block ×4, first 2 shown]
	s_cmp_eq_u32 s52, 46
	s_mov_b64 s[50:51], 0
	s_cbranch_scc0 .LBB380_428
; %bb.408:
	global_load_dword v1, v[4:5], off
	s_mov_b64 s[0:1], -1
	s_mov_b64 s[48:49], 0
	s_waitcnt vmcnt(0)
	v_lshlrev_b32_e32 v1, 16, v1
	v_cvt_i32_f32_e32 v1, v1
	s_branch .LBB380_429
.LBB380_409:
	s_mov_b64 s[0:1], 0
                                        ; implicit-def: $vgpr1
	s_mov_b64 s[48:49], s[44:45]
	s_cbranch_execnz .LBB380_491
.LBB380_410:
	s_andn2_b64 vcc, exec, s[0:1]
	s_cbranch_vccnz .LBB380_539
.LBB380_411:
	v_mov_b32_e32 v4, s13
	s_and_b32 s14, s73, 0xff
	s_waitcnt vmcnt(0)
	v_add_co_u32_e32 v2, vcc, s12, v3
	s_cmp_lt_i32 s14, 11
	v_addc_co_u32_e32 v3, vcc, 0, v4, vcc
	s_cbranch_scc1 .LBB380_419
; %bb.412:
	s_and_b32 s56, 0xffff, s14
	s_cmp_gt_i32 s56, 25
	s_cbranch_scc0 .LBB380_421
; %bb.413:
	s_cmp_gt_i32 s56, 28
	s_cbranch_scc0 .LBB380_423
; %bb.414:
	;; [unrolled: 3-line block ×4, first 2 shown]
	s_cmp_eq_u32 s56, 46
	s_mov_b64 s[52:53], 0
	s_cbranch_scc0 .LBB380_543
; %bb.417:
	global_load_dword v4, v[2:3], off
	s_mov_b64 s[0:1], -1
	s_mov_b64 s[50:51], 0
	s_waitcnt vmcnt(0)
	v_lshlrev_b32_e32 v4, 16, v4
	v_cvt_i32_f32_e32 v4, v4
	s_branch .LBB380_544
.LBB380_418:
	s_mov_b64 s[50:51], -1
	s_mov_b64 s[0:1], 0
	s_mov_b64 s[48:49], s[44:45]
                                        ; implicit-def: $vgpr1
	s_branch .LBB380_457
.LBB380_419:
	s_mov_b64 s[52:53], -1
	s_mov_b64 s[0:1], 0
                                        ; implicit-def: $vgpr4
	s_mov_b64 s[50:51], s[42:43]
	s_branch .LBB380_605
.LBB380_420:
	s_mov_b64 s[50:51], -1
	s_mov_b64 s[0:1], 0
	s_mov_b64 s[48:49], s[44:45]
                                        ; implicit-def: $vgpr1
	s_branch .LBB380_440
.LBB380_421:
	s_mov_b64 s[52:53], -1
	s_mov_b64 s[0:1], 0
	s_mov_b64 s[50:51], s[42:43]
                                        ; implicit-def: $vgpr4
	s_branch .LBB380_571
.LBB380_422:
	s_mov_b64 s[50:51], -1
	s_mov_b64 s[0:1], 0
	s_mov_b64 s[48:49], s[44:45]
                                        ; implicit-def: $vgpr1
	s_branch .LBB380_435
.LBB380_423:
	s_mov_b64 s[52:53], -1
	s_mov_b64 s[0:1], 0
	s_mov_b64 s[50:51], s[42:43]
                                        ; implicit-def: $vgpr4
	s_branch .LBB380_554
.LBB380_424:
	s_mov_b64 s[50:51], -1
	s_mov_b64 s[0:1], 0
	s_mov_b64 s[48:49], s[44:45]
                                        ; implicit-def: $vgpr1
	s_branch .LBB380_429
.LBB380_425:
	s_mov_b64 s[52:53], -1
	s_mov_b64 s[0:1], 0
	s_mov_b64 s[50:51], s[42:43]
                                        ; implicit-def: $vgpr4
	s_branch .LBB380_549
.LBB380_426:
	s_andn2_saveexec_b64 s[54:55], s[54:55]
	s_cbranch_execz .LBB380_187
.LBB380_427:
	v_add_f32_e32 v2, 0x46000000, v3
	v_and_b32_e32 v2, 0xff, v2
	v_cmp_ne_u32_e32 vcc, 0, v2
	s_andn2_b64 s[52:53], s[52:53], exec
	s_and_b64 s[58:59], vcc, exec
	s_or_b64 s[52:53], s[52:53], s[58:59]
	s_or_b64 exec, exec, s[54:55]
	v_mov_b32_e32 v4, 0
	s_and_saveexec_b64 s[54:55], s[52:53]
	s_cbranch_execnz .LBB380_188
	s_branch .LBB380_189
.LBB380_428:
	s_mov_b64 s[48:49], -1
                                        ; implicit-def: $vgpr1
	s_mov_b64 s[0:1], 0
.LBB380_429:
	s_and_b64 vcc, exec, s[50:51]
	s_cbranch_vccz .LBB380_434
; %bb.430:
	s_cmp_eq_u32 s52, 44
	s_cbranch_scc0 .LBB380_433
; %bb.431:
	global_load_ubyte v1, v[4:5], off
	s_mov_b64 s[0:1], -1
	s_mov_b64 s[48:49], 0
	s_waitcnt vmcnt(0)
	v_lshlrev_b32_e32 v2, 23, v1
	v_cvt_i32_f32_e32 v2, v2
	v_cmp_ne_u32_e32 vcc, 0, v1
	v_cndmask_b32_e32 v1, 0, v2, vcc
	s_branch .LBB380_434
.LBB380_432:
	s_mov_b64 s[52:53], -1
	s_mov_b64 s[0:1], 0
	s_mov_b64 s[50:51], s[42:43]
                                        ; implicit-def: $vgpr4
	s_branch .LBB380_544
.LBB380_433:
	s_mov_b64 s[48:49], -1
                                        ; implicit-def: $vgpr1
.LBB380_434:
	s_mov_b64 s[50:51], 0
.LBB380_435:
	s_and_b64 vcc, exec, s[50:51]
	s_cbranch_vccz .LBB380_439
; %bb.436:
	s_cmp_eq_u32 s52, 29
	s_cbranch_scc0 .LBB380_438
; %bb.437:
	global_load_dwordx2 v[1:2], v[4:5], off
	s_mov_b64 s[0:1], -1
	s_mov_b64 s[48:49], 0
	s_branch .LBB380_439
.LBB380_438:
	s_mov_b64 s[48:49], -1
                                        ; implicit-def: $vgpr1
.LBB380_439:
	s_mov_b64 s[50:51], 0
.LBB380_440:
	s_and_b64 vcc, exec, s[50:51]
	s_cbranch_vccz .LBB380_456
; %bb.441:
	s_cmp_lt_i32 s52, 27
	s_cbranch_scc1 .LBB380_444
; %bb.442:
	s_cmp_gt_i32 s52, 27
	s_cbranch_scc0 .LBB380_445
; %bb.443:
	global_load_dword v1, v[4:5], off
	s_mov_b64 s[0:1], 0
	s_branch .LBB380_446
.LBB380_444:
	s_mov_b64 s[0:1], -1
                                        ; implicit-def: $vgpr1
	s_branch .LBB380_449
.LBB380_445:
	s_mov_b64 s[0:1], -1
                                        ; implicit-def: $vgpr1
.LBB380_446:
	s_andn2_b64 vcc, exec, s[0:1]
	s_cbranch_vccnz .LBB380_448
; %bb.447:
	global_load_ushort v1, v[4:5], off
.LBB380_448:
	s_mov_b64 s[0:1], 0
.LBB380_449:
	s_andn2_b64 vcc, exec, s[0:1]
	s_cbranch_vccnz .LBB380_455
; %bb.450:
	global_load_ubyte v2, v[4:5], off
	s_movk_i32 s0, 0x7f
	s_mov_b64 s[50:51], 0
	s_waitcnt vmcnt(0)
	v_cmp_lt_i16_e32 vcc, s0, v2
	s_and_saveexec_b64 s[0:1], vcc
	s_xor_b64 s[0:1], exec, s[0:1]
	s_cbranch_execz .LBB380_467
; %bb.451:
	s_movk_i32 s50, 0x80
	v_cmp_ne_u16_e32 vcc, s50, v2
	s_and_b64 s[50:51], vcc, exec
	s_andn2_saveexec_b64 s[0:1], s[0:1]
	s_cbranch_execnz .LBB380_468
.LBB380_452:
	s_or_b64 exec, exec, s[0:1]
	v_mov_b32_e32 v1, 0
	s_and_saveexec_b64 s[0:1], s[50:51]
	s_cbranch_execz .LBB380_454
.LBB380_453:
	v_lshlrev_b32_e32 v1, 24, v2
	v_and_b32_e32 v2, 0xffff, v2
	v_and_b32_e32 v6, 7, v2
	v_ffbh_u32_e32 v8, v6
	v_min_u32_e32 v8, 32, v8
	v_subrev_u32_e32 v9, 28, v8
	v_bfe_u32 v7, v2, 3, 4
	v_lshlrev_b32_e32 v2, v9, v2
	v_sub_u32_e32 v8, 29, v8
	v_and_b32_e32 v2, 7, v2
	v_cmp_eq_u32_e32 vcc, 0, v7
	v_cndmask_b32_e32 v7, v7, v8, vcc
	v_cndmask_b32_e32 v2, v6, v2, vcc
	v_mov_b32_e32 v6, 0x3b800000
	v_lshlrev_b32_e32 v2, 20, v2
	v_and_b32_e32 v1, 0x80000000, v1
	v_lshl_add_u32 v6, v7, 23, v6
	v_or3_b32 v1, v1, v6, v2
	v_cvt_i32_f32_e32 v1, v1
.LBB380_454:
	s_or_b64 exec, exec, s[0:1]
.LBB380_455:
	s_mov_b64 s[0:1], -1
.LBB380_456:
	s_mov_b64 s[50:51], 0
.LBB380_457:
	s_and_b64 vcc, exec, s[50:51]
	s_cbranch_vccz .LBB380_490
; %bb.458:
	s_cmp_gt_i32 s52, 22
	s_cbranch_scc0 .LBB380_466
; %bb.459:
	s_cmp_lt_i32 s52, 24
	s_cbranch_scc1 .LBB380_469
; %bb.460:
	s_cmp_gt_i32 s52, 24
	s_cbranch_scc0 .LBB380_470
; %bb.461:
	global_load_ubyte v2, v[4:5], off
	s_movk_i32 s0, 0x7f
	s_mov_b64 s[50:51], 0
	s_waitcnt vmcnt(0)
	v_cmp_lt_i16_e32 vcc, s0, v2
	s_and_saveexec_b64 s[0:1], vcc
	s_xor_b64 s[0:1], exec, s[0:1]
	s_cbranch_execz .LBB380_482
; %bb.462:
	s_movk_i32 s50, 0x80
	v_cmp_ne_u16_e32 vcc, s50, v2
	s_and_b64 s[50:51], vcc, exec
	s_andn2_saveexec_b64 s[0:1], s[0:1]
	s_cbranch_execnz .LBB380_483
.LBB380_463:
	s_or_b64 exec, exec, s[0:1]
	v_mov_b32_e32 v1, 0
	s_and_saveexec_b64 s[0:1], s[50:51]
	s_cbranch_execz .LBB380_465
.LBB380_464:
	v_lshlrev_b32_e32 v1, 24, v2
	v_and_b32_e32 v2, 0xffff, v2
	v_and_b32_e32 v6, 3, v2
	v_ffbh_u32_e32 v8, v6
	v_min_u32_e32 v8, 32, v8
	v_subrev_u32_e32 v9, 29, v8
	v_bfe_u32 v7, v2, 2, 5
	v_lshlrev_b32_e32 v2, v9, v2
	v_sub_u32_e32 v8, 30, v8
	v_and_b32_e32 v2, 3, v2
	v_cmp_eq_u32_e32 vcc, 0, v7
	v_cndmask_b32_e32 v7, v7, v8, vcc
	v_cndmask_b32_e32 v2, v6, v2, vcc
	v_mov_b32_e32 v6, 0x37800000
	v_lshlrev_b32_e32 v2, 21, v2
	v_and_b32_e32 v1, 0x80000000, v1
	v_lshl_add_u32 v6, v7, 23, v6
	v_or3_b32 v1, v1, v6, v2
	v_cvt_i32_f32_e32 v1, v1
.LBB380_465:
	s_or_b64 exec, exec, s[0:1]
	s_mov_b64 s[0:1], 0
	s_branch .LBB380_471
.LBB380_466:
	s_mov_b64 s[50:51], -1
                                        ; implicit-def: $vgpr1
	s_branch .LBB380_477
.LBB380_467:
	s_andn2_saveexec_b64 s[0:1], s[0:1]
	s_cbranch_execz .LBB380_452
.LBB380_468:
	v_cmp_ne_u16_e32 vcc, 0, v2
	s_andn2_b64 s[50:51], s[50:51], exec
	s_and_b64 s[56:57], vcc, exec
	s_or_b64 s[50:51], s[50:51], s[56:57]
	s_or_b64 exec, exec, s[0:1]
	v_mov_b32_e32 v1, 0
	s_and_saveexec_b64 s[0:1], s[50:51]
	s_cbranch_execnz .LBB380_453
	s_branch .LBB380_454
.LBB380_469:
	s_mov_b64 s[0:1], -1
                                        ; implicit-def: $vgpr1
	s_branch .LBB380_474
.LBB380_470:
	s_mov_b64 s[0:1], -1
                                        ; implicit-def: $vgpr1
.LBB380_471:
	s_and_b64 vcc, exec, s[0:1]
	s_cbranch_vccz .LBB380_473
; %bb.472:
	global_load_ubyte v1, v[4:5], off
	s_mov_b32 s0, 0x7f800000
	s_waitcnt vmcnt(0)
	v_lshlrev_b32_e32 v1, 24, v1
	v_and_b32_e32 v2, 0x7f000000, v1
	v_ffbh_u32_e32 v6, v2
	v_min_u32_e32 v6, 32, v6
	v_sub_u32_e64 v6, v6, 4 clamp
	v_lshlrev_b32_e32 v8, v6, v2
	v_lshlrev_b32_e32 v6, 23, v6
	v_lshrrev_b32_e32 v8, 4, v8
	v_add_u32_e32 v7, 0x1000000, v2
	v_sub_u32_e32 v6, v8, v6
	v_ashrrev_i32_e32 v7, 8, v7
	v_add_u32_e32 v6, 0x3c000000, v6
	v_and_or_b32 v6, v7, s0, v6
	v_cmp_ne_u32_e32 vcc, 0, v2
	v_cndmask_b32_e32 v2, 0, v6, vcc
	s_brev_b32 s0, 1
	v_and_or_b32 v1, v1, s0, v2
	v_cvt_i32_f32_e32 v1, v1
.LBB380_473:
	s_mov_b64 s[0:1], 0
.LBB380_474:
	s_andn2_b64 vcc, exec, s[0:1]
	s_cbranch_vccnz .LBB380_476
; %bb.475:
	global_load_ubyte v1, v[4:5], off
	s_movk_i32 s0, 0x7f00
	s_brev_b32 s1, 16
	s_waitcnt vmcnt(0)
	v_lshlrev_b16_e32 v2, 8, v1
	v_lshlrev_b32_e32 v1, 25, v1
	v_lshrrev_b32_e32 v6, 4, v1
	v_and_or_b32 v7, v2, s0, 0.5
	v_or_b32_e32 v6, 0x70000000, v6
	v_add_f32_e32 v7, -0.5, v7
	v_mul_f32_e32 v6, 0x7800000, v6
	v_cmp_gt_u32_e32 vcc, s1, v1
	v_bfe_i32 v2, v2, 0, 16
	v_cndmask_b32_e32 v1, v6, v7, vcc
	s_brev_b32 s0, 1
	v_and_or_b32 v1, v2, s0, v1
	v_cvt_i32_f32_e32 v1, v1
.LBB380_476:
	s_mov_b64 s[50:51], 0
	s_mov_b64 s[0:1], -1
.LBB380_477:
	s_andn2_b64 vcc, exec, s[50:51]
	s_cbranch_vccnz .LBB380_490
; %bb.478:
	s_cmp_gt_i32 s52, 14
	s_cbranch_scc0 .LBB380_481
; %bb.479:
	s_cmp_eq_u32 s52, 15
	s_cbranch_scc0 .LBB380_484
; %bb.480:
	global_load_ushort v1, v[4:5], off
	s_mov_b64 s[0:1], -1
	s_mov_b64 s[48:49], 0
	s_waitcnt vmcnt(0)
	v_lshlrev_b32_e32 v1, 16, v1
	v_cvt_i32_f32_e32 v1, v1
	s_branch .LBB380_485
.LBB380_481:
	s_mov_b64 s[50:51], -1
                                        ; implicit-def: $vgpr1
	s_branch .LBB380_486
.LBB380_482:
	s_andn2_saveexec_b64 s[0:1], s[0:1]
	s_cbranch_execz .LBB380_463
.LBB380_483:
	v_cmp_ne_u16_e32 vcc, 0, v2
	s_andn2_b64 s[50:51], s[50:51], exec
	s_and_b64 s[56:57], vcc, exec
	s_or_b64 s[50:51], s[50:51], s[56:57]
	s_or_b64 exec, exec, s[0:1]
	v_mov_b32_e32 v1, 0
	s_and_saveexec_b64 s[0:1], s[50:51]
	s_cbranch_execnz .LBB380_464
	s_branch .LBB380_465
.LBB380_484:
	s_mov_b64 s[48:49], -1
                                        ; implicit-def: $vgpr1
.LBB380_485:
	s_mov_b64 s[50:51], 0
.LBB380_486:
	s_and_b64 vcc, exec, s[50:51]
	s_cbranch_vccz .LBB380_490
; %bb.487:
	s_cmp_eq_u32 s52, 11
	s_cbranch_scc0 .LBB380_489
; %bb.488:
	global_load_ubyte v1, v[4:5], off
	s_mov_b64 s[0:1], -1
	s_mov_b64 s[48:49], 0
	s_waitcnt vmcnt(0)
	v_cmp_ne_u16_e32 vcc, 0, v1
	v_cndmask_b32_e64 v1, 0, 1, vcc
	s_branch .LBB380_490
.LBB380_489:
	s_mov_b64 s[48:49], -1
                                        ; implicit-def: $vgpr1
.LBB380_490:
	s_branch .LBB380_410
.LBB380_491:
	s_and_b32 s14, 0xffff, s14
	s_cmp_lt_i32 s14, 5
	s_cbranch_scc1 .LBB380_496
; %bb.492:
	s_cmp_lt_i32 s14, 8
	s_cbranch_scc1 .LBB380_497
; %bb.493:
	;; [unrolled: 3-line block ×3, first 2 shown]
	s_cmp_gt_i32 s14, 9
	s_cbranch_scc0 .LBB380_499
; %bb.495:
	global_load_dwordx2 v[1:2], v[4:5], off
	s_mov_b64 s[0:1], 0
	s_waitcnt vmcnt(0)
	v_cvt_i32_f64_e32 v1, v[1:2]
	s_branch .LBB380_500
.LBB380_496:
	s_mov_b64 s[0:1], -1
                                        ; implicit-def: $vgpr1
	s_branch .LBB380_518
.LBB380_497:
	s_mov_b64 s[0:1], -1
                                        ; implicit-def: $vgpr1
	s_branch .LBB380_506
.LBB380_498:
	s_mov_b64 s[0:1], -1
                                        ; implicit-def: $vgpr1
	s_branch .LBB380_503
.LBB380_499:
	s_mov_b64 s[0:1], -1
                                        ; implicit-def: $vgpr1
.LBB380_500:
	s_andn2_b64 vcc, exec, s[0:1]
	s_cbranch_vccnz .LBB380_502
; %bb.501:
	global_load_dword v1, v[4:5], off
	s_waitcnt vmcnt(0)
	v_cvt_i32_f32_e32 v1, v1
.LBB380_502:
	s_mov_b64 s[0:1], 0
.LBB380_503:
	s_andn2_b64 vcc, exec, s[0:1]
	s_cbranch_vccnz .LBB380_505
; %bb.504:
	global_load_dword v1, v[4:5], off
	s_waitcnt vmcnt(0)
	v_cvt_i16_f16_e32 v1, v1
.LBB380_505:
	s_mov_b64 s[0:1], 0
.LBB380_506:
	s_andn2_b64 vcc, exec, s[0:1]
	s_cbranch_vccnz .LBB380_517
; %bb.507:
	s_cmp_lt_i32 s14, 6
	s_cbranch_scc1 .LBB380_510
; %bb.508:
	s_cmp_gt_i32 s14, 6
	s_cbranch_scc0 .LBB380_511
; %bb.509:
	global_load_dwordx2 v[1:2], v[4:5], off
	s_mov_b64 s[0:1], 0
	s_waitcnt vmcnt(0)
	v_cvt_i32_f64_e32 v1, v[1:2]
	s_branch .LBB380_512
.LBB380_510:
	s_mov_b64 s[0:1], -1
                                        ; implicit-def: $vgpr1
	s_branch .LBB380_515
.LBB380_511:
	s_mov_b64 s[0:1], -1
                                        ; implicit-def: $vgpr1
.LBB380_512:
	s_andn2_b64 vcc, exec, s[0:1]
	s_cbranch_vccnz .LBB380_514
; %bb.513:
	global_load_dword v1, v[4:5], off
	s_waitcnt vmcnt(0)
	v_cvt_i32_f32_e32 v1, v1
.LBB380_514:
	s_mov_b64 s[0:1], 0
.LBB380_515:
	s_andn2_b64 vcc, exec, s[0:1]
	s_cbranch_vccnz .LBB380_517
; %bb.516:
	global_load_ushort v1, v[4:5], off
	s_waitcnt vmcnt(0)
	v_cvt_i16_f16_e32 v1, v1
.LBB380_517:
	s_mov_b64 s[0:1], 0
.LBB380_518:
	s_andn2_b64 vcc, exec, s[0:1]
	s_cbranch_vccnz .LBB380_538
; %bb.519:
	s_cmp_lt_i32 s14, 2
	s_cbranch_scc1 .LBB380_523
; %bb.520:
	s_cmp_lt_i32 s14, 3
	s_cbranch_scc1 .LBB380_524
; %bb.521:
	s_cmp_gt_i32 s14, 3
	s_cbranch_scc0 .LBB380_525
; %bb.522:
	global_load_dwordx2 v[1:2], v[4:5], off
	s_mov_b64 s[0:1], 0
	s_branch .LBB380_526
.LBB380_523:
	s_mov_b64 s[0:1], -1
                                        ; implicit-def: $vgpr1
	s_branch .LBB380_532
.LBB380_524:
	s_mov_b64 s[0:1], -1
                                        ; implicit-def: $vgpr1
	s_branch .LBB380_529
.LBB380_525:
	s_mov_b64 s[0:1], -1
                                        ; implicit-def: $vgpr1
.LBB380_526:
	s_andn2_b64 vcc, exec, s[0:1]
	s_cbranch_vccnz .LBB380_528
; %bb.527:
	global_load_dword v1, v[4:5], off
.LBB380_528:
	s_mov_b64 s[0:1], 0
.LBB380_529:
	s_andn2_b64 vcc, exec, s[0:1]
	s_cbranch_vccnz .LBB380_531
; %bb.530:
	global_load_ushort v1, v[4:5], off
.LBB380_531:
	s_mov_b64 s[0:1], 0
.LBB380_532:
	s_andn2_b64 vcc, exec, s[0:1]
	s_cbranch_vccnz .LBB380_538
; %bb.533:
	s_cmp_gt_i32 s14, 0
	s_cbranch_scc0 .LBB380_535
; %bb.534:
	global_load_ubyte v1, v[4:5], off
	s_mov_b64 s[0:1], 0
	s_branch .LBB380_536
.LBB380_535:
	s_mov_b64 s[0:1], -1
                                        ; implicit-def: $vgpr1
.LBB380_536:
	s_andn2_b64 vcc, exec, s[0:1]
	s_cbranch_vccnz .LBB380_538
; %bb.537:
	global_load_ubyte v1, v[4:5], off
.LBB380_538:
	s_branch .LBB380_411
.LBB380_539:
	s_mov_b64 s[56:57], 0
	s_mov_b64 s[0:1], s[40:41]
	;; [unrolled: 1-line block ×3, first 2 shown]
.LBB380_540:
                                        ; implicit-def: $vgpr10
	s_branch .LBB380_778
.LBB380_541:
	s_andn2_saveexec_b64 s[54:55], s[54:55]
	s_cbranch_execz .LBB380_200
.LBB380_542:
	v_add_f32_e32 v2, 0x42800000, v3
	v_and_b32_e32 v2, 0xff, v2
	v_cmp_ne_u32_e32 vcc, 0, v2
	s_andn2_b64 s[52:53], s[52:53], exec
	s_and_b64 s[58:59], vcc, exec
	s_or_b64 s[52:53], s[52:53], s[58:59]
	s_or_b64 exec, exec, s[54:55]
	v_mov_b32_e32 v4, 0
	s_and_saveexec_b64 s[54:55], s[52:53]
	s_cbranch_execnz .LBB380_201
	s_branch .LBB380_202
.LBB380_543:
	s_mov_b64 s[50:51], -1
                                        ; implicit-def: $vgpr4
	s_mov_b64 s[0:1], 0
.LBB380_544:
	s_and_b64 vcc, exec, s[52:53]
	s_cbranch_vccz .LBB380_548
; %bb.545:
	s_cmp_eq_u32 s56, 44
	s_cbranch_scc0 .LBB380_547
; %bb.546:
	global_load_ubyte v4, v[2:3], off
	s_mov_b64 s[0:1], -1
	s_mov_b64 s[50:51], 0
	s_waitcnt vmcnt(0)
	v_lshlrev_b32_e32 v5, 23, v4
	v_cvt_i32_f32_e32 v5, v5
	v_cmp_ne_u32_e32 vcc, 0, v4
	v_cndmask_b32_e32 v4, 0, v5, vcc
	s_branch .LBB380_548
.LBB380_547:
	s_mov_b64 s[50:51], -1
                                        ; implicit-def: $vgpr4
.LBB380_548:
	s_mov_b64 s[52:53], 0
.LBB380_549:
	s_and_b64 vcc, exec, s[52:53]
	s_cbranch_vccz .LBB380_553
; %bb.550:
	s_cmp_eq_u32 s56, 29
	s_cbranch_scc0 .LBB380_552
; %bb.551:
	global_load_dwordx2 v[4:5], v[2:3], off
	s_mov_b64 s[0:1], -1
	s_mov_b64 s[50:51], 0
	s_branch .LBB380_553
.LBB380_552:
	s_mov_b64 s[50:51], -1
                                        ; implicit-def: $vgpr4
.LBB380_553:
	s_mov_b64 s[52:53], 0
.LBB380_554:
	s_and_b64 vcc, exec, s[52:53]
	s_cbranch_vccz .LBB380_570
; %bb.555:
	s_cmp_lt_i32 s56, 27
	s_cbranch_scc1 .LBB380_558
; %bb.556:
	s_cmp_gt_i32 s56, 27
	s_cbranch_scc0 .LBB380_559
; %bb.557:
	global_load_dword v4, v[2:3], off
	s_mov_b64 s[0:1], 0
	s_branch .LBB380_560
.LBB380_558:
	s_mov_b64 s[0:1], -1
                                        ; implicit-def: $vgpr4
	s_branch .LBB380_563
.LBB380_559:
	s_mov_b64 s[0:1], -1
                                        ; implicit-def: $vgpr4
.LBB380_560:
	s_andn2_b64 vcc, exec, s[0:1]
	s_cbranch_vccnz .LBB380_562
; %bb.561:
	global_load_ushort v4, v[2:3], off
.LBB380_562:
	s_mov_b64 s[0:1], 0
.LBB380_563:
	s_andn2_b64 vcc, exec, s[0:1]
	s_cbranch_vccnz .LBB380_569
; %bb.564:
	global_load_ubyte v5, v[2:3], off
	s_movk_i32 s0, 0x7f
	s_mov_b64 s[52:53], 0
	s_waitcnt vmcnt(0)
	v_cmp_lt_i16_e32 vcc, s0, v5
	s_and_saveexec_b64 s[0:1], vcc
	s_xor_b64 s[0:1], exec, s[0:1]
	s_cbranch_execz .LBB380_581
; %bb.565:
	s_movk_i32 s52, 0x80
	v_cmp_ne_u16_e32 vcc, s52, v5
	s_and_b64 s[52:53], vcc, exec
	s_andn2_saveexec_b64 s[0:1], s[0:1]
	s_cbranch_execnz .LBB380_582
.LBB380_566:
	s_or_b64 exec, exec, s[0:1]
	v_mov_b32_e32 v4, 0
	s_and_saveexec_b64 s[0:1], s[52:53]
	s_cbranch_execz .LBB380_568
.LBB380_567:
	v_lshlrev_b32_e32 v4, 24, v5
	v_and_b32_e32 v5, 0xffff, v5
	v_and_b32_e32 v6, 7, v5
	v_ffbh_u32_e32 v8, v6
	v_min_u32_e32 v8, 32, v8
	v_subrev_u32_e32 v9, 28, v8
	v_bfe_u32 v7, v5, 3, 4
	v_lshlrev_b32_e32 v5, v9, v5
	v_sub_u32_e32 v8, 29, v8
	v_and_b32_e32 v5, 7, v5
	v_cmp_eq_u32_e32 vcc, 0, v7
	v_cndmask_b32_e32 v7, v7, v8, vcc
	v_cndmask_b32_e32 v5, v6, v5, vcc
	v_mov_b32_e32 v6, 0x3b800000
	v_lshlrev_b32_e32 v5, 20, v5
	v_and_b32_e32 v4, 0x80000000, v4
	v_lshl_add_u32 v6, v7, 23, v6
	v_or3_b32 v4, v4, v6, v5
	v_cvt_i32_f32_e32 v4, v4
.LBB380_568:
	s_or_b64 exec, exec, s[0:1]
.LBB380_569:
	s_mov_b64 s[0:1], -1
.LBB380_570:
	s_mov_b64 s[52:53], 0
.LBB380_571:
	s_and_b64 vcc, exec, s[52:53]
	s_cbranch_vccz .LBB380_604
; %bb.572:
	s_cmp_gt_i32 s56, 22
	s_cbranch_scc0 .LBB380_580
; %bb.573:
	s_cmp_lt_i32 s56, 24
	s_cbranch_scc1 .LBB380_583
; %bb.574:
	s_cmp_gt_i32 s56, 24
	s_cbranch_scc0 .LBB380_584
; %bb.575:
	global_load_ubyte v5, v[2:3], off
	s_movk_i32 s0, 0x7f
	s_mov_b64 s[52:53], 0
	s_waitcnt vmcnt(0)
	v_cmp_lt_i16_e32 vcc, s0, v5
	s_and_saveexec_b64 s[0:1], vcc
	s_xor_b64 s[0:1], exec, s[0:1]
	s_cbranch_execz .LBB380_596
; %bb.576:
	s_movk_i32 s52, 0x80
	v_cmp_ne_u16_e32 vcc, s52, v5
	s_and_b64 s[52:53], vcc, exec
	s_andn2_saveexec_b64 s[0:1], s[0:1]
	s_cbranch_execnz .LBB380_597
.LBB380_577:
	s_or_b64 exec, exec, s[0:1]
	v_mov_b32_e32 v4, 0
	s_and_saveexec_b64 s[0:1], s[52:53]
	s_cbranch_execz .LBB380_579
.LBB380_578:
	v_lshlrev_b32_e32 v4, 24, v5
	v_and_b32_e32 v5, 0xffff, v5
	v_and_b32_e32 v6, 3, v5
	v_ffbh_u32_e32 v8, v6
	v_min_u32_e32 v8, 32, v8
	v_subrev_u32_e32 v9, 29, v8
	v_bfe_u32 v7, v5, 2, 5
	v_lshlrev_b32_e32 v5, v9, v5
	v_sub_u32_e32 v8, 30, v8
	v_and_b32_e32 v5, 3, v5
	v_cmp_eq_u32_e32 vcc, 0, v7
	v_cndmask_b32_e32 v7, v7, v8, vcc
	v_cndmask_b32_e32 v5, v6, v5, vcc
	v_mov_b32_e32 v6, 0x37800000
	v_lshlrev_b32_e32 v5, 21, v5
	v_and_b32_e32 v4, 0x80000000, v4
	v_lshl_add_u32 v6, v7, 23, v6
	v_or3_b32 v4, v4, v6, v5
	v_cvt_i32_f32_e32 v4, v4
.LBB380_579:
	s_or_b64 exec, exec, s[0:1]
	s_mov_b64 s[0:1], 0
	s_branch .LBB380_585
.LBB380_580:
	s_mov_b64 s[52:53], -1
                                        ; implicit-def: $vgpr4
	s_branch .LBB380_591
.LBB380_581:
	s_andn2_saveexec_b64 s[0:1], s[0:1]
	s_cbranch_execz .LBB380_566
.LBB380_582:
	v_cmp_ne_u16_e32 vcc, 0, v5
	s_andn2_b64 s[52:53], s[52:53], exec
	s_and_b64 s[58:59], vcc, exec
	s_or_b64 s[52:53], s[52:53], s[58:59]
	s_or_b64 exec, exec, s[0:1]
	v_mov_b32_e32 v4, 0
	s_and_saveexec_b64 s[0:1], s[52:53]
	s_cbranch_execnz .LBB380_567
	s_branch .LBB380_568
.LBB380_583:
	s_mov_b64 s[0:1], -1
                                        ; implicit-def: $vgpr4
	s_branch .LBB380_588
.LBB380_584:
	s_mov_b64 s[0:1], -1
                                        ; implicit-def: $vgpr4
.LBB380_585:
	s_and_b64 vcc, exec, s[0:1]
	s_cbranch_vccz .LBB380_587
; %bb.586:
	global_load_ubyte v4, v[2:3], off
	s_mov_b32 s0, 0x7f800000
	s_waitcnt vmcnt(0)
	v_lshlrev_b32_e32 v4, 24, v4
	v_and_b32_e32 v5, 0x7f000000, v4
	v_ffbh_u32_e32 v6, v5
	v_min_u32_e32 v6, 32, v6
	v_sub_u32_e64 v6, v6, 4 clamp
	v_lshlrev_b32_e32 v8, v6, v5
	v_lshlrev_b32_e32 v6, 23, v6
	v_lshrrev_b32_e32 v8, 4, v8
	v_add_u32_e32 v7, 0x1000000, v5
	v_sub_u32_e32 v6, v8, v6
	v_ashrrev_i32_e32 v7, 8, v7
	v_add_u32_e32 v6, 0x3c000000, v6
	v_and_or_b32 v6, v7, s0, v6
	v_cmp_ne_u32_e32 vcc, 0, v5
	v_cndmask_b32_e32 v5, 0, v6, vcc
	s_brev_b32 s0, 1
	v_and_or_b32 v4, v4, s0, v5
	v_cvt_i32_f32_e32 v4, v4
.LBB380_587:
	s_mov_b64 s[0:1], 0
.LBB380_588:
	s_andn2_b64 vcc, exec, s[0:1]
	s_cbranch_vccnz .LBB380_590
; %bb.589:
	global_load_ubyte v4, v[2:3], off
	s_movk_i32 s0, 0x7f00
	s_brev_b32 s1, 16
	s_waitcnt vmcnt(0)
	v_lshlrev_b16_e32 v5, 8, v4
	v_lshlrev_b32_e32 v4, 25, v4
	v_lshrrev_b32_e32 v6, 4, v4
	v_and_or_b32 v7, v5, s0, 0.5
	v_or_b32_e32 v6, 0x70000000, v6
	v_add_f32_e32 v7, -0.5, v7
	v_mul_f32_e32 v6, 0x7800000, v6
	v_cmp_gt_u32_e32 vcc, s1, v4
	v_bfe_i32 v5, v5, 0, 16
	v_cndmask_b32_e32 v4, v6, v7, vcc
	s_brev_b32 s0, 1
	v_and_or_b32 v4, v5, s0, v4
	v_cvt_i32_f32_e32 v4, v4
.LBB380_590:
	s_mov_b64 s[52:53], 0
	s_mov_b64 s[0:1], -1
.LBB380_591:
	s_andn2_b64 vcc, exec, s[52:53]
	s_cbranch_vccnz .LBB380_604
; %bb.592:
	s_cmp_gt_i32 s56, 14
	s_cbranch_scc0 .LBB380_595
; %bb.593:
	s_cmp_eq_u32 s56, 15
	s_cbranch_scc0 .LBB380_598
; %bb.594:
	global_load_ushort v4, v[2:3], off
	s_mov_b64 s[0:1], -1
	s_mov_b64 s[50:51], 0
	s_waitcnt vmcnt(0)
	v_lshlrev_b32_e32 v4, 16, v4
	v_cvt_i32_f32_e32 v4, v4
	s_branch .LBB380_599
.LBB380_595:
	s_mov_b64 s[52:53], -1
                                        ; implicit-def: $vgpr4
	s_branch .LBB380_600
.LBB380_596:
	s_andn2_saveexec_b64 s[0:1], s[0:1]
	s_cbranch_execz .LBB380_577
.LBB380_597:
	v_cmp_ne_u16_e32 vcc, 0, v5
	s_andn2_b64 s[52:53], s[52:53], exec
	s_and_b64 s[58:59], vcc, exec
	s_or_b64 s[52:53], s[52:53], s[58:59]
	s_or_b64 exec, exec, s[0:1]
	v_mov_b32_e32 v4, 0
	s_and_saveexec_b64 s[0:1], s[52:53]
	s_cbranch_execnz .LBB380_578
	s_branch .LBB380_579
.LBB380_598:
	s_mov_b64 s[50:51], -1
                                        ; implicit-def: $vgpr4
.LBB380_599:
	s_mov_b64 s[52:53], 0
.LBB380_600:
	s_and_b64 vcc, exec, s[52:53]
	s_cbranch_vccz .LBB380_604
; %bb.601:
	s_cmp_eq_u32 s56, 11
	s_cbranch_scc0 .LBB380_603
; %bb.602:
	global_load_ubyte v4, v[2:3], off
	s_mov_b64 s[0:1], -1
	s_mov_b64 s[50:51], 0
	s_waitcnt vmcnt(0)
	v_cmp_ne_u16_e32 vcc, 0, v4
	v_cndmask_b32_e64 v4, 0, 1, vcc
	s_branch .LBB380_604
.LBB380_603:
	s_mov_b64 s[50:51], -1
                                        ; implicit-def: $vgpr4
.LBB380_604:
	s_mov_b64 s[52:53], 0
.LBB380_605:
	s_and_b64 vcc, exec, s[52:53]
	s_cbranch_vccz .LBB380_654
; %bb.606:
	s_and_b32 s14, 0xffff, s14
	s_cmp_lt_i32 s14, 5
	s_cbranch_scc1 .LBB380_611
; %bb.607:
	s_cmp_lt_i32 s14, 8
	s_cbranch_scc1 .LBB380_612
; %bb.608:
	;; [unrolled: 3-line block ×3, first 2 shown]
	s_cmp_gt_i32 s14, 9
	s_cbranch_scc0 .LBB380_614
; %bb.610:
	global_load_dwordx2 v[4:5], v[2:3], off
	s_mov_b64 s[0:1], 0
	s_waitcnt vmcnt(0)
	v_cvt_i32_f64_e32 v4, v[4:5]
	s_branch .LBB380_615
.LBB380_611:
	s_mov_b64 s[0:1], -1
                                        ; implicit-def: $vgpr4
	s_branch .LBB380_633
.LBB380_612:
	s_mov_b64 s[0:1], -1
                                        ; implicit-def: $vgpr4
	s_branch .LBB380_621
.LBB380_613:
	s_mov_b64 s[0:1], -1
                                        ; implicit-def: $vgpr4
	s_branch .LBB380_618
.LBB380_614:
	s_mov_b64 s[0:1], -1
                                        ; implicit-def: $vgpr4
.LBB380_615:
	s_andn2_b64 vcc, exec, s[0:1]
	s_cbranch_vccnz .LBB380_617
; %bb.616:
	global_load_dword v4, v[2:3], off
	s_waitcnt vmcnt(0)
	v_cvt_i32_f32_e32 v4, v4
.LBB380_617:
	s_mov_b64 s[0:1], 0
.LBB380_618:
	s_andn2_b64 vcc, exec, s[0:1]
	s_cbranch_vccnz .LBB380_620
; %bb.619:
	global_load_dword v4, v[2:3], off
	s_waitcnt vmcnt(0)
	v_cvt_i16_f16_e32 v4, v4
.LBB380_620:
	s_mov_b64 s[0:1], 0
.LBB380_621:
	s_andn2_b64 vcc, exec, s[0:1]
	s_cbranch_vccnz .LBB380_632
; %bb.622:
	s_cmp_lt_i32 s14, 6
	s_cbranch_scc1 .LBB380_625
; %bb.623:
	s_cmp_gt_i32 s14, 6
	s_cbranch_scc0 .LBB380_626
; %bb.624:
	global_load_dwordx2 v[4:5], v[2:3], off
	s_mov_b64 s[0:1], 0
	s_waitcnt vmcnt(0)
	v_cvt_i32_f64_e32 v4, v[4:5]
	s_branch .LBB380_627
.LBB380_625:
	s_mov_b64 s[0:1], -1
                                        ; implicit-def: $vgpr4
	s_branch .LBB380_630
.LBB380_626:
	s_mov_b64 s[0:1], -1
                                        ; implicit-def: $vgpr4
.LBB380_627:
	s_andn2_b64 vcc, exec, s[0:1]
	s_cbranch_vccnz .LBB380_629
; %bb.628:
	global_load_dword v4, v[2:3], off
	s_waitcnt vmcnt(0)
	v_cvt_i32_f32_e32 v4, v4
.LBB380_629:
	s_mov_b64 s[0:1], 0
.LBB380_630:
	s_andn2_b64 vcc, exec, s[0:1]
	s_cbranch_vccnz .LBB380_632
; %bb.631:
	global_load_ushort v4, v[2:3], off
	s_waitcnt vmcnt(0)
	v_cvt_i16_f16_e32 v4, v4
.LBB380_632:
	s_mov_b64 s[0:1], 0
.LBB380_633:
	s_andn2_b64 vcc, exec, s[0:1]
	s_cbranch_vccnz .LBB380_653
; %bb.634:
	s_cmp_lt_i32 s14, 2
	s_cbranch_scc1 .LBB380_638
; %bb.635:
	s_cmp_lt_i32 s14, 3
	s_cbranch_scc1 .LBB380_639
; %bb.636:
	s_cmp_gt_i32 s14, 3
	s_cbranch_scc0 .LBB380_640
; %bb.637:
	global_load_dwordx2 v[4:5], v[2:3], off
	s_mov_b64 s[0:1], 0
	s_branch .LBB380_641
.LBB380_638:
	s_mov_b64 s[0:1], -1
                                        ; implicit-def: $vgpr4
	s_branch .LBB380_647
.LBB380_639:
	s_mov_b64 s[0:1], -1
                                        ; implicit-def: $vgpr4
	s_branch .LBB380_644
.LBB380_640:
	s_mov_b64 s[0:1], -1
                                        ; implicit-def: $vgpr4
.LBB380_641:
	s_andn2_b64 vcc, exec, s[0:1]
	s_cbranch_vccnz .LBB380_643
; %bb.642:
	global_load_dword v4, v[2:3], off
.LBB380_643:
	s_mov_b64 s[0:1], 0
.LBB380_644:
	s_andn2_b64 vcc, exec, s[0:1]
	s_cbranch_vccnz .LBB380_646
; %bb.645:
	global_load_ushort v4, v[2:3], off
.LBB380_646:
	s_mov_b64 s[0:1], 0
.LBB380_647:
	s_andn2_b64 vcc, exec, s[0:1]
	s_cbranch_vccnz .LBB380_653
; %bb.648:
	s_cmp_gt_i32 s14, 0
	s_cbranch_scc0 .LBB380_650
; %bb.649:
	global_load_ubyte v4, v[2:3], off
	s_mov_b64 s[0:1], 0
	s_branch .LBB380_651
.LBB380_650:
	s_mov_b64 s[0:1], -1
                                        ; implicit-def: $vgpr4
.LBB380_651:
	s_andn2_b64 vcc, exec, s[0:1]
	s_cbranch_vccnz .LBB380_653
; %bb.652:
	global_load_ubyte v4, v[2:3], off
.LBB380_653:
	s_mov_b64 s[0:1], -1
.LBB380_654:
	s_andn2_b64 vcc, exec, s[0:1]
	s_cbranch_vccnz .LBB380_662
; %bb.655:
	s_waitcnt vmcnt(0)
	v_cmp_ne_u16_sdwa s[0:1], v1, v4 src0_sel:BYTE_0 src1_sel:BYTE_0
	s_xor_b64 s[52:53], s[28:29], s[0:1]
	v_mov_b32_e32 v1, s9
	s_and_b32 s14, s15, 0xff
	v_add_co_u32_e32 v0, vcc, s8, v0
	s_cmp_lt_i32 s14, 11
	v_addc_co_u32_e32 v1, vcc, 0, v1, vcc
	s_cbranch_scc1 .LBB380_663
; %bb.656:
	s_and_b32 s62, 0xffff, s14
	s_cmp_gt_i32 s62, 25
	s_cbranch_scc0 .LBB380_664
; %bb.657:
	s_cmp_gt_i32 s62, 28
	s_cbranch_scc0 .LBB380_665
; %bb.658:
	s_cmp_gt_i32 s62, 43
	s_cbranch_scc0 .LBB380_666
; %bb.659:
	s_cmp_gt_i32 s62, 45
	s_cbranch_scc0 .LBB380_667
; %bb.660:
	s_mov_b64 s[58:59], 0
	s_mov_b64 s[0:1], -1
	s_cmp_eq_u32 s62, 46
	s_mov_b64 s[56:57], 0
	s_cbranch_scc0 .LBB380_668
; %bb.661:
	v_cndmask_b32_e64 v2, 0, 1.0, s[52:53]
	v_bfe_u32 v3, v2, 16, 1
	s_movk_i32 s0, 0x7fff
	v_add3_u32 v2, v2, v3, s0
	v_lshrrev_b32_e32 v2, 16, v2
	global_store_dword v[0:1], v2, off
	s_mov_b64 s[56:57], -1
	s_mov_b64 s[0:1], 0
	s_branch .LBB380_668
.LBB380_662:
	s_mov_b64 s[56:57], 0
                                        ; implicit-def: $vgpr10
	s_mov_b64 s[0:1], s[40:41]
	s_branch .LBB380_778
.LBB380_663:
	s_mov_b64 s[58:59], -1
	s_mov_b64 s[56:57], 0
	s_mov_b64 s[0:1], s[40:41]
	s_branch .LBB380_737
.LBB380_664:
	s_mov_b64 s[58:59], -1
	s_mov_b64 s[56:57], 0
	s_mov_b64 s[0:1], s[40:41]
	s_branch .LBB380_695
.LBB380_665:
	s_mov_b64 s[58:59], -1
	s_mov_b64 s[56:57], 0
	s_mov_b64 s[0:1], s[40:41]
	s_branch .LBB380_678
.LBB380_666:
	s_mov_b64 s[58:59], -1
	s_mov_b64 s[56:57], 0
	s_mov_b64 s[0:1], s[40:41]
	s_branch .LBB380_674
.LBB380_667:
	s_mov_b64 s[58:59], -1
	s_mov_b64 s[56:57], 0
	s_mov_b64 s[0:1], s[40:41]
.LBB380_668:
	s_and_b64 vcc, exec, s[58:59]
	s_cbranch_vccz .LBB380_673
; %bb.669:
	s_cmp_eq_u32 s62, 44
	s_mov_b64 s[0:1], -1
	s_cbranch_scc0 .LBB380_673
; %bb.670:
	v_cndmask_b32_e64 v3, 0, 1.0, s[52:53]
	v_lshrrev_b32_e32 v2, 23, v3
	s_movk_i32 s0, 0xff
	v_cmp_ne_u32_e32 vcc, s0, v2
	v_mov_b32_e32 v4, 0xff
	s_and_saveexec_b64 s[56:57], vcc
; %bb.671:
	s_mov_b32 s0, 0x3fffff
	v_and_b32_e32 v4, 0x400000, v3
	v_and_or_b32 v3, v3, s0, v2
	v_cmp_ne_u32_e32 vcc, 0, v4
	v_cmp_ne_u32_e64 s[0:1], 0, v3
	s_and_b64 s[0:1], vcc, s[0:1]
	v_cndmask_b32_e64 v3, 0, 1, s[0:1]
	v_add_u32_e32 v4, v2, v3
; %bb.672:
	s_or_b64 exec, exec, s[56:57]
	s_mov_b64 s[56:57], -1
	s_mov_b64 s[0:1], 0
	global_store_byte v[0:1], v4, off
.LBB380_673:
	s_mov_b64 s[58:59], 0
.LBB380_674:
	s_and_b64 vcc, exec, s[58:59]
	s_cbranch_vccz .LBB380_677
; %bb.675:
	s_cmp_eq_u32 s62, 29
	s_mov_b64 s[0:1], -1
	s_cbranch_scc0 .LBB380_677
; %bb.676:
	s_mov_b32 s0, 0
	v_cndmask_b32_e64 v2, 0, 1, s[52:53]
	v_mov_b32_e32 v3, s0
	global_store_dwordx2 v[0:1], v[2:3], off
	s_mov_b64 s[56:57], -1
	s_mov_b64 s[0:1], 0
.LBB380_677:
	s_mov_b64 s[58:59], 0
.LBB380_678:
	s_and_b64 vcc, exec, s[58:59]
	s_cbranch_vccz .LBB380_694
; %bb.679:
	s_cmp_lt_i32 s62, 27
	s_mov_b64 s[56:57], -1
	s_cbranch_scc1 .LBB380_685
; %bb.680:
	s_cmp_gt_i32 s62, 27
	s_cbranch_scc0 .LBB380_682
; %bb.681:
	v_cndmask_b32_e64 v2, 0, 1, s[52:53]
	s_mov_b64 s[56:57], 0
	global_store_dword v[0:1], v2, off
.LBB380_682:
	s_andn2_b64 vcc, exec, s[56:57]
	s_cbranch_vccnz .LBB380_684
; %bb.683:
	v_cndmask_b32_e64 v2, 0, 1, s[52:53]
	global_store_short v[0:1], v2, off
.LBB380_684:
	s_mov_b64 s[56:57], 0
.LBB380_685:
	s_andn2_b64 vcc, exec, s[56:57]
	s_cbranch_vccnz .LBB380_693
; %bb.686:
	v_cndmask_b32_e64 v3, 0, 1.0, s[52:53]
	s_mov_b32 s56, 0x43800000
	v_cmp_gt_u32_e32 vcc, s56, v3
	v_mov_b32_e32 v4, 0x80
	s_and_saveexec_b64 s[56:57], vcc
	s_cbranch_execz .LBB380_692
; %bb.687:
	s_mov_b32 s58, 0x3bffffff
	v_cmp_lt_u32_e32 vcc, s58, v3
	s_mov_b64 s[58:59], 0
                                        ; implicit-def: $vgpr2
	s_and_saveexec_b64 s[60:61], vcc
	s_xor_b64 s[60:61], exec, s[60:61]
	s_cbranch_execz .LBB380_806
; %bb.688:
	v_bfe_u32 v2, v3, 20, 1
	s_mov_b32 s63, 0x487ffff
	v_add3_u32 v2, v3, v2, s63
	s_mov_b64 s[58:59], exec
	v_lshrrev_b32_e32 v2, 20, v2
                                        ; implicit-def: $vgpr3
	s_andn2_saveexec_b64 s[60:61], s[60:61]
	s_cbranch_execnz .LBB380_807
.LBB380_689:
	s_or_b64 exec, exec, s[60:61]
	v_mov_b32_e32 v4, 0
	s_and_saveexec_b64 s[60:61], s[58:59]
.LBB380_690:
	v_mov_b32_e32 v4, v2
.LBB380_691:
	s_or_b64 exec, exec, s[60:61]
.LBB380_692:
	s_or_b64 exec, exec, s[56:57]
	global_store_byte v[0:1], v4, off
.LBB380_693:
	s_mov_b64 s[56:57], -1
.LBB380_694:
	s_mov_b64 s[58:59], 0
.LBB380_695:
	s_and_b64 vcc, exec, s[58:59]
	s_cbranch_vccz .LBB380_736
; %bb.696:
	s_cmp_gt_i32 s62, 22
	s_mov_b64 s[58:59], -1
	s_cbranch_scc0 .LBB380_728
; %bb.697:
	s_cmp_lt_i32 s62, 24
	s_mov_b64 s[56:57], -1
	s_cbranch_scc1 .LBB380_717
; %bb.698:
	s_cmp_gt_i32 s62, 24
	s_cbranch_scc0 .LBB380_706
; %bb.699:
	v_cndmask_b32_e64 v3, 0, 1.0, s[52:53]
	s_mov_b32 s56, 0x47800000
	v_cmp_gt_u32_e32 vcc, s56, v3
	v_mov_b32_e32 v4, 0x80
	s_and_saveexec_b64 s[56:57], vcc
	s_cbranch_execz .LBB380_705
; %bb.700:
	s_mov_b32 s58, 0x37ffffff
	v_cmp_lt_u32_e32 vcc, s58, v3
	s_mov_b64 s[58:59], 0
                                        ; implicit-def: $vgpr2
	s_and_saveexec_b64 s[60:61], vcc
	s_xor_b64 s[60:61], exec, s[60:61]
	s_cbranch_execz .LBB380_934
; %bb.701:
	v_bfe_u32 v2, v3, 21, 1
	s_mov_b32 s63, 0x88fffff
	v_add3_u32 v2, v3, v2, s63
	s_mov_b64 s[58:59], exec
	v_lshrrev_b32_e32 v2, 21, v2
                                        ; implicit-def: $vgpr3
	s_andn2_saveexec_b64 s[60:61], s[60:61]
	s_cbranch_execnz .LBB380_935
.LBB380_702:
	s_or_b64 exec, exec, s[60:61]
	v_mov_b32_e32 v4, 0
	s_and_saveexec_b64 s[60:61], s[58:59]
.LBB380_703:
	v_mov_b32_e32 v4, v2
.LBB380_704:
	s_or_b64 exec, exec, s[60:61]
.LBB380_705:
	s_or_b64 exec, exec, s[56:57]
	s_mov_b64 s[56:57], 0
	global_store_byte v[0:1], v4, off
.LBB380_706:
	s_and_b64 vcc, exec, s[56:57]
	s_cbranch_vccz .LBB380_716
; %bb.707:
	v_cndmask_b32_e64 v2, 0, 1.0, s[52:53]
	s_mov_b32 s56, 0x43f00000
	v_cmp_gt_u32_e32 vcc, s56, v2
                                        ; implicit-def: $vgpr3
	s_and_saveexec_b64 s[56:57], vcc
	s_xor_b64 s[56:57], exec, s[56:57]
	s_cbranch_execz .LBB380_713
; %bb.708:
	s_mov_b32 s58, 0x3c7fffff
	v_cmp_lt_u32_e32 vcc, s58, v2
                                        ; implicit-def: $vgpr3
	s_and_saveexec_b64 s[58:59], vcc
	s_xor_b64 s[58:59], exec, s[58:59]
; %bb.709:
	v_bfe_u32 v3, v2, 20, 1
	s_mov_b32 s60, 0x407ffff
	v_add3_u32 v2, v2, v3, s60
	v_lshrrev_b32_e32 v3, 20, v2
	v_and_b32_e32 v2, 0xff00000, v2
	s_mov_b32 s60, 0x7f00000
	v_mov_b32_e32 v4, 0x7e
	v_cmp_ne_u32_e32 vcc, s60, v2
	v_cndmask_b32_e32 v3, v4, v3, vcc
                                        ; implicit-def: $vgpr2
; %bb.710:
	s_andn2_saveexec_b64 s[58:59], s[58:59]
; %bb.711:
	v_add_f32_e32 v3, 0x46800000, v2
; %bb.712:
	s_or_b64 exec, exec, s[58:59]
                                        ; implicit-def: $vgpr2
.LBB380_713:
	s_andn2_saveexec_b64 s[56:57], s[56:57]
; %bb.714:
	s_mov_b32 s58, 0x7f800000
	v_mov_b32_e32 v3, 0x7e
	v_mov_b32_e32 v4, 0x7f
	v_cmp_lt_u32_e32 vcc, s58, v2
	v_cndmask_b32_e32 v3, v3, v4, vcc
; %bb.715:
	s_or_b64 exec, exec, s[56:57]
	global_store_byte v[0:1], v3, off
.LBB380_716:
	s_mov_b64 s[56:57], 0
.LBB380_717:
	s_andn2_b64 vcc, exec, s[56:57]
	s_cbranch_vccnz .LBB380_727
; %bb.718:
	v_cndmask_b32_e64 v2, 0, 1.0, s[52:53]
	s_mov_b32 s56, 0x47800000
	v_cmp_gt_u32_e32 vcc, s56, v2
                                        ; implicit-def: $vgpr3
	s_and_saveexec_b64 s[56:57], vcc
	s_xor_b64 s[56:57], exec, s[56:57]
	s_cbranch_execz .LBB380_724
; %bb.719:
	s_mov_b32 s58, 0x387fffff
	v_cmp_lt_u32_e32 vcc, s58, v2
                                        ; implicit-def: $vgpr3
	s_and_saveexec_b64 s[58:59], vcc
	s_xor_b64 s[58:59], exec, s[58:59]
; %bb.720:
	v_bfe_u32 v3, v2, 21, 1
	s_mov_b32 s60, 0x80fffff
	v_add3_u32 v2, v2, v3, s60
	v_lshrrev_b32_e32 v3, 21, v2
                                        ; implicit-def: $vgpr2
; %bb.721:
	s_andn2_saveexec_b64 s[58:59], s[58:59]
; %bb.722:
	v_add_f32_e32 v3, 0x43000000, v2
; %bb.723:
	s_or_b64 exec, exec, s[58:59]
                                        ; implicit-def: $vgpr2
.LBB380_724:
	s_andn2_saveexec_b64 s[56:57], s[56:57]
; %bb.725:
	s_mov_b32 s58, 0x7f800000
	v_mov_b32_e32 v3, 0x7c
	v_mov_b32_e32 v4, 0x7f
	v_cmp_lt_u32_e32 vcc, s58, v2
	v_cndmask_b32_e32 v3, v3, v4, vcc
; %bb.726:
	s_or_b64 exec, exec, s[56:57]
	global_store_byte v[0:1], v3, off
.LBB380_727:
	s_mov_b64 s[58:59], 0
	s_mov_b64 s[56:57], -1
.LBB380_728:
	s_andn2_b64 vcc, exec, s[58:59]
	s_cbranch_vccnz .LBB380_736
; %bb.729:
	s_cmp_gt_i32 s62, 14
	s_mov_b64 s[58:59], -1
	s_cbranch_scc0 .LBB380_733
; %bb.730:
	s_cmp_eq_u32 s62, 15
	s_mov_b64 s[0:1], -1
	s_cbranch_scc0 .LBB380_732
; %bb.731:
	v_cndmask_b32_e64 v2, 0, 1.0, s[52:53]
	v_bfe_u32 v3, v2, 16, 1
	s_movk_i32 s0, 0x7fff
	v_add3_u32 v2, v2, v3, s0
	global_store_short_d16_hi v[0:1], v2, off
	s_mov_b64 s[56:57], -1
	s_mov_b64 s[0:1], 0
.LBB380_732:
	s_mov_b64 s[58:59], 0
.LBB380_733:
	s_and_b64 vcc, exec, s[58:59]
	s_cbranch_vccz .LBB380_736
; %bb.734:
	s_cmp_eq_u32 s62, 11
	s_mov_b64 s[0:1], -1
	s_cbranch_scc0 .LBB380_736
; %bb.735:
	v_cndmask_b32_e64 v2, 0, 1, s[52:53]
	s_mov_b64 s[56:57], -1
	s_mov_b64 s[0:1], 0
	global_store_byte v[0:1], v2, off
.LBB380_736:
	s_mov_b64 s[58:59], 0
.LBB380_737:
	s_and_b64 vcc, exec, s[58:59]
	s_cbranch_vccz .LBB380_776
; %bb.738:
	s_and_b32 s14, 0xffff, s14
	s_cmp_lt_i32 s14, 5
	s_mov_b64 s[56:57], -1
	s_cbranch_scc1 .LBB380_759
; %bb.739:
	s_cmp_lt_i32 s14, 8
	s_cbranch_scc1 .LBB380_749
; %bb.740:
	s_cmp_lt_i32 s14, 9
	s_cbranch_scc1 .LBB380_746
; %bb.741:
	s_cmp_gt_i32 s14, 9
	s_cbranch_scc0 .LBB380_743
; %bb.742:
	v_cndmask_b32_e64 v2, 0, 1, s[52:53]
	v_cvt_f64_u32_e32 v[2:3], v2
	v_mov_b32_e32 v4, 0
	v_mov_b32_e32 v5, v4
	s_mov_b64 s[56:57], 0
	global_store_dwordx4 v[0:1], v[2:5], off
.LBB380_743:
	s_andn2_b64 vcc, exec, s[56:57]
	s_cbranch_vccnz .LBB380_745
; %bb.744:
	v_cndmask_b32_e64 v2, 0, 1.0, s[52:53]
	v_mov_b32_e32 v3, 0
	global_store_dwordx2 v[0:1], v[2:3], off
.LBB380_745:
	s_mov_b64 s[56:57], 0
.LBB380_746:
	s_andn2_b64 vcc, exec, s[56:57]
	s_cbranch_vccnz .LBB380_748
; %bb.747:
	v_cndmask_b32_e64 v2, 0, 1.0, s[52:53]
	v_cvt_f16_f32_e32 v2, v2
	global_store_dword v[0:1], v2, off
.LBB380_748:
	s_mov_b64 s[56:57], 0
.LBB380_749:
	s_andn2_b64 vcc, exec, s[56:57]
	s_cbranch_vccnz .LBB380_758
; %bb.750:
	s_cmp_lt_i32 s14, 6
	s_mov_b64 s[56:57], -1
	s_cbranch_scc1 .LBB380_756
; %bb.751:
	s_cmp_gt_i32 s14, 6
	s_cbranch_scc0 .LBB380_753
; %bb.752:
	v_cndmask_b32_e64 v2, 0, 1, s[52:53]
	v_cvt_f64_u32_e32 v[2:3], v2
	s_mov_b64 s[56:57], 0
	global_store_dwordx2 v[0:1], v[2:3], off
.LBB380_753:
	s_andn2_b64 vcc, exec, s[56:57]
	s_cbranch_vccnz .LBB380_755
; %bb.754:
	v_cndmask_b32_e64 v2, 0, 1.0, s[52:53]
	global_store_dword v[0:1], v2, off
.LBB380_755:
	s_mov_b64 s[56:57], 0
.LBB380_756:
	s_andn2_b64 vcc, exec, s[56:57]
	s_cbranch_vccnz .LBB380_758
; %bb.757:
	v_cndmask_b32_e64 v2, 0, 1.0, s[52:53]
	v_cvt_f16_f32_e32 v2, v2
	global_store_short v[0:1], v2, off
.LBB380_758:
	s_mov_b64 s[56:57], 0
.LBB380_759:
	s_andn2_b64 vcc, exec, s[56:57]
	s_cbranch_vccnz .LBB380_775
; %bb.760:
	s_cmp_lt_i32 s14, 2
	s_mov_b64 s[56:57], -1
	s_cbranch_scc1 .LBB380_770
; %bb.761:
	s_cmp_lt_i32 s14, 3
	s_cbranch_scc1 .LBB380_767
; %bb.762:
	s_cmp_gt_i32 s14, 3
	s_cbranch_scc0 .LBB380_764
; %bb.763:
	s_mov_b32 s56, 0
	v_cndmask_b32_e64 v2, 0, 1, s[52:53]
	v_mov_b32_e32 v3, s56
	s_mov_b64 s[56:57], 0
	global_store_dwordx2 v[0:1], v[2:3], off
.LBB380_764:
	s_andn2_b64 vcc, exec, s[56:57]
	s_cbranch_vccnz .LBB380_766
; %bb.765:
	v_cndmask_b32_e64 v2, 0, 1, s[52:53]
	global_store_dword v[0:1], v2, off
.LBB380_766:
	s_mov_b64 s[56:57], 0
.LBB380_767:
	s_andn2_b64 vcc, exec, s[56:57]
	s_cbranch_vccnz .LBB380_769
; %bb.768:
	v_cndmask_b32_e64 v2, 0, 1, s[52:53]
	global_store_short v[0:1], v2, off
.LBB380_769:
	s_mov_b64 s[56:57], 0
.LBB380_770:
	s_andn2_b64 vcc, exec, s[56:57]
	s_cbranch_vccnz .LBB380_775
; %bb.771:
	s_mov_b64 s[56:57], -1
	s_cmp_gt_i32 s14, 0
	v_cndmask_b32_e64 v2, 0, 1, s[52:53]
	s_cbranch_scc0 .LBB380_773
; %bb.772:
	s_mov_b64 s[56:57], 0
	global_store_byte v[0:1], v2, off
.LBB380_773:
	s_andn2_b64 vcc, exec, s[56:57]
	s_cbranch_vccnz .LBB380_775
; %bb.774:
	global_store_byte v[0:1], v2, off
.LBB380_775:
	s_mov_b64 s[56:57], -1
.LBB380_776:
	s_andn2_b64 vcc, exec, s[56:57]
	s_cbranch_vccnz .LBB380_788
; %bb.777:
	v_add_u32_e32 v10, 0x80, v10
	s_mov_b64 s[56:57], -1
.LBB380_778:
	s_andn2_b64 s[52:53], s[40:41], exec
	s_and_b64 s[0:1], s[0:1], exec
	s_or_b64 s[52:53], s[52:53], s[0:1]
	s_andn2_b64 s[0:1], s[42:43], exec
	s_and_b64 s[50:51], s[50:51], exec
	s_or_b64 s[50:51], s[0:1], s[50:51]
	s_andn2_b64 s[0:1], s[44:45], exec
	s_and_b64 s[48:49], s[48:49], exec
	s_or_b64 s[48:49], s[0:1], s[48:49]
	s_orn2_b64 s[0:1], s[56:57], exec
.LBB380_779:
	s_or_b64 exec, exec, s[54:55]
	s_mov_b64 s[56:57], 0
	s_mov_b64 s[58:59], 0
	;; [unrolled: 1-line block ×3, first 2 shown]
                                        ; implicit-def: $sgpr14
                                        ; implicit-def: $vgpr4_vgpr5
                                        ; implicit-def: $vgpr0
                                        ; implicit-def: $vgpr3
                                        ; implicit-def: $vgpr1
	s_and_saveexec_b64 s[54:55], s[0:1]
	s_cbranch_execz .LBB380_1264
; %bb.780:
	v_cmp_gt_i32_e32 vcc, s70, v10
	s_mov_b64 s[68:69], -1
	s_mov_b64 s[0:1], s[48:49]
	s_mov_b64 s[60:61], s[50:51]
	;; [unrolled: 1-line block ×3, first 2 shown]
	s_and_saveexec_b64 s[56:57], vcc
	s_cbranch_execz .LBB380_1172
; %bb.781:
	s_andn2_b64 vcc, exec, s[24:25]
	s_cbranch_vccnz .LBB380_787
; %bb.782:
	s_andn2_b64 vcc, exec, s[38:39]
	s_cbranch_vccnz .LBB380_789
; %bb.783:
	s_add_i32 s0, s75, 1
	s_and_b32 s14, s0, 30
	s_add_u32 s0, s2, 0xffffffe8
	s_addc_u32 s1, s3, -1
	v_mov_b32_e32 v3, 0
	s_waitcnt vmcnt(0)
	v_mov_b32_e32 v5, 0
	v_mov_b32_e32 v0, 0
	;; [unrolled: 1-line block ×3, first 2 shown]
.LBB380_784:                            ; =>This Inner Loop Header: Depth=1
	s_load_dwordx4 s[60:63], s[0:1], 0x1c
	s_load_dwordx2 s[58:59], s[0:1], 0x2c
	s_load_dwordx2 s[68:69], s[0:1], 0xec
	s_load_dwordx4 s[64:67], s[0:1], 0xdc
	s_add_u32 s0, s0, 24
	s_waitcnt lgkmcnt(0)
	v_mul_hi_u32 v2, s61, v1
	s_addc_u32 s1, s1, 0
	s_add_i32 s14, s14, -2
	s_cmp_eq_u32 s14, 0
	v_add_u32_e32 v2, v1, v2
	v_lshrrev_b32_e32 v2, s62, v2
	v_mul_lo_u32 v4, v2, s60
	v_mul_hi_u32 v6, s58, v2
	v_sub_u32_e32 v4, v1, v4
	v_add_u32_e32 v1, v2, v6
	v_lshrrev_b32_e32 v1, s59, v1
	v_mul_lo_u32 v8, v1, s63
	v_mul_lo_u32 v6, v4, s64
	;; [unrolled: 1-line block ×4, first 2 shown]
	v_sub_u32_e32 v2, v2, v8
	v_mul_lo_u32 v8, v2, s67
	v_mul_lo_u32 v9, v2, s68
	;; [unrolled: 1-line block ×3, first 2 shown]
	v_add3_u32 v0, v6, v0, v8
	v_add3_u32 v5, v7, v5, v9
	;; [unrolled: 1-line block ×3, first 2 shown]
	s_cbranch_scc0 .LBB380_784
; %bb.785:
	s_bitcmp1_b32 s75, 0
	s_cselect_b64 s[58:59], -1, 0
	s_and_b64 vcc, exec, s[58:59]
	s_cbranch_vccnz .LBB380_790
; %bb.786:
	s_load_dwordx2 s[58:59], s[0:1], 0x1c
	s_load_dword s14, s[0:1], 0x24
	s_load_dwordx2 s[60:61], s[0:1], 0xdc
	s_waitcnt lgkmcnt(0)
	v_mul_hi_u32 v2, s59, v1
	v_add_u32_e32 v2, v1, v2
	v_lshrrev_b32_e32 v2, s14, v2
	v_mul_lo_u32 v2, v2, s58
	s_load_dword s14, s[0:1], 0xe4
	v_sub_u32_e32 v2, v1, v2
	v_mad_u64_u32 v[0:1], s[0:1], v2, s60, v[0:1]
	v_mad_u64_u32 v[5:6], s[0:1], v2, s61, v[5:6]
	s_waitcnt lgkmcnt(0)
	v_mad_u64_u32 v[3:4], s[0:1], v2, s14, v[3:4]
	s_branch .LBB380_790
.LBB380_787:
	s_mov_b64 s[0:1], -1
                                        ; implicit-def: $vgpr0
                                        ; implicit-def: $vgpr5
                                        ; implicit-def: $vgpr3
	s_branch .LBB380_791
.LBB380_788:
	s_mov_b64 s[56:57], 0
	s_branch .LBB380_540
.LBB380_789:
	v_mov_b32_e32 v0, 0
	s_waitcnt vmcnt(0)
	v_mov_b32_e32 v5, 0
	v_mov_b32_e32 v3, 0
.LBB380_790:
	s_mov_b64 s[0:1], 0
.LBB380_791:
	s_andn2_b64 vcc, exec, s[0:1]
	s_cbranch_vccnz .LBB380_794
; %bb.792:
	v_mul_hi_u32 v0, s17, v10
	s_andn2_b64 vcc, exec, s[36:37]
	v_add_u32_e32 v0, v10, v0
	s_waitcnt vmcnt(0)
	v_lshrrev_b32_e32 v1, s18, v0
	v_mul_lo_u32 v0, v1, s16
	v_sub_u32_e32 v2, v10, v0
	v_mul_lo_u32 v0, v2, s20
	v_mul_lo_u32 v5, v2, s21
	;; [unrolled: 1-line block ×3, first 2 shown]
	s_cbranch_vccnz .LBB380_794
; %bb.793:
	v_mul_hi_u32 v2, s34, v1
	v_add_u32_e32 v2, v1, v2
	v_lshrrev_b32_e32 v2, s35, v2
	v_mul_lo_u32 v2, v2, s19
	v_sub_u32_e32 v2, v1, v2
	v_mad_u64_u32 v[0:1], s[0:1], v2, s23, v[0:1]
	v_mad_u64_u32 v[5:6], s[0:1], v2, s30, v[5:6]
	;; [unrolled: 1-line block ×3, first 2 shown]
.LBB380_794:
	s_waitcnt vmcnt(0)
	v_mov_b32_e32 v1, s11
	s_and_b32 s14, s74, 0xff
	v_add_co_u32_e32 v4, vcc, s10, v5
	s_cmp_lt_i32 s14, 11
	v_addc_co_u32_e32 v5, vcc, 0, v1, vcc
	s_cbranch_scc1 .LBB380_801
; %bb.795:
	s_and_b32 s62, 0xffff, s14
	s_cmp_gt_i32 s62, 25
	s_cbranch_scc0 .LBB380_802
; %bb.796:
	s_cmp_gt_i32 s62, 28
	s_cbranch_scc0 .LBB380_803
; %bb.797:
	;; [unrolled: 3-line block ×4, first 2 shown]
	s_cmp_eq_u32 s62, 46
	s_mov_b64 s[60:61], 0
	s_cbranch_scc0 .LBB380_808
; %bb.800:
	global_load_dword v1, v[4:5], off
	s_mov_b64 s[0:1], -1
	s_mov_b64 s[58:59], 0
	s_waitcnt vmcnt(0)
	v_lshlrev_b32_e32 v1, 16, v1
	v_cvt_i32_f32_e32 v1, v1
	s_branch .LBB380_809
.LBB380_801:
	s_mov_b64 s[60:61], -1
	s_mov_b64 s[0:1], 0
                                        ; implicit-def: $vgpr1
	s_mov_b64 s[58:59], s[48:49]
	s_branch .LBB380_870
.LBB380_802:
	s_mov_b64 s[60:61], -1
	s_mov_b64 s[0:1], 0
	s_mov_b64 s[58:59], s[48:49]
                                        ; implicit-def: $vgpr1
	s_branch .LBB380_836
.LBB380_803:
	s_mov_b64 s[60:61], -1
	s_mov_b64 s[0:1], 0
	s_mov_b64 s[58:59], s[48:49]
                                        ; implicit-def: $vgpr1
	s_branch .LBB380_819
.LBB380_804:
	s_mov_b64 s[60:61], -1
	s_mov_b64 s[0:1], 0
	s_mov_b64 s[58:59], s[48:49]
                                        ; implicit-def: $vgpr1
	s_branch .LBB380_814
.LBB380_805:
	s_mov_b64 s[60:61], -1
	s_mov_b64 s[0:1], 0
	s_mov_b64 s[58:59], s[48:49]
                                        ; implicit-def: $vgpr1
	s_branch .LBB380_809
.LBB380_806:
	s_andn2_saveexec_b64 s[60:61], s[60:61]
	s_cbranch_execz .LBB380_689
.LBB380_807:
	v_add_f32_e32 v2, 0x46000000, v3
	v_and_b32_e32 v2, 0xff, v2
	v_cmp_ne_u32_e32 vcc, 0, v2
	s_andn2_b64 s[58:59], s[58:59], exec
	s_and_b64 s[64:65], vcc, exec
	s_or_b64 s[58:59], s[58:59], s[64:65]
	s_or_b64 exec, exec, s[60:61]
	v_mov_b32_e32 v4, 0
	s_and_saveexec_b64 s[60:61], s[58:59]
	s_cbranch_execnz .LBB380_690
	s_branch .LBB380_691
.LBB380_808:
	s_mov_b64 s[58:59], -1
                                        ; implicit-def: $vgpr1
	s_mov_b64 s[0:1], 0
.LBB380_809:
	s_and_b64 vcc, exec, s[60:61]
	s_cbranch_vccz .LBB380_813
; %bb.810:
	s_cmp_eq_u32 s62, 44
	s_cbranch_scc0 .LBB380_812
; %bb.811:
	global_load_ubyte v1, v[4:5], off
	s_mov_b64 s[0:1], -1
	s_mov_b64 s[58:59], 0
	s_waitcnt vmcnt(0)
	v_lshlrev_b32_e32 v2, 23, v1
	v_cvt_i32_f32_e32 v2, v2
	v_cmp_ne_u32_e32 vcc, 0, v1
	v_cndmask_b32_e32 v1, 0, v2, vcc
	s_branch .LBB380_813
.LBB380_812:
	s_mov_b64 s[58:59], -1
                                        ; implicit-def: $vgpr1
.LBB380_813:
	s_mov_b64 s[60:61], 0
.LBB380_814:
	s_and_b64 vcc, exec, s[60:61]
	s_cbranch_vccz .LBB380_818
; %bb.815:
	s_cmp_eq_u32 s62, 29
	s_cbranch_scc0 .LBB380_817
; %bb.816:
	global_load_dwordx2 v[1:2], v[4:5], off
	s_mov_b64 s[0:1], -1
	s_mov_b64 s[58:59], 0
	s_branch .LBB380_818
.LBB380_817:
	s_mov_b64 s[58:59], -1
                                        ; implicit-def: $vgpr1
.LBB380_818:
	s_mov_b64 s[60:61], 0
.LBB380_819:
	s_and_b64 vcc, exec, s[60:61]
	s_cbranch_vccz .LBB380_835
; %bb.820:
	s_cmp_lt_i32 s62, 27
	s_cbranch_scc1 .LBB380_823
; %bb.821:
	s_cmp_gt_i32 s62, 27
	s_cbranch_scc0 .LBB380_824
; %bb.822:
	global_load_dword v1, v[4:5], off
	s_mov_b64 s[0:1], 0
	s_branch .LBB380_825
.LBB380_823:
	s_mov_b64 s[0:1], -1
                                        ; implicit-def: $vgpr1
	s_branch .LBB380_828
.LBB380_824:
	s_mov_b64 s[0:1], -1
                                        ; implicit-def: $vgpr1
.LBB380_825:
	s_andn2_b64 vcc, exec, s[0:1]
	s_cbranch_vccnz .LBB380_827
; %bb.826:
	global_load_ushort v1, v[4:5], off
.LBB380_827:
	s_mov_b64 s[0:1], 0
.LBB380_828:
	s_andn2_b64 vcc, exec, s[0:1]
	s_cbranch_vccnz .LBB380_834
; %bb.829:
	global_load_ubyte v2, v[4:5], off
	s_movk_i32 s0, 0x7f
	s_mov_b64 s[60:61], 0
	s_waitcnt vmcnt(0)
	v_cmp_lt_i16_e32 vcc, s0, v2
	s_and_saveexec_b64 s[0:1], vcc
	s_xor_b64 s[0:1], exec, s[0:1]
	s_cbranch_execz .LBB380_846
; %bb.830:
	s_movk_i32 s60, 0x80
	v_cmp_ne_u16_e32 vcc, s60, v2
	s_and_b64 s[60:61], vcc, exec
	s_andn2_saveexec_b64 s[0:1], s[0:1]
	s_cbranch_execnz .LBB380_847
.LBB380_831:
	s_or_b64 exec, exec, s[0:1]
	v_mov_b32_e32 v1, 0
	s_and_saveexec_b64 s[0:1], s[60:61]
	s_cbranch_execz .LBB380_833
.LBB380_832:
	v_lshlrev_b32_e32 v1, 24, v2
	v_and_b32_e32 v2, 0xffff, v2
	v_and_b32_e32 v6, 7, v2
	v_ffbh_u32_e32 v8, v6
	v_min_u32_e32 v8, 32, v8
	v_subrev_u32_e32 v9, 28, v8
	v_bfe_u32 v7, v2, 3, 4
	v_lshlrev_b32_e32 v2, v9, v2
	v_sub_u32_e32 v8, 29, v8
	v_and_b32_e32 v2, 7, v2
	v_cmp_eq_u32_e32 vcc, 0, v7
	v_cndmask_b32_e32 v7, v7, v8, vcc
	v_cndmask_b32_e32 v2, v6, v2, vcc
	v_mov_b32_e32 v6, 0x3b800000
	v_lshlrev_b32_e32 v2, 20, v2
	v_and_b32_e32 v1, 0x80000000, v1
	v_lshl_add_u32 v6, v7, 23, v6
	v_or3_b32 v1, v1, v6, v2
	v_cvt_i32_f32_e32 v1, v1
.LBB380_833:
	s_or_b64 exec, exec, s[0:1]
.LBB380_834:
	s_mov_b64 s[0:1], -1
.LBB380_835:
	s_mov_b64 s[60:61], 0
.LBB380_836:
	s_and_b64 vcc, exec, s[60:61]
	s_cbranch_vccz .LBB380_869
; %bb.837:
	s_cmp_gt_i32 s62, 22
	s_cbranch_scc0 .LBB380_845
; %bb.838:
	s_cmp_lt_i32 s62, 24
	s_cbranch_scc1 .LBB380_848
; %bb.839:
	s_cmp_gt_i32 s62, 24
	s_cbranch_scc0 .LBB380_849
; %bb.840:
	global_load_ubyte v2, v[4:5], off
	s_movk_i32 s0, 0x7f
	s_mov_b64 s[60:61], 0
	s_waitcnt vmcnt(0)
	v_cmp_lt_i16_e32 vcc, s0, v2
	s_and_saveexec_b64 s[0:1], vcc
	s_xor_b64 s[0:1], exec, s[0:1]
	s_cbranch_execz .LBB380_861
; %bb.841:
	s_movk_i32 s60, 0x80
	v_cmp_ne_u16_e32 vcc, s60, v2
	s_and_b64 s[60:61], vcc, exec
	s_andn2_saveexec_b64 s[0:1], s[0:1]
	s_cbranch_execnz .LBB380_862
.LBB380_842:
	s_or_b64 exec, exec, s[0:1]
	v_mov_b32_e32 v1, 0
	s_and_saveexec_b64 s[0:1], s[60:61]
	s_cbranch_execz .LBB380_844
.LBB380_843:
	v_lshlrev_b32_e32 v1, 24, v2
	v_and_b32_e32 v2, 0xffff, v2
	v_and_b32_e32 v6, 3, v2
	v_ffbh_u32_e32 v8, v6
	v_min_u32_e32 v8, 32, v8
	v_subrev_u32_e32 v9, 29, v8
	v_bfe_u32 v7, v2, 2, 5
	v_lshlrev_b32_e32 v2, v9, v2
	v_sub_u32_e32 v8, 30, v8
	v_and_b32_e32 v2, 3, v2
	v_cmp_eq_u32_e32 vcc, 0, v7
	v_cndmask_b32_e32 v7, v7, v8, vcc
	v_cndmask_b32_e32 v2, v6, v2, vcc
	v_mov_b32_e32 v6, 0x37800000
	v_lshlrev_b32_e32 v2, 21, v2
	v_and_b32_e32 v1, 0x80000000, v1
	v_lshl_add_u32 v6, v7, 23, v6
	v_or3_b32 v1, v1, v6, v2
	v_cvt_i32_f32_e32 v1, v1
.LBB380_844:
	s_or_b64 exec, exec, s[0:1]
	s_mov_b64 s[0:1], 0
	s_branch .LBB380_850
.LBB380_845:
	s_mov_b64 s[60:61], -1
                                        ; implicit-def: $vgpr1
	s_branch .LBB380_856
.LBB380_846:
	s_andn2_saveexec_b64 s[0:1], s[0:1]
	s_cbranch_execz .LBB380_831
.LBB380_847:
	v_cmp_ne_u16_e32 vcc, 0, v2
	s_andn2_b64 s[60:61], s[60:61], exec
	s_and_b64 s[64:65], vcc, exec
	s_or_b64 s[60:61], s[60:61], s[64:65]
	s_or_b64 exec, exec, s[0:1]
	v_mov_b32_e32 v1, 0
	s_and_saveexec_b64 s[0:1], s[60:61]
	s_cbranch_execnz .LBB380_832
	s_branch .LBB380_833
.LBB380_848:
	s_mov_b64 s[0:1], -1
                                        ; implicit-def: $vgpr1
	s_branch .LBB380_853
.LBB380_849:
	s_mov_b64 s[0:1], -1
                                        ; implicit-def: $vgpr1
.LBB380_850:
	s_and_b64 vcc, exec, s[0:1]
	s_cbranch_vccz .LBB380_852
; %bb.851:
	global_load_ubyte v1, v[4:5], off
	s_mov_b32 s0, 0x7f800000
	s_waitcnt vmcnt(0)
	v_lshlrev_b32_e32 v1, 24, v1
	v_and_b32_e32 v2, 0x7f000000, v1
	v_ffbh_u32_e32 v6, v2
	v_min_u32_e32 v6, 32, v6
	v_sub_u32_e64 v6, v6, 4 clamp
	v_lshlrev_b32_e32 v8, v6, v2
	v_lshlrev_b32_e32 v6, 23, v6
	v_lshrrev_b32_e32 v8, 4, v8
	v_add_u32_e32 v7, 0x1000000, v2
	v_sub_u32_e32 v6, v8, v6
	v_ashrrev_i32_e32 v7, 8, v7
	v_add_u32_e32 v6, 0x3c000000, v6
	v_and_or_b32 v6, v7, s0, v6
	v_cmp_ne_u32_e32 vcc, 0, v2
	v_cndmask_b32_e32 v2, 0, v6, vcc
	s_brev_b32 s0, 1
	v_and_or_b32 v1, v1, s0, v2
	v_cvt_i32_f32_e32 v1, v1
.LBB380_852:
	s_mov_b64 s[0:1], 0
.LBB380_853:
	s_andn2_b64 vcc, exec, s[0:1]
	s_cbranch_vccnz .LBB380_855
; %bb.854:
	global_load_ubyte v1, v[4:5], off
	s_movk_i32 s0, 0x7f00
	s_brev_b32 s1, 16
	s_waitcnt vmcnt(0)
	v_lshlrev_b16_e32 v2, 8, v1
	v_lshlrev_b32_e32 v1, 25, v1
	v_lshrrev_b32_e32 v6, 4, v1
	v_and_or_b32 v7, v2, s0, 0.5
	v_or_b32_e32 v6, 0x70000000, v6
	v_add_f32_e32 v7, -0.5, v7
	v_mul_f32_e32 v6, 0x7800000, v6
	v_cmp_gt_u32_e32 vcc, s1, v1
	v_bfe_i32 v2, v2, 0, 16
	v_cndmask_b32_e32 v1, v6, v7, vcc
	s_brev_b32 s0, 1
	v_and_or_b32 v1, v2, s0, v1
	v_cvt_i32_f32_e32 v1, v1
.LBB380_855:
	s_mov_b64 s[60:61], 0
	s_mov_b64 s[0:1], -1
.LBB380_856:
	s_andn2_b64 vcc, exec, s[60:61]
	s_cbranch_vccnz .LBB380_869
; %bb.857:
	s_cmp_gt_i32 s62, 14
	s_cbranch_scc0 .LBB380_860
; %bb.858:
	s_cmp_eq_u32 s62, 15
	s_cbranch_scc0 .LBB380_863
; %bb.859:
	global_load_ushort v1, v[4:5], off
	s_mov_b64 s[0:1], -1
	s_mov_b64 s[58:59], 0
	s_waitcnt vmcnt(0)
	v_lshlrev_b32_e32 v1, 16, v1
	v_cvt_i32_f32_e32 v1, v1
	s_branch .LBB380_864
.LBB380_860:
	s_mov_b64 s[60:61], -1
                                        ; implicit-def: $vgpr1
	s_branch .LBB380_865
.LBB380_861:
	s_andn2_saveexec_b64 s[0:1], s[0:1]
	s_cbranch_execz .LBB380_842
.LBB380_862:
	v_cmp_ne_u16_e32 vcc, 0, v2
	s_andn2_b64 s[60:61], s[60:61], exec
	s_and_b64 s[64:65], vcc, exec
	s_or_b64 s[60:61], s[60:61], s[64:65]
	s_or_b64 exec, exec, s[0:1]
	v_mov_b32_e32 v1, 0
	s_and_saveexec_b64 s[0:1], s[60:61]
	s_cbranch_execnz .LBB380_843
	s_branch .LBB380_844
.LBB380_863:
	s_mov_b64 s[58:59], -1
                                        ; implicit-def: $vgpr1
.LBB380_864:
	s_mov_b64 s[60:61], 0
.LBB380_865:
	s_and_b64 vcc, exec, s[60:61]
	s_cbranch_vccz .LBB380_869
; %bb.866:
	s_cmp_eq_u32 s62, 11
	s_cbranch_scc0 .LBB380_868
; %bb.867:
	global_load_ubyte v1, v[4:5], off
	s_mov_b64 s[0:1], -1
	s_mov_b64 s[58:59], 0
	s_waitcnt vmcnt(0)
	v_cmp_ne_u16_e32 vcc, 0, v1
	v_cndmask_b32_e64 v1, 0, 1, vcc
	s_branch .LBB380_869
.LBB380_868:
	s_mov_b64 s[58:59], -1
                                        ; implicit-def: $vgpr1
.LBB380_869:
	s_mov_b64 s[60:61], 0
.LBB380_870:
	s_and_b64 vcc, exec, s[60:61]
	s_cbranch_vccz .LBB380_919
; %bb.871:
	s_and_b32 s14, 0xffff, s14
	s_cmp_lt_i32 s14, 5
	s_cbranch_scc1 .LBB380_876
; %bb.872:
	s_cmp_lt_i32 s14, 8
	s_cbranch_scc1 .LBB380_877
; %bb.873:
	;; [unrolled: 3-line block ×3, first 2 shown]
	s_cmp_gt_i32 s14, 9
	s_cbranch_scc0 .LBB380_879
; %bb.875:
	global_load_dwordx2 v[1:2], v[4:5], off
	s_mov_b64 s[0:1], 0
	s_waitcnt vmcnt(0)
	v_cvt_i32_f64_e32 v1, v[1:2]
	s_branch .LBB380_880
.LBB380_876:
	s_mov_b64 s[0:1], -1
                                        ; implicit-def: $vgpr1
	s_branch .LBB380_898
.LBB380_877:
	s_mov_b64 s[0:1], -1
                                        ; implicit-def: $vgpr1
	s_branch .LBB380_886
.LBB380_878:
	s_mov_b64 s[0:1], -1
                                        ; implicit-def: $vgpr1
	s_branch .LBB380_883
.LBB380_879:
	s_mov_b64 s[0:1], -1
                                        ; implicit-def: $vgpr1
.LBB380_880:
	s_andn2_b64 vcc, exec, s[0:1]
	s_cbranch_vccnz .LBB380_882
; %bb.881:
	global_load_dword v1, v[4:5], off
	s_waitcnt vmcnt(0)
	v_cvt_i32_f32_e32 v1, v1
.LBB380_882:
	s_mov_b64 s[0:1], 0
.LBB380_883:
	s_andn2_b64 vcc, exec, s[0:1]
	s_cbranch_vccnz .LBB380_885
; %bb.884:
	global_load_dword v1, v[4:5], off
	s_waitcnt vmcnt(0)
	v_cvt_i16_f16_e32 v1, v1
.LBB380_885:
	s_mov_b64 s[0:1], 0
.LBB380_886:
	s_andn2_b64 vcc, exec, s[0:1]
	s_cbranch_vccnz .LBB380_897
; %bb.887:
	s_cmp_lt_i32 s14, 6
	s_cbranch_scc1 .LBB380_890
; %bb.888:
	s_cmp_gt_i32 s14, 6
	s_cbranch_scc0 .LBB380_891
; %bb.889:
	global_load_dwordx2 v[1:2], v[4:5], off
	s_mov_b64 s[0:1], 0
	s_waitcnt vmcnt(0)
	v_cvt_i32_f64_e32 v1, v[1:2]
	s_branch .LBB380_892
.LBB380_890:
	s_mov_b64 s[0:1], -1
                                        ; implicit-def: $vgpr1
	s_branch .LBB380_895
.LBB380_891:
	s_mov_b64 s[0:1], -1
                                        ; implicit-def: $vgpr1
.LBB380_892:
	s_andn2_b64 vcc, exec, s[0:1]
	s_cbranch_vccnz .LBB380_894
; %bb.893:
	global_load_dword v1, v[4:5], off
	s_waitcnt vmcnt(0)
	v_cvt_i32_f32_e32 v1, v1
.LBB380_894:
	s_mov_b64 s[0:1], 0
.LBB380_895:
	s_andn2_b64 vcc, exec, s[0:1]
	s_cbranch_vccnz .LBB380_897
; %bb.896:
	global_load_ushort v1, v[4:5], off
	s_waitcnt vmcnt(0)
	v_cvt_i16_f16_e32 v1, v1
.LBB380_897:
	s_mov_b64 s[0:1], 0
.LBB380_898:
	s_andn2_b64 vcc, exec, s[0:1]
	s_cbranch_vccnz .LBB380_918
; %bb.899:
	s_cmp_lt_i32 s14, 2
	s_cbranch_scc1 .LBB380_903
; %bb.900:
	s_cmp_lt_i32 s14, 3
	s_cbranch_scc1 .LBB380_904
; %bb.901:
	s_cmp_gt_i32 s14, 3
	s_cbranch_scc0 .LBB380_905
; %bb.902:
	global_load_dwordx2 v[1:2], v[4:5], off
	s_mov_b64 s[0:1], 0
	s_branch .LBB380_906
.LBB380_903:
	s_mov_b64 s[0:1], -1
                                        ; implicit-def: $vgpr1
	s_branch .LBB380_912
.LBB380_904:
	s_mov_b64 s[0:1], -1
                                        ; implicit-def: $vgpr1
	s_branch .LBB380_909
.LBB380_905:
	s_mov_b64 s[0:1], -1
                                        ; implicit-def: $vgpr1
.LBB380_906:
	s_andn2_b64 vcc, exec, s[0:1]
	s_cbranch_vccnz .LBB380_908
; %bb.907:
	global_load_dword v1, v[4:5], off
.LBB380_908:
	s_mov_b64 s[0:1], 0
.LBB380_909:
	s_andn2_b64 vcc, exec, s[0:1]
	s_cbranch_vccnz .LBB380_911
; %bb.910:
	global_load_ushort v1, v[4:5], off
.LBB380_911:
	s_mov_b64 s[0:1], 0
.LBB380_912:
	s_andn2_b64 vcc, exec, s[0:1]
	s_cbranch_vccnz .LBB380_918
; %bb.913:
	s_cmp_gt_i32 s14, 0
	s_cbranch_scc0 .LBB380_915
; %bb.914:
	global_load_ubyte v1, v[4:5], off
	s_mov_b64 s[0:1], 0
	s_branch .LBB380_916
.LBB380_915:
	s_mov_b64 s[0:1], -1
                                        ; implicit-def: $vgpr1
.LBB380_916:
	s_andn2_b64 vcc, exec, s[0:1]
	s_cbranch_vccnz .LBB380_918
; %bb.917:
	global_load_ubyte v1, v[4:5], off
.LBB380_918:
	s_mov_b64 s[0:1], -1
.LBB380_919:
	s_andn2_b64 vcc, exec, s[0:1]
	s_cbranch_vccnz .LBB380_927
; %bb.920:
	v_mov_b32_e32 v4, s13
	s_and_b32 s14, s73, 0xff
	s_waitcnt vmcnt(0)
	v_add_co_u32_e32 v2, vcc, s12, v3
	s_cmp_lt_i32 s14, 11
	v_addc_co_u32_e32 v3, vcc, 0, v4, vcc
	s_cbranch_scc1 .LBB380_929
; %bb.921:
	s_and_b32 s64, 0xffff, s14
	s_cmp_gt_i32 s64, 25
	s_cbranch_scc0 .LBB380_930
; %bb.922:
	s_cmp_gt_i32 s64, 28
	s_cbranch_scc0 .LBB380_931
; %bb.923:
	;; [unrolled: 3-line block ×4, first 2 shown]
	s_cmp_eq_u32 s64, 46
	s_mov_b64 s[62:63], 0
	s_cbranch_scc0 .LBB380_936
; %bb.926:
	global_load_dword v4, v[2:3], off
	s_mov_b64 s[0:1], -1
	s_mov_b64 s[60:61], 0
	s_waitcnt vmcnt(0)
	v_lshlrev_b32_e32 v4, 16, v4
	v_cvt_i32_f32_e32 v4, v4
	s_branch .LBB380_937
.LBB380_927:
	s_mov_b64 s[64:65], 0
	s_mov_b64 s[0:1], s[52:53]
	;; [unrolled: 1-line block ×3, first 2 shown]
.LBB380_928:
                                        ; implicit-def: $vgpr10
	s_branch .LBB380_1171
.LBB380_929:
	s_mov_b64 s[62:63], -1
	s_mov_b64 s[0:1], 0
                                        ; implicit-def: $vgpr4
	s_mov_b64 s[60:61], s[50:51]
	s_branch .LBB380_998
.LBB380_930:
	s_mov_b64 s[62:63], -1
	s_mov_b64 s[0:1], 0
	s_mov_b64 s[60:61], s[50:51]
                                        ; implicit-def: $vgpr4
	s_branch .LBB380_964
.LBB380_931:
	s_mov_b64 s[62:63], -1
	s_mov_b64 s[0:1], 0
	s_mov_b64 s[60:61], s[50:51]
                                        ; implicit-def: $vgpr4
	s_branch .LBB380_947
.LBB380_932:
	s_mov_b64 s[62:63], -1
	s_mov_b64 s[0:1], 0
	s_mov_b64 s[60:61], s[50:51]
                                        ; implicit-def: $vgpr4
	s_branch .LBB380_942
.LBB380_933:
	s_mov_b64 s[62:63], -1
	s_mov_b64 s[0:1], 0
	s_mov_b64 s[60:61], s[50:51]
                                        ; implicit-def: $vgpr4
	s_branch .LBB380_937
.LBB380_934:
	s_andn2_saveexec_b64 s[60:61], s[60:61]
	s_cbranch_execz .LBB380_702
.LBB380_935:
	v_add_f32_e32 v2, 0x42800000, v3
	v_and_b32_e32 v2, 0xff, v2
	v_cmp_ne_u32_e32 vcc, 0, v2
	s_andn2_b64 s[58:59], s[58:59], exec
	s_and_b64 s[64:65], vcc, exec
	s_or_b64 s[58:59], s[58:59], s[64:65]
	s_or_b64 exec, exec, s[60:61]
	v_mov_b32_e32 v4, 0
	s_and_saveexec_b64 s[60:61], s[58:59]
	s_cbranch_execnz .LBB380_703
	s_branch .LBB380_704
.LBB380_936:
	s_mov_b64 s[60:61], -1
                                        ; implicit-def: $vgpr4
	s_mov_b64 s[0:1], 0
.LBB380_937:
	s_and_b64 vcc, exec, s[62:63]
	s_cbranch_vccz .LBB380_941
; %bb.938:
	s_cmp_eq_u32 s64, 44
	s_cbranch_scc0 .LBB380_940
; %bb.939:
	global_load_ubyte v4, v[2:3], off
	s_mov_b64 s[0:1], -1
	s_mov_b64 s[60:61], 0
	s_waitcnt vmcnt(0)
	v_lshlrev_b32_e32 v5, 23, v4
	v_cvt_i32_f32_e32 v5, v5
	v_cmp_ne_u32_e32 vcc, 0, v4
	v_cndmask_b32_e32 v4, 0, v5, vcc
	s_branch .LBB380_941
.LBB380_940:
	s_mov_b64 s[60:61], -1
                                        ; implicit-def: $vgpr4
.LBB380_941:
	s_mov_b64 s[62:63], 0
.LBB380_942:
	s_and_b64 vcc, exec, s[62:63]
	s_cbranch_vccz .LBB380_946
; %bb.943:
	s_cmp_eq_u32 s64, 29
	s_cbranch_scc0 .LBB380_945
; %bb.944:
	global_load_dwordx2 v[4:5], v[2:3], off
	s_mov_b64 s[0:1], -1
	s_mov_b64 s[60:61], 0
	s_branch .LBB380_946
.LBB380_945:
	s_mov_b64 s[60:61], -1
                                        ; implicit-def: $vgpr4
.LBB380_946:
	s_mov_b64 s[62:63], 0
.LBB380_947:
	s_and_b64 vcc, exec, s[62:63]
	s_cbranch_vccz .LBB380_963
; %bb.948:
	s_cmp_lt_i32 s64, 27
	s_cbranch_scc1 .LBB380_951
; %bb.949:
	s_cmp_gt_i32 s64, 27
	s_cbranch_scc0 .LBB380_952
; %bb.950:
	global_load_dword v4, v[2:3], off
	s_mov_b64 s[0:1], 0
	s_branch .LBB380_953
.LBB380_951:
	s_mov_b64 s[0:1], -1
                                        ; implicit-def: $vgpr4
	s_branch .LBB380_956
.LBB380_952:
	s_mov_b64 s[0:1], -1
                                        ; implicit-def: $vgpr4
.LBB380_953:
	s_andn2_b64 vcc, exec, s[0:1]
	s_cbranch_vccnz .LBB380_955
; %bb.954:
	global_load_ushort v4, v[2:3], off
.LBB380_955:
	s_mov_b64 s[0:1], 0
.LBB380_956:
	s_andn2_b64 vcc, exec, s[0:1]
	s_cbranch_vccnz .LBB380_962
; %bb.957:
	global_load_ubyte v5, v[2:3], off
	s_movk_i32 s0, 0x7f
	s_mov_b64 s[62:63], 0
	s_waitcnt vmcnt(0)
	v_cmp_lt_i16_e32 vcc, s0, v5
	s_and_saveexec_b64 s[0:1], vcc
	s_xor_b64 s[0:1], exec, s[0:1]
	s_cbranch_execz .LBB380_974
; %bb.958:
	s_movk_i32 s62, 0x80
	v_cmp_ne_u16_e32 vcc, s62, v5
	s_and_b64 s[62:63], vcc, exec
	s_andn2_saveexec_b64 s[0:1], s[0:1]
	s_cbranch_execnz .LBB380_975
.LBB380_959:
	s_or_b64 exec, exec, s[0:1]
	v_mov_b32_e32 v4, 0
	s_and_saveexec_b64 s[0:1], s[62:63]
	s_cbranch_execz .LBB380_961
.LBB380_960:
	v_lshlrev_b32_e32 v4, 24, v5
	v_and_b32_e32 v5, 0xffff, v5
	v_and_b32_e32 v6, 7, v5
	v_ffbh_u32_e32 v8, v6
	v_min_u32_e32 v8, 32, v8
	v_subrev_u32_e32 v9, 28, v8
	v_bfe_u32 v7, v5, 3, 4
	v_lshlrev_b32_e32 v5, v9, v5
	v_sub_u32_e32 v8, 29, v8
	v_and_b32_e32 v5, 7, v5
	v_cmp_eq_u32_e32 vcc, 0, v7
	v_cndmask_b32_e32 v7, v7, v8, vcc
	v_cndmask_b32_e32 v5, v6, v5, vcc
	v_mov_b32_e32 v6, 0x3b800000
	v_lshlrev_b32_e32 v5, 20, v5
	v_and_b32_e32 v4, 0x80000000, v4
	v_lshl_add_u32 v6, v7, 23, v6
	v_or3_b32 v4, v4, v6, v5
	v_cvt_i32_f32_e32 v4, v4
.LBB380_961:
	s_or_b64 exec, exec, s[0:1]
.LBB380_962:
	s_mov_b64 s[0:1], -1
.LBB380_963:
	s_mov_b64 s[62:63], 0
.LBB380_964:
	s_and_b64 vcc, exec, s[62:63]
	s_cbranch_vccz .LBB380_997
; %bb.965:
	s_cmp_gt_i32 s64, 22
	s_cbranch_scc0 .LBB380_973
; %bb.966:
	s_cmp_lt_i32 s64, 24
	s_cbranch_scc1 .LBB380_976
; %bb.967:
	s_cmp_gt_i32 s64, 24
	s_cbranch_scc0 .LBB380_977
; %bb.968:
	global_load_ubyte v5, v[2:3], off
	s_movk_i32 s0, 0x7f
	s_mov_b64 s[62:63], 0
	s_waitcnt vmcnt(0)
	v_cmp_lt_i16_e32 vcc, s0, v5
	s_and_saveexec_b64 s[0:1], vcc
	s_xor_b64 s[0:1], exec, s[0:1]
	s_cbranch_execz .LBB380_989
; %bb.969:
	s_movk_i32 s62, 0x80
	v_cmp_ne_u16_e32 vcc, s62, v5
	s_and_b64 s[62:63], vcc, exec
	s_andn2_saveexec_b64 s[0:1], s[0:1]
	s_cbranch_execnz .LBB380_990
.LBB380_970:
	s_or_b64 exec, exec, s[0:1]
	v_mov_b32_e32 v4, 0
	s_and_saveexec_b64 s[0:1], s[62:63]
	s_cbranch_execz .LBB380_972
.LBB380_971:
	v_lshlrev_b32_e32 v4, 24, v5
	v_and_b32_e32 v5, 0xffff, v5
	v_and_b32_e32 v6, 3, v5
	v_ffbh_u32_e32 v8, v6
	v_min_u32_e32 v8, 32, v8
	v_subrev_u32_e32 v9, 29, v8
	v_bfe_u32 v7, v5, 2, 5
	v_lshlrev_b32_e32 v5, v9, v5
	v_sub_u32_e32 v8, 30, v8
	v_and_b32_e32 v5, 3, v5
	v_cmp_eq_u32_e32 vcc, 0, v7
	v_cndmask_b32_e32 v7, v7, v8, vcc
	v_cndmask_b32_e32 v5, v6, v5, vcc
	v_mov_b32_e32 v6, 0x37800000
	v_lshlrev_b32_e32 v5, 21, v5
	v_and_b32_e32 v4, 0x80000000, v4
	v_lshl_add_u32 v6, v7, 23, v6
	v_or3_b32 v4, v4, v6, v5
	v_cvt_i32_f32_e32 v4, v4
.LBB380_972:
	s_or_b64 exec, exec, s[0:1]
	s_mov_b64 s[0:1], 0
	s_branch .LBB380_978
.LBB380_973:
	s_mov_b64 s[62:63], -1
                                        ; implicit-def: $vgpr4
	s_branch .LBB380_984
.LBB380_974:
	s_andn2_saveexec_b64 s[0:1], s[0:1]
	s_cbranch_execz .LBB380_959
.LBB380_975:
	v_cmp_ne_u16_e32 vcc, 0, v5
	s_andn2_b64 s[62:63], s[62:63], exec
	s_and_b64 s[66:67], vcc, exec
	s_or_b64 s[62:63], s[62:63], s[66:67]
	s_or_b64 exec, exec, s[0:1]
	v_mov_b32_e32 v4, 0
	s_and_saveexec_b64 s[0:1], s[62:63]
	s_cbranch_execnz .LBB380_960
	s_branch .LBB380_961
.LBB380_976:
	s_mov_b64 s[0:1], -1
                                        ; implicit-def: $vgpr4
	s_branch .LBB380_981
.LBB380_977:
	s_mov_b64 s[0:1], -1
                                        ; implicit-def: $vgpr4
.LBB380_978:
	s_and_b64 vcc, exec, s[0:1]
	s_cbranch_vccz .LBB380_980
; %bb.979:
	global_load_ubyte v4, v[2:3], off
	s_mov_b32 s0, 0x7f800000
	s_waitcnt vmcnt(0)
	v_lshlrev_b32_e32 v4, 24, v4
	v_and_b32_e32 v5, 0x7f000000, v4
	v_ffbh_u32_e32 v6, v5
	v_min_u32_e32 v6, 32, v6
	v_sub_u32_e64 v6, v6, 4 clamp
	v_lshlrev_b32_e32 v8, v6, v5
	v_lshlrev_b32_e32 v6, 23, v6
	v_lshrrev_b32_e32 v8, 4, v8
	v_add_u32_e32 v7, 0x1000000, v5
	v_sub_u32_e32 v6, v8, v6
	v_ashrrev_i32_e32 v7, 8, v7
	v_add_u32_e32 v6, 0x3c000000, v6
	v_and_or_b32 v6, v7, s0, v6
	v_cmp_ne_u32_e32 vcc, 0, v5
	v_cndmask_b32_e32 v5, 0, v6, vcc
	s_brev_b32 s0, 1
	v_and_or_b32 v4, v4, s0, v5
	v_cvt_i32_f32_e32 v4, v4
.LBB380_980:
	s_mov_b64 s[0:1], 0
.LBB380_981:
	s_andn2_b64 vcc, exec, s[0:1]
	s_cbranch_vccnz .LBB380_983
; %bb.982:
	global_load_ubyte v4, v[2:3], off
	s_movk_i32 s0, 0x7f00
	s_brev_b32 s1, 16
	s_waitcnt vmcnt(0)
	v_lshlrev_b16_e32 v5, 8, v4
	v_lshlrev_b32_e32 v4, 25, v4
	v_lshrrev_b32_e32 v6, 4, v4
	v_and_or_b32 v7, v5, s0, 0.5
	v_or_b32_e32 v6, 0x70000000, v6
	v_add_f32_e32 v7, -0.5, v7
	v_mul_f32_e32 v6, 0x7800000, v6
	v_cmp_gt_u32_e32 vcc, s1, v4
	v_bfe_i32 v5, v5, 0, 16
	v_cndmask_b32_e32 v4, v6, v7, vcc
	s_brev_b32 s0, 1
	v_and_or_b32 v4, v5, s0, v4
	v_cvt_i32_f32_e32 v4, v4
.LBB380_983:
	s_mov_b64 s[62:63], 0
	s_mov_b64 s[0:1], -1
.LBB380_984:
	s_andn2_b64 vcc, exec, s[62:63]
	s_cbranch_vccnz .LBB380_997
; %bb.985:
	s_cmp_gt_i32 s64, 14
	s_cbranch_scc0 .LBB380_988
; %bb.986:
	s_cmp_eq_u32 s64, 15
	s_cbranch_scc0 .LBB380_991
; %bb.987:
	global_load_ushort v4, v[2:3], off
	s_mov_b64 s[0:1], -1
	s_mov_b64 s[60:61], 0
	s_waitcnt vmcnt(0)
	v_lshlrev_b32_e32 v4, 16, v4
	v_cvt_i32_f32_e32 v4, v4
	s_branch .LBB380_992
.LBB380_988:
	s_mov_b64 s[62:63], -1
                                        ; implicit-def: $vgpr4
	s_branch .LBB380_993
.LBB380_989:
	s_andn2_saveexec_b64 s[0:1], s[0:1]
	s_cbranch_execz .LBB380_970
.LBB380_990:
	v_cmp_ne_u16_e32 vcc, 0, v5
	s_andn2_b64 s[62:63], s[62:63], exec
	s_and_b64 s[66:67], vcc, exec
	s_or_b64 s[62:63], s[62:63], s[66:67]
	s_or_b64 exec, exec, s[0:1]
	v_mov_b32_e32 v4, 0
	s_and_saveexec_b64 s[0:1], s[62:63]
	s_cbranch_execnz .LBB380_971
	s_branch .LBB380_972
.LBB380_991:
	s_mov_b64 s[60:61], -1
                                        ; implicit-def: $vgpr4
.LBB380_992:
	s_mov_b64 s[62:63], 0
.LBB380_993:
	s_and_b64 vcc, exec, s[62:63]
	s_cbranch_vccz .LBB380_997
; %bb.994:
	s_cmp_eq_u32 s64, 11
	s_cbranch_scc0 .LBB380_996
; %bb.995:
	global_load_ubyte v4, v[2:3], off
	s_mov_b64 s[0:1], -1
	s_mov_b64 s[60:61], 0
	s_waitcnt vmcnt(0)
	v_cmp_ne_u16_e32 vcc, 0, v4
	v_cndmask_b32_e64 v4, 0, 1, vcc
	s_branch .LBB380_997
.LBB380_996:
	s_mov_b64 s[60:61], -1
                                        ; implicit-def: $vgpr4
.LBB380_997:
	s_mov_b64 s[62:63], 0
.LBB380_998:
	s_and_b64 vcc, exec, s[62:63]
	s_cbranch_vccz .LBB380_1047
; %bb.999:
	s_and_b32 s14, 0xffff, s14
	s_cmp_lt_i32 s14, 5
	s_cbranch_scc1 .LBB380_1004
; %bb.1000:
	s_cmp_lt_i32 s14, 8
	s_cbranch_scc1 .LBB380_1005
; %bb.1001:
	;; [unrolled: 3-line block ×3, first 2 shown]
	s_cmp_gt_i32 s14, 9
	s_cbranch_scc0 .LBB380_1007
; %bb.1003:
	global_load_dwordx2 v[4:5], v[2:3], off
	s_mov_b64 s[0:1], 0
	s_waitcnt vmcnt(0)
	v_cvt_i32_f64_e32 v4, v[4:5]
	s_branch .LBB380_1008
.LBB380_1004:
	s_mov_b64 s[0:1], -1
                                        ; implicit-def: $vgpr4
	s_branch .LBB380_1026
.LBB380_1005:
	s_mov_b64 s[0:1], -1
                                        ; implicit-def: $vgpr4
	s_branch .LBB380_1014
.LBB380_1006:
	s_mov_b64 s[0:1], -1
                                        ; implicit-def: $vgpr4
	s_branch .LBB380_1011
.LBB380_1007:
	s_mov_b64 s[0:1], -1
                                        ; implicit-def: $vgpr4
.LBB380_1008:
	s_andn2_b64 vcc, exec, s[0:1]
	s_cbranch_vccnz .LBB380_1010
; %bb.1009:
	global_load_dword v4, v[2:3], off
	s_waitcnt vmcnt(0)
	v_cvt_i32_f32_e32 v4, v4
.LBB380_1010:
	s_mov_b64 s[0:1], 0
.LBB380_1011:
	s_andn2_b64 vcc, exec, s[0:1]
	s_cbranch_vccnz .LBB380_1013
; %bb.1012:
	global_load_dword v4, v[2:3], off
	s_waitcnt vmcnt(0)
	v_cvt_i16_f16_e32 v4, v4
.LBB380_1013:
	s_mov_b64 s[0:1], 0
.LBB380_1014:
	s_andn2_b64 vcc, exec, s[0:1]
	s_cbranch_vccnz .LBB380_1025
; %bb.1015:
	s_cmp_lt_i32 s14, 6
	s_cbranch_scc1 .LBB380_1018
; %bb.1016:
	s_cmp_gt_i32 s14, 6
	s_cbranch_scc0 .LBB380_1019
; %bb.1017:
	global_load_dwordx2 v[4:5], v[2:3], off
	s_mov_b64 s[0:1], 0
	s_waitcnt vmcnt(0)
	v_cvt_i32_f64_e32 v4, v[4:5]
	s_branch .LBB380_1020
.LBB380_1018:
	s_mov_b64 s[0:1], -1
                                        ; implicit-def: $vgpr4
	s_branch .LBB380_1023
.LBB380_1019:
	s_mov_b64 s[0:1], -1
                                        ; implicit-def: $vgpr4
.LBB380_1020:
	s_andn2_b64 vcc, exec, s[0:1]
	s_cbranch_vccnz .LBB380_1022
; %bb.1021:
	global_load_dword v4, v[2:3], off
	s_waitcnt vmcnt(0)
	v_cvt_i32_f32_e32 v4, v4
.LBB380_1022:
	s_mov_b64 s[0:1], 0
.LBB380_1023:
	s_andn2_b64 vcc, exec, s[0:1]
	s_cbranch_vccnz .LBB380_1025
; %bb.1024:
	global_load_ushort v4, v[2:3], off
	s_waitcnt vmcnt(0)
	v_cvt_i16_f16_e32 v4, v4
.LBB380_1025:
	s_mov_b64 s[0:1], 0
.LBB380_1026:
	s_andn2_b64 vcc, exec, s[0:1]
	s_cbranch_vccnz .LBB380_1046
; %bb.1027:
	s_cmp_lt_i32 s14, 2
	s_cbranch_scc1 .LBB380_1031
; %bb.1028:
	s_cmp_lt_i32 s14, 3
	s_cbranch_scc1 .LBB380_1032
; %bb.1029:
	s_cmp_gt_i32 s14, 3
	s_cbranch_scc0 .LBB380_1033
; %bb.1030:
	global_load_dwordx2 v[4:5], v[2:3], off
	s_mov_b64 s[0:1], 0
	s_branch .LBB380_1034
.LBB380_1031:
	s_mov_b64 s[0:1], -1
                                        ; implicit-def: $vgpr4
	s_branch .LBB380_1040
.LBB380_1032:
	s_mov_b64 s[0:1], -1
                                        ; implicit-def: $vgpr4
	s_branch .LBB380_1037
.LBB380_1033:
	s_mov_b64 s[0:1], -1
                                        ; implicit-def: $vgpr4
.LBB380_1034:
	s_andn2_b64 vcc, exec, s[0:1]
	s_cbranch_vccnz .LBB380_1036
; %bb.1035:
	global_load_dword v4, v[2:3], off
.LBB380_1036:
	s_mov_b64 s[0:1], 0
.LBB380_1037:
	s_andn2_b64 vcc, exec, s[0:1]
	s_cbranch_vccnz .LBB380_1039
; %bb.1038:
	global_load_ushort v4, v[2:3], off
.LBB380_1039:
	s_mov_b64 s[0:1], 0
.LBB380_1040:
	s_andn2_b64 vcc, exec, s[0:1]
	s_cbranch_vccnz .LBB380_1046
; %bb.1041:
	s_cmp_gt_i32 s14, 0
	s_cbranch_scc0 .LBB380_1043
; %bb.1042:
	global_load_ubyte v4, v[2:3], off
	s_mov_b64 s[0:1], 0
	s_branch .LBB380_1044
.LBB380_1043:
	s_mov_b64 s[0:1], -1
                                        ; implicit-def: $vgpr4
.LBB380_1044:
	s_andn2_b64 vcc, exec, s[0:1]
	s_cbranch_vccnz .LBB380_1046
; %bb.1045:
	global_load_ubyte v4, v[2:3], off
.LBB380_1046:
	s_mov_b64 s[0:1], -1
.LBB380_1047:
	s_andn2_b64 vcc, exec, s[0:1]
	s_cbranch_vccnz .LBB380_1055
; %bb.1048:
	s_waitcnt vmcnt(0)
	v_cmp_ne_u16_sdwa s[0:1], v1, v4 src0_sel:BYTE_0 src1_sel:BYTE_0
	s_xor_b64 s[62:63], s[28:29], s[0:1]
	v_mov_b32_e32 v1, s9
	s_and_b32 s14, s15, 0xff
	v_add_co_u32_e32 v0, vcc, s8, v0
	s_cmp_lt_i32 s14, 11
	v_addc_co_u32_e32 v1, vcc, 0, v1, vcc
	s_cbranch_scc1 .LBB380_1056
; %bb.1049:
	s_and_b32 s71, 0xffff, s14
	s_cmp_gt_i32 s71, 25
	s_cbranch_scc0 .LBB380_1057
; %bb.1050:
	s_cmp_gt_i32 s71, 28
	s_cbranch_scc0 .LBB380_1058
; %bb.1051:
	;; [unrolled: 3-line block ×4, first 2 shown]
	s_mov_b64 s[66:67], 0
	s_mov_b64 s[0:1], -1
	s_cmp_eq_u32 s71, 46
	s_mov_b64 s[64:65], 0
	s_cbranch_scc0 .LBB380_1061
; %bb.1054:
	v_cndmask_b32_e64 v2, 0, 1.0, s[62:63]
	v_bfe_u32 v3, v2, 16, 1
	s_movk_i32 s0, 0x7fff
	v_add3_u32 v2, v2, v3, s0
	v_lshrrev_b32_e32 v2, 16, v2
	global_store_dword v[0:1], v2, off
	s_mov_b64 s[64:65], -1
	s_mov_b64 s[0:1], 0
	s_branch .LBB380_1061
.LBB380_1055:
	s_mov_b64 s[64:65], 0
                                        ; implicit-def: $vgpr10
	s_mov_b64 s[0:1], s[52:53]
	s_branch .LBB380_1171
.LBB380_1056:
	s_mov_b64 s[66:67], -1
	s_mov_b64 s[64:65], 0
	s_mov_b64 s[0:1], s[52:53]
	s_branch .LBB380_1130
.LBB380_1057:
	s_mov_b64 s[66:67], -1
	s_mov_b64 s[64:65], 0
	s_mov_b64 s[0:1], s[52:53]
	s_branch .LBB380_1088
.LBB380_1058:
	s_mov_b64 s[66:67], -1
	s_mov_b64 s[64:65], 0
	s_mov_b64 s[0:1], s[52:53]
	s_branch .LBB380_1071
.LBB380_1059:
	s_mov_b64 s[66:67], -1
	s_mov_b64 s[64:65], 0
	s_mov_b64 s[0:1], s[52:53]
	s_branch .LBB380_1067
.LBB380_1060:
	s_mov_b64 s[66:67], -1
	s_mov_b64 s[64:65], 0
	s_mov_b64 s[0:1], s[52:53]
.LBB380_1061:
	s_and_b64 vcc, exec, s[66:67]
	s_cbranch_vccz .LBB380_1066
; %bb.1062:
	s_cmp_eq_u32 s71, 44
	s_mov_b64 s[0:1], -1
	s_cbranch_scc0 .LBB380_1066
; %bb.1063:
	v_cndmask_b32_e64 v3, 0, 1.0, s[62:63]
	v_lshrrev_b32_e32 v2, 23, v3
	s_movk_i32 s0, 0xff
	v_cmp_ne_u32_e32 vcc, s0, v2
	v_mov_b32_e32 v4, 0xff
	s_and_saveexec_b64 s[64:65], vcc
; %bb.1064:
	s_mov_b32 s0, 0x3fffff
	v_and_b32_e32 v4, 0x400000, v3
	v_and_or_b32 v3, v3, s0, v2
	v_cmp_ne_u32_e32 vcc, 0, v4
	v_cmp_ne_u32_e64 s[0:1], 0, v3
	s_and_b64 s[0:1], vcc, s[0:1]
	v_cndmask_b32_e64 v3, 0, 1, s[0:1]
	v_add_u32_e32 v4, v2, v3
; %bb.1065:
	s_or_b64 exec, exec, s[64:65]
	s_mov_b64 s[64:65], -1
	s_mov_b64 s[0:1], 0
	global_store_byte v[0:1], v4, off
.LBB380_1066:
	s_mov_b64 s[66:67], 0
.LBB380_1067:
	s_and_b64 vcc, exec, s[66:67]
	s_cbranch_vccz .LBB380_1070
; %bb.1068:
	s_cmp_eq_u32 s71, 29
	s_mov_b64 s[0:1], -1
	s_cbranch_scc0 .LBB380_1070
; %bb.1069:
	s_mov_b32 s0, 0
	v_cndmask_b32_e64 v2, 0, 1, s[62:63]
	v_mov_b32_e32 v3, s0
	global_store_dwordx2 v[0:1], v[2:3], off
	s_mov_b64 s[64:65], -1
	s_mov_b64 s[0:1], 0
.LBB380_1070:
	s_mov_b64 s[66:67], 0
.LBB380_1071:
	s_and_b64 vcc, exec, s[66:67]
	s_cbranch_vccz .LBB380_1087
; %bb.1072:
	s_cmp_lt_i32 s71, 27
	s_mov_b64 s[64:65], -1
	s_cbranch_scc1 .LBB380_1078
; %bb.1073:
	s_cmp_gt_i32 s71, 27
	s_cbranch_scc0 .LBB380_1075
; %bb.1074:
	v_cndmask_b32_e64 v2, 0, 1, s[62:63]
	s_mov_b64 s[64:65], 0
	global_store_dword v[0:1], v2, off
.LBB380_1075:
	s_andn2_b64 vcc, exec, s[64:65]
	s_cbranch_vccnz .LBB380_1077
; %bb.1076:
	v_cndmask_b32_e64 v2, 0, 1, s[62:63]
	global_store_short v[0:1], v2, off
.LBB380_1077:
	s_mov_b64 s[64:65], 0
.LBB380_1078:
	s_andn2_b64 vcc, exec, s[64:65]
	s_cbranch_vccnz .LBB380_1086
; %bb.1079:
	v_cndmask_b32_e64 v3, 0, 1.0, s[62:63]
	s_mov_b32 s64, 0x43800000
	v_cmp_gt_u32_e32 vcc, s64, v3
	v_mov_b32_e32 v4, 0x80
	s_and_saveexec_b64 s[64:65], vcc
	s_cbranch_execz .LBB380_1085
; %bb.1080:
	s_mov_b32 s66, 0x3bffffff
	v_cmp_lt_u32_e32 vcc, s66, v3
	s_mov_b64 s[66:67], 0
                                        ; implicit-def: $vgpr2
	s_and_saveexec_b64 s[68:69], vcc
	s_xor_b64 s[68:69], exec, s[68:69]
	s_cbranch_execz .LBB380_1199
; %bb.1081:
	v_bfe_u32 v2, v3, 20, 1
	s_mov_b32 s76, 0x487ffff
	v_add3_u32 v2, v3, v2, s76
	s_mov_b64 s[66:67], exec
	v_lshrrev_b32_e32 v2, 20, v2
                                        ; implicit-def: $vgpr3
	s_andn2_saveexec_b64 s[68:69], s[68:69]
	s_cbranch_execnz .LBB380_1200
.LBB380_1082:
	s_or_b64 exec, exec, s[68:69]
	v_mov_b32_e32 v4, 0
	s_and_saveexec_b64 s[68:69], s[66:67]
.LBB380_1083:
	v_mov_b32_e32 v4, v2
.LBB380_1084:
	s_or_b64 exec, exec, s[68:69]
.LBB380_1085:
	s_or_b64 exec, exec, s[64:65]
	global_store_byte v[0:1], v4, off
.LBB380_1086:
	s_mov_b64 s[64:65], -1
.LBB380_1087:
	s_mov_b64 s[66:67], 0
.LBB380_1088:
	s_and_b64 vcc, exec, s[66:67]
	s_cbranch_vccz .LBB380_1129
; %bb.1089:
	s_cmp_gt_i32 s71, 22
	s_mov_b64 s[66:67], -1
	s_cbranch_scc0 .LBB380_1121
; %bb.1090:
	s_cmp_lt_i32 s71, 24
	s_mov_b64 s[64:65], -1
	s_cbranch_scc1 .LBB380_1110
; %bb.1091:
	s_cmp_gt_i32 s71, 24
	s_cbranch_scc0 .LBB380_1099
; %bb.1092:
	v_cndmask_b32_e64 v3, 0, 1.0, s[62:63]
	s_mov_b32 s64, 0x47800000
	v_cmp_gt_u32_e32 vcc, s64, v3
	v_mov_b32_e32 v4, 0x80
	s_and_saveexec_b64 s[64:65], vcc
	s_cbranch_execz .LBB380_1098
; %bb.1093:
	s_mov_b32 s66, 0x37ffffff
	v_cmp_lt_u32_e32 vcc, s66, v3
	s_mov_b64 s[66:67], 0
                                        ; implicit-def: $vgpr2
	s_and_saveexec_b64 s[68:69], vcc
	s_xor_b64 s[68:69], exec, s[68:69]
	s_cbranch_execz .LBB380_2236
; %bb.1094:
	v_bfe_u32 v2, v3, 21, 1
	s_mov_b32 s76, 0x88fffff
	v_add3_u32 v2, v3, v2, s76
	s_mov_b64 s[66:67], exec
	v_lshrrev_b32_e32 v2, 21, v2
                                        ; implicit-def: $vgpr3
	s_andn2_saveexec_b64 s[68:69], s[68:69]
	s_cbranch_execnz .LBB380_2237
.LBB380_1095:
	s_or_b64 exec, exec, s[68:69]
	v_mov_b32_e32 v4, 0
	s_and_saveexec_b64 s[68:69], s[66:67]
.LBB380_1096:
	v_mov_b32_e32 v4, v2
.LBB380_1097:
	s_or_b64 exec, exec, s[68:69]
.LBB380_1098:
	s_or_b64 exec, exec, s[64:65]
	s_mov_b64 s[64:65], 0
	global_store_byte v[0:1], v4, off
.LBB380_1099:
	s_and_b64 vcc, exec, s[64:65]
	s_cbranch_vccz .LBB380_1109
; %bb.1100:
	v_cndmask_b32_e64 v2, 0, 1.0, s[62:63]
	s_mov_b32 s64, 0x43f00000
	v_cmp_gt_u32_e32 vcc, s64, v2
                                        ; implicit-def: $vgpr3
	s_and_saveexec_b64 s[64:65], vcc
	s_xor_b64 s[64:65], exec, s[64:65]
	s_cbranch_execz .LBB380_1106
; %bb.1101:
	s_mov_b32 s66, 0x3c7fffff
	v_cmp_lt_u32_e32 vcc, s66, v2
                                        ; implicit-def: $vgpr3
	s_and_saveexec_b64 s[66:67], vcc
	s_xor_b64 s[66:67], exec, s[66:67]
; %bb.1102:
	v_bfe_u32 v3, v2, 20, 1
	s_mov_b32 s68, 0x407ffff
	v_add3_u32 v2, v2, v3, s68
	v_lshrrev_b32_e32 v3, 20, v2
	v_and_b32_e32 v2, 0xff00000, v2
	s_mov_b32 s68, 0x7f00000
	v_mov_b32_e32 v4, 0x7e
	v_cmp_ne_u32_e32 vcc, s68, v2
	v_cndmask_b32_e32 v3, v4, v3, vcc
                                        ; implicit-def: $vgpr2
; %bb.1103:
	s_andn2_saveexec_b64 s[66:67], s[66:67]
; %bb.1104:
	v_add_f32_e32 v3, 0x46800000, v2
; %bb.1105:
	s_or_b64 exec, exec, s[66:67]
                                        ; implicit-def: $vgpr2
.LBB380_1106:
	s_andn2_saveexec_b64 s[64:65], s[64:65]
; %bb.1107:
	s_mov_b32 s66, 0x7f800000
	v_mov_b32_e32 v3, 0x7e
	v_mov_b32_e32 v4, 0x7f
	v_cmp_lt_u32_e32 vcc, s66, v2
	v_cndmask_b32_e32 v3, v3, v4, vcc
; %bb.1108:
	s_or_b64 exec, exec, s[64:65]
	global_store_byte v[0:1], v3, off
.LBB380_1109:
	s_mov_b64 s[64:65], 0
.LBB380_1110:
	s_andn2_b64 vcc, exec, s[64:65]
	s_cbranch_vccnz .LBB380_1120
; %bb.1111:
	v_cndmask_b32_e64 v2, 0, 1.0, s[62:63]
	s_mov_b32 s64, 0x47800000
	v_cmp_gt_u32_e32 vcc, s64, v2
                                        ; implicit-def: $vgpr3
	s_and_saveexec_b64 s[64:65], vcc
	s_xor_b64 s[64:65], exec, s[64:65]
	s_cbranch_execz .LBB380_1117
; %bb.1112:
	s_mov_b32 s66, 0x387fffff
	v_cmp_lt_u32_e32 vcc, s66, v2
                                        ; implicit-def: $vgpr3
	s_and_saveexec_b64 s[66:67], vcc
	s_xor_b64 s[66:67], exec, s[66:67]
; %bb.1113:
	v_bfe_u32 v3, v2, 21, 1
	s_mov_b32 s68, 0x80fffff
	v_add3_u32 v2, v2, v3, s68
	v_lshrrev_b32_e32 v3, 21, v2
                                        ; implicit-def: $vgpr2
; %bb.1114:
	s_andn2_saveexec_b64 s[66:67], s[66:67]
; %bb.1115:
	v_add_f32_e32 v3, 0x43000000, v2
; %bb.1116:
	s_or_b64 exec, exec, s[66:67]
                                        ; implicit-def: $vgpr2
.LBB380_1117:
	s_andn2_saveexec_b64 s[64:65], s[64:65]
; %bb.1118:
	s_mov_b32 s66, 0x7f800000
	v_mov_b32_e32 v3, 0x7c
	v_mov_b32_e32 v4, 0x7f
	v_cmp_lt_u32_e32 vcc, s66, v2
	v_cndmask_b32_e32 v3, v3, v4, vcc
; %bb.1119:
	s_or_b64 exec, exec, s[64:65]
	global_store_byte v[0:1], v3, off
.LBB380_1120:
	s_mov_b64 s[66:67], 0
	s_mov_b64 s[64:65], -1
.LBB380_1121:
	s_andn2_b64 vcc, exec, s[66:67]
	s_cbranch_vccnz .LBB380_1129
; %bb.1122:
	s_cmp_gt_i32 s71, 14
	s_mov_b64 s[66:67], -1
	s_cbranch_scc0 .LBB380_1126
; %bb.1123:
	s_cmp_eq_u32 s71, 15
	s_mov_b64 s[0:1], -1
	s_cbranch_scc0 .LBB380_1125
; %bb.1124:
	v_cndmask_b32_e64 v2, 0, 1.0, s[62:63]
	v_bfe_u32 v3, v2, 16, 1
	s_movk_i32 s0, 0x7fff
	v_add3_u32 v2, v2, v3, s0
	global_store_short_d16_hi v[0:1], v2, off
	s_mov_b64 s[64:65], -1
	s_mov_b64 s[0:1], 0
.LBB380_1125:
	s_mov_b64 s[66:67], 0
.LBB380_1126:
	s_and_b64 vcc, exec, s[66:67]
	s_cbranch_vccz .LBB380_1129
; %bb.1127:
	s_cmp_eq_u32 s71, 11
	s_mov_b64 s[0:1], -1
	s_cbranch_scc0 .LBB380_1129
; %bb.1128:
	v_cndmask_b32_e64 v2, 0, 1, s[62:63]
	s_mov_b64 s[64:65], -1
	s_mov_b64 s[0:1], 0
	global_store_byte v[0:1], v2, off
.LBB380_1129:
	s_mov_b64 s[66:67], 0
.LBB380_1130:
	s_and_b64 vcc, exec, s[66:67]
	s_cbranch_vccz .LBB380_1169
; %bb.1131:
	s_and_b32 s14, 0xffff, s14
	s_cmp_lt_i32 s14, 5
	s_mov_b64 s[64:65], -1
	s_cbranch_scc1 .LBB380_1152
; %bb.1132:
	s_cmp_lt_i32 s14, 8
	s_cbranch_scc1 .LBB380_1142
; %bb.1133:
	s_cmp_lt_i32 s14, 9
	s_cbranch_scc1 .LBB380_1139
; %bb.1134:
	s_cmp_gt_i32 s14, 9
	s_cbranch_scc0 .LBB380_1136
; %bb.1135:
	v_cndmask_b32_e64 v2, 0, 1, s[62:63]
	v_cvt_f64_u32_e32 v[2:3], v2
	v_mov_b32_e32 v4, 0
	v_mov_b32_e32 v5, v4
	s_mov_b64 s[64:65], 0
	global_store_dwordx4 v[0:1], v[2:5], off
.LBB380_1136:
	s_andn2_b64 vcc, exec, s[64:65]
	s_cbranch_vccnz .LBB380_1138
; %bb.1137:
	v_cndmask_b32_e64 v2, 0, 1.0, s[62:63]
	v_mov_b32_e32 v3, 0
	global_store_dwordx2 v[0:1], v[2:3], off
.LBB380_1138:
	s_mov_b64 s[64:65], 0
.LBB380_1139:
	s_andn2_b64 vcc, exec, s[64:65]
	s_cbranch_vccnz .LBB380_1141
; %bb.1140:
	v_cndmask_b32_e64 v2, 0, 1.0, s[62:63]
	v_cvt_f16_f32_e32 v2, v2
	global_store_dword v[0:1], v2, off
.LBB380_1141:
	s_mov_b64 s[64:65], 0
.LBB380_1142:
	s_andn2_b64 vcc, exec, s[64:65]
	s_cbranch_vccnz .LBB380_1151
; %bb.1143:
	s_cmp_lt_i32 s14, 6
	s_mov_b64 s[64:65], -1
	s_cbranch_scc1 .LBB380_1149
; %bb.1144:
	s_cmp_gt_i32 s14, 6
	s_cbranch_scc0 .LBB380_1146
; %bb.1145:
	v_cndmask_b32_e64 v2, 0, 1, s[62:63]
	v_cvt_f64_u32_e32 v[2:3], v2
	s_mov_b64 s[64:65], 0
	global_store_dwordx2 v[0:1], v[2:3], off
.LBB380_1146:
	s_andn2_b64 vcc, exec, s[64:65]
	s_cbranch_vccnz .LBB380_1148
; %bb.1147:
	v_cndmask_b32_e64 v2, 0, 1.0, s[62:63]
	global_store_dword v[0:1], v2, off
.LBB380_1148:
	s_mov_b64 s[64:65], 0
.LBB380_1149:
	s_andn2_b64 vcc, exec, s[64:65]
	s_cbranch_vccnz .LBB380_1151
; %bb.1150:
	v_cndmask_b32_e64 v2, 0, 1.0, s[62:63]
	v_cvt_f16_f32_e32 v2, v2
	global_store_short v[0:1], v2, off
.LBB380_1151:
	s_mov_b64 s[64:65], 0
.LBB380_1152:
	s_andn2_b64 vcc, exec, s[64:65]
	s_cbranch_vccnz .LBB380_1168
; %bb.1153:
	s_cmp_lt_i32 s14, 2
	s_mov_b64 s[64:65], -1
	s_cbranch_scc1 .LBB380_1163
; %bb.1154:
	s_cmp_lt_i32 s14, 3
	s_cbranch_scc1 .LBB380_1160
; %bb.1155:
	s_cmp_gt_i32 s14, 3
	s_cbranch_scc0 .LBB380_1157
; %bb.1156:
	s_mov_b32 s64, 0
	v_cndmask_b32_e64 v2, 0, 1, s[62:63]
	v_mov_b32_e32 v3, s64
	s_mov_b64 s[64:65], 0
	global_store_dwordx2 v[0:1], v[2:3], off
.LBB380_1157:
	s_andn2_b64 vcc, exec, s[64:65]
	s_cbranch_vccnz .LBB380_1159
; %bb.1158:
	v_cndmask_b32_e64 v2, 0, 1, s[62:63]
	global_store_dword v[0:1], v2, off
.LBB380_1159:
	s_mov_b64 s[64:65], 0
.LBB380_1160:
	s_andn2_b64 vcc, exec, s[64:65]
	s_cbranch_vccnz .LBB380_1162
; %bb.1161:
	v_cndmask_b32_e64 v2, 0, 1, s[62:63]
	global_store_short v[0:1], v2, off
.LBB380_1162:
	s_mov_b64 s[64:65], 0
.LBB380_1163:
	s_andn2_b64 vcc, exec, s[64:65]
	s_cbranch_vccnz .LBB380_1168
; %bb.1164:
	s_mov_b64 s[64:65], -1
	s_cmp_gt_i32 s14, 0
	v_cndmask_b32_e64 v2, 0, 1, s[62:63]
	s_cbranch_scc0 .LBB380_1166
; %bb.1165:
	s_mov_b64 s[64:65], 0
	global_store_byte v[0:1], v2, off
.LBB380_1166:
	s_andn2_b64 vcc, exec, s[64:65]
	s_cbranch_vccnz .LBB380_1168
; %bb.1167:
	global_store_byte v[0:1], v2, off
.LBB380_1168:
	s_mov_b64 s[64:65], -1
.LBB380_1169:
	s_andn2_b64 vcc, exec, s[64:65]
	s_cbranch_vccnz .LBB380_1181
; %bb.1170:
	v_add_u32_e32 v10, 0x80, v10
	s_mov_b64 s[64:65], -1
.LBB380_1171:
	s_andn2_b64 s[62:63], s[52:53], exec
	s_and_b64 s[0:1], s[0:1], exec
	s_or_b64 s[62:63], s[62:63], s[0:1]
	s_andn2_b64 s[0:1], s[50:51], exec
	s_and_b64 s[60:61], s[60:61], exec
	s_or_b64 s[60:61], s[0:1], s[60:61]
	;; [unrolled: 3-line block ×3, first 2 shown]
	s_orn2_b64 s[68:69], s[64:65], exec
.LBB380_1172:
	s_or_b64 exec, exec, s[56:57]
	s_mov_b64 s[64:65], 0
	s_mov_b64 s[58:59], 0
	;; [unrolled: 1-line block ×3, first 2 shown]
                                        ; implicit-def: $sgpr14
                                        ; implicit-def: $vgpr4_vgpr5
                                        ; implicit-def: $vgpr0
                                        ; implicit-def: $vgpr3
                                        ; implicit-def: $vgpr1
	s_and_saveexec_b64 s[56:57], s[68:69]
	s_cbranch_execz .LBB380_1263
; %bb.1173:
	v_cmp_gt_i32_e32 vcc, s70, v10
	s_mov_b64 s[68:69], s[0:1]
	s_mov_b64 s[70:71], 0
                                        ; implicit-def: $sgpr14
                                        ; implicit-def: $vgpr4_vgpr5
                                        ; implicit-def: $vgpr0
                                        ; implicit-def: $vgpr3
                                        ; implicit-def: $vgpr1
	s_and_saveexec_b64 s[58:59], vcc
	s_cbranch_execz .LBB380_1262
; %bb.1174:
	s_andn2_b64 vcc, exec, s[24:25]
	s_cbranch_vccnz .LBB380_1180
; %bb.1175:
	s_andn2_b64 vcc, exec, s[38:39]
	s_cbranch_vccnz .LBB380_1182
; %bb.1176:
	s_add_i32 s14, s75, 1
	s_and_b32 s14, s14, 30
	s_add_u32 s38, s2, 0xffffffe8
	s_addc_u32 s39, s3, -1
	v_mov_b32_e32 v3, 0
	s_waitcnt vmcnt(0)
	v_mov_b32_e32 v5, 0
	v_mov_b32_e32 v0, 0
	;; [unrolled: 1-line block ×3, first 2 shown]
.LBB380_1177:                           ; =>This Inner Loop Header: Depth=1
	s_load_dwordx4 s[64:67], s[38:39], 0x1c
	s_load_dwordx2 s[76:77], s[38:39], 0x2c
	s_load_dwordx2 s[78:79], s[38:39], 0xec
	s_load_dwordx4 s[68:71], s[38:39], 0xdc
	s_add_u32 s38, s38, 24
	s_waitcnt lgkmcnt(0)
	v_mul_hi_u32 v2, s65, v1
	s_addc_u32 s39, s39, 0
	s_add_i32 s14, s14, -2
	s_cmp_eq_u32 s14, 0
	v_add_u32_e32 v2, v1, v2
	v_lshrrev_b32_e32 v2, s66, v2
	v_mul_lo_u32 v4, v2, s64
	v_mul_hi_u32 v6, s76, v2
	v_sub_u32_e32 v4, v1, v4
	v_add_u32_e32 v1, v2, v6
	v_lshrrev_b32_e32 v1, s77, v1
	v_mul_lo_u32 v8, v1, s67
	v_mul_lo_u32 v6, v4, s68
	v_mul_lo_u32 v7, v4, s69
	v_mul_lo_u32 v4, v4, s70
	v_sub_u32_e32 v2, v2, v8
	v_mul_lo_u32 v8, v2, s71
	v_mul_lo_u32 v9, v2, s78
	v_mul_lo_u32 v2, v2, s79
	v_add3_u32 v0, v6, v0, v8
	v_add3_u32 v5, v7, v5, v9
	;; [unrolled: 1-line block ×3, first 2 shown]
	s_cbranch_scc0 .LBB380_1177
; %bb.1178:
	s_bitcmp1_b32 s75, 0
	s_cselect_b64 s[64:65], -1, 0
	s_and_b64 vcc, exec, s[64:65]
	s_cbranch_vccnz .LBB380_1183
; %bb.1179:
	s_load_dwordx2 s[64:65], s[38:39], 0x1c
	s_load_dword s14, s[38:39], 0x24
	s_load_dwordx2 s[66:67], s[38:39], 0xdc
	s_waitcnt lgkmcnt(0)
	v_mul_hi_u32 v2, s65, v1
	v_add_u32_e32 v2, v1, v2
	v_lshrrev_b32_e32 v2, s14, v2
	v_mul_lo_u32 v2, v2, s64
	s_load_dword s14, s[38:39], 0xe4
	v_sub_u32_e32 v2, v1, v2
	v_mad_u64_u32 v[0:1], s[38:39], v2, s66, v[0:1]
	v_mad_u64_u32 v[5:6], s[38:39], v2, s67, v[5:6]
	s_waitcnt lgkmcnt(0)
	v_mad_u64_u32 v[3:4], s[38:39], v2, s14, v[3:4]
	s_branch .LBB380_1183
.LBB380_1180:
	s_mov_b64 s[38:39], -1
                                        ; implicit-def: $vgpr0
                                        ; implicit-def: $vgpr5
                                        ; implicit-def: $vgpr3
	s_branch .LBB380_1184
.LBB380_1181:
	s_mov_b64 s[64:65], 0
	s_branch .LBB380_928
.LBB380_1182:
	v_mov_b32_e32 v0, 0
	s_waitcnt vmcnt(0)
	v_mov_b32_e32 v5, 0
	v_mov_b32_e32 v3, 0
.LBB380_1183:
	s_mov_b64 s[38:39], 0
.LBB380_1184:
	s_andn2_b64 vcc, exec, s[38:39]
	s_cbranch_vccnz .LBB380_1187
; %bb.1185:
	v_mul_hi_u32 v0, s17, v10
	s_andn2_b64 vcc, exec, s[36:37]
	v_add_u32_e32 v0, v10, v0
	s_waitcnt vmcnt(0)
	v_lshrrev_b32_e32 v1, s18, v0
	v_mul_lo_u32 v0, v1, s16
	v_sub_u32_e32 v2, v10, v0
	v_mul_lo_u32 v0, v2, s20
	v_mul_lo_u32 v5, v2, s21
	v_mul_lo_u32 v3, v2, s22
	s_cbranch_vccnz .LBB380_1187
; %bb.1186:
	v_mul_hi_u32 v2, s34, v1
	v_add_u32_e32 v2, v1, v2
	v_lshrrev_b32_e32 v2, s35, v2
	v_mul_lo_u32 v2, v2, s19
	v_sub_u32_e32 v2, v1, v2
	v_mad_u64_u32 v[0:1], s[16:17], v2, s23, v[0:1]
	v_mad_u64_u32 v[5:6], s[16:17], v2, s30, v[5:6]
	;; [unrolled: 1-line block ×3, first 2 shown]
.LBB380_1187:
	s_waitcnt vmcnt(0)
	v_mov_b32_e32 v1, s11
	s_and_b32 s14, s74, 0xff
	v_add_co_u32_e32 v4, vcc, s10, v5
	s_cmp_lt_i32 s14, 11
	v_addc_co_u32_e32 v5, vcc, 0, v1, vcc
	s_cbranch_scc1 .LBB380_1194
; %bb.1188:
	s_and_b32 s22, 0xffff, s14
	s_cmp_gt_i32 s22, 25
	s_mov_b64 s[16:17], 0
	s_cbranch_scc0 .LBB380_1195
; %bb.1189:
	s_cmp_gt_i32 s22, 28
	s_cbranch_scc0 .LBB380_1196
; %bb.1190:
	s_cmp_gt_i32 s22, 43
	s_cbranch_scc0 .LBB380_1197
; %bb.1191:
	s_cmp_gt_i32 s22, 45
	s_cbranch_scc0 .LBB380_1198
; %bb.1192:
	s_cmp_eq_u32 s22, 46
	s_mov_b64 s[20:21], 0
	s_cbranch_scc0 .LBB380_1201
; %bb.1193:
	global_load_dword v1, v[4:5], off
	s_mov_b64 s[10:11], 0
	s_mov_b64 s[18:19], -1
	s_waitcnt vmcnt(0)
	v_lshlrev_b32_e32 v1, 16, v1
	v_cvt_i32_f32_e32 v1, v1
	s_branch .LBB380_1202
.LBB380_1194:
	s_mov_b64 s[20:21], -1
	s_mov_b64 s[18:19], 0
	s_mov_b64 s[16:17], 0
	;; [unrolled: 1-line block ×3, first 2 shown]
                                        ; implicit-def: $vgpr1
	s_branch .LBB380_1261
.LBB380_1195:
	s_mov_b64 s[20:21], -1
	s_mov_b64 s[18:19], 0
	s_mov_b64 s[10:11], s[0:1]
                                        ; implicit-def: $vgpr1
	s_branch .LBB380_1229
.LBB380_1196:
	s_mov_b64 s[20:21], -1
	s_mov_b64 s[18:19], 0
	s_mov_b64 s[10:11], s[0:1]
                                        ; implicit-def: $vgpr1
	s_branch .LBB380_1212
.LBB380_1197:
	s_mov_b64 s[20:21], -1
	s_mov_b64 s[18:19], 0
	s_mov_b64 s[10:11], s[0:1]
                                        ; implicit-def: $vgpr1
	s_branch .LBB380_1207
.LBB380_1198:
	s_mov_b64 s[20:21], -1
	s_mov_b64 s[18:19], 0
	s_mov_b64 s[10:11], s[0:1]
                                        ; implicit-def: $vgpr1
	s_branch .LBB380_1202
.LBB380_1199:
	s_andn2_saveexec_b64 s[68:69], s[68:69]
	s_cbranch_execz .LBB380_1082
.LBB380_1200:
	v_add_f32_e32 v2, 0x46000000, v3
	v_and_b32_e32 v2, 0xff, v2
	v_cmp_ne_u32_e32 vcc, 0, v2
	s_andn2_b64 s[66:67], s[66:67], exec
	s_and_b64 s[76:77], vcc, exec
	s_or_b64 s[66:67], s[66:67], s[76:77]
	s_or_b64 exec, exec, s[68:69]
	v_mov_b32_e32 v4, 0
	s_and_saveexec_b64 s[68:69], s[66:67]
	s_cbranch_execnz .LBB380_1083
	s_branch .LBB380_1084
.LBB380_1201:
	s_mov_b64 s[10:11], -1
                                        ; implicit-def: $vgpr1
	s_mov_b64 s[18:19], 0
.LBB380_1202:
	s_and_b64 vcc, exec, s[20:21]
	s_cbranch_vccz .LBB380_1206
; %bb.1203:
	s_cmp_eq_u32 s22, 44
	s_cbranch_scc0 .LBB380_1205
; %bb.1204:
	global_load_ubyte v1, v[4:5], off
	s_mov_b64 s[10:11], 0
	s_mov_b64 s[18:19], -1
	s_waitcnt vmcnt(0)
	v_lshlrev_b32_e32 v2, 23, v1
	v_cvt_i32_f32_e32 v2, v2
	v_cmp_ne_u32_e32 vcc, 0, v1
	v_cndmask_b32_e32 v1, 0, v2, vcc
	s_branch .LBB380_1206
.LBB380_1205:
	s_mov_b64 s[10:11], -1
                                        ; implicit-def: $vgpr1
.LBB380_1206:
	s_mov_b64 s[20:21], 0
.LBB380_1207:
	s_and_b64 vcc, exec, s[20:21]
	s_cbranch_vccz .LBB380_1211
; %bb.1208:
	s_cmp_eq_u32 s22, 29
	s_cbranch_scc0 .LBB380_1210
; %bb.1209:
	global_load_dwordx2 v[1:2], v[4:5], off
	s_mov_b64 s[10:11], 0
	s_mov_b64 s[18:19], -1
	s_branch .LBB380_1211
.LBB380_1210:
	s_mov_b64 s[10:11], -1
                                        ; implicit-def: $vgpr1
.LBB380_1211:
	s_mov_b64 s[20:21], 0
.LBB380_1212:
	s_and_b64 vcc, exec, s[20:21]
	s_cbranch_vccz .LBB380_1228
; %bb.1213:
	s_cmp_lt_i32 s22, 27
	s_cbranch_scc1 .LBB380_1216
; %bb.1214:
	s_cmp_gt_i32 s22, 27
	s_cbranch_scc0 .LBB380_1217
; %bb.1215:
	global_load_dword v1, v[4:5], off
	s_mov_b64 s[18:19], 0
	s_branch .LBB380_1218
.LBB380_1216:
	s_mov_b64 s[18:19], -1
                                        ; implicit-def: $vgpr1
	s_branch .LBB380_1221
.LBB380_1217:
	s_mov_b64 s[18:19], -1
                                        ; implicit-def: $vgpr1
.LBB380_1218:
	s_andn2_b64 vcc, exec, s[18:19]
	s_cbranch_vccnz .LBB380_1220
; %bb.1219:
	global_load_ushort v1, v[4:5], off
.LBB380_1220:
	s_mov_b64 s[18:19], 0
.LBB380_1221:
	s_andn2_b64 vcc, exec, s[18:19]
	s_cbranch_vccnz .LBB380_1227
; %bb.1222:
	global_load_ubyte v2, v[4:5], off
	s_movk_i32 s18, 0x7f
	s_mov_b64 s[20:21], 0
	s_waitcnt vmcnt(0)
	v_cmp_lt_i16_e32 vcc, s18, v2
	s_and_saveexec_b64 s[18:19], vcc
	s_xor_b64 s[18:19], exec, s[18:19]
	s_cbranch_execz .LBB380_1239
; %bb.1223:
	s_movk_i32 s20, 0x80
	v_cmp_ne_u16_e32 vcc, s20, v2
	s_and_b64 s[20:21], vcc, exec
	s_andn2_saveexec_b64 s[18:19], s[18:19]
	s_cbranch_execnz .LBB380_1240
.LBB380_1224:
	s_or_b64 exec, exec, s[18:19]
	v_mov_b32_e32 v1, 0
	s_and_saveexec_b64 s[18:19], s[20:21]
	s_cbranch_execz .LBB380_1226
.LBB380_1225:
	v_lshlrev_b32_e32 v1, 24, v2
	v_and_b32_e32 v2, 0xffff, v2
	v_and_b32_e32 v6, 7, v2
	v_ffbh_u32_e32 v8, v6
	v_min_u32_e32 v8, 32, v8
	v_subrev_u32_e32 v9, 28, v8
	v_bfe_u32 v7, v2, 3, 4
	v_lshlrev_b32_e32 v2, v9, v2
	v_sub_u32_e32 v8, 29, v8
	v_and_b32_e32 v2, 7, v2
	v_cmp_eq_u32_e32 vcc, 0, v7
	v_cndmask_b32_e32 v7, v7, v8, vcc
	v_cndmask_b32_e32 v2, v6, v2, vcc
	v_mov_b32_e32 v6, 0x3b800000
	v_lshlrev_b32_e32 v2, 20, v2
	v_and_b32_e32 v1, 0x80000000, v1
	v_lshl_add_u32 v6, v7, 23, v6
	v_or3_b32 v1, v1, v6, v2
	v_cvt_i32_f32_e32 v1, v1
.LBB380_1226:
	s_or_b64 exec, exec, s[18:19]
.LBB380_1227:
	s_mov_b64 s[18:19], -1
.LBB380_1228:
	s_mov_b64 s[20:21], 0
.LBB380_1229:
	s_and_b64 vcc, exec, s[20:21]
	s_cbranch_vccz .LBB380_1260
; %bb.1230:
	s_cmp_gt_i32 s22, 22
	s_cbranch_scc0 .LBB380_1238
; %bb.1231:
	s_cmp_lt_i32 s22, 24
	s_cbranch_scc1 .LBB380_1241
; %bb.1232:
	s_cmp_gt_i32 s22, 24
	s_cbranch_scc0 .LBB380_1242
; %bb.1233:
	global_load_ubyte v2, v[4:5], off
	s_movk_i32 s16, 0x7f
	s_mov_b64 s[18:19], 0
	s_waitcnt vmcnt(0)
	v_cmp_lt_i16_e32 vcc, s16, v2
	s_and_saveexec_b64 s[16:17], vcc
	s_xor_b64 s[16:17], exec, s[16:17]
	s_cbranch_execz .LBB380_1254
; %bb.1234:
	s_movk_i32 s18, 0x80
	v_cmp_ne_u16_e32 vcc, s18, v2
	s_and_b64 s[18:19], vcc, exec
	s_andn2_saveexec_b64 s[16:17], s[16:17]
	s_cbranch_execnz .LBB380_1255
.LBB380_1235:
	s_or_b64 exec, exec, s[16:17]
	v_mov_b32_e32 v1, 0
	s_and_saveexec_b64 s[16:17], s[18:19]
	s_cbranch_execz .LBB380_1237
.LBB380_1236:
	v_lshlrev_b32_e32 v1, 24, v2
	v_and_b32_e32 v2, 0xffff, v2
	v_and_b32_e32 v6, 3, v2
	v_ffbh_u32_e32 v8, v6
	v_min_u32_e32 v8, 32, v8
	v_subrev_u32_e32 v9, 29, v8
	v_bfe_u32 v7, v2, 2, 5
	v_lshlrev_b32_e32 v2, v9, v2
	v_sub_u32_e32 v8, 30, v8
	v_and_b32_e32 v2, 3, v2
	v_cmp_eq_u32_e32 vcc, 0, v7
	v_cndmask_b32_e32 v7, v7, v8, vcc
	v_cndmask_b32_e32 v2, v6, v2, vcc
	v_mov_b32_e32 v6, 0x37800000
	v_lshlrev_b32_e32 v2, 21, v2
	v_and_b32_e32 v1, 0x80000000, v1
	v_lshl_add_u32 v6, v7, 23, v6
	v_or3_b32 v1, v1, v6, v2
	v_cvt_i32_f32_e32 v1, v1
.LBB380_1237:
	s_or_b64 exec, exec, s[16:17]
	s_mov_b64 s[16:17], 0
	s_branch .LBB380_1243
.LBB380_1238:
	s_mov_b64 s[16:17], -1
                                        ; implicit-def: $vgpr1
	s_branch .LBB380_1249
.LBB380_1239:
	s_andn2_saveexec_b64 s[18:19], s[18:19]
	s_cbranch_execz .LBB380_1224
.LBB380_1240:
	v_cmp_ne_u16_e32 vcc, 0, v2
	s_andn2_b64 s[20:21], s[20:21], exec
	s_and_b64 s[30:31], vcc, exec
	s_or_b64 s[20:21], s[20:21], s[30:31]
	s_or_b64 exec, exec, s[18:19]
	v_mov_b32_e32 v1, 0
	s_and_saveexec_b64 s[18:19], s[20:21]
	s_cbranch_execnz .LBB380_1225
	s_branch .LBB380_1226
.LBB380_1241:
	s_mov_b64 s[16:17], -1
                                        ; implicit-def: $vgpr1
	s_branch .LBB380_1246
.LBB380_1242:
	s_mov_b64 s[16:17], -1
                                        ; implicit-def: $vgpr1
.LBB380_1243:
	s_and_b64 vcc, exec, s[16:17]
	s_cbranch_vccz .LBB380_1245
; %bb.1244:
	global_load_ubyte v1, v[4:5], off
	s_mov_b32 s16, 0x7f800000
	s_waitcnt vmcnt(0)
	v_lshlrev_b32_e32 v1, 24, v1
	v_and_b32_e32 v2, 0x7f000000, v1
	v_ffbh_u32_e32 v6, v2
	v_min_u32_e32 v6, 32, v6
	v_sub_u32_e64 v6, v6, 4 clamp
	v_lshlrev_b32_e32 v8, v6, v2
	v_lshlrev_b32_e32 v6, 23, v6
	v_lshrrev_b32_e32 v8, 4, v8
	v_add_u32_e32 v7, 0x1000000, v2
	v_sub_u32_e32 v6, v8, v6
	v_ashrrev_i32_e32 v7, 8, v7
	v_add_u32_e32 v6, 0x3c000000, v6
	v_and_or_b32 v6, v7, s16, v6
	v_cmp_ne_u32_e32 vcc, 0, v2
	v_cndmask_b32_e32 v2, 0, v6, vcc
	s_brev_b32 s16, 1
	v_and_or_b32 v1, v1, s16, v2
	v_cvt_i32_f32_e32 v1, v1
.LBB380_1245:
	s_mov_b64 s[16:17], 0
.LBB380_1246:
	s_andn2_b64 vcc, exec, s[16:17]
	s_cbranch_vccnz .LBB380_1248
; %bb.1247:
	global_load_ubyte v1, v[4:5], off
	s_movk_i32 s16, 0x7f00
	s_brev_b32 s17, 16
	s_waitcnt vmcnt(0)
	v_lshlrev_b16_e32 v2, 8, v1
	v_lshlrev_b32_e32 v1, 25, v1
	v_lshrrev_b32_e32 v6, 4, v1
	v_and_or_b32 v7, v2, s16, 0.5
	v_or_b32_e32 v6, 0x70000000, v6
	v_add_f32_e32 v7, -0.5, v7
	v_mul_f32_e32 v6, 0x7800000, v6
	v_cmp_gt_u32_e32 vcc, s17, v1
	v_bfe_i32 v2, v2, 0, 16
	v_cndmask_b32_e32 v1, v6, v7, vcc
	s_brev_b32 s16, 1
	v_and_or_b32 v1, v2, s16, v1
	v_cvt_i32_f32_e32 v1, v1
.LBB380_1248:
	s_mov_b64 s[16:17], 0
	s_mov_b64 s[18:19], -1
.LBB380_1249:
	s_andn2_b64 vcc, exec, s[16:17]
	s_mov_b64 s[16:17], 0
	s_cbranch_vccnz .LBB380_1260
; %bb.1250:
	s_cmp_gt_i32 s22, 14
	s_cbranch_scc0 .LBB380_1253
; %bb.1251:
	s_cmp_eq_u32 s22, 15
	s_cbranch_scc0 .LBB380_1256
; %bb.1252:
	global_load_ushort v1, v[4:5], off
	s_mov_b64 s[10:11], 0
	s_mov_b64 s[18:19], -1
	s_waitcnt vmcnt(0)
	v_lshlrev_b32_e32 v1, 16, v1
	v_cvt_i32_f32_e32 v1, v1
	s_branch .LBB380_1257
.LBB380_1253:
	s_mov_b64 s[20:21], -1
                                        ; implicit-def: $vgpr1
	s_branch .LBB380_1258
.LBB380_1254:
	s_andn2_saveexec_b64 s[16:17], s[16:17]
	s_cbranch_execz .LBB380_1235
.LBB380_1255:
	v_cmp_ne_u16_e32 vcc, 0, v2
	s_andn2_b64 s[18:19], s[18:19], exec
	s_and_b64 s[20:21], vcc, exec
	s_or_b64 s[18:19], s[18:19], s[20:21]
	s_or_b64 exec, exec, s[16:17]
	v_mov_b32_e32 v1, 0
	s_and_saveexec_b64 s[16:17], s[18:19]
	s_cbranch_execnz .LBB380_1236
	s_branch .LBB380_1237
.LBB380_1256:
	s_mov_b64 s[10:11], -1
                                        ; implicit-def: $vgpr1
.LBB380_1257:
	s_mov_b64 s[20:21], 0
.LBB380_1258:
	s_and_b64 vcc, exec, s[20:21]
	s_cbranch_vccz .LBB380_1260
; %bb.1259:
	s_cmp_lg_u32 s22, 11
	s_cselect_b64 s[20:21], -1, 0
	s_andn2_b64 s[10:11], s[10:11], exec
	s_and_b64 s[20:21], s[20:21], exec
	s_mov_b64 s[16:17], -1
	s_or_b64 s[10:11], s[10:11], s[20:21]
.LBB380_1260:
	s_mov_b64 s[20:21], 0
.LBB380_1261:
	s_and_b64 s[64:65], s[16:17], exec
	s_andn2_b64 s[16:17], s[0:1], exec
	s_and_b64 s[10:11], s[10:11], exec
	s_and_b64 s[66:67], s[18:19], exec
	;; [unrolled: 1-line block ×3, first 2 shown]
	s_or_b64 s[68:69], s[16:17], s[10:11]
.LBB380_1262:
	s_or_b64 exec, exec, s[58:59]
	s_andn2_b64 s[0:1], s[0:1], exec
	s_and_b64 s[10:11], s[68:69], exec
	s_and_b64 s[66:67], s[66:67], exec
	;; [unrolled: 1-line block ×4, first 2 shown]
	s_or_b64 s[0:1], s[0:1], s[10:11]
.LBB380_1263:
	s_or_b64 exec, exec, s[56:57]
	s_andn2_b64 s[10:11], s[52:53], exec
	s_and_b64 s[16:17], s[62:63], exec
	s_or_b64 s[52:53], s[10:11], s[16:17]
	s_andn2_b64 s[10:11], s[50:51], exec
	s_and_b64 s[16:17], s[60:61], exec
	s_or_b64 s[50:51], s[10:11], s[16:17]
	s_andn2_b64 s[10:11], s[48:49], exec
	s_and_b64 s[0:1], s[0:1], exec
	s_and_b64 s[60:61], s[66:67], exec
	;; [unrolled: 1-line block ×4, first 2 shown]
	s_or_b64 s[48:49], s[10:11], s[0:1]
.LBB380_1264:
	s_or_b64 exec, exec, s[54:55]
	s_andn2_b64 s[0:1], s[40:41], exec
	s_and_b64 s[10:11], s[52:53], exec
	s_or_b64 s[40:41], s[0:1], s[10:11]
	s_andn2_b64 s[0:1], s[42:43], exec
	s_and_b64 s[10:11], s[50:51], exec
	s_or_b64 s[42:43], s[0:1], s[10:11]
	s_andn2_b64 s[0:1], s[44:45], exec
	s_and_b64 s[10:11], s[48:49], exec
	s_and_b64 s[52:53], s[60:61], exec
	;; [unrolled: 1-line block ×4, first 2 shown]
	s_or_b64 s[44:45], s[0:1], s[10:11]
	s_or_b64 exec, exec, s[46:47]
	s_mov_b64 s[10:11], 0
	s_and_saveexec_b64 s[0:1], s[44:45]
	s_cbranch_execz .LBB380_395
.LBB380_1265:
	s_mov_b64 s[10:11], exec
	s_andn2_b64 s[50:51], s[50:51], exec
	s_trap 2
	s_or_b64 exec, exec, s[0:1]
	s_and_saveexec_b64 s[0:1], s[50:51]
	s_xor_b64 s[0:1], exec, s[0:1]
	s_cbranch_execnz .LBB380_396
.LBB380_1266:
	s_or_b64 exec, exec, s[0:1]
	s_and_saveexec_b64 s[0:1], s[54:55]
	s_cbranch_execz .LBB380_1312
.LBB380_1267:
	s_sext_i32_i16 s16, s14
	s_cmp_lt_i32 s16, 5
	s_cbranch_scc1 .LBB380_1272
; %bb.1268:
	s_cmp_lt_i32 s16, 8
	s_cbranch_scc1 .LBB380_1273
; %bb.1269:
	s_cmp_lt_i32 s16, 9
	s_cbranch_scc1 .LBB380_1274
; %bb.1270:
	s_cmp_gt_i32 s16, 9
	s_cbranch_scc0 .LBB380_1275
; %bb.1271:
	s_waitcnt vmcnt(0)
	global_load_dwordx2 v[1:2], v[4:5], off
	s_mov_b64 s[16:17], 0
	s_waitcnt vmcnt(0)
	v_cvt_i32_f64_e32 v1, v[1:2]
	s_branch .LBB380_1276
.LBB380_1272:
                                        ; implicit-def: $vgpr1
	s_branch .LBB380_1293
.LBB380_1273:
                                        ; implicit-def: $vgpr1
	s_branch .LBB380_1282
.LBB380_1274:
	s_mov_b64 s[16:17], -1
                                        ; implicit-def: $vgpr1
	s_branch .LBB380_1279
.LBB380_1275:
	s_mov_b64 s[16:17], -1
                                        ; implicit-def: $vgpr1
.LBB380_1276:
	s_andn2_b64 vcc, exec, s[16:17]
	s_cbranch_vccnz .LBB380_1278
; %bb.1277:
	s_waitcnt vmcnt(0)
	global_load_dword v1, v[4:5], off
	s_waitcnt vmcnt(0)
	v_cvt_i32_f32_e32 v1, v1
.LBB380_1278:
	s_mov_b64 s[16:17], 0
.LBB380_1279:
	s_andn2_b64 vcc, exec, s[16:17]
	s_cbranch_vccnz .LBB380_1281
; %bb.1280:
	s_waitcnt vmcnt(0)
	global_load_dword v1, v[4:5], off
	s_waitcnt vmcnt(0)
	v_cvt_i16_f16_e32 v1, v1
.LBB380_1281:
	s_cbranch_execnz .LBB380_1292
.LBB380_1282:
	s_sext_i32_i16 s16, s14
	s_cmp_lt_i32 s16, 6
	s_cbranch_scc1 .LBB380_1285
; %bb.1283:
	s_cmp_gt_i32 s16, 6
	s_cbranch_scc0 .LBB380_1286
; %bb.1284:
	s_waitcnt vmcnt(0)
	global_load_dwordx2 v[1:2], v[4:5], off
	s_mov_b64 s[16:17], 0
	s_waitcnt vmcnt(0)
	v_cvt_i32_f64_e32 v1, v[1:2]
	s_branch .LBB380_1287
.LBB380_1285:
	s_mov_b64 s[16:17], -1
                                        ; implicit-def: $vgpr1
	s_branch .LBB380_1290
.LBB380_1286:
	s_mov_b64 s[16:17], -1
                                        ; implicit-def: $vgpr1
.LBB380_1287:
	s_andn2_b64 vcc, exec, s[16:17]
	s_cbranch_vccnz .LBB380_1289
; %bb.1288:
	s_waitcnt vmcnt(0)
	global_load_dword v1, v[4:5], off
	s_waitcnt vmcnt(0)
	v_cvt_i32_f32_e32 v1, v1
.LBB380_1289:
	s_mov_b64 s[16:17], 0
.LBB380_1290:
	s_andn2_b64 vcc, exec, s[16:17]
	s_cbranch_vccnz .LBB380_1292
; %bb.1291:
	s_waitcnt vmcnt(0)
	global_load_ushort v1, v[4:5], off
	s_waitcnt vmcnt(0)
	v_cvt_i16_f16_e32 v1, v1
.LBB380_1292:
	s_cbranch_execnz .LBB380_1311
.LBB380_1293:
	s_sext_i32_i16 s16, s14
	s_cmp_lt_i32 s16, 2
	s_cbranch_scc1 .LBB380_1297
; %bb.1294:
	s_cmp_lt_i32 s16, 3
	s_cbranch_scc1 .LBB380_1298
; %bb.1295:
	s_cmp_gt_i32 s16, 3
	s_cbranch_scc0 .LBB380_1299
; %bb.1296:
	s_waitcnt vmcnt(0)
	global_load_dwordx2 v[1:2], v[4:5], off
	s_mov_b64 s[16:17], 0
	s_branch .LBB380_1300
.LBB380_1297:
                                        ; implicit-def: $vgpr1
	s_branch .LBB380_1306
.LBB380_1298:
	s_mov_b64 s[16:17], -1
                                        ; implicit-def: $vgpr1
	s_branch .LBB380_1303
.LBB380_1299:
	s_mov_b64 s[16:17], -1
                                        ; implicit-def: $vgpr1
.LBB380_1300:
	s_andn2_b64 vcc, exec, s[16:17]
	s_cbranch_vccnz .LBB380_1302
; %bb.1301:
	s_waitcnt vmcnt(0)
	global_load_dword v1, v[4:5], off
.LBB380_1302:
	s_mov_b64 s[16:17], 0
.LBB380_1303:
	s_andn2_b64 vcc, exec, s[16:17]
	s_cbranch_vccnz .LBB380_1305
; %bb.1304:
	s_waitcnt vmcnt(0)
	global_load_ushort v1, v[4:5], off
.LBB380_1305:
	s_cbranch_execnz .LBB380_1311
.LBB380_1306:
	s_sext_i32_i16 s14, s14
	s_cmp_gt_i32 s14, 0
	s_cbranch_scc0 .LBB380_1308
; %bb.1307:
	s_waitcnt vmcnt(0)
	global_load_ubyte v1, v[4:5], off
	s_mov_b64 s[16:17], 0
	s_branch .LBB380_1309
.LBB380_1308:
	s_mov_b64 s[16:17], -1
                                        ; implicit-def: $vgpr1
.LBB380_1309:
	s_andn2_b64 vcc, exec, s[16:17]
	s_cbranch_vccnz .LBB380_1311
; %bb.1310:
	s_waitcnt vmcnt(0)
	global_load_ubyte v1, v[4:5], off
.LBB380_1311:
	s_or_b64 s[52:53], s[52:53], exec
.LBB380_1312:
	s_or_b64 exec, exec, s[0:1]
	s_mov_b64 s[16:17], 0
	s_mov_b64 s[20:21], 0
	;; [unrolled: 1-line block ×3, first 2 shown]
                                        ; implicit-def: $sgpr14
                                        ; implicit-def: $vgpr4_vgpr5
                                        ; implicit-def: $vgpr6
	s_and_saveexec_b64 s[0:1], s[52:53]
	s_cbranch_execz .LBB380_1320
; %bb.1313:
	s_waitcnt vmcnt(0)
	v_mov_b32_e32 v2, s13
	s_and_b32 s14, s73, 0xff
	v_add_co_u32_e32 v4, vcc, s12, v3
	s_cmp_lt_i32 s14, 11
	v_addc_co_u32_e32 v5, vcc, 0, v2, vcc
	s_cbranch_scc1 .LBB380_1323
; %bb.1314:
	s_and_b32 s22, 0xffff, s14
	s_cmp_gt_i32 s22, 25
	s_cbranch_scc0 .LBB380_1324
; %bb.1315:
	s_cmp_gt_i32 s22, 28
	s_cbranch_scc0 .LBB380_1325
; %bb.1316:
	;; [unrolled: 3-line block ×4, first 2 shown]
	s_cmp_eq_u32 s22, 46
	s_cbranch_scc0 .LBB380_1328
; %bb.1319:
	global_load_dword v2, v[4:5], off
	s_mov_b64 s[12:13], 0
	s_mov_b64 s[18:19], -1
	s_waitcnt vmcnt(0)
	v_lshlrev_b32_e32 v2, 16, v2
	v_cvt_i32_f32_e32 v6, v2
	s_branch .LBB380_1330
.LBB380_1320:
	s_or_b64 exec, exec, s[0:1]
	s_and_saveexec_b64 s[0:1], s[42:43]
	s_cbranch_execnz .LBB380_1389
.LBB380_1321:
	s_or_b64 exec, exec, s[0:1]
	s_and_saveexec_b64 s[0:1], s[16:17]
	s_xor_b64 s[0:1], exec, s[0:1]
	s_cbranch_execz .LBB380_1390
.LBB380_1322:
	s_waitcnt vmcnt(0)
	global_load_ubyte v2, v[4:5], off
	s_or_b64 s[18:19], s[18:19], exec
	s_waitcnt vmcnt(0)
	v_cmp_ne_u16_e32 vcc, 0, v2
	v_cndmask_b32_e64 v6, 0, 1, vcc
	s_or_b64 exec, exec, s[0:1]
	s_and_saveexec_b64 s[0:1], s[20:21]
	s_cbranch_execz .LBB380_1436
	s_branch .LBB380_1391
.LBB380_1323:
	s_mov_b64 s[20:21], -1
                                        ; implicit-def: $vgpr6
	s_mov_b64 s[12:13], s[42:43]
	s_branch .LBB380_1388
.LBB380_1324:
	s_mov_b64 s[12:13], s[42:43]
                                        ; implicit-def: $vgpr6
	s_cbranch_execnz .LBB380_1357
	s_branch .LBB380_1387
.LBB380_1325:
	s_mov_b64 s[20:21], -1
	s_mov_b64 s[12:13], s[42:43]
                                        ; implicit-def: $vgpr6
	s_branch .LBB380_1340
.LBB380_1326:
	s_mov_b64 s[20:21], -1
	s_mov_b64 s[12:13], s[42:43]
                                        ; implicit-def: $vgpr6
	s_branch .LBB380_1335
.LBB380_1327:
	s_mov_b64 s[20:21], -1
	s_mov_b64 s[12:13], s[42:43]
	s_branch .LBB380_1329
.LBB380_1328:
	s_mov_b64 s[12:13], -1
.LBB380_1329:
                                        ; implicit-def: $vgpr6
.LBB380_1330:
	s_and_b64 vcc, exec, s[20:21]
	s_cbranch_vccz .LBB380_1334
; %bb.1331:
	s_cmp_eq_u32 s22, 44
	s_cbranch_scc0 .LBB380_1333
; %bb.1332:
	global_load_ubyte v2, v[4:5], off
	s_mov_b64 s[12:13], 0
	s_mov_b64 s[18:19], -1
	s_waitcnt vmcnt(0)
	v_lshlrev_b32_e32 v3, 23, v2
	v_cvt_i32_f32_e32 v3, v3
	v_cmp_ne_u32_e32 vcc, 0, v2
	v_cndmask_b32_e32 v6, 0, v3, vcc
	s_branch .LBB380_1334
.LBB380_1333:
	s_mov_b64 s[12:13], -1
                                        ; implicit-def: $vgpr6
.LBB380_1334:
	s_mov_b64 s[20:21], 0
.LBB380_1335:
	s_and_b64 vcc, exec, s[20:21]
	s_cbranch_vccz .LBB380_1339
; %bb.1336:
	s_cmp_eq_u32 s22, 29
	s_cbranch_scc0 .LBB380_1338
; %bb.1337:
	global_load_dwordx2 v[6:7], v[4:5], off
	s_mov_b64 s[12:13], 0
	s_mov_b64 s[18:19], -1
	s_branch .LBB380_1339
.LBB380_1338:
	s_mov_b64 s[12:13], -1
                                        ; implicit-def: $vgpr6
.LBB380_1339:
	s_mov_b64 s[20:21], 0
.LBB380_1340:
	s_and_b64 vcc, exec, s[20:21]
	s_cbranch_vccz .LBB380_1356
; %bb.1341:
	s_cmp_lt_i32 s22, 27
	s_cbranch_scc1 .LBB380_1344
; %bb.1342:
	s_cmp_gt_i32 s22, 27
	s_cbranch_scc0 .LBB380_1345
; %bb.1343:
	global_load_dword v6, v[4:5], off
	s_mov_b64 s[18:19], 0
	s_branch .LBB380_1346
.LBB380_1344:
	s_mov_b64 s[18:19], -1
                                        ; implicit-def: $vgpr6
	s_branch .LBB380_1349
.LBB380_1345:
	s_mov_b64 s[18:19], -1
                                        ; implicit-def: $vgpr6
.LBB380_1346:
	s_andn2_b64 vcc, exec, s[18:19]
	s_cbranch_vccnz .LBB380_1348
; %bb.1347:
	global_load_ushort v6, v[4:5], off
.LBB380_1348:
	s_mov_b64 s[18:19], 0
.LBB380_1349:
	s_andn2_b64 vcc, exec, s[18:19]
	s_cbranch_vccnz .LBB380_1355
; %bb.1350:
	global_load_ubyte v2, v[4:5], off
	s_movk_i32 s18, 0x7f
	s_mov_b64 s[20:21], 0
	s_waitcnt vmcnt(0)
	v_cmp_lt_i16_e32 vcc, s18, v2
	s_and_saveexec_b64 s[18:19], vcc
	s_xor_b64 s[18:19], exec, s[18:19]
	s_cbranch_execz .LBB380_1366
; %bb.1351:
	s_movk_i32 s20, 0x80
	v_cmp_ne_u16_e32 vcc, s20, v2
	s_and_b64 s[20:21], vcc, exec
	s_andn2_saveexec_b64 s[18:19], s[18:19]
	s_cbranch_execnz .LBB380_1367
.LBB380_1352:
	s_or_b64 exec, exec, s[18:19]
	v_mov_b32_e32 v6, 0
	s_and_saveexec_b64 s[18:19], s[20:21]
	s_cbranch_execz .LBB380_1354
.LBB380_1353:
	v_lshlrev_b32_e32 v3, 24, v2
	v_and_b32_e32 v2, 0xffff, v2
	v_and_b32_e32 v6, 7, v2
	v_ffbh_u32_e32 v8, v6
	v_min_u32_e32 v8, 32, v8
	v_subrev_u32_e32 v9, 28, v8
	v_bfe_u32 v7, v2, 3, 4
	v_lshlrev_b32_e32 v2, v9, v2
	v_sub_u32_e32 v8, 29, v8
	v_and_b32_e32 v2, 7, v2
	v_cmp_eq_u32_e32 vcc, 0, v7
	v_cndmask_b32_e32 v7, v7, v8, vcc
	v_cndmask_b32_e32 v2, v6, v2, vcc
	v_mov_b32_e32 v6, 0x3b800000
	v_lshlrev_b32_e32 v2, 20, v2
	v_and_b32_e32 v3, 0x80000000, v3
	v_lshl_add_u32 v6, v7, 23, v6
	v_or3_b32 v2, v3, v6, v2
	v_cvt_i32_f32_e32 v6, v2
.LBB380_1354:
	s_or_b64 exec, exec, s[18:19]
.LBB380_1355:
	s_mov_b64 s[18:19], -1
.LBB380_1356:
	s_branch .LBB380_1387
.LBB380_1357:
	s_cmp_gt_i32 s22, 22
	s_cbranch_scc0 .LBB380_1365
; %bb.1358:
	s_cmp_lt_i32 s22, 24
	s_cbranch_scc1 .LBB380_1368
; %bb.1359:
	s_cmp_gt_i32 s22, 24
	s_cbranch_scc0 .LBB380_1369
; %bb.1360:
	global_load_ubyte v2, v[4:5], off
	s_movk_i32 s16, 0x7f
	s_mov_b64 s[18:19], 0
	s_waitcnt vmcnt(0)
	v_cmp_lt_i16_e32 vcc, s16, v2
	s_and_saveexec_b64 s[16:17], vcc
	s_xor_b64 s[16:17], exec, s[16:17]
	s_cbranch_execz .LBB380_1381
; %bb.1361:
	s_movk_i32 s18, 0x80
	v_cmp_ne_u16_e32 vcc, s18, v2
	s_and_b64 s[18:19], vcc, exec
	s_andn2_saveexec_b64 s[16:17], s[16:17]
	s_cbranch_execnz .LBB380_1382
.LBB380_1362:
	s_or_b64 exec, exec, s[16:17]
	v_mov_b32_e32 v6, 0
	s_and_saveexec_b64 s[16:17], s[18:19]
	s_cbranch_execz .LBB380_1364
.LBB380_1363:
	v_lshlrev_b32_e32 v3, 24, v2
	v_and_b32_e32 v2, 0xffff, v2
	v_and_b32_e32 v6, 3, v2
	v_ffbh_u32_e32 v8, v6
	v_min_u32_e32 v8, 32, v8
	v_subrev_u32_e32 v9, 29, v8
	v_bfe_u32 v7, v2, 2, 5
	v_lshlrev_b32_e32 v2, v9, v2
	v_sub_u32_e32 v8, 30, v8
	v_and_b32_e32 v2, 3, v2
	v_cmp_eq_u32_e32 vcc, 0, v7
	v_cndmask_b32_e32 v7, v7, v8, vcc
	v_cndmask_b32_e32 v2, v6, v2, vcc
	v_mov_b32_e32 v6, 0x37800000
	v_lshlrev_b32_e32 v2, 21, v2
	v_and_b32_e32 v3, 0x80000000, v3
	v_lshl_add_u32 v6, v7, 23, v6
	v_or3_b32 v2, v3, v6, v2
	v_cvt_i32_f32_e32 v6, v2
.LBB380_1364:
	s_or_b64 exec, exec, s[16:17]
	s_mov_b64 s[16:17], 0
	s_branch .LBB380_1370
.LBB380_1365:
	s_mov_b64 s[16:17], -1
                                        ; implicit-def: $vgpr6
	s_branch .LBB380_1376
.LBB380_1366:
	s_andn2_saveexec_b64 s[18:19], s[18:19]
	s_cbranch_execz .LBB380_1352
.LBB380_1367:
	v_cmp_ne_u16_e32 vcc, 0, v2
	s_andn2_b64 s[20:21], s[20:21], exec
	s_and_b64 s[30:31], vcc, exec
	s_or_b64 s[20:21], s[20:21], s[30:31]
	s_or_b64 exec, exec, s[18:19]
	v_mov_b32_e32 v6, 0
	s_and_saveexec_b64 s[18:19], s[20:21]
	s_cbranch_execnz .LBB380_1353
	s_branch .LBB380_1354
.LBB380_1368:
	s_mov_b64 s[16:17], -1
                                        ; implicit-def: $vgpr6
	s_branch .LBB380_1373
.LBB380_1369:
	s_mov_b64 s[16:17], -1
                                        ; implicit-def: $vgpr6
.LBB380_1370:
	s_and_b64 vcc, exec, s[16:17]
	s_cbranch_vccz .LBB380_1372
; %bb.1371:
	global_load_ubyte v2, v[4:5], off
	s_mov_b32 s16, 0x7f800000
	s_waitcnt vmcnt(0)
	v_lshlrev_b32_e32 v2, 24, v2
	v_and_b32_e32 v3, 0x7f000000, v2
	v_ffbh_u32_e32 v6, v3
	v_min_u32_e32 v6, 32, v6
	v_sub_u32_e64 v6, v6, 4 clamp
	v_lshlrev_b32_e32 v8, v6, v3
	v_lshlrev_b32_e32 v6, 23, v6
	v_lshrrev_b32_e32 v8, 4, v8
	v_add_u32_e32 v7, 0x1000000, v3
	v_sub_u32_e32 v6, v8, v6
	v_ashrrev_i32_e32 v7, 8, v7
	v_add_u32_e32 v6, 0x3c000000, v6
	v_and_or_b32 v6, v7, s16, v6
	v_cmp_ne_u32_e32 vcc, 0, v3
	v_cndmask_b32_e32 v3, 0, v6, vcc
	s_brev_b32 s16, 1
	v_and_or_b32 v2, v2, s16, v3
	v_cvt_i32_f32_e32 v6, v2
.LBB380_1372:
	s_mov_b64 s[16:17], 0
.LBB380_1373:
	s_andn2_b64 vcc, exec, s[16:17]
	s_cbranch_vccnz .LBB380_1375
; %bb.1374:
	global_load_ubyte v2, v[4:5], off
	s_movk_i32 s16, 0x7f00
	s_brev_b32 s17, 16
	s_waitcnt vmcnt(0)
	v_lshlrev_b16_e32 v3, 8, v2
	v_lshlrev_b32_e32 v2, 25, v2
	v_lshrrev_b32_e32 v6, 4, v2
	v_and_or_b32 v7, v3, s16, 0.5
	v_or_b32_e32 v6, 0x70000000, v6
	v_add_f32_e32 v7, -0.5, v7
	v_mul_f32_e32 v6, 0x7800000, v6
	v_cmp_gt_u32_e32 vcc, s17, v2
	v_bfe_i32 v3, v3, 0, 16
	v_cndmask_b32_e32 v2, v6, v7, vcc
	s_brev_b32 s16, 1
	v_and_or_b32 v2, v3, s16, v2
	v_cvt_i32_f32_e32 v6, v2
.LBB380_1375:
	s_mov_b64 s[16:17], 0
	s_mov_b64 s[18:19], -1
.LBB380_1376:
	s_andn2_b64 vcc, exec, s[16:17]
	s_mov_b64 s[16:17], 0
	s_cbranch_vccnz .LBB380_1387
; %bb.1377:
	s_cmp_gt_i32 s22, 14
	s_cbranch_scc0 .LBB380_1380
; %bb.1378:
	s_cmp_eq_u32 s22, 15
	s_cbranch_scc0 .LBB380_1383
; %bb.1379:
	global_load_ushort v2, v[4:5], off
	s_mov_b64 s[12:13], 0
	s_mov_b64 s[18:19], -1
	s_waitcnt vmcnt(0)
	v_lshlrev_b32_e32 v2, 16, v2
	v_cvt_i32_f32_e32 v6, v2
	s_branch .LBB380_1384
.LBB380_1380:
	s_mov_b64 s[20:21], -1
                                        ; implicit-def: $vgpr6
	s_branch .LBB380_1385
.LBB380_1381:
	s_andn2_saveexec_b64 s[16:17], s[16:17]
	s_cbranch_execz .LBB380_1362
.LBB380_1382:
	v_cmp_ne_u16_e32 vcc, 0, v2
	s_andn2_b64 s[18:19], s[18:19], exec
	s_and_b64 s[20:21], vcc, exec
	s_or_b64 s[18:19], s[18:19], s[20:21]
	s_or_b64 exec, exec, s[16:17]
	v_mov_b32_e32 v6, 0
	s_and_saveexec_b64 s[16:17], s[18:19]
	s_cbranch_execnz .LBB380_1363
	s_branch .LBB380_1364
.LBB380_1383:
	s_mov_b64 s[12:13], -1
                                        ; implicit-def: $vgpr6
.LBB380_1384:
	s_mov_b64 s[20:21], 0
.LBB380_1385:
	s_and_b64 vcc, exec, s[20:21]
	s_cbranch_vccz .LBB380_1387
; %bb.1386:
	s_cmp_lg_u32 s22, 11
	s_cselect_b64 s[20:21], -1, 0
	s_andn2_b64 s[12:13], s[12:13], exec
	s_and_b64 s[20:21], s[20:21], exec
	s_mov_b64 s[16:17], -1
	s_or_b64 s[12:13], s[12:13], s[20:21]
.LBB380_1387:
	s_mov_b64 s[20:21], 0
.LBB380_1388:
	s_andn2_b64 s[22:23], s[42:43], exec
	s_and_b64 s[12:13], s[12:13], exec
	s_and_b64 s[18:19], s[18:19], exec
	;; [unrolled: 1-line block ×4, first 2 shown]
	s_or_b64 s[42:43], s[22:23], s[12:13]
	s_or_b64 exec, exec, s[0:1]
	s_and_saveexec_b64 s[0:1], s[42:43]
	s_cbranch_execz .LBB380_1321
.LBB380_1389:
	s_or_b64 s[10:11], s[10:11], exec
	s_andn2_b64 s[16:17], s[16:17], exec
	s_trap 2
	s_or_b64 exec, exec, s[0:1]
	s_and_saveexec_b64 s[0:1], s[16:17]
	s_xor_b64 s[0:1], exec, s[0:1]
	s_cbranch_execnz .LBB380_1322
.LBB380_1390:
	s_or_b64 exec, exec, s[0:1]
	s_and_saveexec_b64 s[0:1], s[20:21]
	s_cbranch_execz .LBB380_1436
.LBB380_1391:
	s_sext_i32_i16 s12, s14
	s_cmp_lt_i32 s12, 5
	s_cbranch_scc1 .LBB380_1396
; %bb.1392:
	s_cmp_lt_i32 s12, 8
	s_cbranch_scc1 .LBB380_1397
; %bb.1393:
	;; [unrolled: 3-line block ×3, first 2 shown]
	s_cmp_gt_i32 s12, 9
	s_cbranch_scc0 .LBB380_1399
; %bb.1395:
	s_waitcnt vmcnt(0)
	global_load_dwordx2 v[2:3], v[4:5], off
	s_mov_b64 s[12:13], 0
	s_waitcnt vmcnt(0)
	v_cvt_i32_f64_e32 v6, v[2:3]
	s_branch .LBB380_1400
.LBB380_1396:
                                        ; implicit-def: $vgpr6
	s_branch .LBB380_1417
.LBB380_1397:
                                        ; implicit-def: $vgpr6
	s_branch .LBB380_1406
.LBB380_1398:
	s_mov_b64 s[12:13], -1
                                        ; implicit-def: $vgpr6
	s_branch .LBB380_1403
.LBB380_1399:
	s_mov_b64 s[12:13], -1
                                        ; implicit-def: $vgpr6
.LBB380_1400:
	s_andn2_b64 vcc, exec, s[12:13]
	s_cbranch_vccnz .LBB380_1402
; %bb.1401:
	s_waitcnt vmcnt(0)
	global_load_dword v2, v[4:5], off
	s_waitcnt vmcnt(0)
	v_cvt_i32_f32_e32 v6, v2
.LBB380_1402:
	s_mov_b64 s[12:13], 0
.LBB380_1403:
	s_andn2_b64 vcc, exec, s[12:13]
	s_cbranch_vccnz .LBB380_1405
; %bb.1404:
	s_waitcnt vmcnt(0)
	global_load_dword v2, v[4:5], off
	s_waitcnt vmcnt(0)
	v_cvt_i16_f16_e32 v6, v2
.LBB380_1405:
	s_cbranch_execnz .LBB380_1416
.LBB380_1406:
	s_sext_i32_i16 s12, s14
	s_cmp_lt_i32 s12, 6
	s_cbranch_scc1 .LBB380_1409
; %bb.1407:
	s_cmp_gt_i32 s12, 6
	s_cbranch_scc0 .LBB380_1410
; %bb.1408:
	s_waitcnt vmcnt(0)
	global_load_dwordx2 v[2:3], v[4:5], off
	s_mov_b64 s[12:13], 0
	s_waitcnt vmcnt(0)
	v_cvt_i32_f64_e32 v6, v[2:3]
	s_branch .LBB380_1411
.LBB380_1409:
	s_mov_b64 s[12:13], -1
                                        ; implicit-def: $vgpr6
	s_branch .LBB380_1414
.LBB380_1410:
	s_mov_b64 s[12:13], -1
                                        ; implicit-def: $vgpr6
.LBB380_1411:
	s_andn2_b64 vcc, exec, s[12:13]
	s_cbranch_vccnz .LBB380_1413
; %bb.1412:
	s_waitcnt vmcnt(0)
	global_load_dword v2, v[4:5], off
	s_waitcnt vmcnt(0)
	v_cvt_i32_f32_e32 v6, v2
.LBB380_1413:
	s_mov_b64 s[12:13], 0
.LBB380_1414:
	s_andn2_b64 vcc, exec, s[12:13]
	s_cbranch_vccnz .LBB380_1416
; %bb.1415:
	s_waitcnt vmcnt(0)
	global_load_ushort v2, v[4:5], off
	s_waitcnt vmcnt(0)
	v_cvt_i16_f16_e32 v6, v2
.LBB380_1416:
	s_cbranch_execnz .LBB380_1435
.LBB380_1417:
	s_sext_i32_i16 s12, s14
	s_cmp_lt_i32 s12, 2
	s_cbranch_scc1 .LBB380_1421
; %bb.1418:
	s_cmp_lt_i32 s12, 3
	s_cbranch_scc1 .LBB380_1422
; %bb.1419:
	s_cmp_gt_i32 s12, 3
	s_cbranch_scc0 .LBB380_1423
; %bb.1420:
	s_waitcnt vmcnt(0)
	global_load_dwordx2 v[6:7], v[4:5], off
	s_mov_b64 s[12:13], 0
	s_branch .LBB380_1424
.LBB380_1421:
                                        ; implicit-def: $vgpr6
	s_branch .LBB380_1430
.LBB380_1422:
	s_mov_b64 s[12:13], -1
                                        ; implicit-def: $vgpr6
	s_branch .LBB380_1427
.LBB380_1423:
	s_mov_b64 s[12:13], -1
                                        ; implicit-def: $vgpr6
.LBB380_1424:
	s_andn2_b64 vcc, exec, s[12:13]
	s_cbranch_vccnz .LBB380_1426
; %bb.1425:
	s_waitcnt vmcnt(0)
	global_load_dword v6, v[4:5], off
.LBB380_1426:
	s_mov_b64 s[12:13], 0
.LBB380_1427:
	s_andn2_b64 vcc, exec, s[12:13]
	s_cbranch_vccnz .LBB380_1429
; %bb.1428:
	s_waitcnt vmcnt(0)
	global_load_ushort v6, v[4:5], off
.LBB380_1429:
	s_cbranch_execnz .LBB380_1435
.LBB380_1430:
	s_sext_i32_i16 s12, s14
	s_cmp_gt_i32 s12, 0
	s_cbranch_scc0 .LBB380_1432
; %bb.1431:
	s_waitcnt vmcnt(0)
	global_load_ubyte v6, v[4:5], off
	s_mov_b64 s[12:13], 0
	s_branch .LBB380_1433
.LBB380_1432:
	s_mov_b64 s[12:13], -1
                                        ; implicit-def: $vgpr6
.LBB380_1433:
	s_andn2_b64 vcc, exec, s[12:13]
	s_cbranch_vccnz .LBB380_1435
; %bb.1434:
	s_waitcnt vmcnt(0)
	global_load_ubyte v6, v[4:5], off
.LBB380_1435:
	s_or_b64 s[18:19], s[18:19], exec
.LBB380_1436:
	s_or_b64 exec, exec, s[0:1]
	s_mov_b64 s[22:23], 0
	s_mov_b64 s[20:21], 0
                                        ; implicit-def: $sgpr12_sgpr13
                                        ; implicit-def: $sgpr30
                                        ; implicit-def: $vgpr2_vgpr3
	s_and_saveexec_b64 s[16:17], s[18:19]
	s_cbranch_execz .LBB380_1511
; %bb.1437:
	s_waitcnt vmcnt(0)
	v_cmp_ne_u16_sdwa s[0:1], v1, v6 src0_sel:BYTE_0 src1_sel:BYTE_0
	s_xor_b64 s[12:13], s[28:29], s[0:1]
	v_mov_b32_e32 v1, s9
	s_and_b32 s30, s15, 0xff
	v_add_co_u32_e32 v2, vcc, s8, v0
	s_cmp_lt_i32 s30, 11
	v_addc_co_u32_e32 v3, vcc, 0, v1, vcc
	s_cbranch_scc1 .LBB380_1514
; %bb.1438:
	s_and_b32 s22, 0xffff, s30
	s_mov_b64 s[14:15], -1
	s_cmp_gt_i32 s22, 25
	s_mov_b64 s[0:1], s[40:41]
	s_cbranch_scc0 .LBB380_1471
; %bb.1439:
	s_mov_b64 s[8:9], -1
	s_cmp_gt_i32 s22, 28
	s_mov_b64 s[0:1], s[40:41]
	s_cbranch_scc0 .LBB380_1455
; %bb.1440:
	s_cmp_gt_i32 s22, 43
	s_mov_b64 s[0:1], s[40:41]
	s_cbranch_scc0 .LBB380_1451
; %bb.1441:
	;; [unrolled: 4-line block ×3, first 2 shown]
	s_cmp_eq_u32 s22, 46
	s_mov_b64 s[0:1], -1
	s_cbranch_scc0 .LBB380_1444
; %bb.1443:
	v_cndmask_b32_e64 v0, 0, 1.0, s[12:13]
	v_bfe_u32 v1, v0, 16, 1
	s_movk_i32 s0, 0x7fff
	v_add3_u32 v0, v0, v1, s0
	v_lshrrev_b32_e32 v0, 16, v0
	global_store_dword v[2:3], v0, off
	s_mov_b64 s[0:1], 0
.LBB380_1444:
	s_mov_b64 s[8:9], 0
.LBB380_1445:
	s_and_b64 vcc, exec, s[8:9]
	s_cbranch_vccz .LBB380_1450
; %bb.1446:
	s_cmp_eq_u32 s22, 44
	s_mov_b64 s[0:1], -1
	s_cbranch_scc0 .LBB380_1450
; %bb.1447:
	v_cndmask_b32_e64 v1, 0, 1.0, s[12:13]
	v_lshrrev_b32_e32 v0, 23, v1
	s_movk_i32 s0, 0xff
	v_cmp_ne_u32_e32 vcc, s0, v0
	v_mov_b32_e32 v4, 0xff
	s_and_saveexec_b64 s[8:9], vcc
; %bb.1448:
	s_mov_b32 s0, 0x3fffff
	v_and_b32_e32 v4, 0x400000, v1
	v_and_or_b32 v1, v1, s0, v0
	v_cmp_ne_u32_e32 vcc, 0, v4
	v_cmp_ne_u32_e64 s[0:1], 0, v1
	s_and_b64 s[0:1], vcc, s[0:1]
	v_cndmask_b32_e64 v1, 0, 1, s[0:1]
	v_add_u32_e32 v4, v0, v1
; %bb.1449:
	s_or_b64 exec, exec, s[8:9]
	s_mov_b64 s[0:1], 0
	global_store_byte v[2:3], v4, off
.LBB380_1450:
	s_mov_b64 s[8:9], 0
.LBB380_1451:
	s_and_b64 vcc, exec, s[8:9]
	s_cbranch_vccz .LBB380_1454
; %bb.1452:
	s_cmp_eq_u32 s22, 29
	s_mov_b64 s[0:1], -1
	s_cbranch_scc0 .LBB380_1454
; %bb.1453:
	s_mov_b32 s0, 0
	v_cndmask_b32_e64 v0, 0, 1, s[12:13]
	v_mov_b32_e32 v1, s0
	global_store_dwordx2 v[2:3], v[0:1], off
	s_mov_b64 s[0:1], 0
.LBB380_1454:
	s_mov_b64 s[8:9], 0
.LBB380_1455:
	s_and_b64 vcc, exec, s[8:9]
	s_cbranch_vccz .LBB380_1470
; %bb.1456:
	s_cmp_lt_i32 s22, 27
	s_mov_b64 s[8:9], -1
	s_cbranch_scc1 .LBB380_1462
; %bb.1457:
	s_cmp_gt_i32 s22, 27
	s_cbranch_scc0 .LBB380_1459
; %bb.1458:
	v_cndmask_b32_e64 v0, 0, 1, s[12:13]
	s_mov_b64 s[8:9], 0
	global_store_dword v[2:3], v0, off
.LBB380_1459:
	s_andn2_b64 vcc, exec, s[8:9]
	s_cbranch_vccnz .LBB380_1461
; %bb.1460:
	v_cndmask_b32_e64 v0, 0, 1, s[12:13]
	global_store_short v[2:3], v0, off
.LBB380_1461:
	s_mov_b64 s[8:9], 0
.LBB380_1462:
	s_andn2_b64 vcc, exec, s[8:9]
	s_cbranch_vccnz .LBB380_1470
; %bb.1463:
	v_cndmask_b32_e64 v1, 0, 1.0, s[12:13]
	s_mov_b32 s8, 0x43800000
	v_cmp_gt_u32_e32 vcc, s8, v1
	v_mov_b32_e32 v4, 0x80
	s_and_saveexec_b64 s[8:9], vcc
	s_cbranch_execz .LBB380_1469
; %bb.1464:
	s_mov_b32 s14, 0x3bffffff
	v_cmp_lt_u32_e32 vcc, s14, v1
	s_mov_b64 s[14:15], 0
                                        ; implicit-def: $vgpr0
	s_and_saveexec_b64 s[18:19], vcc
	s_xor_b64 s[18:19], exec, s[18:19]
	s_cbranch_execz .LBB380_1615
; %bb.1465:
	v_bfe_u32 v0, v1, 20, 1
	s_mov_b32 s20, 0x487ffff
	v_add3_u32 v0, v1, v0, s20
	s_mov_b64 s[14:15], exec
	v_lshrrev_b32_e32 v0, 20, v0
                                        ; implicit-def: $vgpr1
	s_andn2_saveexec_b64 s[18:19], s[18:19]
	s_cbranch_execnz .LBB380_1616
.LBB380_1466:
	s_or_b64 exec, exec, s[18:19]
	v_mov_b32_e32 v4, 0
	s_and_saveexec_b64 s[18:19], s[14:15]
.LBB380_1467:
	v_mov_b32_e32 v4, v0
.LBB380_1468:
	s_or_b64 exec, exec, s[18:19]
.LBB380_1469:
	s_or_b64 exec, exec, s[8:9]
	global_store_byte v[2:3], v4, off
.LBB380_1470:
	s_mov_b64 s[14:15], 0
.LBB380_1471:
	s_mov_b64 s[8:9], 0
	s_and_b64 vcc, exec, s[14:15]
	s_cbranch_vccz .LBB380_1515
; %bb.1472:
	s_cmp_gt_i32 s22, 22
	s_mov_b64 s[14:15], -1
	s_cbranch_scc0 .LBB380_1504
; %bb.1473:
	s_cmp_lt_i32 s22, 24
	s_cbranch_scc1 .LBB380_1493
; %bb.1474:
	s_cmp_gt_i32 s22, 24
	s_cbranch_scc0 .LBB380_1482
; %bb.1475:
	v_cndmask_b32_e64 v1, 0, 1.0, s[12:13]
	s_mov_b32 s14, 0x47800000
	v_cmp_gt_u32_e32 vcc, s14, v1
	v_mov_b32_e32 v4, 0x80
	s_and_saveexec_b64 s[14:15], vcc
	s_cbranch_execz .LBB380_1481
; %bb.1476:
	s_mov_b32 s18, 0x37ffffff
	v_cmp_lt_u32_e32 vcc, s18, v1
	s_mov_b64 s[18:19], 0
                                        ; implicit-def: $vgpr0
	s_and_saveexec_b64 s[20:21], vcc
	s_xor_b64 s[20:21], exec, s[20:21]
	s_cbranch_execz .LBB380_1735
; %bb.1477:
	v_bfe_u32 v0, v1, 21, 1
	s_mov_b32 s23, 0x88fffff
	v_add3_u32 v0, v1, v0, s23
	s_mov_b64 s[18:19], exec
	v_lshrrev_b32_e32 v0, 21, v0
                                        ; implicit-def: $vgpr1
	s_andn2_saveexec_b64 s[20:21], s[20:21]
	s_cbranch_execnz .LBB380_1736
.LBB380_1478:
	s_or_b64 exec, exec, s[20:21]
	v_mov_b32_e32 v4, 0
	s_and_saveexec_b64 s[20:21], s[18:19]
.LBB380_1479:
	v_mov_b32_e32 v4, v0
.LBB380_1480:
	s_or_b64 exec, exec, s[20:21]
.LBB380_1481:
	s_or_b64 exec, exec, s[14:15]
	s_mov_b64 s[14:15], 0
	global_store_byte v[2:3], v4, off
.LBB380_1482:
	s_and_b64 vcc, exec, s[14:15]
	s_cbranch_vccz .LBB380_1492
; %bb.1483:
	v_cndmask_b32_e64 v0, 0, 1.0, s[12:13]
	s_mov_b32 s14, 0x43f00000
	v_cmp_gt_u32_e32 vcc, s14, v0
                                        ; implicit-def: $vgpr1
	s_and_saveexec_b64 s[14:15], vcc
	s_xor_b64 s[14:15], exec, s[14:15]
	s_cbranch_execz .LBB380_1489
; %bb.1484:
	s_mov_b32 s18, 0x3c7fffff
	v_cmp_lt_u32_e32 vcc, s18, v0
                                        ; implicit-def: $vgpr1
	s_and_saveexec_b64 s[18:19], vcc
	s_xor_b64 s[18:19], exec, s[18:19]
; %bb.1485:
	v_bfe_u32 v1, v0, 20, 1
	s_mov_b32 s20, 0x407ffff
	v_add3_u32 v0, v0, v1, s20
	v_lshrrev_b32_e32 v1, 20, v0
	v_and_b32_e32 v0, 0xff00000, v0
	s_mov_b32 s20, 0x7f00000
	v_mov_b32_e32 v4, 0x7e
	v_cmp_ne_u32_e32 vcc, s20, v0
	v_cndmask_b32_e32 v1, v4, v1, vcc
                                        ; implicit-def: $vgpr0
; %bb.1486:
	s_andn2_saveexec_b64 s[18:19], s[18:19]
; %bb.1487:
	v_add_f32_e32 v1, 0x46800000, v0
; %bb.1488:
	s_or_b64 exec, exec, s[18:19]
                                        ; implicit-def: $vgpr0
.LBB380_1489:
	s_andn2_saveexec_b64 s[14:15], s[14:15]
; %bb.1490:
	s_mov_b32 s18, 0x7f800000
	v_mov_b32_e32 v1, 0x7e
	v_mov_b32_e32 v4, 0x7f
	v_cmp_lt_u32_e32 vcc, s18, v0
	v_cndmask_b32_e32 v1, v1, v4, vcc
; %bb.1491:
	s_or_b64 exec, exec, s[14:15]
	global_store_byte v[2:3], v1, off
.LBB380_1492:
	s_mov_b64 s[14:15], 0
.LBB380_1493:
	s_andn2_b64 vcc, exec, s[14:15]
	s_cbranch_vccnz .LBB380_1503
; %bb.1494:
	v_cndmask_b32_e64 v0, 0, 1.0, s[12:13]
	s_mov_b32 s14, 0x47800000
	v_cmp_gt_u32_e32 vcc, s14, v0
                                        ; implicit-def: $vgpr1
	s_and_saveexec_b64 s[14:15], vcc
	s_xor_b64 s[14:15], exec, s[14:15]
	s_cbranch_execz .LBB380_1500
; %bb.1495:
	s_mov_b32 s18, 0x387fffff
	v_cmp_lt_u32_e32 vcc, s18, v0
                                        ; implicit-def: $vgpr1
	s_and_saveexec_b64 s[18:19], vcc
	s_xor_b64 s[18:19], exec, s[18:19]
; %bb.1496:
	v_bfe_u32 v1, v0, 21, 1
	s_mov_b32 s20, 0x80fffff
	v_add3_u32 v0, v0, v1, s20
	v_lshrrev_b32_e32 v1, 21, v0
                                        ; implicit-def: $vgpr0
; %bb.1497:
	s_andn2_saveexec_b64 s[18:19], s[18:19]
; %bb.1498:
	v_add_f32_e32 v1, 0x43000000, v0
; %bb.1499:
	s_or_b64 exec, exec, s[18:19]
                                        ; implicit-def: $vgpr0
.LBB380_1500:
	s_andn2_saveexec_b64 s[14:15], s[14:15]
; %bb.1501:
	s_mov_b32 s18, 0x7f800000
	v_mov_b32_e32 v1, 0x7c
	v_mov_b32_e32 v4, 0x7f
	v_cmp_lt_u32_e32 vcc, s18, v0
	v_cndmask_b32_e32 v1, v1, v4, vcc
; %bb.1502:
	s_or_b64 exec, exec, s[14:15]
	global_store_byte v[2:3], v1, off
.LBB380_1503:
	s_mov_b64 s[14:15], 0
.LBB380_1504:
	s_andn2_b64 vcc, exec, s[14:15]
	s_mov_b64 s[14:15], 0
	s_cbranch_vccnz .LBB380_1516
; %bb.1505:
	s_cmp_gt_i32 s22, 14
	s_mov_b64 s[18:19], -1
	s_cbranch_scc0 .LBB380_1509
; %bb.1506:
	s_cmp_eq_u32 s22, 15
	s_mov_b64 s[0:1], -1
	s_cbranch_scc0 .LBB380_1508
; %bb.1507:
	v_cndmask_b32_e64 v0, 0, 1.0, s[12:13]
	v_bfe_u32 v1, v0, 16, 1
	s_movk_i32 s0, 0x7fff
	v_add3_u32 v0, v0, v1, s0
	global_store_short_d16_hi v[2:3], v0, off
	s_mov_b64 s[0:1], 0
.LBB380_1508:
	s_mov_b64 s[18:19], 0
.LBB380_1509:
	s_and_b64 vcc, exec, s[18:19]
	s_cbranch_vccz .LBB380_1516
; %bb.1510:
	s_cmp_lg_u32 s22, 11
	s_cselect_b64 s[18:19], -1, 0
	s_andn2_b64 s[0:1], s[0:1], exec
	s_and_b64 s[18:19], s[18:19], exec
	s_mov_b64 s[14:15], -1
	s_or_b64 s[0:1], s[0:1], s[18:19]
	s_branch .LBB380_1516
.LBB380_1511:
	s_or_b64 exec, exec, s[16:17]
	s_and_saveexec_b64 s[0:1], s[40:41]
	s_cbranch_execnz .LBB380_1517
.LBB380_1512:
	s_or_b64 exec, exec, s[0:1]
	s_and_saveexec_b64 s[0:1], s[22:23]
	s_xor_b64 s[0:1], exec, s[0:1]
	s_cbranch_execz .LBB380_1518
.LBB380_1513:
	v_cndmask_b32_e64 v0, 0, 1, s[12:13]
	s_waitcnt vmcnt(0)
	global_store_byte v[2:3], v0, off
	s_or_b64 exec, exec, s[0:1]
	s_and_saveexec_b64 s[0:1], s[20:21]
	s_xor_b64 s[0:1], exec, s[0:1]
	s_cbranch_execz .LBB380_1556
	s_branch .LBB380_1519
.LBB380_1514:
	s_mov_b64 s[14:15], 0
	s_mov_b64 s[8:9], -1
	s_mov_b64 s[0:1], s[40:41]
	s_branch .LBB380_1516
.LBB380_1515:
	s_mov_b64 s[14:15], 0
.LBB380_1516:
	s_and_b64 s[20:21], s[8:9], exec
	s_andn2_b64 s[8:9], s[40:41], exec
	s_and_b64 s[0:1], s[0:1], exec
	s_and_b64 s[22:23], s[14:15], exec
	s_or_b64 s[40:41], s[8:9], s[0:1]
	s_or_b64 exec, exec, s[16:17]
	s_and_saveexec_b64 s[0:1], s[40:41]
	s_cbranch_execz .LBB380_1512
.LBB380_1517:
	s_or_b64 s[10:11], s[10:11], exec
	s_andn2_b64 s[22:23], s[22:23], exec
	s_trap 2
	s_or_b64 exec, exec, s[0:1]
	s_and_saveexec_b64 s[0:1], s[22:23]
	s_xor_b64 s[0:1], exec, s[0:1]
	s_cbranch_execnz .LBB380_1513
.LBB380_1518:
	s_or_b64 exec, exec, s[0:1]
	s_and_saveexec_b64 s[0:1], s[20:21]
	s_xor_b64 s[0:1], exec, s[0:1]
	s_cbranch_execz .LBB380_1556
.LBB380_1519:
	s_sext_i32_i16 s14, s30
	s_cmp_lt_i32 s14, 5
	s_mov_b64 s[8:9], -1
	s_cbranch_scc1 .LBB380_1540
; %bb.1520:
	s_cmp_lt_i32 s14, 8
	s_cbranch_scc1 .LBB380_1530
; %bb.1521:
	s_cmp_lt_i32 s14, 9
	s_cbranch_scc1 .LBB380_1527
; %bb.1522:
	s_cmp_gt_i32 s14, 9
	s_cbranch_scc0 .LBB380_1524
; %bb.1523:
	v_cndmask_b32_e64 v0, 0, 1, s[12:13]
	s_waitcnt vmcnt(0)
	v_cvt_f64_u32_e32 v[4:5], v0
	v_mov_b32_e32 v6, 0
	v_mov_b32_e32 v7, v6
	s_mov_b64 s[8:9], 0
	global_store_dwordx4 v[2:3], v[4:7], off
.LBB380_1524:
	s_andn2_b64 vcc, exec, s[8:9]
	s_cbranch_vccnz .LBB380_1526
; %bb.1525:
	v_cndmask_b32_e64 v0, 0, 1.0, s[12:13]
	s_waitcnt vmcnt(0)
	v_mov_b32_e32 v1, 0
	global_store_dwordx2 v[2:3], v[0:1], off
.LBB380_1526:
	s_mov_b64 s[8:9], 0
.LBB380_1527:
	s_andn2_b64 vcc, exec, s[8:9]
	s_cbranch_vccnz .LBB380_1529
; %bb.1528:
	v_cndmask_b32_e64 v0, 0, 1.0, s[12:13]
	v_cvt_f16_f32_e32 v0, v0
	s_waitcnt vmcnt(0)
	global_store_dword v[2:3], v0, off
.LBB380_1529:
	s_mov_b64 s[8:9], 0
.LBB380_1530:
	s_andn2_b64 vcc, exec, s[8:9]
	s_cbranch_vccnz .LBB380_1539
; %bb.1531:
	s_sext_i32_i16 s14, s30
	s_cmp_lt_i32 s14, 6
	s_mov_b64 s[8:9], -1
	s_cbranch_scc1 .LBB380_1537
; %bb.1532:
	s_cmp_gt_i32 s14, 6
	s_cbranch_scc0 .LBB380_1534
; %bb.1533:
	v_cndmask_b32_e64 v0, 0, 1, s[12:13]
	s_waitcnt vmcnt(0)
	v_cvt_f64_u32_e32 v[0:1], v0
	s_mov_b64 s[8:9], 0
	global_store_dwordx2 v[2:3], v[0:1], off
.LBB380_1534:
	s_andn2_b64 vcc, exec, s[8:9]
	s_cbranch_vccnz .LBB380_1536
; %bb.1535:
	v_cndmask_b32_e64 v0, 0, 1.0, s[12:13]
	s_waitcnt vmcnt(0)
	global_store_dword v[2:3], v0, off
.LBB380_1536:
	s_mov_b64 s[8:9], 0
.LBB380_1537:
	s_andn2_b64 vcc, exec, s[8:9]
	s_cbranch_vccnz .LBB380_1539
; %bb.1538:
	v_cndmask_b32_e64 v0, 0, 1.0, s[12:13]
	v_cvt_f16_f32_e32 v0, v0
	s_waitcnt vmcnt(0)
	global_store_short v[2:3], v0, off
.LBB380_1539:
	s_mov_b64 s[8:9], 0
.LBB380_1540:
	s_andn2_b64 vcc, exec, s[8:9]
	s_cbranch_vccnz .LBB380_1556
; %bb.1541:
	s_sext_i32_i16 s14, s30
	s_cmp_lt_i32 s14, 2
	s_mov_b64 s[8:9], -1
	s_cbranch_scc1 .LBB380_1551
; %bb.1542:
	s_cmp_lt_i32 s14, 3
	s_cbranch_scc1 .LBB380_1548
; %bb.1543:
	s_cmp_gt_i32 s14, 3
	s_cbranch_scc0 .LBB380_1545
; %bb.1544:
	s_mov_b32 s8, 0
	v_cndmask_b32_e64 v0, 0, 1, s[12:13]
	s_waitcnt vmcnt(0)
	v_mov_b32_e32 v1, s8
	s_mov_b64 s[8:9], 0
	global_store_dwordx2 v[2:3], v[0:1], off
.LBB380_1545:
	s_andn2_b64 vcc, exec, s[8:9]
	s_cbranch_vccnz .LBB380_1547
; %bb.1546:
	v_cndmask_b32_e64 v0, 0, 1, s[12:13]
	s_waitcnt vmcnt(0)
	global_store_dword v[2:3], v0, off
.LBB380_1547:
	s_mov_b64 s[8:9], 0
.LBB380_1548:
	s_andn2_b64 vcc, exec, s[8:9]
	s_cbranch_vccnz .LBB380_1550
; %bb.1549:
	v_cndmask_b32_e64 v0, 0, 1, s[12:13]
	s_waitcnt vmcnt(0)
	global_store_short v[2:3], v0, off
.LBB380_1550:
	s_mov_b64 s[8:9], 0
.LBB380_1551:
	s_andn2_b64 vcc, exec, s[8:9]
	s_cbranch_vccnz .LBB380_1556
; %bb.1552:
	s_sext_i32_i16 s14, s30
	s_mov_b64 s[8:9], -1
	s_cmp_gt_i32 s14, 0
	v_cndmask_b32_e64 v0, 0, 1, s[12:13]
	s_cbranch_scc0 .LBB380_1554
; %bb.1553:
	s_mov_b64 s[8:9], 0
	s_waitcnt vmcnt(0)
	global_store_byte v[2:3], v0, off
.LBB380_1554:
	s_andn2_b64 vcc, exec, s[8:9]
	s_cbranch_vccnz .LBB380_1556
; %bb.1555:
	s_waitcnt vmcnt(0)
	global_store_byte v[2:3], v0, off
.LBB380_1556:
	s_or_b64 exec, exec, s[0:1]
	s_and_b64 s[12:13], s[10:11], exec
                                        ; implicit-def: $vgpr21
                                        ; implicit-def: $vgpr10
.LBB380_1557:
	s_or_saveexec_b64 s[14:15], s[26:27]
	s_mov_b64 s[0:1], 0
                                        ; implicit-def: $sgpr10_sgpr11
                                        ; implicit-def: $vgpr0_vgpr1
                                        ; implicit-def: $sgpr22
	s_xor_b64 exec, exec, s[14:15]
	s_cbranch_execz .LBB380_3038
; %bb.1558:
	v_cndmask_b32_e64 v0, 0, 1, s[24:25]
	v_cmp_ne_u32_e64 s[0:1], 1, v0
	s_andn2_b64 vcc, exec, s[24:25]
	s_cbranch_vccnz .LBB380_1564
; %bb.1559:
	s_cmp_lg_u32 s33, 0
	s_cbranch_scc0 .LBB380_1565
; %bb.1560:
	s_min_u32 s8, s72, 15
	s_add_i32 s6, s8, 1
	s_and_b32 s9, s6, 30
	s_add_u32 s6, s2, 0xffffffe8
	s_addc_u32 s7, s3, -1
	v_mov_b32_e32 v13, 0
	v_mov_b32_e32 v8, 0
	s_waitcnt vmcnt(0)
	v_mov_b32_e32 v6, 0
	v_mov_b32_e32 v0, v10
.LBB380_1561:                           ; =>This Inner Loop Header: Depth=1
	s_load_dwordx4 s[16:19], s[6:7], 0x1c
	s_load_dwordx2 s[10:11], s[6:7], 0x2c
	s_load_dwordx2 s[24:25], s[6:7], 0xec
	s_load_dwordx4 s[20:23], s[6:7], 0xdc
	s_add_u32 s6, s6, 24
	s_waitcnt lgkmcnt(0)
	v_mul_hi_u32 v1, s17, v0
	s_addc_u32 s7, s7, 0
	s_add_i32 s9, s9, -2
	s_cmp_lg_u32 s9, 0
	v_add_u32_e32 v1, v0, v1
	v_lshrrev_b32_e32 v1, s18, v1
	v_mul_lo_u32 v2, v1, s16
	v_mul_hi_u32 v3, s10, v1
	v_sub_u32_e32 v2, v0, v2
	v_add_u32_e32 v0, v1, v3
	v_lshrrev_b32_e32 v0, s11, v0
	v_mul_lo_u32 v5, v0, s19
	v_mul_lo_u32 v3, v2, s20
	;; [unrolled: 1-line block ×4, first 2 shown]
	v_sub_u32_e32 v1, v1, v5
	v_mul_lo_u32 v5, v1, s23
	v_mul_lo_u32 v7, v1, s24
	;; [unrolled: 1-line block ×3, first 2 shown]
	v_add3_u32 v6, v3, v6, v5
	v_add3_u32 v8, v4, v8, v7
	;; [unrolled: 1-line block ×3, first 2 shown]
	s_cbranch_scc1 .LBB380_1561
; %bb.1562:
	s_bitcmp1_b32 s8, 0
	s_cselect_b64 s[8:9], -1, 0
	s_and_b64 vcc, exec, s[8:9]
	s_cbranch_vccnz .LBB380_1566
; %bb.1563:
	s_load_dwordx2 s[8:9], s[6:7], 0x1c
	s_load_dword s16, s[6:7], 0x24
	s_load_dwordx2 s[10:11], s[6:7], 0xdc
	s_waitcnt lgkmcnt(0)
	v_mul_hi_u32 v1, s9, v0
	v_add_u32_e32 v1, v0, v1
	v_lshrrev_b32_e32 v1, s16, v1
	v_mul_lo_u32 v1, v1, s8
	s_load_dword s8, s[6:7], 0xe4
	v_sub_u32_e32 v0, v0, v1
	v_mad_u64_u32 v[6:7], s[6:7], v0, s10, v[6:7]
	v_mad_u64_u32 v[8:9], s[6:7], v0, s11, v[8:9]
	s_waitcnt lgkmcnt(0)
	v_mad_u64_u32 v[13:14], s[6:7], v0, s8, v[13:14]
	s_cbranch_execz .LBB380_1567
	s_branch .LBB380_1569
.LBB380_1564:
                                        ; implicit-def: $vgpr6
                                        ; implicit-def: $vgpr8
                                        ; implicit-def: $vgpr13
	s_branch .LBB380_1567
.LBB380_1565:
	s_waitcnt vmcnt(0)
	v_mov_b32_e32 v6, 0
	v_mov_b32_e32 v8, 0
	;; [unrolled: 1-line block ×3, first 2 shown]
.LBB380_1566:
	s_cbranch_execnz .LBB380_1569
.LBB380_1567:
	s_load_dwordx4 s[8:11], s[2:3], 0x4
	s_load_dwordx4 s[16:19], s[2:3], 0xc4
	s_cmp_lt_u32 s33, 2
	s_waitcnt lgkmcnt(0)
	v_mul_hi_u32 v0, s9, v10
	v_add_u32_e32 v0, v10, v0
	v_lshrrev_b32_e32 v0, s10, v0
	s_waitcnt vmcnt(0)
	v_mul_lo_u32 v1, v0, s8
	v_sub_u32_e32 v1, v10, v1
	v_mul_lo_u32 v6, v1, s16
	v_mul_lo_u32 v8, v1, s17
	;; [unrolled: 1-line block ×3, first 2 shown]
	s_cbranch_scc1 .LBB380_1569
; %bb.1568:
	s_load_dwordx4 s[8:11], s[2:3], 0x10
	s_load_dwordx4 s[16:19], s[2:3], 0xd0
	s_waitcnt lgkmcnt(0)
	v_mul_hi_u32 v1, s9, v0
	v_add_u32_e32 v1, v0, v1
	v_lshrrev_b32_e32 v1, s10, v1
	v_mul_lo_u32 v1, v1, s8
	v_sub_u32_e32 v0, v0, v1
	v_mad_u64_u32 v[6:7], s[6:7], v0, s16, v[6:7]
	v_mad_u64_u32 v[8:9], s[6:7], v0, s17, v[8:9]
	;; [unrolled: 1-line block ×3, first 2 shown]
.LBB380_1569:
	s_and_b64 vcc, exec, s[0:1]
	v_add_u32_e32 v0, 0x80, v10
	s_cbranch_vccnz .LBB380_1575
; %bb.1570:
	s_cmp_lg_u32 s33, 0
	s_cbranch_scc0 .LBB380_1576
; %bb.1571:
	s_min_u32 s8, s72, 15
	s_add_i32 s6, s8, 1
	s_and_b32 s9, s6, 30
	s_add_u32 s6, s2, 0xffffffe8
	s_addc_u32 s7, s3, -1
	v_mov_b32_e32 v18, 0
	v_mov_b32_e32 v11, 0
	s_waitcnt vmcnt(0)
	v_mov_b32_e32 v4, 0
	v_mov_b32_e32 v1, v0
.LBB380_1572:                           ; =>This Inner Loop Header: Depth=1
	s_load_dwordx4 s[16:19], s[6:7], 0x1c
	s_load_dwordx2 s[10:11], s[6:7], 0x2c
	s_load_dwordx2 s[24:25], s[6:7], 0xec
	s_load_dwordx4 s[20:23], s[6:7], 0xdc
	s_add_u32 s6, s6, 24
	s_waitcnt lgkmcnt(0)
	v_mul_hi_u32 v2, s17, v1
	s_addc_u32 s7, s7, 0
	s_add_i32 s9, s9, -2
	s_cmp_lg_u32 s9, 0
	v_add_u32_e32 v2, v1, v2
	v_lshrrev_b32_e32 v2, s18, v2
	v_mul_lo_u32 v3, v2, s16
	v_mul_hi_u32 v5, s10, v2
	v_sub_u32_e32 v3, v1, v3
	v_add_u32_e32 v1, v2, v5
	v_lshrrev_b32_e32 v1, s11, v1
	v_mul_lo_u32 v9, v1, s19
	v_mul_lo_u32 v5, v3, s20
	;; [unrolled: 1-line block ×4, first 2 shown]
	v_sub_u32_e32 v2, v2, v9
	v_mul_lo_u32 v9, v2, s23
	v_mul_lo_u32 v12, v2, s24
	v_mul_lo_u32 v2, v2, s25
	v_add3_u32 v4, v5, v4, v9
	v_add3_u32 v11, v7, v11, v12
	;; [unrolled: 1-line block ×3, first 2 shown]
	s_cbranch_scc1 .LBB380_1572
; %bb.1573:
	s_bitcmp1_b32 s8, 0
	s_cselect_b64 s[8:9], -1, 0
	s_and_b64 vcc, exec, s[8:9]
	s_cbranch_vccnz .LBB380_1577
; %bb.1574:
	s_load_dwordx2 s[8:9], s[6:7], 0x1c
	s_load_dword s16, s[6:7], 0x24
	s_load_dwordx2 s[10:11], s[6:7], 0xdc
	s_waitcnt lgkmcnt(0)
	v_mul_hi_u32 v2, s9, v1
	v_add_u32_e32 v2, v1, v2
	v_lshrrev_b32_e32 v2, s16, v2
	v_mul_lo_u32 v2, v2, s8
	s_load_dword s8, s[6:7], 0xe4
	v_sub_u32_e32 v1, v1, v2
	v_mad_u64_u32 v[4:5], s[6:7], v1, s10, v[4:5]
	v_mad_u64_u32 v[11:12], s[6:7], v1, s11, v[11:12]
	s_waitcnt lgkmcnt(0)
	v_mad_u64_u32 v[18:19], s[6:7], v1, s8, v[18:19]
	s_cbranch_execz .LBB380_1578
	s_branch .LBB380_1580
.LBB380_1575:
                                        ; implicit-def: $vgpr4
                                        ; implicit-def: $vgpr11
                                        ; implicit-def: $vgpr18
	s_branch .LBB380_1578
.LBB380_1576:
	s_waitcnt vmcnt(0)
	v_mov_b32_e32 v4, 0
	v_mov_b32_e32 v11, 0
	;; [unrolled: 1-line block ×3, first 2 shown]
.LBB380_1577:
	s_cbranch_execnz .LBB380_1580
.LBB380_1578:
	s_load_dwordx4 s[8:11], s[2:3], 0x4
	s_load_dwordx4 s[16:19], s[2:3], 0xc4
	s_cmp_lt_u32 s33, 2
	s_waitcnt vmcnt(0) lgkmcnt(0)
	v_mul_hi_u32 v1, s9, v0
	v_add_u32_e32 v1, v0, v1
	v_lshrrev_b32_e32 v1, s10, v1
	v_mul_lo_u32 v2, v1, s8
	v_sub_u32_e32 v0, v0, v2
	v_mul_lo_u32 v4, v0, s16
	v_mul_lo_u32 v11, v0, s17
	;; [unrolled: 1-line block ×3, first 2 shown]
	s_cbranch_scc1 .LBB380_1580
; %bb.1579:
	s_load_dwordx4 s[8:11], s[2:3], 0x10
	s_load_dwordx4 s[16:19], s[2:3], 0xd0
	s_waitcnt lgkmcnt(0)
	v_mul_hi_u32 v0, s9, v1
	v_add_u32_e32 v0, v1, v0
	v_lshrrev_b32_e32 v0, s10, v0
	v_mul_lo_u32 v0, v0, s8
	v_sub_u32_e32 v0, v1, v0
	v_mad_u64_u32 v[4:5], s[6:7], v0, s16, v[4:5]
	v_mad_u64_u32 v[11:12], s[6:7], v0, s17, v[11:12]
	;; [unrolled: 1-line block ×3, first 2 shown]
.LBB380_1580:
	s_and_b64 vcc, exec, s[0:1]
	v_add_u32_e32 v0, 0x100, v10
	s_cbranch_vccnz .LBB380_1586
; %bb.1581:
	s_cmp_lg_u32 s33, 0
	s_cbranch_scc0 .LBB380_1587
; %bb.1582:
	s_min_u32 s8, s72, 15
	s_add_i32 s6, s8, 1
	s_and_b32 s9, s6, 30
	s_add_u32 s6, s2, 0xffffffe8
	s_addc_u32 s7, s3, -1
	v_mov_b32_e32 v19, 0
	v_mov_b32_e32 v16, 0
	s_waitcnt vmcnt(0)
	v_mov_b32_e32 v2, 0
	v_mov_b32_e32 v1, v0
.LBB380_1583:                           ; =>This Inner Loop Header: Depth=1
	s_load_dwordx4 s[16:19], s[6:7], 0x1c
	s_load_dwordx2 s[10:11], s[6:7], 0x2c
	s_load_dwordx2 s[24:25], s[6:7], 0xec
	s_load_dwordx4 s[20:23], s[6:7], 0xdc
	s_add_u32 s6, s6, 24
	s_waitcnt lgkmcnt(0)
	v_mul_hi_u32 v3, s17, v1
	s_addc_u32 s7, s7, 0
	s_add_i32 s9, s9, -2
	s_cmp_lg_u32 s9, 0
	v_add_u32_e32 v3, v1, v3
	v_lshrrev_b32_e32 v3, s18, v3
	v_mul_lo_u32 v5, v3, s16
	v_mul_hi_u32 v7, s10, v3
	v_sub_u32_e32 v5, v1, v5
	v_add_u32_e32 v1, v3, v7
	v_lshrrev_b32_e32 v1, s11, v1
	v_mul_lo_u32 v10, v1, s19
	v_mul_lo_u32 v7, v5, s20
	;; [unrolled: 1-line block ×4, first 2 shown]
	v_sub_u32_e32 v3, v3, v10
	v_mul_lo_u32 v10, v3, s23
	v_mul_lo_u32 v12, v3, s24
	;; [unrolled: 1-line block ×3, first 2 shown]
	v_add3_u32 v2, v7, v2, v10
	v_add3_u32 v16, v9, v16, v12
	;; [unrolled: 1-line block ×3, first 2 shown]
	s_cbranch_scc1 .LBB380_1583
; %bb.1584:
	s_bitcmp1_b32 s8, 0
	s_cselect_b64 s[8:9], -1, 0
	s_and_b64 vcc, exec, s[8:9]
	s_cbranch_vccnz .LBB380_1588
; %bb.1585:
	s_load_dwordx2 s[8:9], s[6:7], 0x1c
	s_load_dword s16, s[6:7], 0x24
	s_load_dwordx2 s[10:11], s[6:7], 0xdc
	s_waitcnt lgkmcnt(0)
	v_mul_hi_u32 v3, s9, v1
	v_add_u32_e32 v3, v1, v3
	v_lshrrev_b32_e32 v3, s16, v3
	v_mul_lo_u32 v3, v3, s8
	s_load_dword s8, s[6:7], 0xe4
	v_sub_u32_e32 v1, v1, v3
	v_mad_u64_u32 v[2:3], s[6:7], v1, s10, v[2:3]
	v_mad_u64_u32 v[16:17], s[6:7], v1, s11, v[16:17]
	s_waitcnt lgkmcnt(0)
	v_mad_u64_u32 v[19:20], s[6:7], v1, s8, v[19:20]
	s_cbranch_execz .LBB380_1589
	s_branch .LBB380_1591
.LBB380_1586:
                                        ; implicit-def: $vgpr2
                                        ; implicit-def: $vgpr16
                                        ; implicit-def: $vgpr19
	s_branch .LBB380_1589
.LBB380_1587:
	s_waitcnt vmcnt(0)
	v_mov_b32_e32 v2, 0
	v_mov_b32_e32 v16, 0
	;; [unrolled: 1-line block ×3, first 2 shown]
.LBB380_1588:
	s_cbranch_execnz .LBB380_1591
.LBB380_1589:
	s_load_dwordx4 s[8:11], s[2:3], 0x4
	s_load_dwordx4 s[16:19], s[2:3], 0xc4
	s_cmp_lt_u32 s33, 2
	s_waitcnt vmcnt(0) lgkmcnt(0)
	v_mul_hi_u32 v1, s9, v0
	v_add_u32_e32 v1, v0, v1
	v_lshrrev_b32_e32 v1, s10, v1
	v_mul_lo_u32 v2, v1, s8
	v_sub_u32_e32 v0, v0, v2
	v_mul_lo_u32 v2, v0, s16
	v_mul_lo_u32 v16, v0, s17
	;; [unrolled: 1-line block ×3, first 2 shown]
	s_cbranch_scc1 .LBB380_1591
; %bb.1590:
	s_load_dwordx4 s[8:11], s[2:3], 0x10
	s_load_dwordx4 s[16:19], s[2:3], 0xd0
	s_waitcnt lgkmcnt(0)
	v_mul_hi_u32 v0, s9, v1
	v_add_u32_e32 v0, v1, v0
	v_lshrrev_b32_e32 v0, s10, v0
	v_mul_lo_u32 v0, v0, s8
	v_sub_u32_e32 v0, v1, v0
	v_mad_u64_u32 v[2:3], s[6:7], v0, s16, v[2:3]
	v_mad_u64_u32 v[16:17], s[6:7], v0, s17, v[16:17]
	;; [unrolled: 1-line block ×3, first 2 shown]
.LBB380_1591:
	s_and_b64 vcc, exec, s[0:1]
	s_cbranch_vccnz .LBB380_1597
; %bb.1592:
	s_cmp_lg_u32 s33, 0
	s_cbranch_scc0 .LBB380_1598
; %bb.1593:
	s_min_u32 s6, s72, 15
	s_add_i32 s0, s6, 1
	s_and_b32 s7, s0, 30
	s_add_u32 s0, s2, 0xffffffe8
	s_addc_u32 s1, s3, -1
	v_mov_b32_e32 v9, 0
	v_mov_b32_e32 v14, 0
	;; [unrolled: 1-line block ×3, first 2 shown]
	s_waitcnt vmcnt(0)
	v_mov_b32_e32 v1, v21
.LBB380_1594:                           ; =>This Inner Loop Header: Depth=1
	s_load_dwordx4 s[8:11], s[0:1], 0x1c
	s_load_dwordx2 s[20:21], s[0:1], 0x2c
	s_load_dwordx2 s[22:23], s[0:1], 0xec
	s_load_dwordx4 s[16:19], s[0:1], 0xdc
	s_add_u32 s0, s0, 24
	s_waitcnt lgkmcnt(0)
	v_mul_hi_u32 v3, s9, v1
	s_addc_u32 s1, s1, 0
	s_add_i32 s7, s7, -2
	s_cmp_lg_u32 s7, 0
	v_add_u32_e32 v3, v1, v3
	v_lshrrev_b32_e32 v3, s10, v3
	v_mul_lo_u32 v5, v3, s8
	v_mul_hi_u32 v7, s20, v3
	v_sub_u32_e32 v5, v1, v5
	v_add_u32_e32 v1, v3, v7
	v_lshrrev_b32_e32 v1, s21, v1
	v_mul_lo_u32 v12, v1, s11
	v_mul_lo_u32 v7, v5, s16
	;; [unrolled: 1-line block ×4, first 2 shown]
	v_sub_u32_e32 v3, v3, v12
	v_mul_lo_u32 v12, v3, s19
	v_mul_lo_u32 v15, v3, s22
	;; [unrolled: 1-line block ×3, first 2 shown]
	v_add3_u32 v0, v7, v0, v12
	v_add3_u32 v14, v10, v14, v15
	;; [unrolled: 1-line block ×3, first 2 shown]
	s_cbranch_scc1 .LBB380_1594
; %bb.1595:
	s_bitcmp1_b32 s6, 0
	s_cselect_b64 s[6:7], -1, 0
	s_and_b64 vcc, exec, s[6:7]
	s_cbranch_vccnz .LBB380_1599
; %bb.1596:
	s_load_dwordx2 s[6:7], s[0:1], 0x1c
	s_load_dword s10, s[0:1], 0x24
	s_load_dwordx2 s[8:9], s[0:1], 0xdc
	s_waitcnt lgkmcnt(0)
	v_mul_hi_u32 v3, s7, v1
	v_add_u32_e32 v3, v1, v3
	v_lshrrev_b32_e32 v3, s10, v3
	v_mul_lo_u32 v3, v3, s6
	s_load_dword s6, s[0:1], 0xe4
	v_sub_u32_e32 v3, v1, v3
	v_mad_u64_u32 v[0:1], s[0:1], v3, s8, v[0:1]
	v_mad_u64_u32 v[14:15], s[0:1], v3, s9, v[14:15]
	s_waitcnt lgkmcnt(0)
	v_mad_u64_u32 v[9:10], s[0:1], v3, s6, v[9:10]
	s_cbranch_execz .LBB380_1600
	s_branch .LBB380_1602
.LBB380_1597:
                                        ; implicit-def: $vgpr0
                                        ; implicit-def: $vgpr14
                                        ; implicit-def: $vgpr9
	s_branch .LBB380_1600
.LBB380_1598:
	v_mov_b32_e32 v0, 0
	v_mov_b32_e32 v14, 0
	;; [unrolled: 1-line block ×3, first 2 shown]
.LBB380_1599:
	s_cbranch_execnz .LBB380_1602
.LBB380_1600:
	s_load_dwordx4 s[8:11], s[2:3], 0x4
	s_load_dwordx4 s[16:19], s[2:3], 0xc4
	s_cmp_lt_u32 s33, 2
	s_waitcnt lgkmcnt(0)
	v_mul_hi_u32 v0, s9, v21
	v_add_u32_e32 v0, v21, v0
	s_waitcnt vmcnt(0)
	v_lshrrev_b32_e32 v1, s10, v0
	v_mul_lo_u32 v0, v1, s8
	v_sub_u32_e32 v3, v21, v0
	v_mul_lo_u32 v0, v3, s16
	v_mul_lo_u32 v14, v3, s17
	;; [unrolled: 1-line block ×3, first 2 shown]
	s_cbranch_scc1 .LBB380_1602
; %bb.1601:
	s_load_dwordx4 s[8:11], s[2:3], 0x10
	s_load_dwordx4 s[16:19], s[2:3], 0xd0
	s_waitcnt lgkmcnt(0)
	v_mul_hi_u32 v3, s9, v1
	v_add_u32_e32 v3, v1, v3
	v_lshrrev_b32_e32 v3, s10, v3
	v_mul_lo_u32 v3, v3, s8
	v_sub_u32_e32 v3, v1, v3
	v_mad_u64_u32 v[0:1], s[0:1], v3, s16, v[0:1]
	v_mad_u64_u32 v[14:15], s[0:1], v3, s17, v[14:15]
	;; [unrolled: 1-line block ×3, first 2 shown]
.LBB380_1602:
	s_load_dwordx4 s[8:11], s[2:3], 0x188
	s_load_dword s23, s[4:5], 0x1ac
	s_waitcnt vmcnt(0) lgkmcnt(0)
	v_mov_b32_e32 v1, s11
	s_bfe_u32 s18, s23, 0x80008
	v_add_co_u32_e32 v20, vcc, s10, v8
	s_cmp_lt_i32 s18, 11
	v_addc_co_u32_e32 v21, vcc, 0, v1, vcc
	s_cbranch_scc1 .LBB380_1609
; %bb.1603:
	s_and_b32 s19, 0xffff, s18
	s_cmp_gt_i32 s19, 25
	s_mov_b64 s[6:7], 0
	s_cbranch_scc0 .LBB380_1611
; %bb.1604:
	s_cmp_gt_i32 s19, 28
	s_cbranch_scc0 .LBB380_1612
; %bb.1605:
	s_cmp_gt_i32 s19, 43
	;; [unrolled: 3-line block ×3, first 2 shown]
	s_cbranch_scc0 .LBB380_1614
; %bb.1607:
	s_cmp_eq_u32 s19, 46
	s_mov_b64 s[4:5], 0
	s_cbranch_scc0 .LBB380_1617
; %bb.1608:
	global_load_dword v1, v[20:21], off
	s_mov_b64 s[0:1], 0
	s_mov_b64 s[16:17], -1
	s_waitcnt vmcnt(0)
	v_lshlrev_b32_e32 v1, 16, v1
	v_cvt_i32_f32_e32 v7, v1
	s_branch .LBB380_1618
.LBB380_1609:
	s_mov_b64 s[16:17], 0
                                        ; implicit-def: $vgpr7
	s_mov_b64 s[4:5], s[12:13]
	s_cbranch_execnz .LBB380_1676
.LBB380_1610:
	s_andn2_b64 vcc, exec, s[16:17]
	s_cbranch_vccz .LBB380_1721
	s_branch .LBB380_3036
.LBB380_1611:
	s_mov_b64 s[16:17], 0
	s_mov_b64 s[0:1], 0
                                        ; implicit-def: $vgpr7
	s_cbranch_execnz .LBB380_1643
	s_branch .LBB380_1672
.LBB380_1612:
	s_mov_b64 s[16:17], 0
	s_mov_b64 s[0:1], 0
                                        ; implicit-def: $vgpr7
	s_cbranch_execz .LBB380_1642
	s_branch .LBB380_1627
.LBB380_1613:
	s_mov_b64 s[16:17], 0
	s_mov_b64 s[0:1], 0
                                        ; implicit-def: $vgpr7
	s_cbranch_execnz .LBB380_1623
	s_branch .LBB380_1626
.LBB380_1614:
	s_mov_b64 s[4:5], -1
	s_mov_b64 s[16:17], 0
	s_mov_b64 s[0:1], 0
                                        ; implicit-def: $vgpr7
	s_branch .LBB380_1618
.LBB380_1615:
	s_andn2_saveexec_b64 s[18:19], s[18:19]
	s_cbranch_execz .LBB380_1466
.LBB380_1616:
	v_add_f32_e32 v0, 0x46000000, v1
	v_and_b32_e32 v0, 0xff, v0
	v_cmp_ne_u32_e32 vcc, 0, v0
	s_andn2_b64 s[14:15], s[14:15], exec
	s_and_b64 s[20:21], vcc, exec
	s_or_b64 s[14:15], s[14:15], s[20:21]
	s_or_b64 exec, exec, s[18:19]
	v_mov_b32_e32 v4, 0
	s_and_saveexec_b64 s[18:19], s[14:15]
	s_cbranch_execnz .LBB380_1467
	s_branch .LBB380_1468
.LBB380_1617:
	s_mov_b64 s[0:1], -1
                                        ; implicit-def: $vgpr7
	s_mov_b64 s[16:17], 0
.LBB380_1618:
	s_and_b64 vcc, exec, s[4:5]
	s_cbranch_vccz .LBB380_1621
; %bb.1619:
	s_cmp_eq_u32 s19, 44
	s_cbranch_scc0 .LBB380_1622
; %bb.1620:
	global_load_ubyte v1, v[20:21], off
	s_mov_b64 s[0:1], 0
	s_mov_b64 s[16:17], -1
	s_waitcnt vmcnt(0)
	v_lshlrev_b32_e32 v3, 23, v1
	v_cvt_i32_f32_e32 v3, v3
	v_cmp_ne_u32_e32 vcc, 0, v1
	v_cndmask_b32_e32 v7, 0, v3, vcc
.LBB380_1621:
	s_branch .LBB380_1626
.LBB380_1622:
	s_mov_b64 s[0:1], -1
                                        ; implicit-def: $vgpr7
	s_branch .LBB380_1626
.LBB380_1623:
	s_cmp_eq_u32 s19, 29
	s_cbranch_scc0 .LBB380_1625
; %bb.1624:
	global_load_dwordx2 v[7:8], v[20:21], off
	s_mov_b64 s[0:1], 0
	s_mov_b64 s[16:17], -1
	s_branch .LBB380_1626
.LBB380_1625:
	s_mov_b64 s[0:1], -1
                                        ; implicit-def: $vgpr7
.LBB380_1626:
	s_branch .LBB380_1642
.LBB380_1627:
	s_cmp_lt_i32 s19, 27
	s_cbranch_scc1 .LBB380_1630
; %bb.1628:
	s_cmp_gt_i32 s19, 27
	s_cbranch_scc0 .LBB380_1631
; %bb.1629:
	global_load_dword v7, v[20:21], off
	s_mov_b64 s[4:5], 0
	s_branch .LBB380_1632
.LBB380_1630:
	s_mov_b64 s[4:5], -1
                                        ; implicit-def: $vgpr7
	s_branch .LBB380_1635
.LBB380_1631:
	s_mov_b64 s[4:5], -1
                                        ; implicit-def: $vgpr7
.LBB380_1632:
	s_andn2_b64 vcc, exec, s[4:5]
	s_cbranch_vccnz .LBB380_1634
; %bb.1633:
	global_load_ushort v7, v[20:21], off
.LBB380_1634:
	s_mov_b64 s[4:5], 0
.LBB380_1635:
	s_andn2_b64 vcc, exec, s[4:5]
	s_cbranch_vccnz .LBB380_1641
; %bb.1636:
	global_load_ubyte v1, v[20:21], off
	s_movk_i32 s4, 0x7f
	s_mov_b64 s[16:17], 0
	s_waitcnt vmcnt(0)
	v_cmp_lt_i16_e32 vcc, s4, v1
	s_and_saveexec_b64 s[4:5], vcc
	s_xor_b64 s[4:5], exec, s[4:5]
	s_cbranch_execz .LBB380_1652
; %bb.1637:
	s_movk_i32 s16, 0x80
	v_cmp_ne_u16_e32 vcc, s16, v1
	s_and_b64 s[16:17], vcc, exec
	s_andn2_saveexec_b64 s[4:5], s[4:5]
	s_cbranch_execnz .LBB380_1653
.LBB380_1638:
	s_or_b64 exec, exec, s[4:5]
	v_mov_b32_e32 v7, 0
	s_and_saveexec_b64 s[4:5], s[16:17]
	s_cbranch_execz .LBB380_1640
.LBB380_1639:
	v_lshlrev_b32_e32 v3, 24, v1
	v_and_b32_e32 v1, 0xffff, v1
	v_and_b32_e32 v5, 7, v1
	v_ffbh_u32_e32 v8, v5
	v_min_u32_e32 v8, 32, v8
	v_subrev_u32_e32 v10, 28, v8
	v_bfe_u32 v7, v1, 3, 4
	v_lshlrev_b32_e32 v1, v10, v1
	v_sub_u32_e32 v8, 29, v8
	v_and_b32_e32 v1, 7, v1
	v_cmp_eq_u32_e32 vcc, 0, v7
	v_cndmask_b32_e32 v7, v7, v8, vcc
	v_cndmask_b32_e32 v1, v5, v1, vcc
	v_mov_b32_e32 v5, 0x3b800000
	v_lshlrev_b32_e32 v1, 20, v1
	v_and_b32_e32 v3, 0x80000000, v3
	v_lshl_add_u32 v5, v7, 23, v5
	v_or3_b32 v1, v3, v5, v1
	v_cvt_i32_f32_e32 v7, v1
.LBB380_1640:
	s_or_b64 exec, exec, s[4:5]
.LBB380_1641:
	s_mov_b64 s[16:17], -1
.LBB380_1642:
	s_branch .LBB380_1672
.LBB380_1643:
	s_cmp_gt_i32 s19, 22
	s_cbranch_scc0 .LBB380_1651
; %bb.1644:
	s_cmp_lt_i32 s19, 24
	s_cbranch_scc1 .LBB380_1654
; %bb.1645:
	s_cmp_gt_i32 s19, 24
	s_cbranch_scc0 .LBB380_1655
; %bb.1646:
	global_load_ubyte v1, v[20:21], off
	s_movk_i32 s4, 0x7f
	s_waitcnt vmcnt(0)
	v_cmp_lt_i16_e32 vcc, s4, v1
	s_and_saveexec_b64 s[4:5], vcc
	s_xor_b64 s[4:5], exec, s[4:5]
	s_cbranch_execz .LBB380_1666
; %bb.1647:
	s_movk_i32 s6, 0x80
	v_cmp_ne_u16_e32 vcc, s6, v1
	s_and_b64 s[6:7], vcc, exec
	s_andn2_saveexec_b64 s[4:5], s[4:5]
	s_cbranch_execnz .LBB380_1667
.LBB380_1648:
	s_or_b64 exec, exec, s[4:5]
	v_mov_b32_e32 v7, 0
	s_and_saveexec_b64 s[4:5], s[6:7]
	s_cbranch_execz .LBB380_1650
.LBB380_1649:
	v_lshlrev_b32_e32 v3, 24, v1
	v_and_b32_e32 v1, 0xffff, v1
	v_and_b32_e32 v5, 3, v1
	v_ffbh_u32_e32 v8, v5
	v_min_u32_e32 v8, 32, v8
	v_subrev_u32_e32 v10, 29, v8
	v_bfe_u32 v7, v1, 2, 5
	v_lshlrev_b32_e32 v1, v10, v1
	v_sub_u32_e32 v8, 30, v8
	v_and_b32_e32 v1, 3, v1
	v_cmp_eq_u32_e32 vcc, 0, v7
	v_cndmask_b32_e32 v7, v7, v8, vcc
	v_cndmask_b32_e32 v1, v5, v1, vcc
	v_mov_b32_e32 v5, 0x37800000
	v_lshlrev_b32_e32 v1, 21, v1
	v_and_b32_e32 v3, 0x80000000, v3
	v_lshl_add_u32 v5, v7, 23, v5
	v_or3_b32 v1, v3, v5, v1
	v_cvt_i32_f32_e32 v7, v1
.LBB380_1650:
	s_or_b64 exec, exec, s[4:5]
	s_mov_b64 s[4:5], 0
	s_branch .LBB380_1656
.LBB380_1651:
                                        ; implicit-def: $vgpr7
	s_mov_b64 s[6:7], 0
	s_branch .LBB380_1662
.LBB380_1652:
	s_andn2_saveexec_b64 s[4:5], s[4:5]
	s_cbranch_execz .LBB380_1638
.LBB380_1653:
	v_cmp_ne_u16_e32 vcc, 0, v1
	s_andn2_b64 s[16:17], s[16:17], exec
	s_and_b64 s[20:21], vcc, exec
	s_or_b64 s[16:17], s[16:17], s[20:21]
	s_or_b64 exec, exec, s[4:5]
	v_mov_b32_e32 v7, 0
	s_and_saveexec_b64 s[4:5], s[16:17]
	s_cbranch_execnz .LBB380_1639
	s_branch .LBB380_1640
.LBB380_1654:
	s_mov_b64 s[4:5], -1
                                        ; implicit-def: $vgpr7
	s_branch .LBB380_1659
.LBB380_1655:
	s_mov_b64 s[4:5], -1
                                        ; implicit-def: $vgpr7
.LBB380_1656:
	s_and_b64 vcc, exec, s[4:5]
	s_cbranch_vccz .LBB380_1658
; %bb.1657:
	global_load_ubyte v1, v[20:21], off
	s_mov_b32 s4, 0x7f800000
	s_waitcnt vmcnt(0)
	v_lshlrev_b32_e32 v1, 24, v1
	v_and_b32_e32 v3, 0x7f000000, v1
	v_ffbh_u32_e32 v5, v3
	v_min_u32_e32 v5, 32, v5
	v_sub_u32_e64 v5, v5, 4 clamp
	v_lshlrev_b32_e32 v8, v5, v3
	v_lshlrev_b32_e32 v5, 23, v5
	v_lshrrev_b32_e32 v8, 4, v8
	v_add_u32_e32 v7, 0x1000000, v3
	v_sub_u32_e32 v5, v8, v5
	v_ashrrev_i32_e32 v7, 8, v7
	v_add_u32_e32 v5, 0x3c000000, v5
	v_and_or_b32 v5, v7, s4, v5
	v_cmp_ne_u32_e32 vcc, 0, v3
	v_cndmask_b32_e32 v3, 0, v5, vcc
	s_brev_b32 s4, 1
	v_and_or_b32 v1, v1, s4, v3
	v_cvt_i32_f32_e32 v7, v1
.LBB380_1658:
	s_mov_b64 s[4:5], 0
.LBB380_1659:
	s_andn2_b64 vcc, exec, s[4:5]
	s_cbranch_vccnz .LBB380_1661
; %bb.1660:
	global_load_ubyte v1, v[20:21], off
	s_movk_i32 s4, 0x7f00
	s_brev_b32 s5, 16
	s_waitcnt vmcnt(0)
	v_lshlrev_b16_e32 v3, 8, v1
	v_lshlrev_b32_e32 v1, 25, v1
	v_lshrrev_b32_e32 v5, 4, v1
	v_and_or_b32 v7, v3, s4, 0.5
	v_or_b32_e32 v5, 0x70000000, v5
	v_add_f32_e32 v7, -0.5, v7
	v_mul_f32_e32 v5, 0x7800000, v5
	v_cmp_gt_u32_e32 vcc, s5, v1
	v_bfe_i32 v3, v3, 0, 16
	v_cndmask_b32_e32 v1, v5, v7, vcc
	s_brev_b32 s4, 1
	v_and_or_b32 v1, v3, s4, v1
	v_cvt_i32_f32_e32 v7, v1
.LBB380_1661:
	s_mov_b64 s[16:17], -1
	s_mov_b64 s[6:7], 0
	s_cbranch_execnz .LBB380_1672
.LBB380_1662:
	s_cmp_gt_i32 s19, 14
	s_cbranch_scc0 .LBB380_1665
; %bb.1663:
	s_cmp_eq_u32 s19, 15
	s_cbranch_scc0 .LBB380_1668
; %bb.1664:
	global_load_ushort v1, v[20:21], off
	s_mov_b64 s[0:1], 0
	s_mov_b64 s[16:17], -1
	s_waitcnt vmcnt(0)
	v_lshlrev_b32_e32 v1, 16, v1
	v_cvt_i32_f32_e32 v7, v1
	s_branch .LBB380_1669
.LBB380_1665:
	s_mov_b64 s[4:5], -1
                                        ; implicit-def: $vgpr7
	s_branch .LBB380_1670
.LBB380_1666:
	s_andn2_saveexec_b64 s[4:5], s[4:5]
	s_cbranch_execz .LBB380_1648
.LBB380_1667:
	v_cmp_ne_u16_e32 vcc, 0, v1
	s_andn2_b64 s[6:7], s[6:7], exec
	s_and_b64 s[16:17], vcc, exec
	s_or_b64 s[6:7], s[6:7], s[16:17]
	s_or_b64 exec, exec, s[4:5]
	v_mov_b32_e32 v7, 0
	s_and_saveexec_b64 s[4:5], s[6:7]
	s_cbranch_execnz .LBB380_1649
	s_branch .LBB380_1650
.LBB380_1668:
	s_mov_b64 s[0:1], -1
                                        ; implicit-def: $vgpr7
.LBB380_1669:
	s_mov_b64 s[4:5], 0
.LBB380_1670:
	s_and_b64 vcc, exec, s[4:5]
	s_cbranch_vccz .LBB380_1672
; %bb.1671:
	s_cmp_lg_u32 s19, 11
	s_mov_b64 s[6:7], -1
	s_cselect_b64 s[0:1], -1, 0
.LBB380_1672:
	s_and_b64 vcc, exec, s[0:1]
	s_mov_b64 s[4:5], s[12:13]
	s_cbranch_vccnz .LBB380_1733
; %bb.1673:
	s_andn2_b64 vcc, exec, s[6:7]
	s_cbranch_vccnz .LBB380_1675
.LBB380_1674:
	global_load_ubyte v1, v[20:21], off
	s_mov_b64 s[16:17], -1
	s_waitcnt vmcnt(0)
	v_cmp_ne_u16_e32 vcc, 0, v1
	v_cndmask_b32_e64 v7, 0, 1, vcc
.LBB380_1675:
	s_branch .LBB380_1610
.LBB380_1676:
	s_and_b32 s6, 0xffff, s18
	s_cmp_lt_i32 s6, 5
	s_cbranch_scc1 .LBB380_1681
; %bb.1677:
	s_cmp_lt_i32 s6, 8
	s_cbranch_scc1 .LBB380_1682
; %bb.1678:
	;; [unrolled: 3-line block ×3, first 2 shown]
	s_cmp_gt_i32 s6, 9
	s_cbranch_scc0 .LBB380_1684
; %bb.1680:
	global_load_dwordx2 v[7:8], v[20:21], off
	s_mov_b64 s[0:1], 0
	s_waitcnt vmcnt(0)
	v_cvt_i32_f64_e32 v7, v[7:8]
	s_branch .LBB380_1685
.LBB380_1681:
                                        ; implicit-def: $vgpr7
	s_branch .LBB380_1702
.LBB380_1682:
                                        ; implicit-def: $vgpr7
	s_branch .LBB380_1691
.LBB380_1683:
	s_mov_b64 s[0:1], -1
                                        ; implicit-def: $vgpr7
	s_branch .LBB380_1688
.LBB380_1684:
	s_mov_b64 s[0:1], -1
                                        ; implicit-def: $vgpr7
.LBB380_1685:
	s_andn2_b64 vcc, exec, s[0:1]
	s_cbranch_vccnz .LBB380_1687
; %bb.1686:
	global_load_dword v1, v[20:21], off
	s_waitcnt vmcnt(0)
	v_cvt_i32_f32_e32 v7, v1
.LBB380_1687:
	s_mov_b64 s[0:1], 0
.LBB380_1688:
	s_andn2_b64 vcc, exec, s[0:1]
	s_cbranch_vccnz .LBB380_1690
; %bb.1689:
	global_load_dword v1, v[20:21], off
	s_waitcnt vmcnt(0)
	v_cvt_i16_f16_e32 v7, v1
.LBB380_1690:
	s_cbranch_execnz .LBB380_1701
.LBB380_1691:
	s_cmp_lt_i32 s6, 6
	s_cbranch_scc1 .LBB380_1694
; %bb.1692:
	s_cmp_gt_i32 s6, 6
	s_cbranch_scc0 .LBB380_1695
; %bb.1693:
	global_load_dwordx2 v[7:8], v[20:21], off
	s_mov_b64 s[0:1], 0
	s_waitcnt vmcnt(0)
	v_cvt_i32_f64_e32 v7, v[7:8]
	s_branch .LBB380_1696
.LBB380_1694:
	s_mov_b64 s[0:1], -1
                                        ; implicit-def: $vgpr7
	s_branch .LBB380_1699
.LBB380_1695:
	s_mov_b64 s[0:1], -1
                                        ; implicit-def: $vgpr7
.LBB380_1696:
	s_andn2_b64 vcc, exec, s[0:1]
	s_cbranch_vccnz .LBB380_1698
; %bb.1697:
	global_load_dword v1, v[20:21], off
	s_waitcnt vmcnt(0)
	v_cvt_i32_f32_e32 v7, v1
.LBB380_1698:
	s_mov_b64 s[0:1], 0
.LBB380_1699:
	s_andn2_b64 vcc, exec, s[0:1]
	s_cbranch_vccnz .LBB380_1701
; %bb.1700:
	global_load_ushort v1, v[20:21], off
	s_waitcnt vmcnt(0)
	v_cvt_i16_f16_e32 v7, v1
.LBB380_1701:
	s_cbranch_execnz .LBB380_1720
.LBB380_1702:
	s_cmp_lt_i32 s6, 2
	s_cbranch_scc1 .LBB380_1706
; %bb.1703:
	s_cmp_lt_i32 s6, 3
	s_cbranch_scc1 .LBB380_1707
; %bb.1704:
	s_cmp_gt_i32 s6, 3
	s_cbranch_scc0 .LBB380_1708
; %bb.1705:
	global_load_dwordx2 v[7:8], v[20:21], off
	s_mov_b64 s[0:1], 0
	s_branch .LBB380_1709
.LBB380_1706:
                                        ; implicit-def: $vgpr7
	s_branch .LBB380_1715
.LBB380_1707:
	s_mov_b64 s[0:1], -1
                                        ; implicit-def: $vgpr7
	s_branch .LBB380_1712
.LBB380_1708:
	s_mov_b64 s[0:1], -1
                                        ; implicit-def: $vgpr7
.LBB380_1709:
	s_andn2_b64 vcc, exec, s[0:1]
	s_cbranch_vccnz .LBB380_1711
; %bb.1710:
	global_load_dword v7, v[20:21], off
.LBB380_1711:
	s_mov_b64 s[0:1], 0
.LBB380_1712:
	s_andn2_b64 vcc, exec, s[0:1]
	s_cbranch_vccnz .LBB380_1714
; %bb.1713:
	global_load_ushort v7, v[20:21], off
.LBB380_1714:
	s_cbranch_execnz .LBB380_1720
.LBB380_1715:
	s_cmp_gt_i32 s6, 0
	s_cbranch_scc0 .LBB380_1717
; %bb.1716:
	global_load_ubyte v7, v[20:21], off
	s_mov_b64 s[0:1], 0
	s_branch .LBB380_1718
.LBB380_1717:
	s_mov_b64 s[0:1], -1
                                        ; implicit-def: $vgpr7
.LBB380_1718:
	s_andn2_b64 vcc, exec, s[0:1]
	s_cbranch_vccnz .LBB380_1720
; %bb.1719:
	global_load_ubyte v7, v[20:21], off
.LBB380_1720:
.LBB380_1721:
	s_load_dwordx2 s[0:1], s[2:3], 0x198
	s_bfe_u32 s22, s23, 0x80010
	s_cmp_lt_i32 s22, 11
	s_waitcnt lgkmcnt(0)
	v_mov_b32_e32 v1, s1
	v_add_co_u32_e32 v20, vcc, s0, v13
	v_addc_co_u32_e32 v21, vcc, 0, v1, vcc
	s_cbranch_scc1 .LBB380_1728
; %bb.1722:
	s_and_b32 s24, 0xffff, s22
	s_cmp_gt_i32 s24, 25
	s_mov_b64 s[16:17], 0
	s_cbranch_scc0 .LBB380_1730
; %bb.1723:
	s_cmp_gt_i32 s24, 28
	s_cbranch_scc0 .LBB380_1731
; %bb.1724:
	s_cmp_gt_i32 s24, 43
	;; [unrolled: 3-line block ×3, first 2 shown]
	s_cbranch_scc0 .LBB380_1734
; %bb.1726:
	s_cmp_eq_u32 s24, 46
	s_mov_b64 s[20:21], 0
	s_cbranch_scc0 .LBB380_1737
; %bb.1727:
	global_load_dword v1, v[20:21], off
	s_mov_b64 s[6:7], 0
	s_mov_b64 s[18:19], -1
	s_waitcnt vmcnt(0)
	v_lshlrev_b32_e32 v1, 16, v1
	v_cvt_i32_f32_e32 v12, v1
	s_branch .LBB380_1738
.LBB380_1728:
	s_mov_b64 s[18:19], 0
                                        ; implicit-def: $vgpr12
	s_cbranch_execnz .LBB380_1799
.LBB380_1729:
	s_andn2_b64 vcc, exec, s[18:19]
	s_cbranch_vccnz .LBB380_3036
	s_branch .LBB380_1846
.LBB380_1730:
	s_mov_b64 s[18:19], 0
	s_mov_b64 s[6:7], 0
                                        ; implicit-def: $vgpr12
	s_cbranch_execnz .LBB380_1765
	s_branch .LBB380_1795
.LBB380_1731:
	s_mov_b64 s[20:21], -1
	s_mov_b64 s[18:19], 0
	s_mov_b64 s[6:7], 0
                                        ; implicit-def: $vgpr12
	s_branch .LBB380_1748
.LBB380_1732:
	s_mov_b64 s[20:21], -1
	s_mov_b64 s[18:19], 0
	s_mov_b64 s[6:7], 0
                                        ; implicit-def: $vgpr12
	s_branch .LBB380_1743
.LBB380_1733:
	s_or_b64 s[4:5], s[12:13], exec
	s_trap 2
	s_cbranch_execz .LBB380_1674
	s_branch .LBB380_1675
.LBB380_1734:
	s_mov_b64 s[20:21], -1
	s_mov_b64 s[18:19], 0
	s_mov_b64 s[6:7], 0
                                        ; implicit-def: $vgpr12
	s_branch .LBB380_1738
.LBB380_1735:
	s_andn2_saveexec_b64 s[20:21], s[20:21]
	s_cbranch_execz .LBB380_1478
.LBB380_1736:
	v_add_f32_e32 v0, 0x42800000, v1
	v_and_b32_e32 v0, 0xff, v0
	v_cmp_ne_u32_e32 vcc, 0, v0
	s_andn2_b64 s[18:19], s[18:19], exec
	s_and_b64 s[28:29], vcc, exec
	s_or_b64 s[18:19], s[18:19], s[28:29]
	s_or_b64 exec, exec, s[20:21]
	v_mov_b32_e32 v4, 0
	s_and_saveexec_b64 s[20:21], s[18:19]
	s_cbranch_execnz .LBB380_1479
	s_branch .LBB380_1480
.LBB380_1737:
	s_mov_b64 s[6:7], -1
                                        ; implicit-def: $vgpr12
	s_mov_b64 s[18:19], 0
.LBB380_1738:
	s_and_b64 vcc, exec, s[20:21]
	s_cbranch_vccz .LBB380_1742
; %bb.1739:
	s_cmp_eq_u32 s24, 44
	s_cbranch_scc0 .LBB380_1741
; %bb.1740:
	global_load_ubyte v1, v[20:21], off
	s_mov_b64 s[6:7], 0
	s_mov_b64 s[18:19], -1
	s_waitcnt vmcnt(0)
	v_lshlrev_b32_e32 v3, 23, v1
	v_cvt_i32_f32_e32 v3, v3
	v_cmp_ne_u32_e32 vcc, 0, v1
	v_cndmask_b32_e32 v12, 0, v3, vcc
	s_branch .LBB380_1742
.LBB380_1741:
	s_mov_b64 s[6:7], -1
                                        ; implicit-def: $vgpr12
.LBB380_1742:
	s_mov_b64 s[20:21], 0
.LBB380_1743:
	s_and_b64 vcc, exec, s[20:21]
	s_cbranch_vccz .LBB380_1747
; %bb.1744:
	s_cmp_eq_u32 s24, 29
	s_cbranch_scc0 .LBB380_1746
; %bb.1745:
	global_load_dwordx2 v[12:13], v[20:21], off
	s_mov_b64 s[6:7], 0
	s_mov_b64 s[18:19], -1
	s_branch .LBB380_1747
.LBB380_1746:
	s_mov_b64 s[6:7], -1
                                        ; implicit-def: $vgpr12
.LBB380_1747:
	s_mov_b64 s[20:21], 0
.LBB380_1748:
	s_and_b64 vcc, exec, s[20:21]
	s_cbranch_vccz .LBB380_1764
; %bb.1749:
	s_cmp_lt_i32 s24, 27
	s_cbranch_scc1 .LBB380_1752
; %bb.1750:
	s_cmp_gt_i32 s24, 27
	s_cbranch_scc0 .LBB380_1753
; %bb.1751:
	global_load_dword v12, v[20:21], off
	s_mov_b64 s[18:19], 0
	s_branch .LBB380_1754
.LBB380_1752:
	s_mov_b64 s[18:19], -1
                                        ; implicit-def: $vgpr12
	s_branch .LBB380_1757
.LBB380_1753:
	s_mov_b64 s[18:19], -1
                                        ; implicit-def: $vgpr12
.LBB380_1754:
	s_andn2_b64 vcc, exec, s[18:19]
	s_cbranch_vccnz .LBB380_1756
; %bb.1755:
	global_load_ushort v12, v[20:21], off
.LBB380_1756:
	s_mov_b64 s[18:19], 0
.LBB380_1757:
	s_andn2_b64 vcc, exec, s[18:19]
	s_cbranch_vccnz .LBB380_1763
; %bb.1758:
	global_load_ubyte v1, v[20:21], off
	s_movk_i32 s18, 0x7f
	s_mov_b64 s[20:21], 0
	s_waitcnt vmcnt(0)
	v_cmp_lt_i16_e32 vcc, s18, v1
	s_and_saveexec_b64 s[18:19], vcc
	s_xor_b64 s[18:19], exec, s[18:19]
	s_cbranch_execz .LBB380_1774
; %bb.1759:
	s_movk_i32 s20, 0x80
	v_cmp_ne_u16_e32 vcc, s20, v1
	s_and_b64 s[20:21], vcc, exec
	s_andn2_saveexec_b64 s[18:19], s[18:19]
	s_cbranch_execnz .LBB380_1775
.LBB380_1760:
	s_or_b64 exec, exec, s[18:19]
	v_mov_b32_e32 v12, 0
	s_and_saveexec_b64 s[18:19], s[20:21]
	s_cbranch_execz .LBB380_1762
.LBB380_1761:
	v_lshlrev_b32_e32 v3, 24, v1
	v_and_b32_e32 v1, 0xffff, v1
	v_and_b32_e32 v5, 7, v1
	v_ffbh_u32_e32 v10, v5
	v_min_u32_e32 v10, 32, v10
	v_subrev_u32_e32 v12, 28, v10
	v_bfe_u32 v8, v1, 3, 4
	v_lshlrev_b32_e32 v1, v12, v1
	v_sub_u32_e32 v10, 29, v10
	v_and_b32_e32 v1, 7, v1
	v_cmp_eq_u32_e32 vcc, 0, v8
	v_cndmask_b32_e32 v8, v8, v10, vcc
	v_cndmask_b32_e32 v1, v5, v1, vcc
	v_mov_b32_e32 v5, 0x3b800000
	v_lshlrev_b32_e32 v1, 20, v1
	v_and_b32_e32 v3, 0x80000000, v3
	v_lshl_add_u32 v5, v8, 23, v5
	v_or3_b32 v1, v3, v5, v1
	v_cvt_i32_f32_e32 v12, v1
.LBB380_1762:
	s_or_b64 exec, exec, s[18:19]
.LBB380_1763:
	s_mov_b64 s[18:19], -1
.LBB380_1764:
	s_branch .LBB380_1795
.LBB380_1765:
	s_cmp_gt_i32 s24, 22
	s_cbranch_scc0 .LBB380_1773
; %bb.1766:
	s_cmp_lt_i32 s24, 24
	s_cbranch_scc1 .LBB380_1776
; %bb.1767:
	s_cmp_gt_i32 s24, 24
	s_cbranch_scc0 .LBB380_1777
; %bb.1768:
	global_load_ubyte v1, v[20:21], off
	s_movk_i32 s16, 0x7f
	s_mov_b64 s[18:19], 0
	s_waitcnt vmcnt(0)
	v_cmp_lt_i16_e32 vcc, s16, v1
	s_and_saveexec_b64 s[16:17], vcc
	s_xor_b64 s[16:17], exec, s[16:17]
	s_cbranch_execz .LBB380_1789
; %bb.1769:
	s_movk_i32 s18, 0x80
	v_cmp_ne_u16_e32 vcc, s18, v1
	s_and_b64 s[18:19], vcc, exec
	s_andn2_saveexec_b64 s[16:17], s[16:17]
	s_cbranch_execnz .LBB380_1790
.LBB380_1770:
	s_or_b64 exec, exec, s[16:17]
	v_mov_b32_e32 v12, 0
	s_and_saveexec_b64 s[16:17], s[18:19]
	s_cbranch_execz .LBB380_1772
.LBB380_1771:
	v_lshlrev_b32_e32 v3, 24, v1
	v_and_b32_e32 v1, 0xffff, v1
	v_and_b32_e32 v5, 3, v1
	v_ffbh_u32_e32 v10, v5
	v_min_u32_e32 v10, 32, v10
	v_subrev_u32_e32 v12, 29, v10
	v_bfe_u32 v8, v1, 2, 5
	v_lshlrev_b32_e32 v1, v12, v1
	v_sub_u32_e32 v10, 30, v10
	v_and_b32_e32 v1, 3, v1
	v_cmp_eq_u32_e32 vcc, 0, v8
	v_cndmask_b32_e32 v8, v8, v10, vcc
	v_cndmask_b32_e32 v1, v5, v1, vcc
	v_mov_b32_e32 v5, 0x37800000
	v_lshlrev_b32_e32 v1, 21, v1
	v_and_b32_e32 v3, 0x80000000, v3
	v_lshl_add_u32 v5, v8, 23, v5
	v_or3_b32 v1, v3, v5, v1
	v_cvt_i32_f32_e32 v12, v1
.LBB380_1772:
	s_or_b64 exec, exec, s[16:17]
	s_mov_b64 s[16:17], 0
	s_branch .LBB380_1778
.LBB380_1773:
	s_mov_b64 s[16:17], -1
                                        ; implicit-def: $vgpr12
	s_branch .LBB380_1784
.LBB380_1774:
	s_andn2_saveexec_b64 s[18:19], s[18:19]
	s_cbranch_execz .LBB380_1760
.LBB380_1775:
	v_cmp_ne_u16_e32 vcc, 0, v1
	s_andn2_b64 s[20:21], s[20:21], exec
	s_and_b64 s[26:27], vcc, exec
	s_or_b64 s[20:21], s[20:21], s[26:27]
	s_or_b64 exec, exec, s[18:19]
	v_mov_b32_e32 v12, 0
	s_and_saveexec_b64 s[18:19], s[20:21]
	s_cbranch_execnz .LBB380_1761
	s_branch .LBB380_1762
.LBB380_1776:
	s_mov_b64 s[16:17], -1
                                        ; implicit-def: $vgpr12
	s_branch .LBB380_1781
.LBB380_1777:
	s_mov_b64 s[16:17], -1
                                        ; implicit-def: $vgpr12
.LBB380_1778:
	s_and_b64 vcc, exec, s[16:17]
	s_cbranch_vccz .LBB380_1780
; %bb.1779:
	global_load_ubyte v1, v[20:21], off
	s_mov_b32 s16, 0x7f800000
	s_waitcnt vmcnt(0)
	v_lshlrev_b32_e32 v1, 24, v1
	v_and_b32_e32 v3, 0x7f000000, v1
	v_ffbh_u32_e32 v5, v3
	v_min_u32_e32 v5, 32, v5
	v_sub_u32_e64 v5, v5, 4 clamp
	v_lshlrev_b32_e32 v10, v5, v3
	v_lshlrev_b32_e32 v5, 23, v5
	v_lshrrev_b32_e32 v10, 4, v10
	v_add_u32_e32 v8, 0x1000000, v3
	v_sub_u32_e32 v5, v10, v5
	v_ashrrev_i32_e32 v8, 8, v8
	v_add_u32_e32 v5, 0x3c000000, v5
	v_and_or_b32 v5, v8, s16, v5
	v_cmp_ne_u32_e32 vcc, 0, v3
	v_cndmask_b32_e32 v3, 0, v5, vcc
	s_brev_b32 s16, 1
	v_and_or_b32 v1, v1, s16, v3
	v_cvt_i32_f32_e32 v12, v1
.LBB380_1780:
	s_mov_b64 s[16:17], 0
.LBB380_1781:
	s_andn2_b64 vcc, exec, s[16:17]
	s_cbranch_vccnz .LBB380_1783
; %bb.1782:
	global_load_ubyte v1, v[20:21], off
	s_movk_i32 s16, 0x7f00
	s_brev_b32 s17, 16
	s_waitcnt vmcnt(0)
	v_lshlrev_b16_e32 v3, 8, v1
	v_lshlrev_b32_e32 v1, 25, v1
	v_lshrrev_b32_e32 v5, 4, v1
	v_and_or_b32 v8, v3, s16, 0.5
	v_or_b32_e32 v5, 0x70000000, v5
	v_add_f32_e32 v8, -0.5, v8
	v_mul_f32_e32 v5, 0x7800000, v5
	v_cmp_gt_u32_e32 vcc, s17, v1
	v_bfe_i32 v3, v3, 0, 16
	v_cndmask_b32_e32 v1, v5, v8, vcc
	s_brev_b32 s16, 1
	v_and_or_b32 v1, v3, s16, v1
	v_cvt_i32_f32_e32 v12, v1
.LBB380_1783:
	s_mov_b64 s[16:17], 0
	s_mov_b64 s[18:19], -1
.LBB380_1784:
	s_andn2_b64 vcc, exec, s[16:17]
	s_mov_b64 s[16:17], 0
	s_cbranch_vccnz .LBB380_1795
; %bb.1785:
	s_cmp_gt_i32 s24, 14
	s_cbranch_scc0 .LBB380_1788
; %bb.1786:
	s_cmp_eq_u32 s24, 15
	s_cbranch_scc0 .LBB380_1791
; %bb.1787:
	global_load_ushort v1, v[20:21], off
	s_mov_b64 s[6:7], 0
	s_mov_b64 s[18:19], -1
	s_waitcnt vmcnt(0)
	v_lshlrev_b32_e32 v1, 16, v1
	v_cvt_i32_f32_e32 v12, v1
	s_branch .LBB380_1792
.LBB380_1788:
	s_mov_b64 s[20:21], -1
                                        ; implicit-def: $vgpr12
	s_branch .LBB380_1793
.LBB380_1789:
	s_andn2_saveexec_b64 s[16:17], s[16:17]
	s_cbranch_execz .LBB380_1770
.LBB380_1790:
	v_cmp_ne_u16_e32 vcc, 0, v1
	s_andn2_b64 s[18:19], s[18:19], exec
	s_and_b64 s[20:21], vcc, exec
	s_or_b64 s[18:19], s[18:19], s[20:21]
	s_or_b64 exec, exec, s[16:17]
	v_mov_b32_e32 v12, 0
	s_and_saveexec_b64 s[16:17], s[18:19]
	s_cbranch_execnz .LBB380_1771
	s_branch .LBB380_1772
.LBB380_1791:
	s_mov_b64 s[6:7], -1
                                        ; implicit-def: $vgpr12
.LBB380_1792:
	s_mov_b64 s[20:21], 0
.LBB380_1793:
	s_and_b64 vcc, exec, s[20:21]
	s_cbranch_vccz .LBB380_1795
; %bb.1794:
	s_cmp_lg_u32 s24, 11
	s_mov_b64 s[16:17], -1
	s_cselect_b64 s[6:7], -1, 0
.LBB380_1795:
	s_and_b64 vcc, exec, s[6:7]
	s_cbranch_vccnz .LBB380_1858
; %bb.1796:
	s_andn2_b64 vcc, exec, s[16:17]
	s_cbranch_vccnz .LBB380_1798
.LBB380_1797:
	global_load_ubyte v1, v[20:21], off
	s_mov_b64 s[18:19], -1
	s_waitcnt vmcnt(0)
	v_cmp_ne_u16_e32 vcc, 0, v1
	v_cndmask_b32_e64 v12, 0, 1, vcc
.LBB380_1798:
	s_branch .LBB380_1729
.LBB380_1799:
	s_and_b32 s16, 0xffff, s22
	s_cmp_lt_i32 s16, 5
	s_cbranch_scc1 .LBB380_1804
; %bb.1800:
	s_cmp_lt_i32 s16, 8
	s_cbranch_scc1 .LBB380_1805
; %bb.1801:
	;; [unrolled: 3-line block ×3, first 2 shown]
	s_cmp_gt_i32 s16, 9
	s_cbranch_scc0 .LBB380_1807
; %bb.1803:
	global_load_dwordx2 v[12:13], v[20:21], off
	s_mov_b64 s[6:7], 0
	s_waitcnt vmcnt(0)
	v_cvt_i32_f64_e32 v12, v[12:13]
	s_branch .LBB380_1808
.LBB380_1804:
                                        ; implicit-def: $vgpr12
	s_branch .LBB380_1826
.LBB380_1805:
	s_mov_b64 s[6:7], -1
                                        ; implicit-def: $vgpr12
	s_branch .LBB380_1814
.LBB380_1806:
	s_mov_b64 s[6:7], -1
                                        ; implicit-def: $vgpr12
	s_branch .LBB380_1811
.LBB380_1807:
	s_mov_b64 s[6:7], -1
                                        ; implicit-def: $vgpr12
.LBB380_1808:
	s_andn2_b64 vcc, exec, s[6:7]
	s_cbranch_vccnz .LBB380_1810
; %bb.1809:
	global_load_dword v1, v[20:21], off
	s_waitcnt vmcnt(0)
	v_cvt_i32_f32_e32 v12, v1
.LBB380_1810:
	s_mov_b64 s[6:7], 0
.LBB380_1811:
	s_andn2_b64 vcc, exec, s[6:7]
	s_cbranch_vccnz .LBB380_1813
; %bb.1812:
	global_load_dword v1, v[20:21], off
	s_waitcnt vmcnt(0)
	v_cvt_i16_f16_e32 v12, v1
.LBB380_1813:
	s_mov_b64 s[6:7], 0
.LBB380_1814:
	s_andn2_b64 vcc, exec, s[6:7]
	s_cbranch_vccnz .LBB380_1825
; %bb.1815:
	s_cmp_lt_i32 s16, 6
	s_cbranch_scc1 .LBB380_1818
; %bb.1816:
	s_cmp_gt_i32 s16, 6
	s_cbranch_scc0 .LBB380_1819
; %bb.1817:
	global_load_dwordx2 v[12:13], v[20:21], off
	s_mov_b64 s[6:7], 0
	s_waitcnt vmcnt(0)
	v_cvt_i32_f64_e32 v12, v[12:13]
	s_branch .LBB380_1820
.LBB380_1818:
	s_mov_b64 s[6:7], -1
                                        ; implicit-def: $vgpr12
	s_branch .LBB380_1823
.LBB380_1819:
	s_mov_b64 s[6:7], -1
                                        ; implicit-def: $vgpr12
.LBB380_1820:
	s_andn2_b64 vcc, exec, s[6:7]
	s_cbranch_vccnz .LBB380_1822
; %bb.1821:
	global_load_dword v1, v[20:21], off
	s_waitcnt vmcnt(0)
	v_cvt_i32_f32_e32 v12, v1
.LBB380_1822:
	s_mov_b64 s[6:7], 0
.LBB380_1823:
	s_andn2_b64 vcc, exec, s[6:7]
	s_cbranch_vccnz .LBB380_1825
; %bb.1824:
	global_load_ushort v1, v[20:21], off
	s_waitcnt vmcnt(0)
	v_cvt_i16_f16_e32 v12, v1
.LBB380_1825:
	s_cbranch_execnz .LBB380_1845
.LBB380_1826:
	s_cmp_lt_i32 s16, 2
	s_cbranch_scc1 .LBB380_1830
; %bb.1827:
	s_cmp_lt_i32 s16, 3
	s_cbranch_scc1 .LBB380_1831
; %bb.1828:
	s_cmp_gt_i32 s16, 3
	s_cbranch_scc0 .LBB380_1832
; %bb.1829:
	global_load_dwordx2 v[12:13], v[20:21], off
	s_mov_b64 s[6:7], 0
	s_branch .LBB380_1833
.LBB380_1830:
	s_mov_b64 s[6:7], -1
                                        ; implicit-def: $vgpr12
	s_branch .LBB380_1839
.LBB380_1831:
	s_mov_b64 s[6:7], -1
                                        ; implicit-def: $vgpr12
	s_branch .LBB380_1836
.LBB380_1832:
	s_mov_b64 s[6:7], -1
                                        ; implicit-def: $vgpr12
.LBB380_1833:
	s_andn2_b64 vcc, exec, s[6:7]
	s_cbranch_vccnz .LBB380_1835
; %bb.1834:
	global_load_dword v12, v[20:21], off
.LBB380_1835:
	s_mov_b64 s[6:7], 0
.LBB380_1836:
	s_andn2_b64 vcc, exec, s[6:7]
	s_cbranch_vccnz .LBB380_1838
; %bb.1837:
	global_load_ushort v12, v[20:21], off
.LBB380_1838:
	s_mov_b64 s[6:7], 0
.LBB380_1839:
	s_andn2_b64 vcc, exec, s[6:7]
	s_cbranch_vccnz .LBB380_1845
; %bb.1840:
	s_cmp_gt_i32 s16, 0
	s_cbranch_scc0 .LBB380_1842
; %bb.1841:
	global_load_ubyte v12, v[20:21], off
	s_mov_b64 s[6:7], 0
	s_branch .LBB380_1843
.LBB380_1842:
	s_mov_b64 s[6:7], -1
                                        ; implicit-def: $vgpr12
.LBB380_1843:
	s_andn2_b64 vcc, exec, s[6:7]
	s_cbranch_vccnz .LBB380_1845
; %bb.1844:
	global_load_ubyte v12, v[20:21], off
.LBB380_1845:
.LBB380_1846:
	s_lshr_b32 s6, s23, 8
	v_mov_b32_e32 v1, s11
	s_and_b32 s22, s6, 0xff
	v_add_co_u32_e32 v20, vcc, s10, v11
	s_cmp_lt_i32 s22, 11
	v_addc_co_u32_e32 v21, vcc, 0, v1, vcc
	s_cbranch_scc1 .LBB380_1853
; %bb.1847:
	s_and_b32 s24, 0xffff, s22
	s_cmp_gt_i32 s24, 25
	s_mov_b64 s[16:17], 0
	s_cbranch_scc0 .LBB380_1855
; %bb.1848:
	s_cmp_gt_i32 s24, 28
	s_cbranch_scc0 .LBB380_1856
; %bb.1849:
	s_cmp_gt_i32 s24, 43
	;; [unrolled: 3-line block ×3, first 2 shown]
	s_cbranch_scc0 .LBB380_1859
; %bb.1851:
	s_cmp_eq_u32 s24, 46
	s_mov_b64 s[20:21], 0
	s_cbranch_scc0 .LBB380_1860
; %bb.1852:
	global_load_dword v1, v[20:21], off
	s_mov_b64 s[6:7], 0
	s_mov_b64 s[18:19], -1
	s_waitcnt vmcnt(0)
	v_lshlrev_b32_e32 v1, 16, v1
	v_cvt_i32_f32_e32 v10, v1
	s_branch .LBB380_1861
.LBB380_1853:
	s_mov_b64 s[18:19], 0
                                        ; implicit-def: $vgpr10
	s_cbranch_execnz .LBB380_1923
.LBB380_1854:
	s_andn2_b64 vcc, exec, s[18:19]
	s_cbranch_vccnz .LBB380_3036
	s_branch .LBB380_1971
.LBB380_1855:
	s_mov_b64 s[20:21], -1
	s_mov_b64 s[18:19], 0
	s_mov_b64 s[6:7], 0
                                        ; implicit-def: $vgpr10
	s_branch .LBB380_1888
.LBB380_1856:
	s_mov_b64 s[20:21], -1
	s_mov_b64 s[18:19], 0
	s_mov_b64 s[6:7], 0
                                        ; implicit-def: $vgpr10
	s_branch .LBB380_1871
.LBB380_1857:
	s_mov_b64 s[20:21], -1
	s_mov_b64 s[18:19], 0
	s_mov_b64 s[6:7], 0
                                        ; implicit-def: $vgpr10
	s_branch .LBB380_1866
.LBB380_1858:
	s_trap 2
	s_or_b64 s[4:5], s[4:5], exec
	s_cbranch_execz .LBB380_1797
	s_branch .LBB380_1798
.LBB380_1859:
	s_mov_b64 s[20:21], -1
	s_mov_b64 s[18:19], 0
	s_mov_b64 s[6:7], 0
                                        ; implicit-def: $vgpr10
	s_branch .LBB380_1861
.LBB380_1860:
	s_mov_b64 s[6:7], -1
                                        ; implicit-def: $vgpr10
	s_mov_b64 s[18:19], 0
.LBB380_1861:
	s_and_b64 vcc, exec, s[20:21]
	s_cbranch_vccz .LBB380_1865
; %bb.1862:
	s_cmp_eq_u32 s24, 44
	s_cbranch_scc0 .LBB380_1864
; %bb.1863:
	global_load_ubyte v1, v[20:21], off
	s_mov_b64 s[6:7], 0
	s_mov_b64 s[18:19], -1
	s_waitcnt vmcnt(0)
	v_lshlrev_b32_e32 v3, 23, v1
	v_cvt_i32_f32_e32 v3, v3
	v_cmp_ne_u32_e32 vcc, 0, v1
	v_cndmask_b32_e32 v10, 0, v3, vcc
	s_branch .LBB380_1865
.LBB380_1864:
	s_mov_b64 s[6:7], -1
                                        ; implicit-def: $vgpr10
.LBB380_1865:
	s_mov_b64 s[20:21], 0
.LBB380_1866:
	s_and_b64 vcc, exec, s[20:21]
	s_cbranch_vccz .LBB380_1870
; %bb.1867:
	s_cmp_eq_u32 s24, 29
	s_cbranch_scc0 .LBB380_1869
; %bb.1868:
	global_load_dwordx2 v[10:11], v[20:21], off
	s_mov_b64 s[6:7], 0
	s_mov_b64 s[18:19], -1
	s_branch .LBB380_1870
.LBB380_1869:
	s_mov_b64 s[6:7], -1
                                        ; implicit-def: $vgpr10
.LBB380_1870:
	s_mov_b64 s[20:21], 0
.LBB380_1871:
	s_and_b64 vcc, exec, s[20:21]
	s_cbranch_vccz .LBB380_1887
; %bb.1872:
	s_cmp_lt_i32 s24, 27
	s_cbranch_scc1 .LBB380_1875
; %bb.1873:
	s_cmp_gt_i32 s24, 27
	s_cbranch_scc0 .LBB380_1876
; %bb.1874:
	global_load_dword v10, v[20:21], off
	s_mov_b64 s[18:19], 0
	s_branch .LBB380_1877
.LBB380_1875:
	s_mov_b64 s[18:19], -1
                                        ; implicit-def: $vgpr10
	s_branch .LBB380_1880
.LBB380_1876:
	s_mov_b64 s[18:19], -1
                                        ; implicit-def: $vgpr10
.LBB380_1877:
	s_andn2_b64 vcc, exec, s[18:19]
	s_cbranch_vccnz .LBB380_1879
; %bb.1878:
	global_load_ushort v10, v[20:21], off
.LBB380_1879:
	s_mov_b64 s[18:19], 0
.LBB380_1880:
	s_andn2_b64 vcc, exec, s[18:19]
	s_cbranch_vccnz .LBB380_1886
; %bb.1881:
	global_load_ubyte v1, v[20:21], off
	s_movk_i32 s18, 0x7f
	s_mov_b64 s[20:21], 0
	s_waitcnt vmcnt(0)
	v_cmp_lt_i16_e32 vcc, s18, v1
	s_and_saveexec_b64 s[18:19], vcc
	s_xor_b64 s[18:19], exec, s[18:19]
	s_cbranch_execz .LBB380_1898
; %bb.1882:
	s_movk_i32 s20, 0x80
	v_cmp_ne_u16_e32 vcc, s20, v1
	s_and_b64 s[20:21], vcc, exec
	s_andn2_saveexec_b64 s[18:19], s[18:19]
	s_cbranch_execnz .LBB380_1899
.LBB380_1883:
	s_or_b64 exec, exec, s[18:19]
	v_mov_b32_e32 v10, 0
	s_and_saveexec_b64 s[18:19], s[20:21]
	s_cbranch_execz .LBB380_1885
.LBB380_1884:
	v_lshlrev_b32_e32 v3, 24, v1
	v_and_b32_e32 v1, 0xffff, v1
	v_and_b32_e32 v5, 7, v1
	v_ffbh_u32_e32 v10, v5
	v_min_u32_e32 v10, 32, v10
	v_subrev_u32_e32 v11, 28, v10
	v_bfe_u32 v8, v1, 3, 4
	v_lshlrev_b32_e32 v1, v11, v1
	v_sub_u32_e32 v10, 29, v10
	v_and_b32_e32 v1, 7, v1
	v_cmp_eq_u32_e32 vcc, 0, v8
	v_cndmask_b32_e32 v8, v8, v10, vcc
	v_cndmask_b32_e32 v1, v5, v1, vcc
	v_mov_b32_e32 v5, 0x3b800000
	v_lshlrev_b32_e32 v1, 20, v1
	v_and_b32_e32 v3, 0x80000000, v3
	v_lshl_add_u32 v5, v8, 23, v5
	v_or3_b32 v1, v3, v5, v1
	v_cvt_i32_f32_e32 v10, v1
.LBB380_1885:
	s_or_b64 exec, exec, s[18:19]
.LBB380_1886:
	s_mov_b64 s[18:19], -1
.LBB380_1887:
	s_mov_b64 s[20:21], 0
.LBB380_1888:
	s_and_b64 vcc, exec, s[20:21]
	s_cbranch_vccz .LBB380_1919
; %bb.1889:
	s_cmp_gt_i32 s24, 22
	s_cbranch_scc0 .LBB380_1897
; %bb.1890:
	s_cmp_lt_i32 s24, 24
	s_cbranch_scc1 .LBB380_1900
; %bb.1891:
	s_cmp_gt_i32 s24, 24
	s_cbranch_scc0 .LBB380_1901
; %bb.1892:
	global_load_ubyte v1, v[20:21], off
	s_movk_i32 s16, 0x7f
	s_mov_b64 s[18:19], 0
	s_waitcnt vmcnt(0)
	v_cmp_lt_i16_e32 vcc, s16, v1
	s_and_saveexec_b64 s[16:17], vcc
	s_xor_b64 s[16:17], exec, s[16:17]
	s_cbranch_execz .LBB380_1913
; %bb.1893:
	s_movk_i32 s18, 0x80
	v_cmp_ne_u16_e32 vcc, s18, v1
	s_and_b64 s[18:19], vcc, exec
	s_andn2_saveexec_b64 s[16:17], s[16:17]
	s_cbranch_execnz .LBB380_1914
.LBB380_1894:
	s_or_b64 exec, exec, s[16:17]
	v_mov_b32_e32 v10, 0
	s_and_saveexec_b64 s[16:17], s[18:19]
	s_cbranch_execz .LBB380_1896
.LBB380_1895:
	v_lshlrev_b32_e32 v3, 24, v1
	v_and_b32_e32 v1, 0xffff, v1
	v_and_b32_e32 v5, 3, v1
	v_ffbh_u32_e32 v10, v5
	v_min_u32_e32 v10, 32, v10
	v_subrev_u32_e32 v11, 29, v10
	v_bfe_u32 v8, v1, 2, 5
	v_lshlrev_b32_e32 v1, v11, v1
	v_sub_u32_e32 v10, 30, v10
	v_and_b32_e32 v1, 3, v1
	v_cmp_eq_u32_e32 vcc, 0, v8
	v_cndmask_b32_e32 v8, v8, v10, vcc
	v_cndmask_b32_e32 v1, v5, v1, vcc
	v_mov_b32_e32 v5, 0x37800000
	v_lshlrev_b32_e32 v1, 21, v1
	v_and_b32_e32 v3, 0x80000000, v3
	v_lshl_add_u32 v5, v8, 23, v5
	v_or3_b32 v1, v3, v5, v1
	v_cvt_i32_f32_e32 v10, v1
.LBB380_1896:
	s_or_b64 exec, exec, s[16:17]
	s_mov_b64 s[16:17], 0
	s_branch .LBB380_1902
.LBB380_1897:
	s_mov_b64 s[16:17], -1
                                        ; implicit-def: $vgpr10
	s_branch .LBB380_1908
.LBB380_1898:
	s_andn2_saveexec_b64 s[18:19], s[18:19]
	s_cbranch_execz .LBB380_1883
.LBB380_1899:
	v_cmp_ne_u16_e32 vcc, 0, v1
	s_andn2_b64 s[20:21], s[20:21], exec
	s_and_b64 s[26:27], vcc, exec
	s_or_b64 s[20:21], s[20:21], s[26:27]
	s_or_b64 exec, exec, s[18:19]
	v_mov_b32_e32 v10, 0
	s_and_saveexec_b64 s[18:19], s[20:21]
	s_cbranch_execnz .LBB380_1884
	s_branch .LBB380_1885
.LBB380_1900:
	s_mov_b64 s[16:17], -1
                                        ; implicit-def: $vgpr10
	s_branch .LBB380_1905
.LBB380_1901:
	s_mov_b64 s[16:17], -1
                                        ; implicit-def: $vgpr10
.LBB380_1902:
	s_and_b64 vcc, exec, s[16:17]
	s_cbranch_vccz .LBB380_1904
; %bb.1903:
	global_load_ubyte v1, v[20:21], off
	s_mov_b32 s16, 0x7f800000
	s_waitcnt vmcnt(0)
	v_lshlrev_b32_e32 v1, 24, v1
	v_and_b32_e32 v3, 0x7f000000, v1
	v_ffbh_u32_e32 v5, v3
	v_min_u32_e32 v5, 32, v5
	v_sub_u32_e64 v5, v5, 4 clamp
	v_lshlrev_b32_e32 v10, v5, v3
	v_lshlrev_b32_e32 v5, 23, v5
	v_lshrrev_b32_e32 v10, 4, v10
	v_add_u32_e32 v8, 0x1000000, v3
	v_sub_u32_e32 v5, v10, v5
	v_ashrrev_i32_e32 v8, 8, v8
	v_add_u32_e32 v5, 0x3c000000, v5
	v_and_or_b32 v5, v8, s16, v5
	v_cmp_ne_u32_e32 vcc, 0, v3
	v_cndmask_b32_e32 v3, 0, v5, vcc
	s_brev_b32 s16, 1
	v_and_or_b32 v1, v1, s16, v3
	v_cvt_i32_f32_e32 v10, v1
.LBB380_1904:
	s_mov_b64 s[16:17], 0
.LBB380_1905:
	s_andn2_b64 vcc, exec, s[16:17]
	s_cbranch_vccnz .LBB380_1907
; %bb.1906:
	global_load_ubyte v1, v[20:21], off
	s_movk_i32 s16, 0x7f00
	s_brev_b32 s17, 16
	s_waitcnt vmcnt(0)
	v_lshlrev_b16_e32 v3, 8, v1
	v_lshlrev_b32_e32 v1, 25, v1
	v_lshrrev_b32_e32 v5, 4, v1
	v_and_or_b32 v8, v3, s16, 0.5
	v_or_b32_e32 v5, 0x70000000, v5
	v_add_f32_e32 v8, -0.5, v8
	v_mul_f32_e32 v5, 0x7800000, v5
	v_cmp_gt_u32_e32 vcc, s17, v1
	v_bfe_i32 v3, v3, 0, 16
	v_cndmask_b32_e32 v1, v5, v8, vcc
	s_brev_b32 s16, 1
	v_and_or_b32 v1, v3, s16, v1
	v_cvt_i32_f32_e32 v10, v1
.LBB380_1907:
	s_mov_b64 s[16:17], 0
	s_mov_b64 s[18:19], -1
.LBB380_1908:
	s_andn2_b64 vcc, exec, s[16:17]
	s_mov_b64 s[16:17], 0
	s_cbranch_vccnz .LBB380_1919
; %bb.1909:
	s_cmp_gt_i32 s24, 14
	s_cbranch_scc0 .LBB380_1912
; %bb.1910:
	s_cmp_eq_u32 s24, 15
	s_cbranch_scc0 .LBB380_1915
; %bb.1911:
	global_load_ushort v1, v[20:21], off
	s_mov_b64 s[6:7], 0
	s_mov_b64 s[18:19], -1
	s_waitcnt vmcnt(0)
	v_lshlrev_b32_e32 v1, 16, v1
	v_cvt_i32_f32_e32 v10, v1
	s_branch .LBB380_1916
.LBB380_1912:
	s_mov_b64 s[20:21], -1
                                        ; implicit-def: $vgpr10
	s_branch .LBB380_1917
.LBB380_1913:
	s_andn2_saveexec_b64 s[16:17], s[16:17]
	s_cbranch_execz .LBB380_1894
.LBB380_1914:
	v_cmp_ne_u16_e32 vcc, 0, v1
	s_andn2_b64 s[18:19], s[18:19], exec
	s_and_b64 s[20:21], vcc, exec
	s_or_b64 s[18:19], s[18:19], s[20:21]
	s_or_b64 exec, exec, s[16:17]
	v_mov_b32_e32 v10, 0
	s_and_saveexec_b64 s[16:17], s[18:19]
	s_cbranch_execnz .LBB380_1895
	s_branch .LBB380_1896
.LBB380_1915:
	s_mov_b64 s[6:7], -1
                                        ; implicit-def: $vgpr10
.LBB380_1916:
	s_mov_b64 s[20:21], 0
.LBB380_1917:
	s_and_b64 vcc, exec, s[20:21]
	s_cbranch_vccz .LBB380_1919
; %bb.1918:
	s_cmp_lg_u32 s24, 11
	s_mov_b64 s[16:17], -1
	s_cselect_b64 s[6:7], -1, 0
.LBB380_1919:
	s_and_b64 vcc, exec, s[6:7]
	s_cbranch_vccnz .LBB380_1982
; %bb.1920:
	s_andn2_b64 vcc, exec, s[16:17]
	s_cbranch_vccnz .LBB380_1922
.LBB380_1921:
	global_load_ubyte v1, v[20:21], off
	s_mov_b64 s[18:19], -1
	s_waitcnt vmcnt(0)
	v_cmp_ne_u16_e32 vcc, 0, v1
	v_cndmask_b32_e64 v10, 0, 1, vcc
.LBB380_1922:
	s_branch .LBB380_1854
.LBB380_1923:
	s_and_b32 s16, 0xffff, s22
	s_cmp_lt_i32 s16, 5
	s_cbranch_scc1 .LBB380_1928
; %bb.1924:
	s_cmp_lt_i32 s16, 8
	s_cbranch_scc1 .LBB380_1929
; %bb.1925:
	;; [unrolled: 3-line block ×3, first 2 shown]
	s_cmp_gt_i32 s16, 9
	s_cbranch_scc0 .LBB380_1931
; %bb.1927:
	global_load_dwordx2 v[10:11], v[20:21], off
	s_mov_b64 s[6:7], 0
	s_waitcnt vmcnt(0)
	v_cvt_i32_f64_e32 v10, v[10:11]
	s_branch .LBB380_1932
.LBB380_1928:
	s_mov_b64 s[6:7], -1
                                        ; implicit-def: $vgpr10
	s_branch .LBB380_1950
.LBB380_1929:
	s_mov_b64 s[6:7], -1
                                        ; implicit-def: $vgpr10
	s_branch .LBB380_1938
.LBB380_1930:
	s_mov_b64 s[6:7], -1
                                        ; implicit-def: $vgpr10
	s_branch .LBB380_1935
.LBB380_1931:
	s_mov_b64 s[6:7], -1
                                        ; implicit-def: $vgpr10
.LBB380_1932:
	s_andn2_b64 vcc, exec, s[6:7]
	s_cbranch_vccnz .LBB380_1934
; %bb.1933:
	global_load_dword v1, v[20:21], off
	s_waitcnt vmcnt(0)
	v_cvt_i32_f32_e32 v10, v1
.LBB380_1934:
	s_mov_b64 s[6:7], 0
.LBB380_1935:
	s_andn2_b64 vcc, exec, s[6:7]
	s_cbranch_vccnz .LBB380_1937
; %bb.1936:
	global_load_dword v1, v[20:21], off
	s_waitcnt vmcnt(0)
	v_cvt_i16_f16_e32 v10, v1
.LBB380_1937:
	s_mov_b64 s[6:7], 0
.LBB380_1938:
	s_andn2_b64 vcc, exec, s[6:7]
	s_cbranch_vccnz .LBB380_1949
; %bb.1939:
	s_cmp_lt_i32 s16, 6
	s_cbranch_scc1 .LBB380_1942
; %bb.1940:
	s_cmp_gt_i32 s16, 6
	s_cbranch_scc0 .LBB380_1943
; %bb.1941:
	global_load_dwordx2 v[10:11], v[20:21], off
	s_mov_b64 s[6:7], 0
	s_waitcnt vmcnt(0)
	v_cvt_i32_f64_e32 v10, v[10:11]
	s_branch .LBB380_1944
.LBB380_1942:
	s_mov_b64 s[6:7], -1
                                        ; implicit-def: $vgpr10
	s_branch .LBB380_1947
.LBB380_1943:
	s_mov_b64 s[6:7], -1
                                        ; implicit-def: $vgpr10
.LBB380_1944:
	s_andn2_b64 vcc, exec, s[6:7]
	s_cbranch_vccnz .LBB380_1946
; %bb.1945:
	global_load_dword v1, v[20:21], off
	s_waitcnt vmcnt(0)
	v_cvt_i32_f32_e32 v10, v1
.LBB380_1946:
	s_mov_b64 s[6:7], 0
.LBB380_1947:
	s_andn2_b64 vcc, exec, s[6:7]
	s_cbranch_vccnz .LBB380_1949
; %bb.1948:
	global_load_ushort v1, v[20:21], off
	s_waitcnt vmcnt(0)
	v_cvt_i16_f16_e32 v10, v1
.LBB380_1949:
	s_mov_b64 s[6:7], 0
.LBB380_1950:
	s_andn2_b64 vcc, exec, s[6:7]
	s_cbranch_vccnz .LBB380_1970
; %bb.1951:
	s_cmp_lt_i32 s16, 2
	s_cbranch_scc1 .LBB380_1955
; %bb.1952:
	s_cmp_lt_i32 s16, 3
	s_cbranch_scc1 .LBB380_1956
; %bb.1953:
	s_cmp_gt_i32 s16, 3
	s_cbranch_scc0 .LBB380_1957
; %bb.1954:
	global_load_dwordx2 v[10:11], v[20:21], off
	s_mov_b64 s[6:7], 0
	s_branch .LBB380_1958
.LBB380_1955:
	s_mov_b64 s[6:7], -1
                                        ; implicit-def: $vgpr10
	s_branch .LBB380_1964
.LBB380_1956:
	s_mov_b64 s[6:7], -1
                                        ; implicit-def: $vgpr10
	s_branch .LBB380_1961
.LBB380_1957:
	s_mov_b64 s[6:7], -1
                                        ; implicit-def: $vgpr10
.LBB380_1958:
	s_andn2_b64 vcc, exec, s[6:7]
	s_cbranch_vccnz .LBB380_1960
; %bb.1959:
	global_load_dword v10, v[20:21], off
.LBB380_1960:
	s_mov_b64 s[6:7], 0
.LBB380_1961:
	s_andn2_b64 vcc, exec, s[6:7]
	s_cbranch_vccnz .LBB380_1963
; %bb.1962:
	global_load_ushort v10, v[20:21], off
.LBB380_1963:
	s_mov_b64 s[6:7], 0
.LBB380_1964:
	s_andn2_b64 vcc, exec, s[6:7]
	s_cbranch_vccnz .LBB380_1970
; %bb.1965:
	s_cmp_gt_i32 s16, 0
	s_cbranch_scc0 .LBB380_1967
; %bb.1966:
	global_load_ubyte v10, v[20:21], off
	s_mov_b64 s[6:7], 0
	s_branch .LBB380_1968
.LBB380_1967:
	s_mov_b64 s[6:7], -1
                                        ; implicit-def: $vgpr10
.LBB380_1968:
	s_andn2_b64 vcc, exec, s[6:7]
	s_cbranch_vccnz .LBB380_1970
; %bb.1969:
	global_load_ubyte v10, v[20:21], off
.LBB380_1970:
.LBB380_1971:
	s_lshr_b32 s6, s23, 16
	v_mov_b32_e32 v1, s1
	s_and_b32 s23, s6, 0xff
	v_add_co_u32_e32 v20, vcc, s0, v18
	s_cmp_lt_i32 s23, 11
	v_addc_co_u32_e32 v21, vcc, 0, v1, vcc
	s_cbranch_scc1 .LBB380_1978
; %bb.1972:
	s_and_b32 s24, 0xffff, s23
	s_cmp_gt_i32 s24, 25
	s_mov_b64 s[16:17], 0
	s_cbranch_scc0 .LBB380_1979
; %bb.1973:
	s_cmp_gt_i32 s24, 28
	s_cbranch_scc0 .LBB380_1980
; %bb.1974:
	s_cmp_gt_i32 s24, 43
	;; [unrolled: 3-line block ×3, first 2 shown]
	s_cbranch_scc0 .LBB380_1983
; %bb.1976:
	s_cmp_eq_u32 s24, 46
	s_mov_b64 s[20:21], 0
	s_cbranch_scc0 .LBB380_1984
; %bb.1977:
	global_load_dword v1, v[20:21], off
	s_mov_b64 s[6:7], 0
	s_mov_b64 s[18:19], -1
	s_waitcnt vmcnt(0)
	v_lshlrev_b32_e32 v1, 16, v1
	v_cvt_i32_f32_e32 v17, v1
	s_branch .LBB380_1985
.LBB380_1978:
	s_mov_b64 s[6:7], -1
	s_mov_b64 s[18:19], 0
                                        ; implicit-def: $vgpr17
	s_branch .LBB380_2047
.LBB380_1979:
	s_mov_b64 s[20:21], -1
	s_mov_b64 s[18:19], 0
	s_mov_b64 s[6:7], 0
                                        ; implicit-def: $vgpr17
	s_branch .LBB380_2012
.LBB380_1980:
	s_mov_b64 s[20:21], -1
	s_mov_b64 s[18:19], 0
	s_mov_b64 s[6:7], 0
                                        ; implicit-def: $vgpr17
	s_branch .LBB380_1995
.LBB380_1981:
	s_mov_b64 s[20:21], -1
	s_mov_b64 s[18:19], 0
	s_mov_b64 s[6:7], 0
                                        ; implicit-def: $vgpr17
	s_branch .LBB380_1990
.LBB380_1982:
	s_trap 2
	s_or_b64 s[4:5], s[4:5], exec
	s_cbranch_execz .LBB380_1921
	s_branch .LBB380_1922
.LBB380_1983:
	s_mov_b64 s[20:21], -1
	s_mov_b64 s[18:19], 0
	s_mov_b64 s[6:7], 0
                                        ; implicit-def: $vgpr17
	s_branch .LBB380_1985
.LBB380_1984:
	s_mov_b64 s[6:7], -1
                                        ; implicit-def: $vgpr17
	s_mov_b64 s[18:19], 0
.LBB380_1985:
	s_and_b64 vcc, exec, s[20:21]
	s_cbranch_vccz .LBB380_1989
; %bb.1986:
	s_cmp_eq_u32 s24, 44
	s_cbranch_scc0 .LBB380_1988
; %bb.1987:
	global_load_ubyte v1, v[20:21], off
	s_mov_b64 s[6:7], 0
	s_mov_b64 s[18:19], -1
	s_waitcnt vmcnt(0)
	v_lshlrev_b32_e32 v3, 23, v1
	v_cvt_i32_f32_e32 v3, v3
	v_cmp_ne_u32_e32 vcc, 0, v1
	v_cndmask_b32_e32 v17, 0, v3, vcc
	s_branch .LBB380_1989
.LBB380_1988:
	s_mov_b64 s[6:7], -1
                                        ; implicit-def: $vgpr17
.LBB380_1989:
	s_mov_b64 s[20:21], 0
.LBB380_1990:
	s_and_b64 vcc, exec, s[20:21]
	s_cbranch_vccz .LBB380_1994
; %bb.1991:
	s_cmp_eq_u32 s24, 29
	s_cbranch_scc0 .LBB380_1993
; %bb.1992:
	global_load_dwordx2 v[17:18], v[20:21], off
	s_mov_b64 s[6:7], 0
	s_mov_b64 s[18:19], -1
	s_branch .LBB380_1994
.LBB380_1993:
	s_mov_b64 s[6:7], -1
                                        ; implicit-def: $vgpr17
.LBB380_1994:
	s_mov_b64 s[20:21], 0
.LBB380_1995:
	s_and_b64 vcc, exec, s[20:21]
	s_cbranch_vccz .LBB380_2011
; %bb.1996:
	s_cmp_lt_i32 s24, 27
	s_cbranch_scc1 .LBB380_1999
; %bb.1997:
	s_cmp_gt_i32 s24, 27
	s_cbranch_scc0 .LBB380_2000
; %bb.1998:
	global_load_dword v17, v[20:21], off
	s_mov_b64 s[18:19], 0
	s_branch .LBB380_2001
.LBB380_1999:
	s_mov_b64 s[18:19], -1
                                        ; implicit-def: $vgpr17
	s_branch .LBB380_2004
.LBB380_2000:
	s_mov_b64 s[18:19], -1
                                        ; implicit-def: $vgpr17
.LBB380_2001:
	s_andn2_b64 vcc, exec, s[18:19]
	s_cbranch_vccnz .LBB380_2003
; %bb.2002:
	global_load_ushort v17, v[20:21], off
.LBB380_2003:
	s_mov_b64 s[18:19], 0
.LBB380_2004:
	s_andn2_b64 vcc, exec, s[18:19]
	s_cbranch_vccnz .LBB380_2010
; %bb.2005:
	global_load_ubyte v1, v[20:21], off
	s_movk_i32 s18, 0x7f
	s_mov_b64 s[20:21], 0
	s_waitcnt vmcnt(0)
	v_cmp_lt_i16_e32 vcc, s18, v1
	s_and_saveexec_b64 s[18:19], vcc
	s_xor_b64 s[18:19], exec, s[18:19]
	s_cbranch_execz .LBB380_2022
; %bb.2006:
	s_movk_i32 s20, 0x80
	v_cmp_ne_u16_e32 vcc, s20, v1
	s_and_b64 s[20:21], vcc, exec
	s_andn2_saveexec_b64 s[18:19], s[18:19]
	s_cbranch_execnz .LBB380_2023
.LBB380_2007:
	s_or_b64 exec, exec, s[18:19]
	v_mov_b32_e32 v17, 0
	s_and_saveexec_b64 s[18:19], s[20:21]
	s_cbranch_execz .LBB380_2009
.LBB380_2008:
	v_lshlrev_b32_e32 v3, 24, v1
	v_and_b32_e32 v1, 0xffff, v1
	v_and_b32_e32 v5, 7, v1
	v_ffbh_u32_e32 v11, v5
	v_min_u32_e32 v11, 32, v11
	v_subrev_u32_e32 v13, 28, v11
	v_bfe_u32 v8, v1, 3, 4
	v_lshlrev_b32_e32 v1, v13, v1
	v_sub_u32_e32 v11, 29, v11
	v_and_b32_e32 v1, 7, v1
	v_cmp_eq_u32_e32 vcc, 0, v8
	v_cndmask_b32_e32 v8, v8, v11, vcc
	v_cndmask_b32_e32 v1, v5, v1, vcc
	v_mov_b32_e32 v5, 0x3b800000
	v_lshlrev_b32_e32 v1, 20, v1
	v_and_b32_e32 v3, 0x80000000, v3
	v_lshl_add_u32 v5, v8, 23, v5
	v_or3_b32 v1, v3, v5, v1
	v_cvt_i32_f32_e32 v17, v1
.LBB380_2009:
	s_or_b64 exec, exec, s[18:19]
.LBB380_2010:
	s_mov_b64 s[18:19], -1
.LBB380_2011:
	s_mov_b64 s[20:21], 0
.LBB380_2012:
	s_and_b64 vcc, exec, s[20:21]
	s_cbranch_vccz .LBB380_2043
; %bb.2013:
	s_cmp_gt_i32 s24, 22
	s_cbranch_scc0 .LBB380_2021
; %bb.2014:
	s_cmp_lt_i32 s24, 24
	s_cbranch_scc1 .LBB380_2024
; %bb.2015:
	s_cmp_gt_i32 s24, 24
	s_cbranch_scc0 .LBB380_2025
; %bb.2016:
	global_load_ubyte v1, v[20:21], off
	s_movk_i32 s16, 0x7f
	s_mov_b64 s[18:19], 0
	s_waitcnt vmcnt(0)
	v_cmp_lt_i16_e32 vcc, s16, v1
	s_and_saveexec_b64 s[16:17], vcc
	s_xor_b64 s[16:17], exec, s[16:17]
	s_cbranch_execz .LBB380_2037
; %bb.2017:
	s_movk_i32 s18, 0x80
	v_cmp_ne_u16_e32 vcc, s18, v1
	s_and_b64 s[18:19], vcc, exec
	s_andn2_saveexec_b64 s[16:17], s[16:17]
	s_cbranch_execnz .LBB380_2038
.LBB380_2018:
	s_or_b64 exec, exec, s[16:17]
	v_mov_b32_e32 v17, 0
	s_and_saveexec_b64 s[16:17], s[18:19]
	s_cbranch_execz .LBB380_2020
.LBB380_2019:
	v_lshlrev_b32_e32 v3, 24, v1
	v_and_b32_e32 v1, 0xffff, v1
	v_and_b32_e32 v5, 3, v1
	v_ffbh_u32_e32 v11, v5
	v_min_u32_e32 v11, 32, v11
	v_subrev_u32_e32 v13, 29, v11
	v_bfe_u32 v8, v1, 2, 5
	v_lshlrev_b32_e32 v1, v13, v1
	v_sub_u32_e32 v11, 30, v11
	v_and_b32_e32 v1, 3, v1
	v_cmp_eq_u32_e32 vcc, 0, v8
	v_cndmask_b32_e32 v8, v8, v11, vcc
	v_cndmask_b32_e32 v1, v5, v1, vcc
	v_mov_b32_e32 v5, 0x37800000
	v_lshlrev_b32_e32 v1, 21, v1
	v_and_b32_e32 v3, 0x80000000, v3
	v_lshl_add_u32 v5, v8, 23, v5
	v_or3_b32 v1, v3, v5, v1
	v_cvt_i32_f32_e32 v17, v1
.LBB380_2020:
	s_or_b64 exec, exec, s[16:17]
	s_mov_b64 s[16:17], 0
	s_branch .LBB380_2026
.LBB380_2021:
	s_mov_b64 s[16:17], -1
                                        ; implicit-def: $vgpr17
	s_branch .LBB380_2032
.LBB380_2022:
	s_andn2_saveexec_b64 s[18:19], s[18:19]
	s_cbranch_execz .LBB380_2007
.LBB380_2023:
	v_cmp_ne_u16_e32 vcc, 0, v1
	s_andn2_b64 s[20:21], s[20:21], exec
	s_and_b64 s[26:27], vcc, exec
	s_or_b64 s[20:21], s[20:21], s[26:27]
	s_or_b64 exec, exec, s[18:19]
	v_mov_b32_e32 v17, 0
	s_and_saveexec_b64 s[18:19], s[20:21]
	s_cbranch_execnz .LBB380_2008
	s_branch .LBB380_2009
.LBB380_2024:
	s_mov_b64 s[16:17], -1
                                        ; implicit-def: $vgpr17
	s_branch .LBB380_2029
.LBB380_2025:
	s_mov_b64 s[16:17], -1
                                        ; implicit-def: $vgpr17
.LBB380_2026:
	s_and_b64 vcc, exec, s[16:17]
	s_cbranch_vccz .LBB380_2028
; %bb.2027:
	global_load_ubyte v1, v[20:21], off
	s_mov_b32 s16, 0x7f800000
	s_waitcnt vmcnt(0)
	v_lshlrev_b32_e32 v1, 24, v1
	v_and_b32_e32 v3, 0x7f000000, v1
	v_ffbh_u32_e32 v5, v3
	v_min_u32_e32 v5, 32, v5
	v_sub_u32_e64 v5, v5, 4 clamp
	v_lshlrev_b32_e32 v11, v5, v3
	v_lshlrev_b32_e32 v5, 23, v5
	v_lshrrev_b32_e32 v11, 4, v11
	v_add_u32_e32 v8, 0x1000000, v3
	v_sub_u32_e32 v5, v11, v5
	v_ashrrev_i32_e32 v8, 8, v8
	v_add_u32_e32 v5, 0x3c000000, v5
	v_and_or_b32 v5, v8, s16, v5
	v_cmp_ne_u32_e32 vcc, 0, v3
	v_cndmask_b32_e32 v3, 0, v5, vcc
	s_brev_b32 s16, 1
	v_and_or_b32 v1, v1, s16, v3
	v_cvt_i32_f32_e32 v17, v1
.LBB380_2028:
	s_mov_b64 s[16:17], 0
.LBB380_2029:
	s_andn2_b64 vcc, exec, s[16:17]
	s_cbranch_vccnz .LBB380_2031
; %bb.2030:
	global_load_ubyte v1, v[20:21], off
	s_movk_i32 s16, 0x7f00
	s_brev_b32 s17, 16
	s_waitcnt vmcnt(0)
	v_lshlrev_b16_e32 v3, 8, v1
	v_lshlrev_b32_e32 v1, 25, v1
	v_lshrrev_b32_e32 v5, 4, v1
	v_and_or_b32 v8, v3, s16, 0.5
	v_or_b32_e32 v5, 0x70000000, v5
	v_add_f32_e32 v8, -0.5, v8
	v_mul_f32_e32 v5, 0x7800000, v5
	v_cmp_gt_u32_e32 vcc, s17, v1
	v_bfe_i32 v3, v3, 0, 16
	v_cndmask_b32_e32 v1, v5, v8, vcc
	s_brev_b32 s16, 1
	v_and_or_b32 v1, v3, s16, v1
	v_cvt_i32_f32_e32 v17, v1
.LBB380_2031:
	s_mov_b64 s[16:17], 0
	s_mov_b64 s[18:19], -1
.LBB380_2032:
	s_andn2_b64 vcc, exec, s[16:17]
	s_mov_b64 s[16:17], 0
	s_cbranch_vccnz .LBB380_2043
; %bb.2033:
	s_cmp_gt_i32 s24, 14
	s_cbranch_scc0 .LBB380_2036
; %bb.2034:
	s_cmp_eq_u32 s24, 15
	s_cbranch_scc0 .LBB380_2039
; %bb.2035:
	global_load_ushort v1, v[20:21], off
	s_mov_b64 s[6:7], 0
	s_mov_b64 s[18:19], -1
	s_waitcnt vmcnt(0)
	v_lshlrev_b32_e32 v1, 16, v1
	v_cvt_i32_f32_e32 v17, v1
	s_branch .LBB380_2040
.LBB380_2036:
	s_mov_b64 s[20:21], -1
                                        ; implicit-def: $vgpr17
	s_branch .LBB380_2041
.LBB380_2037:
	s_andn2_saveexec_b64 s[16:17], s[16:17]
	s_cbranch_execz .LBB380_2018
.LBB380_2038:
	v_cmp_ne_u16_e32 vcc, 0, v1
	s_andn2_b64 s[18:19], s[18:19], exec
	s_and_b64 s[20:21], vcc, exec
	s_or_b64 s[18:19], s[18:19], s[20:21]
	s_or_b64 exec, exec, s[16:17]
	v_mov_b32_e32 v17, 0
	s_and_saveexec_b64 s[16:17], s[18:19]
	s_cbranch_execnz .LBB380_2019
	s_branch .LBB380_2020
.LBB380_2039:
	s_mov_b64 s[6:7], -1
                                        ; implicit-def: $vgpr17
.LBB380_2040:
	s_mov_b64 s[20:21], 0
.LBB380_2041:
	s_and_b64 vcc, exec, s[20:21]
	s_cbranch_vccz .LBB380_2043
; %bb.2042:
	s_cmp_lg_u32 s24, 11
	s_mov_b64 s[16:17], -1
	s_cselect_b64 s[6:7], -1, 0
.LBB380_2043:
	s_and_b64 vcc, exec, s[6:7]
	s_cbranch_vccnz .LBB380_2108
; %bb.2044:
	s_andn2_b64 vcc, exec, s[16:17]
	s_cbranch_vccnz .LBB380_2046
.LBB380_2045:
	global_load_ubyte v1, v[20:21], off
	s_mov_b64 s[18:19], -1
	s_waitcnt vmcnt(0)
	v_cmp_ne_u16_e32 vcc, 0, v1
	v_cndmask_b32_e64 v17, 0, 1, vcc
.LBB380_2046:
	s_mov_b64 s[6:7], 0
.LBB380_2047:
	s_and_b64 vcc, exec, s[6:7]
	s_cbranch_vccz .LBB380_2096
; %bb.2048:
	s_and_b32 s16, 0xffff, s23
	s_cmp_lt_i32 s16, 5
	s_cbranch_scc1 .LBB380_2053
; %bb.2049:
	s_cmp_lt_i32 s16, 8
	s_cbranch_scc1 .LBB380_2054
; %bb.2050:
	;; [unrolled: 3-line block ×3, first 2 shown]
	s_cmp_gt_i32 s16, 9
	s_cbranch_scc0 .LBB380_2056
; %bb.2052:
	global_load_dwordx2 v[17:18], v[20:21], off
	s_mov_b64 s[6:7], 0
	s_waitcnt vmcnt(0)
	v_cvt_i32_f64_e32 v17, v[17:18]
	s_branch .LBB380_2057
.LBB380_2053:
	s_mov_b64 s[6:7], -1
                                        ; implicit-def: $vgpr17
	s_branch .LBB380_2075
.LBB380_2054:
	s_mov_b64 s[6:7], -1
                                        ; implicit-def: $vgpr17
	s_branch .LBB380_2063
.LBB380_2055:
	s_mov_b64 s[6:7], -1
                                        ; implicit-def: $vgpr17
	s_branch .LBB380_2060
.LBB380_2056:
	s_mov_b64 s[6:7], -1
                                        ; implicit-def: $vgpr17
.LBB380_2057:
	s_andn2_b64 vcc, exec, s[6:7]
	s_cbranch_vccnz .LBB380_2059
; %bb.2058:
	global_load_dword v1, v[20:21], off
	s_waitcnt vmcnt(0)
	v_cvt_i32_f32_e32 v17, v1
.LBB380_2059:
	s_mov_b64 s[6:7], 0
.LBB380_2060:
	s_andn2_b64 vcc, exec, s[6:7]
	s_cbranch_vccnz .LBB380_2062
; %bb.2061:
	global_load_dword v1, v[20:21], off
	s_waitcnt vmcnt(0)
	v_cvt_i16_f16_e32 v17, v1
.LBB380_2062:
	s_mov_b64 s[6:7], 0
.LBB380_2063:
	s_andn2_b64 vcc, exec, s[6:7]
	s_cbranch_vccnz .LBB380_2074
; %bb.2064:
	s_cmp_lt_i32 s16, 6
	s_cbranch_scc1 .LBB380_2067
; %bb.2065:
	s_cmp_gt_i32 s16, 6
	s_cbranch_scc0 .LBB380_2068
; %bb.2066:
	global_load_dwordx2 v[17:18], v[20:21], off
	s_mov_b64 s[6:7], 0
	s_waitcnt vmcnt(0)
	v_cvt_i32_f64_e32 v17, v[17:18]
	s_branch .LBB380_2069
.LBB380_2067:
	s_mov_b64 s[6:7], -1
                                        ; implicit-def: $vgpr17
	s_branch .LBB380_2072
.LBB380_2068:
	s_mov_b64 s[6:7], -1
                                        ; implicit-def: $vgpr17
.LBB380_2069:
	s_andn2_b64 vcc, exec, s[6:7]
	s_cbranch_vccnz .LBB380_2071
; %bb.2070:
	global_load_dword v1, v[20:21], off
	s_waitcnt vmcnt(0)
	v_cvt_i32_f32_e32 v17, v1
.LBB380_2071:
	s_mov_b64 s[6:7], 0
.LBB380_2072:
	s_andn2_b64 vcc, exec, s[6:7]
	s_cbranch_vccnz .LBB380_2074
; %bb.2073:
	global_load_ushort v1, v[20:21], off
	s_waitcnt vmcnt(0)
	v_cvt_i16_f16_e32 v17, v1
.LBB380_2074:
	s_mov_b64 s[6:7], 0
.LBB380_2075:
	s_andn2_b64 vcc, exec, s[6:7]
	s_cbranch_vccnz .LBB380_2095
; %bb.2076:
	s_cmp_lt_i32 s16, 2
	s_cbranch_scc1 .LBB380_2080
; %bb.2077:
	s_cmp_lt_i32 s16, 3
	s_cbranch_scc1 .LBB380_2081
; %bb.2078:
	s_cmp_gt_i32 s16, 3
	s_cbranch_scc0 .LBB380_2082
; %bb.2079:
	global_load_dwordx2 v[17:18], v[20:21], off
	s_mov_b64 s[6:7], 0
	s_branch .LBB380_2083
.LBB380_2080:
	s_mov_b64 s[6:7], -1
                                        ; implicit-def: $vgpr17
	s_branch .LBB380_2089
.LBB380_2081:
	s_mov_b64 s[6:7], -1
                                        ; implicit-def: $vgpr17
	s_branch .LBB380_2086
.LBB380_2082:
	s_mov_b64 s[6:7], -1
                                        ; implicit-def: $vgpr17
.LBB380_2083:
	s_andn2_b64 vcc, exec, s[6:7]
	s_cbranch_vccnz .LBB380_2085
; %bb.2084:
	global_load_dword v17, v[20:21], off
.LBB380_2085:
	s_mov_b64 s[6:7], 0
.LBB380_2086:
	s_andn2_b64 vcc, exec, s[6:7]
	s_cbranch_vccnz .LBB380_2088
; %bb.2087:
	global_load_ushort v17, v[20:21], off
.LBB380_2088:
	s_mov_b64 s[6:7], 0
.LBB380_2089:
	s_andn2_b64 vcc, exec, s[6:7]
	s_cbranch_vccnz .LBB380_2095
; %bb.2090:
	s_cmp_gt_i32 s16, 0
	s_cbranch_scc0 .LBB380_2092
; %bb.2091:
	global_load_ubyte v17, v[20:21], off
	s_mov_b64 s[6:7], 0
	s_branch .LBB380_2093
.LBB380_2092:
	s_mov_b64 s[6:7], -1
                                        ; implicit-def: $vgpr17
.LBB380_2093:
	s_andn2_b64 vcc, exec, s[6:7]
	s_cbranch_vccnz .LBB380_2095
; %bb.2094:
	global_load_ubyte v17, v[20:21], off
.LBB380_2095:
	s_mov_b64 s[18:19], -1
.LBB380_2096:
	s_andn2_b64 vcc, exec, s[18:19]
	s_cbranch_vccnz .LBB380_3036
; %bb.2097:
	v_mov_b32_e32 v1, s11
	v_add_co_u32_e32 v20, vcc, s10, v16
	s_cmp_lt_i32 s22, 11
	v_addc_co_u32_e32 v21, vcc, 0, v1, vcc
	s_cbranch_scc1 .LBB380_2104
; %bb.2098:
	s_and_b32 s24, 0xffff, s22
	s_cmp_gt_i32 s24, 25
	s_mov_b64 s[16:17], 0
	s_cbranch_scc0 .LBB380_2105
; %bb.2099:
	s_cmp_gt_i32 s24, 28
	s_cbranch_scc0 .LBB380_2106
; %bb.2100:
	s_cmp_gt_i32 s24, 43
	;; [unrolled: 3-line block ×3, first 2 shown]
	s_cbranch_scc0 .LBB380_2109
; %bb.2102:
	s_cmp_eq_u32 s24, 46
	s_mov_b64 s[20:21], 0
	s_cbranch_scc0 .LBB380_2110
; %bb.2103:
	global_load_dword v1, v[20:21], off
	s_mov_b64 s[6:7], 0
	s_mov_b64 s[18:19], -1
	s_waitcnt vmcnt(0)
	v_lshlrev_b32_e32 v1, 16, v1
	v_cvt_i32_f32_e32 v15, v1
	s_branch .LBB380_2111
.LBB380_2104:
	s_mov_b64 s[6:7], -1
	s_mov_b64 s[18:19], 0
                                        ; implicit-def: $vgpr15
	s_branch .LBB380_2173
.LBB380_2105:
	s_mov_b64 s[20:21], -1
	s_mov_b64 s[18:19], 0
	s_mov_b64 s[6:7], 0
                                        ; implicit-def: $vgpr15
	s_branch .LBB380_2138
.LBB380_2106:
	s_mov_b64 s[20:21], -1
	s_mov_b64 s[18:19], 0
	s_mov_b64 s[6:7], 0
                                        ; implicit-def: $vgpr15
	s_branch .LBB380_2121
.LBB380_2107:
	s_mov_b64 s[20:21], -1
	s_mov_b64 s[18:19], 0
	s_mov_b64 s[6:7], 0
                                        ; implicit-def: $vgpr15
	s_branch .LBB380_2116
.LBB380_2108:
	s_trap 2
	s_or_b64 s[4:5], s[4:5], exec
	s_cbranch_execz .LBB380_2045
	s_branch .LBB380_2046
.LBB380_2109:
	s_mov_b64 s[20:21], -1
	s_mov_b64 s[18:19], 0
	s_mov_b64 s[6:7], 0
                                        ; implicit-def: $vgpr15
	s_branch .LBB380_2111
.LBB380_2110:
	s_mov_b64 s[6:7], -1
                                        ; implicit-def: $vgpr15
	s_mov_b64 s[18:19], 0
.LBB380_2111:
	s_and_b64 vcc, exec, s[20:21]
	s_cbranch_vccz .LBB380_2115
; %bb.2112:
	s_cmp_eq_u32 s24, 44
	s_cbranch_scc0 .LBB380_2114
; %bb.2113:
	global_load_ubyte v1, v[20:21], off
	s_mov_b64 s[6:7], 0
	s_mov_b64 s[18:19], -1
	s_waitcnt vmcnt(0)
	v_lshlrev_b32_e32 v3, 23, v1
	v_cvt_i32_f32_e32 v3, v3
	v_cmp_ne_u32_e32 vcc, 0, v1
	v_cndmask_b32_e32 v15, 0, v3, vcc
	s_branch .LBB380_2115
.LBB380_2114:
	s_mov_b64 s[6:7], -1
                                        ; implicit-def: $vgpr15
.LBB380_2115:
	s_mov_b64 s[20:21], 0
.LBB380_2116:
	s_and_b64 vcc, exec, s[20:21]
	s_cbranch_vccz .LBB380_2120
; %bb.2117:
	s_cmp_eq_u32 s24, 29
	s_cbranch_scc0 .LBB380_2119
; %bb.2118:
	global_load_dwordx2 v[15:16], v[20:21], off
	s_mov_b64 s[6:7], 0
	s_mov_b64 s[18:19], -1
	s_branch .LBB380_2120
.LBB380_2119:
	s_mov_b64 s[6:7], -1
                                        ; implicit-def: $vgpr15
.LBB380_2120:
	s_mov_b64 s[20:21], 0
.LBB380_2121:
	s_and_b64 vcc, exec, s[20:21]
	s_cbranch_vccz .LBB380_2137
; %bb.2122:
	s_cmp_lt_i32 s24, 27
	s_cbranch_scc1 .LBB380_2125
; %bb.2123:
	s_cmp_gt_i32 s24, 27
	s_cbranch_scc0 .LBB380_2126
; %bb.2124:
	global_load_dword v15, v[20:21], off
	s_mov_b64 s[18:19], 0
	s_branch .LBB380_2127
.LBB380_2125:
	s_mov_b64 s[18:19], -1
                                        ; implicit-def: $vgpr15
	s_branch .LBB380_2130
.LBB380_2126:
	s_mov_b64 s[18:19], -1
                                        ; implicit-def: $vgpr15
.LBB380_2127:
	s_andn2_b64 vcc, exec, s[18:19]
	s_cbranch_vccnz .LBB380_2129
; %bb.2128:
	global_load_ushort v15, v[20:21], off
.LBB380_2129:
	s_mov_b64 s[18:19], 0
.LBB380_2130:
	s_andn2_b64 vcc, exec, s[18:19]
	s_cbranch_vccnz .LBB380_2136
; %bb.2131:
	global_load_ubyte v1, v[20:21], off
	s_movk_i32 s18, 0x7f
	s_mov_b64 s[20:21], 0
	s_waitcnt vmcnt(0)
	v_cmp_lt_i16_e32 vcc, s18, v1
	s_and_saveexec_b64 s[18:19], vcc
	s_xor_b64 s[18:19], exec, s[18:19]
	s_cbranch_execz .LBB380_2148
; %bb.2132:
	s_movk_i32 s20, 0x80
	v_cmp_ne_u16_e32 vcc, s20, v1
	s_and_b64 s[20:21], vcc, exec
	s_andn2_saveexec_b64 s[18:19], s[18:19]
	s_cbranch_execnz .LBB380_2149
.LBB380_2133:
	s_or_b64 exec, exec, s[18:19]
	v_mov_b32_e32 v15, 0
	s_and_saveexec_b64 s[18:19], s[20:21]
	s_cbranch_execz .LBB380_2135
.LBB380_2134:
	v_lshlrev_b32_e32 v3, 24, v1
	v_and_b32_e32 v1, 0xffff, v1
	v_and_b32_e32 v5, 7, v1
	v_ffbh_u32_e32 v11, v5
	v_min_u32_e32 v11, 32, v11
	v_subrev_u32_e32 v13, 28, v11
	v_bfe_u32 v8, v1, 3, 4
	v_lshlrev_b32_e32 v1, v13, v1
	v_sub_u32_e32 v11, 29, v11
	v_and_b32_e32 v1, 7, v1
	v_cmp_eq_u32_e32 vcc, 0, v8
	v_cndmask_b32_e32 v8, v8, v11, vcc
	v_cndmask_b32_e32 v1, v5, v1, vcc
	v_mov_b32_e32 v5, 0x3b800000
	v_lshlrev_b32_e32 v1, 20, v1
	v_and_b32_e32 v3, 0x80000000, v3
	v_lshl_add_u32 v5, v8, 23, v5
	v_or3_b32 v1, v3, v5, v1
	v_cvt_i32_f32_e32 v15, v1
.LBB380_2135:
	s_or_b64 exec, exec, s[18:19]
.LBB380_2136:
	s_mov_b64 s[18:19], -1
.LBB380_2137:
	s_mov_b64 s[20:21], 0
.LBB380_2138:
	s_and_b64 vcc, exec, s[20:21]
	s_cbranch_vccz .LBB380_2169
; %bb.2139:
	s_cmp_gt_i32 s24, 22
	s_cbranch_scc0 .LBB380_2147
; %bb.2140:
	s_cmp_lt_i32 s24, 24
	s_cbranch_scc1 .LBB380_2150
; %bb.2141:
	s_cmp_gt_i32 s24, 24
	s_cbranch_scc0 .LBB380_2151
; %bb.2142:
	global_load_ubyte v1, v[20:21], off
	s_movk_i32 s16, 0x7f
	s_mov_b64 s[18:19], 0
	s_waitcnt vmcnt(0)
	v_cmp_lt_i16_e32 vcc, s16, v1
	s_and_saveexec_b64 s[16:17], vcc
	s_xor_b64 s[16:17], exec, s[16:17]
	s_cbranch_execz .LBB380_2163
; %bb.2143:
	s_movk_i32 s18, 0x80
	v_cmp_ne_u16_e32 vcc, s18, v1
	s_and_b64 s[18:19], vcc, exec
	s_andn2_saveexec_b64 s[16:17], s[16:17]
	s_cbranch_execnz .LBB380_2164
.LBB380_2144:
	s_or_b64 exec, exec, s[16:17]
	v_mov_b32_e32 v15, 0
	s_and_saveexec_b64 s[16:17], s[18:19]
	s_cbranch_execz .LBB380_2146
.LBB380_2145:
	v_lshlrev_b32_e32 v3, 24, v1
	v_and_b32_e32 v1, 0xffff, v1
	v_and_b32_e32 v5, 3, v1
	v_ffbh_u32_e32 v11, v5
	v_min_u32_e32 v11, 32, v11
	v_subrev_u32_e32 v13, 29, v11
	v_bfe_u32 v8, v1, 2, 5
	v_lshlrev_b32_e32 v1, v13, v1
	v_sub_u32_e32 v11, 30, v11
	v_and_b32_e32 v1, 3, v1
	v_cmp_eq_u32_e32 vcc, 0, v8
	v_cndmask_b32_e32 v8, v8, v11, vcc
	v_cndmask_b32_e32 v1, v5, v1, vcc
	v_mov_b32_e32 v5, 0x37800000
	v_lshlrev_b32_e32 v1, 21, v1
	v_and_b32_e32 v3, 0x80000000, v3
	v_lshl_add_u32 v5, v8, 23, v5
	v_or3_b32 v1, v3, v5, v1
	v_cvt_i32_f32_e32 v15, v1
.LBB380_2146:
	s_or_b64 exec, exec, s[16:17]
	s_mov_b64 s[16:17], 0
	s_branch .LBB380_2152
.LBB380_2147:
	s_mov_b64 s[16:17], -1
                                        ; implicit-def: $vgpr15
	s_branch .LBB380_2158
.LBB380_2148:
	s_andn2_saveexec_b64 s[18:19], s[18:19]
	s_cbranch_execz .LBB380_2133
.LBB380_2149:
	v_cmp_ne_u16_e32 vcc, 0, v1
	s_andn2_b64 s[20:21], s[20:21], exec
	s_and_b64 s[26:27], vcc, exec
	s_or_b64 s[20:21], s[20:21], s[26:27]
	s_or_b64 exec, exec, s[18:19]
	v_mov_b32_e32 v15, 0
	s_and_saveexec_b64 s[18:19], s[20:21]
	s_cbranch_execnz .LBB380_2134
	s_branch .LBB380_2135
.LBB380_2150:
	s_mov_b64 s[16:17], -1
                                        ; implicit-def: $vgpr15
	s_branch .LBB380_2155
.LBB380_2151:
	s_mov_b64 s[16:17], -1
                                        ; implicit-def: $vgpr15
.LBB380_2152:
	s_and_b64 vcc, exec, s[16:17]
	s_cbranch_vccz .LBB380_2154
; %bb.2153:
	global_load_ubyte v1, v[20:21], off
	s_mov_b32 s16, 0x7f800000
	s_waitcnt vmcnt(0)
	v_lshlrev_b32_e32 v1, 24, v1
	v_and_b32_e32 v3, 0x7f000000, v1
	v_ffbh_u32_e32 v5, v3
	v_min_u32_e32 v5, 32, v5
	v_sub_u32_e64 v5, v5, 4 clamp
	v_lshlrev_b32_e32 v11, v5, v3
	v_lshlrev_b32_e32 v5, 23, v5
	v_lshrrev_b32_e32 v11, 4, v11
	v_add_u32_e32 v8, 0x1000000, v3
	v_sub_u32_e32 v5, v11, v5
	v_ashrrev_i32_e32 v8, 8, v8
	v_add_u32_e32 v5, 0x3c000000, v5
	v_and_or_b32 v5, v8, s16, v5
	v_cmp_ne_u32_e32 vcc, 0, v3
	v_cndmask_b32_e32 v3, 0, v5, vcc
	s_brev_b32 s16, 1
	v_and_or_b32 v1, v1, s16, v3
	v_cvt_i32_f32_e32 v15, v1
.LBB380_2154:
	s_mov_b64 s[16:17], 0
.LBB380_2155:
	s_andn2_b64 vcc, exec, s[16:17]
	s_cbranch_vccnz .LBB380_2157
; %bb.2156:
	global_load_ubyte v1, v[20:21], off
	s_movk_i32 s16, 0x7f00
	s_brev_b32 s17, 16
	s_waitcnt vmcnt(0)
	v_lshlrev_b16_e32 v3, 8, v1
	v_lshlrev_b32_e32 v1, 25, v1
	v_lshrrev_b32_e32 v5, 4, v1
	v_and_or_b32 v8, v3, s16, 0.5
	v_or_b32_e32 v5, 0x70000000, v5
	v_add_f32_e32 v8, -0.5, v8
	v_mul_f32_e32 v5, 0x7800000, v5
	v_cmp_gt_u32_e32 vcc, s17, v1
	v_bfe_i32 v3, v3, 0, 16
	v_cndmask_b32_e32 v1, v5, v8, vcc
	s_brev_b32 s16, 1
	v_and_or_b32 v1, v3, s16, v1
	v_cvt_i32_f32_e32 v15, v1
.LBB380_2157:
	s_mov_b64 s[16:17], 0
	s_mov_b64 s[18:19], -1
.LBB380_2158:
	s_andn2_b64 vcc, exec, s[16:17]
	s_mov_b64 s[16:17], 0
	s_cbranch_vccnz .LBB380_2169
; %bb.2159:
	s_cmp_gt_i32 s24, 14
	s_cbranch_scc0 .LBB380_2162
; %bb.2160:
	s_cmp_eq_u32 s24, 15
	s_cbranch_scc0 .LBB380_2165
; %bb.2161:
	global_load_ushort v1, v[20:21], off
	s_mov_b64 s[6:7], 0
	s_mov_b64 s[18:19], -1
	s_waitcnt vmcnt(0)
	v_lshlrev_b32_e32 v1, 16, v1
	v_cvt_i32_f32_e32 v15, v1
	s_branch .LBB380_2166
.LBB380_2162:
	s_mov_b64 s[20:21], -1
                                        ; implicit-def: $vgpr15
	s_branch .LBB380_2167
.LBB380_2163:
	s_andn2_saveexec_b64 s[16:17], s[16:17]
	s_cbranch_execz .LBB380_2144
.LBB380_2164:
	v_cmp_ne_u16_e32 vcc, 0, v1
	s_andn2_b64 s[18:19], s[18:19], exec
	s_and_b64 s[20:21], vcc, exec
	s_or_b64 s[18:19], s[18:19], s[20:21]
	s_or_b64 exec, exec, s[16:17]
	v_mov_b32_e32 v15, 0
	s_and_saveexec_b64 s[16:17], s[18:19]
	s_cbranch_execnz .LBB380_2145
	s_branch .LBB380_2146
.LBB380_2165:
	s_mov_b64 s[6:7], -1
                                        ; implicit-def: $vgpr15
.LBB380_2166:
	s_mov_b64 s[20:21], 0
.LBB380_2167:
	s_and_b64 vcc, exec, s[20:21]
	s_cbranch_vccz .LBB380_2169
; %bb.2168:
	s_cmp_lg_u32 s24, 11
	s_mov_b64 s[16:17], -1
	s_cselect_b64 s[6:7], -1, 0
.LBB380_2169:
	s_and_b64 vcc, exec, s[6:7]
	s_cbranch_vccnz .LBB380_2234
; %bb.2170:
	s_andn2_b64 vcc, exec, s[16:17]
	s_cbranch_vccnz .LBB380_2172
.LBB380_2171:
	global_load_ubyte v1, v[20:21], off
	s_mov_b64 s[18:19], -1
	s_waitcnt vmcnt(0)
	v_cmp_ne_u16_e32 vcc, 0, v1
	v_cndmask_b32_e64 v15, 0, 1, vcc
.LBB380_2172:
	s_mov_b64 s[6:7], 0
.LBB380_2173:
	s_and_b64 vcc, exec, s[6:7]
	s_cbranch_vccz .LBB380_2222
; %bb.2174:
	s_and_b32 s16, 0xffff, s22
	s_cmp_lt_i32 s16, 5
	s_cbranch_scc1 .LBB380_2179
; %bb.2175:
	s_cmp_lt_i32 s16, 8
	s_cbranch_scc1 .LBB380_2180
; %bb.2176:
	s_cmp_lt_i32 s16, 9
	s_cbranch_scc1 .LBB380_2181
; %bb.2177:
	s_cmp_gt_i32 s16, 9
	s_cbranch_scc0 .LBB380_2182
; %bb.2178:
	global_load_dwordx2 v[15:16], v[20:21], off
	s_mov_b64 s[6:7], 0
	s_waitcnt vmcnt(0)
	v_cvt_i32_f64_e32 v15, v[15:16]
	s_branch .LBB380_2183
.LBB380_2179:
	s_mov_b64 s[6:7], -1
                                        ; implicit-def: $vgpr15
	s_branch .LBB380_2201
.LBB380_2180:
	s_mov_b64 s[6:7], -1
                                        ; implicit-def: $vgpr15
	s_branch .LBB380_2189
.LBB380_2181:
	s_mov_b64 s[6:7], -1
                                        ; implicit-def: $vgpr15
	s_branch .LBB380_2186
.LBB380_2182:
	s_mov_b64 s[6:7], -1
                                        ; implicit-def: $vgpr15
.LBB380_2183:
	s_andn2_b64 vcc, exec, s[6:7]
	s_cbranch_vccnz .LBB380_2185
; %bb.2184:
	global_load_dword v1, v[20:21], off
	s_waitcnt vmcnt(0)
	v_cvt_i32_f32_e32 v15, v1
.LBB380_2185:
	s_mov_b64 s[6:7], 0
.LBB380_2186:
	s_andn2_b64 vcc, exec, s[6:7]
	s_cbranch_vccnz .LBB380_2188
; %bb.2187:
	global_load_dword v1, v[20:21], off
	s_waitcnt vmcnt(0)
	v_cvt_i16_f16_e32 v15, v1
.LBB380_2188:
	s_mov_b64 s[6:7], 0
.LBB380_2189:
	s_andn2_b64 vcc, exec, s[6:7]
	s_cbranch_vccnz .LBB380_2200
; %bb.2190:
	s_cmp_lt_i32 s16, 6
	s_cbranch_scc1 .LBB380_2193
; %bb.2191:
	s_cmp_gt_i32 s16, 6
	s_cbranch_scc0 .LBB380_2194
; %bb.2192:
	global_load_dwordx2 v[15:16], v[20:21], off
	s_mov_b64 s[6:7], 0
	s_waitcnt vmcnt(0)
	v_cvt_i32_f64_e32 v15, v[15:16]
	s_branch .LBB380_2195
.LBB380_2193:
	s_mov_b64 s[6:7], -1
                                        ; implicit-def: $vgpr15
	s_branch .LBB380_2198
.LBB380_2194:
	s_mov_b64 s[6:7], -1
                                        ; implicit-def: $vgpr15
.LBB380_2195:
	s_andn2_b64 vcc, exec, s[6:7]
	s_cbranch_vccnz .LBB380_2197
; %bb.2196:
	global_load_dword v1, v[20:21], off
	s_waitcnt vmcnt(0)
	v_cvt_i32_f32_e32 v15, v1
.LBB380_2197:
	s_mov_b64 s[6:7], 0
.LBB380_2198:
	s_andn2_b64 vcc, exec, s[6:7]
	s_cbranch_vccnz .LBB380_2200
; %bb.2199:
	global_load_ushort v1, v[20:21], off
	s_waitcnt vmcnt(0)
	v_cvt_i16_f16_e32 v15, v1
.LBB380_2200:
	s_mov_b64 s[6:7], 0
.LBB380_2201:
	s_andn2_b64 vcc, exec, s[6:7]
	s_cbranch_vccnz .LBB380_2221
; %bb.2202:
	s_cmp_lt_i32 s16, 2
	s_cbranch_scc1 .LBB380_2206
; %bb.2203:
	s_cmp_lt_i32 s16, 3
	s_cbranch_scc1 .LBB380_2207
; %bb.2204:
	s_cmp_gt_i32 s16, 3
	s_cbranch_scc0 .LBB380_2208
; %bb.2205:
	global_load_dwordx2 v[15:16], v[20:21], off
	s_mov_b64 s[6:7], 0
	s_branch .LBB380_2209
.LBB380_2206:
	s_mov_b64 s[6:7], -1
                                        ; implicit-def: $vgpr15
	s_branch .LBB380_2215
.LBB380_2207:
	s_mov_b64 s[6:7], -1
                                        ; implicit-def: $vgpr15
	s_branch .LBB380_2212
.LBB380_2208:
	s_mov_b64 s[6:7], -1
                                        ; implicit-def: $vgpr15
.LBB380_2209:
	s_andn2_b64 vcc, exec, s[6:7]
	s_cbranch_vccnz .LBB380_2211
; %bb.2210:
	global_load_dword v15, v[20:21], off
.LBB380_2211:
	s_mov_b64 s[6:7], 0
.LBB380_2212:
	s_andn2_b64 vcc, exec, s[6:7]
	s_cbranch_vccnz .LBB380_2214
; %bb.2213:
	global_load_ushort v15, v[20:21], off
.LBB380_2214:
	s_mov_b64 s[6:7], 0
.LBB380_2215:
	s_andn2_b64 vcc, exec, s[6:7]
	s_cbranch_vccnz .LBB380_2221
; %bb.2216:
	s_cmp_gt_i32 s16, 0
	s_cbranch_scc0 .LBB380_2218
; %bb.2217:
	global_load_ubyte v15, v[20:21], off
	s_mov_b64 s[6:7], 0
	s_branch .LBB380_2219
.LBB380_2218:
	s_mov_b64 s[6:7], -1
                                        ; implicit-def: $vgpr15
.LBB380_2219:
	s_andn2_b64 vcc, exec, s[6:7]
	s_cbranch_vccnz .LBB380_2221
; %bb.2220:
	global_load_ubyte v15, v[20:21], off
.LBB380_2221:
	s_mov_b64 s[18:19], -1
.LBB380_2222:
	s_andn2_b64 vcc, exec, s[18:19]
	s_cbranch_vccnz .LBB380_3036
; %bb.2223:
	v_mov_b32_e32 v1, s1
	v_add_co_u32_e32 v20, vcc, s0, v19
	s_cmp_lt_i32 s23, 11
	v_addc_co_u32_e32 v21, vcc, 0, v1, vcc
	s_cbranch_scc1 .LBB380_2230
; %bb.2224:
	s_and_b32 s24, 0xffff, s23
	s_cmp_gt_i32 s24, 25
	s_mov_b64 s[16:17], 0
	s_cbranch_scc0 .LBB380_2231
; %bb.2225:
	s_cmp_gt_i32 s24, 28
	s_cbranch_scc0 .LBB380_2232
; %bb.2226:
	s_cmp_gt_i32 s24, 43
	;; [unrolled: 3-line block ×3, first 2 shown]
	s_cbranch_scc0 .LBB380_2235
; %bb.2228:
	s_cmp_eq_u32 s24, 46
	s_mov_b64 s[20:21], 0
	s_cbranch_scc0 .LBB380_2238
; %bb.2229:
	global_load_dword v1, v[20:21], off
	s_mov_b64 s[6:7], 0
	s_mov_b64 s[18:19], -1
	s_waitcnt vmcnt(0)
	v_lshlrev_b32_e32 v1, 16, v1
	v_cvt_i32_f32_e32 v18, v1
	s_branch .LBB380_2239
.LBB380_2230:
	s_mov_b64 s[6:7], -1
	s_mov_b64 s[18:19], 0
                                        ; implicit-def: $vgpr18
	s_branch .LBB380_2301
.LBB380_2231:
	s_mov_b64 s[20:21], -1
	s_mov_b64 s[18:19], 0
	s_mov_b64 s[6:7], 0
                                        ; implicit-def: $vgpr18
	s_branch .LBB380_2266
.LBB380_2232:
	s_mov_b64 s[20:21], -1
	s_mov_b64 s[18:19], 0
	s_mov_b64 s[6:7], 0
                                        ; implicit-def: $vgpr18
	s_branch .LBB380_2249
.LBB380_2233:
	s_mov_b64 s[20:21], -1
	s_mov_b64 s[18:19], 0
	s_mov_b64 s[6:7], 0
                                        ; implicit-def: $vgpr18
	s_branch .LBB380_2244
.LBB380_2234:
	s_trap 2
	s_or_b64 s[4:5], s[4:5], exec
	s_cbranch_execz .LBB380_2171
	s_branch .LBB380_2172
.LBB380_2235:
	s_mov_b64 s[20:21], -1
	s_mov_b64 s[18:19], 0
	s_mov_b64 s[6:7], 0
                                        ; implicit-def: $vgpr18
	s_branch .LBB380_2239
.LBB380_2236:
	s_andn2_saveexec_b64 s[68:69], s[68:69]
	s_cbranch_execz .LBB380_1095
.LBB380_2237:
	v_add_f32_e32 v2, 0x42800000, v3
	v_and_b32_e32 v2, 0xff, v2
	v_cmp_ne_u32_e32 vcc, 0, v2
	s_andn2_b64 s[66:67], s[66:67], exec
	s_and_b64 s[76:77], vcc, exec
	s_or_b64 s[66:67], s[66:67], s[76:77]
	s_or_b64 exec, exec, s[68:69]
	v_mov_b32_e32 v4, 0
	s_and_saveexec_b64 s[68:69], s[66:67]
	s_cbranch_execnz .LBB380_1096
	s_branch .LBB380_1097
.LBB380_2238:
	s_mov_b64 s[6:7], -1
                                        ; implicit-def: $vgpr18
	s_mov_b64 s[18:19], 0
.LBB380_2239:
	s_and_b64 vcc, exec, s[20:21]
	s_cbranch_vccz .LBB380_2243
; %bb.2240:
	s_cmp_eq_u32 s24, 44
	s_cbranch_scc0 .LBB380_2242
; %bb.2241:
	global_load_ubyte v1, v[20:21], off
	s_mov_b64 s[6:7], 0
	s_mov_b64 s[18:19], -1
	s_waitcnt vmcnt(0)
	v_lshlrev_b32_e32 v3, 23, v1
	v_cvt_i32_f32_e32 v3, v3
	v_cmp_ne_u32_e32 vcc, 0, v1
	v_cndmask_b32_e32 v18, 0, v3, vcc
	s_branch .LBB380_2243
.LBB380_2242:
	s_mov_b64 s[6:7], -1
                                        ; implicit-def: $vgpr18
.LBB380_2243:
	s_mov_b64 s[20:21], 0
.LBB380_2244:
	s_and_b64 vcc, exec, s[20:21]
	s_cbranch_vccz .LBB380_2248
; %bb.2245:
	s_cmp_eq_u32 s24, 29
	s_cbranch_scc0 .LBB380_2247
; %bb.2246:
	global_load_dwordx2 v[18:19], v[20:21], off
	s_mov_b64 s[6:7], 0
	s_mov_b64 s[18:19], -1
	s_branch .LBB380_2248
.LBB380_2247:
	s_mov_b64 s[6:7], -1
                                        ; implicit-def: $vgpr18
.LBB380_2248:
	s_mov_b64 s[20:21], 0
.LBB380_2249:
	s_and_b64 vcc, exec, s[20:21]
	s_cbranch_vccz .LBB380_2265
; %bb.2250:
	s_cmp_lt_i32 s24, 27
	s_cbranch_scc1 .LBB380_2253
; %bb.2251:
	s_cmp_gt_i32 s24, 27
	s_cbranch_scc0 .LBB380_2254
; %bb.2252:
	global_load_dword v18, v[20:21], off
	s_mov_b64 s[18:19], 0
	s_branch .LBB380_2255
.LBB380_2253:
	s_mov_b64 s[18:19], -1
                                        ; implicit-def: $vgpr18
	s_branch .LBB380_2258
.LBB380_2254:
	s_mov_b64 s[18:19], -1
                                        ; implicit-def: $vgpr18
.LBB380_2255:
	s_andn2_b64 vcc, exec, s[18:19]
	s_cbranch_vccnz .LBB380_2257
; %bb.2256:
	global_load_ushort v18, v[20:21], off
.LBB380_2257:
	s_mov_b64 s[18:19], 0
.LBB380_2258:
	s_andn2_b64 vcc, exec, s[18:19]
	s_cbranch_vccnz .LBB380_2264
; %bb.2259:
	global_load_ubyte v1, v[20:21], off
	s_movk_i32 s18, 0x7f
	s_mov_b64 s[20:21], 0
	s_waitcnt vmcnt(0)
	v_cmp_lt_i16_e32 vcc, s18, v1
	s_and_saveexec_b64 s[18:19], vcc
	s_xor_b64 s[18:19], exec, s[18:19]
	s_cbranch_execz .LBB380_2276
; %bb.2260:
	s_movk_i32 s20, 0x80
	v_cmp_ne_u16_e32 vcc, s20, v1
	s_and_b64 s[20:21], vcc, exec
	s_andn2_saveexec_b64 s[18:19], s[18:19]
	s_cbranch_execnz .LBB380_2277
.LBB380_2261:
	s_or_b64 exec, exec, s[18:19]
	v_mov_b32_e32 v18, 0
	s_and_saveexec_b64 s[18:19], s[20:21]
	s_cbranch_execz .LBB380_2263
.LBB380_2262:
	v_lshlrev_b32_e32 v3, 24, v1
	v_and_b32_e32 v1, 0xffff, v1
	v_and_b32_e32 v5, 7, v1
	v_ffbh_u32_e32 v11, v5
	v_min_u32_e32 v11, 32, v11
	v_subrev_u32_e32 v13, 28, v11
	v_bfe_u32 v8, v1, 3, 4
	v_lshlrev_b32_e32 v1, v13, v1
	v_sub_u32_e32 v11, 29, v11
	v_and_b32_e32 v1, 7, v1
	v_cmp_eq_u32_e32 vcc, 0, v8
	v_cndmask_b32_e32 v8, v8, v11, vcc
	v_cndmask_b32_e32 v1, v5, v1, vcc
	v_mov_b32_e32 v5, 0x3b800000
	v_lshlrev_b32_e32 v1, 20, v1
	v_and_b32_e32 v3, 0x80000000, v3
	v_lshl_add_u32 v5, v8, 23, v5
	v_or3_b32 v1, v3, v5, v1
	v_cvt_i32_f32_e32 v18, v1
.LBB380_2263:
	s_or_b64 exec, exec, s[18:19]
.LBB380_2264:
	s_mov_b64 s[18:19], -1
.LBB380_2265:
	s_mov_b64 s[20:21], 0
.LBB380_2266:
	s_and_b64 vcc, exec, s[20:21]
	s_cbranch_vccz .LBB380_2297
; %bb.2267:
	s_cmp_gt_i32 s24, 22
	s_cbranch_scc0 .LBB380_2275
; %bb.2268:
	s_cmp_lt_i32 s24, 24
	s_cbranch_scc1 .LBB380_2278
; %bb.2269:
	s_cmp_gt_i32 s24, 24
	s_cbranch_scc0 .LBB380_2279
; %bb.2270:
	global_load_ubyte v1, v[20:21], off
	s_movk_i32 s16, 0x7f
	s_mov_b64 s[18:19], 0
	s_waitcnt vmcnt(0)
	v_cmp_lt_i16_e32 vcc, s16, v1
	s_and_saveexec_b64 s[16:17], vcc
	s_xor_b64 s[16:17], exec, s[16:17]
	s_cbranch_execz .LBB380_2291
; %bb.2271:
	s_movk_i32 s18, 0x80
	v_cmp_ne_u16_e32 vcc, s18, v1
	s_and_b64 s[18:19], vcc, exec
	s_andn2_saveexec_b64 s[16:17], s[16:17]
	s_cbranch_execnz .LBB380_2292
.LBB380_2272:
	s_or_b64 exec, exec, s[16:17]
	v_mov_b32_e32 v18, 0
	s_and_saveexec_b64 s[16:17], s[18:19]
	s_cbranch_execz .LBB380_2274
.LBB380_2273:
	v_lshlrev_b32_e32 v3, 24, v1
	v_and_b32_e32 v1, 0xffff, v1
	v_and_b32_e32 v5, 3, v1
	v_ffbh_u32_e32 v11, v5
	v_min_u32_e32 v11, 32, v11
	v_subrev_u32_e32 v13, 29, v11
	v_bfe_u32 v8, v1, 2, 5
	v_lshlrev_b32_e32 v1, v13, v1
	v_sub_u32_e32 v11, 30, v11
	v_and_b32_e32 v1, 3, v1
	v_cmp_eq_u32_e32 vcc, 0, v8
	v_cndmask_b32_e32 v8, v8, v11, vcc
	v_cndmask_b32_e32 v1, v5, v1, vcc
	v_mov_b32_e32 v5, 0x37800000
	v_lshlrev_b32_e32 v1, 21, v1
	v_and_b32_e32 v3, 0x80000000, v3
	v_lshl_add_u32 v5, v8, 23, v5
	v_or3_b32 v1, v3, v5, v1
	v_cvt_i32_f32_e32 v18, v1
.LBB380_2274:
	s_or_b64 exec, exec, s[16:17]
	s_mov_b64 s[16:17], 0
	s_branch .LBB380_2280
.LBB380_2275:
	s_mov_b64 s[16:17], -1
                                        ; implicit-def: $vgpr18
	s_branch .LBB380_2286
.LBB380_2276:
	s_andn2_saveexec_b64 s[18:19], s[18:19]
	s_cbranch_execz .LBB380_2261
.LBB380_2277:
	v_cmp_ne_u16_e32 vcc, 0, v1
	s_andn2_b64 s[20:21], s[20:21], exec
	s_and_b64 s[26:27], vcc, exec
	s_or_b64 s[20:21], s[20:21], s[26:27]
	s_or_b64 exec, exec, s[18:19]
	v_mov_b32_e32 v18, 0
	s_and_saveexec_b64 s[18:19], s[20:21]
	s_cbranch_execnz .LBB380_2262
	s_branch .LBB380_2263
.LBB380_2278:
	s_mov_b64 s[16:17], -1
                                        ; implicit-def: $vgpr18
	s_branch .LBB380_2283
.LBB380_2279:
	s_mov_b64 s[16:17], -1
                                        ; implicit-def: $vgpr18
.LBB380_2280:
	s_and_b64 vcc, exec, s[16:17]
	s_cbranch_vccz .LBB380_2282
; %bb.2281:
	global_load_ubyte v1, v[20:21], off
	s_mov_b32 s16, 0x7f800000
	s_waitcnt vmcnt(0)
	v_lshlrev_b32_e32 v1, 24, v1
	v_and_b32_e32 v3, 0x7f000000, v1
	v_ffbh_u32_e32 v5, v3
	v_min_u32_e32 v5, 32, v5
	v_sub_u32_e64 v5, v5, 4 clamp
	v_lshlrev_b32_e32 v11, v5, v3
	v_lshlrev_b32_e32 v5, 23, v5
	v_lshrrev_b32_e32 v11, 4, v11
	v_add_u32_e32 v8, 0x1000000, v3
	v_sub_u32_e32 v5, v11, v5
	v_ashrrev_i32_e32 v8, 8, v8
	v_add_u32_e32 v5, 0x3c000000, v5
	v_and_or_b32 v5, v8, s16, v5
	v_cmp_ne_u32_e32 vcc, 0, v3
	v_cndmask_b32_e32 v3, 0, v5, vcc
	s_brev_b32 s16, 1
	v_and_or_b32 v1, v1, s16, v3
	v_cvt_i32_f32_e32 v18, v1
.LBB380_2282:
	s_mov_b64 s[16:17], 0
.LBB380_2283:
	s_andn2_b64 vcc, exec, s[16:17]
	s_cbranch_vccnz .LBB380_2285
; %bb.2284:
	global_load_ubyte v1, v[20:21], off
	s_movk_i32 s16, 0x7f00
	s_brev_b32 s17, 16
	s_waitcnt vmcnt(0)
	v_lshlrev_b16_e32 v3, 8, v1
	v_lshlrev_b32_e32 v1, 25, v1
	v_lshrrev_b32_e32 v5, 4, v1
	v_and_or_b32 v8, v3, s16, 0.5
	v_or_b32_e32 v5, 0x70000000, v5
	v_add_f32_e32 v8, -0.5, v8
	v_mul_f32_e32 v5, 0x7800000, v5
	v_cmp_gt_u32_e32 vcc, s17, v1
	v_bfe_i32 v3, v3, 0, 16
	v_cndmask_b32_e32 v1, v5, v8, vcc
	s_brev_b32 s16, 1
	v_and_or_b32 v1, v3, s16, v1
	v_cvt_i32_f32_e32 v18, v1
.LBB380_2285:
	s_mov_b64 s[16:17], 0
	s_mov_b64 s[18:19], -1
.LBB380_2286:
	s_andn2_b64 vcc, exec, s[16:17]
	s_mov_b64 s[16:17], 0
	s_cbranch_vccnz .LBB380_2297
; %bb.2287:
	s_cmp_gt_i32 s24, 14
	s_cbranch_scc0 .LBB380_2290
; %bb.2288:
	s_cmp_eq_u32 s24, 15
	s_cbranch_scc0 .LBB380_2293
; %bb.2289:
	global_load_ushort v1, v[20:21], off
	s_mov_b64 s[6:7], 0
	s_mov_b64 s[18:19], -1
	s_waitcnt vmcnt(0)
	v_lshlrev_b32_e32 v1, 16, v1
	v_cvt_i32_f32_e32 v18, v1
	s_branch .LBB380_2294
.LBB380_2290:
	s_mov_b64 s[20:21], -1
                                        ; implicit-def: $vgpr18
	s_branch .LBB380_2295
.LBB380_2291:
	s_andn2_saveexec_b64 s[16:17], s[16:17]
	s_cbranch_execz .LBB380_2272
.LBB380_2292:
	v_cmp_ne_u16_e32 vcc, 0, v1
	s_andn2_b64 s[18:19], s[18:19], exec
	s_and_b64 s[20:21], vcc, exec
	s_or_b64 s[18:19], s[18:19], s[20:21]
	s_or_b64 exec, exec, s[16:17]
	v_mov_b32_e32 v18, 0
	s_and_saveexec_b64 s[16:17], s[18:19]
	s_cbranch_execnz .LBB380_2273
	s_branch .LBB380_2274
.LBB380_2293:
	s_mov_b64 s[6:7], -1
                                        ; implicit-def: $vgpr18
.LBB380_2294:
	s_mov_b64 s[20:21], 0
.LBB380_2295:
	s_and_b64 vcc, exec, s[20:21]
	s_cbranch_vccz .LBB380_2297
; %bb.2296:
	s_cmp_lg_u32 s24, 11
	s_mov_b64 s[16:17], -1
	s_cselect_b64 s[6:7], -1, 0
.LBB380_2297:
	s_and_b64 vcc, exec, s[6:7]
	s_cbranch_vccnz .LBB380_2362
; %bb.2298:
	s_andn2_b64 vcc, exec, s[16:17]
	s_cbranch_vccnz .LBB380_2300
.LBB380_2299:
	global_load_ubyte v1, v[20:21], off
	s_mov_b64 s[18:19], -1
	s_waitcnt vmcnt(0)
	v_cmp_ne_u16_e32 vcc, 0, v1
	v_cndmask_b32_e64 v18, 0, 1, vcc
.LBB380_2300:
	s_mov_b64 s[6:7], 0
.LBB380_2301:
	s_and_b64 vcc, exec, s[6:7]
	s_cbranch_vccz .LBB380_2350
; %bb.2302:
	s_and_b32 s16, 0xffff, s23
	s_cmp_lt_i32 s16, 5
	s_cbranch_scc1 .LBB380_2307
; %bb.2303:
	s_cmp_lt_i32 s16, 8
	s_cbranch_scc1 .LBB380_2308
; %bb.2304:
	;; [unrolled: 3-line block ×3, first 2 shown]
	s_cmp_gt_i32 s16, 9
	s_cbranch_scc0 .LBB380_2310
; %bb.2306:
	global_load_dwordx2 v[18:19], v[20:21], off
	s_mov_b64 s[6:7], 0
	s_waitcnt vmcnt(0)
	v_cvt_i32_f64_e32 v18, v[18:19]
	s_branch .LBB380_2311
.LBB380_2307:
	s_mov_b64 s[6:7], -1
                                        ; implicit-def: $vgpr18
	s_branch .LBB380_2329
.LBB380_2308:
	s_mov_b64 s[6:7], -1
                                        ; implicit-def: $vgpr18
	s_branch .LBB380_2317
.LBB380_2309:
	s_mov_b64 s[6:7], -1
                                        ; implicit-def: $vgpr18
	s_branch .LBB380_2314
.LBB380_2310:
	s_mov_b64 s[6:7], -1
                                        ; implicit-def: $vgpr18
.LBB380_2311:
	s_andn2_b64 vcc, exec, s[6:7]
	s_cbranch_vccnz .LBB380_2313
; %bb.2312:
	global_load_dword v1, v[20:21], off
	s_waitcnt vmcnt(0)
	v_cvt_i32_f32_e32 v18, v1
.LBB380_2313:
	s_mov_b64 s[6:7], 0
.LBB380_2314:
	s_andn2_b64 vcc, exec, s[6:7]
	s_cbranch_vccnz .LBB380_2316
; %bb.2315:
	global_load_dword v1, v[20:21], off
	s_waitcnt vmcnt(0)
	v_cvt_i16_f16_e32 v18, v1
.LBB380_2316:
	s_mov_b64 s[6:7], 0
.LBB380_2317:
	s_andn2_b64 vcc, exec, s[6:7]
	s_cbranch_vccnz .LBB380_2328
; %bb.2318:
	s_cmp_lt_i32 s16, 6
	s_cbranch_scc1 .LBB380_2321
; %bb.2319:
	s_cmp_gt_i32 s16, 6
	s_cbranch_scc0 .LBB380_2322
; %bb.2320:
	global_load_dwordx2 v[18:19], v[20:21], off
	s_mov_b64 s[6:7], 0
	s_waitcnt vmcnt(0)
	v_cvt_i32_f64_e32 v18, v[18:19]
	s_branch .LBB380_2323
.LBB380_2321:
	s_mov_b64 s[6:7], -1
                                        ; implicit-def: $vgpr18
	s_branch .LBB380_2326
.LBB380_2322:
	s_mov_b64 s[6:7], -1
                                        ; implicit-def: $vgpr18
.LBB380_2323:
	s_andn2_b64 vcc, exec, s[6:7]
	s_cbranch_vccnz .LBB380_2325
; %bb.2324:
	global_load_dword v1, v[20:21], off
	s_waitcnt vmcnt(0)
	v_cvt_i32_f32_e32 v18, v1
.LBB380_2325:
	s_mov_b64 s[6:7], 0
.LBB380_2326:
	s_andn2_b64 vcc, exec, s[6:7]
	s_cbranch_vccnz .LBB380_2328
; %bb.2327:
	global_load_ushort v1, v[20:21], off
	s_waitcnt vmcnt(0)
	v_cvt_i16_f16_e32 v18, v1
.LBB380_2328:
	s_mov_b64 s[6:7], 0
.LBB380_2329:
	s_andn2_b64 vcc, exec, s[6:7]
	s_cbranch_vccnz .LBB380_2349
; %bb.2330:
	s_cmp_lt_i32 s16, 2
	s_cbranch_scc1 .LBB380_2334
; %bb.2331:
	s_cmp_lt_i32 s16, 3
	s_cbranch_scc1 .LBB380_2335
; %bb.2332:
	s_cmp_gt_i32 s16, 3
	s_cbranch_scc0 .LBB380_2336
; %bb.2333:
	global_load_dwordx2 v[18:19], v[20:21], off
	s_mov_b64 s[6:7], 0
	s_branch .LBB380_2337
.LBB380_2334:
	s_mov_b64 s[6:7], -1
                                        ; implicit-def: $vgpr18
	s_branch .LBB380_2343
.LBB380_2335:
	s_mov_b64 s[6:7], -1
                                        ; implicit-def: $vgpr18
	s_branch .LBB380_2340
.LBB380_2336:
	s_mov_b64 s[6:7], -1
                                        ; implicit-def: $vgpr18
.LBB380_2337:
	s_andn2_b64 vcc, exec, s[6:7]
	s_cbranch_vccnz .LBB380_2339
; %bb.2338:
	global_load_dword v18, v[20:21], off
.LBB380_2339:
	s_mov_b64 s[6:7], 0
.LBB380_2340:
	s_andn2_b64 vcc, exec, s[6:7]
	s_cbranch_vccnz .LBB380_2342
; %bb.2341:
	global_load_ushort v18, v[20:21], off
.LBB380_2342:
	s_mov_b64 s[6:7], 0
.LBB380_2343:
	s_andn2_b64 vcc, exec, s[6:7]
	s_cbranch_vccnz .LBB380_2349
; %bb.2344:
	s_cmp_gt_i32 s16, 0
	s_cbranch_scc0 .LBB380_2346
; %bb.2345:
	global_load_ubyte v18, v[20:21], off
	s_mov_b64 s[6:7], 0
	s_branch .LBB380_2347
.LBB380_2346:
	s_mov_b64 s[6:7], -1
                                        ; implicit-def: $vgpr18
.LBB380_2347:
	s_andn2_b64 vcc, exec, s[6:7]
	s_cbranch_vccnz .LBB380_2349
; %bb.2348:
	global_load_ubyte v18, v[20:21], off
.LBB380_2349:
	s_mov_b64 s[18:19], -1
.LBB380_2350:
	s_andn2_b64 vcc, exec, s[18:19]
	s_cbranch_vccnz .LBB380_3036
; %bb.2351:
	v_mov_b32_e32 v1, s11
	s_waitcnt vmcnt(0)
	v_add_co_u32_e32 v19, vcc, s10, v14
	s_cmp_lt_i32 s22, 11
	v_addc_co_u32_e32 v20, vcc, 0, v1, vcc
	s_cbranch_scc1 .LBB380_2358
; %bb.2352:
	s_and_b32 s20, 0xffff, s22
	s_cmp_gt_i32 s20, 25
	s_mov_b64 s[10:11], 0
	s_cbranch_scc0 .LBB380_2359
; %bb.2353:
	s_cmp_gt_i32 s20, 28
	s_cbranch_scc0 .LBB380_2360
; %bb.2354:
	s_cmp_gt_i32 s20, 43
	;; [unrolled: 3-line block ×3, first 2 shown]
	s_cbranch_scc0 .LBB380_2363
; %bb.2356:
	s_cmp_eq_u32 s20, 46
	s_mov_b64 s[18:19], 0
	s_cbranch_scc0 .LBB380_2364
; %bb.2357:
	global_load_dword v1, v[19:20], off
	s_mov_b64 s[6:7], 0
	s_mov_b64 s[16:17], -1
	s_waitcnt vmcnt(0)
	v_lshlrev_b32_e32 v1, 16, v1
	v_cvt_i32_f32_e32 v13, v1
	s_branch .LBB380_2365
.LBB380_2358:
	s_mov_b64 s[6:7], -1
	s_mov_b64 s[16:17], 0
                                        ; implicit-def: $vgpr13
	s_branch .LBB380_2427
.LBB380_2359:
	s_mov_b64 s[18:19], -1
	s_mov_b64 s[16:17], 0
	s_mov_b64 s[6:7], 0
                                        ; implicit-def: $vgpr13
	s_branch .LBB380_2392
.LBB380_2360:
	s_mov_b64 s[18:19], -1
	s_mov_b64 s[16:17], 0
	s_mov_b64 s[6:7], 0
                                        ; implicit-def: $vgpr13
	s_branch .LBB380_2375
.LBB380_2361:
	s_mov_b64 s[18:19], -1
	s_mov_b64 s[16:17], 0
	s_mov_b64 s[6:7], 0
                                        ; implicit-def: $vgpr13
	s_branch .LBB380_2370
.LBB380_2362:
	s_trap 2
	s_or_b64 s[4:5], s[4:5], exec
	s_cbranch_execz .LBB380_2299
	s_branch .LBB380_2300
.LBB380_2363:
	s_mov_b64 s[18:19], -1
	s_mov_b64 s[16:17], 0
	s_mov_b64 s[6:7], 0
                                        ; implicit-def: $vgpr13
	s_branch .LBB380_2365
.LBB380_2364:
	s_mov_b64 s[6:7], -1
                                        ; implicit-def: $vgpr13
	s_mov_b64 s[16:17], 0
.LBB380_2365:
	s_and_b64 vcc, exec, s[18:19]
	s_cbranch_vccz .LBB380_2369
; %bb.2366:
	s_cmp_eq_u32 s20, 44
	s_cbranch_scc0 .LBB380_2368
; %bb.2367:
	global_load_ubyte v1, v[19:20], off
	s_mov_b64 s[6:7], 0
	s_mov_b64 s[16:17], -1
	s_waitcnt vmcnt(0)
	v_lshlrev_b32_e32 v3, 23, v1
	v_cvt_i32_f32_e32 v3, v3
	v_cmp_ne_u32_e32 vcc, 0, v1
	v_cndmask_b32_e32 v13, 0, v3, vcc
	s_branch .LBB380_2369
.LBB380_2368:
	s_mov_b64 s[6:7], -1
                                        ; implicit-def: $vgpr13
.LBB380_2369:
	s_mov_b64 s[18:19], 0
.LBB380_2370:
	s_and_b64 vcc, exec, s[18:19]
	s_cbranch_vccz .LBB380_2374
; %bb.2371:
	s_cmp_eq_u32 s20, 29
	s_cbranch_scc0 .LBB380_2373
; %bb.2372:
	global_load_dwordx2 v[13:14], v[19:20], off
	s_mov_b64 s[6:7], 0
	s_mov_b64 s[16:17], -1
	s_branch .LBB380_2374
.LBB380_2373:
	s_mov_b64 s[6:7], -1
                                        ; implicit-def: $vgpr13
.LBB380_2374:
	s_mov_b64 s[18:19], 0
.LBB380_2375:
	s_and_b64 vcc, exec, s[18:19]
	s_cbranch_vccz .LBB380_2391
; %bb.2376:
	s_cmp_lt_i32 s20, 27
	s_cbranch_scc1 .LBB380_2379
; %bb.2377:
	s_cmp_gt_i32 s20, 27
	s_cbranch_scc0 .LBB380_2380
; %bb.2378:
	global_load_dword v13, v[19:20], off
	s_mov_b64 s[16:17], 0
	s_branch .LBB380_2381
.LBB380_2379:
	s_mov_b64 s[16:17], -1
                                        ; implicit-def: $vgpr13
	s_branch .LBB380_2384
.LBB380_2380:
	s_mov_b64 s[16:17], -1
                                        ; implicit-def: $vgpr13
.LBB380_2381:
	s_andn2_b64 vcc, exec, s[16:17]
	s_cbranch_vccnz .LBB380_2383
; %bb.2382:
	global_load_ushort v13, v[19:20], off
.LBB380_2383:
	s_mov_b64 s[16:17], 0
.LBB380_2384:
	s_andn2_b64 vcc, exec, s[16:17]
	s_cbranch_vccnz .LBB380_2390
; %bb.2385:
	global_load_ubyte v1, v[19:20], off
	s_movk_i32 s16, 0x7f
	s_mov_b64 s[18:19], 0
	s_waitcnt vmcnt(0)
	v_cmp_lt_i16_e32 vcc, s16, v1
	s_and_saveexec_b64 s[16:17], vcc
	s_xor_b64 s[16:17], exec, s[16:17]
	s_cbranch_execz .LBB380_2402
; %bb.2386:
	s_movk_i32 s18, 0x80
	v_cmp_ne_u16_e32 vcc, s18, v1
	s_and_b64 s[18:19], vcc, exec
	s_andn2_saveexec_b64 s[16:17], s[16:17]
	s_cbranch_execnz .LBB380_2403
.LBB380_2387:
	s_or_b64 exec, exec, s[16:17]
	v_mov_b32_e32 v13, 0
	s_and_saveexec_b64 s[16:17], s[18:19]
	s_cbranch_execz .LBB380_2389
.LBB380_2388:
	v_lshlrev_b32_e32 v3, 24, v1
	v_and_b32_e32 v1, 0xffff, v1
	v_and_b32_e32 v5, 7, v1
	v_ffbh_u32_e32 v11, v5
	v_min_u32_e32 v11, 32, v11
	v_subrev_u32_e32 v13, 28, v11
	v_bfe_u32 v8, v1, 3, 4
	v_lshlrev_b32_e32 v1, v13, v1
	v_sub_u32_e32 v11, 29, v11
	v_and_b32_e32 v1, 7, v1
	v_cmp_eq_u32_e32 vcc, 0, v8
	v_cndmask_b32_e32 v8, v8, v11, vcc
	v_cndmask_b32_e32 v1, v5, v1, vcc
	v_mov_b32_e32 v5, 0x3b800000
	v_lshlrev_b32_e32 v1, 20, v1
	v_and_b32_e32 v3, 0x80000000, v3
	v_lshl_add_u32 v5, v8, 23, v5
	v_or3_b32 v1, v3, v5, v1
	v_cvt_i32_f32_e32 v13, v1
.LBB380_2389:
	s_or_b64 exec, exec, s[16:17]
.LBB380_2390:
	s_mov_b64 s[16:17], -1
.LBB380_2391:
	s_mov_b64 s[18:19], 0
.LBB380_2392:
	s_and_b64 vcc, exec, s[18:19]
	s_cbranch_vccz .LBB380_2423
; %bb.2393:
	s_cmp_gt_i32 s20, 22
	s_cbranch_scc0 .LBB380_2401
; %bb.2394:
	s_cmp_lt_i32 s20, 24
	s_cbranch_scc1 .LBB380_2404
; %bb.2395:
	s_cmp_gt_i32 s20, 24
	s_cbranch_scc0 .LBB380_2405
; %bb.2396:
	global_load_ubyte v1, v[19:20], off
	s_movk_i32 s10, 0x7f
	s_mov_b64 s[16:17], 0
	s_waitcnt vmcnt(0)
	v_cmp_lt_i16_e32 vcc, s10, v1
	s_and_saveexec_b64 s[10:11], vcc
	s_xor_b64 s[10:11], exec, s[10:11]
	s_cbranch_execz .LBB380_2417
; %bb.2397:
	s_movk_i32 s16, 0x80
	v_cmp_ne_u16_e32 vcc, s16, v1
	s_and_b64 s[16:17], vcc, exec
	s_andn2_saveexec_b64 s[10:11], s[10:11]
	s_cbranch_execnz .LBB380_2418
.LBB380_2398:
	s_or_b64 exec, exec, s[10:11]
	v_mov_b32_e32 v13, 0
	s_and_saveexec_b64 s[10:11], s[16:17]
	s_cbranch_execz .LBB380_2400
.LBB380_2399:
	v_lshlrev_b32_e32 v3, 24, v1
	v_and_b32_e32 v1, 0xffff, v1
	v_and_b32_e32 v5, 3, v1
	v_ffbh_u32_e32 v11, v5
	v_min_u32_e32 v11, 32, v11
	v_subrev_u32_e32 v13, 29, v11
	v_bfe_u32 v8, v1, 2, 5
	v_lshlrev_b32_e32 v1, v13, v1
	v_sub_u32_e32 v11, 30, v11
	v_and_b32_e32 v1, 3, v1
	v_cmp_eq_u32_e32 vcc, 0, v8
	v_cndmask_b32_e32 v8, v8, v11, vcc
	v_cndmask_b32_e32 v1, v5, v1, vcc
	v_mov_b32_e32 v5, 0x37800000
	v_lshlrev_b32_e32 v1, 21, v1
	v_and_b32_e32 v3, 0x80000000, v3
	v_lshl_add_u32 v5, v8, 23, v5
	v_or3_b32 v1, v3, v5, v1
	v_cvt_i32_f32_e32 v13, v1
.LBB380_2400:
	s_or_b64 exec, exec, s[10:11]
	s_mov_b64 s[10:11], 0
	s_branch .LBB380_2406
.LBB380_2401:
	s_mov_b64 s[10:11], -1
                                        ; implicit-def: $vgpr13
	s_branch .LBB380_2412
.LBB380_2402:
	s_andn2_saveexec_b64 s[16:17], s[16:17]
	s_cbranch_execz .LBB380_2387
.LBB380_2403:
	v_cmp_ne_u16_e32 vcc, 0, v1
	s_andn2_b64 s[18:19], s[18:19], exec
	s_and_b64 s[24:25], vcc, exec
	s_or_b64 s[18:19], s[18:19], s[24:25]
	s_or_b64 exec, exec, s[16:17]
	v_mov_b32_e32 v13, 0
	s_and_saveexec_b64 s[16:17], s[18:19]
	s_cbranch_execnz .LBB380_2388
	s_branch .LBB380_2389
.LBB380_2404:
	s_mov_b64 s[10:11], -1
                                        ; implicit-def: $vgpr13
	s_branch .LBB380_2409
.LBB380_2405:
	s_mov_b64 s[10:11], -1
                                        ; implicit-def: $vgpr13
.LBB380_2406:
	s_and_b64 vcc, exec, s[10:11]
	s_cbranch_vccz .LBB380_2408
; %bb.2407:
	global_load_ubyte v1, v[19:20], off
	s_mov_b32 s10, 0x7f800000
	s_waitcnt vmcnt(0)
	v_lshlrev_b32_e32 v1, 24, v1
	v_and_b32_e32 v3, 0x7f000000, v1
	v_ffbh_u32_e32 v5, v3
	v_min_u32_e32 v5, 32, v5
	v_sub_u32_e64 v5, v5, 4 clamp
	v_lshlrev_b32_e32 v11, v5, v3
	v_lshlrev_b32_e32 v5, 23, v5
	v_lshrrev_b32_e32 v11, 4, v11
	v_add_u32_e32 v8, 0x1000000, v3
	v_sub_u32_e32 v5, v11, v5
	v_ashrrev_i32_e32 v8, 8, v8
	v_add_u32_e32 v5, 0x3c000000, v5
	v_and_or_b32 v5, v8, s10, v5
	v_cmp_ne_u32_e32 vcc, 0, v3
	v_cndmask_b32_e32 v3, 0, v5, vcc
	s_brev_b32 s10, 1
	v_and_or_b32 v1, v1, s10, v3
	v_cvt_i32_f32_e32 v13, v1
.LBB380_2408:
	s_mov_b64 s[10:11], 0
.LBB380_2409:
	s_andn2_b64 vcc, exec, s[10:11]
	s_cbranch_vccnz .LBB380_2411
; %bb.2410:
	global_load_ubyte v1, v[19:20], off
	s_movk_i32 s10, 0x7f00
	s_brev_b32 s11, 16
	s_waitcnt vmcnt(0)
	v_lshlrev_b16_e32 v3, 8, v1
	v_lshlrev_b32_e32 v1, 25, v1
	v_lshrrev_b32_e32 v5, 4, v1
	v_and_or_b32 v8, v3, s10, 0.5
	v_or_b32_e32 v5, 0x70000000, v5
	v_add_f32_e32 v8, -0.5, v8
	v_mul_f32_e32 v5, 0x7800000, v5
	v_cmp_gt_u32_e32 vcc, s11, v1
	v_bfe_i32 v3, v3, 0, 16
	v_cndmask_b32_e32 v1, v5, v8, vcc
	s_brev_b32 s10, 1
	v_and_or_b32 v1, v3, s10, v1
	v_cvt_i32_f32_e32 v13, v1
.LBB380_2411:
	s_mov_b64 s[10:11], 0
	s_mov_b64 s[16:17], -1
.LBB380_2412:
	s_andn2_b64 vcc, exec, s[10:11]
	s_mov_b64 s[10:11], 0
	s_cbranch_vccnz .LBB380_2423
; %bb.2413:
	s_cmp_gt_i32 s20, 14
	s_cbranch_scc0 .LBB380_2416
; %bb.2414:
	s_cmp_eq_u32 s20, 15
	s_cbranch_scc0 .LBB380_2419
; %bb.2415:
	global_load_ushort v1, v[19:20], off
	s_mov_b64 s[6:7], 0
	s_mov_b64 s[16:17], -1
	s_waitcnt vmcnt(0)
	v_lshlrev_b32_e32 v1, 16, v1
	v_cvt_i32_f32_e32 v13, v1
	s_branch .LBB380_2420
.LBB380_2416:
	s_mov_b64 s[18:19], -1
                                        ; implicit-def: $vgpr13
	s_branch .LBB380_2421
.LBB380_2417:
	s_andn2_saveexec_b64 s[10:11], s[10:11]
	s_cbranch_execz .LBB380_2398
.LBB380_2418:
	v_cmp_ne_u16_e32 vcc, 0, v1
	s_andn2_b64 s[16:17], s[16:17], exec
	s_and_b64 s[18:19], vcc, exec
	s_or_b64 s[16:17], s[16:17], s[18:19]
	s_or_b64 exec, exec, s[10:11]
	v_mov_b32_e32 v13, 0
	s_and_saveexec_b64 s[10:11], s[16:17]
	s_cbranch_execnz .LBB380_2399
	s_branch .LBB380_2400
.LBB380_2419:
	s_mov_b64 s[6:7], -1
                                        ; implicit-def: $vgpr13
.LBB380_2420:
	s_mov_b64 s[18:19], 0
.LBB380_2421:
	s_and_b64 vcc, exec, s[18:19]
	s_cbranch_vccz .LBB380_2423
; %bb.2422:
	s_cmp_lg_u32 s20, 11
	s_mov_b64 s[10:11], -1
	s_cselect_b64 s[6:7], -1, 0
.LBB380_2423:
	s_and_b64 vcc, exec, s[6:7]
	s_cbranch_vccnz .LBB380_2488
; %bb.2424:
	s_andn2_b64 vcc, exec, s[10:11]
	s_cbranch_vccnz .LBB380_2426
.LBB380_2425:
	global_load_ubyte v1, v[19:20], off
	s_mov_b64 s[16:17], -1
	s_waitcnt vmcnt(0)
	v_cmp_ne_u16_e32 vcc, 0, v1
	v_cndmask_b32_e64 v13, 0, 1, vcc
.LBB380_2426:
	s_mov_b64 s[6:7], 0
.LBB380_2427:
	s_and_b64 vcc, exec, s[6:7]
	s_cbranch_vccz .LBB380_2476
; %bb.2428:
	s_and_b32 s10, 0xffff, s22
	s_cmp_lt_i32 s10, 5
	s_cbranch_scc1 .LBB380_2433
; %bb.2429:
	s_cmp_lt_i32 s10, 8
	s_cbranch_scc1 .LBB380_2434
; %bb.2430:
	;; [unrolled: 3-line block ×3, first 2 shown]
	s_cmp_gt_i32 s10, 9
	s_cbranch_scc0 .LBB380_2436
; %bb.2432:
	global_load_dwordx2 v[13:14], v[19:20], off
	s_mov_b64 s[6:7], 0
	s_waitcnt vmcnt(0)
	v_cvt_i32_f64_e32 v13, v[13:14]
	s_branch .LBB380_2437
.LBB380_2433:
	s_mov_b64 s[6:7], -1
                                        ; implicit-def: $vgpr13
	s_branch .LBB380_2455
.LBB380_2434:
	s_mov_b64 s[6:7], -1
                                        ; implicit-def: $vgpr13
	s_branch .LBB380_2443
.LBB380_2435:
	s_mov_b64 s[6:7], -1
                                        ; implicit-def: $vgpr13
	s_branch .LBB380_2440
.LBB380_2436:
	s_mov_b64 s[6:7], -1
                                        ; implicit-def: $vgpr13
.LBB380_2437:
	s_andn2_b64 vcc, exec, s[6:7]
	s_cbranch_vccnz .LBB380_2439
; %bb.2438:
	global_load_dword v1, v[19:20], off
	s_waitcnt vmcnt(0)
	v_cvt_i32_f32_e32 v13, v1
.LBB380_2439:
	s_mov_b64 s[6:7], 0
.LBB380_2440:
	s_andn2_b64 vcc, exec, s[6:7]
	s_cbranch_vccnz .LBB380_2442
; %bb.2441:
	global_load_dword v1, v[19:20], off
	s_waitcnt vmcnt(0)
	v_cvt_i16_f16_e32 v13, v1
.LBB380_2442:
	s_mov_b64 s[6:7], 0
.LBB380_2443:
	s_andn2_b64 vcc, exec, s[6:7]
	s_cbranch_vccnz .LBB380_2454
; %bb.2444:
	s_cmp_lt_i32 s10, 6
	s_cbranch_scc1 .LBB380_2447
; %bb.2445:
	s_cmp_gt_i32 s10, 6
	s_cbranch_scc0 .LBB380_2448
; %bb.2446:
	global_load_dwordx2 v[13:14], v[19:20], off
	s_mov_b64 s[6:7], 0
	s_waitcnt vmcnt(0)
	v_cvt_i32_f64_e32 v13, v[13:14]
	s_branch .LBB380_2449
.LBB380_2447:
	s_mov_b64 s[6:7], -1
                                        ; implicit-def: $vgpr13
	s_branch .LBB380_2452
.LBB380_2448:
	s_mov_b64 s[6:7], -1
                                        ; implicit-def: $vgpr13
.LBB380_2449:
	s_andn2_b64 vcc, exec, s[6:7]
	s_cbranch_vccnz .LBB380_2451
; %bb.2450:
	global_load_dword v1, v[19:20], off
	s_waitcnt vmcnt(0)
	v_cvt_i32_f32_e32 v13, v1
.LBB380_2451:
	s_mov_b64 s[6:7], 0
.LBB380_2452:
	s_andn2_b64 vcc, exec, s[6:7]
	s_cbranch_vccnz .LBB380_2454
; %bb.2453:
	global_load_ushort v1, v[19:20], off
	s_waitcnt vmcnt(0)
	v_cvt_i16_f16_e32 v13, v1
.LBB380_2454:
	s_mov_b64 s[6:7], 0
.LBB380_2455:
	s_andn2_b64 vcc, exec, s[6:7]
	s_cbranch_vccnz .LBB380_2475
; %bb.2456:
	s_cmp_lt_i32 s10, 2
	s_cbranch_scc1 .LBB380_2460
; %bb.2457:
	s_cmp_lt_i32 s10, 3
	s_cbranch_scc1 .LBB380_2461
; %bb.2458:
	s_cmp_gt_i32 s10, 3
	s_cbranch_scc0 .LBB380_2462
; %bb.2459:
	global_load_dwordx2 v[13:14], v[19:20], off
	s_mov_b64 s[6:7], 0
	s_branch .LBB380_2463
.LBB380_2460:
	s_mov_b64 s[6:7], -1
                                        ; implicit-def: $vgpr13
	s_branch .LBB380_2469
.LBB380_2461:
	s_mov_b64 s[6:7], -1
                                        ; implicit-def: $vgpr13
	s_branch .LBB380_2466
.LBB380_2462:
	s_mov_b64 s[6:7], -1
                                        ; implicit-def: $vgpr13
.LBB380_2463:
	s_andn2_b64 vcc, exec, s[6:7]
	s_cbranch_vccnz .LBB380_2465
; %bb.2464:
	global_load_dword v13, v[19:20], off
.LBB380_2465:
	s_mov_b64 s[6:7], 0
.LBB380_2466:
	s_andn2_b64 vcc, exec, s[6:7]
	s_cbranch_vccnz .LBB380_2468
; %bb.2467:
	global_load_ushort v13, v[19:20], off
.LBB380_2468:
	s_mov_b64 s[6:7], 0
.LBB380_2469:
	s_andn2_b64 vcc, exec, s[6:7]
	s_cbranch_vccnz .LBB380_2475
; %bb.2470:
	s_cmp_gt_i32 s10, 0
	s_cbranch_scc0 .LBB380_2472
; %bb.2471:
	global_load_ubyte v13, v[19:20], off
	s_mov_b64 s[6:7], 0
	s_branch .LBB380_2473
.LBB380_2472:
	s_mov_b64 s[6:7], -1
                                        ; implicit-def: $vgpr13
.LBB380_2473:
	s_andn2_b64 vcc, exec, s[6:7]
	s_cbranch_vccnz .LBB380_2475
; %bb.2474:
	global_load_ubyte v13, v[19:20], off
.LBB380_2475:
	s_mov_b64 s[16:17], -1
.LBB380_2476:
	s_andn2_b64 vcc, exec, s[16:17]
	s_cbranch_vccnz .LBB380_3036
; %bb.2477:
	v_mov_b32_e32 v1, s1
	v_add_co_u32_e32 v19, vcc, s0, v9
	s_cmp_lt_i32 s23, 11
	v_addc_co_u32_e32 v20, vcc, 0, v1, vcc
	s_cbranch_scc1 .LBB380_2484
; %bb.2478:
	s_and_b32 s18, 0xffff, s23
	s_cmp_gt_i32 s18, 25
	s_mov_b64 s[6:7], 0
	s_cbranch_scc0 .LBB380_2485
; %bb.2479:
	s_cmp_gt_i32 s18, 28
	s_cbranch_scc0 .LBB380_2486
; %bb.2480:
	s_cmp_gt_i32 s18, 43
	;; [unrolled: 3-line block ×3, first 2 shown]
	s_cbranch_scc0 .LBB380_2489
; %bb.2482:
	s_cmp_eq_u32 s18, 46
	s_mov_b64 s[16:17], 0
	s_cbranch_scc0 .LBB380_2490
; %bb.2483:
	global_load_dword v1, v[19:20], off
	s_mov_b64 s[0:1], 0
	s_mov_b64 s[10:11], -1
	s_waitcnt vmcnt(0)
	v_lshlrev_b32_e32 v1, 16, v1
	v_cvt_i32_f32_e32 v8, v1
	s_branch .LBB380_2491
.LBB380_2484:
	s_mov_b64 s[0:1], -1
	s_mov_b64 s[10:11], 0
                                        ; implicit-def: $vgpr8
	s_branch .LBB380_2553
.LBB380_2485:
	s_mov_b64 s[16:17], -1
	s_mov_b64 s[10:11], 0
	s_mov_b64 s[0:1], 0
                                        ; implicit-def: $vgpr8
	s_branch .LBB380_2518
.LBB380_2486:
	s_mov_b64 s[16:17], -1
	s_mov_b64 s[10:11], 0
	s_mov_b64 s[0:1], 0
                                        ; implicit-def: $vgpr8
	s_branch .LBB380_2501
.LBB380_2487:
	s_mov_b64 s[16:17], -1
	s_mov_b64 s[10:11], 0
	s_mov_b64 s[0:1], 0
                                        ; implicit-def: $vgpr8
	s_branch .LBB380_2496
.LBB380_2488:
	s_trap 2
	s_or_b64 s[4:5], s[4:5], exec
	s_cbranch_execz .LBB380_2425
	s_branch .LBB380_2426
.LBB380_2489:
	s_mov_b64 s[16:17], -1
	s_mov_b64 s[10:11], 0
	s_mov_b64 s[0:1], 0
                                        ; implicit-def: $vgpr8
	s_branch .LBB380_2491
.LBB380_2490:
	s_mov_b64 s[0:1], -1
                                        ; implicit-def: $vgpr8
	s_mov_b64 s[10:11], 0
.LBB380_2491:
	s_and_b64 vcc, exec, s[16:17]
	s_cbranch_vccz .LBB380_2495
; %bb.2492:
	s_cmp_eq_u32 s18, 44
	s_cbranch_scc0 .LBB380_2494
; %bb.2493:
	global_load_ubyte v1, v[19:20], off
	s_mov_b64 s[0:1], 0
	s_mov_b64 s[10:11], -1
	s_waitcnt vmcnt(0)
	v_lshlrev_b32_e32 v3, 23, v1
	v_cvt_i32_f32_e32 v3, v3
	v_cmp_ne_u32_e32 vcc, 0, v1
	v_cndmask_b32_e32 v8, 0, v3, vcc
	s_branch .LBB380_2495
.LBB380_2494:
	s_mov_b64 s[0:1], -1
                                        ; implicit-def: $vgpr8
.LBB380_2495:
	s_mov_b64 s[16:17], 0
.LBB380_2496:
	s_and_b64 vcc, exec, s[16:17]
	s_cbranch_vccz .LBB380_2500
; %bb.2497:
	s_cmp_eq_u32 s18, 29
	s_cbranch_scc0 .LBB380_2499
; %bb.2498:
	global_load_dwordx2 v[8:9], v[19:20], off
	s_mov_b64 s[0:1], 0
	s_mov_b64 s[10:11], -1
	s_branch .LBB380_2500
.LBB380_2499:
	s_mov_b64 s[0:1], -1
                                        ; implicit-def: $vgpr8
.LBB380_2500:
	s_mov_b64 s[16:17], 0
.LBB380_2501:
	s_and_b64 vcc, exec, s[16:17]
	s_cbranch_vccz .LBB380_2517
; %bb.2502:
	s_cmp_lt_i32 s18, 27
	s_cbranch_scc1 .LBB380_2505
; %bb.2503:
	s_cmp_gt_i32 s18, 27
	s_cbranch_scc0 .LBB380_2506
; %bb.2504:
	global_load_dword v8, v[19:20], off
	s_mov_b64 s[10:11], 0
	s_branch .LBB380_2507
.LBB380_2505:
	s_mov_b64 s[10:11], -1
                                        ; implicit-def: $vgpr8
	s_branch .LBB380_2510
.LBB380_2506:
	s_mov_b64 s[10:11], -1
                                        ; implicit-def: $vgpr8
.LBB380_2507:
	s_andn2_b64 vcc, exec, s[10:11]
	s_cbranch_vccnz .LBB380_2509
; %bb.2508:
	global_load_ushort v8, v[19:20], off
.LBB380_2509:
	s_mov_b64 s[10:11], 0
.LBB380_2510:
	s_andn2_b64 vcc, exec, s[10:11]
	s_cbranch_vccnz .LBB380_2516
; %bb.2511:
	global_load_ubyte v1, v[19:20], off
	s_movk_i32 s10, 0x7f
	s_mov_b64 s[16:17], 0
	s_waitcnt vmcnt(0)
	v_cmp_lt_i16_e32 vcc, s10, v1
	s_and_saveexec_b64 s[10:11], vcc
	s_xor_b64 s[10:11], exec, s[10:11]
	s_cbranch_execz .LBB380_2528
; %bb.2512:
	s_movk_i32 s16, 0x80
	v_cmp_ne_u16_e32 vcc, s16, v1
	s_and_b64 s[16:17], vcc, exec
	s_andn2_saveexec_b64 s[10:11], s[10:11]
	s_cbranch_execnz .LBB380_2529
.LBB380_2513:
	s_or_b64 exec, exec, s[10:11]
	v_mov_b32_e32 v8, 0
	s_and_saveexec_b64 s[10:11], s[16:17]
	s_cbranch_execz .LBB380_2515
.LBB380_2514:
	v_lshlrev_b32_e32 v3, 24, v1
	v_and_b32_e32 v1, 0xffff, v1
	v_and_b32_e32 v5, 7, v1
	v_ffbh_u32_e32 v9, v5
	v_min_u32_e32 v9, 32, v9
	v_subrev_u32_e32 v11, 28, v9
	v_bfe_u32 v8, v1, 3, 4
	v_lshlrev_b32_e32 v1, v11, v1
	v_sub_u32_e32 v9, 29, v9
	v_and_b32_e32 v1, 7, v1
	v_cmp_eq_u32_e32 vcc, 0, v8
	v_cndmask_b32_e32 v8, v8, v9, vcc
	v_cndmask_b32_e32 v1, v5, v1, vcc
	v_mov_b32_e32 v5, 0x3b800000
	v_lshlrev_b32_e32 v1, 20, v1
	v_and_b32_e32 v3, 0x80000000, v3
	v_lshl_add_u32 v5, v8, 23, v5
	v_or3_b32 v1, v3, v5, v1
	v_cvt_i32_f32_e32 v8, v1
.LBB380_2515:
	s_or_b64 exec, exec, s[10:11]
.LBB380_2516:
	s_mov_b64 s[10:11], -1
.LBB380_2517:
	s_mov_b64 s[16:17], 0
.LBB380_2518:
	s_and_b64 vcc, exec, s[16:17]
	s_cbranch_vccz .LBB380_2549
; %bb.2519:
	s_cmp_gt_i32 s18, 22
	s_cbranch_scc0 .LBB380_2527
; %bb.2520:
	s_cmp_lt_i32 s18, 24
	s_cbranch_scc1 .LBB380_2530
; %bb.2521:
	s_cmp_gt_i32 s18, 24
	s_cbranch_scc0 .LBB380_2531
; %bb.2522:
	global_load_ubyte v1, v[19:20], off
	s_movk_i32 s6, 0x7f
	s_mov_b64 s[10:11], 0
	s_waitcnt vmcnt(0)
	v_cmp_lt_i16_e32 vcc, s6, v1
	s_and_saveexec_b64 s[6:7], vcc
	s_xor_b64 s[6:7], exec, s[6:7]
	s_cbranch_execz .LBB380_2543
; %bb.2523:
	s_movk_i32 s10, 0x80
	v_cmp_ne_u16_e32 vcc, s10, v1
	s_and_b64 s[10:11], vcc, exec
	s_andn2_saveexec_b64 s[6:7], s[6:7]
	s_cbranch_execnz .LBB380_2544
.LBB380_2524:
	s_or_b64 exec, exec, s[6:7]
	v_mov_b32_e32 v8, 0
	s_and_saveexec_b64 s[6:7], s[10:11]
	s_cbranch_execz .LBB380_2526
.LBB380_2525:
	v_lshlrev_b32_e32 v3, 24, v1
	v_and_b32_e32 v1, 0xffff, v1
	v_and_b32_e32 v5, 3, v1
	v_ffbh_u32_e32 v9, v5
	v_min_u32_e32 v9, 32, v9
	v_subrev_u32_e32 v11, 29, v9
	v_bfe_u32 v8, v1, 2, 5
	v_lshlrev_b32_e32 v1, v11, v1
	v_sub_u32_e32 v9, 30, v9
	v_and_b32_e32 v1, 3, v1
	v_cmp_eq_u32_e32 vcc, 0, v8
	v_cndmask_b32_e32 v8, v8, v9, vcc
	v_cndmask_b32_e32 v1, v5, v1, vcc
	v_mov_b32_e32 v5, 0x37800000
	v_lshlrev_b32_e32 v1, 21, v1
	v_and_b32_e32 v3, 0x80000000, v3
	v_lshl_add_u32 v5, v8, 23, v5
	v_or3_b32 v1, v3, v5, v1
	v_cvt_i32_f32_e32 v8, v1
.LBB380_2526:
	s_or_b64 exec, exec, s[6:7]
	s_mov_b64 s[6:7], 0
	s_branch .LBB380_2532
.LBB380_2527:
	s_mov_b64 s[6:7], -1
                                        ; implicit-def: $vgpr8
	s_branch .LBB380_2538
.LBB380_2528:
	s_andn2_saveexec_b64 s[10:11], s[10:11]
	s_cbranch_execz .LBB380_2513
.LBB380_2529:
	v_cmp_ne_u16_e32 vcc, 0, v1
	s_andn2_b64 s[16:17], s[16:17], exec
	s_and_b64 s[20:21], vcc, exec
	s_or_b64 s[16:17], s[16:17], s[20:21]
	s_or_b64 exec, exec, s[10:11]
	v_mov_b32_e32 v8, 0
	s_and_saveexec_b64 s[10:11], s[16:17]
	s_cbranch_execnz .LBB380_2514
	s_branch .LBB380_2515
.LBB380_2530:
	s_mov_b64 s[6:7], -1
                                        ; implicit-def: $vgpr8
	s_branch .LBB380_2535
.LBB380_2531:
	s_mov_b64 s[6:7], -1
                                        ; implicit-def: $vgpr8
.LBB380_2532:
	s_and_b64 vcc, exec, s[6:7]
	s_cbranch_vccz .LBB380_2534
; %bb.2533:
	global_load_ubyte v1, v[19:20], off
	s_mov_b32 s6, 0x7f800000
	s_waitcnt vmcnt(0)
	v_lshlrev_b32_e32 v1, 24, v1
	v_and_b32_e32 v3, 0x7f000000, v1
	v_ffbh_u32_e32 v5, v3
	v_min_u32_e32 v5, 32, v5
	v_sub_u32_e64 v5, v5, 4 clamp
	v_lshlrev_b32_e32 v9, v5, v3
	v_lshlrev_b32_e32 v5, 23, v5
	v_lshrrev_b32_e32 v9, 4, v9
	v_add_u32_e32 v8, 0x1000000, v3
	v_sub_u32_e32 v5, v9, v5
	v_ashrrev_i32_e32 v8, 8, v8
	v_add_u32_e32 v5, 0x3c000000, v5
	v_and_or_b32 v5, v8, s6, v5
	v_cmp_ne_u32_e32 vcc, 0, v3
	v_cndmask_b32_e32 v3, 0, v5, vcc
	s_brev_b32 s6, 1
	v_and_or_b32 v1, v1, s6, v3
	v_cvt_i32_f32_e32 v8, v1
.LBB380_2534:
	s_mov_b64 s[6:7], 0
.LBB380_2535:
	s_andn2_b64 vcc, exec, s[6:7]
	s_cbranch_vccnz .LBB380_2537
; %bb.2536:
	global_load_ubyte v1, v[19:20], off
	s_movk_i32 s6, 0x7f00
	s_brev_b32 s7, 16
	s_waitcnt vmcnt(0)
	v_lshlrev_b16_e32 v3, 8, v1
	v_lshlrev_b32_e32 v1, 25, v1
	v_lshrrev_b32_e32 v5, 4, v1
	v_and_or_b32 v8, v3, s6, 0.5
	v_or_b32_e32 v5, 0x70000000, v5
	v_add_f32_e32 v8, -0.5, v8
	v_mul_f32_e32 v5, 0x7800000, v5
	v_cmp_gt_u32_e32 vcc, s7, v1
	v_bfe_i32 v3, v3, 0, 16
	v_cndmask_b32_e32 v1, v5, v8, vcc
	s_brev_b32 s6, 1
	v_and_or_b32 v1, v3, s6, v1
	v_cvt_i32_f32_e32 v8, v1
.LBB380_2537:
	s_mov_b64 s[6:7], 0
	s_mov_b64 s[10:11], -1
.LBB380_2538:
	s_andn2_b64 vcc, exec, s[6:7]
	s_mov_b64 s[6:7], 0
	s_cbranch_vccnz .LBB380_2549
; %bb.2539:
	s_cmp_gt_i32 s18, 14
	s_cbranch_scc0 .LBB380_2542
; %bb.2540:
	s_cmp_eq_u32 s18, 15
	s_cbranch_scc0 .LBB380_2545
; %bb.2541:
	global_load_ushort v1, v[19:20], off
	s_mov_b64 s[0:1], 0
	s_mov_b64 s[10:11], -1
	s_waitcnt vmcnt(0)
	v_lshlrev_b32_e32 v1, 16, v1
	v_cvt_i32_f32_e32 v8, v1
	s_branch .LBB380_2546
.LBB380_2542:
	s_mov_b64 s[16:17], -1
                                        ; implicit-def: $vgpr8
	s_branch .LBB380_2547
.LBB380_2543:
	s_andn2_saveexec_b64 s[6:7], s[6:7]
	s_cbranch_execz .LBB380_2524
.LBB380_2544:
	v_cmp_ne_u16_e32 vcc, 0, v1
	s_andn2_b64 s[10:11], s[10:11], exec
	s_and_b64 s[16:17], vcc, exec
	s_or_b64 s[10:11], s[10:11], s[16:17]
	s_or_b64 exec, exec, s[6:7]
	v_mov_b32_e32 v8, 0
	s_and_saveexec_b64 s[6:7], s[10:11]
	s_cbranch_execnz .LBB380_2525
	s_branch .LBB380_2526
.LBB380_2545:
	s_mov_b64 s[0:1], -1
                                        ; implicit-def: $vgpr8
.LBB380_2546:
	s_mov_b64 s[16:17], 0
.LBB380_2547:
	s_and_b64 vcc, exec, s[16:17]
	s_cbranch_vccz .LBB380_2549
; %bb.2548:
	s_cmp_lg_u32 s18, 11
	s_mov_b64 s[6:7], -1
	s_cselect_b64 s[0:1], -1, 0
.LBB380_2549:
	s_and_b64 vcc, exec, s[0:1]
	s_cbranch_vccnz .LBB380_3082
; %bb.2550:
	s_andn2_b64 vcc, exec, s[6:7]
	s_cbranch_vccnz .LBB380_2552
.LBB380_2551:
	global_load_ubyte v1, v[19:20], off
	s_mov_b64 s[10:11], -1
	s_waitcnt vmcnt(0)
	v_cmp_ne_u16_e32 vcc, 0, v1
	v_cndmask_b32_e64 v8, 0, 1, vcc
.LBB380_2552:
	s_mov_b64 s[0:1], 0
.LBB380_2553:
	s_and_b64 vcc, exec, s[0:1]
	s_cbranch_vccz .LBB380_2602
; %bb.2554:
	s_and_b32 s6, 0xffff, s23
	s_cmp_lt_i32 s6, 5
	s_cbranch_scc1 .LBB380_2559
; %bb.2555:
	s_cmp_lt_i32 s6, 8
	s_cbranch_scc1 .LBB380_2560
; %bb.2556:
	;; [unrolled: 3-line block ×3, first 2 shown]
	s_cmp_gt_i32 s6, 9
	s_cbranch_scc0 .LBB380_2562
; %bb.2558:
	global_load_dwordx2 v[8:9], v[19:20], off
	s_mov_b64 s[0:1], 0
	s_waitcnt vmcnt(0)
	v_cvt_i32_f64_e32 v8, v[8:9]
	s_branch .LBB380_2563
.LBB380_2559:
	s_mov_b64 s[0:1], -1
                                        ; implicit-def: $vgpr8
	s_branch .LBB380_2581
.LBB380_2560:
	s_mov_b64 s[0:1], -1
                                        ; implicit-def: $vgpr8
	s_branch .LBB380_2569
.LBB380_2561:
	s_mov_b64 s[0:1], -1
                                        ; implicit-def: $vgpr8
	s_branch .LBB380_2566
.LBB380_2562:
	s_mov_b64 s[0:1], -1
                                        ; implicit-def: $vgpr8
.LBB380_2563:
	s_andn2_b64 vcc, exec, s[0:1]
	s_cbranch_vccnz .LBB380_2565
; %bb.2564:
	global_load_dword v1, v[19:20], off
	s_waitcnt vmcnt(0)
	v_cvt_i32_f32_e32 v8, v1
.LBB380_2565:
	s_mov_b64 s[0:1], 0
.LBB380_2566:
	s_andn2_b64 vcc, exec, s[0:1]
	s_cbranch_vccnz .LBB380_2568
; %bb.2567:
	global_load_dword v1, v[19:20], off
	s_waitcnt vmcnt(0)
	v_cvt_i16_f16_e32 v8, v1
.LBB380_2568:
	s_mov_b64 s[0:1], 0
.LBB380_2569:
	s_andn2_b64 vcc, exec, s[0:1]
	s_cbranch_vccnz .LBB380_2580
; %bb.2570:
	s_cmp_lt_i32 s6, 6
	s_cbranch_scc1 .LBB380_2573
; %bb.2571:
	s_cmp_gt_i32 s6, 6
	s_cbranch_scc0 .LBB380_2574
; %bb.2572:
	global_load_dwordx2 v[8:9], v[19:20], off
	s_mov_b64 s[0:1], 0
	s_waitcnt vmcnt(0)
	v_cvt_i32_f64_e32 v8, v[8:9]
	s_branch .LBB380_2575
.LBB380_2573:
	s_mov_b64 s[0:1], -1
                                        ; implicit-def: $vgpr8
	s_branch .LBB380_2578
.LBB380_2574:
	s_mov_b64 s[0:1], -1
                                        ; implicit-def: $vgpr8
.LBB380_2575:
	s_andn2_b64 vcc, exec, s[0:1]
	s_cbranch_vccnz .LBB380_2577
; %bb.2576:
	global_load_dword v1, v[19:20], off
	s_waitcnt vmcnt(0)
	v_cvt_i32_f32_e32 v8, v1
.LBB380_2577:
	s_mov_b64 s[0:1], 0
.LBB380_2578:
	s_andn2_b64 vcc, exec, s[0:1]
	s_cbranch_vccnz .LBB380_2580
; %bb.2579:
	global_load_ushort v1, v[19:20], off
	s_waitcnt vmcnt(0)
	v_cvt_i16_f16_e32 v8, v1
.LBB380_2580:
	s_mov_b64 s[0:1], 0
.LBB380_2581:
	s_andn2_b64 vcc, exec, s[0:1]
	s_cbranch_vccnz .LBB380_2601
; %bb.2582:
	s_cmp_lt_i32 s6, 2
	s_cbranch_scc1 .LBB380_2586
; %bb.2583:
	s_cmp_lt_i32 s6, 3
	s_cbranch_scc1 .LBB380_2587
; %bb.2584:
	s_cmp_gt_i32 s6, 3
	s_cbranch_scc0 .LBB380_2588
; %bb.2585:
	global_load_dwordx2 v[8:9], v[19:20], off
	s_mov_b64 s[0:1], 0
	s_branch .LBB380_2589
.LBB380_2586:
	s_mov_b64 s[0:1], -1
                                        ; implicit-def: $vgpr8
	s_branch .LBB380_2595
.LBB380_2587:
	s_mov_b64 s[0:1], -1
                                        ; implicit-def: $vgpr8
	s_branch .LBB380_2592
.LBB380_2588:
	s_mov_b64 s[0:1], -1
                                        ; implicit-def: $vgpr8
.LBB380_2589:
	s_andn2_b64 vcc, exec, s[0:1]
	s_cbranch_vccnz .LBB380_2591
; %bb.2590:
	global_load_dword v8, v[19:20], off
.LBB380_2591:
	s_mov_b64 s[0:1], 0
.LBB380_2592:
	s_andn2_b64 vcc, exec, s[0:1]
	s_cbranch_vccnz .LBB380_2594
; %bb.2593:
	global_load_ushort v8, v[19:20], off
.LBB380_2594:
	s_mov_b64 s[0:1], 0
.LBB380_2595:
	s_andn2_b64 vcc, exec, s[0:1]
	s_cbranch_vccnz .LBB380_2601
; %bb.2596:
	s_cmp_gt_i32 s6, 0
	s_cbranch_scc0 .LBB380_2598
; %bb.2597:
	global_load_ubyte v8, v[19:20], off
	s_mov_b64 s[0:1], 0
	s_branch .LBB380_2599
.LBB380_2598:
	s_mov_b64 s[0:1], -1
                                        ; implicit-def: $vgpr8
.LBB380_2599:
	s_andn2_b64 vcc, exec, s[0:1]
	s_cbranch_vccnz .LBB380_2601
; %bb.2600:
	global_load_ubyte v8, v[19:20], off
.LBB380_2601:
	s_mov_b64 s[10:11], -1
.LBB380_2602:
	s_andn2_b64 vcc, exec, s[10:11]
	s_cbranch_vccnz .LBB380_3036
; %bb.2603:
	s_load_dwordx2 s[0:1], s[2:3], 0x1a0
	v_cmp_ne_u16_sdwa s[6:7], v7, v12 src0_sel:BYTE_0 src1_sel:BYTE_0
	v_mov_b32_e32 v1, s9
	v_add_co_u32_e32 v5, vcc, s8, v6
	s_waitcnt lgkmcnt(0)
	s_cmp_eq_u32 s0, 0
	s_cselect_b64 s[2:3], -1, 0
	s_and_b32 s22, s1, 0xff
	s_xor_b64 s[6:7], s[2:3], s[6:7]
	s_cmp_lt_i32 s22, 11
	v_addc_co_u32_e32 v6, vcc, 0, v1, vcc
	s_cbranch_scc1 .LBB380_2681
; %bb.2604:
	s_and_b32 s23, 0xffff, s22
	s_mov_b64 s[18:19], -1
	s_mov_b64 s[10:11], 0
	s_cmp_gt_i32 s23, 25
	s_mov_b64 s[16:17], 0
	s_mov_b64 s[0:1], 0
	s_cbranch_scc0 .LBB380_2637
; %bb.2605:
	s_cmp_gt_i32 s23, 28
	s_cbranch_scc0 .LBB380_2620
; %bb.2606:
	s_cmp_gt_i32 s23, 43
	;; [unrolled: 3-line block ×3, first 2 shown]
	s_cbranch_scc0 .LBB380_2610
; %bb.2608:
	s_mov_b64 s[0:1], -1
	s_mov_b64 s[18:19], 0
	s_cmp_eq_u32 s23, 46
	s_cbranch_scc0 .LBB380_2610
; %bb.2609:
	v_cndmask_b32_e64 v1, 0, 1.0, s[6:7]
	v_bfe_u32 v3, v1, 16, 1
	s_movk_i32 s0, 0x7fff
	v_add3_u32 v1, v1, v3, s0
	v_lshrrev_b32_e32 v1, 16, v1
	global_store_dword v[5:6], v1, off
	s_mov_b64 s[0:1], 0
	s_mov_b64 s[16:17], -1
.LBB380_2610:
	s_and_b64 vcc, exec, s[18:19]
	s_cbranch_vccz .LBB380_2615
; %bb.2611:
	s_cmp_eq_u32 s23, 44
	s_mov_b64 s[0:1], -1
	s_cbranch_scc0 .LBB380_2615
; %bb.2612:
	v_cndmask_b32_e64 v3, 0, 1.0, s[6:7]
	v_lshrrev_b32_e32 v1, 23, v3
	s_movk_i32 s0, 0xff
	v_cmp_ne_u32_e32 vcc, s0, v1
	v_mov_b32_e32 v7, 0xff
	s_and_saveexec_b64 s[16:17], vcc
; %bb.2613:
	s_mov_b32 s0, 0x3fffff
	v_and_b32_e32 v7, 0x400000, v3
	v_and_or_b32 v3, v3, s0, v1
	v_cmp_ne_u32_e32 vcc, 0, v7
	v_cmp_ne_u32_e64 s[0:1], 0, v3
	s_and_b64 s[0:1], vcc, s[0:1]
	v_cndmask_b32_e64 v3, 0, 1, s[0:1]
	v_add_u32_e32 v7, v1, v3
; %bb.2614:
	s_or_b64 exec, exec, s[16:17]
	s_mov_b64 s[0:1], 0
	s_mov_b64 s[16:17], -1
	global_store_byte v[5:6], v7, off
.LBB380_2615:
	s_mov_b64 s[18:19], 0
.LBB380_2616:
	s_and_b64 vcc, exec, s[18:19]
	s_cbranch_vccz .LBB380_2619
; %bb.2617:
	s_cmp_eq_u32 s23, 29
	s_mov_b64 s[0:1], -1
	s_cbranch_scc0 .LBB380_2619
; %bb.2618:
	s_mov_b32 s0, 0
	v_cndmask_b32_e64 v11, 0, 1, s[6:7]
	v_mov_b32_e32 v12, s0
	global_store_dwordx2 v[5:6], v[11:12], off
	s_mov_b64 s[0:1], 0
	s_mov_b64 s[16:17], -1
.LBB380_2619:
	s_mov_b64 s[18:19], 0
.LBB380_2620:
	s_and_b64 vcc, exec, s[18:19]
	s_cbranch_vccz .LBB380_2636
; %bb.2621:
	s_cmp_lt_i32 s23, 27
	s_mov_b64 s[16:17], -1
	s_cbranch_scc1 .LBB380_2627
; %bb.2622:
	s_cmp_gt_i32 s23, 27
	s_cbranch_scc0 .LBB380_2624
; %bb.2623:
	v_cndmask_b32_e64 v1, 0, 1, s[6:7]
	s_mov_b64 s[16:17], 0
	global_store_dword v[5:6], v1, off
.LBB380_2624:
	s_andn2_b64 vcc, exec, s[16:17]
	s_cbranch_vccnz .LBB380_2626
; %bb.2625:
	v_cndmask_b32_e64 v1, 0, 1, s[6:7]
	global_store_short v[5:6], v1, off
.LBB380_2626:
	s_mov_b64 s[16:17], 0
.LBB380_2627:
	s_andn2_b64 vcc, exec, s[16:17]
	s_cbranch_vccnz .LBB380_2635
; %bb.2628:
	v_cndmask_b32_e64 v3, 0, 1.0, s[6:7]
	s_mov_b32 s16, 0x43800000
	v_cmp_gt_u32_e32 vcc, s16, v3
	v_mov_b32_e32 v7, 0x80
	s_and_saveexec_b64 s[16:17], vcc
	s_cbranch_execz .LBB380_2634
; %bb.2629:
	s_mov_b32 s18, 0x3bffffff
	v_cmp_lt_u32_e32 vcc, s18, v3
	s_mov_b64 s[18:19], 0
                                        ; implicit-def: $vgpr1
	s_and_saveexec_b64 s[20:21], vcc
	s_xor_b64 s[20:21], exec, s[20:21]
	s_cbranch_execz .LBB380_3083
; %bb.2630:
	v_bfe_u32 v1, v3, 20, 1
	s_mov_b32 s24, 0x487ffff
	v_add3_u32 v1, v3, v1, s24
	s_mov_b64 s[18:19], exec
	v_lshrrev_b32_e32 v1, 20, v1
                                        ; implicit-def: $vgpr3
	s_andn2_saveexec_b64 s[20:21], s[20:21]
	s_cbranch_execnz .LBB380_3084
.LBB380_2631:
	s_or_b64 exec, exec, s[20:21]
	v_mov_b32_e32 v7, 0
	s_and_saveexec_b64 s[20:21], s[18:19]
.LBB380_2632:
	v_mov_b32_e32 v7, v1
.LBB380_2633:
	s_or_b64 exec, exec, s[20:21]
.LBB380_2634:
	s_or_b64 exec, exec, s[16:17]
	global_store_byte v[5:6], v7, off
.LBB380_2635:
	s_mov_b64 s[16:17], -1
.LBB380_2636:
	s_mov_b64 s[18:19], 0
.LBB380_2637:
	s_and_b64 vcc, exec, s[18:19]
	s_cbranch_vccz .LBB380_2677
; %bb.2638:
	s_cmp_gt_i32 s23, 22
	s_mov_b64 s[10:11], -1
	s_cbranch_scc0 .LBB380_2670
; %bb.2639:
	s_cmp_lt_i32 s23, 24
	s_cbranch_scc1 .LBB380_2659
; %bb.2640:
	s_cmp_gt_i32 s23, 24
	s_cbranch_scc0 .LBB380_2648
; %bb.2641:
	v_cndmask_b32_e64 v3, 0, 1.0, s[6:7]
	s_mov_b32 s10, 0x47800000
	v_cmp_gt_u32_e32 vcc, s10, v3
	v_mov_b32_e32 v7, 0x80
	s_and_saveexec_b64 s[10:11], vcc
	s_cbranch_execz .LBB380_2647
; %bb.2642:
	s_mov_b32 s16, 0x37ffffff
	v_cmp_lt_u32_e32 vcc, s16, v3
	s_mov_b64 s[16:17], 0
                                        ; implicit-def: $vgpr1
	s_and_saveexec_b64 s[18:19], vcc
	s_xor_b64 s[18:19], exec, s[18:19]
	s_cbranch_execz .LBB380_3086
; %bb.2643:
	v_bfe_u32 v1, v3, 21, 1
	s_mov_b32 s20, 0x88fffff
	v_add3_u32 v1, v3, v1, s20
	s_mov_b64 s[16:17], exec
	v_lshrrev_b32_e32 v1, 21, v1
                                        ; implicit-def: $vgpr3
	s_andn2_saveexec_b64 s[18:19], s[18:19]
	s_cbranch_execnz .LBB380_3087
.LBB380_2644:
	s_or_b64 exec, exec, s[18:19]
	v_mov_b32_e32 v7, 0
	s_and_saveexec_b64 s[18:19], s[16:17]
.LBB380_2645:
	v_mov_b32_e32 v7, v1
.LBB380_2646:
	s_or_b64 exec, exec, s[18:19]
.LBB380_2647:
	s_or_b64 exec, exec, s[10:11]
	s_mov_b64 s[10:11], 0
	global_store_byte v[5:6], v7, off
.LBB380_2648:
	s_and_b64 vcc, exec, s[10:11]
	s_cbranch_vccz .LBB380_2658
; %bb.2649:
	v_cndmask_b32_e64 v1, 0, 1.0, s[6:7]
	s_mov_b32 s10, 0x43f00000
	v_cmp_gt_u32_e32 vcc, s10, v1
                                        ; implicit-def: $vgpr3
	s_and_saveexec_b64 s[10:11], vcc
	s_xor_b64 s[10:11], exec, s[10:11]
	s_cbranch_execz .LBB380_2655
; %bb.2650:
	s_mov_b32 s16, 0x3c7fffff
	v_cmp_lt_u32_e32 vcc, s16, v1
                                        ; implicit-def: $vgpr3
	s_and_saveexec_b64 s[16:17], vcc
	s_xor_b64 s[16:17], exec, s[16:17]
; %bb.2651:
	v_bfe_u32 v3, v1, 20, 1
	s_mov_b32 s18, 0x407ffff
	v_add3_u32 v1, v1, v3, s18
	v_lshrrev_b32_e32 v3, 20, v1
	v_and_b32_e32 v1, 0xff00000, v1
	s_mov_b32 s18, 0x7f00000
	v_mov_b32_e32 v7, 0x7e
	v_cmp_ne_u32_e32 vcc, s18, v1
	v_cndmask_b32_e32 v3, v7, v3, vcc
                                        ; implicit-def: $vgpr1
; %bb.2652:
	s_andn2_saveexec_b64 s[16:17], s[16:17]
; %bb.2653:
	v_add_f32_e32 v3, 0x46800000, v1
; %bb.2654:
	s_or_b64 exec, exec, s[16:17]
                                        ; implicit-def: $vgpr1
.LBB380_2655:
	s_andn2_saveexec_b64 s[10:11], s[10:11]
; %bb.2656:
	s_mov_b32 s16, 0x7f800000
	v_mov_b32_e32 v3, 0x7e
	v_mov_b32_e32 v7, 0x7f
	v_cmp_lt_u32_e32 vcc, s16, v1
	v_cndmask_b32_e32 v3, v3, v7, vcc
; %bb.2657:
	s_or_b64 exec, exec, s[10:11]
	global_store_byte v[5:6], v3, off
.LBB380_2658:
	s_mov_b64 s[10:11], 0
.LBB380_2659:
	s_andn2_b64 vcc, exec, s[10:11]
	s_cbranch_vccnz .LBB380_2669
; %bb.2660:
	v_cndmask_b32_e64 v1, 0, 1.0, s[6:7]
	s_mov_b32 s10, 0x47800000
	v_cmp_gt_u32_e32 vcc, s10, v1
                                        ; implicit-def: $vgpr3
	s_and_saveexec_b64 s[10:11], vcc
	s_xor_b64 s[10:11], exec, s[10:11]
	s_cbranch_execz .LBB380_2666
; %bb.2661:
	s_mov_b32 s16, 0x387fffff
	v_cmp_lt_u32_e32 vcc, s16, v1
                                        ; implicit-def: $vgpr3
	s_and_saveexec_b64 s[16:17], vcc
	s_xor_b64 s[16:17], exec, s[16:17]
; %bb.2662:
	v_bfe_u32 v3, v1, 21, 1
	s_mov_b32 s18, 0x80fffff
	v_add3_u32 v1, v1, v3, s18
	v_lshrrev_b32_e32 v3, 21, v1
                                        ; implicit-def: $vgpr1
; %bb.2663:
	s_andn2_saveexec_b64 s[16:17], s[16:17]
; %bb.2664:
	v_add_f32_e32 v3, 0x43000000, v1
; %bb.2665:
	s_or_b64 exec, exec, s[16:17]
                                        ; implicit-def: $vgpr1
.LBB380_2666:
	s_andn2_saveexec_b64 s[10:11], s[10:11]
; %bb.2667:
	s_mov_b32 s16, 0x7f800000
	v_mov_b32_e32 v3, 0x7c
	v_mov_b32_e32 v7, 0x7f
	v_cmp_lt_u32_e32 vcc, s16, v1
	v_cndmask_b32_e32 v3, v3, v7, vcc
; %bb.2668:
	s_or_b64 exec, exec, s[10:11]
	global_store_byte v[5:6], v3, off
.LBB380_2669:
	s_mov_b64 s[10:11], 0
	s_mov_b64 s[16:17], -1
.LBB380_2670:
	s_andn2_b64 vcc, exec, s[10:11]
	s_mov_b64 s[10:11], 0
	s_cbranch_vccnz .LBB380_2677
; %bb.2671:
	s_cmp_gt_i32 s23, 14
	s_mov_b64 s[18:19], -1
	s_cbranch_scc0 .LBB380_2675
; %bb.2672:
	s_cmp_eq_u32 s23, 15
	s_mov_b64 s[0:1], -1
	s_cbranch_scc0 .LBB380_2674
; %bb.2673:
	v_cndmask_b32_e64 v1, 0, 1.0, s[6:7]
	v_bfe_u32 v3, v1, 16, 1
	s_movk_i32 s0, 0x7fff
	v_add3_u32 v1, v1, v3, s0
	global_store_short_d16_hi v[5:6], v1, off
	s_mov_b64 s[0:1], 0
	s_mov_b64 s[16:17], -1
.LBB380_2674:
	s_mov_b64 s[18:19], 0
.LBB380_2675:
	s_and_b64 vcc, exec, s[18:19]
	s_cbranch_vccz .LBB380_2677
; %bb.2676:
	s_cmp_lg_u32 s23, 11
	s_mov_b64 s[10:11], -1
	s_cselect_b64 s[0:1], -1, 0
.LBB380_2677:
	s_and_b64 vcc, exec, s[0:1]
	s_cbranch_vccnz .LBB380_3085
; %bb.2678:
	s_andn2_b64 vcc, exec, s[10:11]
	s_cbranch_vccnz .LBB380_2680
.LBB380_2679:
	v_cndmask_b32_e64 v1, 0, 1, s[6:7]
	s_mov_b64 s[16:17], -1
	global_store_byte v[5:6], v1, off
.LBB380_2680:
	s_mov_b64 s[0:1], 0
	s_branch .LBB380_2682
.LBB380_2681:
	s_mov_b64 s[0:1], -1
	s_mov_b64 s[16:17], 0
.LBB380_2682:
	s_and_b64 vcc, exec, s[0:1]
	s_cbranch_vccz .LBB380_2721
; %bb.2683:
	s_and_b32 s10, 0xffff, s22
	s_cmp_lt_i32 s10, 5
	s_mov_b64 s[0:1], -1
	s_cbranch_scc1 .LBB380_2704
; %bb.2684:
	s_cmp_lt_i32 s10, 8
	s_cbranch_scc1 .LBB380_2694
; %bb.2685:
	s_cmp_lt_i32 s10, 9
	s_cbranch_scc1 .LBB380_2691
; %bb.2686:
	s_cmp_gt_i32 s10, 9
	s_cbranch_scc0 .LBB380_2688
; %bb.2687:
	v_cndmask_b32_e64 v1, 0, 1, s[6:7]
	v_cvt_f64_u32_e32 v[19:20], v1
	v_mov_b32_e32 v21, 0
	v_mov_b32_e32 v22, v21
	s_mov_b64 s[0:1], 0
	global_store_dwordx4 v[5:6], v[19:22], off
.LBB380_2688:
	s_andn2_b64 vcc, exec, s[0:1]
	s_cbranch_vccnz .LBB380_2690
; %bb.2689:
	v_cndmask_b32_e64 v11, 0, 1.0, s[6:7]
	v_mov_b32_e32 v12, 0
	global_store_dwordx2 v[5:6], v[11:12], off
.LBB380_2690:
	s_mov_b64 s[0:1], 0
.LBB380_2691:
	s_andn2_b64 vcc, exec, s[0:1]
	s_cbranch_vccnz .LBB380_2693
; %bb.2692:
	v_cndmask_b32_e64 v1, 0, 1.0, s[6:7]
	v_cvt_f16_f32_e32 v1, v1
	global_store_dword v[5:6], v1, off
.LBB380_2693:
	s_mov_b64 s[0:1], 0
.LBB380_2694:
	s_andn2_b64 vcc, exec, s[0:1]
	s_cbranch_vccnz .LBB380_2703
; %bb.2695:
	s_cmp_lt_i32 s10, 6
	s_mov_b64 s[0:1], -1
	s_cbranch_scc1 .LBB380_2701
; %bb.2696:
	s_cmp_gt_i32 s10, 6
	s_cbranch_scc0 .LBB380_2698
; %bb.2697:
	v_cndmask_b32_e64 v1, 0, 1, s[6:7]
	v_cvt_f64_u32_e32 v[11:12], v1
	s_mov_b64 s[0:1], 0
	global_store_dwordx2 v[5:6], v[11:12], off
.LBB380_2698:
	s_andn2_b64 vcc, exec, s[0:1]
	s_cbranch_vccnz .LBB380_2700
; %bb.2699:
	v_cndmask_b32_e64 v1, 0, 1.0, s[6:7]
	global_store_dword v[5:6], v1, off
.LBB380_2700:
	s_mov_b64 s[0:1], 0
.LBB380_2701:
	s_andn2_b64 vcc, exec, s[0:1]
	s_cbranch_vccnz .LBB380_2703
; %bb.2702:
	v_cndmask_b32_e64 v1, 0, 1.0, s[6:7]
	v_cvt_f16_f32_e32 v1, v1
	global_store_short v[5:6], v1, off
.LBB380_2703:
	s_mov_b64 s[0:1], 0
.LBB380_2704:
	s_andn2_b64 vcc, exec, s[0:1]
	s_cbranch_vccnz .LBB380_2720
; %bb.2705:
	s_cmp_lt_i32 s10, 2
	s_mov_b64 s[0:1], -1
	s_cbranch_scc1 .LBB380_2715
; %bb.2706:
	s_cmp_lt_i32 s10, 3
	s_cbranch_scc1 .LBB380_2712
; %bb.2707:
	s_cmp_gt_i32 s10, 3
	s_cbranch_scc0 .LBB380_2709
; %bb.2708:
	s_mov_b32 s0, 0
	v_cndmask_b32_e64 v11, 0, 1, s[6:7]
	v_mov_b32_e32 v12, s0
	global_store_dwordx2 v[5:6], v[11:12], off
	s_mov_b64 s[0:1], 0
.LBB380_2709:
	s_andn2_b64 vcc, exec, s[0:1]
	s_cbranch_vccnz .LBB380_2711
; %bb.2710:
	v_cndmask_b32_e64 v1, 0, 1, s[6:7]
	global_store_dword v[5:6], v1, off
.LBB380_2711:
	s_mov_b64 s[0:1], 0
.LBB380_2712:
	s_andn2_b64 vcc, exec, s[0:1]
	s_cbranch_vccnz .LBB380_2714
; %bb.2713:
	v_cndmask_b32_e64 v1, 0, 1, s[6:7]
	global_store_short v[5:6], v1, off
.LBB380_2714:
	s_mov_b64 s[0:1], 0
.LBB380_2715:
	s_andn2_b64 vcc, exec, s[0:1]
	s_cbranch_vccnz .LBB380_2720
; %bb.2716:
	s_mov_b64 s[0:1], -1
	s_cmp_gt_i32 s10, 0
	v_cndmask_b32_e64 v1, 0, 1, s[6:7]
	s_cbranch_scc0 .LBB380_2718
; %bb.2717:
	global_store_byte v[5:6], v1, off
	s_mov_b64 s[0:1], 0
.LBB380_2718:
	s_andn2_b64 vcc, exec, s[0:1]
	s_cbranch_vccnz .LBB380_2720
; %bb.2719:
	global_store_byte v[5:6], v1, off
.LBB380_2720:
	s_mov_b64 s[16:17], -1
.LBB380_2721:
	s_andn2_b64 vcc, exec, s[16:17]
	s_cbranch_vccnz .LBB380_3036
; %bb.2722:
	v_cmp_ne_u16_sdwa s[0:1], v10, v17 src0_sel:BYTE_0 src1_sel:BYTE_0
	s_xor_b64 s[6:7], s[2:3], s[0:1]
	v_mov_b32_e32 v1, s9
	s_and_b32 s23, 0xffff, s22
	v_add_co_u32_e32 v3, vcc, s8, v4
	s_cmp_lt_i32 s23, 11
	v_addc_co_u32_e32 v4, vcc, 0, v1, vcc
	s_cbranch_scc1 .LBB380_2800
; %bb.2723:
	s_mov_b64 s[18:19], -1
	s_mov_b64 s[10:11], 0
	s_cmp_gt_i32 s23, 25
	s_mov_b64 s[16:17], 0
	s_mov_b64 s[0:1], 0
	s_cbranch_scc0 .LBB380_2756
; %bb.2724:
	s_cmp_gt_i32 s23, 28
	s_cbranch_scc0 .LBB380_2739
; %bb.2725:
	s_cmp_gt_i32 s23, 43
	;; [unrolled: 3-line block ×3, first 2 shown]
	s_cbranch_scc0 .LBB380_2729
; %bb.2727:
	s_mov_b64 s[0:1], -1
	s_mov_b64 s[18:19], 0
	s_cmp_eq_u32 s23, 46
	s_cbranch_scc0 .LBB380_2729
; %bb.2728:
	v_cndmask_b32_e64 v1, 0, 1.0, s[6:7]
	v_bfe_u32 v5, v1, 16, 1
	s_movk_i32 s0, 0x7fff
	v_add3_u32 v1, v1, v5, s0
	v_lshrrev_b32_e32 v1, 16, v1
	global_store_dword v[3:4], v1, off
	s_mov_b64 s[0:1], 0
	s_mov_b64 s[16:17], -1
.LBB380_2729:
	s_and_b64 vcc, exec, s[18:19]
	s_cbranch_vccz .LBB380_2734
; %bb.2730:
	s_cmp_eq_u32 s23, 44
	s_mov_b64 s[0:1], -1
	s_cbranch_scc0 .LBB380_2734
; %bb.2731:
	v_cndmask_b32_e64 v5, 0, 1.0, s[6:7]
	v_lshrrev_b32_e32 v1, 23, v5
	s_movk_i32 s0, 0xff
	v_cmp_ne_u32_e32 vcc, s0, v1
	v_mov_b32_e32 v6, 0xff
	s_and_saveexec_b64 s[16:17], vcc
; %bb.2732:
	s_mov_b32 s0, 0x3fffff
	v_and_b32_e32 v6, 0x400000, v5
	v_and_or_b32 v5, v5, s0, v1
	v_cmp_ne_u32_e32 vcc, 0, v6
	v_cmp_ne_u32_e64 s[0:1], 0, v5
	s_and_b64 s[0:1], vcc, s[0:1]
	v_cndmask_b32_e64 v5, 0, 1, s[0:1]
	v_add_u32_e32 v6, v1, v5
; %bb.2733:
	s_or_b64 exec, exec, s[16:17]
	s_mov_b64 s[0:1], 0
	s_mov_b64 s[16:17], -1
	global_store_byte v[3:4], v6, off
.LBB380_2734:
	s_mov_b64 s[18:19], 0
.LBB380_2735:
	s_and_b64 vcc, exec, s[18:19]
	s_cbranch_vccz .LBB380_2738
; %bb.2736:
	s_cmp_eq_u32 s23, 29
	s_mov_b64 s[0:1], -1
	s_cbranch_scc0 .LBB380_2738
; %bb.2737:
	s_mov_b32 s0, 0
	v_cndmask_b32_e64 v5, 0, 1, s[6:7]
	v_mov_b32_e32 v6, s0
	global_store_dwordx2 v[3:4], v[5:6], off
	s_mov_b64 s[0:1], 0
	s_mov_b64 s[16:17], -1
.LBB380_2738:
	s_mov_b64 s[18:19], 0
.LBB380_2739:
	s_and_b64 vcc, exec, s[18:19]
	s_cbranch_vccz .LBB380_2755
; %bb.2740:
	s_cmp_lt_i32 s23, 27
	s_mov_b64 s[16:17], -1
	s_cbranch_scc1 .LBB380_2746
; %bb.2741:
	s_cmp_gt_i32 s23, 27
	s_cbranch_scc0 .LBB380_2743
; %bb.2742:
	v_cndmask_b32_e64 v1, 0, 1, s[6:7]
	s_mov_b64 s[16:17], 0
	global_store_dword v[3:4], v1, off
.LBB380_2743:
	s_andn2_b64 vcc, exec, s[16:17]
	s_cbranch_vccnz .LBB380_2745
; %bb.2744:
	v_cndmask_b32_e64 v1, 0, 1, s[6:7]
	global_store_short v[3:4], v1, off
.LBB380_2745:
	s_mov_b64 s[16:17], 0
.LBB380_2746:
	s_andn2_b64 vcc, exec, s[16:17]
	s_cbranch_vccnz .LBB380_2754
; %bb.2747:
	v_cndmask_b32_e64 v5, 0, 1.0, s[6:7]
	s_mov_b32 s16, 0x43800000
	v_cmp_gt_u32_e32 vcc, s16, v5
	v_mov_b32_e32 v6, 0x80
	s_and_saveexec_b64 s[16:17], vcc
	s_cbranch_execz .LBB380_2753
; %bb.2748:
	s_mov_b32 s18, 0x3bffffff
	v_cmp_lt_u32_e32 vcc, s18, v5
	s_mov_b64 s[18:19], 0
                                        ; implicit-def: $vgpr1
	s_and_saveexec_b64 s[20:21], vcc
	s_xor_b64 s[20:21], exec, s[20:21]
	s_cbranch_execz .LBB380_3088
; %bb.2749:
	v_bfe_u32 v1, v5, 20, 1
	s_mov_b32 s24, 0x487ffff
	v_add3_u32 v1, v5, v1, s24
	s_mov_b64 s[18:19], exec
	v_lshrrev_b32_e32 v1, 20, v1
                                        ; implicit-def: $vgpr5
	s_andn2_saveexec_b64 s[20:21], s[20:21]
	s_cbranch_execnz .LBB380_3089
.LBB380_2750:
	s_or_b64 exec, exec, s[20:21]
	v_mov_b32_e32 v6, 0
	s_and_saveexec_b64 s[20:21], s[18:19]
.LBB380_2751:
	v_mov_b32_e32 v6, v1
.LBB380_2752:
	s_or_b64 exec, exec, s[20:21]
.LBB380_2753:
	s_or_b64 exec, exec, s[16:17]
	global_store_byte v[3:4], v6, off
.LBB380_2754:
	s_mov_b64 s[16:17], -1
.LBB380_2755:
	s_mov_b64 s[18:19], 0
.LBB380_2756:
	s_and_b64 vcc, exec, s[18:19]
	s_cbranch_vccz .LBB380_2796
; %bb.2757:
	s_cmp_gt_i32 s23, 22
	s_mov_b64 s[10:11], -1
	s_cbranch_scc0 .LBB380_2789
; %bb.2758:
	s_cmp_lt_i32 s23, 24
	s_cbranch_scc1 .LBB380_2778
; %bb.2759:
	s_cmp_gt_i32 s23, 24
	s_cbranch_scc0 .LBB380_2767
; %bb.2760:
	v_cndmask_b32_e64 v5, 0, 1.0, s[6:7]
	s_mov_b32 s10, 0x47800000
	v_cmp_gt_u32_e32 vcc, s10, v5
	v_mov_b32_e32 v6, 0x80
	s_and_saveexec_b64 s[10:11], vcc
	s_cbranch_execz .LBB380_2766
; %bb.2761:
	s_mov_b32 s16, 0x37ffffff
	v_cmp_lt_u32_e32 vcc, s16, v5
	s_mov_b64 s[16:17], 0
                                        ; implicit-def: $vgpr1
	s_and_saveexec_b64 s[18:19], vcc
	s_xor_b64 s[18:19], exec, s[18:19]
	s_cbranch_execz .LBB380_3091
; %bb.2762:
	v_bfe_u32 v1, v5, 21, 1
	s_mov_b32 s20, 0x88fffff
	v_add3_u32 v1, v5, v1, s20
	s_mov_b64 s[16:17], exec
	v_lshrrev_b32_e32 v1, 21, v1
                                        ; implicit-def: $vgpr5
	s_andn2_saveexec_b64 s[18:19], s[18:19]
	s_cbranch_execnz .LBB380_3092
.LBB380_2763:
	s_or_b64 exec, exec, s[18:19]
	v_mov_b32_e32 v6, 0
	s_and_saveexec_b64 s[18:19], s[16:17]
.LBB380_2764:
	v_mov_b32_e32 v6, v1
.LBB380_2765:
	s_or_b64 exec, exec, s[18:19]
.LBB380_2766:
	s_or_b64 exec, exec, s[10:11]
	s_mov_b64 s[10:11], 0
	global_store_byte v[3:4], v6, off
.LBB380_2767:
	s_and_b64 vcc, exec, s[10:11]
	s_cbranch_vccz .LBB380_2777
; %bb.2768:
	v_cndmask_b32_e64 v1, 0, 1.0, s[6:7]
	s_mov_b32 s10, 0x43f00000
	v_cmp_gt_u32_e32 vcc, s10, v1
                                        ; implicit-def: $vgpr5
	s_and_saveexec_b64 s[10:11], vcc
	s_xor_b64 s[10:11], exec, s[10:11]
	s_cbranch_execz .LBB380_2774
; %bb.2769:
	s_mov_b32 s16, 0x3c7fffff
	v_cmp_lt_u32_e32 vcc, s16, v1
                                        ; implicit-def: $vgpr5
	s_and_saveexec_b64 s[16:17], vcc
	s_xor_b64 s[16:17], exec, s[16:17]
; %bb.2770:
	v_bfe_u32 v5, v1, 20, 1
	s_mov_b32 s18, 0x407ffff
	v_add3_u32 v1, v1, v5, s18
	v_lshrrev_b32_e32 v5, 20, v1
	v_and_b32_e32 v1, 0xff00000, v1
	s_mov_b32 s18, 0x7f00000
	v_mov_b32_e32 v6, 0x7e
	v_cmp_ne_u32_e32 vcc, s18, v1
	v_cndmask_b32_e32 v5, v6, v5, vcc
                                        ; implicit-def: $vgpr1
; %bb.2771:
	s_andn2_saveexec_b64 s[16:17], s[16:17]
; %bb.2772:
	v_add_f32_e32 v5, 0x46800000, v1
; %bb.2773:
	s_or_b64 exec, exec, s[16:17]
                                        ; implicit-def: $vgpr1
.LBB380_2774:
	s_andn2_saveexec_b64 s[10:11], s[10:11]
; %bb.2775:
	s_mov_b32 s16, 0x7f800000
	v_mov_b32_e32 v5, 0x7e
	v_mov_b32_e32 v6, 0x7f
	v_cmp_lt_u32_e32 vcc, s16, v1
	v_cndmask_b32_e32 v5, v5, v6, vcc
; %bb.2776:
	s_or_b64 exec, exec, s[10:11]
	global_store_byte v[3:4], v5, off
.LBB380_2777:
	s_mov_b64 s[10:11], 0
.LBB380_2778:
	s_andn2_b64 vcc, exec, s[10:11]
	s_cbranch_vccnz .LBB380_2788
; %bb.2779:
	v_cndmask_b32_e64 v1, 0, 1.0, s[6:7]
	s_mov_b32 s10, 0x47800000
	v_cmp_gt_u32_e32 vcc, s10, v1
                                        ; implicit-def: $vgpr5
	s_and_saveexec_b64 s[10:11], vcc
	s_xor_b64 s[10:11], exec, s[10:11]
	s_cbranch_execz .LBB380_2785
; %bb.2780:
	s_mov_b32 s16, 0x387fffff
	v_cmp_lt_u32_e32 vcc, s16, v1
                                        ; implicit-def: $vgpr5
	s_and_saveexec_b64 s[16:17], vcc
	s_xor_b64 s[16:17], exec, s[16:17]
; %bb.2781:
	v_bfe_u32 v5, v1, 21, 1
	s_mov_b32 s18, 0x80fffff
	v_add3_u32 v1, v1, v5, s18
	v_lshrrev_b32_e32 v5, 21, v1
                                        ; implicit-def: $vgpr1
; %bb.2782:
	s_andn2_saveexec_b64 s[16:17], s[16:17]
; %bb.2783:
	v_add_f32_e32 v5, 0x43000000, v1
; %bb.2784:
	s_or_b64 exec, exec, s[16:17]
                                        ; implicit-def: $vgpr1
.LBB380_2785:
	s_andn2_saveexec_b64 s[10:11], s[10:11]
; %bb.2786:
	s_mov_b32 s16, 0x7f800000
	v_mov_b32_e32 v5, 0x7c
	v_mov_b32_e32 v6, 0x7f
	v_cmp_lt_u32_e32 vcc, s16, v1
	v_cndmask_b32_e32 v5, v5, v6, vcc
; %bb.2787:
	s_or_b64 exec, exec, s[10:11]
	global_store_byte v[3:4], v5, off
.LBB380_2788:
	s_mov_b64 s[10:11], 0
	s_mov_b64 s[16:17], -1
.LBB380_2789:
	s_andn2_b64 vcc, exec, s[10:11]
	s_mov_b64 s[10:11], 0
	s_cbranch_vccnz .LBB380_2796
; %bb.2790:
	s_cmp_gt_i32 s23, 14
	s_mov_b64 s[18:19], -1
	s_cbranch_scc0 .LBB380_2794
; %bb.2791:
	s_cmp_eq_u32 s23, 15
	s_mov_b64 s[0:1], -1
	s_cbranch_scc0 .LBB380_2793
; %bb.2792:
	v_cndmask_b32_e64 v1, 0, 1.0, s[6:7]
	v_bfe_u32 v5, v1, 16, 1
	s_movk_i32 s0, 0x7fff
	v_add3_u32 v1, v1, v5, s0
	global_store_short_d16_hi v[3:4], v1, off
	s_mov_b64 s[0:1], 0
	s_mov_b64 s[16:17], -1
.LBB380_2793:
	s_mov_b64 s[18:19], 0
.LBB380_2794:
	s_and_b64 vcc, exec, s[18:19]
	s_cbranch_vccz .LBB380_2796
; %bb.2795:
	s_cmp_lg_u32 s23, 11
	s_mov_b64 s[10:11], -1
	s_cselect_b64 s[0:1], -1, 0
.LBB380_2796:
	s_and_b64 vcc, exec, s[0:1]
	s_cbranch_vccnz .LBB380_3090
; %bb.2797:
	s_andn2_b64 vcc, exec, s[10:11]
	s_cbranch_vccnz .LBB380_2799
.LBB380_2798:
	v_cndmask_b32_e64 v1, 0, 1, s[6:7]
	s_mov_b64 s[16:17], -1
	global_store_byte v[3:4], v1, off
.LBB380_2799:
	s_mov_b64 s[0:1], 0
	s_branch .LBB380_2801
.LBB380_2800:
	s_mov_b64 s[0:1], -1
	s_mov_b64 s[16:17], 0
.LBB380_2801:
	s_and_b64 vcc, exec, s[0:1]
	s_cbranch_vccz .LBB380_2840
; %bb.2802:
	s_cmp_lt_i32 s23, 5
	s_mov_b64 s[0:1], -1
	s_cbranch_scc1 .LBB380_2823
; %bb.2803:
	s_cmp_lt_i32 s23, 8
	s_cbranch_scc1 .LBB380_2813
; %bb.2804:
	s_cmp_lt_i32 s23, 9
	s_cbranch_scc1 .LBB380_2810
; %bb.2805:
	s_cmp_gt_i32 s23, 9
	s_cbranch_scc0 .LBB380_2807
; %bb.2806:
	v_cndmask_b32_e64 v1, 0, 1, s[6:7]
	s_waitcnt vmcnt(0)
	v_cvt_f64_u32_e32 v[9:10], v1
	v_mov_b32_e32 v11, 0
	v_mov_b32_e32 v12, v11
	s_mov_b64 s[0:1], 0
	global_store_dwordx4 v[3:4], v[9:12], off
.LBB380_2807:
	s_andn2_b64 vcc, exec, s[0:1]
	s_cbranch_vccnz .LBB380_2809
; %bb.2808:
	v_cndmask_b32_e64 v5, 0, 1.0, s[6:7]
	v_mov_b32_e32 v6, 0
	global_store_dwordx2 v[3:4], v[5:6], off
.LBB380_2809:
	s_mov_b64 s[0:1], 0
.LBB380_2810:
	s_andn2_b64 vcc, exec, s[0:1]
	s_cbranch_vccnz .LBB380_2812
; %bb.2811:
	v_cndmask_b32_e64 v1, 0, 1.0, s[6:7]
	v_cvt_f16_f32_e32 v1, v1
	global_store_dword v[3:4], v1, off
.LBB380_2812:
	s_mov_b64 s[0:1], 0
.LBB380_2813:
	s_andn2_b64 vcc, exec, s[0:1]
	s_cbranch_vccnz .LBB380_2822
; %bb.2814:
	s_cmp_lt_i32 s23, 6
	s_mov_b64 s[0:1], -1
	s_cbranch_scc1 .LBB380_2820
; %bb.2815:
	s_cmp_gt_i32 s23, 6
	s_cbranch_scc0 .LBB380_2817
; %bb.2816:
	v_cndmask_b32_e64 v1, 0, 1, s[6:7]
	v_cvt_f64_u32_e32 v[5:6], v1
	s_mov_b64 s[0:1], 0
	global_store_dwordx2 v[3:4], v[5:6], off
.LBB380_2817:
	s_andn2_b64 vcc, exec, s[0:1]
	s_cbranch_vccnz .LBB380_2819
; %bb.2818:
	v_cndmask_b32_e64 v1, 0, 1.0, s[6:7]
	global_store_dword v[3:4], v1, off
.LBB380_2819:
	s_mov_b64 s[0:1], 0
.LBB380_2820:
	s_andn2_b64 vcc, exec, s[0:1]
	s_cbranch_vccnz .LBB380_2822
; %bb.2821:
	v_cndmask_b32_e64 v1, 0, 1.0, s[6:7]
	v_cvt_f16_f32_e32 v1, v1
	global_store_short v[3:4], v1, off
.LBB380_2822:
	s_mov_b64 s[0:1], 0
.LBB380_2823:
	s_andn2_b64 vcc, exec, s[0:1]
	s_cbranch_vccnz .LBB380_2839
; %bb.2824:
	s_cmp_lt_i32 s23, 2
	s_mov_b64 s[0:1], -1
	s_cbranch_scc1 .LBB380_2834
; %bb.2825:
	s_cmp_lt_i32 s23, 3
	s_cbranch_scc1 .LBB380_2831
; %bb.2826:
	s_cmp_gt_i32 s23, 3
	s_cbranch_scc0 .LBB380_2828
; %bb.2827:
	s_mov_b32 s0, 0
	v_cndmask_b32_e64 v5, 0, 1, s[6:7]
	v_mov_b32_e32 v6, s0
	global_store_dwordx2 v[3:4], v[5:6], off
	s_mov_b64 s[0:1], 0
.LBB380_2828:
	s_andn2_b64 vcc, exec, s[0:1]
	s_cbranch_vccnz .LBB380_2830
; %bb.2829:
	v_cndmask_b32_e64 v1, 0, 1, s[6:7]
	global_store_dword v[3:4], v1, off
.LBB380_2830:
	s_mov_b64 s[0:1], 0
.LBB380_2831:
	s_andn2_b64 vcc, exec, s[0:1]
	s_cbranch_vccnz .LBB380_2833
; %bb.2832:
	v_cndmask_b32_e64 v1, 0, 1, s[6:7]
	global_store_short v[3:4], v1, off
.LBB380_2833:
	s_mov_b64 s[0:1], 0
.LBB380_2834:
	s_andn2_b64 vcc, exec, s[0:1]
	s_cbranch_vccnz .LBB380_2839
; %bb.2835:
	s_mov_b64 s[0:1], -1
	s_cmp_gt_i32 s23, 0
	v_cndmask_b32_e64 v1, 0, 1, s[6:7]
	s_cbranch_scc0 .LBB380_2837
; %bb.2836:
	global_store_byte v[3:4], v1, off
	s_mov_b64 s[0:1], 0
.LBB380_2837:
	s_andn2_b64 vcc, exec, s[0:1]
	s_cbranch_vccnz .LBB380_2839
; %bb.2838:
	global_store_byte v[3:4], v1, off
.LBB380_2839:
	s_mov_b64 s[16:17], -1
.LBB380_2840:
	s_andn2_b64 vcc, exec, s[16:17]
	s_cbranch_vccnz .LBB380_3036
; %bb.2841:
	v_cmp_ne_u16_sdwa s[0:1], v15, v18 src0_sel:BYTE_0 src1_sel:BYTE_0
	s_xor_b64 s[6:7], s[2:3], s[0:1]
	v_mov_b32_e32 v3, s9
	v_add_co_u32_e32 v1, vcc, s8, v2
	s_cmp_lt_i32 s23, 11
	v_addc_co_u32_e32 v2, vcc, 0, v3, vcc
	s_cbranch_scc1 .LBB380_2919
; %bb.2842:
	s_mov_b64 s[18:19], -1
	s_mov_b64 s[10:11], 0
	s_cmp_gt_i32 s23, 25
	s_mov_b64 s[16:17], 0
	s_mov_b64 s[0:1], 0
	s_cbranch_scc0 .LBB380_2875
; %bb.2843:
	s_cmp_gt_i32 s23, 28
	s_cbranch_scc0 .LBB380_2858
; %bb.2844:
	s_cmp_gt_i32 s23, 43
	;; [unrolled: 3-line block ×3, first 2 shown]
	s_cbranch_scc0 .LBB380_2848
; %bb.2846:
	s_mov_b64 s[0:1], -1
	s_mov_b64 s[18:19], 0
	s_cmp_eq_u32 s23, 46
	s_cbranch_scc0 .LBB380_2848
; %bb.2847:
	v_cndmask_b32_e64 v3, 0, 1.0, s[6:7]
	v_bfe_u32 v4, v3, 16, 1
	s_movk_i32 s0, 0x7fff
	v_add3_u32 v3, v3, v4, s0
	v_lshrrev_b32_e32 v3, 16, v3
	global_store_dword v[1:2], v3, off
	s_mov_b64 s[0:1], 0
	s_mov_b64 s[16:17], -1
.LBB380_2848:
	s_and_b64 vcc, exec, s[18:19]
	s_cbranch_vccz .LBB380_2853
; %bb.2849:
	s_cmp_eq_u32 s23, 44
	s_mov_b64 s[0:1], -1
	s_cbranch_scc0 .LBB380_2853
; %bb.2850:
	v_cndmask_b32_e64 v4, 0, 1.0, s[6:7]
	v_lshrrev_b32_e32 v3, 23, v4
	s_movk_i32 s0, 0xff
	v_cmp_ne_u32_e32 vcc, s0, v3
	v_mov_b32_e32 v5, 0xff
	s_and_saveexec_b64 s[16:17], vcc
; %bb.2851:
	s_mov_b32 s0, 0x3fffff
	v_and_b32_e32 v5, 0x400000, v4
	v_and_or_b32 v4, v4, s0, v3
	v_cmp_ne_u32_e32 vcc, 0, v5
	v_cmp_ne_u32_e64 s[0:1], 0, v4
	s_and_b64 s[0:1], vcc, s[0:1]
	v_cndmask_b32_e64 v4, 0, 1, s[0:1]
	v_add_u32_e32 v5, v3, v4
; %bb.2852:
	s_or_b64 exec, exec, s[16:17]
	s_mov_b64 s[0:1], 0
	s_mov_b64 s[16:17], -1
	global_store_byte v[1:2], v5, off
.LBB380_2853:
	s_mov_b64 s[18:19], 0
.LBB380_2854:
	s_and_b64 vcc, exec, s[18:19]
	s_cbranch_vccz .LBB380_2857
; %bb.2855:
	s_cmp_eq_u32 s23, 29
	s_mov_b64 s[0:1], -1
	s_cbranch_scc0 .LBB380_2857
; %bb.2856:
	s_mov_b32 s0, 0
	v_cndmask_b32_e64 v3, 0, 1, s[6:7]
	v_mov_b32_e32 v4, s0
	global_store_dwordx2 v[1:2], v[3:4], off
	s_mov_b64 s[0:1], 0
	s_mov_b64 s[16:17], -1
.LBB380_2857:
	s_mov_b64 s[18:19], 0
.LBB380_2858:
	s_and_b64 vcc, exec, s[18:19]
	s_cbranch_vccz .LBB380_2874
; %bb.2859:
	s_cmp_lt_i32 s23, 27
	s_mov_b64 s[16:17], -1
	s_cbranch_scc1 .LBB380_2865
; %bb.2860:
	s_cmp_gt_i32 s23, 27
	s_cbranch_scc0 .LBB380_2862
; %bb.2861:
	v_cndmask_b32_e64 v3, 0, 1, s[6:7]
	s_mov_b64 s[16:17], 0
	global_store_dword v[1:2], v3, off
.LBB380_2862:
	s_andn2_b64 vcc, exec, s[16:17]
	s_cbranch_vccnz .LBB380_2864
; %bb.2863:
	v_cndmask_b32_e64 v3, 0, 1, s[6:7]
	global_store_short v[1:2], v3, off
.LBB380_2864:
	s_mov_b64 s[16:17], 0
.LBB380_2865:
	s_andn2_b64 vcc, exec, s[16:17]
	s_cbranch_vccnz .LBB380_2873
; %bb.2866:
	v_cndmask_b32_e64 v4, 0, 1.0, s[6:7]
	s_mov_b32 s16, 0x43800000
	v_cmp_gt_u32_e32 vcc, s16, v4
	v_mov_b32_e32 v5, 0x80
	s_and_saveexec_b64 s[16:17], vcc
	s_cbranch_execz .LBB380_2872
; %bb.2867:
	s_mov_b32 s18, 0x3bffffff
	v_cmp_lt_u32_e32 vcc, s18, v4
	s_mov_b64 s[18:19], 0
                                        ; implicit-def: $vgpr3
	s_and_saveexec_b64 s[20:21], vcc
	s_xor_b64 s[20:21], exec, s[20:21]
	s_cbranch_execz .LBB380_3093
; %bb.2868:
	v_bfe_u32 v3, v4, 20, 1
	s_mov_b32 s24, 0x487ffff
	v_add3_u32 v3, v4, v3, s24
	s_mov_b64 s[18:19], exec
	v_lshrrev_b32_e32 v3, 20, v3
                                        ; implicit-def: $vgpr4
	s_andn2_saveexec_b64 s[20:21], s[20:21]
	s_cbranch_execnz .LBB380_3094
.LBB380_2869:
	s_or_b64 exec, exec, s[20:21]
	v_mov_b32_e32 v5, 0
	s_and_saveexec_b64 s[20:21], s[18:19]
.LBB380_2870:
	v_mov_b32_e32 v5, v3
.LBB380_2871:
	s_or_b64 exec, exec, s[20:21]
.LBB380_2872:
	s_or_b64 exec, exec, s[16:17]
	global_store_byte v[1:2], v5, off
.LBB380_2873:
	s_mov_b64 s[16:17], -1
.LBB380_2874:
	s_mov_b64 s[18:19], 0
.LBB380_2875:
	s_and_b64 vcc, exec, s[18:19]
	s_cbranch_vccz .LBB380_2915
; %bb.2876:
	s_cmp_gt_i32 s23, 22
	s_mov_b64 s[10:11], -1
	s_cbranch_scc0 .LBB380_2908
; %bb.2877:
	s_cmp_lt_i32 s23, 24
	s_cbranch_scc1 .LBB380_2897
; %bb.2878:
	s_cmp_gt_i32 s23, 24
	s_cbranch_scc0 .LBB380_2886
; %bb.2879:
	v_cndmask_b32_e64 v4, 0, 1.0, s[6:7]
	s_mov_b32 s10, 0x47800000
	v_cmp_gt_u32_e32 vcc, s10, v4
	v_mov_b32_e32 v5, 0x80
	s_and_saveexec_b64 s[10:11], vcc
	s_cbranch_execz .LBB380_2885
; %bb.2880:
	s_mov_b32 s16, 0x37ffffff
	v_cmp_lt_u32_e32 vcc, s16, v4
	s_mov_b64 s[16:17], 0
                                        ; implicit-def: $vgpr3
	s_and_saveexec_b64 s[18:19], vcc
	s_xor_b64 s[18:19], exec, s[18:19]
	s_cbranch_execz .LBB380_3096
; %bb.2881:
	v_bfe_u32 v3, v4, 21, 1
	s_mov_b32 s20, 0x88fffff
	v_add3_u32 v3, v4, v3, s20
	s_mov_b64 s[16:17], exec
	v_lshrrev_b32_e32 v3, 21, v3
                                        ; implicit-def: $vgpr4
	s_andn2_saveexec_b64 s[18:19], s[18:19]
	s_cbranch_execnz .LBB380_3097
.LBB380_2882:
	s_or_b64 exec, exec, s[18:19]
	v_mov_b32_e32 v5, 0
	s_and_saveexec_b64 s[18:19], s[16:17]
.LBB380_2883:
	v_mov_b32_e32 v5, v3
.LBB380_2884:
	s_or_b64 exec, exec, s[18:19]
.LBB380_2885:
	s_or_b64 exec, exec, s[10:11]
	s_mov_b64 s[10:11], 0
	global_store_byte v[1:2], v5, off
.LBB380_2886:
	s_and_b64 vcc, exec, s[10:11]
	s_cbranch_vccz .LBB380_2896
; %bb.2887:
	v_cndmask_b32_e64 v3, 0, 1.0, s[6:7]
	s_mov_b32 s10, 0x43f00000
	v_cmp_gt_u32_e32 vcc, s10, v3
                                        ; implicit-def: $vgpr4
	s_and_saveexec_b64 s[10:11], vcc
	s_xor_b64 s[10:11], exec, s[10:11]
	s_cbranch_execz .LBB380_2893
; %bb.2888:
	s_mov_b32 s16, 0x3c7fffff
	v_cmp_lt_u32_e32 vcc, s16, v3
                                        ; implicit-def: $vgpr4
	s_and_saveexec_b64 s[16:17], vcc
	s_xor_b64 s[16:17], exec, s[16:17]
; %bb.2889:
	v_bfe_u32 v4, v3, 20, 1
	s_mov_b32 s18, 0x407ffff
	v_add3_u32 v3, v3, v4, s18
	v_lshrrev_b32_e32 v4, 20, v3
	v_and_b32_e32 v3, 0xff00000, v3
	s_mov_b32 s18, 0x7f00000
	v_mov_b32_e32 v5, 0x7e
	v_cmp_ne_u32_e32 vcc, s18, v3
	v_cndmask_b32_e32 v4, v5, v4, vcc
                                        ; implicit-def: $vgpr3
; %bb.2890:
	s_andn2_saveexec_b64 s[16:17], s[16:17]
; %bb.2891:
	v_add_f32_e32 v4, 0x46800000, v3
; %bb.2892:
	s_or_b64 exec, exec, s[16:17]
                                        ; implicit-def: $vgpr3
.LBB380_2893:
	s_andn2_saveexec_b64 s[10:11], s[10:11]
; %bb.2894:
	s_mov_b32 s16, 0x7f800000
	v_mov_b32_e32 v4, 0x7e
	v_mov_b32_e32 v5, 0x7f
	v_cmp_lt_u32_e32 vcc, s16, v3
	v_cndmask_b32_e32 v4, v4, v5, vcc
; %bb.2895:
	s_or_b64 exec, exec, s[10:11]
	global_store_byte v[1:2], v4, off
.LBB380_2896:
	s_mov_b64 s[10:11], 0
.LBB380_2897:
	s_andn2_b64 vcc, exec, s[10:11]
	s_cbranch_vccnz .LBB380_2907
; %bb.2898:
	v_cndmask_b32_e64 v3, 0, 1.0, s[6:7]
	s_mov_b32 s10, 0x47800000
	v_cmp_gt_u32_e32 vcc, s10, v3
                                        ; implicit-def: $vgpr4
	s_and_saveexec_b64 s[10:11], vcc
	s_xor_b64 s[10:11], exec, s[10:11]
	s_cbranch_execz .LBB380_2904
; %bb.2899:
	s_mov_b32 s16, 0x387fffff
	v_cmp_lt_u32_e32 vcc, s16, v3
                                        ; implicit-def: $vgpr4
	s_and_saveexec_b64 s[16:17], vcc
	s_xor_b64 s[16:17], exec, s[16:17]
; %bb.2900:
	v_bfe_u32 v4, v3, 21, 1
	s_mov_b32 s18, 0x80fffff
	v_add3_u32 v3, v3, v4, s18
	v_lshrrev_b32_e32 v4, 21, v3
                                        ; implicit-def: $vgpr3
; %bb.2901:
	s_andn2_saveexec_b64 s[16:17], s[16:17]
; %bb.2902:
	v_add_f32_e32 v4, 0x43000000, v3
; %bb.2903:
	s_or_b64 exec, exec, s[16:17]
                                        ; implicit-def: $vgpr3
.LBB380_2904:
	s_andn2_saveexec_b64 s[10:11], s[10:11]
; %bb.2905:
	s_mov_b32 s16, 0x7f800000
	v_mov_b32_e32 v4, 0x7c
	v_mov_b32_e32 v5, 0x7f
	v_cmp_lt_u32_e32 vcc, s16, v3
	v_cndmask_b32_e32 v4, v4, v5, vcc
; %bb.2906:
	s_or_b64 exec, exec, s[10:11]
	global_store_byte v[1:2], v4, off
.LBB380_2907:
	s_mov_b64 s[10:11], 0
	s_mov_b64 s[16:17], -1
.LBB380_2908:
	s_andn2_b64 vcc, exec, s[10:11]
	s_mov_b64 s[10:11], 0
	s_cbranch_vccnz .LBB380_2915
; %bb.2909:
	s_cmp_gt_i32 s23, 14
	s_mov_b64 s[18:19], -1
	s_cbranch_scc0 .LBB380_2913
; %bb.2910:
	s_cmp_eq_u32 s23, 15
	s_mov_b64 s[0:1], -1
	s_cbranch_scc0 .LBB380_2912
; %bb.2911:
	v_cndmask_b32_e64 v3, 0, 1.0, s[6:7]
	v_bfe_u32 v4, v3, 16, 1
	s_movk_i32 s0, 0x7fff
	v_add3_u32 v3, v3, v4, s0
	global_store_short_d16_hi v[1:2], v3, off
	s_mov_b64 s[0:1], 0
	s_mov_b64 s[16:17], -1
.LBB380_2912:
	s_mov_b64 s[18:19], 0
.LBB380_2913:
	s_and_b64 vcc, exec, s[18:19]
	s_cbranch_vccz .LBB380_2915
; %bb.2914:
	s_cmp_lg_u32 s23, 11
	s_mov_b64 s[10:11], -1
	s_cselect_b64 s[0:1], -1, 0
.LBB380_2915:
	s_and_b64 vcc, exec, s[0:1]
	s_cbranch_vccnz .LBB380_3095
; %bb.2916:
	s_andn2_b64 vcc, exec, s[10:11]
	s_cbranch_vccnz .LBB380_2918
.LBB380_2917:
	v_cndmask_b32_e64 v3, 0, 1, s[6:7]
	s_mov_b64 s[16:17], -1
	global_store_byte v[1:2], v3, off
.LBB380_2918:
	s_mov_b64 s[0:1], 0
	s_branch .LBB380_2920
.LBB380_2919:
	s_mov_b64 s[0:1], -1
	s_mov_b64 s[16:17], 0
.LBB380_2920:
	s_and_b64 vcc, exec, s[0:1]
	s_cbranch_vccz .LBB380_2959
; %bb.2921:
	s_cmp_lt_i32 s23, 5
	s_mov_b64 s[0:1], -1
	s_cbranch_scc1 .LBB380_2942
; %bb.2922:
	s_cmp_lt_i32 s23, 8
	s_cbranch_scc1 .LBB380_2932
; %bb.2923:
	s_cmp_lt_i32 s23, 9
	s_cbranch_scc1 .LBB380_2929
; %bb.2924:
	s_cmp_gt_i32 s23, 9
	s_cbranch_scc0 .LBB380_2926
; %bb.2925:
	v_cndmask_b32_e64 v3, 0, 1, s[6:7]
	v_cvt_f64_u32_e32 v[3:4], v3
	v_mov_b32_e32 v5, 0
	v_mov_b32_e32 v6, v5
	s_mov_b64 s[0:1], 0
	global_store_dwordx4 v[1:2], v[3:6], off
.LBB380_2926:
	s_andn2_b64 vcc, exec, s[0:1]
	s_cbranch_vccnz .LBB380_2928
; %bb.2927:
	v_cndmask_b32_e64 v3, 0, 1.0, s[6:7]
	v_mov_b32_e32 v4, 0
	global_store_dwordx2 v[1:2], v[3:4], off
.LBB380_2928:
	s_mov_b64 s[0:1], 0
.LBB380_2929:
	s_andn2_b64 vcc, exec, s[0:1]
	s_cbranch_vccnz .LBB380_2931
; %bb.2930:
	v_cndmask_b32_e64 v3, 0, 1.0, s[6:7]
	v_cvt_f16_f32_e32 v3, v3
	global_store_dword v[1:2], v3, off
.LBB380_2931:
	s_mov_b64 s[0:1], 0
.LBB380_2932:
	s_andn2_b64 vcc, exec, s[0:1]
	s_cbranch_vccnz .LBB380_2941
; %bb.2933:
	s_cmp_lt_i32 s23, 6
	s_mov_b64 s[0:1], -1
	s_cbranch_scc1 .LBB380_2939
; %bb.2934:
	s_cmp_gt_i32 s23, 6
	s_cbranch_scc0 .LBB380_2936
; %bb.2935:
	v_cndmask_b32_e64 v3, 0, 1, s[6:7]
	v_cvt_f64_u32_e32 v[3:4], v3
	s_mov_b64 s[0:1], 0
	global_store_dwordx2 v[1:2], v[3:4], off
.LBB380_2936:
	s_andn2_b64 vcc, exec, s[0:1]
	s_cbranch_vccnz .LBB380_2938
; %bb.2937:
	v_cndmask_b32_e64 v3, 0, 1.0, s[6:7]
	global_store_dword v[1:2], v3, off
.LBB380_2938:
	s_mov_b64 s[0:1], 0
.LBB380_2939:
	s_andn2_b64 vcc, exec, s[0:1]
	s_cbranch_vccnz .LBB380_2941
; %bb.2940:
	v_cndmask_b32_e64 v3, 0, 1.0, s[6:7]
	v_cvt_f16_f32_e32 v3, v3
	global_store_short v[1:2], v3, off
.LBB380_2941:
	s_mov_b64 s[0:1], 0
.LBB380_2942:
	s_andn2_b64 vcc, exec, s[0:1]
	s_cbranch_vccnz .LBB380_2958
; %bb.2943:
	s_cmp_lt_i32 s23, 2
	s_mov_b64 s[0:1], -1
	s_cbranch_scc1 .LBB380_2953
; %bb.2944:
	s_cmp_lt_i32 s23, 3
	s_cbranch_scc1 .LBB380_2950
; %bb.2945:
	s_cmp_gt_i32 s23, 3
	s_cbranch_scc0 .LBB380_2947
; %bb.2946:
	s_mov_b32 s0, 0
	v_cndmask_b32_e64 v3, 0, 1, s[6:7]
	v_mov_b32_e32 v4, s0
	global_store_dwordx2 v[1:2], v[3:4], off
	s_mov_b64 s[0:1], 0
.LBB380_2947:
	s_andn2_b64 vcc, exec, s[0:1]
	s_cbranch_vccnz .LBB380_2949
; %bb.2948:
	v_cndmask_b32_e64 v3, 0, 1, s[6:7]
	global_store_dword v[1:2], v3, off
.LBB380_2949:
	s_mov_b64 s[0:1], 0
.LBB380_2950:
	s_andn2_b64 vcc, exec, s[0:1]
	s_cbranch_vccnz .LBB380_2952
; %bb.2951:
	v_cndmask_b32_e64 v3, 0, 1, s[6:7]
	global_store_short v[1:2], v3, off
.LBB380_2952:
	s_mov_b64 s[0:1], 0
.LBB380_2953:
	s_andn2_b64 vcc, exec, s[0:1]
	s_cbranch_vccnz .LBB380_2958
; %bb.2954:
	s_cmp_gt_i32 s23, 0
	s_mov_b64 s[0:1], -1
	s_cbranch_scc0 .LBB380_2956
; %bb.2955:
	v_cndmask_b32_e64 v3, 0, 1, s[6:7]
	global_store_byte v[1:2], v3, off
	s_mov_b64 s[0:1], 0
.LBB380_2956:
	s_andn2_b64 vcc, exec, s[0:1]
	s_cbranch_vccnz .LBB380_2958
; %bb.2957:
	v_cndmask_b32_e64 v3, 0, 1, s[6:7]
	global_store_byte v[1:2], v3, off
.LBB380_2958:
	s_mov_b64 s[16:17], -1
.LBB380_2959:
	s_andn2_b64 vcc, exec, s[16:17]
	s_cbranch_vccnz .LBB380_3036
; %bb.2960:
	s_waitcnt vmcnt(0)
	v_cmp_ne_u16_sdwa s[0:1], v13, v8 src0_sel:BYTE_0 src1_sel:BYTE_0
	s_xor_b64 s[10:11], s[2:3], s[0:1]
	v_mov_b32_e32 v1, s9
	v_add_co_u32_e32 v0, vcc, s8, v0
	s_cmp_lt_i32 s23, 11
	v_addc_co_u32_e32 v1, vcc, 0, v1, vcc
	s_cbranch_scc1 .LBB380_3081
; %bb.2961:
	s_mov_b64 s[6:7], -1
	s_mov_b64 s[2:3], 0
	s_cmp_gt_i32 s23, 25
	s_mov_b64 s[0:1], 0
	s_cbranch_scc0 .LBB380_2994
; %bb.2962:
	s_cmp_gt_i32 s23, 28
	s_cbranch_scc0 .LBB380_2978
; %bb.2963:
	s_cmp_gt_i32 s23, 43
	;; [unrolled: 3-line block ×3, first 2 shown]
	s_cbranch_scc0 .LBB380_2968
; %bb.2965:
	s_cmp_eq_u32 s23, 46
	s_mov_b64 s[0:1], -1
	s_cbranch_scc0 .LBB380_2967
; %bb.2966:
	v_cndmask_b32_e64 v2, 0, 1.0, s[10:11]
	v_bfe_u32 v3, v2, 16, 1
	s_movk_i32 s0, 0x7fff
	v_add3_u32 v2, v2, v3, s0
	v_lshrrev_b32_e32 v2, 16, v2
	global_store_dword v[0:1], v2, off
	s_mov_b64 s[0:1], 0
.LBB380_2967:
	s_mov_b64 s[6:7], 0
.LBB380_2968:
	s_and_b64 vcc, exec, s[6:7]
	s_cbranch_vccz .LBB380_2973
; %bb.2969:
	s_cmp_eq_u32 s23, 44
	s_mov_b64 s[0:1], -1
	s_cbranch_scc0 .LBB380_2973
; %bb.2970:
	v_cndmask_b32_e64 v3, 0, 1.0, s[10:11]
	v_lshrrev_b32_e32 v2, 23, v3
	s_movk_i32 s0, 0xff
	v_cmp_ne_u32_e32 vcc, s0, v2
	v_mov_b32_e32 v4, 0xff
	s_and_saveexec_b64 s[6:7], vcc
; %bb.2971:
	s_mov_b32 s0, 0x3fffff
	v_and_b32_e32 v4, 0x400000, v3
	v_and_or_b32 v3, v3, s0, v2
	v_cmp_ne_u32_e32 vcc, 0, v4
	v_cmp_ne_u32_e64 s[0:1], 0, v3
	s_and_b64 s[0:1], vcc, s[0:1]
	v_cndmask_b32_e64 v3, 0, 1, s[0:1]
	v_add_u32_e32 v4, v2, v3
; %bb.2972:
	s_or_b64 exec, exec, s[6:7]
	s_mov_b64 s[0:1], 0
	global_store_byte v[0:1], v4, off
.LBB380_2973:
	s_mov_b64 s[6:7], 0
.LBB380_2974:
	s_and_b64 vcc, exec, s[6:7]
	s_cbranch_vccz .LBB380_2977
; %bb.2975:
	s_cmp_eq_u32 s23, 29
	s_mov_b64 s[0:1], -1
	s_cbranch_scc0 .LBB380_2977
; %bb.2976:
	s_mov_b32 s0, 0
	v_cndmask_b32_e64 v2, 0, 1, s[10:11]
	v_mov_b32_e32 v3, s0
	global_store_dwordx2 v[0:1], v[2:3], off
	s_mov_b64 s[0:1], 0
.LBB380_2977:
	s_mov_b64 s[6:7], 0
.LBB380_2978:
	s_and_b64 vcc, exec, s[6:7]
	s_cbranch_vccz .LBB380_2993
; %bb.2979:
	s_cmp_lt_i32 s23, 27
	s_mov_b64 s[6:7], -1
	s_cbranch_scc1 .LBB380_2985
; %bb.2980:
	s_cmp_gt_i32 s23, 27
	v_cndmask_b32_e64 v2, 0, 1, s[10:11]
	s_cbranch_scc0 .LBB380_2982
; %bb.2981:
	global_store_dword v[0:1], v2, off
	s_mov_b64 s[6:7], 0
.LBB380_2982:
	s_andn2_b64 vcc, exec, s[6:7]
	s_cbranch_vccnz .LBB380_2984
; %bb.2983:
	global_store_short v[0:1], v2, off
.LBB380_2984:
	s_mov_b64 s[6:7], 0
.LBB380_2985:
	s_andn2_b64 vcc, exec, s[6:7]
	s_cbranch_vccnz .LBB380_2993
; %bb.2986:
	v_cndmask_b32_e64 v3, 0, 1.0, s[10:11]
	s_mov_b32 s6, 0x43800000
	v_cmp_gt_u32_e32 vcc, s6, v3
	v_mov_b32_e32 v4, 0x80
	s_and_saveexec_b64 s[6:7], vcc
	s_cbranch_execz .LBB380_2992
; %bb.2987:
	s_mov_b32 s8, 0x3bffffff
	v_cmp_lt_u32_e32 vcc, s8, v3
	s_mov_b64 s[8:9], 0
                                        ; implicit-def: $vgpr2
	s_and_saveexec_b64 s[16:17], vcc
	s_xor_b64 s[16:17], exec, s[16:17]
	s_cbranch_execz .LBB380_3098
; %bb.2988:
	v_bfe_u32 v2, v3, 20, 1
	s_mov_b32 s18, 0x487ffff
	v_add3_u32 v2, v3, v2, s18
	s_mov_b64 s[8:9], exec
	v_lshrrev_b32_e32 v2, 20, v2
                                        ; implicit-def: $vgpr3
	s_andn2_saveexec_b64 s[16:17], s[16:17]
	s_cbranch_execnz .LBB380_3099
.LBB380_2989:
	s_or_b64 exec, exec, s[16:17]
	v_mov_b32_e32 v4, 0
	s_and_saveexec_b64 s[16:17], s[8:9]
.LBB380_2990:
	v_mov_b32_e32 v4, v2
.LBB380_2991:
	s_or_b64 exec, exec, s[16:17]
.LBB380_2992:
	s_or_b64 exec, exec, s[6:7]
	global_store_byte v[0:1], v4, off
.LBB380_2993:
	s_mov_b64 s[6:7], 0
.LBB380_2994:
	s_and_b64 vcc, exec, s[6:7]
	s_cbranch_vccz .LBB380_3034
; %bb.2995:
	s_cmp_gt_i32 s23, 22
	s_mov_b64 s[2:3], -1
	s_cbranch_scc0 .LBB380_3027
; %bb.2996:
	s_cmp_lt_i32 s23, 24
	s_cbranch_scc1 .LBB380_3016
; %bb.2997:
	s_cmp_gt_i32 s23, 24
	s_cbranch_scc0 .LBB380_3005
; %bb.2998:
	v_cndmask_b32_e64 v3, 0, 1.0, s[10:11]
	s_mov_b32 s2, 0x47800000
	v_cmp_gt_u32_e32 vcc, s2, v3
	v_mov_b32_e32 v4, 0x80
	s_and_saveexec_b64 s[2:3], vcc
	s_cbranch_execz .LBB380_3004
; %bb.2999:
	s_mov_b32 s6, 0x37ffffff
	v_cmp_lt_u32_e32 vcc, s6, v3
	s_mov_b64 s[6:7], 0
                                        ; implicit-def: $vgpr2
	s_and_saveexec_b64 s[8:9], vcc
	s_xor_b64 s[8:9], exec, s[8:9]
	s_cbranch_execz .LBB380_3101
; %bb.3000:
	v_bfe_u32 v2, v3, 21, 1
	s_mov_b32 s16, 0x88fffff
	v_add3_u32 v2, v3, v2, s16
	s_mov_b64 s[6:7], exec
	v_lshrrev_b32_e32 v2, 21, v2
                                        ; implicit-def: $vgpr3
	s_andn2_saveexec_b64 s[8:9], s[8:9]
	s_cbranch_execnz .LBB380_3102
.LBB380_3001:
	s_or_b64 exec, exec, s[8:9]
	v_mov_b32_e32 v4, 0
	s_and_saveexec_b64 s[8:9], s[6:7]
.LBB380_3002:
	v_mov_b32_e32 v4, v2
.LBB380_3003:
	s_or_b64 exec, exec, s[8:9]
.LBB380_3004:
	s_or_b64 exec, exec, s[2:3]
	s_mov_b64 s[2:3], 0
	global_store_byte v[0:1], v4, off
.LBB380_3005:
	s_and_b64 vcc, exec, s[2:3]
	s_cbranch_vccz .LBB380_3015
; %bb.3006:
	v_cndmask_b32_e64 v2, 0, 1.0, s[10:11]
	s_mov_b32 s2, 0x43f00000
	v_cmp_gt_u32_e32 vcc, s2, v2
                                        ; implicit-def: $vgpr3
	s_and_saveexec_b64 s[2:3], vcc
	s_xor_b64 s[2:3], exec, s[2:3]
	s_cbranch_execz .LBB380_3012
; %bb.3007:
	s_mov_b32 s6, 0x3c7fffff
	v_cmp_lt_u32_e32 vcc, s6, v2
                                        ; implicit-def: $vgpr3
	s_and_saveexec_b64 s[6:7], vcc
	s_xor_b64 s[6:7], exec, s[6:7]
; %bb.3008:
	v_bfe_u32 v3, v2, 20, 1
	s_mov_b32 s8, 0x407ffff
	v_add3_u32 v2, v2, v3, s8
	v_lshrrev_b32_e32 v3, 20, v2
	v_and_b32_e32 v2, 0xff00000, v2
	s_mov_b32 s8, 0x7f00000
	v_mov_b32_e32 v4, 0x7e
	v_cmp_ne_u32_e32 vcc, s8, v2
	v_cndmask_b32_e32 v3, v4, v3, vcc
                                        ; implicit-def: $vgpr2
; %bb.3009:
	s_andn2_saveexec_b64 s[6:7], s[6:7]
; %bb.3010:
	v_add_f32_e32 v3, 0x46800000, v2
; %bb.3011:
	s_or_b64 exec, exec, s[6:7]
                                        ; implicit-def: $vgpr2
.LBB380_3012:
	s_andn2_saveexec_b64 s[2:3], s[2:3]
; %bb.3013:
	s_mov_b32 s6, 0x7f800000
	v_mov_b32_e32 v3, 0x7e
	v_mov_b32_e32 v4, 0x7f
	v_cmp_lt_u32_e32 vcc, s6, v2
	v_cndmask_b32_e32 v3, v3, v4, vcc
; %bb.3014:
	s_or_b64 exec, exec, s[2:3]
	global_store_byte v[0:1], v3, off
.LBB380_3015:
	s_mov_b64 s[2:3], 0
.LBB380_3016:
	s_andn2_b64 vcc, exec, s[2:3]
	s_cbranch_vccnz .LBB380_3026
; %bb.3017:
	v_cndmask_b32_e64 v2, 0, 1.0, s[10:11]
	s_mov_b32 s2, 0x47800000
	v_cmp_gt_u32_e32 vcc, s2, v2
                                        ; implicit-def: $vgpr3
	s_and_saveexec_b64 s[2:3], vcc
	s_xor_b64 s[2:3], exec, s[2:3]
	s_cbranch_execz .LBB380_3023
; %bb.3018:
	s_mov_b32 s6, 0x387fffff
	v_cmp_lt_u32_e32 vcc, s6, v2
                                        ; implicit-def: $vgpr3
	s_and_saveexec_b64 s[6:7], vcc
	s_xor_b64 s[6:7], exec, s[6:7]
; %bb.3019:
	v_bfe_u32 v3, v2, 21, 1
	s_mov_b32 s8, 0x80fffff
	v_add3_u32 v2, v2, v3, s8
	v_lshrrev_b32_e32 v3, 21, v2
                                        ; implicit-def: $vgpr2
; %bb.3020:
	s_andn2_saveexec_b64 s[6:7], s[6:7]
; %bb.3021:
	v_add_f32_e32 v3, 0x43000000, v2
; %bb.3022:
	s_or_b64 exec, exec, s[6:7]
                                        ; implicit-def: $vgpr2
.LBB380_3023:
	s_andn2_saveexec_b64 s[2:3], s[2:3]
; %bb.3024:
	s_mov_b32 s6, 0x7f800000
	v_mov_b32_e32 v3, 0x7c
	v_mov_b32_e32 v4, 0x7f
	v_cmp_lt_u32_e32 vcc, s6, v2
	v_cndmask_b32_e32 v3, v3, v4, vcc
; %bb.3025:
	s_or_b64 exec, exec, s[2:3]
	global_store_byte v[0:1], v3, off
.LBB380_3026:
	s_mov_b64 s[2:3], 0
.LBB380_3027:
	s_andn2_b64 vcc, exec, s[2:3]
	s_mov_b64 s[2:3], 0
	s_cbranch_vccnz .LBB380_3034
; %bb.3028:
	s_cmp_gt_i32 s23, 14
	s_mov_b64 s[6:7], -1
	s_cbranch_scc0 .LBB380_3032
; %bb.3029:
	s_cmp_eq_u32 s23, 15
	s_mov_b64 s[0:1], -1
	s_cbranch_scc0 .LBB380_3031
; %bb.3030:
	v_cndmask_b32_e64 v2, 0, 1.0, s[10:11]
	v_bfe_u32 v3, v2, 16, 1
	s_movk_i32 s0, 0x7fff
	v_add3_u32 v2, v2, v3, s0
	global_store_short_d16_hi v[0:1], v2, off
	s_mov_b64 s[0:1], 0
.LBB380_3031:
	s_mov_b64 s[6:7], 0
.LBB380_3032:
	s_and_b64 vcc, exec, s[6:7]
	s_cbranch_vccz .LBB380_3034
; %bb.3033:
	s_cmp_lg_u32 s23, 11
	s_mov_b64 s[2:3], -1
	s_cselect_b64 s[0:1], -1, 0
.LBB380_3034:
	s_and_b64 vcc, exec, s[0:1]
	s_cbranch_vccnz .LBB380_3100
.LBB380_3035:
	s_mov_b64 s[0:1], 0
	s_branch .LBB380_3037
.LBB380_3036:
	s_mov_b64 s[0:1], 0
	s_mov_b64 s[2:3], 0
                                        ; implicit-def: $sgpr10_sgpr11
                                        ; implicit-def: $vgpr0_vgpr1
                                        ; implicit-def: $sgpr22
.LBB380_3037:
	s_and_b64 s[6:7], s[2:3], exec
	s_andn2_b64 s[2:3], s[12:13], exec
	s_and_b64 s[4:5], s[4:5], exec
	s_and_b64 s[0:1], s[0:1], exec
	s_or_b64 s[12:13], s[2:3], s[4:5]
.LBB380_3038:
	s_or_b64 exec, exec, s[14:15]
	s_and_saveexec_b64 s[2:3], s[12:13]
	s_cbranch_execz .LBB380_3041
; %bb.3039:
	; divergent unreachable
	s_or_b64 exec, exec, s[2:3]
	s_and_saveexec_b64 s[2:3], s[6:7]
	s_xor_b64 s[2:3], exec, s[2:3]
	s_cbranch_execnz .LBB380_3042
.LBB380_3040:
	s_or_b64 exec, exec, s[2:3]
	s_and_saveexec_b64 s[2:3], s[0:1]
	s_cbranch_execnz .LBB380_3043
	s_branch .LBB380_3080
.LBB380_3041:
	s_or_b64 exec, exec, s[2:3]
	s_and_saveexec_b64 s[2:3], s[6:7]
	s_xor_b64 s[2:3], exec, s[2:3]
	s_cbranch_execz .LBB380_3040
.LBB380_3042:
	s_waitcnt vmcnt(0)
	v_cndmask_b32_e64 v2, 0, 1, s[10:11]
	global_store_byte v[0:1], v2, off
	s_or_b64 exec, exec, s[2:3]
	s_and_saveexec_b64 s[2:3], s[0:1]
	s_cbranch_execz .LBB380_3080
.LBB380_3043:
	s_sext_i32_i16 s2, s22
	s_cmp_lt_i32 s2, 5
	s_mov_b64 s[0:1], -1
	s_cbranch_scc1 .LBB380_3064
; %bb.3044:
	s_cmp_lt_i32 s2, 8
	s_cbranch_scc1 .LBB380_3054
; %bb.3045:
	s_cmp_lt_i32 s2, 9
	s_cbranch_scc1 .LBB380_3051
; %bb.3046:
	s_cmp_gt_i32 s2, 9
	s_cbranch_scc0 .LBB380_3048
; %bb.3047:
	s_waitcnt vmcnt(0)
	v_cndmask_b32_e64 v2, 0, 1, s[10:11]
	v_cvt_f64_u32_e32 v[2:3], v2
	v_mov_b32_e32 v4, 0
	v_mov_b32_e32 v5, v4
	s_mov_b64 s[0:1], 0
	global_store_dwordx4 v[0:1], v[2:5], off
.LBB380_3048:
	s_andn2_b64 vcc, exec, s[0:1]
	s_cbranch_vccnz .LBB380_3050
; %bb.3049:
	s_waitcnt vmcnt(0)
	v_cndmask_b32_e64 v2, 0, 1.0, s[10:11]
	v_mov_b32_e32 v3, 0
	global_store_dwordx2 v[0:1], v[2:3], off
.LBB380_3050:
	s_mov_b64 s[0:1], 0
.LBB380_3051:
	s_andn2_b64 vcc, exec, s[0:1]
	s_cbranch_vccnz .LBB380_3053
; %bb.3052:
	s_waitcnt vmcnt(0)
	v_cndmask_b32_e64 v2, 0, 1.0, s[10:11]
	v_cvt_f16_f32_e32 v2, v2
	global_store_dword v[0:1], v2, off
.LBB380_3053:
	s_mov_b64 s[0:1], 0
.LBB380_3054:
	s_andn2_b64 vcc, exec, s[0:1]
	s_cbranch_vccnz .LBB380_3063
; %bb.3055:
	s_sext_i32_i16 s2, s22
	s_cmp_lt_i32 s2, 6
	s_mov_b64 s[0:1], -1
	s_cbranch_scc1 .LBB380_3061
; %bb.3056:
	s_cmp_gt_i32 s2, 6
	s_cbranch_scc0 .LBB380_3058
; %bb.3057:
	s_waitcnt vmcnt(0)
	v_cndmask_b32_e64 v2, 0, 1, s[10:11]
	v_cvt_f64_u32_e32 v[2:3], v2
	s_mov_b64 s[0:1], 0
	global_store_dwordx2 v[0:1], v[2:3], off
.LBB380_3058:
	s_andn2_b64 vcc, exec, s[0:1]
	s_cbranch_vccnz .LBB380_3060
; %bb.3059:
	s_waitcnt vmcnt(0)
	v_cndmask_b32_e64 v2, 0, 1.0, s[10:11]
	global_store_dword v[0:1], v2, off
.LBB380_3060:
	s_mov_b64 s[0:1], 0
.LBB380_3061:
	s_andn2_b64 vcc, exec, s[0:1]
	s_cbranch_vccnz .LBB380_3063
; %bb.3062:
	s_waitcnt vmcnt(0)
	v_cndmask_b32_e64 v2, 0, 1.0, s[10:11]
	v_cvt_f16_f32_e32 v2, v2
	global_store_short v[0:1], v2, off
.LBB380_3063:
	s_mov_b64 s[0:1], 0
.LBB380_3064:
	s_andn2_b64 vcc, exec, s[0:1]
	s_cbranch_vccnz .LBB380_3080
; %bb.3065:
	s_sext_i32_i16 s2, s22
	s_cmp_lt_i32 s2, 2
	s_mov_b64 s[0:1], -1
	s_cbranch_scc1 .LBB380_3075
; %bb.3066:
	s_cmp_lt_i32 s2, 3
	s_cbranch_scc1 .LBB380_3072
; %bb.3067:
	s_cmp_gt_i32 s2, 3
	s_cbranch_scc0 .LBB380_3069
; %bb.3068:
	s_mov_b32 s0, 0
	s_waitcnt vmcnt(0)
	v_cndmask_b32_e64 v2, 0, 1, s[10:11]
	v_mov_b32_e32 v3, s0
	global_store_dwordx2 v[0:1], v[2:3], off
	s_mov_b64 s[0:1], 0
.LBB380_3069:
	s_andn2_b64 vcc, exec, s[0:1]
	s_cbranch_vccnz .LBB380_3071
; %bb.3070:
	s_waitcnt vmcnt(0)
	v_cndmask_b32_e64 v2, 0, 1, s[10:11]
	global_store_dword v[0:1], v2, off
.LBB380_3071:
	s_mov_b64 s[0:1], 0
.LBB380_3072:
	s_andn2_b64 vcc, exec, s[0:1]
	s_cbranch_vccnz .LBB380_3074
; %bb.3073:
	s_waitcnt vmcnt(0)
	v_cndmask_b32_e64 v2, 0, 1, s[10:11]
	global_store_short v[0:1], v2, off
.LBB380_3074:
	s_mov_b64 s[0:1], 0
.LBB380_3075:
	s_andn2_b64 vcc, exec, s[0:1]
	s_cbranch_vccnz .LBB380_3080
; %bb.3076:
	s_sext_i32_i16 s0, s22
	s_cmp_gt_i32 s0, 0
	s_mov_b64 s[0:1], -1
	s_cbranch_scc0 .LBB380_3078
; %bb.3077:
	s_waitcnt vmcnt(0)
	v_cndmask_b32_e64 v2, 0, 1, s[10:11]
	global_store_byte v[0:1], v2, off
	s_mov_b64 s[0:1], 0
.LBB380_3078:
	s_andn2_b64 vcc, exec, s[0:1]
	s_cbranch_vccnz .LBB380_3080
; %bb.3079:
	s_waitcnt vmcnt(0)
	v_cndmask_b32_e64 v2, 0, 1, s[10:11]
	global_store_byte v[0:1], v2, off
	s_endpgm
.LBB380_3080:
	s_endpgm
.LBB380_3081:
	s_mov_b64 s[2:3], 0
	s_mov_b64 s[0:1], -1
	s_branch .LBB380_3037
.LBB380_3082:
	s_trap 2
	s_or_b64 s[4:5], s[4:5], exec
	s_cbranch_execz .LBB380_2551
	s_branch .LBB380_2552
.LBB380_3083:
	s_andn2_saveexec_b64 s[20:21], s[20:21]
	s_cbranch_execz .LBB380_2631
.LBB380_3084:
	v_add_f32_e32 v1, 0x46000000, v3
	v_and_b32_e32 v1, 0xff, v1
	v_cmp_ne_u32_e32 vcc, 0, v1
	s_andn2_b64 s[18:19], s[18:19], exec
	s_and_b64 s[24:25], vcc, exec
	s_or_b64 s[18:19], s[18:19], s[24:25]
	s_or_b64 exec, exec, s[20:21]
	v_mov_b32_e32 v7, 0
	s_and_saveexec_b64 s[20:21], s[18:19]
	s_cbranch_execnz .LBB380_2632
	s_branch .LBB380_2633
.LBB380_3085:
	s_trap 2
	s_or_b64 s[4:5], s[4:5], exec
	s_cbranch_execz .LBB380_2679
	s_branch .LBB380_2680
.LBB380_3086:
	s_andn2_saveexec_b64 s[18:19], s[18:19]
	s_cbranch_execz .LBB380_2644
.LBB380_3087:
	v_add_f32_e32 v1, 0x42800000, v3
	v_and_b32_e32 v1, 0xff, v1
	v_cmp_ne_u32_e32 vcc, 0, v1
	s_andn2_b64 s[16:17], s[16:17], exec
	s_and_b64 s[20:21], vcc, exec
	s_or_b64 s[16:17], s[16:17], s[20:21]
	s_or_b64 exec, exec, s[18:19]
	v_mov_b32_e32 v7, 0
	s_and_saveexec_b64 s[18:19], s[16:17]
	s_cbranch_execnz .LBB380_2645
	s_branch .LBB380_2646
.LBB380_3088:
	s_andn2_saveexec_b64 s[20:21], s[20:21]
	s_cbranch_execz .LBB380_2750
.LBB380_3089:
	v_add_f32_e32 v1, 0x46000000, v5
	v_and_b32_e32 v1, 0xff, v1
	v_cmp_ne_u32_e32 vcc, 0, v1
	s_andn2_b64 s[18:19], s[18:19], exec
	s_and_b64 s[24:25], vcc, exec
	s_or_b64 s[18:19], s[18:19], s[24:25]
	s_or_b64 exec, exec, s[20:21]
	v_mov_b32_e32 v6, 0
	s_and_saveexec_b64 s[20:21], s[18:19]
	s_cbranch_execnz .LBB380_2751
	s_branch .LBB380_2752
.LBB380_3090:
	s_trap 2
	s_or_b64 s[4:5], s[4:5], exec
	s_cbranch_execz .LBB380_2798
	s_branch .LBB380_2799
.LBB380_3091:
	s_andn2_saveexec_b64 s[18:19], s[18:19]
	s_cbranch_execz .LBB380_2763
.LBB380_3092:
	v_add_f32_e32 v1, 0x42800000, v5
	v_and_b32_e32 v1, 0xff, v1
	v_cmp_ne_u32_e32 vcc, 0, v1
	s_andn2_b64 s[16:17], s[16:17], exec
	s_and_b64 s[20:21], vcc, exec
	s_or_b64 s[16:17], s[16:17], s[20:21]
	s_or_b64 exec, exec, s[18:19]
	v_mov_b32_e32 v6, 0
	s_and_saveexec_b64 s[18:19], s[16:17]
	s_cbranch_execnz .LBB380_2764
	s_branch .LBB380_2765
.LBB380_3093:
	s_andn2_saveexec_b64 s[20:21], s[20:21]
	s_cbranch_execz .LBB380_2869
.LBB380_3094:
	v_add_f32_e32 v3, 0x46000000, v4
	v_and_b32_e32 v3, 0xff, v3
	v_cmp_ne_u32_e32 vcc, 0, v3
	s_andn2_b64 s[18:19], s[18:19], exec
	s_and_b64 s[24:25], vcc, exec
	s_or_b64 s[18:19], s[18:19], s[24:25]
	s_or_b64 exec, exec, s[20:21]
	v_mov_b32_e32 v5, 0
	s_and_saveexec_b64 s[20:21], s[18:19]
	s_cbranch_execnz .LBB380_2870
	s_branch .LBB380_2871
.LBB380_3095:
	s_trap 2
	s_or_b64 s[4:5], s[4:5], exec
	s_cbranch_execz .LBB380_2917
	s_branch .LBB380_2918
.LBB380_3096:
	s_andn2_saveexec_b64 s[18:19], s[18:19]
	s_cbranch_execz .LBB380_2882
.LBB380_3097:
	v_add_f32_e32 v3, 0x42800000, v4
	v_and_b32_e32 v3, 0xff, v3
	v_cmp_ne_u32_e32 vcc, 0, v3
	s_andn2_b64 s[16:17], s[16:17], exec
	s_and_b64 s[20:21], vcc, exec
	s_or_b64 s[16:17], s[16:17], s[20:21]
	s_or_b64 exec, exec, s[18:19]
	v_mov_b32_e32 v5, 0
	s_and_saveexec_b64 s[18:19], s[16:17]
	s_cbranch_execnz .LBB380_2883
	s_branch .LBB380_2884
.LBB380_3098:
	s_andn2_saveexec_b64 s[16:17], s[16:17]
	s_cbranch_execz .LBB380_2989
.LBB380_3099:
	v_add_f32_e32 v2, 0x46000000, v3
	v_and_b32_e32 v2, 0xff, v2
	v_cmp_ne_u32_e32 vcc, 0, v2
	s_andn2_b64 s[8:9], s[8:9], exec
	s_and_b64 s[18:19], vcc, exec
	s_or_b64 s[8:9], s[8:9], s[18:19]
	s_or_b64 exec, exec, s[16:17]
	v_mov_b32_e32 v4, 0
	s_and_saveexec_b64 s[16:17], s[8:9]
	s_cbranch_execnz .LBB380_2990
	s_branch .LBB380_2991
.LBB380_3100:
	s_mov_b64 s[2:3], 0
	s_or_b64 s[4:5], s[4:5], exec
	s_trap 2
	s_branch .LBB380_3035
.LBB380_3101:
	s_andn2_saveexec_b64 s[8:9], s[8:9]
	s_cbranch_execz .LBB380_3001
.LBB380_3102:
	v_add_f32_e32 v2, 0x42800000, v3
	v_and_b32_e32 v2, 0xff, v2
	v_cmp_ne_u32_e32 vcc, 0, v2
	s_andn2_b64 s[6:7], s[6:7], exec
	s_and_b64 s[16:17], vcc, exec
	s_or_b64 s[6:7], s[6:7], s[16:17]
	s_or_b64 exec, exec, s[8:9]
	v_mov_b32_e32 v4, 0
	s_and_saveexec_b64 s[8:9], s[6:7]
	s_cbranch_execnz .LBB380_3002
	s_branch .LBB380_3003
	.section	.rodata,"a",@progbits
	.p2align	6, 0x0
	.amdhsa_kernel _ZN2at6native32elementwise_kernel_manual_unrollILi128ELi4EZNS0_15gpu_kernel_implINS0_13BinaryFunctorIN3c1016Float4_e2m1fn_x2ES5_bNS0_12_GLOBAL__N_116CompareEqFunctorIS5_EEEEEEvRNS_18TensorIteratorBaseERKT_EUlibE0_EEviT1_
		.amdhsa_group_segment_fixed_size 0
		.amdhsa_private_segment_fixed_size 0
		.amdhsa_kernarg_size 432
		.amdhsa_user_sgpr_count 6
		.amdhsa_user_sgpr_private_segment_buffer 1
		.amdhsa_user_sgpr_dispatch_ptr 0
		.amdhsa_user_sgpr_queue_ptr 0
		.amdhsa_user_sgpr_kernarg_segment_ptr 1
		.amdhsa_user_sgpr_dispatch_id 0
		.amdhsa_user_sgpr_flat_scratch_init 0
		.amdhsa_user_sgpr_private_segment_size 0
		.amdhsa_uses_dynamic_stack 0
		.amdhsa_system_sgpr_private_segment_wavefront_offset 0
		.amdhsa_system_sgpr_workgroup_id_x 1
		.amdhsa_system_sgpr_workgroup_id_y 0
		.amdhsa_system_sgpr_workgroup_id_z 0
		.amdhsa_system_sgpr_workgroup_info 0
		.amdhsa_system_vgpr_workitem_id 0
		.amdhsa_next_free_vgpr 23
		.amdhsa_next_free_sgpr 80
		.amdhsa_reserve_vcc 1
		.amdhsa_reserve_flat_scratch 0
		.amdhsa_float_round_mode_32 0
		.amdhsa_float_round_mode_16_64 0
		.amdhsa_float_denorm_mode_32 3
		.amdhsa_float_denorm_mode_16_64 3
		.amdhsa_dx10_clamp 1
		.amdhsa_ieee_mode 1
		.amdhsa_fp16_overflow 0
		.amdhsa_exception_fp_ieee_invalid_op 0
		.amdhsa_exception_fp_denorm_src 0
		.amdhsa_exception_fp_ieee_div_zero 0
		.amdhsa_exception_fp_ieee_overflow 0
		.amdhsa_exception_fp_ieee_underflow 0
		.amdhsa_exception_fp_ieee_inexact 0
		.amdhsa_exception_int_div_zero 0
	.end_amdhsa_kernel
	.section	.text._ZN2at6native32elementwise_kernel_manual_unrollILi128ELi4EZNS0_15gpu_kernel_implINS0_13BinaryFunctorIN3c1016Float4_e2m1fn_x2ES5_bNS0_12_GLOBAL__N_116CompareEqFunctorIS5_EEEEEEvRNS_18TensorIteratorBaseERKT_EUlibE0_EEviT1_,"axG",@progbits,_ZN2at6native32elementwise_kernel_manual_unrollILi128ELi4EZNS0_15gpu_kernel_implINS0_13BinaryFunctorIN3c1016Float4_e2m1fn_x2ES5_bNS0_12_GLOBAL__N_116CompareEqFunctorIS5_EEEEEEvRNS_18TensorIteratorBaseERKT_EUlibE0_EEviT1_,comdat
.Lfunc_end380:
	.size	_ZN2at6native32elementwise_kernel_manual_unrollILi128ELi4EZNS0_15gpu_kernel_implINS0_13BinaryFunctorIN3c1016Float4_e2m1fn_x2ES5_bNS0_12_GLOBAL__N_116CompareEqFunctorIS5_EEEEEEvRNS_18TensorIteratorBaseERKT_EUlibE0_EEviT1_, .Lfunc_end380-_ZN2at6native32elementwise_kernel_manual_unrollILi128ELi4EZNS0_15gpu_kernel_implINS0_13BinaryFunctorIN3c1016Float4_e2m1fn_x2ES5_bNS0_12_GLOBAL__N_116CompareEqFunctorIS5_EEEEEEvRNS_18TensorIteratorBaseERKT_EUlibE0_EEviT1_
                                        ; -- End function
	.set _ZN2at6native32elementwise_kernel_manual_unrollILi128ELi4EZNS0_15gpu_kernel_implINS0_13BinaryFunctorIN3c1016Float4_e2m1fn_x2ES5_bNS0_12_GLOBAL__N_116CompareEqFunctorIS5_EEEEEEvRNS_18TensorIteratorBaseERKT_EUlibE0_EEviT1_.num_vgpr, 23
	.set _ZN2at6native32elementwise_kernel_manual_unrollILi128ELi4EZNS0_15gpu_kernel_implINS0_13BinaryFunctorIN3c1016Float4_e2m1fn_x2ES5_bNS0_12_GLOBAL__N_116CompareEqFunctorIS5_EEEEEEvRNS_18TensorIteratorBaseERKT_EUlibE0_EEviT1_.num_agpr, 0
	.set _ZN2at6native32elementwise_kernel_manual_unrollILi128ELi4EZNS0_15gpu_kernel_implINS0_13BinaryFunctorIN3c1016Float4_e2m1fn_x2ES5_bNS0_12_GLOBAL__N_116CompareEqFunctorIS5_EEEEEEvRNS_18TensorIteratorBaseERKT_EUlibE0_EEviT1_.numbered_sgpr, 80
	.set _ZN2at6native32elementwise_kernel_manual_unrollILi128ELi4EZNS0_15gpu_kernel_implINS0_13BinaryFunctorIN3c1016Float4_e2m1fn_x2ES5_bNS0_12_GLOBAL__N_116CompareEqFunctorIS5_EEEEEEvRNS_18TensorIteratorBaseERKT_EUlibE0_EEviT1_.num_named_barrier, 0
	.set _ZN2at6native32elementwise_kernel_manual_unrollILi128ELi4EZNS0_15gpu_kernel_implINS0_13BinaryFunctorIN3c1016Float4_e2m1fn_x2ES5_bNS0_12_GLOBAL__N_116CompareEqFunctorIS5_EEEEEEvRNS_18TensorIteratorBaseERKT_EUlibE0_EEviT1_.private_seg_size, 0
	.set _ZN2at6native32elementwise_kernel_manual_unrollILi128ELi4EZNS0_15gpu_kernel_implINS0_13BinaryFunctorIN3c1016Float4_e2m1fn_x2ES5_bNS0_12_GLOBAL__N_116CompareEqFunctorIS5_EEEEEEvRNS_18TensorIteratorBaseERKT_EUlibE0_EEviT1_.uses_vcc, 1
	.set _ZN2at6native32elementwise_kernel_manual_unrollILi128ELi4EZNS0_15gpu_kernel_implINS0_13BinaryFunctorIN3c1016Float4_e2m1fn_x2ES5_bNS0_12_GLOBAL__N_116CompareEqFunctorIS5_EEEEEEvRNS_18TensorIteratorBaseERKT_EUlibE0_EEviT1_.uses_flat_scratch, 0
	.set _ZN2at6native32elementwise_kernel_manual_unrollILi128ELi4EZNS0_15gpu_kernel_implINS0_13BinaryFunctorIN3c1016Float4_e2m1fn_x2ES5_bNS0_12_GLOBAL__N_116CompareEqFunctorIS5_EEEEEEvRNS_18TensorIteratorBaseERKT_EUlibE0_EEviT1_.has_dyn_sized_stack, 0
	.set _ZN2at6native32elementwise_kernel_manual_unrollILi128ELi4EZNS0_15gpu_kernel_implINS0_13BinaryFunctorIN3c1016Float4_e2m1fn_x2ES5_bNS0_12_GLOBAL__N_116CompareEqFunctorIS5_EEEEEEvRNS_18TensorIteratorBaseERKT_EUlibE0_EEviT1_.has_recursion, 0
	.set _ZN2at6native32elementwise_kernel_manual_unrollILi128ELi4EZNS0_15gpu_kernel_implINS0_13BinaryFunctorIN3c1016Float4_e2m1fn_x2ES5_bNS0_12_GLOBAL__N_116CompareEqFunctorIS5_EEEEEEvRNS_18TensorIteratorBaseERKT_EUlibE0_EEviT1_.has_indirect_call, 0
	.section	.AMDGPU.csdata,"",@progbits
; Kernel info:
; codeLenInByte = 47620
; TotalNumSgprs: 84
; NumVgprs: 23
; ScratchSize: 0
; MemoryBound: 1
; FloatMode: 240
; IeeeMode: 1
; LDSByteSize: 0 bytes/workgroup (compile time only)
; SGPRBlocks: 10
; VGPRBlocks: 5
; NumSGPRsForWavesPerEU: 84
; NumVGPRsForWavesPerEU: 23
; Occupancy: 9
; WaveLimiterHint : 1
; COMPUTE_PGM_RSRC2:SCRATCH_EN: 0
; COMPUTE_PGM_RSRC2:USER_SGPR: 6
; COMPUTE_PGM_RSRC2:TRAP_HANDLER: 0
; COMPUTE_PGM_RSRC2:TGID_X_EN: 1
; COMPUTE_PGM_RSRC2:TGID_Y_EN: 0
; COMPUTE_PGM_RSRC2:TGID_Z_EN: 0
; COMPUTE_PGM_RSRC2:TIDIG_COMP_CNT: 0
	.section	.text._ZN2at6native29vectorized_elementwise_kernelILi16ENS0_13AUnaryFunctorIN3c1016Float4_e2m1fn_x2ES4_bNS0_12_GLOBAL__N_116CompareEqFunctorIS4_EEEESt5arrayIPcLm2EEEEviT0_T1_,"axG",@progbits,_ZN2at6native29vectorized_elementwise_kernelILi16ENS0_13AUnaryFunctorIN3c1016Float4_e2m1fn_x2ES4_bNS0_12_GLOBAL__N_116CompareEqFunctorIS4_EEEESt5arrayIPcLm2EEEEviT0_T1_,comdat
	.globl	_ZN2at6native29vectorized_elementwise_kernelILi16ENS0_13AUnaryFunctorIN3c1016Float4_e2m1fn_x2ES4_bNS0_12_GLOBAL__N_116CompareEqFunctorIS4_EEEESt5arrayIPcLm2EEEEviT0_T1_ ; -- Begin function _ZN2at6native29vectorized_elementwise_kernelILi16ENS0_13AUnaryFunctorIN3c1016Float4_e2m1fn_x2ES4_bNS0_12_GLOBAL__N_116CompareEqFunctorIS4_EEEESt5arrayIPcLm2EEEEviT0_T1_
	.p2align	8
	.type	_ZN2at6native29vectorized_elementwise_kernelILi16ENS0_13AUnaryFunctorIN3c1016Float4_e2m1fn_x2ES4_bNS0_12_GLOBAL__N_116CompareEqFunctorIS4_EEEESt5arrayIPcLm2EEEEviT0_T1_,@function
_ZN2at6native29vectorized_elementwise_kernelILi16ENS0_13AUnaryFunctorIN3c1016Float4_e2m1fn_x2ES4_bNS0_12_GLOBAL__N_116CompareEqFunctorIS4_EEEESt5arrayIPcLm2EEEEviT0_T1_: ; @_ZN2at6native29vectorized_elementwise_kernelILi16ENS0_13AUnaryFunctorIN3c1016Float4_e2m1fn_x2ES4_bNS0_12_GLOBAL__N_116CompareEqFunctorIS4_EEEESt5arrayIPcLm2EEEEviT0_T1_
; %bb.0:
	s_load_dwordx8 s[8:15], s[4:5], 0x0
	s_waitcnt lgkmcnt(0)
	s_lshl_b32 s11, s6, 12
	s_mov_b64 s[0:1], -1
	s_sub_i32 s8, s8, s11
	s_cmpk_gt_i32 s8, 0xfff
	s_cbranch_scc0 .LBB381_2
; %bb.1:
	s_ashr_i32 s30, s11, 31
	s_add_u32 s0, s14, s11
	s_addc_u32 s1, s15, s30
	v_lshlrev_b32_e32 v5, 4, v0
	global_load_dwordx4 v[1:4], v5, s[0:1]
	s_cmp_eq_u32 s9, 0
	s_movk_i32 s0, 0xff
	s_cselect_b64 s[6:7], -1, 0
	s_and_b32 s31, s10, 0xff
	s_waitcnt vmcnt(0)
	v_and_b32_sdwa v7, v1, s0 dst_sel:DWORD dst_unused:UNUSED_PAD src0_sel:WORD_1 src1_sel:DWORD
	v_and_b32_sdwa v9, v2, s0 dst_sel:DWORD dst_unused:UNUSED_PAD src0_sel:WORD_1 src1_sel:DWORD
	;; [unrolled: 1-line block ×4, first 2 shown]
	v_cmp_ne_u16_sdwa s[0:1], v1, s31 src0_sel:BYTE_0 src1_sel:DWORD
	v_cmp_ne_u16_sdwa s[2:3], v1, s31 src0_sel:BYTE_3 src1_sel:DWORD
	s_xor_b64 s[0:1], s[6:7], s[0:1]
	v_lshrrev_b32_e32 v6, 8, v1
	v_cmp_ne_u16_sdwa s[4:5], v2, s31 src0_sel:BYTE_0 src1_sel:DWORD
	v_cndmask_b32_e64 v1, 0, 1, s[0:1]
	s_xor_b64 s[0:1], s[6:7], s[2:3]
	v_lshrrev_b32_e32 v8, 8, v2
	v_cmp_ne_u16_sdwa s[16:17], v2, s31 src0_sel:BYTE_3 src1_sel:DWORD
	v_cmp_ne_u16_sdwa s[20:21], v3, s31 src0_sel:BYTE_3 src1_sel:DWORD
	v_cndmask_b32_e64 v2, 0, 1, s[0:1]
	s_xor_b64 s[0:1], s[6:7], s[4:5]
	v_lshrrev_b32_e32 v10, 8, v3
	v_cmp_ne_u16_sdwa s[18:19], v3, s31 src0_sel:BYTE_0 src1_sel:DWORD
	v_cmp_ne_u16_sdwa s[22:23], v4, s31 src0_sel:BYTE_0 src1_sel:DWORD
	v_cmp_ne_u16_sdwa s[24:25], v4, s31 src0_sel:BYTE_3 src1_sel:DWORD
	v_cndmask_b32_e64 v3, 0, 1, s[0:1]
	v_cmp_ne_u16_e64 s[0:1], s31, v9
	s_xor_b64 s[2:3], s[6:7], s[16:17]
	s_xor_b64 s[4:5], s[6:7], s[20:21]
	v_lshrrev_b32_e32 v12, 8, v4
	v_cmp_ne_u16_sdwa s[26:27], v6, s31 src0_sel:BYTE_0 src1_sel:DWORD
	v_cmp_ne_u16_e32 vcc, s31, v7
	v_cndmask_b32_e64 v4, 0, 1, s[2:3]
	s_xor_b64 s[2:3], s[6:7], s[18:19]
	v_cmp_ne_u16_sdwa s[16:17], v10, s31 src0_sel:BYTE_0 src1_sel:DWORD
	v_cndmask_b32_e64 v7, 0, 1, s[4:5]
	s_xor_b64 s[4:5], s[6:7], s[22:23]
	s_xor_b64 s[20:21], s[6:7], s[24:25]
	;; [unrolled: 1-line block ×3, first 2 shown]
	v_cmp_ne_u16_sdwa s[28:29], v8, s31 src0_sel:BYTE_0 src1_sel:DWORD
	v_cndmask_b32_e64 v6, 0, 1, s[2:3]
	v_cmp_ne_u16_e64 s[2:3], s31, v11
	v_cndmask_b32_e64 v8, 0, 1, s[4:5]
	v_cmp_ne_u16_e64 s[4:5], s31, v13
	v_cndmask_b32_e64 v9, 0, 1, s[20:21]
	s_xor_b64 s[20:21], s[6:7], s[26:27]
	v_cndmask_b32_e64 v13, 0, 1, s[0:1]
	s_xor_b64 s[0:1], s[6:7], s[16:17]
	v_cmp_ne_u16_sdwa s[18:19], v12, s31 src0_sel:BYTE_0 src1_sel:DWORD
	v_cndmask_b32_e64 v10, 0, 1, s[20:21]
	s_xor_b64 s[20:21], s[6:7], vcc
	v_cndmask_b32_e64 v14, 0, 1, s[0:1]
	s_xor_b64 s[0:1], s[6:7], s[2:3]
	v_cndmask_b32_e64 v11, 0, 1, s[20:21]
	s_xor_b64 s[20:21], s[6:7], s[28:29]
	;; [unrolled: 2-line block ×3, first 2 shown]
	v_cndmask_b32_e64 v12, 0, 1, s[20:21]
	v_cndmask_b32_e64 v16, 0, 1, s[0:1]
	s_xor_b64 s[0:1], s[6:7], s[4:5]
	v_lshlrev_b16_e32 v4, 8, v4
	v_cndmask_b32_e64 v17, 0, 1, s[0:1]
	v_lshlrev_b16_e32 v9, 8, v9
	v_lshlrev_b16_e32 v7, 8, v7
	;; [unrolled: 1-line block ×6, first 2 shown]
	v_or_b32_sdwa v13, v13, v4 dst_sel:WORD_1 dst_unused:UNUSED_PAD src0_sel:DWORD src1_sel:DWORD
	v_lshlrev_b16_e32 v4, 8, v10
	s_add_u32 s0, s12, s11
	v_or_b32_sdwa v9, v17, v9 dst_sel:WORD_1 dst_unused:UNUSED_PAD src0_sel:DWORD src1_sel:DWORD
	v_or_b32_sdwa v7, v15, v7 dst_sel:WORD_1 dst_unused:UNUSED_PAD src0_sel:DWORD src1_sel:DWORD
	;; [unrolled: 1-line block ×3, first 2 shown]
	v_or_b32_e32 v2, v8, v16
	v_or_b32_e32 v6, v6, v14
	;; [unrolled: 1-line block ×4, first 2 shown]
	s_addc_u32 s1, s13, s30
	v_or_b32_sdwa v4, v2, v9 dst_sel:DWORD dst_unused:UNUSED_PAD src0_sel:WORD_0 src1_sel:DWORD
	v_or_b32_sdwa v3, v6, v7 dst_sel:DWORD dst_unused:UNUSED_PAD src0_sel:WORD_0 src1_sel:DWORD
	;; [unrolled: 1-line block ×4, first 2 shown]
	global_store_dwordx4 v5, v[1:4], s[0:1]
	s_mov_b64 s[0:1], 0
.LBB381_2:
	s_andn2_b64 vcc, exec, s[0:1]
	s_cbranch_vccnz .LBB381_52
; %bb.3:
	v_cmp_gt_i32_e32 vcc, s8, v0
	v_or_b32_e32 v3, 0x100, v0
	v_mov_b32_e32 v20, 0
	v_or_b32_e32 v4, s11, v0
	v_mov_b32_e32 v19, 0
	v_mov_b32_e32 v18, 0
	;; [unrolled: 1-line block ×15, first 2 shown]
	s_and_saveexec_b64 s[2:3], vcc
	s_cbranch_execz .LBB381_35
; %bb.4:
	global_load_ubyte v11, v4, s[14:15]
	v_cmp_gt_u32_e64 s[0:1], s8, v3
	v_mov_b32_e32 v12, 0
	v_mov_b32_e32 v13, 0
	;; [unrolled: 1-line block ×15, first 2 shown]
	s_and_saveexec_b64 s[4:5], s[0:1]
	s_cbranch_execz .LBB381_34
; %bb.5:
	v_add_u32_e32 v1, s11, v0
	global_load_ubyte v12, v1, s[14:15] offset:256
	v_or_b32_e32 v2, 0x200, v0
	v_mov_b32_e32 v13, 0
	v_cmp_gt_u32_e64 s[0:1], s8, v2
	v_mov_b32_e32 v9, 0
	v_mov_b32_e32 v7, 0
	;; [unrolled: 1-line block ×13, first 2 shown]
	s_and_saveexec_b64 s[6:7], s[0:1]
	s_cbranch_execz .LBB381_33
; %bb.6:
	v_mov_b32_e32 v2, s15
	v_add_co_u32_e64 v1, s[0:1], s14, v1
	v_addc_co_u32_e64 v2, s[0:1], 0, v2, s[0:1]
	global_load_ubyte v13, v[1:2], off offset:512
	v_or_b32_e32 v5, 0x300, v0
	v_cmp_gt_u32_e64 s[0:1], s8, v5
	v_mov_b32_e32 v9, 0
	v_mov_b32_e32 v7, 0
	;; [unrolled: 1-line block ×13, first 2 shown]
	s_and_saveexec_b64 s[14:15], s[0:1]
	s_cbranch_execz .LBB381_32
; %bb.7:
	global_load_ubyte v9, v[1:2], off offset:768
	v_or_b32_e32 v5, 0x400, v0
	v_cmp_gt_u32_e64 s[0:1], s8, v5
	v_mov_b32_e32 v7, 0
	v_mov_b32_e32 v5, 0
	;; [unrolled: 1-line block ×12, first 2 shown]
	s_and_saveexec_b64 s[16:17], s[0:1]
	s_cbranch_execz .LBB381_31
; %bb.8:
	global_load_ubyte v7, v[1:2], off offset:1024
	v_or_b32_e32 v5, 0x500, v0
	v_cmp_gt_u32_e64 s[0:1], s8, v5
	v_mov_b32_e32 v5, 0
	v_mov_b32_e32 v8, 0
	v_mov_b32_e32 v6, 0
	v_mov_b32_e32 v10, 0
	v_mov_b32_e32 v14, 0
	v_mov_b32_e32 v15, 0
	v_mov_b32_e32 v16, 0
	v_mov_b32_e32 v17, 0
	v_mov_b32_e32 v18, 0
	v_mov_b32_e32 v19, 0
	v_mov_b32_e32 v20, 0
	s_and_saveexec_b64 s[18:19], s[0:1]
	s_cbranch_execz .LBB381_30
; %bb.9:
	global_load_ubyte v5, v[1:2], off offset:1280
	v_or_b32_e32 v6, 0x600, v0
	v_cmp_gt_u32_e64 s[0:1], s8, v6
	v_mov_b32_e32 v8, 0
	v_mov_b32_e32 v6, 0
	;; [unrolled: 1-line block ×10, first 2 shown]
	s_and_saveexec_b64 s[20:21], s[0:1]
	s_cbranch_execz .LBB381_29
; %bb.10:
	global_load_ubyte v8, v[1:2], off offset:1536
	v_or_b32_e32 v6, 0x700, v0
	v_cmp_gt_u32_e64 s[0:1], s8, v6
	v_mov_b32_e32 v6, 0
	v_mov_b32_e32 v10, 0
	;; [unrolled: 1-line block ×9, first 2 shown]
	s_and_saveexec_b64 s[22:23], s[0:1]
	s_cbranch_execz .LBB381_28
; %bb.11:
	global_load_ubyte v6, v[1:2], off offset:1792
	v_or_b32_e32 v10, 0x800, v0
	v_cmp_gt_u32_e64 s[0:1], s8, v10
	v_mov_b32_e32 v10, 0
	v_mov_b32_e32 v14, 0
	;; [unrolled: 1-line block ×8, first 2 shown]
	s_and_saveexec_b64 s[24:25], s[0:1]
	s_cbranch_execz .LBB381_27
; %bb.12:
	global_load_ubyte v10, v[1:2], off offset:2048
	v_or_b32_e32 v14, 0x900, v0
	v_cmp_gt_u32_e64 s[0:1], s8, v14
	v_mov_b32_e32 v14, 0
	v_mov_b32_e32 v15, 0
	;; [unrolled: 1-line block ×7, first 2 shown]
	s_and_saveexec_b64 s[26:27], s[0:1]
	s_cbranch_execz .LBB381_26
; %bb.13:
	global_load_ubyte v14, v[1:2], off offset:2304
	v_or_b32_e32 v15, 0xa00, v0
	v_cmp_gt_u32_e64 s[0:1], s8, v15
	v_mov_b32_e32 v15, 0
	v_mov_b32_e32 v16, 0
	v_mov_b32_e32 v17, 0
	v_mov_b32_e32 v18, 0
	v_mov_b32_e32 v19, 0
	v_mov_b32_e32 v20, 0
	s_and_saveexec_b64 s[28:29], s[0:1]
	s_cbranch_execz .LBB381_25
; %bb.14:
	global_load_ubyte v15, v[1:2], off offset:2560
	v_or_b32_e32 v16, 0xb00, v0
	v_cmp_gt_u32_e64 s[0:1], s8, v16
	v_mov_b32_e32 v16, 0
	v_mov_b32_e32 v17, 0
	;; [unrolled: 1-line block ×5, first 2 shown]
	s_and_saveexec_b64 s[30:31], s[0:1]
	s_cbranch_execz .LBB381_24
; %bb.15:
	global_load_ubyte v16, v[1:2], off offset:2816
	v_or_b32_e32 v17, 0xc00, v0
	v_cmp_gt_u32_e64 s[0:1], s8, v17
	v_mov_b32_e32 v17, 0
	v_mov_b32_e32 v18, 0
	;; [unrolled: 1-line block ×4, first 2 shown]
	s_and_saveexec_b64 s[34:35], s[0:1]
	s_cbranch_execz .LBB381_23
; %bb.16:
	global_load_ubyte v17, v[1:2], off offset:3072
	v_or_b32_e32 v18, 0xd00, v0
	v_cmp_gt_u32_e64 s[0:1], s8, v18
	v_mov_b32_e32 v18, 0
	v_mov_b32_e32 v19, 0
	;; [unrolled: 1-line block ×3, first 2 shown]
	s_and_saveexec_b64 s[36:37], s[0:1]
	s_cbranch_execz .LBB381_22
; %bb.17:
	global_load_ubyte v18, v[1:2], off offset:3328
	v_or_b32_e32 v19, 0xe00, v0
	v_cmp_gt_u32_e64 s[0:1], s8, v19
	v_mov_b32_e32 v19, 0
	v_mov_b32_e32 v20, 0
	s_and_saveexec_b64 s[38:39], s[0:1]
	s_cbranch_execz .LBB381_21
; %bb.18:
	global_load_ubyte v19, v[1:2], off offset:3584
	v_or_b32_e32 v20, 0xf00, v0
	v_cmp_gt_u32_e64 s[0:1], s8, v20
	v_mov_b32_e32 v20, 0
	s_and_saveexec_b64 s[40:41], s[0:1]
	s_cbranch_execz .LBB381_20
; %bb.19:
	global_load_ubyte v20, v[1:2], off offset:3840
.LBB381_20:
	s_or_b64 exec, exec, s[40:41]
.LBB381_21:
	s_or_b64 exec, exec, s[38:39]
.LBB381_22:
	s_or_b64 exec, exec, s[36:37]
.LBB381_23:
	s_or_b64 exec, exec, s[34:35]
.LBB381_24:
	s_or_b64 exec, exec, s[30:31]
.LBB381_25:
	s_or_b64 exec, exec, s[28:29]
.LBB381_26:
	s_or_b64 exec, exec, s[26:27]
.LBB381_27:
	s_or_b64 exec, exec, s[24:25]
.LBB381_28:
	s_or_b64 exec, exec, s[22:23]
.LBB381_29:
	s_or_b64 exec, exec, s[20:21]
.LBB381_30:
	s_or_b64 exec, exec, s[18:19]
.LBB381_31:
	s_or_b64 exec, exec, s[16:17]
.LBB381_32:
	s_or_b64 exec, exec, s[14:15]
.LBB381_33:
	s_or_b64 exec, exec, s[6:7]
.LBB381_34:
	s_or_b64 exec, exec, s[4:5]
.LBB381_35:
	s_or_b64 exec, exec, s[2:3]
	s_cmp_eq_u32 s9, 0
	s_cselect_b64 s[2:3], -1, 0
	s_and_b32 s5, s10, 0xff
	s_waitcnt vmcnt(0)
	v_cmp_ne_u16_sdwa s[0:1], v11, s5 src0_sel:BYTE_0 src1_sel:DWORD
	s_xor_b64 s[0:1], s[2:3], s[0:1]
	v_cndmask_b32_e64 v1, 0, 1, s[0:1]
	v_cmp_ne_u16_sdwa s[0:1], v12, s5 src0_sel:BYTE_0 src1_sel:DWORD
	s_xor_b64 s[0:1], s[2:3], s[0:1]
	v_cndmask_b32_e64 v2, 0, 1, s[0:1]
	v_cndmask_b32_e32 v1, 0, v1, vcc
	v_lshlrev_b16_e32 v2, 8, v2
	v_or_b32_e32 v2, v1, v2
	v_and_b32_e32 v2, 0xffff, v2
	v_cmp_gt_i32_e64 s[0:1], s8, v3
	v_cndmask_b32_e64 v1, v1, v2, s[0:1]
	v_cmp_ne_u16_sdwa s[0:1], v13, s5 src0_sel:BYTE_0 src1_sel:DWORD
	s_xor_b64 s[0:1], s[2:3], s[0:1]
	v_or_b32_e32 v2, 0x200, v0
	v_cndmask_b32_e64 v11, 0, 1, s[0:1]
	v_lshl_or_b32 v11, v11, 16, v1
	v_cmp_gt_i32_e64 s[0:1], s8, v2
	v_cndmask_b32_e64 v1, v1, v11, s[0:1]
	v_cmp_ne_u16_sdwa s[0:1], v9, s5 src0_sel:BYTE_0 src1_sel:DWORD
	s_xor_b64 s[0:1], s[2:3], s[0:1]
	s_movk_i32 s4, 0xff
	v_cndmask_b32_e64 v9, 0, 1, s[0:1]
	v_and_b32_sdwa v2, v1, s4 dst_sel:DWORD dst_unused:UNUSED_PAD src0_sel:WORD_1 src1_sel:DWORD
	v_lshlrev_b16_e32 v9, 8, v9
	s_mov_b32 s6, 0xffff
	v_or_b32_e32 v11, 0x300, v0
	v_or_b32_sdwa v2, v2, v9 dst_sel:WORD_1 dst_unused:UNUSED_PAD src0_sel:DWORD src1_sel:DWORD
	v_and_or_b32 v2, v1, s6, v2
	v_cmp_gt_i32_e64 s[0:1], s8, v11
	v_cndmask_b32_e64 v9, v1, v2, s[0:1]
	v_cmp_ne_u16_sdwa s[0:1], v7, s5 src0_sel:BYTE_0 src1_sel:DWORD
	s_xor_b64 s[0:1], s[2:3], s[0:1]
	v_cndmask_b32_e64 v1, 0, 1, s[0:1]
	v_or_b32_e32 v2, 0x400, v0
	v_and_b32_e32 v1, 0xffff, v1
	v_cmp_gt_i32_e64 s[0:1], s8, v2
	v_cndmask_b32_e64 v1, 0, v1, s[0:1]
	v_cmp_ne_u16_sdwa s[0:1], v5, s5 src0_sel:BYTE_0 src1_sel:DWORD
	s_xor_b64 s[0:1], s[2:3], s[0:1]
	v_cndmask_b32_e64 v5, 0, 1, s[0:1]
	v_lshlrev_b16_e32 v5, 8, v5
	v_or_b32_e32 v2, 0x500, v0
	v_or_b32_sdwa v5, v1, v5 dst_sel:DWORD dst_unused:UNUSED_PAD src0_sel:BYTE_0 src1_sel:DWORD
	v_and_b32_e32 v5, 0xffff, v5
	v_cmp_gt_i32_e64 s[0:1], s8, v2
	v_cndmask_b32_e64 v1, v1, v5, s[0:1]
	v_cmp_ne_u16_sdwa s[0:1], v8, s5 src0_sel:BYTE_0 src1_sel:DWORD
	s_movk_i32 s7, 0xff00
	s_xor_b64 s[0:1], s[2:3], s[0:1]
	v_and_b32_sdwa v2, v1, s7 dst_sel:DWORD dst_unused:UNUSED_PAD src0_sel:WORD_1 src1_sel:DWORD
	v_cndmask_b32_e64 v5, 0, 1, s[0:1]
	v_or_b32_sdwa v2, v5, v2 dst_sel:WORD_1 dst_unused:UNUSED_PAD src0_sel:DWORD src1_sel:DWORD
	v_or_b32_e32 v5, 0x600, v0
	v_and_or_b32 v2, v1, s6, v2
	v_cmp_gt_i32_e64 s[0:1], s8, v5
	v_cndmask_b32_e64 v1, v1, v2, s[0:1]
	v_cmp_ne_u16_sdwa s[0:1], v6, s5 src0_sel:BYTE_0 src1_sel:DWORD
	s_xor_b64 s[0:1], s[2:3], s[0:1]
	v_cndmask_b32_e64 v6, 0, 1, s[0:1]
	v_and_b32_sdwa v2, v1, s4 dst_sel:DWORD dst_unused:UNUSED_PAD src0_sel:WORD_1 src1_sel:DWORD
	v_lshlrev_b16_e32 v6, 8, v6
	v_or_b32_e32 v5, 0x700, v0
	v_or_b32_sdwa v2, v2, v6 dst_sel:WORD_1 dst_unused:UNUSED_PAD src0_sel:DWORD src1_sel:DWORD
	v_and_or_b32 v2, v1, s6, v2
	v_cmp_gt_i32_e64 s[0:1], s8, v5
	v_cndmask_b32_e64 v5, v1, v2, s[0:1]
	v_cmp_ne_u16_sdwa s[0:1], v10, s5 src0_sel:BYTE_0 src1_sel:DWORD
	v_or_b32_e32 v1, 0x800, v0
	s_xor_b64 s[0:1], s[2:3], s[0:1]
	v_cndmask_b32_e64 v2, 0, 1, s[0:1]
	v_cmp_gt_i32_e64 s[0:1], s8, v1
	v_cndmask_b32_e64 v1, 0, v2, s[0:1]
	v_cmp_ne_u16_sdwa s[0:1], v14, s5 src0_sel:BYTE_0 src1_sel:DWORD
	s_xor_b64 s[0:1], s[2:3], s[0:1]
	v_cndmask_b32_e64 v6, 0, 1, s[0:1]
	v_lshlrev_b16_e32 v6, 8, v6
	v_or_b32_e32 v2, 0x900, v0
	v_or_b32_e32 v6, v1, v6
	v_and_b32_e32 v6, 0xffff, v6
	v_cmp_gt_i32_e64 s[0:1], s8, v2
	v_cndmask_b32_e64 v1, v1, v6, s[0:1]
	v_cmp_ne_u16_sdwa s[0:1], v15, s5 src0_sel:BYTE_0 src1_sel:DWORD
	s_xor_b64 s[0:1], s[2:3], s[0:1]
	v_cndmask_b32_e64 v6, 0, 1, s[0:1]
	v_or_b32_e32 v2, 0xa00, v0
	v_lshlrev_b32_e32 v6, 16, v6
	s_movk_i32 s0, 0x1ff
	v_and_or_b32 v6, v1, s0, v6
	v_cmp_gt_i32_e64 s[0:1], s8, v2
	v_cndmask_b32_e64 v1, v1, v6, s[0:1]
	v_cmp_ne_u16_sdwa s[0:1], v16, s5 src0_sel:BYTE_0 src1_sel:DWORD
	s_xor_b64 s[0:1], s[2:3], s[0:1]
	v_cndmask_b32_e64 v7, 0, 1, s[0:1]
	v_and_b32_sdwa v2, v1, s4 dst_sel:DWORD dst_unused:UNUSED_PAD src0_sel:WORD_1 src1_sel:DWORD
	v_lshlrev_b16_e32 v7, 8, v7
	v_or_b32_e32 v6, 0xb00, v0
	v_or_b32_sdwa v2, v2, v7 dst_sel:WORD_1 dst_unused:UNUSED_PAD src0_sel:DWORD src1_sel:DWORD
	v_and_or_b32 v2, v1, s6, v2
	v_cmp_gt_i32_e64 s[0:1], s8, v6
	v_cndmask_b32_e64 v2, v1, v2, s[0:1]
	v_cmp_ne_u16_sdwa s[0:1], v17, s5 src0_sel:BYTE_0 src1_sel:DWORD
	v_or_b32_e32 v1, 0xc00, v0
	s_xor_b64 s[0:1], s[2:3], s[0:1]
	v_cndmask_b32_e64 v6, 0, 1, s[0:1]
	v_cmp_gt_i32_e64 s[0:1], s8, v1
	v_cndmask_b32_e64 v1, 0, v6, s[0:1]
	v_cmp_ne_u16_sdwa s[0:1], v18, s5 src0_sel:BYTE_0 src1_sel:DWORD
	s_xor_b64 s[0:1], s[2:3], s[0:1]
	v_cndmask_b32_e64 v7, 0, 1, s[0:1]
	v_lshlrev_b16_e32 v7, 8, v7
	v_or_b32_e32 v6, 0xd00, v0
	v_or_b32_sdwa v7, v1, v7 dst_sel:DWORD dst_unused:UNUSED_PAD src0_sel:BYTE_0 src1_sel:DWORD
	v_and_b32_e32 v7, 0xffff, v7
	v_cmp_gt_i32_e64 s[0:1], s8, v6
	v_cndmask_b32_e64 v1, v1, v7, s[0:1]
	v_cmp_ne_u16_sdwa s[0:1], v19, s5 src0_sel:BYTE_0 src1_sel:DWORD
	s_xor_b64 s[0:1], s[2:3], s[0:1]
	v_and_b32_sdwa v6, v1, s7 dst_sel:DWORD dst_unused:UNUSED_PAD src0_sel:WORD_1 src1_sel:DWORD
	v_cndmask_b32_e64 v7, 0, 1, s[0:1]
	v_or_b32_sdwa v6, v7, v6 dst_sel:WORD_1 dst_unused:UNUSED_PAD src0_sel:DWORD src1_sel:DWORD
	v_or_b32_e32 v7, 0xe00, v0
	v_and_or_b32 v6, v1, s6, v6
	v_cmp_gt_i32_e64 s[0:1], s8, v7
	v_cndmask_b32_e64 v1, v1, v6, s[0:1]
	v_cmp_ne_u16_sdwa s[0:1], v20, s5 src0_sel:BYTE_0 src1_sel:DWORD
	s_xor_b64 s[0:1], s[2:3], s[0:1]
	v_cndmask_b32_e64 v8, 0, 1, s[0:1]
	v_and_b32_sdwa v6, v1, s4 dst_sel:DWORD dst_unused:UNUSED_PAD src0_sel:WORD_1 src1_sel:DWORD
	v_lshlrev_b16_e32 v8, 8, v8
	v_or_b32_e32 v7, 0xf00, v0
	v_or_b32_sdwa v6, v6, v8 dst_sel:WORD_1 dst_unused:UNUSED_PAD src0_sel:DWORD src1_sel:DWORD
	v_and_or_b32 v6, v1, s6, v6
	v_cmp_gt_i32_e64 s[0:1], s8, v7
	v_cndmask_b32_e64 v1, v1, v6, s[0:1]
	s_and_saveexec_b64 s[0:1], vcc
	s_cbranch_execnz .LBB381_53
; %bb.36:
	s_or_b64 exec, exec, s[0:1]
	v_cmp_gt_i32_e32 vcc, s8, v0
	s_and_saveexec_b64 s[0:1], vcc
	s_cbranch_execnz .LBB381_54
.LBB381_37:
	s_or_b64 exec, exec, s[0:1]
	v_cmp_gt_i32_e32 vcc, s8, v0
	s_and_saveexec_b64 s[0:1], vcc
	s_cbranch_execnz .LBB381_55
.LBB381_38:
	s_or_b64 exec, exec, s[0:1]
	v_cmp_gt_i32_e32 vcc, s8, v0
	s_and_saveexec_b64 s[0:1], vcc
	s_cbranch_execnz .LBB381_56
.LBB381_39:
	s_or_b64 exec, exec, s[0:1]
	v_cmp_gt_i32_e32 vcc, s8, v0
	s_and_saveexec_b64 s[0:1], vcc
	s_cbranch_execnz .LBB381_57
.LBB381_40:
	s_or_b64 exec, exec, s[0:1]
	v_cmp_gt_i32_e32 vcc, s8, v0
	s_and_saveexec_b64 s[0:1], vcc
	s_cbranch_execnz .LBB381_58
.LBB381_41:
	s_or_b64 exec, exec, s[0:1]
	v_cmp_gt_i32_e32 vcc, s8, v0
	s_and_saveexec_b64 s[0:1], vcc
	s_cbranch_execnz .LBB381_59
.LBB381_42:
	s_or_b64 exec, exec, s[0:1]
	v_cmp_gt_i32_e32 vcc, s8, v0
	s_and_saveexec_b64 s[0:1], vcc
	s_cbranch_execnz .LBB381_60
.LBB381_43:
	s_or_b64 exec, exec, s[0:1]
	v_cmp_gt_i32_e32 vcc, s8, v0
	s_and_saveexec_b64 s[0:1], vcc
	s_cbranch_execnz .LBB381_61
.LBB381_44:
	s_or_b64 exec, exec, s[0:1]
	v_cmp_gt_i32_e32 vcc, s8, v0
	s_and_saveexec_b64 s[0:1], vcc
	s_cbranch_execnz .LBB381_62
.LBB381_45:
	s_or_b64 exec, exec, s[0:1]
	v_cmp_gt_i32_e32 vcc, s8, v0
	s_and_saveexec_b64 s[0:1], vcc
	s_cbranch_execnz .LBB381_63
.LBB381_46:
	s_or_b64 exec, exec, s[0:1]
	v_cmp_gt_i32_e32 vcc, s8, v0
	s_and_saveexec_b64 s[0:1], vcc
	s_cbranch_execnz .LBB381_64
.LBB381_47:
	s_or_b64 exec, exec, s[0:1]
	v_cmp_gt_i32_e32 vcc, s8, v0
	s_and_saveexec_b64 s[0:1], vcc
	s_cbranch_execnz .LBB381_65
.LBB381_48:
	s_or_b64 exec, exec, s[0:1]
	v_cmp_gt_i32_e32 vcc, s8, v0
	s_and_saveexec_b64 s[0:1], vcc
	s_cbranch_execnz .LBB381_66
.LBB381_49:
	s_or_b64 exec, exec, s[0:1]
	v_cmp_gt_i32_e32 vcc, s8, v0
	s_and_saveexec_b64 s[0:1], vcc
	s_cbranch_execnz .LBB381_67
.LBB381_50:
	s_or_b64 exec, exec, s[0:1]
	v_cmp_gt_i32_e32 vcc, s8, v0
	s_and_saveexec_b64 s[0:1], vcc
	s_cbranch_execz .LBB381_52
.LBB381_51:
	v_lshrrev_b32_e32 v1, 24, v1
	v_add_u32_e32 v0, s11, v0
	global_store_byte v0, v1, s[12:13]
.LBB381_52:
	s_endpgm
.LBB381_53:
	v_mov_b32_e32 v0, v3
	global_store_byte v4, v9, s[12:13]
	s_or_b64 exec, exec, s[0:1]
	v_cmp_gt_i32_e32 vcc, s8, v0
	s_and_saveexec_b64 s[0:1], vcc
	s_cbranch_execz .LBB381_37
.LBB381_54:
	v_lshrrev_b32_e32 v3, 8, v9
	v_add_u32_e32 v4, s11, v0
	v_add_u32_e32 v0, 0x100, v0
	global_store_byte v4, v3, s[12:13]
	s_or_b64 exec, exec, s[0:1]
	v_cmp_gt_i32_e32 vcc, s8, v0
	s_and_saveexec_b64 s[0:1], vcc
	s_cbranch_execz .LBB381_38
.LBB381_55:
	v_add_u32_e32 v3, s11, v0
	v_add_u32_e32 v0, 0x100, v0
	global_store_byte_d16_hi v3, v9, s[12:13]
	s_or_b64 exec, exec, s[0:1]
	v_cmp_gt_i32_e32 vcc, s8, v0
	s_and_saveexec_b64 s[0:1], vcc
	s_cbranch_execz .LBB381_39
.LBB381_56:
	v_lshrrev_b32_e32 v3, 24, v9
	v_add_u32_e32 v4, s11, v0
	v_add_u32_e32 v0, 0x100, v0
	global_store_byte v4, v3, s[12:13]
	s_or_b64 exec, exec, s[0:1]
	v_cmp_gt_i32_e32 vcc, s8, v0
	s_and_saveexec_b64 s[0:1], vcc
	s_cbranch_execz .LBB381_40
.LBB381_57:
	v_add_u32_e32 v3, s11, v0
	v_add_u32_e32 v0, 0x100, v0
	global_store_byte v3, v5, s[12:13]
	s_or_b64 exec, exec, s[0:1]
	v_cmp_gt_i32_e32 vcc, s8, v0
	s_and_saveexec_b64 s[0:1], vcc
	s_cbranch_execz .LBB381_41
.LBB381_58:
	v_lshrrev_b32_e32 v3, 8, v5
	v_add_u32_e32 v4, s11, v0
	v_add_u32_e32 v0, 0x100, v0
	global_store_byte v4, v3, s[12:13]
	s_or_b64 exec, exec, s[0:1]
	v_cmp_gt_i32_e32 vcc, s8, v0
	s_and_saveexec_b64 s[0:1], vcc
	s_cbranch_execz .LBB381_42
.LBB381_59:
	v_add_u32_e32 v3, s11, v0
	v_add_u32_e32 v0, 0x100, v0
	global_store_byte_d16_hi v3, v5, s[12:13]
	s_or_b64 exec, exec, s[0:1]
	v_cmp_gt_i32_e32 vcc, s8, v0
	s_and_saveexec_b64 s[0:1], vcc
	s_cbranch_execz .LBB381_43
.LBB381_60:
	v_lshrrev_b32_e32 v3, 24, v5
	v_add_u32_e32 v4, s11, v0
	v_add_u32_e32 v0, 0x100, v0
	global_store_byte v4, v3, s[12:13]
	s_or_b64 exec, exec, s[0:1]
	v_cmp_gt_i32_e32 vcc, s8, v0
	s_and_saveexec_b64 s[0:1], vcc
	s_cbranch_execz .LBB381_44
.LBB381_61:
	v_add_u32_e32 v3, s11, v0
	v_add_u32_e32 v0, 0x100, v0
	global_store_byte v3, v2, s[12:13]
	s_or_b64 exec, exec, s[0:1]
	v_cmp_gt_i32_e32 vcc, s8, v0
	s_and_saveexec_b64 s[0:1], vcc
	s_cbranch_execz .LBB381_45
.LBB381_62:
	v_lshrrev_b32_e32 v3, 8, v2
	v_add_u32_e32 v4, s11, v0
	v_add_u32_e32 v0, 0x100, v0
	global_store_byte v4, v3, s[12:13]
	s_or_b64 exec, exec, s[0:1]
	v_cmp_gt_i32_e32 vcc, s8, v0
	s_and_saveexec_b64 s[0:1], vcc
	s_cbranch_execz .LBB381_46
.LBB381_63:
	v_add_u32_e32 v3, s11, v0
	v_add_u32_e32 v0, 0x100, v0
	global_store_byte_d16_hi v3, v2, s[12:13]
	s_or_b64 exec, exec, s[0:1]
	v_cmp_gt_i32_e32 vcc, s8, v0
	s_and_saveexec_b64 s[0:1], vcc
	s_cbranch_execz .LBB381_47
.LBB381_64:
	v_lshrrev_b32_e32 v2, 24, v2
	v_add_u32_e32 v3, s11, v0
	v_add_u32_e32 v0, 0x100, v0
	global_store_byte v3, v2, s[12:13]
	s_or_b64 exec, exec, s[0:1]
	v_cmp_gt_i32_e32 vcc, s8, v0
	s_and_saveexec_b64 s[0:1], vcc
	s_cbranch_execz .LBB381_48
.LBB381_65:
	v_add_u32_e32 v2, s11, v0
	v_add_u32_e32 v0, 0x100, v0
	global_store_byte v2, v1, s[12:13]
	s_or_b64 exec, exec, s[0:1]
	v_cmp_gt_i32_e32 vcc, s8, v0
	s_and_saveexec_b64 s[0:1], vcc
	s_cbranch_execz .LBB381_49
.LBB381_66:
	v_lshrrev_b32_e32 v2, 8, v1
	v_add_u32_e32 v3, s11, v0
	v_add_u32_e32 v0, 0x100, v0
	global_store_byte v3, v2, s[12:13]
	s_or_b64 exec, exec, s[0:1]
	v_cmp_gt_i32_e32 vcc, s8, v0
	s_and_saveexec_b64 s[0:1], vcc
	s_cbranch_execz .LBB381_50
.LBB381_67:
	v_add_u32_e32 v2, s11, v0
	v_add_u32_e32 v0, 0x100, v0
	global_store_byte_d16_hi v2, v1, s[12:13]
	s_or_b64 exec, exec, s[0:1]
	v_cmp_gt_i32_e32 vcc, s8, v0
	s_and_saveexec_b64 s[0:1], vcc
	s_cbranch_execnz .LBB381_51
	s_branch .LBB381_52
	.section	.rodata,"a",@progbits
	.p2align	6, 0x0
	.amdhsa_kernel _ZN2at6native29vectorized_elementwise_kernelILi16ENS0_13AUnaryFunctorIN3c1016Float4_e2m1fn_x2ES4_bNS0_12_GLOBAL__N_116CompareEqFunctorIS4_EEEESt5arrayIPcLm2EEEEviT0_T1_
		.amdhsa_group_segment_fixed_size 0
		.amdhsa_private_segment_fixed_size 0
		.amdhsa_kernarg_size 32
		.amdhsa_user_sgpr_count 6
		.amdhsa_user_sgpr_private_segment_buffer 1
		.amdhsa_user_sgpr_dispatch_ptr 0
		.amdhsa_user_sgpr_queue_ptr 0
		.amdhsa_user_sgpr_kernarg_segment_ptr 1
		.amdhsa_user_sgpr_dispatch_id 0
		.amdhsa_user_sgpr_flat_scratch_init 0
		.amdhsa_user_sgpr_private_segment_size 0
		.amdhsa_uses_dynamic_stack 0
		.amdhsa_system_sgpr_private_segment_wavefront_offset 0
		.amdhsa_system_sgpr_workgroup_id_x 1
		.amdhsa_system_sgpr_workgroup_id_y 0
		.amdhsa_system_sgpr_workgroup_id_z 0
		.amdhsa_system_sgpr_workgroup_info 0
		.amdhsa_system_vgpr_workitem_id 0
		.amdhsa_next_free_vgpr 21
		.amdhsa_next_free_sgpr 42
		.amdhsa_reserve_vcc 1
		.amdhsa_reserve_flat_scratch 0
		.amdhsa_float_round_mode_32 0
		.amdhsa_float_round_mode_16_64 0
		.amdhsa_float_denorm_mode_32 3
		.amdhsa_float_denorm_mode_16_64 3
		.amdhsa_dx10_clamp 1
		.amdhsa_ieee_mode 1
		.amdhsa_fp16_overflow 0
		.amdhsa_exception_fp_ieee_invalid_op 0
		.amdhsa_exception_fp_denorm_src 0
		.amdhsa_exception_fp_ieee_div_zero 0
		.amdhsa_exception_fp_ieee_overflow 0
		.amdhsa_exception_fp_ieee_underflow 0
		.amdhsa_exception_fp_ieee_inexact 0
		.amdhsa_exception_int_div_zero 0
	.end_amdhsa_kernel
	.section	.text._ZN2at6native29vectorized_elementwise_kernelILi16ENS0_13AUnaryFunctorIN3c1016Float4_e2m1fn_x2ES4_bNS0_12_GLOBAL__N_116CompareEqFunctorIS4_EEEESt5arrayIPcLm2EEEEviT0_T1_,"axG",@progbits,_ZN2at6native29vectorized_elementwise_kernelILi16ENS0_13AUnaryFunctorIN3c1016Float4_e2m1fn_x2ES4_bNS0_12_GLOBAL__N_116CompareEqFunctorIS4_EEEESt5arrayIPcLm2EEEEviT0_T1_,comdat
.Lfunc_end381:
	.size	_ZN2at6native29vectorized_elementwise_kernelILi16ENS0_13AUnaryFunctorIN3c1016Float4_e2m1fn_x2ES4_bNS0_12_GLOBAL__N_116CompareEqFunctorIS4_EEEESt5arrayIPcLm2EEEEviT0_T1_, .Lfunc_end381-_ZN2at6native29vectorized_elementwise_kernelILi16ENS0_13AUnaryFunctorIN3c1016Float4_e2m1fn_x2ES4_bNS0_12_GLOBAL__N_116CompareEqFunctorIS4_EEEESt5arrayIPcLm2EEEEviT0_T1_
                                        ; -- End function
	.set _ZN2at6native29vectorized_elementwise_kernelILi16ENS0_13AUnaryFunctorIN3c1016Float4_e2m1fn_x2ES4_bNS0_12_GLOBAL__N_116CompareEqFunctorIS4_EEEESt5arrayIPcLm2EEEEviT0_T1_.num_vgpr, 21
	.set _ZN2at6native29vectorized_elementwise_kernelILi16ENS0_13AUnaryFunctorIN3c1016Float4_e2m1fn_x2ES4_bNS0_12_GLOBAL__N_116CompareEqFunctorIS4_EEEESt5arrayIPcLm2EEEEviT0_T1_.num_agpr, 0
	.set _ZN2at6native29vectorized_elementwise_kernelILi16ENS0_13AUnaryFunctorIN3c1016Float4_e2m1fn_x2ES4_bNS0_12_GLOBAL__N_116CompareEqFunctorIS4_EEEESt5arrayIPcLm2EEEEviT0_T1_.numbered_sgpr, 42
	.set _ZN2at6native29vectorized_elementwise_kernelILi16ENS0_13AUnaryFunctorIN3c1016Float4_e2m1fn_x2ES4_bNS0_12_GLOBAL__N_116CompareEqFunctorIS4_EEEESt5arrayIPcLm2EEEEviT0_T1_.num_named_barrier, 0
	.set _ZN2at6native29vectorized_elementwise_kernelILi16ENS0_13AUnaryFunctorIN3c1016Float4_e2m1fn_x2ES4_bNS0_12_GLOBAL__N_116CompareEqFunctorIS4_EEEESt5arrayIPcLm2EEEEviT0_T1_.private_seg_size, 0
	.set _ZN2at6native29vectorized_elementwise_kernelILi16ENS0_13AUnaryFunctorIN3c1016Float4_e2m1fn_x2ES4_bNS0_12_GLOBAL__N_116CompareEqFunctorIS4_EEEESt5arrayIPcLm2EEEEviT0_T1_.uses_vcc, 1
	.set _ZN2at6native29vectorized_elementwise_kernelILi16ENS0_13AUnaryFunctorIN3c1016Float4_e2m1fn_x2ES4_bNS0_12_GLOBAL__N_116CompareEqFunctorIS4_EEEESt5arrayIPcLm2EEEEviT0_T1_.uses_flat_scratch, 0
	.set _ZN2at6native29vectorized_elementwise_kernelILi16ENS0_13AUnaryFunctorIN3c1016Float4_e2m1fn_x2ES4_bNS0_12_GLOBAL__N_116CompareEqFunctorIS4_EEEESt5arrayIPcLm2EEEEviT0_T1_.has_dyn_sized_stack, 0
	.set _ZN2at6native29vectorized_elementwise_kernelILi16ENS0_13AUnaryFunctorIN3c1016Float4_e2m1fn_x2ES4_bNS0_12_GLOBAL__N_116CompareEqFunctorIS4_EEEESt5arrayIPcLm2EEEEviT0_T1_.has_recursion, 0
	.set _ZN2at6native29vectorized_elementwise_kernelILi16ENS0_13AUnaryFunctorIN3c1016Float4_e2m1fn_x2ES4_bNS0_12_GLOBAL__N_116CompareEqFunctorIS4_EEEESt5arrayIPcLm2EEEEviT0_T1_.has_indirect_call, 0
	.section	.AMDGPU.csdata,"",@progbits
; Kernel info:
; codeLenInByte = 3528
; TotalNumSgprs: 46
; NumVgprs: 21
; ScratchSize: 0
; MemoryBound: 0
; FloatMode: 240
; IeeeMode: 1
; LDSByteSize: 0 bytes/workgroup (compile time only)
; SGPRBlocks: 5
; VGPRBlocks: 5
; NumSGPRsForWavesPerEU: 46
; NumVGPRsForWavesPerEU: 21
; Occupancy: 10
; WaveLimiterHint : 0
; COMPUTE_PGM_RSRC2:SCRATCH_EN: 0
; COMPUTE_PGM_RSRC2:USER_SGPR: 6
; COMPUTE_PGM_RSRC2:TRAP_HANDLER: 0
; COMPUTE_PGM_RSRC2:TGID_X_EN: 1
; COMPUTE_PGM_RSRC2:TGID_Y_EN: 0
; COMPUTE_PGM_RSRC2:TGID_Z_EN: 0
; COMPUTE_PGM_RSRC2:TIDIG_COMP_CNT: 0
	.section	.text._ZN2at6native29vectorized_elementwise_kernelILi8ENS0_13AUnaryFunctorIN3c1016Float4_e2m1fn_x2ES4_bNS0_12_GLOBAL__N_116CompareEqFunctorIS4_EEEESt5arrayIPcLm2EEEEviT0_T1_,"axG",@progbits,_ZN2at6native29vectorized_elementwise_kernelILi8ENS0_13AUnaryFunctorIN3c1016Float4_e2m1fn_x2ES4_bNS0_12_GLOBAL__N_116CompareEqFunctorIS4_EEEESt5arrayIPcLm2EEEEviT0_T1_,comdat
	.globl	_ZN2at6native29vectorized_elementwise_kernelILi8ENS0_13AUnaryFunctorIN3c1016Float4_e2m1fn_x2ES4_bNS0_12_GLOBAL__N_116CompareEqFunctorIS4_EEEESt5arrayIPcLm2EEEEviT0_T1_ ; -- Begin function _ZN2at6native29vectorized_elementwise_kernelILi8ENS0_13AUnaryFunctorIN3c1016Float4_e2m1fn_x2ES4_bNS0_12_GLOBAL__N_116CompareEqFunctorIS4_EEEESt5arrayIPcLm2EEEEviT0_T1_
	.p2align	8
	.type	_ZN2at6native29vectorized_elementwise_kernelILi8ENS0_13AUnaryFunctorIN3c1016Float4_e2m1fn_x2ES4_bNS0_12_GLOBAL__N_116CompareEqFunctorIS4_EEEESt5arrayIPcLm2EEEEviT0_T1_,@function
_ZN2at6native29vectorized_elementwise_kernelILi8ENS0_13AUnaryFunctorIN3c1016Float4_e2m1fn_x2ES4_bNS0_12_GLOBAL__N_116CompareEqFunctorIS4_EEEESt5arrayIPcLm2EEEEviT0_T1_: ; @_ZN2at6native29vectorized_elementwise_kernelILi8ENS0_13AUnaryFunctorIN3c1016Float4_e2m1fn_x2ES4_bNS0_12_GLOBAL__N_116CompareEqFunctorIS4_EEEESt5arrayIPcLm2EEEEviT0_T1_
; %bb.0:
	s_load_dwordx8 s[8:15], s[4:5], 0x0
	s_waitcnt lgkmcnt(0)
	s_lshl_b32 s11, s6, 12
	s_mov_b64 s[0:1], -1
	s_sub_i32 s8, s8, s11
	s_cmpk_gt_i32 s8, 0xfff
	s_cbranch_scc0 .LBB382_2
; %bb.1:
	s_ashr_i32 s30, s11, 31
	s_add_u32 s0, s14, s11
	s_addc_u32 s1, s15, s30
	v_lshlrev_b32_e32 v5, 3, v0
	global_load_dwordx2 v[1:2], v5, s[0:1]
	global_load_dwordx2 v[3:4], v5, s[0:1] offset:2048
	s_cmp_eq_u32 s9, 0
	s_cselect_b64 s[6:7], -1, 0
	s_and_b32 s31, s10, 0xff
	s_movk_i32 s24, 0xff
	s_waitcnt vmcnt(1)
	v_cmp_ne_u16_sdwa s[0:1], v1, s31 src0_sel:BYTE_0 src1_sel:DWORD
	v_cmp_ne_u16_sdwa s[2:3], v1, s31 src0_sel:BYTE_3 src1_sel:DWORD
	s_xor_b64 s[0:1], s[6:7], s[0:1]
	v_lshrrev_b32_e32 v6, 8, v1
	v_and_b32_sdwa v7, v1, s24 dst_sel:DWORD dst_unused:UNUSED_PAD src0_sel:WORD_1 src1_sel:DWORD
	v_cmp_ne_u16_sdwa s[4:5], v2, s31 src0_sel:BYTE_0 src1_sel:DWORD
	v_lshrrev_b32_e32 v1, 8, v2
	v_and_b32_sdwa v8, v2, s24 dst_sel:DWORD dst_unused:UNUSED_PAD src0_sel:WORD_1 src1_sel:DWORD
	v_cmp_ne_u16_sdwa s[16:17], v2, s31 src0_sel:BYTE_3 src1_sel:DWORD
	s_waitcnt vmcnt(0)
	v_cmp_ne_u16_sdwa s[18:19], v3, s31 src0_sel:BYTE_0 src1_sel:DWORD
	v_lshrrev_b32_e32 v2, 8, v3
	v_and_b32_sdwa v9, v3, s24 dst_sel:DWORD dst_unused:UNUSED_PAD src0_sel:WORD_1 src1_sel:DWORD
	v_cmp_ne_u16_sdwa s[20:21], v3, s31 src0_sel:BYTE_3 src1_sel:DWORD
	v_cmp_ne_u16_sdwa s[22:23], v4, s31 src0_sel:BYTE_0 src1_sel:DWORD
	v_lshrrev_b32_e32 v3, 8, v4
	v_and_b32_sdwa v10, v4, s24 dst_sel:DWORD dst_unused:UNUSED_PAD src0_sel:WORD_1 src1_sel:DWORD
	v_cmp_ne_u16_sdwa s[24:25], v4, s31 src0_sel:BYTE_3 src1_sel:DWORD
	v_cndmask_b32_e64 v4, 0, 1, s[0:1]
	s_xor_b64 s[0:1], s[6:7], s[2:3]
	v_cmp_ne_u16_sdwa s[26:27], v6, s31 src0_sel:BYTE_0 src1_sel:DWORD
	v_cndmask_b32_e64 v6, 0, 1, s[0:1]
	s_xor_b64 s[0:1], s[6:7], s[4:5]
	v_cmp_ne_u16_e32 vcc, s31, v7
	v_cndmask_b32_e64 v7, 0, 1, s[0:1]
	v_cmp_ne_u16_e64 s[0:1], s31, v8
	s_xor_b64 s[2:3], s[6:7], s[16:17]
	v_cmp_ne_u16_sdwa s[28:29], v1, s31 src0_sel:BYTE_0 src1_sel:DWORD
	v_cndmask_b32_e64 v1, 0, 1, s[2:3]
	s_xor_b64 s[2:3], s[6:7], s[18:19]
	v_cmp_ne_u16_sdwa s[16:17], v2, s31 src0_sel:BYTE_0 src1_sel:DWORD
	s_xor_b64 s[4:5], s[6:7], s[20:21]
	s_xor_b64 s[20:21], s[6:7], s[24:25]
	;; [unrolled: 1-line block ×3, first 2 shown]
	v_cndmask_b32_e64 v8, 0, 1, s[2:3]
	v_cmp_ne_u16_e64 s[2:3], s31, v9
	v_cndmask_b32_e64 v2, 0, 1, s[4:5]
	s_xor_b64 s[4:5], s[6:7], s[22:23]
	v_cmp_ne_u16_sdwa s[18:19], v3, s31 src0_sel:BYTE_0 src1_sel:DWORD
	v_cndmask_b32_e64 v3, 0, 1, s[20:21]
	s_xor_b64 s[20:21], s[6:7], s[26:27]
	v_cndmask_b32_e64 v13, 0, 1, s[0:1]
	s_xor_b64 s[0:1], s[6:7], s[16:17]
	v_cndmask_b32_e64 v9, 0, 1, s[4:5]
	v_cmp_ne_u16_e64 s[4:5], s31, v10
	v_cndmask_b32_e64 v10, 0, 1, s[20:21]
	s_xor_b64 s[20:21], s[6:7], vcc
	v_cndmask_b32_e64 v14, 0, 1, s[0:1]
	s_xor_b64 s[0:1], s[6:7], s[2:3]
	v_cndmask_b32_e64 v11, 0, 1, s[20:21]
	s_xor_b64 s[20:21], s[6:7], s[28:29]
	;; [unrolled: 2-line block ×3, first 2 shown]
	v_cndmask_b32_e64 v12, 0, 1, s[20:21]
	v_cndmask_b32_e64 v16, 0, 1, s[0:1]
	s_xor_b64 s[0:1], s[6:7], s[4:5]
	v_lshlrev_b16_e32 v2, 8, v2
	v_lshlrev_b16_e32 v1, 8, v1
	v_cndmask_b32_e64 v17, 0, 1, s[0:1]
	v_lshlrev_b16_e32 v3, 8, v3
	v_lshlrev_b16_e32 v6, 8, v6
	;; [unrolled: 1-line block ×3, first 2 shown]
	v_or_b32_sdwa v15, v15, v2 dst_sel:WORD_1 dst_unused:UNUSED_PAD src0_sel:DWORD src1_sel:DWORD
	v_lshlrev_b16_e32 v2, 8, v12
	v_or_b32_sdwa v12, v13, v1 dst_sel:WORD_1 dst_unused:UNUSED_PAD src0_sel:DWORD src1_sel:DWORD
	v_lshlrev_b16_e32 v1, 8, v10
	;; [unrolled: 2-line block ×3, first 2 shown]
	v_or_b32_sdwa v6, v11, v6 dst_sel:WORD_1 dst_unused:UNUSED_PAD src0_sel:DWORD src1_sel:DWORD
	s_add_u32 s0, s12, s11
	v_or_b32_e32 v9, v9, v16
	v_or_b32_e32 v7, v7, v2
	;; [unrolled: 1-line block ×4, first 2 shown]
	s_addc_u32 s1, s13, s30
	v_or_b32_sdwa v2, v9, v3 dst_sel:DWORD dst_unused:UNUSED_PAD src0_sel:WORD_0 src1_sel:DWORD
	v_or_b32_sdwa v4, v7, v12 dst_sel:DWORD dst_unused:UNUSED_PAD src0_sel:WORD_0 src1_sel:DWORD
	;; [unrolled: 1-line block ×4, first 2 shown]
	global_store_dwordx2 v5, v[3:4], s[0:1]
	global_store_dwordx2 v5, v[1:2], s[0:1] offset:2048
	s_mov_b64 s[0:1], 0
.LBB382_2:
	s_andn2_b64 vcc, exec, s[0:1]
	s_cbranch_vccnz .LBB382_52
; %bb.3:
	v_cmp_gt_i32_e32 vcc, s8, v0
	v_or_b32_e32 v3, 0x100, v0
	v_mov_b32_e32 v20, 0
	v_or_b32_e32 v4, s11, v0
	v_mov_b32_e32 v19, 0
	v_mov_b32_e32 v18, 0
	;; [unrolled: 1-line block ×15, first 2 shown]
	s_and_saveexec_b64 s[2:3], vcc
	s_cbranch_execz .LBB382_35
; %bb.4:
	global_load_ubyte v11, v4, s[14:15]
	v_cmp_gt_u32_e64 s[0:1], s8, v3
	v_mov_b32_e32 v12, 0
	v_mov_b32_e32 v13, 0
	;; [unrolled: 1-line block ×15, first 2 shown]
	s_and_saveexec_b64 s[4:5], s[0:1]
	s_cbranch_execz .LBB382_34
; %bb.5:
	v_add_u32_e32 v1, s11, v0
	global_load_ubyte v12, v1, s[14:15] offset:256
	v_or_b32_e32 v2, 0x200, v0
	v_mov_b32_e32 v13, 0
	v_cmp_gt_u32_e64 s[0:1], s8, v2
	v_mov_b32_e32 v9, 0
	v_mov_b32_e32 v7, 0
	;; [unrolled: 1-line block ×13, first 2 shown]
	s_and_saveexec_b64 s[6:7], s[0:1]
	s_cbranch_execz .LBB382_33
; %bb.6:
	v_mov_b32_e32 v2, s15
	v_add_co_u32_e64 v1, s[0:1], s14, v1
	v_addc_co_u32_e64 v2, s[0:1], 0, v2, s[0:1]
	global_load_ubyte v13, v[1:2], off offset:512
	v_or_b32_e32 v5, 0x300, v0
	v_cmp_gt_u32_e64 s[0:1], s8, v5
	v_mov_b32_e32 v9, 0
	v_mov_b32_e32 v7, 0
	;; [unrolled: 1-line block ×13, first 2 shown]
	s_and_saveexec_b64 s[14:15], s[0:1]
	s_cbranch_execz .LBB382_32
; %bb.7:
	global_load_ubyte v9, v[1:2], off offset:768
	v_or_b32_e32 v5, 0x400, v0
	v_cmp_gt_u32_e64 s[0:1], s8, v5
	v_mov_b32_e32 v7, 0
	v_mov_b32_e32 v5, 0
	;; [unrolled: 1-line block ×12, first 2 shown]
	s_and_saveexec_b64 s[16:17], s[0:1]
	s_cbranch_execz .LBB382_31
; %bb.8:
	global_load_ubyte v7, v[1:2], off offset:1024
	v_or_b32_e32 v5, 0x500, v0
	v_cmp_gt_u32_e64 s[0:1], s8, v5
	v_mov_b32_e32 v5, 0
	v_mov_b32_e32 v8, 0
	;; [unrolled: 1-line block ×11, first 2 shown]
	s_and_saveexec_b64 s[18:19], s[0:1]
	s_cbranch_execz .LBB382_30
; %bb.9:
	global_load_ubyte v5, v[1:2], off offset:1280
	v_or_b32_e32 v6, 0x600, v0
	v_cmp_gt_u32_e64 s[0:1], s8, v6
	v_mov_b32_e32 v8, 0
	v_mov_b32_e32 v6, 0
	;; [unrolled: 1-line block ×10, first 2 shown]
	s_and_saveexec_b64 s[20:21], s[0:1]
	s_cbranch_execz .LBB382_29
; %bb.10:
	global_load_ubyte v8, v[1:2], off offset:1536
	v_or_b32_e32 v6, 0x700, v0
	v_cmp_gt_u32_e64 s[0:1], s8, v6
	v_mov_b32_e32 v6, 0
	v_mov_b32_e32 v10, 0
	;; [unrolled: 1-line block ×9, first 2 shown]
	s_and_saveexec_b64 s[22:23], s[0:1]
	s_cbranch_execz .LBB382_28
; %bb.11:
	global_load_ubyte v6, v[1:2], off offset:1792
	v_or_b32_e32 v10, 0x800, v0
	v_cmp_gt_u32_e64 s[0:1], s8, v10
	v_mov_b32_e32 v10, 0
	v_mov_b32_e32 v14, 0
	;; [unrolled: 1-line block ×8, first 2 shown]
	s_and_saveexec_b64 s[24:25], s[0:1]
	s_cbranch_execz .LBB382_27
; %bb.12:
	global_load_ubyte v10, v[1:2], off offset:2048
	v_or_b32_e32 v14, 0x900, v0
	v_cmp_gt_u32_e64 s[0:1], s8, v14
	v_mov_b32_e32 v14, 0
	v_mov_b32_e32 v15, 0
	v_mov_b32_e32 v16, 0
	v_mov_b32_e32 v17, 0
	v_mov_b32_e32 v18, 0
	v_mov_b32_e32 v19, 0
	v_mov_b32_e32 v20, 0
	s_and_saveexec_b64 s[26:27], s[0:1]
	s_cbranch_execz .LBB382_26
; %bb.13:
	global_load_ubyte v14, v[1:2], off offset:2304
	v_or_b32_e32 v15, 0xa00, v0
	v_cmp_gt_u32_e64 s[0:1], s8, v15
	v_mov_b32_e32 v15, 0
	v_mov_b32_e32 v16, 0
	;; [unrolled: 1-line block ×6, first 2 shown]
	s_and_saveexec_b64 s[28:29], s[0:1]
	s_cbranch_execz .LBB382_25
; %bb.14:
	global_load_ubyte v15, v[1:2], off offset:2560
	v_or_b32_e32 v16, 0xb00, v0
	v_cmp_gt_u32_e64 s[0:1], s8, v16
	v_mov_b32_e32 v16, 0
	v_mov_b32_e32 v17, 0
	;; [unrolled: 1-line block ×5, first 2 shown]
	s_and_saveexec_b64 s[30:31], s[0:1]
	s_cbranch_execz .LBB382_24
; %bb.15:
	global_load_ubyte v16, v[1:2], off offset:2816
	v_or_b32_e32 v17, 0xc00, v0
	v_cmp_gt_u32_e64 s[0:1], s8, v17
	v_mov_b32_e32 v17, 0
	v_mov_b32_e32 v18, 0
	;; [unrolled: 1-line block ×4, first 2 shown]
	s_and_saveexec_b64 s[34:35], s[0:1]
	s_cbranch_execz .LBB382_23
; %bb.16:
	global_load_ubyte v17, v[1:2], off offset:3072
	v_or_b32_e32 v18, 0xd00, v0
	v_cmp_gt_u32_e64 s[0:1], s8, v18
	v_mov_b32_e32 v18, 0
	v_mov_b32_e32 v19, 0
	;; [unrolled: 1-line block ×3, first 2 shown]
	s_and_saveexec_b64 s[36:37], s[0:1]
	s_cbranch_execz .LBB382_22
; %bb.17:
	global_load_ubyte v18, v[1:2], off offset:3328
	v_or_b32_e32 v19, 0xe00, v0
	v_cmp_gt_u32_e64 s[0:1], s8, v19
	v_mov_b32_e32 v19, 0
	v_mov_b32_e32 v20, 0
	s_and_saveexec_b64 s[38:39], s[0:1]
	s_cbranch_execz .LBB382_21
; %bb.18:
	global_load_ubyte v19, v[1:2], off offset:3584
	v_or_b32_e32 v20, 0xf00, v0
	v_cmp_gt_u32_e64 s[0:1], s8, v20
	v_mov_b32_e32 v20, 0
	s_and_saveexec_b64 s[40:41], s[0:1]
	s_cbranch_execz .LBB382_20
; %bb.19:
	global_load_ubyte v20, v[1:2], off offset:3840
.LBB382_20:
	s_or_b64 exec, exec, s[40:41]
.LBB382_21:
	s_or_b64 exec, exec, s[38:39]
.LBB382_22:
	s_or_b64 exec, exec, s[36:37]
.LBB382_23:
	s_or_b64 exec, exec, s[34:35]
.LBB382_24:
	s_or_b64 exec, exec, s[30:31]
.LBB382_25:
	s_or_b64 exec, exec, s[28:29]
.LBB382_26:
	s_or_b64 exec, exec, s[26:27]
.LBB382_27:
	s_or_b64 exec, exec, s[24:25]
.LBB382_28:
	s_or_b64 exec, exec, s[22:23]
.LBB382_29:
	s_or_b64 exec, exec, s[20:21]
.LBB382_30:
	s_or_b64 exec, exec, s[18:19]
.LBB382_31:
	s_or_b64 exec, exec, s[16:17]
.LBB382_32:
	s_or_b64 exec, exec, s[14:15]
.LBB382_33:
	s_or_b64 exec, exec, s[6:7]
.LBB382_34:
	s_or_b64 exec, exec, s[4:5]
.LBB382_35:
	s_or_b64 exec, exec, s[2:3]
	s_cmp_eq_u32 s9, 0
	s_cselect_b64 s[2:3], -1, 0
	s_and_b32 s5, s10, 0xff
	s_waitcnt vmcnt(0)
	v_cmp_ne_u16_sdwa s[0:1], v11, s5 src0_sel:BYTE_0 src1_sel:DWORD
	s_xor_b64 s[0:1], s[2:3], s[0:1]
	v_cndmask_b32_e64 v1, 0, 1, s[0:1]
	v_cmp_ne_u16_sdwa s[0:1], v12, s5 src0_sel:BYTE_0 src1_sel:DWORD
	s_xor_b64 s[0:1], s[2:3], s[0:1]
	v_cndmask_b32_e64 v2, 0, 1, s[0:1]
	v_cndmask_b32_e32 v1, 0, v1, vcc
	v_lshlrev_b16_e32 v2, 8, v2
	v_or_b32_e32 v2, v1, v2
	v_and_b32_e32 v2, 0xffff, v2
	v_cmp_gt_i32_e64 s[0:1], s8, v3
	v_cndmask_b32_e64 v1, v1, v2, s[0:1]
	v_cmp_ne_u16_sdwa s[0:1], v13, s5 src0_sel:BYTE_0 src1_sel:DWORD
	s_xor_b64 s[0:1], s[2:3], s[0:1]
	v_or_b32_e32 v2, 0x200, v0
	v_cndmask_b32_e64 v11, 0, 1, s[0:1]
	v_lshl_or_b32 v11, v11, 16, v1
	v_cmp_gt_i32_e64 s[0:1], s8, v2
	v_cndmask_b32_e64 v1, v1, v11, s[0:1]
	v_cmp_ne_u16_sdwa s[0:1], v9, s5 src0_sel:BYTE_0 src1_sel:DWORD
	s_xor_b64 s[0:1], s[2:3], s[0:1]
	s_movk_i32 s4, 0xff
	v_cndmask_b32_e64 v9, 0, 1, s[0:1]
	v_and_b32_sdwa v2, v1, s4 dst_sel:DWORD dst_unused:UNUSED_PAD src0_sel:WORD_1 src1_sel:DWORD
	v_lshlrev_b16_e32 v9, 8, v9
	s_mov_b32 s6, 0xffff
	v_or_b32_e32 v11, 0x300, v0
	v_or_b32_sdwa v2, v2, v9 dst_sel:WORD_1 dst_unused:UNUSED_PAD src0_sel:DWORD src1_sel:DWORD
	v_and_or_b32 v2, v1, s6, v2
	v_cmp_gt_i32_e64 s[0:1], s8, v11
	v_cndmask_b32_e64 v9, v1, v2, s[0:1]
	v_cmp_ne_u16_sdwa s[0:1], v7, s5 src0_sel:BYTE_0 src1_sel:DWORD
	s_xor_b64 s[0:1], s[2:3], s[0:1]
	v_cndmask_b32_e64 v1, 0, 1, s[0:1]
	v_or_b32_e32 v2, 0x400, v0
	v_and_b32_e32 v1, 0xffff, v1
	v_cmp_gt_i32_e64 s[0:1], s8, v2
	v_cndmask_b32_e64 v1, 0, v1, s[0:1]
	v_cmp_ne_u16_sdwa s[0:1], v5, s5 src0_sel:BYTE_0 src1_sel:DWORD
	s_xor_b64 s[0:1], s[2:3], s[0:1]
	v_cndmask_b32_e64 v5, 0, 1, s[0:1]
	v_lshlrev_b16_e32 v5, 8, v5
	v_or_b32_e32 v2, 0x500, v0
	v_or_b32_sdwa v5, v1, v5 dst_sel:DWORD dst_unused:UNUSED_PAD src0_sel:BYTE_0 src1_sel:DWORD
	v_and_b32_e32 v5, 0xffff, v5
	v_cmp_gt_i32_e64 s[0:1], s8, v2
	v_cndmask_b32_e64 v1, v1, v5, s[0:1]
	v_cmp_ne_u16_sdwa s[0:1], v8, s5 src0_sel:BYTE_0 src1_sel:DWORD
	s_movk_i32 s7, 0xff00
	s_xor_b64 s[0:1], s[2:3], s[0:1]
	v_and_b32_sdwa v2, v1, s7 dst_sel:DWORD dst_unused:UNUSED_PAD src0_sel:WORD_1 src1_sel:DWORD
	v_cndmask_b32_e64 v5, 0, 1, s[0:1]
	v_or_b32_sdwa v2, v5, v2 dst_sel:WORD_1 dst_unused:UNUSED_PAD src0_sel:DWORD src1_sel:DWORD
	v_or_b32_e32 v5, 0x600, v0
	v_and_or_b32 v2, v1, s6, v2
	v_cmp_gt_i32_e64 s[0:1], s8, v5
	v_cndmask_b32_e64 v1, v1, v2, s[0:1]
	v_cmp_ne_u16_sdwa s[0:1], v6, s5 src0_sel:BYTE_0 src1_sel:DWORD
	s_xor_b64 s[0:1], s[2:3], s[0:1]
	v_cndmask_b32_e64 v6, 0, 1, s[0:1]
	v_and_b32_sdwa v2, v1, s4 dst_sel:DWORD dst_unused:UNUSED_PAD src0_sel:WORD_1 src1_sel:DWORD
	v_lshlrev_b16_e32 v6, 8, v6
	v_or_b32_e32 v5, 0x700, v0
	v_or_b32_sdwa v2, v2, v6 dst_sel:WORD_1 dst_unused:UNUSED_PAD src0_sel:DWORD src1_sel:DWORD
	v_and_or_b32 v2, v1, s6, v2
	v_cmp_gt_i32_e64 s[0:1], s8, v5
	v_cndmask_b32_e64 v5, v1, v2, s[0:1]
	v_cmp_ne_u16_sdwa s[0:1], v10, s5 src0_sel:BYTE_0 src1_sel:DWORD
	v_or_b32_e32 v1, 0x800, v0
	s_xor_b64 s[0:1], s[2:3], s[0:1]
	v_cndmask_b32_e64 v2, 0, 1, s[0:1]
	v_cmp_gt_i32_e64 s[0:1], s8, v1
	v_cndmask_b32_e64 v1, 0, v2, s[0:1]
	v_cmp_ne_u16_sdwa s[0:1], v14, s5 src0_sel:BYTE_0 src1_sel:DWORD
	s_xor_b64 s[0:1], s[2:3], s[0:1]
	v_cndmask_b32_e64 v6, 0, 1, s[0:1]
	v_lshlrev_b16_e32 v6, 8, v6
	v_or_b32_e32 v2, 0x900, v0
	v_or_b32_e32 v6, v1, v6
	v_and_b32_e32 v6, 0xffff, v6
	v_cmp_gt_i32_e64 s[0:1], s8, v2
	v_cndmask_b32_e64 v1, v1, v6, s[0:1]
	v_cmp_ne_u16_sdwa s[0:1], v15, s5 src0_sel:BYTE_0 src1_sel:DWORD
	s_xor_b64 s[0:1], s[2:3], s[0:1]
	v_cndmask_b32_e64 v6, 0, 1, s[0:1]
	v_or_b32_e32 v2, 0xa00, v0
	v_lshlrev_b32_e32 v6, 16, v6
	s_movk_i32 s0, 0x1ff
	v_and_or_b32 v6, v1, s0, v6
	v_cmp_gt_i32_e64 s[0:1], s8, v2
	v_cndmask_b32_e64 v1, v1, v6, s[0:1]
	v_cmp_ne_u16_sdwa s[0:1], v16, s5 src0_sel:BYTE_0 src1_sel:DWORD
	s_xor_b64 s[0:1], s[2:3], s[0:1]
	v_cndmask_b32_e64 v7, 0, 1, s[0:1]
	v_and_b32_sdwa v2, v1, s4 dst_sel:DWORD dst_unused:UNUSED_PAD src0_sel:WORD_1 src1_sel:DWORD
	v_lshlrev_b16_e32 v7, 8, v7
	v_or_b32_e32 v6, 0xb00, v0
	v_or_b32_sdwa v2, v2, v7 dst_sel:WORD_1 dst_unused:UNUSED_PAD src0_sel:DWORD src1_sel:DWORD
	v_and_or_b32 v2, v1, s6, v2
	v_cmp_gt_i32_e64 s[0:1], s8, v6
	v_cndmask_b32_e64 v2, v1, v2, s[0:1]
	v_cmp_ne_u16_sdwa s[0:1], v17, s5 src0_sel:BYTE_0 src1_sel:DWORD
	v_or_b32_e32 v1, 0xc00, v0
	s_xor_b64 s[0:1], s[2:3], s[0:1]
	v_cndmask_b32_e64 v6, 0, 1, s[0:1]
	v_cmp_gt_i32_e64 s[0:1], s8, v1
	v_cndmask_b32_e64 v1, 0, v6, s[0:1]
	v_cmp_ne_u16_sdwa s[0:1], v18, s5 src0_sel:BYTE_0 src1_sel:DWORD
	s_xor_b64 s[0:1], s[2:3], s[0:1]
	v_cndmask_b32_e64 v7, 0, 1, s[0:1]
	v_lshlrev_b16_e32 v7, 8, v7
	v_or_b32_e32 v6, 0xd00, v0
	v_or_b32_sdwa v7, v1, v7 dst_sel:DWORD dst_unused:UNUSED_PAD src0_sel:BYTE_0 src1_sel:DWORD
	v_and_b32_e32 v7, 0xffff, v7
	v_cmp_gt_i32_e64 s[0:1], s8, v6
	v_cndmask_b32_e64 v1, v1, v7, s[0:1]
	v_cmp_ne_u16_sdwa s[0:1], v19, s5 src0_sel:BYTE_0 src1_sel:DWORD
	s_xor_b64 s[0:1], s[2:3], s[0:1]
	v_and_b32_sdwa v6, v1, s7 dst_sel:DWORD dst_unused:UNUSED_PAD src0_sel:WORD_1 src1_sel:DWORD
	v_cndmask_b32_e64 v7, 0, 1, s[0:1]
	v_or_b32_sdwa v6, v7, v6 dst_sel:WORD_1 dst_unused:UNUSED_PAD src0_sel:DWORD src1_sel:DWORD
	v_or_b32_e32 v7, 0xe00, v0
	v_and_or_b32 v6, v1, s6, v6
	v_cmp_gt_i32_e64 s[0:1], s8, v7
	v_cndmask_b32_e64 v1, v1, v6, s[0:1]
	v_cmp_ne_u16_sdwa s[0:1], v20, s5 src0_sel:BYTE_0 src1_sel:DWORD
	s_xor_b64 s[0:1], s[2:3], s[0:1]
	v_cndmask_b32_e64 v8, 0, 1, s[0:1]
	v_and_b32_sdwa v6, v1, s4 dst_sel:DWORD dst_unused:UNUSED_PAD src0_sel:WORD_1 src1_sel:DWORD
	v_lshlrev_b16_e32 v8, 8, v8
	v_or_b32_e32 v7, 0xf00, v0
	v_or_b32_sdwa v6, v6, v8 dst_sel:WORD_1 dst_unused:UNUSED_PAD src0_sel:DWORD src1_sel:DWORD
	v_and_or_b32 v6, v1, s6, v6
	v_cmp_gt_i32_e64 s[0:1], s8, v7
	v_cndmask_b32_e64 v1, v1, v6, s[0:1]
	s_and_saveexec_b64 s[0:1], vcc
	s_cbranch_execnz .LBB382_53
; %bb.36:
	s_or_b64 exec, exec, s[0:1]
	v_cmp_gt_i32_e32 vcc, s8, v0
	s_and_saveexec_b64 s[0:1], vcc
	s_cbranch_execnz .LBB382_54
.LBB382_37:
	s_or_b64 exec, exec, s[0:1]
	v_cmp_gt_i32_e32 vcc, s8, v0
	s_and_saveexec_b64 s[0:1], vcc
	s_cbranch_execnz .LBB382_55
.LBB382_38:
	s_or_b64 exec, exec, s[0:1]
	v_cmp_gt_i32_e32 vcc, s8, v0
	s_and_saveexec_b64 s[0:1], vcc
	s_cbranch_execnz .LBB382_56
.LBB382_39:
	s_or_b64 exec, exec, s[0:1]
	v_cmp_gt_i32_e32 vcc, s8, v0
	s_and_saveexec_b64 s[0:1], vcc
	s_cbranch_execnz .LBB382_57
.LBB382_40:
	s_or_b64 exec, exec, s[0:1]
	v_cmp_gt_i32_e32 vcc, s8, v0
	s_and_saveexec_b64 s[0:1], vcc
	s_cbranch_execnz .LBB382_58
.LBB382_41:
	s_or_b64 exec, exec, s[0:1]
	v_cmp_gt_i32_e32 vcc, s8, v0
	s_and_saveexec_b64 s[0:1], vcc
	s_cbranch_execnz .LBB382_59
.LBB382_42:
	s_or_b64 exec, exec, s[0:1]
	v_cmp_gt_i32_e32 vcc, s8, v0
	s_and_saveexec_b64 s[0:1], vcc
	s_cbranch_execnz .LBB382_60
.LBB382_43:
	s_or_b64 exec, exec, s[0:1]
	v_cmp_gt_i32_e32 vcc, s8, v0
	s_and_saveexec_b64 s[0:1], vcc
	s_cbranch_execnz .LBB382_61
.LBB382_44:
	s_or_b64 exec, exec, s[0:1]
	v_cmp_gt_i32_e32 vcc, s8, v0
	s_and_saveexec_b64 s[0:1], vcc
	s_cbranch_execnz .LBB382_62
.LBB382_45:
	s_or_b64 exec, exec, s[0:1]
	v_cmp_gt_i32_e32 vcc, s8, v0
	s_and_saveexec_b64 s[0:1], vcc
	s_cbranch_execnz .LBB382_63
.LBB382_46:
	s_or_b64 exec, exec, s[0:1]
	v_cmp_gt_i32_e32 vcc, s8, v0
	s_and_saveexec_b64 s[0:1], vcc
	s_cbranch_execnz .LBB382_64
.LBB382_47:
	s_or_b64 exec, exec, s[0:1]
	v_cmp_gt_i32_e32 vcc, s8, v0
	s_and_saveexec_b64 s[0:1], vcc
	s_cbranch_execnz .LBB382_65
.LBB382_48:
	s_or_b64 exec, exec, s[0:1]
	v_cmp_gt_i32_e32 vcc, s8, v0
	s_and_saveexec_b64 s[0:1], vcc
	s_cbranch_execnz .LBB382_66
.LBB382_49:
	s_or_b64 exec, exec, s[0:1]
	v_cmp_gt_i32_e32 vcc, s8, v0
	s_and_saveexec_b64 s[0:1], vcc
	s_cbranch_execnz .LBB382_67
.LBB382_50:
	s_or_b64 exec, exec, s[0:1]
	v_cmp_gt_i32_e32 vcc, s8, v0
	s_and_saveexec_b64 s[0:1], vcc
	s_cbranch_execz .LBB382_52
.LBB382_51:
	v_lshrrev_b32_e32 v1, 24, v1
	v_add_u32_e32 v0, s11, v0
	global_store_byte v0, v1, s[12:13]
.LBB382_52:
	s_endpgm
.LBB382_53:
	v_mov_b32_e32 v0, v3
	global_store_byte v4, v9, s[12:13]
	s_or_b64 exec, exec, s[0:1]
	v_cmp_gt_i32_e32 vcc, s8, v0
	s_and_saveexec_b64 s[0:1], vcc
	s_cbranch_execz .LBB382_37
.LBB382_54:
	v_lshrrev_b32_e32 v3, 8, v9
	v_add_u32_e32 v4, s11, v0
	v_add_u32_e32 v0, 0x100, v0
	global_store_byte v4, v3, s[12:13]
	s_or_b64 exec, exec, s[0:1]
	v_cmp_gt_i32_e32 vcc, s8, v0
	s_and_saveexec_b64 s[0:1], vcc
	s_cbranch_execz .LBB382_38
.LBB382_55:
	v_add_u32_e32 v3, s11, v0
	v_add_u32_e32 v0, 0x100, v0
	global_store_byte_d16_hi v3, v9, s[12:13]
	s_or_b64 exec, exec, s[0:1]
	v_cmp_gt_i32_e32 vcc, s8, v0
	s_and_saveexec_b64 s[0:1], vcc
	s_cbranch_execz .LBB382_39
.LBB382_56:
	v_lshrrev_b32_e32 v3, 24, v9
	v_add_u32_e32 v4, s11, v0
	v_add_u32_e32 v0, 0x100, v0
	global_store_byte v4, v3, s[12:13]
	s_or_b64 exec, exec, s[0:1]
	v_cmp_gt_i32_e32 vcc, s8, v0
	s_and_saveexec_b64 s[0:1], vcc
	s_cbranch_execz .LBB382_40
.LBB382_57:
	v_add_u32_e32 v3, s11, v0
	v_add_u32_e32 v0, 0x100, v0
	global_store_byte v3, v5, s[12:13]
	s_or_b64 exec, exec, s[0:1]
	v_cmp_gt_i32_e32 vcc, s8, v0
	s_and_saveexec_b64 s[0:1], vcc
	s_cbranch_execz .LBB382_41
.LBB382_58:
	v_lshrrev_b32_e32 v3, 8, v5
	v_add_u32_e32 v4, s11, v0
	v_add_u32_e32 v0, 0x100, v0
	global_store_byte v4, v3, s[12:13]
	s_or_b64 exec, exec, s[0:1]
	v_cmp_gt_i32_e32 vcc, s8, v0
	s_and_saveexec_b64 s[0:1], vcc
	s_cbranch_execz .LBB382_42
.LBB382_59:
	v_add_u32_e32 v3, s11, v0
	v_add_u32_e32 v0, 0x100, v0
	global_store_byte_d16_hi v3, v5, s[12:13]
	s_or_b64 exec, exec, s[0:1]
	v_cmp_gt_i32_e32 vcc, s8, v0
	s_and_saveexec_b64 s[0:1], vcc
	s_cbranch_execz .LBB382_43
.LBB382_60:
	v_lshrrev_b32_e32 v3, 24, v5
	v_add_u32_e32 v4, s11, v0
	v_add_u32_e32 v0, 0x100, v0
	global_store_byte v4, v3, s[12:13]
	s_or_b64 exec, exec, s[0:1]
	v_cmp_gt_i32_e32 vcc, s8, v0
	s_and_saveexec_b64 s[0:1], vcc
	s_cbranch_execz .LBB382_44
.LBB382_61:
	v_add_u32_e32 v3, s11, v0
	v_add_u32_e32 v0, 0x100, v0
	global_store_byte v3, v2, s[12:13]
	s_or_b64 exec, exec, s[0:1]
	v_cmp_gt_i32_e32 vcc, s8, v0
	s_and_saveexec_b64 s[0:1], vcc
	s_cbranch_execz .LBB382_45
.LBB382_62:
	v_lshrrev_b32_e32 v3, 8, v2
	v_add_u32_e32 v4, s11, v0
	v_add_u32_e32 v0, 0x100, v0
	global_store_byte v4, v3, s[12:13]
	s_or_b64 exec, exec, s[0:1]
	v_cmp_gt_i32_e32 vcc, s8, v0
	s_and_saveexec_b64 s[0:1], vcc
	s_cbranch_execz .LBB382_46
.LBB382_63:
	v_add_u32_e32 v3, s11, v0
	v_add_u32_e32 v0, 0x100, v0
	global_store_byte_d16_hi v3, v2, s[12:13]
	s_or_b64 exec, exec, s[0:1]
	v_cmp_gt_i32_e32 vcc, s8, v0
	s_and_saveexec_b64 s[0:1], vcc
	s_cbranch_execz .LBB382_47
.LBB382_64:
	v_lshrrev_b32_e32 v2, 24, v2
	v_add_u32_e32 v3, s11, v0
	v_add_u32_e32 v0, 0x100, v0
	global_store_byte v3, v2, s[12:13]
	s_or_b64 exec, exec, s[0:1]
	v_cmp_gt_i32_e32 vcc, s8, v0
	s_and_saveexec_b64 s[0:1], vcc
	s_cbranch_execz .LBB382_48
.LBB382_65:
	v_add_u32_e32 v2, s11, v0
	v_add_u32_e32 v0, 0x100, v0
	global_store_byte v2, v1, s[12:13]
	s_or_b64 exec, exec, s[0:1]
	v_cmp_gt_i32_e32 vcc, s8, v0
	s_and_saveexec_b64 s[0:1], vcc
	s_cbranch_execz .LBB382_49
.LBB382_66:
	v_lshrrev_b32_e32 v2, 8, v1
	v_add_u32_e32 v3, s11, v0
	v_add_u32_e32 v0, 0x100, v0
	global_store_byte v3, v2, s[12:13]
	s_or_b64 exec, exec, s[0:1]
	v_cmp_gt_i32_e32 vcc, s8, v0
	s_and_saveexec_b64 s[0:1], vcc
	s_cbranch_execz .LBB382_50
.LBB382_67:
	v_add_u32_e32 v2, s11, v0
	v_add_u32_e32 v0, 0x100, v0
	global_store_byte_d16_hi v2, v1, s[12:13]
	s_or_b64 exec, exec, s[0:1]
	v_cmp_gt_i32_e32 vcc, s8, v0
	s_and_saveexec_b64 s[0:1], vcc
	s_cbranch_execnz .LBB382_51
	s_branch .LBB382_52
	.section	.rodata,"a",@progbits
	.p2align	6, 0x0
	.amdhsa_kernel _ZN2at6native29vectorized_elementwise_kernelILi8ENS0_13AUnaryFunctorIN3c1016Float4_e2m1fn_x2ES4_bNS0_12_GLOBAL__N_116CompareEqFunctorIS4_EEEESt5arrayIPcLm2EEEEviT0_T1_
		.amdhsa_group_segment_fixed_size 0
		.amdhsa_private_segment_fixed_size 0
		.amdhsa_kernarg_size 32
		.amdhsa_user_sgpr_count 6
		.amdhsa_user_sgpr_private_segment_buffer 1
		.amdhsa_user_sgpr_dispatch_ptr 0
		.amdhsa_user_sgpr_queue_ptr 0
		.amdhsa_user_sgpr_kernarg_segment_ptr 1
		.amdhsa_user_sgpr_dispatch_id 0
		.amdhsa_user_sgpr_flat_scratch_init 0
		.amdhsa_user_sgpr_private_segment_size 0
		.amdhsa_uses_dynamic_stack 0
		.amdhsa_system_sgpr_private_segment_wavefront_offset 0
		.amdhsa_system_sgpr_workgroup_id_x 1
		.amdhsa_system_sgpr_workgroup_id_y 0
		.amdhsa_system_sgpr_workgroup_id_z 0
		.amdhsa_system_sgpr_workgroup_info 0
		.amdhsa_system_vgpr_workitem_id 0
		.amdhsa_next_free_vgpr 21
		.amdhsa_next_free_sgpr 42
		.amdhsa_reserve_vcc 1
		.amdhsa_reserve_flat_scratch 0
		.amdhsa_float_round_mode_32 0
		.amdhsa_float_round_mode_16_64 0
		.amdhsa_float_denorm_mode_32 3
		.amdhsa_float_denorm_mode_16_64 3
		.amdhsa_dx10_clamp 1
		.amdhsa_ieee_mode 1
		.amdhsa_fp16_overflow 0
		.amdhsa_exception_fp_ieee_invalid_op 0
		.amdhsa_exception_fp_denorm_src 0
		.amdhsa_exception_fp_ieee_div_zero 0
		.amdhsa_exception_fp_ieee_overflow 0
		.amdhsa_exception_fp_ieee_underflow 0
		.amdhsa_exception_fp_ieee_inexact 0
		.amdhsa_exception_int_div_zero 0
	.end_amdhsa_kernel
	.section	.text._ZN2at6native29vectorized_elementwise_kernelILi8ENS0_13AUnaryFunctorIN3c1016Float4_e2m1fn_x2ES4_bNS0_12_GLOBAL__N_116CompareEqFunctorIS4_EEEESt5arrayIPcLm2EEEEviT0_T1_,"axG",@progbits,_ZN2at6native29vectorized_elementwise_kernelILi8ENS0_13AUnaryFunctorIN3c1016Float4_e2m1fn_x2ES4_bNS0_12_GLOBAL__N_116CompareEqFunctorIS4_EEEESt5arrayIPcLm2EEEEviT0_T1_,comdat
.Lfunc_end382:
	.size	_ZN2at6native29vectorized_elementwise_kernelILi8ENS0_13AUnaryFunctorIN3c1016Float4_e2m1fn_x2ES4_bNS0_12_GLOBAL__N_116CompareEqFunctorIS4_EEEESt5arrayIPcLm2EEEEviT0_T1_, .Lfunc_end382-_ZN2at6native29vectorized_elementwise_kernelILi8ENS0_13AUnaryFunctorIN3c1016Float4_e2m1fn_x2ES4_bNS0_12_GLOBAL__N_116CompareEqFunctorIS4_EEEESt5arrayIPcLm2EEEEviT0_T1_
                                        ; -- End function
	.set _ZN2at6native29vectorized_elementwise_kernelILi8ENS0_13AUnaryFunctorIN3c1016Float4_e2m1fn_x2ES4_bNS0_12_GLOBAL__N_116CompareEqFunctorIS4_EEEESt5arrayIPcLm2EEEEviT0_T1_.num_vgpr, 21
	.set _ZN2at6native29vectorized_elementwise_kernelILi8ENS0_13AUnaryFunctorIN3c1016Float4_e2m1fn_x2ES4_bNS0_12_GLOBAL__N_116CompareEqFunctorIS4_EEEESt5arrayIPcLm2EEEEviT0_T1_.num_agpr, 0
	.set _ZN2at6native29vectorized_elementwise_kernelILi8ENS0_13AUnaryFunctorIN3c1016Float4_e2m1fn_x2ES4_bNS0_12_GLOBAL__N_116CompareEqFunctorIS4_EEEESt5arrayIPcLm2EEEEviT0_T1_.numbered_sgpr, 42
	.set _ZN2at6native29vectorized_elementwise_kernelILi8ENS0_13AUnaryFunctorIN3c1016Float4_e2m1fn_x2ES4_bNS0_12_GLOBAL__N_116CompareEqFunctorIS4_EEEESt5arrayIPcLm2EEEEviT0_T1_.num_named_barrier, 0
	.set _ZN2at6native29vectorized_elementwise_kernelILi8ENS0_13AUnaryFunctorIN3c1016Float4_e2m1fn_x2ES4_bNS0_12_GLOBAL__N_116CompareEqFunctorIS4_EEEESt5arrayIPcLm2EEEEviT0_T1_.private_seg_size, 0
	.set _ZN2at6native29vectorized_elementwise_kernelILi8ENS0_13AUnaryFunctorIN3c1016Float4_e2m1fn_x2ES4_bNS0_12_GLOBAL__N_116CompareEqFunctorIS4_EEEESt5arrayIPcLm2EEEEviT0_T1_.uses_vcc, 1
	.set _ZN2at6native29vectorized_elementwise_kernelILi8ENS0_13AUnaryFunctorIN3c1016Float4_e2m1fn_x2ES4_bNS0_12_GLOBAL__N_116CompareEqFunctorIS4_EEEESt5arrayIPcLm2EEEEviT0_T1_.uses_flat_scratch, 0
	.set _ZN2at6native29vectorized_elementwise_kernelILi8ENS0_13AUnaryFunctorIN3c1016Float4_e2m1fn_x2ES4_bNS0_12_GLOBAL__N_116CompareEqFunctorIS4_EEEESt5arrayIPcLm2EEEEviT0_T1_.has_dyn_sized_stack, 0
	.set _ZN2at6native29vectorized_elementwise_kernelILi8ENS0_13AUnaryFunctorIN3c1016Float4_e2m1fn_x2ES4_bNS0_12_GLOBAL__N_116CompareEqFunctorIS4_EEEESt5arrayIPcLm2EEEEviT0_T1_.has_recursion, 0
	.set _ZN2at6native29vectorized_elementwise_kernelILi8ENS0_13AUnaryFunctorIN3c1016Float4_e2m1fn_x2ES4_bNS0_12_GLOBAL__N_116CompareEqFunctorIS4_EEEESt5arrayIPcLm2EEEEviT0_T1_.has_indirect_call, 0
	.section	.AMDGPU.csdata,"",@progbits
; Kernel info:
; codeLenInByte = 3548
; TotalNumSgprs: 46
; NumVgprs: 21
; ScratchSize: 0
; MemoryBound: 0
; FloatMode: 240
; IeeeMode: 1
; LDSByteSize: 0 bytes/workgroup (compile time only)
; SGPRBlocks: 5
; VGPRBlocks: 5
; NumSGPRsForWavesPerEU: 46
; NumVGPRsForWavesPerEU: 21
; Occupancy: 10
; WaveLimiterHint : 1
; COMPUTE_PGM_RSRC2:SCRATCH_EN: 0
; COMPUTE_PGM_RSRC2:USER_SGPR: 6
; COMPUTE_PGM_RSRC2:TRAP_HANDLER: 0
; COMPUTE_PGM_RSRC2:TGID_X_EN: 1
; COMPUTE_PGM_RSRC2:TGID_Y_EN: 0
; COMPUTE_PGM_RSRC2:TGID_Z_EN: 0
; COMPUTE_PGM_RSRC2:TIDIG_COMP_CNT: 0
	.section	.text._ZN2at6native29vectorized_elementwise_kernelILi4ENS0_13AUnaryFunctorIN3c1016Float4_e2m1fn_x2ES4_bNS0_12_GLOBAL__N_116CompareEqFunctorIS4_EEEESt5arrayIPcLm2EEEEviT0_T1_,"axG",@progbits,_ZN2at6native29vectorized_elementwise_kernelILi4ENS0_13AUnaryFunctorIN3c1016Float4_e2m1fn_x2ES4_bNS0_12_GLOBAL__N_116CompareEqFunctorIS4_EEEESt5arrayIPcLm2EEEEviT0_T1_,comdat
	.globl	_ZN2at6native29vectorized_elementwise_kernelILi4ENS0_13AUnaryFunctorIN3c1016Float4_e2m1fn_x2ES4_bNS0_12_GLOBAL__N_116CompareEqFunctorIS4_EEEESt5arrayIPcLm2EEEEviT0_T1_ ; -- Begin function _ZN2at6native29vectorized_elementwise_kernelILi4ENS0_13AUnaryFunctorIN3c1016Float4_e2m1fn_x2ES4_bNS0_12_GLOBAL__N_116CompareEqFunctorIS4_EEEESt5arrayIPcLm2EEEEviT0_T1_
	.p2align	8
	.type	_ZN2at6native29vectorized_elementwise_kernelILi4ENS0_13AUnaryFunctorIN3c1016Float4_e2m1fn_x2ES4_bNS0_12_GLOBAL__N_116CompareEqFunctorIS4_EEEESt5arrayIPcLm2EEEEviT0_T1_,@function
_ZN2at6native29vectorized_elementwise_kernelILi4ENS0_13AUnaryFunctorIN3c1016Float4_e2m1fn_x2ES4_bNS0_12_GLOBAL__N_116CompareEqFunctorIS4_EEEESt5arrayIPcLm2EEEEviT0_T1_: ; @_ZN2at6native29vectorized_elementwise_kernelILi4ENS0_13AUnaryFunctorIN3c1016Float4_e2m1fn_x2ES4_bNS0_12_GLOBAL__N_116CompareEqFunctorIS4_EEEESt5arrayIPcLm2EEEEviT0_T1_
; %bb.0:
	s_load_dwordx8 s[8:15], s[4:5], 0x0
	s_waitcnt lgkmcnt(0)
	s_lshl_b32 s11, s6, 12
	s_mov_b64 s[0:1], -1
	s_sub_i32 s8, s8, s11
	s_cmpk_gt_i32 s8, 0xfff
	s_cbranch_scc0 .LBB383_2
; %bb.1:
	s_ashr_i32 s30, s11, 31
	s_add_u32 s0, s14, s11
	s_addc_u32 s1, s15, s30
	v_lshlrev_b32_e32 v1, 2, v0
	global_load_dword v2, v1, s[0:1]
	global_load_dword v3, v1, s[0:1] offset:1024
	global_load_dword v4, v1, s[0:1] offset:2048
	;; [unrolled: 1-line block ×3, first 2 shown]
	s_cmp_eq_u32 s9, 0
	s_cselect_b64 s[6:7], -1, 0
	s_and_b32 s31, s10, 0xff
	s_movk_i32 s24, 0xff
	s_waitcnt vmcnt(3)
	v_cmp_ne_u16_sdwa s[0:1], v2, s31 src0_sel:BYTE_0 src1_sel:DWORD
	v_cmp_ne_u16_sdwa s[2:3], v2, s31 src0_sel:BYTE_3 src1_sel:DWORD
	s_xor_b64 s[0:1], s[6:7], s[0:1]
	v_lshrrev_b32_e32 v6, 8, v2
	v_and_b32_sdwa v7, v2, s24 dst_sel:DWORD dst_unused:UNUSED_PAD src0_sel:WORD_1 src1_sel:DWORD
	s_waitcnt vmcnt(2)
	v_cmp_ne_u16_sdwa s[4:5], v3, s31 src0_sel:BYTE_0 src1_sel:DWORD
	v_lshrrev_b32_e32 v2, 8, v3
	v_and_b32_sdwa v8, v3, s24 dst_sel:DWORD dst_unused:UNUSED_PAD src0_sel:WORD_1 src1_sel:DWORD
	v_cmp_ne_u16_sdwa s[16:17], v3, s31 src0_sel:BYTE_3 src1_sel:DWORD
	s_waitcnt vmcnt(1)
	v_cmp_ne_u16_sdwa s[18:19], v4, s31 src0_sel:BYTE_0 src1_sel:DWORD
	v_lshrrev_b32_e32 v3, 8, v4
	v_and_b32_sdwa v9, v4, s24 dst_sel:DWORD dst_unused:UNUSED_PAD src0_sel:WORD_1 src1_sel:DWORD
	v_cmp_ne_u16_sdwa s[20:21], v4, s31 src0_sel:BYTE_3 src1_sel:DWORD
	;; [unrolled: 5-line block ×3, first 2 shown]
	v_cndmask_b32_e64 v5, 0, 1, s[0:1]
	s_xor_b64 s[0:1], s[6:7], s[2:3]
	v_cmp_ne_u16_sdwa s[26:27], v6, s31 src0_sel:BYTE_0 src1_sel:DWORD
	v_cndmask_b32_e64 v6, 0, 1, s[0:1]
	s_xor_b64 s[0:1], s[6:7], s[4:5]
	v_cmp_ne_u16_e32 vcc, s31, v7
	v_cndmask_b32_e64 v7, 0, 1, s[0:1]
	v_cmp_ne_u16_e64 s[0:1], s31, v8
	s_xor_b64 s[2:3], s[6:7], s[16:17]
	v_cmp_ne_u16_sdwa s[28:29], v2, s31 src0_sel:BYTE_0 src1_sel:DWORD
	v_cndmask_b32_e64 v2, 0, 1, s[2:3]
	s_xor_b64 s[2:3], s[6:7], s[18:19]
	v_cmp_ne_u16_sdwa s[16:17], v3, s31 src0_sel:BYTE_0 src1_sel:DWORD
	s_xor_b64 s[4:5], s[6:7], s[20:21]
	s_xor_b64 s[20:21], s[6:7], s[24:25]
	;; [unrolled: 1-line block ×3, first 2 shown]
	v_cndmask_b32_e64 v8, 0, 1, s[2:3]
	v_cmp_ne_u16_e64 s[2:3], s31, v9
	v_cndmask_b32_e64 v3, 0, 1, s[4:5]
	s_xor_b64 s[4:5], s[6:7], s[22:23]
	v_cmp_ne_u16_sdwa s[18:19], v4, s31 src0_sel:BYTE_0 src1_sel:DWORD
	v_cndmask_b32_e64 v4, 0, 1, s[20:21]
	s_xor_b64 s[20:21], s[6:7], s[26:27]
	v_cndmask_b32_e64 v13, 0, 1, s[0:1]
	s_xor_b64 s[0:1], s[6:7], s[16:17]
	v_cndmask_b32_e64 v9, 0, 1, s[4:5]
	v_cmp_ne_u16_e64 s[4:5], s31, v10
	v_cndmask_b32_e64 v10, 0, 1, s[20:21]
	s_xor_b64 s[20:21], s[6:7], vcc
	v_cndmask_b32_e64 v14, 0, 1, s[0:1]
	s_xor_b64 s[0:1], s[6:7], s[2:3]
	v_cndmask_b32_e64 v11, 0, 1, s[20:21]
	s_xor_b64 s[20:21], s[6:7], s[28:29]
	;; [unrolled: 2-line block ×3, first 2 shown]
	v_cndmask_b32_e64 v12, 0, 1, s[20:21]
	v_cndmask_b32_e64 v16, 0, 1, s[0:1]
	s_xor_b64 s[0:1], s[6:7], s[4:5]
	v_lshlrev_b16_e32 v6, 8, v6
	v_lshlrev_b16_e32 v10, 8, v10
	v_cndmask_b32_e64 v17, 0, 1, s[0:1]
	v_lshlrev_b16_e32 v4, 8, v4
	v_lshlrev_b16_e32 v3, 8, v3
	;; [unrolled: 1-line block ×6, first 2 shown]
	v_or_b32_sdwa v6, v11, v6 dst_sel:WORD_1 dst_unused:UNUSED_PAD src0_sel:DWORD src1_sel:DWORD
	s_add_u32 s0, s12, s11
	v_or_b32_e32 v5, v5, v10
	v_or_b32_sdwa v4, v17, v4 dst_sel:WORD_1 dst_unused:UNUSED_PAD src0_sel:DWORD src1_sel:DWORD
	v_or_b32_sdwa v3, v15, v3 dst_sel:WORD_1 dst_unused:UNUSED_PAD src0_sel:DWORD src1_sel:DWORD
	;; [unrolled: 1-line block ×3, first 2 shown]
	v_or_b32_e32 v9, v9, v16
	v_or_b32_e32 v8, v8, v14
	;; [unrolled: 1-line block ×3, first 2 shown]
	v_or_b32_sdwa v5, v5, v6 dst_sel:DWORD dst_unused:UNUSED_PAD src0_sel:WORD_0 src1_sel:DWORD
	s_addc_u32 s1, s13, s30
	v_or_b32_sdwa v4, v9, v4 dst_sel:DWORD dst_unused:UNUSED_PAD src0_sel:WORD_0 src1_sel:DWORD
	v_or_b32_sdwa v3, v8, v3 dst_sel:DWORD dst_unused:UNUSED_PAD src0_sel:WORD_0 src1_sel:DWORD
	;; [unrolled: 1-line block ×3, first 2 shown]
	global_store_dword v1, v5, s[0:1]
	global_store_dword v1, v2, s[0:1] offset:1024
	global_store_dword v1, v3, s[0:1] offset:2048
	;; [unrolled: 1-line block ×3, first 2 shown]
	s_mov_b64 s[0:1], 0
.LBB383_2:
	s_andn2_b64 vcc, exec, s[0:1]
	s_cbranch_vccnz .LBB383_52
; %bb.3:
	v_cmp_gt_i32_e32 vcc, s8, v0
	v_or_b32_e32 v3, 0x100, v0
	v_mov_b32_e32 v20, 0
	v_or_b32_e32 v4, s11, v0
	v_mov_b32_e32 v19, 0
	v_mov_b32_e32 v18, 0
	;; [unrolled: 1-line block ×15, first 2 shown]
	s_and_saveexec_b64 s[2:3], vcc
	s_cbranch_execz .LBB383_35
; %bb.4:
	global_load_ubyte v11, v4, s[14:15]
	v_cmp_gt_u32_e64 s[0:1], s8, v3
	v_mov_b32_e32 v12, 0
	v_mov_b32_e32 v13, 0
	;; [unrolled: 1-line block ×15, first 2 shown]
	s_and_saveexec_b64 s[4:5], s[0:1]
	s_cbranch_execz .LBB383_34
; %bb.5:
	v_add_u32_e32 v1, s11, v0
	global_load_ubyte v12, v1, s[14:15] offset:256
	v_or_b32_e32 v2, 0x200, v0
	v_mov_b32_e32 v13, 0
	v_cmp_gt_u32_e64 s[0:1], s8, v2
	v_mov_b32_e32 v9, 0
	v_mov_b32_e32 v7, 0
	;; [unrolled: 1-line block ×13, first 2 shown]
	s_and_saveexec_b64 s[6:7], s[0:1]
	s_cbranch_execz .LBB383_33
; %bb.6:
	v_mov_b32_e32 v2, s15
	v_add_co_u32_e64 v1, s[0:1], s14, v1
	v_addc_co_u32_e64 v2, s[0:1], 0, v2, s[0:1]
	global_load_ubyte v13, v[1:2], off offset:512
	v_or_b32_e32 v5, 0x300, v0
	v_cmp_gt_u32_e64 s[0:1], s8, v5
	v_mov_b32_e32 v9, 0
	v_mov_b32_e32 v7, 0
	;; [unrolled: 1-line block ×13, first 2 shown]
	s_and_saveexec_b64 s[14:15], s[0:1]
	s_cbranch_execz .LBB383_32
; %bb.7:
	global_load_ubyte v9, v[1:2], off offset:768
	v_or_b32_e32 v5, 0x400, v0
	v_cmp_gt_u32_e64 s[0:1], s8, v5
	v_mov_b32_e32 v7, 0
	v_mov_b32_e32 v5, 0
	;; [unrolled: 1-line block ×12, first 2 shown]
	s_and_saveexec_b64 s[16:17], s[0:1]
	s_cbranch_execz .LBB383_31
; %bb.8:
	global_load_ubyte v7, v[1:2], off offset:1024
	v_or_b32_e32 v5, 0x500, v0
	v_cmp_gt_u32_e64 s[0:1], s8, v5
	v_mov_b32_e32 v5, 0
	v_mov_b32_e32 v8, 0
	;; [unrolled: 1-line block ×11, first 2 shown]
	s_and_saveexec_b64 s[18:19], s[0:1]
	s_cbranch_execz .LBB383_30
; %bb.9:
	global_load_ubyte v5, v[1:2], off offset:1280
	v_or_b32_e32 v6, 0x600, v0
	v_cmp_gt_u32_e64 s[0:1], s8, v6
	v_mov_b32_e32 v8, 0
	v_mov_b32_e32 v6, 0
	;; [unrolled: 1-line block ×10, first 2 shown]
	s_and_saveexec_b64 s[20:21], s[0:1]
	s_cbranch_execz .LBB383_29
; %bb.10:
	global_load_ubyte v8, v[1:2], off offset:1536
	v_or_b32_e32 v6, 0x700, v0
	v_cmp_gt_u32_e64 s[0:1], s8, v6
	v_mov_b32_e32 v6, 0
	v_mov_b32_e32 v10, 0
	;; [unrolled: 1-line block ×9, first 2 shown]
	s_and_saveexec_b64 s[22:23], s[0:1]
	s_cbranch_execz .LBB383_28
; %bb.11:
	global_load_ubyte v6, v[1:2], off offset:1792
	v_or_b32_e32 v10, 0x800, v0
	v_cmp_gt_u32_e64 s[0:1], s8, v10
	v_mov_b32_e32 v10, 0
	v_mov_b32_e32 v14, 0
	;; [unrolled: 1-line block ×8, first 2 shown]
	s_and_saveexec_b64 s[24:25], s[0:1]
	s_cbranch_execz .LBB383_27
; %bb.12:
	global_load_ubyte v10, v[1:2], off offset:2048
	v_or_b32_e32 v14, 0x900, v0
	v_cmp_gt_u32_e64 s[0:1], s8, v14
	v_mov_b32_e32 v14, 0
	v_mov_b32_e32 v15, 0
	;; [unrolled: 1-line block ×7, first 2 shown]
	s_and_saveexec_b64 s[26:27], s[0:1]
	s_cbranch_execz .LBB383_26
; %bb.13:
	global_load_ubyte v14, v[1:2], off offset:2304
	v_or_b32_e32 v15, 0xa00, v0
	v_cmp_gt_u32_e64 s[0:1], s8, v15
	v_mov_b32_e32 v15, 0
	v_mov_b32_e32 v16, 0
	;; [unrolled: 1-line block ×6, first 2 shown]
	s_and_saveexec_b64 s[28:29], s[0:1]
	s_cbranch_execz .LBB383_25
; %bb.14:
	global_load_ubyte v15, v[1:2], off offset:2560
	v_or_b32_e32 v16, 0xb00, v0
	v_cmp_gt_u32_e64 s[0:1], s8, v16
	v_mov_b32_e32 v16, 0
	v_mov_b32_e32 v17, 0
	;; [unrolled: 1-line block ×5, first 2 shown]
	s_and_saveexec_b64 s[30:31], s[0:1]
	s_cbranch_execz .LBB383_24
; %bb.15:
	global_load_ubyte v16, v[1:2], off offset:2816
	v_or_b32_e32 v17, 0xc00, v0
	v_cmp_gt_u32_e64 s[0:1], s8, v17
	v_mov_b32_e32 v17, 0
	v_mov_b32_e32 v18, 0
	;; [unrolled: 1-line block ×4, first 2 shown]
	s_and_saveexec_b64 s[34:35], s[0:1]
	s_cbranch_execz .LBB383_23
; %bb.16:
	global_load_ubyte v17, v[1:2], off offset:3072
	v_or_b32_e32 v18, 0xd00, v0
	v_cmp_gt_u32_e64 s[0:1], s8, v18
	v_mov_b32_e32 v18, 0
	v_mov_b32_e32 v19, 0
	;; [unrolled: 1-line block ×3, first 2 shown]
	s_and_saveexec_b64 s[36:37], s[0:1]
	s_cbranch_execz .LBB383_22
; %bb.17:
	global_load_ubyte v18, v[1:2], off offset:3328
	v_or_b32_e32 v19, 0xe00, v0
	v_cmp_gt_u32_e64 s[0:1], s8, v19
	v_mov_b32_e32 v19, 0
	v_mov_b32_e32 v20, 0
	s_and_saveexec_b64 s[38:39], s[0:1]
	s_cbranch_execz .LBB383_21
; %bb.18:
	global_load_ubyte v19, v[1:2], off offset:3584
	v_or_b32_e32 v20, 0xf00, v0
	v_cmp_gt_u32_e64 s[0:1], s8, v20
	v_mov_b32_e32 v20, 0
	s_and_saveexec_b64 s[40:41], s[0:1]
	s_cbranch_execz .LBB383_20
; %bb.19:
	global_load_ubyte v20, v[1:2], off offset:3840
.LBB383_20:
	s_or_b64 exec, exec, s[40:41]
.LBB383_21:
	s_or_b64 exec, exec, s[38:39]
.LBB383_22:
	s_or_b64 exec, exec, s[36:37]
.LBB383_23:
	s_or_b64 exec, exec, s[34:35]
.LBB383_24:
	s_or_b64 exec, exec, s[30:31]
.LBB383_25:
	s_or_b64 exec, exec, s[28:29]
.LBB383_26:
	s_or_b64 exec, exec, s[26:27]
.LBB383_27:
	s_or_b64 exec, exec, s[24:25]
.LBB383_28:
	s_or_b64 exec, exec, s[22:23]
.LBB383_29:
	s_or_b64 exec, exec, s[20:21]
.LBB383_30:
	s_or_b64 exec, exec, s[18:19]
.LBB383_31:
	s_or_b64 exec, exec, s[16:17]
.LBB383_32:
	s_or_b64 exec, exec, s[14:15]
.LBB383_33:
	s_or_b64 exec, exec, s[6:7]
.LBB383_34:
	s_or_b64 exec, exec, s[4:5]
.LBB383_35:
	s_or_b64 exec, exec, s[2:3]
	s_cmp_eq_u32 s9, 0
	s_cselect_b64 s[2:3], -1, 0
	s_and_b32 s5, s10, 0xff
	s_waitcnt vmcnt(0)
	v_cmp_ne_u16_sdwa s[0:1], v11, s5 src0_sel:BYTE_0 src1_sel:DWORD
	s_xor_b64 s[0:1], s[2:3], s[0:1]
	v_cndmask_b32_e64 v1, 0, 1, s[0:1]
	v_cmp_ne_u16_sdwa s[0:1], v12, s5 src0_sel:BYTE_0 src1_sel:DWORD
	s_xor_b64 s[0:1], s[2:3], s[0:1]
	v_cndmask_b32_e64 v2, 0, 1, s[0:1]
	v_cndmask_b32_e32 v1, 0, v1, vcc
	v_lshlrev_b16_e32 v2, 8, v2
	v_or_b32_e32 v2, v1, v2
	v_and_b32_e32 v2, 0xffff, v2
	v_cmp_gt_i32_e64 s[0:1], s8, v3
	v_cndmask_b32_e64 v1, v1, v2, s[0:1]
	v_cmp_ne_u16_sdwa s[0:1], v13, s5 src0_sel:BYTE_0 src1_sel:DWORD
	s_xor_b64 s[0:1], s[2:3], s[0:1]
	v_or_b32_e32 v2, 0x200, v0
	v_cndmask_b32_e64 v11, 0, 1, s[0:1]
	v_lshl_or_b32 v11, v11, 16, v1
	v_cmp_gt_i32_e64 s[0:1], s8, v2
	v_cndmask_b32_e64 v1, v1, v11, s[0:1]
	v_cmp_ne_u16_sdwa s[0:1], v9, s5 src0_sel:BYTE_0 src1_sel:DWORD
	s_xor_b64 s[0:1], s[2:3], s[0:1]
	s_movk_i32 s4, 0xff
	v_cndmask_b32_e64 v9, 0, 1, s[0:1]
	v_and_b32_sdwa v2, v1, s4 dst_sel:DWORD dst_unused:UNUSED_PAD src0_sel:WORD_1 src1_sel:DWORD
	v_lshlrev_b16_e32 v9, 8, v9
	s_mov_b32 s6, 0xffff
	v_or_b32_e32 v11, 0x300, v0
	v_or_b32_sdwa v2, v2, v9 dst_sel:WORD_1 dst_unused:UNUSED_PAD src0_sel:DWORD src1_sel:DWORD
	v_and_or_b32 v2, v1, s6, v2
	v_cmp_gt_i32_e64 s[0:1], s8, v11
	v_cndmask_b32_e64 v9, v1, v2, s[0:1]
	v_cmp_ne_u16_sdwa s[0:1], v7, s5 src0_sel:BYTE_0 src1_sel:DWORD
	s_xor_b64 s[0:1], s[2:3], s[0:1]
	v_cndmask_b32_e64 v1, 0, 1, s[0:1]
	v_or_b32_e32 v2, 0x400, v0
	v_and_b32_e32 v1, 0xffff, v1
	v_cmp_gt_i32_e64 s[0:1], s8, v2
	v_cndmask_b32_e64 v1, 0, v1, s[0:1]
	v_cmp_ne_u16_sdwa s[0:1], v5, s5 src0_sel:BYTE_0 src1_sel:DWORD
	s_xor_b64 s[0:1], s[2:3], s[0:1]
	v_cndmask_b32_e64 v5, 0, 1, s[0:1]
	v_lshlrev_b16_e32 v5, 8, v5
	v_or_b32_e32 v2, 0x500, v0
	v_or_b32_sdwa v5, v1, v5 dst_sel:DWORD dst_unused:UNUSED_PAD src0_sel:BYTE_0 src1_sel:DWORD
	v_and_b32_e32 v5, 0xffff, v5
	v_cmp_gt_i32_e64 s[0:1], s8, v2
	v_cndmask_b32_e64 v1, v1, v5, s[0:1]
	v_cmp_ne_u16_sdwa s[0:1], v8, s5 src0_sel:BYTE_0 src1_sel:DWORD
	s_movk_i32 s7, 0xff00
	s_xor_b64 s[0:1], s[2:3], s[0:1]
	v_and_b32_sdwa v2, v1, s7 dst_sel:DWORD dst_unused:UNUSED_PAD src0_sel:WORD_1 src1_sel:DWORD
	v_cndmask_b32_e64 v5, 0, 1, s[0:1]
	v_or_b32_sdwa v2, v5, v2 dst_sel:WORD_1 dst_unused:UNUSED_PAD src0_sel:DWORD src1_sel:DWORD
	v_or_b32_e32 v5, 0x600, v0
	v_and_or_b32 v2, v1, s6, v2
	v_cmp_gt_i32_e64 s[0:1], s8, v5
	v_cndmask_b32_e64 v1, v1, v2, s[0:1]
	v_cmp_ne_u16_sdwa s[0:1], v6, s5 src0_sel:BYTE_0 src1_sel:DWORD
	s_xor_b64 s[0:1], s[2:3], s[0:1]
	v_cndmask_b32_e64 v6, 0, 1, s[0:1]
	v_and_b32_sdwa v2, v1, s4 dst_sel:DWORD dst_unused:UNUSED_PAD src0_sel:WORD_1 src1_sel:DWORD
	v_lshlrev_b16_e32 v6, 8, v6
	v_or_b32_e32 v5, 0x700, v0
	v_or_b32_sdwa v2, v2, v6 dst_sel:WORD_1 dst_unused:UNUSED_PAD src0_sel:DWORD src1_sel:DWORD
	v_and_or_b32 v2, v1, s6, v2
	v_cmp_gt_i32_e64 s[0:1], s8, v5
	v_cndmask_b32_e64 v5, v1, v2, s[0:1]
	v_cmp_ne_u16_sdwa s[0:1], v10, s5 src0_sel:BYTE_0 src1_sel:DWORD
	v_or_b32_e32 v1, 0x800, v0
	s_xor_b64 s[0:1], s[2:3], s[0:1]
	v_cndmask_b32_e64 v2, 0, 1, s[0:1]
	v_cmp_gt_i32_e64 s[0:1], s8, v1
	v_cndmask_b32_e64 v1, 0, v2, s[0:1]
	v_cmp_ne_u16_sdwa s[0:1], v14, s5 src0_sel:BYTE_0 src1_sel:DWORD
	s_xor_b64 s[0:1], s[2:3], s[0:1]
	v_cndmask_b32_e64 v6, 0, 1, s[0:1]
	v_lshlrev_b16_e32 v6, 8, v6
	v_or_b32_e32 v2, 0x900, v0
	v_or_b32_e32 v6, v1, v6
	v_and_b32_e32 v6, 0xffff, v6
	v_cmp_gt_i32_e64 s[0:1], s8, v2
	v_cndmask_b32_e64 v1, v1, v6, s[0:1]
	v_cmp_ne_u16_sdwa s[0:1], v15, s5 src0_sel:BYTE_0 src1_sel:DWORD
	s_xor_b64 s[0:1], s[2:3], s[0:1]
	v_cndmask_b32_e64 v6, 0, 1, s[0:1]
	v_or_b32_e32 v2, 0xa00, v0
	v_lshlrev_b32_e32 v6, 16, v6
	s_movk_i32 s0, 0x1ff
	v_and_or_b32 v6, v1, s0, v6
	v_cmp_gt_i32_e64 s[0:1], s8, v2
	v_cndmask_b32_e64 v1, v1, v6, s[0:1]
	v_cmp_ne_u16_sdwa s[0:1], v16, s5 src0_sel:BYTE_0 src1_sel:DWORD
	s_xor_b64 s[0:1], s[2:3], s[0:1]
	v_cndmask_b32_e64 v7, 0, 1, s[0:1]
	v_and_b32_sdwa v2, v1, s4 dst_sel:DWORD dst_unused:UNUSED_PAD src0_sel:WORD_1 src1_sel:DWORD
	v_lshlrev_b16_e32 v7, 8, v7
	v_or_b32_e32 v6, 0xb00, v0
	v_or_b32_sdwa v2, v2, v7 dst_sel:WORD_1 dst_unused:UNUSED_PAD src0_sel:DWORD src1_sel:DWORD
	v_and_or_b32 v2, v1, s6, v2
	v_cmp_gt_i32_e64 s[0:1], s8, v6
	v_cndmask_b32_e64 v2, v1, v2, s[0:1]
	v_cmp_ne_u16_sdwa s[0:1], v17, s5 src0_sel:BYTE_0 src1_sel:DWORD
	v_or_b32_e32 v1, 0xc00, v0
	s_xor_b64 s[0:1], s[2:3], s[0:1]
	v_cndmask_b32_e64 v6, 0, 1, s[0:1]
	v_cmp_gt_i32_e64 s[0:1], s8, v1
	v_cndmask_b32_e64 v1, 0, v6, s[0:1]
	v_cmp_ne_u16_sdwa s[0:1], v18, s5 src0_sel:BYTE_0 src1_sel:DWORD
	s_xor_b64 s[0:1], s[2:3], s[0:1]
	v_cndmask_b32_e64 v7, 0, 1, s[0:1]
	v_lshlrev_b16_e32 v7, 8, v7
	v_or_b32_e32 v6, 0xd00, v0
	v_or_b32_sdwa v7, v1, v7 dst_sel:DWORD dst_unused:UNUSED_PAD src0_sel:BYTE_0 src1_sel:DWORD
	v_and_b32_e32 v7, 0xffff, v7
	v_cmp_gt_i32_e64 s[0:1], s8, v6
	v_cndmask_b32_e64 v1, v1, v7, s[0:1]
	v_cmp_ne_u16_sdwa s[0:1], v19, s5 src0_sel:BYTE_0 src1_sel:DWORD
	s_xor_b64 s[0:1], s[2:3], s[0:1]
	v_and_b32_sdwa v6, v1, s7 dst_sel:DWORD dst_unused:UNUSED_PAD src0_sel:WORD_1 src1_sel:DWORD
	v_cndmask_b32_e64 v7, 0, 1, s[0:1]
	v_or_b32_sdwa v6, v7, v6 dst_sel:WORD_1 dst_unused:UNUSED_PAD src0_sel:DWORD src1_sel:DWORD
	v_or_b32_e32 v7, 0xe00, v0
	v_and_or_b32 v6, v1, s6, v6
	v_cmp_gt_i32_e64 s[0:1], s8, v7
	v_cndmask_b32_e64 v1, v1, v6, s[0:1]
	v_cmp_ne_u16_sdwa s[0:1], v20, s5 src0_sel:BYTE_0 src1_sel:DWORD
	s_xor_b64 s[0:1], s[2:3], s[0:1]
	v_cndmask_b32_e64 v8, 0, 1, s[0:1]
	v_and_b32_sdwa v6, v1, s4 dst_sel:DWORD dst_unused:UNUSED_PAD src0_sel:WORD_1 src1_sel:DWORD
	v_lshlrev_b16_e32 v8, 8, v8
	v_or_b32_e32 v7, 0xf00, v0
	v_or_b32_sdwa v6, v6, v8 dst_sel:WORD_1 dst_unused:UNUSED_PAD src0_sel:DWORD src1_sel:DWORD
	v_and_or_b32 v6, v1, s6, v6
	v_cmp_gt_i32_e64 s[0:1], s8, v7
	v_cndmask_b32_e64 v1, v1, v6, s[0:1]
	s_and_saveexec_b64 s[0:1], vcc
	s_cbranch_execnz .LBB383_53
; %bb.36:
	s_or_b64 exec, exec, s[0:1]
	v_cmp_gt_i32_e32 vcc, s8, v0
	s_and_saveexec_b64 s[0:1], vcc
	s_cbranch_execnz .LBB383_54
.LBB383_37:
	s_or_b64 exec, exec, s[0:1]
	v_cmp_gt_i32_e32 vcc, s8, v0
	s_and_saveexec_b64 s[0:1], vcc
	s_cbranch_execnz .LBB383_55
.LBB383_38:
	s_or_b64 exec, exec, s[0:1]
	v_cmp_gt_i32_e32 vcc, s8, v0
	s_and_saveexec_b64 s[0:1], vcc
	s_cbranch_execnz .LBB383_56
.LBB383_39:
	s_or_b64 exec, exec, s[0:1]
	v_cmp_gt_i32_e32 vcc, s8, v0
	s_and_saveexec_b64 s[0:1], vcc
	s_cbranch_execnz .LBB383_57
.LBB383_40:
	s_or_b64 exec, exec, s[0:1]
	v_cmp_gt_i32_e32 vcc, s8, v0
	s_and_saveexec_b64 s[0:1], vcc
	s_cbranch_execnz .LBB383_58
.LBB383_41:
	s_or_b64 exec, exec, s[0:1]
	v_cmp_gt_i32_e32 vcc, s8, v0
	s_and_saveexec_b64 s[0:1], vcc
	s_cbranch_execnz .LBB383_59
.LBB383_42:
	s_or_b64 exec, exec, s[0:1]
	v_cmp_gt_i32_e32 vcc, s8, v0
	s_and_saveexec_b64 s[0:1], vcc
	s_cbranch_execnz .LBB383_60
.LBB383_43:
	s_or_b64 exec, exec, s[0:1]
	v_cmp_gt_i32_e32 vcc, s8, v0
	s_and_saveexec_b64 s[0:1], vcc
	s_cbranch_execnz .LBB383_61
.LBB383_44:
	s_or_b64 exec, exec, s[0:1]
	v_cmp_gt_i32_e32 vcc, s8, v0
	s_and_saveexec_b64 s[0:1], vcc
	s_cbranch_execnz .LBB383_62
.LBB383_45:
	s_or_b64 exec, exec, s[0:1]
	v_cmp_gt_i32_e32 vcc, s8, v0
	s_and_saveexec_b64 s[0:1], vcc
	s_cbranch_execnz .LBB383_63
.LBB383_46:
	s_or_b64 exec, exec, s[0:1]
	v_cmp_gt_i32_e32 vcc, s8, v0
	s_and_saveexec_b64 s[0:1], vcc
	s_cbranch_execnz .LBB383_64
.LBB383_47:
	s_or_b64 exec, exec, s[0:1]
	v_cmp_gt_i32_e32 vcc, s8, v0
	s_and_saveexec_b64 s[0:1], vcc
	s_cbranch_execnz .LBB383_65
.LBB383_48:
	s_or_b64 exec, exec, s[0:1]
	v_cmp_gt_i32_e32 vcc, s8, v0
	s_and_saveexec_b64 s[0:1], vcc
	s_cbranch_execnz .LBB383_66
.LBB383_49:
	s_or_b64 exec, exec, s[0:1]
	v_cmp_gt_i32_e32 vcc, s8, v0
	s_and_saveexec_b64 s[0:1], vcc
	s_cbranch_execnz .LBB383_67
.LBB383_50:
	s_or_b64 exec, exec, s[0:1]
	v_cmp_gt_i32_e32 vcc, s8, v0
	s_and_saveexec_b64 s[0:1], vcc
	s_cbranch_execz .LBB383_52
.LBB383_51:
	v_lshrrev_b32_e32 v1, 24, v1
	v_add_u32_e32 v0, s11, v0
	global_store_byte v0, v1, s[12:13]
.LBB383_52:
	s_endpgm
.LBB383_53:
	v_mov_b32_e32 v0, v3
	global_store_byte v4, v9, s[12:13]
	s_or_b64 exec, exec, s[0:1]
	v_cmp_gt_i32_e32 vcc, s8, v0
	s_and_saveexec_b64 s[0:1], vcc
	s_cbranch_execz .LBB383_37
.LBB383_54:
	v_lshrrev_b32_e32 v3, 8, v9
	v_add_u32_e32 v4, s11, v0
	v_add_u32_e32 v0, 0x100, v0
	global_store_byte v4, v3, s[12:13]
	s_or_b64 exec, exec, s[0:1]
	v_cmp_gt_i32_e32 vcc, s8, v0
	s_and_saveexec_b64 s[0:1], vcc
	s_cbranch_execz .LBB383_38
.LBB383_55:
	v_add_u32_e32 v3, s11, v0
	v_add_u32_e32 v0, 0x100, v0
	global_store_byte_d16_hi v3, v9, s[12:13]
	s_or_b64 exec, exec, s[0:1]
	v_cmp_gt_i32_e32 vcc, s8, v0
	s_and_saveexec_b64 s[0:1], vcc
	s_cbranch_execz .LBB383_39
.LBB383_56:
	v_lshrrev_b32_e32 v3, 24, v9
	v_add_u32_e32 v4, s11, v0
	v_add_u32_e32 v0, 0x100, v0
	global_store_byte v4, v3, s[12:13]
	s_or_b64 exec, exec, s[0:1]
	v_cmp_gt_i32_e32 vcc, s8, v0
	s_and_saveexec_b64 s[0:1], vcc
	s_cbranch_execz .LBB383_40
.LBB383_57:
	v_add_u32_e32 v3, s11, v0
	v_add_u32_e32 v0, 0x100, v0
	global_store_byte v3, v5, s[12:13]
	s_or_b64 exec, exec, s[0:1]
	v_cmp_gt_i32_e32 vcc, s8, v0
	s_and_saveexec_b64 s[0:1], vcc
	s_cbranch_execz .LBB383_41
.LBB383_58:
	v_lshrrev_b32_e32 v3, 8, v5
	v_add_u32_e32 v4, s11, v0
	v_add_u32_e32 v0, 0x100, v0
	global_store_byte v4, v3, s[12:13]
	s_or_b64 exec, exec, s[0:1]
	v_cmp_gt_i32_e32 vcc, s8, v0
	s_and_saveexec_b64 s[0:1], vcc
	s_cbranch_execz .LBB383_42
.LBB383_59:
	v_add_u32_e32 v3, s11, v0
	v_add_u32_e32 v0, 0x100, v0
	global_store_byte_d16_hi v3, v5, s[12:13]
	s_or_b64 exec, exec, s[0:1]
	v_cmp_gt_i32_e32 vcc, s8, v0
	s_and_saveexec_b64 s[0:1], vcc
	s_cbranch_execz .LBB383_43
.LBB383_60:
	v_lshrrev_b32_e32 v3, 24, v5
	v_add_u32_e32 v4, s11, v0
	v_add_u32_e32 v0, 0x100, v0
	global_store_byte v4, v3, s[12:13]
	s_or_b64 exec, exec, s[0:1]
	v_cmp_gt_i32_e32 vcc, s8, v0
	s_and_saveexec_b64 s[0:1], vcc
	s_cbranch_execz .LBB383_44
.LBB383_61:
	v_add_u32_e32 v3, s11, v0
	v_add_u32_e32 v0, 0x100, v0
	global_store_byte v3, v2, s[12:13]
	s_or_b64 exec, exec, s[0:1]
	v_cmp_gt_i32_e32 vcc, s8, v0
	s_and_saveexec_b64 s[0:1], vcc
	s_cbranch_execz .LBB383_45
.LBB383_62:
	v_lshrrev_b32_e32 v3, 8, v2
	v_add_u32_e32 v4, s11, v0
	v_add_u32_e32 v0, 0x100, v0
	global_store_byte v4, v3, s[12:13]
	s_or_b64 exec, exec, s[0:1]
	v_cmp_gt_i32_e32 vcc, s8, v0
	s_and_saveexec_b64 s[0:1], vcc
	s_cbranch_execz .LBB383_46
.LBB383_63:
	v_add_u32_e32 v3, s11, v0
	v_add_u32_e32 v0, 0x100, v0
	global_store_byte_d16_hi v3, v2, s[12:13]
	s_or_b64 exec, exec, s[0:1]
	v_cmp_gt_i32_e32 vcc, s8, v0
	s_and_saveexec_b64 s[0:1], vcc
	s_cbranch_execz .LBB383_47
.LBB383_64:
	v_lshrrev_b32_e32 v2, 24, v2
	v_add_u32_e32 v3, s11, v0
	v_add_u32_e32 v0, 0x100, v0
	global_store_byte v3, v2, s[12:13]
	s_or_b64 exec, exec, s[0:1]
	v_cmp_gt_i32_e32 vcc, s8, v0
	s_and_saveexec_b64 s[0:1], vcc
	s_cbranch_execz .LBB383_48
.LBB383_65:
	v_add_u32_e32 v2, s11, v0
	v_add_u32_e32 v0, 0x100, v0
	global_store_byte v2, v1, s[12:13]
	s_or_b64 exec, exec, s[0:1]
	v_cmp_gt_i32_e32 vcc, s8, v0
	s_and_saveexec_b64 s[0:1], vcc
	s_cbranch_execz .LBB383_49
.LBB383_66:
	v_lshrrev_b32_e32 v2, 8, v1
	v_add_u32_e32 v3, s11, v0
	v_add_u32_e32 v0, 0x100, v0
	global_store_byte v3, v2, s[12:13]
	s_or_b64 exec, exec, s[0:1]
	v_cmp_gt_i32_e32 vcc, s8, v0
	s_and_saveexec_b64 s[0:1], vcc
	s_cbranch_execz .LBB383_50
.LBB383_67:
	v_add_u32_e32 v2, s11, v0
	v_add_u32_e32 v0, 0x100, v0
	global_store_byte_d16_hi v2, v1, s[12:13]
	s_or_b64 exec, exec, s[0:1]
	v_cmp_gt_i32_e32 vcc, s8, v0
	s_and_saveexec_b64 s[0:1], vcc
	s_cbranch_execnz .LBB383_51
	s_branch .LBB383_52
	.section	.rodata,"a",@progbits
	.p2align	6, 0x0
	.amdhsa_kernel _ZN2at6native29vectorized_elementwise_kernelILi4ENS0_13AUnaryFunctorIN3c1016Float4_e2m1fn_x2ES4_bNS0_12_GLOBAL__N_116CompareEqFunctorIS4_EEEESt5arrayIPcLm2EEEEviT0_T1_
		.amdhsa_group_segment_fixed_size 0
		.amdhsa_private_segment_fixed_size 0
		.amdhsa_kernarg_size 32
		.amdhsa_user_sgpr_count 6
		.amdhsa_user_sgpr_private_segment_buffer 1
		.amdhsa_user_sgpr_dispatch_ptr 0
		.amdhsa_user_sgpr_queue_ptr 0
		.amdhsa_user_sgpr_kernarg_segment_ptr 1
		.amdhsa_user_sgpr_dispatch_id 0
		.amdhsa_user_sgpr_flat_scratch_init 0
		.amdhsa_user_sgpr_private_segment_size 0
		.amdhsa_uses_dynamic_stack 0
		.amdhsa_system_sgpr_private_segment_wavefront_offset 0
		.amdhsa_system_sgpr_workgroup_id_x 1
		.amdhsa_system_sgpr_workgroup_id_y 0
		.amdhsa_system_sgpr_workgroup_id_z 0
		.amdhsa_system_sgpr_workgroup_info 0
		.amdhsa_system_vgpr_workitem_id 0
		.amdhsa_next_free_vgpr 21
		.amdhsa_next_free_sgpr 42
		.amdhsa_reserve_vcc 1
		.amdhsa_reserve_flat_scratch 0
		.amdhsa_float_round_mode_32 0
		.amdhsa_float_round_mode_16_64 0
		.amdhsa_float_denorm_mode_32 3
		.amdhsa_float_denorm_mode_16_64 3
		.amdhsa_dx10_clamp 1
		.amdhsa_ieee_mode 1
		.amdhsa_fp16_overflow 0
		.amdhsa_exception_fp_ieee_invalid_op 0
		.amdhsa_exception_fp_denorm_src 0
		.amdhsa_exception_fp_ieee_div_zero 0
		.amdhsa_exception_fp_ieee_overflow 0
		.amdhsa_exception_fp_ieee_underflow 0
		.amdhsa_exception_fp_ieee_inexact 0
		.amdhsa_exception_int_div_zero 0
	.end_amdhsa_kernel
	.section	.text._ZN2at6native29vectorized_elementwise_kernelILi4ENS0_13AUnaryFunctorIN3c1016Float4_e2m1fn_x2ES4_bNS0_12_GLOBAL__N_116CompareEqFunctorIS4_EEEESt5arrayIPcLm2EEEEviT0_T1_,"axG",@progbits,_ZN2at6native29vectorized_elementwise_kernelILi4ENS0_13AUnaryFunctorIN3c1016Float4_e2m1fn_x2ES4_bNS0_12_GLOBAL__N_116CompareEqFunctorIS4_EEEESt5arrayIPcLm2EEEEviT0_T1_,comdat
.Lfunc_end383:
	.size	_ZN2at6native29vectorized_elementwise_kernelILi4ENS0_13AUnaryFunctorIN3c1016Float4_e2m1fn_x2ES4_bNS0_12_GLOBAL__N_116CompareEqFunctorIS4_EEEESt5arrayIPcLm2EEEEviT0_T1_, .Lfunc_end383-_ZN2at6native29vectorized_elementwise_kernelILi4ENS0_13AUnaryFunctorIN3c1016Float4_e2m1fn_x2ES4_bNS0_12_GLOBAL__N_116CompareEqFunctorIS4_EEEESt5arrayIPcLm2EEEEviT0_T1_
                                        ; -- End function
	.set _ZN2at6native29vectorized_elementwise_kernelILi4ENS0_13AUnaryFunctorIN3c1016Float4_e2m1fn_x2ES4_bNS0_12_GLOBAL__N_116CompareEqFunctorIS4_EEEESt5arrayIPcLm2EEEEviT0_T1_.num_vgpr, 21
	.set _ZN2at6native29vectorized_elementwise_kernelILi4ENS0_13AUnaryFunctorIN3c1016Float4_e2m1fn_x2ES4_bNS0_12_GLOBAL__N_116CompareEqFunctorIS4_EEEESt5arrayIPcLm2EEEEviT0_T1_.num_agpr, 0
	.set _ZN2at6native29vectorized_elementwise_kernelILi4ENS0_13AUnaryFunctorIN3c1016Float4_e2m1fn_x2ES4_bNS0_12_GLOBAL__N_116CompareEqFunctorIS4_EEEESt5arrayIPcLm2EEEEviT0_T1_.numbered_sgpr, 42
	.set _ZN2at6native29vectorized_elementwise_kernelILi4ENS0_13AUnaryFunctorIN3c1016Float4_e2m1fn_x2ES4_bNS0_12_GLOBAL__N_116CompareEqFunctorIS4_EEEESt5arrayIPcLm2EEEEviT0_T1_.num_named_barrier, 0
	.set _ZN2at6native29vectorized_elementwise_kernelILi4ENS0_13AUnaryFunctorIN3c1016Float4_e2m1fn_x2ES4_bNS0_12_GLOBAL__N_116CompareEqFunctorIS4_EEEESt5arrayIPcLm2EEEEviT0_T1_.private_seg_size, 0
	.set _ZN2at6native29vectorized_elementwise_kernelILi4ENS0_13AUnaryFunctorIN3c1016Float4_e2m1fn_x2ES4_bNS0_12_GLOBAL__N_116CompareEqFunctorIS4_EEEESt5arrayIPcLm2EEEEviT0_T1_.uses_vcc, 1
	.set _ZN2at6native29vectorized_elementwise_kernelILi4ENS0_13AUnaryFunctorIN3c1016Float4_e2m1fn_x2ES4_bNS0_12_GLOBAL__N_116CompareEqFunctorIS4_EEEESt5arrayIPcLm2EEEEviT0_T1_.uses_flat_scratch, 0
	.set _ZN2at6native29vectorized_elementwise_kernelILi4ENS0_13AUnaryFunctorIN3c1016Float4_e2m1fn_x2ES4_bNS0_12_GLOBAL__N_116CompareEqFunctorIS4_EEEESt5arrayIPcLm2EEEEviT0_T1_.has_dyn_sized_stack, 0
	.set _ZN2at6native29vectorized_elementwise_kernelILi4ENS0_13AUnaryFunctorIN3c1016Float4_e2m1fn_x2ES4_bNS0_12_GLOBAL__N_116CompareEqFunctorIS4_EEEESt5arrayIPcLm2EEEEviT0_T1_.has_recursion, 0
	.set _ZN2at6native29vectorized_elementwise_kernelILi4ENS0_13AUnaryFunctorIN3c1016Float4_e2m1fn_x2ES4_bNS0_12_GLOBAL__N_116CompareEqFunctorIS4_EEEESt5arrayIPcLm2EEEEviT0_T1_.has_indirect_call, 0
	.section	.AMDGPU.csdata,"",@progbits
; Kernel info:
; codeLenInByte = 3588
; TotalNumSgprs: 46
; NumVgprs: 21
; ScratchSize: 0
; MemoryBound: 0
; FloatMode: 240
; IeeeMode: 1
; LDSByteSize: 0 bytes/workgroup (compile time only)
; SGPRBlocks: 5
; VGPRBlocks: 5
; NumSGPRsForWavesPerEU: 46
; NumVGPRsForWavesPerEU: 21
; Occupancy: 10
; WaveLimiterHint : 1
; COMPUTE_PGM_RSRC2:SCRATCH_EN: 0
; COMPUTE_PGM_RSRC2:USER_SGPR: 6
; COMPUTE_PGM_RSRC2:TRAP_HANDLER: 0
; COMPUTE_PGM_RSRC2:TGID_X_EN: 1
; COMPUTE_PGM_RSRC2:TGID_Y_EN: 0
; COMPUTE_PGM_RSRC2:TGID_Z_EN: 0
; COMPUTE_PGM_RSRC2:TIDIG_COMP_CNT: 0
	.section	.text._ZN2at6native29vectorized_elementwise_kernelILi2ENS0_13AUnaryFunctorIN3c1016Float4_e2m1fn_x2ES4_bNS0_12_GLOBAL__N_116CompareEqFunctorIS4_EEEESt5arrayIPcLm2EEEEviT0_T1_,"axG",@progbits,_ZN2at6native29vectorized_elementwise_kernelILi2ENS0_13AUnaryFunctorIN3c1016Float4_e2m1fn_x2ES4_bNS0_12_GLOBAL__N_116CompareEqFunctorIS4_EEEESt5arrayIPcLm2EEEEviT0_T1_,comdat
	.globl	_ZN2at6native29vectorized_elementwise_kernelILi2ENS0_13AUnaryFunctorIN3c1016Float4_e2m1fn_x2ES4_bNS0_12_GLOBAL__N_116CompareEqFunctorIS4_EEEESt5arrayIPcLm2EEEEviT0_T1_ ; -- Begin function _ZN2at6native29vectorized_elementwise_kernelILi2ENS0_13AUnaryFunctorIN3c1016Float4_e2m1fn_x2ES4_bNS0_12_GLOBAL__N_116CompareEqFunctorIS4_EEEESt5arrayIPcLm2EEEEviT0_T1_
	.p2align	8
	.type	_ZN2at6native29vectorized_elementwise_kernelILi2ENS0_13AUnaryFunctorIN3c1016Float4_e2m1fn_x2ES4_bNS0_12_GLOBAL__N_116CompareEqFunctorIS4_EEEESt5arrayIPcLm2EEEEviT0_T1_,@function
_ZN2at6native29vectorized_elementwise_kernelILi2ENS0_13AUnaryFunctorIN3c1016Float4_e2m1fn_x2ES4_bNS0_12_GLOBAL__N_116CompareEqFunctorIS4_EEEESt5arrayIPcLm2EEEEviT0_T1_: ; @_ZN2at6native29vectorized_elementwise_kernelILi2ENS0_13AUnaryFunctorIN3c1016Float4_e2m1fn_x2ES4_bNS0_12_GLOBAL__N_116CompareEqFunctorIS4_EEEESt5arrayIPcLm2EEEEviT0_T1_
; %bb.0:
	s_load_dwordx8 s[8:15], s[4:5], 0x0
	s_waitcnt lgkmcnt(0)
	s_lshl_b32 s11, s6, 12
	s_mov_b64 s[0:1], -1
	s_sub_i32 s8, s8, s11
	s_cmpk_gt_i32 s8, 0xfff
	s_cbranch_scc0 .LBB384_2
; %bb.1:
	s_ashr_i32 s33, s11, 31
	s_add_u32 s0, s14, s11
	s_addc_u32 s1, s15, s33
	v_lshlrev_b32_e32 v1, 1, v0
	global_load_ushort v2, v1, s[0:1]
	global_load_ushort v3, v1, s[0:1] offset:512
	global_load_ushort v4, v1, s[0:1] offset:1024
	;; [unrolled: 1-line block ×7, first 2 shown]
	s_cmp_eq_u32 s9, 0
	s_cselect_b64 s[0:1], -1, 0
	s_and_b32 s42, s10, 0xff
	s_waitcnt vmcnt(7)
	v_cmp_ne_u16_sdwa s[2:3], v2, s42 src0_sel:BYTE_0 src1_sel:DWORD
	v_cmp_ne_u16_sdwa s[4:5], v2, s42 src0_sel:BYTE_1 src1_sel:DWORD
	s_xor_b64 s[2:3], s[0:1], s[2:3]
	s_waitcnt vmcnt(6)
	v_cmp_ne_u16_sdwa s[6:7], v3, s42 src0_sel:BYTE_0 src1_sel:DWORD
	v_cndmask_b32_e64 v2, 0, 1, s[2:3]
	s_xor_b64 s[2:3], s[0:1], s[4:5]
	v_cmp_ne_u16_sdwa s[16:17], v3, s42 src0_sel:BYTE_1 src1_sel:DWORD
	v_cndmask_b32_e64 v3, 0, 1, s[2:3]
	s_xor_b64 s[2:3], s[0:1], s[6:7]
	s_waitcnt vmcnt(5)
	v_cmp_ne_u16_sdwa s[18:19], v4, s42 src0_sel:BYTE_0 src1_sel:DWORD
	v_cmp_ne_u16_sdwa s[20:21], v4, s42 src0_sel:BYTE_1 src1_sel:DWORD
	v_cndmask_b32_e64 v4, 0, 1, s[2:3]
	s_xor_b64 s[2:3], s[0:1], s[16:17]
	s_waitcnt vmcnt(4)
	v_cmp_ne_u16_sdwa s[22:23], v5, s42 src0_sel:BYTE_0 src1_sel:DWORD
	;; [unrolled: 5-line block ×6, first 2 shown]
	v_cmp_ne_u16_sdwa s[42:43], v9, s42 src0_sel:BYTE_1 src1_sel:DWORD
	v_cndmask_b32_e64 v9, 0, 1, s[2:3]
	s_xor_b64 s[2:3], s[0:1], s[26:27]
	v_cndmask_b32_e64 v10, 0, 1, s[2:3]
	s_xor_b64 s[2:3], s[0:1], s[28:29]
	;; [unrolled: 2-line block ×7, first 2 shown]
	s_xor_b64 s[0:1], s[0:1], s[42:43]
	v_cndmask_b32_e64 v17, 0, 1, s[0:1]
	v_lshlrev_b16_e32 v3, 8, v3
	s_add_u32 s0, s12, s11
	v_cndmask_b32_e64 v16, 0, 1, s[2:3]
	v_lshlrev_b16_e32 v17, 8, v17
	v_lshlrev_b16_e32 v15, 8, v15
	;; [unrolled: 1-line block ×7, first 2 shown]
	v_or_b32_e32 v2, v2, v3
	s_addc_u32 s1, s13, s33
	v_or_b32_e32 v16, v16, v17
	v_or_b32_e32 v14, v14, v15
	;; [unrolled: 1-line block ×7, first 2 shown]
	global_store_short v1, v2, s[0:1]
	global_store_short v1, v4, s[0:1] offset:512
	global_store_short v1, v6, s[0:1] offset:1024
	;; [unrolled: 1-line block ×7, first 2 shown]
	s_mov_b64 s[0:1], 0
.LBB384_2:
	s_andn2_b64 vcc, exec, s[0:1]
	s_cbranch_vccnz .LBB384_52
; %bb.3:
	v_cmp_gt_i32_e32 vcc, s8, v0
	v_or_b32_e32 v3, 0x100, v0
	v_mov_b32_e32 v20, 0
	v_or_b32_e32 v4, s11, v0
	v_mov_b32_e32 v19, 0
	v_mov_b32_e32 v18, 0
	;; [unrolled: 1-line block ×15, first 2 shown]
	s_and_saveexec_b64 s[2:3], vcc
	s_cbranch_execz .LBB384_35
; %bb.4:
	global_load_ubyte v11, v4, s[14:15]
	v_cmp_gt_u32_e64 s[0:1], s8, v3
	v_mov_b32_e32 v12, 0
	v_mov_b32_e32 v13, 0
	;; [unrolled: 1-line block ×15, first 2 shown]
	s_and_saveexec_b64 s[4:5], s[0:1]
	s_cbranch_execz .LBB384_34
; %bb.5:
	v_add_u32_e32 v1, s11, v0
	global_load_ubyte v12, v1, s[14:15] offset:256
	v_or_b32_e32 v2, 0x200, v0
	v_mov_b32_e32 v13, 0
	v_cmp_gt_u32_e64 s[0:1], s8, v2
	v_mov_b32_e32 v9, 0
	v_mov_b32_e32 v7, 0
	;; [unrolled: 1-line block ×13, first 2 shown]
	s_and_saveexec_b64 s[6:7], s[0:1]
	s_cbranch_execz .LBB384_33
; %bb.6:
	v_mov_b32_e32 v2, s15
	v_add_co_u32_e64 v1, s[0:1], s14, v1
	v_addc_co_u32_e64 v2, s[0:1], 0, v2, s[0:1]
	global_load_ubyte v13, v[1:2], off offset:512
	v_or_b32_e32 v5, 0x300, v0
	v_cmp_gt_u32_e64 s[0:1], s8, v5
	v_mov_b32_e32 v9, 0
	v_mov_b32_e32 v7, 0
	;; [unrolled: 1-line block ×13, first 2 shown]
	s_and_saveexec_b64 s[14:15], s[0:1]
	s_cbranch_execz .LBB384_32
; %bb.7:
	global_load_ubyte v9, v[1:2], off offset:768
	v_or_b32_e32 v5, 0x400, v0
	v_cmp_gt_u32_e64 s[0:1], s8, v5
	v_mov_b32_e32 v7, 0
	v_mov_b32_e32 v5, 0
	;; [unrolled: 1-line block ×12, first 2 shown]
	s_and_saveexec_b64 s[16:17], s[0:1]
	s_cbranch_execz .LBB384_31
; %bb.8:
	global_load_ubyte v7, v[1:2], off offset:1024
	v_or_b32_e32 v5, 0x500, v0
	v_cmp_gt_u32_e64 s[0:1], s8, v5
	v_mov_b32_e32 v5, 0
	v_mov_b32_e32 v8, 0
	v_mov_b32_e32 v6, 0
	v_mov_b32_e32 v10, 0
	v_mov_b32_e32 v14, 0
	v_mov_b32_e32 v15, 0
	v_mov_b32_e32 v16, 0
	v_mov_b32_e32 v17, 0
	v_mov_b32_e32 v18, 0
	v_mov_b32_e32 v19, 0
	v_mov_b32_e32 v20, 0
	s_and_saveexec_b64 s[18:19], s[0:1]
	s_cbranch_execz .LBB384_30
; %bb.9:
	global_load_ubyte v5, v[1:2], off offset:1280
	v_or_b32_e32 v6, 0x600, v0
	v_cmp_gt_u32_e64 s[0:1], s8, v6
	v_mov_b32_e32 v8, 0
	v_mov_b32_e32 v6, 0
	v_mov_b32_e32 v10, 0
	v_mov_b32_e32 v14, 0
	v_mov_b32_e32 v15, 0
	v_mov_b32_e32 v16, 0
	v_mov_b32_e32 v17, 0
	v_mov_b32_e32 v18, 0
	v_mov_b32_e32 v19, 0
	v_mov_b32_e32 v20, 0
	s_and_saveexec_b64 s[20:21], s[0:1]
	s_cbranch_execz .LBB384_29
; %bb.10:
	global_load_ubyte v8, v[1:2], off offset:1536
	v_or_b32_e32 v6, 0x700, v0
	v_cmp_gt_u32_e64 s[0:1], s8, v6
	v_mov_b32_e32 v6, 0
	v_mov_b32_e32 v10, 0
	;; [unrolled: 1-line block ×9, first 2 shown]
	s_and_saveexec_b64 s[22:23], s[0:1]
	s_cbranch_execz .LBB384_28
; %bb.11:
	global_load_ubyte v6, v[1:2], off offset:1792
	v_or_b32_e32 v10, 0x800, v0
	v_cmp_gt_u32_e64 s[0:1], s8, v10
	v_mov_b32_e32 v10, 0
	v_mov_b32_e32 v14, 0
	;; [unrolled: 1-line block ×8, first 2 shown]
	s_and_saveexec_b64 s[24:25], s[0:1]
	s_cbranch_execz .LBB384_27
; %bb.12:
	global_load_ubyte v10, v[1:2], off offset:2048
	v_or_b32_e32 v14, 0x900, v0
	v_cmp_gt_u32_e64 s[0:1], s8, v14
	v_mov_b32_e32 v14, 0
	v_mov_b32_e32 v15, 0
	;; [unrolled: 1-line block ×7, first 2 shown]
	s_and_saveexec_b64 s[26:27], s[0:1]
	s_cbranch_execz .LBB384_26
; %bb.13:
	global_load_ubyte v14, v[1:2], off offset:2304
	v_or_b32_e32 v15, 0xa00, v0
	v_cmp_gt_u32_e64 s[0:1], s8, v15
	v_mov_b32_e32 v15, 0
	v_mov_b32_e32 v16, 0
	;; [unrolled: 1-line block ×6, first 2 shown]
	s_and_saveexec_b64 s[28:29], s[0:1]
	s_cbranch_execz .LBB384_25
; %bb.14:
	global_load_ubyte v15, v[1:2], off offset:2560
	v_or_b32_e32 v16, 0xb00, v0
	v_cmp_gt_u32_e64 s[0:1], s8, v16
	v_mov_b32_e32 v16, 0
	v_mov_b32_e32 v17, 0
	;; [unrolled: 1-line block ×5, first 2 shown]
	s_and_saveexec_b64 s[30:31], s[0:1]
	s_cbranch_execz .LBB384_24
; %bb.15:
	global_load_ubyte v16, v[1:2], off offset:2816
	v_or_b32_e32 v17, 0xc00, v0
	v_cmp_gt_u32_e64 s[0:1], s8, v17
	v_mov_b32_e32 v17, 0
	v_mov_b32_e32 v18, 0
	;; [unrolled: 1-line block ×4, first 2 shown]
	s_and_saveexec_b64 s[34:35], s[0:1]
	s_cbranch_execz .LBB384_23
; %bb.16:
	global_load_ubyte v17, v[1:2], off offset:3072
	v_or_b32_e32 v18, 0xd00, v0
	v_cmp_gt_u32_e64 s[0:1], s8, v18
	v_mov_b32_e32 v18, 0
	v_mov_b32_e32 v19, 0
	;; [unrolled: 1-line block ×3, first 2 shown]
	s_and_saveexec_b64 s[36:37], s[0:1]
	s_cbranch_execz .LBB384_22
; %bb.17:
	global_load_ubyte v18, v[1:2], off offset:3328
	v_or_b32_e32 v19, 0xe00, v0
	v_cmp_gt_u32_e64 s[0:1], s8, v19
	v_mov_b32_e32 v19, 0
	v_mov_b32_e32 v20, 0
	s_and_saveexec_b64 s[38:39], s[0:1]
	s_cbranch_execz .LBB384_21
; %bb.18:
	global_load_ubyte v19, v[1:2], off offset:3584
	v_or_b32_e32 v20, 0xf00, v0
	v_cmp_gt_u32_e64 s[0:1], s8, v20
	v_mov_b32_e32 v20, 0
	s_and_saveexec_b64 s[40:41], s[0:1]
	s_cbranch_execz .LBB384_20
; %bb.19:
	global_load_ubyte v20, v[1:2], off offset:3840
.LBB384_20:
	s_or_b64 exec, exec, s[40:41]
.LBB384_21:
	s_or_b64 exec, exec, s[38:39]
.LBB384_22:
	s_or_b64 exec, exec, s[36:37]
.LBB384_23:
	s_or_b64 exec, exec, s[34:35]
.LBB384_24:
	s_or_b64 exec, exec, s[30:31]
.LBB384_25:
	s_or_b64 exec, exec, s[28:29]
.LBB384_26:
	s_or_b64 exec, exec, s[26:27]
.LBB384_27:
	s_or_b64 exec, exec, s[24:25]
.LBB384_28:
	s_or_b64 exec, exec, s[22:23]
.LBB384_29:
	s_or_b64 exec, exec, s[20:21]
.LBB384_30:
	s_or_b64 exec, exec, s[18:19]
.LBB384_31:
	s_or_b64 exec, exec, s[16:17]
.LBB384_32:
	s_or_b64 exec, exec, s[14:15]
.LBB384_33:
	s_or_b64 exec, exec, s[6:7]
.LBB384_34:
	s_or_b64 exec, exec, s[4:5]
.LBB384_35:
	s_or_b64 exec, exec, s[2:3]
	s_cmp_eq_u32 s9, 0
	s_cselect_b64 s[2:3], -1, 0
	s_and_b32 s5, s10, 0xff
	s_waitcnt vmcnt(0)
	v_cmp_ne_u16_sdwa s[0:1], v11, s5 src0_sel:BYTE_0 src1_sel:DWORD
	s_xor_b64 s[0:1], s[2:3], s[0:1]
	v_cndmask_b32_e64 v1, 0, 1, s[0:1]
	v_cmp_ne_u16_sdwa s[0:1], v12, s5 src0_sel:BYTE_0 src1_sel:DWORD
	s_xor_b64 s[0:1], s[2:3], s[0:1]
	v_cndmask_b32_e64 v2, 0, 1, s[0:1]
	v_cndmask_b32_e32 v1, 0, v1, vcc
	v_lshlrev_b16_e32 v2, 8, v2
	v_or_b32_e32 v2, v1, v2
	v_and_b32_e32 v2, 0xffff, v2
	v_cmp_gt_i32_e64 s[0:1], s8, v3
	v_cndmask_b32_e64 v1, v1, v2, s[0:1]
	v_cmp_ne_u16_sdwa s[0:1], v13, s5 src0_sel:BYTE_0 src1_sel:DWORD
	s_xor_b64 s[0:1], s[2:3], s[0:1]
	v_or_b32_e32 v2, 0x200, v0
	v_cndmask_b32_e64 v11, 0, 1, s[0:1]
	v_lshl_or_b32 v11, v11, 16, v1
	v_cmp_gt_i32_e64 s[0:1], s8, v2
	v_cndmask_b32_e64 v1, v1, v11, s[0:1]
	v_cmp_ne_u16_sdwa s[0:1], v9, s5 src0_sel:BYTE_0 src1_sel:DWORD
	s_xor_b64 s[0:1], s[2:3], s[0:1]
	s_movk_i32 s4, 0xff
	v_cndmask_b32_e64 v9, 0, 1, s[0:1]
	v_and_b32_sdwa v2, v1, s4 dst_sel:DWORD dst_unused:UNUSED_PAD src0_sel:WORD_1 src1_sel:DWORD
	v_lshlrev_b16_e32 v9, 8, v9
	s_mov_b32 s6, 0xffff
	v_or_b32_e32 v11, 0x300, v0
	v_or_b32_sdwa v2, v2, v9 dst_sel:WORD_1 dst_unused:UNUSED_PAD src0_sel:DWORD src1_sel:DWORD
	v_and_or_b32 v2, v1, s6, v2
	v_cmp_gt_i32_e64 s[0:1], s8, v11
	v_cndmask_b32_e64 v9, v1, v2, s[0:1]
	v_cmp_ne_u16_sdwa s[0:1], v7, s5 src0_sel:BYTE_0 src1_sel:DWORD
	s_xor_b64 s[0:1], s[2:3], s[0:1]
	v_cndmask_b32_e64 v1, 0, 1, s[0:1]
	v_or_b32_e32 v2, 0x400, v0
	v_and_b32_e32 v1, 0xffff, v1
	v_cmp_gt_i32_e64 s[0:1], s8, v2
	v_cndmask_b32_e64 v1, 0, v1, s[0:1]
	v_cmp_ne_u16_sdwa s[0:1], v5, s5 src0_sel:BYTE_0 src1_sel:DWORD
	s_xor_b64 s[0:1], s[2:3], s[0:1]
	v_cndmask_b32_e64 v5, 0, 1, s[0:1]
	v_lshlrev_b16_e32 v5, 8, v5
	v_or_b32_e32 v2, 0x500, v0
	v_or_b32_sdwa v5, v1, v5 dst_sel:DWORD dst_unused:UNUSED_PAD src0_sel:BYTE_0 src1_sel:DWORD
	v_and_b32_e32 v5, 0xffff, v5
	v_cmp_gt_i32_e64 s[0:1], s8, v2
	v_cndmask_b32_e64 v1, v1, v5, s[0:1]
	v_cmp_ne_u16_sdwa s[0:1], v8, s5 src0_sel:BYTE_0 src1_sel:DWORD
	s_movk_i32 s7, 0xff00
	s_xor_b64 s[0:1], s[2:3], s[0:1]
	v_and_b32_sdwa v2, v1, s7 dst_sel:DWORD dst_unused:UNUSED_PAD src0_sel:WORD_1 src1_sel:DWORD
	v_cndmask_b32_e64 v5, 0, 1, s[0:1]
	v_or_b32_sdwa v2, v5, v2 dst_sel:WORD_1 dst_unused:UNUSED_PAD src0_sel:DWORD src1_sel:DWORD
	v_or_b32_e32 v5, 0x600, v0
	v_and_or_b32 v2, v1, s6, v2
	v_cmp_gt_i32_e64 s[0:1], s8, v5
	v_cndmask_b32_e64 v1, v1, v2, s[0:1]
	v_cmp_ne_u16_sdwa s[0:1], v6, s5 src0_sel:BYTE_0 src1_sel:DWORD
	s_xor_b64 s[0:1], s[2:3], s[0:1]
	v_cndmask_b32_e64 v6, 0, 1, s[0:1]
	v_and_b32_sdwa v2, v1, s4 dst_sel:DWORD dst_unused:UNUSED_PAD src0_sel:WORD_1 src1_sel:DWORD
	v_lshlrev_b16_e32 v6, 8, v6
	v_or_b32_e32 v5, 0x700, v0
	v_or_b32_sdwa v2, v2, v6 dst_sel:WORD_1 dst_unused:UNUSED_PAD src0_sel:DWORD src1_sel:DWORD
	v_and_or_b32 v2, v1, s6, v2
	v_cmp_gt_i32_e64 s[0:1], s8, v5
	v_cndmask_b32_e64 v5, v1, v2, s[0:1]
	v_cmp_ne_u16_sdwa s[0:1], v10, s5 src0_sel:BYTE_0 src1_sel:DWORD
	v_or_b32_e32 v1, 0x800, v0
	s_xor_b64 s[0:1], s[2:3], s[0:1]
	v_cndmask_b32_e64 v2, 0, 1, s[0:1]
	v_cmp_gt_i32_e64 s[0:1], s8, v1
	v_cndmask_b32_e64 v1, 0, v2, s[0:1]
	v_cmp_ne_u16_sdwa s[0:1], v14, s5 src0_sel:BYTE_0 src1_sel:DWORD
	s_xor_b64 s[0:1], s[2:3], s[0:1]
	v_cndmask_b32_e64 v6, 0, 1, s[0:1]
	v_lshlrev_b16_e32 v6, 8, v6
	v_or_b32_e32 v2, 0x900, v0
	v_or_b32_e32 v6, v1, v6
	v_and_b32_e32 v6, 0xffff, v6
	v_cmp_gt_i32_e64 s[0:1], s8, v2
	v_cndmask_b32_e64 v1, v1, v6, s[0:1]
	v_cmp_ne_u16_sdwa s[0:1], v15, s5 src0_sel:BYTE_0 src1_sel:DWORD
	s_xor_b64 s[0:1], s[2:3], s[0:1]
	v_cndmask_b32_e64 v6, 0, 1, s[0:1]
	v_or_b32_e32 v2, 0xa00, v0
	v_lshlrev_b32_e32 v6, 16, v6
	s_movk_i32 s0, 0x1ff
	v_and_or_b32 v6, v1, s0, v6
	v_cmp_gt_i32_e64 s[0:1], s8, v2
	v_cndmask_b32_e64 v1, v1, v6, s[0:1]
	v_cmp_ne_u16_sdwa s[0:1], v16, s5 src0_sel:BYTE_0 src1_sel:DWORD
	s_xor_b64 s[0:1], s[2:3], s[0:1]
	v_cndmask_b32_e64 v7, 0, 1, s[0:1]
	v_and_b32_sdwa v2, v1, s4 dst_sel:DWORD dst_unused:UNUSED_PAD src0_sel:WORD_1 src1_sel:DWORD
	v_lshlrev_b16_e32 v7, 8, v7
	v_or_b32_e32 v6, 0xb00, v0
	v_or_b32_sdwa v2, v2, v7 dst_sel:WORD_1 dst_unused:UNUSED_PAD src0_sel:DWORD src1_sel:DWORD
	v_and_or_b32 v2, v1, s6, v2
	v_cmp_gt_i32_e64 s[0:1], s8, v6
	v_cndmask_b32_e64 v2, v1, v2, s[0:1]
	v_cmp_ne_u16_sdwa s[0:1], v17, s5 src0_sel:BYTE_0 src1_sel:DWORD
	v_or_b32_e32 v1, 0xc00, v0
	s_xor_b64 s[0:1], s[2:3], s[0:1]
	v_cndmask_b32_e64 v6, 0, 1, s[0:1]
	v_cmp_gt_i32_e64 s[0:1], s8, v1
	v_cndmask_b32_e64 v1, 0, v6, s[0:1]
	v_cmp_ne_u16_sdwa s[0:1], v18, s5 src0_sel:BYTE_0 src1_sel:DWORD
	s_xor_b64 s[0:1], s[2:3], s[0:1]
	v_cndmask_b32_e64 v7, 0, 1, s[0:1]
	v_lshlrev_b16_e32 v7, 8, v7
	v_or_b32_e32 v6, 0xd00, v0
	v_or_b32_sdwa v7, v1, v7 dst_sel:DWORD dst_unused:UNUSED_PAD src0_sel:BYTE_0 src1_sel:DWORD
	v_and_b32_e32 v7, 0xffff, v7
	v_cmp_gt_i32_e64 s[0:1], s8, v6
	v_cndmask_b32_e64 v1, v1, v7, s[0:1]
	v_cmp_ne_u16_sdwa s[0:1], v19, s5 src0_sel:BYTE_0 src1_sel:DWORD
	s_xor_b64 s[0:1], s[2:3], s[0:1]
	v_and_b32_sdwa v6, v1, s7 dst_sel:DWORD dst_unused:UNUSED_PAD src0_sel:WORD_1 src1_sel:DWORD
	v_cndmask_b32_e64 v7, 0, 1, s[0:1]
	v_or_b32_sdwa v6, v7, v6 dst_sel:WORD_1 dst_unused:UNUSED_PAD src0_sel:DWORD src1_sel:DWORD
	v_or_b32_e32 v7, 0xe00, v0
	v_and_or_b32 v6, v1, s6, v6
	v_cmp_gt_i32_e64 s[0:1], s8, v7
	v_cndmask_b32_e64 v1, v1, v6, s[0:1]
	v_cmp_ne_u16_sdwa s[0:1], v20, s5 src0_sel:BYTE_0 src1_sel:DWORD
	s_xor_b64 s[0:1], s[2:3], s[0:1]
	v_cndmask_b32_e64 v8, 0, 1, s[0:1]
	v_and_b32_sdwa v6, v1, s4 dst_sel:DWORD dst_unused:UNUSED_PAD src0_sel:WORD_1 src1_sel:DWORD
	v_lshlrev_b16_e32 v8, 8, v8
	v_or_b32_e32 v7, 0xf00, v0
	v_or_b32_sdwa v6, v6, v8 dst_sel:WORD_1 dst_unused:UNUSED_PAD src0_sel:DWORD src1_sel:DWORD
	v_and_or_b32 v6, v1, s6, v6
	v_cmp_gt_i32_e64 s[0:1], s8, v7
	v_cndmask_b32_e64 v1, v1, v6, s[0:1]
	s_and_saveexec_b64 s[0:1], vcc
	s_cbranch_execnz .LBB384_53
; %bb.36:
	s_or_b64 exec, exec, s[0:1]
	v_cmp_gt_i32_e32 vcc, s8, v0
	s_and_saveexec_b64 s[0:1], vcc
	s_cbranch_execnz .LBB384_54
.LBB384_37:
	s_or_b64 exec, exec, s[0:1]
	v_cmp_gt_i32_e32 vcc, s8, v0
	s_and_saveexec_b64 s[0:1], vcc
	s_cbranch_execnz .LBB384_55
.LBB384_38:
	s_or_b64 exec, exec, s[0:1]
	v_cmp_gt_i32_e32 vcc, s8, v0
	s_and_saveexec_b64 s[0:1], vcc
	s_cbranch_execnz .LBB384_56
.LBB384_39:
	s_or_b64 exec, exec, s[0:1]
	v_cmp_gt_i32_e32 vcc, s8, v0
	s_and_saveexec_b64 s[0:1], vcc
	s_cbranch_execnz .LBB384_57
.LBB384_40:
	s_or_b64 exec, exec, s[0:1]
	v_cmp_gt_i32_e32 vcc, s8, v0
	s_and_saveexec_b64 s[0:1], vcc
	s_cbranch_execnz .LBB384_58
.LBB384_41:
	s_or_b64 exec, exec, s[0:1]
	v_cmp_gt_i32_e32 vcc, s8, v0
	s_and_saveexec_b64 s[0:1], vcc
	s_cbranch_execnz .LBB384_59
.LBB384_42:
	s_or_b64 exec, exec, s[0:1]
	v_cmp_gt_i32_e32 vcc, s8, v0
	s_and_saveexec_b64 s[0:1], vcc
	s_cbranch_execnz .LBB384_60
.LBB384_43:
	s_or_b64 exec, exec, s[0:1]
	v_cmp_gt_i32_e32 vcc, s8, v0
	s_and_saveexec_b64 s[0:1], vcc
	s_cbranch_execnz .LBB384_61
.LBB384_44:
	s_or_b64 exec, exec, s[0:1]
	v_cmp_gt_i32_e32 vcc, s8, v0
	s_and_saveexec_b64 s[0:1], vcc
	s_cbranch_execnz .LBB384_62
.LBB384_45:
	s_or_b64 exec, exec, s[0:1]
	v_cmp_gt_i32_e32 vcc, s8, v0
	s_and_saveexec_b64 s[0:1], vcc
	s_cbranch_execnz .LBB384_63
.LBB384_46:
	s_or_b64 exec, exec, s[0:1]
	v_cmp_gt_i32_e32 vcc, s8, v0
	s_and_saveexec_b64 s[0:1], vcc
	s_cbranch_execnz .LBB384_64
.LBB384_47:
	s_or_b64 exec, exec, s[0:1]
	v_cmp_gt_i32_e32 vcc, s8, v0
	s_and_saveexec_b64 s[0:1], vcc
	s_cbranch_execnz .LBB384_65
.LBB384_48:
	s_or_b64 exec, exec, s[0:1]
	v_cmp_gt_i32_e32 vcc, s8, v0
	s_and_saveexec_b64 s[0:1], vcc
	s_cbranch_execnz .LBB384_66
.LBB384_49:
	s_or_b64 exec, exec, s[0:1]
	v_cmp_gt_i32_e32 vcc, s8, v0
	s_and_saveexec_b64 s[0:1], vcc
	s_cbranch_execnz .LBB384_67
.LBB384_50:
	s_or_b64 exec, exec, s[0:1]
	v_cmp_gt_i32_e32 vcc, s8, v0
	s_and_saveexec_b64 s[0:1], vcc
	s_cbranch_execz .LBB384_52
.LBB384_51:
	v_lshrrev_b32_e32 v1, 24, v1
	v_add_u32_e32 v0, s11, v0
	global_store_byte v0, v1, s[12:13]
.LBB384_52:
	s_endpgm
.LBB384_53:
	v_mov_b32_e32 v0, v3
	global_store_byte v4, v9, s[12:13]
	s_or_b64 exec, exec, s[0:1]
	v_cmp_gt_i32_e32 vcc, s8, v0
	s_and_saveexec_b64 s[0:1], vcc
	s_cbranch_execz .LBB384_37
.LBB384_54:
	v_lshrrev_b32_e32 v3, 8, v9
	v_add_u32_e32 v4, s11, v0
	v_add_u32_e32 v0, 0x100, v0
	global_store_byte v4, v3, s[12:13]
	s_or_b64 exec, exec, s[0:1]
	v_cmp_gt_i32_e32 vcc, s8, v0
	s_and_saveexec_b64 s[0:1], vcc
	s_cbranch_execz .LBB384_38
.LBB384_55:
	v_add_u32_e32 v3, s11, v0
	v_add_u32_e32 v0, 0x100, v0
	global_store_byte_d16_hi v3, v9, s[12:13]
	s_or_b64 exec, exec, s[0:1]
	v_cmp_gt_i32_e32 vcc, s8, v0
	s_and_saveexec_b64 s[0:1], vcc
	s_cbranch_execz .LBB384_39
.LBB384_56:
	v_lshrrev_b32_e32 v3, 24, v9
	v_add_u32_e32 v4, s11, v0
	v_add_u32_e32 v0, 0x100, v0
	global_store_byte v4, v3, s[12:13]
	s_or_b64 exec, exec, s[0:1]
	v_cmp_gt_i32_e32 vcc, s8, v0
	s_and_saveexec_b64 s[0:1], vcc
	s_cbranch_execz .LBB384_40
.LBB384_57:
	v_add_u32_e32 v3, s11, v0
	v_add_u32_e32 v0, 0x100, v0
	global_store_byte v3, v5, s[12:13]
	s_or_b64 exec, exec, s[0:1]
	v_cmp_gt_i32_e32 vcc, s8, v0
	s_and_saveexec_b64 s[0:1], vcc
	s_cbranch_execz .LBB384_41
.LBB384_58:
	v_lshrrev_b32_e32 v3, 8, v5
	v_add_u32_e32 v4, s11, v0
	v_add_u32_e32 v0, 0x100, v0
	global_store_byte v4, v3, s[12:13]
	s_or_b64 exec, exec, s[0:1]
	v_cmp_gt_i32_e32 vcc, s8, v0
	s_and_saveexec_b64 s[0:1], vcc
	s_cbranch_execz .LBB384_42
.LBB384_59:
	v_add_u32_e32 v3, s11, v0
	v_add_u32_e32 v0, 0x100, v0
	global_store_byte_d16_hi v3, v5, s[12:13]
	s_or_b64 exec, exec, s[0:1]
	v_cmp_gt_i32_e32 vcc, s8, v0
	s_and_saveexec_b64 s[0:1], vcc
	s_cbranch_execz .LBB384_43
.LBB384_60:
	v_lshrrev_b32_e32 v3, 24, v5
	v_add_u32_e32 v4, s11, v0
	v_add_u32_e32 v0, 0x100, v0
	global_store_byte v4, v3, s[12:13]
	s_or_b64 exec, exec, s[0:1]
	v_cmp_gt_i32_e32 vcc, s8, v0
	s_and_saveexec_b64 s[0:1], vcc
	s_cbranch_execz .LBB384_44
.LBB384_61:
	v_add_u32_e32 v3, s11, v0
	v_add_u32_e32 v0, 0x100, v0
	global_store_byte v3, v2, s[12:13]
	s_or_b64 exec, exec, s[0:1]
	v_cmp_gt_i32_e32 vcc, s8, v0
	s_and_saveexec_b64 s[0:1], vcc
	s_cbranch_execz .LBB384_45
.LBB384_62:
	v_lshrrev_b32_e32 v3, 8, v2
	v_add_u32_e32 v4, s11, v0
	v_add_u32_e32 v0, 0x100, v0
	global_store_byte v4, v3, s[12:13]
	s_or_b64 exec, exec, s[0:1]
	v_cmp_gt_i32_e32 vcc, s8, v0
	s_and_saveexec_b64 s[0:1], vcc
	s_cbranch_execz .LBB384_46
.LBB384_63:
	v_add_u32_e32 v3, s11, v0
	v_add_u32_e32 v0, 0x100, v0
	global_store_byte_d16_hi v3, v2, s[12:13]
	s_or_b64 exec, exec, s[0:1]
	v_cmp_gt_i32_e32 vcc, s8, v0
	s_and_saveexec_b64 s[0:1], vcc
	s_cbranch_execz .LBB384_47
.LBB384_64:
	v_lshrrev_b32_e32 v2, 24, v2
	v_add_u32_e32 v3, s11, v0
	v_add_u32_e32 v0, 0x100, v0
	global_store_byte v3, v2, s[12:13]
	s_or_b64 exec, exec, s[0:1]
	v_cmp_gt_i32_e32 vcc, s8, v0
	s_and_saveexec_b64 s[0:1], vcc
	s_cbranch_execz .LBB384_48
.LBB384_65:
	v_add_u32_e32 v2, s11, v0
	v_add_u32_e32 v0, 0x100, v0
	global_store_byte v2, v1, s[12:13]
	s_or_b64 exec, exec, s[0:1]
	v_cmp_gt_i32_e32 vcc, s8, v0
	s_and_saveexec_b64 s[0:1], vcc
	s_cbranch_execz .LBB384_49
.LBB384_66:
	v_lshrrev_b32_e32 v2, 8, v1
	v_add_u32_e32 v3, s11, v0
	v_add_u32_e32 v0, 0x100, v0
	global_store_byte v3, v2, s[12:13]
	s_or_b64 exec, exec, s[0:1]
	v_cmp_gt_i32_e32 vcc, s8, v0
	s_and_saveexec_b64 s[0:1], vcc
	s_cbranch_execz .LBB384_50
.LBB384_67:
	v_add_u32_e32 v2, s11, v0
	v_add_u32_e32 v0, 0x100, v0
	global_store_byte_d16_hi v2, v1, s[12:13]
	s_or_b64 exec, exec, s[0:1]
	v_cmp_gt_i32_e32 vcc, s8, v0
	s_and_saveexec_b64 s[0:1], vcc
	s_cbranch_execnz .LBB384_51
	s_branch .LBB384_52
	.section	.rodata,"a",@progbits
	.p2align	6, 0x0
	.amdhsa_kernel _ZN2at6native29vectorized_elementwise_kernelILi2ENS0_13AUnaryFunctorIN3c1016Float4_e2m1fn_x2ES4_bNS0_12_GLOBAL__N_116CompareEqFunctorIS4_EEEESt5arrayIPcLm2EEEEviT0_T1_
		.amdhsa_group_segment_fixed_size 0
		.amdhsa_private_segment_fixed_size 0
		.amdhsa_kernarg_size 32
		.amdhsa_user_sgpr_count 6
		.amdhsa_user_sgpr_private_segment_buffer 1
		.amdhsa_user_sgpr_dispatch_ptr 0
		.amdhsa_user_sgpr_queue_ptr 0
		.amdhsa_user_sgpr_kernarg_segment_ptr 1
		.amdhsa_user_sgpr_dispatch_id 0
		.amdhsa_user_sgpr_flat_scratch_init 0
		.amdhsa_user_sgpr_private_segment_size 0
		.amdhsa_uses_dynamic_stack 0
		.amdhsa_system_sgpr_private_segment_wavefront_offset 0
		.amdhsa_system_sgpr_workgroup_id_x 1
		.amdhsa_system_sgpr_workgroup_id_y 0
		.amdhsa_system_sgpr_workgroup_id_z 0
		.amdhsa_system_sgpr_workgroup_info 0
		.amdhsa_system_vgpr_workitem_id 0
		.amdhsa_next_free_vgpr 21
		.amdhsa_next_free_sgpr 44
		.amdhsa_reserve_vcc 1
		.amdhsa_reserve_flat_scratch 0
		.amdhsa_float_round_mode_32 0
		.amdhsa_float_round_mode_16_64 0
		.amdhsa_float_denorm_mode_32 3
		.amdhsa_float_denorm_mode_16_64 3
		.amdhsa_dx10_clamp 1
		.amdhsa_ieee_mode 1
		.amdhsa_fp16_overflow 0
		.amdhsa_exception_fp_ieee_invalid_op 0
		.amdhsa_exception_fp_denorm_src 0
		.amdhsa_exception_fp_ieee_div_zero 0
		.amdhsa_exception_fp_ieee_overflow 0
		.amdhsa_exception_fp_ieee_underflow 0
		.amdhsa_exception_fp_ieee_inexact 0
		.amdhsa_exception_int_div_zero 0
	.end_amdhsa_kernel
	.section	.text._ZN2at6native29vectorized_elementwise_kernelILi2ENS0_13AUnaryFunctorIN3c1016Float4_e2m1fn_x2ES4_bNS0_12_GLOBAL__N_116CompareEqFunctorIS4_EEEESt5arrayIPcLm2EEEEviT0_T1_,"axG",@progbits,_ZN2at6native29vectorized_elementwise_kernelILi2ENS0_13AUnaryFunctorIN3c1016Float4_e2m1fn_x2ES4_bNS0_12_GLOBAL__N_116CompareEqFunctorIS4_EEEESt5arrayIPcLm2EEEEviT0_T1_,comdat
.Lfunc_end384:
	.size	_ZN2at6native29vectorized_elementwise_kernelILi2ENS0_13AUnaryFunctorIN3c1016Float4_e2m1fn_x2ES4_bNS0_12_GLOBAL__N_116CompareEqFunctorIS4_EEEESt5arrayIPcLm2EEEEviT0_T1_, .Lfunc_end384-_ZN2at6native29vectorized_elementwise_kernelILi2ENS0_13AUnaryFunctorIN3c1016Float4_e2m1fn_x2ES4_bNS0_12_GLOBAL__N_116CompareEqFunctorIS4_EEEESt5arrayIPcLm2EEEEviT0_T1_
                                        ; -- End function
	.set _ZN2at6native29vectorized_elementwise_kernelILi2ENS0_13AUnaryFunctorIN3c1016Float4_e2m1fn_x2ES4_bNS0_12_GLOBAL__N_116CompareEqFunctorIS4_EEEESt5arrayIPcLm2EEEEviT0_T1_.num_vgpr, 21
	.set _ZN2at6native29vectorized_elementwise_kernelILi2ENS0_13AUnaryFunctorIN3c1016Float4_e2m1fn_x2ES4_bNS0_12_GLOBAL__N_116CompareEqFunctorIS4_EEEESt5arrayIPcLm2EEEEviT0_T1_.num_agpr, 0
	.set _ZN2at6native29vectorized_elementwise_kernelILi2ENS0_13AUnaryFunctorIN3c1016Float4_e2m1fn_x2ES4_bNS0_12_GLOBAL__N_116CompareEqFunctorIS4_EEEESt5arrayIPcLm2EEEEviT0_T1_.numbered_sgpr, 44
	.set _ZN2at6native29vectorized_elementwise_kernelILi2ENS0_13AUnaryFunctorIN3c1016Float4_e2m1fn_x2ES4_bNS0_12_GLOBAL__N_116CompareEqFunctorIS4_EEEESt5arrayIPcLm2EEEEviT0_T1_.num_named_barrier, 0
	.set _ZN2at6native29vectorized_elementwise_kernelILi2ENS0_13AUnaryFunctorIN3c1016Float4_e2m1fn_x2ES4_bNS0_12_GLOBAL__N_116CompareEqFunctorIS4_EEEESt5arrayIPcLm2EEEEviT0_T1_.private_seg_size, 0
	.set _ZN2at6native29vectorized_elementwise_kernelILi2ENS0_13AUnaryFunctorIN3c1016Float4_e2m1fn_x2ES4_bNS0_12_GLOBAL__N_116CompareEqFunctorIS4_EEEESt5arrayIPcLm2EEEEviT0_T1_.uses_vcc, 1
	.set _ZN2at6native29vectorized_elementwise_kernelILi2ENS0_13AUnaryFunctorIN3c1016Float4_e2m1fn_x2ES4_bNS0_12_GLOBAL__N_116CompareEqFunctorIS4_EEEESt5arrayIPcLm2EEEEviT0_T1_.uses_flat_scratch, 0
	.set _ZN2at6native29vectorized_elementwise_kernelILi2ENS0_13AUnaryFunctorIN3c1016Float4_e2m1fn_x2ES4_bNS0_12_GLOBAL__N_116CompareEqFunctorIS4_EEEESt5arrayIPcLm2EEEEviT0_T1_.has_dyn_sized_stack, 0
	.set _ZN2at6native29vectorized_elementwise_kernelILi2ENS0_13AUnaryFunctorIN3c1016Float4_e2m1fn_x2ES4_bNS0_12_GLOBAL__N_116CompareEqFunctorIS4_EEEESt5arrayIPcLm2EEEEviT0_T1_.has_recursion, 0
	.set _ZN2at6native29vectorized_elementwise_kernelILi2ENS0_13AUnaryFunctorIN3c1016Float4_e2m1fn_x2ES4_bNS0_12_GLOBAL__N_116CompareEqFunctorIS4_EEEESt5arrayIPcLm2EEEEviT0_T1_.has_indirect_call, 0
	.section	.AMDGPU.csdata,"",@progbits
; Kernel info:
; codeLenInByte = 3572
; TotalNumSgprs: 48
; NumVgprs: 21
; ScratchSize: 0
; MemoryBound: 0
; FloatMode: 240
; IeeeMode: 1
; LDSByteSize: 0 bytes/workgroup (compile time only)
; SGPRBlocks: 5
; VGPRBlocks: 5
; NumSGPRsForWavesPerEU: 48
; NumVGPRsForWavesPerEU: 21
; Occupancy: 10
; WaveLimiterHint : 1
; COMPUTE_PGM_RSRC2:SCRATCH_EN: 0
; COMPUTE_PGM_RSRC2:USER_SGPR: 6
; COMPUTE_PGM_RSRC2:TRAP_HANDLER: 0
; COMPUTE_PGM_RSRC2:TGID_X_EN: 1
; COMPUTE_PGM_RSRC2:TGID_Y_EN: 0
; COMPUTE_PGM_RSRC2:TGID_Z_EN: 0
; COMPUTE_PGM_RSRC2:TIDIG_COMP_CNT: 0
	.section	.text._ZN2at6native27unrolled_elementwise_kernelINS0_13AUnaryFunctorIN3c1016Float4_e2m1fn_x2ES4_bNS0_12_GLOBAL__N_116CompareEqFunctorIS4_EEEESt5arrayIPcLm2EELi4E23TrivialOffsetCalculatorILi1EjESD_NS0_6memory15LoadWithoutCastENSE_16StoreWithoutCastEEEviT_T0_T2_T3_T4_T5_,"axG",@progbits,_ZN2at6native27unrolled_elementwise_kernelINS0_13AUnaryFunctorIN3c1016Float4_e2m1fn_x2ES4_bNS0_12_GLOBAL__N_116CompareEqFunctorIS4_EEEESt5arrayIPcLm2EELi4E23TrivialOffsetCalculatorILi1EjESD_NS0_6memory15LoadWithoutCastENSE_16StoreWithoutCastEEEviT_T0_T2_T3_T4_T5_,comdat
	.globl	_ZN2at6native27unrolled_elementwise_kernelINS0_13AUnaryFunctorIN3c1016Float4_e2m1fn_x2ES4_bNS0_12_GLOBAL__N_116CompareEqFunctorIS4_EEEESt5arrayIPcLm2EELi4E23TrivialOffsetCalculatorILi1EjESD_NS0_6memory15LoadWithoutCastENSE_16StoreWithoutCastEEEviT_T0_T2_T3_T4_T5_ ; -- Begin function _ZN2at6native27unrolled_elementwise_kernelINS0_13AUnaryFunctorIN3c1016Float4_e2m1fn_x2ES4_bNS0_12_GLOBAL__N_116CompareEqFunctorIS4_EEEESt5arrayIPcLm2EELi4E23TrivialOffsetCalculatorILi1EjESD_NS0_6memory15LoadWithoutCastENSE_16StoreWithoutCastEEEviT_T0_T2_T3_T4_T5_
	.p2align	8
	.type	_ZN2at6native27unrolled_elementwise_kernelINS0_13AUnaryFunctorIN3c1016Float4_e2m1fn_x2ES4_bNS0_12_GLOBAL__N_116CompareEqFunctorIS4_EEEESt5arrayIPcLm2EELi4E23TrivialOffsetCalculatorILi1EjESD_NS0_6memory15LoadWithoutCastENSE_16StoreWithoutCastEEEviT_T0_T2_T3_T4_T5_,@function
_ZN2at6native27unrolled_elementwise_kernelINS0_13AUnaryFunctorIN3c1016Float4_e2m1fn_x2ES4_bNS0_12_GLOBAL__N_116CompareEqFunctorIS4_EEEESt5arrayIPcLm2EELi4E23TrivialOffsetCalculatorILi1EjESD_NS0_6memory15LoadWithoutCastENSE_16StoreWithoutCastEEEviT_T0_T2_T3_T4_T5_: ; @_ZN2at6native27unrolled_elementwise_kernelINS0_13AUnaryFunctorIN3c1016Float4_e2m1fn_x2ES4_bNS0_12_GLOBAL__N_116CompareEqFunctorIS4_EEEESt5arrayIPcLm2EELi4E23TrivialOffsetCalculatorILi1EjESD_NS0_6memory15LoadWithoutCastENSE_16StoreWithoutCastEEEviT_T0_T2_T3_T4_T5_
; %bb.0:
	s_load_dwordx8 s[8:15], s[4:5], 0x0
	s_waitcnt lgkmcnt(0)
	s_lshl_b32 s11, s6, 10
	v_or_b32_e32 v1, 0x100, v0
	v_mov_b32_e32 v3, 0
	v_or_b32_e32 v2, s11, v0
	s_sub_i32 s8, s8, s11
	v_cmp_gt_i32_e32 vcc, s8, v0
	v_mov_b32_e32 v4, 0
	v_mov_b32_e32 v5, 0
	;; [unrolled: 1-line block ×3, first 2 shown]
	s_and_saveexec_b64 s[2:3], vcc
	s_cbranch_execz .LBB385_8
; %bb.1:
	global_load_ubyte v6, v2, s[14:15]
	v_cmp_gt_u32_e64 s[0:1], s8, v1
	v_mov_b32_e32 v5, 0
	v_mov_b32_e32 v4, 0
	;; [unrolled: 1-line block ×3, first 2 shown]
	s_and_saveexec_b64 s[4:5], s[0:1]
	s_cbranch_execz .LBB385_7
; %bb.2:
	v_add_u32_e32 v3, s11, v1
	global_load_ubyte v5, v3, s[14:15]
	v_or_b32_e32 v7, 0x200, v0
	v_cmp_gt_u32_e64 s[0:1], s8, v7
	v_mov_b32_e32 v4, 0
	v_mov_b32_e32 v3, 0
	s_and_saveexec_b64 s[6:7], s[0:1]
	s_cbranch_execz .LBB385_6
; %bb.3:
	v_add_u32_e32 v3, s11, v7
	global_load_ubyte v4, v3, s[14:15]
	v_or_b32_e32 v7, 0x300, v0
	v_cmp_gt_u32_e64 s[0:1], s8, v7
	v_mov_b32_e32 v3, 0
	s_and_saveexec_b64 s[16:17], s[0:1]
	s_cbranch_execz .LBB385_5
; %bb.4:
	v_add_u32_e32 v3, s11, v7
	global_load_ubyte v3, v3, s[14:15]
.LBB385_5:
	s_or_b64 exec, exec, s[16:17]
.LBB385_6:
	s_or_b64 exec, exec, s[6:7]
.LBB385_7:
	s_or_b64 exec, exec, s[4:5]
.LBB385_8:
	s_or_b64 exec, exec, s[2:3]
	s_and_b32 s5, s10, 0xff
	s_cmp_eq_u32 s9, 0
	s_cselect_b64 s[2:3], -1, 0
	s_waitcnt vmcnt(0)
	v_cmp_ne_u16_sdwa s[0:1], v6, s5 src0_sel:BYTE_0 src1_sel:DWORD
	s_xor_b64 s[0:1], s[2:3], s[0:1]
	v_cndmask_b32_e64 v6, 0, 1, s[0:1]
	v_cmp_ne_u16_sdwa s[0:1], v5, s5 src0_sel:BYTE_0 src1_sel:DWORD
	s_xor_b64 s[0:1], s[2:3], s[0:1]
	v_cndmask_b32_e64 v5, 0, 1, s[0:1]
	v_cndmask_b32_e32 v6, 0, v6, vcc
	v_lshlrev_b16_e32 v5, 8, v5
	v_or_b32_e32 v5, v6, v5
	v_and_b32_e32 v5, 0xffff, v5
	v_cmp_gt_i32_e64 s[0:1], s8, v1
	v_cndmask_b32_e64 v5, v6, v5, s[0:1]
	v_cmp_ne_u16_sdwa s[0:1], v4, s5 src0_sel:BYTE_0 src1_sel:DWORD
	s_xor_b64 s[0:1], s[2:3], s[0:1]
	v_cndmask_b32_e64 v4, 0, 1, s[0:1]
	v_or_b32_e32 v6, 0x200, v0
	v_lshlrev_b32_e32 v4, 16, v4
	v_or_b32_e32 v4, v5, v4
	v_cmp_gt_i32_e64 s[0:1], s8, v6
	v_cndmask_b32_e64 v4, v5, v4, s[0:1]
	v_cmp_ne_u16_sdwa s[0:1], v3, s5 src0_sel:BYTE_0 src1_sel:DWORD
	s_xor_b64 s[0:1], s[2:3], s[0:1]
	s_movk_i32 s4, 0xff
	v_cndmask_b32_e64 v3, 0, 1, s[0:1]
	v_and_b32_sdwa v5, v4, s4 dst_sel:DWORD dst_unused:UNUSED_PAD src0_sel:WORD_1 src1_sel:DWORD
	v_lshlrev_b16_e32 v3, 8, v3
	s_mov_b32 s6, 0xffff
	v_or_b32_e32 v6, 0x300, v0
	v_or_b32_sdwa v3, v5, v3 dst_sel:WORD_1 dst_unused:UNUSED_PAD src0_sel:DWORD src1_sel:DWORD
	v_and_or_b32 v3, v4, s6, v3
	v_cmp_gt_i32_e64 s[0:1], s8, v6
	v_cndmask_b32_e64 v3, v4, v3, s[0:1]
	s_and_saveexec_b64 s[0:1], vcc
	s_cbranch_execnz .LBB385_13
; %bb.9:
	s_or_b64 exec, exec, s[0:1]
	v_cmp_gt_i32_e32 vcc, s8, v0
	s_and_saveexec_b64 s[0:1], vcc
	s_cbranch_execnz .LBB385_14
.LBB385_10:
	s_or_b64 exec, exec, s[0:1]
	v_cmp_gt_i32_e32 vcc, s8, v0
	s_and_saveexec_b64 s[0:1], vcc
	s_cbranch_execnz .LBB385_15
.LBB385_11:
	s_or_b64 exec, exec, s[0:1]
	v_cmp_gt_i32_e32 vcc, s8, v0
	s_and_saveexec_b64 s[0:1], vcc
	s_cbranch_execnz .LBB385_16
.LBB385_12:
	s_endpgm
.LBB385_13:
	v_mov_b32_e32 v0, v1
	global_store_byte v2, v3, s[12:13]
	s_or_b64 exec, exec, s[0:1]
	v_cmp_gt_i32_e32 vcc, s8, v0
	s_and_saveexec_b64 s[0:1], vcc
	s_cbranch_execz .LBB385_10
.LBB385_14:
	v_add_u32_e32 v1, 0x100, v0
	v_add_u32_e32 v0, s11, v0
	v_lshrrev_b32_e32 v2, 8, v3
	global_store_byte v0, v2, s[12:13]
	v_mov_b32_e32 v0, v1
	s_or_b64 exec, exec, s[0:1]
	v_cmp_gt_i32_e32 vcc, s8, v0
	s_and_saveexec_b64 s[0:1], vcc
	s_cbranch_execz .LBB385_11
.LBB385_15:
	v_add_u32_e32 v1, 0x100, v0
	v_add_u32_e32 v0, s11, v0
	global_store_byte_d16_hi v0, v3, s[12:13]
	v_mov_b32_e32 v0, v1
	s_or_b64 exec, exec, s[0:1]
	v_cmp_gt_i32_e32 vcc, s8, v0
	s_and_saveexec_b64 s[0:1], vcc
	s_cbranch_execz .LBB385_12
.LBB385_16:
	v_add_u32_e32 v0, s11, v0
	v_lshrrev_b32_e32 v1, 24, v3
	global_store_byte v0, v1, s[12:13]
	s_endpgm
	.section	.rodata,"a",@progbits
	.p2align	6, 0x0
	.amdhsa_kernel _ZN2at6native27unrolled_elementwise_kernelINS0_13AUnaryFunctorIN3c1016Float4_e2m1fn_x2ES4_bNS0_12_GLOBAL__N_116CompareEqFunctorIS4_EEEESt5arrayIPcLm2EELi4E23TrivialOffsetCalculatorILi1EjESD_NS0_6memory15LoadWithoutCastENSE_16StoreWithoutCastEEEviT_T0_T2_T3_T4_T5_
		.amdhsa_group_segment_fixed_size 0
		.amdhsa_private_segment_fixed_size 0
		.amdhsa_kernarg_size 36
		.amdhsa_user_sgpr_count 6
		.amdhsa_user_sgpr_private_segment_buffer 1
		.amdhsa_user_sgpr_dispatch_ptr 0
		.amdhsa_user_sgpr_queue_ptr 0
		.amdhsa_user_sgpr_kernarg_segment_ptr 1
		.amdhsa_user_sgpr_dispatch_id 0
		.amdhsa_user_sgpr_flat_scratch_init 0
		.amdhsa_user_sgpr_private_segment_size 0
		.amdhsa_uses_dynamic_stack 0
		.amdhsa_system_sgpr_private_segment_wavefront_offset 0
		.amdhsa_system_sgpr_workgroup_id_x 1
		.amdhsa_system_sgpr_workgroup_id_y 0
		.amdhsa_system_sgpr_workgroup_id_z 0
		.amdhsa_system_sgpr_workgroup_info 0
		.amdhsa_system_vgpr_workitem_id 0
		.amdhsa_next_free_vgpr 8
		.amdhsa_next_free_sgpr 18
		.amdhsa_reserve_vcc 1
		.amdhsa_reserve_flat_scratch 0
		.amdhsa_float_round_mode_32 0
		.amdhsa_float_round_mode_16_64 0
		.amdhsa_float_denorm_mode_32 3
		.amdhsa_float_denorm_mode_16_64 3
		.amdhsa_dx10_clamp 1
		.amdhsa_ieee_mode 1
		.amdhsa_fp16_overflow 0
		.amdhsa_exception_fp_ieee_invalid_op 0
		.amdhsa_exception_fp_denorm_src 0
		.amdhsa_exception_fp_ieee_div_zero 0
		.amdhsa_exception_fp_ieee_overflow 0
		.amdhsa_exception_fp_ieee_underflow 0
		.amdhsa_exception_fp_ieee_inexact 0
		.amdhsa_exception_int_div_zero 0
	.end_amdhsa_kernel
	.section	.text._ZN2at6native27unrolled_elementwise_kernelINS0_13AUnaryFunctorIN3c1016Float4_e2m1fn_x2ES4_bNS0_12_GLOBAL__N_116CompareEqFunctorIS4_EEEESt5arrayIPcLm2EELi4E23TrivialOffsetCalculatorILi1EjESD_NS0_6memory15LoadWithoutCastENSE_16StoreWithoutCastEEEviT_T0_T2_T3_T4_T5_,"axG",@progbits,_ZN2at6native27unrolled_elementwise_kernelINS0_13AUnaryFunctorIN3c1016Float4_e2m1fn_x2ES4_bNS0_12_GLOBAL__N_116CompareEqFunctorIS4_EEEESt5arrayIPcLm2EELi4E23TrivialOffsetCalculatorILi1EjESD_NS0_6memory15LoadWithoutCastENSE_16StoreWithoutCastEEEviT_T0_T2_T3_T4_T5_,comdat
.Lfunc_end385:
	.size	_ZN2at6native27unrolled_elementwise_kernelINS0_13AUnaryFunctorIN3c1016Float4_e2m1fn_x2ES4_bNS0_12_GLOBAL__N_116CompareEqFunctorIS4_EEEESt5arrayIPcLm2EELi4E23TrivialOffsetCalculatorILi1EjESD_NS0_6memory15LoadWithoutCastENSE_16StoreWithoutCastEEEviT_T0_T2_T3_T4_T5_, .Lfunc_end385-_ZN2at6native27unrolled_elementwise_kernelINS0_13AUnaryFunctorIN3c1016Float4_e2m1fn_x2ES4_bNS0_12_GLOBAL__N_116CompareEqFunctorIS4_EEEESt5arrayIPcLm2EELi4E23TrivialOffsetCalculatorILi1EjESD_NS0_6memory15LoadWithoutCastENSE_16StoreWithoutCastEEEviT_T0_T2_T3_T4_T5_
                                        ; -- End function
	.set _ZN2at6native27unrolled_elementwise_kernelINS0_13AUnaryFunctorIN3c1016Float4_e2m1fn_x2ES4_bNS0_12_GLOBAL__N_116CompareEqFunctorIS4_EEEESt5arrayIPcLm2EELi4E23TrivialOffsetCalculatorILi1EjESD_NS0_6memory15LoadWithoutCastENSE_16StoreWithoutCastEEEviT_T0_T2_T3_T4_T5_.num_vgpr, 8
	.set _ZN2at6native27unrolled_elementwise_kernelINS0_13AUnaryFunctorIN3c1016Float4_e2m1fn_x2ES4_bNS0_12_GLOBAL__N_116CompareEqFunctorIS4_EEEESt5arrayIPcLm2EELi4E23TrivialOffsetCalculatorILi1EjESD_NS0_6memory15LoadWithoutCastENSE_16StoreWithoutCastEEEviT_T0_T2_T3_T4_T5_.num_agpr, 0
	.set _ZN2at6native27unrolled_elementwise_kernelINS0_13AUnaryFunctorIN3c1016Float4_e2m1fn_x2ES4_bNS0_12_GLOBAL__N_116CompareEqFunctorIS4_EEEESt5arrayIPcLm2EELi4E23TrivialOffsetCalculatorILi1EjESD_NS0_6memory15LoadWithoutCastENSE_16StoreWithoutCastEEEviT_T0_T2_T3_T4_T5_.numbered_sgpr, 18
	.set _ZN2at6native27unrolled_elementwise_kernelINS0_13AUnaryFunctorIN3c1016Float4_e2m1fn_x2ES4_bNS0_12_GLOBAL__N_116CompareEqFunctorIS4_EEEESt5arrayIPcLm2EELi4E23TrivialOffsetCalculatorILi1EjESD_NS0_6memory15LoadWithoutCastENSE_16StoreWithoutCastEEEviT_T0_T2_T3_T4_T5_.num_named_barrier, 0
	.set _ZN2at6native27unrolled_elementwise_kernelINS0_13AUnaryFunctorIN3c1016Float4_e2m1fn_x2ES4_bNS0_12_GLOBAL__N_116CompareEqFunctorIS4_EEEESt5arrayIPcLm2EELi4E23TrivialOffsetCalculatorILi1EjESD_NS0_6memory15LoadWithoutCastENSE_16StoreWithoutCastEEEviT_T0_T2_T3_T4_T5_.private_seg_size, 0
	.set _ZN2at6native27unrolled_elementwise_kernelINS0_13AUnaryFunctorIN3c1016Float4_e2m1fn_x2ES4_bNS0_12_GLOBAL__N_116CompareEqFunctorIS4_EEEESt5arrayIPcLm2EELi4E23TrivialOffsetCalculatorILi1EjESD_NS0_6memory15LoadWithoutCastENSE_16StoreWithoutCastEEEviT_T0_T2_T3_T4_T5_.uses_vcc, 1
	.set _ZN2at6native27unrolled_elementwise_kernelINS0_13AUnaryFunctorIN3c1016Float4_e2m1fn_x2ES4_bNS0_12_GLOBAL__N_116CompareEqFunctorIS4_EEEESt5arrayIPcLm2EELi4E23TrivialOffsetCalculatorILi1EjESD_NS0_6memory15LoadWithoutCastENSE_16StoreWithoutCastEEEviT_T0_T2_T3_T4_T5_.uses_flat_scratch, 0
	.set _ZN2at6native27unrolled_elementwise_kernelINS0_13AUnaryFunctorIN3c1016Float4_e2m1fn_x2ES4_bNS0_12_GLOBAL__N_116CompareEqFunctorIS4_EEEESt5arrayIPcLm2EELi4E23TrivialOffsetCalculatorILi1EjESD_NS0_6memory15LoadWithoutCastENSE_16StoreWithoutCastEEEviT_T0_T2_T3_T4_T5_.has_dyn_sized_stack, 0
	.set _ZN2at6native27unrolled_elementwise_kernelINS0_13AUnaryFunctorIN3c1016Float4_e2m1fn_x2ES4_bNS0_12_GLOBAL__N_116CompareEqFunctorIS4_EEEESt5arrayIPcLm2EELi4E23TrivialOffsetCalculatorILi1EjESD_NS0_6memory15LoadWithoutCastENSE_16StoreWithoutCastEEEviT_T0_T2_T3_T4_T5_.has_recursion, 0
	.set _ZN2at6native27unrolled_elementwise_kernelINS0_13AUnaryFunctorIN3c1016Float4_e2m1fn_x2ES4_bNS0_12_GLOBAL__N_116CompareEqFunctorIS4_EEEESt5arrayIPcLm2EELi4E23TrivialOffsetCalculatorILi1EjESD_NS0_6memory15LoadWithoutCastENSE_16StoreWithoutCastEEEviT_T0_T2_T3_T4_T5_.has_indirect_call, 0
	.section	.AMDGPU.csdata,"",@progbits
; Kernel info:
; codeLenInByte = 632
; TotalNumSgprs: 22
; NumVgprs: 8
; ScratchSize: 0
; MemoryBound: 0
; FloatMode: 240
; IeeeMode: 1
; LDSByteSize: 0 bytes/workgroup (compile time only)
; SGPRBlocks: 2
; VGPRBlocks: 1
; NumSGPRsForWavesPerEU: 22
; NumVGPRsForWavesPerEU: 8
; Occupancy: 10
; WaveLimiterHint : 0
; COMPUTE_PGM_RSRC2:SCRATCH_EN: 0
; COMPUTE_PGM_RSRC2:USER_SGPR: 6
; COMPUTE_PGM_RSRC2:TRAP_HANDLER: 0
; COMPUTE_PGM_RSRC2:TGID_X_EN: 1
; COMPUTE_PGM_RSRC2:TGID_Y_EN: 0
; COMPUTE_PGM_RSRC2:TGID_Z_EN: 0
; COMPUTE_PGM_RSRC2:TIDIG_COMP_CNT: 0
	.section	.text._ZN2at6native32elementwise_kernel_manual_unrollILi128ELi8EZNS0_22gpu_kernel_impl_nocastINS0_13AUnaryFunctorIN3c1016Float4_e2m1fn_x2ES5_bNS0_12_GLOBAL__N_116CompareEqFunctorIS5_EEEEEEvRNS_18TensorIteratorBaseERKT_EUlibE_EEviT1_,"axG",@progbits,_ZN2at6native32elementwise_kernel_manual_unrollILi128ELi8EZNS0_22gpu_kernel_impl_nocastINS0_13AUnaryFunctorIN3c1016Float4_e2m1fn_x2ES5_bNS0_12_GLOBAL__N_116CompareEqFunctorIS5_EEEEEEvRNS_18TensorIteratorBaseERKT_EUlibE_EEviT1_,comdat
	.globl	_ZN2at6native32elementwise_kernel_manual_unrollILi128ELi8EZNS0_22gpu_kernel_impl_nocastINS0_13AUnaryFunctorIN3c1016Float4_e2m1fn_x2ES5_bNS0_12_GLOBAL__N_116CompareEqFunctorIS5_EEEEEEvRNS_18TensorIteratorBaseERKT_EUlibE_EEviT1_ ; -- Begin function _ZN2at6native32elementwise_kernel_manual_unrollILi128ELi8EZNS0_22gpu_kernel_impl_nocastINS0_13AUnaryFunctorIN3c1016Float4_e2m1fn_x2ES5_bNS0_12_GLOBAL__N_116CompareEqFunctorIS5_EEEEEEvRNS_18TensorIteratorBaseERKT_EUlibE_EEviT1_
	.p2align	8
	.type	_ZN2at6native32elementwise_kernel_manual_unrollILi128ELi8EZNS0_22gpu_kernel_impl_nocastINS0_13AUnaryFunctorIN3c1016Float4_e2m1fn_x2ES5_bNS0_12_GLOBAL__N_116CompareEqFunctorIS5_EEEEEEvRNS_18TensorIteratorBaseERKT_EUlibE_EEviT1_,@function
_ZN2at6native32elementwise_kernel_manual_unrollILi128ELi8EZNS0_22gpu_kernel_impl_nocastINS0_13AUnaryFunctorIN3c1016Float4_e2m1fn_x2ES5_bNS0_12_GLOBAL__N_116CompareEqFunctorIS5_EEEEEEvRNS_18TensorIteratorBaseERKT_EUlibE_EEviT1_: ; @_ZN2at6native32elementwise_kernel_manual_unrollILi128ELi8EZNS0_22gpu_kernel_impl_nocastINS0_13AUnaryFunctorIN3c1016Float4_e2m1fn_x2ES5_bNS0_12_GLOBAL__N_116CompareEqFunctorIS5_EEEEEEvRNS_18TensorIteratorBaseERKT_EUlibE_EEviT1_
; %bb.0:
	s_load_dword s59, s[4:5], 0x0
	s_load_dword s33, s[4:5], 0x8
	s_add_u32 s34, s4, 8
	s_addc_u32 s35, s5, 0
	v_lshl_or_b32 v19, s6, 10, v0
	v_or_b32_e32 v25, 0x380, v19
	s_waitcnt lgkmcnt(0)
	s_add_i32 s58, s33, -1
	s_cmp_gt_u32 s58, 1
	v_cmp_le_i32_e32 vcc, s59, v25
	s_cselect_b64 s[36:37], -1, 0
	s_and_saveexec_b64 s[0:1], vcc
	s_xor_b64 s[38:39], exec, s[0:1]
	s_cbranch_execz .LBB386_7
; %bb.1:
	s_load_dwordx4 s[20:23], s[34:35], 0x4
	s_load_dwordx2 s[44:45], s[34:35], 0x14
	s_load_dwordx2 s[40:41], s[34:35], 0x158
	s_cmp_lg_u32 s33, 0
	s_cselect_b64 s[50:51], -1, 0
	s_add_u32 s48, s34, 0xc4
	s_load_dwordx4 s[24:27], s[34:35], 0xc4
	s_load_dwordx4 s[16:19], s[34:35], 0x148
	s_addc_u32 s49, s35, 0
	s_min_u32 s60, s58, 15
	s_cmp_gt_u32 s33, 1
	s_cselect_b64 s[46:47], -1, 0
	s_waitcnt lgkmcnt(0)
	s_cmp_eq_u32 s40, 0
	s_cselect_b64 s[42:43], -1, 0
	v_cmp_gt_i32_e32 vcc, s59, v19
	s_and_saveexec_b64 s[52:53], vcc
	s_cbranch_execz .LBB386_14
; %bb.2:
	s_andn2_b64 vcc, exec, s[36:37]
	s_cbranch_vccnz .LBB386_21
; %bb.3:
	s_andn2_b64 vcc, exec, s[50:51]
	s_cbranch_vccnz .LBB386_129
; %bb.4:
	s_add_i32 s61, s60, 1
	s_cmp_eq_u32 s58, 2
	s_cbranch_scc1 .LBB386_131
; %bb.5:
	s_and_b32 s40, s61, 28
	v_mov_b32_e32 v2, 0
	s_mov_b32 s62, 0
	s_mov_b64 s[54:55], s[34:35]
	s_mov_b64 s[56:57], s[48:49]
	v_mov_b32_e32 v0, 0
	v_mov_b32_e32 v1, v19
.LBB386_6:                              ; =>This Inner Loop Header: Depth=1
	s_load_dwordx8 s[8:15], s[54:55], 0x4
	s_load_dwordx4 s[28:31], s[54:55], 0x24
	s_load_dwordx8 s[0:7], s[56:57], 0x0
	s_add_u32 s54, s54, 48
	s_addc_u32 s55, s55, 0
	s_waitcnt lgkmcnt(0)
	v_mul_hi_u32 v3, s9, v1
	s_add_i32 s62, s62, 4
	s_add_u32 s56, s56, 32
	s_addc_u32 s57, s57, 0
	v_add_u32_e32 v3, v1, v3
	v_lshrrev_b32_e32 v3, s10, v3
	v_mul_lo_u32 v4, v3, s8
	v_mul_hi_u32 v5, s12, v3
	s_cmp_lg_u32 s40, s62
	v_sub_u32_e32 v1, v1, v4
	v_add_u32_e32 v4, v3, v5
	v_mul_lo_u32 v5, v1, s0
	v_mul_lo_u32 v6, v1, s1
	v_lshrrev_b32_e32 v1, s13, v4
	v_mul_lo_u32 v4, v1, s11
	v_mul_hi_u32 v7, s15, v1
	v_sub_u32_e32 v3, v3, v4
	v_add_u32_e32 v4, v1, v7
	v_lshrrev_b32_e32 v4, s28, v4
	v_mul_hi_u32 v8, s30, v4
	v_mul_lo_u32 v9, v4, s14
	v_mul_lo_u32 v7, v3, s2
	;; [unrolled: 1-line block ×3, first 2 shown]
	v_sub_u32_e32 v9, v1, v9
	v_add_u32_e32 v1, v4, v8
	v_lshrrev_b32_e32 v1, s31, v1
	v_mul_lo_u32 v8, v1, s29
	v_mul_lo_u32 v10, v9, s4
	;; [unrolled: 1-line block ×3, first 2 shown]
	v_add3_u32 v0, v5, v0, v7
	v_sub_u32_e32 v4, v4, v8
	v_mul_lo_u32 v8, v4, s6
	v_mul_lo_u32 v4, v4, s7
	v_add3_u32 v2, v6, v2, v3
	v_add3_u32 v0, v10, v0, v8
	;; [unrolled: 1-line block ×3, first 2 shown]
	s_cbranch_scc1 .LBB386_6
	s_branch .LBB386_132
.LBB386_7:
	s_andn2_saveexec_b64 s[0:1], s[38:39]
	s_cbranch_execz .LBB386_221
.LBB386_8:
	v_cndmask_b32_e64 v0, 0, 1, s[36:37]
	v_cmp_ne_u32_e64 s[0:1], 1, v0
	s_andn2_b64 vcc, exec, s[36:37]
	s_cbranch_vccnz .LBB386_20
; %bb.9:
	s_cmp_lg_u32 s33, 0
	s_mov_b32 s26, 0
	s_cbranch_scc0 .LBB386_23
; %bb.10:
	s_min_u32 s27, s58, 15
	s_add_i32 s27, s27, 1
	s_cmp_eq_u32 s58, 2
	s_cbranch_scc1 .LBB386_24
; %bb.11:
	s_and_b32 s26, s27, 28
	s_add_u32 s2, s34, 0xc4
	s_addc_u32 s3, s35, 0
	v_mov_b32_e32 v2, 0
	s_mov_b32 s28, 0
	s_mov_b64 s[24:25], s[34:35]
	v_mov_b32_e32 v0, 0
	v_mov_b32_e32 v1, v19
.LBB386_12:                             ; =>This Inner Loop Header: Depth=1
	s_load_dwordx8 s[12:19], s[24:25], 0x4
	s_load_dwordx4 s[20:23], s[24:25], 0x24
	s_load_dwordx8 s[4:11], s[2:3], 0x0
	s_add_u32 s24, s24, 48
	s_addc_u32 s25, s25, 0
	s_waitcnt lgkmcnt(0)
	v_mul_hi_u32 v3, s13, v1
	s_add_i32 s28, s28, 4
	s_add_u32 s2, s2, 32
	s_addc_u32 s3, s3, 0
	v_add_u32_e32 v3, v1, v3
	v_lshrrev_b32_e32 v3, s14, v3
	v_mul_lo_u32 v4, v3, s12
	v_mul_hi_u32 v5, s16, v3
	s_cmp_lg_u32 s26, s28
	v_sub_u32_e32 v1, v1, v4
	v_add_u32_e32 v4, v3, v5
	v_mul_lo_u32 v5, v1, s4
	v_mul_lo_u32 v6, v1, s5
	v_lshrrev_b32_e32 v1, s17, v4
	v_mul_lo_u32 v4, v1, s15
	v_mul_hi_u32 v7, s19, v1
	v_sub_u32_e32 v3, v3, v4
	v_add_u32_e32 v4, v1, v7
	v_lshrrev_b32_e32 v4, s20, v4
	v_mul_hi_u32 v8, s22, v4
	v_mul_lo_u32 v9, v4, s18
	v_mul_lo_u32 v7, v3, s6
	;; [unrolled: 1-line block ×3, first 2 shown]
	v_sub_u32_e32 v9, v1, v9
	v_add_u32_e32 v1, v4, v8
	v_lshrrev_b32_e32 v1, s23, v1
	v_mul_lo_u32 v8, v1, s21
	v_mul_lo_u32 v10, v9, s8
	;; [unrolled: 1-line block ×3, first 2 shown]
	v_add3_u32 v0, v5, v0, v7
	v_sub_u32_e32 v4, v4, v8
	v_mul_lo_u32 v8, v4, s10
	v_mul_lo_u32 v4, v4, s11
	v_add3_u32 v2, v6, v2, v3
	v_add3_u32 v0, v10, v0, v8
	;; [unrolled: 1-line block ×3, first 2 shown]
	s_cbranch_scc1 .LBB386_12
; %bb.13:
	s_and_b32 s6, s27, 3
	s_cmp_eq_u32 s6, 0
	s_cbranch_scc0 .LBB386_25
	s_branch .LBB386_27
.LBB386_14:
	s_or_b64 exec, exec, s[52:53]
	v_cmp_gt_i32_e32 vcc, s59, v19
	s_and_saveexec_b64 s[52:53], vcc
	s_cbranch_execz .LBB386_139
.LBB386_15:
	s_andn2_b64 vcc, exec, s[36:37]
	s_cbranch_vccnz .LBB386_22
; %bb.16:
	s_andn2_b64 vcc, exec, s[50:51]
	s_cbranch_vccnz .LBB386_130
; %bb.17:
	s_add_i32 s61, s60, 1
	s_cmp_eq_u32 s58, 2
	s_cbranch_scc1 .LBB386_147
; %bb.18:
	s_and_b32 s40, s61, 28
	v_mov_b32_e32 v2, 0
	s_mov_b32 s62, 0
	s_mov_b64 s[54:55], s[34:35]
	s_mov_b64 s[56:57], s[48:49]
	v_mov_b32_e32 v0, 0
	v_mov_b32_e32 v1, v19
.LBB386_19:                             ; =>This Inner Loop Header: Depth=1
	s_load_dwordx8 s[8:15], s[54:55], 0x4
	s_load_dwordx4 s[28:31], s[54:55], 0x24
	s_load_dwordx8 s[0:7], s[56:57], 0x0
	s_add_u32 s54, s54, 48
	s_addc_u32 s55, s55, 0
	s_waitcnt lgkmcnt(0)
	v_mul_hi_u32 v3, s9, v1
	s_add_i32 s62, s62, 4
	s_add_u32 s56, s56, 32
	s_addc_u32 s57, s57, 0
	v_add_u32_e32 v3, v1, v3
	v_lshrrev_b32_e32 v3, s10, v3
	v_mul_lo_u32 v4, v3, s8
	v_mul_hi_u32 v5, s12, v3
	s_cmp_eq_u32 s40, s62
	v_sub_u32_e32 v1, v1, v4
	v_add_u32_e32 v4, v3, v5
	v_mul_lo_u32 v5, v1, s0
	v_mul_lo_u32 v6, v1, s1
	v_lshrrev_b32_e32 v1, s13, v4
	v_mul_lo_u32 v4, v1, s11
	v_mul_hi_u32 v7, s15, v1
	v_sub_u32_e32 v3, v3, v4
	v_add_u32_e32 v4, v1, v7
	v_lshrrev_b32_e32 v4, s28, v4
	v_mul_hi_u32 v8, s30, v4
	v_mul_lo_u32 v9, v4, s14
	v_mul_lo_u32 v7, v3, s2
	;; [unrolled: 1-line block ×3, first 2 shown]
	v_sub_u32_e32 v9, v1, v9
	v_add_u32_e32 v1, v4, v8
	v_lshrrev_b32_e32 v1, s31, v1
	v_mul_lo_u32 v8, v1, s29
	v_mul_lo_u32 v10, v9, s4
	v_mul_lo_u32 v9, v9, s5
	v_add3_u32 v0, v5, v0, v7
	v_sub_u32_e32 v4, v4, v8
	v_mul_lo_u32 v8, v4, s6
	v_mul_lo_u32 v4, v4, s7
	v_add3_u32 v2, v6, v2, v3
	v_add3_u32 v0, v10, v0, v8
	;; [unrolled: 1-line block ×3, first 2 shown]
	s_cbranch_scc0 .LBB386_19
	s_branch .LBB386_148
.LBB386_20:
                                        ; implicit-def: $vgpr0
                                        ; implicit-def: $vgpr2
	s_branch .LBB386_28
.LBB386_21:
                                        ; implicit-def: $vgpr0
                                        ; implicit-def: $vgpr2
	s_branch .LBB386_136
.LBB386_22:
                                        ; implicit-def: $vgpr0
                                        ; implicit-def: $vgpr2
	s_branch .LBB386_152
.LBB386_23:
	v_mov_b32_e32 v0, 0
	v_mov_b32_e32 v2, 0
	s_branch .LBB386_27
.LBB386_24:
	v_mov_b32_e32 v0, 0
	v_mov_b32_e32 v2, 0
	;; [unrolled: 1-line block ×3, first 2 shown]
	s_and_b32 s6, s27, 3
	s_cmp_eq_u32 s6, 0
	s_cbranch_scc1 .LBB386_27
.LBB386_25:
	s_lshl_b32 s2, s26, 3
	s_add_u32 s2, s34, s2
	s_addc_u32 s3, s35, 0
	s_add_u32 s2, s2, 0xc4
	s_addc_u32 s3, s3, 0
	s_mul_i32 s4, s26, 12
	s_add_u32 s4, s34, s4
	s_addc_u32 s5, s35, 0
.LBB386_26:                             ; =>This Inner Loop Header: Depth=1
	s_load_dwordx2 s[8:9], s[4:5], 0x4
	s_load_dword s7, s[4:5], 0xc
	s_load_dwordx2 s[10:11], s[2:3], 0x0
	s_add_u32 s4, s4, 12
	s_addc_u32 s5, s5, 0
	s_waitcnt lgkmcnt(0)
	v_mul_hi_u32 v4, s9, v1
	s_add_u32 s2, s2, 8
	s_addc_u32 s3, s3, 0
	s_add_i32 s6, s6, -1
	v_add_u32_e32 v4, v1, v4
	v_lshrrev_b32_e32 v4, s7, v4
	v_mul_lo_u32 v5, v4, s8
	s_cmp_lg_u32 s6, 0
	v_sub_u32_e32 v5, v1, v5
	v_mad_u64_u32 v[0:1], s[8:9], v5, s10, v[0:1]
	v_mad_u64_u32 v[2:3], s[8:9], v5, s11, v[2:3]
	v_mov_b32_e32 v1, v4
	s_cbranch_scc1 .LBB386_26
.LBB386_27:
	s_cbranch_execnz .LBB386_30
.LBB386_28:
	s_load_dwordx4 s[4:7], s[34:35], 0x4
	s_load_dwordx2 s[2:3], s[34:35], 0xc4
	s_cmp_lt_u32 s33, 2
	s_waitcnt lgkmcnt(0)
	v_mul_hi_u32 v0, s5, v19
	v_add_u32_e32 v0, v19, v0
	v_lshrrev_b32_e32 v1, s6, v0
	v_mul_lo_u32 v0, v1, s4
	v_sub_u32_e32 v2, v19, v0
	v_mul_lo_u32 v0, v2, s2
	v_mul_lo_u32 v2, v2, s3
	s_cbranch_scc1 .LBB386_30
; %bb.29:
	s_load_dwordx4 s[4:7], s[34:35], 0x10
	s_load_dwordx2 s[2:3], s[34:35], 0xcc
	s_waitcnt lgkmcnt(0)
	v_mul_hi_u32 v3, s5, v1
	v_add_u32_e32 v3, v1, v3
	v_lshrrev_b32_e32 v3, s6, v3
	v_mul_lo_u32 v3, v3, s4
	v_sub_u32_e32 v3, v1, v3
	v_mad_u64_u32 v[0:1], s[4:5], v3, s2, v[0:1]
	v_mad_u64_u32 v[2:3], s[2:3], v3, s3, v[2:3]
.LBB386_30:
	s_and_b64 vcc, exec, s[0:1]
	v_add_u32_e32 v1, 0x80, v19
	s_cbranch_vccnz .LBB386_36
; %bb.31:
	s_cmp_lg_u32 s33, 0
	s_mov_b32 s26, 0
	s_cbranch_scc0 .LBB386_37
; %bb.32:
	s_min_u32 s27, s58, 15
	s_add_i32 s27, s27, 1
	s_cmp_eq_u32 s58, 2
	s_cbranch_scc1 .LBB386_38
; %bb.33:
	s_and_b32 s26, s27, 28
	s_add_u32 s2, s34, 0xc4
	s_addc_u32 s3, s35, 0
	v_mov_b32_e32 v5, 0
	s_mov_b32 s28, 0
	s_mov_b64 s[24:25], s[34:35]
	v_mov_b32_e32 v3, 0
	v_mov_b32_e32 v4, v1
.LBB386_34:                             ; =>This Inner Loop Header: Depth=1
	s_load_dwordx8 s[12:19], s[24:25], 0x4
	s_load_dwordx4 s[20:23], s[24:25], 0x24
	s_load_dwordx8 s[4:11], s[2:3], 0x0
	s_add_u32 s24, s24, 48
	s_addc_u32 s25, s25, 0
	s_waitcnt lgkmcnt(0)
	v_mul_hi_u32 v6, s13, v4
	s_add_i32 s28, s28, 4
	s_add_u32 s2, s2, 32
	s_addc_u32 s3, s3, 0
	v_add_u32_e32 v6, v4, v6
	v_lshrrev_b32_e32 v6, s14, v6
	v_mul_lo_u32 v7, v6, s12
	v_mul_hi_u32 v8, s16, v6
	s_cmp_lg_u32 s26, s28
	v_sub_u32_e32 v4, v4, v7
	v_add_u32_e32 v7, v6, v8
	v_mul_lo_u32 v8, v4, s4
	v_mul_lo_u32 v9, v4, s5
	v_lshrrev_b32_e32 v4, s17, v7
	v_mul_lo_u32 v7, v4, s15
	v_mul_hi_u32 v10, s19, v4
	v_sub_u32_e32 v6, v6, v7
	v_add_u32_e32 v7, v4, v10
	v_lshrrev_b32_e32 v7, s20, v7
	v_mul_hi_u32 v11, s22, v7
	v_mul_lo_u32 v12, v7, s18
	v_mul_lo_u32 v10, v6, s6
	;; [unrolled: 1-line block ×3, first 2 shown]
	v_sub_u32_e32 v12, v4, v12
	v_add_u32_e32 v4, v7, v11
	v_lshrrev_b32_e32 v4, s23, v4
	v_mul_lo_u32 v11, v4, s21
	v_mul_lo_u32 v13, v12, s8
	;; [unrolled: 1-line block ×3, first 2 shown]
	v_add3_u32 v3, v8, v3, v10
	v_sub_u32_e32 v7, v7, v11
	v_mul_lo_u32 v11, v7, s10
	v_mul_lo_u32 v7, v7, s11
	v_add3_u32 v5, v9, v5, v6
	v_add3_u32 v3, v13, v3, v11
	;; [unrolled: 1-line block ×3, first 2 shown]
	s_cbranch_scc1 .LBB386_34
; %bb.35:
	s_and_b32 s6, s27, 3
	s_cmp_eq_u32 s6, 0
	s_cbranch_scc0 .LBB386_39
	s_branch .LBB386_41
.LBB386_36:
                                        ; implicit-def: $vgpr3
                                        ; implicit-def: $vgpr5
	s_branch .LBB386_42
.LBB386_37:
	v_mov_b32_e32 v3, 0
	v_mov_b32_e32 v5, 0
	s_branch .LBB386_41
.LBB386_38:
	v_mov_b32_e32 v3, 0
	v_mov_b32_e32 v5, 0
	;; [unrolled: 1-line block ×3, first 2 shown]
	s_and_b32 s6, s27, 3
	s_cmp_eq_u32 s6, 0
	s_cbranch_scc1 .LBB386_41
.LBB386_39:
	s_lshl_b32 s2, s26, 3
	s_add_u32 s2, s34, s2
	s_addc_u32 s3, s35, 0
	s_add_u32 s2, s2, 0xc4
	s_addc_u32 s3, s3, 0
	s_mul_i32 s4, s26, 12
	s_add_u32 s4, s34, s4
	s_addc_u32 s5, s35, 0
.LBB386_40:                             ; =>This Inner Loop Header: Depth=1
	s_load_dwordx2 s[8:9], s[4:5], 0x4
	s_load_dword s7, s[4:5], 0xc
	s_load_dwordx2 s[10:11], s[2:3], 0x0
	s_add_u32 s4, s4, 12
	s_addc_u32 s5, s5, 0
	s_waitcnt lgkmcnt(0)
	v_mul_hi_u32 v7, s9, v4
	s_add_u32 s2, s2, 8
	s_addc_u32 s3, s3, 0
	s_add_i32 s6, s6, -1
	v_add_u32_e32 v7, v4, v7
	v_lshrrev_b32_e32 v7, s7, v7
	v_mul_lo_u32 v8, v7, s8
	s_cmp_lg_u32 s6, 0
	v_sub_u32_e32 v8, v4, v8
	v_mad_u64_u32 v[3:4], s[8:9], v8, s10, v[3:4]
	v_mad_u64_u32 v[5:6], s[8:9], v8, s11, v[5:6]
	v_mov_b32_e32 v4, v7
	s_cbranch_scc1 .LBB386_40
.LBB386_41:
	s_cbranch_execnz .LBB386_44
.LBB386_42:
	s_load_dwordx4 s[4:7], s[34:35], 0x4
	s_load_dwordx2 s[2:3], s[34:35], 0xc4
	s_cmp_lt_u32 s33, 2
	s_waitcnt lgkmcnt(0)
	v_mul_hi_u32 v3, s5, v1
	v_add_u32_e32 v3, v1, v3
	v_lshrrev_b32_e32 v4, s6, v3
	v_mul_lo_u32 v3, v4, s4
	v_sub_u32_e32 v1, v1, v3
	v_mul_lo_u32 v3, v1, s2
	v_mul_lo_u32 v5, v1, s3
	s_cbranch_scc1 .LBB386_44
; %bb.43:
	s_load_dwordx4 s[4:7], s[34:35], 0x10
	s_load_dwordx2 s[2:3], s[34:35], 0xcc
	s_waitcnt lgkmcnt(0)
	v_mul_hi_u32 v1, s5, v4
	v_add_u32_e32 v1, v4, v1
	v_lshrrev_b32_e32 v1, s6, v1
	v_mul_lo_u32 v1, v1, s4
	v_sub_u32_e32 v1, v4, v1
	v_mad_u64_u32 v[3:4], s[4:5], v1, s2, v[3:4]
	v_mad_u64_u32 v[5:6], s[2:3], v1, s3, v[5:6]
.LBB386_44:
	s_and_b64 vcc, exec, s[0:1]
	v_add_u32_e32 v1, 0x100, v19
	s_cbranch_vccnz .LBB386_50
; %bb.45:
	s_cmp_lg_u32 s33, 0
	s_mov_b32 s26, 0
	s_cbranch_scc0 .LBB386_51
; %bb.46:
	s_min_u32 s27, s58, 15
	s_add_i32 s27, s27, 1
	s_cmp_eq_u32 s58, 2
	s_cbranch_scc1 .LBB386_52
; %bb.47:
	s_and_b32 s26, s27, 28
	s_add_u32 s2, s34, 0xc4
	s_addc_u32 s3, s35, 0
	v_mov_b32_e32 v8, 0
	s_mov_b32 s28, 0
	s_mov_b64 s[24:25], s[34:35]
	v_mov_b32_e32 v6, 0
	v_mov_b32_e32 v4, v1
.LBB386_48:                             ; =>This Inner Loop Header: Depth=1
	s_load_dwordx8 s[12:19], s[24:25], 0x4
	s_load_dwordx4 s[20:23], s[24:25], 0x24
	s_load_dwordx8 s[4:11], s[2:3], 0x0
	s_add_u32 s24, s24, 48
	s_addc_u32 s25, s25, 0
	s_waitcnt lgkmcnt(0)
	v_mul_hi_u32 v7, s13, v4
	s_add_i32 s28, s28, 4
	s_add_u32 s2, s2, 32
	s_addc_u32 s3, s3, 0
	v_add_u32_e32 v7, v4, v7
	v_lshrrev_b32_e32 v7, s14, v7
	v_mul_lo_u32 v9, v7, s12
	v_mul_hi_u32 v10, s16, v7
	s_cmp_lg_u32 s26, s28
	v_sub_u32_e32 v4, v4, v9
	v_add_u32_e32 v9, v7, v10
	v_mul_lo_u32 v10, v4, s4
	v_mul_lo_u32 v11, v4, s5
	v_lshrrev_b32_e32 v4, s17, v9
	v_mul_lo_u32 v9, v4, s15
	v_mul_hi_u32 v12, s19, v4
	v_sub_u32_e32 v7, v7, v9
	v_add_u32_e32 v9, v4, v12
	v_lshrrev_b32_e32 v9, s20, v9
	v_mul_hi_u32 v13, s22, v9
	v_mul_lo_u32 v14, v9, s18
	v_mul_lo_u32 v12, v7, s6
	;; [unrolled: 1-line block ×3, first 2 shown]
	v_sub_u32_e32 v14, v4, v14
	v_add_u32_e32 v4, v9, v13
	v_lshrrev_b32_e32 v4, s23, v4
	v_mul_lo_u32 v13, v4, s21
	v_mul_lo_u32 v15, v14, s8
	v_mul_lo_u32 v14, v14, s9
	v_add3_u32 v6, v10, v6, v12
	v_sub_u32_e32 v9, v9, v13
	v_mul_lo_u32 v13, v9, s10
	v_mul_lo_u32 v9, v9, s11
	v_add3_u32 v7, v11, v8, v7
	v_add3_u32 v6, v15, v6, v13
	;; [unrolled: 1-line block ×3, first 2 shown]
	s_cbranch_scc1 .LBB386_48
; %bb.49:
	s_and_b32 s6, s27, 3
	s_cmp_eq_u32 s6, 0
	s_cbranch_scc0 .LBB386_53
	s_branch .LBB386_55
.LBB386_50:
                                        ; implicit-def: $vgpr6
                                        ; implicit-def: $vgpr8
	s_branch .LBB386_56
.LBB386_51:
	v_mov_b32_e32 v6, 0
	v_mov_b32_e32 v8, 0
	s_branch .LBB386_55
.LBB386_52:
	v_mov_b32_e32 v6, 0
	v_mov_b32_e32 v8, 0
	;; [unrolled: 1-line block ×3, first 2 shown]
	s_and_b32 s6, s27, 3
	s_cmp_eq_u32 s6, 0
	s_cbranch_scc1 .LBB386_55
.LBB386_53:
	s_lshl_b32 s2, s26, 3
	s_add_u32 s2, s34, s2
	s_addc_u32 s3, s35, 0
	s_add_u32 s2, s2, 0xc4
	s_addc_u32 s3, s3, 0
	s_mul_i32 s4, s26, 12
	s_add_u32 s4, s34, s4
	s_addc_u32 s5, s35, 0
.LBB386_54:                             ; =>This Inner Loop Header: Depth=1
	s_load_dwordx2 s[8:9], s[4:5], 0x4
	s_load_dword s7, s[4:5], 0xc
	s_load_dwordx2 s[10:11], s[2:3], 0x0
	s_add_u32 s4, s4, 12
	s_addc_u32 s5, s5, 0
	s_waitcnt lgkmcnt(0)
	v_mul_hi_u32 v7, s9, v4
	s_add_u32 s2, s2, 8
	s_addc_u32 s3, s3, 0
	s_add_i32 s6, s6, -1
	v_add_u32_e32 v7, v4, v7
	v_lshrrev_b32_e32 v10, s7, v7
	v_mul_lo_u32 v7, v10, s8
	s_cmp_lg_u32 s6, 0
	v_sub_u32_e32 v4, v4, v7
	v_mad_u64_u32 v[6:7], s[8:9], v4, s10, v[6:7]
	v_mad_u64_u32 v[8:9], s[8:9], v4, s11, v[8:9]
	v_mov_b32_e32 v4, v10
	s_cbranch_scc1 .LBB386_54
.LBB386_55:
	s_cbranch_execnz .LBB386_58
.LBB386_56:
	s_load_dwordx4 s[4:7], s[34:35], 0x4
	s_load_dwordx2 s[2:3], s[34:35], 0xc4
	s_cmp_lt_u32 s33, 2
	s_waitcnt lgkmcnt(0)
	v_mul_hi_u32 v4, s5, v1
	v_add_u32_e32 v4, v1, v4
	v_lshrrev_b32_e32 v4, s6, v4
	v_mul_lo_u32 v6, v4, s4
	v_sub_u32_e32 v1, v1, v6
	v_mul_lo_u32 v6, v1, s2
	v_mul_lo_u32 v8, v1, s3
	s_cbranch_scc1 .LBB386_58
; %bb.57:
	s_load_dwordx4 s[4:7], s[34:35], 0x10
	s_load_dwordx2 s[2:3], s[34:35], 0xcc
	s_waitcnt lgkmcnt(0)
	v_mul_hi_u32 v1, s5, v4
	v_add_u32_e32 v1, v4, v1
	v_lshrrev_b32_e32 v1, s6, v1
	v_mul_lo_u32 v1, v1, s4
	v_sub_u32_e32 v1, v4, v1
	v_mad_u64_u32 v[6:7], s[4:5], v1, s2, v[6:7]
	v_mad_u64_u32 v[8:9], s[2:3], v1, s3, v[8:9]
.LBB386_58:
	s_and_b64 vcc, exec, s[0:1]
	v_add_u32_e32 v1, 0x180, v19
	s_cbranch_vccnz .LBB386_64
; %bb.59:
	s_cmp_lg_u32 s33, 0
	s_mov_b32 s26, 0
	s_cbranch_scc0 .LBB386_65
; %bb.60:
	s_min_u32 s27, s58, 15
	s_add_i32 s27, s27, 1
	s_cmp_eq_u32 s58, 2
	s_cbranch_scc1 .LBB386_66
; %bb.61:
	s_and_b32 s26, s27, 28
	s_add_u32 s2, s34, 0xc4
	s_addc_u32 s3, s35, 0
	v_mov_b32_e32 v11, 0
	s_mov_b32 s28, 0
	s_mov_b64 s[24:25], s[34:35]
	v_mov_b32_e32 v9, 0
	v_mov_b32_e32 v4, v1
.LBB386_62:                             ; =>This Inner Loop Header: Depth=1
	s_load_dwordx8 s[12:19], s[24:25], 0x4
	s_load_dwordx4 s[20:23], s[24:25], 0x24
	s_load_dwordx8 s[4:11], s[2:3], 0x0
	s_add_u32 s24, s24, 48
	s_addc_u32 s25, s25, 0
	s_waitcnt lgkmcnt(0)
	v_mul_hi_u32 v7, s13, v4
	s_add_i32 s28, s28, 4
	s_add_u32 s2, s2, 32
	s_addc_u32 s3, s3, 0
	v_add_u32_e32 v7, v4, v7
	v_lshrrev_b32_e32 v7, s14, v7
	v_mul_lo_u32 v10, v7, s12
	v_mul_hi_u32 v12, s16, v7
	s_cmp_lg_u32 s26, s28
	v_sub_u32_e32 v4, v4, v10
	v_add_u32_e32 v10, v7, v12
	v_mul_lo_u32 v12, v4, s4
	v_mul_lo_u32 v13, v4, s5
	v_lshrrev_b32_e32 v4, s17, v10
	v_mul_lo_u32 v10, v4, s15
	v_mul_hi_u32 v14, s19, v4
	v_sub_u32_e32 v7, v7, v10
	v_add_u32_e32 v10, v4, v14
	v_lshrrev_b32_e32 v10, s20, v10
	v_mul_hi_u32 v15, s22, v10
	v_mul_lo_u32 v16, v10, s18
	v_mul_lo_u32 v14, v7, s6
	;; [unrolled: 1-line block ×3, first 2 shown]
	v_sub_u32_e32 v16, v4, v16
	v_add_u32_e32 v4, v10, v15
	v_lshrrev_b32_e32 v4, s23, v4
	v_mul_lo_u32 v15, v4, s21
	v_mul_lo_u32 v17, v16, s8
	;; [unrolled: 1-line block ×3, first 2 shown]
	v_add3_u32 v9, v12, v9, v14
	v_sub_u32_e32 v10, v10, v15
	v_mul_lo_u32 v15, v10, s10
	v_mul_lo_u32 v10, v10, s11
	v_add3_u32 v7, v13, v11, v7
	v_add3_u32 v9, v17, v9, v15
	;; [unrolled: 1-line block ×3, first 2 shown]
	s_cbranch_scc1 .LBB386_62
; %bb.63:
	s_and_b32 s6, s27, 3
	s_cmp_eq_u32 s6, 0
	s_cbranch_scc0 .LBB386_67
	s_branch .LBB386_69
.LBB386_64:
                                        ; implicit-def: $vgpr9
                                        ; implicit-def: $vgpr11
	s_branch .LBB386_70
.LBB386_65:
	v_mov_b32_e32 v9, 0
	v_mov_b32_e32 v11, 0
	s_branch .LBB386_69
.LBB386_66:
	v_mov_b32_e32 v9, 0
	v_mov_b32_e32 v11, 0
	;; [unrolled: 1-line block ×3, first 2 shown]
	s_and_b32 s6, s27, 3
	s_cmp_eq_u32 s6, 0
	s_cbranch_scc1 .LBB386_69
.LBB386_67:
	s_lshl_b32 s2, s26, 3
	s_add_u32 s2, s34, s2
	s_addc_u32 s3, s35, 0
	s_add_u32 s2, s2, 0xc4
	s_addc_u32 s3, s3, 0
	s_mul_i32 s4, s26, 12
	s_add_u32 s4, s34, s4
	s_addc_u32 s5, s35, 0
.LBB386_68:                             ; =>This Inner Loop Header: Depth=1
	s_load_dwordx2 s[8:9], s[4:5], 0x4
	s_load_dword s7, s[4:5], 0xc
	s_load_dwordx2 s[10:11], s[2:3], 0x0
	s_add_u32 s4, s4, 12
	s_addc_u32 s5, s5, 0
	s_waitcnt lgkmcnt(0)
	v_mul_hi_u32 v7, s9, v4
	s_add_u32 s2, s2, 8
	s_addc_u32 s3, s3, 0
	s_add_i32 s6, s6, -1
	v_add_u32_e32 v7, v4, v7
	v_lshrrev_b32_e32 v7, s7, v7
	v_mul_lo_u32 v10, v7, s8
	s_cmp_lg_u32 s6, 0
	v_sub_u32_e32 v4, v4, v10
	v_mad_u64_u32 v[9:10], s[8:9], v4, s10, v[9:10]
	v_mad_u64_u32 v[11:12], s[8:9], v4, s11, v[11:12]
	v_mov_b32_e32 v4, v7
	s_cbranch_scc1 .LBB386_68
.LBB386_69:
	s_cbranch_execnz .LBB386_72
.LBB386_70:
	s_load_dwordx4 s[4:7], s[34:35], 0x4
	s_load_dwordx2 s[2:3], s[34:35], 0xc4
	s_cmp_lt_u32 s33, 2
	s_waitcnt lgkmcnt(0)
	v_mul_hi_u32 v4, s5, v1
	v_add_u32_e32 v4, v1, v4
	v_lshrrev_b32_e32 v4, s6, v4
	v_mul_lo_u32 v7, v4, s4
	v_sub_u32_e32 v1, v1, v7
	v_mul_lo_u32 v9, v1, s2
	v_mul_lo_u32 v11, v1, s3
	s_cbranch_scc1 .LBB386_72
; %bb.71:
	s_load_dwordx4 s[4:7], s[34:35], 0x10
	s_load_dwordx2 s[2:3], s[34:35], 0xcc
	s_waitcnt lgkmcnt(0)
	v_mul_hi_u32 v1, s5, v4
	v_add_u32_e32 v1, v4, v1
	v_lshrrev_b32_e32 v1, s6, v1
	v_mul_lo_u32 v1, v1, s4
	v_sub_u32_e32 v1, v4, v1
	v_mad_u64_u32 v[9:10], s[4:5], v1, s2, v[9:10]
	v_mad_u64_u32 v[11:12], s[2:3], v1, s3, v[11:12]
.LBB386_72:
	s_and_b64 vcc, exec, s[0:1]
	v_add_u32_e32 v1, 0x200, v19
	s_cbranch_vccnz .LBB386_78
; %bb.73:
	s_cmp_lg_u32 s33, 0
	s_mov_b32 s26, 0
	s_cbranch_scc0 .LBB386_79
; %bb.74:
	s_min_u32 s27, s58, 15
	s_add_i32 s27, s27, 1
	s_cmp_eq_u32 s58, 2
	s_cbranch_scc1 .LBB386_80
; %bb.75:
	s_and_b32 s26, s27, 28
	s_add_u32 s2, s34, 0xc4
	s_addc_u32 s3, s35, 0
	v_mov_b32_e32 v14, 0
	s_mov_b32 s28, 0
	s_mov_b64 s[24:25], s[34:35]
	v_mov_b32_e32 v12, 0
	v_mov_b32_e32 v4, v1
.LBB386_76:                             ; =>This Inner Loop Header: Depth=1
	s_load_dwordx8 s[12:19], s[24:25], 0x4
	s_load_dwordx4 s[20:23], s[24:25], 0x24
	s_load_dwordx8 s[4:11], s[2:3], 0x0
	s_add_u32 s24, s24, 48
	s_addc_u32 s25, s25, 0
	s_waitcnt lgkmcnt(0)
	v_mul_hi_u32 v7, s13, v4
	s_add_i32 s28, s28, 4
	s_add_u32 s2, s2, 32
	s_addc_u32 s3, s3, 0
	v_add_u32_e32 v7, v4, v7
	v_lshrrev_b32_e32 v7, s14, v7
	v_mul_lo_u32 v10, v7, s12
	v_mul_hi_u32 v13, s16, v7
	s_cmp_lg_u32 s26, s28
	v_sub_u32_e32 v4, v4, v10
	v_add_u32_e32 v10, v7, v13
	v_mul_lo_u32 v13, v4, s4
	v_mul_lo_u32 v15, v4, s5
	v_lshrrev_b32_e32 v4, s17, v10
	v_mul_lo_u32 v10, v4, s15
	v_mul_hi_u32 v16, s19, v4
	v_sub_u32_e32 v7, v7, v10
	v_add_u32_e32 v10, v4, v16
	v_lshrrev_b32_e32 v10, s20, v10
	v_mul_hi_u32 v17, s22, v10
	v_mul_lo_u32 v18, v10, s18
	v_mul_lo_u32 v16, v7, s6
	;; [unrolled: 1-line block ×3, first 2 shown]
	v_sub_u32_e32 v18, v4, v18
	v_add_u32_e32 v4, v10, v17
	v_lshrrev_b32_e32 v4, s23, v4
	v_mul_lo_u32 v17, v4, s21
	v_mul_lo_u32 v20, v18, s8
	;; [unrolled: 1-line block ×3, first 2 shown]
	v_add3_u32 v12, v13, v12, v16
	v_sub_u32_e32 v10, v10, v17
	v_mul_lo_u32 v17, v10, s10
	v_mul_lo_u32 v10, v10, s11
	v_add3_u32 v7, v15, v14, v7
	v_add3_u32 v12, v20, v12, v17
	;; [unrolled: 1-line block ×3, first 2 shown]
	s_cbranch_scc1 .LBB386_76
; %bb.77:
	s_and_b32 s6, s27, 3
	s_cmp_eq_u32 s6, 0
	s_cbranch_scc0 .LBB386_81
	s_branch .LBB386_83
.LBB386_78:
                                        ; implicit-def: $vgpr12
                                        ; implicit-def: $vgpr14
	s_branch .LBB386_84
.LBB386_79:
	v_mov_b32_e32 v12, 0
	v_mov_b32_e32 v14, 0
	s_branch .LBB386_83
.LBB386_80:
	v_mov_b32_e32 v12, 0
	v_mov_b32_e32 v14, 0
	;; [unrolled: 1-line block ×3, first 2 shown]
	s_and_b32 s6, s27, 3
	s_cmp_eq_u32 s6, 0
	s_cbranch_scc1 .LBB386_83
.LBB386_81:
	s_lshl_b32 s2, s26, 3
	s_add_u32 s2, s34, s2
	s_addc_u32 s3, s35, 0
	s_add_u32 s2, s2, 0xc4
	s_addc_u32 s3, s3, 0
	s_mul_i32 s4, s26, 12
	s_add_u32 s4, s34, s4
	s_addc_u32 s5, s35, 0
.LBB386_82:                             ; =>This Inner Loop Header: Depth=1
	s_load_dwordx2 s[8:9], s[4:5], 0x4
	s_load_dword s7, s[4:5], 0xc
	s_load_dwordx2 s[10:11], s[2:3], 0x0
	s_add_u32 s4, s4, 12
	s_addc_u32 s5, s5, 0
	s_waitcnt lgkmcnt(0)
	v_mul_hi_u32 v7, s9, v4
	s_add_u32 s2, s2, 8
	s_addc_u32 s3, s3, 0
	s_add_i32 s6, s6, -1
	v_add_u32_e32 v7, v4, v7
	v_lshrrev_b32_e32 v7, s7, v7
	v_mul_lo_u32 v10, v7, s8
	s_cmp_lg_u32 s6, 0
	v_sub_u32_e32 v4, v4, v10
	v_mad_u64_u32 v[12:13], s[8:9], v4, s10, v[12:13]
	v_mad_u64_u32 v[14:15], s[8:9], v4, s11, v[14:15]
	v_mov_b32_e32 v4, v7
	s_cbranch_scc1 .LBB386_82
.LBB386_83:
	s_cbranch_execnz .LBB386_86
.LBB386_84:
	s_load_dwordx4 s[4:7], s[34:35], 0x4
	s_load_dwordx2 s[2:3], s[34:35], 0xc4
	s_cmp_lt_u32 s33, 2
	s_waitcnt lgkmcnt(0)
	v_mul_hi_u32 v4, s5, v1
	v_add_u32_e32 v4, v1, v4
	v_lshrrev_b32_e32 v4, s6, v4
	v_mul_lo_u32 v7, v4, s4
	v_sub_u32_e32 v1, v1, v7
	v_mul_lo_u32 v12, v1, s2
	v_mul_lo_u32 v14, v1, s3
	s_cbranch_scc1 .LBB386_86
; %bb.85:
	s_load_dwordx4 s[4:7], s[34:35], 0x10
	s_load_dwordx2 s[2:3], s[34:35], 0xcc
	s_waitcnt lgkmcnt(0)
	v_mul_hi_u32 v1, s5, v4
	v_add_u32_e32 v1, v4, v1
	v_lshrrev_b32_e32 v1, s6, v1
	v_mul_lo_u32 v1, v1, s4
	v_sub_u32_e32 v1, v4, v1
	v_mad_u64_u32 v[12:13], s[4:5], v1, s2, v[12:13]
	v_mad_u64_u32 v[14:15], s[2:3], v1, s3, v[14:15]
.LBB386_86:
	s_and_b64 vcc, exec, s[0:1]
	v_add_u32_e32 v1, 0x280, v19
	s_cbranch_vccnz .LBB386_92
; %bb.87:
	s_cmp_lg_u32 s33, 0
	s_mov_b32 s26, 0
	s_cbranch_scc0 .LBB386_93
; %bb.88:
	s_min_u32 s27, s58, 15
	s_add_i32 s27, s27, 1
	s_cmp_eq_u32 s58, 2
	s_cbranch_scc1 .LBB386_94
; %bb.89:
	s_and_b32 s26, s27, 28
	s_add_u32 s2, s34, 0xc4
	s_addc_u32 s3, s35, 0
	v_mov_b32_e32 v17, 0
	s_mov_b32 s28, 0
	s_mov_b64 s[24:25], s[34:35]
	v_mov_b32_e32 v15, 0
	v_mov_b32_e32 v4, v1
.LBB386_90:                             ; =>This Inner Loop Header: Depth=1
	s_load_dwordx8 s[12:19], s[24:25], 0x4
	s_load_dwordx4 s[20:23], s[24:25], 0x24
	s_load_dwordx8 s[4:11], s[2:3], 0x0
	s_add_u32 s24, s24, 48
	s_addc_u32 s25, s25, 0
	s_waitcnt lgkmcnt(0)
	v_mul_hi_u32 v7, s13, v4
	s_add_i32 s28, s28, 4
	s_add_u32 s2, s2, 32
	s_addc_u32 s3, s3, 0
	v_add_u32_e32 v7, v4, v7
	v_lshrrev_b32_e32 v7, s14, v7
	v_mul_lo_u32 v10, v7, s12
	v_mul_hi_u32 v13, s16, v7
	s_cmp_lg_u32 s26, s28
	v_sub_u32_e32 v4, v4, v10
	v_add_u32_e32 v10, v7, v13
	v_mul_lo_u32 v13, v4, s4
	v_mul_lo_u32 v16, v4, s5
	v_lshrrev_b32_e32 v4, s17, v10
	v_mul_lo_u32 v10, v4, s15
	v_mul_hi_u32 v18, s19, v4
	v_sub_u32_e32 v7, v7, v10
	v_add_u32_e32 v10, v4, v18
	v_lshrrev_b32_e32 v10, s20, v10
	v_mul_hi_u32 v20, s22, v10
	v_mul_lo_u32 v21, v10, s18
	v_mul_lo_u32 v18, v7, s6
	;; [unrolled: 1-line block ×3, first 2 shown]
	v_sub_u32_e32 v21, v4, v21
	v_add_u32_e32 v4, v10, v20
	v_lshrrev_b32_e32 v4, s23, v4
	v_mul_lo_u32 v20, v4, s21
	v_mul_lo_u32 v22, v21, s8
	v_mul_lo_u32 v21, v21, s9
	v_add3_u32 v13, v13, v15, v18
	v_sub_u32_e32 v10, v10, v20
	v_mul_lo_u32 v20, v10, s10
	v_mul_lo_u32 v10, v10, s11
	v_add3_u32 v7, v16, v17, v7
	v_add3_u32 v15, v22, v13, v20
	;; [unrolled: 1-line block ×3, first 2 shown]
	s_cbranch_scc1 .LBB386_90
; %bb.91:
	s_and_b32 s6, s27, 3
	s_cmp_eq_u32 s6, 0
	s_cbranch_scc0 .LBB386_95
	s_branch .LBB386_97
.LBB386_92:
                                        ; implicit-def: $vgpr15
                                        ; implicit-def: $vgpr17
	s_branch .LBB386_98
.LBB386_93:
	v_mov_b32_e32 v15, 0
	v_mov_b32_e32 v17, 0
	s_branch .LBB386_97
.LBB386_94:
	v_mov_b32_e32 v15, 0
	v_mov_b32_e32 v17, 0
	;; [unrolled: 1-line block ×3, first 2 shown]
	s_and_b32 s6, s27, 3
	s_cmp_eq_u32 s6, 0
	s_cbranch_scc1 .LBB386_97
.LBB386_95:
	s_lshl_b32 s2, s26, 3
	s_add_u32 s2, s34, s2
	s_addc_u32 s3, s35, 0
	s_add_u32 s2, s2, 0xc4
	s_addc_u32 s3, s3, 0
	s_mul_i32 s4, s26, 12
	s_add_u32 s4, s34, s4
	s_addc_u32 s5, s35, 0
.LBB386_96:                             ; =>This Inner Loop Header: Depth=1
	s_load_dwordx2 s[8:9], s[4:5], 0x4
	s_load_dword s7, s[4:5], 0xc
	s_load_dwordx2 s[10:11], s[2:3], 0x0
	s_add_u32 s4, s4, 12
	s_addc_u32 s5, s5, 0
	s_waitcnt lgkmcnt(0)
	v_mul_hi_u32 v7, s9, v4
	s_add_u32 s2, s2, 8
	s_addc_u32 s3, s3, 0
	s_add_i32 s6, s6, -1
	v_add_u32_e32 v7, v4, v7
	v_lshrrev_b32_e32 v7, s7, v7
	v_mul_lo_u32 v10, v7, s8
	s_cmp_lg_u32 s6, 0
	v_sub_u32_e32 v4, v4, v10
	v_mad_u64_u32 v[15:16], s[8:9], v4, s10, v[15:16]
	v_mad_u64_u32 v[17:18], s[8:9], v4, s11, v[17:18]
	v_mov_b32_e32 v4, v7
	s_cbranch_scc1 .LBB386_96
.LBB386_97:
	s_cbranch_execnz .LBB386_100
.LBB386_98:
	s_load_dwordx4 s[4:7], s[34:35], 0x4
	s_load_dwordx2 s[2:3], s[34:35], 0xc4
	s_cmp_lt_u32 s33, 2
	s_waitcnt lgkmcnt(0)
	v_mul_hi_u32 v4, s5, v1
	v_add_u32_e32 v4, v1, v4
	v_lshrrev_b32_e32 v4, s6, v4
	v_mul_lo_u32 v7, v4, s4
	v_sub_u32_e32 v1, v1, v7
	v_mul_lo_u32 v15, v1, s2
	v_mul_lo_u32 v17, v1, s3
	s_cbranch_scc1 .LBB386_100
; %bb.99:
	s_load_dwordx4 s[4:7], s[34:35], 0x10
	s_load_dwordx2 s[2:3], s[34:35], 0xcc
	s_waitcnt lgkmcnt(0)
	v_mul_hi_u32 v1, s5, v4
	v_add_u32_e32 v1, v4, v1
	v_lshrrev_b32_e32 v1, s6, v1
	v_mul_lo_u32 v1, v1, s4
	v_sub_u32_e32 v1, v4, v1
	v_mad_u64_u32 v[15:16], s[4:5], v1, s2, v[15:16]
	v_mad_u64_u32 v[17:18], s[2:3], v1, s3, v[17:18]
.LBB386_100:
	s_and_b64 vcc, exec, s[0:1]
	v_add_u32_e32 v1, 0x300, v19
	s_cbranch_vccnz .LBB386_106
; %bb.101:
	s_cmp_lg_u32 s33, 0
	s_mov_b32 s26, 0
	s_cbranch_scc0 .LBB386_107
; %bb.102:
	s_min_u32 s27, s58, 15
	s_add_i32 s27, s27, 1
	s_cmp_eq_u32 s58, 2
	s_cbranch_scc1 .LBB386_108
; %bb.103:
	s_and_b32 s26, s27, 28
	s_add_u32 s2, s34, 0xc4
	s_addc_u32 s3, s35, 0
	v_mov_b32_e32 v20, 0
	s_mov_b32 s28, 0
	s_mov_b64 s[24:25], s[34:35]
	v_mov_b32_e32 v18, 0
	v_mov_b32_e32 v4, v1
.LBB386_104:                            ; =>This Inner Loop Header: Depth=1
	s_load_dwordx8 s[12:19], s[24:25], 0x4
	s_load_dwordx4 s[20:23], s[24:25], 0x24
	s_load_dwordx8 s[4:11], s[2:3], 0x0
	s_add_u32 s24, s24, 48
	s_addc_u32 s25, s25, 0
	s_waitcnt lgkmcnt(0)
	v_mul_hi_u32 v7, s13, v4
	s_add_i32 s28, s28, 4
	s_add_u32 s2, s2, 32
	s_addc_u32 s3, s3, 0
	v_add_u32_e32 v7, v4, v7
	v_lshrrev_b32_e32 v7, s14, v7
	v_mul_lo_u32 v10, v7, s12
	v_mul_hi_u32 v13, s16, v7
	s_cmp_lg_u32 s26, s28
	v_sub_u32_e32 v4, v4, v10
	v_add_u32_e32 v10, v7, v13
	v_mul_lo_u32 v13, v4, s4
	v_mul_lo_u32 v16, v4, s5
	v_lshrrev_b32_e32 v4, s17, v10
	v_mul_lo_u32 v10, v4, s15
	v_mul_hi_u32 v19, s19, v4
	v_sub_u32_e32 v7, v7, v10
	v_add_u32_e32 v10, v4, v19
	v_lshrrev_b32_e32 v10, s20, v10
	v_mul_hi_u32 v21, s22, v10
	v_mul_lo_u32 v22, v10, s18
	v_mul_lo_u32 v19, v7, s6
	;; [unrolled: 1-line block ×3, first 2 shown]
	v_sub_u32_e32 v22, v4, v22
	v_add_u32_e32 v4, v10, v21
	v_lshrrev_b32_e32 v4, s23, v4
	v_mul_lo_u32 v21, v4, s21
	v_mul_lo_u32 v23, v22, s8
	;; [unrolled: 1-line block ×3, first 2 shown]
	v_add3_u32 v13, v13, v18, v19
	v_sub_u32_e32 v10, v10, v21
	v_mul_lo_u32 v21, v10, s10
	v_mul_lo_u32 v10, v10, s11
	v_add3_u32 v7, v16, v20, v7
	v_add3_u32 v18, v23, v13, v21
	;; [unrolled: 1-line block ×3, first 2 shown]
	s_cbranch_scc1 .LBB386_104
; %bb.105:
	s_and_b32 s6, s27, 3
	s_cmp_eq_u32 s6, 0
	s_cbranch_scc0 .LBB386_109
	s_branch .LBB386_111
.LBB386_106:
                                        ; implicit-def: $vgpr18
                                        ; implicit-def: $vgpr20
	s_branch .LBB386_112
.LBB386_107:
	v_mov_b32_e32 v18, 0
	v_mov_b32_e32 v20, 0
	s_branch .LBB386_111
.LBB386_108:
	v_mov_b32_e32 v18, 0
	v_mov_b32_e32 v20, 0
	;; [unrolled: 1-line block ×3, first 2 shown]
	s_and_b32 s6, s27, 3
	s_cmp_eq_u32 s6, 0
	s_cbranch_scc1 .LBB386_111
.LBB386_109:
	s_lshl_b32 s2, s26, 3
	s_add_u32 s2, s34, s2
	s_addc_u32 s3, s35, 0
	s_add_u32 s2, s2, 0xc4
	s_addc_u32 s3, s3, 0
	s_mul_i32 s4, s26, 12
	s_add_u32 s4, s34, s4
	s_addc_u32 s5, s35, 0
.LBB386_110:                            ; =>This Inner Loop Header: Depth=1
	s_load_dwordx2 s[8:9], s[4:5], 0x4
	s_load_dword s7, s[4:5], 0xc
	s_load_dwordx2 s[10:11], s[2:3], 0x0
	s_add_u32 s4, s4, 12
	s_addc_u32 s5, s5, 0
	s_waitcnt lgkmcnt(0)
	v_mul_hi_u32 v7, s9, v4
	s_add_u32 s2, s2, 8
	s_addc_u32 s3, s3, 0
	s_add_i32 s6, s6, -1
	v_add_u32_e32 v7, v4, v7
	v_lshrrev_b32_e32 v7, s7, v7
	v_mul_lo_u32 v10, v7, s8
	s_cmp_lg_u32 s6, 0
	v_sub_u32_e32 v4, v4, v10
	v_mad_u64_u32 v[18:19], s[8:9], v4, s10, v[18:19]
	v_mad_u64_u32 v[20:21], s[8:9], v4, s11, v[20:21]
	v_mov_b32_e32 v4, v7
	s_cbranch_scc1 .LBB386_110
.LBB386_111:
	s_cbranch_execnz .LBB386_114
.LBB386_112:
	s_load_dwordx4 s[4:7], s[34:35], 0x4
	s_load_dwordx2 s[2:3], s[34:35], 0xc4
	s_cmp_lt_u32 s33, 2
	s_waitcnt lgkmcnt(0)
	v_mul_hi_u32 v4, s5, v1
	v_add_u32_e32 v4, v1, v4
	v_lshrrev_b32_e32 v4, s6, v4
	v_mul_lo_u32 v7, v4, s4
	v_sub_u32_e32 v1, v1, v7
	v_mul_lo_u32 v18, v1, s2
	v_mul_lo_u32 v20, v1, s3
	s_cbranch_scc1 .LBB386_114
; %bb.113:
	s_load_dwordx4 s[4:7], s[34:35], 0x10
	s_load_dwordx2 s[2:3], s[34:35], 0xcc
	s_waitcnt lgkmcnt(0)
	v_mul_hi_u32 v1, s5, v4
	v_add_u32_e32 v1, v4, v1
	v_lshrrev_b32_e32 v1, s6, v1
	v_mul_lo_u32 v1, v1, s4
	v_sub_u32_e32 v1, v4, v1
	v_mad_u64_u32 v[18:19], s[4:5], v1, s2, v[18:19]
	v_mad_u64_u32 v[20:21], s[2:3], v1, s3, v[20:21]
.LBB386_114:
	s_and_b64 vcc, exec, s[0:1]
	s_cbranch_vccnz .LBB386_120
; %bb.115:
	s_cmp_lg_u32 s33, 0
	s_mov_b32 s24, 0
	s_cbranch_scc0 .LBB386_121
; %bb.116:
	s_min_u32 s25, s58, 15
	s_add_i32 s25, s25, 1
	s_cmp_eq_u32 s58, 2
	s_cbranch_scc1 .LBB386_122
; %bb.117:
	s_and_b32 s24, s25, 28
	s_add_u32 s20, s34, 0xc4
	s_addc_u32 s21, s35, 0
	v_mov_b32_e32 v23, 0
	s_mov_b32 s26, 0
	s_mov_b64 s[22:23], s[34:35]
	v_mov_b32_e32 v21, 0
	v_mov_b32_e32 v1, v25
.LBB386_118:                            ; =>This Inner Loop Header: Depth=1
	s_load_dwordx8 s[8:15], s[22:23], 0x4
	s_load_dwordx4 s[16:19], s[22:23], 0x24
	s_load_dwordx8 s[0:7], s[20:21], 0x0
	s_add_u32 s22, s22, 48
	s_addc_u32 s23, s23, 0
	s_waitcnt lgkmcnt(0)
	v_mul_hi_u32 v4, s9, v1
	s_add_i32 s26, s26, 4
	s_add_u32 s20, s20, 32
	s_addc_u32 s21, s21, 0
	v_add_u32_e32 v4, v1, v4
	v_lshrrev_b32_e32 v4, s10, v4
	v_mul_lo_u32 v7, v4, s8
	v_mul_hi_u32 v10, s12, v4
	s_cmp_lg_u32 s24, s26
	v_sub_u32_e32 v1, v1, v7
	v_add_u32_e32 v7, v4, v10
	v_mul_lo_u32 v10, v1, s0
	v_mul_lo_u32 v13, v1, s1
	v_lshrrev_b32_e32 v1, s13, v7
	v_mul_lo_u32 v7, v1, s11
	v_mul_hi_u32 v16, s15, v1
	v_sub_u32_e32 v4, v4, v7
	v_add_u32_e32 v7, v1, v16
	v_lshrrev_b32_e32 v7, s16, v7
	v_mul_hi_u32 v19, s18, v7
	v_mul_lo_u32 v22, v7, s14
	v_mul_lo_u32 v16, v4, s2
	;; [unrolled: 1-line block ×3, first 2 shown]
	v_sub_u32_e32 v22, v1, v22
	v_add_u32_e32 v1, v7, v19
	v_lshrrev_b32_e32 v1, s19, v1
	v_mul_lo_u32 v19, v1, s17
	v_mul_lo_u32 v24, v22, s4
	;; [unrolled: 1-line block ×3, first 2 shown]
	v_add3_u32 v10, v10, v21, v16
	v_sub_u32_e32 v7, v7, v19
	v_mul_lo_u32 v19, v7, s6
	v_mul_lo_u32 v7, v7, s7
	v_add3_u32 v4, v13, v23, v4
	v_add3_u32 v21, v24, v10, v19
	;; [unrolled: 1-line block ×3, first 2 shown]
	s_cbranch_scc1 .LBB386_118
; %bb.119:
	s_and_b32 s4, s25, 3
	s_cmp_eq_u32 s4, 0
	s_cbranch_scc0 .LBB386_123
	s_branch .LBB386_125
.LBB386_120:
                                        ; implicit-def: $vgpr21
                                        ; implicit-def: $vgpr23
	s_branch .LBB386_126
.LBB386_121:
	v_mov_b32_e32 v21, 0
	v_mov_b32_e32 v23, 0
	s_branch .LBB386_125
.LBB386_122:
	v_mov_b32_e32 v21, 0
	v_mov_b32_e32 v23, 0
	v_mov_b32_e32 v1, v25
	s_and_b32 s4, s25, 3
	s_cmp_eq_u32 s4, 0
	s_cbranch_scc1 .LBB386_125
.LBB386_123:
	s_lshl_b32 s0, s24, 3
	s_add_u32 s0, s34, s0
	s_addc_u32 s1, s35, 0
	s_add_u32 s0, s0, 0xc4
	s_addc_u32 s1, s1, 0
	s_mul_i32 s2, s24, 12
	s_add_u32 s2, s34, s2
	s_addc_u32 s3, s35, 0
.LBB386_124:                            ; =>This Inner Loop Header: Depth=1
	s_load_dwordx2 s[6:7], s[2:3], 0x4
	s_load_dword s5, s[2:3], 0xc
	s_load_dwordx2 s[8:9], s[0:1], 0x0
	s_add_u32 s2, s2, 12
	s_addc_u32 s3, s3, 0
	s_waitcnt lgkmcnt(0)
	v_mul_hi_u32 v4, s7, v1
	s_add_u32 s0, s0, 8
	s_addc_u32 s1, s1, 0
	s_add_i32 s4, s4, -1
	v_add_u32_e32 v4, v1, v4
	v_lshrrev_b32_e32 v4, s5, v4
	v_mul_lo_u32 v7, v4, s6
	s_cmp_lg_u32 s4, 0
	v_sub_u32_e32 v1, v1, v7
	v_mad_u64_u32 v[21:22], s[6:7], v1, s8, v[21:22]
	v_mad_u64_u32 v[23:24], s[6:7], v1, s9, v[23:24]
	v_mov_b32_e32 v1, v4
	s_cbranch_scc1 .LBB386_124
.LBB386_125:
	s_cbranch_execnz .LBB386_128
.LBB386_126:
	s_load_dwordx4 s[0:3], s[34:35], 0x4
	s_load_dwordx2 s[4:5], s[34:35], 0xc4
	s_cmp_lt_u32 s33, 2
	s_waitcnt lgkmcnt(0)
	v_mul_hi_u32 v1, s1, v25
	v_add_u32_e32 v1, v25, v1
	v_lshrrev_b32_e32 v1, s2, v1
	v_mul_lo_u32 v4, v1, s0
	v_sub_u32_e32 v4, v25, v4
	v_mul_lo_u32 v21, v4, s4
	v_mul_lo_u32 v23, v4, s5
	s_cbranch_scc1 .LBB386_128
; %bb.127:
	s_load_dwordx4 s[0:3], s[34:35], 0x10
	s_load_dwordx2 s[4:5], s[34:35], 0xcc
	s_waitcnt lgkmcnt(0)
	v_mul_hi_u32 v4, s1, v1
	v_add_u32_e32 v4, v1, v4
	v_lshrrev_b32_e32 v4, s2, v4
	v_mul_lo_u32 v4, v4, s0
	v_sub_u32_e32 v1, v1, v4
	v_mad_u64_u32 v[21:22], s[0:1], v1, s4, v[21:22]
	v_mad_u64_u32 v[23:24], s[0:1], v1, s5, v[23:24]
.LBB386_128:
	s_load_dwordx4 s[16:19], s[34:35], 0x148
	s_load_dwordx2 s[0:1], s[34:35], 0x158
	s_waitcnt lgkmcnt(0)
	global_load_ubyte v1, v2, s[18:19]
	global_load_ubyte v4, v5, s[18:19]
	;; [unrolled: 1-line block ×8, first 2 shown]
	s_and_b32 s12, s1, 0xff
	s_cmp_eq_u32 s0, 0
	s_cselect_b64 s[14:15], -1, 0
	s_waitcnt vmcnt(7)
	v_cmp_ne_u16_e32 vcc, s12, v1
	s_waitcnt vmcnt(6)
	v_cmp_ne_u16_e64 s[0:1], s12, v4
	s_waitcnt vmcnt(5)
	v_cmp_ne_u16_e64 s[2:3], s12, v7
	s_xor_b64 s[0:1], s[14:15], s[0:1]
	s_waitcnt vmcnt(4)
	v_cmp_ne_u16_e64 s[4:5], s12, v10
	v_cndmask_b32_e64 v2, 0, 1, s[0:1]
	s_xor_b64 s[0:1], s[14:15], s[2:3]
	s_waitcnt vmcnt(3)
	v_cmp_ne_u16_e64 s[6:7], s12, v13
	v_cndmask_b32_e64 v4, 0, 1, s[0:1]
	;; [unrolled: 4-line block ×4, first 2 shown]
	s_xor_b64 s[0:1], s[14:15], s[8:9]
	s_waitcnt vmcnt(0)
	v_cmp_ne_u16_e64 s[12:13], s12, v22
	s_xor_b64 s[18:19], s[14:15], vcc
	v_cndmask_b32_e64 v8, 0, 1, s[0:1]
	s_xor_b64 s[0:1], s[14:15], s[10:11]
	v_cndmask_b32_e64 v1, 0, 1, s[18:19]
	v_cndmask_b32_e64 v10, 0, 1, s[0:1]
	s_xor_b64 s[0:1], s[14:15], s[12:13]
	v_cndmask_b32_e64 v11, 0, 1, s[0:1]
	global_store_byte v0, v1, s[16:17]
	global_store_byte v3, v2, s[16:17]
	;; [unrolled: 1-line block ×8, first 2 shown]
	s_endpgm
.LBB386_129:
	v_mov_b32_e32 v0, 0
	v_mov_b32_e32 v2, 0
	s_branch .LBB386_135
.LBB386_130:
	v_mov_b32_e32 v0, 0
	v_mov_b32_e32 v2, 0
	s_branch .LBB386_151
.LBB386_131:
	s_mov_b32 s40, 0
	v_mov_b32_e32 v0, 0
	v_mov_b32_e32 v2, 0
	;; [unrolled: 1-line block ×3, first 2 shown]
.LBB386_132:
	s_and_b32 s4, s61, 3
	s_cmp_eq_u32 s4, 0
	s_cbranch_scc1 .LBB386_135
; %bb.133:
	s_lshl_b32 s0, s40, 3
	s_add_u32 s0, s34, s0
	s_addc_u32 s1, s35, 0
	s_add_u32 s0, s0, 0xc4
	s_addc_u32 s1, s1, 0
	s_mul_i32 s2, s40, 12
	s_add_u32 s2, s34, s2
	s_addc_u32 s3, s35, 0
.LBB386_134:                            ; =>This Inner Loop Header: Depth=1
	s_load_dwordx2 s[6:7], s[2:3], 0x4
	s_load_dword s5, s[2:3], 0xc
	s_load_dwordx2 s[8:9], s[0:1], 0x0
	s_add_u32 s2, s2, 12
	s_addc_u32 s3, s3, 0
	s_waitcnt lgkmcnt(0)
	v_mul_hi_u32 v3, s7, v1
	s_add_u32 s0, s0, 8
	s_addc_u32 s1, s1, 0
	s_add_i32 s4, s4, -1
	v_add_u32_e32 v3, v1, v3
	v_lshrrev_b32_e32 v4, s5, v3
	v_mul_lo_u32 v3, v4, s6
	s_cmp_lg_u32 s4, 0
	v_sub_u32_e32 v3, v1, v3
	v_mad_u64_u32 v[0:1], s[6:7], v3, s8, v[0:1]
	v_mad_u64_u32 v[2:3], s[6:7], v3, s9, v[2:3]
	v_mov_b32_e32 v1, v4
	s_cbranch_scc1 .LBB386_134
.LBB386_135:
	s_cbranch_execnz .LBB386_138
.LBB386_136:
	v_mul_hi_u32 v0, s21, v19
	s_andn2_b64 vcc, exec, s[46:47]
	v_add_u32_e32 v0, v19, v0
	v_lshrrev_b32_e32 v1, s22, v0
	v_mul_lo_u32 v0, v1, s20
	v_sub_u32_e32 v2, v19, v0
	v_mul_lo_u32 v0, v2, s24
	v_mul_lo_u32 v2, v2, s25
	s_cbranch_vccnz .LBB386_138
; %bb.137:
	v_mul_hi_u32 v3, s44, v1
	v_add_u32_e32 v3, v1, v3
	v_lshrrev_b32_e32 v3, s45, v3
	v_mul_lo_u32 v3, v3, s23
	v_sub_u32_e32 v3, v1, v3
	v_mad_u64_u32 v[0:1], s[0:1], v3, s26, v[0:1]
	v_mad_u64_u32 v[2:3], s[0:1], v3, s27, v[2:3]
.LBB386_138:
	global_load_ubyte v1, v2, s[18:19]
	s_and_b32 s0, s41, 0xff
	v_add_u32_e32 v19, 0x80, v19
	s_waitcnt vmcnt(0)
	v_cmp_ne_u16_e32 vcc, s0, v1
	s_xor_b64 s[0:1], s[42:43], vcc
	v_cndmask_b32_e64 v1, 0, 1, s[0:1]
	global_store_byte v0, v1, s[16:17]
	s_or_b64 exec, exec, s[52:53]
	v_cmp_gt_i32_e32 vcc, s59, v19
	s_and_saveexec_b64 s[52:53], vcc
	s_cbranch_execnz .LBB386_15
.LBB386_139:
	s_or_b64 exec, exec, s[52:53]
	v_cmp_gt_i32_e32 vcc, s59, v19
	s_and_saveexec_b64 s[52:53], vcc
	s_cbranch_execz .LBB386_155
.LBB386_140:
	s_andn2_b64 vcc, exec, s[36:37]
	s_cbranch_vccnz .LBB386_145
; %bb.141:
	s_andn2_b64 vcc, exec, s[50:51]
	s_cbranch_vccnz .LBB386_146
; %bb.142:
	s_add_i32 s61, s60, 1
	s_cmp_eq_u32 s58, 2
	s_cbranch_scc1 .LBB386_163
; %bb.143:
	s_and_b32 s40, s61, 28
	v_mov_b32_e32 v2, 0
	s_mov_b32 s62, 0
	s_mov_b64 s[54:55], s[34:35]
	s_mov_b64 s[56:57], s[48:49]
	v_mov_b32_e32 v0, 0
	v_mov_b32_e32 v1, v19
.LBB386_144:                            ; =>This Inner Loop Header: Depth=1
	s_load_dwordx8 s[8:15], s[54:55], 0x4
	s_load_dwordx4 s[28:31], s[54:55], 0x24
	s_load_dwordx8 s[0:7], s[56:57], 0x0
	s_add_u32 s54, s54, 48
	s_addc_u32 s55, s55, 0
	s_waitcnt lgkmcnt(0)
	v_mul_hi_u32 v3, s9, v1
	s_add_i32 s62, s62, 4
	s_add_u32 s56, s56, 32
	s_addc_u32 s57, s57, 0
	v_add_u32_e32 v3, v1, v3
	v_lshrrev_b32_e32 v3, s10, v3
	v_mul_lo_u32 v4, v3, s8
	v_mul_hi_u32 v5, s12, v3
	s_cmp_eq_u32 s40, s62
	v_sub_u32_e32 v1, v1, v4
	v_add_u32_e32 v4, v3, v5
	v_mul_lo_u32 v5, v1, s0
	v_mul_lo_u32 v6, v1, s1
	v_lshrrev_b32_e32 v1, s13, v4
	v_mul_lo_u32 v4, v1, s11
	v_mul_hi_u32 v7, s15, v1
	v_sub_u32_e32 v3, v3, v4
	v_add_u32_e32 v4, v1, v7
	v_lshrrev_b32_e32 v4, s28, v4
	v_mul_hi_u32 v8, s30, v4
	v_mul_lo_u32 v9, v4, s14
	v_mul_lo_u32 v7, v3, s2
	;; [unrolled: 1-line block ×3, first 2 shown]
	v_sub_u32_e32 v9, v1, v9
	v_add_u32_e32 v1, v4, v8
	v_lshrrev_b32_e32 v1, s31, v1
	v_mul_lo_u32 v8, v1, s29
	v_mul_lo_u32 v10, v9, s4
	;; [unrolled: 1-line block ×3, first 2 shown]
	v_add3_u32 v0, v5, v0, v7
	v_sub_u32_e32 v4, v4, v8
	v_mul_lo_u32 v8, v4, s6
	v_mul_lo_u32 v4, v4, s7
	v_add3_u32 v2, v6, v2, v3
	v_add3_u32 v0, v10, v0, v8
	;; [unrolled: 1-line block ×3, first 2 shown]
	s_cbranch_scc0 .LBB386_144
	s_branch .LBB386_164
.LBB386_145:
                                        ; implicit-def: $vgpr0
                                        ; implicit-def: $vgpr2
	s_branch .LBB386_168
.LBB386_146:
	v_mov_b32_e32 v0, 0
	v_mov_b32_e32 v2, 0
	s_branch .LBB386_167
.LBB386_147:
	s_mov_b32 s40, 0
	v_mov_b32_e32 v0, 0
	v_mov_b32_e32 v2, 0
	;; [unrolled: 1-line block ×3, first 2 shown]
.LBB386_148:
	s_and_b32 s4, s61, 3
	s_cmp_eq_u32 s4, 0
	s_cbranch_scc1 .LBB386_151
; %bb.149:
	s_lshl_b32 s0, s40, 3
	s_add_u32 s0, s34, s0
	s_addc_u32 s1, s35, 0
	s_add_u32 s0, s0, 0xc4
	s_addc_u32 s1, s1, 0
	s_mul_i32 s2, s40, 12
	s_add_u32 s2, s34, s2
	s_addc_u32 s3, s35, 0
.LBB386_150:                            ; =>This Inner Loop Header: Depth=1
	s_load_dwordx2 s[6:7], s[2:3], 0x4
	s_load_dword s5, s[2:3], 0xc
	s_load_dwordx2 s[8:9], s[0:1], 0x0
	s_add_u32 s2, s2, 12
	s_addc_u32 s3, s3, 0
	s_waitcnt lgkmcnt(0)
	v_mul_hi_u32 v3, s7, v1
	s_add_u32 s0, s0, 8
	s_addc_u32 s1, s1, 0
	s_add_i32 s4, s4, -1
	v_add_u32_e32 v3, v1, v3
	v_lshrrev_b32_e32 v4, s5, v3
	v_mul_lo_u32 v3, v4, s6
	s_cmp_lg_u32 s4, 0
	v_sub_u32_e32 v3, v1, v3
	v_mad_u64_u32 v[0:1], s[6:7], v3, s8, v[0:1]
	v_mad_u64_u32 v[2:3], s[6:7], v3, s9, v[2:3]
	v_mov_b32_e32 v1, v4
	s_cbranch_scc1 .LBB386_150
.LBB386_151:
	s_cbranch_execnz .LBB386_154
.LBB386_152:
	v_mul_hi_u32 v0, s21, v19
	s_andn2_b64 vcc, exec, s[46:47]
	v_add_u32_e32 v0, v19, v0
	v_lshrrev_b32_e32 v1, s22, v0
	v_mul_lo_u32 v0, v1, s20
	v_sub_u32_e32 v2, v19, v0
	v_mul_lo_u32 v0, v2, s24
	v_mul_lo_u32 v2, v2, s25
	s_cbranch_vccnz .LBB386_154
; %bb.153:
	v_mul_hi_u32 v3, s44, v1
	v_add_u32_e32 v3, v1, v3
	v_lshrrev_b32_e32 v3, s45, v3
	v_mul_lo_u32 v3, v3, s23
	v_sub_u32_e32 v3, v1, v3
	v_mad_u64_u32 v[0:1], s[0:1], v3, s26, v[0:1]
	v_mad_u64_u32 v[2:3], s[0:1], v3, s27, v[2:3]
.LBB386_154:
	global_load_ubyte v1, v2, s[18:19]
	s_and_b32 s0, s41, 0xff
	v_add_u32_e32 v19, 0x80, v19
	s_waitcnt vmcnt(0)
	v_cmp_ne_u16_e32 vcc, s0, v1
	s_xor_b64 s[0:1], s[42:43], vcc
	v_cndmask_b32_e64 v1, 0, 1, s[0:1]
	global_store_byte v0, v1, s[16:17]
	s_or_b64 exec, exec, s[52:53]
	v_cmp_gt_i32_e32 vcc, s59, v19
	s_and_saveexec_b64 s[52:53], vcc
	s_cbranch_execnz .LBB386_140
.LBB386_155:
	s_or_b64 exec, exec, s[52:53]
	v_cmp_gt_i32_e32 vcc, s59, v19
	s_and_saveexec_b64 s[52:53], vcc
	s_cbranch_execz .LBB386_171
.LBB386_156:
	s_andn2_b64 vcc, exec, s[36:37]
	s_cbranch_vccnz .LBB386_161
; %bb.157:
	s_andn2_b64 vcc, exec, s[50:51]
	s_cbranch_vccnz .LBB386_162
; %bb.158:
	s_add_i32 s61, s60, 1
	s_cmp_eq_u32 s58, 2
	s_cbranch_scc1 .LBB386_179
; %bb.159:
	s_and_b32 s40, s61, 28
	v_mov_b32_e32 v2, 0
	s_mov_b32 s62, 0
	s_mov_b64 s[54:55], s[34:35]
	s_mov_b64 s[56:57], s[48:49]
	v_mov_b32_e32 v0, 0
	v_mov_b32_e32 v1, v19
.LBB386_160:                            ; =>This Inner Loop Header: Depth=1
	s_load_dwordx8 s[8:15], s[54:55], 0x4
	s_load_dwordx4 s[28:31], s[54:55], 0x24
	s_load_dwordx8 s[0:7], s[56:57], 0x0
	s_add_u32 s54, s54, 48
	s_addc_u32 s55, s55, 0
	s_waitcnt lgkmcnt(0)
	v_mul_hi_u32 v3, s9, v1
	s_add_i32 s62, s62, 4
	s_add_u32 s56, s56, 32
	s_addc_u32 s57, s57, 0
	v_add_u32_e32 v3, v1, v3
	v_lshrrev_b32_e32 v3, s10, v3
	v_mul_lo_u32 v4, v3, s8
	v_mul_hi_u32 v5, s12, v3
	s_cmp_eq_u32 s40, s62
	v_sub_u32_e32 v1, v1, v4
	v_add_u32_e32 v4, v3, v5
	v_mul_lo_u32 v5, v1, s0
	v_mul_lo_u32 v6, v1, s1
	v_lshrrev_b32_e32 v1, s13, v4
	v_mul_lo_u32 v4, v1, s11
	v_mul_hi_u32 v7, s15, v1
	v_sub_u32_e32 v3, v3, v4
	v_add_u32_e32 v4, v1, v7
	v_lshrrev_b32_e32 v4, s28, v4
	v_mul_hi_u32 v8, s30, v4
	v_mul_lo_u32 v9, v4, s14
	v_mul_lo_u32 v7, v3, s2
	;; [unrolled: 1-line block ×3, first 2 shown]
	v_sub_u32_e32 v9, v1, v9
	v_add_u32_e32 v1, v4, v8
	v_lshrrev_b32_e32 v1, s31, v1
	v_mul_lo_u32 v8, v1, s29
	v_mul_lo_u32 v10, v9, s4
	;; [unrolled: 1-line block ×3, first 2 shown]
	v_add3_u32 v0, v5, v0, v7
	v_sub_u32_e32 v4, v4, v8
	v_mul_lo_u32 v8, v4, s6
	v_mul_lo_u32 v4, v4, s7
	v_add3_u32 v2, v6, v2, v3
	v_add3_u32 v0, v10, v0, v8
	;; [unrolled: 1-line block ×3, first 2 shown]
	s_cbranch_scc0 .LBB386_160
	s_branch .LBB386_180
.LBB386_161:
                                        ; implicit-def: $vgpr0
                                        ; implicit-def: $vgpr2
	s_branch .LBB386_184
.LBB386_162:
	v_mov_b32_e32 v0, 0
	v_mov_b32_e32 v2, 0
	s_branch .LBB386_183
.LBB386_163:
	s_mov_b32 s40, 0
	v_mov_b32_e32 v0, 0
	v_mov_b32_e32 v2, 0
	;; [unrolled: 1-line block ×3, first 2 shown]
.LBB386_164:
	s_and_b32 s4, s61, 3
	s_cmp_eq_u32 s4, 0
	s_cbranch_scc1 .LBB386_167
; %bb.165:
	s_lshl_b32 s0, s40, 3
	s_add_u32 s0, s34, s0
	s_addc_u32 s1, s35, 0
	s_add_u32 s0, s0, 0xc4
	s_addc_u32 s1, s1, 0
	s_mul_i32 s2, s40, 12
	s_add_u32 s2, s34, s2
	s_addc_u32 s3, s35, 0
.LBB386_166:                            ; =>This Inner Loop Header: Depth=1
	s_load_dwordx2 s[6:7], s[2:3], 0x4
	s_load_dword s5, s[2:3], 0xc
	s_load_dwordx2 s[8:9], s[0:1], 0x0
	s_add_u32 s2, s2, 12
	s_addc_u32 s3, s3, 0
	s_waitcnt lgkmcnt(0)
	v_mul_hi_u32 v3, s7, v1
	s_add_u32 s0, s0, 8
	s_addc_u32 s1, s1, 0
	s_add_i32 s4, s4, -1
	v_add_u32_e32 v3, v1, v3
	v_lshrrev_b32_e32 v4, s5, v3
	v_mul_lo_u32 v3, v4, s6
	s_cmp_lg_u32 s4, 0
	v_sub_u32_e32 v3, v1, v3
	v_mad_u64_u32 v[0:1], s[6:7], v3, s8, v[0:1]
	v_mad_u64_u32 v[2:3], s[6:7], v3, s9, v[2:3]
	v_mov_b32_e32 v1, v4
	s_cbranch_scc1 .LBB386_166
.LBB386_167:
	s_cbranch_execnz .LBB386_170
.LBB386_168:
	v_mul_hi_u32 v0, s21, v19
	s_andn2_b64 vcc, exec, s[46:47]
	v_add_u32_e32 v0, v19, v0
	v_lshrrev_b32_e32 v1, s22, v0
	v_mul_lo_u32 v0, v1, s20
	v_sub_u32_e32 v2, v19, v0
	v_mul_lo_u32 v0, v2, s24
	v_mul_lo_u32 v2, v2, s25
	s_cbranch_vccnz .LBB386_170
; %bb.169:
	v_mul_hi_u32 v3, s44, v1
	v_add_u32_e32 v3, v1, v3
	v_lshrrev_b32_e32 v3, s45, v3
	v_mul_lo_u32 v3, v3, s23
	v_sub_u32_e32 v3, v1, v3
	v_mad_u64_u32 v[0:1], s[0:1], v3, s26, v[0:1]
	v_mad_u64_u32 v[2:3], s[0:1], v3, s27, v[2:3]
.LBB386_170:
	global_load_ubyte v1, v2, s[18:19]
	s_and_b32 s0, s41, 0xff
	v_add_u32_e32 v19, 0x80, v19
	s_waitcnt vmcnt(0)
	v_cmp_ne_u16_e32 vcc, s0, v1
	s_xor_b64 s[0:1], s[42:43], vcc
	v_cndmask_b32_e64 v1, 0, 1, s[0:1]
	global_store_byte v0, v1, s[16:17]
	s_or_b64 exec, exec, s[52:53]
	v_cmp_gt_i32_e32 vcc, s59, v19
	s_and_saveexec_b64 s[52:53], vcc
	s_cbranch_execnz .LBB386_156
.LBB386_171:
	s_or_b64 exec, exec, s[52:53]
	v_cmp_gt_i32_e32 vcc, s59, v19
	s_and_saveexec_b64 s[52:53], vcc
	s_cbranch_execz .LBB386_187
.LBB386_172:
	s_andn2_b64 vcc, exec, s[36:37]
	s_cbranch_vccnz .LBB386_177
; %bb.173:
	s_andn2_b64 vcc, exec, s[50:51]
	s_cbranch_vccnz .LBB386_178
; %bb.174:
	s_add_i32 s61, s60, 1
	s_cmp_eq_u32 s58, 2
	s_cbranch_scc1 .LBB386_195
; %bb.175:
	s_and_b32 s40, s61, 28
	v_mov_b32_e32 v2, 0
	s_mov_b32 s62, 0
	s_mov_b64 s[54:55], s[34:35]
	s_mov_b64 s[56:57], s[48:49]
	v_mov_b32_e32 v0, 0
	v_mov_b32_e32 v1, v19
.LBB386_176:                            ; =>This Inner Loop Header: Depth=1
	s_load_dwordx8 s[8:15], s[54:55], 0x4
	s_load_dwordx4 s[28:31], s[54:55], 0x24
	s_load_dwordx8 s[0:7], s[56:57], 0x0
	s_add_u32 s54, s54, 48
	s_addc_u32 s55, s55, 0
	s_waitcnt lgkmcnt(0)
	v_mul_hi_u32 v3, s9, v1
	s_add_i32 s62, s62, 4
	s_add_u32 s56, s56, 32
	s_addc_u32 s57, s57, 0
	v_add_u32_e32 v3, v1, v3
	v_lshrrev_b32_e32 v3, s10, v3
	v_mul_lo_u32 v4, v3, s8
	v_mul_hi_u32 v5, s12, v3
	s_cmp_eq_u32 s40, s62
	v_sub_u32_e32 v1, v1, v4
	v_add_u32_e32 v4, v3, v5
	v_mul_lo_u32 v5, v1, s0
	v_mul_lo_u32 v6, v1, s1
	v_lshrrev_b32_e32 v1, s13, v4
	v_mul_lo_u32 v4, v1, s11
	v_mul_hi_u32 v7, s15, v1
	v_sub_u32_e32 v3, v3, v4
	v_add_u32_e32 v4, v1, v7
	v_lshrrev_b32_e32 v4, s28, v4
	v_mul_hi_u32 v8, s30, v4
	v_mul_lo_u32 v9, v4, s14
	v_mul_lo_u32 v7, v3, s2
	v_mul_lo_u32 v3, v3, s3
	v_sub_u32_e32 v9, v1, v9
	v_add_u32_e32 v1, v4, v8
	v_lshrrev_b32_e32 v1, s31, v1
	v_mul_lo_u32 v8, v1, s29
	v_mul_lo_u32 v10, v9, s4
	;; [unrolled: 1-line block ×3, first 2 shown]
	v_add3_u32 v0, v5, v0, v7
	v_sub_u32_e32 v4, v4, v8
	v_mul_lo_u32 v8, v4, s6
	v_mul_lo_u32 v4, v4, s7
	v_add3_u32 v2, v6, v2, v3
	v_add3_u32 v0, v10, v0, v8
	v_add3_u32 v2, v9, v2, v4
	s_cbranch_scc0 .LBB386_176
	s_branch .LBB386_196
.LBB386_177:
                                        ; implicit-def: $vgpr0
                                        ; implicit-def: $vgpr2
	s_branch .LBB386_200
.LBB386_178:
	v_mov_b32_e32 v0, 0
	v_mov_b32_e32 v2, 0
	s_branch .LBB386_199
.LBB386_179:
	s_mov_b32 s40, 0
	v_mov_b32_e32 v0, 0
	v_mov_b32_e32 v2, 0
	;; [unrolled: 1-line block ×3, first 2 shown]
.LBB386_180:
	s_and_b32 s4, s61, 3
	s_cmp_eq_u32 s4, 0
	s_cbranch_scc1 .LBB386_183
; %bb.181:
	s_lshl_b32 s0, s40, 3
	s_add_u32 s0, s34, s0
	s_addc_u32 s1, s35, 0
	s_add_u32 s0, s0, 0xc4
	s_addc_u32 s1, s1, 0
	s_mul_i32 s2, s40, 12
	s_add_u32 s2, s34, s2
	s_addc_u32 s3, s35, 0
.LBB386_182:                            ; =>This Inner Loop Header: Depth=1
	s_load_dwordx2 s[6:7], s[2:3], 0x4
	s_load_dword s5, s[2:3], 0xc
	s_load_dwordx2 s[8:9], s[0:1], 0x0
	s_add_u32 s2, s2, 12
	s_addc_u32 s3, s3, 0
	s_waitcnt lgkmcnt(0)
	v_mul_hi_u32 v3, s7, v1
	s_add_u32 s0, s0, 8
	s_addc_u32 s1, s1, 0
	s_add_i32 s4, s4, -1
	v_add_u32_e32 v3, v1, v3
	v_lshrrev_b32_e32 v4, s5, v3
	v_mul_lo_u32 v3, v4, s6
	s_cmp_lg_u32 s4, 0
	v_sub_u32_e32 v3, v1, v3
	v_mad_u64_u32 v[0:1], s[6:7], v3, s8, v[0:1]
	v_mad_u64_u32 v[2:3], s[6:7], v3, s9, v[2:3]
	v_mov_b32_e32 v1, v4
	s_cbranch_scc1 .LBB386_182
.LBB386_183:
	s_cbranch_execnz .LBB386_186
.LBB386_184:
	v_mul_hi_u32 v0, s21, v19
	s_andn2_b64 vcc, exec, s[46:47]
	v_add_u32_e32 v0, v19, v0
	v_lshrrev_b32_e32 v1, s22, v0
	v_mul_lo_u32 v0, v1, s20
	v_sub_u32_e32 v2, v19, v0
	v_mul_lo_u32 v0, v2, s24
	v_mul_lo_u32 v2, v2, s25
	s_cbranch_vccnz .LBB386_186
; %bb.185:
	v_mul_hi_u32 v3, s44, v1
	v_add_u32_e32 v3, v1, v3
	v_lshrrev_b32_e32 v3, s45, v3
	v_mul_lo_u32 v3, v3, s23
	v_sub_u32_e32 v3, v1, v3
	v_mad_u64_u32 v[0:1], s[0:1], v3, s26, v[0:1]
	v_mad_u64_u32 v[2:3], s[0:1], v3, s27, v[2:3]
.LBB386_186:
	global_load_ubyte v1, v2, s[18:19]
	s_and_b32 s0, s41, 0xff
	v_add_u32_e32 v19, 0x80, v19
	s_waitcnt vmcnt(0)
	v_cmp_ne_u16_e32 vcc, s0, v1
	s_xor_b64 s[0:1], s[42:43], vcc
	v_cndmask_b32_e64 v1, 0, 1, s[0:1]
	global_store_byte v0, v1, s[16:17]
	s_or_b64 exec, exec, s[52:53]
	v_cmp_gt_i32_e32 vcc, s59, v19
	s_and_saveexec_b64 s[52:53], vcc
	s_cbranch_execnz .LBB386_172
.LBB386_187:
	s_or_b64 exec, exec, s[52:53]
	v_cmp_gt_i32_e32 vcc, s59, v19
	s_and_saveexec_b64 s[52:53], vcc
	s_cbranch_execz .LBB386_203
.LBB386_188:
	s_andn2_b64 vcc, exec, s[36:37]
	s_cbranch_vccnz .LBB386_193
; %bb.189:
	s_andn2_b64 vcc, exec, s[50:51]
	s_cbranch_vccnz .LBB386_194
; %bb.190:
	s_add_i32 s61, s60, 1
	s_cmp_eq_u32 s58, 2
	s_cbranch_scc1 .LBB386_211
; %bb.191:
	s_and_b32 s40, s61, 28
	v_mov_b32_e32 v2, 0
	s_mov_b32 s62, 0
	s_mov_b64 s[54:55], s[34:35]
	s_mov_b64 s[56:57], s[48:49]
	v_mov_b32_e32 v0, 0
	v_mov_b32_e32 v1, v19
.LBB386_192:                            ; =>This Inner Loop Header: Depth=1
	s_load_dwordx8 s[8:15], s[54:55], 0x4
	s_load_dwordx4 s[28:31], s[54:55], 0x24
	s_load_dwordx8 s[0:7], s[56:57], 0x0
	s_add_u32 s54, s54, 48
	s_addc_u32 s55, s55, 0
	s_waitcnt lgkmcnt(0)
	v_mul_hi_u32 v3, s9, v1
	s_add_i32 s62, s62, 4
	s_add_u32 s56, s56, 32
	s_addc_u32 s57, s57, 0
	v_add_u32_e32 v3, v1, v3
	v_lshrrev_b32_e32 v3, s10, v3
	v_mul_lo_u32 v4, v3, s8
	v_mul_hi_u32 v5, s12, v3
	s_cmp_eq_u32 s40, s62
	v_sub_u32_e32 v1, v1, v4
	v_add_u32_e32 v4, v3, v5
	v_mul_lo_u32 v5, v1, s0
	v_mul_lo_u32 v6, v1, s1
	v_lshrrev_b32_e32 v1, s13, v4
	v_mul_lo_u32 v4, v1, s11
	v_mul_hi_u32 v7, s15, v1
	v_sub_u32_e32 v3, v3, v4
	v_add_u32_e32 v4, v1, v7
	v_lshrrev_b32_e32 v4, s28, v4
	v_mul_hi_u32 v8, s30, v4
	v_mul_lo_u32 v9, v4, s14
	v_mul_lo_u32 v7, v3, s2
	;; [unrolled: 1-line block ×3, first 2 shown]
	v_sub_u32_e32 v9, v1, v9
	v_add_u32_e32 v1, v4, v8
	v_lshrrev_b32_e32 v1, s31, v1
	v_mul_lo_u32 v8, v1, s29
	v_mul_lo_u32 v10, v9, s4
	;; [unrolled: 1-line block ×3, first 2 shown]
	v_add3_u32 v0, v5, v0, v7
	v_sub_u32_e32 v4, v4, v8
	v_mul_lo_u32 v8, v4, s6
	v_mul_lo_u32 v4, v4, s7
	v_add3_u32 v2, v6, v2, v3
	v_add3_u32 v0, v10, v0, v8
	;; [unrolled: 1-line block ×3, first 2 shown]
	s_cbranch_scc0 .LBB386_192
	s_branch .LBB386_212
.LBB386_193:
                                        ; implicit-def: $vgpr0
                                        ; implicit-def: $vgpr2
	s_branch .LBB386_216
.LBB386_194:
	v_mov_b32_e32 v0, 0
	v_mov_b32_e32 v2, 0
	s_branch .LBB386_215
.LBB386_195:
	s_mov_b32 s40, 0
	v_mov_b32_e32 v0, 0
	v_mov_b32_e32 v2, 0
	;; [unrolled: 1-line block ×3, first 2 shown]
.LBB386_196:
	s_and_b32 s4, s61, 3
	s_cmp_eq_u32 s4, 0
	s_cbranch_scc1 .LBB386_199
; %bb.197:
	s_lshl_b32 s0, s40, 3
	s_add_u32 s0, s34, s0
	s_addc_u32 s1, s35, 0
	s_add_u32 s0, s0, 0xc4
	s_addc_u32 s1, s1, 0
	s_mul_i32 s2, s40, 12
	s_add_u32 s2, s34, s2
	s_addc_u32 s3, s35, 0
.LBB386_198:                            ; =>This Inner Loop Header: Depth=1
	s_load_dwordx2 s[6:7], s[2:3], 0x4
	s_load_dword s5, s[2:3], 0xc
	s_load_dwordx2 s[8:9], s[0:1], 0x0
	s_add_u32 s2, s2, 12
	s_addc_u32 s3, s3, 0
	s_waitcnt lgkmcnt(0)
	v_mul_hi_u32 v3, s7, v1
	s_add_u32 s0, s0, 8
	s_addc_u32 s1, s1, 0
	s_add_i32 s4, s4, -1
	v_add_u32_e32 v3, v1, v3
	v_lshrrev_b32_e32 v4, s5, v3
	v_mul_lo_u32 v3, v4, s6
	s_cmp_lg_u32 s4, 0
	v_sub_u32_e32 v3, v1, v3
	v_mad_u64_u32 v[0:1], s[6:7], v3, s8, v[0:1]
	v_mad_u64_u32 v[2:3], s[6:7], v3, s9, v[2:3]
	v_mov_b32_e32 v1, v4
	s_cbranch_scc1 .LBB386_198
.LBB386_199:
	s_cbranch_execnz .LBB386_202
.LBB386_200:
	v_mul_hi_u32 v0, s21, v19
	s_andn2_b64 vcc, exec, s[46:47]
	v_add_u32_e32 v0, v19, v0
	v_lshrrev_b32_e32 v1, s22, v0
	v_mul_lo_u32 v0, v1, s20
	v_sub_u32_e32 v2, v19, v0
	v_mul_lo_u32 v0, v2, s24
	v_mul_lo_u32 v2, v2, s25
	s_cbranch_vccnz .LBB386_202
; %bb.201:
	v_mul_hi_u32 v3, s44, v1
	v_add_u32_e32 v3, v1, v3
	v_lshrrev_b32_e32 v3, s45, v3
	v_mul_lo_u32 v3, v3, s23
	v_sub_u32_e32 v3, v1, v3
	v_mad_u64_u32 v[0:1], s[0:1], v3, s26, v[0:1]
	v_mad_u64_u32 v[2:3], s[0:1], v3, s27, v[2:3]
.LBB386_202:
	global_load_ubyte v1, v2, s[18:19]
	s_and_b32 s0, s41, 0xff
	v_add_u32_e32 v19, 0x80, v19
	s_waitcnt vmcnt(0)
	v_cmp_ne_u16_e32 vcc, s0, v1
	s_xor_b64 s[0:1], s[42:43], vcc
	v_cndmask_b32_e64 v1, 0, 1, s[0:1]
	global_store_byte v0, v1, s[16:17]
	s_or_b64 exec, exec, s[52:53]
	v_cmp_gt_i32_e32 vcc, s59, v19
	s_and_saveexec_b64 s[52:53], vcc
	s_cbranch_execnz .LBB386_188
.LBB386_203:
	s_or_b64 exec, exec, s[52:53]
	v_cmp_gt_i32_e32 vcc, s59, v19
	s_and_saveexec_b64 s[52:53], vcc
	s_cbranch_execz .LBB386_219
.LBB386_204:
	s_andn2_b64 vcc, exec, s[36:37]
	s_cbranch_vccnz .LBB386_209
; %bb.205:
	s_andn2_b64 vcc, exec, s[50:51]
	s_cbranch_vccnz .LBB386_210
; %bb.206:
	s_add_i32 s61, s60, 1
	s_cmp_eq_u32 s58, 2
	s_cbranch_scc1 .LBB386_222
; %bb.207:
	s_and_b32 s40, s61, 28
	v_mov_b32_e32 v2, 0
	s_mov_b32 s62, 0
	s_mov_b64 s[54:55], s[34:35]
	s_mov_b64 s[56:57], s[48:49]
	v_mov_b32_e32 v0, 0
	v_mov_b32_e32 v1, v19
.LBB386_208:                            ; =>This Inner Loop Header: Depth=1
	s_load_dwordx8 s[8:15], s[54:55], 0x4
	s_load_dwordx4 s[28:31], s[54:55], 0x24
	s_load_dwordx8 s[0:7], s[56:57], 0x0
	s_add_u32 s54, s54, 48
	s_addc_u32 s55, s55, 0
	s_waitcnt lgkmcnt(0)
	v_mul_hi_u32 v3, s9, v1
	s_add_i32 s62, s62, 4
	s_add_u32 s56, s56, 32
	s_addc_u32 s57, s57, 0
	v_add_u32_e32 v3, v1, v3
	v_lshrrev_b32_e32 v3, s10, v3
	v_mul_lo_u32 v4, v3, s8
	v_mul_hi_u32 v5, s12, v3
	s_cmp_eq_u32 s40, s62
	v_sub_u32_e32 v1, v1, v4
	v_add_u32_e32 v4, v3, v5
	v_mul_lo_u32 v5, v1, s0
	v_mul_lo_u32 v6, v1, s1
	v_lshrrev_b32_e32 v1, s13, v4
	v_mul_lo_u32 v4, v1, s11
	v_mul_hi_u32 v7, s15, v1
	v_sub_u32_e32 v3, v3, v4
	v_add_u32_e32 v4, v1, v7
	v_lshrrev_b32_e32 v4, s28, v4
	v_mul_hi_u32 v8, s30, v4
	v_mul_lo_u32 v9, v4, s14
	v_mul_lo_u32 v7, v3, s2
	;; [unrolled: 1-line block ×3, first 2 shown]
	v_sub_u32_e32 v9, v1, v9
	v_add_u32_e32 v1, v4, v8
	v_lshrrev_b32_e32 v1, s31, v1
	v_mul_lo_u32 v8, v1, s29
	v_mul_lo_u32 v10, v9, s4
	;; [unrolled: 1-line block ×3, first 2 shown]
	v_add3_u32 v0, v5, v0, v7
	v_sub_u32_e32 v4, v4, v8
	v_mul_lo_u32 v8, v4, s6
	v_mul_lo_u32 v4, v4, s7
	v_add3_u32 v2, v6, v2, v3
	v_add3_u32 v0, v10, v0, v8
	;; [unrolled: 1-line block ×3, first 2 shown]
	s_cbranch_scc0 .LBB386_208
	s_branch .LBB386_223
.LBB386_209:
                                        ; implicit-def: $vgpr0
                                        ; implicit-def: $vgpr2
	s_branch .LBB386_227
.LBB386_210:
	v_mov_b32_e32 v0, 0
	v_mov_b32_e32 v2, 0
	s_branch .LBB386_226
.LBB386_211:
	s_mov_b32 s40, 0
	v_mov_b32_e32 v0, 0
	v_mov_b32_e32 v2, 0
	;; [unrolled: 1-line block ×3, first 2 shown]
.LBB386_212:
	s_and_b32 s4, s61, 3
	s_cmp_eq_u32 s4, 0
	s_cbranch_scc1 .LBB386_215
; %bb.213:
	s_lshl_b32 s0, s40, 3
	s_add_u32 s0, s34, s0
	s_addc_u32 s1, s35, 0
	s_add_u32 s0, s0, 0xc4
	s_addc_u32 s1, s1, 0
	s_mul_i32 s2, s40, 12
	s_add_u32 s2, s34, s2
	s_addc_u32 s3, s35, 0
.LBB386_214:                            ; =>This Inner Loop Header: Depth=1
	s_load_dwordx2 s[6:7], s[2:3], 0x4
	s_load_dword s5, s[2:3], 0xc
	s_load_dwordx2 s[8:9], s[0:1], 0x0
	s_add_u32 s2, s2, 12
	s_addc_u32 s3, s3, 0
	s_waitcnt lgkmcnt(0)
	v_mul_hi_u32 v3, s7, v1
	s_add_u32 s0, s0, 8
	s_addc_u32 s1, s1, 0
	s_add_i32 s4, s4, -1
	v_add_u32_e32 v3, v1, v3
	v_lshrrev_b32_e32 v4, s5, v3
	v_mul_lo_u32 v3, v4, s6
	s_cmp_lg_u32 s4, 0
	v_sub_u32_e32 v3, v1, v3
	v_mad_u64_u32 v[0:1], s[6:7], v3, s8, v[0:1]
	v_mad_u64_u32 v[2:3], s[6:7], v3, s9, v[2:3]
	v_mov_b32_e32 v1, v4
	s_cbranch_scc1 .LBB386_214
.LBB386_215:
	s_cbranch_execnz .LBB386_218
.LBB386_216:
	v_mul_hi_u32 v0, s21, v19
	s_andn2_b64 vcc, exec, s[46:47]
	v_add_u32_e32 v0, v19, v0
	v_lshrrev_b32_e32 v1, s22, v0
	v_mul_lo_u32 v0, v1, s20
	v_sub_u32_e32 v2, v19, v0
	v_mul_lo_u32 v0, v2, s24
	v_mul_lo_u32 v2, v2, s25
	s_cbranch_vccnz .LBB386_218
; %bb.217:
	v_mul_hi_u32 v3, s44, v1
	v_add_u32_e32 v3, v1, v3
	v_lshrrev_b32_e32 v3, s45, v3
	v_mul_lo_u32 v3, v3, s23
	v_sub_u32_e32 v3, v1, v3
	v_mad_u64_u32 v[0:1], s[0:1], v3, s26, v[0:1]
	v_mad_u64_u32 v[2:3], s[0:1], v3, s27, v[2:3]
.LBB386_218:
	global_load_ubyte v1, v2, s[18:19]
	s_and_b32 s0, s41, 0xff
	v_add_u32_e32 v19, 0x80, v19
	s_waitcnt vmcnt(0)
	v_cmp_ne_u16_e32 vcc, s0, v1
	s_xor_b64 s[0:1], s[42:43], vcc
	v_cndmask_b32_e64 v1, 0, 1, s[0:1]
	global_store_byte v0, v1, s[16:17]
	s_or_b64 exec, exec, s[52:53]
	v_cmp_gt_i32_e32 vcc, s59, v19
	s_and_saveexec_b64 s[52:53], vcc
	s_cbranch_execnz .LBB386_204
.LBB386_219:
	s_or_b64 exec, exec, s[52:53]
	v_cmp_gt_i32_e32 vcc, s59, v19
	s_and_saveexec_b64 s[52:53], vcc
	s_cbranch_execnz .LBB386_230
.LBB386_220:
	s_or_b64 exec, exec, s[52:53]
                                        ; implicit-def: $vgpr25
                                        ; implicit-def: $vgpr19
	s_andn2_saveexec_b64 s[0:1], s[38:39]
	s_cbranch_execnz .LBB386_8
.LBB386_221:
	s_endpgm
.LBB386_222:
	s_mov_b32 s40, 0
	v_mov_b32_e32 v0, 0
	v_mov_b32_e32 v2, 0
	;; [unrolled: 1-line block ×3, first 2 shown]
.LBB386_223:
	s_and_b32 s4, s61, 3
	s_cmp_eq_u32 s4, 0
	s_cbranch_scc1 .LBB386_226
; %bb.224:
	s_lshl_b32 s0, s40, 3
	s_add_u32 s0, s34, s0
	s_addc_u32 s1, s35, 0
	s_add_u32 s0, s0, 0xc4
	s_addc_u32 s1, s1, 0
	s_mul_i32 s2, s40, 12
	s_add_u32 s2, s34, s2
	s_addc_u32 s3, s35, 0
.LBB386_225:                            ; =>This Inner Loop Header: Depth=1
	s_load_dwordx2 s[6:7], s[2:3], 0x4
	s_load_dword s5, s[2:3], 0xc
	s_load_dwordx2 s[8:9], s[0:1], 0x0
	s_add_u32 s2, s2, 12
	s_addc_u32 s3, s3, 0
	s_waitcnt lgkmcnt(0)
	v_mul_hi_u32 v3, s7, v1
	s_add_u32 s0, s0, 8
	s_addc_u32 s1, s1, 0
	s_add_i32 s4, s4, -1
	v_add_u32_e32 v3, v1, v3
	v_lshrrev_b32_e32 v4, s5, v3
	v_mul_lo_u32 v3, v4, s6
	s_cmp_lg_u32 s4, 0
	v_sub_u32_e32 v3, v1, v3
	v_mad_u64_u32 v[0:1], s[6:7], v3, s8, v[0:1]
	v_mad_u64_u32 v[2:3], s[6:7], v3, s9, v[2:3]
	v_mov_b32_e32 v1, v4
	s_cbranch_scc1 .LBB386_225
.LBB386_226:
	s_cbranch_execnz .LBB386_229
.LBB386_227:
	v_mul_hi_u32 v0, s21, v19
	s_andn2_b64 vcc, exec, s[46:47]
	v_add_u32_e32 v0, v19, v0
	v_lshrrev_b32_e32 v1, s22, v0
	v_mul_lo_u32 v0, v1, s20
	v_sub_u32_e32 v2, v19, v0
	v_mul_lo_u32 v0, v2, s24
	v_mul_lo_u32 v2, v2, s25
	s_cbranch_vccnz .LBB386_229
; %bb.228:
	v_mul_hi_u32 v3, s44, v1
	v_add_u32_e32 v3, v1, v3
	v_lshrrev_b32_e32 v3, s45, v3
	v_mul_lo_u32 v3, v3, s23
	v_sub_u32_e32 v3, v1, v3
	v_mad_u64_u32 v[0:1], s[0:1], v3, s26, v[0:1]
	v_mad_u64_u32 v[2:3], s[0:1], v3, s27, v[2:3]
.LBB386_229:
	global_load_ubyte v1, v2, s[18:19]
	s_and_b32 s0, s41, 0xff
	v_add_u32_e32 v19, 0x80, v19
	s_waitcnt vmcnt(0)
	v_cmp_ne_u16_e32 vcc, s0, v1
	s_xor_b64 s[0:1], s[42:43], vcc
	v_cndmask_b32_e64 v1, 0, 1, s[0:1]
	global_store_byte v0, v1, s[16:17]
	s_or_b64 exec, exec, s[52:53]
	v_cmp_gt_i32_e32 vcc, s59, v19
	s_and_saveexec_b64 s[52:53], vcc
	s_cbranch_execz .LBB386_220
.LBB386_230:
	s_andn2_b64 vcc, exec, s[36:37]
	s_cbranch_vccnz .LBB386_235
; %bb.231:
	s_andn2_b64 vcc, exec, s[50:51]
	s_cbranch_vccnz .LBB386_236
; %bb.232:
	s_add_i32 s60, s60, 1
	s_cmp_eq_u32 s58, 2
	s_cbranch_scc1 .LBB386_237
; %bb.233:
	s_and_b32 s40, s60, 28
	v_mov_b32_e32 v2, 0
	s_mov_b32 s54, 0
	s_mov_b64 s[50:51], s[34:35]
	v_mov_b32_e32 v0, 0
	v_mov_b32_e32 v1, v19
.LBB386_234:                            ; =>This Inner Loop Header: Depth=1
	s_load_dwordx8 s[8:15], s[50:51], 0x4
	s_load_dwordx4 s[28:31], s[50:51], 0x24
	s_load_dwordx8 s[0:7], s[48:49], 0x0
	s_add_u32 s50, s50, 48
	s_addc_u32 s51, s51, 0
	s_waitcnt lgkmcnt(0)
	v_mul_hi_u32 v3, s9, v1
	s_add_i32 s54, s54, 4
	s_add_u32 s48, s48, 32
	s_addc_u32 s49, s49, 0
	v_add_u32_e32 v3, v1, v3
	v_lshrrev_b32_e32 v3, s10, v3
	v_mul_lo_u32 v4, v3, s8
	v_mul_hi_u32 v5, s12, v3
	s_cmp_eq_u32 s40, s54
	v_sub_u32_e32 v1, v1, v4
	v_add_u32_e32 v4, v3, v5
	v_mul_lo_u32 v5, v1, s0
	v_mul_lo_u32 v6, v1, s1
	v_lshrrev_b32_e32 v1, s13, v4
	v_mul_lo_u32 v4, v1, s11
	v_mul_hi_u32 v7, s15, v1
	v_sub_u32_e32 v3, v3, v4
	v_add_u32_e32 v4, v1, v7
	v_lshrrev_b32_e32 v4, s28, v4
	v_mul_hi_u32 v8, s30, v4
	v_mul_lo_u32 v9, v4, s14
	v_mul_lo_u32 v7, v3, s2
	;; [unrolled: 1-line block ×3, first 2 shown]
	v_sub_u32_e32 v9, v1, v9
	v_add_u32_e32 v1, v4, v8
	v_lshrrev_b32_e32 v1, s31, v1
	v_mul_lo_u32 v8, v1, s29
	v_mul_lo_u32 v10, v9, s4
	;; [unrolled: 1-line block ×3, first 2 shown]
	v_add3_u32 v0, v5, v0, v7
	v_sub_u32_e32 v4, v4, v8
	v_mul_lo_u32 v8, v4, s6
	v_mul_lo_u32 v4, v4, s7
	v_add3_u32 v2, v6, v2, v3
	v_add3_u32 v0, v10, v0, v8
	v_add3_u32 v2, v9, v2, v4
	s_cbranch_scc0 .LBB386_234
	s_branch .LBB386_238
.LBB386_235:
                                        ; implicit-def: $vgpr0
                                        ; implicit-def: $vgpr2
	s_branch .LBB386_242
.LBB386_236:
	v_mov_b32_e32 v0, 0
	v_mov_b32_e32 v2, 0
	s_branch .LBB386_241
.LBB386_237:
	s_mov_b32 s40, 0
	v_mov_b32_e32 v0, 0
	v_mov_b32_e32 v2, 0
	v_mov_b32_e32 v1, v19
.LBB386_238:
	s_and_b32 s4, s60, 3
	s_cmp_eq_u32 s4, 0
	s_cbranch_scc1 .LBB386_241
; %bb.239:
	s_lshl_b32 s0, s40, 3
	s_add_u32 s0, s34, s0
	s_addc_u32 s1, s35, 0
	s_add_u32 s0, s0, 0xc4
	s_addc_u32 s1, s1, 0
	s_mul_i32 s2, s40, 12
	s_add_u32 s2, s34, s2
	s_addc_u32 s3, s35, 0
.LBB386_240:                            ; =>This Inner Loop Header: Depth=1
	s_load_dwordx2 s[6:7], s[2:3], 0x4
	s_load_dword s5, s[2:3], 0xc
	s_load_dwordx2 s[8:9], s[0:1], 0x0
	s_add_u32 s2, s2, 12
	s_addc_u32 s3, s3, 0
	s_waitcnt lgkmcnt(0)
	v_mul_hi_u32 v3, s7, v1
	s_add_u32 s0, s0, 8
	s_addc_u32 s1, s1, 0
	s_add_i32 s4, s4, -1
	v_add_u32_e32 v3, v1, v3
	v_lshrrev_b32_e32 v4, s5, v3
	v_mul_lo_u32 v3, v4, s6
	s_cmp_lg_u32 s4, 0
	v_sub_u32_e32 v3, v1, v3
	v_mad_u64_u32 v[0:1], s[6:7], v3, s8, v[0:1]
	v_mad_u64_u32 v[2:3], s[6:7], v3, s9, v[2:3]
	v_mov_b32_e32 v1, v4
	s_cbranch_scc1 .LBB386_240
.LBB386_241:
	s_cbranch_execnz .LBB386_244
.LBB386_242:
	v_mul_hi_u32 v0, s21, v19
	s_andn2_b64 vcc, exec, s[46:47]
	v_add_u32_e32 v0, v19, v0
	v_lshrrev_b32_e32 v1, s22, v0
	v_mul_lo_u32 v0, v1, s20
	v_sub_u32_e32 v2, v19, v0
	v_mul_lo_u32 v0, v2, s24
	v_mul_lo_u32 v2, v2, s25
	s_cbranch_vccnz .LBB386_244
; %bb.243:
	v_mul_hi_u32 v3, s44, v1
	v_add_u32_e32 v3, v1, v3
	v_lshrrev_b32_e32 v3, s45, v3
	v_mul_lo_u32 v3, v3, s23
	v_sub_u32_e32 v3, v1, v3
	v_mad_u64_u32 v[0:1], s[0:1], v3, s26, v[0:1]
	v_mad_u64_u32 v[2:3], s[0:1], v3, s27, v[2:3]
.LBB386_244:
	global_load_ubyte v1, v2, s[18:19]
	s_and_b32 s0, s41, 0xff
	s_waitcnt vmcnt(0)
	v_cmp_ne_u16_e32 vcc, s0, v1
	s_xor_b64 s[0:1], s[42:43], vcc
	v_cndmask_b32_e64 v1, 0, 1, s[0:1]
	global_store_byte v0, v1, s[16:17]
	s_or_b64 exec, exec, s[52:53]
                                        ; implicit-def: $vgpr25
                                        ; implicit-def: $vgpr19
	s_andn2_saveexec_b64 s[0:1], s[38:39]
	s_cbranch_execz .LBB386_221
	s_branch .LBB386_8
	.section	.rodata,"a",@progbits
	.p2align	6, 0x0
	.amdhsa_kernel _ZN2at6native32elementwise_kernel_manual_unrollILi128ELi8EZNS0_22gpu_kernel_impl_nocastINS0_13AUnaryFunctorIN3c1016Float4_e2m1fn_x2ES5_bNS0_12_GLOBAL__N_116CompareEqFunctorIS5_EEEEEEvRNS_18TensorIteratorBaseERKT_EUlibE_EEviT1_
		.amdhsa_group_segment_fixed_size 0
		.amdhsa_private_segment_fixed_size 0
		.amdhsa_kernarg_size 360
		.amdhsa_user_sgpr_count 6
		.amdhsa_user_sgpr_private_segment_buffer 1
		.amdhsa_user_sgpr_dispatch_ptr 0
		.amdhsa_user_sgpr_queue_ptr 0
		.amdhsa_user_sgpr_kernarg_segment_ptr 1
		.amdhsa_user_sgpr_dispatch_id 0
		.amdhsa_user_sgpr_flat_scratch_init 0
		.amdhsa_user_sgpr_private_segment_size 0
		.amdhsa_uses_dynamic_stack 0
		.amdhsa_system_sgpr_private_segment_wavefront_offset 0
		.amdhsa_system_sgpr_workgroup_id_x 1
		.amdhsa_system_sgpr_workgroup_id_y 0
		.amdhsa_system_sgpr_workgroup_id_z 0
		.amdhsa_system_sgpr_workgroup_info 0
		.amdhsa_system_vgpr_workitem_id 0
		.amdhsa_next_free_vgpr 26
		.amdhsa_next_free_sgpr 63
		.amdhsa_reserve_vcc 1
		.amdhsa_reserve_flat_scratch 0
		.amdhsa_float_round_mode_32 0
		.amdhsa_float_round_mode_16_64 0
		.amdhsa_float_denorm_mode_32 3
		.amdhsa_float_denorm_mode_16_64 3
		.amdhsa_dx10_clamp 1
		.amdhsa_ieee_mode 1
		.amdhsa_fp16_overflow 0
		.amdhsa_exception_fp_ieee_invalid_op 0
		.amdhsa_exception_fp_denorm_src 0
		.amdhsa_exception_fp_ieee_div_zero 0
		.amdhsa_exception_fp_ieee_overflow 0
		.amdhsa_exception_fp_ieee_underflow 0
		.amdhsa_exception_fp_ieee_inexact 0
		.amdhsa_exception_int_div_zero 0
	.end_amdhsa_kernel
	.section	.text._ZN2at6native32elementwise_kernel_manual_unrollILi128ELi8EZNS0_22gpu_kernel_impl_nocastINS0_13AUnaryFunctorIN3c1016Float4_e2m1fn_x2ES5_bNS0_12_GLOBAL__N_116CompareEqFunctorIS5_EEEEEEvRNS_18TensorIteratorBaseERKT_EUlibE_EEviT1_,"axG",@progbits,_ZN2at6native32elementwise_kernel_manual_unrollILi128ELi8EZNS0_22gpu_kernel_impl_nocastINS0_13AUnaryFunctorIN3c1016Float4_e2m1fn_x2ES5_bNS0_12_GLOBAL__N_116CompareEqFunctorIS5_EEEEEEvRNS_18TensorIteratorBaseERKT_EUlibE_EEviT1_,comdat
.Lfunc_end386:
	.size	_ZN2at6native32elementwise_kernel_manual_unrollILi128ELi8EZNS0_22gpu_kernel_impl_nocastINS0_13AUnaryFunctorIN3c1016Float4_e2m1fn_x2ES5_bNS0_12_GLOBAL__N_116CompareEqFunctorIS5_EEEEEEvRNS_18TensorIteratorBaseERKT_EUlibE_EEviT1_, .Lfunc_end386-_ZN2at6native32elementwise_kernel_manual_unrollILi128ELi8EZNS0_22gpu_kernel_impl_nocastINS0_13AUnaryFunctorIN3c1016Float4_e2m1fn_x2ES5_bNS0_12_GLOBAL__N_116CompareEqFunctorIS5_EEEEEEvRNS_18TensorIteratorBaseERKT_EUlibE_EEviT1_
                                        ; -- End function
	.set _ZN2at6native32elementwise_kernel_manual_unrollILi128ELi8EZNS0_22gpu_kernel_impl_nocastINS0_13AUnaryFunctorIN3c1016Float4_e2m1fn_x2ES5_bNS0_12_GLOBAL__N_116CompareEqFunctorIS5_EEEEEEvRNS_18TensorIteratorBaseERKT_EUlibE_EEviT1_.num_vgpr, 26
	.set _ZN2at6native32elementwise_kernel_manual_unrollILi128ELi8EZNS0_22gpu_kernel_impl_nocastINS0_13AUnaryFunctorIN3c1016Float4_e2m1fn_x2ES5_bNS0_12_GLOBAL__N_116CompareEqFunctorIS5_EEEEEEvRNS_18TensorIteratorBaseERKT_EUlibE_EEviT1_.num_agpr, 0
	.set _ZN2at6native32elementwise_kernel_manual_unrollILi128ELi8EZNS0_22gpu_kernel_impl_nocastINS0_13AUnaryFunctorIN3c1016Float4_e2m1fn_x2ES5_bNS0_12_GLOBAL__N_116CompareEqFunctorIS5_EEEEEEvRNS_18TensorIteratorBaseERKT_EUlibE_EEviT1_.numbered_sgpr, 63
	.set _ZN2at6native32elementwise_kernel_manual_unrollILi128ELi8EZNS0_22gpu_kernel_impl_nocastINS0_13AUnaryFunctorIN3c1016Float4_e2m1fn_x2ES5_bNS0_12_GLOBAL__N_116CompareEqFunctorIS5_EEEEEEvRNS_18TensorIteratorBaseERKT_EUlibE_EEviT1_.num_named_barrier, 0
	.set _ZN2at6native32elementwise_kernel_manual_unrollILi128ELi8EZNS0_22gpu_kernel_impl_nocastINS0_13AUnaryFunctorIN3c1016Float4_e2m1fn_x2ES5_bNS0_12_GLOBAL__N_116CompareEqFunctorIS5_EEEEEEvRNS_18TensorIteratorBaseERKT_EUlibE_EEviT1_.private_seg_size, 0
	.set _ZN2at6native32elementwise_kernel_manual_unrollILi128ELi8EZNS0_22gpu_kernel_impl_nocastINS0_13AUnaryFunctorIN3c1016Float4_e2m1fn_x2ES5_bNS0_12_GLOBAL__N_116CompareEqFunctorIS5_EEEEEEvRNS_18TensorIteratorBaseERKT_EUlibE_EEviT1_.uses_vcc, 1
	.set _ZN2at6native32elementwise_kernel_manual_unrollILi128ELi8EZNS0_22gpu_kernel_impl_nocastINS0_13AUnaryFunctorIN3c1016Float4_e2m1fn_x2ES5_bNS0_12_GLOBAL__N_116CompareEqFunctorIS5_EEEEEEvRNS_18TensorIteratorBaseERKT_EUlibE_EEviT1_.uses_flat_scratch, 0
	.set _ZN2at6native32elementwise_kernel_manual_unrollILi128ELi8EZNS0_22gpu_kernel_impl_nocastINS0_13AUnaryFunctorIN3c1016Float4_e2m1fn_x2ES5_bNS0_12_GLOBAL__N_116CompareEqFunctorIS5_EEEEEEvRNS_18TensorIteratorBaseERKT_EUlibE_EEviT1_.has_dyn_sized_stack, 0
	.set _ZN2at6native32elementwise_kernel_manual_unrollILi128ELi8EZNS0_22gpu_kernel_impl_nocastINS0_13AUnaryFunctorIN3c1016Float4_e2m1fn_x2ES5_bNS0_12_GLOBAL__N_116CompareEqFunctorIS5_EEEEEEvRNS_18TensorIteratorBaseERKT_EUlibE_EEviT1_.has_recursion, 0
	.set _ZN2at6native32elementwise_kernel_manual_unrollILi128ELi8EZNS0_22gpu_kernel_impl_nocastINS0_13AUnaryFunctorIN3c1016Float4_e2m1fn_x2ES5_bNS0_12_GLOBAL__N_116CompareEqFunctorIS5_EEEEEEvRNS_18TensorIteratorBaseERKT_EUlibE_EEviT1_.has_indirect_call, 0
	.section	.AMDGPU.csdata,"",@progbits
; Kernel info:
; codeLenInByte = 11496
; TotalNumSgprs: 67
; NumVgprs: 26
; ScratchSize: 0
; MemoryBound: 0
; FloatMode: 240
; IeeeMode: 1
; LDSByteSize: 0 bytes/workgroup (compile time only)
; SGPRBlocks: 8
; VGPRBlocks: 6
; NumSGPRsForWavesPerEU: 67
; NumVGPRsForWavesPerEU: 26
; Occupancy: 9
; WaveLimiterHint : 1
; COMPUTE_PGM_RSRC2:SCRATCH_EN: 0
; COMPUTE_PGM_RSRC2:USER_SGPR: 6
; COMPUTE_PGM_RSRC2:TRAP_HANDLER: 0
; COMPUTE_PGM_RSRC2:TGID_X_EN: 1
; COMPUTE_PGM_RSRC2:TGID_Y_EN: 0
; COMPUTE_PGM_RSRC2:TGID_Z_EN: 0
; COMPUTE_PGM_RSRC2:TIDIG_COMP_CNT: 0
	.section	.text._ZN2at6native32elementwise_kernel_manual_unrollILi128ELi4EZNS0_15gpu_kernel_implINS0_13AUnaryFunctorIN3c1016Float4_e2m1fn_x2ES5_bNS0_12_GLOBAL__N_116CompareEqFunctorIS5_EEEEEEvRNS_18TensorIteratorBaseERKT_EUlibE_EEviT1_,"axG",@progbits,_ZN2at6native32elementwise_kernel_manual_unrollILi128ELi4EZNS0_15gpu_kernel_implINS0_13AUnaryFunctorIN3c1016Float4_e2m1fn_x2ES5_bNS0_12_GLOBAL__N_116CompareEqFunctorIS5_EEEEEEvRNS_18TensorIteratorBaseERKT_EUlibE_EEviT1_,comdat
	.globl	_ZN2at6native32elementwise_kernel_manual_unrollILi128ELi4EZNS0_15gpu_kernel_implINS0_13AUnaryFunctorIN3c1016Float4_e2m1fn_x2ES5_bNS0_12_GLOBAL__N_116CompareEqFunctorIS5_EEEEEEvRNS_18TensorIteratorBaseERKT_EUlibE_EEviT1_ ; -- Begin function _ZN2at6native32elementwise_kernel_manual_unrollILi128ELi4EZNS0_15gpu_kernel_implINS0_13AUnaryFunctorIN3c1016Float4_e2m1fn_x2ES5_bNS0_12_GLOBAL__N_116CompareEqFunctorIS5_EEEEEEvRNS_18TensorIteratorBaseERKT_EUlibE_EEviT1_
	.p2align	8
	.type	_ZN2at6native32elementwise_kernel_manual_unrollILi128ELi4EZNS0_15gpu_kernel_implINS0_13AUnaryFunctorIN3c1016Float4_e2m1fn_x2ES5_bNS0_12_GLOBAL__N_116CompareEqFunctorIS5_EEEEEEvRNS_18TensorIteratorBaseERKT_EUlibE_EEviT1_,@function
_ZN2at6native32elementwise_kernel_manual_unrollILi128ELi4EZNS0_15gpu_kernel_implINS0_13AUnaryFunctorIN3c1016Float4_e2m1fn_x2ES5_bNS0_12_GLOBAL__N_116CompareEqFunctorIS5_EEEEEEvRNS_18TensorIteratorBaseERKT_EUlibE_EEviT1_: ; @_ZN2at6native32elementwise_kernel_manual_unrollILi128ELi4EZNS0_15gpu_kernel_implINS0_13AUnaryFunctorIN3c1016Float4_e2m1fn_x2ES5_bNS0_12_GLOBAL__N_116CompareEqFunctorIS5_EEEEEEvRNS_18TensorIteratorBaseERKT_EUlibE_EEviT1_
; %bb.0:
	s_load_dwordx2 s[2:3], s[4:5], 0x24
	s_load_dword s33, s[4:5], 0x0
	s_load_dwordx8 s[8:15], s[4:5], 0x8
	v_lshl_or_b32 v9, s6, 9, v0
	v_or_b32_e32 v0, 0x180, v9
	s_waitcnt lgkmcnt(0)
	s_bfe_u32 s15, s3, 0x80008
	v_cmp_le_i32_e32 vcc, s33, v0
	s_mov_b64 s[4:5], 0
	s_mov_b64 s[16:17], 0
	s_and_saveexec_b64 s[0:1], vcc
	s_xor_b64 s[6:7], exec, s[0:1]
	s_cbranch_execz .LBB387_1011
; %bb.1:
	s_cmp_eq_u32 s14, 0
	s_cselect_b64 s[16:17], -1, 0
	v_cmp_gt_i32_e32 vcc, s33, v9
	s_mov_b64 s[24:25], -1
	s_mov_b64 s[26:27], 0
	s_mov_b64 s[20:21], 0
	;; [unrolled: 1-line block ×3, first 2 shown]
	s_and_saveexec_b64 s[22:23], vcc
	s_cbranch_execz .LBB387_248
; %bb.2:
	v_mul_lo_u32 v0, v9, s13
	v_mov_b32_e32 v1, s11
	s_and_b32 s24, 0xffff, s15
	s_cmp_lt_i32 s24, 11
	v_ashrrev_i32_e32 v2, 31, v0
	v_add_co_u32_e32 v0, vcc, s10, v0
	v_addc_co_u32_e32 v1, vcc, v1, v2, vcc
	s_cbranch_scc1 .LBB387_9
; %bb.3:
	s_cmp_gt_i32 s24, 25
	s_cbranch_scc0 .LBB387_18
; %bb.4:
	s_cmp_gt_i32 s24, 28
	s_cbranch_scc0 .LBB387_22
	;; [unrolled: 3-line block ×4, first 2 shown]
; %bb.7:
	s_cmp_eq_u32 s24, 46
	s_cbranch_scc0 .LBB387_28
; %bb.8:
	global_load_dword v2, v[0:1], off
	s_mov_b64 s[0:1], -1
	s_waitcnt vmcnt(0)
	v_lshlrev_b32_e32 v2, 16, v2
	v_cvt_i32_f32_e32 v2, v2
	s_branch .LBB387_30
.LBB387_9:
                                        ; implicit-def: $vgpr2
	s_mov_b64 s[0:1], 0
	s_cbranch_execnz .LBB387_199
.LBB387_10:
	s_andn2_b64 vcc, exec, s[0:1]
	s_cbranch_vccnz .LBB387_246
.LBB387_11:
	v_mul_lo_u32 v0, v9, s12
	s_and_b32 s0, s2, 0xff
	s_waitcnt vmcnt(0)
	v_cmp_ne_u16_sdwa s[0:1], s0, v2 src0_sel:DWORD src1_sel:BYTE_0
	s_xor_b64 s[18:19], s[16:17], s[0:1]
	v_ashrrev_i32_e32 v1, 31, v0
	v_mov_b32_e32 v2, s9
	s_and_b32 s34, s3, 0xff
	v_add_co_u32_e32 v0, vcc, s8, v0
	s_cmp_lt_i32 s34, 11
	v_addc_co_u32_e32 v1, vcc, v2, v1, vcc
	s_cbranch_scc1 .LBB387_19
; %bb.12:
	s_and_b32 s35, 0xffff, s34
	s_cmp_gt_i32 s35, 25
	s_cbranch_scc0 .LBB387_23
; %bb.13:
	s_cmp_gt_i32 s35, 28
	s_cbranch_scc0 .LBB387_25
; %bb.14:
	;; [unrolled: 3-line block ×4, first 2 shown]
	s_mov_b64 s[28:29], 0
	s_mov_b64 s[0:1], -1
	s_cmp_eq_u32 s35, 46
	s_mov_b64 s[24:25], 0
	s_cbranch_scc0 .LBB387_34
; %bb.17:
	v_cndmask_b32_e64 v2, 0, 1.0, s[18:19]
	v_bfe_u32 v3, v2, 16, 1
	s_movk_i32 s0, 0x7fff
	v_add3_u32 v2, v2, v3, s0
	v_lshrrev_b32_e32 v2, 16, v2
	global_store_dword v[0:1], v2, off
	s_mov_b64 s[24:25], -1
	s_mov_b64 s[0:1], 0
	s_branch .LBB387_34
.LBB387_18:
	s_mov_b64 s[0:1], 0
                                        ; implicit-def: $vgpr2
	s_cbranch_execnz .LBB387_166
	s_branch .LBB387_198
.LBB387_19:
	s_mov_b64 s[0:1], 0
	s_mov_b64 s[24:25], 0
	s_cbranch_execnz .LBB387_103
.LBB387_20:
	s_andn2_b64 vcc, exec, s[24:25]
	s_cbranch_vccnz .LBB387_141
.LBB387_21:
	v_add_u32_e32 v9, 0x80, v9
	s_mov_b64 s[24:25], -1
	s_branch .LBB387_247
.LBB387_22:
	s_mov_b64 s[18:19], -1
	s_mov_b64 s[0:1], 0
                                        ; implicit-def: $vgpr2
	s_branch .LBB387_149
.LBB387_23:
	s_mov_b64 s[28:29], -1
	s_mov_b64 s[0:1], 0
	s_mov_b64 s[24:25], 0
	s_branch .LBB387_61
.LBB387_24:
	s_mov_b64 s[18:19], -1
	s_mov_b64 s[0:1], 0
                                        ; implicit-def: $vgpr2
	s_branch .LBB387_144
.LBB387_25:
	s_mov_b64 s[28:29], -1
	s_mov_b64 s[0:1], 0
	s_mov_b64 s[24:25], 0
	s_branch .LBB387_44
.LBB387_26:
	s_mov_b64 s[18:19], -1
	s_branch .LBB387_29
.LBB387_27:
	s_mov_b64 s[28:29], -1
	s_mov_b64 s[0:1], 0
	s_mov_b64 s[24:25], 0
	s_branch .LBB387_40
.LBB387_28:
	s_mov_b64 s[20:21], -1
.LBB387_29:
	s_mov_b64 s[0:1], 0
                                        ; implicit-def: $vgpr2
.LBB387_30:
	s_and_b64 vcc, exec, s[18:19]
	s_cbranch_vccz .LBB387_143
; %bb.31:
	s_cmp_eq_u32 s24, 44
	s_cbranch_scc0 .LBB387_142
; %bb.32:
	global_load_ubyte v2, v[0:1], off
	s_mov_b64 s[0:1], -1
	s_mov_b64 s[20:21], 0
	s_waitcnt vmcnt(0)
	v_lshlrev_b32_e32 v3, 23, v2
	v_cvt_i32_f32_e32 v3, v3
	v_cmp_ne_u32_e32 vcc, 0, v2
	v_cndmask_b32_e32 v2, 0, v3, vcc
	s_branch .LBB387_143
.LBB387_33:
	s_mov_b64 s[28:29], -1
	s_mov_b64 s[0:1], 0
	s_mov_b64 s[24:25], 0
.LBB387_34:
	s_and_b64 vcc, exec, s[28:29]
	s_cbranch_vccz .LBB387_39
; %bb.35:
	s_cmp_eq_u32 s35, 44
	s_mov_b64 s[0:1], -1
	s_cbranch_scc0 .LBB387_39
; %bb.36:
	v_cndmask_b32_e64 v3, 0, 1.0, s[18:19]
	v_lshrrev_b32_e32 v2, 23, v3
	s_movk_i32 s0, 0xff
	v_cmp_ne_u32_e32 vcc, s0, v2
	v_mov_b32_e32 v4, 0xff
	s_and_saveexec_b64 s[24:25], vcc
; %bb.37:
	s_mov_b32 s0, 0x3fffff
	v_and_b32_e32 v4, 0x400000, v3
	v_and_or_b32 v3, v3, s0, v2
	v_cmp_ne_u32_e32 vcc, 0, v4
	v_cmp_ne_u32_e64 s[0:1], 0, v3
	s_and_b64 s[0:1], vcc, s[0:1]
	v_cndmask_b32_e64 v3, 0, 1, s[0:1]
	v_add_u32_e32 v4, v2, v3
; %bb.38:
	s_or_b64 exec, exec, s[24:25]
	s_mov_b64 s[24:25], -1
	s_mov_b64 s[0:1], 0
	global_store_byte v[0:1], v4, off
.LBB387_39:
	s_mov_b64 s[28:29], 0
.LBB387_40:
	s_and_b64 vcc, exec, s[28:29]
	s_cbranch_vccz .LBB387_43
; %bb.41:
	s_cmp_eq_u32 s35, 29
	s_mov_b64 s[0:1], -1
	s_cbranch_scc0 .LBB387_43
; %bb.42:
	s_mov_b32 s0, 0
	v_cndmask_b32_e64 v2, 0, 1, s[18:19]
	v_mov_b32_e32 v3, s0
	global_store_dwordx2 v[0:1], v[2:3], off
	s_mov_b64 s[24:25], -1
	s_mov_b64 s[0:1], 0
.LBB387_43:
	s_mov_b64 s[28:29], 0
.LBB387_44:
	s_and_b64 vcc, exec, s[28:29]
	s_cbranch_vccz .LBB387_60
; %bb.45:
	s_cmp_lt_i32 s35, 27
	s_mov_b64 s[24:25], -1
	s_cbranch_scc1 .LBB387_51
; %bb.46:
	s_cmp_gt_i32 s35, 27
	s_cbranch_scc0 .LBB387_48
; %bb.47:
	v_cndmask_b32_e64 v2, 0, 1, s[18:19]
	s_mov_b64 s[24:25], 0
	global_store_dword v[0:1], v2, off
.LBB387_48:
	s_andn2_b64 vcc, exec, s[24:25]
	s_cbranch_vccnz .LBB387_50
; %bb.49:
	v_cndmask_b32_e64 v2, 0, 1, s[18:19]
	global_store_short v[0:1], v2, off
.LBB387_50:
	s_mov_b64 s[24:25], 0
.LBB387_51:
	s_andn2_b64 vcc, exec, s[24:25]
	s_cbranch_vccnz .LBB387_59
; %bb.52:
	v_cndmask_b32_e64 v3, 0, 1.0, s[18:19]
	s_mov_b32 s24, 0x43800000
	v_cmp_gt_u32_e32 vcc, s24, v3
	v_mov_b32_e32 v4, 0x80
	s_and_saveexec_b64 s[24:25], vcc
	s_cbranch_execz .LBB387_58
; %bb.53:
	s_mov_b32 s28, 0x3bffffff
	v_cmp_lt_u32_e32 vcc, s28, v3
	s_mov_b64 s[28:29], 0
                                        ; implicit-def: $vgpr2
	s_and_saveexec_b64 s[30:31], vcc
	s_xor_b64 s[30:31], exec, s[30:31]
	s_cbranch_execz .LBB387_275
; %bb.54:
	v_bfe_u32 v2, v3, 20, 1
	s_mov_b32 s36, 0x487ffff
	v_add3_u32 v2, v3, v2, s36
	s_mov_b64 s[28:29], exec
	v_lshrrev_b32_e32 v2, 20, v2
                                        ; implicit-def: $vgpr3
	s_andn2_saveexec_b64 s[30:31], s[30:31]
	s_cbranch_execnz .LBB387_276
.LBB387_55:
	s_or_b64 exec, exec, s[30:31]
	v_mov_b32_e32 v4, 0
	s_and_saveexec_b64 s[30:31], s[28:29]
.LBB387_56:
	v_mov_b32_e32 v4, v2
.LBB387_57:
	s_or_b64 exec, exec, s[30:31]
.LBB387_58:
	s_or_b64 exec, exec, s[24:25]
	global_store_byte v[0:1], v4, off
.LBB387_59:
	s_mov_b64 s[24:25], -1
.LBB387_60:
	s_mov_b64 s[28:29], 0
.LBB387_61:
	s_and_b64 vcc, exec, s[28:29]
	s_cbranch_vccz .LBB387_102
; %bb.62:
	s_cmp_gt_i32 s35, 22
	s_mov_b64 s[28:29], -1
	s_cbranch_scc0 .LBB387_94
; %bb.63:
	s_cmp_lt_i32 s35, 24
	s_mov_b64 s[24:25], -1
	s_cbranch_scc1 .LBB387_83
; %bb.64:
	s_cmp_gt_i32 s35, 24
	s_cbranch_scc0 .LBB387_72
; %bb.65:
	v_cndmask_b32_e64 v3, 0, 1.0, s[18:19]
	s_mov_b32 s24, 0x47800000
	v_cmp_gt_u32_e32 vcc, s24, v3
	v_mov_b32_e32 v4, 0x80
	s_and_saveexec_b64 s[24:25], vcc
	s_cbranch_execz .LBB387_71
; %bb.66:
	s_mov_b32 s28, 0x37ffffff
	v_cmp_lt_u32_e32 vcc, s28, v3
	s_mov_b64 s[28:29], 0
                                        ; implicit-def: $vgpr2
	s_and_saveexec_b64 s[30:31], vcc
	s_xor_b64 s[30:31], exec, s[30:31]
	s_cbranch_execz .LBB387_279
; %bb.67:
	v_bfe_u32 v2, v3, 21, 1
	s_mov_b32 s36, 0x88fffff
	v_add3_u32 v2, v3, v2, s36
	s_mov_b64 s[28:29], exec
	v_lshrrev_b32_e32 v2, 21, v2
                                        ; implicit-def: $vgpr3
	s_andn2_saveexec_b64 s[30:31], s[30:31]
	s_cbranch_execnz .LBB387_280
.LBB387_68:
	s_or_b64 exec, exec, s[30:31]
	v_mov_b32_e32 v4, 0
	s_and_saveexec_b64 s[30:31], s[28:29]
.LBB387_69:
	v_mov_b32_e32 v4, v2
.LBB387_70:
	s_or_b64 exec, exec, s[30:31]
.LBB387_71:
	s_or_b64 exec, exec, s[24:25]
	s_mov_b64 s[24:25], 0
	global_store_byte v[0:1], v4, off
.LBB387_72:
	s_and_b64 vcc, exec, s[24:25]
	s_cbranch_vccz .LBB387_82
; %bb.73:
	v_cndmask_b32_e64 v2, 0, 1.0, s[18:19]
	s_mov_b32 s24, 0x43f00000
	v_cmp_gt_u32_e32 vcc, s24, v2
                                        ; implicit-def: $vgpr3
	s_and_saveexec_b64 s[24:25], vcc
	s_xor_b64 s[24:25], exec, s[24:25]
	s_cbranch_execz .LBB387_79
; %bb.74:
	s_mov_b32 s28, 0x3c7fffff
	v_cmp_lt_u32_e32 vcc, s28, v2
                                        ; implicit-def: $vgpr3
	s_and_saveexec_b64 s[28:29], vcc
	s_xor_b64 s[28:29], exec, s[28:29]
; %bb.75:
	v_bfe_u32 v3, v2, 20, 1
	s_mov_b32 s30, 0x407ffff
	v_add3_u32 v2, v2, v3, s30
	v_lshrrev_b32_e32 v3, 20, v2
	v_and_b32_e32 v2, 0xff00000, v2
	s_mov_b32 s30, 0x7f00000
	v_mov_b32_e32 v4, 0x7e
	v_cmp_ne_u32_e32 vcc, s30, v2
	v_cndmask_b32_e32 v3, v4, v3, vcc
                                        ; implicit-def: $vgpr2
; %bb.76:
	s_andn2_saveexec_b64 s[28:29], s[28:29]
; %bb.77:
	v_add_f32_e32 v3, 0x46800000, v2
; %bb.78:
	s_or_b64 exec, exec, s[28:29]
                                        ; implicit-def: $vgpr2
.LBB387_79:
	s_andn2_saveexec_b64 s[24:25], s[24:25]
; %bb.80:
	s_mov_b32 s28, 0x7f800000
	v_mov_b32_e32 v3, 0x7e
	v_mov_b32_e32 v4, 0x7f
	v_cmp_lt_u32_e32 vcc, s28, v2
	v_cndmask_b32_e32 v3, v3, v4, vcc
; %bb.81:
	s_or_b64 exec, exec, s[24:25]
	global_store_byte v[0:1], v3, off
.LBB387_82:
	s_mov_b64 s[24:25], 0
.LBB387_83:
	s_andn2_b64 vcc, exec, s[24:25]
	s_cbranch_vccnz .LBB387_93
; %bb.84:
	v_cndmask_b32_e64 v2, 0, 1.0, s[18:19]
	s_mov_b32 s24, 0x47800000
	v_cmp_gt_u32_e32 vcc, s24, v2
                                        ; implicit-def: $vgpr3
	s_and_saveexec_b64 s[24:25], vcc
	s_xor_b64 s[24:25], exec, s[24:25]
	s_cbranch_execz .LBB387_90
; %bb.85:
	s_mov_b32 s28, 0x387fffff
	v_cmp_lt_u32_e32 vcc, s28, v2
                                        ; implicit-def: $vgpr3
	s_and_saveexec_b64 s[28:29], vcc
	s_xor_b64 s[28:29], exec, s[28:29]
; %bb.86:
	v_bfe_u32 v3, v2, 21, 1
	s_mov_b32 s30, 0x80fffff
	v_add3_u32 v2, v2, v3, s30
	v_lshrrev_b32_e32 v3, 21, v2
                                        ; implicit-def: $vgpr2
; %bb.87:
	s_andn2_saveexec_b64 s[28:29], s[28:29]
; %bb.88:
	v_add_f32_e32 v3, 0x43000000, v2
; %bb.89:
	s_or_b64 exec, exec, s[28:29]
                                        ; implicit-def: $vgpr2
.LBB387_90:
	s_andn2_saveexec_b64 s[24:25], s[24:25]
; %bb.91:
	s_mov_b32 s28, 0x7f800000
	v_mov_b32_e32 v3, 0x7c
	v_mov_b32_e32 v4, 0x7f
	v_cmp_lt_u32_e32 vcc, s28, v2
	v_cndmask_b32_e32 v3, v3, v4, vcc
; %bb.92:
	s_or_b64 exec, exec, s[24:25]
	global_store_byte v[0:1], v3, off
.LBB387_93:
	s_mov_b64 s[28:29], 0
	s_mov_b64 s[24:25], -1
.LBB387_94:
	s_andn2_b64 vcc, exec, s[28:29]
	s_cbranch_vccnz .LBB387_102
; %bb.95:
	s_cmp_gt_i32 s35, 14
	s_mov_b64 s[28:29], -1
	s_cbranch_scc0 .LBB387_99
; %bb.96:
	s_cmp_eq_u32 s35, 15
	s_mov_b64 s[0:1], -1
	s_cbranch_scc0 .LBB387_98
; %bb.97:
	v_cndmask_b32_e64 v2, 0, 1.0, s[18:19]
	v_bfe_u32 v3, v2, 16, 1
	s_movk_i32 s0, 0x7fff
	v_add3_u32 v2, v2, v3, s0
	global_store_short_d16_hi v[0:1], v2, off
	s_mov_b64 s[24:25], -1
	s_mov_b64 s[0:1], 0
.LBB387_98:
	s_mov_b64 s[28:29], 0
.LBB387_99:
	s_and_b64 vcc, exec, s[28:29]
	s_cbranch_vccz .LBB387_102
; %bb.100:
	s_cmp_eq_u32 s35, 11
	s_mov_b64 s[0:1], -1
	s_cbranch_scc0 .LBB387_102
; %bb.101:
	v_cndmask_b32_e64 v2, 0, 1, s[18:19]
	s_mov_b64 s[24:25], -1
	s_mov_b64 s[0:1], 0
	global_store_byte v[0:1], v2, off
.LBB387_102:
	s_branch .LBB387_20
.LBB387_103:
	s_and_b32 s28, 0xffff, s34
	s_cmp_lt_i32 s28, 5
	s_mov_b64 s[24:25], -1
	s_cbranch_scc1 .LBB387_124
; %bb.104:
	s_cmp_lt_i32 s28, 8
	s_cbranch_scc1 .LBB387_114
; %bb.105:
	s_cmp_lt_i32 s28, 9
	s_cbranch_scc1 .LBB387_111
; %bb.106:
	s_cmp_gt_i32 s28, 9
	s_cbranch_scc0 .LBB387_108
; %bb.107:
	v_cndmask_b32_e64 v2, 0, 1, s[18:19]
	v_cvt_f64_u32_e32 v[2:3], v2
	v_mov_b32_e32 v4, 0
	v_mov_b32_e32 v5, v4
	s_mov_b64 s[24:25], 0
	global_store_dwordx4 v[0:1], v[2:5], off
.LBB387_108:
	s_andn2_b64 vcc, exec, s[24:25]
	s_cbranch_vccnz .LBB387_110
; %bb.109:
	v_cndmask_b32_e64 v2, 0, 1.0, s[18:19]
	v_mov_b32_e32 v3, 0
	global_store_dwordx2 v[0:1], v[2:3], off
.LBB387_110:
	s_mov_b64 s[24:25], 0
.LBB387_111:
	s_andn2_b64 vcc, exec, s[24:25]
	s_cbranch_vccnz .LBB387_113
; %bb.112:
	v_cndmask_b32_e64 v2, 0, 1.0, s[18:19]
	v_cvt_f16_f32_e32 v2, v2
	global_store_dword v[0:1], v2, off
.LBB387_113:
	s_mov_b64 s[24:25], 0
.LBB387_114:
	s_andn2_b64 vcc, exec, s[24:25]
	s_cbranch_vccnz .LBB387_123
; %bb.115:
	s_cmp_lt_i32 s28, 6
	s_mov_b64 s[24:25], -1
	s_cbranch_scc1 .LBB387_121
; %bb.116:
	s_cmp_gt_i32 s28, 6
	s_cbranch_scc0 .LBB387_118
; %bb.117:
	v_cndmask_b32_e64 v2, 0, 1, s[18:19]
	v_cvt_f64_u32_e32 v[2:3], v2
	s_mov_b64 s[24:25], 0
	global_store_dwordx2 v[0:1], v[2:3], off
.LBB387_118:
	s_andn2_b64 vcc, exec, s[24:25]
	s_cbranch_vccnz .LBB387_120
; %bb.119:
	v_cndmask_b32_e64 v2, 0, 1.0, s[18:19]
	global_store_dword v[0:1], v2, off
.LBB387_120:
	s_mov_b64 s[24:25], 0
.LBB387_121:
	s_andn2_b64 vcc, exec, s[24:25]
	s_cbranch_vccnz .LBB387_123
; %bb.122:
	v_cndmask_b32_e64 v2, 0, 1.0, s[18:19]
	v_cvt_f16_f32_e32 v2, v2
	global_store_short v[0:1], v2, off
.LBB387_123:
	s_mov_b64 s[24:25], 0
.LBB387_124:
	s_andn2_b64 vcc, exec, s[24:25]
	s_cbranch_vccnz .LBB387_140
; %bb.125:
	s_cmp_lt_i32 s28, 2
	s_mov_b64 s[24:25], -1
	s_cbranch_scc1 .LBB387_135
; %bb.126:
	s_cmp_lt_i32 s28, 3
	s_cbranch_scc1 .LBB387_132
; %bb.127:
	s_cmp_gt_i32 s28, 3
	s_cbranch_scc0 .LBB387_129
; %bb.128:
	s_mov_b32 s24, 0
	v_cndmask_b32_e64 v2, 0, 1, s[18:19]
	v_mov_b32_e32 v3, s24
	global_store_dwordx2 v[0:1], v[2:3], off
	s_mov_b64 s[24:25], 0
.LBB387_129:
	s_andn2_b64 vcc, exec, s[24:25]
	s_cbranch_vccnz .LBB387_131
; %bb.130:
	v_cndmask_b32_e64 v2, 0, 1, s[18:19]
	global_store_dword v[0:1], v2, off
.LBB387_131:
	s_mov_b64 s[24:25], 0
.LBB387_132:
	s_andn2_b64 vcc, exec, s[24:25]
	s_cbranch_vccnz .LBB387_134
; %bb.133:
	v_cndmask_b32_e64 v2, 0, 1, s[18:19]
	global_store_short v[0:1], v2, off
.LBB387_134:
	s_mov_b64 s[24:25], 0
.LBB387_135:
	s_andn2_b64 vcc, exec, s[24:25]
	s_cbranch_vccnz .LBB387_140
; %bb.136:
	s_mov_b64 s[24:25], -1
	s_cmp_gt_i32 s28, 0
	v_cndmask_b32_e64 v2, 0, 1, s[18:19]
	s_cbranch_scc0 .LBB387_138
; %bb.137:
	global_store_byte v[0:1], v2, off
	s_mov_b64 s[24:25], 0
.LBB387_138:
	s_andn2_b64 vcc, exec, s[24:25]
	s_cbranch_vccnz .LBB387_140
; %bb.139:
	global_store_byte v[0:1], v2, off
.LBB387_140:
	s_branch .LBB387_21
.LBB387_141:
	s_mov_b64 s[24:25], 0
                                        ; implicit-def: $vgpr9
	s_branch .LBB387_247
.LBB387_142:
	s_mov_b64 s[20:21], -1
                                        ; implicit-def: $vgpr2
.LBB387_143:
	s_mov_b64 s[18:19], 0
.LBB387_144:
	s_and_b64 vcc, exec, s[18:19]
	s_cbranch_vccz .LBB387_148
; %bb.145:
	s_cmp_eq_u32 s24, 29
	s_cbranch_scc0 .LBB387_147
; %bb.146:
	global_load_dwordx2 v[2:3], v[0:1], off
	s_mov_b64 s[0:1], -1
	s_mov_b64 s[20:21], 0
	s_branch .LBB387_148
.LBB387_147:
	s_mov_b64 s[20:21], -1
                                        ; implicit-def: $vgpr2
.LBB387_148:
	s_mov_b64 s[18:19], 0
.LBB387_149:
	s_and_b64 vcc, exec, s[18:19]
	s_cbranch_vccz .LBB387_165
; %bb.150:
	s_cmp_lt_i32 s24, 27
	s_cbranch_scc1 .LBB387_153
; %bb.151:
	s_cmp_gt_i32 s24, 27
	s_cbranch_scc0 .LBB387_154
; %bb.152:
	global_load_dword v2, v[0:1], off
	s_mov_b64 s[0:1], 0
	s_branch .LBB387_155
.LBB387_153:
	s_mov_b64 s[0:1], -1
                                        ; implicit-def: $vgpr2
	s_branch .LBB387_158
.LBB387_154:
	s_mov_b64 s[0:1], -1
                                        ; implicit-def: $vgpr2
.LBB387_155:
	s_andn2_b64 vcc, exec, s[0:1]
	s_cbranch_vccnz .LBB387_157
; %bb.156:
	global_load_ushort v2, v[0:1], off
.LBB387_157:
	s_mov_b64 s[0:1], 0
.LBB387_158:
	s_andn2_b64 vcc, exec, s[0:1]
	s_cbranch_vccnz .LBB387_164
; %bb.159:
	global_load_ubyte v3, v[0:1], off
	s_movk_i32 s0, 0x7f
	s_mov_b64 s[18:19], 0
	s_waitcnt vmcnt(0)
	v_cmp_lt_i16_e32 vcc, s0, v3
	s_and_saveexec_b64 s[0:1], vcc
	s_xor_b64 s[0:1], exec, s[0:1]
	s_cbranch_execz .LBB387_175
; %bb.160:
	s_movk_i32 s18, 0x80
	v_cmp_ne_u16_e32 vcc, s18, v3
	s_and_b64 s[18:19], vcc, exec
	s_andn2_saveexec_b64 s[0:1], s[0:1]
	s_cbranch_execnz .LBB387_176
.LBB387_161:
	s_or_b64 exec, exec, s[0:1]
	v_mov_b32_e32 v2, 0
	s_and_saveexec_b64 s[0:1], s[18:19]
	s_cbranch_execz .LBB387_163
.LBB387_162:
	v_lshlrev_b32_e32 v2, 24, v3
	v_and_b32_e32 v3, 0xffff, v3
	v_and_b32_e32 v4, 7, v3
	v_ffbh_u32_e32 v6, v4
	v_min_u32_e32 v6, 32, v6
	v_subrev_u32_e32 v7, 28, v6
	v_bfe_u32 v5, v3, 3, 4
	v_lshlrev_b32_e32 v3, v7, v3
	v_sub_u32_e32 v6, 29, v6
	v_and_b32_e32 v3, 7, v3
	v_cmp_eq_u32_e32 vcc, 0, v5
	v_cndmask_b32_e32 v5, v5, v6, vcc
	v_cndmask_b32_e32 v3, v4, v3, vcc
	v_mov_b32_e32 v4, 0x3b800000
	v_lshlrev_b32_e32 v3, 20, v3
	v_and_b32_e32 v2, 0x80000000, v2
	v_lshl_add_u32 v4, v5, 23, v4
	v_or3_b32 v2, v2, v4, v3
	v_cvt_i32_f32_e32 v2, v2
.LBB387_163:
	s_or_b64 exec, exec, s[0:1]
.LBB387_164:
	s_mov_b64 s[0:1], -1
.LBB387_165:
	s_branch .LBB387_198
.LBB387_166:
	s_cmp_gt_i32 s24, 22
	s_cbranch_scc0 .LBB387_174
; %bb.167:
	s_cmp_lt_i32 s24, 24
	s_cbranch_scc1 .LBB387_177
; %bb.168:
	s_cmp_gt_i32 s24, 24
	s_cbranch_scc0 .LBB387_178
; %bb.169:
	global_load_ubyte v3, v[0:1], off
	s_movk_i32 s0, 0x7f
	s_mov_b64 s[18:19], 0
	s_waitcnt vmcnt(0)
	v_cmp_lt_i16_e32 vcc, s0, v3
	s_and_saveexec_b64 s[0:1], vcc
	s_xor_b64 s[0:1], exec, s[0:1]
	s_cbranch_execz .LBB387_190
; %bb.170:
	s_movk_i32 s18, 0x80
	v_cmp_ne_u16_e32 vcc, s18, v3
	s_and_b64 s[18:19], vcc, exec
	s_andn2_saveexec_b64 s[0:1], s[0:1]
	s_cbranch_execnz .LBB387_191
.LBB387_171:
	s_or_b64 exec, exec, s[0:1]
	v_mov_b32_e32 v2, 0
	s_and_saveexec_b64 s[0:1], s[18:19]
	s_cbranch_execz .LBB387_173
.LBB387_172:
	v_lshlrev_b32_e32 v2, 24, v3
	v_and_b32_e32 v3, 0xffff, v3
	v_and_b32_e32 v4, 3, v3
	v_ffbh_u32_e32 v6, v4
	v_min_u32_e32 v6, 32, v6
	v_subrev_u32_e32 v7, 29, v6
	v_bfe_u32 v5, v3, 2, 5
	v_lshlrev_b32_e32 v3, v7, v3
	v_sub_u32_e32 v6, 30, v6
	v_and_b32_e32 v3, 3, v3
	v_cmp_eq_u32_e32 vcc, 0, v5
	v_cndmask_b32_e32 v5, v5, v6, vcc
	v_cndmask_b32_e32 v3, v4, v3, vcc
	v_mov_b32_e32 v4, 0x37800000
	v_lshlrev_b32_e32 v3, 21, v3
	v_and_b32_e32 v2, 0x80000000, v2
	v_lshl_add_u32 v4, v5, 23, v4
	v_or3_b32 v2, v2, v4, v3
	v_cvt_i32_f32_e32 v2, v2
.LBB387_173:
	s_or_b64 exec, exec, s[0:1]
	s_mov_b64 s[0:1], 0
	s_branch .LBB387_179
.LBB387_174:
	s_mov_b64 s[18:19], -1
                                        ; implicit-def: $vgpr2
	s_branch .LBB387_185
.LBB387_175:
	s_andn2_saveexec_b64 s[0:1], s[0:1]
	s_cbranch_execz .LBB387_161
.LBB387_176:
	v_cmp_ne_u16_e32 vcc, 0, v3
	s_andn2_b64 s[18:19], s[18:19], exec
	s_and_b64 s[28:29], vcc, exec
	s_or_b64 s[18:19], s[18:19], s[28:29]
	s_or_b64 exec, exec, s[0:1]
	v_mov_b32_e32 v2, 0
	s_and_saveexec_b64 s[0:1], s[18:19]
	s_cbranch_execnz .LBB387_162
	s_branch .LBB387_163
.LBB387_177:
	s_mov_b64 s[0:1], -1
                                        ; implicit-def: $vgpr2
	s_branch .LBB387_182
.LBB387_178:
	s_mov_b64 s[0:1], -1
                                        ; implicit-def: $vgpr2
.LBB387_179:
	s_and_b64 vcc, exec, s[0:1]
	s_cbranch_vccz .LBB387_181
; %bb.180:
	global_load_ubyte v2, v[0:1], off
	s_mov_b32 s0, 0x7f800000
	s_waitcnt vmcnt(0)
	v_lshlrev_b32_e32 v2, 24, v2
	v_and_b32_e32 v3, 0x7f000000, v2
	v_ffbh_u32_e32 v4, v3
	v_min_u32_e32 v4, 32, v4
	v_sub_u32_e64 v4, v4, 4 clamp
	v_lshlrev_b32_e32 v6, v4, v3
	v_lshlrev_b32_e32 v4, 23, v4
	v_lshrrev_b32_e32 v6, 4, v6
	v_add_u32_e32 v5, 0x1000000, v3
	v_sub_u32_e32 v4, v6, v4
	v_ashrrev_i32_e32 v5, 8, v5
	v_add_u32_e32 v4, 0x3c000000, v4
	v_and_or_b32 v4, v5, s0, v4
	v_cmp_ne_u32_e32 vcc, 0, v3
	v_cndmask_b32_e32 v3, 0, v4, vcc
	s_brev_b32 s0, 1
	v_and_or_b32 v2, v2, s0, v3
	v_cvt_i32_f32_e32 v2, v2
.LBB387_181:
	s_mov_b64 s[0:1], 0
.LBB387_182:
	s_andn2_b64 vcc, exec, s[0:1]
	s_cbranch_vccnz .LBB387_184
; %bb.183:
	global_load_ubyte v2, v[0:1], off
	s_movk_i32 s0, 0x7f00
	s_brev_b32 s1, 16
	s_waitcnt vmcnt(0)
	v_lshlrev_b16_e32 v3, 8, v2
	v_lshlrev_b32_e32 v2, 25, v2
	v_lshrrev_b32_e32 v4, 4, v2
	v_and_or_b32 v5, v3, s0, 0.5
	v_or_b32_e32 v4, 0x70000000, v4
	v_add_f32_e32 v5, -0.5, v5
	v_mul_f32_e32 v4, 0x7800000, v4
	v_cmp_gt_u32_e32 vcc, s1, v2
	v_bfe_i32 v3, v3, 0, 16
	v_cndmask_b32_e32 v2, v4, v5, vcc
	s_brev_b32 s0, 1
	v_and_or_b32 v2, v3, s0, v2
	v_cvt_i32_f32_e32 v2, v2
.LBB387_184:
	s_mov_b64 s[18:19], 0
	s_mov_b64 s[0:1], -1
.LBB387_185:
	s_andn2_b64 vcc, exec, s[18:19]
	s_cbranch_vccnz .LBB387_198
; %bb.186:
	s_cmp_gt_i32 s24, 14
	s_cbranch_scc0 .LBB387_189
; %bb.187:
	s_cmp_eq_u32 s24, 15
	s_cbranch_scc0 .LBB387_192
; %bb.188:
	global_load_ushort v2, v[0:1], off
	s_mov_b64 s[0:1], -1
	s_mov_b64 s[20:21], 0
	s_waitcnt vmcnt(0)
	v_lshlrev_b32_e32 v2, 16, v2
	v_cvt_i32_f32_e32 v2, v2
	s_branch .LBB387_193
.LBB387_189:
	s_mov_b64 s[18:19], -1
                                        ; implicit-def: $vgpr2
	s_branch .LBB387_194
.LBB387_190:
	s_andn2_saveexec_b64 s[0:1], s[0:1]
	s_cbranch_execz .LBB387_171
.LBB387_191:
	v_cmp_ne_u16_e32 vcc, 0, v3
	s_andn2_b64 s[18:19], s[18:19], exec
	s_and_b64 s[28:29], vcc, exec
	s_or_b64 s[18:19], s[18:19], s[28:29]
	s_or_b64 exec, exec, s[0:1]
	v_mov_b32_e32 v2, 0
	s_and_saveexec_b64 s[0:1], s[18:19]
	s_cbranch_execnz .LBB387_172
	s_branch .LBB387_173
.LBB387_192:
	s_mov_b64 s[20:21], -1
                                        ; implicit-def: $vgpr2
.LBB387_193:
	s_mov_b64 s[18:19], 0
.LBB387_194:
	s_and_b64 vcc, exec, s[18:19]
	s_cbranch_vccz .LBB387_198
; %bb.195:
	s_cmp_eq_u32 s24, 11
	s_cbranch_scc0 .LBB387_197
; %bb.196:
	global_load_ubyte v2, v[0:1], off
	s_mov_b64 s[0:1], -1
	s_mov_b64 s[20:21], 0
	s_waitcnt vmcnt(0)
	v_cmp_ne_u16_e32 vcc, 0, v2
	v_cndmask_b32_e64 v2, 0, 1, vcc
	s_branch .LBB387_198
.LBB387_197:
	s_mov_b64 s[20:21], -1
                                        ; implicit-def: $vgpr2
.LBB387_198:
	s_branch .LBB387_10
.LBB387_199:
	s_cmp_lt_i32 s24, 5
	s_cbranch_scc1 .LBB387_204
; %bb.200:
	s_cmp_lt_i32 s24, 8
	s_cbranch_scc1 .LBB387_205
; %bb.201:
	;; [unrolled: 3-line block ×3, first 2 shown]
	s_cmp_gt_i32 s24, 9
	s_cbranch_scc0 .LBB387_207
; %bb.203:
	global_load_dwordx2 v[2:3], v[0:1], off
	s_mov_b64 s[0:1], 0
	s_waitcnt vmcnt(0)
	v_cvt_i32_f64_e32 v2, v[2:3]
	s_branch .LBB387_208
.LBB387_204:
                                        ; implicit-def: $vgpr2
	s_branch .LBB387_226
.LBB387_205:
	s_mov_b64 s[0:1], -1
                                        ; implicit-def: $vgpr2
	s_branch .LBB387_214
.LBB387_206:
	s_mov_b64 s[0:1], -1
                                        ; implicit-def: $vgpr2
	s_branch .LBB387_211
.LBB387_207:
	s_mov_b64 s[0:1], -1
                                        ; implicit-def: $vgpr2
.LBB387_208:
	s_andn2_b64 vcc, exec, s[0:1]
	s_cbranch_vccnz .LBB387_210
; %bb.209:
	global_load_dword v2, v[0:1], off
	s_waitcnt vmcnt(0)
	v_cvt_i32_f32_e32 v2, v2
.LBB387_210:
	s_mov_b64 s[0:1], 0
.LBB387_211:
	s_andn2_b64 vcc, exec, s[0:1]
	s_cbranch_vccnz .LBB387_213
; %bb.212:
	global_load_dword v2, v[0:1], off
	s_waitcnt vmcnt(0)
	v_cvt_i16_f16_e32 v2, v2
.LBB387_213:
	s_mov_b64 s[0:1], 0
.LBB387_214:
	s_andn2_b64 vcc, exec, s[0:1]
	s_cbranch_vccnz .LBB387_225
; %bb.215:
	s_cmp_lt_i32 s24, 6
	s_cbranch_scc1 .LBB387_218
; %bb.216:
	s_cmp_gt_i32 s24, 6
	s_cbranch_scc0 .LBB387_219
; %bb.217:
	global_load_dwordx2 v[2:3], v[0:1], off
	s_mov_b64 s[0:1], 0
	s_waitcnt vmcnt(0)
	v_cvt_i32_f64_e32 v2, v[2:3]
	s_branch .LBB387_220
.LBB387_218:
	s_mov_b64 s[0:1], -1
                                        ; implicit-def: $vgpr2
	s_branch .LBB387_223
.LBB387_219:
	s_mov_b64 s[0:1], -1
                                        ; implicit-def: $vgpr2
.LBB387_220:
	s_andn2_b64 vcc, exec, s[0:1]
	s_cbranch_vccnz .LBB387_222
; %bb.221:
	global_load_dword v2, v[0:1], off
	s_waitcnt vmcnt(0)
	v_cvt_i32_f32_e32 v2, v2
.LBB387_222:
	s_mov_b64 s[0:1], 0
.LBB387_223:
	s_andn2_b64 vcc, exec, s[0:1]
	s_cbranch_vccnz .LBB387_225
; %bb.224:
	global_load_ushort v2, v[0:1], off
	s_waitcnt vmcnt(0)
	v_cvt_i16_f16_e32 v2, v2
.LBB387_225:
	s_cbranch_execnz .LBB387_245
.LBB387_226:
	s_cmp_lt_i32 s24, 2
	s_cbranch_scc1 .LBB387_230
; %bb.227:
	s_cmp_lt_i32 s24, 3
	s_cbranch_scc1 .LBB387_231
; %bb.228:
	s_cmp_gt_i32 s24, 3
	s_cbranch_scc0 .LBB387_232
; %bb.229:
	global_load_dwordx2 v[2:3], v[0:1], off
	s_mov_b64 s[0:1], 0
	s_branch .LBB387_233
.LBB387_230:
	s_mov_b64 s[0:1], -1
                                        ; implicit-def: $vgpr2
	s_branch .LBB387_239
.LBB387_231:
	s_mov_b64 s[0:1], -1
                                        ; implicit-def: $vgpr2
	s_branch .LBB387_236
.LBB387_232:
	s_mov_b64 s[0:1], -1
                                        ; implicit-def: $vgpr2
.LBB387_233:
	s_andn2_b64 vcc, exec, s[0:1]
	s_cbranch_vccnz .LBB387_235
; %bb.234:
	global_load_dword v2, v[0:1], off
.LBB387_235:
	s_mov_b64 s[0:1], 0
.LBB387_236:
	s_andn2_b64 vcc, exec, s[0:1]
	s_cbranch_vccnz .LBB387_238
; %bb.237:
	global_load_ushort v2, v[0:1], off
.LBB387_238:
	s_mov_b64 s[0:1], 0
.LBB387_239:
	s_andn2_b64 vcc, exec, s[0:1]
	s_cbranch_vccnz .LBB387_245
; %bb.240:
	s_cmp_gt_i32 s24, 0
	s_cbranch_scc0 .LBB387_242
; %bb.241:
	global_load_ubyte v2, v[0:1], off
	s_mov_b64 s[0:1], 0
	s_branch .LBB387_243
.LBB387_242:
	s_mov_b64 s[0:1], -1
                                        ; implicit-def: $vgpr2
.LBB387_243:
	s_andn2_b64 vcc, exec, s[0:1]
	s_cbranch_vccnz .LBB387_245
; %bb.244:
	global_load_ubyte v2, v[0:1], off
.LBB387_245:
	s_branch .LBB387_11
.LBB387_246:
	s_mov_b64 s[0:1], 0
                                        ; implicit-def: $vgpr9
	s_mov_b64 s[24:25], 0
.LBB387_247:
	s_and_b64 s[18:19], s[0:1], exec
	s_and_b64 s[20:21], s[20:21], exec
	s_orn2_b64 s[24:25], s[24:25], exec
.LBB387_248:
	s_or_b64 exec, exec, s[22:23]
	s_mov_b64 s[28:29], 0
	s_mov_b64 s[0:1], 0
                                        ; implicit-def: $vgpr0_vgpr1
                                        ; implicit-def: $vgpr2
	s_and_saveexec_b64 s[22:23], s[24:25]
	s_cbranch_execz .LBB387_257
; %bb.249:
	v_cmp_gt_i32_e32 vcc, s33, v9
	s_mov_b64 s[0:1], -1
	s_mov_b64 s[24:25], s[20:21]
	s_mov_b64 s[26:27], s[18:19]
	s_and_saveexec_b64 s[28:29], vcc
	s_cbranch_execz .LBB387_505
; %bb.250:
	v_mul_lo_u32 v0, v9, s13
	v_mov_b32_e32 v1, s11
	s_and_b32 s30, 0xffff, s15
	s_cmp_lt_i32 s30, 11
	s_waitcnt vmcnt(0)
	v_ashrrev_i32_e32 v2, 31, v0
	v_add_co_u32_e32 v0, vcc, s10, v0
	v_addc_co_u32_e32 v1, vcc, v1, v2, vcc
	s_cbranch_scc1 .LBB387_260
; %bb.251:
	s_cmp_gt_i32 s30, 25
	s_cbranch_scc0 .LBB387_269
; %bb.252:
	s_cmp_gt_i32 s30, 28
	s_cbranch_scc0 .LBB387_271
	;; [unrolled: 3-line block ×4, first 2 shown]
; %bb.255:
	s_cmp_eq_u32 s30, 46
	s_mov_b64 s[26:27], 0
	s_cbranch_scc0 .LBB387_281
; %bb.256:
	global_load_dword v2, v[0:1], off
	s_mov_b64 s[24:25], 0
	s_waitcnt vmcnt(0)
	v_lshlrev_b32_e32 v2, 16, v2
	v_cvt_i32_f32_e32 v2, v2
	s_branch .LBB387_282
.LBB387_257:
	s_or_b64 exec, exec, s[22:23]
	s_mov_b64 s[22:23], 0
	s_and_saveexec_b64 s[24:25], s[20:21]
	s_cbranch_execnz .LBB387_843
.LBB387_258:
	s_or_b64 exec, exec, s[24:25]
	s_and_saveexec_b64 s[20:21], s[26:27]
	s_xor_b64 s[20:21], exec, s[20:21]
	s_cbranch_execz .LBB387_844
.LBB387_259:
	global_load_ubyte v2, v[0:1], off
	s_or_b64 s[0:1], s[0:1], exec
	s_waitcnt vmcnt(0)
	v_cmp_ne_u16_e32 vcc, 0, v2
	v_cndmask_b32_e64 v2, 0, 1, vcc
	s_or_b64 exec, exec, s[20:21]
	s_and_saveexec_b64 s[20:21], s[28:29]
	s_cbranch_execz .LBB387_890
	s_branch .LBB387_845
.LBB387_260:
	s_mov_b64 s[0:1], 0
                                        ; implicit-def: $vgpr2
	s_mov_b64 s[24:25], s[20:21]
	s_cbranch_execnz .LBB387_455
.LBB387_261:
	s_andn2_b64 vcc, exec, s[0:1]
	s_cbranch_vccnz .LBB387_503
.LBB387_262:
	v_mul_lo_u32 v0, v9, s12
	s_and_b32 s0, s2, 0xff
	s_waitcnt vmcnt(0)
	v_cmp_ne_u16_sdwa s[0:1], s0, v2 src0_sel:DWORD src1_sel:BYTE_0
	s_xor_b64 s[26:27], s[16:17], s[0:1]
	v_ashrrev_i32_e32 v1, 31, v0
	v_mov_b32_e32 v2, s9
	s_and_b32 s38, s3, 0xff
	v_add_co_u32_e32 v0, vcc, s8, v0
	s_cmp_lt_i32 s38, 11
	v_addc_co_u32_e32 v1, vcc, v2, v1, vcc
	s_cbranch_scc1 .LBB387_270
; %bb.263:
	s_and_b32 s39, 0xffff, s38
	s_cmp_gt_i32 s39, 25
	s_cbranch_scc0 .LBB387_272
; %bb.264:
	s_cmp_gt_i32 s39, 28
	s_cbranch_scc0 .LBB387_274
; %bb.265:
	;; [unrolled: 3-line block ×4, first 2 shown]
	s_mov_b64 s[34:35], 0
	s_mov_b64 s[0:1], -1
	s_cmp_eq_u32 s39, 46
	s_mov_b64 s[30:31], 0
	s_cbranch_scc0 .LBB387_286
; %bb.268:
	v_cndmask_b32_e64 v2, 0, 1.0, s[26:27]
	v_bfe_u32 v3, v2, 16, 1
	s_movk_i32 s0, 0x7fff
	v_add3_u32 v2, v2, v3, s0
	v_lshrrev_b32_e32 v2, 16, v2
	global_store_dword v[0:1], v2, off
	s_mov_b64 s[30:31], -1
	s_mov_b64 s[0:1], 0
	s_branch .LBB387_286
.LBB387_269:
	s_mov_b64 s[26:27], -1
	s_mov_b64 s[0:1], 0
	s_mov_b64 s[24:25], s[20:21]
                                        ; implicit-def: $vgpr2
	s_branch .LBB387_421
.LBB387_270:
	s_mov_b64 s[34:35], -1
	s_mov_b64 s[30:31], 0
	s_mov_b64 s[0:1], s[18:19]
	s_branch .LBB387_355
.LBB387_271:
	s_mov_b64 s[26:27], -1
	s_mov_b64 s[0:1], 0
	s_mov_b64 s[24:25], s[20:21]
                                        ; implicit-def: $vgpr2
	s_branch .LBB387_404
.LBB387_272:
	s_mov_b64 s[34:35], -1
	s_mov_b64 s[30:31], 0
	s_mov_b64 s[0:1], s[18:19]
	s_branch .LBB387_313
.LBB387_273:
	s_mov_b64 s[26:27], -1
	s_mov_b64 s[0:1], 0
	s_mov_b64 s[24:25], s[20:21]
                                        ; implicit-def: $vgpr2
	s_branch .LBB387_399
.LBB387_274:
	s_mov_b64 s[34:35], -1
	s_mov_b64 s[30:31], 0
	s_mov_b64 s[0:1], s[18:19]
	s_branch .LBB387_296
.LBB387_275:
	s_andn2_saveexec_b64 s[30:31], s[30:31]
	s_cbranch_execz .LBB387_55
.LBB387_276:
	v_add_f32_e32 v2, 0x46000000, v3
	v_and_b32_e32 v2, 0xff, v2
	v_cmp_ne_u32_e32 vcc, 0, v2
	s_andn2_b64 s[28:29], s[28:29], exec
	s_and_b64 s[36:37], vcc, exec
	s_or_b64 s[28:29], s[28:29], s[36:37]
	s_or_b64 exec, exec, s[30:31]
	v_mov_b32_e32 v4, 0
	s_and_saveexec_b64 s[30:31], s[28:29]
	s_cbranch_execnz .LBB387_56
	s_branch .LBB387_57
.LBB387_277:
	s_mov_b64 s[26:27], -1
	s_mov_b64 s[0:1], 0
	s_mov_b64 s[24:25], s[20:21]
                                        ; implicit-def: $vgpr2
	s_branch .LBB387_282
.LBB387_278:
	s_mov_b64 s[34:35], -1
	s_mov_b64 s[30:31], 0
	s_mov_b64 s[0:1], s[18:19]
	s_branch .LBB387_292
.LBB387_279:
	s_andn2_saveexec_b64 s[30:31], s[30:31]
	s_cbranch_execz .LBB387_68
.LBB387_280:
	v_add_f32_e32 v2, 0x42800000, v3
	v_and_b32_e32 v2, 0xff, v2
	v_cmp_ne_u32_e32 vcc, 0, v2
	s_andn2_b64 s[28:29], s[28:29], exec
	s_and_b64 s[36:37], vcc, exec
	s_or_b64 s[28:29], s[28:29], s[36:37]
	s_or_b64 exec, exec, s[30:31]
	v_mov_b32_e32 v4, 0
	s_and_saveexec_b64 s[30:31], s[28:29]
	s_cbranch_execnz .LBB387_69
	s_branch .LBB387_70
.LBB387_281:
	s_mov_b64 s[24:25], -1
                                        ; implicit-def: $vgpr2
	s_mov_b64 s[0:1], 0
.LBB387_282:
	s_and_b64 vcc, exec, s[26:27]
	s_cbranch_vccz .LBB387_398
; %bb.283:
	s_cmp_eq_u32 s30, 44
	s_cbranch_scc0 .LBB387_397
; %bb.284:
	global_load_ubyte v2, v[0:1], off
	s_mov_b64 s[0:1], -1
	s_mov_b64 s[24:25], 0
	s_waitcnt vmcnt(0)
	v_lshlrev_b32_e32 v3, 23, v2
	v_cvt_i32_f32_e32 v3, v3
	v_cmp_ne_u32_e32 vcc, 0, v2
	v_cndmask_b32_e32 v2, 0, v3, vcc
	s_branch .LBB387_398
.LBB387_285:
	s_mov_b64 s[34:35], -1
	s_mov_b64 s[30:31], 0
	s_mov_b64 s[0:1], s[18:19]
.LBB387_286:
	s_and_b64 vcc, exec, s[34:35]
	s_cbranch_vccz .LBB387_291
; %bb.287:
	s_cmp_eq_u32 s39, 44
	s_mov_b64 s[0:1], -1
	s_cbranch_scc0 .LBB387_291
; %bb.288:
	v_cndmask_b32_e64 v3, 0, 1.0, s[26:27]
	v_lshrrev_b32_e32 v2, 23, v3
	s_movk_i32 s0, 0xff
	v_cmp_ne_u32_e32 vcc, s0, v2
	v_mov_b32_e32 v4, 0xff
	s_and_saveexec_b64 s[30:31], vcc
; %bb.289:
	s_mov_b32 s0, 0x3fffff
	v_and_b32_e32 v4, 0x400000, v3
	v_and_or_b32 v3, v3, s0, v2
	v_cmp_ne_u32_e32 vcc, 0, v4
	v_cmp_ne_u32_e64 s[0:1], 0, v3
	s_and_b64 s[0:1], vcc, s[0:1]
	v_cndmask_b32_e64 v3, 0, 1, s[0:1]
	v_add_u32_e32 v4, v2, v3
; %bb.290:
	s_or_b64 exec, exec, s[30:31]
	s_mov_b64 s[30:31], -1
	s_mov_b64 s[0:1], 0
	global_store_byte v[0:1], v4, off
.LBB387_291:
	s_mov_b64 s[34:35], 0
.LBB387_292:
	s_and_b64 vcc, exec, s[34:35]
	s_cbranch_vccz .LBB387_295
; %bb.293:
	s_cmp_eq_u32 s39, 29
	s_mov_b64 s[0:1], -1
	s_cbranch_scc0 .LBB387_295
; %bb.294:
	s_mov_b32 s0, 0
	v_cndmask_b32_e64 v2, 0, 1, s[26:27]
	v_mov_b32_e32 v3, s0
	global_store_dwordx2 v[0:1], v[2:3], off
	s_mov_b64 s[30:31], -1
	s_mov_b64 s[0:1], 0
.LBB387_295:
	s_mov_b64 s[34:35], 0
.LBB387_296:
	s_and_b64 vcc, exec, s[34:35]
	s_cbranch_vccz .LBB387_312
; %bb.297:
	s_cmp_lt_i32 s39, 27
	s_mov_b64 s[30:31], -1
	s_cbranch_scc1 .LBB387_303
; %bb.298:
	s_cmp_gt_i32 s39, 27
	s_cbranch_scc0 .LBB387_300
; %bb.299:
	v_cndmask_b32_e64 v2, 0, 1, s[26:27]
	s_mov_b64 s[30:31], 0
	global_store_dword v[0:1], v2, off
.LBB387_300:
	s_andn2_b64 vcc, exec, s[30:31]
	s_cbranch_vccnz .LBB387_302
; %bb.301:
	v_cndmask_b32_e64 v2, 0, 1, s[26:27]
	global_store_short v[0:1], v2, off
.LBB387_302:
	s_mov_b64 s[30:31], 0
.LBB387_303:
	s_andn2_b64 vcc, exec, s[30:31]
	s_cbranch_vccnz .LBB387_311
; %bb.304:
	v_cndmask_b32_e64 v3, 0, 1.0, s[26:27]
	s_mov_b32 s30, 0x43800000
	v_cmp_gt_u32_e32 vcc, s30, v3
	v_mov_b32_e32 v4, 0x80
	s_and_saveexec_b64 s[30:31], vcc
	s_cbranch_execz .LBB387_310
; %bb.305:
	s_mov_b32 s34, 0x3bffffff
	v_cmp_lt_u32_e32 vcc, s34, v3
	s_mov_b64 s[34:35], 0
                                        ; implicit-def: $vgpr2
	s_and_saveexec_b64 s[36:37], vcc
	s_xor_b64 s[36:37], exec, s[36:37]
	s_cbranch_execz .LBB387_518
; %bb.306:
	v_bfe_u32 v2, v3, 20, 1
	s_mov_b32 s40, 0x487ffff
	v_add3_u32 v2, v3, v2, s40
	s_mov_b64 s[34:35], exec
	v_lshrrev_b32_e32 v2, 20, v2
                                        ; implicit-def: $vgpr3
	s_andn2_saveexec_b64 s[36:37], s[36:37]
	s_cbranch_execnz .LBB387_519
.LBB387_307:
	s_or_b64 exec, exec, s[36:37]
	v_mov_b32_e32 v4, 0
	s_and_saveexec_b64 s[36:37], s[34:35]
.LBB387_308:
	v_mov_b32_e32 v4, v2
.LBB387_309:
	s_or_b64 exec, exec, s[36:37]
.LBB387_310:
	s_or_b64 exec, exec, s[30:31]
	global_store_byte v[0:1], v4, off
.LBB387_311:
	s_mov_b64 s[30:31], -1
.LBB387_312:
	s_mov_b64 s[34:35], 0
.LBB387_313:
	s_and_b64 vcc, exec, s[34:35]
	s_cbranch_vccz .LBB387_354
; %bb.314:
	s_cmp_gt_i32 s39, 22
	s_mov_b64 s[34:35], -1
	s_cbranch_scc0 .LBB387_346
; %bb.315:
	s_cmp_lt_i32 s39, 24
	s_mov_b64 s[30:31], -1
	s_cbranch_scc1 .LBB387_335
; %bb.316:
	s_cmp_gt_i32 s39, 24
	s_cbranch_scc0 .LBB387_324
; %bb.317:
	v_cndmask_b32_e64 v3, 0, 1.0, s[26:27]
	s_mov_b32 s30, 0x47800000
	v_cmp_gt_u32_e32 vcc, s30, v3
	v_mov_b32_e32 v4, 0x80
	s_and_saveexec_b64 s[30:31], vcc
	s_cbranch_execz .LBB387_323
; %bb.318:
	s_mov_b32 s34, 0x37ffffff
	v_cmp_lt_u32_e32 vcc, s34, v3
	s_mov_b64 s[34:35], 0
                                        ; implicit-def: $vgpr2
	s_and_saveexec_b64 s[36:37], vcc
	s_xor_b64 s[36:37], exec, s[36:37]
	s_cbranch_execz .LBB387_521
; %bb.319:
	v_bfe_u32 v2, v3, 21, 1
	s_mov_b32 s40, 0x88fffff
	v_add3_u32 v2, v3, v2, s40
	s_mov_b64 s[34:35], exec
	v_lshrrev_b32_e32 v2, 21, v2
                                        ; implicit-def: $vgpr3
	s_andn2_saveexec_b64 s[36:37], s[36:37]
	s_cbranch_execnz .LBB387_522
.LBB387_320:
	s_or_b64 exec, exec, s[36:37]
	v_mov_b32_e32 v4, 0
	s_and_saveexec_b64 s[36:37], s[34:35]
.LBB387_321:
	v_mov_b32_e32 v4, v2
.LBB387_322:
	s_or_b64 exec, exec, s[36:37]
.LBB387_323:
	s_or_b64 exec, exec, s[30:31]
	s_mov_b64 s[30:31], 0
	global_store_byte v[0:1], v4, off
.LBB387_324:
	s_and_b64 vcc, exec, s[30:31]
	s_cbranch_vccz .LBB387_334
; %bb.325:
	v_cndmask_b32_e64 v2, 0, 1.0, s[26:27]
	s_mov_b32 s30, 0x43f00000
	v_cmp_gt_u32_e32 vcc, s30, v2
                                        ; implicit-def: $vgpr3
	s_and_saveexec_b64 s[30:31], vcc
	s_xor_b64 s[30:31], exec, s[30:31]
	s_cbranch_execz .LBB387_331
; %bb.326:
	s_mov_b32 s34, 0x3c7fffff
	v_cmp_lt_u32_e32 vcc, s34, v2
                                        ; implicit-def: $vgpr3
	s_and_saveexec_b64 s[34:35], vcc
	s_xor_b64 s[34:35], exec, s[34:35]
; %bb.327:
	v_bfe_u32 v3, v2, 20, 1
	s_mov_b32 s36, 0x407ffff
	v_add3_u32 v2, v2, v3, s36
	v_lshrrev_b32_e32 v3, 20, v2
	v_and_b32_e32 v2, 0xff00000, v2
	s_mov_b32 s36, 0x7f00000
	v_mov_b32_e32 v4, 0x7e
	v_cmp_ne_u32_e32 vcc, s36, v2
	v_cndmask_b32_e32 v3, v4, v3, vcc
                                        ; implicit-def: $vgpr2
; %bb.328:
	s_andn2_saveexec_b64 s[34:35], s[34:35]
; %bb.329:
	v_add_f32_e32 v3, 0x46800000, v2
; %bb.330:
	s_or_b64 exec, exec, s[34:35]
                                        ; implicit-def: $vgpr2
.LBB387_331:
	s_andn2_saveexec_b64 s[30:31], s[30:31]
; %bb.332:
	s_mov_b32 s34, 0x7f800000
	v_mov_b32_e32 v3, 0x7e
	v_mov_b32_e32 v4, 0x7f
	v_cmp_lt_u32_e32 vcc, s34, v2
	v_cndmask_b32_e32 v3, v3, v4, vcc
; %bb.333:
	s_or_b64 exec, exec, s[30:31]
	global_store_byte v[0:1], v3, off
.LBB387_334:
	s_mov_b64 s[30:31], 0
.LBB387_335:
	s_andn2_b64 vcc, exec, s[30:31]
	s_cbranch_vccnz .LBB387_345
; %bb.336:
	v_cndmask_b32_e64 v2, 0, 1.0, s[26:27]
	s_mov_b32 s30, 0x47800000
	v_cmp_gt_u32_e32 vcc, s30, v2
                                        ; implicit-def: $vgpr3
	s_and_saveexec_b64 s[30:31], vcc
	s_xor_b64 s[30:31], exec, s[30:31]
	s_cbranch_execz .LBB387_342
; %bb.337:
	s_mov_b32 s34, 0x387fffff
	v_cmp_lt_u32_e32 vcc, s34, v2
                                        ; implicit-def: $vgpr3
	s_and_saveexec_b64 s[34:35], vcc
	s_xor_b64 s[34:35], exec, s[34:35]
; %bb.338:
	v_bfe_u32 v3, v2, 21, 1
	s_mov_b32 s36, 0x80fffff
	v_add3_u32 v2, v2, v3, s36
	v_lshrrev_b32_e32 v3, 21, v2
                                        ; implicit-def: $vgpr2
; %bb.339:
	s_andn2_saveexec_b64 s[34:35], s[34:35]
; %bb.340:
	v_add_f32_e32 v3, 0x43000000, v2
; %bb.341:
	s_or_b64 exec, exec, s[34:35]
                                        ; implicit-def: $vgpr2
.LBB387_342:
	s_andn2_saveexec_b64 s[30:31], s[30:31]
; %bb.343:
	s_mov_b32 s34, 0x7f800000
	v_mov_b32_e32 v3, 0x7c
	v_mov_b32_e32 v4, 0x7f
	v_cmp_lt_u32_e32 vcc, s34, v2
	v_cndmask_b32_e32 v3, v3, v4, vcc
; %bb.344:
	s_or_b64 exec, exec, s[30:31]
	global_store_byte v[0:1], v3, off
.LBB387_345:
	s_mov_b64 s[34:35], 0
	s_mov_b64 s[30:31], -1
.LBB387_346:
	s_andn2_b64 vcc, exec, s[34:35]
	s_cbranch_vccnz .LBB387_354
; %bb.347:
	s_cmp_gt_i32 s39, 14
	s_mov_b64 s[34:35], -1
	s_cbranch_scc0 .LBB387_351
; %bb.348:
	s_cmp_eq_u32 s39, 15
	s_mov_b64 s[0:1], -1
	s_cbranch_scc0 .LBB387_350
; %bb.349:
	v_cndmask_b32_e64 v2, 0, 1.0, s[26:27]
	v_bfe_u32 v3, v2, 16, 1
	s_movk_i32 s0, 0x7fff
	v_add3_u32 v2, v2, v3, s0
	global_store_short_d16_hi v[0:1], v2, off
	s_mov_b64 s[30:31], -1
	s_mov_b64 s[0:1], 0
.LBB387_350:
	s_mov_b64 s[34:35], 0
.LBB387_351:
	s_and_b64 vcc, exec, s[34:35]
	s_cbranch_vccz .LBB387_354
; %bb.352:
	s_cmp_eq_u32 s39, 11
	s_mov_b64 s[0:1], -1
	s_cbranch_scc0 .LBB387_354
; %bb.353:
	v_cndmask_b32_e64 v2, 0, 1, s[26:27]
	s_mov_b64 s[30:31], -1
	s_mov_b64 s[0:1], 0
	global_store_byte v[0:1], v2, off
.LBB387_354:
	s_mov_b64 s[34:35], 0
.LBB387_355:
	s_and_b64 vcc, exec, s[34:35]
	s_cbranch_vccz .LBB387_394
; %bb.356:
	s_and_b32 s34, 0xffff, s38
	s_cmp_lt_i32 s34, 5
	s_mov_b64 s[30:31], -1
	s_cbranch_scc1 .LBB387_377
; %bb.357:
	s_cmp_lt_i32 s34, 8
	s_cbranch_scc1 .LBB387_367
; %bb.358:
	s_cmp_lt_i32 s34, 9
	s_cbranch_scc1 .LBB387_364
; %bb.359:
	s_cmp_gt_i32 s34, 9
	s_cbranch_scc0 .LBB387_361
; %bb.360:
	v_cndmask_b32_e64 v2, 0, 1, s[26:27]
	v_cvt_f64_u32_e32 v[2:3], v2
	v_mov_b32_e32 v4, 0
	v_mov_b32_e32 v5, v4
	s_mov_b64 s[30:31], 0
	global_store_dwordx4 v[0:1], v[2:5], off
.LBB387_361:
	s_andn2_b64 vcc, exec, s[30:31]
	s_cbranch_vccnz .LBB387_363
; %bb.362:
	v_cndmask_b32_e64 v2, 0, 1.0, s[26:27]
	v_mov_b32_e32 v3, 0
	global_store_dwordx2 v[0:1], v[2:3], off
.LBB387_363:
	s_mov_b64 s[30:31], 0
.LBB387_364:
	s_andn2_b64 vcc, exec, s[30:31]
	s_cbranch_vccnz .LBB387_366
; %bb.365:
	v_cndmask_b32_e64 v2, 0, 1.0, s[26:27]
	v_cvt_f16_f32_e32 v2, v2
	global_store_dword v[0:1], v2, off
.LBB387_366:
	s_mov_b64 s[30:31], 0
.LBB387_367:
	s_andn2_b64 vcc, exec, s[30:31]
	s_cbranch_vccnz .LBB387_376
; %bb.368:
	s_cmp_lt_i32 s34, 6
	s_mov_b64 s[30:31], -1
	s_cbranch_scc1 .LBB387_374
; %bb.369:
	s_cmp_gt_i32 s34, 6
	s_cbranch_scc0 .LBB387_371
; %bb.370:
	v_cndmask_b32_e64 v2, 0, 1, s[26:27]
	v_cvt_f64_u32_e32 v[2:3], v2
	s_mov_b64 s[30:31], 0
	global_store_dwordx2 v[0:1], v[2:3], off
.LBB387_371:
	s_andn2_b64 vcc, exec, s[30:31]
	s_cbranch_vccnz .LBB387_373
; %bb.372:
	v_cndmask_b32_e64 v2, 0, 1.0, s[26:27]
	global_store_dword v[0:1], v2, off
.LBB387_373:
	s_mov_b64 s[30:31], 0
.LBB387_374:
	s_andn2_b64 vcc, exec, s[30:31]
	s_cbranch_vccnz .LBB387_376
; %bb.375:
	v_cndmask_b32_e64 v2, 0, 1.0, s[26:27]
	v_cvt_f16_f32_e32 v2, v2
	global_store_short v[0:1], v2, off
.LBB387_376:
	s_mov_b64 s[30:31], 0
.LBB387_377:
	s_andn2_b64 vcc, exec, s[30:31]
	s_cbranch_vccnz .LBB387_393
; %bb.378:
	s_cmp_lt_i32 s34, 2
	s_mov_b64 s[30:31], -1
	s_cbranch_scc1 .LBB387_388
; %bb.379:
	s_cmp_lt_i32 s34, 3
	s_cbranch_scc1 .LBB387_385
; %bb.380:
	s_cmp_gt_i32 s34, 3
	s_cbranch_scc0 .LBB387_382
; %bb.381:
	s_mov_b32 s30, 0
	v_cndmask_b32_e64 v2, 0, 1, s[26:27]
	v_mov_b32_e32 v3, s30
	s_mov_b64 s[30:31], 0
	global_store_dwordx2 v[0:1], v[2:3], off
.LBB387_382:
	s_andn2_b64 vcc, exec, s[30:31]
	s_cbranch_vccnz .LBB387_384
; %bb.383:
	v_cndmask_b32_e64 v2, 0, 1, s[26:27]
	global_store_dword v[0:1], v2, off
.LBB387_384:
	s_mov_b64 s[30:31], 0
.LBB387_385:
	s_andn2_b64 vcc, exec, s[30:31]
	s_cbranch_vccnz .LBB387_387
; %bb.386:
	v_cndmask_b32_e64 v2, 0, 1, s[26:27]
	global_store_short v[0:1], v2, off
.LBB387_387:
	s_mov_b64 s[30:31], 0
.LBB387_388:
	s_andn2_b64 vcc, exec, s[30:31]
	s_cbranch_vccnz .LBB387_393
; %bb.389:
	s_mov_b64 s[30:31], -1
	s_cmp_gt_i32 s34, 0
	v_cndmask_b32_e64 v2, 0, 1, s[26:27]
	s_cbranch_scc0 .LBB387_391
; %bb.390:
	s_mov_b64 s[30:31], 0
	global_store_byte v[0:1], v2, off
.LBB387_391:
	s_andn2_b64 vcc, exec, s[30:31]
	s_cbranch_vccnz .LBB387_393
; %bb.392:
	global_store_byte v[0:1], v2, off
.LBB387_393:
	s_mov_b64 s[30:31], -1
.LBB387_394:
	s_andn2_b64 vcc, exec, s[30:31]
	s_cbranch_vccnz .LBB387_396
; %bb.395:
	v_add_u32_e32 v9, 0x80, v9
	s_mov_b64 s[30:31], -1
	s_branch .LBB387_504
.LBB387_396:
	s_mov_b64 s[30:31], 0
                                        ; implicit-def: $vgpr9
	s_branch .LBB387_504
.LBB387_397:
	s_mov_b64 s[24:25], -1
                                        ; implicit-def: $vgpr2
.LBB387_398:
	s_mov_b64 s[26:27], 0
.LBB387_399:
	s_and_b64 vcc, exec, s[26:27]
	s_cbranch_vccz .LBB387_403
; %bb.400:
	s_cmp_eq_u32 s30, 29
	s_cbranch_scc0 .LBB387_402
; %bb.401:
	global_load_dwordx2 v[2:3], v[0:1], off
	s_mov_b64 s[0:1], -1
	s_mov_b64 s[24:25], 0
	s_branch .LBB387_403
.LBB387_402:
	s_mov_b64 s[24:25], -1
                                        ; implicit-def: $vgpr2
.LBB387_403:
	s_mov_b64 s[26:27], 0
.LBB387_404:
	s_and_b64 vcc, exec, s[26:27]
	s_cbranch_vccz .LBB387_420
; %bb.405:
	s_cmp_lt_i32 s30, 27
	s_cbranch_scc1 .LBB387_408
; %bb.406:
	s_cmp_gt_i32 s30, 27
	s_cbranch_scc0 .LBB387_409
; %bb.407:
	global_load_dword v2, v[0:1], off
	s_mov_b64 s[0:1], 0
	s_branch .LBB387_410
.LBB387_408:
	s_mov_b64 s[0:1], -1
                                        ; implicit-def: $vgpr2
	s_branch .LBB387_413
.LBB387_409:
	s_mov_b64 s[0:1], -1
                                        ; implicit-def: $vgpr2
.LBB387_410:
	s_andn2_b64 vcc, exec, s[0:1]
	s_cbranch_vccnz .LBB387_412
; %bb.411:
	global_load_ushort v2, v[0:1], off
.LBB387_412:
	s_mov_b64 s[0:1], 0
.LBB387_413:
	s_andn2_b64 vcc, exec, s[0:1]
	s_cbranch_vccnz .LBB387_419
; %bb.414:
	global_load_ubyte v3, v[0:1], off
	s_movk_i32 s0, 0x7f
	s_mov_b64 s[26:27], 0
	s_waitcnt vmcnt(0)
	v_cmp_lt_i16_e32 vcc, s0, v3
	s_and_saveexec_b64 s[0:1], vcc
	s_xor_b64 s[0:1], exec, s[0:1]
	s_cbranch_execz .LBB387_431
; %bb.415:
	s_movk_i32 s26, 0x80
	v_cmp_ne_u16_e32 vcc, s26, v3
	s_and_b64 s[26:27], vcc, exec
	s_andn2_saveexec_b64 s[0:1], s[0:1]
	s_cbranch_execnz .LBB387_432
.LBB387_416:
	s_or_b64 exec, exec, s[0:1]
	v_mov_b32_e32 v2, 0
	s_and_saveexec_b64 s[0:1], s[26:27]
	s_cbranch_execz .LBB387_418
.LBB387_417:
	v_lshlrev_b32_e32 v2, 24, v3
	v_and_b32_e32 v3, 0xffff, v3
	v_and_b32_e32 v4, 7, v3
	v_ffbh_u32_e32 v6, v4
	v_min_u32_e32 v6, 32, v6
	v_subrev_u32_e32 v7, 28, v6
	v_bfe_u32 v5, v3, 3, 4
	v_lshlrev_b32_e32 v3, v7, v3
	v_sub_u32_e32 v6, 29, v6
	v_and_b32_e32 v3, 7, v3
	v_cmp_eq_u32_e32 vcc, 0, v5
	v_cndmask_b32_e32 v5, v5, v6, vcc
	v_cndmask_b32_e32 v3, v4, v3, vcc
	v_mov_b32_e32 v4, 0x3b800000
	v_lshlrev_b32_e32 v3, 20, v3
	v_and_b32_e32 v2, 0x80000000, v2
	v_lshl_add_u32 v4, v5, 23, v4
	v_or3_b32 v2, v2, v4, v3
	v_cvt_i32_f32_e32 v2, v2
.LBB387_418:
	s_or_b64 exec, exec, s[0:1]
.LBB387_419:
	s_mov_b64 s[0:1], -1
.LBB387_420:
	s_mov_b64 s[26:27], 0
.LBB387_421:
	s_and_b64 vcc, exec, s[26:27]
	s_cbranch_vccz .LBB387_454
; %bb.422:
	s_cmp_gt_i32 s30, 22
	s_cbranch_scc0 .LBB387_430
; %bb.423:
	s_cmp_lt_i32 s30, 24
	s_cbranch_scc1 .LBB387_433
; %bb.424:
	s_cmp_gt_i32 s30, 24
	s_cbranch_scc0 .LBB387_434
; %bb.425:
	global_load_ubyte v3, v[0:1], off
	s_movk_i32 s0, 0x7f
	s_mov_b64 s[26:27], 0
	s_waitcnt vmcnt(0)
	v_cmp_lt_i16_e32 vcc, s0, v3
	s_and_saveexec_b64 s[0:1], vcc
	s_xor_b64 s[0:1], exec, s[0:1]
	s_cbranch_execz .LBB387_446
; %bb.426:
	s_movk_i32 s26, 0x80
	v_cmp_ne_u16_e32 vcc, s26, v3
	s_and_b64 s[26:27], vcc, exec
	s_andn2_saveexec_b64 s[0:1], s[0:1]
	s_cbranch_execnz .LBB387_447
.LBB387_427:
	s_or_b64 exec, exec, s[0:1]
	v_mov_b32_e32 v2, 0
	s_and_saveexec_b64 s[0:1], s[26:27]
	s_cbranch_execz .LBB387_429
.LBB387_428:
	v_lshlrev_b32_e32 v2, 24, v3
	v_and_b32_e32 v3, 0xffff, v3
	v_and_b32_e32 v4, 3, v3
	v_ffbh_u32_e32 v6, v4
	v_min_u32_e32 v6, 32, v6
	v_subrev_u32_e32 v7, 29, v6
	v_bfe_u32 v5, v3, 2, 5
	v_lshlrev_b32_e32 v3, v7, v3
	v_sub_u32_e32 v6, 30, v6
	v_and_b32_e32 v3, 3, v3
	v_cmp_eq_u32_e32 vcc, 0, v5
	v_cndmask_b32_e32 v5, v5, v6, vcc
	v_cndmask_b32_e32 v3, v4, v3, vcc
	v_mov_b32_e32 v4, 0x37800000
	v_lshlrev_b32_e32 v3, 21, v3
	v_and_b32_e32 v2, 0x80000000, v2
	v_lshl_add_u32 v4, v5, 23, v4
	v_or3_b32 v2, v2, v4, v3
	v_cvt_i32_f32_e32 v2, v2
.LBB387_429:
	s_or_b64 exec, exec, s[0:1]
	s_mov_b64 s[0:1], 0
	s_branch .LBB387_435
.LBB387_430:
	s_mov_b64 s[26:27], -1
                                        ; implicit-def: $vgpr2
	s_branch .LBB387_441
.LBB387_431:
	s_andn2_saveexec_b64 s[0:1], s[0:1]
	s_cbranch_execz .LBB387_416
.LBB387_432:
	v_cmp_ne_u16_e32 vcc, 0, v3
	s_andn2_b64 s[26:27], s[26:27], exec
	s_and_b64 s[34:35], vcc, exec
	s_or_b64 s[26:27], s[26:27], s[34:35]
	s_or_b64 exec, exec, s[0:1]
	v_mov_b32_e32 v2, 0
	s_and_saveexec_b64 s[0:1], s[26:27]
	s_cbranch_execnz .LBB387_417
	s_branch .LBB387_418
.LBB387_433:
	s_mov_b64 s[0:1], -1
                                        ; implicit-def: $vgpr2
	s_branch .LBB387_438
.LBB387_434:
	s_mov_b64 s[0:1], -1
                                        ; implicit-def: $vgpr2
.LBB387_435:
	s_and_b64 vcc, exec, s[0:1]
	s_cbranch_vccz .LBB387_437
; %bb.436:
	global_load_ubyte v2, v[0:1], off
	s_mov_b32 s0, 0x7f800000
	s_waitcnt vmcnt(0)
	v_lshlrev_b32_e32 v2, 24, v2
	v_and_b32_e32 v3, 0x7f000000, v2
	v_ffbh_u32_e32 v4, v3
	v_min_u32_e32 v4, 32, v4
	v_sub_u32_e64 v4, v4, 4 clamp
	v_lshlrev_b32_e32 v6, v4, v3
	v_lshlrev_b32_e32 v4, 23, v4
	v_lshrrev_b32_e32 v6, 4, v6
	v_add_u32_e32 v5, 0x1000000, v3
	v_sub_u32_e32 v4, v6, v4
	v_ashrrev_i32_e32 v5, 8, v5
	v_add_u32_e32 v4, 0x3c000000, v4
	v_and_or_b32 v4, v5, s0, v4
	v_cmp_ne_u32_e32 vcc, 0, v3
	v_cndmask_b32_e32 v3, 0, v4, vcc
	s_brev_b32 s0, 1
	v_and_or_b32 v2, v2, s0, v3
	v_cvt_i32_f32_e32 v2, v2
.LBB387_437:
	s_mov_b64 s[0:1], 0
.LBB387_438:
	s_andn2_b64 vcc, exec, s[0:1]
	s_cbranch_vccnz .LBB387_440
; %bb.439:
	global_load_ubyte v2, v[0:1], off
	s_movk_i32 s0, 0x7f00
	s_brev_b32 s1, 16
	s_waitcnt vmcnt(0)
	v_lshlrev_b16_e32 v3, 8, v2
	v_lshlrev_b32_e32 v2, 25, v2
	v_lshrrev_b32_e32 v4, 4, v2
	v_and_or_b32 v5, v3, s0, 0.5
	v_or_b32_e32 v4, 0x70000000, v4
	v_add_f32_e32 v5, -0.5, v5
	v_mul_f32_e32 v4, 0x7800000, v4
	v_cmp_gt_u32_e32 vcc, s1, v2
	v_bfe_i32 v3, v3, 0, 16
	v_cndmask_b32_e32 v2, v4, v5, vcc
	s_brev_b32 s0, 1
	v_and_or_b32 v2, v3, s0, v2
	v_cvt_i32_f32_e32 v2, v2
.LBB387_440:
	s_mov_b64 s[26:27], 0
	s_mov_b64 s[0:1], -1
.LBB387_441:
	s_andn2_b64 vcc, exec, s[26:27]
	s_cbranch_vccnz .LBB387_454
; %bb.442:
	s_cmp_gt_i32 s30, 14
	s_cbranch_scc0 .LBB387_445
; %bb.443:
	s_cmp_eq_u32 s30, 15
	s_cbranch_scc0 .LBB387_448
; %bb.444:
	global_load_ushort v2, v[0:1], off
	s_mov_b64 s[0:1], -1
	s_mov_b64 s[24:25], 0
	s_waitcnt vmcnt(0)
	v_lshlrev_b32_e32 v2, 16, v2
	v_cvt_i32_f32_e32 v2, v2
	s_branch .LBB387_449
.LBB387_445:
	s_mov_b64 s[26:27], -1
                                        ; implicit-def: $vgpr2
	s_branch .LBB387_450
.LBB387_446:
	s_andn2_saveexec_b64 s[0:1], s[0:1]
	s_cbranch_execz .LBB387_427
.LBB387_447:
	v_cmp_ne_u16_e32 vcc, 0, v3
	s_andn2_b64 s[26:27], s[26:27], exec
	s_and_b64 s[34:35], vcc, exec
	s_or_b64 s[26:27], s[26:27], s[34:35]
	s_or_b64 exec, exec, s[0:1]
	v_mov_b32_e32 v2, 0
	s_and_saveexec_b64 s[0:1], s[26:27]
	s_cbranch_execnz .LBB387_428
	s_branch .LBB387_429
.LBB387_448:
	s_mov_b64 s[24:25], -1
                                        ; implicit-def: $vgpr2
.LBB387_449:
	s_mov_b64 s[26:27], 0
.LBB387_450:
	s_and_b64 vcc, exec, s[26:27]
	s_cbranch_vccz .LBB387_454
; %bb.451:
	s_cmp_eq_u32 s30, 11
	s_cbranch_scc0 .LBB387_453
; %bb.452:
	global_load_ubyte v2, v[0:1], off
	s_mov_b64 s[0:1], -1
	s_mov_b64 s[24:25], 0
	s_waitcnt vmcnt(0)
	v_cmp_ne_u16_e32 vcc, 0, v2
	v_cndmask_b32_e64 v2, 0, 1, vcc
	s_branch .LBB387_454
.LBB387_453:
	s_mov_b64 s[24:25], -1
                                        ; implicit-def: $vgpr2
.LBB387_454:
	s_branch .LBB387_261
.LBB387_455:
	s_cmp_lt_i32 s30, 5
	s_cbranch_scc1 .LBB387_460
; %bb.456:
	s_cmp_lt_i32 s30, 8
	s_cbranch_scc1 .LBB387_461
; %bb.457:
	;; [unrolled: 3-line block ×3, first 2 shown]
	s_cmp_gt_i32 s30, 9
	s_cbranch_scc0 .LBB387_463
; %bb.459:
	global_load_dwordx2 v[2:3], v[0:1], off
	s_mov_b64 s[0:1], 0
	s_waitcnt vmcnt(0)
	v_cvt_i32_f64_e32 v2, v[2:3]
	s_branch .LBB387_464
.LBB387_460:
	s_mov_b64 s[0:1], -1
                                        ; implicit-def: $vgpr2
	s_branch .LBB387_482
.LBB387_461:
	s_mov_b64 s[0:1], -1
                                        ; implicit-def: $vgpr2
	s_branch .LBB387_470
.LBB387_462:
	s_mov_b64 s[0:1], -1
                                        ; implicit-def: $vgpr2
	s_branch .LBB387_467
.LBB387_463:
	s_mov_b64 s[0:1], -1
                                        ; implicit-def: $vgpr2
.LBB387_464:
	s_andn2_b64 vcc, exec, s[0:1]
	s_cbranch_vccnz .LBB387_466
; %bb.465:
	global_load_dword v2, v[0:1], off
	s_waitcnt vmcnt(0)
	v_cvt_i32_f32_e32 v2, v2
.LBB387_466:
	s_mov_b64 s[0:1], 0
.LBB387_467:
	s_andn2_b64 vcc, exec, s[0:1]
	s_cbranch_vccnz .LBB387_469
; %bb.468:
	global_load_dword v2, v[0:1], off
	s_waitcnt vmcnt(0)
	v_cvt_i16_f16_e32 v2, v2
.LBB387_469:
	s_mov_b64 s[0:1], 0
.LBB387_470:
	s_andn2_b64 vcc, exec, s[0:1]
	s_cbranch_vccnz .LBB387_481
; %bb.471:
	s_cmp_lt_i32 s30, 6
	s_cbranch_scc1 .LBB387_474
; %bb.472:
	s_cmp_gt_i32 s30, 6
	s_cbranch_scc0 .LBB387_475
; %bb.473:
	global_load_dwordx2 v[2:3], v[0:1], off
	s_mov_b64 s[0:1], 0
	s_waitcnt vmcnt(0)
	v_cvt_i32_f64_e32 v2, v[2:3]
	s_branch .LBB387_476
.LBB387_474:
	s_mov_b64 s[0:1], -1
                                        ; implicit-def: $vgpr2
	s_branch .LBB387_479
.LBB387_475:
	s_mov_b64 s[0:1], -1
                                        ; implicit-def: $vgpr2
.LBB387_476:
	s_andn2_b64 vcc, exec, s[0:1]
	s_cbranch_vccnz .LBB387_478
; %bb.477:
	global_load_dword v2, v[0:1], off
	s_waitcnt vmcnt(0)
	v_cvt_i32_f32_e32 v2, v2
.LBB387_478:
	s_mov_b64 s[0:1], 0
.LBB387_479:
	s_andn2_b64 vcc, exec, s[0:1]
	s_cbranch_vccnz .LBB387_481
; %bb.480:
	global_load_ushort v2, v[0:1], off
	s_waitcnt vmcnt(0)
	v_cvt_i16_f16_e32 v2, v2
.LBB387_481:
	s_mov_b64 s[0:1], 0
.LBB387_482:
	s_andn2_b64 vcc, exec, s[0:1]
	s_cbranch_vccnz .LBB387_502
; %bb.483:
	s_cmp_lt_i32 s30, 2
	s_cbranch_scc1 .LBB387_487
; %bb.484:
	s_cmp_lt_i32 s30, 3
	s_cbranch_scc1 .LBB387_488
; %bb.485:
	s_cmp_gt_i32 s30, 3
	s_cbranch_scc0 .LBB387_489
; %bb.486:
	global_load_dwordx2 v[2:3], v[0:1], off
	s_mov_b64 s[0:1], 0
	s_branch .LBB387_490
.LBB387_487:
	s_mov_b64 s[0:1], -1
                                        ; implicit-def: $vgpr2
	s_branch .LBB387_496
.LBB387_488:
	s_mov_b64 s[0:1], -1
                                        ; implicit-def: $vgpr2
	s_branch .LBB387_493
.LBB387_489:
	s_mov_b64 s[0:1], -1
                                        ; implicit-def: $vgpr2
.LBB387_490:
	s_andn2_b64 vcc, exec, s[0:1]
	s_cbranch_vccnz .LBB387_492
; %bb.491:
	global_load_dword v2, v[0:1], off
.LBB387_492:
	s_mov_b64 s[0:1], 0
.LBB387_493:
	s_andn2_b64 vcc, exec, s[0:1]
	s_cbranch_vccnz .LBB387_495
; %bb.494:
	global_load_ushort v2, v[0:1], off
.LBB387_495:
	s_mov_b64 s[0:1], 0
.LBB387_496:
	s_andn2_b64 vcc, exec, s[0:1]
	s_cbranch_vccnz .LBB387_502
; %bb.497:
	s_cmp_gt_i32 s30, 0
	s_cbranch_scc0 .LBB387_499
; %bb.498:
	global_load_ubyte v2, v[0:1], off
	s_mov_b64 s[0:1], 0
	s_branch .LBB387_500
.LBB387_499:
	s_mov_b64 s[0:1], -1
                                        ; implicit-def: $vgpr2
.LBB387_500:
	s_andn2_b64 vcc, exec, s[0:1]
	s_cbranch_vccnz .LBB387_502
; %bb.501:
	global_load_ubyte v2, v[0:1], off
.LBB387_502:
	s_branch .LBB387_262
.LBB387_503:
	s_mov_b64 s[30:31], 0
                                        ; implicit-def: $vgpr9
	s_mov_b64 s[0:1], s[18:19]
.LBB387_504:
	s_andn2_b64 s[26:27], s[18:19], exec
	s_and_b64 s[0:1], s[0:1], exec
	s_or_b64 s[26:27], s[26:27], s[0:1]
	s_andn2_b64 s[0:1], s[20:21], exec
	s_and_b64 s[24:25], s[24:25], exec
	s_or_b64 s[24:25], s[0:1], s[24:25]
	s_orn2_b64 s[0:1], s[30:31], exec
.LBB387_505:
	s_or_b64 exec, exec, s[28:29]
	s_mov_b64 s[30:31], 0
	s_mov_b64 s[34:35], 0
	;; [unrolled: 1-line block ×3, first 2 shown]
                                        ; implicit-def: $vgpr0_vgpr1
                                        ; implicit-def: $vgpr2
	s_and_saveexec_b64 s[28:29], s[0:1]
	s_cbranch_execz .LBB387_842
; %bb.506:
	v_cmp_gt_i32_e32 vcc, s33, v9
	s_mov_b64 s[40:41], -1
	s_mov_b64 s[0:1], s[24:25]
	s_mov_b64 s[36:37], s[26:27]
	s_and_saveexec_b64 s[30:31], vcc
	s_cbranch_execz .LBB387_760
; %bb.507:
	v_mul_lo_u32 v0, v9, s13
	v_mov_b32_e32 v1, s11
	s_and_b32 s38, 0xffff, s15
	s_cmp_lt_i32 s38, 11
	s_waitcnt vmcnt(0)
	v_ashrrev_i32_e32 v2, 31, v0
	v_add_co_u32_e32 v0, vcc, s10, v0
	v_addc_co_u32_e32 v1, vcc, v1, v2, vcc
	s_cbranch_scc1 .LBB387_514
; %bb.508:
	s_cmp_gt_i32 s38, 25
	s_cbranch_scc0 .LBB387_515
; %bb.509:
	s_cmp_gt_i32 s38, 28
	s_cbranch_scc0 .LBB387_516
	;; [unrolled: 3-line block ×4, first 2 shown]
; %bb.512:
	s_cmp_eq_u32 s38, 46
	s_mov_b64 s[36:37], 0
	s_cbranch_scc0 .LBB387_523
; %bb.513:
	global_load_dword v2, v[0:1], off
	s_mov_b64 s[0:1], -1
	s_waitcnt vmcnt(0)
	v_lshlrev_b32_e32 v2, 16, v2
	v_cvt_i32_f32_e32 v2, v2
	s_branch .LBB387_524
.LBB387_514:
	s_mov_b64 s[36:37], -1
	s_mov_b64 s[0:1], 0
                                        ; implicit-def: $vgpr2
	s_mov_b64 s[34:35], s[24:25]
	s_branch .LBB387_585
.LBB387_515:
	s_mov_b64 s[36:37], -1
	s_mov_b64 s[0:1], 0
	s_mov_b64 s[34:35], s[24:25]
                                        ; implicit-def: $vgpr2
	s_branch .LBB387_551
.LBB387_516:
	s_mov_b64 s[36:37], -1
	s_mov_b64 s[0:1], 0
	s_mov_b64 s[34:35], s[24:25]
                                        ; implicit-def: $vgpr2
	s_branch .LBB387_534
.LBB387_517:
	s_mov_b64 s[36:37], -1
	s_mov_b64 s[0:1], 0
	s_mov_b64 s[34:35], s[24:25]
                                        ; implicit-def: $vgpr2
	s_branch .LBB387_529
.LBB387_518:
	s_andn2_saveexec_b64 s[36:37], s[36:37]
	s_cbranch_execz .LBB387_307
.LBB387_519:
	v_add_f32_e32 v2, 0x46000000, v3
	v_and_b32_e32 v2, 0xff, v2
	v_cmp_ne_u32_e32 vcc, 0, v2
	s_andn2_b64 s[34:35], s[34:35], exec
	s_and_b64 s[40:41], vcc, exec
	s_or_b64 s[34:35], s[34:35], s[40:41]
	s_or_b64 exec, exec, s[36:37]
	v_mov_b32_e32 v4, 0
	s_and_saveexec_b64 s[36:37], s[34:35]
	s_cbranch_execnz .LBB387_308
	s_branch .LBB387_309
.LBB387_520:
	s_mov_b64 s[36:37], -1
	s_mov_b64 s[0:1], 0
	s_mov_b64 s[34:35], s[24:25]
                                        ; implicit-def: $vgpr2
	s_branch .LBB387_524
.LBB387_521:
	s_andn2_saveexec_b64 s[36:37], s[36:37]
	s_cbranch_execz .LBB387_320
.LBB387_522:
	v_add_f32_e32 v2, 0x42800000, v3
	v_and_b32_e32 v2, 0xff, v2
	v_cmp_ne_u32_e32 vcc, 0, v2
	s_andn2_b64 s[34:35], s[34:35], exec
	s_and_b64 s[40:41], vcc, exec
	s_or_b64 s[34:35], s[34:35], s[40:41]
	s_or_b64 exec, exec, s[36:37]
	v_mov_b32_e32 v4, 0
	s_and_saveexec_b64 s[36:37], s[34:35]
	s_cbranch_execnz .LBB387_321
	s_branch .LBB387_322
.LBB387_523:
	s_mov_b64 s[34:35], -1
                                        ; implicit-def: $vgpr2
	s_mov_b64 s[0:1], 0
.LBB387_524:
	s_and_b64 vcc, exec, s[36:37]
	s_cbranch_vccz .LBB387_528
; %bb.525:
	s_cmp_eq_u32 s38, 44
	s_cbranch_scc0 .LBB387_527
; %bb.526:
	global_load_ubyte v2, v[0:1], off
	s_mov_b64 s[0:1], -1
	s_mov_b64 s[34:35], 0
	s_waitcnt vmcnt(0)
	v_lshlrev_b32_e32 v3, 23, v2
	v_cvt_i32_f32_e32 v3, v3
	v_cmp_ne_u32_e32 vcc, 0, v2
	v_cndmask_b32_e32 v2, 0, v3, vcc
	s_branch .LBB387_528
.LBB387_527:
	s_mov_b64 s[34:35], -1
                                        ; implicit-def: $vgpr2
.LBB387_528:
	s_mov_b64 s[36:37], 0
.LBB387_529:
	s_and_b64 vcc, exec, s[36:37]
	s_cbranch_vccz .LBB387_533
; %bb.530:
	s_cmp_eq_u32 s38, 29
	s_cbranch_scc0 .LBB387_532
; %bb.531:
	global_load_dwordx2 v[2:3], v[0:1], off
	s_mov_b64 s[0:1], -1
	s_mov_b64 s[34:35], 0
	s_branch .LBB387_533
.LBB387_532:
	s_mov_b64 s[34:35], -1
                                        ; implicit-def: $vgpr2
.LBB387_533:
	s_mov_b64 s[36:37], 0
.LBB387_534:
	s_and_b64 vcc, exec, s[36:37]
	s_cbranch_vccz .LBB387_550
; %bb.535:
	s_cmp_lt_i32 s38, 27
	s_cbranch_scc1 .LBB387_538
; %bb.536:
	s_cmp_gt_i32 s38, 27
	s_cbranch_scc0 .LBB387_539
; %bb.537:
	global_load_dword v2, v[0:1], off
	s_mov_b64 s[0:1], 0
	s_branch .LBB387_540
.LBB387_538:
	s_mov_b64 s[0:1], -1
                                        ; implicit-def: $vgpr2
	s_branch .LBB387_543
.LBB387_539:
	s_mov_b64 s[0:1], -1
                                        ; implicit-def: $vgpr2
.LBB387_540:
	s_andn2_b64 vcc, exec, s[0:1]
	s_cbranch_vccnz .LBB387_542
; %bb.541:
	global_load_ushort v2, v[0:1], off
.LBB387_542:
	s_mov_b64 s[0:1], 0
.LBB387_543:
	s_andn2_b64 vcc, exec, s[0:1]
	s_cbranch_vccnz .LBB387_549
; %bb.544:
	global_load_ubyte v3, v[0:1], off
	s_movk_i32 s0, 0x7f
	s_mov_b64 s[36:37], 0
	s_waitcnt vmcnt(0)
	v_cmp_lt_i16_e32 vcc, s0, v3
	s_and_saveexec_b64 s[0:1], vcc
	s_xor_b64 s[0:1], exec, s[0:1]
	s_cbranch_execz .LBB387_561
; %bb.545:
	s_movk_i32 s36, 0x80
	v_cmp_ne_u16_e32 vcc, s36, v3
	s_and_b64 s[36:37], vcc, exec
	s_andn2_saveexec_b64 s[0:1], s[0:1]
	s_cbranch_execnz .LBB387_562
.LBB387_546:
	s_or_b64 exec, exec, s[0:1]
	v_mov_b32_e32 v2, 0
	s_and_saveexec_b64 s[0:1], s[36:37]
	s_cbranch_execz .LBB387_548
.LBB387_547:
	v_lshlrev_b32_e32 v2, 24, v3
	v_and_b32_e32 v3, 0xffff, v3
	v_and_b32_e32 v4, 7, v3
	v_ffbh_u32_e32 v6, v4
	v_min_u32_e32 v6, 32, v6
	v_subrev_u32_e32 v7, 28, v6
	v_bfe_u32 v5, v3, 3, 4
	v_lshlrev_b32_e32 v3, v7, v3
	v_sub_u32_e32 v6, 29, v6
	v_and_b32_e32 v3, 7, v3
	v_cmp_eq_u32_e32 vcc, 0, v5
	v_cndmask_b32_e32 v5, v5, v6, vcc
	v_cndmask_b32_e32 v3, v4, v3, vcc
	v_mov_b32_e32 v4, 0x3b800000
	v_lshlrev_b32_e32 v3, 20, v3
	v_and_b32_e32 v2, 0x80000000, v2
	v_lshl_add_u32 v4, v5, 23, v4
	v_or3_b32 v2, v2, v4, v3
	v_cvt_i32_f32_e32 v2, v2
.LBB387_548:
	s_or_b64 exec, exec, s[0:1]
.LBB387_549:
	s_mov_b64 s[0:1], -1
.LBB387_550:
	s_mov_b64 s[36:37], 0
.LBB387_551:
	s_and_b64 vcc, exec, s[36:37]
	s_cbranch_vccz .LBB387_584
; %bb.552:
	s_cmp_gt_i32 s38, 22
	s_cbranch_scc0 .LBB387_560
; %bb.553:
	s_cmp_lt_i32 s38, 24
	s_cbranch_scc1 .LBB387_563
; %bb.554:
	s_cmp_gt_i32 s38, 24
	s_cbranch_scc0 .LBB387_564
; %bb.555:
	global_load_ubyte v3, v[0:1], off
	s_movk_i32 s0, 0x7f
	s_mov_b64 s[36:37], 0
	s_waitcnt vmcnt(0)
	v_cmp_lt_i16_e32 vcc, s0, v3
	s_and_saveexec_b64 s[0:1], vcc
	s_xor_b64 s[0:1], exec, s[0:1]
	s_cbranch_execz .LBB387_576
; %bb.556:
	s_movk_i32 s36, 0x80
	v_cmp_ne_u16_e32 vcc, s36, v3
	s_and_b64 s[36:37], vcc, exec
	s_andn2_saveexec_b64 s[0:1], s[0:1]
	s_cbranch_execnz .LBB387_577
.LBB387_557:
	s_or_b64 exec, exec, s[0:1]
	v_mov_b32_e32 v2, 0
	s_and_saveexec_b64 s[0:1], s[36:37]
	s_cbranch_execz .LBB387_559
.LBB387_558:
	v_lshlrev_b32_e32 v2, 24, v3
	v_and_b32_e32 v3, 0xffff, v3
	v_and_b32_e32 v4, 3, v3
	v_ffbh_u32_e32 v6, v4
	v_min_u32_e32 v6, 32, v6
	v_subrev_u32_e32 v7, 29, v6
	v_bfe_u32 v5, v3, 2, 5
	v_lshlrev_b32_e32 v3, v7, v3
	v_sub_u32_e32 v6, 30, v6
	v_and_b32_e32 v3, 3, v3
	v_cmp_eq_u32_e32 vcc, 0, v5
	v_cndmask_b32_e32 v5, v5, v6, vcc
	v_cndmask_b32_e32 v3, v4, v3, vcc
	v_mov_b32_e32 v4, 0x37800000
	v_lshlrev_b32_e32 v3, 21, v3
	v_and_b32_e32 v2, 0x80000000, v2
	v_lshl_add_u32 v4, v5, 23, v4
	v_or3_b32 v2, v2, v4, v3
	v_cvt_i32_f32_e32 v2, v2
.LBB387_559:
	s_or_b64 exec, exec, s[0:1]
	s_mov_b64 s[0:1], 0
	s_branch .LBB387_565
.LBB387_560:
	s_mov_b64 s[36:37], -1
                                        ; implicit-def: $vgpr2
	s_branch .LBB387_571
.LBB387_561:
	s_andn2_saveexec_b64 s[0:1], s[0:1]
	s_cbranch_execz .LBB387_546
.LBB387_562:
	v_cmp_ne_u16_e32 vcc, 0, v3
	s_andn2_b64 s[36:37], s[36:37], exec
	s_and_b64 s[40:41], vcc, exec
	s_or_b64 s[36:37], s[36:37], s[40:41]
	s_or_b64 exec, exec, s[0:1]
	v_mov_b32_e32 v2, 0
	s_and_saveexec_b64 s[0:1], s[36:37]
	s_cbranch_execnz .LBB387_547
	s_branch .LBB387_548
.LBB387_563:
	s_mov_b64 s[0:1], -1
                                        ; implicit-def: $vgpr2
	s_branch .LBB387_568
.LBB387_564:
	s_mov_b64 s[0:1], -1
                                        ; implicit-def: $vgpr2
.LBB387_565:
	s_and_b64 vcc, exec, s[0:1]
	s_cbranch_vccz .LBB387_567
; %bb.566:
	global_load_ubyte v2, v[0:1], off
	s_mov_b32 s0, 0x7f800000
	s_waitcnt vmcnt(0)
	v_lshlrev_b32_e32 v2, 24, v2
	v_and_b32_e32 v3, 0x7f000000, v2
	v_ffbh_u32_e32 v4, v3
	v_min_u32_e32 v4, 32, v4
	v_sub_u32_e64 v4, v4, 4 clamp
	v_lshlrev_b32_e32 v6, v4, v3
	v_lshlrev_b32_e32 v4, 23, v4
	v_lshrrev_b32_e32 v6, 4, v6
	v_add_u32_e32 v5, 0x1000000, v3
	v_sub_u32_e32 v4, v6, v4
	v_ashrrev_i32_e32 v5, 8, v5
	v_add_u32_e32 v4, 0x3c000000, v4
	v_and_or_b32 v4, v5, s0, v4
	v_cmp_ne_u32_e32 vcc, 0, v3
	v_cndmask_b32_e32 v3, 0, v4, vcc
	s_brev_b32 s0, 1
	v_and_or_b32 v2, v2, s0, v3
	v_cvt_i32_f32_e32 v2, v2
.LBB387_567:
	s_mov_b64 s[0:1], 0
.LBB387_568:
	s_andn2_b64 vcc, exec, s[0:1]
	s_cbranch_vccnz .LBB387_570
; %bb.569:
	global_load_ubyte v2, v[0:1], off
	s_movk_i32 s0, 0x7f00
	s_brev_b32 s1, 16
	s_waitcnt vmcnt(0)
	v_lshlrev_b16_e32 v3, 8, v2
	v_lshlrev_b32_e32 v2, 25, v2
	v_lshrrev_b32_e32 v4, 4, v2
	v_and_or_b32 v5, v3, s0, 0.5
	v_or_b32_e32 v4, 0x70000000, v4
	v_add_f32_e32 v5, -0.5, v5
	v_mul_f32_e32 v4, 0x7800000, v4
	v_cmp_gt_u32_e32 vcc, s1, v2
	v_bfe_i32 v3, v3, 0, 16
	v_cndmask_b32_e32 v2, v4, v5, vcc
	s_brev_b32 s0, 1
	v_and_or_b32 v2, v3, s0, v2
	v_cvt_i32_f32_e32 v2, v2
.LBB387_570:
	s_mov_b64 s[36:37], 0
	s_mov_b64 s[0:1], -1
.LBB387_571:
	s_andn2_b64 vcc, exec, s[36:37]
	s_cbranch_vccnz .LBB387_584
; %bb.572:
	s_cmp_gt_i32 s38, 14
	s_cbranch_scc0 .LBB387_575
; %bb.573:
	s_cmp_eq_u32 s38, 15
	s_cbranch_scc0 .LBB387_578
; %bb.574:
	global_load_ushort v2, v[0:1], off
	s_mov_b64 s[0:1], -1
	s_mov_b64 s[34:35], 0
	s_waitcnt vmcnt(0)
	v_lshlrev_b32_e32 v2, 16, v2
	v_cvt_i32_f32_e32 v2, v2
	s_branch .LBB387_579
.LBB387_575:
	s_mov_b64 s[36:37], -1
                                        ; implicit-def: $vgpr2
	s_branch .LBB387_580
.LBB387_576:
	s_andn2_saveexec_b64 s[0:1], s[0:1]
	s_cbranch_execz .LBB387_557
.LBB387_577:
	v_cmp_ne_u16_e32 vcc, 0, v3
	s_andn2_b64 s[36:37], s[36:37], exec
	s_and_b64 s[40:41], vcc, exec
	s_or_b64 s[36:37], s[36:37], s[40:41]
	s_or_b64 exec, exec, s[0:1]
	v_mov_b32_e32 v2, 0
	s_and_saveexec_b64 s[0:1], s[36:37]
	s_cbranch_execnz .LBB387_558
	s_branch .LBB387_559
.LBB387_578:
	s_mov_b64 s[34:35], -1
                                        ; implicit-def: $vgpr2
.LBB387_579:
	s_mov_b64 s[36:37], 0
.LBB387_580:
	s_and_b64 vcc, exec, s[36:37]
	s_cbranch_vccz .LBB387_584
; %bb.581:
	s_cmp_eq_u32 s38, 11
	s_cbranch_scc0 .LBB387_583
; %bb.582:
	global_load_ubyte v2, v[0:1], off
	s_mov_b64 s[0:1], -1
	s_mov_b64 s[34:35], 0
	s_waitcnt vmcnt(0)
	v_cmp_ne_u16_e32 vcc, 0, v2
	v_cndmask_b32_e64 v2, 0, 1, vcc
	s_branch .LBB387_584
.LBB387_583:
	s_mov_b64 s[34:35], -1
                                        ; implicit-def: $vgpr2
.LBB387_584:
	s_mov_b64 s[36:37], 0
.LBB387_585:
	s_and_b64 vcc, exec, s[36:37]
	s_cbranch_vccz .LBB387_634
; %bb.586:
	s_cmp_lt_i32 s38, 5
	s_cbranch_scc1 .LBB387_591
; %bb.587:
	s_cmp_lt_i32 s38, 8
	s_cbranch_scc1 .LBB387_592
	;; [unrolled: 3-line block ×3, first 2 shown]
; %bb.589:
	s_cmp_gt_i32 s38, 9
	s_cbranch_scc0 .LBB387_594
; %bb.590:
	global_load_dwordx2 v[2:3], v[0:1], off
	s_mov_b64 s[0:1], 0
	s_waitcnt vmcnt(0)
	v_cvt_i32_f64_e32 v2, v[2:3]
	s_branch .LBB387_595
.LBB387_591:
	s_mov_b64 s[0:1], -1
                                        ; implicit-def: $vgpr2
	s_branch .LBB387_613
.LBB387_592:
	s_mov_b64 s[0:1], -1
                                        ; implicit-def: $vgpr2
	s_branch .LBB387_601
.LBB387_593:
	s_mov_b64 s[0:1], -1
                                        ; implicit-def: $vgpr2
	s_branch .LBB387_598
.LBB387_594:
	s_mov_b64 s[0:1], -1
                                        ; implicit-def: $vgpr2
.LBB387_595:
	s_andn2_b64 vcc, exec, s[0:1]
	s_cbranch_vccnz .LBB387_597
; %bb.596:
	global_load_dword v2, v[0:1], off
	s_waitcnt vmcnt(0)
	v_cvt_i32_f32_e32 v2, v2
.LBB387_597:
	s_mov_b64 s[0:1], 0
.LBB387_598:
	s_andn2_b64 vcc, exec, s[0:1]
	s_cbranch_vccnz .LBB387_600
; %bb.599:
	global_load_dword v2, v[0:1], off
	s_waitcnt vmcnt(0)
	v_cvt_i16_f16_e32 v2, v2
.LBB387_600:
	s_mov_b64 s[0:1], 0
.LBB387_601:
	s_andn2_b64 vcc, exec, s[0:1]
	s_cbranch_vccnz .LBB387_612
; %bb.602:
	s_cmp_lt_i32 s38, 6
	s_cbranch_scc1 .LBB387_605
; %bb.603:
	s_cmp_gt_i32 s38, 6
	s_cbranch_scc0 .LBB387_606
; %bb.604:
	global_load_dwordx2 v[2:3], v[0:1], off
	s_mov_b64 s[0:1], 0
	s_waitcnt vmcnt(0)
	v_cvt_i32_f64_e32 v2, v[2:3]
	s_branch .LBB387_607
.LBB387_605:
	s_mov_b64 s[0:1], -1
                                        ; implicit-def: $vgpr2
	s_branch .LBB387_610
.LBB387_606:
	s_mov_b64 s[0:1], -1
                                        ; implicit-def: $vgpr2
.LBB387_607:
	s_andn2_b64 vcc, exec, s[0:1]
	s_cbranch_vccnz .LBB387_609
; %bb.608:
	global_load_dword v2, v[0:1], off
	s_waitcnt vmcnt(0)
	v_cvt_i32_f32_e32 v2, v2
.LBB387_609:
	s_mov_b64 s[0:1], 0
.LBB387_610:
	s_andn2_b64 vcc, exec, s[0:1]
	s_cbranch_vccnz .LBB387_612
; %bb.611:
	global_load_ushort v2, v[0:1], off
	s_waitcnt vmcnt(0)
	v_cvt_i16_f16_e32 v2, v2
.LBB387_612:
	s_mov_b64 s[0:1], 0
.LBB387_613:
	s_andn2_b64 vcc, exec, s[0:1]
	s_cbranch_vccnz .LBB387_633
; %bb.614:
	s_cmp_lt_i32 s38, 2
	s_cbranch_scc1 .LBB387_618
; %bb.615:
	s_cmp_lt_i32 s38, 3
	s_cbranch_scc1 .LBB387_619
; %bb.616:
	s_cmp_gt_i32 s38, 3
	s_cbranch_scc0 .LBB387_620
; %bb.617:
	global_load_dwordx2 v[2:3], v[0:1], off
	s_mov_b64 s[0:1], 0
	s_branch .LBB387_621
.LBB387_618:
	s_mov_b64 s[0:1], -1
                                        ; implicit-def: $vgpr2
	s_branch .LBB387_627
.LBB387_619:
	s_mov_b64 s[0:1], -1
                                        ; implicit-def: $vgpr2
	s_branch .LBB387_624
.LBB387_620:
	s_mov_b64 s[0:1], -1
                                        ; implicit-def: $vgpr2
.LBB387_621:
	s_andn2_b64 vcc, exec, s[0:1]
	s_cbranch_vccnz .LBB387_623
; %bb.622:
	global_load_dword v2, v[0:1], off
.LBB387_623:
	s_mov_b64 s[0:1], 0
.LBB387_624:
	s_andn2_b64 vcc, exec, s[0:1]
	s_cbranch_vccnz .LBB387_626
; %bb.625:
	global_load_ushort v2, v[0:1], off
.LBB387_626:
	s_mov_b64 s[0:1], 0
.LBB387_627:
	s_andn2_b64 vcc, exec, s[0:1]
	s_cbranch_vccnz .LBB387_633
; %bb.628:
	s_cmp_gt_i32 s38, 0
	s_cbranch_scc0 .LBB387_630
; %bb.629:
	global_load_ubyte v2, v[0:1], off
	s_mov_b64 s[0:1], 0
	s_branch .LBB387_631
.LBB387_630:
	s_mov_b64 s[0:1], -1
                                        ; implicit-def: $vgpr2
.LBB387_631:
	s_andn2_b64 vcc, exec, s[0:1]
	s_cbranch_vccnz .LBB387_633
; %bb.632:
	global_load_ubyte v2, v[0:1], off
.LBB387_633:
	s_mov_b64 s[0:1], -1
.LBB387_634:
	s_andn2_b64 vcc, exec, s[0:1]
	s_cbranch_vccnz .LBB387_642
; %bb.635:
	v_mul_lo_u32 v0, v9, s12
	s_and_b32 s0, s2, 0xff
	s_waitcnt vmcnt(0)
	v_cmp_ne_u16_sdwa s[0:1], s0, v2 src0_sel:DWORD src1_sel:BYTE_0
	s_xor_b64 s[36:37], s[16:17], s[0:1]
	v_ashrrev_i32_e32 v1, 31, v0
	v_mov_b32_e32 v2, s9
	s_and_b32 s44, s3, 0xff
	v_add_co_u32_e32 v0, vcc, s8, v0
	s_cmp_lt_i32 s44, 11
	v_addc_co_u32_e32 v1, vcc, v2, v1, vcc
	s_cbranch_scc1 .LBB387_643
; %bb.636:
	s_and_b32 s45, 0xffff, s44
	s_cmp_gt_i32 s45, 25
	s_cbranch_scc0 .LBB387_644
; %bb.637:
	s_cmp_gt_i32 s45, 28
	s_cbranch_scc0 .LBB387_645
; %bb.638:
	;; [unrolled: 3-line block ×4, first 2 shown]
	s_mov_b64 s[40:41], 0
	s_mov_b64 s[0:1], -1
	s_cmp_eq_u32 s45, 46
	s_mov_b64 s[38:39], 0
	s_cbranch_scc0 .LBB387_648
; %bb.641:
	v_cndmask_b32_e64 v2, 0, 1.0, s[36:37]
	v_bfe_u32 v3, v2, 16, 1
	s_movk_i32 s0, 0x7fff
	v_add3_u32 v2, v2, v3, s0
	v_lshrrev_b32_e32 v2, 16, v2
	global_store_dword v[0:1], v2, off
	s_mov_b64 s[38:39], -1
	s_mov_b64 s[0:1], 0
	s_branch .LBB387_648
.LBB387_642:
	s_mov_b64 s[38:39], 0
                                        ; implicit-def: $vgpr9
	s_mov_b64 s[0:1], s[26:27]
	s_branch .LBB387_759
.LBB387_643:
	s_mov_b64 s[40:41], -1
	s_mov_b64 s[38:39], 0
	s_mov_b64 s[0:1], s[26:27]
	s_branch .LBB387_717
.LBB387_644:
	s_mov_b64 s[40:41], -1
	s_mov_b64 s[38:39], 0
	s_mov_b64 s[0:1], s[26:27]
	s_branch .LBB387_675
.LBB387_645:
	s_mov_b64 s[40:41], -1
	s_mov_b64 s[38:39], 0
	s_mov_b64 s[0:1], s[26:27]
	s_branch .LBB387_658
.LBB387_646:
	s_mov_b64 s[40:41], -1
	s_mov_b64 s[38:39], 0
	s_mov_b64 s[0:1], s[26:27]
	s_branch .LBB387_654
.LBB387_647:
	s_mov_b64 s[40:41], -1
	s_mov_b64 s[38:39], 0
	s_mov_b64 s[0:1], s[26:27]
.LBB387_648:
	s_and_b64 vcc, exec, s[40:41]
	s_cbranch_vccz .LBB387_653
; %bb.649:
	s_cmp_eq_u32 s45, 44
	s_mov_b64 s[0:1], -1
	s_cbranch_scc0 .LBB387_653
; %bb.650:
	v_cndmask_b32_e64 v3, 0, 1.0, s[36:37]
	v_lshrrev_b32_e32 v2, 23, v3
	s_movk_i32 s0, 0xff
	v_cmp_ne_u32_e32 vcc, s0, v2
	v_mov_b32_e32 v4, 0xff
	s_and_saveexec_b64 s[38:39], vcc
; %bb.651:
	s_mov_b32 s0, 0x3fffff
	v_and_b32_e32 v4, 0x400000, v3
	v_and_or_b32 v3, v3, s0, v2
	v_cmp_ne_u32_e32 vcc, 0, v4
	v_cmp_ne_u32_e64 s[0:1], 0, v3
	s_and_b64 s[0:1], vcc, s[0:1]
	v_cndmask_b32_e64 v3, 0, 1, s[0:1]
	v_add_u32_e32 v4, v2, v3
; %bb.652:
	s_or_b64 exec, exec, s[38:39]
	s_mov_b64 s[38:39], -1
	s_mov_b64 s[0:1], 0
	global_store_byte v[0:1], v4, off
.LBB387_653:
	s_mov_b64 s[40:41], 0
.LBB387_654:
	s_and_b64 vcc, exec, s[40:41]
	s_cbranch_vccz .LBB387_657
; %bb.655:
	s_cmp_eq_u32 s45, 29
	s_mov_b64 s[0:1], -1
	s_cbranch_scc0 .LBB387_657
; %bb.656:
	s_mov_b32 s0, 0
	v_cndmask_b32_e64 v2, 0, 1, s[36:37]
	v_mov_b32_e32 v3, s0
	global_store_dwordx2 v[0:1], v[2:3], off
	s_mov_b64 s[38:39], -1
	s_mov_b64 s[0:1], 0
.LBB387_657:
	s_mov_b64 s[40:41], 0
.LBB387_658:
	s_and_b64 vcc, exec, s[40:41]
	s_cbranch_vccz .LBB387_674
; %bb.659:
	s_cmp_lt_i32 s45, 27
	s_mov_b64 s[38:39], -1
	s_cbranch_scc1 .LBB387_665
; %bb.660:
	s_cmp_gt_i32 s45, 27
	s_cbranch_scc0 .LBB387_662
; %bb.661:
	v_cndmask_b32_e64 v2, 0, 1, s[36:37]
	s_mov_b64 s[38:39], 0
	global_store_dword v[0:1], v2, off
.LBB387_662:
	s_andn2_b64 vcc, exec, s[38:39]
	s_cbranch_vccnz .LBB387_664
; %bb.663:
	v_cndmask_b32_e64 v2, 0, 1, s[36:37]
	global_store_short v[0:1], v2, off
.LBB387_664:
	s_mov_b64 s[38:39], 0
.LBB387_665:
	s_andn2_b64 vcc, exec, s[38:39]
	s_cbranch_vccnz .LBB387_673
; %bb.666:
	v_cndmask_b32_e64 v3, 0, 1.0, s[36:37]
	s_mov_b32 s38, 0x43800000
	v_cmp_gt_u32_e32 vcc, s38, v3
	v_mov_b32_e32 v4, 0x80
	s_and_saveexec_b64 s[38:39], vcc
	s_cbranch_execz .LBB387_672
; %bb.667:
	s_mov_b32 s40, 0x3bffffff
	v_cmp_lt_u32_e32 vcc, s40, v3
	s_mov_b64 s[40:41], 0
                                        ; implicit-def: $vgpr2
	s_and_saveexec_b64 s[42:43], vcc
	s_xor_b64 s[42:43], exec, s[42:43]
	s_cbranch_execz .LBB387_773
; %bb.668:
	v_bfe_u32 v2, v3, 20, 1
	s_mov_b32 s46, 0x487ffff
	v_add3_u32 v2, v3, v2, s46
	s_mov_b64 s[40:41], exec
	v_lshrrev_b32_e32 v2, 20, v2
                                        ; implicit-def: $vgpr3
	s_andn2_saveexec_b64 s[42:43], s[42:43]
	s_cbranch_execnz .LBB387_774
.LBB387_669:
	s_or_b64 exec, exec, s[42:43]
	v_mov_b32_e32 v4, 0
	s_and_saveexec_b64 s[42:43], s[40:41]
.LBB387_670:
	v_mov_b32_e32 v4, v2
.LBB387_671:
	s_or_b64 exec, exec, s[42:43]
.LBB387_672:
	s_or_b64 exec, exec, s[38:39]
	global_store_byte v[0:1], v4, off
.LBB387_673:
	s_mov_b64 s[38:39], -1
.LBB387_674:
	s_mov_b64 s[40:41], 0
.LBB387_675:
	s_and_b64 vcc, exec, s[40:41]
	s_cbranch_vccz .LBB387_716
; %bb.676:
	s_cmp_gt_i32 s45, 22
	s_mov_b64 s[40:41], -1
	s_cbranch_scc0 .LBB387_708
; %bb.677:
	s_cmp_lt_i32 s45, 24
	s_mov_b64 s[38:39], -1
	s_cbranch_scc1 .LBB387_697
; %bb.678:
	s_cmp_gt_i32 s45, 24
	s_cbranch_scc0 .LBB387_686
; %bb.679:
	v_cndmask_b32_e64 v3, 0, 1.0, s[36:37]
	s_mov_b32 s38, 0x47800000
	v_cmp_gt_u32_e32 vcc, s38, v3
	v_mov_b32_e32 v4, 0x80
	s_and_saveexec_b64 s[38:39], vcc
	s_cbranch_execz .LBB387_685
; %bb.680:
	s_mov_b32 s40, 0x37ffffff
	v_cmp_lt_u32_e32 vcc, s40, v3
	s_mov_b64 s[40:41], 0
                                        ; implicit-def: $vgpr2
	s_and_saveexec_b64 s[42:43], vcc
	s_xor_b64 s[42:43], exec, s[42:43]
	s_cbranch_execz .LBB387_776
; %bb.681:
	v_bfe_u32 v2, v3, 21, 1
	s_mov_b32 s46, 0x88fffff
	v_add3_u32 v2, v3, v2, s46
	s_mov_b64 s[40:41], exec
	v_lshrrev_b32_e32 v2, 21, v2
                                        ; implicit-def: $vgpr3
	s_andn2_saveexec_b64 s[42:43], s[42:43]
	s_cbranch_execnz .LBB387_777
.LBB387_682:
	s_or_b64 exec, exec, s[42:43]
	v_mov_b32_e32 v4, 0
	s_and_saveexec_b64 s[42:43], s[40:41]
.LBB387_683:
	v_mov_b32_e32 v4, v2
.LBB387_684:
	s_or_b64 exec, exec, s[42:43]
.LBB387_685:
	s_or_b64 exec, exec, s[38:39]
	s_mov_b64 s[38:39], 0
	global_store_byte v[0:1], v4, off
.LBB387_686:
	s_and_b64 vcc, exec, s[38:39]
	s_cbranch_vccz .LBB387_696
; %bb.687:
	v_cndmask_b32_e64 v2, 0, 1.0, s[36:37]
	s_mov_b32 s38, 0x43f00000
	v_cmp_gt_u32_e32 vcc, s38, v2
                                        ; implicit-def: $vgpr3
	s_and_saveexec_b64 s[38:39], vcc
	s_xor_b64 s[38:39], exec, s[38:39]
	s_cbranch_execz .LBB387_693
; %bb.688:
	s_mov_b32 s40, 0x3c7fffff
	v_cmp_lt_u32_e32 vcc, s40, v2
                                        ; implicit-def: $vgpr3
	s_and_saveexec_b64 s[40:41], vcc
	s_xor_b64 s[40:41], exec, s[40:41]
; %bb.689:
	v_bfe_u32 v3, v2, 20, 1
	s_mov_b32 s42, 0x407ffff
	v_add3_u32 v2, v2, v3, s42
	v_lshrrev_b32_e32 v3, 20, v2
	v_and_b32_e32 v2, 0xff00000, v2
	s_mov_b32 s42, 0x7f00000
	v_mov_b32_e32 v4, 0x7e
	v_cmp_ne_u32_e32 vcc, s42, v2
	v_cndmask_b32_e32 v3, v4, v3, vcc
                                        ; implicit-def: $vgpr2
; %bb.690:
	s_andn2_saveexec_b64 s[40:41], s[40:41]
; %bb.691:
	v_add_f32_e32 v3, 0x46800000, v2
; %bb.692:
	s_or_b64 exec, exec, s[40:41]
                                        ; implicit-def: $vgpr2
.LBB387_693:
	s_andn2_saveexec_b64 s[38:39], s[38:39]
; %bb.694:
	s_mov_b32 s40, 0x7f800000
	v_mov_b32_e32 v3, 0x7e
	v_mov_b32_e32 v4, 0x7f
	v_cmp_lt_u32_e32 vcc, s40, v2
	v_cndmask_b32_e32 v3, v3, v4, vcc
; %bb.695:
	s_or_b64 exec, exec, s[38:39]
	global_store_byte v[0:1], v3, off
.LBB387_696:
	s_mov_b64 s[38:39], 0
.LBB387_697:
	s_andn2_b64 vcc, exec, s[38:39]
	s_cbranch_vccnz .LBB387_707
; %bb.698:
	v_cndmask_b32_e64 v2, 0, 1.0, s[36:37]
	s_mov_b32 s38, 0x47800000
	v_cmp_gt_u32_e32 vcc, s38, v2
                                        ; implicit-def: $vgpr3
	s_and_saveexec_b64 s[38:39], vcc
	s_xor_b64 s[38:39], exec, s[38:39]
	s_cbranch_execz .LBB387_704
; %bb.699:
	s_mov_b32 s40, 0x387fffff
	v_cmp_lt_u32_e32 vcc, s40, v2
                                        ; implicit-def: $vgpr3
	s_and_saveexec_b64 s[40:41], vcc
	s_xor_b64 s[40:41], exec, s[40:41]
; %bb.700:
	v_bfe_u32 v3, v2, 21, 1
	s_mov_b32 s42, 0x80fffff
	v_add3_u32 v2, v2, v3, s42
	v_lshrrev_b32_e32 v3, 21, v2
                                        ; implicit-def: $vgpr2
; %bb.701:
	s_andn2_saveexec_b64 s[40:41], s[40:41]
; %bb.702:
	v_add_f32_e32 v3, 0x43000000, v2
; %bb.703:
	s_or_b64 exec, exec, s[40:41]
                                        ; implicit-def: $vgpr2
.LBB387_704:
	s_andn2_saveexec_b64 s[38:39], s[38:39]
; %bb.705:
	s_mov_b32 s40, 0x7f800000
	v_mov_b32_e32 v3, 0x7c
	v_mov_b32_e32 v4, 0x7f
	v_cmp_lt_u32_e32 vcc, s40, v2
	v_cndmask_b32_e32 v3, v3, v4, vcc
; %bb.706:
	s_or_b64 exec, exec, s[38:39]
	global_store_byte v[0:1], v3, off
.LBB387_707:
	s_mov_b64 s[40:41], 0
	s_mov_b64 s[38:39], -1
.LBB387_708:
	s_andn2_b64 vcc, exec, s[40:41]
	s_cbranch_vccnz .LBB387_716
; %bb.709:
	s_cmp_gt_i32 s45, 14
	s_mov_b64 s[40:41], -1
	s_cbranch_scc0 .LBB387_713
; %bb.710:
	s_cmp_eq_u32 s45, 15
	s_mov_b64 s[0:1], -1
	s_cbranch_scc0 .LBB387_712
; %bb.711:
	v_cndmask_b32_e64 v2, 0, 1.0, s[36:37]
	v_bfe_u32 v3, v2, 16, 1
	s_movk_i32 s0, 0x7fff
	v_add3_u32 v2, v2, v3, s0
	global_store_short_d16_hi v[0:1], v2, off
	s_mov_b64 s[38:39], -1
	s_mov_b64 s[0:1], 0
.LBB387_712:
	s_mov_b64 s[40:41], 0
.LBB387_713:
	s_and_b64 vcc, exec, s[40:41]
	s_cbranch_vccz .LBB387_716
; %bb.714:
	s_cmp_eq_u32 s45, 11
	s_mov_b64 s[0:1], -1
	s_cbranch_scc0 .LBB387_716
; %bb.715:
	v_cndmask_b32_e64 v2, 0, 1, s[36:37]
	s_mov_b64 s[38:39], -1
	s_mov_b64 s[0:1], 0
	global_store_byte v[0:1], v2, off
.LBB387_716:
	s_mov_b64 s[40:41], 0
.LBB387_717:
	s_and_b64 vcc, exec, s[40:41]
	s_cbranch_vccz .LBB387_756
; %bb.718:
	s_and_b32 s40, 0xffff, s44
	s_cmp_lt_i32 s40, 5
	s_mov_b64 s[38:39], -1
	s_cbranch_scc1 .LBB387_739
; %bb.719:
	s_cmp_lt_i32 s40, 8
	s_cbranch_scc1 .LBB387_729
; %bb.720:
	s_cmp_lt_i32 s40, 9
	s_cbranch_scc1 .LBB387_726
; %bb.721:
	s_cmp_gt_i32 s40, 9
	s_cbranch_scc0 .LBB387_723
; %bb.722:
	v_cndmask_b32_e64 v2, 0, 1, s[36:37]
	v_cvt_f64_u32_e32 v[2:3], v2
	v_mov_b32_e32 v4, 0
	v_mov_b32_e32 v5, v4
	s_mov_b64 s[38:39], 0
	global_store_dwordx4 v[0:1], v[2:5], off
.LBB387_723:
	s_andn2_b64 vcc, exec, s[38:39]
	s_cbranch_vccnz .LBB387_725
; %bb.724:
	v_cndmask_b32_e64 v2, 0, 1.0, s[36:37]
	v_mov_b32_e32 v3, 0
	global_store_dwordx2 v[0:1], v[2:3], off
.LBB387_725:
	s_mov_b64 s[38:39], 0
.LBB387_726:
	s_andn2_b64 vcc, exec, s[38:39]
	s_cbranch_vccnz .LBB387_728
; %bb.727:
	v_cndmask_b32_e64 v2, 0, 1.0, s[36:37]
	v_cvt_f16_f32_e32 v2, v2
	global_store_dword v[0:1], v2, off
.LBB387_728:
	s_mov_b64 s[38:39], 0
.LBB387_729:
	s_andn2_b64 vcc, exec, s[38:39]
	s_cbranch_vccnz .LBB387_738
; %bb.730:
	s_cmp_lt_i32 s40, 6
	s_mov_b64 s[38:39], -1
	s_cbranch_scc1 .LBB387_736
; %bb.731:
	s_cmp_gt_i32 s40, 6
	s_cbranch_scc0 .LBB387_733
; %bb.732:
	v_cndmask_b32_e64 v2, 0, 1, s[36:37]
	v_cvt_f64_u32_e32 v[2:3], v2
	s_mov_b64 s[38:39], 0
	global_store_dwordx2 v[0:1], v[2:3], off
.LBB387_733:
	s_andn2_b64 vcc, exec, s[38:39]
	s_cbranch_vccnz .LBB387_735
; %bb.734:
	v_cndmask_b32_e64 v2, 0, 1.0, s[36:37]
	global_store_dword v[0:1], v2, off
.LBB387_735:
	s_mov_b64 s[38:39], 0
.LBB387_736:
	s_andn2_b64 vcc, exec, s[38:39]
	s_cbranch_vccnz .LBB387_738
; %bb.737:
	v_cndmask_b32_e64 v2, 0, 1.0, s[36:37]
	v_cvt_f16_f32_e32 v2, v2
	global_store_short v[0:1], v2, off
.LBB387_738:
	s_mov_b64 s[38:39], 0
.LBB387_739:
	s_andn2_b64 vcc, exec, s[38:39]
	s_cbranch_vccnz .LBB387_755
; %bb.740:
	s_cmp_lt_i32 s40, 2
	s_mov_b64 s[38:39], -1
	s_cbranch_scc1 .LBB387_750
; %bb.741:
	s_cmp_lt_i32 s40, 3
	s_cbranch_scc1 .LBB387_747
; %bb.742:
	s_cmp_gt_i32 s40, 3
	s_cbranch_scc0 .LBB387_744
; %bb.743:
	s_mov_b32 s38, 0
	v_cndmask_b32_e64 v2, 0, 1, s[36:37]
	v_mov_b32_e32 v3, s38
	s_mov_b64 s[38:39], 0
	global_store_dwordx2 v[0:1], v[2:3], off
.LBB387_744:
	s_andn2_b64 vcc, exec, s[38:39]
	s_cbranch_vccnz .LBB387_746
; %bb.745:
	v_cndmask_b32_e64 v2, 0, 1, s[36:37]
	global_store_dword v[0:1], v2, off
.LBB387_746:
	s_mov_b64 s[38:39], 0
.LBB387_747:
	s_andn2_b64 vcc, exec, s[38:39]
	s_cbranch_vccnz .LBB387_749
; %bb.748:
	v_cndmask_b32_e64 v2, 0, 1, s[36:37]
	global_store_short v[0:1], v2, off
.LBB387_749:
	s_mov_b64 s[38:39], 0
.LBB387_750:
	s_andn2_b64 vcc, exec, s[38:39]
	s_cbranch_vccnz .LBB387_755
; %bb.751:
	s_mov_b64 s[38:39], -1
	s_cmp_gt_i32 s40, 0
	v_cndmask_b32_e64 v2, 0, 1, s[36:37]
	s_cbranch_scc0 .LBB387_753
; %bb.752:
	s_mov_b64 s[38:39], 0
	global_store_byte v[0:1], v2, off
.LBB387_753:
	s_andn2_b64 vcc, exec, s[38:39]
	s_cbranch_vccnz .LBB387_755
; %bb.754:
	global_store_byte v[0:1], v2, off
.LBB387_755:
	s_mov_b64 s[38:39], -1
.LBB387_756:
	s_andn2_b64 vcc, exec, s[38:39]
	s_cbranch_vccnz .LBB387_758
; %bb.757:
	v_add_u32_e32 v9, 0x80, v9
	s_mov_b64 s[38:39], -1
	s_branch .LBB387_759
.LBB387_758:
	s_mov_b64 s[38:39], 0
                                        ; implicit-def: $vgpr9
.LBB387_759:
	s_andn2_b64 s[36:37], s[26:27], exec
	s_and_b64 s[0:1], s[0:1], exec
	s_or_b64 s[36:37], s[36:37], s[0:1]
	s_andn2_b64 s[0:1], s[24:25], exec
	s_and_b64 s[34:35], s[34:35], exec
	s_or_b64 s[0:1], s[0:1], s[34:35]
	s_orn2_b64 s[40:41], s[38:39], exec
.LBB387_760:
	s_or_b64 exec, exec, s[30:31]
	s_mov_b64 s[38:39], 0
	s_mov_b64 s[34:35], 0
	;; [unrolled: 1-line block ×3, first 2 shown]
                                        ; implicit-def: $vgpr0_vgpr1
                                        ; implicit-def: $vgpr2
	s_and_saveexec_b64 s[30:31], s[40:41]
	s_cbranch_execz .LBB387_841
; %bb.761:
	v_cmp_gt_i32_e32 vcc, s33, v9
	s_mov_b64 s[40:41], 0
	s_mov_b64 s[44:45], s[0:1]
	;; [unrolled: 1-line block ×3, first 2 shown]
                                        ; implicit-def: $vgpr0_vgpr1
                                        ; implicit-def: $vgpr2
	s_and_saveexec_b64 s[34:35], vcc
	s_cbranch_execz .LBB387_840
; %bb.762:
	v_mul_lo_u32 v0, v9, s13
	v_mov_b32_e32 v1, s11
	s_and_b32 s33, 0xffff, s15
	s_cmp_lt_i32 s33, 11
	s_waitcnt vmcnt(0)
	v_ashrrev_i32_e32 v2, 31, v0
	v_add_co_u32_e32 v0, vcc, s10, v0
	v_addc_co_u32_e32 v1, vcc, v1, v2, vcc
	s_cbranch_scc1 .LBB387_769
; %bb.763:
	s_cmp_gt_i32 s33, 25
	s_cbranch_scc0 .LBB387_770
; %bb.764:
	s_cmp_gt_i32 s33, 28
	s_cbranch_scc0 .LBB387_771
	;; [unrolled: 3-line block ×4, first 2 shown]
; %bb.767:
	s_cmp_eq_u32 s33, 46
	s_mov_b64 s[44:45], 0
	s_cbranch_scc0 .LBB387_778
; %bb.768:
	global_load_dword v2, v[0:1], off
	s_mov_b64 s[42:43], -1
	s_waitcnt vmcnt(0)
	v_lshlrev_b32_e32 v2, 16, v2
	v_cvt_i32_f32_e32 v2, v2
	s_branch .LBB387_780
.LBB387_769:
	s_mov_b64 s[44:45], -1
                                        ; implicit-def: $vgpr2
	s_mov_b64 s[38:39], s[0:1]
	s_branch .LBB387_839
.LBB387_770:
	s_mov_b64 s[44:45], -1
	s_mov_b64 s[38:39], s[0:1]
                                        ; implicit-def: $vgpr2
	s_branch .LBB387_807
.LBB387_771:
	s_mov_b64 s[44:45], -1
	s_mov_b64 s[38:39], s[0:1]
                                        ; implicit-def: $vgpr2
	s_branch .LBB387_790
.LBB387_772:
	s_mov_b64 s[44:45], -1
	s_mov_b64 s[38:39], s[0:1]
                                        ; implicit-def: $vgpr2
	s_branch .LBB387_785
.LBB387_773:
	s_andn2_saveexec_b64 s[42:43], s[42:43]
	s_cbranch_execz .LBB387_669
.LBB387_774:
	v_add_f32_e32 v2, 0x46000000, v3
	v_and_b32_e32 v2, 0xff, v2
	v_cmp_ne_u32_e32 vcc, 0, v2
	s_andn2_b64 s[40:41], s[40:41], exec
	s_and_b64 s[46:47], vcc, exec
	s_or_b64 s[40:41], s[40:41], s[46:47]
	s_or_b64 exec, exec, s[42:43]
	v_mov_b32_e32 v4, 0
	s_and_saveexec_b64 s[42:43], s[40:41]
	s_cbranch_execnz .LBB387_670
	s_branch .LBB387_671
.LBB387_775:
	s_mov_b64 s[44:45], -1
	s_mov_b64 s[38:39], s[0:1]
	s_branch .LBB387_779
.LBB387_776:
	s_andn2_saveexec_b64 s[42:43], s[42:43]
	s_cbranch_execz .LBB387_682
.LBB387_777:
	v_add_f32_e32 v2, 0x42800000, v3
	v_and_b32_e32 v2, 0xff, v2
	v_cmp_ne_u32_e32 vcc, 0, v2
	s_andn2_b64 s[40:41], s[40:41], exec
	s_and_b64 s[46:47], vcc, exec
	s_or_b64 s[40:41], s[40:41], s[46:47]
	s_or_b64 exec, exec, s[42:43]
	v_mov_b32_e32 v4, 0
	s_and_saveexec_b64 s[42:43], s[40:41]
	s_cbranch_execnz .LBB387_683
	s_branch .LBB387_684
.LBB387_778:
	s_mov_b64 s[38:39], -1
.LBB387_779:
                                        ; implicit-def: $vgpr2
.LBB387_780:
	s_and_b64 vcc, exec, s[44:45]
	s_cbranch_vccz .LBB387_784
; %bb.781:
	s_cmp_eq_u32 s33, 44
	s_cbranch_scc0 .LBB387_783
; %bb.782:
	global_load_ubyte v2, v[0:1], off
	s_mov_b64 s[38:39], 0
	s_mov_b64 s[42:43], -1
	s_waitcnt vmcnt(0)
	v_lshlrev_b32_e32 v3, 23, v2
	v_cvt_i32_f32_e32 v3, v3
	v_cmp_ne_u32_e32 vcc, 0, v2
	v_cndmask_b32_e32 v2, 0, v3, vcc
	s_branch .LBB387_784
.LBB387_783:
	s_mov_b64 s[38:39], -1
                                        ; implicit-def: $vgpr2
.LBB387_784:
	s_mov_b64 s[44:45], 0
.LBB387_785:
	s_and_b64 vcc, exec, s[44:45]
	s_cbranch_vccz .LBB387_789
; %bb.786:
	s_cmp_eq_u32 s33, 29
	s_cbranch_scc0 .LBB387_788
; %bb.787:
	global_load_dwordx2 v[2:3], v[0:1], off
	s_mov_b64 s[38:39], 0
	s_mov_b64 s[42:43], -1
	s_branch .LBB387_789
.LBB387_788:
	s_mov_b64 s[38:39], -1
                                        ; implicit-def: $vgpr2
.LBB387_789:
	s_mov_b64 s[44:45], 0
.LBB387_790:
	s_and_b64 vcc, exec, s[44:45]
	s_cbranch_vccz .LBB387_806
; %bb.791:
	s_cmp_lt_i32 s33, 27
	s_cbranch_scc1 .LBB387_794
; %bb.792:
	s_cmp_gt_i32 s33, 27
	s_cbranch_scc0 .LBB387_795
; %bb.793:
	global_load_dword v2, v[0:1], off
	s_mov_b64 s[42:43], 0
	s_branch .LBB387_796
.LBB387_794:
	s_mov_b64 s[42:43], -1
                                        ; implicit-def: $vgpr2
	s_branch .LBB387_799
.LBB387_795:
	s_mov_b64 s[42:43], -1
                                        ; implicit-def: $vgpr2
.LBB387_796:
	s_andn2_b64 vcc, exec, s[42:43]
	s_cbranch_vccnz .LBB387_798
; %bb.797:
	global_load_ushort v2, v[0:1], off
.LBB387_798:
	s_mov_b64 s[42:43], 0
.LBB387_799:
	s_andn2_b64 vcc, exec, s[42:43]
	s_cbranch_vccnz .LBB387_805
; %bb.800:
	global_load_ubyte v3, v[0:1], off
	s_movk_i32 s42, 0x7f
	s_mov_b64 s[44:45], 0
	s_waitcnt vmcnt(0)
	v_cmp_lt_i16_e32 vcc, s42, v3
	s_and_saveexec_b64 s[42:43], vcc
	s_xor_b64 s[42:43], exec, s[42:43]
	s_cbranch_execz .LBB387_817
; %bb.801:
	s_movk_i32 s44, 0x80
	v_cmp_ne_u16_e32 vcc, s44, v3
	s_and_b64 s[44:45], vcc, exec
	s_andn2_saveexec_b64 s[42:43], s[42:43]
	s_cbranch_execnz .LBB387_818
.LBB387_802:
	s_or_b64 exec, exec, s[42:43]
	v_mov_b32_e32 v2, 0
	s_and_saveexec_b64 s[42:43], s[44:45]
	s_cbranch_execz .LBB387_804
.LBB387_803:
	v_lshlrev_b32_e32 v2, 24, v3
	v_and_b32_e32 v3, 0xffff, v3
	v_and_b32_e32 v4, 7, v3
	v_ffbh_u32_e32 v6, v4
	v_min_u32_e32 v6, 32, v6
	v_subrev_u32_e32 v7, 28, v6
	v_bfe_u32 v5, v3, 3, 4
	v_lshlrev_b32_e32 v3, v7, v3
	v_sub_u32_e32 v6, 29, v6
	v_and_b32_e32 v3, 7, v3
	v_cmp_eq_u32_e32 vcc, 0, v5
	v_cndmask_b32_e32 v5, v5, v6, vcc
	v_cndmask_b32_e32 v3, v4, v3, vcc
	v_mov_b32_e32 v4, 0x3b800000
	v_lshlrev_b32_e32 v3, 20, v3
	v_and_b32_e32 v2, 0x80000000, v2
	v_lshl_add_u32 v4, v5, 23, v4
	v_or3_b32 v2, v2, v4, v3
	v_cvt_i32_f32_e32 v2, v2
.LBB387_804:
	s_or_b64 exec, exec, s[42:43]
.LBB387_805:
	s_mov_b64 s[42:43], -1
.LBB387_806:
	s_mov_b64 s[44:45], 0
.LBB387_807:
	s_and_b64 vcc, exec, s[44:45]
	s_cbranch_vccz .LBB387_838
; %bb.808:
	s_cmp_gt_i32 s33, 22
	s_cbranch_scc0 .LBB387_816
; %bb.809:
	s_cmp_lt_i32 s33, 24
	s_cbranch_scc1 .LBB387_819
; %bb.810:
	s_cmp_gt_i32 s33, 24
	s_cbranch_scc0 .LBB387_820
; %bb.811:
	global_load_ubyte v3, v[0:1], off
	s_movk_i32 s40, 0x7f
	s_mov_b64 s[42:43], 0
	s_waitcnt vmcnt(0)
	v_cmp_lt_i16_e32 vcc, s40, v3
	s_and_saveexec_b64 s[40:41], vcc
	s_xor_b64 s[40:41], exec, s[40:41]
	s_cbranch_execz .LBB387_832
; %bb.812:
	s_movk_i32 s42, 0x80
	v_cmp_ne_u16_e32 vcc, s42, v3
	s_and_b64 s[42:43], vcc, exec
	s_andn2_saveexec_b64 s[40:41], s[40:41]
	s_cbranch_execnz .LBB387_833
.LBB387_813:
	s_or_b64 exec, exec, s[40:41]
	v_mov_b32_e32 v2, 0
	s_and_saveexec_b64 s[40:41], s[42:43]
	s_cbranch_execz .LBB387_815
.LBB387_814:
	v_lshlrev_b32_e32 v2, 24, v3
	v_and_b32_e32 v3, 0xffff, v3
	v_and_b32_e32 v4, 3, v3
	v_ffbh_u32_e32 v6, v4
	v_min_u32_e32 v6, 32, v6
	v_subrev_u32_e32 v7, 29, v6
	v_bfe_u32 v5, v3, 2, 5
	v_lshlrev_b32_e32 v3, v7, v3
	v_sub_u32_e32 v6, 30, v6
	v_and_b32_e32 v3, 3, v3
	v_cmp_eq_u32_e32 vcc, 0, v5
	v_cndmask_b32_e32 v5, v5, v6, vcc
	v_cndmask_b32_e32 v3, v4, v3, vcc
	v_mov_b32_e32 v4, 0x37800000
	v_lshlrev_b32_e32 v3, 21, v3
	v_and_b32_e32 v2, 0x80000000, v2
	v_lshl_add_u32 v4, v5, 23, v4
	v_or3_b32 v2, v2, v4, v3
	v_cvt_i32_f32_e32 v2, v2
.LBB387_815:
	s_or_b64 exec, exec, s[40:41]
	s_mov_b64 s[40:41], 0
	s_branch .LBB387_821
.LBB387_816:
	s_mov_b64 s[40:41], -1
                                        ; implicit-def: $vgpr2
	s_branch .LBB387_827
.LBB387_817:
	s_andn2_saveexec_b64 s[42:43], s[42:43]
	s_cbranch_execz .LBB387_802
.LBB387_818:
	v_cmp_ne_u16_e32 vcc, 0, v3
	s_andn2_b64 s[44:45], s[44:45], exec
	s_and_b64 s[46:47], vcc, exec
	s_or_b64 s[44:45], s[44:45], s[46:47]
	s_or_b64 exec, exec, s[42:43]
	v_mov_b32_e32 v2, 0
	s_and_saveexec_b64 s[42:43], s[44:45]
	s_cbranch_execnz .LBB387_803
	s_branch .LBB387_804
.LBB387_819:
	s_mov_b64 s[40:41], -1
                                        ; implicit-def: $vgpr2
	s_branch .LBB387_824
.LBB387_820:
	s_mov_b64 s[40:41], -1
                                        ; implicit-def: $vgpr2
.LBB387_821:
	s_and_b64 vcc, exec, s[40:41]
	s_cbranch_vccz .LBB387_823
; %bb.822:
	global_load_ubyte v2, v[0:1], off
	s_mov_b32 s40, 0x7f800000
	s_waitcnt vmcnt(0)
	v_lshlrev_b32_e32 v2, 24, v2
	v_and_b32_e32 v3, 0x7f000000, v2
	v_ffbh_u32_e32 v4, v3
	v_min_u32_e32 v4, 32, v4
	v_sub_u32_e64 v4, v4, 4 clamp
	v_lshlrev_b32_e32 v6, v4, v3
	v_lshlrev_b32_e32 v4, 23, v4
	v_lshrrev_b32_e32 v6, 4, v6
	v_add_u32_e32 v5, 0x1000000, v3
	v_sub_u32_e32 v4, v6, v4
	v_ashrrev_i32_e32 v5, 8, v5
	v_add_u32_e32 v4, 0x3c000000, v4
	v_and_or_b32 v4, v5, s40, v4
	v_cmp_ne_u32_e32 vcc, 0, v3
	v_cndmask_b32_e32 v3, 0, v4, vcc
	s_brev_b32 s40, 1
	v_and_or_b32 v2, v2, s40, v3
	v_cvt_i32_f32_e32 v2, v2
.LBB387_823:
	s_mov_b64 s[40:41], 0
.LBB387_824:
	s_andn2_b64 vcc, exec, s[40:41]
	s_cbranch_vccnz .LBB387_826
; %bb.825:
	global_load_ubyte v2, v[0:1], off
	s_movk_i32 s40, 0x7f00
	s_brev_b32 s41, 16
	s_waitcnt vmcnt(0)
	v_lshlrev_b16_e32 v3, 8, v2
	v_lshlrev_b32_e32 v2, 25, v2
	v_lshrrev_b32_e32 v4, 4, v2
	v_and_or_b32 v5, v3, s40, 0.5
	v_or_b32_e32 v4, 0x70000000, v4
	v_add_f32_e32 v5, -0.5, v5
	v_mul_f32_e32 v4, 0x7800000, v4
	v_cmp_gt_u32_e32 vcc, s41, v2
	v_bfe_i32 v3, v3, 0, 16
	v_cndmask_b32_e32 v2, v4, v5, vcc
	s_brev_b32 s40, 1
	v_and_or_b32 v2, v3, s40, v2
	v_cvt_i32_f32_e32 v2, v2
.LBB387_826:
	s_mov_b64 s[40:41], 0
	s_mov_b64 s[42:43], -1
.LBB387_827:
	s_andn2_b64 vcc, exec, s[40:41]
	s_mov_b64 s[40:41], 0
	s_cbranch_vccnz .LBB387_838
; %bb.828:
	s_cmp_gt_i32 s33, 14
	s_cbranch_scc0 .LBB387_831
; %bb.829:
	s_cmp_eq_u32 s33, 15
	s_cbranch_scc0 .LBB387_834
; %bb.830:
	global_load_ushort v2, v[0:1], off
	s_mov_b64 s[38:39], 0
	s_mov_b64 s[42:43], -1
	s_waitcnt vmcnt(0)
	v_lshlrev_b32_e32 v2, 16, v2
	v_cvt_i32_f32_e32 v2, v2
	s_branch .LBB387_835
.LBB387_831:
	s_mov_b64 s[44:45], -1
                                        ; implicit-def: $vgpr2
	s_branch .LBB387_836
.LBB387_832:
	s_andn2_saveexec_b64 s[40:41], s[40:41]
	s_cbranch_execz .LBB387_813
.LBB387_833:
	v_cmp_ne_u16_e32 vcc, 0, v3
	s_andn2_b64 s[42:43], s[42:43], exec
	s_and_b64 s[44:45], vcc, exec
	s_or_b64 s[42:43], s[42:43], s[44:45]
	s_or_b64 exec, exec, s[40:41]
	v_mov_b32_e32 v2, 0
	s_and_saveexec_b64 s[40:41], s[42:43]
	s_cbranch_execnz .LBB387_814
	s_branch .LBB387_815
.LBB387_834:
	s_mov_b64 s[38:39], -1
                                        ; implicit-def: $vgpr2
.LBB387_835:
	s_mov_b64 s[44:45], 0
.LBB387_836:
	s_and_b64 vcc, exec, s[44:45]
	s_cbranch_vccz .LBB387_838
; %bb.837:
	s_cmp_lg_u32 s33, 11
	s_cselect_b64 s[44:45], -1, 0
	s_andn2_b64 s[38:39], s[38:39], exec
	s_and_b64 s[44:45], s[44:45], exec
	s_mov_b64 s[40:41], -1
	s_or_b64 s[38:39], s[38:39], s[44:45]
.LBB387_838:
	s_mov_b64 s[44:45], 0
.LBB387_839:
	s_and_b64 s[46:47], s[44:45], exec
	s_andn2_b64 s[44:45], s[0:1], exec
	s_and_b64 s[38:39], s[38:39], exec
	s_and_b64 s[42:43], s[42:43], exec
	s_and_b64 s[40:41], s[40:41], exec
	s_or_b64 s[44:45], s[44:45], s[38:39]
.LBB387_840:
	s_or_b64 exec, exec, s[34:35]
	s_and_b64 s[38:39], s[40:41], exec
	s_andn2_b64 s[0:1], s[0:1], exec
	s_and_b64 s[40:41], s[44:45], exec
	s_and_b64 s[42:43], s[42:43], exec
	;; [unrolled: 1-line block ×3, first 2 shown]
	s_or_b64 s[0:1], s[0:1], s[40:41]
.LBB387_841:
	s_or_b64 exec, exec, s[30:31]
	s_andn2_b64 s[26:27], s[26:27], exec
	s_and_b64 s[30:31], s[36:37], exec
	s_andn2_b64 s[24:25], s[24:25], exec
	s_and_b64 s[0:1], s[0:1], exec
	s_or_b64 s[26:27], s[26:27], s[30:31]
	s_and_b64 s[36:37], s[42:43], exec
	s_and_b64 s[34:35], s[34:35], exec
	;; [unrolled: 1-line block ×3, first 2 shown]
	s_or_b64 s[24:25], s[24:25], s[0:1]
.LBB387_842:
	s_or_b64 exec, exec, s[28:29]
	s_andn2_b64 s[0:1], s[18:19], exec
	s_and_b64 s[18:19], s[26:27], exec
	s_andn2_b64 s[20:21], s[20:21], exec
	s_and_b64 s[24:25], s[24:25], exec
	s_or_b64 s[18:19], s[0:1], s[18:19]
	s_and_b64 s[0:1], s[36:37], exec
	s_and_b64 s[28:29], s[34:35], exec
	;; [unrolled: 1-line block ×3, first 2 shown]
	s_or_b64 s[20:21], s[20:21], s[24:25]
	s_or_b64 exec, exec, s[22:23]
	s_mov_b64 s[22:23], 0
	s_and_saveexec_b64 s[24:25], s[20:21]
	s_cbranch_execz .LBB387_258
.LBB387_843:
	s_mov_b64 s[22:23], exec
	s_andn2_b64 s[26:27], s[26:27], exec
	s_trap 2
	s_or_b64 exec, exec, s[24:25]
	s_and_saveexec_b64 s[20:21], s[26:27]
	s_xor_b64 s[20:21], exec, s[20:21]
	s_cbranch_execnz .LBB387_259
.LBB387_844:
	s_or_b64 exec, exec, s[20:21]
	s_and_saveexec_b64 s[20:21], s[28:29]
	s_cbranch_execz .LBB387_890
.LBB387_845:
	s_sext_i32_i16 s24, s15
	s_cmp_lt_i32 s24, 5
	s_cbranch_scc1 .LBB387_850
; %bb.846:
	s_cmp_lt_i32 s24, 8
	s_cbranch_scc1 .LBB387_851
; %bb.847:
	;; [unrolled: 3-line block ×3, first 2 shown]
	s_cmp_gt_i32 s24, 9
	s_cbranch_scc0 .LBB387_853
; %bb.849:
	global_load_dwordx2 v[2:3], v[0:1], off
	s_mov_b64 s[24:25], 0
	s_waitcnt vmcnt(0)
	v_cvt_i32_f64_e32 v2, v[2:3]
	s_branch .LBB387_854
.LBB387_850:
                                        ; implicit-def: $vgpr2
	s_branch .LBB387_871
.LBB387_851:
                                        ; implicit-def: $vgpr2
	s_branch .LBB387_860
.LBB387_852:
	s_mov_b64 s[24:25], -1
                                        ; implicit-def: $vgpr2
	s_branch .LBB387_857
.LBB387_853:
	s_mov_b64 s[24:25], -1
                                        ; implicit-def: $vgpr2
.LBB387_854:
	s_andn2_b64 vcc, exec, s[24:25]
	s_cbranch_vccnz .LBB387_856
; %bb.855:
	global_load_dword v2, v[0:1], off
	s_waitcnt vmcnt(0)
	v_cvt_i32_f32_e32 v2, v2
.LBB387_856:
	s_mov_b64 s[24:25], 0
.LBB387_857:
	s_andn2_b64 vcc, exec, s[24:25]
	s_cbranch_vccnz .LBB387_859
; %bb.858:
	global_load_dword v2, v[0:1], off
	s_waitcnt vmcnt(0)
	v_cvt_i16_f16_e32 v2, v2
.LBB387_859:
	s_cbranch_execnz .LBB387_870
.LBB387_860:
	s_sext_i32_i16 s24, s15
	s_cmp_lt_i32 s24, 6
	s_cbranch_scc1 .LBB387_863
; %bb.861:
	s_cmp_gt_i32 s24, 6
	s_cbranch_scc0 .LBB387_864
; %bb.862:
	global_load_dwordx2 v[2:3], v[0:1], off
	s_mov_b64 s[24:25], 0
	s_waitcnt vmcnt(0)
	v_cvt_i32_f64_e32 v2, v[2:3]
	s_branch .LBB387_865
.LBB387_863:
	s_mov_b64 s[24:25], -1
                                        ; implicit-def: $vgpr2
	s_branch .LBB387_868
.LBB387_864:
	s_mov_b64 s[24:25], -1
                                        ; implicit-def: $vgpr2
.LBB387_865:
	s_andn2_b64 vcc, exec, s[24:25]
	s_cbranch_vccnz .LBB387_867
; %bb.866:
	global_load_dword v2, v[0:1], off
	s_waitcnt vmcnt(0)
	v_cvt_i32_f32_e32 v2, v2
.LBB387_867:
	s_mov_b64 s[24:25], 0
.LBB387_868:
	s_andn2_b64 vcc, exec, s[24:25]
	s_cbranch_vccnz .LBB387_870
; %bb.869:
	global_load_ushort v2, v[0:1], off
	s_waitcnt vmcnt(0)
	v_cvt_i16_f16_e32 v2, v2
.LBB387_870:
	s_cbranch_execnz .LBB387_889
.LBB387_871:
	s_sext_i32_i16 s24, s15
	s_cmp_lt_i32 s24, 2
	s_cbranch_scc1 .LBB387_875
; %bb.872:
	s_cmp_lt_i32 s24, 3
	s_cbranch_scc1 .LBB387_876
; %bb.873:
	s_cmp_gt_i32 s24, 3
	s_cbranch_scc0 .LBB387_877
; %bb.874:
	global_load_dwordx2 v[2:3], v[0:1], off
	s_mov_b64 s[24:25], 0
	s_branch .LBB387_878
.LBB387_875:
                                        ; implicit-def: $vgpr2
	s_branch .LBB387_884
.LBB387_876:
	s_mov_b64 s[24:25], -1
                                        ; implicit-def: $vgpr2
	s_branch .LBB387_881
.LBB387_877:
	s_mov_b64 s[24:25], -1
                                        ; implicit-def: $vgpr2
.LBB387_878:
	s_andn2_b64 vcc, exec, s[24:25]
	s_cbranch_vccnz .LBB387_880
; %bb.879:
	global_load_dword v2, v[0:1], off
.LBB387_880:
	s_mov_b64 s[24:25], 0
.LBB387_881:
	s_andn2_b64 vcc, exec, s[24:25]
	s_cbranch_vccnz .LBB387_883
; %bb.882:
	global_load_ushort v2, v[0:1], off
.LBB387_883:
	s_cbranch_execnz .LBB387_889
.LBB387_884:
	s_sext_i32_i16 s24, s15
	s_cmp_gt_i32 s24, 0
	s_cbranch_scc0 .LBB387_886
; %bb.885:
	global_load_ubyte v2, v[0:1], off
	s_mov_b64 s[24:25], 0
	s_branch .LBB387_887
.LBB387_886:
	s_mov_b64 s[24:25], -1
                                        ; implicit-def: $vgpr2
.LBB387_887:
	s_andn2_b64 vcc, exec, s[24:25]
	s_cbranch_vccnz .LBB387_889
; %bb.888:
	global_load_ubyte v2, v[0:1], off
.LBB387_889:
	s_or_b64 s[0:1], s[0:1], exec
.LBB387_890:
	s_or_b64 exec, exec, s[20:21]
	s_mov_b64 s[28:29], 0
	s_mov_b64 s[26:27], 0
                                        ; implicit-def: $sgpr20_sgpr21
                                        ; implicit-def: $sgpr33
                                        ; implicit-def: $vgpr0_vgpr1
	s_and_saveexec_b64 s[24:25], s[0:1]
	s_cbranch_execz .LBB387_965
; %bb.891:
	v_mul_lo_u32 v0, v9, s12
	s_and_b32 s0, s2, 0xff
	s_waitcnt vmcnt(0)
	v_cmp_ne_u16_sdwa s[0:1], s0, v2 src0_sel:DWORD src1_sel:BYTE_0
	s_xor_b64 s[20:21], s[16:17], s[0:1]
	v_ashrrev_i32_e32 v1, 31, v0
	v_mov_b32_e32 v2, s9
	s_and_b32 s33, s3, 0xff
	v_add_co_u32_e32 v0, vcc, s8, v0
	s_cmp_lt_i32 s33, 11
	v_addc_co_u32_e32 v1, vcc, v2, v1, vcc
	s_cbranch_scc1 .LBB387_968
; %bb.892:
	s_and_b32 s34, 0xffff, s33
	s_mov_b64 s[26:27], -1
	s_cmp_gt_i32 s34, 25
	s_mov_b64 s[0:1], s[18:19]
	s_cbranch_scc0 .LBB387_925
; %bb.893:
	s_mov_b64 s[16:17], -1
	s_cmp_gt_i32 s34, 28
	s_mov_b64 s[0:1], s[18:19]
	s_cbranch_scc0 .LBB387_909
; %bb.894:
	s_cmp_gt_i32 s34, 43
	s_mov_b64 s[0:1], s[18:19]
	s_cbranch_scc0 .LBB387_905
; %bb.895:
	;; [unrolled: 4-line block ×3, first 2 shown]
	s_cmp_eq_u32 s34, 46
	s_mov_b64 s[0:1], -1
	s_cbranch_scc0 .LBB387_898
; %bb.897:
	v_cndmask_b32_e64 v2, 0, 1.0, s[20:21]
	v_bfe_u32 v3, v2, 16, 1
	s_movk_i32 s0, 0x7fff
	v_add3_u32 v2, v2, v3, s0
	v_lshrrev_b32_e32 v2, 16, v2
	global_store_dword v[0:1], v2, off
	s_mov_b64 s[0:1], 0
.LBB387_898:
	s_mov_b64 s[16:17], 0
.LBB387_899:
	s_and_b64 vcc, exec, s[16:17]
	s_cbranch_vccz .LBB387_904
; %bb.900:
	s_cmp_eq_u32 s34, 44
	s_mov_b64 s[0:1], -1
	s_cbranch_scc0 .LBB387_904
; %bb.901:
	v_cndmask_b32_e64 v3, 0, 1.0, s[20:21]
	v_lshrrev_b32_e32 v2, 23, v3
	s_movk_i32 s0, 0xff
	v_cmp_ne_u32_e32 vcc, s0, v2
	v_mov_b32_e32 v4, 0xff
	s_and_saveexec_b64 s[16:17], vcc
; %bb.902:
	s_mov_b32 s0, 0x3fffff
	v_and_b32_e32 v4, 0x400000, v3
	v_and_or_b32 v3, v3, s0, v2
	v_cmp_ne_u32_e32 vcc, 0, v4
	v_cmp_ne_u32_e64 s[0:1], 0, v3
	s_and_b64 s[0:1], vcc, s[0:1]
	v_cndmask_b32_e64 v3, 0, 1, s[0:1]
	v_add_u32_e32 v4, v2, v3
; %bb.903:
	s_or_b64 exec, exec, s[16:17]
	s_mov_b64 s[0:1], 0
	global_store_byte v[0:1], v4, off
.LBB387_904:
	s_mov_b64 s[16:17], 0
.LBB387_905:
	s_and_b64 vcc, exec, s[16:17]
	s_cbranch_vccz .LBB387_908
; %bb.906:
	s_cmp_eq_u32 s34, 29
	s_mov_b64 s[0:1], -1
	s_cbranch_scc0 .LBB387_908
; %bb.907:
	s_mov_b32 s0, 0
	v_cndmask_b32_e64 v2, 0, 1, s[20:21]
	v_mov_b32_e32 v3, s0
	global_store_dwordx2 v[0:1], v[2:3], off
	s_mov_b64 s[0:1], 0
.LBB387_908:
	s_mov_b64 s[16:17], 0
.LBB387_909:
	s_and_b64 vcc, exec, s[16:17]
	s_cbranch_vccz .LBB387_924
; %bb.910:
	s_cmp_lt_i32 s34, 27
	s_mov_b64 s[16:17], -1
	s_cbranch_scc1 .LBB387_916
; %bb.911:
	s_cmp_gt_i32 s34, 27
	v_cndmask_b32_e64 v2, 0, 1, s[20:21]
	s_cbranch_scc0 .LBB387_913
; %bb.912:
	s_mov_b64 s[16:17], 0
	global_store_dword v[0:1], v2, off
.LBB387_913:
	s_andn2_b64 vcc, exec, s[16:17]
	s_cbranch_vccnz .LBB387_915
; %bb.914:
	global_store_short v[0:1], v2, off
.LBB387_915:
	s_mov_b64 s[16:17], 0
.LBB387_916:
	s_andn2_b64 vcc, exec, s[16:17]
	s_cbranch_vccnz .LBB387_924
; %bb.917:
	v_cndmask_b32_e64 v3, 0, 1.0, s[20:21]
	s_mov_b32 s16, 0x43800000
	v_cmp_gt_u32_e32 vcc, s16, v3
	v_mov_b32_e32 v4, 0x80
	s_and_saveexec_b64 s[16:17], vcc
	s_cbranch_execz .LBB387_923
; %bb.918:
	s_mov_b32 s26, 0x3bffffff
	v_cmp_lt_u32_e32 vcc, s26, v3
	s_mov_b64 s[26:27], 0
                                        ; implicit-def: $vgpr2
	s_and_saveexec_b64 s[28:29], vcc
	s_xor_b64 s[28:29], exec, s[28:29]
	s_cbranch_execz .LBB387_1025
; %bb.919:
	v_bfe_u32 v2, v3, 20, 1
	s_mov_b32 s30, 0x487ffff
	v_add3_u32 v2, v3, v2, s30
	s_mov_b64 s[26:27], exec
	v_lshrrev_b32_e32 v2, 20, v2
                                        ; implicit-def: $vgpr3
	s_andn2_saveexec_b64 s[28:29], s[28:29]
	s_cbranch_execnz .LBB387_1026
.LBB387_920:
	s_or_b64 exec, exec, s[28:29]
	v_mov_b32_e32 v4, 0
	s_and_saveexec_b64 s[28:29], s[26:27]
.LBB387_921:
	v_mov_b32_e32 v4, v2
.LBB387_922:
	s_or_b64 exec, exec, s[28:29]
.LBB387_923:
	s_or_b64 exec, exec, s[16:17]
	global_store_byte v[0:1], v4, off
.LBB387_924:
	s_mov_b64 s[26:27], 0
.LBB387_925:
	s_mov_b64 s[16:17], 0
	s_and_b64 vcc, exec, s[26:27]
	s_cbranch_vccz .LBB387_969
; %bb.926:
	s_cmp_gt_i32 s34, 22
	s_mov_b64 s[26:27], -1
	s_cbranch_scc0 .LBB387_958
; %bb.927:
	s_cmp_lt_i32 s34, 24
	s_cbranch_scc1 .LBB387_947
; %bb.928:
	s_cmp_gt_i32 s34, 24
	s_cbranch_scc0 .LBB387_936
; %bb.929:
	v_cndmask_b32_e64 v3, 0, 1.0, s[20:21]
	s_mov_b32 s26, 0x47800000
	v_cmp_gt_u32_e32 vcc, s26, v3
	v_mov_b32_e32 v4, 0x80
	s_and_saveexec_b64 s[26:27], vcc
	s_cbranch_execz .LBB387_935
; %bb.930:
	s_mov_b32 s28, 0x37ffffff
	v_cmp_lt_u32_e32 vcc, s28, v3
	s_mov_b64 s[28:29], 0
                                        ; implicit-def: $vgpr2
	s_and_saveexec_b64 s[30:31], vcc
	s_xor_b64 s[30:31], exec, s[30:31]
	s_cbranch_execz .LBB387_1145
; %bb.931:
	v_bfe_u32 v2, v3, 21, 1
	s_mov_b32 s35, 0x88fffff
	v_add3_u32 v2, v3, v2, s35
	s_mov_b64 s[28:29], exec
	v_lshrrev_b32_e32 v2, 21, v2
                                        ; implicit-def: $vgpr3
	s_andn2_saveexec_b64 s[30:31], s[30:31]
	s_cbranch_execnz .LBB387_1146
.LBB387_932:
	s_or_b64 exec, exec, s[30:31]
	v_mov_b32_e32 v4, 0
	s_and_saveexec_b64 s[30:31], s[28:29]
.LBB387_933:
	v_mov_b32_e32 v4, v2
.LBB387_934:
	s_or_b64 exec, exec, s[30:31]
.LBB387_935:
	s_or_b64 exec, exec, s[26:27]
	s_mov_b64 s[26:27], 0
	global_store_byte v[0:1], v4, off
.LBB387_936:
	s_and_b64 vcc, exec, s[26:27]
	s_cbranch_vccz .LBB387_946
; %bb.937:
	v_cndmask_b32_e64 v2, 0, 1.0, s[20:21]
	s_mov_b32 s26, 0x43f00000
	v_cmp_gt_u32_e32 vcc, s26, v2
                                        ; implicit-def: $vgpr3
	s_and_saveexec_b64 s[26:27], vcc
	s_xor_b64 s[26:27], exec, s[26:27]
	s_cbranch_execz .LBB387_943
; %bb.938:
	s_mov_b32 s28, 0x3c7fffff
	v_cmp_lt_u32_e32 vcc, s28, v2
                                        ; implicit-def: $vgpr3
	s_and_saveexec_b64 s[28:29], vcc
	s_xor_b64 s[28:29], exec, s[28:29]
; %bb.939:
	v_bfe_u32 v3, v2, 20, 1
	s_mov_b32 s30, 0x407ffff
	v_add3_u32 v2, v2, v3, s30
	v_lshrrev_b32_e32 v3, 20, v2
	v_and_b32_e32 v2, 0xff00000, v2
	s_mov_b32 s30, 0x7f00000
	v_mov_b32_e32 v4, 0x7e
	v_cmp_ne_u32_e32 vcc, s30, v2
	v_cndmask_b32_e32 v3, v4, v3, vcc
                                        ; implicit-def: $vgpr2
; %bb.940:
	s_andn2_saveexec_b64 s[28:29], s[28:29]
; %bb.941:
	v_add_f32_e32 v3, 0x46800000, v2
; %bb.942:
	s_or_b64 exec, exec, s[28:29]
                                        ; implicit-def: $vgpr2
.LBB387_943:
	s_andn2_saveexec_b64 s[26:27], s[26:27]
; %bb.944:
	s_mov_b32 s28, 0x7f800000
	v_mov_b32_e32 v3, 0x7e
	v_mov_b32_e32 v4, 0x7f
	v_cmp_lt_u32_e32 vcc, s28, v2
	v_cndmask_b32_e32 v3, v3, v4, vcc
; %bb.945:
	s_or_b64 exec, exec, s[26:27]
	global_store_byte v[0:1], v3, off
.LBB387_946:
	s_mov_b64 s[26:27], 0
.LBB387_947:
	s_andn2_b64 vcc, exec, s[26:27]
	s_cbranch_vccnz .LBB387_957
; %bb.948:
	v_cndmask_b32_e64 v2, 0, 1.0, s[20:21]
	s_mov_b32 s26, 0x47800000
	v_cmp_gt_u32_e32 vcc, s26, v2
                                        ; implicit-def: $vgpr3
	s_and_saveexec_b64 s[26:27], vcc
	s_xor_b64 s[26:27], exec, s[26:27]
	s_cbranch_execz .LBB387_954
; %bb.949:
	s_mov_b32 s28, 0x387fffff
	v_cmp_lt_u32_e32 vcc, s28, v2
                                        ; implicit-def: $vgpr3
	s_and_saveexec_b64 s[28:29], vcc
	s_xor_b64 s[28:29], exec, s[28:29]
; %bb.950:
	v_bfe_u32 v3, v2, 21, 1
	s_mov_b32 s30, 0x80fffff
	v_add3_u32 v2, v2, v3, s30
	v_lshrrev_b32_e32 v3, 21, v2
                                        ; implicit-def: $vgpr2
; %bb.951:
	s_andn2_saveexec_b64 s[28:29], s[28:29]
; %bb.952:
	v_add_f32_e32 v3, 0x43000000, v2
; %bb.953:
	s_or_b64 exec, exec, s[28:29]
                                        ; implicit-def: $vgpr2
.LBB387_954:
	s_andn2_saveexec_b64 s[26:27], s[26:27]
; %bb.955:
	s_mov_b32 s28, 0x7f800000
	v_mov_b32_e32 v3, 0x7c
	v_mov_b32_e32 v4, 0x7f
	v_cmp_lt_u32_e32 vcc, s28, v2
	v_cndmask_b32_e32 v3, v3, v4, vcc
; %bb.956:
	s_or_b64 exec, exec, s[26:27]
	global_store_byte v[0:1], v3, off
.LBB387_957:
	s_mov_b64 s[26:27], 0
.LBB387_958:
	s_andn2_b64 vcc, exec, s[26:27]
	s_mov_b64 s[28:29], 0
	s_cbranch_vccnz .LBB387_970
; %bb.959:
	s_cmp_gt_i32 s34, 14
	s_mov_b64 s[26:27], -1
	s_cbranch_scc0 .LBB387_963
; %bb.960:
	s_cmp_eq_u32 s34, 15
	s_mov_b64 s[0:1], -1
	s_cbranch_scc0 .LBB387_962
; %bb.961:
	v_cndmask_b32_e64 v2, 0, 1.0, s[20:21]
	v_bfe_u32 v3, v2, 16, 1
	s_movk_i32 s0, 0x7fff
	v_add3_u32 v2, v2, v3, s0
	global_store_short_d16_hi v[0:1], v2, off
	s_mov_b64 s[0:1], 0
.LBB387_962:
	s_mov_b64 s[26:27], 0
.LBB387_963:
	s_and_b64 vcc, exec, s[26:27]
	s_cbranch_vccz .LBB387_970
; %bb.964:
	s_cmp_lg_u32 s34, 11
	s_cselect_b64 s[26:27], -1, 0
	s_andn2_b64 s[0:1], s[0:1], exec
	s_and_b64 s[26:27], s[26:27], exec
	s_mov_b64 s[28:29], -1
	s_or_b64 s[0:1], s[0:1], s[26:27]
	s_branch .LBB387_970
.LBB387_965:
	s_or_b64 exec, exec, s[24:25]
	s_and_saveexec_b64 s[0:1], s[18:19]
	s_cbranch_execnz .LBB387_971
.LBB387_966:
	s_or_b64 exec, exec, s[0:1]
	s_and_saveexec_b64 s[0:1], s[28:29]
	s_xor_b64 s[0:1], exec, s[0:1]
	s_cbranch_execz .LBB387_972
.LBB387_967:
	s_waitcnt vmcnt(0)
	v_cndmask_b32_e64 v2, 0, 1, s[20:21]
	global_store_byte v[0:1], v2, off
	s_or_b64 exec, exec, s[0:1]
	s_and_saveexec_b64 s[0:1], s[26:27]
	s_xor_b64 s[0:1], exec, s[0:1]
	s_cbranch_execz .LBB387_1010
	s_branch .LBB387_973
.LBB387_968:
	s_mov_b64 s[16:17], -1
	s_mov_b64 s[0:1], s[18:19]
	s_branch .LBB387_970
.LBB387_969:
	s_mov_b64 s[28:29], 0
.LBB387_970:
	s_and_b64 s[26:27], s[16:17], exec
	s_andn2_b64 s[16:17], s[18:19], exec
	s_and_b64 s[0:1], s[0:1], exec
	s_and_b64 s[28:29], s[28:29], exec
	s_or_b64 s[18:19], s[16:17], s[0:1]
	s_or_b64 exec, exec, s[24:25]
	s_and_saveexec_b64 s[0:1], s[18:19]
	s_cbranch_execz .LBB387_966
.LBB387_971:
	s_or_b64 s[22:23], s[22:23], exec
	s_andn2_b64 s[28:29], s[28:29], exec
	s_trap 2
	s_or_b64 exec, exec, s[0:1]
	s_and_saveexec_b64 s[0:1], s[28:29]
	s_xor_b64 s[0:1], exec, s[0:1]
	s_cbranch_execnz .LBB387_967
.LBB387_972:
	s_or_b64 exec, exec, s[0:1]
	s_and_saveexec_b64 s[0:1], s[26:27]
	s_xor_b64 s[0:1], exec, s[0:1]
	s_cbranch_execz .LBB387_1010
.LBB387_973:
	s_sext_i32_i16 s18, s33
	s_cmp_lt_i32 s18, 5
	s_mov_b64 s[16:17], -1
	s_cbranch_scc1 .LBB387_994
; %bb.974:
	s_cmp_lt_i32 s18, 8
	s_cbranch_scc1 .LBB387_984
; %bb.975:
	s_cmp_lt_i32 s18, 9
	s_cbranch_scc1 .LBB387_981
; %bb.976:
	s_cmp_gt_i32 s18, 9
	s_cbranch_scc0 .LBB387_978
; %bb.977:
	s_waitcnt vmcnt(0)
	v_cndmask_b32_e64 v2, 0, 1, s[20:21]
	v_cvt_f64_u32_e32 v[2:3], v2
	v_mov_b32_e32 v4, 0
	v_mov_b32_e32 v5, v4
	s_mov_b64 s[16:17], 0
	global_store_dwordx4 v[0:1], v[2:5], off
.LBB387_978:
	s_andn2_b64 vcc, exec, s[16:17]
	s_cbranch_vccnz .LBB387_980
; %bb.979:
	s_waitcnt vmcnt(0)
	v_cndmask_b32_e64 v2, 0, 1.0, s[20:21]
	v_mov_b32_e32 v3, 0
	global_store_dwordx2 v[0:1], v[2:3], off
.LBB387_980:
	s_mov_b64 s[16:17], 0
.LBB387_981:
	s_andn2_b64 vcc, exec, s[16:17]
	s_cbranch_vccnz .LBB387_983
; %bb.982:
	s_waitcnt vmcnt(0)
	v_cndmask_b32_e64 v2, 0, 1.0, s[20:21]
	v_cvt_f16_f32_e32 v2, v2
	global_store_dword v[0:1], v2, off
.LBB387_983:
	s_mov_b64 s[16:17], 0
.LBB387_984:
	s_andn2_b64 vcc, exec, s[16:17]
	s_cbranch_vccnz .LBB387_993
; %bb.985:
	s_sext_i32_i16 s18, s33
	s_cmp_lt_i32 s18, 6
	s_mov_b64 s[16:17], -1
	s_cbranch_scc1 .LBB387_991
; %bb.986:
	s_cmp_gt_i32 s18, 6
	s_cbranch_scc0 .LBB387_988
; %bb.987:
	s_waitcnt vmcnt(0)
	v_cndmask_b32_e64 v2, 0, 1, s[20:21]
	v_cvt_f64_u32_e32 v[2:3], v2
	s_mov_b64 s[16:17], 0
	global_store_dwordx2 v[0:1], v[2:3], off
.LBB387_988:
	s_andn2_b64 vcc, exec, s[16:17]
	s_cbranch_vccnz .LBB387_990
; %bb.989:
	s_waitcnt vmcnt(0)
	v_cndmask_b32_e64 v2, 0, 1.0, s[20:21]
	global_store_dword v[0:1], v2, off
.LBB387_990:
	s_mov_b64 s[16:17], 0
.LBB387_991:
	s_andn2_b64 vcc, exec, s[16:17]
	s_cbranch_vccnz .LBB387_993
; %bb.992:
	s_waitcnt vmcnt(0)
	v_cndmask_b32_e64 v2, 0, 1.0, s[20:21]
	v_cvt_f16_f32_e32 v2, v2
	global_store_short v[0:1], v2, off
.LBB387_993:
	s_mov_b64 s[16:17], 0
.LBB387_994:
	s_andn2_b64 vcc, exec, s[16:17]
	s_cbranch_vccnz .LBB387_1010
; %bb.995:
	s_sext_i32_i16 s18, s33
	s_cmp_lt_i32 s18, 2
	s_mov_b64 s[16:17], -1
	s_cbranch_scc1 .LBB387_1005
; %bb.996:
	s_cmp_lt_i32 s18, 3
	s_cbranch_scc1 .LBB387_1002
; %bb.997:
	s_cmp_gt_i32 s18, 3
	s_cbranch_scc0 .LBB387_999
; %bb.998:
	s_mov_b32 s16, 0
	s_waitcnt vmcnt(0)
	v_cndmask_b32_e64 v2, 0, 1, s[20:21]
	v_mov_b32_e32 v3, s16
	s_mov_b64 s[16:17], 0
	global_store_dwordx2 v[0:1], v[2:3], off
.LBB387_999:
	s_andn2_b64 vcc, exec, s[16:17]
	s_cbranch_vccnz .LBB387_1001
; %bb.1000:
	s_waitcnt vmcnt(0)
	v_cndmask_b32_e64 v2, 0, 1, s[20:21]
	global_store_dword v[0:1], v2, off
.LBB387_1001:
	s_mov_b64 s[16:17], 0
.LBB387_1002:
	s_andn2_b64 vcc, exec, s[16:17]
	s_cbranch_vccnz .LBB387_1004
; %bb.1003:
	s_waitcnt vmcnt(0)
	v_cndmask_b32_e64 v2, 0, 1, s[20:21]
	global_store_short v[0:1], v2, off
.LBB387_1004:
	s_mov_b64 s[16:17], 0
.LBB387_1005:
	s_andn2_b64 vcc, exec, s[16:17]
	s_cbranch_vccnz .LBB387_1010
; %bb.1006:
	s_sext_i32_i16 s18, s33
	s_mov_b64 s[16:17], -1
	s_cmp_gt_i32 s18, 0
	s_waitcnt vmcnt(0)
	v_cndmask_b32_e64 v2, 0, 1, s[20:21]
	s_cbranch_scc0 .LBB387_1008
; %bb.1007:
	s_mov_b64 s[16:17], 0
	global_store_byte v[0:1], v2, off
.LBB387_1008:
	s_andn2_b64 vcc, exec, s[16:17]
	s_cbranch_vccnz .LBB387_1010
; %bb.1009:
	global_store_byte v[0:1], v2, off
.LBB387_1010:
	s_or_b64 exec, exec, s[0:1]
	s_and_b64 s[16:17], s[22:23], exec
                                        ; implicit-def: $vgpr9
.LBB387_1011:
	s_or_saveexec_b64 s[6:7], s[6:7]
	s_mov_b64 s[0:1], 0
                                        ; implicit-def: $sgpr20_sgpr21
                                        ; implicit-def: $sgpr24
                                        ; implicit-def: $vgpr0_vgpr1
	s_xor_b64 exec, exec, s[6:7]
	s_cbranch_execz .LBB387_1942
; %bb.1012:
	s_waitcnt vmcnt(0)
	v_mul_lo_u32 v2, s13, v9
	v_mov_b32_e32 v1, s11
	s_and_b32 s15, 0xffff, s15
	s_cmp_lt_i32 s15, 11
	v_ashrrev_i32_e32 v3, 31, v2
	v_add_co_u32_e32 v0, vcc, s10, v2
	v_addc_co_u32_e32 v1, vcc, v1, v3, vcc
	s_cbranch_scc1 .LBB387_1019
; %bb.1013:
	s_cmp_gt_i32 s15, 25
	s_cbranch_scc0 .LBB387_1021
; %bb.1014:
	s_cmp_gt_i32 s15, 28
	s_cbranch_scc0 .LBB387_1022
	;; [unrolled: 3-line block ×4, first 2 shown]
; %bb.1017:
	s_cmp_eq_u32 s15, 46
	s_mov_b64 s[18:19], 0
	s_cbranch_scc0 .LBB387_1027
; %bb.1018:
	global_load_dword v3, v[0:1], off
	s_mov_b64 s[20:21], -1
	s_waitcnt vmcnt(0)
	v_lshlrev_b32_e32 v3, 16, v3
	v_cvt_i32_f32_e32 v6, v3
	s_branch .LBB387_1028
.LBB387_1019:
	s_mov_b64 s[20:21], 0
                                        ; implicit-def: $vgpr6
	s_mov_b64 s[18:19], s[16:17]
	s_cbranch_execnz .LBB387_1086
.LBB387_1020:
	s_andn2_b64 vcc, exec, s[20:21]
	s_cbranch_vccz .LBB387_1131
	s_branch .LBB387_1940
.LBB387_1021:
	s_mov_b64 s[20:21], 0
                                        ; implicit-def: $vgpr6
	s_cbranch_execnz .LBB387_1053
	s_branch .LBB387_1082
.LBB387_1022:
	s_mov_b64 s[20:21], 0
                                        ; implicit-def: $vgpr6
	s_cbranch_execz .LBB387_1052
	s_branch .LBB387_1037
.LBB387_1023:
	s_mov_b64 s[20:21], 0
                                        ; implicit-def: $vgpr6
	s_cbranch_execnz .LBB387_1033
	s_branch .LBB387_1036
.LBB387_1024:
	s_mov_b64 s[18:19], -1
	s_mov_b64 s[20:21], 0
                                        ; implicit-def: $vgpr6
	s_branch .LBB387_1028
.LBB387_1025:
	s_andn2_saveexec_b64 s[28:29], s[28:29]
	s_cbranch_execz .LBB387_920
.LBB387_1026:
	v_add_f32_e32 v2, 0x46000000, v3
	v_and_b32_e32 v2, 0xff, v2
	v_cmp_ne_u32_e32 vcc, 0, v2
	s_andn2_b64 s[26:27], s[26:27], exec
	s_and_b64 s[30:31], vcc, exec
	s_or_b64 s[26:27], s[26:27], s[30:31]
	s_or_b64 exec, exec, s[28:29]
	v_mov_b32_e32 v4, 0
	s_and_saveexec_b64 s[28:29], s[26:27]
	s_cbranch_execnz .LBB387_921
	s_branch .LBB387_922
.LBB387_1027:
	s_mov_b64 s[0:1], -1
                                        ; implicit-def: $vgpr6
	s_mov_b64 s[20:21], 0
.LBB387_1028:
	s_and_b64 vcc, exec, s[18:19]
	s_cbranch_vccz .LBB387_1031
; %bb.1029:
	s_cmp_eq_u32 s15, 44
	s_cbranch_scc0 .LBB387_1032
; %bb.1030:
	global_load_ubyte v3, v[0:1], off
	s_mov_b64 s[0:1], 0
	s_mov_b64 s[20:21], -1
	s_waitcnt vmcnt(0)
	v_lshlrev_b32_e32 v4, 23, v3
	v_cvt_i32_f32_e32 v4, v4
	v_cmp_ne_u32_e32 vcc, 0, v3
	v_cndmask_b32_e32 v6, 0, v4, vcc
.LBB387_1031:
	s_branch .LBB387_1036
.LBB387_1032:
	s_mov_b64 s[0:1], -1
                                        ; implicit-def: $vgpr6
	s_branch .LBB387_1036
.LBB387_1033:
	s_cmp_eq_u32 s15, 29
	s_cbranch_scc0 .LBB387_1035
; %bb.1034:
	global_load_dwordx2 v[6:7], v[0:1], off
	s_mov_b64 s[0:1], 0
	s_mov_b64 s[20:21], -1
	s_branch .LBB387_1036
.LBB387_1035:
	s_mov_b64 s[0:1], -1
                                        ; implicit-def: $vgpr6
.LBB387_1036:
	s_branch .LBB387_1052
.LBB387_1037:
	s_cmp_lt_i32 s15, 27
	s_cbranch_scc1 .LBB387_1040
; %bb.1038:
	s_cmp_gt_i32 s15, 27
	s_cbranch_scc0 .LBB387_1041
; %bb.1039:
	global_load_dword v6, v[0:1], off
	s_mov_b64 s[18:19], 0
	s_branch .LBB387_1042
.LBB387_1040:
	s_mov_b64 s[18:19], -1
                                        ; implicit-def: $vgpr6
	s_branch .LBB387_1045
.LBB387_1041:
	s_mov_b64 s[18:19], -1
                                        ; implicit-def: $vgpr6
.LBB387_1042:
	s_andn2_b64 vcc, exec, s[18:19]
	s_cbranch_vccnz .LBB387_1044
; %bb.1043:
	global_load_ushort v6, v[0:1], off
.LBB387_1044:
	s_mov_b64 s[18:19], 0
.LBB387_1045:
	s_andn2_b64 vcc, exec, s[18:19]
	s_cbranch_vccnz .LBB387_1051
; %bb.1046:
	global_load_ubyte v3, v[0:1], off
	s_movk_i32 s18, 0x7f
	s_mov_b64 s[20:21], 0
	s_waitcnt vmcnt(0)
	v_cmp_lt_i16_e32 vcc, s18, v3
	s_and_saveexec_b64 s[18:19], vcc
	s_xor_b64 s[18:19], exec, s[18:19]
	s_cbranch_execz .LBB387_1062
; %bb.1047:
	s_movk_i32 s20, 0x80
	v_cmp_ne_u16_e32 vcc, s20, v3
	s_and_b64 s[20:21], vcc, exec
	s_andn2_saveexec_b64 s[18:19], s[18:19]
	s_cbranch_execnz .LBB387_1063
.LBB387_1048:
	s_or_b64 exec, exec, s[18:19]
	v_mov_b32_e32 v6, 0
	s_and_saveexec_b64 s[18:19], s[20:21]
	s_cbranch_execz .LBB387_1050
.LBB387_1049:
	v_lshlrev_b32_e32 v4, 24, v3
	v_and_b32_e32 v3, 0xffff, v3
	v_and_b32_e32 v5, 7, v3
	v_ffbh_u32_e32 v7, v5
	v_min_u32_e32 v7, 32, v7
	v_subrev_u32_e32 v8, 28, v7
	v_bfe_u32 v6, v3, 3, 4
	v_lshlrev_b32_e32 v3, v8, v3
	v_sub_u32_e32 v7, 29, v7
	v_and_b32_e32 v3, 7, v3
	v_cmp_eq_u32_e32 vcc, 0, v6
	v_cndmask_b32_e32 v6, v6, v7, vcc
	v_cndmask_b32_e32 v3, v5, v3, vcc
	v_mov_b32_e32 v5, 0x3b800000
	v_lshlrev_b32_e32 v3, 20, v3
	v_and_b32_e32 v4, 0x80000000, v4
	v_lshl_add_u32 v5, v6, 23, v5
	v_or3_b32 v3, v4, v5, v3
	v_cvt_i32_f32_e32 v6, v3
.LBB387_1050:
	s_or_b64 exec, exec, s[18:19]
.LBB387_1051:
	s_mov_b64 s[20:21], -1
.LBB387_1052:
	s_branch .LBB387_1082
.LBB387_1053:
	s_cmp_gt_i32 s15, 22
	s_cbranch_scc0 .LBB387_1061
; %bb.1054:
	s_cmp_lt_i32 s15, 24
	s_cbranch_scc1 .LBB387_1064
; %bb.1055:
	s_cmp_gt_i32 s15, 24
	s_cbranch_scc0 .LBB387_1065
; %bb.1056:
	global_load_ubyte v3, v[0:1], off
	s_movk_i32 s4, 0x7f
	s_mov_b64 s[18:19], 0
	s_waitcnt vmcnt(0)
	v_cmp_lt_i16_e32 vcc, s4, v3
	s_and_saveexec_b64 s[4:5], vcc
	s_xor_b64 s[4:5], exec, s[4:5]
	s_cbranch_execz .LBB387_1076
; %bb.1057:
	s_movk_i32 s18, 0x80
	v_cmp_ne_u16_e32 vcc, s18, v3
	s_and_b64 s[18:19], vcc, exec
	s_andn2_saveexec_b64 s[4:5], s[4:5]
	s_cbranch_execnz .LBB387_1077
.LBB387_1058:
	s_or_b64 exec, exec, s[4:5]
	v_mov_b32_e32 v6, 0
	s_and_saveexec_b64 s[4:5], s[18:19]
	s_cbranch_execz .LBB387_1060
.LBB387_1059:
	v_lshlrev_b32_e32 v4, 24, v3
	v_and_b32_e32 v3, 0xffff, v3
	v_and_b32_e32 v5, 3, v3
	v_ffbh_u32_e32 v7, v5
	v_min_u32_e32 v7, 32, v7
	v_subrev_u32_e32 v8, 29, v7
	v_bfe_u32 v6, v3, 2, 5
	v_lshlrev_b32_e32 v3, v8, v3
	v_sub_u32_e32 v7, 30, v7
	v_and_b32_e32 v3, 3, v3
	v_cmp_eq_u32_e32 vcc, 0, v6
	v_cndmask_b32_e32 v6, v6, v7, vcc
	v_cndmask_b32_e32 v3, v5, v3, vcc
	v_mov_b32_e32 v5, 0x37800000
	v_lshlrev_b32_e32 v3, 21, v3
	v_and_b32_e32 v4, 0x80000000, v4
	v_lshl_add_u32 v5, v6, 23, v5
	v_or3_b32 v3, v4, v5, v3
	v_cvt_i32_f32_e32 v6, v3
.LBB387_1060:
	s_or_b64 exec, exec, s[4:5]
	s_mov_b64 s[4:5], 0
	s_branch .LBB387_1066
.LBB387_1061:
                                        ; implicit-def: $vgpr6
	s_mov_b64 s[4:5], 0
	s_branch .LBB387_1072
.LBB387_1062:
	s_andn2_saveexec_b64 s[18:19], s[18:19]
	s_cbranch_execz .LBB387_1048
.LBB387_1063:
	v_cmp_ne_u16_e32 vcc, 0, v3
	s_andn2_b64 s[20:21], s[20:21], exec
	s_and_b64 s[22:23], vcc, exec
	s_or_b64 s[20:21], s[20:21], s[22:23]
	s_or_b64 exec, exec, s[18:19]
	v_mov_b32_e32 v6, 0
	s_and_saveexec_b64 s[18:19], s[20:21]
	s_cbranch_execnz .LBB387_1049
	s_branch .LBB387_1050
.LBB387_1064:
	s_mov_b64 s[4:5], -1
                                        ; implicit-def: $vgpr6
	s_branch .LBB387_1069
.LBB387_1065:
	s_mov_b64 s[4:5], -1
                                        ; implicit-def: $vgpr6
.LBB387_1066:
	s_and_b64 vcc, exec, s[4:5]
	s_cbranch_vccz .LBB387_1068
; %bb.1067:
	global_load_ubyte v3, v[0:1], off
	s_mov_b32 s4, 0x7f800000
	s_waitcnt vmcnt(0)
	v_lshlrev_b32_e32 v3, 24, v3
	v_and_b32_e32 v4, 0x7f000000, v3
	v_ffbh_u32_e32 v5, v4
	v_min_u32_e32 v5, 32, v5
	v_sub_u32_e64 v5, v5, 4 clamp
	v_lshlrev_b32_e32 v7, v5, v4
	v_lshlrev_b32_e32 v5, 23, v5
	v_lshrrev_b32_e32 v7, 4, v7
	v_add_u32_e32 v6, 0x1000000, v4
	v_sub_u32_e32 v5, v7, v5
	v_ashrrev_i32_e32 v6, 8, v6
	v_add_u32_e32 v5, 0x3c000000, v5
	v_and_or_b32 v5, v6, s4, v5
	v_cmp_ne_u32_e32 vcc, 0, v4
	v_cndmask_b32_e32 v4, 0, v5, vcc
	s_brev_b32 s4, 1
	v_and_or_b32 v3, v3, s4, v4
	v_cvt_i32_f32_e32 v6, v3
.LBB387_1068:
	s_mov_b64 s[4:5], 0
.LBB387_1069:
	s_andn2_b64 vcc, exec, s[4:5]
	s_cbranch_vccnz .LBB387_1071
; %bb.1070:
	global_load_ubyte v3, v[0:1], off
	s_movk_i32 s4, 0x7f00
	s_brev_b32 s5, 16
	s_waitcnt vmcnt(0)
	v_lshlrev_b16_e32 v4, 8, v3
	v_lshlrev_b32_e32 v3, 25, v3
	v_lshrrev_b32_e32 v5, 4, v3
	v_and_or_b32 v6, v4, s4, 0.5
	v_or_b32_e32 v5, 0x70000000, v5
	v_add_f32_e32 v6, -0.5, v6
	v_mul_f32_e32 v5, 0x7800000, v5
	v_cmp_gt_u32_e32 vcc, s5, v3
	v_bfe_i32 v4, v4, 0, 16
	v_cndmask_b32_e32 v3, v5, v6, vcc
	s_brev_b32 s4, 1
	v_and_or_b32 v3, v4, s4, v3
	v_cvt_i32_f32_e32 v6, v3
.LBB387_1071:
	s_mov_b64 s[20:21], -1
	s_mov_b64 s[4:5], 0
	s_cbranch_execnz .LBB387_1082
.LBB387_1072:
	s_cmp_gt_i32 s15, 14
	s_cbranch_scc0 .LBB387_1075
; %bb.1073:
	s_cmp_eq_u32 s15, 15
	s_cbranch_scc0 .LBB387_1078
; %bb.1074:
	global_load_ushort v3, v[0:1], off
	s_mov_b64 s[0:1], 0
	s_mov_b64 s[20:21], -1
	s_waitcnt vmcnt(0)
	v_lshlrev_b32_e32 v3, 16, v3
	v_cvt_i32_f32_e32 v6, v3
	s_branch .LBB387_1079
.LBB387_1075:
	s_mov_b64 s[18:19], -1
                                        ; implicit-def: $vgpr6
	s_branch .LBB387_1080
.LBB387_1076:
	s_andn2_saveexec_b64 s[4:5], s[4:5]
	s_cbranch_execz .LBB387_1058
.LBB387_1077:
	v_cmp_ne_u16_e32 vcc, 0, v3
	s_andn2_b64 s[18:19], s[18:19], exec
	s_and_b64 s[20:21], vcc, exec
	s_or_b64 s[18:19], s[18:19], s[20:21]
	s_or_b64 exec, exec, s[4:5]
	v_mov_b32_e32 v6, 0
	s_and_saveexec_b64 s[4:5], s[18:19]
	s_cbranch_execnz .LBB387_1059
	s_branch .LBB387_1060
.LBB387_1078:
	s_mov_b64 s[0:1], -1
                                        ; implicit-def: $vgpr6
.LBB387_1079:
	s_mov_b64 s[18:19], 0
.LBB387_1080:
	s_and_b64 vcc, exec, s[18:19]
	s_cbranch_vccz .LBB387_1082
; %bb.1081:
	s_cmp_lg_u32 s15, 11
	s_mov_b64 s[4:5], -1
	s_cselect_b64 s[0:1], -1, 0
.LBB387_1082:
	s_and_b64 vcc, exec, s[0:1]
	s_mov_b64 s[18:19], s[16:17]
	s_cbranch_vccnz .LBB387_1143
; %bb.1083:
	s_andn2_b64 vcc, exec, s[4:5]
	s_cbranch_vccnz .LBB387_1085
.LBB387_1084:
	global_load_ubyte v3, v[0:1], off
	s_mov_b64 s[20:21], -1
	s_waitcnt vmcnt(0)
	v_cmp_ne_u16_e32 vcc, 0, v3
	v_cndmask_b32_e64 v6, 0, 1, vcc
.LBB387_1085:
	s_branch .LBB387_1020
.LBB387_1086:
	s_cmp_lt_i32 s15, 5
	s_cbranch_scc1 .LBB387_1091
; %bb.1087:
	s_cmp_lt_i32 s15, 8
	s_cbranch_scc1 .LBB387_1092
; %bb.1088:
	s_cmp_lt_i32 s15, 9
	s_cbranch_scc1 .LBB387_1093
; %bb.1089:
	s_cmp_gt_i32 s15, 9
	s_cbranch_scc0 .LBB387_1094
; %bb.1090:
	global_load_dwordx2 v[3:4], v[0:1], off
	s_mov_b64 s[0:1], 0
	s_waitcnt vmcnt(0)
	v_cvt_i32_f64_e32 v6, v[3:4]
	s_branch .LBB387_1095
.LBB387_1091:
                                        ; implicit-def: $vgpr6
	s_branch .LBB387_1112
.LBB387_1092:
                                        ; implicit-def: $vgpr6
	s_branch .LBB387_1101
.LBB387_1093:
	s_mov_b64 s[0:1], -1
                                        ; implicit-def: $vgpr6
	s_branch .LBB387_1098
.LBB387_1094:
	s_mov_b64 s[0:1], -1
                                        ; implicit-def: $vgpr6
.LBB387_1095:
	s_andn2_b64 vcc, exec, s[0:1]
	s_cbranch_vccnz .LBB387_1097
; %bb.1096:
	global_load_dword v3, v[0:1], off
	s_waitcnt vmcnt(0)
	v_cvt_i32_f32_e32 v6, v3
.LBB387_1097:
	s_mov_b64 s[0:1], 0
.LBB387_1098:
	s_andn2_b64 vcc, exec, s[0:1]
	s_cbranch_vccnz .LBB387_1100
; %bb.1099:
	global_load_dword v3, v[0:1], off
	s_waitcnt vmcnt(0)
	v_cvt_i16_f16_e32 v6, v3
.LBB387_1100:
	s_cbranch_execnz .LBB387_1111
.LBB387_1101:
	s_cmp_lt_i32 s15, 6
	s_cbranch_scc1 .LBB387_1104
; %bb.1102:
	s_cmp_gt_i32 s15, 6
	s_cbranch_scc0 .LBB387_1105
; %bb.1103:
	global_load_dwordx2 v[3:4], v[0:1], off
	s_mov_b64 s[0:1], 0
	s_waitcnt vmcnt(0)
	v_cvt_i32_f64_e32 v6, v[3:4]
	s_branch .LBB387_1106
.LBB387_1104:
	s_mov_b64 s[0:1], -1
                                        ; implicit-def: $vgpr6
	s_branch .LBB387_1109
.LBB387_1105:
	s_mov_b64 s[0:1], -1
                                        ; implicit-def: $vgpr6
.LBB387_1106:
	s_andn2_b64 vcc, exec, s[0:1]
	s_cbranch_vccnz .LBB387_1108
; %bb.1107:
	global_load_dword v3, v[0:1], off
	s_waitcnt vmcnt(0)
	v_cvt_i32_f32_e32 v6, v3
.LBB387_1108:
	s_mov_b64 s[0:1], 0
.LBB387_1109:
	s_andn2_b64 vcc, exec, s[0:1]
	s_cbranch_vccnz .LBB387_1111
; %bb.1110:
	global_load_ushort v3, v[0:1], off
	s_waitcnt vmcnt(0)
	v_cvt_i16_f16_e32 v6, v3
.LBB387_1111:
	s_cbranch_execnz .LBB387_1130
.LBB387_1112:
	s_cmp_lt_i32 s15, 2
	s_cbranch_scc1 .LBB387_1116
; %bb.1113:
	s_cmp_lt_i32 s15, 3
	s_cbranch_scc1 .LBB387_1117
; %bb.1114:
	s_cmp_gt_i32 s15, 3
	s_cbranch_scc0 .LBB387_1118
; %bb.1115:
	global_load_dwordx2 v[6:7], v[0:1], off
	s_mov_b64 s[0:1], 0
	s_branch .LBB387_1119
.LBB387_1116:
                                        ; implicit-def: $vgpr6
	s_branch .LBB387_1125
.LBB387_1117:
	s_mov_b64 s[0:1], -1
                                        ; implicit-def: $vgpr6
	s_branch .LBB387_1122
.LBB387_1118:
	s_mov_b64 s[0:1], -1
                                        ; implicit-def: $vgpr6
.LBB387_1119:
	s_andn2_b64 vcc, exec, s[0:1]
	s_cbranch_vccnz .LBB387_1121
; %bb.1120:
	global_load_dword v6, v[0:1], off
.LBB387_1121:
	s_mov_b64 s[0:1], 0
.LBB387_1122:
	s_andn2_b64 vcc, exec, s[0:1]
	s_cbranch_vccnz .LBB387_1124
; %bb.1123:
	global_load_ushort v6, v[0:1], off
.LBB387_1124:
	s_cbranch_execnz .LBB387_1130
.LBB387_1125:
	s_cmp_gt_i32 s15, 0
	s_cbranch_scc0 .LBB387_1127
; %bb.1126:
	global_load_ubyte v6, v[0:1], off
	s_mov_b64 s[0:1], 0
	s_branch .LBB387_1128
.LBB387_1127:
	s_mov_b64 s[0:1], -1
                                        ; implicit-def: $vgpr6
.LBB387_1128:
	s_andn2_b64 vcc, exec, s[0:1]
	s_cbranch_vccnz .LBB387_1130
; %bb.1129:
	global_load_ubyte v6, v[0:1], off
.LBB387_1130:
.LBB387_1131:
	s_lshl_b32 s13, s13, 7
	v_add_u32_e32 v2, s13, v2
	v_ashrrev_i32_e32 v1, 31, v2
	v_mov_b32_e32 v3, s11
	v_add_co_u32_e32 v0, vcc, s10, v2
	s_cmp_lt_i32 s15, 11
	v_addc_co_u32_e32 v1, vcc, v3, v1, vcc
	s_cbranch_scc1 .LBB387_1138
; %bb.1132:
	s_cmp_gt_i32 s15, 25
	s_mov_b64 s[4:5], 0
	s_cbranch_scc0 .LBB387_1140
; %bb.1133:
	s_cmp_gt_i32 s15, 28
	s_cbranch_scc0 .LBB387_1141
; %bb.1134:
	s_cmp_gt_i32 s15, 43
	;; [unrolled: 3-line block ×3, first 2 shown]
	s_cbranch_scc0 .LBB387_1144
; %bb.1136:
	s_cmp_eq_u32 s15, 46
	s_mov_b64 s[22:23], 0
	s_cbranch_scc0 .LBB387_1147
; %bb.1137:
	global_load_dword v3, v[0:1], off
	s_mov_b64 s[0:1], 0
	s_mov_b64 s[20:21], -1
	s_waitcnt vmcnt(0)
	v_lshlrev_b32_e32 v3, 16, v3
	v_cvt_i32_f32_e32 v4, v3
	s_branch .LBB387_1148
.LBB387_1138:
	s_mov_b64 s[20:21], 0
                                        ; implicit-def: $vgpr4
	s_cbranch_execnz .LBB387_1209
.LBB387_1139:
	s_andn2_b64 vcc, exec, s[20:21]
	s_cbranch_vccnz .LBB387_1940
	s_branch .LBB387_1256
.LBB387_1140:
	s_mov_b64 s[20:21], 0
	s_mov_b64 s[0:1], 0
                                        ; implicit-def: $vgpr4
	s_cbranch_execnz .LBB387_1175
	s_branch .LBB387_1205
.LBB387_1141:
	s_mov_b64 s[22:23], -1
	s_mov_b64 s[20:21], 0
	s_mov_b64 s[0:1], 0
                                        ; implicit-def: $vgpr4
	s_branch .LBB387_1158
.LBB387_1142:
	s_mov_b64 s[22:23], -1
	s_mov_b64 s[20:21], 0
	s_mov_b64 s[0:1], 0
                                        ; implicit-def: $vgpr4
	s_branch .LBB387_1153
.LBB387_1143:
	s_or_b64 s[18:19], s[16:17], exec
	s_trap 2
	s_cbranch_execz .LBB387_1084
	s_branch .LBB387_1085
.LBB387_1144:
	s_mov_b64 s[22:23], -1
	s_mov_b64 s[20:21], 0
	s_mov_b64 s[0:1], 0
                                        ; implicit-def: $vgpr4
	s_branch .LBB387_1148
.LBB387_1145:
	s_andn2_saveexec_b64 s[30:31], s[30:31]
	s_cbranch_execz .LBB387_932
.LBB387_1146:
	v_add_f32_e32 v2, 0x42800000, v3
	v_and_b32_e32 v2, 0xff, v2
	v_cmp_ne_u32_e32 vcc, 0, v2
	s_andn2_b64 s[28:29], s[28:29], exec
	s_and_b64 s[36:37], vcc, exec
	s_or_b64 s[28:29], s[28:29], s[36:37]
	s_or_b64 exec, exec, s[30:31]
	v_mov_b32_e32 v4, 0
	s_and_saveexec_b64 s[30:31], s[28:29]
	s_cbranch_execnz .LBB387_933
	s_branch .LBB387_934
.LBB387_1147:
	s_mov_b64 s[0:1], -1
                                        ; implicit-def: $vgpr4
	s_mov_b64 s[20:21], 0
.LBB387_1148:
	s_and_b64 vcc, exec, s[22:23]
	s_cbranch_vccz .LBB387_1152
; %bb.1149:
	s_cmp_eq_u32 s15, 44
	s_cbranch_scc0 .LBB387_1151
; %bb.1150:
	global_load_ubyte v3, v[0:1], off
	s_mov_b64 s[0:1], 0
	s_mov_b64 s[20:21], -1
	s_waitcnt vmcnt(0)
	v_lshlrev_b32_e32 v4, 23, v3
	v_cvt_i32_f32_e32 v4, v4
	v_cmp_ne_u32_e32 vcc, 0, v3
	v_cndmask_b32_e32 v4, 0, v4, vcc
	s_branch .LBB387_1152
.LBB387_1151:
	s_mov_b64 s[0:1], -1
                                        ; implicit-def: $vgpr4
.LBB387_1152:
	s_mov_b64 s[22:23], 0
.LBB387_1153:
	s_and_b64 vcc, exec, s[22:23]
	s_cbranch_vccz .LBB387_1157
; %bb.1154:
	s_cmp_eq_u32 s15, 29
	s_cbranch_scc0 .LBB387_1156
; %bb.1155:
	global_load_dwordx2 v[4:5], v[0:1], off
	s_mov_b64 s[0:1], 0
	s_mov_b64 s[20:21], -1
	s_branch .LBB387_1157
.LBB387_1156:
	s_mov_b64 s[0:1], -1
                                        ; implicit-def: $vgpr4
.LBB387_1157:
	s_mov_b64 s[22:23], 0
.LBB387_1158:
	s_and_b64 vcc, exec, s[22:23]
	s_cbranch_vccz .LBB387_1174
; %bb.1159:
	s_cmp_lt_i32 s15, 27
	s_cbranch_scc1 .LBB387_1162
; %bb.1160:
	s_cmp_gt_i32 s15, 27
	s_cbranch_scc0 .LBB387_1163
; %bb.1161:
	global_load_dword v4, v[0:1], off
	s_mov_b64 s[20:21], 0
	s_branch .LBB387_1164
.LBB387_1162:
	s_mov_b64 s[20:21], -1
                                        ; implicit-def: $vgpr4
	s_branch .LBB387_1167
.LBB387_1163:
	s_mov_b64 s[20:21], -1
                                        ; implicit-def: $vgpr4
.LBB387_1164:
	s_andn2_b64 vcc, exec, s[20:21]
	s_cbranch_vccnz .LBB387_1166
; %bb.1165:
	global_load_ushort v4, v[0:1], off
.LBB387_1166:
	s_mov_b64 s[20:21], 0
.LBB387_1167:
	s_andn2_b64 vcc, exec, s[20:21]
	s_cbranch_vccnz .LBB387_1173
; %bb.1168:
	global_load_ubyte v3, v[0:1], off
	s_movk_i32 s20, 0x7f
	s_mov_b64 s[22:23], 0
	s_waitcnt vmcnt(0)
	v_cmp_lt_i16_e32 vcc, s20, v3
	s_and_saveexec_b64 s[20:21], vcc
	s_xor_b64 s[20:21], exec, s[20:21]
	s_cbranch_execz .LBB387_1184
; %bb.1169:
	s_movk_i32 s22, 0x80
	v_cmp_ne_u16_e32 vcc, s22, v3
	s_and_b64 s[22:23], vcc, exec
	s_andn2_saveexec_b64 s[20:21], s[20:21]
	s_cbranch_execnz .LBB387_1185
.LBB387_1170:
	s_or_b64 exec, exec, s[20:21]
	v_mov_b32_e32 v4, 0
	s_and_saveexec_b64 s[20:21], s[22:23]
	s_cbranch_execz .LBB387_1172
.LBB387_1171:
	v_lshlrev_b32_e32 v4, 24, v3
	v_and_b32_e32 v3, 0xffff, v3
	v_and_b32_e32 v5, 7, v3
	v_ffbh_u32_e32 v8, v5
	v_min_u32_e32 v8, 32, v8
	v_subrev_u32_e32 v10, 28, v8
	v_bfe_u32 v7, v3, 3, 4
	v_lshlrev_b32_e32 v3, v10, v3
	v_sub_u32_e32 v8, 29, v8
	v_and_b32_e32 v3, 7, v3
	v_cmp_eq_u32_e32 vcc, 0, v7
	v_cndmask_b32_e32 v7, v7, v8, vcc
	v_cndmask_b32_e32 v3, v5, v3, vcc
	v_mov_b32_e32 v5, 0x3b800000
	v_lshlrev_b32_e32 v3, 20, v3
	v_and_b32_e32 v4, 0x80000000, v4
	v_lshl_add_u32 v5, v7, 23, v5
	v_or3_b32 v3, v4, v5, v3
	v_cvt_i32_f32_e32 v4, v3
.LBB387_1172:
	s_or_b64 exec, exec, s[20:21]
.LBB387_1173:
	s_mov_b64 s[20:21], -1
.LBB387_1174:
	s_branch .LBB387_1205
.LBB387_1175:
	s_cmp_gt_i32 s15, 22
	s_cbranch_scc0 .LBB387_1183
; %bb.1176:
	s_cmp_lt_i32 s15, 24
	s_cbranch_scc1 .LBB387_1186
; %bb.1177:
	s_cmp_gt_i32 s15, 24
	s_cbranch_scc0 .LBB387_1187
; %bb.1178:
	global_load_ubyte v3, v[0:1], off
	s_movk_i32 s4, 0x7f
	s_mov_b64 s[20:21], 0
	s_waitcnt vmcnt(0)
	v_cmp_lt_i16_e32 vcc, s4, v3
	s_and_saveexec_b64 s[4:5], vcc
	s_xor_b64 s[4:5], exec, s[4:5]
	s_cbranch_execz .LBB387_1199
; %bb.1179:
	s_movk_i32 s20, 0x80
	v_cmp_ne_u16_e32 vcc, s20, v3
	s_and_b64 s[20:21], vcc, exec
	s_andn2_saveexec_b64 s[4:5], s[4:5]
	s_cbranch_execnz .LBB387_1200
.LBB387_1180:
	s_or_b64 exec, exec, s[4:5]
	v_mov_b32_e32 v4, 0
	s_and_saveexec_b64 s[4:5], s[20:21]
	s_cbranch_execz .LBB387_1182
.LBB387_1181:
	v_lshlrev_b32_e32 v4, 24, v3
	v_and_b32_e32 v3, 0xffff, v3
	v_and_b32_e32 v5, 3, v3
	v_ffbh_u32_e32 v8, v5
	v_min_u32_e32 v8, 32, v8
	v_subrev_u32_e32 v10, 29, v8
	v_bfe_u32 v7, v3, 2, 5
	v_lshlrev_b32_e32 v3, v10, v3
	v_sub_u32_e32 v8, 30, v8
	v_and_b32_e32 v3, 3, v3
	v_cmp_eq_u32_e32 vcc, 0, v7
	v_cndmask_b32_e32 v7, v7, v8, vcc
	v_cndmask_b32_e32 v3, v5, v3, vcc
	v_mov_b32_e32 v5, 0x37800000
	v_lshlrev_b32_e32 v3, 21, v3
	v_and_b32_e32 v4, 0x80000000, v4
	v_lshl_add_u32 v5, v7, 23, v5
	v_or3_b32 v3, v4, v5, v3
	v_cvt_i32_f32_e32 v4, v3
.LBB387_1182:
	s_or_b64 exec, exec, s[4:5]
	s_mov_b64 s[4:5], 0
	s_branch .LBB387_1188
.LBB387_1183:
	s_mov_b64 s[4:5], -1
                                        ; implicit-def: $vgpr4
	s_branch .LBB387_1194
.LBB387_1184:
	s_andn2_saveexec_b64 s[20:21], s[20:21]
	s_cbranch_execz .LBB387_1170
.LBB387_1185:
	v_cmp_ne_u16_e32 vcc, 0, v3
	s_andn2_b64 s[22:23], s[22:23], exec
	s_and_b64 s[24:25], vcc, exec
	s_or_b64 s[22:23], s[22:23], s[24:25]
	s_or_b64 exec, exec, s[20:21]
	v_mov_b32_e32 v4, 0
	s_and_saveexec_b64 s[20:21], s[22:23]
	s_cbranch_execnz .LBB387_1171
	s_branch .LBB387_1172
.LBB387_1186:
	s_mov_b64 s[4:5], -1
                                        ; implicit-def: $vgpr4
	s_branch .LBB387_1191
.LBB387_1187:
	s_mov_b64 s[4:5], -1
                                        ; implicit-def: $vgpr4
.LBB387_1188:
	s_and_b64 vcc, exec, s[4:5]
	s_cbranch_vccz .LBB387_1190
; %bb.1189:
	global_load_ubyte v3, v[0:1], off
	s_mov_b32 s4, 0x7f800000
	s_waitcnt vmcnt(0)
	v_lshlrev_b32_e32 v3, 24, v3
	v_and_b32_e32 v4, 0x7f000000, v3
	v_ffbh_u32_e32 v5, v4
	v_min_u32_e32 v5, 32, v5
	v_sub_u32_e64 v5, v5, 4 clamp
	v_lshlrev_b32_e32 v8, v5, v4
	v_lshlrev_b32_e32 v5, 23, v5
	v_lshrrev_b32_e32 v8, 4, v8
	v_add_u32_e32 v7, 0x1000000, v4
	v_sub_u32_e32 v5, v8, v5
	v_ashrrev_i32_e32 v7, 8, v7
	v_add_u32_e32 v5, 0x3c000000, v5
	v_and_or_b32 v5, v7, s4, v5
	v_cmp_ne_u32_e32 vcc, 0, v4
	v_cndmask_b32_e32 v4, 0, v5, vcc
	s_brev_b32 s4, 1
	v_and_or_b32 v3, v3, s4, v4
	v_cvt_i32_f32_e32 v4, v3
.LBB387_1190:
	s_mov_b64 s[4:5], 0
.LBB387_1191:
	s_andn2_b64 vcc, exec, s[4:5]
	s_cbranch_vccnz .LBB387_1193
; %bb.1192:
	global_load_ubyte v3, v[0:1], off
	s_movk_i32 s4, 0x7f00
	s_brev_b32 s5, 16
	s_waitcnt vmcnt(0)
	v_lshlrev_b16_e32 v4, 8, v3
	v_lshlrev_b32_e32 v3, 25, v3
	v_lshrrev_b32_e32 v5, 4, v3
	v_and_or_b32 v7, v4, s4, 0.5
	v_or_b32_e32 v5, 0x70000000, v5
	v_add_f32_e32 v7, -0.5, v7
	v_mul_f32_e32 v5, 0x7800000, v5
	v_cmp_gt_u32_e32 vcc, s5, v3
	v_bfe_i32 v4, v4, 0, 16
	v_cndmask_b32_e32 v3, v5, v7, vcc
	s_brev_b32 s4, 1
	v_and_or_b32 v3, v4, s4, v3
	v_cvt_i32_f32_e32 v4, v3
.LBB387_1193:
	s_mov_b64 s[4:5], 0
	s_mov_b64 s[20:21], -1
.LBB387_1194:
	s_andn2_b64 vcc, exec, s[4:5]
	s_mov_b64 s[4:5], 0
	s_cbranch_vccnz .LBB387_1205
; %bb.1195:
	s_cmp_gt_i32 s15, 14
	s_cbranch_scc0 .LBB387_1198
; %bb.1196:
	s_cmp_eq_u32 s15, 15
	s_cbranch_scc0 .LBB387_1201
; %bb.1197:
	global_load_ushort v3, v[0:1], off
	s_mov_b64 s[0:1], 0
	s_mov_b64 s[20:21], -1
	s_waitcnt vmcnt(0)
	v_lshlrev_b32_e32 v3, 16, v3
	v_cvt_i32_f32_e32 v4, v3
	s_branch .LBB387_1202
.LBB387_1198:
	s_mov_b64 s[22:23], -1
                                        ; implicit-def: $vgpr4
	s_branch .LBB387_1203
.LBB387_1199:
	s_andn2_saveexec_b64 s[4:5], s[4:5]
	s_cbranch_execz .LBB387_1180
.LBB387_1200:
	v_cmp_ne_u16_e32 vcc, 0, v3
	s_andn2_b64 s[20:21], s[20:21], exec
	s_and_b64 s[22:23], vcc, exec
	s_or_b64 s[20:21], s[20:21], s[22:23]
	s_or_b64 exec, exec, s[4:5]
	v_mov_b32_e32 v4, 0
	s_and_saveexec_b64 s[4:5], s[20:21]
	s_cbranch_execnz .LBB387_1181
	s_branch .LBB387_1182
.LBB387_1201:
	s_mov_b64 s[0:1], -1
                                        ; implicit-def: $vgpr4
.LBB387_1202:
	s_mov_b64 s[22:23], 0
.LBB387_1203:
	s_and_b64 vcc, exec, s[22:23]
	s_cbranch_vccz .LBB387_1205
; %bb.1204:
	s_cmp_lg_u32 s15, 11
	s_mov_b64 s[4:5], -1
	s_cselect_b64 s[0:1], -1, 0
.LBB387_1205:
	s_and_b64 vcc, exec, s[0:1]
	s_cbranch_vccnz .LBB387_1268
; %bb.1206:
	s_andn2_b64 vcc, exec, s[4:5]
	s_cbranch_vccnz .LBB387_1208
.LBB387_1207:
	global_load_ubyte v3, v[0:1], off
	s_mov_b64 s[20:21], -1
	s_waitcnt vmcnt(0)
	v_cmp_ne_u16_e32 vcc, 0, v3
	v_cndmask_b32_e64 v4, 0, 1, vcc
.LBB387_1208:
	s_branch .LBB387_1139
.LBB387_1209:
	s_cmp_lt_i32 s15, 5
	s_cbranch_scc1 .LBB387_1214
; %bb.1210:
	s_cmp_lt_i32 s15, 8
	s_cbranch_scc1 .LBB387_1215
; %bb.1211:
	;; [unrolled: 3-line block ×3, first 2 shown]
	s_cmp_gt_i32 s15, 9
	s_cbranch_scc0 .LBB387_1217
; %bb.1213:
	global_load_dwordx2 v[3:4], v[0:1], off
	s_mov_b64 s[0:1], 0
	s_waitcnt vmcnt(0)
	v_cvt_i32_f64_e32 v4, v[3:4]
	s_branch .LBB387_1218
.LBB387_1214:
                                        ; implicit-def: $vgpr4
	s_branch .LBB387_1236
.LBB387_1215:
	s_mov_b64 s[0:1], -1
                                        ; implicit-def: $vgpr4
	s_branch .LBB387_1224
.LBB387_1216:
	s_mov_b64 s[0:1], -1
                                        ; implicit-def: $vgpr4
	s_branch .LBB387_1221
.LBB387_1217:
	s_mov_b64 s[0:1], -1
                                        ; implicit-def: $vgpr4
.LBB387_1218:
	s_andn2_b64 vcc, exec, s[0:1]
	s_cbranch_vccnz .LBB387_1220
; %bb.1219:
	global_load_dword v3, v[0:1], off
	s_waitcnt vmcnt(0)
	v_cvt_i32_f32_e32 v4, v3
.LBB387_1220:
	s_mov_b64 s[0:1], 0
.LBB387_1221:
	s_andn2_b64 vcc, exec, s[0:1]
	s_cbranch_vccnz .LBB387_1223
; %bb.1222:
	global_load_dword v3, v[0:1], off
	s_waitcnt vmcnt(0)
	v_cvt_i16_f16_e32 v4, v3
.LBB387_1223:
	s_mov_b64 s[0:1], 0
.LBB387_1224:
	s_andn2_b64 vcc, exec, s[0:1]
	s_cbranch_vccnz .LBB387_1235
; %bb.1225:
	s_cmp_lt_i32 s15, 6
	s_cbranch_scc1 .LBB387_1228
; %bb.1226:
	s_cmp_gt_i32 s15, 6
	s_cbranch_scc0 .LBB387_1229
; %bb.1227:
	global_load_dwordx2 v[3:4], v[0:1], off
	s_mov_b64 s[0:1], 0
	s_waitcnt vmcnt(0)
	v_cvt_i32_f64_e32 v4, v[3:4]
	s_branch .LBB387_1230
.LBB387_1228:
	s_mov_b64 s[0:1], -1
                                        ; implicit-def: $vgpr4
	s_branch .LBB387_1233
.LBB387_1229:
	s_mov_b64 s[0:1], -1
                                        ; implicit-def: $vgpr4
.LBB387_1230:
	s_andn2_b64 vcc, exec, s[0:1]
	s_cbranch_vccnz .LBB387_1232
; %bb.1231:
	global_load_dword v3, v[0:1], off
	s_waitcnt vmcnt(0)
	v_cvt_i32_f32_e32 v4, v3
.LBB387_1232:
	s_mov_b64 s[0:1], 0
.LBB387_1233:
	s_andn2_b64 vcc, exec, s[0:1]
	s_cbranch_vccnz .LBB387_1235
; %bb.1234:
	global_load_ushort v3, v[0:1], off
	s_waitcnt vmcnt(0)
	v_cvt_i16_f16_e32 v4, v3
.LBB387_1235:
	s_cbranch_execnz .LBB387_1255
.LBB387_1236:
	s_cmp_lt_i32 s15, 2
	s_cbranch_scc1 .LBB387_1240
; %bb.1237:
	s_cmp_lt_i32 s15, 3
	s_cbranch_scc1 .LBB387_1241
; %bb.1238:
	s_cmp_gt_i32 s15, 3
	s_cbranch_scc0 .LBB387_1242
; %bb.1239:
	global_load_dwordx2 v[4:5], v[0:1], off
	s_mov_b64 s[0:1], 0
	s_branch .LBB387_1243
.LBB387_1240:
	s_mov_b64 s[0:1], -1
                                        ; implicit-def: $vgpr4
	s_branch .LBB387_1249
.LBB387_1241:
	s_mov_b64 s[0:1], -1
                                        ; implicit-def: $vgpr4
	s_branch .LBB387_1246
.LBB387_1242:
	s_mov_b64 s[0:1], -1
                                        ; implicit-def: $vgpr4
.LBB387_1243:
	s_andn2_b64 vcc, exec, s[0:1]
	s_cbranch_vccnz .LBB387_1245
; %bb.1244:
	global_load_dword v4, v[0:1], off
.LBB387_1245:
	s_mov_b64 s[0:1], 0
.LBB387_1246:
	s_andn2_b64 vcc, exec, s[0:1]
	s_cbranch_vccnz .LBB387_1248
; %bb.1247:
	global_load_ushort v4, v[0:1], off
.LBB387_1248:
	s_mov_b64 s[0:1], 0
.LBB387_1249:
	s_andn2_b64 vcc, exec, s[0:1]
	s_cbranch_vccnz .LBB387_1255
; %bb.1250:
	s_cmp_gt_i32 s15, 0
	s_cbranch_scc0 .LBB387_1252
; %bb.1251:
	global_load_ubyte v4, v[0:1], off
	s_mov_b64 s[0:1], 0
	s_branch .LBB387_1253
.LBB387_1252:
	s_mov_b64 s[0:1], -1
                                        ; implicit-def: $vgpr4
.LBB387_1253:
	s_andn2_b64 vcc, exec, s[0:1]
	s_cbranch_vccnz .LBB387_1255
; %bb.1254:
	global_load_ubyte v4, v[0:1], off
.LBB387_1255:
.LBB387_1256:
	s_waitcnt vmcnt(0)
	v_add_u32_e32 v5, s13, v2
	v_ashrrev_i32_e32 v1, 31, v5
	v_mov_b32_e32 v2, s11
	v_add_co_u32_e32 v0, vcc, s10, v5
	s_cmp_lt_i32 s15, 11
	v_addc_co_u32_e32 v1, vcc, v2, v1, vcc
	s_cbranch_scc1 .LBB387_1263
; %bb.1257:
	s_cmp_gt_i32 s15, 25
	s_mov_b64 s[4:5], 0
	s_cbranch_scc0 .LBB387_1265
; %bb.1258:
	s_cmp_gt_i32 s15, 28
	s_cbranch_scc0 .LBB387_1266
; %bb.1259:
	s_cmp_gt_i32 s15, 43
	;; [unrolled: 3-line block ×3, first 2 shown]
	s_cbranch_scc0 .LBB387_1269
; %bb.1261:
	s_cmp_eq_u32 s15, 46
	s_mov_b64 s[22:23], 0
	s_cbranch_scc0 .LBB387_1270
; %bb.1262:
	global_load_dword v2, v[0:1], off
	s_mov_b64 s[0:1], 0
	s_mov_b64 s[20:21], -1
	s_waitcnt vmcnt(0)
	v_lshlrev_b32_e32 v2, 16, v2
	v_cvt_i32_f32_e32 v2, v2
	s_branch .LBB387_1271
.LBB387_1263:
	s_mov_b64 s[20:21], 0
                                        ; implicit-def: $vgpr2
	s_cbranch_execnz .LBB387_1333
.LBB387_1264:
	s_andn2_b64 vcc, exec, s[20:21]
	s_cbranch_vccnz .LBB387_1940
	s_branch .LBB387_1381
.LBB387_1265:
	s_mov_b64 s[22:23], -1
	s_mov_b64 s[20:21], 0
	s_mov_b64 s[0:1], 0
                                        ; implicit-def: $vgpr2
	s_branch .LBB387_1298
.LBB387_1266:
	s_mov_b64 s[22:23], -1
	s_mov_b64 s[20:21], 0
	s_mov_b64 s[0:1], 0
                                        ; implicit-def: $vgpr2
	s_branch .LBB387_1281
.LBB387_1267:
	s_mov_b64 s[22:23], -1
	s_mov_b64 s[20:21], 0
	s_mov_b64 s[0:1], 0
                                        ; implicit-def: $vgpr2
	s_branch .LBB387_1276
.LBB387_1268:
	s_trap 2
	s_or_b64 s[18:19], s[18:19], exec
	s_cbranch_execz .LBB387_1207
	s_branch .LBB387_1208
.LBB387_1269:
	s_mov_b64 s[22:23], -1
	s_mov_b64 s[20:21], 0
	s_mov_b64 s[0:1], 0
                                        ; implicit-def: $vgpr2
	s_branch .LBB387_1271
.LBB387_1270:
	s_mov_b64 s[0:1], -1
                                        ; implicit-def: $vgpr2
	s_mov_b64 s[20:21], 0
.LBB387_1271:
	s_and_b64 vcc, exec, s[22:23]
	s_cbranch_vccz .LBB387_1275
; %bb.1272:
	s_cmp_eq_u32 s15, 44
	s_cbranch_scc0 .LBB387_1274
; %bb.1273:
	global_load_ubyte v2, v[0:1], off
	s_mov_b64 s[0:1], 0
	s_mov_b64 s[20:21], -1
	s_waitcnt vmcnt(0)
	v_lshlrev_b32_e32 v3, 23, v2
	v_cvt_i32_f32_e32 v3, v3
	v_cmp_ne_u32_e32 vcc, 0, v2
	v_cndmask_b32_e32 v2, 0, v3, vcc
	s_branch .LBB387_1275
.LBB387_1274:
	s_mov_b64 s[0:1], -1
                                        ; implicit-def: $vgpr2
.LBB387_1275:
	s_mov_b64 s[22:23], 0
.LBB387_1276:
	s_and_b64 vcc, exec, s[22:23]
	s_cbranch_vccz .LBB387_1280
; %bb.1277:
	s_cmp_eq_u32 s15, 29
	s_cbranch_scc0 .LBB387_1279
; %bb.1278:
	global_load_dwordx2 v[2:3], v[0:1], off
	s_mov_b64 s[0:1], 0
	s_mov_b64 s[20:21], -1
	s_branch .LBB387_1280
.LBB387_1279:
	s_mov_b64 s[0:1], -1
                                        ; implicit-def: $vgpr2
.LBB387_1280:
	s_mov_b64 s[22:23], 0
.LBB387_1281:
	s_and_b64 vcc, exec, s[22:23]
	s_cbranch_vccz .LBB387_1297
; %bb.1282:
	s_cmp_lt_i32 s15, 27
	s_cbranch_scc1 .LBB387_1285
; %bb.1283:
	s_cmp_gt_i32 s15, 27
	s_cbranch_scc0 .LBB387_1286
; %bb.1284:
	global_load_dword v2, v[0:1], off
	s_mov_b64 s[20:21], 0
	s_branch .LBB387_1287
.LBB387_1285:
	s_mov_b64 s[20:21], -1
                                        ; implicit-def: $vgpr2
	s_branch .LBB387_1290
.LBB387_1286:
	s_mov_b64 s[20:21], -1
                                        ; implicit-def: $vgpr2
.LBB387_1287:
	s_andn2_b64 vcc, exec, s[20:21]
	s_cbranch_vccnz .LBB387_1289
; %bb.1288:
	global_load_ushort v2, v[0:1], off
.LBB387_1289:
	s_mov_b64 s[20:21], 0
.LBB387_1290:
	s_andn2_b64 vcc, exec, s[20:21]
	s_cbranch_vccnz .LBB387_1296
; %bb.1291:
	global_load_ubyte v3, v[0:1], off
	s_movk_i32 s20, 0x7f
	s_mov_b64 s[22:23], 0
	s_waitcnt vmcnt(0)
	v_cmp_lt_i16_e32 vcc, s20, v3
	s_and_saveexec_b64 s[20:21], vcc
	s_xor_b64 s[20:21], exec, s[20:21]
	s_cbranch_execz .LBB387_1308
; %bb.1292:
	s_movk_i32 s22, 0x80
	v_cmp_ne_u16_e32 vcc, s22, v3
	s_and_b64 s[22:23], vcc, exec
	s_andn2_saveexec_b64 s[20:21], s[20:21]
	s_cbranch_execnz .LBB387_1309
.LBB387_1293:
	s_or_b64 exec, exec, s[20:21]
	v_mov_b32_e32 v2, 0
	s_and_saveexec_b64 s[20:21], s[22:23]
	s_cbranch_execz .LBB387_1295
.LBB387_1294:
	v_lshlrev_b32_e32 v2, 24, v3
	v_and_b32_e32 v3, 0xffff, v3
	v_and_b32_e32 v7, 7, v3
	v_ffbh_u32_e32 v10, v7
	v_min_u32_e32 v10, 32, v10
	v_subrev_u32_e32 v11, 28, v10
	v_bfe_u32 v8, v3, 3, 4
	v_lshlrev_b32_e32 v3, v11, v3
	v_sub_u32_e32 v10, 29, v10
	v_and_b32_e32 v3, 7, v3
	v_cmp_eq_u32_e32 vcc, 0, v8
	v_cndmask_b32_e32 v8, v8, v10, vcc
	v_cndmask_b32_e32 v3, v7, v3, vcc
	v_mov_b32_e32 v7, 0x3b800000
	v_lshlrev_b32_e32 v3, 20, v3
	v_and_b32_e32 v2, 0x80000000, v2
	v_lshl_add_u32 v7, v8, 23, v7
	v_or3_b32 v2, v2, v7, v3
	v_cvt_i32_f32_e32 v2, v2
.LBB387_1295:
	s_or_b64 exec, exec, s[20:21]
.LBB387_1296:
	s_mov_b64 s[20:21], -1
.LBB387_1297:
	s_mov_b64 s[22:23], 0
.LBB387_1298:
	s_and_b64 vcc, exec, s[22:23]
	s_cbranch_vccz .LBB387_1329
; %bb.1299:
	s_cmp_gt_i32 s15, 22
	s_cbranch_scc0 .LBB387_1307
; %bb.1300:
	s_cmp_lt_i32 s15, 24
	s_cbranch_scc1 .LBB387_1310
; %bb.1301:
	s_cmp_gt_i32 s15, 24
	s_cbranch_scc0 .LBB387_1311
; %bb.1302:
	global_load_ubyte v3, v[0:1], off
	s_movk_i32 s4, 0x7f
	s_mov_b64 s[20:21], 0
	s_waitcnt vmcnt(0)
	v_cmp_lt_i16_e32 vcc, s4, v3
	s_and_saveexec_b64 s[4:5], vcc
	s_xor_b64 s[4:5], exec, s[4:5]
	s_cbranch_execz .LBB387_1323
; %bb.1303:
	s_movk_i32 s20, 0x80
	v_cmp_ne_u16_e32 vcc, s20, v3
	s_and_b64 s[20:21], vcc, exec
	s_andn2_saveexec_b64 s[4:5], s[4:5]
	s_cbranch_execnz .LBB387_1324
.LBB387_1304:
	s_or_b64 exec, exec, s[4:5]
	v_mov_b32_e32 v2, 0
	s_and_saveexec_b64 s[4:5], s[20:21]
	s_cbranch_execz .LBB387_1306
.LBB387_1305:
	v_lshlrev_b32_e32 v2, 24, v3
	v_and_b32_e32 v3, 0xffff, v3
	v_and_b32_e32 v7, 3, v3
	v_ffbh_u32_e32 v10, v7
	v_min_u32_e32 v10, 32, v10
	v_subrev_u32_e32 v11, 29, v10
	v_bfe_u32 v8, v3, 2, 5
	v_lshlrev_b32_e32 v3, v11, v3
	v_sub_u32_e32 v10, 30, v10
	v_and_b32_e32 v3, 3, v3
	v_cmp_eq_u32_e32 vcc, 0, v8
	v_cndmask_b32_e32 v8, v8, v10, vcc
	v_cndmask_b32_e32 v3, v7, v3, vcc
	v_mov_b32_e32 v7, 0x37800000
	v_lshlrev_b32_e32 v3, 21, v3
	v_and_b32_e32 v2, 0x80000000, v2
	v_lshl_add_u32 v7, v8, 23, v7
	v_or3_b32 v2, v2, v7, v3
	v_cvt_i32_f32_e32 v2, v2
.LBB387_1306:
	s_or_b64 exec, exec, s[4:5]
	s_mov_b64 s[4:5], 0
	s_branch .LBB387_1312
.LBB387_1307:
	s_mov_b64 s[4:5], -1
                                        ; implicit-def: $vgpr2
	s_branch .LBB387_1318
.LBB387_1308:
	s_andn2_saveexec_b64 s[20:21], s[20:21]
	s_cbranch_execz .LBB387_1293
.LBB387_1309:
	v_cmp_ne_u16_e32 vcc, 0, v3
	s_andn2_b64 s[22:23], s[22:23], exec
	s_and_b64 s[24:25], vcc, exec
	s_or_b64 s[22:23], s[22:23], s[24:25]
	s_or_b64 exec, exec, s[20:21]
	v_mov_b32_e32 v2, 0
	s_and_saveexec_b64 s[20:21], s[22:23]
	s_cbranch_execnz .LBB387_1294
	s_branch .LBB387_1295
.LBB387_1310:
	s_mov_b64 s[4:5], -1
                                        ; implicit-def: $vgpr2
	s_branch .LBB387_1315
.LBB387_1311:
	s_mov_b64 s[4:5], -1
                                        ; implicit-def: $vgpr2
.LBB387_1312:
	s_and_b64 vcc, exec, s[4:5]
	s_cbranch_vccz .LBB387_1314
; %bb.1313:
	global_load_ubyte v2, v[0:1], off
	s_mov_b32 s4, 0x7f800000
	s_waitcnt vmcnt(0)
	v_lshlrev_b32_e32 v2, 24, v2
	v_and_b32_e32 v3, 0x7f000000, v2
	v_ffbh_u32_e32 v7, v3
	v_min_u32_e32 v7, 32, v7
	v_sub_u32_e64 v7, v7, 4 clamp
	v_lshlrev_b32_e32 v10, v7, v3
	v_lshlrev_b32_e32 v7, 23, v7
	v_lshrrev_b32_e32 v10, 4, v10
	v_add_u32_e32 v8, 0x1000000, v3
	v_sub_u32_e32 v7, v10, v7
	v_ashrrev_i32_e32 v8, 8, v8
	v_add_u32_e32 v7, 0x3c000000, v7
	v_and_or_b32 v7, v8, s4, v7
	v_cmp_ne_u32_e32 vcc, 0, v3
	v_cndmask_b32_e32 v3, 0, v7, vcc
	s_brev_b32 s4, 1
	v_and_or_b32 v2, v2, s4, v3
	v_cvt_i32_f32_e32 v2, v2
.LBB387_1314:
	s_mov_b64 s[4:5], 0
.LBB387_1315:
	s_andn2_b64 vcc, exec, s[4:5]
	s_cbranch_vccnz .LBB387_1317
; %bb.1316:
	global_load_ubyte v2, v[0:1], off
	s_movk_i32 s4, 0x7f00
	s_brev_b32 s5, 16
	s_waitcnt vmcnt(0)
	v_lshlrev_b16_e32 v3, 8, v2
	v_lshlrev_b32_e32 v2, 25, v2
	v_lshrrev_b32_e32 v7, 4, v2
	v_and_or_b32 v8, v3, s4, 0.5
	v_or_b32_e32 v7, 0x70000000, v7
	v_add_f32_e32 v8, -0.5, v8
	v_mul_f32_e32 v7, 0x7800000, v7
	v_cmp_gt_u32_e32 vcc, s5, v2
	v_bfe_i32 v3, v3, 0, 16
	v_cndmask_b32_e32 v2, v7, v8, vcc
	s_brev_b32 s4, 1
	v_and_or_b32 v2, v3, s4, v2
	v_cvt_i32_f32_e32 v2, v2
.LBB387_1317:
	s_mov_b64 s[4:5], 0
	s_mov_b64 s[20:21], -1
.LBB387_1318:
	s_andn2_b64 vcc, exec, s[4:5]
	s_mov_b64 s[4:5], 0
	s_cbranch_vccnz .LBB387_1329
; %bb.1319:
	s_cmp_gt_i32 s15, 14
	s_cbranch_scc0 .LBB387_1322
; %bb.1320:
	s_cmp_eq_u32 s15, 15
	s_cbranch_scc0 .LBB387_1325
; %bb.1321:
	global_load_ushort v2, v[0:1], off
	s_mov_b64 s[0:1], 0
	s_mov_b64 s[20:21], -1
	s_waitcnt vmcnt(0)
	v_lshlrev_b32_e32 v2, 16, v2
	v_cvt_i32_f32_e32 v2, v2
	s_branch .LBB387_1326
.LBB387_1322:
	s_mov_b64 s[22:23], -1
                                        ; implicit-def: $vgpr2
	s_branch .LBB387_1327
.LBB387_1323:
	s_andn2_saveexec_b64 s[4:5], s[4:5]
	s_cbranch_execz .LBB387_1304
.LBB387_1324:
	v_cmp_ne_u16_e32 vcc, 0, v3
	s_andn2_b64 s[20:21], s[20:21], exec
	s_and_b64 s[22:23], vcc, exec
	s_or_b64 s[20:21], s[20:21], s[22:23]
	s_or_b64 exec, exec, s[4:5]
	v_mov_b32_e32 v2, 0
	s_and_saveexec_b64 s[4:5], s[20:21]
	s_cbranch_execnz .LBB387_1305
	s_branch .LBB387_1306
.LBB387_1325:
	s_mov_b64 s[0:1], -1
                                        ; implicit-def: $vgpr2
.LBB387_1326:
	s_mov_b64 s[22:23], 0
.LBB387_1327:
	s_and_b64 vcc, exec, s[22:23]
	s_cbranch_vccz .LBB387_1329
; %bb.1328:
	s_cmp_lg_u32 s15, 11
	s_mov_b64 s[4:5], -1
	s_cselect_b64 s[0:1], -1, 0
.LBB387_1329:
	s_and_b64 vcc, exec, s[0:1]
	s_cbranch_vccnz .LBB387_1392
; %bb.1330:
	s_andn2_b64 vcc, exec, s[4:5]
	s_cbranch_vccnz .LBB387_1332
.LBB387_1331:
	global_load_ubyte v2, v[0:1], off
	s_mov_b64 s[20:21], -1
	s_waitcnt vmcnt(0)
	v_cmp_ne_u16_e32 vcc, 0, v2
	v_cndmask_b32_e64 v2, 0, 1, vcc
.LBB387_1332:
	s_branch .LBB387_1264
.LBB387_1333:
	s_cmp_lt_i32 s15, 5
	s_cbranch_scc1 .LBB387_1338
; %bb.1334:
	s_cmp_lt_i32 s15, 8
	s_cbranch_scc1 .LBB387_1339
; %bb.1335:
	;; [unrolled: 3-line block ×3, first 2 shown]
	s_cmp_gt_i32 s15, 9
	s_cbranch_scc0 .LBB387_1341
; %bb.1337:
	global_load_dwordx2 v[2:3], v[0:1], off
	s_mov_b64 s[0:1], 0
	s_waitcnt vmcnt(0)
	v_cvt_i32_f64_e32 v2, v[2:3]
	s_branch .LBB387_1342
.LBB387_1338:
	s_mov_b64 s[0:1], -1
                                        ; implicit-def: $vgpr2
	s_branch .LBB387_1360
.LBB387_1339:
	s_mov_b64 s[0:1], -1
                                        ; implicit-def: $vgpr2
	s_branch .LBB387_1348
.LBB387_1340:
	s_mov_b64 s[0:1], -1
                                        ; implicit-def: $vgpr2
	s_branch .LBB387_1345
.LBB387_1341:
	s_mov_b64 s[0:1], -1
                                        ; implicit-def: $vgpr2
.LBB387_1342:
	s_andn2_b64 vcc, exec, s[0:1]
	s_cbranch_vccnz .LBB387_1344
; %bb.1343:
	global_load_dword v2, v[0:1], off
	s_waitcnt vmcnt(0)
	v_cvt_i32_f32_e32 v2, v2
.LBB387_1344:
	s_mov_b64 s[0:1], 0
.LBB387_1345:
	s_andn2_b64 vcc, exec, s[0:1]
	s_cbranch_vccnz .LBB387_1347
; %bb.1346:
	global_load_dword v2, v[0:1], off
	s_waitcnt vmcnt(0)
	v_cvt_i16_f16_e32 v2, v2
.LBB387_1347:
	s_mov_b64 s[0:1], 0
.LBB387_1348:
	s_andn2_b64 vcc, exec, s[0:1]
	s_cbranch_vccnz .LBB387_1359
; %bb.1349:
	s_cmp_lt_i32 s15, 6
	s_cbranch_scc1 .LBB387_1352
; %bb.1350:
	s_cmp_gt_i32 s15, 6
	s_cbranch_scc0 .LBB387_1353
; %bb.1351:
	global_load_dwordx2 v[2:3], v[0:1], off
	s_mov_b64 s[0:1], 0
	s_waitcnt vmcnt(0)
	v_cvt_i32_f64_e32 v2, v[2:3]
	s_branch .LBB387_1354
.LBB387_1352:
	s_mov_b64 s[0:1], -1
                                        ; implicit-def: $vgpr2
	s_branch .LBB387_1357
.LBB387_1353:
	s_mov_b64 s[0:1], -1
                                        ; implicit-def: $vgpr2
.LBB387_1354:
	s_andn2_b64 vcc, exec, s[0:1]
	s_cbranch_vccnz .LBB387_1356
; %bb.1355:
	global_load_dword v2, v[0:1], off
	s_waitcnt vmcnt(0)
	v_cvt_i32_f32_e32 v2, v2
.LBB387_1356:
	s_mov_b64 s[0:1], 0
.LBB387_1357:
	s_andn2_b64 vcc, exec, s[0:1]
	s_cbranch_vccnz .LBB387_1359
; %bb.1358:
	global_load_ushort v2, v[0:1], off
	s_waitcnt vmcnt(0)
	v_cvt_i16_f16_e32 v2, v2
.LBB387_1359:
	s_mov_b64 s[0:1], 0
.LBB387_1360:
	s_andn2_b64 vcc, exec, s[0:1]
	s_cbranch_vccnz .LBB387_1380
; %bb.1361:
	s_cmp_lt_i32 s15, 2
	s_cbranch_scc1 .LBB387_1365
; %bb.1362:
	s_cmp_lt_i32 s15, 3
	s_cbranch_scc1 .LBB387_1366
; %bb.1363:
	s_cmp_gt_i32 s15, 3
	s_cbranch_scc0 .LBB387_1367
; %bb.1364:
	global_load_dwordx2 v[2:3], v[0:1], off
	s_mov_b64 s[0:1], 0
	s_branch .LBB387_1368
.LBB387_1365:
	s_mov_b64 s[0:1], -1
                                        ; implicit-def: $vgpr2
	s_branch .LBB387_1374
.LBB387_1366:
	s_mov_b64 s[0:1], -1
                                        ; implicit-def: $vgpr2
	s_branch .LBB387_1371
.LBB387_1367:
	s_mov_b64 s[0:1], -1
                                        ; implicit-def: $vgpr2
.LBB387_1368:
	s_andn2_b64 vcc, exec, s[0:1]
	s_cbranch_vccnz .LBB387_1370
; %bb.1369:
	global_load_dword v2, v[0:1], off
.LBB387_1370:
	s_mov_b64 s[0:1], 0
.LBB387_1371:
	s_andn2_b64 vcc, exec, s[0:1]
	s_cbranch_vccnz .LBB387_1373
; %bb.1372:
	global_load_ushort v2, v[0:1], off
.LBB387_1373:
	s_mov_b64 s[0:1], 0
.LBB387_1374:
	s_andn2_b64 vcc, exec, s[0:1]
	s_cbranch_vccnz .LBB387_1380
; %bb.1375:
	s_cmp_gt_i32 s15, 0
	s_cbranch_scc0 .LBB387_1377
; %bb.1376:
	global_load_ubyte v2, v[0:1], off
	s_mov_b64 s[0:1], 0
	s_branch .LBB387_1378
.LBB387_1377:
	s_mov_b64 s[0:1], -1
                                        ; implicit-def: $vgpr2
.LBB387_1378:
	s_andn2_b64 vcc, exec, s[0:1]
	s_cbranch_vccnz .LBB387_1380
; %bb.1379:
	global_load_ubyte v2, v[0:1], off
.LBB387_1380:
.LBB387_1381:
	v_add_u32_e32 v0, s13, v5
	v_ashrrev_i32_e32 v1, 31, v0
	s_waitcnt vmcnt(0)
	v_mov_b32_e32 v3, s11
	v_add_co_u32_e32 v7, vcc, s10, v0
	s_cmp_lt_i32 s15, 11
	v_addc_co_u32_e32 v8, vcc, v3, v1, vcc
	s_cbranch_scc1 .LBB387_1388
; %bb.1382:
	s_cmp_gt_i32 s15, 25
	s_mov_b64 s[4:5], 0
	s_cbranch_scc0 .LBB387_1389
; %bb.1383:
	s_cmp_gt_i32 s15, 28
	s_cbranch_scc0 .LBB387_1390
; %bb.1384:
	s_cmp_gt_i32 s15, 43
	;; [unrolled: 3-line block ×3, first 2 shown]
	s_cbranch_scc0 .LBB387_1393
; %bb.1386:
	s_cmp_eq_u32 s15, 46
	s_mov_b64 s[20:21], 0
	s_cbranch_scc0 .LBB387_1394
; %bb.1387:
	global_load_dword v0, v[7:8], off
	s_mov_b64 s[0:1], 0
	s_mov_b64 s[10:11], -1
	s_waitcnt vmcnt(0)
	v_lshlrev_b32_e32 v0, 16, v0
	v_cvt_i32_f32_e32 v0, v0
	s_branch .LBB387_1395
.LBB387_1388:
	s_mov_b64 s[0:1], -1
	s_mov_b64 s[10:11], 0
                                        ; implicit-def: $vgpr0
	s_branch .LBB387_1457
.LBB387_1389:
	s_mov_b64 s[20:21], -1
	s_mov_b64 s[10:11], 0
	s_mov_b64 s[0:1], 0
                                        ; implicit-def: $vgpr0
	s_branch .LBB387_1422
.LBB387_1390:
	s_mov_b64 s[20:21], -1
	s_mov_b64 s[10:11], 0
	s_mov_b64 s[0:1], 0
                                        ; implicit-def: $vgpr0
	s_branch .LBB387_1405
.LBB387_1391:
	s_mov_b64 s[20:21], -1
	s_mov_b64 s[10:11], 0
	s_mov_b64 s[0:1], 0
                                        ; implicit-def: $vgpr0
	s_branch .LBB387_1400
.LBB387_1392:
	s_trap 2
	s_or_b64 s[18:19], s[18:19], exec
	s_cbranch_execz .LBB387_1331
	s_branch .LBB387_1332
.LBB387_1393:
	s_mov_b64 s[20:21], -1
	s_mov_b64 s[10:11], 0
	s_mov_b64 s[0:1], 0
                                        ; implicit-def: $vgpr0
	s_branch .LBB387_1395
.LBB387_1394:
	s_mov_b64 s[0:1], -1
                                        ; implicit-def: $vgpr0
	s_mov_b64 s[10:11], 0
.LBB387_1395:
	s_and_b64 vcc, exec, s[20:21]
	s_cbranch_vccz .LBB387_1399
; %bb.1396:
	s_cmp_eq_u32 s15, 44
	s_cbranch_scc0 .LBB387_1398
; %bb.1397:
	global_load_ubyte v0, v[7:8], off
	s_mov_b64 s[0:1], 0
	s_mov_b64 s[10:11], -1
	s_waitcnt vmcnt(0)
	v_lshlrev_b32_e32 v1, 23, v0
	v_cvt_i32_f32_e32 v1, v1
	v_cmp_ne_u32_e32 vcc, 0, v0
	v_cndmask_b32_e32 v0, 0, v1, vcc
	s_branch .LBB387_1399
.LBB387_1398:
	s_mov_b64 s[0:1], -1
                                        ; implicit-def: $vgpr0
.LBB387_1399:
	s_mov_b64 s[20:21], 0
.LBB387_1400:
	s_and_b64 vcc, exec, s[20:21]
	s_cbranch_vccz .LBB387_1404
; %bb.1401:
	s_cmp_eq_u32 s15, 29
	s_cbranch_scc0 .LBB387_1403
; %bb.1402:
	global_load_dwordx2 v[0:1], v[7:8], off
	s_mov_b64 s[0:1], 0
	s_mov_b64 s[10:11], -1
	s_branch .LBB387_1404
.LBB387_1403:
	s_mov_b64 s[0:1], -1
                                        ; implicit-def: $vgpr0
.LBB387_1404:
	s_mov_b64 s[20:21], 0
.LBB387_1405:
	s_and_b64 vcc, exec, s[20:21]
	s_cbranch_vccz .LBB387_1421
; %bb.1406:
	s_cmp_lt_i32 s15, 27
	s_cbranch_scc1 .LBB387_1409
; %bb.1407:
	s_cmp_gt_i32 s15, 27
	s_cbranch_scc0 .LBB387_1410
; %bb.1408:
	global_load_dword v0, v[7:8], off
	s_mov_b64 s[10:11], 0
	s_branch .LBB387_1411
.LBB387_1409:
	s_mov_b64 s[10:11], -1
                                        ; implicit-def: $vgpr0
	s_branch .LBB387_1414
.LBB387_1410:
	s_mov_b64 s[10:11], -1
                                        ; implicit-def: $vgpr0
.LBB387_1411:
	s_andn2_b64 vcc, exec, s[10:11]
	s_cbranch_vccnz .LBB387_1413
; %bb.1412:
	global_load_ushort v0, v[7:8], off
.LBB387_1413:
	s_mov_b64 s[10:11], 0
.LBB387_1414:
	s_andn2_b64 vcc, exec, s[10:11]
	s_cbranch_vccnz .LBB387_1420
; %bb.1415:
	global_load_ubyte v1, v[7:8], off
	s_movk_i32 s10, 0x7f
	s_mov_b64 s[20:21], 0
	s_waitcnt vmcnt(0)
	v_cmp_lt_i16_e32 vcc, s10, v1
	s_and_saveexec_b64 s[10:11], vcc
	s_xor_b64 s[10:11], exec, s[10:11]
	s_cbranch_execz .LBB387_1432
; %bb.1416:
	s_movk_i32 s13, 0x80
	v_cmp_ne_u16_e32 vcc, s13, v1
	s_and_b64 s[20:21], vcc, exec
	s_andn2_saveexec_b64 s[10:11], s[10:11]
	s_cbranch_execnz .LBB387_1433
.LBB387_1417:
	s_or_b64 exec, exec, s[10:11]
	v_mov_b32_e32 v0, 0
	s_and_saveexec_b64 s[10:11], s[20:21]
	s_cbranch_execz .LBB387_1419
.LBB387_1418:
	v_lshlrev_b32_e32 v0, 24, v1
	v_and_b32_e32 v1, 0xffff, v1
	v_and_b32_e32 v3, 7, v1
	v_ffbh_u32_e32 v10, v3
	v_min_u32_e32 v10, 32, v10
	v_subrev_u32_e32 v11, 28, v10
	v_bfe_u32 v5, v1, 3, 4
	v_lshlrev_b32_e32 v1, v11, v1
	v_sub_u32_e32 v10, 29, v10
	v_and_b32_e32 v1, 7, v1
	v_cmp_eq_u32_e32 vcc, 0, v5
	v_cndmask_b32_e32 v5, v5, v10, vcc
	v_cndmask_b32_e32 v1, v3, v1, vcc
	v_mov_b32_e32 v3, 0x3b800000
	v_lshlrev_b32_e32 v1, 20, v1
	v_and_b32_e32 v0, 0x80000000, v0
	v_lshl_add_u32 v3, v5, 23, v3
	v_or3_b32 v0, v0, v3, v1
	v_cvt_i32_f32_e32 v0, v0
.LBB387_1419:
	s_or_b64 exec, exec, s[10:11]
.LBB387_1420:
	s_mov_b64 s[10:11], -1
.LBB387_1421:
	s_mov_b64 s[20:21], 0
.LBB387_1422:
	s_and_b64 vcc, exec, s[20:21]
	s_cbranch_vccz .LBB387_1453
; %bb.1423:
	s_cmp_gt_i32 s15, 22
	s_cbranch_scc0 .LBB387_1431
; %bb.1424:
	s_cmp_lt_i32 s15, 24
	s_cbranch_scc1 .LBB387_1434
; %bb.1425:
	s_cmp_gt_i32 s15, 24
	s_cbranch_scc0 .LBB387_1435
; %bb.1426:
	global_load_ubyte v1, v[7:8], off
	s_movk_i32 s4, 0x7f
	s_mov_b64 s[10:11], 0
	s_waitcnt vmcnt(0)
	v_cmp_lt_i16_e32 vcc, s4, v1
	s_and_saveexec_b64 s[4:5], vcc
	s_xor_b64 s[4:5], exec, s[4:5]
	s_cbranch_execz .LBB387_1447
; %bb.1427:
	s_movk_i32 s10, 0x80
	v_cmp_ne_u16_e32 vcc, s10, v1
	s_and_b64 s[10:11], vcc, exec
	s_andn2_saveexec_b64 s[4:5], s[4:5]
	s_cbranch_execnz .LBB387_1448
.LBB387_1428:
	s_or_b64 exec, exec, s[4:5]
	v_mov_b32_e32 v0, 0
	s_and_saveexec_b64 s[4:5], s[10:11]
	s_cbranch_execz .LBB387_1430
.LBB387_1429:
	v_lshlrev_b32_e32 v0, 24, v1
	v_and_b32_e32 v1, 0xffff, v1
	v_and_b32_e32 v3, 3, v1
	v_ffbh_u32_e32 v10, v3
	v_min_u32_e32 v10, 32, v10
	v_subrev_u32_e32 v11, 29, v10
	v_bfe_u32 v5, v1, 2, 5
	v_lshlrev_b32_e32 v1, v11, v1
	v_sub_u32_e32 v10, 30, v10
	v_and_b32_e32 v1, 3, v1
	v_cmp_eq_u32_e32 vcc, 0, v5
	v_cndmask_b32_e32 v5, v5, v10, vcc
	v_cndmask_b32_e32 v1, v3, v1, vcc
	v_mov_b32_e32 v3, 0x37800000
	v_lshlrev_b32_e32 v1, 21, v1
	v_and_b32_e32 v0, 0x80000000, v0
	v_lshl_add_u32 v3, v5, 23, v3
	v_or3_b32 v0, v0, v3, v1
	v_cvt_i32_f32_e32 v0, v0
.LBB387_1430:
	s_or_b64 exec, exec, s[4:5]
	s_mov_b64 s[4:5], 0
	s_branch .LBB387_1436
.LBB387_1431:
	s_mov_b64 s[4:5], -1
                                        ; implicit-def: $vgpr0
	s_branch .LBB387_1442
.LBB387_1432:
	s_andn2_saveexec_b64 s[10:11], s[10:11]
	s_cbranch_execz .LBB387_1417
.LBB387_1433:
	v_cmp_ne_u16_e32 vcc, 0, v1
	s_andn2_b64 s[20:21], s[20:21], exec
	s_and_b64 s[22:23], vcc, exec
	s_or_b64 s[20:21], s[20:21], s[22:23]
	s_or_b64 exec, exec, s[10:11]
	v_mov_b32_e32 v0, 0
	s_and_saveexec_b64 s[10:11], s[20:21]
	s_cbranch_execnz .LBB387_1418
	s_branch .LBB387_1419
.LBB387_1434:
	s_mov_b64 s[4:5], -1
                                        ; implicit-def: $vgpr0
	s_branch .LBB387_1439
.LBB387_1435:
	s_mov_b64 s[4:5], -1
                                        ; implicit-def: $vgpr0
.LBB387_1436:
	s_and_b64 vcc, exec, s[4:5]
	s_cbranch_vccz .LBB387_1438
; %bb.1437:
	global_load_ubyte v0, v[7:8], off
	s_mov_b32 s4, 0x7f800000
	s_waitcnt vmcnt(0)
	v_lshlrev_b32_e32 v0, 24, v0
	v_and_b32_e32 v1, 0x7f000000, v0
	v_ffbh_u32_e32 v3, v1
	v_min_u32_e32 v3, 32, v3
	v_sub_u32_e64 v3, v3, 4 clamp
	v_lshlrev_b32_e32 v10, v3, v1
	v_lshlrev_b32_e32 v3, 23, v3
	v_lshrrev_b32_e32 v10, 4, v10
	v_add_u32_e32 v5, 0x1000000, v1
	v_sub_u32_e32 v3, v10, v3
	v_ashrrev_i32_e32 v5, 8, v5
	v_add_u32_e32 v3, 0x3c000000, v3
	v_and_or_b32 v3, v5, s4, v3
	v_cmp_ne_u32_e32 vcc, 0, v1
	v_cndmask_b32_e32 v1, 0, v3, vcc
	s_brev_b32 s4, 1
	v_and_or_b32 v0, v0, s4, v1
	v_cvt_i32_f32_e32 v0, v0
.LBB387_1438:
	s_mov_b64 s[4:5], 0
.LBB387_1439:
	s_andn2_b64 vcc, exec, s[4:5]
	s_cbranch_vccnz .LBB387_1441
; %bb.1440:
	global_load_ubyte v0, v[7:8], off
	s_movk_i32 s4, 0x7f00
	s_brev_b32 s5, 16
	s_waitcnt vmcnt(0)
	v_lshlrev_b16_e32 v1, 8, v0
	v_lshlrev_b32_e32 v0, 25, v0
	v_lshrrev_b32_e32 v3, 4, v0
	v_and_or_b32 v5, v1, s4, 0.5
	v_or_b32_e32 v3, 0x70000000, v3
	v_add_f32_e32 v5, -0.5, v5
	v_mul_f32_e32 v3, 0x7800000, v3
	v_cmp_gt_u32_e32 vcc, s5, v0
	v_bfe_i32 v1, v1, 0, 16
	v_cndmask_b32_e32 v0, v3, v5, vcc
	s_brev_b32 s4, 1
	v_and_or_b32 v0, v1, s4, v0
	v_cvt_i32_f32_e32 v0, v0
.LBB387_1441:
	s_mov_b64 s[4:5], 0
	s_mov_b64 s[10:11], -1
.LBB387_1442:
	s_andn2_b64 vcc, exec, s[4:5]
	s_mov_b64 s[4:5], 0
	s_cbranch_vccnz .LBB387_1453
; %bb.1443:
	s_cmp_gt_i32 s15, 14
	s_cbranch_scc0 .LBB387_1446
; %bb.1444:
	s_cmp_eq_u32 s15, 15
	s_cbranch_scc0 .LBB387_1449
; %bb.1445:
	global_load_ushort v0, v[7:8], off
	s_mov_b64 s[0:1], 0
	s_mov_b64 s[10:11], -1
	s_waitcnt vmcnt(0)
	v_lshlrev_b32_e32 v0, 16, v0
	v_cvt_i32_f32_e32 v0, v0
	s_branch .LBB387_1450
.LBB387_1446:
	s_mov_b64 s[20:21], -1
                                        ; implicit-def: $vgpr0
	s_branch .LBB387_1451
.LBB387_1447:
	s_andn2_saveexec_b64 s[4:5], s[4:5]
	s_cbranch_execz .LBB387_1428
.LBB387_1448:
	v_cmp_ne_u16_e32 vcc, 0, v1
	s_andn2_b64 s[10:11], s[10:11], exec
	s_and_b64 s[20:21], vcc, exec
	s_or_b64 s[10:11], s[10:11], s[20:21]
	s_or_b64 exec, exec, s[4:5]
	v_mov_b32_e32 v0, 0
	s_and_saveexec_b64 s[4:5], s[10:11]
	s_cbranch_execnz .LBB387_1429
	s_branch .LBB387_1430
.LBB387_1449:
	s_mov_b64 s[0:1], -1
                                        ; implicit-def: $vgpr0
.LBB387_1450:
	s_mov_b64 s[20:21], 0
.LBB387_1451:
	s_and_b64 vcc, exec, s[20:21]
	s_cbranch_vccz .LBB387_1453
; %bb.1452:
	s_cmp_lg_u32 s15, 11
	s_mov_b64 s[4:5], -1
	s_cselect_b64 s[0:1], -1, 0
.LBB387_1453:
	s_and_b64 vcc, exec, s[0:1]
	s_cbranch_vccnz .LBB387_1986
; %bb.1454:
	s_andn2_b64 vcc, exec, s[4:5]
	s_cbranch_vccnz .LBB387_1456
.LBB387_1455:
	global_load_ubyte v0, v[7:8], off
	s_mov_b64 s[10:11], -1
	s_waitcnt vmcnt(0)
	v_cmp_ne_u16_e32 vcc, 0, v0
	v_cndmask_b32_e64 v0, 0, 1, vcc
.LBB387_1456:
	s_mov_b64 s[0:1], 0
.LBB387_1457:
	s_and_b64 vcc, exec, s[0:1]
	s_cbranch_vccz .LBB387_1506
; %bb.1458:
	s_cmp_lt_i32 s15, 5
	s_cbranch_scc1 .LBB387_1463
; %bb.1459:
	s_cmp_lt_i32 s15, 8
	s_cbranch_scc1 .LBB387_1464
; %bb.1460:
	s_cmp_lt_i32 s15, 9
	s_cbranch_scc1 .LBB387_1465
; %bb.1461:
	s_cmp_gt_i32 s15, 9
	s_cbranch_scc0 .LBB387_1466
; %bb.1462:
	global_load_dwordx2 v[0:1], v[7:8], off
	s_mov_b64 s[0:1], 0
	s_waitcnt vmcnt(0)
	v_cvt_i32_f64_e32 v0, v[0:1]
	s_branch .LBB387_1467
.LBB387_1463:
	s_mov_b64 s[0:1], -1
                                        ; implicit-def: $vgpr0
	s_branch .LBB387_1485
.LBB387_1464:
	s_mov_b64 s[0:1], -1
                                        ; implicit-def: $vgpr0
	s_branch .LBB387_1473
.LBB387_1465:
	s_mov_b64 s[0:1], -1
                                        ; implicit-def: $vgpr0
	s_branch .LBB387_1470
.LBB387_1466:
	s_mov_b64 s[0:1], -1
                                        ; implicit-def: $vgpr0
.LBB387_1467:
	s_andn2_b64 vcc, exec, s[0:1]
	s_cbranch_vccnz .LBB387_1469
; %bb.1468:
	global_load_dword v0, v[7:8], off
	s_waitcnt vmcnt(0)
	v_cvt_i32_f32_e32 v0, v0
.LBB387_1469:
	s_mov_b64 s[0:1], 0
.LBB387_1470:
	s_andn2_b64 vcc, exec, s[0:1]
	s_cbranch_vccnz .LBB387_1472
; %bb.1471:
	global_load_dword v0, v[7:8], off
	s_waitcnt vmcnt(0)
	v_cvt_i16_f16_e32 v0, v0
.LBB387_1472:
	s_mov_b64 s[0:1], 0
.LBB387_1473:
	s_andn2_b64 vcc, exec, s[0:1]
	s_cbranch_vccnz .LBB387_1484
; %bb.1474:
	s_cmp_lt_i32 s15, 6
	s_cbranch_scc1 .LBB387_1477
; %bb.1475:
	s_cmp_gt_i32 s15, 6
	s_cbranch_scc0 .LBB387_1478
; %bb.1476:
	global_load_dwordx2 v[0:1], v[7:8], off
	s_mov_b64 s[0:1], 0
	s_waitcnt vmcnt(0)
	v_cvt_i32_f64_e32 v0, v[0:1]
	s_branch .LBB387_1479
.LBB387_1477:
	s_mov_b64 s[0:1], -1
                                        ; implicit-def: $vgpr0
	s_branch .LBB387_1482
.LBB387_1478:
	s_mov_b64 s[0:1], -1
                                        ; implicit-def: $vgpr0
.LBB387_1479:
	s_andn2_b64 vcc, exec, s[0:1]
	s_cbranch_vccnz .LBB387_1481
; %bb.1480:
	global_load_dword v0, v[7:8], off
	s_waitcnt vmcnt(0)
	v_cvt_i32_f32_e32 v0, v0
.LBB387_1481:
	s_mov_b64 s[0:1], 0
.LBB387_1482:
	s_andn2_b64 vcc, exec, s[0:1]
	s_cbranch_vccnz .LBB387_1484
; %bb.1483:
	global_load_ushort v0, v[7:8], off
	s_waitcnt vmcnt(0)
	v_cvt_i16_f16_e32 v0, v0
.LBB387_1484:
	s_mov_b64 s[0:1], 0
.LBB387_1485:
	s_andn2_b64 vcc, exec, s[0:1]
	s_cbranch_vccnz .LBB387_1505
; %bb.1486:
	s_cmp_lt_i32 s15, 2
	s_cbranch_scc1 .LBB387_1490
; %bb.1487:
	s_cmp_lt_i32 s15, 3
	s_cbranch_scc1 .LBB387_1491
; %bb.1488:
	s_cmp_gt_i32 s15, 3
	s_cbranch_scc0 .LBB387_1492
; %bb.1489:
	global_load_dwordx2 v[0:1], v[7:8], off
	s_mov_b64 s[0:1], 0
	s_branch .LBB387_1493
.LBB387_1490:
	s_mov_b64 s[0:1], -1
                                        ; implicit-def: $vgpr0
	s_branch .LBB387_1499
.LBB387_1491:
	s_mov_b64 s[0:1], -1
                                        ; implicit-def: $vgpr0
	s_branch .LBB387_1496
.LBB387_1492:
	s_mov_b64 s[0:1], -1
                                        ; implicit-def: $vgpr0
.LBB387_1493:
	s_andn2_b64 vcc, exec, s[0:1]
	s_cbranch_vccnz .LBB387_1495
; %bb.1494:
	global_load_dword v0, v[7:8], off
.LBB387_1495:
	s_mov_b64 s[0:1], 0
.LBB387_1496:
	s_andn2_b64 vcc, exec, s[0:1]
	s_cbranch_vccnz .LBB387_1498
; %bb.1497:
	global_load_ushort v0, v[7:8], off
.LBB387_1498:
	s_mov_b64 s[0:1], 0
.LBB387_1499:
	s_andn2_b64 vcc, exec, s[0:1]
	s_cbranch_vccnz .LBB387_1505
; %bb.1500:
	s_cmp_gt_i32 s15, 0
	s_cbranch_scc0 .LBB387_1502
; %bb.1501:
	global_load_ubyte v0, v[7:8], off
	s_mov_b64 s[0:1], 0
	s_branch .LBB387_1503
.LBB387_1502:
	s_mov_b64 s[0:1], -1
                                        ; implicit-def: $vgpr0
.LBB387_1503:
	s_andn2_b64 vcc, exec, s[0:1]
	s_cbranch_vccnz .LBB387_1505
; %bb.1504:
	global_load_ubyte v0, v[7:8], off
.LBB387_1505:
	s_mov_b64 s[10:11], -1
.LBB387_1506:
	s_andn2_b64 vcc, exec, s[10:11]
	s_cbranch_vccnz .LBB387_1940
; %bb.1507:
	s_waitcnt vmcnt(0)
	v_mul_lo_u32 v1, s12, v9
	s_cmp_eq_u32 s14, 0
	s_cselect_b64 s[4:5], -1, 0
	s_and_b32 s25, s2, 0xff
	v_cmp_ne_u16_sdwa s[0:1], s25, v6 src0_sel:DWORD src1_sel:BYTE_0
	s_xor_b64 s[10:11], s[4:5], s[0:1]
	v_ashrrev_i32_e32 v3, 31, v1
	v_mov_b32_e32 v6, s9
	s_and_b32 s24, s3, 0xff
	v_add_co_u32_e32 v5, vcc, s8, v1
	s_cmp_lt_i32 s24, 11
	v_addc_co_u32_e32 v6, vcc, v6, v3, vcc
	s_cbranch_scc1 .LBB387_1585
; %bb.1508:
	s_and_b32 s13, 0xffff, s24
	s_mov_b64 s[20:21], -1
	s_mov_b64 s[2:3], 0
	s_cmp_gt_i32 s13, 25
	s_mov_b64 s[14:15], 0
	s_mov_b64 s[0:1], 0
	s_cbranch_scc0 .LBB387_1541
; %bb.1509:
	s_cmp_gt_i32 s13, 28
	s_cbranch_scc0 .LBB387_1524
; %bb.1510:
	s_cmp_gt_i32 s13, 43
	;; [unrolled: 3-line block ×3, first 2 shown]
	s_cbranch_scc0 .LBB387_1514
; %bb.1512:
	s_mov_b64 s[0:1], -1
	s_mov_b64 s[20:21], 0
	s_cmp_eq_u32 s13, 46
	s_cbranch_scc0 .LBB387_1514
; %bb.1513:
	v_cndmask_b32_e64 v3, 0, 1.0, s[10:11]
	v_bfe_u32 v7, v3, 16, 1
	s_movk_i32 s0, 0x7fff
	v_add3_u32 v3, v3, v7, s0
	v_lshrrev_b32_e32 v3, 16, v3
	global_store_dword v[5:6], v3, off
	s_mov_b64 s[0:1], 0
	s_mov_b64 s[14:15], -1
.LBB387_1514:
	s_and_b64 vcc, exec, s[20:21]
	s_cbranch_vccz .LBB387_1519
; %bb.1515:
	s_cmp_eq_u32 s13, 44
	s_mov_b64 s[0:1], -1
	s_cbranch_scc0 .LBB387_1519
; %bb.1516:
	v_cndmask_b32_e64 v7, 0, 1.0, s[10:11]
	v_lshrrev_b32_e32 v3, 23, v7
	s_movk_i32 s0, 0xff
	v_cmp_ne_u32_e32 vcc, s0, v3
	v_mov_b32_e32 v8, 0xff
	s_and_saveexec_b64 s[14:15], vcc
; %bb.1517:
	s_mov_b32 s0, 0x3fffff
	v_and_b32_e32 v8, 0x400000, v7
	v_and_or_b32 v7, v7, s0, v3
	v_cmp_ne_u32_e32 vcc, 0, v8
	v_cmp_ne_u32_e64 s[0:1], 0, v7
	s_and_b64 s[0:1], vcc, s[0:1]
	v_cndmask_b32_e64 v7, 0, 1, s[0:1]
	v_add_u32_e32 v8, v3, v7
; %bb.1518:
	s_or_b64 exec, exec, s[14:15]
	s_mov_b64 s[0:1], 0
	s_mov_b64 s[14:15], -1
	global_store_byte v[5:6], v8, off
.LBB387_1519:
	s_mov_b64 s[20:21], 0
.LBB387_1520:
	s_and_b64 vcc, exec, s[20:21]
	s_cbranch_vccz .LBB387_1523
; %bb.1521:
	s_cmp_eq_u32 s13, 29
	s_mov_b64 s[0:1], -1
	s_cbranch_scc0 .LBB387_1523
; %bb.1522:
	s_mov_b32 s0, 0
	v_cndmask_b32_e64 v7, 0, 1, s[10:11]
	v_mov_b32_e32 v8, s0
	global_store_dwordx2 v[5:6], v[7:8], off
	s_mov_b64 s[0:1], 0
	s_mov_b64 s[14:15], -1
.LBB387_1523:
	s_mov_b64 s[20:21], 0
.LBB387_1524:
	s_and_b64 vcc, exec, s[20:21]
	s_cbranch_vccz .LBB387_1540
; %bb.1525:
	s_cmp_lt_i32 s13, 27
	s_mov_b64 s[14:15], -1
	s_cbranch_scc1 .LBB387_1531
; %bb.1526:
	s_cmp_gt_i32 s13, 27
	s_cbranch_scc0 .LBB387_1528
; %bb.1527:
	v_cndmask_b32_e64 v3, 0, 1, s[10:11]
	s_mov_b64 s[14:15], 0
	global_store_dword v[5:6], v3, off
.LBB387_1528:
	s_andn2_b64 vcc, exec, s[14:15]
	s_cbranch_vccnz .LBB387_1530
; %bb.1529:
	v_cndmask_b32_e64 v3, 0, 1, s[10:11]
	global_store_short v[5:6], v3, off
.LBB387_1530:
	s_mov_b64 s[14:15], 0
.LBB387_1531:
	s_andn2_b64 vcc, exec, s[14:15]
	s_cbranch_vccnz .LBB387_1539
; %bb.1532:
	v_cndmask_b32_e64 v7, 0, 1.0, s[10:11]
	s_mov_b32 s14, 0x43800000
	v_cmp_gt_u32_e32 vcc, s14, v7
	v_mov_b32_e32 v8, 0x80
	s_and_saveexec_b64 s[14:15], vcc
	s_cbranch_execz .LBB387_1538
; %bb.1533:
	s_mov_b32 s20, 0x3bffffff
	v_cmp_lt_u32_e32 vcc, s20, v7
	s_mov_b64 s[20:21], 0
                                        ; implicit-def: $vgpr3
	s_and_saveexec_b64 s[22:23], vcc
	s_xor_b64 s[22:23], exec, s[22:23]
	s_cbranch_execz .LBB387_1987
; %bb.1534:
	v_bfe_u32 v3, v7, 20, 1
	s_mov_b32 s26, 0x487ffff
	v_add3_u32 v3, v7, v3, s26
	s_mov_b64 s[20:21], exec
	v_lshrrev_b32_e32 v3, 20, v3
                                        ; implicit-def: $vgpr7
	s_andn2_saveexec_b64 s[22:23], s[22:23]
	s_cbranch_execnz .LBB387_1988
.LBB387_1535:
	s_or_b64 exec, exec, s[22:23]
	v_mov_b32_e32 v8, 0
	s_and_saveexec_b64 s[22:23], s[20:21]
.LBB387_1536:
	v_mov_b32_e32 v8, v3
.LBB387_1537:
	s_or_b64 exec, exec, s[22:23]
.LBB387_1538:
	s_or_b64 exec, exec, s[14:15]
	global_store_byte v[5:6], v8, off
.LBB387_1539:
	s_mov_b64 s[14:15], -1
.LBB387_1540:
	s_mov_b64 s[20:21], 0
.LBB387_1541:
	s_and_b64 vcc, exec, s[20:21]
	s_cbranch_vccz .LBB387_1581
; %bb.1542:
	s_cmp_gt_i32 s13, 22
	s_mov_b64 s[2:3], -1
	s_cbranch_scc0 .LBB387_1574
; %bb.1543:
	s_cmp_lt_i32 s13, 24
	s_cbranch_scc1 .LBB387_1563
; %bb.1544:
	s_cmp_gt_i32 s13, 24
	s_cbranch_scc0 .LBB387_1552
; %bb.1545:
	v_cndmask_b32_e64 v7, 0, 1.0, s[10:11]
	s_mov_b32 s2, 0x47800000
	v_cmp_gt_u32_e32 vcc, s2, v7
	v_mov_b32_e32 v8, 0x80
	s_and_saveexec_b64 s[2:3], vcc
	s_cbranch_execz .LBB387_1551
; %bb.1546:
	s_mov_b32 s14, 0x37ffffff
	v_cmp_lt_u32_e32 vcc, s14, v7
	s_mov_b64 s[14:15], 0
                                        ; implicit-def: $vgpr3
	s_and_saveexec_b64 s[20:21], vcc
	s_xor_b64 s[20:21], exec, s[20:21]
	s_cbranch_execz .LBB387_1990
; %bb.1547:
	v_bfe_u32 v3, v7, 21, 1
	s_mov_b32 s22, 0x88fffff
	v_add3_u32 v3, v7, v3, s22
	s_mov_b64 s[14:15], exec
	v_lshrrev_b32_e32 v3, 21, v3
                                        ; implicit-def: $vgpr7
	s_andn2_saveexec_b64 s[20:21], s[20:21]
	s_cbranch_execnz .LBB387_1991
.LBB387_1548:
	s_or_b64 exec, exec, s[20:21]
	v_mov_b32_e32 v8, 0
	s_and_saveexec_b64 s[20:21], s[14:15]
.LBB387_1549:
	v_mov_b32_e32 v8, v3
.LBB387_1550:
	s_or_b64 exec, exec, s[20:21]
.LBB387_1551:
	s_or_b64 exec, exec, s[2:3]
	s_mov_b64 s[2:3], 0
	global_store_byte v[5:6], v8, off
.LBB387_1552:
	s_and_b64 vcc, exec, s[2:3]
	s_cbranch_vccz .LBB387_1562
; %bb.1553:
	v_cndmask_b32_e64 v3, 0, 1.0, s[10:11]
	s_mov_b32 s2, 0x43f00000
	v_cmp_gt_u32_e32 vcc, s2, v3
                                        ; implicit-def: $vgpr7
	s_and_saveexec_b64 s[2:3], vcc
	s_xor_b64 s[2:3], exec, s[2:3]
	s_cbranch_execz .LBB387_1559
; %bb.1554:
	s_mov_b32 s14, 0x3c7fffff
	v_cmp_lt_u32_e32 vcc, s14, v3
                                        ; implicit-def: $vgpr7
	s_and_saveexec_b64 s[14:15], vcc
	s_xor_b64 s[14:15], exec, s[14:15]
; %bb.1555:
	v_bfe_u32 v7, v3, 20, 1
	s_mov_b32 s20, 0x407ffff
	v_add3_u32 v3, v3, v7, s20
	v_lshrrev_b32_e32 v7, 20, v3
	v_and_b32_e32 v3, 0xff00000, v3
	s_mov_b32 s20, 0x7f00000
	v_mov_b32_e32 v8, 0x7e
	v_cmp_ne_u32_e32 vcc, s20, v3
	v_cndmask_b32_e32 v7, v8, v7, vcc
                                        ; implicit-def: $vgpr3
; %bb.1556:
	s_andn2_saveexec_b64 s[14:15], s[14:15]
; %bb.1557:
	v_add_f32_e32 v7, 0x46800000, v3
; %bb.1558:
	s_or_b64 exec, exec, s[14:15]
                                        ; implicit-def: $vgpr3
.LBB387_1559:
	s_andn2_saveexec_b64 s[2:3], s[2:3]
; %bb.1560:
	s_mov_b32 s14, 0x7f800000
	v_mov_b32_e32 v7, 0x7e
	v_mov_b32_e32 v8, 0x7f
	v_cmp_lt_u32_e32 vcc, s14, v3
	v_cndmask_b32_e32 v7, v7, v8, vcc
; %bb.1561:
	s_or_b64 exec, exec, s[2:3]
	global_store_byte v[5:6], v7, off
.LBB387_1562:
	s_mov_b64 s[2:3], 0
.LBB387_1563:
	s_andn2_b64 vcc, exec, s[2:3]
	s_cbranch_vccnz .LBB387_1573
; %bb.1564:
	v_cndmask_b32_e64 v3, 0, 1.0, s[10:11]
	s_mov_b32 s2, 0x47800000
	v_cmp_gt_u32_e32 vcc, s2, v3
                                        ; implicit-def: $vgpr7
	s_and_saveexec_b64 s[2:3], vcc
	s_xor_b64 s[2:3], exec, s[2:3]
	s_cbranch_execz .LBB387_1570
; %bb.1565:
	s_mov_b32 s14, 0x387fffff
	v_cmp_lt_u32_e32 vcc, s14, v3
                                        ; implicit-def: $vgpr7
	s_and_saveexec_b64 s[14:15], vcc
	s_xor_b64 s[14:15], exec, s[14:15]
; %bb.1566:
	v_bfe_u32 v7, v3, 21, 1
	s_mov_b32 s20, 0x80fffff
	v_add3_u32 v3, v3, v7, s20
	v_lshrrev_b32_e32 v7, 21, v3
                                        ; implicit-def: $vgpr3
; %bb.1567:
	s_andn2_saveexec_b64 s[14:15], s[14:15]
; %bb.1568:
	v_add_f32_e32 v7, 0x43000000, v3
; %bb.1569:
	s_or_b64 exec, exec, s[14:15]
                                        ; implicit-def: $vgpr3
.LBB387_1570:
	s_andn2_saveexec_b64 s[2:3], s[2:3]
; %bb.1571:
	s_mov_b32 s14, 0x7f800000
	v_mov_b32_e32 v7, 0x7c
	v_mov_b32_e32 v8, 0x7f
	v_cmp_lt_u32_e32 vcc, s14, v3
	v_cndmask_b32_e32 v7, v7, v8, vcc
; %bb.1572:
	s_or_b64 exec, exec, s[2:3]
	global_store_byte v[5:6], v7, off
.LBB387_1573:
	s_mov_b64 s[2:3], 0
	s_mov_b64 s[14:15], -1
.LBB387_1574:
	s_andn2_b64 vcc, exec, s[2:3]
	s_mov_b64 s[2:3], 0
	s_cbranch_vccnz .LBB387_1581
; %bb.1575:
	s_cmp_gt_i32 s13, 14
	s_mov_b64 s[20:21], -1
	s_cbranch_scc0 .LBB387_1579
; %bb.1576:
	s_cmp_eq_u32 s13, 15
	s_mov_b64 s[0:1], -1
	s_cbranch_scc0 .LBB387_1578
; %bb.1577:
	v_cndmask_b32_e64 v3, 0, 1.0, s[10:11]
	v_bfe_u32 v7, v3, 16, 1
	s_movk_i32 s0, 0x7fff
	v_add3_u32 v3, v3, v7, s0
	global_store_short_d16_hi v[5:6], v3, off
	s_mov_b64 s[0:1], 0
	s_mov_b64 s[14:15], -1
.LBB387_1578:
	s_mov_b64 s[20:21], 0
.LBB387_1579:
	s_and_b64 vcc, exec, s[20:21]
	s_cbranch_vccz .LBB387_1581
; %bb.1580:
	s_cmp_lg_u32 s13, 11
	s_mov_b64 s[2:3], -1
	s_cselect_b64 s[0:1], -1, 0
.LBB387_1581:
	s_and_b64 vcc, exec, s[0:1]
	s_cbranch_vccnz .LBB387_1989
; %bb.1582:
	s_andn2_b64 vcc, exec, s[2:3]
	s_cbranch_vccnz .LBB387_1584
.LBB387_1583:
	v_cndmask_b32_e64 v3, 0, 1, s[10:11]
	s_mov_b64 s[14:15], -1
	global_store_byte v[5:6], v3, off
.LBB387_1584:
	s_mov_b64 s[0:1], 0
	s_branch .LBB387_1586
.LBB387_1585:
	s_mov_b64 s[0:1], -1
	s_mov_b64 s[14:15], 0
.LBB387_1586:
	s_and_b64 vcc, exec, s[0:1]
	s_cbranch_vccz .LBB387_1625
; %bb.1587:
	s_and_b32 s2, 0xffff, s24
	s_cmp_lt_i32 s2, 5
	s_mov_b64 s[0:1], -1
	s_cbranch_scc1 .LBB387_1608
; %bb.1588:
	s_cmp_lt_i32 s2, 8
	s_cbranch_scc1 .LBB387_1598
; %bb.1589:
	s_cmp_lt_i32 s2, 9
	s_cbranch_scc1 .LBB387_1595
; %bb.1590:
	s_cmp_gt_i32 s2, 9
	s_cbranch_scc0 .LBB387_1592
; %bb.1591:
	v_cndmask_b32_e64 v3, 0, 1, s[10:11]
	v_cvt_f64_u32_e32 v[7:8], v3
	v_mov_b32_e32 v9, 0
	v_mov_b32_e32 v10, v9
	s_mov_b64 s[0:1], 0
	global_store_dwordx4 v[5:6], v[7:10], off
.LBB387_1592:
	s_andn2_b64 vcc, exec, s[0:1]
	s_cbranch_vccnz .LBB387_1594
; %bb.1593:
	v_cndmask_b32_e64 v7, 0, 1.0, s[10:11]
	v_mov_b32_e32 v8, 0
	global_store_dwordx2 v[5:6], v[7:8], off
.LBB387_1594:
	s_mov_b64 s[0:1], 0
.LBB387_1595:
	s_andn2_b64 vcc, exec, s[0:1]
	s_cbranch_vccnz .LBB387_1597
; %bb.1596:
	v_cndmask_b32_e64 v3, 0, 1.0, s[10:11]
	v_cvt_f16_f32_e32 v3, v3
	global_store_dword v[5:6], v3, off
.LBB387_1597:
	s_mov_b64 s[0:1], 0
.LBB387_1598:
	s_andn2_b64 vcc, exec, s[0:1]
	s_cbranch_vccnz .LBB387_1607
; %bb.1599:
	s_cmp_lt_i32 s2, 6
	s_mov_b64 s[0:1], -1
	s_cbranch_scc1 .LBB387_1605
; %bb.1600:
	s_cmp_gt_i32 s2, 6
	s_cbranch_scc0 .LBB387_1602
; %bb.1601:
	v_cndmask_b32_e64 v3, 0, 1, s[10:11]
	v_cvt_f64_u32_e32 v[7:8], v3
	s_mov_b64 s[0:1], 0
	global_store_dwordx2 v[5:6], v[7:8], off
.LBB387_1602:
	s_andn2_b64 vcc, exec, s[0:1]
	s_cbranch_vccnz .LBB387_1604
; %bb.1603:
	v_cndmask_b32_e64 v3, 0, 1.0, s[10:11]
	global_store_dword v[5:6], v3, off
.LBB387_1604:
	s_mov_b64 s[0:1], 0
.LBB387_1605:
	s_andn2_b64 vcc, exec, s[0:1]
	s_cbranch_vccnz .LBB387_1607
; %bb.1606:
	v_cndmask_b32_e64 v3, 0, 1.0, s[10:11]
	v_cvt_f16_f32_e32 v3, v3
	global_store_short v[5:6], v3, off
.LBB387_1607:
	s_mov_b64 s[0:1], 0
.LBB387_1608:
	s_andn2_b64 vcc, exec, s[0:1]
	s_cbranch_vccnz .LBB387_1624
; %bb.1609:
	s_cmp_lt_i32 s2, 2
	s_mov_b64 s[0:1], -1
	s_cbranch_scc1 .LBB387_1619
; %bb.1610:
	s_cmp_lt_i32 s2, 3
	s_cbranch_scc1 .LBB387_1616
; %bb.1611:
	s_cmp_gt_i32 s2, 3
	s_cbranch_scc0 .LBB387_1613
; %bb.1612:
	s_mov_b32 s0, 0
	v_cndmask_b32_e64 v7, 0, 1, s[10:11]
	v_mov_b32_e32 v8, s0
	global_store_dwordx2 v[5:6], v[7:8], off
	s_mov_b64 s[0:1], 0
.LBB387_1613:
	s_andn2_b64 vcc, exec, s[0:1]
	s_cbranch_vccnz .LBB387_1615
; %bb.1614:
	v_cndmask_b32_e64 v3, 0, 1, s[10:11]
	global_store_dword v[5:6], v3, off
.LBB387_1615:
	s_mov_b64 s[0:1], 0
.LBB387_1616:
	s_andn2_b64 vcc, exec, s[0:1]
	s_cbranch_vccnz .LBB387_1618
; %bb.1617:
	v_cndmask_b32_e64 v3, 0, 1, s[10:11]
	global_store_short v[5:6], v3, off
.LBB387_1618:
	s_mov_b64 s[0:1], 0
.LBB387_1619:
	s_andn2_b64 vcc, exec, s[0:1]
	s_cbranch_vccnz .LBB387_1624
; %bb.1620:
	s_mov_b64 s[0:1], -1
	s_cmp_gt_i32 s2, 0
	v_cndmask_b32_e64 v3, 0, 1, s[10:11]
	s_cbranch_scc0 .LBB387_1622
; %bb.1621:
	global_store_byte v[5:6], v3, off
	s_mov_b64 s[0:1], 0
.LBB387_1622:
	s_andn2_b64 vcc, exec, s[0:1]
	s_cbranch_vccnz .LBB387_1624
; %bb.1623:
	global_store_byte v[5:6], v3, off
.LBB387_1624:
	s_mov_b64 s[14:15], -1
.LBB387_1625:
	s_andn2_b64 vcc, exec, s[14:15]
	s_cbranch_vccnz .LBB387_1940
; %bb.1626:
	s_lshl_b32 s22, s12, 7
	v_cmp_ne_u16_sdwa s[0:1], s25, v4 src0_sel:DWORD src1_sel:BYTE_0
	v_add_u32_e32 v1, s22, v1
	s_xor_b64 s[2:3], s[4:5], s[0:1]
	v_ashrrev_i32_e32 v4, 31, v1
	v_mov_b32_e32 v5, s9
	v_add_co_u32_e32 v3, vcc, s8, v1
	s_cmp_lt_i32 s24, 11
	v_addc_co_u32_e32 v4, vcc, v5, v4, vcc
	s_cbranch_scc1 .LBB387_1704
; %bb.1627:
	s_and_b32 s23, 0xffff, s24
	s_mov_b64 s[14:15], -1
	s_mov_b64 s[10:11], 0
	s_cmp_gt_i32 s23, 25
	s_mov_b64 s[12:13], 0
	s_mov_b64 s[0:1], 0
	s_cbranch_scc0 .LBB387_1660
; %bb.1628:
	s_cmp_gt_i32 s23, 28
	s_cbranch_scc0 .LBB387_1643
; %bb.1629:
	s_cmp_gt_i32 s23, 43
	;; [unrolled: 3-line block ×3, first 2 shown]
	s_cbranch_scc0 .LBB387_1633
; %bb.1631:
	s_mov_b64 s[0:1], -1
	s_mov_b64 s[14:15], 0
	s_cmp_eq_u32 s23, 46
	s_cbranch_scc0 .LBB387_1633
; %bb.1632:
	v_cndmask_b32_e64 v5, 0, 1.0, s[2:3]
	v_bfe_u32 v6, v5, 16, 1
	s_movk_i32 s0, 0x7fff
	v_add3_u32 v5, v5, v6, s0
	v_lshrrev_b32_e32 v5, 16, v5
	global_store_dword v[3:4], v5, off
	s_mov_b64 s[0:1], 0
	s_mov_b64 s[12:13], -1
.LBB387_1633:
	s_and_b64 vcc, exec, s[14:15]
	s_cbranch_vccz .LBB387_1638
; %bb.1634:
	s_cmp_eq_u32 s23, 44
	s_mov_b64 s[0:1], -1
	s_cbranch_scc0 .LBB387_1638
; %bb.1635:
	v_cndmask_b32_e64 v6, 0, 1.0, s[2:3]
	v_lshrrev_b32_e32 v5, 23, v6
	s_movk_i32 s0, 0xff
	v_cmp_ne_u32_e32 vcc, s0, v5
	v_mov_b32_e32 v7, 0xff
	s_and_saveexec_b64 s[12:13], vcc
; %bb.1636:
	s_mov_b32 s0, 0x3fffff
	v_and_b32_e32 v7, 0x400000, v6
	v_and_or_b32 v6, v6, s0, v5
	v_cmp_ne_u32_e32 vcc, 0, v7
	v_cmp_ne_u32_e64 s[0:1], 0, v6
	s_and_b64 s[0:1], vcc, s[0:1]
	v_cndmask_b32_e64 v6, 0, 1, s[0:1]
	v_add_u32_e32 v7, v5, v6
; %bb.1637:
	s_or_b64 exec, exec, s[12:13]
	s_mov_b64 s[0:1], 0
	s_mov_b64 s[12:13], -1
	global_store_byte v[3:4], v7, off
.LBB387_1638:
	s_mov_b64 s[14:15], 0
.LBB387_1639:
	s_and_b64 vcc, exec, s[14:15]
	s_cbranch_vccz .LBB387_1642
; %bb.1640:
	s_cmp_eq_u32 s23, 29
	s_mov_b64 s[0:1], -1
	s_cbranch_scc0 .LBB387_1642
; %bb.1641:
	s_mov_b32 s0, 0
	v_cndmask_b32_e64 v5, 0, 1, s[2:3]
	v_mov_b32_e32 v6, s0
	global_store_dwordx2 v[3:4], v[5:6], off
	s_mov_b64 s[0:1], 0
	s_mov_b64 s[12:13], -1
.LBB387_1642:
	s_mov_b64 s[14:15], 0
.LBB387_1643:
	s_and_b64 vcc, exec, s[14:15]
	s_cbranch_vccz .LBB387_1659
; %bb.1644:
	s_cmp_lt_i32 s23, 27
	s_mov_b64 s[12:13], -1
	s_cbranch_scc1 .LBB387_1650
; %bb.1645:
	s_cmp_gt_i32 s23, 27
	s_cbranch_scc0 .LBB387_1647
; %bb.1646:
	v_cndmask_b32_e64 v5, 0, 1, s[2:3]
	s_mov_b64 s[12:13], 0
	global_store_dword v[3:4], v5, off
.LBB387_1647:
	s_andn2_b64 vcc, exec, s[12:13]
	s_cbranch_vccnz .LBB387_1649
; %bb.1648:
	v_cndmask_b32_e64 v5, 0, 1, s[2:3]
	global_store_short v[3:4], v5, off
.LBB387_1649:
	s_mov_b64 s[12:13], 0
.LBB387_1650:
	s_andn2_b64 vcc, exec, s[12:13]
	s_cbranch_vccnz .LBB387_1658
; %bb.1651:
	v_cndmask_b32_e64 v6, 0, 1.0, s[2:3]
	s_mov_b32 s12, 0x43800000
	v_cmp_gt_u32_e32 vcc, s12, v6
	v_mov_b32_e32 v7, 0x80
	s_and_saveexec_b64 s[12:13], vcc
	s_cbranch_execz .LBB387_1657
; %bb.1652:
	s_mov_b32 s14, 0x3bffffff
	v_cmp_lt_u32_e32 vcc, s14, v6
	s_mov_b64 s[14:15], 0
                                        ; implicit-def: $vgpr5
	s_and_saveexec_b64 s[20:21], vcc
	s_xor_b64 s[20:21], exec, s[20:21]
	s_cbranch_execz .LBB387_1992
; %bb.1653:
	v_bfe_u32 v5, v6, 20, 1
	s_mov_b32 s26, 0x487ffff
	v_add3_u32 v5, v6, v5, s26
	s_mov_b64 s[14:15], exec
	v_lshrrev_b32_e32 v5, 20, v5
                                        ; implicit-def: $vgpr6
	s_andn2_saveexec_b64 s[20:21], s[20:21]
	s_cbranch_execnz .LBB387_1993
.LBB387_1654:
	s_or_b64 exec, exec, s[20:21]
	v_mov_b32_e32 v7, 0
	s_and_saveexec_b64 s[20:21], s[14:15]
.LBB387_1655:
	v_mov_b32_e32 v7, v5
.LBB387_1656:
	s_or_b64 exec, exec, s[20:21]
.LBB387_1657:
	s_or_b64 exec, exec, s[12:13]
	global_store_byte v[3:4], v7, off
.LBB387_1658:
	s_mov_b64 s[12:13], -1
.LBB387_1659:
	s_mov_b64 s[14:15], 0
.LBB387_1660:
	s_and_b64 vcc, exec, s[14:15]
	s_cbranch_vccz .LBB387_1700
; %bb.1661:
	s_cmp_gt_i32 s23, 22
	s_mov_b64 s[10:11], -1
	s_cbranch_scc0 .LBB387_1693
; %bb.1662:
	s_cmp_lt_i32 s23, 24
	s_cbranch_scc1 .LBB387_1682
; %bb.1663:
	s_cmp_gt_i32 s23, 24
	s_cbranch_scc0 .LBB387_1671
; %bb.1664:
	v_cndmask_b32_e64 v6, 0, 1.0, s[2:3]
	s_mov_b32 s10, 0x47800000
	v_cmp_gt_u32_e32 vcc, s10, v6
	v_mov_b32_e32 v7, 0x80
	s_and_saveexec_b64 s[10:11], vcc
	s_cbranch_execz .LBB387_1670
; %bb.1665:
	s_mov_b32 s12, 0x37ffffff
	v_cmp_lt_u32_e32 vcc, s12, v6
	s_mov_b64 s[12:13], 0
                                        ; implicit-def: $vgpr5
	s_and_saveexec_b64 s[14:15], vcc
	s_xor_b64 s[14:15], exec, s[14:15]
	s_cbranch_execz .LBB387_1995
; %bb.1666:
	v_bfe_u32 v5, v6, 21, 1
	s_mov_b32 s20, 0x88fffff
	v_add3_u32 v5, v6, v5, s20
	s_mov_b64 s[12:13], exec
	v_lshrrev_b32_e32 v5, 21, v5
                                        ; implicit-def: $vgpr6
	s_andn2_saveexec_b64 s[14:15], s[14:15]
	s_cbranch_execnz .LBB387_1996
.LBB387_1667:
	s_or_b64 exec, exec, s[14:15]
	v_mov_b32_e32 v7, 0
	s_and_saveexec_b64 s[14:15], s[12:13]
.LBB387_1668:
	v_mov_b32_e32 v7, v5
.LBB387_1669:
	s_or_b64 exec, exec, s[14:15]
.LBB387_1670:
	s_or_b64 exec, exec, s[10:11]
	s_mov_b64 s[10:11], 0
	global_store_byte v[3:4], v7, off
.LBB387_1671:
	s_and_b64 vcc, exec, s[10:11]
	s_cbranch_vccz .LBB387_1681
; %bb.1672:
	v_cndmask_b32_e64 v5, 0, 1.0, s[2:3]
	s_mov_b32 s10, 0x43f00000
	v_cmp_gt_u32_e32 vcc, s10, v5
                                        ; implicit-def: $vgpr6
	s_and_saveexec_b64 s[10:11], vcc
	s_xor_b64 s[10:11], exec, s[10:11]
	s_cbranch_execz .LBB387_1678
; %bb.1673:
	s_mov_b32 s12, 0x3c7fffff
	v_cmp_lt_u32_e32 vcc, s12, v5
                                        ; implicit-def: $vgpr6
	s_and_saveexec_b64 s[12:13], vcc
	s_xor_b64 s[12:13], exec, s[12:13]
; %bb.1674:
	v_bfe_u32 v6, v5, 20, 1
	s_mov_b32 s14, 0x407ffff
	v_add3_u32 v5, v5, v6, s14
	v_lshrrev_b32_e32 v6, 20, v5
	v_and_b32_e32 v5, 0xff00000, v5
	s_mov_b32 s14, 0x7f00000
	v_mov_b32_e32 v7, 0x7e
	v_cmp_ne_u32_e32 vcc, s14, v5
	v_cndmask_b32_e32 v6, v7, v6, vcc
                                        ; implicit-def: $vgpr5
; %bb.1675:
	s_andn2_saveexec_b64 s[12:13], s[12:13]
; %bb.1676:
	v_add_f32_e32 v6, 0x46800000, v5
; %bb.1677:
	s_or_b64 exec, exec, s[12:13]
                                        ; implicit-def: $vgpr5
.LBB387_1678:
	s_andn2_saveexec_b64 s[10:11], s[10:11]
; %bb.1679:
	s_mov_b32 s12, 0x7f800000
	v_mov_b32_e32 v6, 0x7e
	v_mov_b32_e32 v7, 0x7f
	v_cmp_lt_u32_e32 vcc, s12, v5
	v_cndmask_b32_e32 v6, v6, v7, vcc
; %bb.1680:
	s_or_b64 exec, exec, s[10:11]
	global_store_byte v[3:4], v6, off
.LBB387_1681:
	s_mov_b64 s[10:11], 0
.LBB387_1682:
	s_andn2_b64 vcc, exec, s[10:11]
	s_cbranch_vccnz .LBB387_1692
; %bb.1683:
	v_cndmask_b32_e64 v5, 0, 1.0, s[2:3]
	s_mov_b32 s10, 0x47800000
	v_cmp_gt_u32_e32 vcc, s10, v5
                                        ; implicit-def: $vgpr6
	s_and_saveexec_b64 s[10:11], vcc
	s_xor_b64 s[10:11], exec, s[10:11]
	s_cbranch_execz .LBB387_1689
; %bb.1684:
	s_mov_b32 s12, 0x387fffff
	v_cmp_lt_u32_e32 vcc, s12, v5
                                        ; implicit-def: $vgpr6
	s_and_saveexec_b64 s[12:13], vcc
	s_xor_b64 s[12:13], exec, s[12:13]
; %bb.1685:
	v_bfe_u32 v6, v5, 21, 1
	s_mov_b32 s14, 0x80fffff
	v_add3_u32 v5, v5, v6, s14
	v_lshrrev_b32_e32 v6, 21, v5
                                        ; implicit-def: $vgpr5
; %bb.1686:
	s_andn2_saveexec_b64 s[12:13], s[12:13]
; %bb.1687:
	v_add_f32_e32 v6, 0x43000000, v5
; %bb.1688:
	s_or_b64 exec, exec, s[12:13]
                                        ; implicit-def: $vgpr5
.LBB387_1689:
	s_andn2_saveexec_b64 s[10:11], s[10:11]
; %bb.1690:
	s_mov_b32 s12, 0x7f800000
	v_mov_b32_e32 v6, 0x7c
	v_mov_b32_e32 v7, 0x7f
	v_cmp_lt_u32_e32 vcc, s12, v5
	v_cndmask_b32_e32 v6, v6, v7, vcc
; %bb.1691:
	s_or_b64 exec, exec, s[10:11]
	global_store_byte v[3:4], v6, off
.LBB387_1692:
	s_mov_b64 s[10:11], 0
	s_mov_b64 s[12:13], -1
.LBB387_1693:
	s_andn2_b64 vcc, exec, s[10:11]
	s_mov_b64 s[10:11], 0
	s_cbranch_vccnz .LBB387_1700
; %bb.1694:
	s_cmp_gt_i32 s23, 14
	s_mov_b64 s[14:15], -1
	s_cbranch_scc0 .LBB387_1698
; %bb.1695:
	s_cmp_eq_u32 s23, 15
	s_mov_b64 s[0:1], -1
	s_cbranch_scc0 .LBB387_1697
; %bb.1696:
	v_cndmask_b32_e64 v5, 0, 1.0, s[2:3]
	v_bfe_u32 v6, v5, 16, 1
	s_movk_i32 s0, 0x7fff
	v_add3_u32 v5, v5, v6, s0
	global_store_short_d16_hi v[3:4], v5, off
	s_mov_b64 s[0:1], 0
	s_mov_b64 s[12:13], -1
.LBB387_1697:
	s_mov_b64 s[14:15], 0
.LBB387_1698:
	s_and_b64 vcc, exec, s[14:15]
	s_cbranch_vccz .LBB387_1700
; %bb.1699:
	s_cmp_lg_u32 s23, 11
	s_mov_b64 s[10:11], -1
	s_cselect_b64 s[0:1], -1, 0
.LBB387_1700:
	s_and_b64 vcc, exec, s[0:1]
	s_cbranch_vccnz .LBB387_1994
; %bb.1701:
	s_andn2_b64 vcc, exec, s[10:11]
	s_cbranch_vccnz .LBB387_1703
.LBB387_1702:
	v_cndmask_b32_e64 v5, 0, 1, s[2:3]
	s_mov_b64 s[12:13], -1
	global_store_byte v[3:4], v5, off
.LBB387_1703:
	s_mov_b64 s[0:1], 0
	s_branch .LBB387_1705
.LBB387_1704:
	s_mov_b64 s[0:1], -1
	s_mov_b64 s[12:13], 0
.LBB387_1705:
	s_and_b64 vcc, exec, s[0:1]
	s_cbranch_vccz .LBB387_1744
; %bb.1706:
	s_and_b32 s10, 0xffff, s24
	s_cmp_lt_i32 s10, 5
	s_mov_b64 s[0:1], -1
	s_cbranch_scc1 .LBB387_1727
; %bb.1707:
	s_cmp_lt_i32 s10, 8
	s_cbranch_scc1 .LBB387_1717
; %bb.1708:
	s_cmp_lt_i32 s10, 9
	s_cbranch_scc1 .LBB387_1714
; %bb.1709:
	s_cmp_gt_i32 s10, 9
	s_cbranch_scc0 .LBB387_1711
; %bb.1710:
	v_cndmask_b32_e64 v5, 0, 1, s[2:3]
	v_cvt_f64_u32_e32 v[5:6], v5
	v_mov_b32_e32 v7, 0
	v_mov_b32_e32 v8, v7
	s_mov_b64 s[0:1], 0
	global_store_dwordx4 v[3:4], v[5:8], off
.LBB387_1711:
	s_andn2_b64 vcc, exec, s[0:1]
	s_cbranch_vccnz .LBB387_1713
; %bb.1712:
	v_cndmask_b32_e64 v5, 0, 1.0, s[2:3]
	v_mov_b32_e32 v6, 0
	global_store_dwordx2 v[3:4], v[5:6], off
.LBB387_1713:
	s_mov_b64 s[0:1], 0
.LBB387_1714:
	s_andn2_b64 vcc, exec, s[0:1]
	s_cbranch_vccnz .LBB387_1716
; %bb.1715:
	v_cndmask_b32_e64 v5, 0, 1.0, s[2:3]
	v_cvt_f16_f32_e32 v5, v5
	global_store_dword v[3:4], v5, off
.LBB387_1716:
	s_mov_b64 s[0:1], 0
.LBB387_1717:
	s_andn2_b64 vcc, exec, s[0:1]
	s_cbranch_vccnz .LBB387_1726
; %bb.1718:
	s_cmp_lt_i32 s10, 6
	s_mov_b64 s[0:1], -1
	s_cbranch_scc1 .LBB387_1724
; %bb.1719:
	s_cmp_gt_i32 s10, 6
	s_cbranch_scc0 .LBB387_1721
; %bb.1720:
	v_cndmask_b32_e64 v5, 0, 1, s[2:3]
	v_cvt_f64_u32_e32 v[5:6], v5
	s_mov_b64 s[0:1], 0
	global_store_dwordx2 v[3:4], v[5:6], off
.LBB387_1721:
	s_andn2_b64 vcc, exec, s[0:1]
	s_cbranch_vccnz .LBB387_1723
; %bb.1722:
	v_cndmask_b32_e64 v5, 0, 1.0, s[2:3]
	global_store_dword v[3:4], v5, off
.LBB387_1723:
	s_mov_b64 s[0:1], 0
.LBB387_1724:
	s_andn2_b64 vcc, exec, s[0:1]
	s_cbranch_vccnz .LBB387_1726
; %bb.1725:
	v_cndmask_b32_e64 v5, 0, 1.0, s[2:3]
	v_cvt_f16_f32_e32 v5, v5
	global_store_short v[3:4], v5, off
.LBB387_1726:
	s_mov_b64 s[0:1], 0
.LBB387_1727:
	s_andn2_b64 vcc, exec, s[0:1]
	s_cbranch_vccnz .LBB387_1743
; %bb.1728:
	s_cmp_lt_i32 s10, 2
	s_mov_b64 s[0:1], -1
	s_cbranch_scc1 .LBB387_1738
; %bb.1729:
	s_cmp_lt_i32 s10, 3
	s_cbranch_scc1 .LBB387_1735
; %bb.1730:
	s_cmp_gt_i32 s10, 3
	s_cbranch_scc0 .LBB387_1732
; %bb.1731:
	s_mov_b32 s0, 0
	v_cndmask_b32_e64 v5, 0, 1, s[2:3]
	v_mov_b32_e32 v6, s0
	global_store_dwordx2 v[3:4], v[5:6], off
	s_mov_b64 s[0:1], 0
.LBB387_1732:
	s_andn2_b64 vcc, exec, s[0:1]
	s_cbranch_vccnz .LBB387_1734
; %bb.1733:
	v_cndmask_b32_e64 v5, 0, 1, s[2:3]
	global_store_dword v[3:4], v5, off
.LBB387_1734:
	s_mov_b64 s[0:1], 0
.LBB387_1735:
	s_andn2_b64 vcc, exec, s[0:1]
	s_cbranch_vccnz .LBB387_1737
; %bb.1736:
	v_cndmask_b32_e64 v5, 0, 1, s[2:3]
	global_store_short v[3:4], v5, off
.LBB387_1737:
	s_mov_b64 s[0:1], 0
.LBB387_1738:
	s_andn2_b64 vcc, exec, s[0:1]
	s_cbranch_vccnz .LBB387_1743
; %bb.1739:
	s_mov_b64 s[0:1], -1
	s_cmp_gt_i32 s10, 0
	v_cndmask_b32_e64 v5, 0, 1, s[2:3]
	s_cbranch_scc0 .LBB387_1741
; %bb.1740:
	global_store_byte v[3:4], v5, off
	s_mov_b64 s[0:1], 0
.LBB387_1741:
	s_andn2_b64 vcc, exec, s[0:1]
	s_cbranch_vccnz .LBB387_1743
; %bb.1742:
	global_store_byte v[3:4], v5, off
.LBB387_1743:
	s_mov_b64 s[12:13], -1
.LBB387_1744:
	s_andn2_b64 vcc, exec, s[12:13]
	s_cbranch_vccnz .LBB387_1940
; %bb.1745:
	v_cmp_ne_u16_sdwa s[0:1], s25, v2 src0_sel:DWORD src1_sel:BYTE_0
	v_add_u32_e32 v3, s22, v1
	s_xor_b64 s[2:3], s[4:5], s[0:1]
	v_ashrrev_i32_e32 v2, 31, v3
	v_mov_b32_e32 v4, s9
	v_add_co_u32_e32 v1, vcc, s8, v3
	s_cmp_lt_i32 s24, 11
	v_addc_co_u32_e32 v2, vcc, v4, v2, vcc
	s_cbranch_scc1 .LBB387_1823
; %bb.1746:
	s_and_b32 s23, 0xffff, s24
	s_mov_b64 s[14:15], -1
	s_mov_b64 s[10:11], 0
	s_cmp_gt_i32 s23, 25
	s_mov_b64 s[12:13], 0
	s_mov_b64 s[0:1], 0
	s_cbranch_scc0 .LBB387_1779
; %bb.1747:
	s_cmp_gt_i32 s23, 28
	s_cbranch_scc0 .LBB387_1762
; %bb.1748:
	s_cmp_gt_i32 s23, 43
	;; [unrolled: 3-line block ×3, first 2 shown]
	s_cbranch_scc0 .LBB387_1752
; %bb.1750:
	s_mov_b64 s[0:1], -1
	s_mov_b64 s[14:15], 0
	s_cmp_eq_u32 s23, 46
	s_cbranch_scc0 .LBB387_1752
; %bb.1751:
	v_cndmask_b32_e64 v4, 0, 1.0, s[2:3]
	v_bfe_u32 v5, v4, 16, 1
	s_movk_i32 s0, 0x7fff
	v_add3_u32 v4, v4, v5, s0
	v_lshrrev_b32_e32 v4, 16, v4
	global_store_dword v[1:2], v4, off
	s_mov_b64 s[0:1], 0
	s_mov_b64 s[12:13], -1
.LBB387_1752:
	s_and_b64 vcc, exec, s[14:15]
	s_cbranch_vccz .LBB387_1757
; %bb.1753:
	s_cmp_eq_u32 s23, 44
	s_mov_b64 s[0:1], -1
	s_cbranch_scc0 .LBB387_1757
; %bb.1754:
	v_cndmask_b32_e64 v5, 0, 1.0, s[2:3]
	v_lshrrev_b32_e32 v4, 23, v5
	s_movk_i32 s0, 0xff
	v_cmp_ne_u32_e32 vcc, s0, v4
	v_mov_b32_e32 v6, 0xff
	s_and_saveexec_b64 s[12:13], vcc
; %bb.1755:
	s_mov_b32 s0, 0x3fffff
	v_and_b32_e32 v6, 0x400000, v5
	v_and_or_b32 v5, v5, s0, v4
	v_cmp_ne_u32_e32 vcc, 0, v6
	v_cmp_ne_u32_e64 s[0:1], 0, v5
	s_and_b64 s[0:1], vcc, s[0:1]
	v_cndmask_b32_e64 v5, 0, 1, s[0:1]
	v_add_u32_e32 v6, v4, v5
; %bb.1756:
	s_or_b64 exec, exec, s[12:13]
	s_mov_b64 s[0:1], 0
	s_mov_b64 s[12:13], -1
	global_store_byte v[1:2], v6, off
.LBB387_1757:
	s_mov_b64 s[14:15], 0
.LBB387_1758:
	s_and_b64 vcc, exec, s[14:15]
	s_cbranch_vccz .LBB387_1761
; %bb.1759:
	s_cmp_eq_u32 s23, 29
	s_mov_b64 s[0:1], -1
	s_cbranch_scc0 .LBB387_1761
; %bb.1760:
	s_mov_b32 s0, 0
	v_cndmask_b32_e64 v4, 0, 1, s[2:3]
	v_mov_b32_e32 v5, s0
	global_store_dwordx2 v[1:2], v[4:5], off
	s_mov_b64 s[0:1], 0
	s_mov_b64 s[12:13], -1
.LBB387_1761:
	s_mov_b64 s[14:15], 0
.LBB387_1762:
	s_and_b64 vcc, exec, s[14:15]
	s_cbranch_vccz .LBB387_1778
; %bb.1763:
	s_cmp_lt_i32 s23, 27
	s_mov_b64 s[12:13], -1
	s_cbranch_scc1 .LBB387_1769
; %bb.1764:
	s_cmp_gt_i32 s23, 27
	s_cbranch_scc0 .LBB387_1766
; %bb.1765:
	v_cndmask_b32_e64 v4, 0, 1, s[2:3]
	s_mov_b64 s[12:13], 0
	global_store_dword v[1:2], v4, off
.LBB387_1766:
	s_andn2_b64 vcc, exec, s[12:13]
	s_cbranch_vccnz .LBB387_1768
; %bb.1767:
	v_cndmask_b32_e64 v4, 0, 1, s[2:3]
	global_store_short v[1:2], v4, off
.LBB387_1768:
	s_mov_b64 s[12:13], 0
.LBB387_1769:
	s_andn2_b64 vcc, exec, s[12:13]
	s_cbranch_vccnz .LBB387_1777
; %bb.1770:
	v_cndmask_b32_e64 v5, 0, 1.0, s[2:3]
	s_mov_b32 s12, 0x43800000
	v_cmp_gt_u32_e32 vcc, s12, v5
	v_mov_b32_e32 v6, 0x80
	s_and_saveexec_b64 s[12:13], vcc
	s_cbranch_execz .LBB387_1776
; %bb.1771:
	s_mov_b32 s14, 0x3bffffff
	v_cmp_lt_u32_e32 vcc, s14, v5
	s_mov_b64 s[14:15], 0
                                        ; implicit-def: $vgpr4
	s_and_saveexec_b64 s[20:21], vcc
	s_xor_b64 s[20:21], exec, s[20:21]
	s_cbranch_execz .LBB387_1997
; %bb.1772:
	v_bfe_u32 v4, v5, 20, 1
	s_mov_b32 s26, 0x487ffff
	v_add3_u32 v4, v5, v4, s26
	s_mov_b64 s[14:15], exec
	v_lshrrev_b32_e32 v4, 20, v4
                                        ; implicit-def: $vgpr5
	s_andn2_saveexec_b64 s[20:21], s[20:21]
	s_cbranch_execnz .LBB387_1998
.LBB387_1773:
	s_or_b64 exec, exec, s[20:21]
	v_mov_b32_e32 v6, 0
	s_and_saveexec_b64 s[20:21], s[14:15]
.LBB387_1774:
	v_mov_b32_e32 v6, v4
.LBB387_1775:
	s_or_b64 exec, exec, s[20:21]
.LBB387_1776:
	s_or_b64 exec, exec, s[12:13]
	global_store_byte v[1:2], v6, off
.LBB387_1777:
	s_mov_b64 s[12:13], -1
.LBB387_1778:
	s_mov_b64 s[14:15], 0
.LBB387_1779:
	s_and_b64 vcc, exec, s[14:15]
	s_cbranch_vccz .LBB387_1819
; %bb.1780:
	s_cmp_gt_i32 s23, 22
	s_mov_b64 s[10:11], -1
	s_cbranch_scc0 .LBB387_1812
; %bb.1781:
	s_cmp_lt_i32 s23, 24
	s_cbranch_scc1 .LBB387_1801
; %bb.1782:
	s_cmp_gt_i32 s23, 24
	s_cbranch_scc0 .LBB387_1790
; %bb.1783:
	v_cndmask_b32_e64 v5, 0, 1.0, s[2:3]
	s_mov_b32 s10, 0x47800000
	v_cmp_gt_u32_e32 vcc, s10, v5
	v_mov_b32_e32 v6, 0x80
	s_and_saveexec_b64 s[10:11], vcc
	s_cbranch_execz .LBB387_1789
; %bb.1784:
	s_mov_b32 s12, 0x37ffffff
	v_cmp_lt_u32_e32 vcc, s12, v5
	s_mov_b64 s[12:13], 0
                                        ; implicit-def: $vgpr4
	s_and_saveexec_b64 s[14:15], vcc
	s_xor_b64 s[14:15], exec, s[14:15]
	s_cbranch_execz .LBB387_2000
; %bb.1785:
	v_bfe_u32 v4, v5, 21, 1
	s_mov_b32 s20, 0x88fffff
	v_add3_u32 v4, v5, v4, s20
	s_mov_b64 s[12:13], exec
	v_lshrrev_b32_e32 v4, 21, v4
                                        ; implicit-def: $vgpr5
	s_andn2_saveexec_b64 s[14:15], s[14:15]
	s_cbranch_execnz .LBB387_2001
.LBB387_1786:
	s_or_b64 exec, exec, s[14:15]
	v_mov_b32_e32 v6, 0
	s_and_saveexec_b64 s[14:15], s[12:13]
.LBB387_1787:
	v_mov_b32_e32 v6, v4
.LBB387_1788:
	s_or_b64 exec, exec, s[14:15]
.LBB387_1789:
	s_or_b64 exec, exec, s[10:11]
	s_mov_b64 s[10:11], 0
	global_store_byte v[1:2], v6, off
.LBB387_1790:
	s_and_b64 vcc, exec, s[10:11]
	s_cbranch_vccz .LBB387_1800
; %bb.1791:
	v_cndmask_b32_e64 v4, 0, 1.0, s[2:3]
	s_mov_b32 s10, 0x43f00000
	v_cmp_gt_u32_e32 vcc, s10, v4
                                        ; implicit-def: $vgpr5
	s_and_saveexec_b64 s[10:11], vcc
	s_xor_b64 s[10:11], exec, s[10:11]
	s_cbranch_execz .LBB387_1797
; %bb.1792:
	s_mov_b32 s12, 0x3c7fffff
	v_cmp_lt_u32_e32 vcc, s12, v4
                                        ; implicit-def: $vgpr5
	s_and_saveexec_b64 s[12:13], vcc
	s_xor_b64 s[12:13], exec, s[12:13]
; %bb.1793:
	v_bfe_u32 v5, v4, 20, 1
	s_mov_b32 s14, 0x407ffff
	v_add3_u32 v4, v4, v5, s14
	v_lshrrev_b32_e32 v5, 20, v4
	v_and_b32_e32 v4, 0xff00000, v4
	s_mov_b32 s14, 0x7f00000
	v_mov_b32_e32 v6, 0x7e
	v_cmp_ne_u32_e32 vcc, s14, v4
	v_cndmask_b32_e32 v5, v6, v5, vcc
                                        ; implicit-def: $vgpr4
; %bb.1794:
	s_andn2_saveexec_b64 s[12:13], s[12:13]
; %bb.1795:
	v_add_f32_e32 v5, 0x46800000, v4
; %bb.1796:
	s_or_b64 exec, exec, s[12:13]
                                        ; implicit-def: $vgpr4
.LBB387_1797:
	s_andn2_saveexec_b64 s[10:11], s[10:11]
; %bb.1798:
	s_mov_b32 s12, 0x7f800000
	v_mov_b32_e32 v5, 0x7e
	v_mov_b32_e32 v6, 0x7f
	v_cmp_lt_u32_e32 vcc, s12, v4
	v_cndmask_b32_e32 v5, v5, v6, vcc
; %bb.1799:
	s_or_b64 exec, exec, s[10:11]
	global_store_byte v[1:2], v5, off
.LBB387_1800:
	s_mov_b64 s[10:11], 0
.LBB387_1801:
	s_andn2_b64 vcc, exec, s[10:11]
	s_cbranch_vccnz .LBB387_1811
; %bb.1802:
	v_cndmask_b32_e64 v4, 0, 1.0, s[2:3]
	s_mov_b32 s10, 0x47800000
	v_cmp_gt_u32_e32 vcc, s10, v4
                                        ; implicit-def: $vgpr5
	s_and_saveexec_b64 s[10:11], vcc
	s_xor_b64 s[10:11], exec, s[10:11]
	s_cbranch_execz .LBB387_1808
; %bb.1803:
	s_mov_b32 s12, 0x387fffff
	v_cmp_lt_u32_e32 vcc, s12, v4
                                        ; implicit-def: $vgpr5
	s_and_saveexec_b64 s[12:13], vcc
	s_xor_b64 s[12:13], exec, s[12:13]
; %bb.1804:
	v_bfe_u32 v5, v4, 21, 1
	s_mov_b32 s14, 0x80fffff
	v_add3_u32 v4, v4, v5, s14
	v_lshrrev_b32_e32 v5, 21, v4
                                        ; implicit-def: $vgpr4
; %bb.1805:
	s_andn2_saveexec_b64 s[12:13], s[12:13]
; %bb.1806:
	v_add_f32_e32 v5, 0x43000000, v4
; %bb.1807:
	s_or_b64 exec, exec, s[12:13]
                                        ; implicit-def: $vgpr4
.LBB387_1808:
	s_andn2_saveexec_b64 s[10:11], s[10:11]
; %bb.1809:
	s_mov_b32 s12, 0x7f800000
	v_mov_b32_e32 v5, 0x7c
	v_mov_b32_e32 v6, 0x7f
	v_cmp_lt_u32_e32 vcc, s12, v4
	v_cndmask_b32_e32 v5, v5, v6, vcc
; %bb.1810:
	s_or_b64 exec, exec, s[10:11]
	global_store_byte v[1:2], v5, off
.LBB387_1811:
	s_mov_b64 s[10:11], 0
	s_mov_b64 s[12:13], -1
.LBB387_1812:
	s_andn2_b64 vcc, exec, s[10:11]
	s_mov_b64 s[10:11], 0
	s_cbranch_vccnz .LBB387_1819
; %bb.1813:
	s_cmp_gt_i32 s23, 14
	s_mov_b64 s[14:15], -1
	s_cbranch_scc0 .LBB387_1817
; %bb.1814:
	s_cmp_eq_u32 s23, 15
	s_mov_b64 s[0:1], -1
	s_cbranch_scc0 .LBB387_1816
; %bb.1815:
	v_cndmask_b32_e64 v4, 0, 1.0, s[2:3]
	v_bfe_u32 v5, v4, 16, 1
	s_movk_i32 s0, 0x7fff
	v_add3_u32 v4, v4, v5, s0
	global_store_short_d16_hi v[1:2], v4, off
	s_mov_b64 s[0:1], 0
	s_mov_b64 s[12:13], -1
.LBB387_1816:
	s_mov_b64 s[14:15], 0
.LBB387_1817:
	s_and_b64 vcc, exec, s[14:15]
	s_cbranch_vccz .LBB387_1819
; %bb.1818:
	s_cmp_lg_u32 s23, 11
	s_mov_b64 s[10:11], -1
	s_cselect_b64 s[0:1], -1, 0
.LBB387_1819:
	s_and_b64 vcc, exec, s[0:1]
	s_cbranch_vccnz .LBB387_1999
; %bb.1820:
	s_andn2_b64 vcc, exec, s[10:11]
	s_cbranch_vccnz .LBB387_1822
.LBB387_1821:
	v_cndmask_b32_e64 v4, 0, 1, s[2:3]
	s_mov_b64 s[12:13], -1
	global_store_byte v[1:2], v4, off
.LBB387_1822:
	s_mov_b64 s[0:1], 0
	s_branch .LBB387_1824
.LBB387_1823:
	s_mov_b64 s[0:1], -1
	s_mov_b64 s[12:13], 0
.LBB387_1824:
	s_and_b64 vcc, exec, s[0:1]
	s_cbranch_vccz .LBB387_1863
; %bb.1825:
	s_and_b32 s10, 0xffff, s24
	s_cmp_lt_i32 s10, 5
	s_mov_b64 s[0:1], -1
	s_cbranch_scc1 .LBB387_1846
; %bb.1826:
	s_cmp_lt_i32 s10, 8
	s_cbranch_scc1 .LBB387_1836
; %bb.1827:
	s_cmp_lt_i32 s10, 9
	s_cbranch_scc1 .LBB387_1833
; %bb.1828:
	s_cmp_gt_i32 s10, 9
	s_cbranch_scc0 .LBB387_1830
; %bb.1829:
	v_cndmask_b32_e64 v4, 0, 1, s[2:3]
	v_cvt_f64_u32_e32 v[4:5], v4
	v_mov_b32_e32 v6, 0
	v_mov_b32_e32 v7, v6
	s_mov_b64 s[0:1], 0
	global_store_dwordx4 v[1:2], v[4:7], off
.LBB387_1830:
	s_andn2_b64 vcc, exec, s[0:1]
	s_cbranch_vccnz .LBB387_1832
; %bb.1831:
	v_cndmask_b32_e64 v4, 0, 1.0, s[2:3]
	v_mov_b32_e32 v5, 0
	global_store_dwordx2 v[1:2], v[4:5], off
.LBB387_1832:
	s_mov_b64 s[0:1], 0
.LBB387_1833:
	s_andn2_b64 vcc, exec, s[0:1]
	s_cbranch_vccnz .LBB387_1835
; %bb.1834:
	v_cndmask_b32_e64 v4, 0, 1.0, s[2:3]
	v_cvt_f16_f32_e32 v4, v4
	global_store_dword v[1:2], v4, off
.LBB387_1835:
	s_mov_b64 s[0:1], 0
.LBB387_1836:
	s_andn2_b64 vcc, exec, s[0:1]
	s_cbranch_vccnz .LBB387_1845
; %bb.1837:
	s_cmp_lt_i32 s10, 6
	s_mov_b64 s[0:1], -1
	s_cbranch_scc1 .LBB387_1843
; %bb.1838:
	s_cmp_gt_i32 s10, 6
	s_cbranch_scc0 .LBB387_1840
; %bb.1839:
	v_cndmask_b32_e64 v4, 0, 1, s[2:3]
	v_cvt_f64_u32_e32 v[4:5], v4
	s_mov_b64 s[0:1], 0
	global_store_dwordx2 v[1:2], v[4:5], off
.LBB387_1840:
	s_andn2_b64 vcc, exec, s[0:1]
	s_cbranch_vccnz .LBB387_1842
; %bb.1841:
	v_cndmask_b32_e64 v4, 0, 1.0, s[2:3]
	global_store_dword v[1:2], v4, off
.LBB387_1842:
	s_mov_b64 s[0:1], 0
.LBB387_1843:
	s_andn2_b64 vcc, exec, s[0:1]
	s_cbranch_vccnz .LBB387_1845
; %bb.1844:
	v_cndmask_b32_e64 v4, 0, 1.0, s[2:3]
	v_cvt_f16_f32_e32 v4, v4
	global_store_short v[1:2], v4, off
.LBB387_1845:
	s_mov_b64 s[0:1], 0
.LBB387_1846:
	s_andn2_b64 vcc, exec, s[0:1]
	s_cbranch_vccnz .LBB387_1862
; %bb.1847:
	s_cmp_lt_i32 s10, 2
	s_mov_b64 s[0:1], -1
	s_cbranch_scc1 .LBB387_1857
; %bb.1848:
	s_cmp_lt_i32 s10, 3
	s_cbranch_scc1 .LBB387_1854
; %bb.1849:
	s_cmp_gt_i32 s10, 3
	s_cbranch_scc0 .LBB387_1851
; %bb.1850:
	s_mov_b32 s0, 0
	v_cndmask_b32_e64 v4, 0, 1, s[2:3]
	v_mov_b32_e32 v5, s0
	global_store_dwordx2 v[1:2], v[4:5], off
	s_mov_b64 s[0:1], 0
.LBB387_1851:
	s_andn2_b64 vcc, exec, s[0:1]
	s_cbranch_vccnz .LBB387_1853
; %bb.1852:
	v_cndmask_b32_e64 v4, 0, 1, s[2:3]
	global_store_dword v[1:2], v4, off
.LBB387_1853:
	s_mov_b64 s[0:1], 0
.LBB387_1854:
	s_andn2_b64 vcc, exec, s[0:1]
	s_cbranch_vccnz .LBB387_1856
; %bb.1855:
	v_cndmask_b32_e64 v4, 0, 1, s[2:3]
	global_store_short v[1:2], v4, off
.LBB387_1856:
	s_mov_b64 s[0:1], 0
.LBB387_1857:
	s_andn2_b64 vcc, exec, s[0:1]
	s_cbranch_vccnz .LBB387_1862
; %bb.1858:
	s_mov_b64 s[0:1], -1
	s_cmp_gt_i32 s10, 0
	v_cndmask_b32_e64 v4, 0, 1, s[2:3]
	s_cbranch_scc0 .LBB387_1860
; %bb.1859:
	global_store_byte v[1:2], v4, off
	s_mov_b64 s[0:1], 0
.LBB387_1860:
	s_andn2_b64 vcc, exec, s[0:1]
	s_cbranch_vccnz .LBB387_1862
; %bb.1861:
	global_store_byte v[1:2], v4, off
.LBB387_1862:
	s_mov_b64 s[12:13], -1
.LBB387_1863:
	s_andn2_b64 vcc, exec, s[12:13]
	s_cbranch_vccnz .LBB387_1940
; %bb.1864:
	v_cmp_ne_u16_sdwa s[0:1], s25, v0 src0_sel:DWORD src1_sel:BYTE_0
	v_add_u32_e32 v0, s22, v3
	s_xor_b64 s[20:21], s[4:5], s[0:1]
	v_ashrrev_i32_e32 v1, 31, v0
	v_mov_b32_e32 v2, s9
	v_add_co_u32_e32 v0, vcc, s8, v0
	s_cmp_lt_i32 s24, 11
	v_addc_co_u32_e32 v1, vcc, v2, v1, vcc
	s_cbranch_scc1 .LBB387_1985
; %bb.1865:
	s_and_b32 s12, 0xffff, s24
	s_mov_b64 s[4:5], -1
	s_mov_b64 s[2:3], 0
	s_cmp_gt_i32 s12, 25
	s_mov_b64 s[0:1], 0
	s_cbranch_scc0 .LBB387_1898
; %bb.1866:
	s_cmp_gt_i32 s12, 28
	s_cbranch_scc0 .LBB387_1882
; %bb.1867:
	s_cmp_gt_i32 s12, 43
	;; [unrolled: 3-line block ×3, first 2 shown]
	s_cbranch_scc0 .LBB387_1872
; %bb.1869:
	s_cmp_eq_u32 s12, 46
	s_mov_b64 s[0:1], -1
	s_cbranch_scc0 .LBB387_1871
; %bb.1870:
	v_cndmask_b32_e64 v2, 0, 1.0, s[20:21]
	v_bfe_u32 v3, v2, 16, 1
	s_movk_i32 s0, 0x7fff
	v_add3_u32 v2, v2, v3, s0
	v_lshrrev_b32_e32 v2, 16, v2
	global_store_dword v[0:1], v2, off
	s_mov_b64 s[0:1], 0
.LBB387_1871:
	s_mov_b64 s[4:5], 0
.LBB387_1872:
	s_and_b64 vcc, exec, s[4:5]
	s_cbranch_vccz .LBB387_1877
; %bb.1873:
	s_cmp_eq_u32 s12, 44
	s_mov_b64 s[0:1], -1
	s_cbranch_scc0 .LBB387_1877
; %bb.1874:
	v_cndmask_b32_e64 v3, 0, 1.0, s[20:21]
	v_lshrrev_b32_e32 v2, 23, v3
	s_movk_i32 s0, 0xff
	v_cmp_ne_u32_e32 vcc, s0, v2
	v_mov_b32_e32 v4, 0xff
	s_and_saveexec_b64 s[4:5], vcc
; %bb.1875:
	s_mov_b32 s0, 0x3fffff
	v_and_b32_e32 v4, 0x400000, v3
	v_and_or_b32 v3, v3, s0, v2
	v_cmp_ne_u32_e32 vcc, 0, v4
	v_cmp_ne_u32_e64 s[0:1], 0, v3
	s_and_b64 s[0:1], vcc, s[0:1]
	v_cndmask_b32_e64 v3, 0, 1, s[0:1]
	v_add_u32_e32 v4, v2, v3
; %bb.1876:
	s_or_b64 exec, exec, s[4:5]
	s_mov_b64 s[0:1], 0
	global_store_byte v[0:1], v4, off
.LBB387_1877:
	s_mov_b64 s[4:5], 0
.LBB387_1878:
	s_and_b64 vcc, exec, s[4:5]
	s_cbranch_vccz .LBB387_1881
; %bb.1879:
	s_cmp_eq_u32 s12, 29
	s_mov_b64 s[0:1], -1
	s_cbranch_scc0 .LBB387_1881
; %bb.1880:
	s_mov_b32 s0, 0
	v_cndmask_b32_e64 v2, 0, 1, s[20:21]
	v_mov_b32_e32 v3, s0
	global_store_dwordx2 v[0:1], v[2:3], off
	s_mov_b64 s[0:1], 0
.LBB387_1881:
	s_mov_b64 s[4:5], 0
.LBB387_1882:
	s_and_b64 vcc, exec, s[4:5]
	s_cbranch_vccz .LBB387_1897
; %bb.1883:
	s_cmp_lt_i32 s12, 27
	s_mov_b64 s[4:5], -1
	s_cbranch_scc1 .LBB387_1889
; %bb.1884:
	s_cmp_gt_i32 s12, 27
	v_cndmask_b32_e64 v2, 0, 1, s[20:21]
	s_cbranch_scc0 .LBB387_1886
; %bb.1885:
	global_store_dword v[0:1], v2, off
	s_mov_b64 s[4:5], 0
.LBB387_1886:
	s_andn2_b64 vcc, exec, s[4:5]
	s_cbranch_vccnz .LBB387_1888
; %bb.1887:
	global_store_short v[0:1], v2, off
.LBB387_1888:
	s_mov_b64 s[4:5], 0
.LBB387_1889:
	s_andn2_b64 vcc, exec, s[4:5]
	s_cbranch_vccnz .LBB387_1897
; %bb.1890:
	v_cndmask_b32_e64 v3, 0, 1.0, s[20:21]
	s_mov_b32 s4, 0x43800000
	v_cmp_gt_u32_e32 vcc, s4, v3
	v_mov_b32_e32 v4, 0x80
	s_and_saveexec_b64 s[4:5], vcc
	s_cbranch_execz .LBB387_1896
; %bb.1891:
	s_mov_b32 s8, 0x3bffffff
	v_cmp_lt_u32_e32 vcc, s8, v3
	s_mov_b64 s[8:9], 0
                                        ; implicit-def: $vgpr2
	s_and_saveexec_b64 s[10:11], vcc
	s_xor_b64 s[10:11], exec, s[10:11]
	s_cbranch_execz .LBB387_2002
; %bb.1892:
	v_bfe_u32 v2, v3, 20, 1
	s_mov_b32 s13, 0x487ffff
	v_add3_u32 v2, v3, v2, s13
	s_mov_b64 s[8:9], exec
	v_lshrrev_b32_e32 v2, 20, v2
                                        ; implicit-def: $vgpr3
	s_andn2_saveexec_b64 s[10:11], s[10:11]
	s_cbranch_execnz .LBB387_2003
.LBB387_1893:
	s_or_b64 exec, exec, s[10:11]
	v_mov_b32_e32 v4, 0
	s_and_saveexec_b64 s[10:11], s[8:9]
.LBB387_1894:
	v_mov_b32_e32 v4, v2
.LBB387_1895:
	s_or_b64 exec, exec, s[10:11]
.LBB387_1896:
	s_or_b64 exec, exec, s[4:5]
	global_store_byte v[0:1], v4, off
.LBB387_1897:
	s_mov_b64 s[4:5], 0
.LBB387_1898:
	s_and_b64 vcc, exec, s[4:5]
	s_cbranch_vccz .LBB387_1938
; %bb.1899:
	s_cmp_gt_i32 s12, 22
	s_mov_b64 s[2:3], -1
	s_cbranch_scc0 .LBB387_1931
; %bb.1900:
	s_cmp_lt_i32 s12, 24
	s_cbranch_scc1 .LBB387_1920
; %bb.1901:
	s_cmp_gt_i32 s12, 24
	s_cbranch_scc0 .LBB387_1909
; %bb.1902:
	v_cndmask_b32_e64 v3, 0, 1.0, s[20:21]
	s_mov_b32 s2, 0x47800000
	v_cmp_gt_u32_e32 vcc, s2, v3
	v_mov_b32_e32 v4, 0x80
	s_and_saveexec_b64 s[2:3], vcc
	s_cbranch_execz .LBB387_1908
; %bb.1903:
	s_mov_b32 s4, 0x37ffffff
	v_cmp_lt_u32_e32 vcc, s4, v3
	s_mov_b64 s[4:5], 0
                                        ; implicit-def: $vgpr2
	s_and_saveexec_b64 s[8:9], vcc
	s_xor_b64 s[8:9], exec, s[8:9]
	s_cbranch_execz .LBB387_2005
; %bb.1904:
	v_bfe_u32 v2, v3, 21, 1
	s_mov_b32 s10, 0x88fffff
	v_add3_u32 v2, v3, v2, s10
	s_mov_b64 s[4:5], exec
	v_lshrrev_b32_e32 v2, 21, v2
                                        ; implicit-def: $vgpr3
	s_andn2_saveexec_b64 s[8:9], s[8:9]
	s_cbranch_execnz .LBB387_2006
.LBB387_1905:
	s_or_b64 exec, exec, s[8:9]
	v_mov_b32_e32 v4, 0
	s_and_saveexec_b64 s[8:9], s[4:5]
.LBB387_1906:
	v_mov_b32_e32 v4, v2
.LBB387_1907:
	s_or_b64 exec, exec, s[8:9]
.LBB387_1908:
	s_or_b64 exec, exec, s[2:3]
	s_mov_b64 s[2:3], 0
	global_store_byte v[0:1], v4, off
.LBB387_1909:
	s_and_b64 vcc, exec, s[2:3]
	s_cbranch_vccz .LBB387_1919
; %bb.1910:
	v_cndmask_b32_e64 v2, 0, 1.0, s[20:21]
	s_mov_b32 s2, 0x43f00000
	v_cmp_gt_u32_e32 vcc, s2, v2
                                        ; implicit-def: $vgpr3
	s_and_saveexec_b64 s[2:3], vcc
	s_xor_b64 s[2:3], exec, s[2:3]
	s_cbranch_execz .LBB387_1916
; %bb.1911:
	s_mov_b32 s4, 0x3c7fffff
	v_cmp_lt_u32_e32 vcc, s4, v2
                                        ; implicit-def: $vgpr3
	s_and_saveexec_b64 s[4:5], vcc
	s_xor_b64 s[4:5], exec, s[4:5]
; %bb.1912:
	v_bfe_u32 v3, v2, 20, 1
	s_mov_b32 s8, 0x407ffff
	v_add3_u32 v2, v2, v3, s8
	v_lshrrev_b32_e32 v3, 20, v2
	v_and_b32_e32 v2, 0xff00000, v2
	s_mov_b32 s8, 0x7f00000
	v_mov_b32_e32 v4, 0x7e
	v_cmp_ne_u32_e32 vcc, s8, v2
	v_cndmask_b32_e32 v3, v4, v3, vcc
                                        ; implicit-def: $vgpr2
; %bb.1913:
	s_andn2_saveexec_b64 s[4:5], s[4:5]
; %bb.1914:
	v_add_f32_e32 v3, 0x46800000, v2
; %bb.1915:
	s_or_b64 exec, exec, s[4:5]
                                        ; implicit-def: $vgpr2
.LBB387_1916:
	s_andn2_saveexec_b64 s[2:3], s[2:3]
; %bb.1917:
	s_mov_b32 s4, 0x7f800000
	v_mov_b32_e32 v3, 0x7e
	v_mov_b32_e32 v4, 0x7f
	v_cmp_lt_u32_e32 vcc, s4, v2
	v_cndmask_b32_e32 v3, v3, v4, vcc
; %bb.1918:
	s_or_b64 exec, exec, s[2:3]
	global_store_byte v[0:1], v3, off
.LBB387_1919:
	s_mov_b64 s[2:3], 0
.LBB387_1920:
	s_andn2_b64 vcc, exec, s[2:3]
	s_cbranch_vccnz .LBB387_1930
; %bb.1921:
	v_cndmask_b32_e64 v2, 0, 1.0, s[20:21]
	s_mov_b32 s2, 0x47800000
	v_cmp_gt_u32_e32 vcc, s2, v2
                                        ; implicit-def: $vgpr3
	s_and_saveexec_b64 s[2:3], vcc
	s_xor_b64 s[2:3], exec, s[2:3]
	s_cbranch_execz .LBB387_1927
; %bb.1922:
	s_mov_b32 s4, 0x387fffff
	v_cmp_lt_u32_e32 vcc, s4, v2
                                        ; implicit-def: $vgpr3
	s_and_saveexec_b64 s[4:5], vcc
	s_xor_b64 s[4:5], exec, s[4:5]
; %bb.1923:
	v_bfe_u32 v3, v2, 21, 1
	s_mov_b32 s8, 0x80fffff
	v_add3_u32 v2, v2, v3, s8
	v_lshrrev_b32_e32 v3, 21, v2
                                        ; implicit-def: $vgpr2
; %bb.1924:
	s_andn2_saveexec_b64 s[4:5], s[4:5]
; %bb.1925:
	v_add_f32_e32 v3, 0x43000000, v2
; %bb.1926:
	s_or_b64 exec, exec, s[4:5]
                                        ; implicit-def: $vgpr2
.LBB387_1927:
	s_andn2_saveexec_b64 s[2:3], s[2:3]
; %bb.1928:
	s_mov_b32 s4, 0x7f800000
	v_mov_b32_e32 v3, 0x7c
	v_mov_b32_e32 v4, 0x7f
	v_cmp_lt_u32_e32 vcc, s4, v2
	v_cndmask_b32_e32 v3, v3, v4, vcc
; %bb.1929:
	s_or_b64 exec, exec, s[2:3]
	global_store_byte v[0:1], v3, off
.LBB387_1930:
	s_mov_b64 s[2:3], 0
.LBB387_1931:
	s_andn2_b64 vcc, exec, s[2:3]
	s_mov_b64 s[2:3], 0
	s_cbranch_vccnz .LBB387_1938
; %bb.1932:
	s_cmp_gt_i32 s12, 14
	s_mov_b64 s[4:5], -1
	s_cbranch_scc0 .LBB387_1936
; %bb.1933:
	s_cmp_eq_u32 s12, 15
	s_mov_b64 s[0:1], -1
	s_cbranch_scc0 .LBB387_1935
; %bb.1934:
	v_cndmask_b32_e64 v2, 0, 1.0, s[20:21]
	v_bfe_u32 v3, v2, 16, 1
	s_movk_i32 s0, 0x7fff
	v_add3_u32 v2, v2, v3, s0
	global_store_short_d16_hi v[0:1], v2, off
	s_mov_b64 s[0:1], 0
.LBB387_1935:
	s_mov_b64 s[4:5], 0
.LBB387_1936:
	s_and_b64 vcc, exec, s[4:5]
	s_cbranch_vccz .LBB387_1938
; %bb.1937:
	s_cmp_lg_u32 s12, 11
	s_mov_b64 s[2:3], -1
	s_cselect_b64 s[0:1], -1, 0
.LBB387_1938:
	s_and_b64 vcc, exec, s[0:1]
	s_cbranch_vccnz .LBB387_2004
.LBB387_1939:
	s_mov_b64 s[0:1], 0
	s_branch .LBB387_1941
.LBB387_1940:
	s_mov_b64 s[0:1], 0
	s_mov_b64 s[2:3], 0
                                        ; implicit-def: $sgpr20_sgpr21
                                        ; implicit-def: $sgpr24
                                        ; implicit-def: $vgpr0_vgpr1
.LBB387_1941:
	s_and_b64 s[4:5], s[2:3], exec
	s_andn2_b64 s[2:3], s[16:17], exec
	s_and_b64 s[8:9], s[18:19], exec
	s_and_b64 s[0:1], s[0:1], exec
	s_or_b64 s[16:17], s[2:3], s[8:9]
.LBB387_1942:
	s_or_b64 exec, exec, s[6:7]
	s_and_saveexec_b64 s[2:3], s[16:17]
	s_cbranch_execz .LBB387_1945
; %bb.1943:
	; divergent unreachable
	s_or_b64 exec, exec, s[2:3]
	s_and_saveexec_b64 s[2:3], s[4:5]
	s_xor_b64 s[2:3], exec, s[2:3]
	s_cbranch_execnz .LBB387_1946
.LBB387_1944:
	s_or_b64 exec, exec, s[2:3]
	s_and_saveexec_b64 s[2:3], s[0:1]
	s_cbranch_execnz .LBB387_1947
	s_branch .LBB387_1984
.LBB387_1945:
	s_or_b64 exec, exec, s[2:3]
	s_and_saveexec_b64 s[2:3], s[4:5]
	s_xor_b64 s[2:3], exec, s[2:3]
	s_cbranch_execz .LBB387_1944
.LBB387_1946:
	s_waitcnt vmcnt(0)
	v_cndmask_b32_e64 v2, 0, 1, s[20:21]
	global_store_byte v[0:1], v2, off
	s_or_b64 exec, exec, s[2:3]
	s_and_saveexec_b64 s[2:3], s[0:1]
	s_cbranch_execz .LBB387_1984
.LBB387_1947:
	s_sext_i32_i16 s2, s24
	s_cmp_lt_i32 s2, 5
	s_mov_b64 s[0:1], -1
	s_cbranch_scc1 .LBB387_1968
; %bb.1948:
	s_cmp_lt_i32 s2, 8
	s_cbranch_scc1 .LBB387_1958
; %bb.1949:
	s_cmp_lt_i32 s2, 9
	s_cbranch_scc1 .LBB387_1955
; %bb.1950:
	s_cmp_gt_i32 s2, 9
	s_cbranch_scc0 .LBB387_1952
; %bb.1951:
	s_waitcnt vmcnt(0)
	v_cndmask_b32_e64 v2, 0, 1, s[20:21]
	v_cvt_f64_u32_e32 v[2:3], v2
	v_mov_b32_e32 v4, 0
	v_mov_b32_e32 v5, v4
	s_mov_b64 s[0:1], 0
	global_store_dwordx4 v[0:1], v[2:5], off
.LBB387_1952:
	s_andn2_b64 vcc, exec, s[0:1]
	s_cbranch_vccnz .LBB387_1954
; %bb.1953:
	s_waitcnt vmcnt(0)
	v_cndmask_b32_e64 v2, 0, 1.0, s[20:21]
	v_mov_b32_e32 v3, 0
	global_store_dwordx2 v[0:1], v[2:3], off
.LBB387_1954:
	s_mov_b64 s[0:1], 0
.LBB387_1955:
	s_andn2_b64 vcc, exec, s[0:1]
	s_cbranch_vccnz .LBB387_1957
; %bb.1956:
	s_waitcnt vmcnt(0)
	v_cndmask_b32_e64 v2, 0, 1.0, s[20:21]
	v_cvt_f16_f32_e32 v2, v2
	global_store_dword v[0:1], v2, off
.LBB387_1957:
	s_mov_b64 s[0:1], 0
.LBB387_1958:
	s_andn2_b64 vcc, exec, s[0:1]
	s_cbranch_vccnz .LBB387_1967
; %bb.1959:
	s_sext_i32_i16 s2, s24
	s_cmp_lt_i32 s2, 6
	s_mov_b64 s[0:1], -1
	s_cbranch_scc1 .LBB387_1965
; %bb.1960:
	s_cmp_gt_i32 s2, 6
	s_cbranch_scc0 .LBB387_1962
; %bb.1961:
	s_waitcnt vmcnt(0)
	v_cndmask_b32_e64 v2, 0, 1, s[20:21]
	v_cvt_f64_u32_e32 v[2:3], v2
	s_mov_b64 s[0:1], 0
	global_store_dwordx2 v[0:1], v[2:3], off
.LBB387_1962:
	s_andn2_b64 vcc, exec, s[0:1]
	s_cbranch_vccnz .LBB387_1964
; %bb.1963:
	s_waitcnt vmcnt(0)
	v_cndmask_b32_e64 v2, 0, 1.0, s[20:21]
	global_store_dword v[0:1], v2, off
.LBB387_1964:
	s_mov_b64 s[0:1], 0
.LBB387_1965:
	s_andn2_b64 vcc, exec, s[0:1]
	s_cbranch_vccnz .LBB387_1967
; %bb.1966:
	s_waitcnt vmcnt(0)
	v_cndmask_b32_e64 v2, 0, 1.0, s[20:21]
	v_cvt_f16_f32_e32 v2, v2
	global_store_short v[0:1], v2, off
.LBB387_1967:
	s_mov_b64 s[0:1], 0
.LBB387_1968:
	s_andn2_b64 vcc, exec, s[0:1]
	s_cbranch_vccnz .LBB387_1984
; %bb.1969:
	s_sext_i32_i16 s2, s24
	s_cmp_lt_i32 s2, 2
	s_mov_b64 s[0:1], -1
	s_cbranch_scc1 .LBB387_1979
; %bb.1970:
	s_cmp_lt_i32 s2, 3
	s_cbranch_scc1 .LBB387_1976
; %bb.1971:
	s_cmp_gt_i32 s2, 3
	s_cbranch_scc0 .LBB387_1973
; %bb.1972:
	s_mov_b32 s0, 0
	s_waitcnt vmcnt(0)
	v_cndmask_b32_e64 v2, 0, 1, s[20:21]
	v_mov_b32_e32 v3, s0
	global_store_dwordx2 v[0:1], v[2:3], off
	s_mov_b64 s[0:1], 0
.LBB387_1973:
	s_andn2_b64 vcc, exec, s[0:1]
	s_cbranch_vccnz .LBB387_1975
; %bb.1974:
	s_waitcnt vmcnt(0)
	v_cndmask_b32_e64 v2, 0, 1, s[20:21]
	global_store_dword v[0:1], v2, off
.LBB387_1975:
	s_mov_b64 s[0:1], 0
.LBB387_1976:
	s_andn2_b64 vcc, exec, s[0:1]
	s_cbranch_vccnz .LBB387_1978
; %bb.1977:
	s_waitcnt vmcnt(0)
	v_cndmask_b32_e64 v2, 0, 1, s[20:21]
	global_store_short v[0:1], v2, off
.LBB387_1978:
	s_mov_b64 s[0:1], 0
.LBB387_1979:
	s_andn2_b64 vcc, exec, s[0:1]
	s_cbranch_vccnz .LBB387_1984
; %bb.1980:
	s_sext_i32_i16 s2, s24
	s_mov_b64 s[0:1], -1
	s_cmp_gt_i32 s2, 0
	s_waitcnt vmcnt(0)
	v_cndmask_b32_e64 v2, 0, 1, s[20:21]
	s_cbranch_scc0 .LBB387_1982
; %bb.1981:
	global_store_byte v[0:1], v2, off
	s_mov_b64 s[0:1], 0
.LBB387_1982:
	s_andn2_b64 vcc, exec, s[0:1]
	s_cbranch_vccnz .LBB387_1984
; %bb.1983:
	global_store_byte v[0:1], v2, off
	s_endpgm
.LBB387_1984:
	s_endpgm
.LBB387_1985:
	s_mov_b64 s[2:3], 0
	s_mov_b64 s[0:1], -1
	s_branch .LBB387_1941
.LBB387_1986:
	s_trap 2
	s_or_b64 s[18:19], s[18:19], exec
	s_cbranch_execz .LBB387_1455
	s_branch .LBB387_1456
.LBB387_1987:
	s_andn2_saveexec_b64 s[22:23], s[22:23]
	s_cbranch_execz .LBB387_1535
.LBB387_1988:
	v_add_f32_e32 v3, 0x46000000, v7
	v_and_b32_e32 v3, 0xff, v3
	v_cmp_ne_u32_e32 vcc, 0, v3
	s_andn2_b64 s[20:21], s[20:21], exec
	s_and_b64 s[26:27], vcc, exec
	s_or_b64 s[20:21], s[20:21], s[26:27]
	s_or_b64 exec, exec, s[22:23]
	v_mov_b32_e32 v8, 0
	s_and_saveexec_b64 s[22:23], s[20:21]
	s_cbranch_execnz .LBB387_1536
	s_branch .LBB387_1537
.LBB387_1989:
	s_trap 2
	s_or_b64 s[18:19], s[18:19], exec
	s_cbranch_execz .LBB387_1583
	s_branch .LBB387_1584
.LBB387_1990:
	s_andn2_saveexec_b64 s[20:21], s[20:21]
	s_cbranch_execz .LBB387_1548
.LBB387_1991:
	v_add_f32_e32 v3, 0x42800000, v7
	v_and_b32_e32 v3, 0xff, v3
	v_cmp_ne_u32_e32 vcc, 0, v3
	s_andn2_b64 s[14:15], s[14:15], exec
	s_and_b64 s[22:23], vcc, exec
	s_or_b64 s[14:15], s[14:15], s[22:23]
	s_or_b64 exec, exec, s[20:21]
	v_mov_b32_e32 v8, 0
	s_and_saveexec_b64 s[20:21], s[14:15]
	s_cbranch_execnz .LBB387_1549
	s_branch .LBB387_1550
.LBB387_1992:
	s_andn2_saveexec_b64 s[20:21], s[20:21]
	s_cbranch_execz .LBB387_1654
.LBB387_1993:
	v_add_f32_e32 v5, 0x46000000, v6
	v_and_b32_e32 v5, 0xff, v5
	v_cmp_ne_u32_e32 vcc, 0, v5
	s_andn2_b64 s[14:15], s[14:15], exec
	s_and_b64 s[26:27], vcc, exec
	s_or_b64 s[14:15], s[14:15], s[26:27]
	s_or_b64 exec, exec, s[20:21]
	v_mov_b32_e32 v7, 0
	s_and_saveexec_b64 s[20:21], s[14:15]
	s_cbranch_execnz .LBB387_1655
	s_branch .LBB387_1656
.LBB387_1994:
	s_trap 2
	s_or_b64 s[18:19], s[18:19], exec
	s_cbranch_execz .LBB387_1702
	s_branch .LBB387_1703
.LBB387_1995:
	s_andn2_saveexec_b64 s[14:15], s[14:15]
	s_cbranch_execz .LBB387_1667
.LBB387_1996:
	v_add_f32_e32 v5, 0x42800000, v6
	v_and_b32_e32 v5, 0xff, v5
	v_cmp_ne_u32_e32 vcc, 0, v5
	s_andn2_b64 s[12:13], s[12:13], exec
	s_and_b64 s[20:21], vcc, exec
	s_or_b64 s[12:13], s[12:13], s[20:21]
	s_or_b64 exec, exec, s[14:15]
	v_mov_b32_e32 v7, 0
	s_and_saveexec_b64 s[14:15], s[12:13]
	s_cbranch_execnz .LBB387_1668
	s_branch .LBB387_1669
.LBB387_1997:
	s_andn2_saveexec_b64 s[20:21], s[20:21]
	s_cbranch_execz .LBB387_1773
.LBB387_1998:
	v_add_f32_e32 v4, 0x46000000, v5
	v_and_b32_e32 v4, 0xff, v4
	v_cmp_ne_u32_e32 vcc, 0, v4
	s_andn2_b64 s[14:15], s[14:15], exec
	s_and_b64 s[26:27], vcc, exec
	s_or_b64 s[14:15], s[14:15], s[26:27]
	s_or_b64 exec, exec, s[20:21]
	v_mov_b32_e32 v6, 0
	s_and_saveexec_b64 s[20:21], s[14:15]
	s_cbranch_execnz .LBB387_1774
	s_branch .LBB387_1775
.LBB387_1999:
	s_trap 2
	s_or_b64 s[18:19], s[18:19], exec
	s_cbranch_execz .LBB387_1821
	s_branch .LBB387_1822
.LBB387_2000:
	s_andn2_saveexec_b64 s[14:15], s[14:15]
	s_cbranch_execz .LBB387_1786
.LBB387_2001:
	v_add_f32_e32 v4, 0x42800000, v5
	v_and_b32_e32 v4, 0xff, v4
	v_cmp_ne_u32_e32 vcc, 0, v4
	s_andn2_b64 s[12:13], s[12:13], exec
	s_and_b64 s[20:21], vcc, exec
	s_or_b64 s[12:13], s[12:13], s[20:21]
	s_or_b64 exec, exec, s[14:15]
	v_mov_b32_e32 v6, 0
	s_and_saveexec_b64 s[14:15], s[12:13]
	s_cbranch_execnz .LBB387_1787
	s_branch .LBB387_1788
.LBB387_2002:
	s_andn2_saveexec_b64 s[10:11], s[10:11]
	s_cbranch_execz .LBB387_1893
.LBB387_2003:
	v_add_f32_e32 v2, 0x46000000, v3
	v_and_b32_e32 v2, 0xff, v2
	v_cmp_ne_u32_e32 vcc, 0, v2
	s_andn2_b64 s[8:9], s[8:9], exec
	s_and_b64 s[14:15], vcc, exec
	s_or_b64 s[8:9], s[8:9], s[14:15]
	s_or_b64 exec, exec, s[10:11]
	v_mov_b32_e32 v4, 0
	s_and_saveexec_b64 s[10:11], s[8:9]
	s_cbranch_execnz .LBB387_1894
	s_branch .LBB387_1895
.LBB387_2004:
	s_mov_b64 s[2:3], 0
	s_or_b64 s[18:19], s[18:19], exec
	s_trap 2
	s_branch .LBB387_1939
.LBB387_2005:
	s_andn2_saveexec_b64 s[8:9], s[8:9]
	s_cbranch_execz .LBB387_1905
.LBB387_2006:
	v_add_f32_e32 v2, 0x42800000, v3
	v_and_b32_e32 v2, 0xff, v2
	v_cmp_ne_u32_e32 vcc, 0, v2
	s_andn2_b64 s[4:5], s[4:5], exec
	s_and_b64 s[10:11], vcc, exec
	s_or_b64 s[4:5], s[4:5], s[10:11]
	s_or_b64 exec, exec, s[8:9]
	v_mov_b32_e32 v4, 0
	s_and_saveexec_b64 s[8:9], s[4:5]
	s_cbranch_execnz .LBB387_1906
	s_branch .LBB387_1907
	.section	.rodata,"a",@progbits
	.p2align	6, 0x0
	.amdhsa_kernel _ZN2at6native32elementwise_kernel_manual_unrollILi128ELi4EZNS0_15gpu_kernel_implINS0_13AUnaryFunctorIN3c1016Float4_e2m1fn_x2ES5_bNS0_12_GLOBAL__N_116CompareEqFunctorIS5_EEEEEEvRNS_18TensorIteratorBaseERKT_EUlibE_EEviT1_
		.amdhsa_group_segment_fixed_size 0
		.amdhsa_private_segment_fixed_size 0
		.amdhsa_kernarg_size 48
		.amdhsa_user_sgpr_count 6
		.amdhsa_user_sgpr_private_segment_buffer 1
		.amdhsa_user_sgpr_dispatch_ptr 0
		.amdhsa_user_sgpr_queue_ptr 0
		.amdhsa_user_sgpr_kernarg_segment_ptr 1
		.amdhsa_user_sgpr_dispatch_id 0
		.amdhsa_user_sgpr_flat_scratch_init 0
		.amdhsa_user_sgpr_private_segment_size 0
		.amdhsa_uses_dynamic_stack 0
		.amdhsa_system_sgpr_private_segment_wavefront_offset 0
		.amdhsa_system_sgpr_workgroup_id_x 1
		.amdhsa_system_sgpr_workgroup_id_y 0
		.amdhsa_system_sgpr_workgroup_id_z 0
		.amdhsa_system_sgpr_workgroup_info 0
		.amdhsa_system_vgpr_workitem_id 0
		.amdhsa_next_free_vgpr 12
		.amdhsa_next_free_sgpr 48
		.amdhsa_reserve_vcc 1
		.amdhsa_reserve_flat_scratch 0
		.amdhsa_float_round_mode_32 0
		.amdhsa_float_round_mode_16_64 0
		.amdhsa_float_denorm_mode_32 3
		.amdhsa_float_denorm_mode_16_64 3
		.amdhsa_dx10_clamp 1
		.amdhsa_ieee_mode 1
		.amdhsa_fp16_overflow 0
		.amdhsa_exception_fp_ieee_invalid_op 0
		.amdhsa_exception_fp_denorm_src 0
		.amdhsa_exception_fp_ieee_div_zero 0
		.amdhsa_exception_fp_ieee_overflow 0
		.amdhsa_exception_fp_ieee_underflow 0
		.amdhsa_exception_fp_ieee_inexact 0
		.amdhsa_exception_int_div_zero 0
	.end_amdhsa_kernel
	.section	.text._ZN2at6native32elementwise_kernel_manual_unrollILi128ELi4EZNS0_15gpu_kernel_implINS0_13AUnaryFunctorIN3c1016Float4_e2m1fn_x2ES5_bNS0_12_GLOBAL__N_116CompareEqFunctorIS5_EEEEEEvRNS_18TensorIteratorBaseERKT_EUlibE_EEviT1_,"axG",@progbits,_ZN2at6native32elementwise_kernel_manual_unrollILi128ELi4EZNS0_15gpu_kernel_implINS0_13AUnaryFunctorIN3c1016Float4_e2m1fn_x2ES5_bNS0_12_GLOBAL__N_116CompareEqFunctorIS5_EEEEEEvRNS_18TensorIteratorBaseERKT_EUlibE_EEviT1_,comdat
.Lfunc_end387:
	.size	_ZN2at6native32elementwise_kernel_manual_unrollILi128ELi4EZNS0_15gpu_kernel_implINS0_13AUnaryFunctorIN3c1016Float4_e2m1fn_x2ES5_bNS0_12_GLOBAL__N_116CompareEqFunctorIS5_EEEEEEvRNS_18TensorIteratorBaseERKT_EUlibE_EEviT1_, .Lfunc_end387-_ZN2at6native32elementwise_kernel_manual_unrollILi128ELi4EZNS0_15gpu_kernel_implINS0_13AUnaryFunctorIN3c1016Float4_e2m1fn_x2ES5_bNS0_12_GLOBAL__N_116CompareEqFunctorIS5_EEEEEEvRNS_18TensorIteratorBaseERKT_EUlibE_EEviT1_
                                        ; -- End function
	.set _ZN2at6native32elementwise_kernel_manual_unrollILi128ELi4EZNS0_15gpu_kernel_implINS0_13AUnaryFunctorIN3c1016Float4_e2m1fn_x2ES5_bNS0_12_GLOBAL__N_116CompareEqFunctorIS5_EEEEEEvRNS_18TensorIteratorBaseERKT_EUlibE_EEviT1_.num_vgpr, 12
	.set _ZN2at6native32elementwise_kernel_manual_unrollILi128ELi4EZNS0_15gpu_kernel_implINS0_13AUnaryFunctorIN3c1016Float4_e2m1fn_x2ES5_bNS0_12_GLOBAL__N_116CompareEqFunctorIS5_EEEEEEvRNS_18TensorIteratorBaseERKT_EUlibE_EEviT1_.num_agpr, 0
	.set _ZN2at6native32elementwise_kernel_manual_unrollILi128ELi4EZNS0_15gpu_kernel_implINS0_13AUnaryFunctorIN3c1016Float4_e2m1fn_x2ES5_bNS0_12_GLOBAL__N_116CompareEqFunctorIS5_EEEEEEvRNS_18TensorIteratorBaseERKT_EUlibE_EEviT1_.numbered_sgpr, 48
	.set _ZN2at6native32elementwise_kernel_manual_unrollILi128ELi4EZNS0_15gpu_kernel_implINS0_13AUnaryFunctorIN3c1016Float4_e2m1fn_x2ES5_bNS0_12_GLOBAL__N_116CompareEqFunctorIS5_EEEEEEvRNS_18TensorIteratorBaseERKT_EUlibE_EEviT1_.num_named_barrier, 0
	.set _ZN2at6native32elementwise_kernel_manual_unrollILi128ELi4EZNS0_15gpu_kernel_implINS0_13AUnaryFunctorIN3c1016Float4_e2m1fn_x2ES5_bNS0_12_GLOBAL__N_116CompareEqFunctorIS5_EEEEEEvRNS_18TensorIteratorBaseERKT_EUlibE_EEviT1_.private_seg_size, 0
	.set _ZN2at6native32elementwise_kernel_manual_unrollILi128ELi4EZNS0_15gpu_kernel_implINS0_13AUnaryFunctorIN3c1016Float4_e2m1fn_x2ES5_bNS0_12_GLOBAL__N_116CompareEqFunctorIS5_EEEEEEvRNS_18TensorIteratorBaseERKT_EUlibE_EEviT1_.uses_vcc, 1
	.set _ZN2at6native32elementwise_kernel_manual_unrollILi128ELi4EZNS0_15gpu_kernel_implINS0_13AUnaryFunctorIN3c1016Float4_e2m1fn_x2ES5_bNS0_12_GLOBAL__N_116CompareEqFunctorIS5_EEEEEEvRNS_18TensorIteratorBaseERKT_EUlibE_EEviT1_.uses_flat_scratch, 0
	.set _ZN2at6native32elementwise_kernel_manual_unrollILi128ELi4EZNS0_15gpu_kernel_implINS0_13AUnaryFunctorIN3c1016Float4_e2m1fn_x2ES5_bNS0_12_GLOBAL__N_116CompareEqFunctorIS5_EEEEEEvRNS_18TensorIteratorBaseERKT_EUlibE_EEviT1_.has_dyn_sized_stack, 0
	.set _ZN2at6native32elementwise_kernel_manual_unrollILi128ELi4EZNS0_15gpu_kernel_implINS0_13AUnaryFunctorIN3c1016Float4_e2m1fn_x2ES5_bNS0_12_GLOBAL__N_116CompareEqFunctorIS5_EEEEEEvRNS_18TensorIteratorBaseERKT_EUlibE_EEviT1_.has_recursion, 0
	.set _ZN2at6native32elementwise_kernel_manual_unrollILi128ELi4EZNS0_15gpu_kernel_implINS0_13AUnaryFunctorIN3c1016Float4_e2m1fn_x2ES5_bNS0_12_GLOBAL__N_116CompareEqFunctorIS5_EEEEEEvRNS_18TensorIteratorBaseERKT_EUlibE_EEviT1_.has_indirect_call, 0
	.section	.AMDGPU.csdata,"",@progbits
; Kernel info:
; codeLenInByte = 29256
; TotalNumSgprs: 52
; NumVgprs: 12
; ScratchSize: 0
; MemoryBound: 1
; FloatMode: 240
; IeeeMode: 1
; LDSByteSize: 0 bytes/workgroup (compile time only)
; SGPRBlocks: 6
; VGPRBlocks: 2
; NumSGPRsForWavesPerEU: 52
; NumVGPRsForWavesPerEU: 12
; Occupancy: 10
; WaveLimiterHint : 0
; COMPUTE_PGM_RSRC2:SCRATCH_EN: 0
; COMPUTE_PGM_RSRC2:USER_SGPR: 6
; COMPUTE_PGM_RSRC2:TRAP_HANDLER: 0
; COMPUTE_PGM_RSRC2:TGID_X_EN: 1
; COMPUTE_PGM_RSRC2:TGID_Y_EN: 0
; COMPUTE_PGM_RSRC2:TGID_Z_EN: 0
; COMPUTE_PGM_RSRC2:TIDIG_COMP_CNT: 0
	.section	.text._ZN2at6native32elementwise_kernel_manual_unrollILi128ELi4EZNS0_15gpu_kernel_implINS0_13AUnaryFunctorIN3c1016Float4_e2m1fn_x2ES5_bNS0_12_GLOBAL__N_116CompareEqFunctorIS5_EEEEEEvRNS_18TensorIteratorBaseERKT_EUlibE0_EEviT1_,"axG",@progbits,_ZN2at6native32elementwise_kernel_manual_unrollILi128ELi4EZNS0_15gpu_kernel_implINS0_13AUnaryFunctorIN3c1016Float4_e2m1fn_x2ES5_bNS0_12_GLOBAL__N_116CompareEqFunctorIS5_EEEEEEvRNS_18TensorIteratorBaseERKT_EUlibE0_EEviT1_,comdat
	.globl	_ZN2at6native32elementwise_kernel_manual_unrollILi128ELi4EZNS0_15gpu_kernel_implINS0_13AUnaryFunctorIN3c1016Float4_e2m1fn_x2ES5_bNS0_12_GLOBAL__N_116CompareEqFunctorIS5_EEEEEEvRNS_18TensorIteratorBaseERKT_EUlibE0_EEviT1_ ; -- Begin function _ZN2at6native32elementwise_kernel_manual_unrollILi128ELi4EZNS0_15gpu_kernel_implINS0_13AUnaryFunctorIN3c1016Float4_e2m1fn_x2ES5_bNS0_12_GLOBAL__N_116CompareEqFunctorIS5_EEEEEEvRNS_18TensorIteratorBaseERKT_EUlibE0_EEviT1_
	.p2align	8
	.type	_ZN2at6native32elementwise_kernel_manual_unrollILi128ELi4EZNS0_15gpu_kernel_implINS0_13AUnaryFunctorIN3c1016Float4_e2m1fn_x2ES5_bNS0_12_GLOBAL__N_116CompareEqFunctorIS5_EEEEEEvRNS_18TensorIteratorBaseERKT_EUlibE0_EEviT1_,@function
_ZN2at6native32elementwise_kernel_manual_unrollILi128ELi4EZNS0_15gpu_kernel_implINS0_13AUnaryFunctorIN3c1016Float4_e2m1fn_x2ES5_bNS0_12_GLOBAL__N_116CompareEqFunctorIS5_EEEEEEvRNS_18TensorIteratorBaseERKT_EUlibE0_EEviT1_: ; @_ZN2at6native32elementwise_kernel_manual_unrollILi128ELi4EZNS0_15gpu_kernel_implINS0_13AUnaryFunctorIN3c1016Float4_e2m1fn_x2ES5_bNS0_12_GLOBAL__N_116CompareEqFunctorIS5_EEEEEEvRNS_18TensorIteratorBaseERKT_EUlibE0_EEviT1_
; %bb.0:
	s_load_dword s74, s[4:5], 0x0
	s_load_dword s33, s[4:5], 0x8
	s_add_u32 s34, s4, 8
	s_addc_u32 s35, s5, 0
	v_lshl_or_b32 v8, s6, 9, v0
	v_or_b32_e32 v15, 0x180, v8
	s_waitcnt lgkmcnt(0)
	s_add_i32 s76, s33, -1
	s_cmp_gt_u32 s76, 1
	v_cmp_le_i32_e32 vcc, s74, v15
	s_cselect_b64 s[40:41], -1, 0
	s_mov_b64 s[6:7], 0
	s_mov_b64 s[28:29], 0
	s_and_saveexec_b64 s[0:1], vcc
	s_xor_b64 s[42:43], exec, s[0:1]
	s_cbranch_execz .LBB388_1070
; %bb.1:
	s_load_dwordx4 s[28:31], s[34:35], 0x4
	s_load_dwordx2 s[48:49], s[34:35], 0x14
	s_load_dwordx2 s[44:45], s[34:35], 0x158
	s_load_dword s77, s[34:35], 0x160
	s_cmp_lg_u32 s33, 0
	s_cselect_b64 s[54:55], -1, 0
	s_add_u32 s52, s34, 0xc4
	s_addc_u32 s53, s35, 0
	s_min_u32 s79, s76, 15
	s_load_dwordx4 s[36:39], s[34:35], 0xc4
	s_load_dwordx4 s[24:27], s[34:35], 0x148
	s_cmp_gt_u32 s33, 1
	s_cselect_b64 s[50:51], -1, 0
	s_waitcnt lgkmcnt(0)
	s_bfe_u32 s78, s77, 0x80008
	s_cmp_eq_u32 s44, 0
	s_cselect_b64 s[46:47], -1, 0
	v_cmp_gt_i32_e32 vcc, s74, v8
	s_mov_b64 s[2:3], -1
	s_mov_b64 s[64:65], 0
	s_mov_b64 s[58:59], 0
	;; [unrolled: 1-line block ×3, first 2 shown]
	s_and_saveexec_b64 s[60:61], vcc
	s_cbranch_execz .LBB388_262
; %bb.2:
	s_andn2_b64 vcc, exec, s[40:41]
	s_cbranch_vccnz .LBB388_7
; %bb.3:
	s_andn2_b64 vcc, exec, s[54:55]
	s_cbranch_vccnz .LBB388_8
; %bb.4:
	s_add_i32 s62, s79, 1
	s_cmp_eq_u32 s76, 2
	s_cbranch_scc1 .LBB388_9
; %bb.5:
	s_and_b32 s44, s62, 28
	v_mov_b32_e32 v2, 0
	s_mov_b32 s63, 0
	s_mov_b64 s[56:57], s[34:35]
	s_mov_b64 s[58:59], s[52:53]
	v_mov_b32_e32 v0, 0
	v_mov_b32_e32 v1, v8
.LBB388_6:                              ; =>This Inner Loop Header: Depth=1
	s_load_dwordx8 s[16:23], s[56:57], 0x4
	s_load_dwordx4 s[0:3], s[56:57], 0x24
	s_load_dwordx8 s[8:15], s[58:59], 0x0
	s_add_u32 s56, s56, 48
	s_addc_u32 s57, s57, 0
	s_waitcnt lgkmcnt(0)
	v_mul_hi_u32 v3, s17, v1
	s_add_i32 s63, s63, 4
	s_add_u32 s58, s58, 32
	s_addc_u32 s59, s59, 0
	v_add_u32_e32 v3, v1, v3
	v_lshrrev_b32_e32 v3, s18, v3
	v_mul_lo_u32 v4, v3, s16
	v_mul_hi_u32 v5, s20, v3
	s_cmp_lg_u32 s44, s63
	v_sub_u32_e32 v1, v1, v4
	v_add_u32_e32 v4, v3, v5
	v_mul_lo_u32 v5, v1, s8
	v_mul_lo_u32 v6, v1, s9
	v_lshrrev_b32_e32 v1, s21, v4
	v_mul_lo_u32 v4, v1, s19
	v_mul_hi_u32 v7, s23, v1
	v_sub_u32_e32 v3, v3, v4
	v_add_u32_e32 v4, v1, v7
	v_lshrrev_b32_e32 v4, s0, v4
	v_mul_hi_u32 v9, s2, v4
	v_mul_lo_u32 v10, v4, s22
	v_mul_lo_u32 v7, v3, s10
	;; [unrolled: 1-line block ×3, first 2 shown]
	v_sub_u32_e32 v10, v1, v10
	v_add_u32_e32 v1, v4, v9
	v_lshrrev_b32_e32 v1, s3, v1
	v_mul_lo_u32 v9, v1, s1
	v_mul_lo_u32 v11, v10, s12
	v_mul_lo_u32 v10, v10, s13
	v_add3_u32 v0, v5, v0, v7
	v_sub_u32_e32 v4, v4, v9
	v_mul_lo_u32 v9, v4, s14
	v_mul_lo_u32 v4, v4, s15
	v_add3_u32 v2, v6, v2, v3
	v_add3_u32 v0, v11, v0, v9
	;; [unrolled: 1-line block ×3, first 2 shown]
	s_cbranch_scc1 .LBB388_6
	s_branch .LBB388_10
.LBB388_7:
                                        ; implicit-def: $vgpr0
                                        ; implicit-def: $vgpr2
	s_branch .LBB388_14
.LBB388_8:
	v_mov_b32_e32 v0, 0
	v_mov_b32_e32 v2, 0
	s_branch .LBB388_13
.LBB388_9:
	s_mov_b32 s44, 0
	v_mov_b32_e32 v0, 0
	v_mov_b32_e32 v2, 0
	;; [unrolled: 1-line block ×3, first 2 shown]
.LBB388_10:
	s_and_b32 s8, s62, 3
	s_cmp_eq_u32 s8, 0
	s_cbranch_scc1 .LBB388_13
; %bb.11:
	s_lshl_b32 s0, s44, 3
	s_add_u32 s0, s34, s0
	s_addc_u32 s1, s35, 0
	s_add_u32 s0, s0, 0xc4
	s_addc_u32 s1, s1, 0
	s_mul_i32 s2, s44, 12
	s_add_u32 s2, s34, s2
	s_addc_u32 s3, s35, 0
.LBB388_12:                             ; =>This Inner Loop Header: Depth=1
	s_load_dwordx2 s[10:11], s[2:3], 0x4
	s_load_dword s9, s[2:3], 0xc
	s_load_dwordx2 s[12:13], s[0:1], 0x0
	s_add_u32 s2, s2, 12
	s_addc_u32 s3, s3, 0
	s_waitcnt lgkmcnt(0)
	v_mul_hi_u32 v3, s11, v1
	s_add_u32 s0, s0, 8
	s_addc_u32 s1, s1, 0
	s_add_i32 s8, s8, -1
	v_add_u32_e32 v3, v1, v3
	v_lshrrev_b32_e32 v4, s9, v3
	v_mul_lo_u32 v3, v4, s10
	s_cmp_lg_u32 s8, 0
	v_sub_u32_e32 v3, v1, v3
	v_mad_u64_u32 v[0:1], s[10:11], v3, s12, v[0:1]
	v_mad_u64_u32 v[2:3], s[10:11], v3, s13, v[2:3]
	v_mov_b32_e32 v1, v4
	s_cbranch_scc1 .LBB388_12
.LBB388_13:
	s_cbranch_execnz .LBB388_16
.LBB388_14:
	v_mul_hi_u32 v0, s29, v8
	s_andn2_b64 vcc, exec, s[50:51]
	v_add_u32_e32 v0, v8, v0
	v_lshrrev_b32_e32 v1, s30, v0
	v_mul_lo_u32 v0, v1, s28
	v_sub_u32_e32 v2, v8, v0
	v_mul_lo_u32 v0, v2, s36
	v_mul_lo_u32 v2, v2, s37
	s_cbranch_vccnz .LBB388_16
; %bb.15:
	v_mul_hi_u32 v3, s48, v1
	v_add_u32_e32 v3, v1, v3
	v_lshrrev_b32_e32 v3, s49, v3
	v_mul_lo_u32 v3, v3, s31
	v_sub_u32_e32 v3, v1, v3
	v_mad_u64_u32 v[0:1], s[0:1], v3, s38, v[0:1]
	v_mad_u64_u32 v[2:3], s[0:1], v3, s39, v[2:3]
.LBB388_16:
	v_mov_b32_e32 v3, s27
	s_and_b32 s10, 0xffff, s78
	v_add_co_u32_e32 v1, vcc, s26, v2
	s_cmp_lt_i32 s10, 11
	v_addc_co_u32_e32 v2, vcc, 0, v3, vcc
	s_cbranch_scc1 .LBB388_23
; %bb.17:
	s_cmp_gt_i32 s10, 25
	s_cbranch_scc0 .LBB388_32
; %bb.18:
	s_cmp_gt_i32 s10, 28
	s_cbranch_scc0 .LBB388_35
	;; [unrolled: 3-line block ×4, first 2 shown]
; %bb.21:
	s_cmp_eq_u32 s10, 46
	s_mov_b64 s[8:9], 0
	s_cbranch_scc0 .LBB388_41
; %bb.22:
	global_load_dword v3, v[1:2], off
	s_mov_b64 s[0:1], -1
	s_mov_b64 s[2:3], 0
	s_waitcnt vmcnt(0)
	v_lshlrev_b32_e32 v3, 16, v3
	v_cvt_i32_f32_e32 v3, v3
	s_branch .LBB388_43
.LBB388_23:
	s_mov_b64 s[2:3], 0
                                        ; implicit-def: $vgpr3
	s_mov_b64 s[0:1], 0
	s_cbranch_execnz .LBB388_212
.LBB388_24:
	s_andn2_b64 vcc, exec, s[0:1]
	s_cbranch_vccnz .LBB388_259
.LBB388_25:
	s_and_b32 s0, s45, 0xff
	s_waitcnt vmcnt(0)
	v_cmp_ne_u16_sdwa s[0:1], s0, v3 src0_sel:DWORD src1_sel:BYTE_0
	s_xor_b64 s[8:9], s[46:47], s[0:1]
	v_mov_b32_e32 v1, s25
	s_and_b32 s16, s77, 0xff
	v_add_co_u32_e32 v0, vcc, s24, v0
	s_cmp_lt_i32 s16, 11
	v_addc_co_u32_e32 v1, vcc, 0, v1, vcc
	s_cbranch_scc1 .LBB388_33
; %bb.26:
	s_and_b32 s17, 0xffff, s16
	s_cmp_gt_i32 s17, 25
	s_cbranch_scc0 .LBB388_36
; %bb.27:
	s_cmp_gt_i32 s17, 28
	s_cbranch_scc0 .LBB388_38
; %bb.28:
	;; [unrolled: 3-line block ×4, first 2 shown]
	s_mov_b64 s[12:13], 0
	s_mov_b64 s[0:1], -1
	s_cmp_eq_u32 s17, 46
	s_mov_b64 s[10:11], 0
	s_cbranch_scc0 .LBB388_47
; %bb.31:
	v_cndmask_b32_e64 v2, 0, 1.0, s[8:9]
	v_bfe_u32 v3, v2, 16, 1
	s_movk_i32 s0, 0x7fff
	v_add3_u32 v2, v2, v3, s0
	v_lshrrev_b32_e32 v2, 16, v2
	global_store_dword v[0:1], v2, off
	s_mov_b64 s[10:11], -1
	s_mov_b64 s[0:1], 0
	s_branch .LBB388_47
.LBB388_32:
	s_mov_b64 s[2:3], 0
	s_mov_b64 s[0:1], 0
                                        ; implicit-def: $vgpr3
	s_cbranch_execnz .LBB388_179
	s_branch .LBB388_211
.LBB388_33:
	s_mov_b64 s[0:1], 0
	s_mov_b64 s[10:11], 0
	s_cbranch_execnz .LBB388_116
.LBB388_34:
	s_andn2_b64 vcc, exec, s[10:11]
	s_cbranch_vccnz .LBB388_260
	s_branch .LBB388_154
.LBB388_35:
	s_mov_b64 s[8:9], -1
	s_mov_b64 s[2:3], 0
	s_mov_b64 s[0:1], 0
                                        ; implicit-def: $vgpr3
	s_branch .LBB388_162
.LBB388_36:
	s_mov_b64 s[12:13], -1
	s_mov_b64 s[0:1], 0
	s_mov_b64 s[10:11], 0
	s_branch .LBB388_74
.LBB388_37:
	s_mov_b64 s[8:9], -1
	s_mov_b64 s[2:3], 0
	s_mov_b64 s[0:1], 0
                                        ; implicit-def: $vgpr3
	s_branch .LBB388_157
.LBB388_38:
	s_mov_b64 s[12:13], -1
	s_mov_b64 s[0:1], 0
	s_mov_b64 s[10:11], 0
	s_branch .LBB388_57
.LBB388_39:
	s_mov_b64 s[8:9], -1
	s_mov_b64 s[2:3], 0
	s_branch .LBB388_42
.LBB388_40:
	s_mov_b64 s[12:13], -1
	s_mov_b64 s[0:1], 0
	s_mov_b64 s[10:11], 0
	s_branch .LBB388_53
.LBB388_41:
	s_mov_b64 s[2:3], -1
.LBB388_42:
	s_mov_b64 s[0:1], 0
                                        ; implicit-def: $vgpr3
.LBB388_43:
	s_and_b64 vcc, exec, s[8:9]
	s_cbranch_vccz .LBB388_156
; %bb.44:
	s_cmp_eq_u32 s10, 44
	s_cbranch_scc0 .LBB388_155
; %bb.45:
	global_load_ubyte v3, v[1:2], off
	s_mov_b64 s[0:1], -1
	s_mov_b64 s[2:3], 0
	s_waitcnt vmcnt(0)
	v_lshlrev_b32_e32 v4, 23, v3
	v_cvt_i32_f32_e32 v4, v4
	v_cmp_ne_u32_e32 vcc, 0, v3
	v_cndmask_b32_e32 v3, 0, v4, vcc
	s_branch .LBB388_156
.LBB388_46:
	s_mov_b64 s[12:13], -1
	s_mov_b64 s[0:1], 0
	s_mov_b64 s[10:11], 0
.LBB388_47:
	s_and_b64 vcc, exec, s[12:13]
	s_cbranch_vccz .LBB388_52
; %bb.48:
	s_cmp_eq_u32 s17, 44
	s_mov_b64 s[0:1], -1
	s_cbranch_scc0 .LBB388_52
; %bb.49:
	v_cndmask_b32_e64 v3, 0, 1.0, s[8:9]
	v_lshrrev_b32_e32 v2, 23, v3
	s_movk_i32 s0, 0xff
	v_cmp_ne_u32_e32 vcc, s0, v2
	v_mov_b32_e32 v4, 0xff
	s_and_saveexec_b64 s[10:11], vcc
; %bb.50:
	s_mov_b32 s0, 0x3fffff
	v_and_b32_e32 v4, 0x400000, v3
	v_and_or_b32 v3, v3, s0, v2
	v_cmp_ne_u32_e32 vcc, 0, v4
	v_cmp_ne_u32_e64 s[0:1], 0, v3
	s_and_b64 s[0:1], vcc, s[0:1]
	v_cndmask_b32_e64 v3, 0, 1, s[0:1]
	v_add_u32_e32 v4, v2, v3
; %bb.51:
	s_or_b64 exec, exec, s[10:11]
	s_mov_b64 s[10:11], -1
	s_mov_b64 s[0:1], 0
	global_store_byte v[0:1], v4, off
.LBB388_52:
	s_mov_b64 s[12:13], 0
.LBB388_53:
	s_and_b64 vcc, exec, s[12:13]
	s_cbranch_vccz .LBB388_56
; %bb.54:
	s_cmp_eq_u32 s17, 29
	s_mov_b64 s[0:1], -1
	s_cbranch_scc0 .LBB388_56
; %bb.55:
	s_mov_b32 s0, 0
	v_cndmask_b32_e64 v2, 0, 1, s[8:9]
	v_mov_b32_e32 v3, s0
	global_store_dwordx2 v[0:1], v[2:3], off
	s_mov_b64 s[10:11], -1
	s_mov_b64 s[0:1], 0
.LBB388_56:
	s_mov_b64 s[12:13], 0
.LBB388_57:
	s_and_b64 vcc, exec, s[12:13]
	s_cbranch_vccz .LBB388_73
; %bb.58:
	s_cmp_lt_i32 s17, 27
	s_mov_b64 s[10:11], -1
	s_cbranch_scc1 .LBB388_64
; %bb.59:
	s_cmp_gt_i32 s17, 27
	s_cbranch_scc0 .LBB388_61
; %bb.60:
	v_cndmask_b32_e64 v2, 0, 1, s[8:9]
	s_mov_b64 s[10:11], 0
	global_store_dword v[0:1], v2, off
.LBB388_61:
	s_andn2_b64 vcc, exec, s[10:11]
	s_cbranch_vccnz .LBB388_63
; %bb.62:
	v_cndmask_b32_e64 v2, 0, 1, s[8:9]
	global_store_short v[0:1], v2, off
.LBB388_63:
	s_mov_b64 s[10:11], 0
.LBB388_64:
	s_andn2_b64 vcc, exec, s[10:11]
	s_cbranch_vccnz .LBB388_72
; %bb.65:
	v_cndmask_b32_e64 v3, 0, 1.0, s[8:9]
	s_mov_b32 s10, 0x43800000
	v_cmp_gt_u32_e32 vcc, s10, v3
	v_mov_b32_e32 v4, 0x80
	s_and_saveexec_b64 s[10:11], vcc
	s_cbranch_execz .LBB388_71
; %bb.66:
	s_mov_b32 s12, 0x3bffffff
	v_cmp_lt_u32_e32 vcc, s12, v3
	s_mov_b64 s[12:13], 0
                                        ; implicit-def: $vgpr2
	s_and_saveexec_b64 s[14:15], vcc
	s_xor_b64 s[14:15], exec, s[14:15]
	s_cbranch_execz .LBB388_303
; %bb.67:
	v_bfe_u32 v2, v3, 20, 1
	s_mov_b32 s18, 0x487ffff
	v_add3_u32 v2, v3, v2, s18
	s_mov_b64 s[12:13], exec
	v_lshrrev_b32_e32 v2, 20, v2
                                        ; implicit-def: $vgpr3
	s_andn2_saveexec_b64 s[14:15], s[14:15]
	s_cbranch_execnz .LBB388_304
.LBB388_68:
	s_or_b64 exec, exec, s[14:15]
	v_mov_b32_e32 v4, 0
	s_and_saveexec_b64 s[14:15], s[12:13]
.LBB388_69:
	v_mov_b32_e32 v4, v2
.LBB388_70:
	s_or_b64 exec, exec, s[14:15]
.LBB388_71:
	s_or_b64 exec, exec, s[10:11]
	global_store_byte v[0:1], v4, off
.LBB388_72:
	s_mov_b64 s[10:11], -1
.LBB388_73:
	s_mov_b64 s[12:13], 0
.LBB388_74:
	s_and_b64 vcc, exec, s[12:13]
	s_cbranch_vccz .LBB388_115
; %bb.75:
	s_cmp_gt_i32 s17, 22
	s_mov_b64 s[12:13], -1
	s_cbranch_scc0 .LBB388_107
; %bb.76:
	s_cmp_lt_i32 s17, 24
	s_mov_b64 s[10:11], -1
	s_cbranch_scc1 .LBB388_96
; %bb.77:
	s_cmp_gt_i32 s17, 24
	s_cbranch_scc0 .LBB388_85
; %bb.78:
	v_cndmask_b32_e64 v3, 0, 1.0, s[8:9]
	s_mov_b32 s10, 0x47800000
	v_cmp_gt_u32_e32 vcc, s10, v3
	v_mov_b32_e32 v4, 0x80
	s_and_saveexec_b64 s[10:11], vcc
	s_cbranch_execz .LBB388_84
; %bb.79:
	s_mov_b32 s12, 0x37ffffff
	v_cmp_lt_u32_e32 vcc, s12, v3
	s_mov_b64 s[12:13], 0
                                        ; implicit-def: $vgpr2
	s_and_saveexec_b64 s[14:15], vcc
	s_xor_b64 s[14:15], exec, s[14:15]
	s_cbranch_execz .LBB388_307
; %bb.80:
	v_bfe_u32 v2, v3, 21, 1
	s_mov_b32 s18, 0x88fffff
	v_add3_u32 v2, v3, v2, s18
	s_mov_b64 s[12:13], exec
	v_lshrrev_b32_e32 v2, 21, v2
                                        ; implicit-def: $vgpr3
	s_andn2_saveexec_b64 s[14:15], s[14:15]
	s_cbranch_execnz .LBB388_308
.LBB388_81:
	s_or_b64 exec, exec, s[14:15]
	v_mov_b32_e32 v4, 0
	s_and_saveexec_b64 s[14:15], s[12:13]
.LBB388_82:
	v_mov_b32_e32 v4, v2
.LBB388_83:
	s_or_b64 exec, exec, s[14:15]
.LBB388_84:
	s_or_b64 exec, exec, s[10:11]
	s_mov_b64 s[10:11], 0
	global_store_byte v[0:1], v4, off
.LBB388_85:
	s_and_b64 vcc, exec, s[10:11]
	s_cbranch_vccz .LBB388_95
; %bb.86:
	v_cndmask_b32_e64 v2, 0, 1.0, s[8:9]
	s_mov_b32 s10, 0x43f00000
	v_cmp_gt_u32_e32 vcc, s10, v2
                                        ; implicit-def: $vgpr3
	s_and_saveexec_b64 s[10:11], vcc
	s_xor_b64 s[10:11], exec, s[10:11]
	s_cbranch_execz .LBB388_92
; %bb.87:
	s_mov_b32 s12, 0x3c7fffff
	v_cmp_lt_u32_e32 vcc, s12, v2
                                        ; implicit-def: $vgpr3
	s_and_saveexec_b64 s[12:13], vcc
	s_xor_b64 s[12:13], exec, s[12:13]
; %bb.88:
	v_bfe_u32 v3, v2, 20, 1
	s_mov_b32 s14, 0x407ffff
	v_add3_u32 v2, v2, v3, s14
	v_lshrrev_b32_e32 v3, 20, v2
	v_and_b32_e32 v2, 0xff00000, v2
	s_mov_b32 s14, 0x7f00000
	v_mov_b32_e32 v4, 0x7e
	v_cmp_ne_u32_e32 vcc, s14, v2
	v_cndmask_b32_e32 v3, v4, v3, vcc
                                        ; implicit-def: $vgpr2
; %bb.89:
	s_andn2_saveexec_b64 s[12:13], s[12:13]
; %bb.90:
	v_add_f32_e32 v3, 0x46800000, v2
; %bb.91:
	s_or_b64 exec, exec, s[12:13]
                                        ; implicit-def: $vgpr2
.LBB388_92:
	s_andn2_saveexec_b64 s[10:11], s[10:11]
; %bb.93:
	s_mov_b32 s12, 0x7f800000
	v_mov_b32_e32 v3, 0x7e
	v_mov_b32_e32 v4, 0x7f
	v_cmp_lt_u32_e32 vcc, s12, v2
	v_cndmask_b32_e32 v3, v3, v4, vcc
; %bb.94:
	s_or_b64 exec, exec, s[10:11]
	global_store_byte v[0:1], v3, off
.LBB388_95:
	s_mov_b64 s[10:11], 0
.LBB388_96:
	s_andn2_b64 vcc, exec, s[10:11]
	s_cbranch_vccnz .LBB388_106
; %bb.97:
	v_cndmask_b32_e64 v2, 0, 1.0, s[8:9]
	s_mov_b32 s10, 0x47800000
	v_cmp_gt_u32_e32 vcc, s10, v2
                                        ; implicit-def: $vgpr3
	s_and_saveexec_b64 s[10:11], vcc
	s_xor_b64 s[10:11], exec, s[10:11]
	s_cbranch_execz .LBB388_103
; %bb.98:
	s_mov_b32 s12, 0x387fffff
	v_cmp_lt_u32_e32 vcc, s12, v2
                                        ; implicit-def: $vgpr3
	s_and_saveexec_b64 s[12:13], vcc
	s_xor_b64 s[12:13], exec, s[12:13]
; %bb.99:
	v_bfe_u32 v3, v2, 21, 1
	s_mov_b32 s14, 0x80fffff
	v_add3_u32 v2, v2, v3, s14
	v_lshrrev_b32_e32 v3, 21, v2
                                        ; implicit-def: $vgpr2
; %bb.100:
	s_andn2_saveexec_b64 s[12:13], s[12:13]
; %bb.101:
	v_add_f32_e32 v3, 0x43000000, v2
; %bb.102:
	s_or_b64 exec, exec, s[12:13]
                                        ; implicit-def: $vgpr2
.LBB388_103:
	s_andn2_saveexec_b64 s[10:11], s[10:11]
; %bb.104:
	s_mov_b32 s12, 0x7f800000
	v_mov_b32_e32 v3, 0x7c
	v_mov_b32_e32 v4, 0x7f
	v_cmp_lt_u32_e32 vcc, s12, v2
	v_cndmask_b32_e32 v3, v3, v4, vcc
; %bb.105:
	s_or_b64 exec, exec, s[10:11]
	global_store_byte v[0:1], v3, off
.LBB388_106:
	s_mov_b64 s[12:13], 0
	s_mov_b64 s[10:11], -1
.LBB388_107:
	s_andn2_b64 vcc, exec, s[12:13]
	s_cbranch_vccnz .LBB388_115
; %bb.108:
	s_cmp_gt_i32 s17, 14
	s_mov_b64 s[12:13], -1
	s_cbranch_scc0 .LBB388_112
; %bb.109:
	s_cmp_eq_u32 s17, 15
	s_mov_b64 s[0:1], -1
	s_cbranch_scc0 .LBB388_111
; %bb.110:
	v_cndmask_b32_e64 v2, 0, 1.0, s[8:9]
	v_bfe_u32 v3, v2, 16, 1
	s_movk_i32 s0, 0x7fff
	v_add3_u32 v2, v2, v3, s0
	global_store_short_d16_hi v[0:1], v2, off
	s_mov_b64 s[10:11], -1
	s_mov_b64 s[0:1], 0
.LBB388_111:
	s_mov_b64 s[12:13], 0
.LBB388_112:
	s_and_b64 vcc, exec, s[12:13]
	s_cbranch_vccz .LBB388_115
; %bb.113:
	s_cmp_eq_u32 s17, 11
	s_mov_b64 s[0:1], -1
	s_cbranch_scc0 .LBB388_115
; %bb.114:
	v_cndmask_b32_e64 v2, 0, 1, s[8:9]
	s_mov_b64 s[10:11], -1
	s_mov_b64 s[0:1], 0
	global_store_byte v[0:1], v2, off
.LBB388_115:
	s_branch .LBB388_34
.LBB388_116:
	s_and_b32 s12, 0xffff, s16
	s_cmp_lt_i32 s12, 5
	s_mov_b64 s[10:11], -1
	s_cbranch_scc1 .LBB388_137
; %bb.117:
	s_cmp_lt_i32 s12, 8
	s_cbranch_scc1 .LBB388_127
; %bb.118:
	s_cmp_lt_i32 s12, 9
	s_cbranch_scc1 .LBB388_124
; %bb.119:
	s_cmp_gt_i32 s12, 9
	s_cbranch_scc0 .LBB388_121
; %bb.120:
	v_cndmask_b32_e64 v2, 0, 1, s[8:9]
	v_cvt_f64_u32_e32 v[2:3], v2
	v_mov_b32_e32 v4, 0
	v_mov_b32_e32 v5, v4
	s_mov_b64 s[10:11], 0
	global_store_dwordx4 v[0:1], v[2:5], off
.LBB388_121:
	s_andn2_b64 vcc, exec, s[10:11]
	s_cbranch_vccnz .LBB388_123
; %bb.122:
	v_cndmask_b32_e64 v2, 0, 1.0, s[8:9]
	v_mov_b32_e32 v3, 0
	global_store_dwordx2 v[0:1], v[2:3], off
.LBB388_123:
	s_mov_b64 s[10:11], 0
.LBB388_124:
	s_andn2_b64 vcc, exec, s[10:11]
	s_cbranch_vccnz .LBB388_126
; %bb.125:
	v_cndmask_b32_e64 v2, 0, 1.0, s[8:9]
	v_cvt_f16_f32_e32 v2, v2
	global_store_dword v[0:1], v2, off
.LBB388_126:
	s_mov_b64 s[10:11], 0
.LBB388_127:
	s_andn2_b64 vcc, exec, s[10:11]
	s_cbranch_vccnz .LBB388_136
; %bb.128:
	s_cmp_lt_i32 s12, 6
	s_mov_b64 s[10:11], -1
	s_cbranch_scc1 .LBB388_134
; %bb.129:
	s_cmp_gt_i32 s12, 6
	s_cbranch_scc0 .LBB388_131
; %bb.130:
	v_cndmask_b32_e64 v2, 0, 1, s[8:9]
	v_cvt_f64_u32_e32 v[2:3], v2
	s_mov_b64 s[10:11], 0
	global_store_dwordx2 v[0:1], v[2:3], off
.LBB388_131:
	s_andn2_b64 vcc, exec, s[10:11]
	s_cbranch_vccnz .LBB388_133
; %bb.132:
	v_cndmask_b32_e64 v2, 0, 1.0, s[8:9]
	global_store_dword v[0:1], v2, off
.LBB388_133:
	s_mov_b64 s[10:11], 0
.LBB388_134:
	s_andn2_b64 vcc, exec, s[10:11]
	s_cbranch_vccnz .LBB388_136
; %bb.135:
	v_cndmask_b32_e64 v2, 0, 1.0, s[8:9]
	v_cvt_f16_f32_e32 v2, v2
	global_store_short v[0:1], v2, off
.LBB388_136:
	s_mov_b64 s[10:11], 0
.LBB388_137:
	s_andn2_b64 vcc, exec, s[10:11]
	s_cbranch_vccnz .LBB388_153
; %bb.138:
	s_cmp_lt_i32 s12, 2
	s_mov_b64 s[10:11], -1
	s_cbranch_scc1 .LBB388_148
; %bb.139:
	s_cmp_lt_i32 s12, 3
	s_cbranch_scc1 .LBB388_145
; %bb.140:
	s_cmp_gt_i32 s12, 3
	s_cbranch_scc0 .LBB388_142
; %bb.141:
	s_mov_b32 s10, 0
	v_cndmask_b32_e64 v2, 0, 1, s[8:9]
	v_mov_b32_e32 v3, s10
	global_store_dwordx2 v[0:1], v[2:3], off
	s_mov_b64 s[10:11], 0
.LBB388_142:
	s_andn2_b64 vcc, exec, s[10:11]
	s_cbranch_vccnz .LBB388_144
; %bb.143:
	v_cndmask_b32_e64 v2, 0, 1, s[8:9]
	global_store_dword v[0:1], v2, off
.LBB388_144:
	s_mov_b64 s[10:11], 0
.LBB388_145:
	s_andn2_b64 vcc, exec, s[10:11]
	s_cbranch_vccnz .LBB388_147
; %bb.146:
	v_cndmask_b32_e64 v2, 0, 1, s[8:9]
	global_store_short v[0:1], v2, off
.LBB388_147:
	s_mov_b64 s[10:11], 0
.LBB388_148:
	s_andn2_b64 vcc, exec, s[10:11]
	s_cbranch_vccnz .LBB388_153
; %bb.149:
	s_cmp_gt_i32 s12, 0
	s_mov_b64 s[10:11], -1
	s_cbranch_scc0 .LBB388_151
; %bb.150:
	v_cndmask_b32_e64 v2, 0, 1, s[8:9]
	global_store_byte v[0:1], v2, off
	s_mov_b64 s[10:11], 0
.LBB388_151:
	s_andn2_b64 vcc, exec, s[10:11]
	s_cbranch_vccnz .LBB388_153
; %bb.152:
	v_cndmask_b32_e64 v2, 0, 1, s[8:9]
	global_store_byte v[0:1], v2, off
.LBB388_153:
.LBB388_154:
	v_add_u32_e32 v8, 0x80, v8
	s_mov_b64 s[8:9], -1
	s_branch .LBB388_261
.LBB388_155:
	s_mov_b64 s[2:3], -1
                                        ; implicit-def: $vgpr3
.LBB388_156:
	s_mov_b64 s[8:9], 0
.LBB388_157:
	s_and_b64 vcc, exec, s[8:9]
	s_cbranch_vccz .LBB388_161
; %bb.158:
	s_cmp_eq_u32 s10, 29
	s_cbranch_scc0 .LBB388_160
; %bb.159:
	global_load_dwordx2 v[3:4], v[1:2], off
	s_mov_b64 s[0:1], -1
	s_mov_b64 s[2:3], 0
	s_branch .LBB388_161
.LBB388_160:
	s_mov_b64 s[2:3], -1
                                        ; implicit-def: $vgpr3
.LBB388_161:
	s_mov_b64 s[8:9], 0
.LBB388_162:
	s_and_b64 vcc, exec, s[8:9]
	s_cbranch_vccz .LBB388_178
; %bb.163:
	s_cmp_lt_i32 s10, 27
	s_cbranch_scc1 .LBB388_166
; %bb.164:
	s_cmp_gt_i32 s10, 27
	s_cbranch_scc0 .LBB388_167
; %bb.165:
	global_load_dword v3, v[1:2], off
	s_mov_b64 s[0:1], 0
	s_branch .LBB388_168
.LBB388_166:
	s_mov_b64 s[0:1], -1
                                        ; implicit-def: $vgpr3
	s_branch .LBB388_171
.LBB388_167:
	s_mov_b64 s[0:1], -1
                                        ; implicit-def: $vgpr3
.LBB388_168:
	s_andn2_b64 vcc, exec, s[0:1]
	s_cbranch_vccnz .LBB388_170
; %bb.169:
	global_load_ushort v3, v[1:2], off
.LBB388_170:
	s_mov_b64 s[0:1], 0
.LBB388_171:
	s_andn2_b64 vcc, exec, s[0:1]
	s_cbranch_vccnz .LBB388_177
; %bb.172:
	global_load_ubyte v4, v[1:2], off
	s_movk_i32 s0, 0x7f
	s_mov_b64 s[8:9], 0
	s_waitcnt vmcnt(0)
	v_cmp_lt_i16_e32 vcc, s0, v4
	s_and_saveexec_b64 s[0:1], vcc
	s_xor_b64 s[0:1], exec, s[0:1]
	s_cbranch_execz .LBB388_188
; %bb.173:
	s_movk_i32 s8, 0x80
	v_cmp_ne_u16_e32 vcc, s8, v4
	s_and_b64 s[8:9], vcc, exec
	s_andn2_saveexec_b64 s[0:1], s[0:1]
	s_cbranch_execnz .LBB388_189
.LBB388_174:
	s_or_b64 exec, exec, s[0:1]
	v_mov_b32_e32 v3, 0
	s_and_saveexec_b64 s[0:1], s[8:9]
	s_cbranch_execz .LBB388_176
.LBB388_175:
	v_lshlrev_b32_e32 v3, 24, v4
	v_and_b32_e32 v4, 0xffff, v4
	v_and_b32_e32 v5, 7, v4
	v_ffbh_u32_e32 v7, v5
	v_min_u32_e32 v7, 32, v7
	v_subrev_u32_e32 v9, 28, v7
	v_bfe_u32 v6, v4, 3, 4
	v_lshlrev_b32_e32 v4, v9, v4
	v_sub_u32_e32 v7, 29, v7
	v_and_b32_e32 v4, 7, v4
	v_cmp_eq_u32_e32 vcc, 0, v6
	v_cndmask_b32_e32 v6, v6, v7, vcc
	v_cndmask_b32_e32 v4, v5, v4, vcc
	v_mov_b32_e32 v5, 0x3b800000
	v_lshlrev_b32_e32 v4, 20, v4
	v_and_b32_e32 v3, 0x80000000, v3
	v_lshl_add_u32 v5, v6, 23, v5
	v_or3_b32 v3, v3, v5, v4
	v_cvt_i32_f32_e32 v3, v3
.LBB388_176:
	s_or_b64 exec, exec, s[0:1]
.LBB388_177:
	s_mov_b64 s[0:1], -1
.LBB388_178:
	s_branch .LBB388_211
.LBB388_179:
	s_cmp_gt_i32 s10, 22
	s_cbranch_scc0 .LBB388_187
; %bb.180:
	s_cmp_lt_i32 s10, 24
	s_cbranch_scc1 .LBB388_190
; %bb.181:
	s_cmp_gt_i32 s10, 24
	s_cbranch_scc0 .LBB388_191
; %bb.182:
	global_load_ubyte v4, v[1:2], off
	s_movk_i32 s0, 0x7f
	s_mov_b64 s[8:9], 0
	s_waitcnt vmcnt(0)
	v_cmp_lt_i16_e32 vcc, s0, v4
	s_and_saveexec_b64 s[0:1], vcc
	s_xor_b64 s[0:1], exec, s[0:1]
	s_cbranch_execz .LBB388_203
; %bb.183:
	s_movk_i32 s8, 0x80
	v_cmp_ne_u16_e32 vcc, s8, v4
	s_and_b64 s[8:9], vcc, exec
	s_andn2_saveexec_b64 s[0:1], s[0:1]
	s_cbranch_execnz .LBB388_204
.LBB388_184:
	s_or_b64 exec, exec, s[0:1]
	v_mov_b32_e32 v3, 0
	s_and_saveexec_b64 s[0:1], s[8:9]
	s_cbranch_execz .LBB388_186
.LBB388_185:
	v_lshlrev_b32_e32 v3, 24, v4
	v_and_b32_e32 v4, 0xffff, v4
	v_and_b32_e32 v5, 3, v4
	v_ffbh_u32_e32 v7, v5
	v_min_u32_e32 v7, 32, v7
	v_subrev_u32_e32 v9, 29, v7
	v_bfe_u32 v6, v4, 2, 5
	v_lshlrev_b32_e32 v4, v9, v4
	v_sub_u32_e32 v7, 30, v7
	v_and_b32_e32 v4, 3, v4
	v_cmp_eq_u32_e32 vcc, 0, v6
	v_cndmask_b32_e32 v6, v6, v7, vcc
	v_cndmask_b32_e32 v4, v5, v4, vcc
	v_mov_b32_e32 v5, 0x37800000
	v_lshlrev_b32_e32 v4, 21, v4
	v_and_b32_e32 v3, 0x80000000, v3
	v_lshl_add_u32 v5, v6, 23, v5
	v_or3_b32 v3, v3, v5, v4
	v_cvt_i32_f32_e32 v3, v3
.LBB388_186:
	s_or_b64 exec, exec, s[0:1]
	s_mov_b64 s[0:1], 0
	s_branch .LBB388_192
.LBB388_187:
	s_mov_b64 s[8:9], -1
                                        ; implicit-def: $vgpr3
	s_branch .LBB388_198
.LBB388_188:
	s_andn2_saveexec_b64 s[0:1], s[0:1]
	s_cbranch_execz .LBB388_174
.LBB388_189:
	v_cmp_ne_u16_e32 vcc, 0, v4
	s_andn2_b64 s[8:9], s[8:9], exec
	s_and_b64 s[12:13], vcc, exec
	s_or_b64 s[8:9], s[8:9], s[12:13]
	s_or_b64 exec, exec, s[0:1]
	v_mov_b32_e32 v3, 0
	s_and_saveexec_b64 s[0:1], s[8:9]
	s_cbranch_execnz .LBB388_175
	s_branch .LBB388_176
.LBB388_190:
	s_mov_b64 s[0:1], -1
                                        ; implicit-def: $vgpr3
	s_branch .LBB388_195
.LBB388_191:
	s_mov_b64 s[0:1], -1
                                        ; implicit-def: $vgpr3
.LBB388_192:
	s_and_b64 vcc, exec, s[0:1]
	s_cbranch_vccz .LBB388_194
; %bb.193:
	global_load_ubyte v3, v[1:2], off
	s_mov_b32 s0, 0x7f800000
	s_waitcnt vmcnt(0)
	v_lshlrev_b32_e32 v3, 24, v3
	v_and_b32_e32 v4, 0x7f000000, v3
	v_ffbh_u32_e32 v5, v4
	v_min_u32_e32 v5, 32, v5
	v_sub_u32_e64 v5, v5, 4 clamp
	v_lshlrev_b32_e32 v7, v5, v4
	v_lshlrev_b32_e32 v5, 23, v5
	v_lshrrev_b32_e32 v7, 4, v7
	v_add_u32_e32 v6, 0x1000000, v4
	v_sub_u32_e32 v5, v7, v5
	v_ashrrev_i32_e32 v6, 8, v6
	v_add_u32_e32 v5, 0x3c000000, v5
	v_and_or_b32 v5, v6, s0, v5
	v_cmp_ne_u32_e32 vcc, 0, v4
	v_cndmask_b32_e32 v4, 0, v5, vcc
	s_brev_b32 s0, 1
	v_and_or_b32 v3, v3, s0, v4
	v_cvt_i32_f32_e32 v3, v3
.LBB388_194:
	s_mov_b64 s[0:1], 0
.LBB388_195:
	s_andn2_b64 vcc, exec, s[0:1]
	s_cbranch_vccnz .LBB388_197
; %bb.196:
	global_load_ubyte v3, v[1:2], off
	s_movk_i32 s0, 0x7f00
	s_brev_b32 s1, 16
	s_waitcnt vmcnt(0)
	v_lshlrev_b16_e32 v4, 8, v3
	v_lshlrev_b32_e32 v3, 25, v3
	v_lshrrev_b32_e32 v5, 4, v3
	v_and_or_b32 v6, v4, s0, 0.5
	v_or_b32_e32 v5, 0x70000000, v5
	v_add_f32_e32 v6, -0.5, v6
	v_mul_f32_e32 v5, 0x7800000, v5
	v_cmp_gt_u32_e32 vcc, s1, v3
	v_bfe_i32 v4, v4, 0, 16
	v_cndmask_b32_e32 v3, v5, v6, vcc
	s_brev_b32 s0, 1
	v_and_or_b32 v3, v4, s0, v3
	v_cvt_i32_f32_e32 v3, v3
.LBB388_197:
	s_mov_b64 s[8:9], 0
	s_mov_b64 s[0:1], -1
.LBB388_198:
	s_andn2_b64 vcc, exec, s[8:9]
	s_cbranch_vccnz .LBB388_211
; %bb.199:
	s_cmp_gt_i32 s10, 14
	s_cbranch_scc0 .LBB388_202
; %bb.200:
	s_cmp_eq_u32 s10, 15
	s_cbranch_scc0 .LBB388_205
; %bb.201:
	global_load_ushort v3, v[1:2], off
	s_mov_b64 s[0:1], -1
	s_mov_b64 s[2:3], 0
	s_waitcnt vmcnt(0)
	v_lshlrev_b32_e32 v3, 16, v3
	v_cvt_i32_f32_e32 v3, v3
	s_branch .LBB388_206
.LBB388_202:
	s_mov_b64 s[8:9], -1
                                        ; implicit-def: $vgpr3
	s_branch .LBB388_207
.LBB388_203:
	s_andn2_saveexec_b64 s[0:1], s[0:1]
	s_cbranch_execz .LBB388_184
.LBB388_204:
	v_cmp_ne_u16_e32 vcc, 0, v4
	s_andn2_b64 s[8:9], s[8:9], exec
	s_and_b64 s[12:13], vcc, exec
	s_or_b64 s[8:9], s[8:9], s[12:13]
	s_or_b64 exec, exec, s[0:1]
	v_mov_b32_e32 v3, 0
	s_and_saveexec_b64 s[0:1], s[8:9]
	s_cbranch_execnz .LBB388_185
	s_branch .LBB388_186
.LBB388_205:
	s_mov_b64 s[2:3], -1
                                        ; implicit-def: $vgpr3
.LBB388_206:
	s_mov_b64 s[8:9], 0
.LBB388_207:
	s_and_b64 vcc, exec, s[8:9]
	s_cbranch_vccz .LBB388_211
; %bb.208:
	s_cmp_eq_u32 s10, 11
	s_cbranch_scc0 .LBB388_210
; %bb.209:
	global_load_ubyte v3, v[1:2], off
	s_mov_b64 s[0:1], -1
	s_mov_b64 s[2:3], 0
	s_waitcnt vmcnt(0)
	v_cmp_ne_u16_e32 vcc, 0, v3
	v_cndmask_b32_e64 v3, 0, 1, vcc
	s_branch .LBB388_211
.LBB388_210:
	s_mov_b64 s[2:3], -1
                                        ; implicit-def: $vgpr3
.LBB388_211:
	s_branch .LBB388_24
.LBB388_212:
	s_cmp_lt_i32 s10, 5
	s_cbranch_scc1 .LBB388_217
; %bb.213:
	s_cmp_lt_i32 s10, 8
	s_cbranch_scc1 .LBB388_218
; %bb.214:
	;; [unrolled: 3-line block ×3, first 2 shown]
	s_cmp_gt_i32 s10, 9
	s_cbranch_scc0 .LBB388_220
; %bb.216:
	global_load_dwordx2 v[3:4], v[1:2], off
	s_mov_b64 s[0:1], 0
	s_waitcnt vmcnt(0)
	v_cvt_i32_f64_e32 v3, v[3:4]
	s_branch .LBB388_221
.LBB388_217:
                                        ; implicit-def: $vgpr3
	s_branch .LBB388_239
.LBB388_218:
	s_mov_b64 s[0:1], -1
                                        ; implicit-def: $vgpr3
	s_branch .LBB388_227
.LBB388_219:
	s_mov_b64 s[0:1], -1
                                        ; implicit-def: $vgpr3
	s_branch .LBB388_224
.LBB388_220:
	s_mov_b64 s[0:1], -1
                                        ; implicit-def: $vgpr3
.LBB388_221:
	s_andn2_b64 vcc, exec, s[0:1]
	s_cbranch_vccnz .LBB388_223
; %bb.222:
	global_load_dword v3, v[1:2], off
	s_waitcnt vmcnt(0)
	v_cvt_i32_f32_e32 v3, v3
.LBB388_223:
	s_mov_b64 s[0:1], 0
.LBB388_224:
	s_andn2_b64 vcc, exec, s[0:1]
	s_cbranch_vccnz .LBB388_226
; %bb.225:
	global_load_dword v3, v[1:2], off
	s_waitcnt vmcnt(0)
	v_cvt_i16_f16_e32 v3, v3
.LBB388_226:
	s_mov_b64 s[0:1], 0
.LBB388_227:
	s_andn2_b64 vcc, exec, s[0:1]
	s_cbranch_vccnz .LBB388_238
; %bb.228:
	s_cmp_lt_i32 s10, 6
	s_cbranch_scc1 .LBB388_231
; %bb.229:
	s_cmp_gt_i32 s10, 6
	s_cbranch_scc0 .LBB388_232
; %bb.230:
	global_load_dwordx2 v[3:4], v[1:2], off
	s_mov_b64 s[0:1], 0
	s_waitcnt vmcnt(0)
	v_cvt_i32_f64_e32 v3, v[3:4]
	s_branch .LBB388_233
.LBB388_231:
	s_mov_b64 s[0:1], -1
                                        ; implicit-def: $vgpr3
	s_branch .LBB388_236
.LBB388_232:
	s_mov_b64 s[0:1], -1
                                        ; implicit-def: $vgpr3
.LBB388_233:
	s_andn2_b64 vcc, exec, s[0:1]
	s_cbranch_vccnz .LBB388_235
; %bb.234:
	global_load_dword v3, v[1:2], off
	s_waitcnt vmcnt(0)
	v_cvt_i32_f32_e32 v3, v3
.LBB388_235:
	s_mov_b64 s[0:1], 0
.LBB388_236:
	s_andn2_b64 vcc, exec, s[0:1]
	s_cbranch_vccnz .LBB388_238
; %bb.237:
	global_load_ushort v3, v[1:2], off
	s_waitcnt vmcnt(0)
	v_cvt_i16_f16_e32 v3, v3
.LBB388_238:
	s_cbranch_execnz .LBB388_258
.LBB388_239:
	s_cmp_lt_i32 s10, 2
	s_cbranch_scc1 .LBB388_243
; %bb.240:
	s_cmp_lt_i32 s10, 3
	s_cbranch_scc1 .LBB388_244
; %bb.241:
	s_cmp_gt_i32 s10, 3
	s_cbranch_scc0 .LBB388_245
; %bb.242:
	global_load_dwordx2 v[3:4], v[1:2], off
	s_mov_b64 s[0:1], 0
	s_branch .LBB388_246
.LBB388_243:
	s_mov_b64 s[0:1], -1
                                        ; implicit-def: $vgpr3
	s_branch .LBB388_252
.LBB388_244:
	s_mov_b64 s[0:1], -1
                                        ; implicit-def: $vgpr3
	s_branch .LBB388_249
.LBB388_245:
	s_mov_b64 s[0:1], -1
                                        ; implicit-def: $vgpr3
.LBB388_246:
	s_andn2_b64 vcc, exec, s[0:1]
	s_cbranch_vccnz .LBB388_248
; %bb.247:
	global_load_dword v3, v[1:2], off
.LBB388_248:
	s_mov_b64 s[0:1], 0
.LBB388_249:
	s_andn2_b64 vcc, exec, s[0:1]
	s_cbranch_vccnz .LBB388_251
; %bb.250:
	global_load_ushort v3, v[1:2], off
.LBB388_251:
	s_mov_b64 s[0:1], 0
.LBB388_252:
	s_andn2_b64 vcc, exec, s[0:1]
	s_cbranch_vccnz .LBB388_258
; %bb.253:
	s_cmp_gt_i32 s10, 0
	s_cbranch_scc0 .LBB388_255
; %bb.254:
	global_load_ubyte v3, v[1:2], off
	s_mov_b64 s[0:1], 0
	s_branch .LBB388_256
.LBB388_255:
	s_mov_b64 s[0:1], -1
                                        ; implicit-def: $vgpr3
.LBB388_256:
	s_andn2_b64 vcc, exec, s[0:1]
	s_cbranch_vccnz .LBB388_258
; %bb.257:
	global_load_ubyte v3, v[1:2], off
.LBB388_258:
	s_branch .LBB388_25
.LBB388_259:
	s_mov_b64 s[0:1], 0
.LBB388_260:
	s_mov_b64 s[8:9], 0
                                        ; implicit-def: $vgpr8
.LBB388_261:
	s_and_b64 s[56:57], s[0:1], exec
	s_and_b64 s[58:59], s[2:3], exec
	s_orn2_b64 s[2:3], s[8:9], exec
.LBB388_262:
	s_or_b64 exec, exec, s[60:61]
	s_mov_b64 s[10:11], 0
	s_mov_b64 s[0:1], 0
                                        ; implicit-def: $vgpr1_vgpr2
                                        ; implicit-def: $vgpr0
                                        ; implicit-def: $vgpr3
	s_and_saveexec_b64 s[60:61], s[2:3]
	s_cbranch_execz .LBB388_269
; %bb.263:
	v_cmp_gt_i32_e32 vcc, s74, v8
	s_mov_b64 s[0:1], -1
	s_mov_b64 s[62:63], s[58:59]
	s_mov_b64 s[64:65], s[56:57]
	s_and_saveexec_b64 s[66:67], vcc
	s_cbranch_execz .LBB388_534
; %bb.264:
	s_andn2_b64 vcc, exec, s[40:41]
	s_cbranch_vccnz .LBB388_272
; %bb.265:
	s_andn2_b64 vcc, exec, s[54:55]
	s_cbranch_vccnz .LBB388_273
; %bb.266:
	s_add_i32 s68, s79, 1
	s_cmp_eq_u32 s76, 2
	s_cbranch_scc1 .LBB388_274
; %bb.267:
	s_and_b32 s44, s68, 28
	v_mov_b32_e32 v2, 0
	s_mov_b32 s69, 0
	s_mov_b64 s[62:63], s[34:35]
	s_mov_b64 s[64:65], s[52:53]
	v_mov_b32_e32 v0, 0
	v_mov_b32_e32 v1, v8
.LBB388_268:                            ; =>This Inner Loop Header: Depth=1
	s_load_dwordx8 s[16:23], s[62:63], 0x4
	s_load_dwordx4 s[0:3], s[62:63], 0x24
	s_load_dwordx8 s[8:15], s[64:65], 0x0
	s_add_u32 s62, s62, 48
	s_addc_u32 s63, s63, 0
	s_waitcnt vmcnt(0) lgkmcnt(0)
	v_mul_hi_u32 v3, s17, v1
	s_add_i32 s69, s69, 4
	s_add_u32 s64, s64, 32
	s_addc_u32 s65, s65, 0
	v_add_u32_e32 v3, v1, v3
	v_lshrrev_b32_e32 v3, s18, v3
	v_mul_lo_u32 v4, v3, s16
	v_mul_hi_u32 v5, s20, v3
	s_cmp_eq_u32 s44, s69
	v_sub_u32_e32 v1, v1, v4
	v_add_u32_e32 v4, v3, v5
	v_mul_lo_u32 v5, v1, s8
	v_mul_lo_u32 v6, v1, s9
	v_lshrrev_b32_e32 v1, s21, v4
	v_mul_lo_u32 v4, v1, s19
	v_mul_hi_u32 v7, s23, v1
	v_sub_u32_e32 v3, v3, v4
	v_add_u32_e32 v4, v1, v7
	v_lshrrev_b32_e32 v4, s0, v4
	v_mul_hi_u32 v9, s2, v4
	v_mul_lo_u32 v10, v4, s22
	v_mul_lo_u32 v7, v3, s10
	;; [unrolled: 1-line block ×3, first 2 shown]
	v_sub_u32_e32 v10, v1, v10
	v_add_u32_e32 v1, v4, v9
	v_lshrrev_b32_e32 v1, s3, v1
	v_mul_lo_u32 v9, v1, s1
	v_mul_lo_u32 v11, v10, s12
	;; [unrolled: 1-line block ×3, first 2 shown]
	v_add3_u32 v0, v5, v0, v7
	v_sub_u32_e32 v4, v4, v9
	v_mul_lo_u32 v9, v4, s14
	v_mul_lo_u32 v4, v4, s15
	v_add3_u32 v2, v6, v2, v3
	v_add3_u32 v0, v11, v0, v9
	;; [unrolled: 1-line block ×3, first 2 shown]
	s_cbranch_scc0 .LBB388_268
	s_branch .LBB388_275
.LBB388_269:
	s_or_b64 exec, exec, s[60:61]
	s_mov_b64 s[2:3], 0
	s_and_saveexec_b64 s[8:9], s[58:59]
	s_cbranch_execnz .LBB388_902
.LBB388_270:
	s_or_b64 exec, exec, s[8:9]
	s_and_saveexec_b64 s[8:9], s[64:65]
	s_xor_b64 s[8:9], exec, s[8:9]
	s_cbranch_execz .LBB388_903
.LBB388_271:
	global_load_ubyte v3, v[1:2], off
	s_or_b64 s[0:1], s[0:1], exec
	s_waitcnt vmcnt(0)
	v_cmp_ne_u16_e32 vcc, 0, v3
	v_cndmask_b32_e64 v3, 0, 1, vcc
	s_or_b64 exec, exec, s[8:9]
	s_and_saveexec_b64 s[8:9], s[10:11]
	s_cbranch_execz .LBB388_949
	s_branch .LBB388_904
.LBB388_272:
                                        ; implicit-def: $vgpr0
                                        ; implicit-def: $vgpr2
	s_andn2_b64 vcc, exec, s[0:1]
	s_cbranch_vccz .LBB388_279
	s_branch .LBB388_281
.LBB388_273:
	v_mov_b32_e32 v0, 0
	v_mov_b32_e32 v2, 0
	s_branch .LBB388_278
.LBB388_274:
	s_mov_b32 s44, 0
	v_mov_b32_e32 v0, 0
	v_mov_b32_e32 v2, 0
	;; [unrolled: 1-line block ×3, first 2 shown]
.LBB388_275:
	s_and_b32 s8, s68, 3
	s_cmp_eq_u32 s8, 0
	s_cbranch_scc1 .LBB388_278
; %bb.276:
	s_lshl_b32 s0, s44, 3
	s_add_u32 s0, s34, s0
	s_addc_u32 s1, s35, 0
	s_add_u32 s0, s0, 0xc4
	s_addc_u32 s1, s1, 0
	s_mul_i32 s2, s44, 12
	s_add_u32 s2, s34, s2
	s_addc_u32 s3, s35, 0
.LBB388_277:                            ; =>This Inner Loop Header: Depth=1
	s_load_dwordx2 s[10:11], s[2:3], 0x4
	s_load_dword s9, s[2:3], 0xc
	s_load_dwordx2 s[12:13], s[0:1], 0x0
	s_add_u32 s2, s2, 12
	s_addc_u32 s3, s3, 0
	s_waitcnt vmcnt(0) lgkmcnt(0)
	v_mul_hi_u32 v3, s11, v1
	s_add_u32 s0, s0, 8
	s_addc_u32 s1, s1, 0
	s_add_i32 s8, s8, -1
	v_add_u32_e32 v3, v1, v3
	v_lshrrev_b32_e32 v4, s9, v3
	v_mul_lo_u32 v3, v4, s10
	s_cmp_lg_u32 s8, 0
	v_sub_u32_e32 v3, v1, v3
	v_mad_u64_u32 v[0:1], s[10:11], v3, s12, v[0:1]
	v_mad_u64_u32 v[2:3], s[10:11], v3, s13, v[2:3]
	v_mov_b32_e32 v1, v4
	s_cbranch_scc1 .LBB388_277
.LBB388_278:
	s_cbranch_execnz .LBB388_281
.LBB388_279:
	v_mul_hi_u32 v0, s29, v8
	s_andn2_b64 vcc, exec, s[50:51]
	v_add_u32_e32 v0, v8, v0
	v_lshrrev_b32_e32 v1, s30, v0
	v_mul_lo_u32 v0, v1, s28
	v_sub_u32_e32 v2, v8, v0
	v_mul_lo_u32 v0, v2, s36
	v_mul_lo_u32 v2, v2, s37
	s_cbranch_vccnz .LBB388_281
; %bb.280:
	s_waitcnt vmcnt(0)
	v_mul_hi_u32 v3, s48, v1
	v_add_u32_e32 v3, v1, v3
	v_lshrrev_b32_e32 v3, s49, v3
	v_mul_lo_u32 v3, v3, s31
	v_sub_u32_e32 v3, v1, v3
	v_mad_u64_u32 v[0:1], s[0:1], v3, s38, v[0:1]
	v_mad_u64_u32 v[2:3], s[0:1], v3, s39, v[2:3]
.LBB388_281:
	s_waitcnt vmcnt(0)
	v_mov_b32_e32 v3, s27
	s_and_b32 s10, 0xffff, s78
	v_add_co_u32_e32 v1, vcc, s26, v2
	s_cmp_lt_i32 s10, 11
	v_addc_co_u32_e32 v2, vcc, 0, v3, vcc
	s_cbranch_scc1 .LBB388_288
; %bb.282:
	s_cmp_gt_i32 s10, 25
	s_cbranch_scc0 .LBB388_297
; %bb.283:
	s_cmp_gt_i32 s10, 28
	s_cbranch_scc0 .LBB388_299
	;; [unrolled: 3-line block ×4, first 2 shown]
; %bb.286:
	s_cmp_eq_u32 s10, 46
	s_mov_b64 s[8:9], 0
	s_cbranch_scc0 .LBB388_309
; %bb.287:
	global_load_dword v3, v[1:2], off
	s_mov_b64 s[0:1], -1
	s_mov_b64 s[2:3], 0
	s_waitcnt vmcnt(0)
	v_lshlrev_b32_e32 v3, 16, v3
	v_cvt_i32_f32_e32 v3, v3
	s_branch .LBB388_310
.LBB388_288:
	s_mov_b64 s[0:1], 0
                                        ; implicit-def: $vgpr3
	s_mov_b64 s[2:3], s[58:59]
	s_cbranch_execnz .LBB388_483
.LBB388_289:
	s_andn2_b64 vcc, exec, s[0:1]
	s_cbranch_vccnz .LBB388_531
.LBB388_290:
	s_and_b32 s0, s45, 0xff
	s_waitcnt vmcnt(0)
	v_cmp_ne_u16_sdwa s[0:1], s0, v3 src0_sel:DWORD src1_sel:BYTE_0
	s_xor_b64 s[8:9], s[46:47], s[0:1]
	v_mov_b32_e32 v1, s25
	s_and_b32 s16, s77, 0xff
	v_add_co_u32_e32 v0, vcc, s24, v0
	s_cmp_lt_i32 s16, 11
	v_addc_co_u32_e32 v1, vcc, 0, v1, vcc
	s_cbranch_scc1 .LBB388_298
; %bb.291:
	s_and_b32 s17, 0xffff, s16
	s_cmp_gt_i32 s17, 25
	s_cbranch_scc0 .LBB388_300
; %bb.292:
	s_cmp_gt_i32 s17, 28
	s_cbranch_scc0 .LBB388_302
; %bb.293:
	s_cmp_gt_i32 s17, 43
	s_cbranch_scc0 .LBB388_306
; %bb.294:
	s_cmp_gt_i32 s17, 45
	s_cbranch_scc0 .LBB388_313
; %bb.295:
	s_mov_b64 s[12:13], 0
	s_mov_b64 s[0:1], -1
	s_cmp_eq_u32 s17, 46
	s_mov_b64 s[10:11], 0
	s_cbranch_scc0 .LBB388_314
; %bb.296:
	v_cndmask_b32_e64 v2, 0, 1.0, s[8:9]
	v_bfe_u32 v3, v2, 16, 1
	s_movk_i32 s0, 0x7fff
	v_add3_u32 v2, v2, v3, s0
	v_lshrrev_b32_e32 v2, 16, v2
	global_store_dword v[0:1], v2, off
	s_mov_b64 s[10:11], -1
	s_mov_b64 s[0:1], 0
	s_branch .LBB388_314
.LBB388_297:
	s_mov_b64 s[8:9], -1
	s_mov_b64 s[0:1], 0
	s_mov_b64 s[2:3], s[58:59]
                                        ; implicit-def: $vgpr3
	s_branch .LBB388_449
.LBB388_298:
	s_mov_b64 s[12:13], -1
	s_mov_b64 s[10:11], 0
	s_mov_b64 s[0:1], s[56:57]
	s_branch .LBB388_383
.LBB388_299:
	s_mov_b64 s[8:9], -1
	s_mov_b64 s[0:1], 0
	s_mov_b64 s[2:3], s[58:59]
                                        ; implicit-def: $vgpr3
	s_branch .LBB388_432
.LBB388_300:
	s_mov_b64 s[12:13], -1
	s_mov_b64 s[10:11], 0
	s_mov_b64 s[0:1], s[56:57]
	s_branch .LBB388_341
.LBB388_301:
	s_mov_b64 s[8:9], -1
	s_mov_b64 s[0:1], 0
	s_mov_b64 s[2:3], s[58:59]
                                        ; implicit-def: $vgpr3
	s_branch .LBB388_427
.LBB388_302:
	s_mov_b64 s[12:13], -1
	s_mov_b64 s[10:11], 0
	s_mov_b64 s[0:1], s[56:57]
	s_branch .LBB388_324
.LBB388_303:
	s_andn2_saveexec_b64 s[14:15], s[14:15]
	s_cbranch_execz .LBB388_68
.LBB388_304:
	v_add_f32_e32 v2, 0x46000000, v3
	v_and_b32_e32 v2, 0xff, v2
	v_cmp_ne_u32_e32 vcc, 0, v2
	s_andn2_b64 s[12:13], s[12:13], exec
	s_and_b64 s[18:19], vcc, exec
	s_or_b64 s[12:13], s[12:13], s[18:19]
	s_or_b64 exec, exec, s[14:15]
	v_mov_b32_e32 v4, 0
	s_and_saveexec_b64 s[14:15], s[12:13]
	s_cbranch_execnz .LBB388_69
	s_branch .LBB388_70
.LBB388_305:
	s_mov_b64 s[8:9], -1
	s_mov_b64 s[0:1], 0
	s_mov_b64 s[2:3], s[58:59]
                                        ; implicit-def: $vgpr3
	s_branch .LBB388_310
.LBB388_306:
	s_mov_b64 s[12:13], -1
	s_mov_b64 s[10:11], 0
	s_mov_b64 s[0:1], s[56:57]
	s_branch .LBB388_320
.LBB388_307:
	s_andn2_saveexec_b64 s[14:15], s[14:15]
	s_cbranch_execz .LBB388_81
.LBB388_308:
	v_add_f32_e32 v2, 0x42800000, v3
	v_and_b32_e32 v2, 0xff, v2
	v_cmp_ne_u32_e32 vcc, 0, v2
	s_andn2_b64 s[12:13], s[12:13], exec
	s_and_b64 s[18:19], vcc, exec
	s_or_b64 s[12:13], s[12:13], s[18:19]
	s_or_b64 exec, exec, s[14:15]
	v_mov_b32_e32 v4, 0
	s_and_saveexec_b64 s[14:15], s[12:13]
	s_cbranch_execnz .LBB388_82
	s_branch .LBB388_83
.LBB388_309:
	s_mov_b64 s[2:3], -1
                                        ; implicit-def: $vgpr3
	s_mov_b64 s[0:1], 0
.LBB388_310:
	s_and_b64 vcc, exec, s[8:9]
	s_cbranch_vccz .LBB388_426
; %bb.311:
	s_cmp_eq_u32 s10, 44
	s_cbranch_scc0 .LBB388_425
; %bb.312:
	global_load_ubyte v3, v[1:2], off
	s_mov_b64 s[0:1], -1
	s_mov_b64 s[2:3], 0
	s_waitcnt vmcnt(0)
	v_lshlrev_b32_e32 v4, 23, v3
	v_cvt_i32_f32_e32 v4, v4
	v_cmp_ne_u32_e32 vcc, 0, v3
	v_cndmask_b32_e32 v3, 0, v4, vcc
	s_branch .LBB388_426
.LBB388_313:
	s_mov_b64 s[12:13], -1
	s_mov_b64 s[10:11], 0
	s_mov_b64 s[0:1], s[56:57]
.LBB388_314:
	s_and_b64 vcc, exec, s[12:13]
	s_cbranch_vccz .LBB388_319
; %bb.315:
	s_cmp_eq_u32 s17, 44
	s_mov_b64 s[0:1], -1
	s_cbranch_scc0 .LBB388_319
; %bb.316:
	v_cndmask_b32_e64 v3, 0, 1.0, s[8:9]
	v_lshrrev_b32_e32 v2, 23, v3
	s_movk_i32 s0, 0xff
	v_cmp_ne_u32_e32 vcc, s0, v2
	v_mov_b32_e32 v4, 0xff
	s_and_saveexec_b64 s[10:11], vcc
; %bb.317:
	s_mov_b32 s0, 0x3fffff
	v_and_b32_e32 v4, 0x400000, v3
	v_and_or_b32 v3, v3, s0, v2
	v_cmp_ne_u32_e32 vcc, 0, v4
	v_cmp_ne_u32_e64 s[0:1], 0, v3
	s_and_b64 s[0:1], vcc, s[0:1]
	v_cndmask_b32_e64 v3, 0, 1, s[0:1]
	v_add_u32_e32 v4, v2, v3
; %bb.318:
	s_or_b64 exec, exec, s[10:11]
	s_mov_b64 s[10:11], -1
	s_mov_b64 s[0:1], 0
	global_store_byte v[0:1], v4, off
.LBB388_319:
	s_mov_b64 s[12:13], 0
.LBB388_320:
	s_and_b64 vcc, exec, s[12:13]
	s_cbranch_vccz .LBB388_323
; %bb.321:
	s_cmp_eq_u32 s17, 29
	s_mov_b64 s[0:1], -1
	s_cbranch_scc0 .LBB388_323
; %bb.322:
	s_mov_b32 s0, 0
	v_cndmask_b32_e64 v2, 0, 1, s[8:9]
	v_mov_b32_e32 v3, s0
	global_store_dwordx2 v[0:1], v[2:3], off
	s_mov_b64 s[10:11], -1
	s_mov_b64 s[0:1], 0
.LBB388_323:
	s_mov_b64 s[12:13], 0
.LBB388_324:
	s_and_b64 vcc, exec, s[12:13]
	s_cbranch_vccz .LBB388_340
; %bb.325:
	s_cmp_lt_i32 s17, 27
	s_mov_b64 s[10:11], -1
	s_cbranch_scc1 .LBB388_331
; %bb.326:
	s_cmp_gt_i32 s17, 27
	s_cbranch_scc0 .LBB388_328
; %bb.327:
	v_cndmask_b32_e64 v2, 0, 1, s[8:9]
	s_mov_b64 s[10:11], 0
	global_store_dword v[0:1], v2, off
.LBB388_328:
	s_andn2_b64 vcc, exec, s[10:11]
	s_cbranch_vccnz .LBB388_330
; %bb.329:
	v_cndmask_b32_e64 v2, 0, 1, s[8:9]
	global_store_short v[0:1], v2, off
.LBB388_330:
	s_mov_b64 s[10:11], 0
.LBB388_331:
	s_andn2_b64 vcc, exec, s[10:11]
	s_cbranch_vccnz .LBB388_339
; %bb.332:
	v_cndmask_b32_e64 v3, 0, 1.0, s[8:9]
	s_mov_b32 s10, 0x43800000
	v_cmp_gt_u32_e32 vcc, s10, v3
	v_mov_b32_e32 v4, 0x80
	s_and_saveexec_b64 s[10:11], vcc
	s_cbranch_execz .LBB388_338
; %bb.333:
	s_mov_b32 s12, 0x3bffffff
	v_cmp_lt_u32_e32 vcc, s12, v3
	s_mov_b64 s[12:13], 0
                                        ; implicit-def: $vgpr2
	s_and_saveexec_b64 s[14:15], vcc
	s_xor_b64 s[14:15], exec, s[14:15]
	s_cbranch_execz .LBB388_562
; %bb.334:
	v_bfe_u32 v2, v3, 20, 1
	s_mov_b32 s18, 0x487ffff
	v_add3_u32 v2, v3, v2, s18
	s_mov_b64 s[12:13], exec
	v_lshrrev_b32_e32 v2, 20, v2
                                        ; implicit-def: $vgpr3
	s_andn2_saveexec_b64 s[14:15], s[14:15]
	s_cbranch_execnz .LBB388_563
.LBB388_335:
	s_or_b64 exec, exec, s[14:15]
	v_mov_b32_e32 v4, 0
	s_and_saveexec_b64 s[14:15], s[12:13]
.LBB388_336:
	v_mov_b32_e32 v4, v2
.LBB388_337:
	s_or_b64 exec, exec, s[14:15]
.LBB388_338:
	s_or_b64 exec, exec, s[10:11]
	global_store_byte v[0:1], v4, off
.LBB388_339:
	s_mov_b64 s[10:11], -1
.LBB388_340:
	s_mov_b64 s[12:13], 0
.LBB388_341:
	s_and_b64 vcc, exec, s[12:13]
	s_cbranch_vccz .LBB388_382
; %bb.342:
	s_cmp_gt_i32 s17, 22
	s_mov_b64 s[12:13], -1
	s_cbranch_scc0 .LBB388_374
; %bb.343:
	s_cmp_lt_i32 s17, 24
	s_mov_b64 s[10:11], -1
	s_cbranch_scc1 .LBB388_363
; %bb.344:
	s_cmp_gt_i32 s17, 24
	s_cbranch_scc0 .LBB388_352
; %bb.345:
	v_cndmask_b32_e64 v3, 0, 1.0, s[8:9]
	s_mov_b32 s10, 0x47800000
	v_cmp_gt_u32_e32 vcc, s10, v3
	v_mov_b32_e32 v4, 0x80
	s_and_saveexec_b64 s[10:11], vcc
	s_cbranch_execz .LBB388_351
; %bb.346:
	s_mov_b32 s12, 0x37ffffff
	v_cmp_lt_u32_e32 vcc, s12, v3
	s_mov_b64 s[12:13], 0
                                        ; implicit-def: $vgpr2
	s_and_saveexec_b64 s[14:15], vcc
	s_xor_b64 s[14:15], exec, s[14:15]
	s_cbranch_execz .LBB388_565
; %bb.347:
	v_bfe_u32 v2, v3, 21, 1
	s_mov_b32 s18, 0x88fffff
	v_add3_u32 v2, v3, v2, s18
	s_mov_b64 s[12:13], exec
	v_lshrrev_b32_e32 v2, 21, v2
                                        ; implicit-def: $vgpr3
	s_andn2_saveexec_b64 s[14:15], s[14:15]
	s_cbranch_execnz .LBB388_566
.LBB388_348:
	s_or_b64 exec, exec, s[14:15]
	v_mov_b32_e32 v4, 0
	s_and_saveexec_b64 s[14:15], s[12:13]
.LBB388_349:
	v_mov_b32_e32 v4, v2
.LBB388_350:
	s_or_b64 exec, exec, s[14:15]
.LBB388_351:
	s_or_b64 exec, exec, s[10:11]
	s_mov_b64 s[10:11], 0
	global_store_byte v[0:1], v4, off
.LBB388_352:
	s_and_b64 vcc, exec, s[10:11]
	s_cbranch_vccz .LBB388_362
; %bb.353:
	v_cndmask_b32_e64 v2, 0, 1.0, s[8:9]
	s_mov_b32 s10, 0x43f00000
	v_cmp_gt_u32_e32 vcc, s10, v2
                                        ; implicit-def: $vgpr3
	s_and_saveexec_b64 s[10:11], vcc
	s_xor_b64 s[10:11], exec, s[10:11]
	s_cbranch_execz .LBB388_359
; %bb.354:
	s_mov_b32 s12, 0x3c7fffff
	v_cmp_lt_u32_e32 vcc, s12, v2
                                        ; implicit-def: $vgpr3
	s_and_saveexec_b64 s[12:13], vcc
	s_xor_b64 s[12:13], exec, s[12:13]
; %bb.355:
	v_bfe_u32 v3, v2, 20, 1
	s_mov_b32 s14, 0x407ffff
	v_add3_u32 v2, v2, v3, s14
	v_lshrrev_b32_e32 v3, 20, v2
	v_and_b32_e32 v2, 0xff00000, v2
	s_mov_b32 s14, 0x7f00000
	v_mov_b32_e32 v4, 0x7e
	v_cmp_ne_u32_e32 vcc, s14, v2
	v_cndmask_b32_e32 v3, v4, v3, vcc
                                        ; implicit-def: $vgpr2
; %bb.356:
	s_andn2_saveexec_b64 s[12:13], s[12:13]
; %bb.357:
	v_add_f32_e32 v3, 0x46800000, v2
; %bb.358:
	s_or_b64 exec, exec, s[12:13]
                                        ; implicit-def: $vgpr2
.LBB388_359:
	s_andn2_saveexec_b64 s[10:11], s[10:11]
; %bb.360:
	s_mov_b32 s12, 0x7f800000
	v_mov_b32_e32 v3, 0x7e
	v_mov_b32_e32 v4, 0x7f
	v_cmp_lt_u32_e32 vcc, s12, v2
	v_cndmask_b32_e32 v3, v3, v4, vcc
; %bb.361:
	s_or_b64 exec, exec, s[10:11]
	global_store_byte v[0:1], v3, off
.LBB388_362:
	s_mov_b64 s[10:11], 0
.LBB388_363:
	s_andn2_b64 vcc, exec, s[10:11]
	s_cbranch_vccnz .LBB388_373
; %bb.364:
	v_cndmask_b32_e64 v2, 0, 1.0, s[8:9]
	s_mov_b32 s10, 0x47800000
	v_cmp_gt_u32_e32 vcc, s10, v2
                                        ; implicit-def: $vgpr3
	s_and_saveexec_b64 s[10:11], vcc
	s_xor_b64 s[10:11], exec, s[10:11]
	s_cbranch_execz .LBB388_370
; %bb.365:
	s_mov_b32 s12, 0x387fffff
	v_cmp_lt_u32_e32 vcc, s12, v2
                                        ; implicit-def: $vgpr3
	s_and_saveexec_b64 s[12:13], vcc
	s_xor_b64 s[12:13], exec, s[12:13]
; %bb.366:
	v_bfe_u32 v3, v2, 21, 1
	s_mov_b32 s14, 0x80fffff
	v_add3_u32 v2, v2, v3, s14
	v_lshrrev_b32_e32 v3, 21, v2
                                        ; implicit-def: $vgpr2
; %bb.367:
	s_andn2_saveexec_b64 s[12:13], s[12:13]
; %bb.368:
	v_add_f32_e32 v3, 0x43000000, v2
; %bb.369:
	s_or_b64 exec, exec, s[12:13]
                                        ; implicit-def: $vgpr2
.LBB388_370:
	s_andn2_saveexec_b64 s[10:11], s[10:11]
; %bb.371:
	s_mov_b32 s12, 0x7f800000
	v_mov_b32_e32 v3, 0x7c
	v_mov_b32_e32 v4, 0x7f
	v_cmp_lt_u32_e32 vcc, s12, v2
	v_cndmask_b32_e32 v3, v3, v4, vcc
; %bb.372:
	s_or_b64 exec, exec, s[10:11]
	global_store_byte v[0:1], v3, off
.LBB388_373:
	s_mov_b64 s[12:13], 0
	s_mov_b64 s[10:11], -1
.LBB388_374:
	s_andn2_b64 vcc, exec, s[12:13]
	s_cbranch_vccnz .LBB388_382
; %bb.375:
	s_cmp_gt_i32 s17, 14
	s_mov_b64 s[12:13], -1
	s_cbranch_scc0 .LBB388_379
; %bb.376:
	s_cmp_eq_u32 s17, 15
	s_mov_b64 s[0:1], -1
	s_cbranch_scc0 .LBB388_378
; %bb.377:
	v_cndmask_b32_e64 v2, 0, 1.0, s[8:9]
	v_bfe_u32 v3, v2, 16, 1
	s_movk_i32 s0, 0x7fff
	v_add3_u32 v2, v2, v3, s0
	global_store_short_d16_hi v[0:1], v2, off
	s_mov_b64 s[10:11], -1
	s_mov_b64 s[0:1], 0
.LBB388_378:
	s_mov_b64 s[12:13], 0
.LBB388_379:
	s_and_b64 vcc, exec, s[12:13]
	s_cbranch_vccz .LBB388_382
; %bb.380:
	s_cmp_eq_u32 s17, 11
	s_mov_b64 s[0:1], -1
	s_cbranch_scc0 .LBB388_382
; %bb.381:
	v_cndmask_b32_e64 v2, 0, 1, s[8:9]
	s_mov_b64 s[10:11], -1
	s_mov_b64 s[0:1], 0
	global_store_byte v[0:1], v2, off
.LBB388_382:
	s_mov_b64 s[12:13], 0
.LBB388_383:
	s_and_b64 vcc, exec, s[12:13]
	s_cbranch_vccz .LBB388_422
; %bb.384:
	s_and_b32 s12, 0xffff, s16
	s_cmp_lt_i32 s12, 5
	s_mov_b64 s[10:11], -1
	s_cbranch_scc1 .LBB388_405
; %bb.385:
	s_cmp_lt_i32 s12, 8
	s_cbranch_scc1 .LBB388_395
; %bb.386:
	s_cmp_lt_i32 s12, 9
	s_cbranch_scc1 .LBB388_392
; %bb.387:
	s_cmp_gt_i32 s12, 9
	s_cbranch_scc0 .LBB388_389
; %bb.388:
	v_cndmask_b32_e64 v2, 0, 1, s[8:9]
	v_cvt_f64_u32_e32 v[2:3], v2
	v_mov_b32_e32 v4, 0
	v_mov_b32_e32 v5, v4
	s_mov_b64 s[10:11], 0
	global_store_dwordx4 v[0:1], v[2:5], off
.LBB388_389:
	s_andn2_b64 vcc, exec, s[10:11]
	s_cbranch_vccnz .LBB388_391
; %bb.390:
	v_cndmask_b32_e64 v2, 0, 1.0, s[8:9]
	v_mov_b32_e32 v3, 0
	global_store_dwordx2 v[0:1], v[2:3], off
.LBB388_391:
	s_mov_b64 s[10:11], 0
.LBB388_392:
	s_andn2_b64 vcc, exec, s[10:11]
	s_cbranch_vccnz .LBB388_394
; %bb.393:
	v_cndmask_b32_e64 v2, 0, 1.0, s[8:9]
	v_cvt_f16_f32_e32 v2, v2
	global_store_dword v[0:1], v2, off
.LBB388_394:
	s_mov_b64 s[10:11], 0
.LBB388_395:
	s_andn2_b64 vcc, exec, s[10:11]
	s_cbranch_vccnz .LBB388_404
; %bb.396:
	s_cmp_lt_i32 s12, 6
	s_mov_b64 s[10:11], -1
	s_cbranch_scc1 .LBB388_402
; %bb.397:
	s_cmp_gt_i32 s12, 6
	s_cbranch_scc0 .LBB388_399
; %bb.398:
	v_cndmask_b32_e64 v2, 0, 1, s[8:9]
	v_cvt_f64_u32_e32 v[2:3], v2
	s_mov_b64 s[10:11], 0
	global_store_dwordx2 v[0:1], v[2:3], off
.LBB388_399:
	s_andn2_b64 vcc, exec, s[10:11]
	s_cbranch_vccnz .LBB388_401
; %bb.400:
	v_cndmask_b32_e64 v2, 0, 1.0, s[8:9]
	global_store_dword v[0:1], v2, off
.LBB388_401:
	s_mov_b64 s[10:11], 0
.LBB388_402:
	s_andn2_b64 vcc, exec, s[10:11]
	s_cbranch_vccnz .LBB388_404
; %bb.403:
	v_cndmask_b32_e64 v2, 0, 1.0, s[8:9]
	v_cvt_f16_f32_e32 v2, v2
	global_store_short v[0:1], v2, off
.LBB388_404:
	s_mov_b64 s[10:11], 0
.LBB388_405:
	s_andn2_b64 vcc, exec, s[10:11]
	s_cbranch_vccnz .LBB388_421
; %bb.406:
	s_cmp_lt_i32 s12, 2
	s_mov_b64 s[10:11], -1
	s_cbranch_scc1 .LBB388_416
; %bb.407:
	s_cmp_lt_i32 s12, 3
	s_cbranch_scc1 .LBB388_413
; %bb.408:
	s_cmp_gt_i32 s12, 3
	s_cbranch_scc0 .LBB388_410
; %bb.409:
	s_mov_b32 s10, 0
	v_cndmask_b32_e64 v2, 0, 1, s[8:9]
	v_mov_b32_e32 v3, s10
	s_mov_b64 s[10:11], 0
	global_store_dwordx2 v[0:1], v[2:3], off
.LBB388_410:
	s_andn2_b64 vcc, exec, s[10:11]
	s_cbranch_vccnz .LBB388_412
; %bb.411:
	v_cndmask_b32_e64 v2, 0, 1, s[8:9]
	global_store_dword v[0:1], v2, off
.LBB388_412:
	s_mov_b64 s[10:11], 0
.LBB388_413:
	s_andn2_b64 vcc, exec, s[10:11]
	s_cbranch_vccnz .LBB388_415
; %bb.414:
	v_cndmask_b32_e64 v2, 0, 1, s[8:9]
	global_store_short v[0:1], v2, off
.LBB388_415:
	s_mov_b64 s[10:11], 0
.LBB388_416:
	s_andn2_b64 vcc, exec, s[10:11]
	s_cbranch_vccnz .LBB388_421
; %bb.417:
	s_mov_b64 s[10:11], -1
	s_cmp_gt_i32 s12, 0
	v_cndmask_b32_e64 v2, 0, 1, s[8:9]
	s_cbranch_scc0 .LBB388_419
; %bb.418:
	s_mov_b64 s[10:11], 0
	global_store_byte v[0:1], v2, off
.LBB388_419:
	s_andn2_b64 vcc, exec, s[10:11]
	s_cbranch_vccnz .LBB388_421
; %bb.420:
	global_store_byte v[0:1], v2, off
.LBB388_421:
	s_mov_b64 s[10:11], -1
.LBB388_422:
	s_andn2_b64 vcc, exec, s[10:11]
	s_cbranch_vccnz .LBB388_424
; %bb.423:
	v_add_u32_e32 v8, 0x80, v8
	s_mov_b64 s[8:9], -1
	s_branch .LBB388_533
.LBB388_424:
	s_mov_b64 s[8:9], 0
	s_branch .LBB388_532
.LBB388_425:
	s_mov_b64 s[2:3], -1
                                        ; implicit-def: $vgpr3
.LBB388_426:
	s_mov_b64 s[8:9], 0
.LBB388_427:
	s_and_b64 vcc, exec, s[8:9]
	s_cbranch_vccz .LBB388_431
; %bb.428:
	s_cmp_eq_u32 s10, 29
	s_cbranch_scc0 .LBB388_430
; %bb.429:
	global_load_dwordx2 v[3:4], v[1:2], off
	s_mov_b64 s[0:1], -1
	s_mov_b64 s[2:3], 0
	s_branch .LBB388_431
.LBB388_430:
	s_mov_b64 s[2:3], -1
                                        ; implicit-def: $vgpr3
.LBB388_431:
	s_mov_b64 s[8:9], 0
.LBB388_432:
	s_and_b64 vcc, exec, s[8:9]
	s_cbranch_vccz .LBB388_448
; %bb.433:
	s_cmp_lt_i32 s10, 27
	s_cbranch_scc1 .LBB388_436
; %bb.434:
	s_cmp_gt_i32 s10, 27
	s_cbranch_scc0 .LBB388_437
; %bb.435:
	global_load_dword v3, v[1:2], off
	s_mov_b64 s[0:1], 0
	s_branch .LBB388_438
.LBB388_436:
	s_mov_b64 s[0:1], -1
                                        ; implicit-def: $vgpr3
	s_branch .LBB388_441
.LBB388_437:
	s_mov_b64 s[0:1], -1
                                        ; implicit-def: $vgpr3
.LBB388_438:
	s_andn2_b64 vcc, exec, s[0:1]
	s_cbranch_vccnz .LBB388_440
; %bb.439:
	global_load_ushort v3, v[1:2], off
.LBB388_440:
	s_mov_b64 s[0:1], 0
.LBB388_441:
	s_andn2_b64 vcc, exec, s[0:1]
	s_cbranch_vccnz .LBB388_447
; %bb.442:
	global_load_ubyte v4, v[1:2], off
	s_movk_i32 s0, 0x7f
	s_mov_b64 s[8:9], 0
	s_waitcnt vmcnt(0)
	v_cmp_lt_i16_e32 vcc, s0, v4
	s_and_saveexec_b64 s[0:1], vcc
	s_xor_b64 s[0:1], exec, s[0:1]
	s_cbranch_execz .LBB388_459
; %bb.443:
	s_movk_i32 s8, 0x80
	v_cmp_ne_u16_e32 vcc, s8, v4
	s_and_b64 s[8:9], vcc, exec
	s_andn2_saveexec_b64 s[0:1], s[0:1]
	s_cbranch_execnz .LBB388_460
.LBB388_444:
	s_or_b64 exec, exec, s[0:1]
	v_mov_b32_e32 v3, 0
	s_and_saveexec_b64 s[0:1], s[8:9]
	s_cbranch_execz .LBB388_446
.LBB388_445:
	v_lshlrev_b32_e32 v3, 24, v4
	v_and_b32_e32 v4, 0xffff, v4
	v_and_b32_e32 v5, 7, v4
	v_ffbh_u32_e32 v7, v5
	v_min_u32_e32 v7, 32, v7
	v_subrev_u32_e32 v9, 28, v7
	v_bfe_u32 v6, v4, 3, 4
	v_lshlrev_b32_e32 v4, v9, v4
	v_sub_u32_e32 v7, 29, v7
	v_and_b32_e32 v4, 7, v4
	v_cmp_eq_u32_e32 vcc, 0, v6
	v_cndmask_b32_e32 v6, v6, v7, vcc
	v_cndmask_b32_e32 v4, v5, v4, vcc
	v_mov_b32_e32 v5, 0x3b800000
	v_lshlrev_b32_e32 v4, 20, v4
	v_and_b32_e32 v3, 0x80000000, v3
	v_lshl_add_u32 v5, v6, 23, v5
	v_or3_b32 v3, v3, v5, v4
	v_cvt_i32_f32_e32 v3, v3
.LBB388_446:
	s_or_b64 exec, exec, s[0:1]
.LBB388_447:
	s_mov_b64 s[0:1], -1
.LBB388_448:
	s_mov_b64 s[8:9], 0
.LBB388_449:
	s_and_b64 vcc, exec, s[8:9]
	s_cbranch_vccz .LBB388_482
; %bb.450:
	s_cmp_gt_i32 s10, 22
	s_cbranch_scc0 .LBB388_458
; %bb.451:
	s_cmp_lt_i32 s10, 24
	s_cbranch_scc1 .LBB388_461
; %bb.452:
	s_cmp_gt_i32 s10, 24
	s_cbranch_scc0 .LBB388_462
; %bb.453:
	global_load_ubyte v4, v[1:2], off
	s_movk_i32 s0, 0x7f
	s_mov_b64 s[8:9], 0
	s_waitcnt vmcnt(0)
	v_cmp_lt_i16_e32 vcc, s0, v4
	s_and_saveexec_b64 s[0:1], vcc
	s_xor_b64 s[0:1], exec, s[0:1]
	s_cbranch_execz .LBB388_474
; %bb.454:
	s_movk_i32 s8, 0x80
	v_cmp_ne_u16_e32 vcc, s8, v4
	s_and_b64 s[8:9], vcc, exec
	s_andn2_saveexec_b64 s[0:1], s[0:1]
	s_cbranch_execnz .LBB388_475
.LBB388_455:
	s_or_b64 exec, exec, s[0:1]
	v_mov_b32_e32 v3, 0
	s_and_saveexec_b64 s[0:1], s[8:9]
	s_cbranch_execz .LBB388_457
.LBB388_456:
	v_lshlrev_b32_e32 v3, 24, v4
	v_and_b32_e32 v4, 0xffff, v4
	v_and_b32_e32 v5, 3, v4
	v_ffbh_u32_e32 v7, v5
	v_min_u32_e32 v7, 32, v7
	v_subrev_u32_e32 v9, 29, v7
	v_bfe_u32 v6, v4, 2, 5
	v_lshlrev_b32_e32 v4, v9, v4
	v_sub_u32_e32 v7, 30, v7
	v_and_b32_e32 v4, 3, v4
	v_cmp_eq_u32_e32 vcc, 0, v6
	v_cndmask_b32_e32 v6, v6, v7, vcc
	v_cndmask_b32_e32 v4, v5, v4, vcc
	v_mov_b32_e32 v5, 0x37800000
	v_lshlrev_b32_e32 v4, 21, v4
	v_and_b32_e32 v3, 0x80000000, v3
	v_lshl_add_u32 v5, v6, 23, v5
	v_or3_b32 v3, v3, v5, v4
	v_cvt_i32_f32_e32 v3, v3
.LBB388_457:
	s_or_b64 exec, exec, s[0:1]
	s_mov_b64 s[0:1], 0
	s_branch .LBB388_463
.LBB388_458:
	s_mov_b64 s[8:9], -1
                                        ; implicit-def: $vgpr3
	s_branch .LBB388_469
.LBB388_459:
	s_andn2_saveexec_b64 s[0:1], s[0:1]
	s_cbranch_execz .LBB388_444
.LBB388_460:
	v_cmp_ne_u16_e32 vcc, 0, v4
	s_andn2_b64 s[8:9], s[8:9], exec
	s_and_b64 s[12:13], vcc, exec
	s_or_b64 s[8:9], s[8:9], s[12:13]
	s_or_b64 exec, exec, s[0:1]
	v_mov_b32_e32 v3, 0
	s_and_saveexec_b64 s[0:1], s[8:9]
	s_cbranch_execnz .LBB388_445
	s_branch .LBB388_446
.LBB388_461:
	s_mov_b64 s[0:1], -1
                                        ; implicit-def: $vgpr3
	s_branch .LBB388_466
.LBB388_462:
	s_mov_b64 s[0:1], -1
                                        ; implicit-def: $vgpr3
.LBB388_463:
	s_and_b64 vcc, exec, s[0:1]
	s_cbranch_vccz .LBB388_465
; %bb.464:
	global_load_ubyte v3, v[1:2], off
	s_mov_b32 s0, 0x7f800000
	s_waitcnt vmcnt(0)
	v_lshlrev_b32_e32 v3, 24, v3
	v_and_b32_e32 v4, 0x7f000000, v3
	v_ffbh_u32_e32 v5, v4
	v_min_u32_e32 v5, 32, v5
	v_sub_u32_e64 v5, v5, 4 clamp
	v_lshlrev_b32_e32 v7, v5, v4
	v_lshlrev_b32_e32 v5, 23, v5
	v_lshrrev_b32_e32 v7, 4, v7
	v_add_u32_e32 v6, 0x1000000, v4
	v_sub_u32_e32 v5, v7, v5
	v_ashrrev_i32_e32 v6, 8, v6
	v_add_u32_e32 v5, 0x3c000000, v5
	v_and_or_b32 v5, v6, s0, v5
	v_cmp_ne_u32_e32 vcc, 0, v4
	v_cndmask_b32_e32 v4, 0, v5, vcc
	s_brev_b32 s0, 1
	v_and_or_b32 v3, v3, s0, v4
	v_cvt_i32_f32_e32 v3, v3
.LBB388_465:
	s_mov_b64 s[0:1], 0
.LBB388_466:
	s_andn2_b64 vcc, exec, s[0:1]
	s_cbranch_vccnz .LBB388_468
; %bb.467:
	global_load_ubyte v3, v[1:2], off
	s_movk_i32 s0, 0x7f00
	s_brev_b32 s1, 16
	s_waitcnt vmcnt(0)
	v_lshlrev_b16_e32 v4, 8, v3
	v_lshlrev_b32_e32 v3, 25, v3
	v_lshrrev_b32_e32 v5, 4, v3
	v_and_or_b32 v6, v4, s0, 0.5
	v_or_b32_e32 v5, 0x70000000, v5
	v_add_f32_e32 v6, -0.5, v6
	v_mul_f32_e32 v5, 0x7800000, v5
	v_cmp_gt_u32_e32 vcc, s1, v3
	v_bfe_i32 v4, v4, 0, 16
	v_cndmask_b32_e32 v3, v5, v6, vcc
	s_brev_b32 s0, 1
	v_and_or_b32 v3, v4, s0, v3
	v_cvt_i32_f32_e32 v3, v3
.LBB388_468:
	s_mov_b64 s[8:9], 0
	s_mov_b64 s[0:1], -1
.LBB388_469:
	s_andn2_b64 vcc, exec, s[8:9]
	s_cbranch_vccnz .LBB388_482
; %bb.470:
	s_cmp_gt_i32 s10, 14
	s_cbranch_scc0 .LBB388_473
; %bb.471:
	s_cmp_eq_u32 s10, 15
	s_cbranch_scc0 .LBB388_476
; %bb.472:
	global_load_ushort v3, v[1:2], off
	s_mov_b64 s[0:1], -1
	s_mov_b64 s[2:3], 0
	s_waitcnt vmcnt(0)
	v_lshlrev_b32_e32 v3, 16, v3
	v_cvt_i32_f32_e32 v3, v3
	s_branch .LBB388_477
.LBB388_473:
	s_mov_b64 s[8:9], -1
                                        ; implicit-def: $vgpr3
	s_branch .LBB388_478
.LBB388_474:
	s_andn2_saveexec_b64 s[0:1], s[0:1]
	s_cbranch_execz .LBB388_455
.LBB388_475:
	v_cmp_ne_u16_e32 vcc, 0, v4
	s_andn2_b64 s[8:9], s[8:9], exec
	s_and_b64 s[12:13], vcc, exec
	s_or_b64 s[8:9], s[8:9], s[12:13]
	s_or_b64 exec, exec, s[0:1]
	v_mov_b32_e32 v3, 0
	s_and_saveexec_b64 s[0:1], s[8:9]
	s_cbranch_execnz .LBB388_456
	s_branch .LBB388_457
.LBB388_476:
	s_mov_b64 s[2:3], -1
                                        ; implicit-def: $vgpr3
.LBB388_477:
	s_mov_b64 s[8:9], 0
.LBB388_478:
	s_and_b64 vcc, exec, s[8:9]
	s_cbranch_vccz .LBB388_482
; %bb.479:
	s_cmp_eq_u32 s10, 11
	s_cbranch_scc0 .LBB388_481
; %bb.480:
	global_load_ubyte v3, v[1:2], off
	s_mov_b64 s[0:1], -1
	s_mov_b64 s[2:3], 0
	s_waitcnt vmcnt(0)
	v_cmp_ne_u16_e32 vcc, 0, v3
	v_cndmask_b32_e64 v3, 0, 1, vcc
	s_branch .LBB388_482
.LBB388_481:
	s_mov_b64 s[2:3], -1
                                        ; implicit-def: $vgpr3
.LBB388_482:
	s_branch .LBB388_289
.LBB388_483:
	s_cmp_lt_i32 s10, 5
	s_cbranch_scc1 .LBB388_488
; %bb.484:
	s_cmp_lt_i32 s10, 8
	s_cbranch_scc1 .LBB388_489
; %bb.485:
	;; [unrolled: 3-line block ×3, first 2 shown]
	s_cmp_gt_i32 s10, 9
	s_cbranch_scc0 .LBB388_491
; %bb.487:
	global_load_dwordx2 v[3:4], v[1:2], off
	s_mov_b64 s[0:1], 0
	s_waitcnt vmcnt(0)
	v_cvt_i32_f64_e32 v3, v[3:4]
	s_branch .LBB388_492
.LBB388_488:
	s_mov_b64 s[0:1], -1
                                        ; implicit-def: $vgpr3
	s_branch .LBB388_510
.LBB388_489:
	s_mov_b64 s[0:1], -1
                                        ; implicit-def: $vgpr3
	s_branch .LBB388_498
.LBB388_490:
	s_mov_b64 s[0:1], -1
                                        ; implicit-def: $vgpr3
	s_branch .LBB388_495
.LBB388_491:
	s_mov_b64 s[0:1], -1
                                        ; implicit-def: $vgpr3
.LBB388_492:
	s_andn2_b64 vcc, exec, s[0:1]
	s_cbranch_vccnz .LBB388_494
; %bb.493:
	global_load_dword v3, v[1:2], off
	s_waitcnt vmcnt(0)
	v_cvt_i32_f32_e32 v3, v3
.LBB388_494:
	s_mov_b64 s[0:1], 0
.LBB388_495:
	s_andn2_b64 vcc, exec, s[0:1]
	s_cbranch_vccnz .LBB388_497
; %bb.496:
	global_load_dword v3, v[1:2], off
	s_waitcnt vmcnt(0)
	v_cvt_i16_f16_e32 v3, v3
.LBB388_497:
	s_mov_b64 s[0:1], 0
.LBB388_498:
	s_andn2_b64 vcc, exec, s[0:1]
	s_cbranch_vccnz .LBB388_509
; %bb.499:
	s_cmp_lt_i32 s10, 6
	s_cbranch_scc1 .LBB388_502
; %bb.500:
	s_cmp_gt_i32 s10, 6
	s_cbranch_scc0 .LBB388_503
; %bb.501:
	global_load_dwordx2 v[3:4], v[1:2], off
	s_mov_b64 s[0:1], 0
	s_waitcnt vmcnt(0)
	v_cvt_i32_f64_e32 v3, v[3:4]
	s_branch .LBB388_504
.LBB388_502:
	s_mov_b64 s[0:1], -1
                                        ; implicit-def: $vgpr3
	s_branch .LBB388_507
.LBB388_503:
	s_mov_b64 s[0:1], -1
                                        ; implicit-def: $vgpr3
.LBB388_504:
	s_andn2_b64 vcc, exec, s[0:1]
	s_cbranch_vccnz .LBB388_506
; %bb.505:
	global_load_dword v3, v[1:2], off
	s_waitcnt vmcnt(0)
	v_cvt_i32_f32_e32 v3, v3
.LBB388_506:
	s_mov_b64 s[0:1], 0
.LBB388_507:
	s_andn2_b64 vcc, exec, s[0:1]
	s_cbranch_vccnz .LBB388_509
; %bb.508:
	global_load_ushort v3, v[1:2], off
	s_waitcnt vmcnt(0)
	v_cvt_i16_f16_e32 v3, v3
.LBB388_509:
	s_mov_b64 s[0:1], 0
.LBB388_510:
	s_andn2_b64 vcc, exec, s[0:1]
	s_cbranch_vccnz .LBB388_530
; %bb.511:
	s_cmp_lt_i32 s10, 2
	s_cbranch_scc1 .LBB388_515
; %bb.512:
	s_cmp_lt_i32 s10, 3
	s_cbranch_scc1 .LBB388_516
; %bb.513:
	s_cmp_gt_i32 s10, 3
	s_cbranch_scc0 .LBB388_517
; %bb.514:
	global_load_dwordx2 v[3:4], v[1:2], off
	s_mov_b64 s[0:1], 0
	s_branch .LBB388_518
.LBB388_515:
	s_mov_b64 s[0:1], -1
                                        ; implicit-def: $vgpr3
	s_branch .LBB388_524
.LBB388_516:
	s_mov_b64 s[0:1], -1
                                        ; implicit-def: $vgpr3
	s_branch .LBB388_521
.LBB388_517:
	s_mov_b64 s[0:1], -1
                                        ; implicit-def: $vgpr3
.LBB388_518:
	s_andn2_b64 vcc, exec, s[0:1]
	s_cbranch_vccnz .LBB388_520
; %bb.519:
	global_load_dword v3, v[1:2], off
.LBB388_520:
	s_mov_b64 s[0:1], 0
.LBB388_521:
	s_andn2_b64 vcc, exec, s[0:1]
	s_cbranch_vccnz .LBB388_523
; %bb.522:
	global_load_ushort v3, v[1:2], off
.LBB388_523:
	s_mov_b64 s[0:1], 0
.LBB388_524:
	s_andn2_b64 vcc, exec, s[0:1]
	s_cbranch_vccnz .LBB388_530
; %bb.525:
	s_cmp_gt_i32 s10, 0
	s_cbranch_scc0 .LBB388_527
; %bb.526:
	global_load_ubyte v3, v[1:2], off
	s_mov_b64 s[0:1], 0
	s_branch .LBB388_528
.LBB388_527:
	s_mov_b64 s[0:1], -1
                                        ; implicit-def: $vgpr3
.LBB388_528:
	s_andn2_b64 vcc, exec, s[0:1]
	s_cbranch_vccnz .LBB388_530
; %bb.529:
	global_load_ubyte v3, v[1:2], off
.LBB388_530:
	s_branch .LBB388_290
.LBB388_531:
	s_mov_b64 s[8:9], 0
	s_mov_b64 s[0:1], s[56:57]
.LBB388_532:
                                        ; implicit-def: $vgpr8
.LBB388_533:
	s_andn2_b64 s[10:11], s[56:57], exec
	s_and_b64 s[0:1], s[0:1], exec
	s_or_b64 s[64:65], s[10:11], s[0:1]
	s_andn2_b64 s[0:1], s[58:59], exec
	s_and_b64 s[2:3], s[2:3], exec
	s_or_b64 s[62:63], s[0:1], s[2:3]
	s_orn2_b64 s[0:1], s[8:9], exec
.LBB388_534:
	s_or_b64 exec, exec, s[66:67]
	s_mov_b64 s[2:3], 0
	s_mov_b64 s[8:9], 0
	;; [unrolled: 1-line block ×3, first 2 shown]
                                        ; implicit-def: $vgpr1_vgpr2
                                        ; implicit-def: $vgpr0
                                        ; implicit-def: $vgpr3
	s_and_saveexec_b64 s[66:67], s[0:1]
	s_cbranch_execz .LBB388_901
; %bb.535:
	v_cmp_gt_i32_e32 vcc, s74, v8
	s_mov_b64 s[2:3], -1
	s_mov_b64 s[70:71], s[62:63]
	s_mov_b64 s[72:73], s[64:65]
	s_and_saveexec_b64 s[68:69], vcc
	s_cbranch_execz .LBB388_805
; %bb.536:
	s_andn2_b64 vcc, exec, s[40:41]
	s_cbranch_vccnz .LBB388_541
; %bb.537:
	s_andn2_b64 vcc, exec, s[54:55]
	s_cbranch_vccnz .LBB388_542
; %bb.538:
	s_add_i32 s75, s79, 1
	s_cmp_eq_u32 s76, 2
	s_cbranch_scc1 .LBB388_543
; %bb.539:
	s_and_b32 s44, s75, 28
	v_mov_b32_e32 v2, 0
	s_mov_b32 s80, 0
	s_mov_b64 s[70:71], s[34:35]
	s_mov_b64 s[72:73], s[52:53]
	v_mov_b32_e32 v0, 0
	v_mov_b32_e32 v1, v8
.LBB388_540:                            ; =>This Inner Loop Header: Depth=1
	s_load_dwordx8 s[16:23], s[70:71], 0x4
	s_load_dwordx4 s[0:3], s[70:71], 0x24
	s_load_dwordx8 s[8:15], s[72:73], 0x0
	s_add_u32 s70, s70, 48
	s_addc_u32 s71, s71, 0
	s_waitcnt vmcnt(0) lgkmcnt(0)
	v_mul_hi_u32 v3, s17, v1
	s_add_i32 s80, s80, 4
	s_add_u32 s72, s72, 32
	s_addc_u32 s73, s73, 0
	v_add_u32_e32 v3, v1, v3
	v_lshrrev_b32_e32 v3, s18, v3
	v_mul_lo_u32 v4, v3, s16
	v_mul_hi_u32 v5, s20, v3
	s_cmp_eq_u32 s44, s80
	v_sub_u32_e32 v1, v1, v4
	v_add_u32_e32 v4, v3, v5
	v_mul_lo_u32 v5, v1, s8
	v_mul_lo_u32 v6, v1, s9
	v_lshrrev_b32_e32 v1, s21, v4
	v_mul_lo_u32 v4, v1, s19
	v_mul_hi_u32 v7, s23, v1
	v_sub_u32_e32 v3, v3, v4
	v_add_u32_e32 v4, v1, v7
	v_lshrrev_b32_e32 v4, s0, v4
	v_mul_hi_u32 v9, s2, v4
	v_mul_lo_u32 v10, v4, s22
	v_mul_lo_u32 v7, v3, s10
	;; [unrolled: 1-line block ×3, first 2 shown]
	v_sub_u32_e32 v10, v1, v10
	v_add_u32_e32 v1, v4, v9
	v_lshrrev_b32_e32 v1, s3, v1
	v_mul_lo_u32 v9, v1, s1
	v_mul_lo_u32 v11, v10, s12
	;; [unrolled: 1-line block ×3, first 2 shown]
	v_add3_u32 v0, v5, v0, v7
	v_sub_u32_e32 v4, v4, v9
	v_mul_lo_u32 v9, v4, s14
	v_mul_lo_u32 v4, v4, s15
	v_add3_u32 v2, v6, v2, v3
	v_add3_u32 v0, v11, v0, v9
	;; [unrolled: 1-line block ×3, first 2 shown]
	s_cbranch_scc0 .LBB388_540
	s_branch .LBB388_544
.LBB388_541:
	s_mov_b64 s[0:1], -1
                                        ; implicit-def: $vgpr0
                                        ; implicit-def: $vgpr2
	s_branch .LBB388_548
.LBB388_542:
	v_mov_b32_e32 v0, 0
	v_mov_b32_e32 v2, 0
	s_branch .LBB388_547
.LBB388_543:
	s_mov_b32 s44, 0
	v_mov_b32_e32 v0, 0
	v_mov_b32_e32 v2, 0
	;; [unrolled: 1-line block ×3, first 2 shown]
.LBB388_544:
	s_and_b32 s8, s75, 3
	s_cmp_eq_u32 s8, 0
	s_cbranch_scc1 .LBB388_547
; %bb.545:
	s_lshl_b32 s0, s44, 3
	s_add_u32 s0, s34, s0
	s_addc_u32 s1, s35, 0
	s_add_u32 s0, s0, 0xc4
	s_addc_u32 s1, s1, 0
	s_mul_i32 s2, s44, 12
	s_add_u32 s2, s34, s2
	s_addc_u32 s3, s35, 0
.LBB388_546:                            ; =>This Inner Loop Header: Depth=1
	s_load_dwordx2 s[10:11], s[2:3], 0x4
	s_load_dword s9, s[2:3], 0xc
	s_load_dwordx2 s[12:13], s[0:1], 0x0
	s_add_u32 s2, s2, 12
	s_addc_u32 s3, s3, 0
	s_waitcnt vmcnt(0) lgkmcnt(0)
	v_mul_hi_u32 v3, s11, v1
	s_add_u32 s0, s0, 8
	s_addc_u32 s1, s1, 0
	s_add_i32 s8, s8, -1
	v_add_u32_e32 v3, v1, v3
	v_lshrrev_b32_e32 v4, s9, v3
	v_mul_lo_u32 v3, v4, s10
	s_cmp_lg_u32 s8, 0
	v_sub_u32_e32 v3, v1, v3
	v_mad_u64_u32 v[0:1], s[10:11], v3, s12, v[0:1]
	v_mad_u64_u32 v[2:3], s[10:11], v3, s13, v[2:3]
	v_mov_b32_e32 v1, v4
	s_cbranch_scc1 .LBB388_546
.LBB388_547:
	s_mov_b64 s[0:1], 0
.LBB388_548:
	s_andn2_b64 vcc, exec, s[0:1]
	s_cbranch_vccnz .LBB388_551
; %bb.549:
	v_mul_hi_u32 v0, s29, v8
	s_andn2_b64 vcc, exec, s[50:51]
	v_add_u32_e32 v0, v8, v0
	v_lshrrev_b32_e32 v1, s30, v0
	v_mul_lo_u32 v0, v1, s28
	v_sub_u32_e32 v2, v8, v0
	v_mul_lo_u32 v0, v2, s36
	v_mul_lo_u32 v2, v2, s37
	s_cbranch_vccnz .LBB388_551
; %bb.550:
	s_waitcnt vmcnt(0)
	v_mul_hi_u32 v3, s48, v1
	v_add_u32_e32 v3, v1, v3
	v_lshrrev_b32_e32 v3, s49, v3
	v_mul_lo_u32 v3, v3, s31
	v_sub_u32_e32 v3, v1, v3
	v_mad_u64_u32 v[0:1], s[0:1], v3, s38, v[0:1]
	v_mad_u64_u32 v[2:3], s[0:1], v3, s39, v[2:3]
.LBB388_551:
	s_waitcnt vmcnt(0)
	v_mov_b32_e32 v3, s27
	s_and_b32 s10, 0xffff, s78
	v_add_co_u32_e32 v1, vcc, s26, v2
	s_cmp_lt_i32 s10, 11
	v_addc_co_u32_e32 v2, vcc, 0, v3, vcc
	s_cbranch_scc1 .LBB388_558
; %bb.552:
	s_cmp_gt_i32 s10, 25
	s_cbranch_scc0 .LBB388_559
; %bb.553:
	s_cmp_gt_i32 s10, 28
	s_cbranch_scc0 .LBB388_560
; %bb.554:
	s_cmp_gt_i32 s10, 43
	s_cbranch_scc0 .LBB388_561
; %bb.555:
	s_cmp_gt_i32 s10, 45
	s_cbranch_scc0 .LBB388_564
; %bb.556:
	s_cmp_eq_u32 s10, 46
	s_mov_b64 s[8:9], 0
	s_cbranch_scc0 .LBB388_567
; %bb.557:
	global_load_dword v3, v[1:2], off
	s_mov_b64 s[0:1], -1
	s_mov_b64 s[2:3], 0
	s_waitcnt vmcnt(0)
	v_lshlrev_b32_e32 v3, 16, v3
	v_cvt_i32_f32_e32 v3, v3
	s_branch .LBB388_568
.LBB388_558:
	s_mov_b64 s[8:9], -1
	s_mov_b64 s[0:1], 0
                                        ; implicit-def: $vgpr3
	s_mov_b64 s[2:3], s[62:63]
	s_branch .LBB388_629
.LBB388_559:
	s_mov_b64 s[8:9], -1
	s_mov_b64 s[0:1], 0
	s_mov_b64 s[2:3], s[62:63]
                                        ; implicit-def: $vgpr3
	s_branch .LBB388_595
.LBB388_560:
	s_mov_b64 s[8:9], -1
	s_mov_b64 s[0:1], 0
	s_mov_b64 s[2:3], s[62:63]
                                        ; implicit-def: $vgpr3
	s_branch .LBB388_578
.LBB388_561:
	s_mov_b64 s[8:9], -1
	s_mov_b64 s[0:1], 0
	s_mov_b64 s[2:3], s[62:63]
                                        ; implicit-def: $vgpr3
	s_branch .LBB388_573
.LBB388_562:
	s_andn2_saveexec_b64 s[14:15], s[14:15]
	s_cbranch_execz .LBB388_335
.LBB388_563:
	v_add_f32_e32 v2, 0x46000000, v3
	v_and_b32_e32 v2, 0xff, v2
	v_cmp_ne_u32_e32 vcc, 0, v2
	s_andn2_b64 s[12:13], s[12:13], exec
	s_and_b64 s[18:19], vcc, exec
	s_or_b64 s[12:13], s[12:13], s[18:19]
	s_or_b64 exec, exec, s[14:15]
	v_mov_b32_e32 v4, 0
	s_and_saveexec_b64 s[14:15], s[12:13]
	s_cbranch_execnz .LBB388_336
	s_branch .LBB388_337
.LBB388_564:
	s_mov_b64 s[8:9], -1
	s_mov_b64 s[0:1], 0
	s_mov_b64 s[2:3], s[62:63]
                                        ; implicit-def: $vgpr3
	s_branch .LBB388_568
.LBB388_565:
	s_andn2_saveexec_b64 s[14:15], s[14:15]
	s_cbranch_execz .LBB388_348
.LBB388_566:
	v_add_f32_e32 v2, 0x42800000, v3
	v_and_b32_e32 v2, 0xff, v2
	v_cmp_ne_u32_e32 vcc, 0, v2
	s_andn2_b64 s[12:13], s[12:13], exec
	s_and_b64 s[18:19], vcc, exec
	s_or_b64 s[12:13], s[12:13], s[18:19]
	s_or_b64 exec, exec, s[14:15]
	v_mov_b32_e32 v4, 0
	s_and_saveexec_b64 s[14:15], s[12:13]
	s_cbranch_execnz .LBB388_349
	s_branch .LBB388_350
.LBB388_567:
	s_mov_b64 s[2:3], -1
                                        ; implicit-def: $vgpr3
	s_mov_b64 s[0:1], 0
.LBB388_568:
	s_and_b64 vcc, exec, s[8:9]
	s_cbranch_vccz .LBB388_572
; %bb.569:
	s_cmp_eq_u32 s10, 44
	s_cbranch_scc0 .LBB388_571
; %bb.570:
	global_load_ubyte v3, v[1:2], off
	s_mov_b64 s[0:1], -1
	s_mov_b64 s[2:3], 0
	s_waitcnt vmcnt(0)
	v_lshlrev_b32_e32 v4, 23, v3
	v_cvt_i32_f32_e32 v4, v4
	v_cmp_ne_u32_e32 vcc, 0, v3
	v_cndmask_b32_e32 v3, 0, v4, vcc
	s_branch .LBB388_572
.LBB388_571:
	s_mov_b64 s[2:3], -1
                                        ; implicit-def: $vgpr3
.LBB388_572:
	s_mov_b64 s[8:9], 0
.LBB388_573:
	s_and_b64 vcc, exec, s[8:9]
	s_cbranch_vccz .LBB388_577
; %bb.574:
	s_cmp_eq_u32 s10, 29
	s_cbranch_scc0 .LBB388_576
; %bb.575:
	global_load_dwordx2 v[3:4], v[1:2], off
	s_mov_b64 s[0:1], -1
	s_mov_b64 s[2:3], 0
	s_branch .LBB388_577
.LBB388_576:
	s_mov_b64 s[2:3], -1
                                        ; implicit-def: $vgpr3
.LBB388_577:
	s_mov_b64 s[8:9], 0
.LBB388_578:
	s_and_b64 vcc, exec, s[8:9]
	s_cbranch_vccz .LBB388_594
; %bb.579:
	s_cmp_lt_i32 s10, 27
	s_cbranch_scc1 .LBB388_582
; %bb.580:
	s_cmp_gt_i32 s10, 27
	s_cbranch_scc0 .LBB388_583
; %bb.581:
	global_load_dword v3, v[1:2], off
	s_mov_b64 s[0:1], 0
	s_branch .LBB388_584
.LBB388_582:
	s_mov_b64 s[0:1], -1
                                        ; implicit-def: $vgpr3
	s_branch .LBB388_587
.LBB388_583:
	s_mov_b64 s[0:1], -1
                                        ; implicit-def: $vgpr3
.LBB388_584:
	s_andn2_b64 vcc, exec, s[0:1]
	s_cbranch_vccnz .LBB388_586
; %bb.585:
	global_load_ushort v3, v[1:2], off
.LBB388_586:
	s_mov_b64 s[0:1], 0
.LBB388_587:
	s_andn2_b64 vcc, exec, s[0:1]
	s_cbranch_vccnz .LBB388_593
; %bb.588:
	global_load_ubyte v4, v[1:2], off
	s_movk_i32 s0, 0x7f
	s_mov_b64 s[8:9], 0
	s_waitcnt vmcnt(0)
	v_cmp_lt_i16_e32 vcc, s0, v4
	s_and_saveexec_b64 s[0:1], vcc
	s_xor_b64 s[0:1], exec, s[0:1]
	s_cbranch_execz .LBB388_605
; %bb.589:
	s_movk_i32 s8, 0x80
	v_cmp_ne_u16_e32 vcc, s8, v4
	s_and_b64 s[8:9], vcc, exec
	s_andn2_saveexec_b64 s[0:1], s[0:1]
	s_cbranch_execnz .LBB388_606
.LBB388_590:
	s_or_b64 exec, exec, s[0:1]
	v_mov_b32_e32 v3, 0
	s_and_saveexec_b64 s[0:1], s[8:9]
	s_cbranch_execz .LBB388_592
.LBB388_591:
	v_lshlrev_b32_e32 v3, 24, v4
	v_and_b32_e32 v4, 0xffff, v4
	v_and_b32_e32 v5, 7, v4
	v_ffbh_u32_e32 v7, v5
	v_min_u32_e32 v7, 32, v7
	v_subrev_u32_e32 v9, 28, v7
	v_bfe_u32 v6, v4, 3, 4
	v_lshlrev_b32_e32 v4, v9, v4
	v_sub_u32_e32 v7, 29, v7
	v_and_b32_e32 v4, 7, v4
	v_cmp_eq_u32_e32 vcc, 0, v6
	v_cndmask_b32_e32 v6, v6, v7, vcc
	v_cndmask_b32_e32 v4, v5, v4, vcc
	v_mov_b32_e32 v5, 0x3b800000
	v_lshlrev_b32_e32 v4, 20, v4
	v_and_b32_e32 v3, 0x80000000, v3
	v_lshl_add_u32 v5, v6, 23, v5
	v_or3_b32 v3, v3, v5, v4
	v_cvt_i32_f32_e32 v3, v3
.LBB388_592:
	s_or_b64 exec, exec, s[0:1]
.LBB388_593:
	s_mov_b64 s[0:1], -1
.LBB388_594:
	s_mov_b64 s[8:9], 0
.LBB388_595:
	s_and_b64 vcc, exec, s[8:9]
	s_cbranch_vccz .LBB388_628
; %bb.596:
	s_cmp_gt_i32 s10, 22
	s_cbranch_scc0 .LBB388_604
; %bb.597:
	s_cmp_lt_i32 s10, 24
	s_cbranch_scc1 .LBB388_607
; %bb.598:
	s_cmp_gt_i32 s10, 24
	s_cbranch_scc0 .LBB388_608
; %bb.599:
	global_load_ubyte v4, v[1:2], off
	s_movk_i32 s0, 0x7f
	s_mov_b64 s[8:9], 0
	s_waitcnt vmcnt(0)
	v_cmp_lt_i16_e32 vcc, s0, v4
	s_and_saveexec_b64 s[0:1], vcc
	s_xor_b64 s[0:1], exec, s[0:1]
	s_cbranch_execz .LBB388_620
; %bb.600:
	s_movk_i32 s8, 0x80
	v_cmp_ne_u16_e32 vcc, s8, v4
	s_and_b64 s[8:9], vcc, exec
	s_andn2_saveexec_b64 s[0:1], s[0:1]
	s_cbranch_execnz .LBB388_621
.LBB388_601:
	s_or_b64 exec, exec, s[0:1]
	v_mov_b32_e32 v3, 0
	s_and_saveexec_b64 s[0:1], s[8:9]
	s_cbranch_execz .LBB388_603
.LBB388_602:
	v_lshlrev_b32_e32 v3, 24, v4
	v_and_b32_e32 v4, 0xffff, v4
	v_and_b32_e32 v5, 3, v4
	v_ffbh_u32_e32 v7, v5
	v_min_u32_e32 v7, 32, v7
	v_subrev_u32_e32 v9, 29, v7
	v_bfe_u32 v6, v4, 2, 5
	v_lshlrev_b32_e32 v4, v9, v4
	v_sub_u32_e32 v7, 30, v7
	v_and_b32_e32 v4, 3, v4
	v_cmp_eq_u32_e32 vcc, 0, v6
	v_cndmask_b32_e32 v6, v6, v7, vcc
	v_cndmask_b32_e32 v4, v5, v4, vcc
	v_mov_b32_e32 v5, 0x37800000
	v_lshlrev_b32_e32 v4, 21, v4
	v_and_b32_e32 v3, 0x80000000, v3
	v_lshl_add_u32 v5, v6, 23, v5
	v_or3_b32 v3, v3, v5, v4
	v_cvt_i32_f32_e32 v3, v3
.LBB388_603:
	s_or_b64 exec, exec, s[0:1]
	s_mov_b64 s[0:1], 0
	s_branch .LBB388_609
.LBB388_604:
	s_mov_b64 s[8:9], -1
                                        ; implicit-def: $vgpr3
	s_branch .LBB388_615
.LBB388_605:
	s_andn2_saveexec_b64 s[0:1], s[0:1]
	s_cbranch_execz .LBB388_590
.LBB388_606:
	v_cmp_ne_u16_e32 vcc, 0, v4
	s_andn2_b64 s[8:9], s[8:9], exec
	s_and_b64 s[12:13], vcc, exec
	s_or_b64 s[8:9], s[8:9], s[12:13]
	s_or_b64 exec, exec, s[0:1]
	v_mov_b32_e32 v3, 0
	s_and_saveexec_b64 s[0:1], s[8:9]
	s_cbranch_execnz .LBB388_591
	s_branch .LBB388_592
.LBB388_607:
	s_mov_b64 s[0:1], -1
                                        ; implicit-def: $vgpr3
	s_branch .LBB388_612
.LBB388_608:
	s_mov_b64 s[0:1], -1
                                        ; implicit-def: $vgpr3
.LBB388_609:
	s_and_b64 vcc, exec, s[0:1]
	s_cbranch_vccz .LBB388_611
; %bb.610:
	global_load_ubyte v3, v[1:2], off
	s_mov_b32 s0, 0x7f800000
	s_waitcnt vmcnt(0)
	v_lshlrev_b32_e32 v3, 24, v3
	v_and_b32_e32 v4, 0x7f000000, v3
	v_ffbh_u32_e32 v5, v4
	v_min_u32_e32 v5, 32, v5
	v_sub_u32_e64 v5, v5, 4 clamp
	v_lshlrev_b32_e32 v7, v5, v4
	v_lshlrev_b32_e32 v5, 23, v5
	v_lshrrev_b32_e32 v7, 4, v7
	v_add_u32_e32 v6, 0x1000000, v4
	v_sub_u32_e32 v5, v7, v5
	v_ashrrev_i32_e32 v6, 8, v6
	v_add_u32_e32 v5, 0x3c000000, v5
	v_and_or_b32 v5, v6, s0, v5
	v_cmp_ne_u32_e32 vcc, 0, v4
	v_cndmask_b32_e32 v4, 0, v5, vcc
	s_brev_b32 s0, 1
	v_and_or_b32 v3, v3, s0, v4
	v_cvt_i32_f32_e32 v3, v3
.LBB388_611:
	s_mov_b64 s[0:1], 0
.LBB388_612:
	s_andn2_b64 vcc, exec, s[0:1]
	s_cbranch_vccnz .LBB388_614
; %bb.613:
	global_load_ubyte v3, v[1:2], off
	s_movk_i32 s0, 0x7f00
	s_brev_b32 s1, 16
	s_waitcnt vmcnt(0)
	v_lshlrev_b16_e32 v4, 8, v3
	v_lshlrev_b32_e32 v3, 25, v3
	v_lshrrev_b32_e32 v5, 4, v3
	v_and_or_b32 v6, v4, s0, 0.5
	v_or_b32_e32 v5, 0x70000000, v5
	v_add_f32_e32 v6, -0.5, v6
	v_mul_f32_e32 v5, 0x7800000, v5
	v_cmp_gt_u32_e32 vcc, s1, v3
	v_bfe_i32 v4, v4, 0, 16
	v_cndmask_b32_e32 v3, v5, v6, vcc
	s_brev_b32 s0, 1
	v_and_or_b32 v3, v4, s0, v3
	v_cvt_i32_f32_e32 v3, v3
.LBB388_614:
	s_mov_b64 s[8:9], 0
	s_mov_b64 s[0:1], -1
.LBB388_615:
	s_andn2_b64 vcc, exec, s[8:9]
	s_cbranch_vccnz .LBB388_628
; %bb.616:
	s_cmp_gt_i32 s10, 14
	s_cbranch_scc0 .LBB388_619
; %bb.617:
	s_cmp_eq_u32 s10, 15
	s_cbranch_scc0 .LBB388_622
; %bb.618:
	global_load_ushort v3, v[1:2], off
	s_mov_b64 s[0:1], -1
	s_mov_b64 s[2:3], 0
	s_waitcnt vmcnt(0)
	v_lshlrev_b32_e32 v3, 16, v3
	v_cvt_i32_f32_e32 v3, v3
	s_branch .LBB388_623
.LBB388_619:
	s_mov_b64 s[8:9], -1
                                        ; implicit-def: $vgpr3
	s_branch .LBB388_624
.LBB388_620:
	s_andn2_saveexec_b64 s[0:1], s[0:1]
	s_cbranch_execz .LBB388_601
.LBB388_621:
	v_cmp_ne_u16_e32 vcc, 0, v4
	s_andn2_b64 s[8:9], s[8:9], exec
	s_and_b64 s[12:13], vcc, exec
	s_or_b64 s[8:9], s[8:9], s[12:13]
	s_or_b64 exec, exec, s[0:1]
	v_mov_b32_e32 v3, 0
	s_and_saveexec_b64 s[0:1], s[8:9]
	s_cbranch_execnz .LBB388_602
	s_branch .LBB388_603
.LBB388_622:
	s_mov_b64 s[2:3], -1
                                        ; implicit-def: $vgpr3
.LBB388_623:
	s_mov_b64 s[8:9], 0
.LBB388_624:
	s_and_b64 vcc, exec, s[8:9]
	s_cbranch_vccz .LBB388_628
; %bb.625:
	s_cmp_eq_u32 s10, 11
	s_cbranch_scc0 .LBB388_627
; %bb.626:
	global_load_ubyte v3, v[1:2], off
	s_mov_b64 s[0:1], -1
	s_mov_b64 s[2:3], 0
	s_waitcnt vmcnt(0)
	v_cmp_ne_u16_e32 vcc, 0, v3
	v_cndmask_b32_e64 v3, 0, 1, vcc
	s_branch .LBB388_628
.LBB388_627:
	s_mov_b64 s[2:3], -1
                                        ; implicit-def: $vgpr3
.LBB388_628:
	s_mov_b64 s[8:9], 0
.LBB388_629:
	s_and_b64 vcc, exec, s[8:9]
	s_cbranch_vccz .LBB388_678
; %bb.630:
	s_cmp_lt_i32 s10, 5
	s_cbranch_scc1 .LBB388_635
; %bb.631:
	s_cmp_lt_i32 s10, 8
	s_cbranch_scc1 .LBB388_636
	;; [unrolled: 3-line block ×3, first 2 shown]
; %bb.633:
	s_cmp_gt_i32 s10, 9
	s_cbranch_scc0 .LBB388_638
; %bb.634:
	global_load_dwordx2 v[3:4], v[1:2], off
	s_mov_b64 s[0:1], 0
	s_waitcnt vmcnt(0)
	v_cvt_i32_f64_e32 v3, v[3:4]
	s_branch .LBB388_639
.LBB388_635:
	s_mov_b64 s[0:1], -1
                                        ; implicit-def: $vgpr3
	s_branch .LBB388_657
.LBB388_636:
	s_mov_b64 s[0:1], -1
                                        ; implicit-def: $vgpr3
	s_branch .LBB388_645
.LBB388_637:
	s_mov_b64 s[0:1], -1
                                        ; implicit-def: $vgpr3
	s_branch .LBB388_642
.LBB388_638:
	s_mov_b64 s[0:1], -1
                                        ; implicit-def: $vgpr3
.LBB388_639:
	s_andn2_b64 vcc, exec, s[0:1]
	s_cbranch_vccnz .LBB388_641
; %bb.640:
	global_load_dword v3, v[1:2], off
	s_waitcnt vmcnt(0)
	v_cvt_i32_f32_e32 v3, v3
.LBB388_641:
	s_mov_b64 s[0:1], 0
.LBB388_642:
	s_andn2_b64 vcc, exec, s[0:1]
	s_cbranch_vccnz .LBB388_644
; %bb.643:
	global_load_dword v3, v[1:2], off
	s_waitcnt vmcnt(0)
	v_cvt_i16_f16_e32 v3, v3
.LBB388_644:
	s_mov_b64 s[0:1], 0
.LBB388_645:
	s_andn2_b64 vcc, exec, s[0:1]
	s_cbranch_vccnz .LBB388_656
; %bb.646:
	s_cmp_lt_i32 s10, 6
	s_cbranch_scc1 .LBB388_649
; %bb.647:
	s_cmp_gt_i32 s10, 6
	s_cbranch_scc0 .LBB388_650
; %bb.648:
	global_load_dwordx2 v[3:4], v[1:2], off
	s_mov_b64 s[0:1], 0
	s_waitcnt vmcnt(0)
	v_cvt_i32_f64_e32 v3, v[3:4]
	s_branch .LBB388_651
.LBB388_649:
	s_mov_b64 s[0:1], -1
                                        ; implicit-def: $vgpr3
	s_branch .LBB388_654
.LBB388_650:
	s_mov_b64 s[0:1], -1
                                        ; implicit-def: $vgpr3
.LBB388_651:
	s_andn2_b64 vcc, exec, s[0:1]
	s_cbranch_vccnz .LBB388_653
; %bb.652:
	global_load_dword v3, v[1:2], off
	s_waitcnt vmcnt(0)
	v_cvt_i32_f32_e32 v3, v3
.LBB388_653:
	s_mov_b64 s[0:1], 0
.LBB388_654:
	s_andn2_b64 vcc, exec, s[0:1]
	s_cbranch_vccnz .LBB388_656
; %bb.655:
	global_load_ushort v3, v[1:2], off
	s_waitcnt vmcnt(0)
	v_cvt_i16_f16_e32 v3, v3
.LBB388_656:
	s_mov_b64 s[0:1], 0
.LBB388_657:
	s_andn2_b64 vcc, exec, s[0:1]
	s_cbranch_vccnz .LBB388_677
; %bb.658:
	s_cmp_lt_i32 s10, 2
	s_cbranch_scc1 .LBB388_662
; %bb.659:
	s_cmp_lt_i32 s10, 3
	s_cbranch_scc1 .LBB388_663
; %bb.660:
	s_cmp_gt_i32 s10, 3
	s_cbranch_scc0 .LBB388_664
; %bb.661:
	global_load_dwordx2 v[3:4], v[1:2], off
	s_mov_b64 s[0:1], 0
	s_branch .LBB388_665
.LBB388_662:
	s_mov_b64 s[0:1], -1
                                        ; implicit-def: $vgpr3
	s_branch .LBB388_671
.LBB388_663:
	s_mov_b64 s[0:1], -1
                                        ; implicit-def: $vgpr3
	s_branch .LBB388_668
.LBB388_664:
	s_mov_b64 s[0:1], -1
                                        ; implicit-def: $vgpr3
.LBB388_665:
	s_andn2_b64 vcc, exec, s[0:1]
	s_cbranch_vccnz .LBB388_667
; %bb.666:
	global_load_dword v3, v[1:2], off
.LBB388_667:
	s_mov_b64 s[0:1], 0
.LBB388_668:
	s_andn2_b64 vcc, exec, s[0:1]
	s_cbranch_vccnz .LBB388_670
; %bb.669:
	global_load_ushort v3, v[1:2], off
.LBB388_670:
	s_mov_b64 s[0:1], 0
.LBB388_671:
	s_andn2_b64 vcc, exec, s[0:1]
	s_cbranch_vccnz .LBB388_677
; %bb.672:
	s_cmp_gt_i32 s10, 0
	s_cbranch_scc0 .LBB388_674
; %bb.673:
	global_load_ubyte v3, v[1:2], off
	s_mov_b64 s[0:1], 0
	s_branch .LBB388_675
.LBB388_674:
	s_mov_b64 s[0:1], -1
                                        ; implicit-def: $vgpr3
.LBB388_675:
	s_andn2_b64 vcc, exec, s[0:1]
	s_cbranch_vccnz .LBB388_677
; %bb.676:
	global_load_ubyte v3, v[1:2], off
.LBB388_677:
	s_mov_b64 s[0:1], -1
.LBB388_678:
	s_andn2_b64 vcc, exec, s[0:1]
	s_cbranch_vccnz .LBB388_686
; %bb.679:
	s_and_b32 s0, s45, 0xff
	s_waitcnt vmcnt(0)
	v_cmp_ne_u16_sdwa s[0:1], s0, v3 src0_sel:DWORD src1_sel:BYTE_0
	s_xor_b64 s[8:9], s[46:47], s[0:1]
	v_mov_b32_e32 v1, s25
	s_and_b32 s16, s77, 0xff
	v_add_co_u32_e32 v0, vcc, s24, v0
	s_cmp_lt_i32 s16, 11
	v_addc_co_u32_e32 v1, vcc, 0, v1, vcc
	s_cbranch_scc1 .LBB388_687
; %bb.680:
	s_and_b32 s17, 0xffff, s16
	s_cmp_gt_i32 s17, 25
	s_cbranch_scc0 .LBB388_688
; %bb.681:
	s_cmp_gt_i32 s17, 28
	s_cbranch_scc0 .LBB388_689
; %bb.682:
	;; [unrolled: 3-line block ×4, first 2 shown]
	s_mov_b64 s[12:13], 0
	s_mov_b64 s[0:1], -1
	s_cmp_eq_u32 s17, 46
	s_mov_b64 s[10:11], 0
	s_cbranch_scc0 .LBB388_692
; %bb.685:
	v_cndmask_b32_e64 v2, 0, 1.0, s[8:9]
	v_bfe_u32 v3, v2, 16, 1
	s_movk_i32 s0, 0x7fff
	v_add3_u32 v2, v2, v3, s0
	v_lshrrev_b32_e32 v2, 16, v2
	global_store_dword v[0:1], v2, off
	s_mov_b64 s[10:11], -1
	s_mov_b64 s[0:1], 0
	s_branch .LBB388_692
.LBB388_686:
	s_mov_b64 s[8:9], 0
	s_mov_b64 s[0:1], s[64:65]
	s_branch .LBB388_803
.LBB388_687:
	s_mov_b64 s[12:13], -1
	s_mov_b64 s[10:11], 0
	s_mov_b64 s[0:1], s[64:65]
	s_branch .LBB388_761
.LBB388_688:
	s_mov_b64 s[12:13], -1
	s_mov_b64 s[10:11], 0
	s_mov_b64 s[0:1], s[64:65]
	s_branch .LBB388_719
.LBB388_689:
	s_mov_b64 s[12:13], -1
	s_mov_b64 s[10:11], 0
	s_mov_b64 s[0:1], s[64:65]
	s_branch .LBB388_702
.LBB388_690:
	s_mov_b64 s[12:13], -1
	s_mov_b64 s[10:11], 0
	s_mov_b64 s[0:1], s[64:65]
	s_branch .LBB388_698
.LBB388_691:
	s_mov_b64 s[12:13], -1
	s_mov_b64 s[10:11], 0
	s_mov_b64 s[0:1], s[64:65]
.LBB388_692:
	s_and_b64 vcc, exec, s[12:13]
	s_cbranch_vccz .LBB388_697
; %bb.693:
	s_cmp_eq_u32 s17, 44
	s_mov_b64 s[0:1], -1
	s_cbranch_scc0 .LBB388_697
; %bb.694:
	v_cndmask_b32_e64 v3, 0, 1.0, s[8:9]
	v_lshrrev_b32_e32 v2, 23, v3
	s_movk_i32 s0, 0xff
	v_cmp_ne_u32_e32 vcc, s0, v2
	v_mov_b32_e32 v4, 0xff
	s_and_saveexec_b64 s[10:11], vcc
; %bb.695:
	s_mov_b32 s0, 0x3fffff
	v_and_b32_e32 v4, 0x400000, v3
	v_and_or_b32 v3, v3, s0, v2
	v_cmp_ne_u32_e32 vcc, 0, v4
	v_cmp_ne_u32_e64 s[0:1], 0, v3
	s_and_b64 s[0:1], vcc, s[0:1]
	v_cndmask_b32_e64 v3, 0, 1, s[0:1]
	v_add_u32_e32 v4, v2, v3
; %bb.696:
	s_or_b64 exec, exec, s[10:11]
	s_mov_b64 s[10:11], -1
	s_mov_b64 s[0:1], 0
	global_store_byte v[0:1], v4, off
.LBB388_697:
	s_mov_b64 s[12:13], 0
.LBB388_698:
	s_and_b64 vcc, exec, s[12:13]
	s_cbranch_vccz .LBB388_701
; %bb.699:
	s_cmp_eq_u32 s17, 29
	s_mov_b64 s[0:1], -1
	s_cbranch_scc0 .LBB388_701
; %bb.700:
	s_mov_b32 s0, 0
	v_cndmask_b32_e64 v2, 0, 1, s[8:9]
	v_mov_b32_e32 v3, s0
	global_store_dwordx2 v[0:1], v[2:3], off
	s_mov_b64 s[10:11], -1
	s_mov_b64 s[0:1], 0
.LBB388_701:
	s_mov_b64 s[12:13], 0
.LBB388_702:
	s_and_b64 vcc, exec, s[12:13]
	s_cbranch_vccz .LBB388_718
; %bb.703:
	s_cmp_lt_i32 s17, 27
	s_mov_b64 s[10:11], -1
	s_cbranch_scc1 .LBB388_709
; %bb.704:
	s_cmp_gt_i32 s17, 27
	s_cbranch_scc0 .LBB388_706
; %bb.705:
	v_cndmask_b32_e64 v2, 0, 1, s[8:9]
	s_mov_b64 s[10:11], 0
	global_store_dword v[0:1], v2, off
.LBB388_706:
	s_andn2_b64 vcc, exec, s[10:11]
	s_cbranch_vccnz .LBB388_708
; %bb.707:
	v_cndmask_b32_e64 v2, 0, 1, s[8:9]
	global_store_short v[0:1], v2, off
.LBB388_708:
	s_mov_b64 s[10:11], 0
.LBB388_709:
	s_andn2_b64 vcc, exec, s[10:11]
	s_cbranch_vccnz .LBB388_717
; %bb.710:
	v_cndmask_b32_e64 v3, 0, 1.0, s[8:9]
	s_mov_b32 s10, 0x43800000
	v_cmp_gt_u32_e32 vcc, s10, v3
	v_mov_b32_e32 v4, 0x80
	s_and_saveexec_b64 s[10:11], vcc
	s_cbranch_execz .LBB388_716
; %bb.711:
	s_mov_b32 s12, 0x3bffffff
	v_cmp_lt_u32_e32 vcc, s12, v3
	s_mov_b64 s[12:13], 0
                                        ; implicit-def: $vgpr2
	s_and_saveexec_b64 s[14:15], vcc
	s_xor_b64 s[14:15], exec, s[14:15]
	s_cbranch_execz .LBB388_833
; %bb.712:
	v_bfe_u32 v2, v3, 20, 1
	s_mov_b32 s18, 0x487ffff
	v_add3_u32 v2, v3, v2, s18
	s_mov_b64 s[12:13], exec
	v_lshrrev_b32_e32 v2, 20, v2
                                        ; implicit-def: $vgpr3
	s_andn2_saveexec_b64 s[14:15], s[14:15]
	s_cbranch_execnz .LBB388_834
.LBB388_713:
	s_or_b64 exec, exec, s[14:15]
	v_mov_b32_e32 v4, 0
	s_and_saveexec_b64 s[14:15], s[12:13]
.LBB388_714:
	v_mov_b32_e32 v4, v2
.LBB388_715:
	s_or_b64 exec, exec, s[14:15]
.LBB388_716:
	s_or_b64 exec, exec, s[10:11]
	global_store_byte v[0:1], v4, off
.LBB388_717:
	s_mov_b64 s[10:11], -1
.LBB388_718:
	s_mov_b64 s[12:13], 0
.LBB388_719:
	s_and_b64 vcc, exec, s[12:13]
	s_cbranch_vccz .LBB388_760
; %bb.720:
	s_cmp_gt_i32 s17, 22
	s_mov_b64 s[12:13], -1
	s_cbranch_scc0 .LBB388_752
; %bb.721:
	s_cmp_lt_i32 s17, 24
	s_mov_b64 s[10:11], -1
	s_cbranch_scc1 .LBB388_741
; %bb.722:
	s_cmp_gt_i32 s17, 24
	s_cbranch_scc0 .LBB388_730
; %bb.723:
	v_cndmask_b32_e64 v3, 0, 1.0, s[8:9]
	s_mov_b32 s10, 0x47800000
	v_cmp_gt_u32_e32 vcc, s10, v3
	v_mov_b32_e32 v4, 0x80
	s_and_saveexec_b64 s[10:11], vcc
	s_cbranch_execz .LBB388_729
; %bb.724:
	s_mov_b32 s12, 0x37ffffff
	v_cmp_lt_u32_e32 vcc, s12, v3
	s_mov_b64 s[12:13], 0
                                        ; implicit-def: $vgpr2
	s_and_saveexec_b64 s[14:15], vcc
	s_xor_b64 s[14:15], exec, s[14:15]
	s_cbranch_execz .LBB388_836
; %bb.725:
	v_bfe_u32 v2, v3, 21, 1
	s_mov_b32 s18, 0x88fffff
	v_add3_u32 v2, v3, v2, s18
	s_mov_b64 s[12:13], exec
	v_lshrrev_b32_e32 v2, 21, v2
                                        ; implicit-def: $vgpr3
	s_andn2_saveexec_b64 s[14:15], s[14:15]
	s_cbranch_execnz .LBB388_837
.LBB388_726:
	s_or_b64 exec, exec, s[14:15]
	v_mov_b32_e32 v4, 0
	s_and_saveexec_b64 s[14:15], s[12:13]
.LBB388_727:
	v_mov_b32_e32 v4, v2
.LBB388_728:
	s_or_b64 exec, exec, s[14:15]
.LBB388_729:
	s_or_b64 exec, exec, s[10:11]
	s_mov_b64 s[10:11], 0
	global_store_byte v[0:1], v4, off
.LBB388_730:
	s_and_b64 vcc, exec, s[10:11]
	s_cbranch_vccz .LBB388_740
; %bb.731:
	v_cndmask_b32_e64 v2, 0, 1.0, s[8:9]
	s_mov_b32 s10, 0x43f00000
	v_cmp_gt_u32_e32 vcc, s10, v2
                                        ; implicit-def: $vgpr3
	s_and_saveexec_b64 s[10:11], vcc
	s_xor_b64 s[10:11], exec, s[10:11]
	s_cbranch_execz .LBB388_737
; %bb.732:
	s_mov_b32 s12, 0x3c7fffff
	v_cmp_lt_u32_e32 vcc, s12, v2
                                        ; implicit-def: $vgpr3
	s_and_saveexec_b64 s[12:13], vcc
	s_xor_b64 s[12:13], exec, s[12:13]
; %bb.733:
	v_bfe_u32 v3, v2, 20, 1
	s_mov_b32 s14, 0x407ffff
	v_add3_u32 v2, v2, v3, s14
	v_lshrrev_b32_e32 v3, 20, v2
	v_and_b32_e32 v2, 0xff00000, v2
	s_mov_b32 s14, 0x7f00000
	v_mov_b32_e32 v4, 0x7e
	v_cmp_ne_u32_e32 vcc, s14, v2
	v_cndmask_b32_e32 v3, v4, v3, vcc
                                        ; implicit-def: $vgpr2
; %bb.734:
	s_andn2_saveexec_b64 s[12:13], s[12:13]
; %bb.735:
	v_add_f32_e32 v3, 0x46800000, v2
; %bb.736:
	s_or_b64 exec, exec, s[12:13]
                                        ; implicit-def: $vgpr2
.LBB388_737:
	s_andn2_saveexec_b64 s[10:11], s[10:11]
; %bb.738:
	s_mov_b32 s12, 0x7f800000
	v_mov_b32_e32 v3, 0x7e
	v_mov_b32_e32 v4, 0x7f
	v_cmp_lt_u32_e32 vcc, s12, v2
	v_cndmask_b32_e32 v3, v3, v4, vcc
; %bb.739:
	s_or_b64 exec, exec, s[10:11]
	global_store_byte v[0:1], v3, off
.LBB388_740:
	s_mov_b64 s[10:11], 0
.LBB388_741:
	s_andn2_b64 vcc, exec, s[10:11]
	s_cbranch_vccnz .LBB388_751
; %bb.742:
	v_cndmask_b32_e64 v2, 0, 1.0, s[8:9]
	s_mov_b32 s10, 0x47800000
	v_cmp_gt_u32_e32 vcc, s10, v2
                                        ; implicit-def: $vgpr3
	s_and_saveexec_b64 s[10:11], vcc
	s_xor_b64 s[10:11], exec, s[10:11]
	s_cbranch_execz .LBB388_748
; %bb.743:
	s_mov_b32 s12, 0x387fffff
	v_cmp_lt_u32_e32 vcc, s12, v2
                                        ; implicit-def: $vgpr3
	s_and_saveexec_b64 s[12:13], vcc
	s_xor_b64 s[12:13], exec, s[12:13]
; %bb.744:
	v_bfe_u32 v3, v2, 21, 1
	s_mov_b32 s14, 0x80fffff
	v_add3_u32 v2, v2, v3, s14
	v_lshrrev_b32_e32 v3, 21, v2
                                        ; implicit-def: $vgpr2
; %bb.745:
	s_andn2_saveexec_b64 s[12:13], s[12:13]
; %bb.746:
	v_add_f32_e32 v3, 0x43000000, v2
; %bb.747:
	s_or_b64 exec, exec, s[12:13]
                                        ; implicit-def: $vgpr2
.LBB388_748:
	s_andn2_saveexec_b64 s[10:11], s[10:11]
; %bb.749:
	s_mov_b32 s12, 0x7f800000
	v_mov_b32_e32 v3, 0x7c
	v_mov_b32_e32 v4, 0x7f
	v_cmp_lt_u32_e32 vcc, s12, v2
	v_cndmask_b32_e32 v3, v3, v4, vcc
; %bb.750:
	s_or_b64 exec, exec, s[10:11]
	global_store_byte v[0:1], v3, off
.LBB388_751:
	s_mov_b64 s[12:13], 0
	s_mov_b64 s[10:11], -1
.LBB388_752:
	s_andn2_b64 vcc, exec, s[12:13]
	s_cbranch_vccnz .LBB388_760
; %bb.753:
	s_cmp_gt_i32 s17, 14
	s_mov_b64 s[12:13], -1
	s_cbranch_scc0 .LBB388_757
; %bb.754:
	s_cmp_eq_u32 s17, 15
	s_mov_b64 s[0:1], -1
	s_cbranch_scc0 .LBB388_756
; %bb.755:
	v_cndmask_b32_e64 v2, 0, 1.0, s[8:9]
	v_bfe_u32 v3, v2, 16, 1
	s_movk_i32 s0, 0x7fff
	v_add3_u32 v2, v2, v3, s0
	global_store_short_d16_hi v[0:1], v2, off
	s_mov_b64 s[10:11], -1
	s_mov_b64 s[0:1], 0
.LBB388_756:
	s_mov_b64 s[12:13], 0
.LBB388_757:
	s_and_b64 vcc, exec, s[12:13]
	s_cbranch_vccz .LBB388_760
; %bb.758:
	s_cmp_eq_u32 s17, 11
	s_mov_b64 s[0:1], -1
	s_cbranch_scc0 .LBB388_760
; %bb.759:
	v_cndmask_b32_e64 v2, 0, 1, s[8:9]
	s_mov_b64 s[10:11], -1
	s_mov_b64 s[0:1], 0
	global_store_byte v[0:1], v2, off
.LBB388_760:
	s_mov_b64 s[12:13], 0
.LBB388_761:
	s_and_b64 vcc, exec, s[12:13]
	s_cbranch_vccz .LBB388_800
; %bb.762:
	s_and_b32 s12, 0xffff, s16
	s_cmp_lt_i32 s12, 5
	s_mov_b64 s[10:11], -1
	s_cbranch_scc1 .LBB388_783
; %bb.763:
	s_cmp_lt_i32 s12, 8
	s_cbranch_scc1 .LBB388_773
; %bb.764:
	s_cmp_lt_i32 s12, 9
	s_cbranch_scc1 .LBB388_770
; %bb.765:
	s_cmp_gt_i32 s12, 9
	s_cbranch_scc0 .LBB388_767
; %bb.766:
	v_cndmask_b32_e64 v2, 0, 1, s[8:9]
	v_cvt_f64_u32_e32 v[2:3], v2
	v_mov_b32_e32 v4, 0
	v_mov_b32_e32 v5, v4
	s_mov_b64 s[10:11], 0
	global_store_dwordx4 v[0:1], v[2:5], off
.LBB388_767:
	s_andn2_b64 vcc, exec, s[10:11]
	s_cbranch_vccnz .LBB388_769
; %bb.768:
	v_cndmask_b32_e64 v2, 0, 1.0, s[8:9]
	v_mov_b32_e32 v3, 0
	global_store_dwordx2 v[0:1], v[2:3], off
.LBB388_769:
	s_mov_b64 s[10:11], 0
.LBB388_770:
	s_andn2_b64 vcc, exec, s[10:11]
	s_cbranch_vccnz .LBB388_772
; %bb.771:
	v_cndmask_b32_e64 v2, 0, 1.0, s[8:9]
	v_cvt_f16_f32_e32 v2, v2
	global_store_dword v[0:1], v2, off
.LBB388_772:
	s_mov_b64 s[10:11], 0
.LBB388_773:
	s_andn2_b64 vcc, exec, s[10:11]
	s_cbranch_vccnz .LBB388_782
; %bb.774:
	s_cmp_lt_i32 s12, 6
	s_mov_b64 s[10:11], -1
	s_cbranch_scc1 .LBB388_780
; %bb.775:
	s_cmp_gt_i32 s12, 6
	s_cbranch_scc0 .LBB388_777
; %bb.776:
	v_cndmask_b32_e64 v2, 0, 1, s[8:9]
	v_cvt_f64_u32_e32 v[2:3], v2
	s_mov_b64 s[10:11], 0
	global_store_dwordx2 v[0:1], v[2:3], off
.LBB388_777:
	s_andn2_b64 vcc, exec, s[10:11]
	s_cbranch_vccnz .LBB388_779
; %bb.778:
	v_cndmask_b32_e64 v2, 0, 1.0, s[8:9]
	global_store_dword v[0:1], v2, off
.LBB388_779:
	s_mov_b64 s[10:11], 0
.LBB388_780:
	s_andn2_b64 vcc, exec, s[10:11]
	s_cbranch_vccnz .LBB388_782
; %bb.781:
	v_cndmask_b32_e64 v2, 0, 1.0, s[8:9]
	v_cvt_f16_f32_e32 v2, v2
	global_store_short v[0:1], v2, off
.LBB388_782:
	s_mov_b64 s[10:11], 0
.LBB388_783:
	s_andn2_b64 vcc, exec, s[10:11]
	s_cbranch_vccnz .LBB388_799
; %bb.784:
	s_cmp_lt_i32 s12, 2
	s_mov_b64 s[10:11], -1
	s_cbranch_scc1 .LBB388_794
; %bb.785:
	s_cmp_lt_i32 s12, 3
	s_cbranch_scc1 .LBB388_791
; %bb.786:
	s_cmp_gt_i32 s12, 3
	s_cbranch_scc0 .LBB388_788
; %bb.787:
	s_mov_b32 s10, 0
	v_cndmask_b32_e64 v2, 0, 1, s[8:9]
	v_mov_b32_e32 v3, s10
	s_mov_b64 s[10:11], 0
	global_store_dwordx2 v[0:1], v[2:3], off
.LBB388_788:
	s_andn2_b64 vcc, exec, s[10:11]
	s_cbranch_vccnz .LBB388_790
; %bb.789:
	v_cndmask_b32_e64 v2, 0, 1, s[8:9]
	global_store_dword v[0:1], v2, off
.LBB388_790:
	s_mov_b64 s[10:11], 0
.LBB388_791:
	s_andn2_b64 vcc, exec, s[10:11]
	s_cbranch_vccnz .LBB388_793
; %bb.792:
	v_cndmask_b32_e64 v2, 0, 1, s[8:9]
	global_store_short v[0:1], v2, off
.LBB388_793:
	s_mov_b64 s[10:11], 0
.LBB388_794:
	s_andn2_b64 vcc, exec, s[10:11]
	s_cbranch_vccnz .LBB388_799
; %bb.795:
	s_mov_b64 s[10:11], -1
	s_cmp_gt_i32 s12, 0
	v_cndmask_b32_e64 v2, 0, 1, s[8:9]
	s_cbranch_scc0 .LBB388_797
; %bb.796:
	s_mov_b64 s[10:11], 0
	global_store_byte v[0:1], v2, off
.LBB388_797:
	s_andn2_b64 vcc, exec, s[10:11]
	s_cbranch_vccnz .LBB388_799
; %bb.798:
	global_store_byte v[0:1], v2, off
.LBB388_799:
	s_mov_b64 s[10:11], -1
.LBB388_800:
	s_andn2_b64 vcc, exec, s[10:11]
	s_cbranch_vccnz .LBB388_802
; %bb.801:
	v_add_u32_e32 v8, 0x80, v8
	s_mov_b64 s[8:9], -1
	s_branch .LBB388_804
.LBB388_802:
	s_mov_b64 s[8:9], 0
.LBB388_803:
                                        ; implicit-def: $vgpr8
.LBB388_804:
	s_andn2_b64 s[10:11], s[64:65], exec
	s_and_b64 s[0:1], s[0:1], exec
	s_or_b64 s[72:73], s[10:11], s[0:1]
	s_andn2_b64 s[0:1], s[62:63], exec
	s_and_b64 s[2:3], s[2:3], exec
	s_or_b64 s[70:71], s[0:1], s[2:3]
	s_orn2_b64 s[2:3], s[8:9], exec
.LBB388_805:
	s_or_b64 exec, exec, s[68:69]
	s_mov_b64 s[0:1], 0
	s_mov_b64 s[8:9], 0
	;; [unrolled: 1-line block ×3, first 2 shown]
                                        ; implicit-def: $vgpr1_vgpr2
                                        ; implicit-def: $vgpr0
                                        ; implicit-def: $vgpr3
	s_and_saveexec_b64 s[68:69], s[2:3]
	s_cbranch_execz .LBB388_900
; %bb.806:
	v_cmp_gt_i32_e32 vcc, s74, v8
	s_mov_b64 s[2:3], 0
	s_mov_b64 s[12:13], s[70:71]
                                        ; implicit-def: $vgpr1_vgpr2
                                        ; implicit-def: $vgpr0
                                        ; implicit-def: $vgpr3
	s_and_saveexec_b64 s[74:75], vcc
	s_cbranch_execz .LBB388_899
; %bb.807:
	s_andn2_b64 vcc, exec, s[40:41]
	s_cbranch_vccnz .LBB388_812
; %bb.808:
	s_andn2_b64 vcc, exec, s[54:55]
	s_cbranch_vccnz .LBB388_813
; %bb.809:
	s_add_i32 s79, s79, 1
	s_cmp_eq_u32 s76, 2
	s_cbranch_scc1 .LBB388_814
; %bb.810:
	s_and_b32 s44, s79, 28
	v_mov_b32_e32 v2, 0
	s_mov_b32 s80, 0
	s_mov_b64 s[54:55], s[34:35]
	v_mov_b32_e32 v0, 0
	v_mov_b32_e32 v1, v8
.LBB388_811:                            ; =>This Inner Loop Header: Depth=1
	s_load_dwordx8 s[16:23], s[54:55], 0x4
	s_load_dwordx4 s[0:3], s[54:55], 0x24
	s_load_dwordx8 s[8:15], s[52:53], 0x0
	s_add_u32 s54, s54, 48
	s_addc_u32 s55, s55, 0
	s_waitcnt vmcnt(0) lgkmcnt(0)
	v_mul_hi_u32 v3, s17, v1
	s_add_i32 s80, s80, 4
	s_add_u32 s52, s52, 32
	s_addc_u32 s53, s53, 0
	v_add_u32_e32 v3, v1, v3
	v_lshrrev_b32_e32 v3, s18, v3
	v_mul_lo_u32 v4, v3, s16
	v_mul_hi_u32 v5, s20, v3
	s_cmp_eq_u32 s44, s80
	v_sub_u32_e32 v1, v1, v4
	v_add_u32_e32 v4, v3, v5
	v_mul_lo_u32 v5, v1, s8
	v_mul_lo_u32 v6, v1, s9
	v_lshrrev_b32_e32 v1, s21, v4
	v_mul_lo_u32 v4, v1, s19
	v_mul_hi_u32 v7, s23, v1
	v_sub_u32_e32 v3, v3, v4
	v_add_u32_e32 v4, v1, v7
	v_lshrrev_b32_e32 v4, s0, v4
	v_mul_hi_u32 v9, s2, v4
	v_mul_lo_u32 v10, v4, s22
	v_mul_lo_u32 v7, v3, s10
	;; [unrolled: 1-line block ×3, first 2 shown]
	v_sub_u32_e32 v10, v1, v10
	v_add_u32_e32 v1, v4, v9
	v_lshrrev_b32_e32 v1, s3, v1
	v_mul_lo_u32 v9, v1, s1
	v_mul_lo_u32 v11, v10, s12
	;; [unrolled: 1-line block ×3, first 2 shown]
	v_add3_u32 v0, v5, v0, v7
	v_sub_u32_e32 v4, v4, v9
	v_mul_lo_u32 v9, v4, s14
	v_mul_lo_u32 v4, v4, s15
	v_add3_u32 v2, v6, v2, v3
	v_add3_u32 v0, v11, v0, v9
	;; [unrolled: 1-line block ×3, first 2 shown]
	s_cbranch_scc0 .LBB388_811
	s_branch .LBB388_815
.LBB388_812:
	s_mov_b64 s[0:1], -1
                                        ; implicit-def: $vgpr0
                                        ; implicit-def: $vgpr2
	s_branch .LBB388_819
.LBB388_813:
	v_mov_b32_e32 v0, 0
	v_mov_b32_e32 v2, 0
	s_branch .LBB388_818
.LBB388_814:
	s_mov_b32 s44, 0
	v_mov_b32_e32 v0, 0
	v_mov_b32_e32 v2, 0
	;; [unrolled: 1-line block ×3, first 2 shown]
.LBB388_815:
	s_and_b32 s8, s79, 3
	s_cmp_eq_u32 s8, 0
	s_cbranch_scc1 .LBB388_818
; %bb.816:
	s_lshl_b32 s0, s44, 3
	s_add_u32 s0, s34, s0
	s_addc_u32 s1, s35, 0
	s_add_u32 s0, s0, 0xc4
	s_addc_u32 s1, s1, 0
	s_mul_i32 s2, s44, 12
	s_add_u32 s2, s34, s2
	s_addc_u32 s3, s35, 0
.LBB388_817:                            ; =>This Inner Loop Header: Depth=1
	s_load_dwordx2 s[10:11], s[2:3], 0x4
	s_load_dword s9, s[2:3], 0xc
	s_load_dwordx2 s[12:13], s[0:1], 0x0
	s_add_u32 s2, s2, 12
	s_addc_u32 s3, s3, 0
	s_waitcnt vmcnt(0) lgkmcnt(0)
	v_mul_hi_u32 v3, s11, v1
	s_add_u32 s0, s0, 8
	s_addc_u32 s1, s1, 0
	s_add_i32 s8, s8, -1
	v_add_u32_e32 v3, v1, v3
	v_lshrrev_b32_e32 v4, s9, v3
	v_mul_lo_u32 v3, v4, s10
	s_cmp_lg_u32 s8, 0
	v_sub_u32_e32 v3, v1, v3
	v_mad_u64_u32 v[0:1], s[10:11], v3, s12, v[0:1]
	v_mad_u64_u32 v[2:3], s[10:11], v3, s13, v[2:3]
	v_mov_b32_e32 v1, v4
	s_cbranch_scc1 .LBB388_817
.LBB388_818:
	s_mov_b64 s[0:1], 0
.LBB388_819:
	s_andn2_b64 vcc, exec, s[0:1]
	s_cbranch_vccnz .LBB388_822
; %bb.820:
	v_mul_hi_u32 v0, s29, v8
	s_andn2_b64 vcc, exec, s[50:51]
	v_add_u32_e32 v0, v8, v0
	v_lshrrev_b32_e32 v1, s30, v0
	v_mul_lo_u32 v0, v1, s28
	v_sub_u32_e32 v2, v8, v0
	v_mul_lo_u32 v0, v2, s36
	v_mul_lo_u32 v2, v2, s37
	s_cbranch_vccnz .LBB388_822
; %bb.821:
	s_waitcnt vmcnt(0)
	v_mul_hi_u32 v3, s48, v1
	v_add_u32_e32 v3, v1, v3
	v_lshrrev_b32_e32 v3, s49, v3
	v_mul_lo_u32 v3, v3, s31
	v_sub_u32_e32 v3, v1, v3
	v_mad_u64_u32 v[0:1], s[0:1], v3, s38, v[0:1]
	v_mad_u64_u32 v[2:3], s[0:1], v3, s39, v[2:3]
.LBB388_822:
	s_waitcnt vmcnt(0)
	v_mov_b32_e32 v3, s27
	s_and_b32 s12, 0xffff, s78
	v_add_co_u32_e32 v1, vcc, s26, v2
	s_cmp_lt_i32 s12, 11
	v_addc_co_u32_e32 v2, vcc, 0, v3, vcc
	s_cbranch_scc1 .LBB388_829
; %bb.823:
	s_cmp_gt_i32 s12, 25
	s_mov_b64 s[2:3], 0
	s_cbranch_scc0 .LBB388_830
; %bb.824:
	s_cmp_gt_i32 s12, 28
	s_cbranch_scc0 .LBB388_831
; %bb.825:
	s_cmp_gt_i32 s12, 43
	;; [unrolled: 3-line block ×3, first 2 shown]
	s_cbranch_scc0 .LBB388_835
; %bb.827:
	s_cmp_eq_u32 s12, 46
	s_mov_b64 s[10:11], 0
	s_cbranch_scc0 .LBB388_838
; %bb.828:
	global_load_dword v3, v[1:2], off
	s_mov_b64 s[0:1], 0
	s_mov_b64 s[8:9], -1
	s_waitcnt vmcnt(0)
	v_lshlrev_b32_e32 v3, 16, v3
	v_cvt_i32_f32_e32 v3, v3
	s_branch .LBB388_839
.LBB388_829:
	s_mov_b64 s[12:13], -1
	s_mov_b64 s[8:9], 0
	s_mov_b64 s[2:3], 0
	;; [unrolled: 1-line block ×3, first 2 shown]
                                        ; implicit-def: $vgpr3
	s_branch .LBB388_898
.LBB388_830:
	s_mov_b64 s[10:11], -1
	s_mov_b64 s[8:9], 0
	s_mov_b64 s[0:1], s[70:71]
                                        ; implicit-def: $vgpr3
	s_branch .LBB388_866
.LBB388_831:
	s_mov_b64 s[10:11], -1
	s_mov_b64 s[8:9], 0
	s_mov_b64 s[0:1], s[70:71]
                                        ; implicit-def: $vgpr3
	s_branch .LBB388_849
.LBB388_832:
	s_mov_b64 s[10:11], -1
	s_mov_b64 s[8:9], 0
	s_mov_b64 s[0:1], s[70:71]
                                        ; implicit-def: $vgpr3
	s_branch .LBB388_844
.LBB388_833:
	s_andn2_saveexec_b64 s[14:15], s[14:15]
	s_cbranch_execz .LBB388_713
.LBB388_834:
	v_add_f32_e32 v2, 0x46000000, v3
	v_and_b32_e32 v2, 0xff, v2
	v_cmp_ne_u32_e32 vcc, 0, v2
	s_andn2_b64 s[12:13], s[12:13], exec
	s_and_b64 s[18:19], vcc, exec
	s_or_b64 s[12:13], s[12:13], s[18:19]
	s_or_b64 exec, exec, s[14:15]
	v_mov_b32_e32 v4, 0
	s_and_saveexec_b64 s[14:15], s[12:13]
	s_cbranch_execnz .LBB388_714
	s_branch .LBB388_715
.LBB388_835:
	s_mov_b64 s[10:11], -1
	s_mov_b64 s[8:9], 0
	s_mov_b64 s[0:1], s[70:71]
                                        ; implicit-def: $vgpr3
	s_branch .LBB388_839
.LBB388_836:
	s_andn2_saveexec_b64 s[14:15], s[14:15]
	s_cbranch_execz .LBB388_726
.LBB388_837:
	v_add_f32_e32 v2, 0x42800000, v3
	v_and_b32_e32 v2, 0xff, v2
	v_cmp_ne_u32_e32 vcc, 0, v2
	s_andn2_b64 s[12:13], s[12:13], exec
	s_and_b64 s[18:19], vcc, exec
	s_or_b64 s[12:13], s[12:13], s[18:19]
	s_or_b64 exec, exec, s[14:15]
	v_mov_b32_e32 v4, 0
	s_and_saveexec_b64 s[14:15], s[12:13]
	s_cbranch_execnz .LBB388_727
	s_branch .LBB388_728
.LBB388_838:
	s_mov_b64 s[0:1], -1
                                        ; implicit-def: $vgpr3
	s_mov_b64 s[8:9], 0
.LBB388_839:
	s_and_b64 vcc, exec, s[10:11]
	s_cbranch_vccz .LBB388_843
; %bb.840:
	s_cmp_eq_u32 s12, 44
	s_cbranch_scc0 .LBB388_842
; %bb.841:
	global_load_ubyte v3, v[1:2], off
	s_mov_b64 s[0:1], 0
	s_mov_b64 s[8:9], -1
	s_waitcnt vmcnt(0)
	v_lshlrev_b32_e32 v4, 23, v3
	v_cvt_i32_f32_e32 v4, v4
	v_cmp_ne_u32_e32 vcc, 0, v3
	v_cndmask_b32_e32 v3, 0, v4, vcc
	s_branch .LBB388_843
.LBB388_842:
	s_mov_b64 s[0:1], -1
                                        ; implicit-def: $vgpr3
.LBB388_843:
	s_mov_b64 s[10:11], 0
.LBB388_844:
	s_and_b64 vcc, exec, s[10:11]
	s_cbranch_vccz .LBB388_848
; %bb.845:
	s_cmp_eq_u32 s12, 29
	s_cbranch_scc0 .LBB388_847
; %bb.846:
	global_load_dwordx2 v[3:4], v[1:2], off
	s_mov_b64 s[0:1], 0
	s_mov_b64 s[8:9], -1
	s_branch .LBB388_848
.LBB388_847:
	s_mov_b64 s[0:1], -1
                                        ; implicit-def: $vgpr3
.LBB388_848:
	s_mov_b64 s[10:11], 0
.LBB388_849:
	s_and_b64 vcc, exec, s[10:11]
	s_cbranch_vccz .LBB388_865
; %bb.850:
	s_cmp_lt_i32 s12, 27
	s_cbranch_scc1 .LBB388_853
; %bb.851:
	s_cmp_gt_i32 s12, 27
	s_cbranch_scc0 .LBB388_854
; %bb.852:
	global_load_dword v3, v[1:2], off
	s_mov_b64 s[8:9], 0
	s_branch .LBB388_855
.LBB388_853:
	s_mov_b64 s[8:9], -1
                                        ; implicit-def: $vgpr3
	s_branch .LBB388_858
.LBB388_854:
	s_mov_b64 s[8:9], -1
                                        ; implicit-def: $vgpr3
.LBB388_855:
	s_andn2_b64 vcc, exec, s[8:9]
	s_cbranch_vccnz .LBB388_857
; %bb.856:
	global_load_ushort v3, v[1:2], off
.LBB388_857:
	s_mov_b64 s[8:9], 0
.LBB388_858:
	s_andn2_b64 vcc, exec, s[8:9]
	s_cbranch_vccnz .LBB388_864
; %bb.859:
	global_load_ubyte v4, v[1:2], off
	s_movk_i32 s8, 0x7f
	s_mov_b64 s[10:11], 0
	s_waitcnt vmcnt(0)
	v_cmp_lt_i16_e32 vcc, s8, v4
	s_and_saveexec_b64 s[8:9], vcc
	s_xor_b64 s[8:9], exec, s[8:9]
	s_cbranch_execz .LBB388_876
; %bb.860:
	s_movk_i32 s10, 0x80
	v_cmp_ne_u16_e32 vcc, s10, v4
	s_and_b64 s[10:11], vcc, exec
	s_andn2_saveexec_b64 s[8:9], s[8:9]
	s_cbranch_execnz .LBB388_877
.LBB388_861:
	s_or_b64 exec, exec, s[8:9]
	v_mov_b32_e32 v3, 0
	s_and_saveexec_b64 s[8:9], s[10:11]
	s_cbranch_execz .LBB388_863
.LBB388_862:
	v_lshlrev_b32_e32 v3, 24, v4
	v_and_b32_e32 v4, 0xffff, v4
	v_and_b32_e32 v5, 7, v4
	v_ffbh_u32_e32 v7, v5
	v_min_u32_e32 v7, 32, v7
	v_subrev_u32_e32 v8, 28, v7
	v_bfe_u32 v6, v4, 3, 4
	v_lshlrev_b32_e32 v4, v8, v4
	v_sub_u32_e32 v7, 29, v7
	v_and_b32_e32 v4, 7, v4
	v_cmp_eq_u32_e32 vcc, 0, v6
	v_cndmask_b32_e32 v6, v6, v7, vcc
	v_cndmask_b32_e32 v4, v5, v4, vcc
	v_mov_b32_e32 v5, 0x3b800000
	v_lshlrev_b32_e32 v4, 20, v4
	v_and_b32_e32 v3, 0x80000000, v3
	v_lshl_add_u32 v5, v6, 23, v5
	v_or3_b32 v3, v3, v5, v4
	v_cvt_i32_f32_e32 v3, v3
.LBB388_863:
	s_or_b64 exec, exec, s[8:9]
.LBB388_864:
	s_mov_b64 s[8:9], -1
.LBB388_865:
	s_mov_b64 s[10:11], 0
.LBB388_866:
	s_and_b64 vcc, exec, s[10:11]
	s_cbranch_vccz .LBB388_897
; %bb.867:
	s_cmp_gt_i32 s12, 22
	s_cbranch_scc0 .LBB388_875
; %bb.868:
	s_cmp_lt_i32 s12, 24
	s_cbranch_scc1 .LBB388_878
; %bb.869:
	s_cmp_gt_i32 s12, 24
	s_cbranch_scc0 .LBB388_879
; %bb.870:
	global_load_ubyte v4, v[1:2], off
	s_movk_i32 s2, 0x7f
	s_mov_b64 s[8:9], 0
	s_waitcnt vmcnt(0)
	v_cmp_lt_i16_e32 vcc, s2, v4
	s_and_saveexec_b64 s[2:3], vcc
	s_xor_b64 s[2:3], exec, s[2:3]
	s_cbranch_execz .LBB388_891
; %bb.871:
	s_movk_i32 s8, 0x80
	v_cmp_ne_u16_e32 vcc, s8, v4
	s_and_b64 s[8:9], vcc, exec
	s_andn2_saveexec_b64 s[2:3], s[2:3]
	s_cbranch_execnz .LBB388_892
.LBB388_872:
	s_or_b64 exec, exec, s[2:3]
	v_mov_b32_e32 v3, 0
	s_and_saveexec_b64 s[2:3], s[8:9]
	s_cbranch_execz .LBB388_874
.LBB388_873:
	v_lshlrev_b32_e32 v3, 24, v4
	v_and_b32_e32 v4, 0xffff, v4
	v_and_b32_e32 v5, 3, v4
	v_ffbh_u32_e32 v7, v5
	v_min_u32_e32 v7, 32, v7
	v_subrev_u32_e32 v8, 29, v7
	v_bfe_u32 v6, v4, 2, 5
	v_lshlrev_b32_e32 v4, v8, v4
	v_sub_u32_e32 v7, 30, v7
	v_and_b32_e32 v4, 3, v4
	v_cmp_eq_u32_e32 vcc, 0, v6
	v_cndmask_b32_e32 v6, v6, v7, vcc
	v_cndmask_b32_e32 v4, v5, v4, vcc
	v_mov_b32_e32 v5, 0x37800000
	v_lshlrev_b32_e32 v4, 21, v4
	v_and_b32_e32 v3, 0x80000000, v3
	v_lshl_add_u32 v5, v6, 23, v5
	v_or3_b32 v3, v3, v5, v4
	v_cvt_i32_f32_e32 v3, v3
.LBB388_874:
	s_or_b64 exec, exec, s[2:3]
	s_mov_b64 s[2:3], 0
	s_branch .LBB388_880
.LBB388_875:
	s_mov_b64 s[2:3], -1
                                        ; implicit-def: $vgpr3
	s_branch .LBB388_886
.LBB388_876:
	s_andn2_saveexec_b64 s[8:9], s[8:9]
	s_cbranch_execz .LBB388_861
.LBB388_877:
	v_cmp_ne_u16_e32 vcc, 0, v4
	s_andn2_b64 s[10:11], s[10:11], exec
	s_and_b64 s[14:15], vcc, exec
	s_or_b64 s[10:11], s[10:11], s[14:15]
	s_or_b64 exec, exec, s[8:9]
	v_mov_b32_e32 v3, 0
	s_and_saveexec_b64 s[8:9], s[10:11]
	s_cbranch_execnz .LBB388_862
	s_branch .LBB388_863
.LBB388_878:
	s_mov_b64 s[2:3], -1
                                        ; implicit-def: $vgpr3
	s_branch .LBB388_883
.LBB388_879:
	s_mov_b64 s[2:3], -1
                                        ; implicit-def: $vgpr3
.LBB388_880:
	s_and_b64 vcc, exec, s[2:3]
	s_cbranch_vccz .LBB388_882
; %bb.881:
	global_load_ubyte v3, v[1:2], off
	s_mov_b32 s2, 0x7f800000
	s_waitcnt vmcnt(0)
	v_lshlrev_b32_e32 v3, 24, v3
	v_and_b32_e32 v4, 0x7f000000, v3
	v_ffbh_u32_e32 v5, v4
	v_min_u32_e32 v5, 32, v5
	v_sub_u32_e64 v5, v5, 4 clamp
	v_lshlrev_b32_e32 v7, v5, v4
	v_lshlrev_b32_e32 v5, 23, v5
	v_lshrrev_b32_e32 v7, 4, v7
	v_add_u32_e32 v6, 0x1000000, v4
	v_sub_u32_e32 v5, v7, v5
	v_ashrrev_i32_e32 v6, 8, v6
	v_add_u32_e32 v5, 0x3c000000, v5
	v_and_or_b32 v5, v6, s2, v5
	v_cmp_ne_u32_e32 vcc, 0, v4
	v_cndmask_b32_e32 v4, 0, v5, vcc
	s_brev_b32 s2, 1
	v_and_or_b32 v3, v3, s2, v4
	v_cvt_i32_f32_e32 v3, v3
.LBB388_882:
	s_mov_b64 s[2:3], 0
.LBB388_883:
	s_andn2_b64 vcc, exec, s[2:3]
	s_cbranch_vccnz .LBB388_885
; %bb.884:
	global_load_ubyte v3, v[1:2], off
	s_movk_i32 s2, 0x7f00
	s_brev_b32 s3, 16
	s_waitcnt vmcnt(0)
	v_lshlrev_b16_e32 v4, 8, v3
	v_lshlrev_b32_e32 v3, 25, v3
	v_lshrrev_b32_e32 v5, 4, v3
	v_and_or_b32 v6, v4, s2, 0.5
	v_or_b32_e32 v5, 0x70000000, v5
	v_add_f32_e32 v6, -0.5, v6
	v_mul_f32_e32 v5, 0x7800000, v5
	v_cmp_gt_u32_e32 vcc, s3, v3
	v_bfe_i32 v4, v4, 0, 16
	v_cndmask_b32_e32 v3, v5, v6, vcc
	s_brev_b32 s2, 1
	v_and_or_b32 v3, v4, s2, v3
	v_cvt_i32_f32_e32 v3, v3
.LBB388_885:
	s_mov_b64 s[2:3], 0
	s_mov_b64 s[8:9], -1
.LBB388_886:
	s_andn2_b64 vcc, exec, s[2:3]
	s_mov_b64 s[2:3], 0
	s_cbranch_vccnz .LBB388_897
; %bb.887:
	s_cmp_gt_i32 s12, 14
	s_cbranch_scc0 .LBB388_890
; %bb.888:
	s_cmp_eq_u32 s12, 15
	s_cbranch_scc0 .LBB388_893
; %bb.889:
	global_load_ushort v3, v[1:2], off
	s_mov_b64 s[0:1], 0
	s_mov_b64 s[8:9], -1
	s_waitcnt vmcnt(0)
	v_lshlrev_b32_e32 v3, 16, v3
	v_cvt_i32_f32_e32 v3, v3
	s_branch .LBB388_894
.LBB388_890:
	s_mov_b64 s[10:11], -1
                                        ; implicit-def: $vgpr3
	s_branch .LBB388_895
.LBB388_891:
	s_andn2_saveexec_b64 s[2:3], s[2:3]
	s_cbranch_execz .LBB388_872
.LBB388_892:
	v_cmp_ne_u16_e32 vcc, 0, v4
	s_andn2_b64 s[8:9], s[8:9], exec
	s_and_b64 s[10:11], vcc, exec
	s_or_b64 s[8:9], s[8:9], s[10:11]
	s_or_b64 exec, exec, s[2:3]
	v_mov_b32_e32 v3, 0
	s_and_saveexec_b64 s[2:3], s[8:9]
	s_cbranch_execnz .LBB388_873
	s_branch .LBB388_874
.LBB388_893:
	s_mov_b64 s[0:1], -1
                                        ; implicit-def: $vgpr3
.LBB388_894:
	s_mov_b64 s[10:11], 0
.LBB388_895:
	s_and_b64 vcc, exec, s[10:11]
	s_cbranch_vccz .LBB388_897
; %bb.896:
	s_cmp_lg_u32 s12, 11
	s_cselect_b64 s[10:11], -1, 0
	s_andn2_b64 s[0:1], s[0:1], exec
	s_and_b64 s[10:11], s[10:11], exec
	s_mov_b64 s[2:3], -1
	s_or_b64 s[0:1], s[0:1], s[10:11]
.LBB388_897:
	s_mov_b64 s[12:13], 0
.LBB388_898:
	s_and_b64 s[10:11], s[8:9], exec
	s_and_b64 s[8:9], s[12:13], exec
	s_andn2_b64 s[12:13], s[70:71], exec
	s_and_b64 s[0:1], s[0:1], exec
	s_and_b64 s[2:3], s[2:3], exec
	s_or_b64 s[12:13], s[12:13], s[0:1]
.LBB388_899:
	s_or_b64 exec, exec, s[74:75]
	s_and_b64 s[0:1], s[2:3], exec
	s_andn2_b64 s[2:3], s[70:71], exec
	s_and_b64 s[12:13], s[12:13], exec
	s_and_b64 s[10:11], s[10:11], exec
	;; [unrolled: 1-line block ×3, first 2 shown]
	s_or_b64 s[70:71], s[2:3], s[12:13]
.LBB388_900:
	s_or_b64 exec, exec, s[68:69]
	s_andn2_b64 s[2:3], s[64:65], exec
	s_and_b64 s[12:13], s[72:73], exec
	s_or_b64 s[64:65], s[2:3], s[12:13]
	s_and_b64 s[2:3], s[0:1], exec
	s_andn2_b64 s[0:1], s[62:63], exec
	s_and_b64 s[12:13], s[70:71], exec
	s_and_b64 s[10:11], s[10:11], exec
	;; [unrolled: 1-line block ×3, first 2 shown]
	s_or_b64 s[62:63], s[0:1], s[12:13]
.LBB388_901:
	s_or_b64 exec, exec, s[66:67]
	s_andn2_b64 s[0:1], s[56:57], exec
	s_and_b64 s[12:13], s[64:65], exec
	s_or_b64 s[56:57], s[0:1], s[12:13]
	s_and_b64 s[0:1], s[10:11], exec
	s_and_b64 s[10:11], s[8:9], exec
	;; [unrolled: 1-line block ×3, first 2 shown]
	s_andn2_b64 s[2:3], s[58:59], exec
	s_and_b64 s[8:9], s[62:63], exec
	s_or_b64 s[58:59], s[2:3], s[8:9]
	s_or_b64 exec, exec, s[60:61]
	s_mov_b64 s[2:3], 0
	s_and_saveexec_b64 s[8:9], s[58:59]
	s_cbranch_execz .LBB388_270
.LBB388_902:
	s_mov_b64 s[2:3], exec
	s_andn2_b64 s[64:65], s[64:65], exec
	s_trap 2
	s_or_b64 exec, exec, s[8:9]
	s_and_saveexec_b64 s[8:9], s[64:65]
	s_xor_b64 s[8:9], exec, s[8:9]
	s_cbranch_execnz .LBB388_271
.LBB388_903:
	s_or_b64 exec, exec, s[8:9]
	s_and_saveexec_b64 s[8:9], s[10:11]
	s_cbranch_execz .LBB388_949
.LBB388_904:
	s_sext_i32_i16 s10, s78
	s_cmp_lt_i32 s10, 5
	s_cbranch_scc1 .LBB388_909
; %bb.905:
	s_cmp_lt_i32 s10, 8
	s_cbranch_scc1 .LBB388_910
; %bb.906:
	;; [unrolled: 3-line block ×3, first 2 shown]
	s_cmp_gt_i32 s10, 9
	s_cbranch_scc0 .LBB388_912
; %bb.908:
	global_load_dwordx2 v[3:4], v[1:2], off
	s_mov_b64 s[10:11], 0
	s_waitcnt vmcnt(0)
	v_cvt_i32_f64_e32 v3, v[3:4]
	s_branch .LBB388_913
.LBB388_909:
                                        ; implicit-def: $vgpr3
	s_branch .LBB388_930
.LBB388_910:
                                        ; implicit-def: $vgpr3
	s_branch .LBB388_919
.LBB388_911:
	s_mov_b64 s[10:11], -1
                                        ; implicit-def: $vgpr3
	s_branch .LBB388_916
.LBB388_912:
	s_mov_b64 s[10:11], -1
                                        ; implicit-def: $vgpr3
.LBB388_913:
	s_andn2_b64 vcc, exec, s[10:11]
	s_cbranch_vccnz .LBB388_915
; %bb.914:
	global_load_dword v3, v[1:2], off
	s_waitcnt vmcnt(0)
	v_cvt_i32_f32_e32 v3, v3
.LBB388_915:
	s_mov_b64 s[10:11], 0
.LBB388_916:
	s_andn2_b64 vcc, exec, s[10:11]
	s_cbranch_vccnz .LBB388_918
; %bb.917:
	global_load_dword v3, v[1:2], off
	s_waitcnt vmcnt(0)
	v_cvt_i16_f16_e32 v3, v3
.LBB388_918:
	s_cbranch_execnz .LBB388_929
.LBB388_919:
	s_sext_i32_i16 s10, s78
	s_cmp_lt_i32 s10, 6
	s_cbranch_scc1 .LBB388_922
; %bb.920:
	s_cmp_gt_i32 s10, 6
	s_cbranch_scc0 .LBB388_923
; %bb.921:
	global_load_dwordx2 v[3:4], v[1:2], off
	s_mov_b64 s[10:11], 0
	s_waitcnt vmcnt(0)
	v_cvt_i32_f64_e32 v3, v[3:4]
	s_branch .LBB388_924
.LBB388_922:
	s_mov_b64 s[10:11], -1
                                        ; implicit-def: $vgpr3
	s_branch .LBB388_927
.LBB388_923:
	s_mov_b64 s[10:11], -1
                                        ; implicit-def: $vgpr3
.LBB388_924:
	s_andn2_b64 vcc, exec, s[10:11]
	s_cbranch_vccnz .LBB388_926
; %bb.925:
	global_load_dword v3, v[1:2], off
	s_waitcnt vmcnt(0)
	v_cvt_i32_f32_e32 v3, v3
.LBB388_926:
	s_mov_b64 s[10:11], 0
.LBB388_927:
	s_andn2_b64 vcc, exec, s[10:11]
	s_cbranch_vccnz .LBB388_929
; %bb.928:
	global_load_ushort v3, v[1:2], off
	s_waitcnt vmcnt(0)
	v_cvt_i16_f16_e32 v3, v3
.LBB388_929:
	s_cbranch_execnz .LBB388_948
.LBB388_930:
	s_sext_i32_i16 s10, s78
	s_cmp_lt_i32 s10, 2
	s_cbranch_scc1 .LBB388_934
; %bb.931:
	s_cmp_lt_i32 s10, 3
	s_cbranch_scc1 .LBB388_935
; %bb.932:
	s_cmp_gt_i32 s10, 3
	s_cbranch_scc0 .LBB388_936
; %bb.933:
	global_load_dwordx2 v[3:4], v[1:2], off
	s_mov_b64 s[10:11], 0
	s_branch .LBB388_937
.LBB388_934:
                                        ; implicit-def: $vgpr3
	s_branch .LBB388_943
.LBB388_935:
	s_mov_b64 s[10:11], -1
                                        ; implicit-def: $vgpr3
	s_branch .LBB388_940
.LBB388_936:
	s_mov_b64 s[10:11], -1
                                        ; implicit-def: $vgpr3
.LBB388_937:
	s_andn2_b64 vcc, exec, s[10:11]
	s_cbranch_vccnz .LBB388_939
; %bb.938:
	global_load_dword v3, v[1:2], off
.LBB388_939:
	s_mov_b64 s[10:11], 0
.LBB388_940:
	s_andn2_b64 vcc, exec, s[10:11]
	s_cbranch_vccnz .LBB388_942
; %bb.941:
	global_load_ushort v3, v[1:2], off
.LBB388_942:
	s_cbranch_execnz .LBB388_948
.LBB388_943:
	s_sext_i32_i16 s10, s78
	s_cmp_gt_i32 s10, 0
	s_cbranch_scc0 .LBB388_945
; %bb.944:
	global_load_ubyte v3, v[1:2], off
	s_mov_b64 s[10:11], 0
	s_branch .LBB388_946
.LBB388_945:
	s_mov_b64 s[10:11], -1
                                        ; implicit-def: $vgpr3
.LBB388_946:
	s_andn2_b64 vcc, exec, s[10:11]
	s_cbranch_vccnz .LBB388_948
; %bb.947:
	global_load_ubyte v3, v[1:2], off
.LBB388_948:
	s_or_b64 s[0:1], s[0:1], exec
.LBB388_949:
	s_or_b64 exec, exec, s[8:9]
	s_mov_b64 s[14:15], 0
	s_mov_b64 s[12:13], 0
                                        ; implicit-def: $sgpr8_sgpr9
                                        ; implicit-def: $sgpr20
                                        ; implicit-def: $vgpr1_vgpr2
	s_and_saveexec_b64 s[10:11], s[0:1]
	s_cbranch_execz .LBB388_1024
; %bb.950:
	s_and_b32 s0, s45, 0xff
	s_waitcnt vmcnt(0)
	v_cmp_ne_u16_sdwa s[0:1], s0, v3 src0_sel:DWORD src1_sel:BYTE_0
	s_xor_b64 s[8:9], s[46:47], s[0:1]
	v_mov_b32_e32 v2, s25
	s_and_b32 s20, s77, 0xff
	v_add_co_u32_e32 v1, vcc, s24, v0
	s_cmp_lt_i32 s20, 11
	v_addc_co_u32_e32 v2, vcc, 0, v2, vcc
	s_cbranch_scc1 .LBB388_1027
; %bb.951:
	s_and_b32 s21, 0xffff, s20
	s_mov_b64 s[14:15], -1
	s_cmp_gt_i32 s21, 25
	s_mov_b64 s[0:1], s[56:57]
	s_cbranch_scc0 .LBB388_984
; %bb.952:
	s_mov_b64 s[12:13], -1
	s_cmp_gt_i32 s21, 28
	s_mov_b64 s[0:1], s[56:57]
	s_cbranch_scc0 .LBB388_968
; %bb.953:
	s_cmp_gt_i32 s21, 43
	s_mov_b64 s[0:1], s[56:57]
	s_cbranch_scc0 .LBB388_964
; %bb.954:
	;; [unrolled: 4-line block ×3, first 2 shown]
	s_cmp_eq_u32 s21, 46
	s_mov_b64 s[0:1], -1
	s_cbranch_scc0 .LBB388_957
; %bb.956:
	v_cndmask_b32_e64 v0, 0, 1.0, s[8:9]
	v_bfe_u32 v3, v0, 16, 1
	s_movk_i32 s0, 0x7fff
	v_add3_u32 v0, v0, v3, s0
	v_lshrrev_b32_e32 v0, 16, v0
	global_store_dword v[1:2], v0, off
	s_mov_b64 s[0:1], 0
.LBB388_957:
	s_mov_b64 s[12:13], 0
.LBB388_958:
	s_and_b64 vcc, exec, s[12:13]
	s_cbranch_vccz .LBB388_963
; %bb.959:
	s_cmp_eq_u32 s21, 44
	s_mov_b64 s[0:1], -1
	s_cbranch_scc0 .LBB388_963
; %bb.960:
	v_cndmask_b32_e64 v3, 0, 1.0, s[8:9]
	v_lshrrev_b32_e32 v0, 23, v3
	s_movk_i32 s0, 0xff
	v_cmp_ne_u32_e32 vcc, s0, v0
	v_mov_b32_e32 v4, 0xff
	s_and_saveexec_b64 s[12:13], vcc
; %bb.961:
	s_mov_b32 s0, 0x3fffff
	v_and_b32_e32 v4, 0x400000, v3
	v_and_or_b32 v3, v3, s0, v0
	v_cmp_ne_u32_e32 vcc, 0, v4
	v_cmp_ne_u32_e64 s[0:1], 0, v3
	s_and_b64 s[0:1], vcc, s[0:1]
	v_cndmask_b32_e64 v3, 0, 1, s[0:1]
	v_add_u32_e32 v4, v0, v3
; %bb.962:
	s_or_b64 exec, exec, s[12:13]
	s_mov_b64 s[0:1], 0
	global_store_byte v[1:2], v4, off
.LBB388_963:
	s_mov_b64 s[12:13], 0
.LBB388_964:
	s_and_b64 vcc, exec, s[12:13]
	s_cbranch_vccz .LBB388_967
; %bb.965:
	s_cmp_eq_u32 s21, 29
	s_mov_b64 s[0:1], -1
	s_cbranch_scc0 .LBB388_967
; %bb.966:
	s_mov_b32 s0, 0
	v_cndmask_b32_e64 v3, 0, 1, s[8:9]
	v_mov_b32_e32 v4, s0
	global_store_dwordx2 v[1:2], v[3:4], off
	s_mov_b64 s[0:1], 0
.LBB388_967:
	s_mov_b64 s[12:13], 0
.LBB388_968:
	s_and_b64 vcc, exec, s[12:13]
	s_cbranch_vccz .LBB388_983
; %bb.969:
	s_cmp_lt_i32 s21, 27
	s_mov_b64 s[12:13], -1
	s_cbranch_scc1 .LBB388_975
; %bb.970:
	s_cmp_gt_i32 s21, 27
	s_cbranch_scc0 .LBB388_972
; %bb.971:
	v_cndmask_b32_e64 v0, 0, 1, s[8:9]
	s_mov_b64 s[12:13], 0
	global_store_dword v[1:2], v0, off
.LBB388_972:
	s_andn2_b64 vcc, exec, s[12:13]
	s_cbranch_vccnz .LBB388_974
; %bb.973:
	v_cndmask_b32_e64 v0, 0, 1, s[8:9]
	global_store_short v[1:2], v0, off
.LBB388_974:
	s_mov_b64 s[12:13], 0
.LBB388_975:
	s_andn2_b64 vcc, exec, s[12:13]
	s_cbranch_vccnz .LBB388_983
; %bb.976:
	v_cndmask_b32_e64 v3, 0, 1.0, s[8:9]
	s_mov_b32 s12, 0x43800000
	v_cmp_gt_u32_e32 vcc, s12, v3
	v_mov_b32_e32 v4, 0x80
	s_and_saveexec_b64 s[12:13], vcc
	s_cbranch_execz .LBB388_982
; %bb.977:
	s_mov_b32 s14, 0x3bffffff
	v_cmp_lt_u32_e32 vcc, s14, v3
	s_mov_b64 s[14:15], 0
                                        ; implicit-def: $vgpr0
	s_and_saveexec_b64 s[16:17], vcc
	s_xor_b64 s[16:17], exec, s[16:17]
	s_cbranch_execz .LBB388_1140
; %bb.978:
	v_bfe_u32 v0, v3, 20, 1
	s_mov_b32 s18, 0x487ffff
	v_add3_u32 v0, v3, v0, s18
	s_mov_b64 s[14:15], exec
	v_lshrrev_b32_e32 v0, 20, v0
                                        ; implicit-def: $vgpr3
	s_andn2_saveexec_b64 s[16:17], s[16:17]
	s_cbranch_execnz .LBB388_1141
.LBB388_979:
	s_or_b64 exec, exec, s[16:17]
	v_mov_b32_e32 v4, 0
	s_and_saveexec_b64 s[16:17], s[14:15]
.LBB388_980:
	v_mov_b32_e32 v4, v0
.LBB388_981:
	s_or_b64 exec, exec, s[16:17]
.LBB388_982:
	s_or_b64 exec, exec, s[12:13]
	global_store_byte v[1:2], v4, off
.LBB388_983:
	s_mov_b64 s[14:15], 0
.LBB388_984:
	s_mov_b64 s[12:13], 0
	s_and_b64 vcc, exec, s[14:15]
	s_cbranch_vccz .LBB388_1028
; %bb.985:
	s_cmp_gt_i32 s21, 22
	s_mov_b64 s[14:15], -1
	s_cbranch_scc0 .LBB388_1017
; %bb.986:
	s_cmp_lt_i32 s21, 24
	s_cbranch_scc1 .LBB388_1006
; %bb.987:
	s_cmp_gt_i32 s21, 24
	s_cbranch_scc0 .LBB388_995
; %bb.988:
	v_cndmask_b32_e64 v3, 0, 1.0, s[8:9]
	s_mov_b32 s14, 0x47800000
	v_cmp_gt_u32_e32 vcc, s14, v3
	v_mov_b32_e32 v4, 0x80
	s_and_saveexec_b64 s[14:15], vcc
	s_cbranch_execz .LBB388_994
; %bb.989:
	s_mov_b32 s16, 0x37ffffff
	v_cmp_lt_u32_e32 vcc, s16, v3
	s_mov_b64 s[16:17], 0
                                        ; implicit-def: $vgpr0
	s_and_saveexec_b64 s[18:19], vcc
	s_xor_b64 s[18:19], exec, s[18:19]
	s_cbranch_execz .LBB388_1260
; %bb.990:
	v_bfe_u32 v0, v3, 21, 1
	s_mov_b32 s22, 0x88fffff
	v_add3_u32 v0, v3, v0, s22
	s_mov_b64 s[16:17], exec
	v_lshrrev_b32_e32 v0, 21, v0
                                        ; implicit-def: $vgpr3
	s_andn2_saveexec_b64 s[18:19], s[18:19]
	s_cbranch_execnz .LBB388_1261
.LBB388_991:
	s_or_b64 exec, exec, s[18:19]
	v_mov_b32_e32 v4, 0
	s_and_saveexec_b64 s[18:19], s[16:17]
.LBB388_992:
	v_mov_b32_e32 v4, v0
.LBB388_993:
	s_or_b64 exec, exec, s[18:19]
.LBB388_994:
	s_or_b64 exec, exec, s[14:15]
	s_mov_b64 s[14:15], 0
	global_store_byte v[1:2], v4, off
.LBB388_995:
	s_and_b64 vcc, exec, s[14:15]
	s_cbranch_vccz .LBB388_1005
; %bb.996:
	v_cndmask_b32_e64 v0, 0, 1.0, s[8:9]
	s_mov_b32 s14, 0x43f00000
	v_cmp_gt_u32_e32 vcc, s14, v0
                                        ; implicit-def: $vgpr3
	s_and_saveexec_b64 s[14:15], vcc
	s_xor_b64 s[14:15], exec, s[14:15]
	s_cbranch_execz .LBB388_1002
; %bb.997:
	s_mov_b32 s16, 0x3c7fffff
	v_cmp_lt_u32_e32 vcc, s16, v0
                                        ; implicit-def: $vgpr3
	s_and_saveexec_b64 s[16:17], vcc
	s_xor_b64 s[16:17], exec, s[16:17]
; %bb.998:
	v_bfe_u32 v3, v0, 20, 1
	s_mov_b32 s18, 0x407ffff
	v_add3_u32 v0, v0, v3, s18
	v_lshrrev_b32_e32 v3, 20, v0
	v_and_b32_e32 v0, 0xff00000, v0
	s_mov_b32 s18, 0x7f00000
	v_mov_b32_e32 v4, 0x7e
	v_cmp_ne_u32_e32 vcc, s18, v0
	v_cndmask_b32_e32 v3, v4, v3, vcc
                                        ; implicit-def: $vgpr0
; %bb.999:
	s_andn2_saveexec_b64 s[16:17], s[16:17]
; %bb.1000:
	v_add_f32_e32 v3, 0x46800000, v0
; %bb.1001:
	s_or_b64 exec, exec, s[16:17]
                                        ; implicit-def: $vgpr0
.LBB388_1002:
	s_andn2_saveexec_b64 s[14:15], s[14:15]
; %bb.1003:
	s_mov_b32 s16, 0x7f800000
	v_mov_b32_e32 v3, 0x7e
	v_mov_b32_e32 v4, 0x7f
	v_cmp_lt_u32_e32 vcc, s16, v0
	v_cndmask_b32_e32 v3, v3, v4, vcc
; %bb.1004:
	s_or_b64 exec, exec, s[14:15]
	global_store_byte v[1:2], v3, off
.LBB388_1005:
	s_mov_b64 s[14:15], 0
.LBB388_1006:
	s_andn2_b64 vcc, exec, s[14:15]
	s_cbranch_vccnz .LBB388_1016
; %bb.1007:
	v_cndmask_b32_e64 v0, 0, 1.0, s[8:9]
	s_mov_b32 s14, 0x47800000
	v_cmp_gt_u32_e32 vcc, s14, v0
                                        ; implicit-def: $vgpr3
	s_and_saveexec_b64 s[14:15], vcc
	s_xor_b64 s[14:15], exec, s[14:15]
	s_cbranch_execz .LBB388_1013
; %bb.1008:
	s_mov_b32 s16, 0x387fffff
	v_cmp_lt_u32_e32 vcc, s16, v0
                                        ; implicit-def: $vgpr3
	s_and_saveexec_b64 s[16:17], vcc
	s_xor_b64 s[16:17], exec, s[16:17]
; %bb.1009:
	v_bfe_u32 v3, v0, 21, 1
	s_mov_b32 s18, 0x80fffff
	v_add3_u32 v0, v0, v3, s18
	v_lshrrev_b32_e32 v3, 21, v0
                                        ; implicit-def: $vgpr0
; %bb.1010:
	s_andn2_saveexec_b64 s[16:17], s[16:17]
; %bb.1011:
	v_add_f32_e32 v3, 0x43000000, v0
; %bb.1012:
	s_or_b64 exec, exec, s[16:17]
                                        ; implicit-def: $vgpr0
.LBB388_1013:
	s_andn2_saveexec_b64 s[14:15], s[14:15]
; %bb.1014:
	s_mov_b32 s16, 0x7f800000
	v_mov_b32_e32 v3, 0x7c
	v_mov_b32_e32 v4, 0x7f
	v_cmp_lt_u32_e32 vcc, s16, v0
	v_cndmask_b32_e32 v3, v3, v4, vcc
; %bb.1015:
	s_or_b64 exec, exec, s[14:15]
	global_store_byte v[1:2], v3, off
.LBB388_1016:
	s_mov_b64 s[14:15], 0
.LBB388_1017:
	s_andn2_b64 vcc, exec, s[14:15]
	s_mov_b64 s[14:15], 0
	s_cbranch_vccnz .LBB388_1029
; %bb.1018:
	s_cmp_gt_i32 s21, 14
	s_mov_b64 s[16:17], -1
	s_cbranch_scc0 .LBB388_1022
; %bb.1019:
	s_cmp_eq_u32 s21, 15
	s_mov_b64 s[0:1], -1
	s_cbranch_scc0 .LBB388_1021
; %bb.1020:
	v_cndmask_b32_e64 v0, 0, 1.0, s[8:9]
	v_bfe_u32 v3, v0, 16, 1
	s_movk_i32 s0, 0x7fff
	v_add3_u32 v0, v0, v3, s0
	global_store_short_d16_hi v[1:2], v0, off
	s_mov_b64 s[0:1], 0
.LBB388_1021:
	s_mov_b64 s[16:17], 0
.LBB388_1022:
	s_and_b64 vcc, exec, s[16:17]
	s_cbranch_vccz .LBB388_1029
; %bb.1023:
	s_cmp_lg_u32 s21, 11
	s_cselect_b64 s[16:17], -1, 0
	s_andn2_b64 s[0:1], s[0:1], exec
	s_and_b64 s[16:17], s[16:17], exec
	s_mov_b64 s[14:15], -1
	s_or_b64 s[0:1], s[0:1], s[16:17]
	s_branch .LBB388_1029
.LBB388_1024:
	s_or_b64 exec, exec, s[10:11]
	s_and_saveexec_b64 s[0:1], s[56:57]
	s_cbranch_execnz .LBB388_1030
.LBB388_1025:
	s_or_b64 exec, exec, s[0:1]
	s_and_saveexec_b64 s[0:1], s[14:15]
	s_xor_b64 s[0:1], exec, s[0:1]
	s_cbranch_execz .LBB388_1031
.LBB388_1026:
	v_cndmask_b32_e64 v0, 0, 1, s[8:9]
	global_store_byte v[1:2], v0, off
	s_or_b64 exec, exec, s[0:1]
	s_and_saveexec_b64 s[0:1], s[12:13]
	s_xor_b64 s[0:1], exec, s[0:1]
	s_cbranch_execz .LBB388_1069
	s_branch .LBB388_1032
.LBB388_1027:
	s_mov_b64 s[12:13], -1
	s_mov_b64 s[0:1], s[56:57]
	s_branch .LBB388_1029
.LBB388_1028:
	s_mov_b64 s[14:15], 0
.LBB388_1029:
	s_andn2_b64 s[16:17], s[56:57], exec
	s_and_b64 s[0:1], s[0:1], exec
	s_and_b64 s[12:13], s[12:13], exec
	s_and_b64 s[14:15], s[14:15], exec
	s_or_b64 s[56:57], s[16:17], s[0:1]
	s_or_b64 exec, exec, s[10:11]
	s_and_saveexec_b64 s[0:1], s[56:57]
	s_cbranch_execz .LBB388_1025
.LBB388_1030:
	s_or_b64 s[2:3], s[2:3], exec
	s_andn2_b64 s[14:15], s[14:15], exec
	s_trap 2
	s_or_b64 exec, exec, s[0:1]
	s_and_saveexec_b64 s[0:1], s[14:15]
	s_xor_b64 s[0:1], exec, s[0:1]
	s_cbranch_execnz .LBB388_1026
.LBB388_1031:
	s_or_b64 exec, exec, s[0:1]
	s_and_saveexec_b64 s[0:1], s[12:13]
	s_xor_b64 s[0:1], exec, s[0:1]
	s_cbranch_execz .LBB388_1069
.LBB388_1032:
	s_sext_i32_i16 s12, s20
	s_cmp_lt_i32 s12, 5
	s_mov_b64 s[10:11], -1
	s_cbranch_scc1 .LBB388_1053
; %bb.1033:
	s_cmp_lt_i32 s12, 8
	s_cbranch_scc1 .LBB388_1043
; %bb.1034:
	s_cmp_lt_i32 s12, 9
	s_cbranch_scc1 .LBB388_1040
; %bb.1035:
	s_cmp_gt_i32 s12, 9
	s_cbranch_scc0 .LBB388_1037
; %bb.1036:
	v_cndmask_b32_e64 v0, 0, 1, s[8:9]
	s_waitcnt vmcnt(0)
	v_cvt_f64_u32_e32 v[3:4], v0
	v_mov_b32_e32 v5, 0
	v_mov_b32_e32 v6, v5
	s_mov_b64 s[10:11], 0
	global_store_dwordx4 v[1:2], v[3:6], off
.LBB388_1037:
	s_andn2_b64 vcc, exec, s[10:11]
	s_cbranch_vccnz .LBB388_1039
; %bb.1038:
	s_waitcnt vmcnt(0)
	v_cndmask_b32_e64 v3, 0, 1.0, s[8:9]
	v_mov_b32_e32 v4, 0
	global_store_dwordx2 v[1:2], v[3:4], off
.LBB388_1039:
	s_mov_b64 s[10:11], 0
.LBB388_1040:
	s_andn2_b64 vcc, exec, s[10:11]
	s_cbranch_vccnz .LBB388_1042
; %bb.1041:
	v_cndmask_b32_e64 v0, 0, 1.0, s[8:9]
	v_cvt_f16_f32_e32 v0, v0
	global_store_dword v[1:2], v0, off
.LBB388_1042:
	s_mov_b64 s[10:11], 0
.LBB388_1043:
	s_andn2_b64 vcc, exec, s[10:11]
	s_cbranch_vccnz .LBB388_1052
; %bb.1044:
	s_sext_i32_i16 s12, s20
	s_cmp_lt_i32 s12, 6
	s_mov_b64 s[10:11], -1
	s_cbranch_scc1 .LBB388_1050
; %bb.1045:
	s_cmp_gt_i32 s12, 6
	s_cbranch_scc0 .LBB388_1047
; %bb.1046:
	v_cndmask_b32_e64 v0, 0, 1, s[8:9]
	s_waitcnt vmcnt(0)
	v_cvt_f64_u32_e32 v[3:4], v0
	s_mov_b64 s[10:11], 0
	global_store_dwordx2 v[1:2], v[3:4], off
.LBB388_1047:
	s_andn2_b64 vcc, exec, s[10:11]
	s_cbranch_vccnz .LBB388_1049
; %bb.1048:
	v_cndmask_b32_e64 v0, 0, 1.0, s[8:9]
	global_store_dword v[1:2], v0, off
.LBB388_1049:
	s_mov_b64 s[10:11], 0
.LBB388_1050:
	s_andn2_b64 vcc, exec, s[10:11]
	s_cbranch_vccnz .LBB388_1052
; %bb.1051:
	v_cndmask_b32_e64 v0, 0, 1.0, s[8:9]
	v_cvt_f16_f32_e32 v0, v0
	global_store_short v[1:2], v0, off
.LBB388_1052:
	s_mov_b64 s[10:11], 0
.LBB388_1053:
	s_andn2_b64 vcc, exec, s[10:11]
	s_cbranch_vccnz .LBB388_1069
; %bb.1054:
	s_sext_i32_i16 s12, s20
	s_cmp_lt_i32 s12, 2
	s_mov_b64 s[10:11], -1
	s_cbranch_scc1 .LBB388_1064
; %bb.1055:
	s_cmp_lt_i32 s12, 3
	s_cbranch_scc1 .LBB388_1061
; %bb.1056:
	s_cmp_gt_i32 s12, 3
	s_cbranch_scc0 .LBB388_1058
; %bb.1057:
	s_mov_b32 s10, 0
	s_waitcnt vmcnt(0)
	v_cndmask_b32_e64 v3, 0, 1, s[8:9]
	v_mov_b32_e32 v4, s10
	s_mov_b64 s[10:11], 0
	global_store_dwordx2 v[1:2], v[3:4], off
.LBB388_1058:
	s_andn2_b64 vcc, exec, s[10:11]
	s_cbranch_vccnz .LBB388_1060
; %bb.1059:
	v_cndmask_b32_e64 v0, 0, 1, s[8:9]
	global_store_dword v[1:2], v0, off
.LBB388_1060:
	s_mov_b64 s[10:11], 0
.LBB388_1061:
	s_andn2_b64 vcc, exec, s[10:11]
	s_cbranch_vccnz .LBB388_1063
; %bb.1062:
	v_cndmask_b32_e64 v0, 0, 1, s[8:9]
	global_store_short v[1:2], v0, off
.LBB388_1063:
	s_mov_b64 s[10:11], 0
.LBB388_1064:
	s_andn2_b64 vcc, exec, s[10:11]
	s_cbranch_vccnz .LBB388_1069
; %bb.1065:
	s_sext_i32_i16 s10, s20
	s_cmp_gt_i32 s10, 0
	s_mov_b64 s[10:11], -1
	s_cbranch_scc0 .LBB388_1067
; %bb.1066:
	v_cndmask_b32_e64 v0, 0, 1, s[8:9]
	s_mov_b64 s[10:11], 0
	global_store_byte v[1:2], v0, off
.LBB388_1067:
	s_andn2_b64 vcc, exec, s[10:11]
	s_cbranch_vccnz .LBB388_1069
; %bb.1068:
	v_cndmask_b32_e64 v0, 0, 1, s[8:9]
	global_store_byte v[1:2], v0, off
.LBB388_1069:
	s_or_b64 exec, exec, s[0:1]
	s_and_b64 s[28:29], s[2:3], exec
                                        ; implicit-def: $vgpr15
                                        ; implicit-def: $vgpr8
.LBB388_1070:
	s_or_saveexec_b64 s[30:31], s[42:43]
	s_mov_b64 s[0:1], 0
                                        ; implicit-def: $sgpr10_sgpr11
                                        ; implicit-def: $vgpr0_vgpr1
                                        ; implicit-def: $sgpr18
	s_xor_b64 exec, exec, s[30:31]
	s_cbranch_execz .LBB388_2057
; %bb.1071:
	v_cndmask_b32_e64 v0, 0, 1, s[40:41]
	v_cmp_ne_u32_e64 s[0:1], 1, v0
	s_andn2_b64 vcc, exec, s[40:41]
	s_cbranch_vccnz .LBB388_1077
; %bb.1072:
	s_cmp_lg_u32 s33, 0
	s_mov_b32 s36, 0
	s_cbranch_scc0 .LBB388_1078
; %bb.1073:
	s_min_u32 s37, s76, 15
	s_add_i32 s37, s37, 1
	s_cmp_eq_u32 s76, 2
	s_cbranch_scc1 .LBB388_1079
; %bb.1074:
	s_and_b32 s36, s37, 28
	s_add_u32 s2, s34, 0xc4
	s_addc_u32 s3, s35, 0
	v_mov_b32_e32 v13, 0
	s_mov_b32 s38, 0
	s_mov_b64 s[6:7], s[34:35]
	v_mov_b32_e32 v6, 0
	v_mov_b32_e32 v0, v8
.LBB388_1075:                           ; =>This Inner Loop Header: Depth=1
	s_load_dwordx8 s[16:23], s[6:7], 0x4
	s_load_dwordx4 s[24:27], s[6:7], 0x24
	s_load_dwordx8 s[8:15], s[2:3], 0x0
	s_add_u32 s6, s6, 48
	s_addc_u32 s7, s7, 0
	s_waitcnt lgkmcnt(0)
	v_mul_hi_u32 v1, s17, v0
	s_add_i32 s38, s38, 4
	s_add_u32 s2, s2, 32
	s_addc_u32 s3, s3, 0
	v_add_u32_e32 v1, v0, v1
	v_lshrrev_b32_e32 v1, s18, v1
	v_mul_lo_u32 v2, v1, s16
	s_waitcnt vmcnt(0)
	v_mul_hi_u32 v3, s20, v1
	s_cmp_lg_u32 s36, s38
	v_sub_u32_e32 v0, v0, v2
	v_add_u32_e32 v2, v1, v3
	v_mul_lo_u32 v3, v0, s8
	v_mul_lo_u32 v4, v0, s9
	v_lshrrev_b32_e32 v0, s21, v2
	v_mul_lo_u32 v2, v0, s19
	v_mul_hi_u32 v5, s23, v0
	v_sub_u32_e32 v1, v1, v2
	v_add_u32_e32 v2, v0, v5
	v_lshrrev_b32_e32 v2, s24, v2
	v_mul_hi_u32 v7, s26, v2
	v_mul_lo_u32 v9, v2, s22
	v_mul_lo_u32 v5, v1, s10
	;; [unrolled: 1-line block ×3, first 2 shown]
	v_sub_u32_e32 v9, v0, v9
	v_add_u32_e32 v0, v2, v7
	v_lshrrev_b32_e32 v0, s27, v0
	v_mul_lo_u32 v7, v0, s25
	v_mul_lo_u32 v10, v9, s12
	;; [unrolled: 1-line block ×3, first 2 shown]
	v_add3_u32 v3, v3, v6, v5
	v_sub_u32_e32 v2, v2, v7
	v_mul_lo_u32 v7, v2, s14
	v_mul_lo_u32 v2, v2, s15
	v_add3_u32 v1, v4, v13, v1
	v_add3_u32 v6, v10, v3, v7
	;; [unrolled: 1-line block ×3, first 2 shown]
	s_cbranch_scc1 .LBB388_1075
; %bb.1076:
	s_and_b32 s8, s37, 3
	s_cmp_eq_u32 s8, 0
	s_cbranch_scc0 .LBB388_1080
	s_branch .LBB388_1082
.LBB388_1077:
                                        ; implicit-def: $vgpr6
                                        ; implicit-def: $vgpr13
	s_branch .LBB388_1083
.LBB388_1078:
	v_mov_b32_e32 v6, 0
	v_mov_b32_e32 v13, 0
	s_branch .LBB388_1082
.LBB388_1079:
	v_mov_b32_e32 v6, 0
	v_mov_b32_e32 v13, 0
	;; [unrolled: 1-line block ×3, first 2 shown]
	s_and_b32 s8, s37, 3
	s_cmp_eq_u32 s8, 0
	s_cbranch_scc1 .LBB388_1082
.LBB388_1080:
	s_lshl_b32 s2, s36, 3
	s_add_u32 s2, s34, s2
	s_addc_u32 s3, s35, 0
	s_add_u32 s2, s2, 0xc4
	s_addc_u32 s3, s3, 0
	s_mul_i32 s6, s36, 12
	s_add_u32 s6, s34, s6
	s_addc_u32 s7, s35, 0
.LBB388_1081:                           ; =>This Inner Loop Header: Depth=1
	s_load_dwordx2 s[10:11], s[6:7], 0x4
	s_load_dword s9, s[6:7], 0xc
	s_load_dwordx2 s[12:13], s[2:3], 0x0
	s_add_u32 s6, s6, 12
	s_addc_u32 s7, s7, 0
	s_waitcnt lgkmcnt(0)
	v_mul_hi_u32 v1, s11, v0
	s_add_u32 s2, s2, 8
	s_addc_u32 s3, s3, 0
	s_add_i32 s8, s8, -1
	v_add_u32_e32 v1, v0, v1
	v_lshrrev_b32_e32 v1, s9, v1
	v_mul_lo_u32 v2, v1, s10
	s_cmp_lg_u32 s8, 0
	v_sub_u32_e32 v0, v0, v2
	v_mad_u64_u32 v[6:7], s[10:11], v0, s12, v[6:7]
	v_mad_u64_u32 v[13:14], s[10:11], v0, s13, v[13:14]
	v_mov_b32_e32 v0, v1
	s_cbranch_scc1 .LBB388_1081
.LBB388_1082:
	s_cbranch_execnz .LBB388_1085
.LBB388_1083:
	s_load_dwordx4 s[8:11], s[34:35], 0x4
	s_load_dwordx2 s[2:3], s[34:35], 0xc4
	s_cmp_lt_u32 s33, 2
	s_waitcnt lgkmcnt(0)
	v_mul_hi_u32 v0, s9, v8
	v_add_u32_e32 v0, v8, v0
	v_lshrrev_b32_e32 v0, s10, v0
	v_mul_lo_u32 v1, v0, s8
	v_sub_u32_e32 v1, v8, v1
	v_mul_lo_u32 v6, v1, s2
	v_mul_lo_u32 v13, v1, s3
	s_cbranch_scc1 .LBB388_1085
; %bb.1084:
	s_load_dwordx4 s[8:11], s[34:35], 0x10
	s_load_dwordx2 s[2:3], s[34:35], 0xcc
	s_waitcnt lgkmcnt(0)
	v_mul_hi_u32 v1, s9, v0
	v_add_u32_e32 v1, v0, v1
	v_lshrrev_b32_e32 v1, s10, v1
	v_mul_lo_u32 v1, v1, s8
	v_sub_u32_e32 v0, v0, v1
	v_mad_u64_u32 v[6:7], s[6:7], v0, s2, v[6:7]
	v_mad_u64_u32 v[13:14], s[2:3], v0, s3, v[13:14]
.LBB388_1085:
	s_and_b64 vcc, exec, s[0:1]
	v_add_u32_e32 v0, 0x80, v8
	s_cbranch_vccnz .LBB388_1091
; %bb.1086:
	s_cmp_lg_u32 s33, 0
	s_mov_b32 s36, 0
	s_cbranch_scc0 .LBB388_1092
; %bb.1087:
	s_min_u32 s37, s76, 15
	s_add_i32 s37, s37, 1
	s_cmp_eq_u32 s76, 2
	s_cbranch_scc1 .LBB388_1093
; %bb.1088:
	s_and_b32 s36, s37, 28
	s_add_u32 s2, s34, 0xc4
	s_addc_u32 s3, s35, 0
	v_mov_b32_e32 v11, 0
	s_mov_b32 s38, 0
	s_mov_b64 s[6:7], s[34:35]
	s_waitcnt vmcnt(0)
	v_mov_b32_e32 v4, 0
	v_mov_b32_e32 v1, v0
.LBB388_1089:                           ; =>This Inner Loop Header: Depth=1
	s_load_dwordx8 s[16:23], s[6:7], 0x4
	s_load_dwordx4 s[24:27], s[6:7], 0x24
	s_load_dwordx8 s[8:15], s[2:3], 0x0
	s_add_u32 s6, s6, 48
	s_addc_u32 s7, s7, 0
	s_waitcnt lgkmcnt(0)
	v_mul_hi_u32 v2, s17, v1
	s_add_i32 s38, s38, 4
	s_add_u32 s2, s2, 32
	s_addc_u32 s3, s3, 0
	v_add_u32_e32 v2, v1, v2
	v_lshrrev_b32_e32 v2, s18, v2
	v_mul_lo_u32 v3, v2, s16
	v_mul_hi_u32 v5, s20, v2
	s_cmp_lg_u32 s36, s38
	v_sub_u32_e32 v1, v1, v3
	v_add_u32_e32 v3, v2, v5
	v_mul_lo_u32 v5, v1, s8
	v_mul_lo_u32 v7, v1, s9
	v_lshrrev_b32_e32 v1, s21, v3
	v_mul_lo_u32 v3, v1, s19
	v_mul_hi_u32 v9, s23, v1
	v_sub_u32_e32 v2, v2, v3
	v_add_u32_e32 v3, v1, v9
	v_lshrrev_b32_e32 v3, s24, v3
	v_mul_hi_u32 v10, s26, v3
	v_mul_lo_u32 v12, v3, s22
	v_mul_lo_u32 v9, v2, s10
	;; [unrolled: 1-line block ×3, first 2 shown]
	v_sub_u32_e32 v12, v1, v12
	v_add_u32_e32 v1, v3, v10
	v_lshrrev_b32_e32 v1, s27, v1
	v_mul_lo_u32 v10, v1, s25
	v_mul_lo_u32 v14, v12, s12
	v_mul_lo_u32 v12, v12, s13
	v_add3_u32 v4, v5, v4, v9
	v_sub_u32_e32 v3, v3, v10
	v_mul_lo_u32 v10, v3, s14
	v_mul_lo_u32 v3, v3, s15
	v_add3_u32 v2, v7, v11, v2
	v_add3_u32 v4, v14, v4, v10
	v_add3_u32 v11, v12, v2, v3
	s_cbranch_scc1 .LBB388_1089
; %bb.1090:
	s_and_b32 s8, s37, 3
	s_cmp_eq_u32 s8, 0
	s_cbranch_scc0 .LBB388_1094
	s_branch .LBB388_1096
.LBB388_1091:
                                        ; implicit-def: $vgpr4
                                        ; implicit-def: $vgpr11
	s_branch .LBB388_1097
.LBB388_1092:
	s_waitcnt vmcnt(0)
	v_mov_b32_e32 v4, 0
	v_mov_b32_e32 v11, 0
	s_branch .LBB388_1096
.LBB388_1093:
	s_waitcnt vmcnt(0)
	v_mov_b32_e32 v4, 0
	v_mov_b32_e32 v11, 0
	;; [unrolled: 1-line block ×3, first 2 shown]
	s_and_b32 s8, s37, 3
	s_cmp_eq_u32 s8, 0
	s_cbranch_scc1 .LBB388_1096
.LBB388_1094:
	s_lshl_b32 s2, s36, 3
	s_add_u32 s2, s34, s2
	s_addc_u32 s3, s35, 0
	s_add_u32 s2, s2, 0xc4
	s_addc_u32 s3, s3, 0
	s_mul_i32 s6, s36, 12
	s_add_u32 s6, s34, s6
	s_addc_u32 s7, s35, 0
.LBB388_1095:                           ; =>This Inner Loop Header: Depth=1
	s_load_dwordx2 s[10:11], s[6:7], 0x4
	s_load_dword s9, s[6:7], 0xc
	s_load_dwordx2 s[12:13], s[2:3], 0x0
	s_add_u32 s6, s6, 12
	s_addc_u32 s7, s7, 0
	s_waitcnt lgkmcnt(0)
	v_mul_hi_u32 v2, s11, v1
	s_add_u32 s2, s2, 8
	s_addc_u32 s3, s3, 0
	s_add_i32 s8, s8, -1
	v_add_u32_e32 v2, v1, v2
	v_lshrrev_b32_e32 v2, s9, v2
	v_mul_lo_u32 v3, v2, s10
	s_cmp_lg_u32 s8, 0
	v_sub_u32_e32 v1, v1, v3
	v_mad_u64_u32 v[4:5], s[10:11], v1, s12, v[4:5]
	v_mad_u64_u32 v[11:12], s[10:11], v1, s13, v[11:12]
	v_mov_b32_e32 v1, v2
	s_cbranch_scc1 .LBB388_1095
.LBB388_1096:
	s_cbranch_execnz .LBB388_1099
.LBB388_1097:
	s_load_dwordx4 s[8:11], s[34:35], 0x4
	s_load_dwordx2 s[2:3], s[34:35], 0xc4
	s_cmp_lt_u32 s33, 2
	s_waitcnt lgkmcnt(0)
	v_mul_hi_u32 v1, s9, v0
	v_add_u32_e32 v1, v0, v1
	v_lshrrev_b32_e32 v1, s10, v1
	v_mul_lo_u32 v2, v1, s8
	v_sub_u32_e32 v0, v0, v2
	s_waitcnt vmcnt(0)
	v_mul_lo_u32 v4, v0, s2
	v_mul_lo_u32 v11, v0, s3
	s_cbranch_scc1 .LBB388_1099
; %bb.1098:
	s_load_dwordx4 s[8:11], s[34:35], 0x10
	s_load_dwordx2 s[2:3], s[34:35], 0xcc
	s_waitcnt lgkmcnt(0)
	v_mul_hi_u32 v0, s9, v1
	v_add_u32_e32 v0, v1, v0
	v_lshrrev_b32_e32 v0, s10, v0
	v_mul_lo_u32 v0, v0, s8
	v_sub_u32_e32 v0, v1, v0
	v_mad_u64_u32 v[4:5], s[6:7], v0, s2, v[4:5]
	v_mad_u64_u32 v[11:12], s[2:3], v0, s3, v[11:12]
.LBB388_1099:
	s_and_b64 vcc, exec, s[0:1]
	v_add_u32_e32 v0, 0x100, v8
	s_cbranch_vccnz .LBB388_1105
; %bb.1100:
	s_cmp_lg_u32 s33, 0
	s_mov_b32 s36, 0
	s_cbranch_scc0 .LBB388_1106
; %bb.1101:
	s_min_u32 s37, s76, 15
	s_add_i32 s37, s37, 1
	s_cmp_eq_u32 s76, 2
	s_cbranch_scc1 .LBB388_1107
; %bb.1102:
	s_and_b32 s36, s37, 28
	s_add_u32 s2, s34, 0xc4
	s_addc_u32 s3, s35, 0
	v_mov_b32_e32 v9, 0
	s_mov_b32 s38, 0
	s_mov_b64 s[6:7], s[34:35]
	v_mov_b32_e32 v2, 0
	v_mov_b32_e32 v1, v0
.LBB388_1103:                           ; =>This Inner Loop Header: Depth=1
	s_load_dwordx8 s[16:23], s[6:7], 0x4
	s_load_dwordx4 s[24:27], s[6:7], 0x24
	s_load_dwordx8 s[8:15], s[2:3], 0x0
	s_add_u32 s6, s6, 48
	s_addc_u32 s7, s7, 0
	s_waitcnt vmcnt(0) lgkmcnt(0)
	v_mul_hi_u32 v3, s17, v1
	s_add_i32 s38, s38, 4
	s_add_u32 s2, s2, 32
	s_addc_u32 s3, s3, 0
	v_add_u32_e32 v3, v1, v3
	v_lshrrev_b32_e32 v3, s18, v3
	v_mul_lo_u32 v5, v3, s16
	v_mul_hi_u32 v7, s20, v3
	s_cmp_lg_u32 s36, s38
	v_sub_u32_e32 v1, v1, v5
	v_add_u32_e32 v5, v3, v7
	v_mul_lo_u32 v7, v1, s8
	v_mul_lo_u32 v8, v1, s9
	v_lshrrev_b32_e32 v1, s21, v5
	v_mul_lo_u32 v5, v1, s19
	v_mul_hi_u32 v10, s23, v1
	v_sub_u32_e32 v3, v3, v5
	v_add_u32_e32 v5, v1, v10
	v_lshrrev_b32_e32 v5, s24, v5
	v_mul_hi_u32 v12, s26, v5
	v_mul_lo_u32 v14, v5, s22
	v_mul_lo_u32 v10, v3, s10
	;; [unrolled: 1-line block ×3, first 2 shown]
	v_sub_u32_e32 v14, v1, v14
	v_add_u32_e32 v1, v5, v12
	v_lshrrev_b32_e32 v1, s27, v1
	v_mul_lo_u32 v12, v1, s25
	v_mul_lo_u32 v16, v14, s12
	;; [unrolled: 1-line block ×3, first 2 shown]
	v_add3_u32 v2, v7, v2, v10
	v_sub_u32_e32 v5, v5, v12
	v_mul_lo_u32 v12, v5, s14
	v_mul_lo_u32 v5, v5, s15
	v_add3_u32 v3, v8, v9, v3
	v_add3_u32 v2, v16, v2, v12
	;; [unrolled: 1-line block ×3, first 2 shown]
	s_cbranch_scc1 .LBB388_1103
; %bb.1104:
	s_and_b32 s8, s37, 3
	s_cmp_eq_u32 s8, 0
	s_cbranch_scc0 .LBB388_1108
	s_branch .LBB388_1110
.LBB388_1105:
                                        ; implicit-def: $vgpr2
                                        ; implicit-def: $vgpr9
	s_branch .LBB388_1111
.LBB388_1106:
	v_mov_b32_e32 v2, 0
	v_mov_b32_e32 v9, 0
	s_branch .LBB388_1110
.LBB388_1107:
	v_mov_b32_e32 v2, 0
	v_mov_b32_e32 v9, 0
	;; [unrolled: 1-line block ×3, first 2 shown]
	s_and_b32 s8, s37, 3
	s_cmp_eq_u32 s8, 0
	s_cbranch_scc1 .LBB388_1110
.LBB388_1108:
	s_lshl_b32 s2, s36, 3
	s_add_u32 s2, s34, s2
	s_addc_u32 s3, s35, 0
	s_add_u32 s2, s2, 0xc4
	s_addc_u32 s3, s3, 0
	s_mul_i32 s6, s36, 12
	s_add_u32 s6, s34, s6
	s_addc_u32 s7, s35, 0
.LBB388_1109:                           ; =>This Inner Loop Header: Depth=1
	s_load_dwordx2 s[10:11], s[6:7], 0x4
	s_load_dword s9, s[6:7], 0xc
	s_load_dwordx2 s[12:13], s[2:3], 0x0
	s_add_u32 s6, s6, 12
	s_addc_u32 s7, s7, 0
	s_waitcnt vmcnt(0) lgkmcnt(0)
	v_mul_hi_u32 v3, s11, v1
	s_add_u32 s2, s2, 8
	s_addc_u32 s3, s3, 0
	s_add_i32 s8, s8, -1
	v_add_u32_e32 v3, v1, v3
	v_lshrrev_b32_e32 v5, s9, v3
	v_mul_lo_u32 v3, v5, s10
	s_cmp_lg_u32 s8, 0
	v_sub_u32_e32 v1, v1, v3
	v_mad_u64_u32 v[2:3], s[10:11], v1, s12, v[2:3]
	v_mad_u64_u32 v[9:10], s[10:11], v1, s13, v[9:10]
	v_mov_b32_e32 v1, v5
	s_cbranch_scc1 .LBB388_1109
.LBB388_1110:
	s_cbranch_execnz .LBB388_1113
.LBB388_1111:
	s_load_dwordx4 s[8:11], s[34:35], 0x4
	s_load_dwordx2 s[2:3], s[34:35], 0xc4
	s_cmp_lt_u32 s33, 2
	s_waitcnt lgkmcnt(0)
	v_mul_hi_u32 v1, s9, v0
	v_add_u32_e32 v1, v0, v1
	v_lshrrev_b32_e32 v1, s10, v1
	v_mul_lo_u32 v2, v1, s8
	v_sub_u32_e32 v0, v0, v2
	v_mul_lo_u32 v2, v0, s2
	v_mul_lo_u32 v9, v0, s3
	s_cbranch_scc1 .LBB388_1113
; %bb.1112:
	s_load_dwordx4 s[8:11], s[34:35], 0x10
	s_load_dwordx2 s[2:3], s[34:35], 0xcc
	s_waitcnt lgkmcnt(0)
	v_mul_hi_u32 v0, s9, v1
	v_add_u32_e32 v0, v1, v0
	v_lshrrev_b32_e32 v0, s10, v0
	v_mul_lo_u32 v0, v0, s8
	v_sub_u32_e32 v0, v1, v0
	s_waitcnt vmcnt(0)
	v_mad_u64_u32 v[2:3], s[6:7], v0, s2, v[2:3]
	v_mad_u64_u32 v[9:10], s[2:3], v0, s3, v[9:10]
.LBB388_1113:
	s_and_b64 vcc, exec, s[0:1]
	s_cbranch_vccnz .LBB388_1119
; %bb.1114:
	s_cmp_lg_u32 s33, 0
	s_mov_b32 s26, 0
	s_cbranch_scc0 .LBB388_1120
; %bb.1115:
	s_min_u32 s27, s76, 15
	s_add_i32 s27, s27, 1
	s_cmp_eq_u32 s76, 2
	s_cbranch_scc1 .LBB388_1121
; %bb.1116:
	s_and_b32 s26, s27, 28
	s_add_u32 s6, s34, 0xc4
	s_addc_u32 s7, s35, 0
	v_mov_b32_e32 v7, 0
	s_mov_b32 s36, 0
	s_mov_b64 s[24:25], s[34:35]
	v_mov_b32_e32 v0, 0
	v_mov_b32_e32 v1, v15
.LBB388_1117:                           ; =>This Inner Loop Header: Depth=1
	s_load_dwordx8 s[16:23], s[24:25], 0x4
	s_load_dwordx4 s[0:3], s[24:25], 0x24
	s_load_dwordx8 s[8:15], s[6:7], 0x0
	s_add_u32 s24, s24, 48
	s_addc_u32 s25, s25, 0
	s_waitcnt vmcnt(0) lgkmcnt(0)
	v_mul_hi_u32 v3, s17, v1
	s_add_i32 s36, s36, 4
	s_add_u32 s6, s6, 32
	s_addc_u32 s7, s7, 0
	v_add_u32_e32 v3, v1, v3
	v_lshrrev_b32_e32 v3, s18, v3
	v_mul_lo_u32 v5, v3, s16
	v_mul_hi_u32 v8, s20, v3
	s_cmp_lg_u32 s26, s36
	v_sub_u32_e32 v1, v1, v5
	v_add_u32_e32 v5, v3, v8
	v_mul_lo_u32 v8, v1, s8
	v_mul_lo_u32 v10, v1, s9
	v_lshrrev_b32_e32 v1, s21, v5
	v_mul_lo_u32 v5, v1, s19
	v_mul_hi_u32 v12, s23, v1
	v_sub_u32_e32 v3, v3, v5
	v_add_u32_e32 v5, v1, v12
	v_lshrrev_b32_e32 v5, s0, v5
	v_mul_hi_u32 v14, s2, v5
	v_mul_lo_u32 v16, v5, s22
	v_mul_lo_u32 v12, v3, s10
	;; [unrolled: 1-line block ×3, first 2 shown]
	v_sub_u32_e32 v16, v1, v16
	v_add_u32_e32 v1, v5, v14
	v_lshrrev_b32_e32 v1, s3, v1
	v_mul_lo_u32 v14, v1, s1
	v_mul_lo_u32 v17, v16, s12
	;; [unrolled: 1-line block ×3, first 2 shown]
	v_add3_u32 v0, v8, v0, v12
	v_sub_u32_e32 v5, v5, v14
	v_mul_lo_u32 v14, v5, s14
	v_mul_lo_u32 v5, v5, s15
	v_add3_u32 v3, v10, v7, v3
	v_add3_u32 v0, v17, v0, v14
	;; [unrolled: 1-line block ×3, first 2 shown]
	s_cbranch_scc1 .LBB388_1117
; %bb.1118:
	s_and_b32 s6, s27, 3
	s_cmp_eq_u32 s6, 0
	s_cbranch_scc0 .LBB388_1122
	s_branch .LBB388_1124
.LBB388_1119:
                                        ; implicit-def: $vgpr0
                                        ; implicit-def: $vgpr7
	s_branch .LBB388_1125
.LBB388_1120:
	v_mov_b32_e32 v0, 0
	v_mov_b32_e32 v7, 0
	s_branch .LBB388_1124
.LBB388_1121:
	v_mov_b32_e32 v0, 0
	v_mov_b32_e32 v7, 0
	;; [unrolled: 1-line block ×3, first 2 shown]
	s_and_b32 s6, s27, 3
	s_cmp_eq_u32 s6, 0
	s_cbranch_scc1 .LBB388_1124
.LBB388_1122:
	s_lshl_b32 s0, s26, 3
	s_add_u32 s0, s34, s0
	s_addc_u32 s1, s35, 0
	s_add_u32 s0, s0, 0xc4
	s_addc_u32 s1, s1, 0
	s_mul_i32 s2, s26, 12
	s_add_u32 s2, s34, s2
	s_addc_u32 s3, s35, 0
.LBB388_1123:                           ; =>This Inner Loop Header: Depth=1
	s_load_dwordx2 s[8:9], s[2:3], 0x4
	s_load_dword s7, s[2:3], 0xc
	s_load_dwordx2 s[10:11], s[0:1], 0x0
	s_add_u32 s2, s2, 12
	s_addc_u32 s3, s3, 0
	s_waitcnt vmcnt(0) lgkmcnt(0)
	v_mul_hi_u32 v3, s9, v1
	s_add_u32 s0, s0, 8
	s_addc_u32 s1, s1, 0
	s_add_i32 s6, s6, -1
	v_add_u32_e32 v3, v1, v3
	v_lshrrev_b32_e32 v3, s7, v3
	v_mul_lo_u32 v5, v3, s8
	s_cmp_lg_u32 s6, 0
	v_sub_u32_e32 v5, v1, v5
	v_mad_u64_u32 v[0:1], s[8:9], v5, s10, v[0:1]
	v_mad_u64_u32 v[7:8], s[8:9], v5, s11, v[7:8]
	v_mov_b32_e32 v1, v3
	s_cbranch_scc1 .LBB388_1123
.LBB388_1124:
	s_cbranch_execnz .LBB388_1127
.LBB388_1125:
	s_load_dwordx4 s[0:3], s[34:35], 0x4
	s_load_dwordx2 s[6:7], s[34:35], 0xc4
	s_cmp_lt_u32 s33, 2
	s_waitcnt lgkmcnt(0)
	v_mul_hi_u32 v0, s1, v15
	v_add_u32_e32 v0, v15, v0
	v_lshrrev_b32_e32 v1, s2, v0
	v_mul_lo_u32 v0, v1, s0
	s_waitcnt vmcnt(0)
	v_sub_u32_e32 v3, v15, v0
	v_mul_lo_u32 v0, v3, s6
	v_mul_lo_u32 v7, v3, s7
	s_cbranch_scc1 .LBB388_1127
; %bb.1126:
	s_load_dwordx4 s[0:3], s[34:35], 0x10
	s_load_dwordx2 s[6:7], s[34:35], 0xcc
	s_waitcnt lgkmcnt(0)
	v_mul_hi_u32 v3, s1, v1
	v_add_u32_e32 v3, v1, v3
	v_lshrrev_b32_e32 v3, s2, v3
	v_mul_lo_u32 v3, v3, s0
	v_sub_u32_e32 v3, v1, v3
	v_mad_u64_u32 v[0:1], s[0:1], v3, s6, v[0:1]
	v_mad_u64_u32 v[7:8], s[0:1], v3, s7, v[7:8]
.LBB388_1127:
	s_load_dwordx4 s[8:11], s[34:35], 0x148
	s_load_dword s12, s[4:5], 0x168
	s_waitcnt lgkmcnt(0)
	v_mov_b32_e32 v1, s11
	s_bfe_u32 s13, s12, 0x80008
	v_add_co_u32_e32 v15, vcc, s10, v13
	s_cmp_lt_i32 s13, 11
	v_addc_co_u32_e32 v16, vcc, 0, v1, vcc
	s_cbranch_scc1 .LBB388_1134
; %bb.1128:
	s_and_b32 s14, 0xffff, s13
	s_cmp_gt_i32 s14, 25
	s_mov_b64 s[4:5], 0
	s_cbranch_scc0 .LBB388_1136
; %bb.1129:
	s_cmp_gt_i32 s14, 28
	s_cbranch_scc0 .LBB388_1137
; %bb.1130:
	s_cmp_gt_i32 s14, 43
	;; [unrolled: 3-line block ×3, first 2 shown]
	s_cbranch_scc0 .LBB388_1139
; %bb.1132:
	s_cmp_eq_u32 s14, 46
	s_mov_b64 s[2:3], 0
	s_cbranch_scc0 .LBB388_1142
; %bb.1133:
	global_load_dword v1, v[15:16], off
	s_mov_b64 s[0:1], 0
	s_mov_b64 s[6:7], -1
	s_waitcnt vmcnt(0)
	v_lshlrev_b32_e32 v1, 16, v1
	v_cvt_i32_f32_e32 v13, v1
	s_branch .LBB388_1143
.LBB388_1134:
	s_mov_b64 s[6:7], 0
                                        ; implicit-def: $vgpr13
	s_mov_b64 s[2:3], s[28:29]
	s_cbranch_execnz .LBB388_1201
.LBB388_1135:
	s_andn2_b64 vcc, exec, s[6:7]
	s_cbranch_vccz .LBB388_1246
	s_branch .LBB388_2055
.LBB388_1136:
	s_mov_b64 s[6:7], 0
	s_mov_b64 s[0:1], 0
                                        ; implicit-def: $vgpr13
	s_cbranch_execnz .LBB388_1168
	s_branch .LBB388_1197
.LBB388_1137:
	s_mov_b64 s[6:7], 0
	s_mov_b64 s[0:1], 0
                                        ; implicit-def: $vgpr13
	s_cbranch_execz .LBB388_1167
	s_branch .LBB388_1152
.LBB388_1138:
	s_mov_b64 s[6:7], 0
	s_mov_b64 s[0:1], 0
                                        ; implicit-def: $vgpr13
	s_cbranch_execnz .LBB388_1148
	s_branch .LBB388_1151
.LBB388_1139:
	s_mov_b64 s[2:3], -1
	s_mov_b64 s[6:7], 0
	s_mov_b64 s[0:1], 0
                                        ; implicit-def: $vgpr13
	s_branch .LBB388_1143
.LBB388_1140:
	s_andn2_saveexec_b64 s[16:17], s[16:17]
	s_cbranch_execz .LBB388_979
.LBB388_1141:
	v_add_f32_e32 v0, 0x46000000, v3
	v_and_b32_e32 v0, 0xff, v0
	v_cmp_ne_u32_e32 vcc, 0, v0
	s_andn2_b64 s[14:15], s[14:15], exec
	s_and_b64 s[18:19], vcc, exec
	s_or_b64 s[14:15], s[14:15], s[18:19]
	s_or_b64 exec, exec, s[16:17]
	v_mov_b32_e32 v4, 0
	s_and_saveexec_b64 s[16:17], s[14:15]
	s_cbranch_execnz .LBB388_980
	s_branch .LBB388_981
.LBB388_1142:
	s_mov_b64 s[0:1], -1
                                        ; implicit-def: $vgpr13
	s_mov_b64 s[6:7], 0
.LBB388_1143:
	s_and_b64 vcc, exec, s[2:3]
	s_cbranch_vccz .LBB388_1146
; %bb.1144:
	s_cmp_eq_u32 s14, 44
	s_cbranch_scc0 .LBB388_1147
; %bb.1145:
	global_load_ubyte v1, v[15:16], off
	s_mov_b64 s[0:1], 0
	s_mov_b64 s[6:7], -1
	s_waitcnt vmcnt(0)
	v_lshlrev_b32_e32 v3, 23, v1
	v_cvt_i32_f32_e32 v3, v3
	v_cmp_ne_u32_e32 vcc, 0, v1
	v_cndmask_b32_e32 v13, 0, v3, vcc
.LBB388_1146:
	s_branch .LBB388_1151
.LBB388_1147:
	s_mov_b64 s[0:1], -1
                                        ; implicit-def: $vgpr13
	s_branch .LBB388_1151
.LBB388_1148:
	s_cmp_eq_u32 s14, 29
	s_cbranch_scc0 .LBB388_1150
; %bb.1149:
	global_load_dwordx2 v[13:14], v[15:16], off
	s_mov_b64 s[0:1], 0
	s_mov_b64 s[6:7], -1
	s_branch .LBB388_1151
.LBB388_1150:
	s_mov_b64 s[0:1], -1
                                        ; implicit-def: $vgpr13
.LBB388_1151:
	s_branch .LBB388_1167
.LBB388_1152:
	s_cmp_lt_i32 s14, 27
	s_cbranch_scc1 .LBB388_1155
; %bb.1153:
	s_cmp_gt_i32 s14, 27
	s_cbranch_scc0 .LBB388_1156
; %bb.1154:
	global_load_dword v13, v[15:16], off
	s_mov_b64 s[2:3], 0
	s_branch .LBB388_1157
.LBB388_1155:
	s_mov_b64 s[2:3], -1
                                        ; implicit-def: $vgpr13
	s_branch .LBB388_1160
.LBB388_1156:
	s_mov_b64 s[2:3], -1
                                        ; implicit-def: $vgpr13
.LBB388_1157:
	s_andn2_b64 vcc, exec, s[2:3]
	s_cbranch_vccnz .LBB388_1159
; %bb.1158:
	global_load_ushort v13, v[15:16], off
.LBB388_1159:
	s_mov_b64 s[2:3], 0
.LBB388_1160:
	s_andn2_b64 vcc, exec, s[2:3]
	s_cbranch_vccnz .LBB388_1166
; %bb.1161:
	global_load_ubyte v1, v[15:16], off
	s_movk_i32 s2, 0x7f
	s_mov_b64 s[6:7], 0
	s_waitcnt vmcnt(0)
	v_cmp_lt_i16_e32 vcc, s2, v1
	s_and_saveexec_b64 s[2:3], vcc
	s_xor_b64 s[2:3], exec, s[2:3]
	s_cbranch_execz .LBB388_1177
; %bb.1162:
	s_movk_i32 s6, 0x80
	v_cmp_ne_u16_e32 vcc, s6, v1
	s_and_b64 s[6:7], vcc, exec
	s_andn2_saveexec_b64 s[2:3], s[2:3]
	s_cbranch_execnz .LBB388_1178
.LBB388_1163:
	s_or_b64 exec, exec, s[2:3]
	v_mov_b32_e32 v13, 0
	s_and_saveexec_b64 s[2:3], s[6:7]
	s_cbranch_execz .LBB388_1165
.LBB388_1164:
	v_lshlrev_b32_e32 v3, 24, v1
	v_and_b32_e32 v1, 0xffff, v1
	v_and_b32_e32 v5, 7, v1
	v_ffbh_u32_e32 v10, v5
	v_min_u32_e32 v10, 32, v10
	v_subrev_u32_e32 v12, 28, v10
	v_bfe_u32 v8, v1, 3, 4
	v_lshlrev_b32_e32 v1, v12, v1
	v_sub_u32_e32 v10, 29, v10
	v_and_b32_e32 v1, 7, v1
	v_cmp_eq_u32_e32 vcc, 0, v8
	v_cndmask_b32_e32 v8, v8, v10, vcc
	v_cndmask_b32_e32 v1, v5, v1, vcc
	v_mov_b32_e32 v5, 0x3b800000
	v_lshlrev_b32_e32 v1, 20, v1
	v_and_b32_e32 v3, 0x80000000, v3
	v_lshl_add_u32 v5, v8, 23, v5
	v_or3_b32 v1, v3, v5, v1
	v_cvt_i32_f32_e32 v13, v1
.LBB388_1165:
	s_or_b64 exec, exec, s[2:3]
.LBB388_1166:
	s_mov_b64 s[6:7], -1
.LBB388_1167:
	s_branch .LBB388_1197
.LBB388_1168:
	s_cmp_gt_i32 s14, 22
	s_cbranch_scc0 .LBB388_1176
; %bb.1169:
	s_cmp_lt_i32 s14, 24
	s_cbranch_scc1 .LBB388_1179
; %bb.1170:
	s_cmp_gt_i32 s14, 24
	s_cbranch_scc0 .LBB388_1180
; %bb.1171:
	global_load_ubyte v1, v[15:16], off
	s_movk_i32 s2, 0x7f
	s_waitcnt vmcnt(0)
	v_cmp_lt_i16_e32 vcc, s2, v1
	s_and_saveexec_b64 s[2:3], vcc
	s_xor_b64 s[2:3], exec, s[2:3]
	s_cbranch_execz .LBB388_1191
; %bb.1172:
	s_movk_i32 s4, 0x80
	v_cmp_ne_u16_e32 vcc, s4, v1
	s_and_b64 s[4:5], vcc, exec
	s_andn2_saveexec_b64 s[2:3], s[2:3]
	s_cbranch_execnz .LBB388_1192
.LBB388_1173:
	s_or_b64 exec, exec, s[2:3]
	v_mov_b32_e32 v13, 0
	s_and_saveexec_b64 s[2:3], s[4:5]
	s_cbranch_execz .LBB388_1175
.LBB388_1174:
	v_lshlrev_b32_e32 v3, 24, v1
	v_and_b32_e32 v1, 0xffff, v1
	v_and_b32_e32 v5, 3, v1
	v_ffbh_u32_e32 v10, v5
	v_min_u32_e32 v10, 32, v10
	v_subrev_u32_e32 v12, 29, v10
	v_bfe_u32 v8, v1, 2, 5
	v_lshlrev_b32_e32 v1, v12, v1
	v_sub_u32_e32 v10, 30, v10
	v_and_b32_e32 v1, 3, v1
	v_cmp_eq_u32_e32 vcc, 0, v8
	v_cndmask_b32_e32 v8, v8, v10, vcc
	v_cndmask_b32_e32 v1, v5, v1, vcc
	v_mov_b32_e32 v5, 0x37800000
	v_lshlrev_b32_e32 v1, 21, v1
	v_and_b32_e32 v3, 0x80000000, v3
	v_lshl_add_u32 v5, v8, 23, v5
	v_or3_b32 v1, v3, v5, v1
	v_cvt_i32_f32_e32 v13, v1
.LBB388_1175:
	s_or_b64 exec, exec, s[2:3]
	s_mov_b64 s[2:3], 0
	s_branch .LBB388_1181
.LBB388_1176:
                                        ; implicit-def: $vgpr13
	s_mov_b64 s[4:5], 0
	s_branch .LBB388_1187
.LBB388_1177:
	s_andn2_saveexec_b64 s[2:3], s[2:3]
	s_cbranch_execz .LBB388_1163
.LBB388_1178:
	v_cmp_ne_u16_e32 vcc, 0, v1
	s_andn2_b64 s[6:7], s[6:7], exec
	s_and_b64 s[16:17], vcc, exec
	s_or_b64 s[6:7], s[6:7], s[16:17]
	s_or_b64 exec, exec, s[2:3]
	v_mov_b32_e32 v13, 0
	s_and_saveexec_b64 s[2:3], s[6:7]
	s_cbranch_execnz .LBB388_1164
	s_branch .LBB388_1165
.LBB388_1179:
	s_mov_b64 s[2:3], -1
                                        ; implicit-def: $vgpr13
	s_branch .LBB388_1184
.LBB388_1180:
	s_mov_b64 s[2:3], -1
                                        ; implicit-def: $vgpr13
.LBB388_1181:
	s_and_b64 vcc, exec, s[2:3]
	s_cbranch_vccz .LBB388_1183
; %bb.1182:
	global_load_ubyte v1, v[15:16], off
	s_mov_b32 s2, 0x7f800000
	s_waitcnt vmcnt(0)
	v_lshlrev_b32_e32 v1, 24, v1
	v_and_b32_e32 v3, 0x7f000000, v1
	v_ffbh_u32_e32 v5, v3
	v_min_u32_e32 v5, 32, v5
	v_sub_u32_e64 v5, v5, 4 clamp
	v_lshlrev_b32_e32 v10, v5, v3
	v_lshlrev_b32_e32 v5, 23, v5
	v_lshrrev_b32_e32 v10, 4, v10
	v_add_u32_e32 v8, 0x1000000, v3
	v_sub_u32_e32 v5, v10, v5
	v_ashrrev_i32_e32 v8, 8, v8
	v_add_u32_e32 v5, 0x3c000000, v5
	v_and_or_b32 v5, v8, s2, v5
	v_cmp_ne_u32_e32 vcc, 0, v3
	v_cndmask_b32_e32 v3, 0, v5, vcc
	s_brev_b32 s2, 1
	v_and_or_b32 v1, v1, s2, v3
	v_cvt_i32_f32_e32 v13, v1
.LBB388_1183:
	s_mov_b64 s[2:3], 0
.LBB388_1184:
	s_andn2_b64 vcc, exec, s[2:3]
	s_cbranch_vccnz .LBB388_1186
; %bb.1185:
	global_load_ubyte v1, v[15:16], off
	s_movk_i32 s2, 0x7f00
	s_brev_b32 s3, 16
	s_waitcnt vmcnt(0)
	v_lshlrev_b16_e32 v3, 8, v1
	v_lshlrev_b32_e32 v1, 25, v1
	v_lshrrev_b32_e32 v5, 4, v1
	v_and_or_b32 v8, v3, s2, 0.5
	v_or_b32_e32 v5, 0x70000000, v5
	v_add_f32_e32 v8, -0.5, v8
	v_mul_f32_e32 v5, 0x7800000, v5
	v_cmp_gt_u32_e32 vcc, s3, v1
	v_bfe_i32 v3, v3, 0, 16
	v_cndmask_b32_e32 v1, v5, v8, vcc
	s_brev_b32 s2, 1
	v_and_or_b32 v1, v3, s2, v1
	v_cvt_i32_f32_e32 v13, v1
.LBB388_1186:
	s_mov_b64 s[6:7], -1
	s_mov_b64 s[4:5], 0
	s_cbranch_execnz .LBB388_1197
.LBB388_1187:
	s_cmp_gt_i32 s14, 14
	s_cbranch_scc0 .LBB388_1190
; %bb.1188:
	s_cmp_eq_u32 s14, 15
	s_cbranch_scc0 .LBB388_1193
; %bb.1189:
	global_load_ushort v1, v[15:16], off
	s_mov_b64 s[0:1], 0
	s_mov_b64 s[6:7], -1
	s_waitcnt vmcnt(0)
	v_lshlrev_b32_e32 v1, 16, v1
	v_cvt_i32_f32_e32 v13, v1
	s_branch .LBB388_1194
.LBB388_1190:
	s_mov_b64 s[2:3], -1
                                        ; implicit-def: $vgpr13
	s_branch .LBB388_1195
.LBB388_1191:
	s_andn2_saveexec_b64 s[2:3], s[2:3]
	s_cbranch_execz .LBB388_1173
.LBB388_1192:
	v_cmp_ne_u16_e32 vcc, 0, v1
	s_andn2_b64 s[4:5], s[4:5], exec
	s_and_b64 s[6:7], vcc, exec
	s_or_b64 s[4:5], s[4:5], s[6:7]
	s_or_b64 exec, exec, s[2:3]
	v_mov_b32_e32 v13, 0
	s_and_saveexec_b64 s[2:3], s[4:5]
	s_cbranch_execnz .LBB388_1174
	s_branch .LBB388_1175
.LBB388_1193:
	s_mov_b64 s[0:1], -1
                                        ; implicit-def: $vgpr13
.LBB388_1194:
	s_mov_b64 s[2:3], 0
.LBB388_1195:
	s_and_b64 vcc, exec, s[2:3]
	s_cbranch_vccz .LBB388_1197
; %bb.1196:
	s_cmp_lg_u32 s14, 11
	s_mov_b64 s[4:5], -1
	s_cselect_b64 s[0:1], -1, 0
.LBB388_1197:
	s_and_b64 vcc, exec, s[0:1]
	s_mov_b64 s[2:3], s[28:29]
	s_cbranch_vccnz .LBB388_1258
; %bb.1198:
	s_andn2_b64 vcc, exec, s[4:5]
	s_cbranch_vccnz .LBB388_1200
.LBB388_1199:
	global_load_ubyte v1, v[15:16], off
	s_mov_b64 s[6:7], -1
	s_waitcnt vmcnt(0)
	v_cmp_ne_u16_e32 vcc, 0, v1
	v_cndmask_b32_e64 v13, 0, 1, vcc
.LBB388_1200:
	s_branch .LBB388_1135
.LBB388_1201:
	s_and_b32 s4, 0xffff, s13
	s_cmp_lt_i32 s4, 5
	s_cbranch_scc1 .LBB388_1206
; %bb.1202:
	s_cmp_lt_i32 s4, 8
	s_cbranch_scc1 .LBB388_1207
; %bb.1203:
	;; [unrolled: 3-line block ×3, first 2 shown]
	s_cmp_gt_i32 s4, 9
	s_cbranch_scc0 .LBB388_1209
; %bb.1205:
	global_load_dwordx2 v[12:13], v[15:16], off
	s_mov_b64 s[0:1], 0
	s_waitcnt vmcnt(0)
	v_cvt_i32_f64_e32 v13, v[12:13]
	s_branch .LBB388_1210
.LBB388_1206:
                                        ; implicit-def: $vgpr13
	s_branch .LBB388_1227
.LBB388_1207:
                                        ; implicit-def: $vgpr13
	s_branch .LBB388_1216
.LBB388_1208:
	s_mov_b64 s[0:1], -1
                                        ; implicit-def: $vgpr13
	s_branch .LBB388_1213
.LBB388_1209:
	s_mov_b64 s[0:1], -1
                                        ; implicit-def: $vgpr13
.LBB388_1210:
	s_andn2_b64 vcc, exec, s[0:1]
	s_cbranch_vccnz .LBB388_1212
; %bb.1211:
	global_load_dword v1, v[15:16], off
	s_waitcnt vmcnt(0)
	v_cvt_i32_f32_e32 v13, v1
.LBB388_1212:
	s_mov_b64 s[0:1], 0
.LBB388_1213:
	s_andn2_b64 vcc, exec, s[0:1]
	s_cbranch_vccnz .LBB388_1215
; %bb.1214:
	global_load_dword v1, v[15:16], off
	s_waitcnt vmcnt(0)
	v_cvt_i16_f16_e32 v13, v1
.LBB388_1215:
	s_cbranch_execnz .LBB388_1226
.LBB388_1216:
	s_cmp_lt_i32 s4, 6
	s_cbranch_scc1 .LBB388_1219
; %bb.1217:
	s_cmp_gt_i32 s4, 6
	s_cbranch_scc0 .LBB388_1220
; %bb.1218:
	global_load_dwordx2 v[12:13], v[15:16], off
	s_mov_b64 s[0:1], 0
	s_waitcnt vmcnt(0)
	v_cvt_i32_f64_e32 v13, v[12:13]
	s_branch .LBB388_1221
.LBB388_1219:
	s_mov_b64 s[0:1], -1
                                        ; implicit-def: $vgpr13
	s_branch .LBB388_1224
.LBB388_1220:
	s_mov_b64 s[0:1], -1
                                        ; implicit-def: $vgpr13
.LBB388_1221:
	s_andn2_b64 vcc, exec, s[0:1]
	s_cbranch_vccnz .LBB388_1223
; %bb.1222:
	global_load_dword v1, v[15:16], off
	s_waitcnt vmcnt(0)
	v_cvt_i32_f32_e32 v13, v1
.LBB388_1223:
	s_mov_b64 s[0:1], 0
.LBB388_1224:
	s_andn2_b64 vcc, exec, s[0:1]
	s_cbranch_vccnz .LBB388_1226
; %bb.1225:
	global_load_ushort v1, v[15:16], off
	s_waitcnt vmcnt(0)
	v_cvt_i16_f16_e32 v13, v1
.LBB388_1226:
	s_cbranch_execnz .LBB388_1245
.LBB388_1227:
	s_cmp_lt_i32 s4, 2
	s_cbranch_scc1 .LBB388_1231
; %bb.1228:
	s_cmp_lt_i32 s4, 3
	s_cbranch_scc1 .LBB388_1232
; %bb.1229:
	s_cmp_gt_i32 s4, 3
	s_cbranch_scc0 .LBB388_1233
; %bb.1230:
	global_load_dwordx2 v[13:14], v[15:16], off
	s_mov_b64 s[0:1], 0
	s_branch .LBB388_1234
.LBB388_1231:
                                        ; implicit-def: $vgpr13
	s_branch .LBB388_1240
.LBB388_1232:
	s_mov_b64 s[0:1], -1
                                        ; implicit-def: $vgpr13
	s_branch .LBB388_1237
.LBB388_1233:
	s_mov_b64 s[0:1], -1
                                        ; implicit-def: $vgpr13
.LBB388_1234:
	s_andn2_b64 vcc, exec, s[0:1]
	s_cbranch_vccnz .LBB388_1236
; %bb.1235:
	global_load_dword v13, v[15:16], off
.LBB388_1236:
	s_mov_b64 s[0:1], 0
.LBB388_1237:
	s_andn2_b64 vcc, exec, s[0:1]
	s_cbranch_vccnz .LBB388_1239
; %bb.1238:
	global_load_ushort v13, v[15:16], off
.LBB388_1239:
	s_cbranch_execnz .LBB388_1245
.LBB388_1240:
	s_cmp_gt_i32 s4, 0
	s_cbranch_scc0 .LBB388_1242
; %bb.1241:
	global_load_ubyte v13, v[15:16], off
	s_mov_b64 s[0:1], 0
	s_branch .LBB388_1243
.LBB388_1242:
	s_mov_b64 s[0:1], -1
                                        ; implicit-def: $vgpr13
.LBB388_1243:
	s_andn2_b64 vcc, exec, s[0:1]
	s_cbranch_vccnz .LBB388_1245
; %bb.1244:
	global_load_ubyte v13, v[15:16], off
.LBB388_1245:
.LBB388_1246:
	s_lshr_b32 s0, s12, 8
	v_mov_b32_e32 v1, s11
	s_and_b32 s14, s0, 0xff
	s_waitcnt vmcnt(0)
	v_add_co_u32_e32 v14, vcc, s10, v11
	s_cmp_lt_i32 s14, 11
	v_addc_co_u32_e32 v15, vcc, 0, v1, vcc
	s_cbranch_scc1 .LBB388_1253
; %bb.1247:
	s_and_b32 s15, 0xffff, s14
	s_cmp_gt_i32 s15, 25
	s_mov_b64 s[4:5], 0
	s_cbranch_scc0 .LBB388_1255
; %bb.1248:
	s_cmp_gt_i32 s15, 28
	s_cbranch_scc0 .LBB388_1256
; %bb.1249:
	s_cmp_gt_i32 s15, 43
	s_cbranch_scc0 .LBB388_1257
; %bb.1250:
	s_cmp_gt_i32 s15, 45
	s_cbranch_scc0 .LBB388_1259
; %bb.1251:
	s_cmp_eq_u32 s15, 46
	s_mov_b64 s[12:13], 0
	s_cbranch_scc0 .LBB388_1262
; %bb.1252:
	global_load_dword v1, v[14:15], off
	s_mov_b64 s[0:1], 0
	s_mov_b64 s[6:7], -1
	s_waitcnt vmcnt(0)
	v_lshlrev_b32_e32 v1, 16, v1
	v_cvt_i32_f32_e32 v11, v1
	s_branch .LBB388_1263
.LBB388_1253:
	s_mov_b64 s[6:7], 0
                                        ; implicit-def: $vgpr11
	s_cbranch_execnz .LBB388_1324
.LBB388_1254:
	s_andn2_b64 vcc, exec, s[6:7]
	s_cbranch_vccnz .LBB388_2055
	s_branch .LBB388_1371
.LBB388_1255:
	s_mov_b64 s[6:7], 0
	s_mov_b64 s[0:1], 0
                                        ; implicit-def: $vgpr11
	s_cbranch_execnz .LBB388_1290
	s_branch .LBB388_1320
.LBB388_1256:
	s_mov_b64 s[12:13], -1
	s_mov_b64 s[6:7], 0
	s_mov_b64 s[0:1], 0
                                        ; implicit-def: $vgpr11
	s_branch .LBB388_1273
.LBB388_1257:
	s_mov_b64 s[12:13], -1
	s_mov_b64 s[6:7], 0
	s_mov_b64 s[0:1], 0
                                        ; implicit-def: $vgpr11
	s_branch .LBB388_1268
.LBB388_1258:
	s_or_b64 s[2:3], s[28:29], exec
	s_trap 2
	s_cbranch_execz .LBB388_1199
	s_branch .LBB388_1200
.LBB388_1259:
	s_mov_b64 s[12:13], -1
	s_mov_b64 s[6:7], 0
	s_mov_b64 s[0:1], 0
                                        ; implicit-def: $vgpr11
	s_branch .LBB388_1263
.LBB388_1260:
	s_andn2_saveexec_b64 s[18:19], s[18:19]
	s_cbranch_execz .LBB388_991
.LBB388_1261:
	v_add_f32_e32 v0, 0x42800000, v3
	v_and_b32_e32 v0, 0xff, v0
	v_cmp_ne_u32_e32 vcc, 0, v0
	s_andn2_b64 s[16:17], s[16:17], exec
	s_and_b64 s[22:23], vcc, exec
	s_or_b64 s[16:17], s[16:17], s[22:23]
	s_or_b64 exec, exec, s[18:19]
	v_mov_b32_e32 v4, 0
	s_and_saveexec_b64 s[18:19], s[16:17]
	s_cbranch_execnz .LBB388_992
	s_branch .LBB388_993
.LBB388_1262:
	s_mov_b64 s[0:1], -1
                                        ; implicit-def: $vgpr11
	s_mov_b64 s[6:7], 0
.LBB388_1263:
	s_and_b64 vcc, exec, s[12:13]
	s_cbranch_vccz .LBB388_1267
; %bb.1264:
	s_cmp_eq_u32 s15, 44
	s_cbranch_scc0 .LBB388_1266
; %bb.1265:
	global_load_ubyte v1, v[14:15], off
	s_mov_b64 s[0:1], 0
	s_mov_b64 s[6:7], -1
	s_waitcnt vmcnt(0)
	v_lshlrev_b32_e32 v3, 23, v1
	v_cvt_i32_f32_e32 v3, v3
	v_cmp_ne_u32_e32 vcc, 0, v1
	v_cndmask_b32_e32 v11, 0, v3, vcc
	s_branch .LBB388_1267
.LBB388_1266:
	s_mov_b64 s[0:1], -1
                                        ; implicit-def: $vgpr11
.LBB388_1267:
	s_mov_b64 s[12:13], 0
.LBB388_1268:
	s_and_b64 vcc, exec, s[12:13]
	s_cbranch_vccz .LBB388_1272
; %bb.1269:
	s_cmp_eq_u32 s15, 29
	s_cbranch_scc0 .LBB388_1271
; %bb.1270:
	global_load_dwordx2 v[11:12], v[14:15], off
	s_mov_b64 s[0:1], 0
	s_mov_b64 s[6:7], -1
	s_branch .LBB388_1272
.LBB388_1271:
	s_mov_b64 s[0:1], -1
                                        ; implicit-def: $vgpr11
.LBB388_1272:
	s_mov_b64 s[12:13], 0
.LBB388_1273:
	s_and_b64 vcc, exec, s[12:13]
	s_cbranch_vccz .LBB388_1289
; %bb.1274:
	s_cmp_lt_i32 s15, 27
	s_cbranch_scc1 .LBB388_1277
; %bb.1275:
	s_cmp_gt_i32 s15, 27
	s_cbranch_scc0 .LBB388_1278
; %bb.1276:
	global_load_dword v11, v[14:15], off
	s_mov_b64 s[6:7], 0
	s_branch .LBB388_1279
.LBB388_1277:
	s_mov_b64 s[6:7], -1
                                        ; implicit-def: $vgpr11
	s_branch .LBB388_1282
.LBB388_1278:
	s_mov_b64 s[6:7], -1
                                        ; implicit-def: $vgpr11
.LBB388_1279:
	s_andn2_b64 vcc, exec, s[6:7]
	s_cbranch_vccnz .LBB388_1281
; %bb.1280:
	global_load_ushort v11, v[14:15], off
.LBB388_1281:
	s_mov_b64 s[6:7], 0
.LBB388_1282:
	s_andn2_b64 vcc, exec, s[6:7]
	s_cbranch_vccnz .LBB388_1288
; %bb.1283:
	global_load_ubyte v1, v[14:15], off
	s_movk_i32 s6, 0x7f
	s_mov_b64 s[12:13], 0
	s_waitcnt vmcnt(0)
	v_cmp_lt_i16_e32 vcc, s6, v1
	s_and_saveexec_b64 s[6:7], vcc
	s_xor_b64 s[6:7], exec, s[6:7]
	s_cbranch_execz .LBB388_1299
; %bb.1284:
	s_movk_i32 s12, 0x80
	v_cmp_ne_u16_e32 vcc, s12, v1
	s_and_b64 s[12:13], vcc, exec
	s_andn2_saveexec_b64 s[6:7], s[6:7]
	s_cbranch_execnz .LBB388_1300
.LBB388_1285:
	s_or_b64 exec, exec, s[6:7]
	v_mov_b32_e32 v11, 0
	s_and_saveexec_b64 s[6:7], s[12:13]
	s_cbranch_execz .LBB388_1287
.LBB388_1286:
	v_lshlrev_b32_e32 v3, 24, v1
	v_and_b32_e32 v1, 0xffff, v1
	v_and_b32_e32 v5, 7, v1
	v_ffbh_u32_e32 v10, v5
	v_min_u32_e32 v10, 32, v10
	v_subrev_u32_e32 v11, 28, v10
	v_bfe_u32 v8, v1, 3, 4
	v_lshlrev_b32_e32 v1, v11, v1
	v_sub_u32_e32 v10, 29, v10
	v_and_b32_e32 v1, 7, v1
	v_cmp_eq_u32_e32 vcc, 0, v8
	v_cndmask_b32_e32 v8, v8, v10, vcc
	v_cndmask_b32_e32 v1, v5, v1, vcc
	v_mov_b32_e32 v5, 0x3b800000
	v_lshlrev_b32_e32 v1, 20, v1
	v_and_b32_e32 v3, 0x80000000, v3
	v_lshl_add_u32 v5, v8, 23, v5
	v_or3_b32 v1, v3, v5, v1
	v_cvt_i32_f32_e32 v11, v1
.LBB388_1287:
	s_or_b64 exec, exec, s[6:7]
.LBB388_1288:
	s_mov_b64 s[6:7], -1
.LBB388_1289:
	s_branch .LBB388_1320
.LBB388_1290:
	s_cmp_gt_i32 s15, 22
	s_cbranch_scc0 .LBB388_1298
; %bb.1291:
	s_cmp_lt_i32 s15, 24
	s_cbranch_scc1 .LBB388_1301
; %bb.1292:
	s_cmp_gt_i32 s15, 24
	s_cbranch_scc0 .LBB388_1302
; %bb.1293:
	global_load_ubyte v1, v[14:15], off
	s_movk_i32 s4, 0x7f
	s_mov_b64 s[6:7], 0
	s_waitcnt vmcnt(0)
	v_cmp_lt_i16_e32 vcc, s4, v1
	s_and_saveexec_b64 s[4:5], vcc
	s_xor_b64 s[4:5], exec, s[4:5]
	s_cbranch_execz .LBB388_1314
; %bb.1294:
	s_movk_i32 s6, 0x80
	v_cmp_ne_u16_e32 vcc, s6, v1
	s_and_b64 s[6:7], vcc, exec
	s_andn2_saveexec_b64 s[4:5], s[4:5]
	s_cbranch_execnz .LBB388_1315
.LBB388_1295:
	s_or_b64 exec, exec, s[4:5]
	v_mov_b32_e32 v11, 0
	s_and_saveexec_b64 s[4:5], s[6:7]
	s_cbranch_execz .LBB388_1297
.LBB388_1296:
	v_lshlrev_b32_e32 v3, 24, v1
	v_and_b32_e32 v1, 0xffff, v1
	v_and_b32_e32 v5, 3, v1
	v_ffbh_u32_e32 v10, v5
	v_min_u32_e32 v10, 32, v10
	v_subrev_u32_e32 v11, 29, v10
	v_bfe_u32 v8, v1, 2, 5
	v_lshlrev_b32_e32 v1, v11, v1
	v_sub_u32_e32 v10, 30, v10
	v_and_b32_e32 v1, 3, v1
	v_cmp_eq_u32_e32 vcc, 0, v8
	v_cndmask_b32_e32 v8, v8, v10, vcc
	v_cndmask_b32_e32 v1, v5, v1, vcc
	v_mov_b32_e32 v5, 0x37800000
	v_lshlrev_b32_e32 v1, 21, v1
	v_and_b32_e32 v3, 0x80000000, v3
	v_lshl_add_u32 v5, v8, 23, v5
	v_or3_b32 v1, v3, v5, v1
	v_cvt_i32_f32_e32 v11, v1
.LBB388_1297:
	s_or_b64 exec, exec, s[4:5]
	s_mov_b64 s[4:5], 0
	s_branch .LBB388_1303
.LBB388_1298:
	s_mov_b64 s[4:5], -1
                                        ; implicit-def: $vgpr11
	s_branch .LBB388_1309
.LBB388_1299:
	s_andn2_saveexec_b64 s[6:7], s[6:7]
	s_cbranch_execz .LBB388_1285
.LBB388_1300:
	v_cmp_ne_u16_e32 vcc, 0, v1
	s_andn2_b64 s[12:13], s[12:13], exec
	s_and_b64 s[16:17], vcc, exec
	s_or_b64 s[12:13], s[12:13], s[16:17]
	s_or_b64 exec, exec, s[6:7]
	v_mov_b32_e32 v11, 0
	s_and_saveexec_b64 s[6:7], s[12:13]
	s_cbranch_execnz .LBB388_1286
	s_branch .LBB388_1287
.LBB388_1301:
	s_mov_b64 s[4:5], -1
                                        ; implicit-def: $vgpr11
	s_branch .LBB388_1306
.LBB388_1302:
	s_mov_b64 s[4:5], -1
                                        ; implicit-def: $vgpr11
.LBB388_1303:
	s_and_b64 vcc, exec, s[4:5]
	s_cbranch_vccz .LBB388_1305
; %bb.1304:
	global_load_ubyte v1, v[14:15], off
	s_mov_b32 s4, 0x7f800000
	s_waitcnt vmcnt(0)
	v_lshlrev_b32_e32 v1, 24, v1
	v_and_b32_e32 v3, 0x7f000000, v1
	v_ffbh_u32_e32 v5, v3
	v_min_u32_e32 v5, 32, v5
	v_sub_u32_e64 v5, v5, 4 clamp
	v_lshlrev_b32_e32 v10, v5, v3
	v_lshlrev_b32_e32 v5, 23, v5
	v_lshrrev_b32_e32 v10, 4, v10
	v_add_u32_e32 v8, 0x1000000, v3
	v_sub_u32_e32 v5, v10, v5
	v_ashrrev_i32_e32 v8, 8, v8
	v_add_u32_e32 v5, 0x3c000000, v5
	v_and_or_b32 v5, v8, s4, v5
	v_cmp_ne_u32_e32 vcc, 0, v3
	v_cndmask_b32_e32 v3, 0, v5, vcc
	s_brev_b32 s4, 1
	v_and_or_b32 v1, v1, s4, v3
	v_cvt_i32_f32_e32 v11, v1
.LBB388_1305:
	s_mov_b64 s[4:5], 0
.LBB388_1306:
	s_andn2_b64 vcc, exec, s[4:5]
	s_cbranch_vccnz .LBB388_1308
; %bb.1307:
	global_load_ubyte v1, v[14:15], off
	s_movk_i32 s4, 0x7f00
	s_brev_b32 s5, 16
	s_waitcnt vmcnt(0)
	v_lshlrev_b16_e32 v3, 8, v1
	v_lshlrev_b32_e32 v1, 25, v1
	v_lshrrev_b32_e32 v5, 4, v1
	v_and_or_b32 v8, v3, s4, 0.5
	v_or_b32_e32 v5, 0x70000000, v5
	v_add_f32_e32 v8, -0.5, v8
	v_mul_f32_e32 v5, 0x7800000, v5
	v_cmp_gt_u32_e32 vcc, s5, v1
	v_bfe_i32 v3, v3, 0, 16
	v_cndmask_b32_e32 v1, v5, v8, vcc
	s_brev_b32 s4, 1
	v_and_or_b32 v1, v3, s4, v1
	v_cvt_i32_f32_e32 v11, v1
.LBB388_1308:
	s_mov_b64 s[4:5], 0
	s_mov_b64 s[6:7], -1
.LBB388_1309:
	s_andn2_b64 vcc, exec, s[4:5]
	s_mov_b64 s[4:5], 0
	s_cbranch_vccnz .LBB388_1320
; %bb.1310:
	s_cmp_gt_i32 s15, 14
	s_cbranch_scc0 .LBB388_1313
; %bb.1311:
	s_cmp_eq_u32 s15, 15
	s_cbranch_scc0 .LBB388_1316
; %bb.1312:
	global_load_ushort v1, v[14:15], off
	s_mov_b64 s[0:1], 0
	s_mov_b64 s[6:7], -1
	s_waitcnt vmcnt(0)
	v_lshlrev_b32_e32 v1, 16, v1
	v_cvt_i32_f32_e32 v11, v1
	s_branch .LBB388_1317
.LBB388_1313:
	s_mov_b64 s[12:13], -1
                                        ; implicit-def: $vgpr11
	s_branch .LBB388_1318
.LBB388_1314:
	s_andn2_saveexec_b64 s[4:5], s[4:5]
	s_cbranch_execz .LBB388_1295
.LBB388_1315:
	v_cmp_ne_u16_e32 vcc, 0, v1
	s_andn2_b64 s[6:7], s[6:7], exec
	s_and_b64 s[12:13], vcc, exec
	s_or_b64 s[6:7], s[6:7], s[12:13]
	s_or_b64 exec, exec, s[4:5]
	v_mov_b32_e32 v11, 0
	s_and_saveexec_b64 s[4:5], s[6:7]
	s_cbranch_execnz .LBB388_1296
	s_branch .LBB388_1297
.LBB388_1316:
	s_mov_b64 s[0:1], -1
                                        ; implicit-def: $vgpr11
.LBB388_1317:
	s_mov_b64 s[12:13], 0
.LBB388_1318:
	s_and_b64 vcc, exec, s[12:13]
	s_cbranch_vccz .LBB388_1320
; %bb.1319:
	s_cmp_lg_u32 s15, 11
	s_mov_b64 s[4:5], -1
	s_cselect_b64 s[0:1], -1, 0
.LBB388_1320:
	s_and_b64 vcc, exec, s[0:1]
	s_cbranch_vccnz .LBB388_1383
; %bb.1321:
	s_andn2_b64 vcc, exec, s[4:5]
	s_cbranch_vccnz .LBB388_1323
.LBB388_1322:
	global_load_ubyte v1, v[14:15], off
	s_mov_b64 s[6:7], -1
	s_waitcnt vmcnt(0)
	v_cmp_ne_u16_e32 vcc, 0, v1
	v_cndmask_b32_e64 v11, 0, 1, vcc
.LBB388_1323:
	s_branch .LBB388_1254
.LBB388_1324:
	s_and_b32 s4, 0xffff, s14
	s_cmp_lt_i32 s4, 5
	s_cbranch_scc1 .LBB388_1329
; %bb.1325:
	s_cmp_lt_i32 s4, 8
	s_cbranch_scc1 .LBB388_1330
; %bb.1326:
	;; [unrolled: 3-line block ×3, first 2 shown]
	s_cmp_gt_i32 s4, 9
	s_cbranch_scc0 .LBB388_1332
; %bb.1328:
	global_load_dwordx2 v[10:11], v[14:15], off
	s_mov_b64 s[0:1], 0
	s_waitcnt vmcnt(0)
	v_cvt_i32_f64_e32 v11, v[10:11]
	s_branch .LBB388_1333
.LBB388_1329:
                                        ; implicit-def: $vgpr11
	s_branch .LBB388_1351
.LBB388_1330:
	s_mov_b64 s[0:1], -1
                                        ; implicit-def: $vgpr11
	s_branch .LBB388_1339
.LBB388_1331:
	s_mov_b64 s[0:1], -1
                                        ; implicit-def: $vgpr11
	s_branch .LBB388_1336
.LBB388_1332:
	s_mov_b64 s[0:1], -1
                                        ; implicit-def: $vgpr11
.LBB388_1333:
	s_andn2_b64 vcc, exec, s[0:1]
	s_cbranch_vccnz .LBB388_1335
; %bb.1334:
	global_load_dword v1, v[14:15], off
	s_waitcnt vmcnt(0)
	v_cvt_i32_f32_e32 v11, v1
.LBB388_1335:
	s_mov_b64 s[0:1], 0
.LBB388_1336:
	s_andn2_b64 vcc, exec, s[0:1]
	s_cbranch_vccnz .LBB388_1338
; %bb.1337:
	global_load_dword v1, v[14:15], off
	s_waitcnt vmcnt(0)
	v_cvt_i16_f16_e32 v11, v1
.LBB388_1338:
	s_mov_b64 s[0:1], 0
.LBB388_1339:
	s_andn2_b64 vcc, exec, s[0:1]
	s_cbranch_vccnz .LBB388_1350
; %bb.1340:
	s_cmp_lt_i32 s4, 6
	s_cbranch_scc1 .LBB388_1343
; %bb.1341:
	s_cmp_gt_i32 s4, 6
	s_cbranch_scc0 .LBB388_1344
; %bb.1342:
	global_load_dwordx2 v[10:11], v[14:15], off
	s_mov_b64 s[0:1], 0
	s_waitcnt vmcnt(0)
	v_cvt_i32_f64_e32 v11, v[10:11]
	s_branch .LBB388_1345
.LBB388_1343:
	s_mov_b64 s[0:1], -1
                                        ; implicit-def: $vgpr11
	s_branch .LBB388_1348
.LBB388_1344:
	s_mov_b64 s[0:1], -1
                                        ; implicit-def: $vgpr11
.LBB388_1345:
	s_andn2_b64 vcc, exec, s[0:1]
	s_cbranch_vccnz .LBB388_1347
; %bb.1346:
	global_load_dword v1, v[14:15], off
	s_waitcnt vmcnt(0)
	v_cvt_i32_f32_e32 v11, v1
.LBB388_1347:
	s_mov_b64 s[0:1], 0
.LBB388_1348:
	s_andn2_b64 vcc, exec, s[0:1]
	s_cbranch_vccnz .LBB388_1350
; %bb.1349:
	global_load_ushort v1, v[14:15], off
	s_waitcnt vmcnt(0)
	v_cvt_i16_f16_e32 v11, v1
.LBB388_1350:
	s_cbranch_execnz .LBB388_1370
.LBB388_1351:
	s_cmp_lt_i32 s4, 2
	s_cbranch_scc1 .LBB388_1355
; %bb.1352:
	s_cmp_lt_i32 s4, 3
	s_cbranch_scc1 .LBB388_1356
; %bb.1353:
	s_cmp_gt_i32 s4, 3
	s_cbranch_scc0 .LBB388_1357
; %bb.1354:
	global_load_dwordx2 v[11:12], v[14:15], off
	s_mov_b64 s[0:1], 0
	s_branch .LBB388_1358
.LBB388_1355:
	s_mov_b64 s[0:1], -1
                                        ; implicit-def: $vgpr11
	s_branch .LBB388_1364
.LBB388_1356:
	s_mov_b64 s[0:1], -1
                                        ; implicit-def: $vgpr11
	s_branch .LBB388_1361
.LBB388_1357:
	s_mov_b64 s[0:1], -1
                                        ; implicit-def: $vgpr11
.LBB388_1358:
	s_andn2_b64 vcc, exec, s[0:1]
	s_cbranch_vccnz .LBB388_1360
; %bb.1359:
	global_load_dword v11, v[14:15], off
.LBB388_1360:
	s_mov_b64 s[0:1], 0
.LBB388_1361:
	s_andn2_b64 vcc, exec, s[0:1]
	s_cbranch_vccnz .LBB388_1363
; %bb.1362:
	global_load_ushort v11, v[14:15], off
.LBB388_1363:
	s_mov_b64 s[0:1], 0
.LBB388_1364:
	s_andn2_b64 vcc, exec, s[0:1]
	s_cbranch_vccnz .LBB388_1370
; %bb.1365:
	s_cmp_gt_i32 s4, 0
	s_cbranch_scc0 .LBB388_1367
; %bb.1366:
	global_load_ubyte v11, v[14:15], off
	s_mov_b64 s[0:1], 0
	s_branch .LBB388_1368
.LBB388_1367:
	s_mov_b64 s[0:1], -1
                                        ; implicit-def: $vgpr11
.LBB388_1368:
	s_andn2_b64 vcc, exec, s[0:1]
	s_cbranch_vccnz .LBB388_1370
; %bb.1369:
	global_load_ubyte v11, v[14:15], off
.LBB388_1370:
.LBB388_1371:
	v_mov_b32_e32 v1, s11
	v_add_co_u32_e32 v14, vcc, s10, v9
	s_cmp_lt_i32 s14, 11
	v_addc_co_u32_e32 v15, vcc, 0, v1, vcc
	s_cbranch_scc1 .LBB388_1378
; %bb.1372:
	s_and_b32 s15, 0xffff, s14
	s_cmp_gt_i32 s15, 25
	s_mov_b64 s[4:5], 0
	s_cbranch_scc0 .LBB388_1380
; %bb.1373:
	s_cmp_gt_i32 s15, 28
	s_cbranch_scc0 .LBB388_1381
; %bb.1374:
	s_cmp_gt_i32 s15, 43
	;; [unrolled: 3-line block ×3, first 2 shown]
	s_cbranch_scc0 .LBB388_1384
; %bb.1376:
	s_cmp_eq_u32 s15, 46
	s_mov_b64 s[12:13], 0
	s_cbranch_scc0 .LBB388_1385
; %bb.1377:
	global_load_dword v1, v[14:15], off
	s_mov_b64 s[0:1], 0
	s_mov_b64 s[6:7], -1
	s_waitcnt vmcnt(0)
	v_lshlrev_b32_e32 v1, 16, v1
	v_cvt_i32_f32_e32 v9, v1
	s_branch .LBB388_1386
.LBB388_1378:
	s_mov_b64 s[6:7], 0
                                        ; implicit-def: $vgpr9
	s_cbranch_execnz .LBB388_1448
.LBB388_1379:
	s_andn2_b64 vcc, exec, s[6:7]
	s_cbranch_vccnz .LBB388_2055
	s_branch .LBB388_1496
.LBB388_1380:
	s_mov_b64 s[12:13], -1
	s_mov_b64 s[6:7], 0
	s_mov_b64 s[0:1], 0
                                        ; implicit-def: $vgpr9
	s_branch .LBB388_1413
.LBB388_1381:
	s_mov_b64 s[12:13], -1
	s_mov_b64 s[6:7], 0
	s_mov_b64 s[0:1], 0
                                        ; implicit-def: $vgpr9
	s_branch .LBB388_1396
.LBB388_1382:
	s_mov_b64 s[12:13], -1
	s_mov_b64 s[6:7], 0
	s_mov_b64 s[0:1], 0
                                        ; implicit-def: $vgpr9
	s_branch .LBB388_1391
.LBB388_1383:
	s_trap 2
	s_or_b64 s[2:3], s[2:3], exec
	s_cbranch_execz .LBB388_1322
	s_branch .LBB388_1323
.LBB388_1384:
	s_mov_b64 s[12:13], -1
	s_mov_b64 s[6:7], 0
	s_mov_b64 s[0:1], 0
                                        ; implicit-def: $vgpr9
	s_branch .LBB388_1386
.LBB388_1385:
	s_mov_b64 s[0:1], -1
                                        ; implicit-def: $vgpr9
	s_mov_b64 s[6:7], 0
.LBB388_1386:
	s_and_b64 vcc, exec, s[12:13]
	s_cbranch_vccz .LBB388_1390
; %bb.1387:
	s_cmp_eq_u32 s15, 44
	s_cbranch_scc0 .LBB388_1389
; %bb.1388:
	global_load_ubyte v1, v[14:15], off
	s_mov_b64 s[0:1], 0
	s_mov_b64 s[6:7], -1
	s_waitcnt vmcnt(0)
	v_lshlrev_b32_e32 v3, 23, v1
	v_cvt_i32_f32_e32 v3, v3
	v_cmp_ne_u32_e32 vcc, 0, v1
	v_cndmask_b32_e32 v9, 0, v3, vcc
	s_branch .LBB388_1390
.LBB388_1389:
	s_mov_b64 s[0:1], -1
                                        ; implicit-def: $vgpr9
.LBB388_1390:
	s_mov_b64 s[12:13], 0
.LBB388_1391:
	s_and_b64 vcc, exec, s[12:13]
	s_cbranch_vccz .LBB388_1395
; %bb.1392:
	s_cmp_eq_u32 s15, 29
	s_cbranch_scc0 .LBB388_1394
; %bb.1393:
	global_load_dwordx2 v[9:10], v[14:15], off
	s_mov_b64 s[0:1], 0
	s_mov_b64 s[6:7], -1
	s_branch .LBB388_1395
.LBB388_1394:
	s_mov_b64 s[0:1], -1
                                        ; implicit-def: $vgpr9
.LBB388_1395:
	s_mov_b64 s[12:13], 0
.LBB388_1396:
	s_and_b64 vcc, exec, s[12:13]
	s_cbranch_vccz .LBB388_1412
; %bb.1397:
	s_cmp_lt_i32 s15, 27
	s_cbranch_scc1 .LBB388_1400
; %bb.1398:
	s_cmp_gt_i32 s15, 27
	s_cbranch_scc0 .LBB388_1401
; %bb.1399:
	global_load_dword v9, v[14:15], off
	s_mov_b64 s[6:7], 0
	s_branch .LBB388_1402
.LBB388_1400:
	s_mov_b64 s[6:7], -1
                                        ; implicit-def: $vgpr9
	s_branch .LBB388_1405
.LBB388_1401:
	s_mov_b64 s[6:7], -1
                                        ; implicit-def: $vgpr9
.LBB388_1402:
	s_andn2_b64 vcc, exec, s[6:7]
	s_cbranch_vccnz .LBB388_1404
; %bb.1403:
	global_load_ushort v9, v[14:15], off
.LBB388_1404:
	s_mov_b64 s[6:7], 0
.LBB388_1405:
	s_andn2_b64 vcc, exec, s[6:7]
	s_cbranch_vccnz .LBB388_1411
; %bb.1406:
	global_load_ubyte v1, v[14:15], off
	s_movk_i32 s6, 0x7f
	s_mov_b64 s[12:13], 0
	s_waitcnt vmcnt(0)
	v_cmp_lt_i16_e32 vcc, s6, v1
	s_and_saveexec_b64 s[6:7], vcc
	s_xor_b64 s[6:7], exec, s[6:7]
	s_cbranch_execz .LBB388_1423
; %bb.1407:
	s_movk_i32 s12, 0x80
	v_cmp_ne_u16_e32 vcc, s12, v1
	s_and_b64 s[12:13], vcc, exec
	s_andn2_saveexec_b64 s[6:7], s[6:7]
	s_cbranch_execnz .LBB388_1424
.LBB388_1408:
	s_or_b64 exec, exec, s[6:7]
	v_mov_b32_e32 v9, 0
	s_and_saveexec_b64 s[6:7], s[12:13]
	s_cbranch_execz .LBB388_1410
.LBB388_1409:
	v_lshlrev_b32_e32 v3, 24, v1
	v_and_b32_e32 v1, 0xffff, v1
	v_and_b32_e32 v5, 7, v1
	v_ffbh_u32_e32 v9, v5
	v_min_u32_e32 v9, 32, v9
	v_subrev_u32_e32 v10, 28, v9
	v_bfe_u32 v8, v1, 3, 4
	v_lshlrev_b32_e32 v1, v10, v1
	v_sub_u32_e32 v9, 29, v9
	v_and_b32_e32 v1, 7, v1
	v_cmp_eq_u32_e32 vcc, 0, v8
	v_cndmask_b32_e32 v8, v8, v9, vcc
	v_cndmask_b32_e32 v1, v5, v1, vcc
	v_mov_b32_e32 v5, 0x3b800000
	v_lshlrev_b32_e32 v1, 20, v1
	v_and_b32_e32 v3, 0x80000000, v3
	v_lshl_add_u32 v5, v8, 23, v5
	v_or3_b32 v1, v3, v5, v1
	v_cvt_i32_f32_e32 v9, v1
.LBB388_1410:
	s_or_b64 exec, exec, s[6:7]
.LBB388_1411:
	s_mov_b64 s[6:7], -1
.LBB388_1412:
	s_mov_b64 s[12:13], 0
.LBB388_1413:
	s_and_b64 vcc, exec, s[12:13]
	s_cbranch_vccz .LBB388_1444
; %bb.1414:
	s_cmp_gt_i32 s15, 22
	s_cbranch_scc0 .LBB388_1422
; %bb.1415:
	s_cmp_lt_i32 s15, 24
	s_cbranch_scc1 .LBB388_1425
; %bb.1416:
	s_cmp_gt_i32 s15, 24
	s_cbranch_scc0 .LBB388_1426
; %bb.1417:
	global_load_ubyte v1, v[14:15], off
	s_movk_i32 s4, 0x7f
	s_mov_b64 s[6:7], 0
	s_waitcnt vmcnt(0)
	v_cmp_lt_i16_e32 vcc, s4, v1
	s_and_saveexec_b64 s[4:5], vcc
	s_xor_b64 s[4:5], exec, s[4:5]
	s_cbranch_execz .LBB388_1438
; %bb.1418:
	s_movk_i32 s6, 0x80
	v_cmp_ne_u16_e32 vcc, s6, v1
	s_and_b64 s[6:7], vcc, exec
	s_andn2_saveexec_b64 s[4:5], s[4:5]
	s_cbranch_execnz .LBB388_1439
.LBB388_1419:
	s_or_b64 exec, exec, s[4:5]
	v_mov_b32_e32 v9, 0
	s_and_saveexec_b64 s[4:5], s[6:7]
	s_cbranch_execz .LBB388_1421
.LBB388_1420:
	v_lshlrev_b32_e32 v3, 24, v1
	v_and_b32_e32 v1, 0xffff, v1
	v_and_b32_e32 v5, 3, v1
	v_ffbh_u32_e32 v9, v5
	v_min_u32_e32 v9, 32, v9
	v_subrev_u32_e32 v10, 29, v9
	v_bfe_u32 v8, v1, 2, 5
	v_lshlrev_b32_e32 v1, v10, v1
	v_sub_u32_e32 v9, 30, v9
	v_and_b32_e32 v1, 3, v1
	v_cmp_eq_u32_e32 vcc, 0, v8
	v_cndmask_b32_e32 v8, v8, v9, vcc
	v_cndmask_b32_e32 v1, v5, v1, vcc
	v_mov_b32_e32 v5, 0x37800000
	v_lshlrev_b32_e32 v1, 21, v1
	v_and_b32_e32 v3, 0x80000000, v3
	v_lshl_add_u32 v5, v8, 23, v5
	v_or3_b32 v1, v3, v5, v1
	v_cvt_i32_f32_e32 v9, v1
.LBB388_1421:
	s_or_b64 exec, exec, s[4:5]
	s_mov_b64 s[4:5], 0
	s_branch .LBB388_1427
.LBB388_1422:
	s_mov_b64 s[4:5], -1
                                        ; implicit-def: $vgpr9
	s_branch .LBB388_1433
.LBB388_1423:
	s_andn2_saveexec_b64 s[6:7], s[6:7]
	s_cbranch_execz .LBB388_1408
.LBB388_1424:
	v_cmp_ne_u16_e32 vcc, 0, v1
	s_andn2_b64 s[12:13], s[12:13], exec
	s_and_b64 s[16:17], vcc, exec
	s_or_b64 s[12:13], s[12:13], s[16:17]
	s_or_b64 exec, exec, s[6:7]
	v_mov_b32_e32 v9, 0
	s_and_saveexec_b64 s[6:7], s[12:13]
	s_cbranch_execnz .LBB388_1409
	s_branch .LBB388_1410
.LBB388_1425:
	s_mov_b64 s[4:5], -1
                                        ; implicit-def: $vgpr9
	s_branch .LBB388_1430
.LBB388_1426:
	s_mov_b64 s[4:5], -1
                                        ; implicit-def: $vgpr9
.LBB388_1427:
	s_and_b64 vcc, exec, s[4:5]
	s_cbranch_vccz .LBB388_1429
; %bb.1428:
	global_load_ubyte v1, v[14:15], off
	s_mov_b32 s4, 0x7f800000
	s_waitcnt vmcnt(0)
	v_lshlrev_b32_e32 v1, 24, v1
	v_and_b32_e32 v3, 0x7f000000, v1
	v_ffbh_u32_e32 v5, v3
	v_min_u32_e32 v5, 32, v5
	v_sub_u32_e64 v5, v5, 4 clamp
	v_lshlrev_b32_e32 v9, v5, v3
	v_lshlrev_b32_e32 v5, 23, v5
	v_lshrrev_b32_e32 v9, 4, v9
	v_add_u32_e32 v8, 0x1000000, v3
	v_sub_u32_e32 v5, v9, v5
	v_ashrrev_i32_e32 v8, 8, v8
	v_add_u32_e32 v5, 0x3c000000, v5
	v_and_or_b32 v5, v8, s4, v5
	v_cmp_ne_u32_e32 vcc, 0, v3
	v_cndmask_b32_e32 v3, 0, v5, vcc
	s_brev_b32 s4, 1
	v_and_or_b32 v1, v1, s4, v3
	v_cvt_i32_f32_e32 v9, v1
.LBB388_1429:
	s_mov_b64 s[4:5], 0
.LBB388_1430:
	s_andn2_b64 vcc, exec, s[4:5]
	s_cbranch_vccnz .LBB388_1432
; %bb.1431:
	global_load_ubyte v1, v[14:15], off
	s_movk_i32 s4, 0x7f00
	s_brev_b32 s5, 16
	s_waitcnt vmcnt(0)
	v_lshlrev_b16_e32 v3, 8, v1
	v_lshlrev_b32_e32 v1, 25, v1
	v_lshrrev_b32_e32 v5, 4, v1
	v_and_or_b32 v8, v3, s4, 0.5
	v_or_b32_e32 v5, 0x70000000, v5
	v_add_f32_e32 v8, -0.5, v8
	v_mul_f32_e32 v5, 0x7800000, v5
	v_cmp_gt_u32_e32 vcc, s5, v1
	v_bfe_i32 v3, v3, 0, 16
	v_cndmask_b32_e32 v1, v5, v8, vcc
	s_brev_b32 s4, 1
	v_and_or_b32 v1, v3, s4, v1
	v_cvt_i32_f32_e32 v9, v1
.LBB388_1432:
	s_mov_b64 s[4:5], 0
	s_mov_b64 s[6:7], -1
.LBB388_1433:
	s_andn2_b64 vcc, exec, s[4:5]
	s_mov_b64 s[4:5], 0
	s_cbranch_vccnz .LBB388_1444
; %bb.1434:
	s_cmp_gt_i32 s15, 14
	s_cbranch_scc0 .LBB388_1437
; %bb.1435:
	s_cmp_eq_u32 s15, 15
	s_cbranch_scc0 .LBB388_1440
; %bb.1436:
	global_load_ushort v1, v[14:15], off
	s_mov_b64 s[0:1], 0
	s_mov_b64 s[6:7], -1
	s_waitcnt vmcnt(0)
	v_lshlrev_b32_e32 v1, 16, v1
	v_cvt_i32_f32_e32 v9, v1
	s_branch .LBB388_1441
.LBB388_1437:
	s_mov_b64 s[12:13], -1
                                        ; implicit-def: $vgpr9
	s_branch .LBB388_1442
.LBB388_1438:
	s_andn2_saveexec_b64 s[4:5], s[4:5]
	s_cbranch_execz .LBB388_1419
.LBB388_1439:
	v_cmp_ne_u16_e32 vcc, 0, v1
	s_andn2_b64 s[6:7], s[6:7], exec
	s_and_b64 s[12:13], vcc, exec
	s_or_b64 s[6:7], s[6:7], s[12:13]
	s_or_b64 exec, exec, s[4:5]
	v_mov_b32_e32 v9, 0
	s_and_saveexec_b64 s[4:5], s[6:7]
	s_cbranch_execnz .LBB388_1420
	s_branch .LBB388_1421
.LBB388_1440:
	s_mov_b64 s[0:1], -1
                                        ; implicit-def: $vgpr9
.LBB388_1441:
	s_mov_b64 s[12:13], 0
.LBB388_1442:
	s_and_b64 vcc, exec, s[12:13]
	s_cbranch_vccz .LBB388_1444
; %bb.1443:
	s_cmp_lg_u32 s15, 11
	s_mov_b64 s[4:5], -1
	s_cselect_b64 s[0:1], -1, 0
.LBB388_1444:
	s_and_b64 vcc, exec, s[0:1]
	s_cbranch_vccnz .LBB388_1507
; %bb.1445:
	s_andn2_b64 vcc, exec, s[4:5]
	s_cbranch_vccnz .LBB388_1447
.LBB388_1446:
	global_load_ubyte v1, v[14:15], off
	s_mov_b64 s[6:7], -1
	s_waitcnt vmcnt(0)
	v_cmp_ne_u16_e32 vcc, 0, v1
	v_cndmask_b32_e64 v9, 0, 1, vcc
.LBB388_1447:
	s_branch .LBB388_1379
.LBB388_1448:
	s_and_b32 s4, 0xffff, s14
	s_cmp_lt_i32 s4, 5
	s_cbranch_scc1 .LBB388_1453
; %bb.1449:
	s_cmp_lt_i32 s4, 8
	s_cbranch_scc1 .LBB388_1454
; %bb.1450:
	;; [unrolled: 3-line block ×3, first 2 shown]
	s_cmp_gt_i32 s4, 9
	s_cbranch_scc0 .LBB388_1456
; %bb.1452:
	global_load_dwordx2 v[8:9], v[14:15], off
	s_mov_b64 s[0:1], 0
	s_waitcnt vmcnt(0)
	v_cvt_i32_f64_e32 v9, v[8:9]
	s_branch .LBB388_1457
.LBB388_1453:
	s_mov_b64 s[0:1], -1
                                        ; implicit-def: $vgpr9
	s_branch .LBB388_1475
.LBB388_1454:
	s_mov_b64 s[0:1], -1
                                        ; implicit-def: $vgpr9
	s_branch .LBB388_1463
.LBB388_1455:
	s_mov_b64 s[0:1], -1
                                        ; implicit-def: $vgpr9
	s_branch .LBB388_1460
.LBB388_1456:
	s_mov_b64 s[0:1], -1
                                        ; implicit-def: $vgpr9
.LBB388_1457:
	s_andn2_b64 vcc, exec, s[0:1]
	s_cbranch_vccnz .LBB388_1459
; %bb.1458:
	global_load_dword v1, v[14:15], off
	s_waitcnt vmcnt(0)
	v_cvt_i32_f32_e32 v9, v1
.LBB388_1459:
	s_mov_b64 s[0:1], 0
.LBB388_1460:
	s_andn2_b64 vcc, exec, s[0:1]
	s_cbranch_vccnz .LBB388_1462
; %bb.1461:
	global_load_dword v1, v[14:15], off
	s_waitcnt vmcnt(0)
	v_cvt_i16_f16_e32 v9, v1
.LBB388_1462:
	s_mov_b64 s[0:1], 0
.LBB388_1463:
	s_andn2_b64 vcc, exec, s[0:1]
	s_cbranch_vccnz .LBB388_1474
; %bb.1464:
	s_cmp_lt_i32 s4, 6
	s_cbranch_scc1 .LBB388_1467
; %bb.1465:
	s_cmp_gt_i32 s4, 6
	s_cbranch_scc0 .LBB388_1468
; %bb.1466:
	global_load_dwordx2 v[8:9], v[14:15], off
	s_mov_b64 s[0:1], 0
	s_waitcnt vmcnt(0)
	v_cvt_i32_f64_e32 v9, v[8:9]
	s_branch .LBB388_1469
.LBB388_1467:
	s_mov_b64 s[0:1], -1
                                        ; implicit-def: $vgpr9
	s_branch .LBB388_1472
.LBB388_1468:
	s_mov_b64 s[0:1], -1
                                        ; implicit-def: $vgpr9
.LBB388_1469:
	s_andn2_b64 vcc, exec, s[0:1]
	s_cbranch_vccnz .LBB388_1471
; %bb.1470:
	global_load_dword v1, v[14:15], off
	s_waitcnt vmcnt(0)
	v_cvt_i32_f32_e32 v9, v1
.LBB388_1471:
	s_mov_b64 s[0:1], 0
.LBB388_1472:
	s_andn2_b64 vcc, exec, s[0:1]
	s_cbranch_vccnz .LBB388_1474
; %bb.1473:
	global_load_ushort v1, v[14:15], off
	s_waitcnt vmcnt(0)
	v_cvt_i16_f16_e32 v9, v1
.LBB388_1474:
	s_mov_b64 s[0:1], 0
.LBB388_1475:
	s_andn2_b64 vcc, exec, s[0:1]
	s_cbranch_vccnz .LBB388_1495
; %bb.1476:
	s_cmp_lt_i32 s4, 2
	s_cbranch_scc1 .LBB388_1480
; %bb.1477:
	s_cmp_lt_i32 s4, 3
	s_cbranch_scc1 .LBB388_1481
; %bb.1478:
	s_cmp_gt_i32 s4, 3
	s_cbranch_scc0 .LBB388_1482
; %bb.1479:
	global_load_dwordx2 v[9:10], v[14:15], off
	s_mov_b64 s[0:1], 0
	s_branch .LBB388_1483
.LBB388_1480:
	s_mov_b64 s[0:1], -1
                                        ; implicit-def: $vgpr9
	s_branch .LBB388_1489
.LBB388_1481:
	s_mov_b64 s[0:1], -1
                                        ; implicit-def: $vgpr9
	s_branch .LBB388_1486
.LBB388_1482:
	s_mov_b64 s[0:1], -1
                                        ; implicit-def: $vgpr9
.LBB388_1483:
	s_andn2_b64 vcc, exec, s[0:1]
	s_cbranch_vccnz .LBB388_1485
; %bb.1484:
	global_load_dword v9, v[14:15], off
.LBB388_1485:
	s_mov_b64 s[0:1], 0
.LBB388_1486:
	s_andn2_b64 vcc, exec, s[0:1]
	s_cbranch_vccnz .LBB388_1488
; %bb.1487:
	global_load_ushort v9, v[14:15], off
.LBB388_1488:
	s_mov_b64 s[0:1], 0
.LBB388_1489:
	s_andn2_b64 vcc, exec, s[0:1]
	s_cbranch_vccnz .LBB388_1495
; %bb.1490:
	s_cmp_gt_i32 s4, 0
	s_cbranch_scc0 .LBB388_1492
; %bb.1491:
	global_load_ubyte v9, v[14:15], off
	s_mov_b64 s[0:1], 0
	s_branch .LBB388_1493
.LBB388_1492:
	s_mov_b64 s[0:1], -1
                                        ; implicit-def: $vgpr9
.LBB388_1493:
	s_andn2_b64 vcc, exec, s[0:1]
	s_cbranch_vccnz .LBB388_1495
; %bb.1494:
	global_load_ubyte v9, v[14:15], off
.LBB388_1495:
.LBB388_1496:
	v_mov_b32_e32 v1, s11
	v_add_co_u32_e32 v14, vcc, s10, v7
	s_cmp_lt_i32 s14, 11
	v_addc_co_u32_e32 v15, vcc, 0, v1, vcc
	s_cbranch_scc1 .LBB388_1503
; %bb.1497:
	s_and_b32 s12, 0xffff, s14
	s_cmp_gt_i32 s12, 25
	s_mov_b64 s[4:5], 0
	s_cbranch_scc0 .LBB388_1504
; %bb.1498:
	s_cmp_gt_i32 s12, 28
	s_cbranch_scc0 .LBB388_1505
; %bb.1499:
	s_cmp_gt_i32 s12, 43
	;; [unrolled: 3-line block ×3, first 2 shown]
	s_cbranch_scc0 .LBB388_1508
; %bb.1501:
	s_cmp_eq_u32 s12, 46
	s_mov_b64 s[10:11], 0
	s_cbranch_scc0 .LBB388_1509
; %bb.1502:
	global_load_dword v1, v[14:15], off
	s_mov_b64 s[0:1], 0
	s_mov_b64 s[6:7], -1
	s_waitcnt vmcnt(0)
	v_lshlrev_b32_e32 v1, 16, v1
	v_cvt_i32_f32_e32 v7, v1
	s_branch .LBB388_1510
.LBB388_1503:
	s_mov_b64 s[0:1], -1
	s_mov_b64 s[6:7], 0
                                        ; implicit-def: $vgpr7
	s_branch .LBB388_1572
.LBB388_1504:
	s_mov_b64 s[10:11], -1
	s_mov_b64 s[6:7], 0
	s_mov_b64 s[0:1], 0
                                        ; implicit-def: $vgpr7
	s_branch .LBB388_1537
.LBB388_1505:
	s_mov_b64 s[10:11], -1
	s_mov_b64 s[6:7], 0
	s_mov_b64 s[0:1], 0
                                        ; implicit-def: $vgpr7
	s_branch .LBB388_1520
.LBB388_1506:
	s_mov_b64 s[10:11], -1
	s_mov_b64 s[6:7], 0
	s_mov_b64 s[0:1], 0
                                        ; implicit-def: $vgpr7
	s_branch .LBB388_1515
.LBB388_1507:
	s_trap 2
	s_or_b64 s[2:3], s[2:3], exec
	s_cbranch_execz .LBB388_1446
	s_branch .LBB388_1447
.LBB388_1508:
	s_mov_b64 s[10:11], -1
	s_mov_b64 s[6:7], 0
	s_mov_b64 s[0:1], 0
                                        ; implicit-def: $vgpr7
	s_branch .LBB388_1510
.LBB388_1509:
	s_mov_b64 s[0:1], -1
                                        ; implicit-def: $vgpr7
	s_mov_b64 s[6:7], 0
.LBB388_1510:
	s_and_b64 vcc, exec, s[10:11]
	s_cbranch_vccz .LBB388_1514
; %bb.1511:
	s_cmp_eq_u32 s12, 44
	s_cbranch_scc0 .LBB388_1513
; %bb.1512:
	global_load_ubyte v1, v[14:15], off
	s_mov_b64 s[0:1], 0
	s_mov_b64 s[6:7], -1
	s_waitcnt vmcnt(0)
	v_lshlrev_b32_e32 v3, 23, v1
	v_cvt_i32_f32_e32 v3, v3
	v_cmp_ne_u32_e32 vcc, 0, v1
	v_cndmask_b32_e32 v7, 0, v3, vcc
	s_branch .LBB388_1514
.LBB388_1513:
	s_mov_b64 s[0:1], -1
                                        ; implicit-def: $vgpr7
.LBB388_1514:
	s_mov_b64 s[10:11], 0
.LBB388_1515:
	s_and_b64 vcc, exec, s[10:11]
	s_cbranch_vccz .LBB388_1519
; %bb.1516:
	s_cmp_eq_u32 s12, 29
	s_cbranch_scc0 .LBB388_1518
; %bb.1517:
	global_load_dwordx2 v[7:8], v[14:15], off
	s_mov_b64 s[0:1], 0
	s_mov_b64 s[6:7], -1
	s_branch .LBB388_1519
.LBB388_1518:
	s_mov_b64 s[0:1], -1
                                        ; implicit-def: $vgpr7
.LBB388_1519:
	s_mov_b64 s[10:11], 0
.LBB388_1520:
	s_and_b64 vcc, exec, s[10:11]
	s_cbranch_vccz .LBB388_1536
; %bb.1521:
	s_cmp_lt_i32 s12, 27
	s_cbranch_scc1 .LBB388_1524
; %bb.1522:
	s_cmp_gt_i32 s12, 27
	s_cbranch_scc0 .LBB388_1525
; %bb.1523:
	global_load_dword v7, v[14:15], off
	s_mov_b64 s[6:7], 0
	s_branch .LBB388_1526
.LBB388_1524:
	s_mov_b64 s[6:7], -1
                                        ; implicit-def: $vgpr7
	s_branch .LBB388_1529
.LBB388_1525:
	s_mov_b64 s[6:7], -1
                                        ; implicit-def: $vgpr7
.LBB388_1526:
	s_andn2_b64 vcc, exec, s[6:7]
	s_cbranch_vccnz .LBB388_1528
; %bb.1527:
	global_load_ushort v7, v[14:15], off
.LBB388_1528:
	s_mov_b64 s[6:7], 0
.LBB388_1529:
	s_andn2_b64 vcc, exec, s[6:7]
	s_cbranch_vccnz .LBB388_1535
; %bb.1530:
	global_load_ubyte v1, v[14:15], off
	s_movk_i32 s6, 0x7f
	s_mov_b64 s[10:11], 0
	s_waitcnt vmcnt(0)
	v_cmp_lt_i16_e32 vcc, s6, v1
	s_and_saveexec_b64 s[6:7], vcc
	s_xor_b64 s[6:7], exec, s[6:7]
	s_cbranch_execz .LBB388_1547
; %bb.1531:
	s_movk_i32 s10, 0x80
	v_cmp_ne_u16_e32 vcc, s10, v1
	s_and_b64 s[10:11], vcc, exec
	s_andn2_saveexec_b64 s[6:7], s[6:7]
	s_cbranch_execnz .LBB388_1548
.LBB388_1532:
	s_or_b64 exec, exec, s[6:7]
	v_mov_b32_e32 v7, 0
	s_and_saveexec_b64 s[6:7], s[10:11]
	s_cbranch_execz .LBB388_1534
.LBB388_1533:
	v_lshlrev_b32_e32 v3, 24, v1
	v_and_b32_e32 v1, 0xffff, v1
	v_and_b32_e32 v5, 7, v1
	v_ffbh_u32_e32 v8, v5
	v_min_u32_e32 v8, 32, v8
	v_subrev_u32_e32 v10, 28, v8
	v_bfe_u32 v7, v1, 3, 4
	v_lshlrev_b32_e32 v1, v10, v1
	v_sub_u32_e32 v8, 29, v8
	v_and_b32_e32 v1, 7, v1
	v_cmp_eq_u32_e32 vcc, 0, v7
	v_cndmask_b32_e32 v7, v7, v8, vcc
	v_cndmask_b32_e32 v1, v5, v1, vcc
	v_mov_b32_e32 v5, 0x3b800000
	v_lshlrev_b32_e32 v1, 20, v1
	v_and_b32_e32 v3, 0x80000000, v3
	v_lshl_add_u32 v5, v7, 23, v5
	v_or3_b32 v1, v3, v5, v1
	v_cvt_i32_f32_e32 v7, v1
.LBB388_1534:
	s_or_b64 exec, exec, s[6:7]
.LBB388_1535:
	s_mov_b64 s[6:7], -1
.LBB388_1536:
	s_mov_b64 s[10:11], 0
.LBB388_1537:
	s_and_b64 vcc, exec, s[10:11]
	s_cbranch_vccz .LBB388_1568
; %bb.1538:
	s_cmp_gt_i32 s12, 22
	s_cbranch_scc0 .LBB388_1546
; %bb.1539:
	s_cmp_lt_i32 s12, 24
	s_cbranch_scc1 .LBB388_1549
; %bb.1540:
	s_cmp_gt_i32 s12, 24
	s_cbranch_scc0 .LBB388_1550
; %bb.1541:
	global_load_ubyte v1, v[14:15], off
	s_movk_i32 s4, 0x7f
	s_mov_b64 s[6:7], 0
	s_waitcnt vmcnt(0)
	v_cmp_lt_i16_e32 vcc, s4, v1
	s_and_saveexec_b64 s[4:5], vcc
	s_xor_b64 s[4:5], exec, s[4:5]
	s_cbranch_execz .LBB388_1562
; %bb.1542:
	s_movk_i32 s6, 0x80
	v_cmp_ne_u16_e32 vcc, s6, v1
	s_and_b64 s[6:7], vcc, exec
	s_andn2_saveexec_b64 s[4:5], s[4:5]
	s_cbranch_execnz .LBB388_1563
.LBB388_1543:
	s_or_b64 exec, exec, s[4:5]
	v_mov_b32_e32 v7, 0
	s_and_saveexec_b64 s[4:5], s[6:7]
	s_cbranch_execz .LBB388_1545
.LBB388_1544:
	v_lshlrev_b32_e32 v3, 24, v1
	v_and_b32_e32 v1, 0xffff, v1
	v_and_b32_e32 v5, 3, v1
	v_ffbh_u32_e32 v8, v5
	v_min_u32_e32 v8, 32, v8
	v_subrev_u32_e32 v10, 29, v8
	v_bfe_u32 v7, v1, 2, 5
	v_lshlrev_b32_e32 v1, v10, v1
	v_sub_u32_e32 v8, 30, v8
	v_and_b32_e32 v1, 3, v1
	v_cmp_eq_u32_e32 vcc, 0, v7
	v_cndmask_b32_e32 v7, v7, v8, vcc
	v_cndmask_b32_e32 v1, v5, v1, vcc
	v_mov_b32_e32 v5, 0x37800000
	v_lshlrev_b32_e32 v1, 21, v1
	v_and_b32_e32 v3, 0x80000000, v3
	v_lshl_add_u32 v5, v7, 23, v5
	v_or3_b32 v1, v3, v5, v1
	v_cvt_i32_f32_e32 v7, v1
.LBB388_1545:
	s_or_b64 exec, exec, s[4:5]
	s_mov_b64 s[4:5], 0
	s_branch .LBB388_1551
.LBB388_1546:
	s_mov_b64 s[4:5], -1
                                        ; implicit-def: $vgpr7
	s_branch .LBB388_1557
.LBB388_1547:
	s_andn2_saveexec_b64 s[6:7], s[6:7]
	s_cbranch_execz .LBB388_1532
.LBB388_1548:
	v_cmp_ne_u16_e32 vcc, 0, v1
	s_andn2_b64 s[10:11], s[10:11], exec
	s_and_b64 s[16:17], vcc, exec
	s_or_b64 s[10:11], s[10:11], s[16:17]
	s_or_b64 exec, exec, s[6:7]
	v_mov_b32_e32 v7, 0
	s_and_saveexec_b64 s[6:7], s[10:11]
	s_cbranch_execnz .LBB388_1533
	s_branch .LBB388_1534
.LBB388_1549:
	s_mov_b64 s[4:5], -1
                                        ; implicit-def: $vgpr7
	s_branch .LBB388_1554
.LBB388_1550:
	s_mov_b64 s[4:5], -1
                                        ; implicit-def: $vgpr7
.LBB388_1551:
	s_and_b64 vcc, exec, s[4:5]
	s_cbranch_vccz .LBB388_1553
; %bb.1552:
	global_load_ubyte v1, v[14:15], off
	s_mov_b32 s4, 0x7f800000
	s_waitcnt vmcnt(0)
	v_lshlrev_b32_e32 v1, 24, v1
	v_and_b32_e32 v3, 0x7f000000, v1
	v_ffbh_u32_e32 v5, v3
	v_min_u32_e32 v5, 32, v5
	v_sub_u32_e64 v5, v5, 4 clamp
	v_lshlrev_b32_e32 v8, v5, v3
	v_lshlrev_b32_e32 v5, 23, v5
	v_lshrrev_b32_e32 v8, 4, v8
	v_add_u32_e32 v7, 0x1000000, v3
	v_sub_u32_e32 v5, v8, v5
	v_ashrrev_i32_e32 v7, 8, v7
	v_add_u32_e32 v5, 0x3c000000, v5
	v_and_or_b32 v5, v7, s4, v5
	v_cmp_ne_u32_e32 vcc, 0, v3
	v_cndmask_b32_e32 v3, 0, v5, vcc
	s_brev_b32 s4, 1
	v_and_or_b32 v1, v1, s4, v3
	v_cvt_i32_f32_e32 v7, v1
.LBB388_1553:
	s_mov_b64 s[4:5], 0
.LBB388_1554:
	s_andn2_b64 vcc, exec, s[4:5]
	s_cbranch_vccnz .LBB388_1556
; %bb.1555:
	global_load_ubyte v1, v[14:15], off
	s_movk_i32 s4, 0x7f00
	s_brev_b32 s5, 16
	s_waitcnt vmcnt(0)
	v_lshlrev_b16_e32 v3, 8, v1
	v_lshlrev_b32_e32 v1, 25, v1
	v_lshrrev_b32_e32 v5, 4, v1
	v_and_or_b32 v7, v3, s4, 0.5
	v_or_b32_e32 v5, 0x70000000, v5
	v_add_f32_e32 v7, -0.5, v7
	v_mul_f32_e32 v5, 0x7800000, v5
	v_cmp_gt_u32_e32 vcc, s5, v1
	v_bfe_i32 v3, v3, 0, 16
	v_cndmask_b32_e32 v1, v5, v7, vcc
	s_brev_b32 s4, 1
	v_and_or_b32 v1, v3, s4, v1
	v_cvt_i32_f32_e32 v7, v1
.LBB388_1556:
	s_mov_b64 s[4:5], 0
	s_mov_b64 s[6:7], -1
.LBB388_1557:
	s_andn2_b64 vcc, exec, s[4:5]
	s_mov_b64 s[4:5], 0
	s_cbranch_vccnz .LBB388_1568
; %bb.1558:
	s_cmp_gt_i32 s12, 14
	s_cbranch_scc0 .LBB388_1561
; %bb.1559:
	s_cmp_eq_u32 s12, 15
	s_cbranch_scc0 .LBB388_1564
; %bb.1560:
	global_load_ushort v1, v[14:15], off
	s_mov_b64 s[0:1], 0
	s_mov_b64 s[6:7], -1
	s_waitcnt vmcnt(0)
	v_lshlrev_b32_e32 v1, 16, v1
	v_cvt_i32_f32_e32 v7, v1
	s_branch .LBB388_1565
.LBB388_1561:
	s_mov_b64 s[10:11], -1
                                        ; implicit-def: $vgpr7
	s_branch .LBB388_1566
.LBB388_1562:
	s_andn2_saveexec_b64 s[4:5], s[4:5]
	s_cbranch_execz .LBB388_1543
.LBB388_1563:
	v_cmp_ne_u16_e32 vcc, 0, v1
	s_andn2_b64 s[6:7], s[6:7], exec
	s_and_b64 s[10:11], vcc, exec
	s_or_b64 s[6:7], s[6:7], s[10:11]
	s_or_b64 exec, exec, s[4:5]
	v_mov_b32_e32 v7, 0
	s_and_saveexec_b64 s[4:5], s[6:7]
	s_cbranch_execnz .LBB388_1544
	s_branch .LBB388_1545
.LBB388_1564:
	s_mov_b64 s[0:1], -1
                                        ; implicit-def: $vgpr7
.LBB388_1565:
	s_mov_b64 s[10:11], 0
.LBB388_1566:
	s_and_b64 vcc, exec, s[10:11]
	s_cbranch_vccz .LBB388_1568
; %bb.1567:
	s_cmp_lg_u32 s12, 11
	s_mov_b64 s[4:5], -1
	s_cselect_b64 s[0:1], -1, 0
.LBB388_1568:
	s_and_b64 vcc, exec, s[0:1]
	s_cbranch_vccnz .LBB388_2101
; %bb.1569:
	s_andn2_b64 vcc, exec, s[4:5]
	s_cbranch_vccnz .LBB388_1571
.LBB388_1570:
	global_load_ubyte v1, v[14:15], off
	s_mov_b64 s[6:7], -1
	s_waitcnt vmcnt(0)
	v_cmp_ne_u16_e32 vcc, 0, v1
	v_cndmask_b32_e64 v7, 0, 1, vcc
.LBB388_1571:
	s_mov_b64 s[0:1], 0
.LBB388_1572:
	s_and_b64 vcc, exec, s[0:1]
	s_cbranch_vccz .LBB388_1621
; %bb.1573:
	s_and_b32 s4, 0xffff, s14
	s_cmp_lt_i32 s4, 5
	s_cbranch_scc1 .LBB388_1578
; %bb.1574:
	s_cmp_lt_i32 s4, 8
	s_cbranch_scc1 .LBB388_1579
; %bb.1575:
	;; [unrolled: 3-line block ×3, first 2 shown]
	s_cmp_gt_i32 s4, 9
	s_cbranch_scc0 .LBB388_1581
; %bb.1577:
	global_load_dwordx2 v[7:8], v[14:15], off
	s_mov_b64 s[0:1], 0
	s_waitcnt vmcnt(0)
	v_cvt_i32_f64_e32 v7, v[7:8]
	s_branch .LBB388_1582
.LBB388_1578:
	s_mov_b64 s[0:1], -1
                                        ; implicit-def: $vgpr7
	s_branch .LBB388_1600
.LBB388_1579:
	s_mov_b64 s[0:1], -1
                                        ; implicit-def: $vgpr7
	s_branch .LBB388_1588
.LBB388_1580:
	s_mov_b64 s[0:1], -1
                                        ; implicit-def: $vgpr7
	s_branch .LBB388_1585
.LBB388_1581:
	s_mov_b64 s[0:1], -1
                                        ; implicit-def: $vgpr7
.LBB388_1582:
	s_andn2_b64 vcc, exec, s[0:1]
	s_cbranch_vccnz .LBB388_1584
; %bb.1583:
	global_load_dword v1, v[14:15], off
	s_waitcnt vmcnt(0)
	v_cvt_i32_f32_e32 v7, v1
.LBB388_1584:
	s_mov_b64 s[0:1], 0
.LBB388_1585:
	s_andn2_b64 vcc, exec, s[0:1]
	s_cbranch_vccnz .LBB388_1587
; %bb.1586:
	global_load_dword v1, v[14:15], off
	s_waitcnt vmcnt(0)
	v_cvt_i16_f16_e32 v7, v1
.LBB388_1587:
	s_mov_b64 s[0:1], 0
.LBB388_1588:
	s_andn2_b64 vcc, exec, s[0:1]
	s_cbranch_vccnz .LBB388_1599
; %bb.1589:
	s_cmp_lt_i32 s4, 6
	s_cbranch_scc1 .LBB388_1592
; %bb.1590:
	s_cmp_gt_i32 s4, 6
	s_cbranch_scc0 .LBB388_1593
; %bb.1591:
	global_load_dwordx2 v[7:8], v[14:15], off
	s_mov_b64 s[0:1], 0
	s_waitcnt vmcnt(0)
	v_cvt_i32_f64_e32 v7, v[7:8]
	s_branch .LBB388_1594
.LBB388_1592:
	s_mov_b64 s[0:1], -1
                                        ; implicit-def: $vgpr7
	s_branch .LBB388_1597
.LBB388_1593:
	s_mov_b64 s[0:1], -1
                                        ; implicit-def: $vgpr7
.LBB388_1594:
	s_andn2_b64 vcc, exec, s[0:1]
	s_cbranch_vccnz .LBB388_1596
; %bb.1595:
	global_load_dword v1, v[14:15], off
	s_waitcnt vmcnt(0)
	v_cvt_i32_f32_e32 v7, v1
.LBB388_1596:
	s_mov_b64 s[0:1], 0
.LBB388_1597:
	s_andn2_b64 vcc, exec, s[0:1]
	s_cbranch_vccnz .LBB388_1599
; %bb.1598:
	global_load_ushort v1, v[14:15], off
	s_waitcnt vmcnt(0)
	v_cvt_i16_f16_e32 v7, v1
.LBB388_1599:
	s_mov_b64 s[0:1], 0
.LBB388_1600:
	s_andn2_b64 vcc, exec, s[0:1]
	s_cbranch_vccnz .LBB388_1620
; %bb.1601:
	s_cmp_lt_i32 s4, 2
	s_cbranch_scc1 .LBB388_1605
; %bb.1602:
	s_cmp_lt_i32 s4, 3
	s_cbranch_scc1 .LBB388_1606
; %bb.1603:
	s_cmp_gt_i32 s4, 3
	s_cbranch_scc0 .LBB388_1607
; %bb.1604:
	global_load_dwordx2 v[7:8], v[14:15], off
	s_mov_b64 s[0:1], 0
	s_branch .LBB388_1608
.LBB388_1605:
	s_mov_b64 s[0:1], -1
                                        ; implicit-def: $vgpr7
	s_branch .LBB388_1614
.LBB388_1606:
	s_mov_b64 s[0:1], -1
                                        ; implicit-def: $vgpr7
	s_branch .LBB388_1611
.LBB388_1607:
	s_mov_b64 s[0:1], -1
                                        ; implicit-def: $vgpr7
.LBB388_1608:
	s_andn2_b64 vcc, exec, s[0:1]
	s_cbranch_vccnz .LBB388_1610
; %bb.1609:
	global_load_dword v7, v[14:15], off
.LBB388_1610:
	s_mov_b64 s[0:1], 0
.LBB388_1611:
	s_andn2_b64 vcc, exec, s[0:1]
	s_cbranch_vccnz .LBB388_1613
; %bb.1612:
	global_load_ushort v7, v[14:15], off
.LBB388_1613:
	s_mov_b64 s[0:1], 0
.LBB388_1614:
	s_andn2_b64 vcc, exec, s[0:1]
	s_cbranch_vccnz .LBB388_1620
; %bb.1615:
	s_cmp_gt_i32 s4, 0
	s_cbranch_scc0 .LBB388_1617
; %bb.1616:
	global_load_ubyte v7, v[14:15], off
	s_mov_b64 s[0:1], 0
	s_branch .LBB388_1618
.LBB388_1617:
	s_mov_b64 s[0:1], -1
                                        ; implicit-def: $vgpr7
.LBB388_1618:
	s_andn2_b64 vcc, exec, s[0:1]
	s_cbranch_vccnz .LBB388_1620
; %bb.1619:
	global_load_ubyte v7, v[14:15], off
.LBB388_1620:
	s_mov_b64 s[6:7], -1
.LBB388_1621:
	s_andn2_b64 vcc, exec, s[6:7]
	s_cbranch_vccnz .LBB388_2055
; %bb.1622:
	s_load_dwordx2 s[0:1], s[34:35], 0x158
	s_load_dword s6, s[34:35], 0x160
	v_mov_b32_e32 v1, s9
	v_add_co_u32_e32 v5, vcc, s8, v6
	s_waitcnt lgkmcnt(0)
	s_cmp_eq_u32 s0, 0
	s_cselect_b64 s[4:5], -1, 0
	s_and_b32 s19, s1, 0xff
	v_cmp_ne_u16_sdwa s[0:1], s19, v13 src0_sel:DWORD src1_sel:BYTE_0
	s_and_b32 s18, s6, 0xff
	s_xor_b64 s[6:7], s[4:5], s[0:1]
	s_cmp_lt_i32 s18, 11
	v_addc_co_u32_e32 v6, vcc, 0, v1, vcc
	s_cbranch_scc1 .LBB388_1700
; %bb.1623:
	s_and_b32 s20, 0xffff, s18
	s_mov_b64 s[14:15], -1
	s_mov_b64 s[10:11], 0
	s_cmp_gt_i32 s20, 25
	s_mov_b64 s[12:13], 0
	s_mov_b64 s[0:1], 0
	s_cbranch_scc0 .LBB388_1656
; %bb.1624:
	s_cmp_gt_i32 s20, 28
	s_cbranch_scc0 .LBB388_1639
; %bb.1625:
	s_cmp_gt_i32 s20, 43
	;; [unrolled: 3-line block ×3, first 2 shown]
	s_cbranch_scc0 .LBB388_1629
; %bb.1627:
	s_mov_b64 s[0:1], -1
	s_mov_b64 s[14:15], 0
	s_cmp_eq_u32 s20, 46
	s_cbranch_scc0 .LBB388_1629
; %bb.1628:
	v_cndmask_b32_e64 v1, 0, 1.0, s[6:7]
	v_bfe_u32 v3, v1, 16, 1
	s_movk_i32 s0, 0x7fff
	v_add3_u32 v1, v1, v3, s0
	v_lshrrev_b32_e32 v1, 16, v1
	global_store_dword v[5:6], v1, off
	s_mov_b64 s[0:1], 0
	s_mov_b64 s[12:13], -1
.LBB388_1629:
	s_and_b64 vcc, exec, s[14:15]
	s_cbranch_vccz .LBB388_1634
; %bb.1630:
	s_cmp_eq_u32 s20, 44
	s_mov_b64 s[0:1], -1
	s_cbranch_scc0 .LBB388_1634
; %bb.1631:
	v_cndmask_b32_e64 v3, 0, 1.0, s[6:7]
	v_lshrrev_b32_e32 v1, 23, v3
	s_movk_i32 s0, 0xff
	v_cmp_ne_u32_e32 vcc, s0, v1
	s_waitcnt vmcnt(0)
	v_mov_b32_e32 v8, 0xff
	s_and_saveexec_b64 s[12:13], vcc
; %bb.1632:
	s_mov_b32 s0, 0x3fffff
	v_and_b32_e32 v8, 0x400000, v3
	v_and_or_b32 v3, v3, s0, v1
	v_cmp_ne_u32_e32 vcc, 0, v8
	v_cmp_ne_u32_e64 s[0:1], 0, v3
	s_and_b64 s[0:1], vcc, s[0:1]
	v_cndmask_b32_e64 v3, 0, 1, s[0:1]
	v_add_u32_e32 v8, v1, v3
; %bb.1633:
	s_or_b64 exec, exec, s[12:13]
	s_mov_b64 s[0:1], 0
	s_mov_b64 s[12:13], -1
	global_store_byte v[5:6], v8, off
.LBB388_1634:
	s_mov_b64 s[14:15], 0
.LBB388_1635:
	s_and_b64 vcc, exec, s[14:15]
	s_cbranch_vccz .LBB388_1638
; %bb.1636:
	s_cmp_eq_u32 s20, 29
	s_mov_b64 s[0:1], -1
	s_cbranch_scc0 .LBB388_1638
; %bb.1637:
	s_mov_b32 s0, 0
	s_waitcnt vmcnt(0)
	v_cndmask_b32_e64 v12, 0, 1, s[6:7]
	v_mov_b32_e32 v13, s0
	global_store_dwordx2 v[5:6], v[12:13], off
	s_mov_b64 s[0:1], 0
	s_mov_b64 s[12:13], -1
.LBB388_1638:
	s_mov_b64 s[14:15], 0
.LBB388_1639:
	s_and_b64 vcc, exec, s[14:15]
	s_cbranch_vccz .LBB388_1655
; %bb.1640:
	s_cmp_lt_i32 s20, 27
	s_mov_b64 s[12:13], -1
	s_cbranch_scc1 .LBB388_1646
; %bb.1641:
	s_cmp_gt_i32 s20, 27
	s_cbranch_scc0 .LBB388_1643
; %bb.1642:
	v_cndmask_b32_e64 v1, 0, 1, s[6:7]
	s_mov_b64 s[12:13], 0
	global_store_dword v[5:6], v1, off
.LBB388_1643:
	s_andn2_b64 vcc, exec, s[12:13]
	s_cbranch_vccnz .LBB388_1645
; %bb.1644:
	v_cndmask_b32_e64 v1, 0, 1, s[6:7]
	global_store_short v[5:6], v1, off
.LBB388_1645:
	s_mov_b64 s[12:13], 0
.LBB388_1646:
	s_andn2_b64 vcc, exec, s[12:13]
	s_cbranch_vccnz .LBB388_1654
; %bb.1647:
	v_cndmask_b32_e64 v3, 0, 1.0, s[6:7]
	s_mov_b32 s12, 0x43800000
	v_cmp_gt_u32_e32 vcc, s12, v3
	s_waitcnt vmcnt(0)
	v_mov_b32_e32 v8, 0x80
	s_and_saveexec_b64 s[12:13], vcc
	s_cbranch_execz .LBB388_1653
; %bb.1648:
	s_mov_b32 s14, 0x3bffffff
	v_cmp_lt_u32_e32 vcc, s14, v3
	s_mov_b64 s[14:15], 0
                                        ; implicit-def: $vgpr1
	s_and_saveexec_b64 s[16:17], vcc
	s_xor_b64 s[16:17], exec, s[16:17]
	s_cbranch_execz .LBB388_2102
; %bb.1649:
	v_bfe_u32 v1, v3, 20, 1
	s_mov_b32 s21, 0x487ffff
	v_add3_u32 v1, v3, v1, s21
	s_mov_b64 s[14:15], exec
	v_lshrrev_b32_e32 v1, 20, v1
                                        ; implicit-def: $vgpr3
	s_andn2_saveexec_b64 s[16:17], s[16:17]
	s_cbranch_execnz .LBB388_2103
.LBB388_1650:
	s_or_b64 exec, exec, s[16:17]
	v_mov_b32_e32 v8, 0
	s_and_saveexec_b64 s[16:17], s[14:15]
.LBB388_1651:
	v_mov_b32_e32 v8, v1
.LBB388_1652:
	s_or_b64 exec, exec, s[16:17]
.LBB388_1653:
	s_or_b64 exec, exec, s[12:13]
	global_store_byte v[5:6], v8, off
.LBB388_1654:
	s_mov_b64 s[12:13], -1
.LBB388_1655:
	s_mov_b64 s[14:15], 0
.LBB388_1656:
	s_and_b64 vcc, exec, s[14:15]
	s_cbranch_vccz .LBB388_1696
; %bb.1657:
	s_cmp_gt_i32 s20, 22
	s_mov_b64 s[10:11], -1
	s_cbranch_scc0 .LBB388_1689
; %bb.1658:
	s_cmp_lt_i32 s20, 24
	s_cbranch_scc1 .LBB388_1678
; %bb.1659:
	s_cmp_gt_i32 s20, 24
	s_cbranch_scc0 .LBB388_1667
; %bb.1660:
	v_cndmask_b32_e64 v3, 0, 1.0, s[6:7]
	s_mov_b32 s10, 0x47800000
	v_cmp_gt_u32_e32 vcc, s10, v3
	s_waitcnt vmcnt(0)
	v_mov_b32_e32 v8, 0x80
	s_and_saveexec_b64 s[10:11], vcc
	s_cbranch_execz .LBB388_1666
; %bb.1661:
	s_mov_b32 s12, 0x37ffffff
	v_cmp_lt_u32_e32 vcc, s12, v3
	s_mov_b64 s[12:13], 0
                                        ; implicit-def: $vgpr1
	s_and_saveexec_b64 s[14:15], vcc
	s_xor_b64 s[14:15], exec, s[14:15]
	s_cbranch_execz .LBB388_2105
; %bb.1662:
	v_bfe_u32 v1, v3, 21, 1
	s_mov_b32 s16, 0x88fffff
	v_add3_u32 v1, v3, v1, s16
	s_mov_b64 s[12:13], exec
	v_lshrrev_b32_e32 v1, 21, v1
                                        ; implicit-def: $vgpr3
	s_andn2_saveexec_b64 s[14:15], s[14:15]
	s_cbranch_execnz .LBB388_2106
.LBB388_1663:
	s_or_b64 exec, exec, s[14:15]
	v_mov_b32_e32 v8, 0
	s_and_saveexec_b64 s[14:15], s[12:13]
.LBB388_1664:
	v_mov_b32_e32 v8, v1
.LBB388_1665:
	s_or_b64 exec, exec, s[14:15]
.LBB388_1666:
	s_or_b64 exec, exec, s[10:11]
	s_mov_b64 s[10:11], 0
	global_store_byte v[5:6], v8, off
.LBB388_1667:
	s_and_b64 vcc, exec, s[10:11]
	s_cbranch_vccz .LBB388_1677
; %bb.1668:
	v_cndmask_b32_e64 v1, 0, 1.0, s[6:7]
	s_mov_b32 s10, 0x43f00000
	v_cmp_gt_u32_e32 vcc, s10, v1
                                        ; implicit-def: $vgpr3
	s_and_saveexec_b64 s[10:11], vcc
	s_xor_b64 s[10:11], exec, s[10:11]
	s_cbranch_execz .LBB388_1674
; %bb.1669:
	s_mov_b32 s12, 0x3c7fffff
	v_cmp_lt_u32_e32 vcc, s12, v1
                                        ; implicit-def: $vgpr3
	s_and_saveexec_b64 s[12:13], vcc
	s_xor_b64 s[12:13], exec, s[12:13]
	s_cbranch_execz .LBB388_1671
; %bb.1670:
	v_bfe_u32 v3, v1, 20, 1
	s_mov_b32 s14, 0x407ffff
	v_add3_u32 v1, v1, v3, s14
	v_lshrrev_b32_e32 v3, 20, v1
	v_and_b32_e32 v1, 0xff00000, v1
	s_mov_b32 s14, 0x7f00000
	s_waitcnt vmcnt(0)
	v_mov_b32_e32 v8, 0x7e
	v_cmp_ne_u32_e32 vcc, s14, v1
	v_cndmask_b32_e32 v3, v8, v3, vcc
                                        ; implicit-def: $vgpr1
.LBB388_1671:
	s_andn2_saveexec_b64 s[12:13], s[12:13]
; %bb.1672:
	v_add_f32_e32 v3, 0x46800000, v1
; %bb.1673:
	s_or_b64 exec, exec, s[12:13]
                                        ; implicit-def: $vgpr1
.LBB388_1674:
	s_andn2_saveexec_b64 s[10:11], s[10:11]
	s_cbranch_execz .LBB388_1676
; %bb.1675:
	s_mov_b32 s12, 0x7f800000
	v_mov_b32_e32 v3, 0x7e
	s_waitcnt vmcnt(0)
	v_mov_b32_e32 v8, 0x7f
	v_cmp_lt_u32_e32 vcc, s12, v1
	v_cndmask_b32_e32 v3, v3, v8, vcc
.LBB388_1676:
	s_or_b64 exec, exec, s[10:11]
	global_store_byte v[5:6], v3, off
.LBB388_1677:
	s_mov_b64 s[10:11], 0
.LBB388_1678:
	s_andn2_b64 vcc, exec, s[10:11]
	s_cbranch_vccnz .LBB388_1688
; %bb.1679:
	v_cndmask_b32_e64 v1, 0, 1.0, s[6:7]
	s_mov_b32 s10, 0x47800000
	v_cmp_gt_u32_e32 vcc, s10, v1
                                        ; implicit-def: $vgpr3
	s_and_saveexec_b64 s[10:11], vcc
	s_xor_b64 s[10:11], exec, s[10:11]
	s_cbranch_execz .LBB388_1685
; %bb.1680:
	s_mov_b32 s12, 0x387fffff
	v_cmp_lt_u32_e32 vcc, s12, v1
                                        ; implicit-def: $vgpr3
	s_and_saveexec_b64 s[12:13], vcc
	s_xor_b64 s[12:13], exec, s[12:13]
; %bb.1681:
	v_bfe_u32 v3, v1, 21, 1
	s_mov_b32 s14, 0x80fffff
	v_add3_u32 v1, v1, v3, s14
	v_lshrrev_b32_e32 v3, 21, v1
                                        ; implicit-def: $vgpr1
; %bb.1682:
	s_andn2_saveexec_b64 s[12:13], s[12:13]
; %bb.1683:
	v_add_f32_e32 v3, 0x43000000, v1
; %bb.1684:
	s_or_b64 exec, exec, s[12:13]
                                        ; implicit-def: $vgpr1
.LBB388_1685:
	s_andn2_saveexec_b64 s[10:11], s[10:11]
	s_cbranch_execz .LBB388_1687
; %bb.1686:
	s_mov_b32 s12, 0x7f800000
	v_mov_b32_e32 v3, 0x7c
	s_waitcnt vmcnt(0)
	v_mov_b32_e32 v8, 0x7f
	v_cmp_lt_u32_e32 vcc, s12, v1
	v_cndmask_b32_e32 v3, v3, v8, vcc
.LBB388_1687:
	s_or_b64 exec, exec, s[10:11]
	global_store_byte v[5:6], v3, off
.LBB388_1688:
	s_mov_b64 s[10:11], 0
	s_mov_b64 s[12:13], -1
.LBB388_1689:
	s_andn2_b64 vcc, exec, s[10:11]
	s_mov_b64 s[10:11], 0
	s_cbranch_vccnz .LBB388_1696
; %bb.1690:
	s_cmp_gt_i32 s20, 14
	s_mov_b64 s[14:15], -1
	s_cbranch_scc0 .LBB388_1694
; %bb.1691:
	s_cmp_eq_u32 s20, 15
	s_mov_b64 s[0:1], -1
	s_cbranch_scc0 .LBB388_1693
; %bb.1692:
	v_cndmask_b32_e64 v1, 0, 1.0, s[6:7]
	v_bfe_u32 v3, v1, 16, 1
	s_movk_i32 s0, 0x7fff
	v_add3_u32 v1, v1, v3, s0
	global_store_short_d16_hi v[5:6], v1, off
	s_mov_b64 s[0:1], 0
	s_mov_b64 s[12:13], -1
.LBB388_1693:
	s_mov_b64 s[14:15], 0
.LBB388_1694:
	s_and_b64 vcc, exec, s[14:15]
	s_cbranch_vccz .LBB388_1696
; %bb.1695:
	s_cmp_lg_u32 s20, 11
	s_mov_b64 s[10:11], -1
	s_cselect_b64 s[0:1], -1, 0
.LBB388_1696:
	s_and_b64 vcc, exec, s[0:1]
	s_cbranch_vccnz .LBB388_2104
; %bb.1697:
	s_andn2_b64 vcc, exec, s[10:11]
	s_cbranch_vccnz .LBB388_1699
.LBB388_1698:
	v_cndmask_b32_e64 v1, 0, 1, s[6:7]
	s_mov_b64 s[12:13], -1
	global_store_byte v[5:6], v1, off
.LBB388_1699:
	s_mov_b64 s[0:1], 0
	s_branch .LBB388_1701
.LBB388_1700:
	s_mov_b64 s[0:1], -1
	s_mov_b64 s[12:13], 0
.LBB388_1701:
	s_and_b64 vcc, exec, s[0:1]
	s_cbranch_vccz .LBB388_1740
; %bb.1702:
	s_and_b32 s10, 0xffff, s18
	s_cmp_lt_i32 s10, 5
	s_mov_b64 s[0:1], -1
	s_cbranch_scc1 .LBB388_1723
; %bb.1703:
	s_cmp_lt_i32 s10, 8
	s_cbranch_scc1 .LBB388_1713
; %bb.1704:
	s_cmp_lt_i32 s10, 9
	s_cbranch_scc1 .LBB388_1710
; %bb.1705:
	s_cmp_gt_i32 s10, 9
	s_cbranch_scc0 .LBB388_1707
; %bb.1706:
	v_cndmask_b32_e64 v1, 0, 1, s[6:7]
	s_waitcnt vmcnt(0)
	v_cvt_f64_u32_e32 v[12:13], v1
	v_mov_b32_e32 v14, 0
	v_mov_b32_e32 v15, v14
	s_mov_b64 s[0:1], 0
	global_store_dwordx4 v[5:6], v[12:15], off
.LBB388_1707:
	s_andn2_b64 vcc, exec, s[0:1]
	s_cbranch_vccnz .LBB388_1709
; %bb.1708:
	s_waitcnt vmcnt(0)
	v_cndmask_b32_e64 v12, 0, 1.0, s[6:7]
	v_mov_b32_e32 v13, 0
	global_store_dwordx2 v[5:6], v[12:13], off
.LBB388_1709:
	s_mov_b64 s[0:1], 0
.LBB388_1710:
	s_andn2_b64 vcc, exec, s[0:1]
	s_cbranch_vccnz .LBB388_1712
; %bb.1711:
	v_cndmask_b32_e64 v1, 0, 1.0, s[6:7]
	v_cvt_f16_f32_e32 v1, v1
	global_store_dword v[5:6], v1, off
.LBB388_1712:
	s_mov_b64 s[0:1], 0
.LBB388_1713:
	s_andn2_b64 vcc, exec, s[0:1]
	s_cbranch_vccnz .LBB388_1722
; %bb.1714:
	s_cmp_lt_i32 s10, 6
	s_mov_b64 s[0:1], -1
	s_cbranch_scc1 .LBB388_1720
; %bb.1715:
	s_cmp_gt_i32 s10, 6
	s_cbranch_scc0 .LBB388_1717
; %bb.1716:
	v_cndmask_b32_e64 v1, 0, 1, s[6:7]
	s_waitcnt vmcnt(0)
	v_cvt_f64_u32_e32 v[12:13], v1
	s_mov_b64 s[0:1], 0
	global_store_dwordx2 v[5:6], v[12:13], off
.LBB388_1717:
	s_andn2_b64 vcc, exec, s[0:1]
	s_cbranch_vccnz .LBB388_1719
; %bb.1718:
	v_cndmask_b32_e64 v1, 0, 1.0, s[6:7]
	global_store_dword v[5:6], v1, off
.LBB388_1719:
	s_mov_b64 s[0:1], 0
.LBB388_1720:
	s_andn2_b64 vcc, exec, s[0:1]
	s_cbranch_vccnz .LBB388_1722
; %bb.1721:
	v_cndmask_b32_e64 v1, 0, 1.0, s[6:7]
	v_cvt_f16_f32_e32 v1, v1
	global_store_short v[5:6], v1, off
.LBB388_1722:
	s_mov_b64 s[0:1], 0
.LBB388_1723:
	s_andn2_b64 vcc, exec, s[0:1]
	s_cbranch_vccnz .LBB388_1739
; %bb.1724:
	s_cmp_lt_i32 s10, 2
	s_mov_b64 s[0:1], -1
	s_cbranch_scc1 .LBB388_1734
; %bb.1725:
	s_cmp_lt_i32 s10, 3
	s_cbranch_scc1 .LBB388_1731
; %bb.1726:
	s_cmp_gt_i32 s10, 3
	s_cbranch_scc0 .LBB388_1728
; %bb.1727:
	s_mov_b32 s0, 0
	s_waitcnt vmcnt(0)
	v_cndmask_b32_e64 v12, 0, 1, s[6:7]
	v_mov_b32_e32 v13, s0
	global_store_dwordx2 v[5:6], v[12:13], off
	s_mov_b64 s[0:1], 0
.LBB388_1728:
	s_andn2_b64 vcc, exec, s[0:1]
	s_cbranch_vccnz .LBB388_1730
; %bb.1729:
	v_cndmask_b32_e64 v1, 0, 1, s[6:7]
	global_store_dword v[5:6], v1, off
.LBB388_1730:
	s_mov_b64 s[0:1], 0
.LBB388_1731:
	s_andn2_b64 vcc, exec, s[0:1]
	s_cbranch_vccnz .LBB388_1733
; %bb.1732:
	v_cndmask_b32_e64 v1, 0, 1, s[6:7]
	global_store_short v[5:6], v1, off
.LBB388_1733:
	s_mov_b64 s[0:1], 0
.LBB388_1734:
	s_andn2_b64 vcc, exec, s[0:1]
	s_cbranch_vccnz .LBB388_1739
; %bb.1735:
	s_mov_b64 s[0:1], -1
	s_cmp_gt_i32 s10, 0
	v_cndmask_b32_e64 v1, 0, 1, s[6:7]
	s_cbranch_scc0 .LBB388_1737
; %bb.1736:
	global_store_byte v[5:6], v1, off
	s_mov_b64 s[0:1], 0
.LBB388_1737:
	s_andn2_b64 vcc, exec, s[0:1]
	s_cbranch_vccnz .LBB388_1739
; %bb.1738:
	global_store_byte v[5:6], v1, off
.LBB388_1739:
	s_mov_b64 s[12:13], -1
.LBB388_1740:
	s_andn2_b64 vcc, exec, s[12:13]
	s_cbranch_vccnz .LBB388_2055
; %bb.1741:
	s_waitcnt vmcnt(0)
	v_cmp_ne_u16_sdwa s[0:1], s19, v11 src0_sel:DWORD src1_sel:BYTE_0
	s_xor_b64 s[6:7], s[4:5], s[0:1]
	v_mov_b32_e32 v1, s9
	s_and_b32 s20, 0xffff, s18
	v_add_co_u32_e32 v3, vcc, s8, v4
	s_cmp_lt_i32 s20, 11
	v_addc_co_u32_e32 v4, vcc, 0, v1, vcc
	s_cbranch_scc1 .LBB388_1819
; %bb.1742:
	s_mov_b64 s[14:15], -1
	s_mov_b64 s[10:11], 0
	s_cmp_gt_i32 s20, 25
	s_mov_b64 s[12:13], 0
	s_mov_b64 s[0:1], 0
	s_cbranch_scc0 .LBB388_1775
; %bb.1743:
	s_cmp_gt_i32 s20, 28
	s_cbranch_scc0 .LBB388_1758
; %bb.1744:
	s_cmp_gt_i32 s20, 43
	s_cbranch_scc0 .LBB388_1754
; %bb.1745:
	s_cmp_gt_i32 s20, 45
	s_cbranch_scc0 .LBB388_1748
; %bb.1746:
	s_mov_b64 s[0:1], -1
	s_mov_b64 s[14:15], 0
	s_cmp_eq_u32 s20, 46
	s_cbranch_scc0 .LBB388_1748
; %bb.1747:
	v_cndmask_b32_e64 v1, 0, 1.0, s[6:7]
	v_bfe_u32 v5, v1, 16, 1
	s_movk_i32 s0, 0x7fff
	v_add3_u32 v1, v1, v5, s0
	v_lshrrev_b32_e32 v1, 16, v1
	global_store_dword v[3:4], v1, off
	s_mov_b64 s[0:1], 0
	s_mov_b64 s[12:13], -1
.LBB388_1748:
	s_and_b64 vcc, exec, s[14:15]
	s_cbranch_vccz .LBB388_1753
; %bb.1749:
	s_cmp_eq_u32 s20, 44
	s_mov_b64 s[0:1], -1
	s_cbranch_scc0 .LBB388_1753
; %bb.1750:
	v_cndmask_b32_e64 v5, 0, 1.0, s[6:7]
	v_lshrrev_b32_e32 v1, 23, v5
	s_movk_i32 s0, 0xff
	v_cmp_ne_u32_e32 vcc, s0, v1
	v_mov_b32_e32 v6, 0xff
	s_and_saveexec_b64 s[12:13], vcc
; %bb.1751:
	s_mov_b32 s0, 0x3fffff
	v_and_b32_e32 v6, 0x400000, v5
	v_and_or_b32 v5, v5, s0, v1
	v_cmp_ne_u32_e32 vcc, 0, v6
	v_cmp_ne_u32_e64 s[0:1], 0, v5
	s_and_b64 s[0:1], vcc, s[0:1]
	v_cndmask_b32_e64 v5, 0, 1, s[0:1]
	v_add_u32_e32 v6, v1, v5
; %bb.1752:
	s_or_b64 exec, exec, s[12:13]
	s_mov_b64 s[0:1], 0
	s_mov_b64 s[12:13], -1
	global_store_byte v[3:4], v6, off
.LBB388_1753:
	s_mov_b64 s[14:15], 0
.LBB388_1754:
	s_and_b64 vcc, exec, s[14:15]
	s_cbranch_vccz .LBB388_1757
; %bb.1755:
	s_cmp_eq_u32 s20, 29
	s_mov_b64 s[0:1], -1
	s_cbranch_scc0 .LBB388_1757
; %bb.1756:
	s_mov_b32 s0, 0
	v_cndmask_b32_e64 v5, 0, 1, s[6:7]
	v_mov_b32_e32 v6, s0
	global_store_dwordx2 v[3:4], v[5:6], off
	s_mov_b64 s[0:1], 0
	s_mov_b64 s[12:13], -1
.LBB388_1757:
	s_mov_b64 s[14:15], 0
.LBB388_1758:
	s_and_b64 vcc, exec, s[14:15]
	s_cbranch_vccz .LBB388_1774
; %bb.1759:
	s_cmp_lt_i32 s20, 27
	s_mov_b64 s[12:13], -1
	s_cbranch_scc1 .LBB388_1765
; %bb.1760:
	s_cmp_gt_i32 s20, 27
	s_cbranch_scc0 .LBB388_1762
; %bb.1761:
	v_cndmask_b32_e64 v1, 0, 1, s[6:7]
	s_mov_b64 s[12:13], 0
	global_store_dword v[3:4], v1, off
.LBB388_1762:
	s_andn2_b64 vcc, exec, s[12:13]
	s_cbranch_vccnz .LBB388_1764
; %bb.1763:
	v_cndmask_b32_e64 v1, 0, 1, s[6:7]
	global_store_short v[3:4], v1, off
.LBB388_1764:
	s_mov_b64 s[12:13], 0
.LBB388_1765:
	s_andn2_b64 vcc, exec, s[12:13]
	s_cbranch_vccnz .LBB388_1773
; %bb.1766:
	v_cndmask_b32_e64 v5, 0, 1.0, s[6:7]
	s_mov_b32 s12, 0x43800000
	v_cmp_gt_u32_e32 vcc, s12, v5
	v_mov_b32_e32 v6, 0x80
	s_and_saveexec_b64 s[12:13], vcc
	s_cbranch_execz .LBB388_1772
; %bb.1767:
	s_mov_b32 s14, 0x3bffffff
	v_cmp_lt_u32_e32 vcc, s14, v5
	s_mov_b64 s[14:15], 0
                                        ; implicit-def: $vgpr1
	s_and_saveexec_b64 s[16:17], vcc
	s_xor_b64 s[16:17], exec, s[16:17]
	s_cbranch_execz .LBB388_2107
; %bb.1768:
	v_bfe_u32 v1, v5, 20, 1
	s_mov_b32 s21, 0x487ffff
	v_add3_u32 v1, v5, v1, s21
	s_mov_b64 s[14:15], exec
	v_lshrrev_b32_e32 v1, 20, v1
                                        ; implicit-def: $vgpr5
	s_andn2_saveexec_b64 s[16:17], s[16:17]
	s_cbranch_execnz .LBB388_2108
.LBB388_1769:
	s_or_b64 exec, exec, s[16:17]
	v_mov_b32_e32 v6, 0
	s_and_saveexec_b64 s[16:17], s[14:15]
.LBB388_1770:
	v_mov_b32_e32 v6, v1
.LBB388_1771:
	s_or_b64 exec, exec, s[16:17]
.LBB388_1772:
	s_or_b64 exec, exec, s[12:13]
	global_store_byte v[3:4], v6, off
.LBB388_1773:
	s_mov_b64 s[12:13], -1
.LBB388_1774:
	s_mov_b64 s[14:15], 0
.LBB388_1775:
	s_and_b64 vcc, exec, s[14:15]
	s_cbranch_vccz .LBB388_1815
; %bb.1776:
	s_cmp_gt_i32 s20, 22
	s_mov_b64 s[10:11], -1
	s_cbranch_scc0 .LBB388_1808
; %bb.1777:
	s_cmp_lt_i32 s20, 24
	s_cbranch_scc1 .LBB388_1797
; %bb.1778:
	s_cmp_gt_i32 s20, 24
	s_cbranch_scc0 .LBB388_1786
; %bb.1779:
	v_cndmask_b32_e64 v5, 0, 1.0, s[6:7]
	s_mov_b32 s10, 0x47800000
	v_cmp_gt_u32_e32 vcc, s10, v5
	v_mov_b32_e32 v6, 0x80
	s_and_saveexec_b64 s[10:11], vcc
	s_cbranch_execz .LBB388_1785
; %bb.1780:
	s_mov_b32 s12, 0x37ffffff
	v_cmp_lt_u32_e32 vcc, s12, v5
	s_mov_b64 s[12:13], 0
                                        ; implicit-def: $vgpr1
	s_and_saveexec_b64 s[14:15], vcc
	s_xor_b64 s[14:15], exec, s[14:15]
	s_cbranch_execz .LBB388_2110
; %bb.1781:
	v_bfe_u32 v1, v5, 21, 1
	s_mov_b32 s16, 0x88fffff
	v_add3_u32 v1, v5, v1, s16
	s_mov_b64 s[12:13], exec
	v_lshrrev_b32_e32 v1, 21, v1
                                        ; implicit-def: $vgpr5
	s_andn2_saveexec_b64 s[14:15], s[14:15]
	s_cbranch_execnz .LBB388_2111
.LBB388_1782:
	s_or_b64 exec, exec, s[14:15]
	v_mov_b32_e32 v6, 0
	s_and_saveexec_b64 s[14:15], s[12:13]
.LBB388_1783:
	v_mov_b32_e32 v6, v1
.LBB388_1784:
	s_or_b64 exec, exec, s[14:15]
.LBB388_1785:
	s_or_b64 exec, exec, s[10:11]
	s_mov_b64 s[10:11], 0
	global_store_byte v[3:4], v6, off
.LBB388_1786:
	s_and_b64 vcc, exec, s[10:11]
	s_cbranch_vccz .LBB388_1796
; %bb.1787:
	v_cndmask_b32_e64 v1, 0, 1.0, s[6:7]
	s_mov_b32 s10, 0x43f00000
	v_cmp_gt_u32_e32 vcc, s10, v1
                                        ; implicit-def: $vgpr5
	s_and_saveexec_b64 s[10:11], vcc
	s_xor_b64 s[10:11], exec, s[10:11]
	s_cbranch_execz .LBB388_1793
; %bb.1788:
	s_mov_b32 s12, 0x3c7fffff
	v_cmp_lt_u32_e32 vcc, s12, v1
                                        ; implicit-def: $vgpr5
	s_and_saveexec_b64 s[12:13], vcc
	s_xor_b64 s[12:13], exec, s[12:13]
; %bb.1789:
	v_bfe_u32 v5, v1, 20, 1
	s_mov_b32 s14, 0x407ffff
	v_add3_u32 v1, v1, v5, s14
	v_lshrrev_b32_e32 v5, 20, v1
	v_and_b32_e32 v1, 0xff00000, v1
	s_mov_b32 s14, 0x7f00000
	v_mov_b32_e32 v6, 0x7e
	v_cmp_ne_u32_e32 vcc, s14, v1
	v_cndmask_b32_e32 v5, v6, v5, vcc
                                        ; implicit-def: $vgpr1
; %bb.1790:
	s_andn2_saveexec_b64 s[12:13], s[12:13]
; %bb.1791:
	v_add_f32_e32 v5, 0x46800000, v1
; %bb.1792:
	s_or_b64 exec, exec, s[12:13]
                                        ; implicit-def: $vgpr1
.LBB388_1793:
	s_andn2_saveexec_b64 s[10:11], s[10:11]
; %bb.1794:
	s_mov_b32 s12, 0x7f800000
	v_mov_b32_e32 v5, 0x7e
	v_mov_b32_e32 v6, 0x7f
	v_cmp_lt_u32_e32 vcc, s12, v1
	v_cndmask_b32_e32 v5, v5, v6, vcc
; %bb.1795:
	s_or_b64 exec, exec, s[10:11]
	global_store_byte v[3:4], v5, off
.LBB388_1796:
	s_mov_b64 s[10:11], 0
.LBB388_1797:
	s_andn2_b64 vcc, exec, s[10:11]
	s_cbranch_vccnz .LBB388_1807
; %bb.1798:
	v_cndmask_b32_e64 v1, 0, 1.0, s[6:7]
	s_mov_b32 s10, 0x47800000
	v_cmp_gt_u32_e32 vcc, s10, v1
                                        ; implicit-def: $vgpr5
	s_and_saveexec_b64 s[10:11], vcc
	s_xor_b64 s[10:11], exec, s[10:11]
	s_cbranch_execz .LBB388_1804
; %bb.1799:
	s_mov_b32 s12, 0x387fffff
	v_cmp_lt_u32_e32 vcc, s12, v1
                                        ; implicit-def: $vgpr5
	s_and_saveexec_b64 s[12:13], vcc
	s_xor_b64 s[12:13], exec, s[12:13]
; %bb.1800:
	v_bfe_u32 v5, v1, 21, 1
	s_mov_b32 s14, 0x80fffff
	v_add3_u32 v1, v1, v5, s14
	v_lshrrev_b32_e32 v5, 21, v1
                                        ; implicit-def: $vgpr1
; %bb.1801:
	s_andn2_saveexec_b64 s[12:13], s[12:13]
; %bb.1802:
	v_add_f32_e32 v5, 0x43000000, v1
; %bb.1803:
	s_or_b64 exec, exec, s[12:13]
                                        ; implicit-def: $vgpr1
.LBB388_1804:
	s_andn2_saveexec_b64 s[10:11], s[10:11]
; %bb.1805:
	s_mov_b32 s12, 0x7f800000
	v_mov_b32_e32 v5, 0x7c
	v_mov_b32_e32 v6, 0x7f
	v_cmp_lt_u32_e32 vcc, s12, v1
	v_cndmask_b32_e32 v5, v5, v6, vcc
; %bb.1806:
	s_or_b64 exec, exec, s[10:11]
	global_store_byte v[3:4], v5, off
.LBB388_1807:
	s_mov_b64 s[10:11], 0
	s_mov_b64 s[12:13], -1
.LBB388_1808:
	s_andn2_b64 vcc, exec, s[10:11]
	s_mov_b64 s[10:11], 0
	s_cbranch_vccnz .LBB388_1815
; %bb.1809:
	s_cmp_gt_i32 s20, 14
	s_mov_b64 s[14:15], -1
	s_cbranch_scc0 .LBB388_1813
; %bb.1810:
	s_cmp_eq_u32 s20, 15
	s_mov_b64 s[0:1], -1
	s_cbranch_scc0 .LBB388_1812
; %bb.1811:
	v_cndmask_b32_e64 v1, 0, 1.0, s[6:7]
	v_bfe_u32 v5, v1, 16, 1
	s_movk_i32 s0, 0x7fff
	v_add3_u32 v1, v1, v5, s0
	global_store_short_d16_hi v[3:4], v1, off
	s_mov_b64 s[0:1], 0
	s_mov_b64 s[12:13], -1
.LBB388_1812:
	s_mov_b64 s[14:15], 0
.LBB388_1813:
	s_and_b64 vcc, exec, s[14:15]
	s_cbranch_vccz .LBB388_1815
; %bb.1814:
	s_cmp_lg_u32 s20, 11
	s_mov_b64 s[10:11], -1
	s_cselect_b64 s[0:1], -1, 0
.LBB388_1815:
	s_and_b64 vcc, exec, s[0:1]
	s_cbranch_vccnz .LBB388_2109
; %bb.1816:
	s_andn2_b64 vcc, exec, s[10:11]
	s_cbranch_vccnz .LBB388_1818
.LBB388_1817:
	v_cndmask_b32_e64 v1, 0, 1, s[6:7]
	s_mov_b64 s[12:13], -1
	global_store_byte v[3:4], v1, off
.LBB388_1818:
	s_mov_b64 s[0:1], 0
	s_branch .LBB388_1820
.LBB388_1819:
	s_mov_b64 s[0:1], -1
	s_mov_b64 s[12:13], 0
.LBB388_1820:
	s_and_b64 vcc, exec, s[0:1]
	s_cbranch_vccz .LBB388_1859
; %bb.1821:
	s_cmp_lt_i32 s20, 5
	s_mov_b64 s[0:1], -1
	s_cbranch_scc1 .LBB388_1842
; %bb.1822:
	s_cmp_lt_i32 s20, 8
	s_cbranch_scc1 .LBB388_1832
; %bb.1823:
	s_cmp_lt_i32 s20, 9
	s_cbranch_scc1 .LBB388_1829
; %bb.1824:
	s_cmp_gt_i32 s20, 9
	s_cbranch_scc0 .LBB388_1826
; %bb.1825:
	v_cndmask_b32_e64 v1, 0, 1, s[6:7]
	v_cvt_f64_u32_e32 v[10:11], v1
	v_mov_b32_e32 v12, 0
	v_mov_b32_e32 v13, v12
	s_mov_b64 s[0:1], 0
	global_store_dwordx4 v[3:4], v[10:13], off
.LBB388_1826:
	s_andn2_b64 vcc, exec, s[0:1]
	s_cbranch_vccnz .LBB388_1828
; %bb.1827:
	v_cndmask_b32_e64 v5, 0, 1.0, s[6:7]
	v_mov_b32_e32 v6, 0
	global_store_dwordx2 v[3:4], v[5:6], off
.LBB388_1828:
	s_mov_b64 s[0:1], 0
.LBB388_1829:
	s_andn2_b64 vcc, exec, s[0:1]
	s_cbranch_vccnz .LBB388_1831
; %bb.1830:
	v_cndmask_b32_e64 v1, 0, 1.0, s[6:7]
	v_cvt_f16_f32_e32 v1, v1
	global_store_dword v[3:4], v1, off
.LBB388_1831:
	s_mov_b64 s[0:1], 0
.LBB388_1832:
	s_andn2_b64 vcc, exec, s[0:1]
	s_cbranch_vccnz .LBB388_1841
; %bb.1833:
	s_cmp_lt_i32 s20, 6
	s_mov_b64 s[0:1], -1
	s_cbranch_scc1 .LBB388_1839
; %bb.1834:
	s_cmp_gt_i32 s20, 6
	s_cbranch_scc0 .LBB388_1836
; %bb.1835:
	v_cndmask_b32_e64 v1, 0, 1, s[6:7]
	v_cvt_f64_u32_e32 v[5:6], v1
	s_mov_b64 s[0:1], 0
	global_store_dwordx2 v[3:4], v[5:6], off
.LBB388_1836:
	s_andn2_b64 vcc, exec, s[0:1]
	s_cbranch_vccnz .LBB388_1838
; %bb.1837:
	v_cndmask_b32_e64 v1, 0, 1.0, s[6:7]
	global_store_dword v[3:4], v1, off
.LBB388_1838:
	s_mov_b64 s[0:1], 0
.LBB388_1839:
	s_andn2_b64 vcc, exec, s[0:1]
	s_cbranch_vccnz .LBB388_1841
; %bb.1840:
	v_cndmask_b32_e64 v1, 0, 1.0, s[6:7]
	v_cvt_f16_f32_e32 v1, v1
	global_store_short v[3:4], v1, off
.LBB388_1841:
	s_mov_b64 s[0:1], 0
.LBB388_1842:
	s_andn2_b64 vcc, exec, s[0:1]
	s_cbranch_vccnz .LBB388_1858
; %bb.1843:
	s_cmp_lt_i32 s20, 2
	s_mov_b64 s[0:1], -1
	s_cbranch_scc1 .LBB388_1853
; %bb.1844:
	s_cmp_lt_i32 s20, 3
	s_cbranch_scc1 .LBB388_1850
; %bb.1845:
	s_cmp_gt_i32 s20, 3
	s_cbranch_scc0 .LBB388_1847
; %bb.1846:
	s_mov_b32 s0, 0
	v_cndmask_b32_e64 v5, 0, 1, s[6:7]
	v_mov_b32_e32 v6, s0
	global_store_dwordx2 v[3:4], v[5:6], off
	s_mov_b64 s[0:1], 0
.LBB388_1847:
	s_andn2_b64 vcc, exec, s[0:1]
	s_cbranch_vccnz .LBB388_1849
; %bb.1848:
	v_cndmask_b32_e64 v1, 0, 1, s[6:7]
	global_store_dword v[3:4], v1, off
.LBB388_1849:
	s_mov_b64 s[0:1], 0
.LBB388_1850:
	s_andn2_b64 vcc, exec, s[0:1]
	s_cbranch_vccnz .LBB388_1852
; %bb.1851:
	v_cndmask_b32_e64 v1, 0, 1, s[6:7]
	global_store_short v[3:4], v1, off
.LBB388_1852:
	s_mov_b64 s[0:1], 0
.LBB388_1853:
	s_andn2_b64 vcc, exec, s[0:1]
	s_cbranch_vccnz .LBB388_1858
; %bb.1854:
	s_mov_b64 s[0:1], -1
	s_cmp_gt_i32 s20, 0
	v_cndmask_b32_e64 v1, 0, 1, s[6:7]
	s_cbranch_scc0 .LBB388_1856
; %bb.1855:
	global_store_byte v[3:4], v1, off
	s_mov_b64 s[0:1], 0
.LBB388_1856:
	s_andn2_b64 vcc, exec, s[0:1]
	s_cbranch_vccnz .LBB388_1858
; %bb.1857:
	global_store_byte v[3:4], v1, off
.LBB388_1858:
	s_mov_b64 s[12:13], -1
.LBB388_1859:
	s_andn2_b64 vcc, exec, s[12:13]
	s_cbranch_vccnz .LBB388_2055
; %bb.1860:
	v_cmp_ne_u16_sdwa s[0:1], s19, v9 src0_sel:DWORD src1_sel:BYTE_0
	s_xor_b64 s[6:7], s[4:5], s[0:1]
	v_mov_b32_e32 v3, s9
	v_add_co_u32_e32 v1, vcc, s8, v2
	s_cmp_lt_i32 s20, 11
	v_addc_co_u32_e32 v2, vcc, 0, v3, vcc
	s_cbranch_scc1 .LBB388_1938
; %bb.1861:
	s_mov_b64 s[14:15], -1
	s_mov_b64 s[10:11], 0
	s_cmp_gt_i32 s20, 25
	s_mov_b64 s[12:13], 0
	s_mov_b64 s[0:1], 0
	s_cbranch_scc0 .LBB388_1894
; %bb.1862:
	s_cmp_gt_i32 s20, 28
	s_cbranch_scc0 .LBB388_1877
; %bb.1863:
	s_cmp_gt_i32 s20, 43
	;; [unrolled: 3-line block ×3, first 2 shown]
	s_cbranch_scc0 .LBB388_1867
; %bb.1865:
	s_mov_b64 s[0:1], -1
	s_mov_b64 s[14:15], 0
	s_cmp_eq_u32 s20, 46
	s_cbranch_scc0 .LBB388_1867
; %bb.1866:
	v_cndmask_b32_e64 v3, 0, 1.0, s[6:7]
	v_bfe_u32 v4, v3, 16, 1
	s_movk_i32 s0, 0x7fff
	v_add3_u32 v3, v3, v4, s0
	v_lshrrev_b32_e32 v3, 16, v3
	global_store_dword v[1:2], v3, off
	s_mov_b64 s[0:1], 0
	s_mov_b64 s[12:13], -1
.LBB388_1867:
	s_and_b64 vcc, exec, s[14:15]
	s_cbranch_vccz .LBB388_1872
; %bb.1868:
	s_cmp_eq_u32 s20, 44
	s_mov_b64 s[0:1], -1
	s_cbranch_scc0 .LBB388_1872
; %bb.1869:
	v_cndmask_b32_e64 v4, 0, 1.0, s[6:7]
	v_lshrrev_b32_e32 v3, 23, v4
	s_movk_i32 s0, 0xff
	v_cmp_ne_u32_e32 vcc, s0, v3
	v_mov_b32_e32 v5, 0xff
	s_and_saveexec_b64 s[12:13], vcc
; %bb.1870:
	s_mov_b32 s0, 0x3fffff
	v_and_b32_e32 v5, 0x400000, v4
	v_and_or_b32 v4, v4, s0, v3
	v_cmp_ne_u32_e32 vcc, 0, v5
	v_cmp_ne_u32_e64 s[0:1], 0, v4
	s_and_b64 s[0:1], vcc, s[0:1]
	v_cndmask_b32_e64 v4, 0, 1, s[0:1]
	v_add_u32_e32 v5, v3, v4
; %bb.1871:
	s_or_b64 exec, exec, s[12:13]
	s_mov_b64 s[0:1], 0
	s_mov_b64 s[12:13], -1
	global_store_byte v[1:2], v5, off
.LBB388_1872:
	s_mov_b64 s[14:15], 0
.LBB388_1873:
	s_and_b64 vcc, exec, s[14:15]
	s_cbranch_vccz .LBB388_1876
; %bb.1874:
	s_cmp_eq_u32 s20, 29
	s_mov_b64 s[0:1], -1
	s_cbranch_scc0 .LBB388_1876
; %bb.1875:
	s_mov_b32 s0, 0
	v_cndmask_b32_e64 v3, 0, 1, s[6:7]
	v_mov_b32_e32 v4, s0
	global_store_dwordx2 v[1:2], v[3:4], off
	s_mov_b64 s[0:1], 0
	s_mov_b64 s[12:13], -1
.LBB388_1876:
	s_mov_b64 s[14:15], 0
.LBB388_1877:
	s_and_b64 vcc, exec, s[14:15]
	s_cbranch_vccz .LBB388_1893
; %bb.1878:
	s_cmp_lt_i32 s20, 27
	s_mov_b64 s[12:13], -1
	s_cbranch_scc1 .LBB388_1884
; %bb.1879:
	s_cmp_gt_i32 s20, 27
	s_cbranch_scc0 .LBB388_1881
; %bb.1880:
	v_cndmask_b32_e64 v3, 0, 1, s[6:7]
	s_mov_b64 s[12:13], 0
	global_store_dword v[1:2], v3, off
.LBB388_1881:
	s_andn2_b64 vcc, exec, s[12:13]
	s_cbranch_vccnz .LBB388_1883
; %bb.1882:
	v_cndmask_b32_e64 v3, 0, 1, s[6:7]
	global_store_short v[1:2], v3, off
.LBB388_1883:
	s_mov_b64 s[12:13], 0
.LBB388_1884:
	s_andn2_b64 vcc, exec, s[12:13]
	s_cbranch_vccnz .LBB388_1892
; %bb.1885:
	v_cndmask_b32_e64 v4, 0, 1.0, s[6:7]
	s_mov_b32 s12, 0x43800000
	v_cmp_gt_u32_e32 vcc, s12, v4
	v_mov_b32_e32 v5, 0x80
	s_and_saveexec_b64 s[12:13], vcc
	s_cbranch_execz .LBB388_1891
; %bb.1886:
	s_mov_b32 s14, 0x3bffffff
	v_cmp_lt_u32_e32 vcc, s14, v4
	s_mov_b64 s[14:15], 0
                                        ; implicit-def: $vgpr3
	s_and_saveexec_b64 s[16:17], vcc
	s_xor_b64 s[16:17], exec, s[16:17]
	s_cbranch_execz .LBB388_2112
; %bb.1887:
	v_bfe_u32 v3, v4, 20, 1
	s_mov_b32 s21, 0x487ffff
	v_add3_u32 v3, v4, v3, s21
	s_mov_b64 s[14:15], exec
	v_lshrrev_b32_e32 v3, 20, v3
                                        ; implicit-def: $vgpr4
	s_andn2_saveexec_b64 s[16:17], s[16:17]
	s_cbranch_execnz .LBB388_2113
.LBB388_1888:
	s_or_b64 exec, exec, s[16:17]
	v_mov_b32_e32 v5, 0
	s_and_saveexec_b64 s[16:17], s[14:15]
.LBB388_1889:
	v_mov_b32_e32 v5, v3
.LBB388_1890:
	s_or_b64 exec, exec, s[16:17]
.LBB388_1891:
	s_or_b64 exec, exec, s[12:13]
	global_store_byte v[1:2], v5, off
.LBB388_1892:
	s_mov_b64 s[12:13], -1
.LBB388_1893:
	s_mov_b64 s[14:15], 0
.LBB388_1894:
	s_and_b64 vcc, exec, s[14:15]
	s_cbranch_vccz .LBB388_1934
; %bb.1895:
	s_cmp_gt_i32 s20, 22
	s_mov_b64 s[10:11], -1
	s_cbranch_scc0 .LBB388_1927
; %bb.1896:
	s_cmp_lt_i32 s20, 24
	s_cbranch_scc1 .LBB388_1916
; %bb.1897:
	s_cmp_gt_i32 s20, 24
	s_cbranch_scc0 .LBB388_1905
; %bb.1898:
	v_cndmask_b32_e64 v4, 0, 1.0, s[6:7]
	s_mov_b32 s10, 0x47800000
	v_cmp_gt_u32_e32 vcc, s10, v4
	v_mov_b32_e32 v5, 0x80
	s_and_saveexec_b64 s[10:11], vcc
	s_cbranch_execz .LBB388_1904
; %bb.1899:
	s_mov_b32 s12, 0x37ffffff
	v_cmp_lt_u32_e32 vcc, s12, v4
	s_mov_b64 s[12:13], 0
                                        ; implicit-def: $vgpr3
	s_and_saveexec_b64 s[14:15], vcc
	s_xor_b64 s[14:15], exec, s[14:15]
	s_cbranch_execz .LBB388_2115
; %bb.1900:
	v_bfe_u32 v3, v4, 21, 1
	s_mov_b32 s16, 0x88fffff
	v_add3_u32 v3, v4, v3, s16
	s_mov_b64 s[12:13], exec
	v_lshrrev_b32_e32 v3, 21, v3
                                        ; implicit-def: $vgpr4
	s_andn2_saveexec_b64 s[14:15], s[14:15]
	s_cbranch_execnz .LBB388_2116
.LBB388_1901:
	s_or_b64 exec, exec, s[14:15]
	v_mov_b32_e32 v5, 0
	s_and_saveexec_b64 s[14:15], s[12:13]
.LBB388_1902:
	v_mov_b32_e32 v5, v3
.LBB388_1903:
	s_or_b64 exec, exec, s[14:15]
.LBB388_1904:
	s_or_b64 exec, exec, s[10:11]
	s_mov_b64 s[10:11], 0
	global_store_byte v[1:2], v5, off
.LBB388_1905:
	s_and_b64 vcc, exec, s[10:11]
	s_cbranch_vccz .LBB388_1915
; %bb.1906:
	v_cndmask_b32_e64 v3, 0, 1.0, s[6:7]
	s_mov_b32 s10, 0x43f00000
	v_cmp_gt_u32_e32 vcc, s10, v3
                                        ; implicit-def: $vgpr4
	s_and_saveexec_b64 s[10:11], vcc
	s_xor_b64 s[10:11], exec, s[10:11]
	s_cbranch_execz .LBB388_1912
; %bb.1907:
	s_mov_b32 s12, 0x3c7fffff
	v_cmp_lt_u32_e32 vcc, s12, v3
                                        ; implicit-def: $vgpr4
	s_and_saveexec_b64 s[12:13], vcc
	s_xor_b64 s[12:13], exec, s[12:13]
; %bb.1908:
	v_bfe_u32 v4, v3, 20, 1
	s_mov_b32 s14, 0x407ffff
	v_add3_u32 v3, v3, v4, s14
	v_lshrrev_b32_e32 v4, 20, v3
	v_and_b32_e32 v3, 0xff00000, v3
	s_mov_b32 s14, 0x7f00000
	v_mov_b32_e32 v5, 0x7e
	v_cmp_ne_u32_e32 vcc, s14, v3
	v_cndmask_b32_e32 v4, v5, v4, vcc
                                        ; implicit-def: $vgpr3
; %bb.1909:
	s_andn2_saveexec_b64 s[12:13], s[12:13]
; %bb.1910:
	v_add_f32_e32 v4, 0x46800000, v3
; %bb.1911:
	s_or_b64 exec, exec, s[12:13]
                                        ; implicit-def: $vgpr3
.LBB388_1912:
	s_andn2_saveexec_b64 s[10:11], s[10:11]
; %bb.1913:
	s_mov_b32 s12, 0x7f800000
	v_mov_b32_e32 v4, 0x7e
	v_mov_b32_e32 v5, 0x7f
	v_cmp_lt_u32_e32 vcc, s12, v3
	v_cndmask_b32_e32 v4, v4, v5, vcc
; %bb.1914:
	s_or_b64 exec, exec, s[10:11]
	global_store_byte v[1:2], v4, off
.LBB388_1915:
	s_mov_b64 s[10:11], 0
.LBB388_1916:
	s_andn2_b64 vcc, exec, s[10:11]
	s_cbranch_vccnz .LBB388_1926
; %bb.1917:
	v_cndmask_b32_e64 v3, 0, 1.0, s[6:7]
	s_mov_b32 s10, 0x47800000
	v_cmp_gt_u32_e32 vcc, s10, v3
                                        ; implicit-def: $vgpr4
	s_and_saveexec_b64 s[10:11], vcc
	s_xor_b64 s[10:11], exec, s[10:11]
	s_cbranch_execz .LBB388_1923
; %bb.1918:
	s_mov_b32 s12, 0x387fffff
	v_cmp_lt_u32_e32 vcc, s12, v3
                                        ; implicit-def: $vgpr4
	s_and_saveexec_b64 s[12:13], vcc
	s_xor_b64 s[12:13], exec, s[12:13]
; %bb.1919:
	v_bfe_u32 v4, v3, 21, 1
	s_mov_b32 s14, 0x80fffff
	v_add3_u32 v3, v3, v4, s14
	v_lshrrev_b32_e32 v4, 21, v3
                                        ; implicit-def: $vgpr3
; %bb.1920:
	s_andn2_saveexec_b64 s[12:13], s[12:13]
; %bb.1921:
	v_add_f32_e32 v4, 0x43000000, v3
; %bb.1922:
	s_or_b64 exec, exec, s[12:13]
                                        ; implicit-def: $vgpr3
.LBB388_1923:
	s_andn2_saveexec_b64 s[10:11], s[10:11]
; %bb.1924:
	s_mov_b32 s12, 0x7f800000
	v_mov_b32_e32 v4, 0x7c
	v_mov_b32_e32 v5, 0x7f
	v_cmp_lt_u32_e32 vcc, s12, v3
	v_cndmask_b32_e32 v4, v4, v5, vcc
; %bb.1925:
	s_or_b64 exec, exec, s[10:11]
	global_store_byte v[1:2], v4, off
.LBB388_1926:
	s_mov_b64 s[10:11], 0
	s_mov_b64 s[12:13], -1
.LBB388_1927:
	s_andn2_b64 vcc, exec, s[10:11]
	s_mov_b64 s[10:11], 0
	s_cbranch_vccnz .LBB388_1934
; %bb.1928:
	s_cmp_gt_i32 s20, 14
	s_mov_b64 s[14:15], -1
	s_cbranch_scc0 .LBB388_1932
; %bb.1929:
	s_cmp_eq_u32 s20, 15
	s_mov_b64 s[0:1], -1
	s_cbranch_scc0 .LBB388_1931
; %bb.1930:
	v_cndmask_b32_e64 v3, 0, 1.0, s[6:7]
	v_bfe_u32 v4, v3, 16, 1
	s_movk_i32 s0, 0x7fff
	v_add3_u32 v3, v3, v4, s0
	global_store_short_d16_hi v[1:2], v3, off
	s_mov_b64 s[0:1], 0
	s_mov_b64 s[12:13], -1
.LBB388_1931:
	s_mov_b64 s[14:15], 0
.LBB388_1932:
	s_and_b64 vcc, exec, s[14:15]
	s_cbranch_vccz .LBB388_1934
; %bb.1933:
	s_cmp_lg_u32 s20, 11
	s_mov_b64 s[10:11], -1
	s_cselect_b64 s[0:1], -1, 0
.LBB388_1934:
	s_and_b64 vcc, exec, s[0:1]
	s_cbranch_vccnz .LBB388_2114
; %bb.1935:
	s_andn2_b64 vcc, exec, s[10:11]
	s_cbranch_vccnz .LBB388_1937
.LBB388_1936:
	v_cndmask_b32_e64 v3, 0, 1, s[6:7]
	s_mov_b64 s[12:13], -1
	global_store_byte v[1:2], v3, off
.LBB388_1937:
	s_mov_b64 s[0:1], 0
	s_branch .LBB388_1939
.LBB388_1938:
	s_mov_b64 s[0:1], -1
	s_mov_b64 s[12:13], 0
.LBB388_1939:
	s_and_b64 vcc, exec, s[0:1]
	s_cbranch_vccz .LBB388_1978
; %bb.1940:
	s_cmp_lt_i32 s20, 5
	s_mov_b64 s[0:1], -1
	s_cbranch_scc1 .LBB388_1961
; %bb.1941:
	s_cmp_lt_i32 s20, 8
	s_cbranch_scc1 .LBB388_1951
; %bb.1942:
	s_cmp_lt_i32 s20, 9
	s_cbranch_scc1 .LBB388_1948
; %bb.1943:
	s_cmp_gt_i32 s20, 9
	s_cbranch_scc0 .LBB388_1945
; %bb.1944:
	v_cndmask_b32_e64 v3, 0, 1, s[6:7]
	v_cvt_f64_u32_e32 v[3:4], v3
	v_mov_b32_e32 v5, 0
	v_mov_b32_e32 v6, v5
	s_mov_b64 s[0:1], 0
	global_store_dwordx4 v[1:2], v[3:6], off
.LBB388_1945:
	s_andn2_b64 vcc, exec, s[0:1]
	s_cbranch_vccnz .LBB388_1947
; %bb.1946:
	v_cndmask_b32_e64 v3, 0, 1.0, s[6:7]
	v_mov_b32_e32 v4, 0
	global_store_dwordx2 v[1:2], v[3:4], off
.LBB388_1947:
	s_mov_b64 s[0:1], 0
.LBB388_1948:
	s_andn2_b64 vcc, exec, s[0:1]
	s_cbranch_vccnz .LBB388_1950
; %bb.1949:
	v_cndmask_b32_e64 v3, 0, 1.0, s[6:7]
	v_cvt_f16_f32_e32 v3, v3
	global_store_dword v[1:2], v3, off
.LBB388_1950:
	s_mov_b64 s[0:1], 0
.LBB388_1951:
	s_andn2_b64 vcc, exec, s[0:1]
	s_cbranch_vccnz .LBB388_1960
; %bb.1952:
	s_cmp_lt_i32 s20, 6
	s_mov_b64 s[0:1], -1
	s_cbranch_scc1 .LBB388_1958
; %bb.1953:
	s_cmp_gt_i32 s20, 6
	s_cbranch_scc0 .LBB388_1955
; %bb.1954:
	v_cndmask_b32_e64 v3, 0, 1, s[6:7]
	v_cvt_f64_u32_e32 v[3:4], v3
	s_mov_b64 s[0:1], 0
	global_store_dwordx2 v[1:2], v[3:4], off
.LBB388_1955:
	s_andn2_b64 vcc, exec, s[0:1]
	s_cbranch_vccnz .LBB388_1957
; %bb.1956:
	v_cndmask_b32_e64 v3, 0, 1.0, s[6:7]
	global_store_dword v[1:2], v3, off
.LBB388_1957:
	s_mov_b64 s[0:1], 0
.LBB388_1958:
	s_andn2_b64 vcc, exec, s[0:1]
	s_cbranch_vccnz .LBB388_1960
; %bb.1959:
	v_cndmask_b32_e64 v3, 0, 1.0, s[6:7]
	v_cvt_f16_f32_e32 v3, v3
	global_store_short v[1:2], v3, off
.LBB388_1960:
	s_mov_b64 s[0:1], 0
.LBB388_1961:
	s_andn2_b64 vcc, exec, s[0:1]
	s_cbranch_vccnz .LBB388_1977
; %bb.1962:
	s_cmp_lt_i32 s20, 2
	s_mov_b64 s[0:1], -1
	s_cbranch_scc1 .LBB388_1972
; %bb.1963:
	s_cmp_lt_i32 s20, 3
	s_cbranch_scc1 .LBB388_1969
; %bb.1964:
	s_cmp_gt_i32 s20, 3
	s_cbranch_scc0 .LBB388_1966
; %bb.1965:
	s_mov_b32 s0, 0
	v_cndmask_b32_e64 v3, 0, 1, s[6:7]
	v_mov_b32_e32 v4, s0
	global_store_dwordx2 v[1:2], v[3:4], off
	s_mov_b64 s[0:1], 0
.LBB388_1966:
	s_andn2_b64 vcc, exec, s[0:1]
	s_cbranch_vccnz .LBB388_1968
; %bb.1967:
	v_cndmask_b32_e64 v3, 0, 1, s[6:7]
	global_store_dword v[1:2], v3, off
.LBB388_1968:
	s_mov_b64 s[0:1], 0
.LBB388_1969:
	s_andn2_b64 vcc, exec, s[0:1]
	s_cbranch_vccnz .LBB388_1971
; %bb.1970:
	v_cndmask_b32_e64 v3, 0, 1, s[6:7]
	global_store_short v[1:2], v3, off
.LBB388_1971:
	s_mov_b64 s[0:1], 0
.LBB388_1972:
	s_andn2_b64 vcc, exec, s[0:1]
	s_cbranch_vccnz .LBB388_1977
; %bb.1973:
	s_cmp_gt_i32 s20, 0
	s_mov_b64 s[0:1], -1
	s_cbranch_scc0 .LBB388_1975
; %bb.1974:
	v_cndmask_b32_e64 v3, 0, 1, s[6:7]
	global_store_byte v[1:2], v3, off
	s_mov_b64 s[0:1], 0
.LBB388_1975:
	s_andn2_b64 vcc, exec, s[0:1]
	s_cbranch_vccnz .LBB388_1977
; %bb.1976:
	v_cndmask_b32_e64 v3, 0, 1, s[6:7]
	global_store_byte v[1:2], v3, off
.LBB388_1977:
	s_mov_b64 s[12:13], -1
.LBB388_1978:
	s_andn2_b64 vcc, exec, s[12:13]
	s_cbranch_vccnz .LBB388_2055
; %bb.1979:
	v_cmp_ne_u16_sdwa s[0:1], s19, v7 src0_sel:DWORD src1_sel:BYTE_0
	s_xor_b64 s[10:11], s[4:5], s[0:1]
	v_mov_b32_e32 v1, s9
	v_add_co_u32_e32 v0, vcc, s8, v0
	s_cmp_lt_i32 s20, 11
	v_addc_co_u32_e32 v1, vcc, 0, v1, vcc
	s_cbranch_scc1 .LBB388_2100
; %bb.1980:
	s_mov_b64 s[6:7], -1
	s_mov_b64 s[4:5], 0
	s_cmp_gt_i32 s20, 25
	s_mov_b64 s[0:1], 0
	s_cbranch_scc0 .LBB388_2013
; %bb.1981:
	s_cmp_gt_i32 s20, 28
	s_cbranch_scc0 .LBB388_1997
; %bb.1982:
	s_cmp_gt_i32 s20, 43
	;; [unrolled: 3-line block ×3, first 2 shown]
	s_cbranch_scc0 .LBB388_1987
; %bb.1984:
	s_cmp_eq_u32 s20, 46
	s_mov_b64 s[0:1], -1
	s_cbranch_scc0 .LBB388_1986
; %bb.1985:
	v_cndmask_b32_e64 v2, 0, 1.0, s[10:11]
	v_bfe_u32 v3, v2, 16, 1
	s_movk_i32 s0, 0x7fff
	v_add3_u32 v2, v2, v3, s0
	v_lshrrev_b32_e32 v2, 16, v2
	global_store_dword v[0:1], v2, off
	s_mov_b64 s[0:1], 0
.LBB388_1986:
	s_mov_b64 s[6:7], 0
.LBB388_1987:
	s_and_b64 vcc, exec, s[6:7]
	s_cbranch_vccz .LBB388_1992
; %bb.1988:
	s_cmp_eq_u32 s20, 44
	s_mov_b64 s[0:1], -1
	s_cbranch_scc0 .LBB388_1992
; %bb.1989:
	v_cndmask_b32_e64 v3, 0, 1.0, s[10:11]
	v_lshrrev_b32_e32 v2, 23, v3
	s_movk_i32 s0, 0xff
	v_cmp_ne_u32_e32 vcc, s0, v2
	v_mov_b32_e32 v4, 0xff
	s_and_saveexec_b64 s[6:7], vcc
; %bb.1990:
	s_mov_b32 s0, 0x3fffff
	v_and_b32_e32 v4, 0x400000, v3
	v_and_or_b32 v3, v3, s0, v2
	v_cmp_ne_u32_e32 vcc, 0, v4
	v_cmp_ne_u32_e64 s[0:1], 0, v3
	s_and_b64 s[0:1], vcc, s[0:1]
	v_cndmask_b32_e64 v3, 0, 1, s[0:1]
	v_add_u32_e32 v4, v2, v3
; %bb.1991:
	s_or_b64 exec, exec, s[6:7]
	s_mov_b64 s[0:1], 0
	global_store_byte v[0:1], v4, off
.LBB388_1992:
	s_mov_b64 s[6:7], 0
.LBB388_1993:
	s_and_b64 vcc, exec, s[6:7]
	s_cbranch_vccz .LBB388_1996
; %bb.1994:
	s_cmp_eq_u32 s20, 29
	s_mov_b64 s[0:1], -1
	s_cbranch_scc0 .LBB388_1996
; %bb.1995:
	s_mov_b32 s0, 0
	v_cndmask_b32_e64 v2, 0, 1, s[10:11]
	v_mov_b32_e32 v3, s0
	global_store_dwordx2 v[0:1], v[2:3], off
	s_mov_b64 s[0:1], 0
.LBB388_1996:
	s_mov_b64 s[6:7], 0
.LBB388_1997:
	s_and_b64 vcc, exec, s[6:7]
	s_cbranch_vccz .LBB388_2012
; %bb.1998:
	s_cmp_lt_i32 s20, 27
	s_mov_b64 s[6:7], -1
	s_cbranch_scc1 .LBB388_2004
; %bb.1999:
	s_cmp_gt_i32 s20, 27
	s_cbranch_scc0 .LBB388_2001
; %bb.2000:
	v_cndmask_b32_e64 v2, 0, 1, s[10:11]
	global_store_dword v[0:1], v2, off
	s_mov_b64 s[6:7], 0
.LBB388_2001:
	s_andn2_b64 vcc, exec, s[6:7]
	s_cbranch_vccnz .LBB388_2003
; %bb.2002:
	v_cndmask_b32_e64 v2, 0, 1, s[10:11]
	global_store_short v[0:1], v2, off
.LBB388_2003:
	s_mov_b64 s[6:7], 0
.LBB388_2004:
	s_andn2_b64 vcc, exec, s[6:7]
	s_cbranch_vccnz .LBB388_2012
; %bb.2005:
	v_cndmask_b32_e64 v3, 0, 1.0, s[10:11]
	s_mov_b32 s6, 0x43800000
	v_cmp_gt_u32_e32 vcc, s6, v3
	v_mov_b32_e32 v4, 0x80
	s_and_saveexec_b64 s[6:7], vcc
	s_cbranch_execz .LBB388_2011
; %bb.2006:
	s_mov_b32 s8, 0x3bffffff
	v_cmp_lt_u32_e32 vcc, s8, v3
	s_mov_b64 s[8:9], 0
                                        ; implicit-def: $vgpr2
	s_and_saveexec_b64 s[12:13], vcc
	s_xor_b64 s[12:13], exec, s[12:13]
	s_cbranch_execz .LBB388_2117
; %bb.2007:
	v_bfe_u32 v2, v3, 20, 1
	s_mov_b32 s14, 0x487ffff
	v_add3_u32 v2, v3, v2, s14
	s_mov_b64 s[8:9], exec
	v_lshrrev_b32_e32 v2, 20, v2
                                        ; implicit-def: $vgpr3
	s_andn2_saveexec_b64 s[12:13], s[12:13]
	s_cbranch_execnz .LBB388_2118
.LBB388_2008:
	s_or_b64 exec, exec, s[12:13]
	v_mov_b32_e32 v4, 0
	s_and_saveexec_b64 s[12:13], s[8:9]
.LBB388_2009:
	v_mov_b32_e32 v4, v2
.LBB388_2010:
	s_or_b64 exec, exec, s[12:13]
.LBB388_2011:
	s_or_b64 exec, exec, s[6:7]
	global_store_byte v[0:1], v4, off
.LBB388_2012:
	s_mov_b64 s[6:7], 0
.LBB388_2013:
	s_and_b64 vcc, exec, s[6:7]
	s_cbranch_vccz .LBB388_2053
; %bb.2014:
	s_cmp_gt_i32 s20, 22
	s_mov_b64 s[4:5], -1
	s_cbranch_scc0 .LBB388_2046
; %bb.2015:
	s_cmp_lt_i32 s20, 24
	s_cbranch_scc1 .LBB388_2035
; %bb.2016:
	s_cmp_gt_i32 s20, 24
	s_cbranch_scc0 .LBB388_2024
; %bb.2017:
	v_cndmask_b32_e64 v3, 0, 1.0, s[10:11]
	s_mov_b32 s4, 0x47800000
	v_cmp_gt_u32_e32 vcc, s4, v3
	v_mov_b32_e32 v4, 0x80
	s_and_saveexec_b64 s[4:5], vcc
	s_cbranch_execz .LBB388_2023
; %bb.2018:
	s_mov_b32 s6, 0x37ffffff
	v_cmp_lt_u32_e32 vcc, s6, v3
	s_mov_b64 s[6:7], 0
                                        ; implicit-def: $vgpr2
	s_and_saveexec_b64 s[8:9], vcc
	s_xor_b64 s[8:9], exec, s[8:9]
	s_cbranch_execz .LBB388_2120
; %bb.2019:
	v_bfe_u32 v2, v3, 21, 1
	s_mov_b32 s12, 0x88fffff
	v_add3_u32 v2, v3, v2, s12
	s_mov_b64 s[6:7], exec
	v_lshrrev_b32_e32 v2, 21, v2
                                        ; implicit-def: $vgpr3
	s_andn2_saveexec_b64 s[8:9], s[8:9]
	s_cbranch_execnz .LBB388_2121
.LBB388_2020:
	s_or_b64 exec, exec, s[8:9]
	v_mov_b32_e32 v4, 0
	s_and_saveexec_b64 s[8:9], s[6:7]
.LBB388_2021:
	v_mov_b32_e32 v4, v2
.LBB388_2022:
	s_or_b64 exec, exec, s[8:9]
.LBB388_2023:
	s_or_b64 exec, exec, s[4:5]
	s_mov_b64 s[4:5], 0
	global_store_byte v[0:1], v4, off
.LBB388_2024:
	s_and_b64 vcc, exec, s[4:5]
	s_cbranch_vccz .LBB388_2034
; %bb.2025:
	v_cndmask_b32_e64 v2, 0, 1.0, s[10:11]
	s_mov_b32 s4, 0x43f00000
	v_cmp_gt_u32_e32 vcc, s4, v2
                                        ; implicit-def: $vgpr3
	s_and_saveexec_b64 s[4:5], vcc
	s_xor_b64 s[4:5], exec, s[4:5]
	s_cbranch_execz .LBB388_2031
; %bb.2026:
	s_mov_b32 s6, 0x3c7fffff
	v_cmp_lt_u32_e32 vcc, s6, v2
                                        ; implicit-def: $vgpr3
	s_and_saveexec_b64 s[6:7], vcc
	s_xor_b64 s[6:7], exec, s[6:7]
; %bb.2027:
	v_bfe_u32 v3, v2, 20, 1
	s_mov_b32 s8, 0x407ffff
	v_add3_u32 v2, v2, v3, s8
	v_lshrrev_b32_e32 v3, 20, v2
	v_and_b32_e32 v2, 0xff00000, v2
	s_mov_b32 s8, 0x7f00000
	v_mov_b32_e32 v4, 0x7e
	v_cmp_ne_u32_e32 vcc, s8, v2
	v_cndmask_b32_e32 v3, v4, v3, vcc
                                        ; implicit-def: $vgpr2
; %bb.2028:
	s_andn2_saveexec_b64 s[6:7], s[6:7]
; %bb.2029:
	v_add_f32_e32 v3, 0x46800000, v2
; %bb.2030:
	s_or_b64 exec, exec, s[6:7]
                                        ; implicit-def: $vgpr2
.LBB388_2031:
	s_andn2_saveexec_b64 s[4:5], s[4:5]
; %bb.2032:
	s_mov_b32 s6, 0x7f800000
	v_mov_b32_e32 v3, 0x7e
	v_mov_b32_e32 v4, 0x7f
	v_cmp_lt_u32_e32 vcc, s6, v2
	v_cndmask_b32_e32 v3, v3, v4, vcc
; %bb.2033:
	s_or_b64 exec, exec, s[4:5]
	global_store_byte v[0:1], v3, off
.LBB388_2034:
	s_mov_b64 s[4:5], 0
.LBB388_2035:
	s_andn2_b64 vcc, exec, s[4:5]
	s_cbranch_vccnz .LBB388_2045
; %bb.2036:
	v_cndmask_b32_e64 v2, 0, 1.0, s[10:11]
	s_mov_b32 s4, 0x47800000
	v_cmp_gt_u32_e32 vcc, s4, v2
                                        ; implicit-def: $vgpr3
	s_and_saveexec_b64 s[4:5], vcc
	s_xor_b64 s[4:5], exec, s[4:5]
	s_cbranch_execz .LBB388_2042
; %bb.2037:
	s_mov_b32 s6, 0x387fffff
	v_cmp_lt_u32_e32 vcc, s6, v2
                                        ; implicit-def: $vgpr3
	s_and_saveexec_b64 s[6:7], vcc
	s_xor_b64 s[6:7], exec, s[6:7]
; %bb.2038:
	v_bfe_u32 v3, v2, 21, 1
	s_mov_b32 s8, 0x80fffff
	v_add3_u32 v2, v2, v3, s8
	v_lshrrev_b32_e32 v3, 21, v2
                                        ; implicit-def: $vgpr2
; %bb.2039:
	s_andn2_saveexec_b64 s[6:7], s[6:7]
; %bb.2040:
	v_add_f32_e32 v3, 0x43000000, v2
; %bb.2041:
	s_or_b64 exec, exec, s[6:7]
                                        ; implicit-def: $vgpr2
.LBB388_2042:
	s_andn2_saveexec_b64 s[4:5], s[4:5]
; %bb.2043:
	s_mov_b32 s6, 0x7f800000
	v_mov_b32_e32 v3, 0x7c
	v_mov_b32_e32 v4, 0x7f
	v_cmp_lt_u32_e32 vcc, s6, v2
	v_cndmask_b32_e32 v3, v3, v4, vcc
; %bb.2044:
	s_or_b64 exec, exec, s[4:5]
	global_store_byte v[0:1], v3, off
.LBB388_2045:
	s_mov_b64 s[4:5], 0
.LBB388_2046:
	s_andn2_b64 vcc, exec, s[4:5]
	s_mov_b64 s[4:5], 0
	s_cbranch_vccnz .LBB388_2053
; %bb.2047:
	s_cmp_gt_i32 s20, 14
	s_mov_b64 s[6:7], -1
	s_cbranch_scc0 .LBB388_2051
; %bb.2048:
	s_cmp_eq_u32 s20, 15
	s_mov_b64 s[0:1], -1
	s_cbranch_scc0 .LBB388_2050
; %bb.2049:
	v_cndmask_b32_e64 v2, 0, 1.0, s[10:11]
	v_bfe_u32 v3, v2, 16, 1
	s_movk_i32 s0, 0x7fff
	v_add3_u32 v2, v2, v3, s0
	global_store_short_d16_hi v[0:1], v2, off
	s_mov_b64 s[0:1], 0
.LBB388_2050:
	s_mov_b64 s[6:7], 0
.LBB388_2051:
	s_and_b64 vcc, exec, s[6:7]
	s_cbranch_vccz .LBB388_2053
; %bb.2052:
	s_cmp_lg_u32 s20, 11
	s_mov_b64 s[4:5], -1
	s_cselect_b64 s[0:1], -1, 0
.LBB388_2053:
	s_and_b64 vcc, exec, s[0:1]
	s_cbranch_vccnz .LBB388_2119
.LBB388_2054:
	s_mov_b64 s[0:1], 0
	s_branch .LBB388_2056
.LBB388_2055:
	s_mov_b64 s[0:1], 0
	s_mov_b64 s[4:5], 0
                                        ; implicit-def: $sgpr10_sgpr11
                                        ; implicit-def: $vgpr0_vgpr1
                                        ; implicit-def: $sgpr18
.LBB388_2056:
	s_and_b64 s[6:7], s[4:5], exec
	s_andn2_b64 s[4:5], s[28:29], exec
	s_and_b64 s[2:3], s[2:3], exec
	s_and_b64 s[0:1], s[0:1], exec
	s_or_b64 s[28:29], s[4:5], s[2:3]
.LBB388_2057:
	s_or_b64 exec, exec, s[30:31]
	s_and_saveexec_b64 s[2:3], s[28:29]
	s_cbranch_execz .LBB388_2060
; %bb.2058:
	; divergent unreachable
	s_or_b64 exec, exec, s[2:3]
	s_and_saveexec_b64 s[2:3], s[6:7]
	s_xor_b64 s[2:3], exec, s[2:3]
	s_cbranch_execnz .LBB388_2061
.LBB388_2059:
	s_or_b64 exec, exec, s[2:3]
	s_and_saveexec_b64 s[2:3], s[0:1]
	s_cbranch_execnz .LBB388_2062
	s_branch .LBB388_2099
.LBB388_2060:
	s_or_b64 exec, exec, s[2:3]
	s_and_saveexec_b64 s[2:3], s[6:7]
	s_xor_b64 s[2:3], exec, s[2:3]
	s_cbranch_execz .LBB388_2059
.LBB388_2061:
	v_cndmask_b32_e64 v2, 0, 1, s[10:11]
	global_store_byte v[0:1], v2, off
	s_or_b64 exec, exec, s[2:3]
	s_and_saveexec_b64 s[2:3], s[0:1]
	s_cbranch_execz .LBB388_2099
.LBB388_2062:
	s_sext_i32_i16 s2, s18
	s_cmp_lt_i32 s2, 5
	s_mov_b64 s[0:1], -1
	s_cbranch_scc1 .LBB388_2083
; %bb.2063:
	s_cmp_lt_i32 s2, 8
	s_cbranch_scc1 .LBB388_2073
; %bb.2064:
	s_cmp_lt_i32 s2, 9
	s_cbranch_scc1 .LBB388_2070
; %bb.2065:
	s_cmp_gt_i32 s2, 9
	s_cbranch_scc0 .LBB388_2067
; %bb.2066:
	v_cndmask_b32_e64 v2, 0, 1, s[10:11]
	s_waitcnt vmcnt(0)
	v_cvt_f64_u32_e32 v[2:3], v2
	v_mov_b32_e32 v4, 0
	v_mov_b32_e32 v5, v4
	s_mov_b64 s[0:1], 0
	global_store_dwordx4 v[0:1], v[2:5], off
.LBB388_2067:
	s_andn2_b64 vcc, exec, s[0:1]
	s_cbranch_vccnz .LBB388_2069
; %bb.2068:
	v_cndmask_b32_e64 v2, 0, 1.0, s[10:11]
	s_waitcnt vmcnt(0)
	v_mov_b32_e32 v3, 0
	global_store_dwordx2 v[0:1], v[2:3], off
.LBB388_2069:
	s_mov_b64 s[0:1], 0
.LBB388_2070:
	s_andn2_b64 vcc, exec, s[0:1]
	s_cbranch_vccnz .LBB388_2072
; %bb.2071:
	v_cndmask_b32_e64 v2, 0, 1.0, s[10:11]
	v_cvt_f16_f32_e32 v2, v2
	global_store_dword v[0:1], v2, off
.LBB388_2072:
	s_mov_b64 s[0:1], 0
.LBB388_2073:
	s_andn2_b64 vcc, exec, s[0:1]
	s_cbranch_vccnz .LBB388_2082
; %bb.2074:
	s_sext_i32_i16 s2, s18
	s_cmp_lt_i32 s2, 6
	s_mov_b64 s[0:1], -1
	s_cbranch_scc1 .LBB388_2080
; %bb.2075:
	s_cmp_gt_i32 s2, 6
	s_cbranch_scc0 .LBB388_2077
; %bb.2076:
	v_cndmask_b32_e64 v2, 0, 1, s[10:11]
	s_waitcnt vmcnt(0)
	v_cvt_f64_u32_e32 v[2:3], v2
	s_mov_b64 s[0:1], 0
	global_store_dwordx2 v[0:1], v[2:3], off
.LBB388_2077:
	s_andn2_b64 vcc, exec, s[0:1]
	s_cbranch_vccnz .LBB388_2079
; %bb.2078:
	v_cndmask_b32_e64 v2, 0, 1.0, s[10:11]
	global_store_dword v[0:1], v2, off
.LBB388_2079:
	s_mov_b64 s[0:1], 0
.LBB388_2080:
	s_andn2_b64 vcc, exec, s[0:1]
	s_cbranch_vccnz .LBB388_2082
; %bb.2081:
	v_cndmask_b32_e64 v2, 0, 1.0, s[10:11]
	v_cvt_f16_f32_e32 v2, v2
	global_store_short v[0:1], v2, off
.LBB388_2082:
	s_mov_b64 s[0:1], 0
.LBB388_2083:
	s_andn2_b64 vcc, exec, s[0:1]
	s_cbranch_vccnz .LBB388_2099
; %bb.2084:
	s_sext_i32_i16 s2, s18
	s_cmp_lt_i32 s2, 2
	s_mov_b64 s[0:1], -1
	s_cbranch_scc1 .LBB388_2094
; %bb.2085:
	s_cmp_lt_i32 s2, 3
	s_cbranch_scc1 .LBB388_2091
; %bb.2086:
	s_cmp_gt_i32 s2, 3
	s_cbranch_scc0 .LBB388_2088
; %bb.2087:
	s_mov_b32 s0, 0
	v_cndmask_b32_e64 v2, 0, 1, s[10:11]
	s_waitcnt vmcnt(0)
	v_mov_b32_e32 v3, s0
	global_store_dwordx2 v[0:1], v[2:3], off
	s_mov_b64 s[0:1], 0
.LBB388_2088:
	s_andn2_b64 vcc, exec, s[0:1]
	s_cbranch_vccnz .LBB388_2090
; %bb.2089:
	v_cndmask_b32_e64 v2, 0, 1, s[10:11]
	global_store_dword v[0:1], v2, off
.LBB388_2090:
	s_mov_b64 s[0:1], 0
.LBB388_2091:
	s_andn2_b64 vcc, exec, s[0:1]
	s_cbranch_vccnz .LBB388_2093
; %bb.2092:
	v_cndmask_b32_e64 v2, 0, 1, s[10:11]
	global_store_short v[0:1], v2, off
.LBB388_2093:
	s_mov_b64 s[0:1], 0
.LBB388_2094:
	s_andn2_b64 vcc, exec, s[0:1]
	s_cbranch_vccnz .LBB388_2099
; %bb.2095:
	s_sext_i32_i16 s0, s18
	s_cmp_gt_i32 s0, 0
	s_mov_b64 s[0:1], -1
	s_cbranch_scc0 .LBB388_2097
; %bb.2096:
	v_cndmask_b32_e64 v2, 0, 1, s[10:11]
	global_store_byte v[0:1], v2, off
	s_mov_b64 s[0:1], 0
.LBB388_2097:
	s_andn2_b64 vcc, exec, s[0:1]
	s_cbranch_vccnz .LBB388_2099
; %bb.2098:
	v_cndmask_b32_e64 v2, 0, 1, s[10:11]
	global_store_byte v[0:1], v2, off
	s_endpgm
.LBB388_2099:
	s_endpgm
.LBB388_2100:
	s_mov_b64 s[4:5], 0
	s_mov_b64 s[0:1], -1
	s_branch .LBB388_2056
.LBB388_2101:
	s_trap 2
	s_or_b64 s[2:3], s[2:3], exec
	s_cbranch_execz .LBB388_1570
	s_branch .LBB388_1571
.LBB388_2102:
	s_andn2_saveexec_b64 s[16:17], s[16:17]
	s_cbranch_execz .LBB388_1650
.LBB388_2103:
	v_add_f32_e32 v1, 0x46000000, v3
	v_and_b32_e32 v1, 0xff, v1
	v_cmp_ne_u32_e32 vcc, 0, v1
	s_andn2_b64 s[14:15], s[14:15], exec
	s_and_b64 s[22:23], vcc, exec
	s_or_b64 s[14:15], s[14:15], s[22:23]
	s_or_b64 exec, exec, s[16:17]
	v_mov_b32_e32 v8, 0
	s_and_saveexec_b64 s[16:17], s[14:15]
	s_cbranch_execnz .LBB388_1651
	s_branch .LBB388_1652
.LBB388_2104:
	s_trap 2
	s_or_b64 s[2:3], s[2:3], exec
	s_cbranch_execz .LBB388_1698
	s_branch .LBB388_1699
.LBB388_2105:
	s_andn2_saveexec_b64 s[14:15], s[14:15]
	s_cbranch_execz .LBB388_1663
.LBB388_2106:
	v_add_f32_e32 v1, 0x42800000, v3
	v_and_b32_e32 v1, 0xff, v1
	v_cmp_ne_u32_e32 vcc, 0, v1
	s_andn2_b64 s[12:13], s[12:13], exec
	s_and_b64 s[16:17], vcc, exec
	s_or_b64 s[12:13], s[12:13], s[16:17]
	s_or_b64 exec, exec, s[14:15]
	v_mov_b32_e32 v8, 0
	s_and_saveexec_b64 s[14:15], s[12:13]
	s_cbranch_execnz .LBB388_1664
	s_branch .LBB388_1665
.LBB388_2107:
	s_andn2_saveexec_b64 s[16:17], s[16:17]
	s_cbranch_execz .LBB388_1769
.LBB388_2108:
	v_add_f32_e32 v1, 0x46000000, v5
	v_and_b32_e32 v1, 0xff, v1
	v_cmp_ne_u32_e32 vcc, 0, v1
	s_andn2_b64 s[14:15], s[14:15], exec
	s_and_b64 s[22:23], vcc, exec
	s_or_b64 s[14:15], s[14:15], s[22:23]
	s_or_b64 exec, exec, s[16:17]
	v_mov_b32_e32 v6, 0
	s_and_saveexec_b64 s[16:17], s[14:15]
	s_cbranch_execnz .LBB388_1770
	s_branch .LBB388_1771
.LBB388_2109:
	s_trap 2
	s_or_b64 s[2:3], s[2:3], exec
	s_cbranch_execz .LBB388_1817
	s_branch .LBB388_1818
.LBB388_2110:
	s_andn2_saveexec_b64 s[14:15], s[14:15]
	s_cbranch_execz .LBB388_1782
.LBB388_2111:
	v_add_f32_e32 v1, 0x42800000, v5
	v_and_b32_e32 v1, 0xff, v1
	v_cmp_ne_u32_e32 vcc, 0, v1
	s_andn2_b64 s[12:13], s[12:13], exec
	s_and_b64 s[16:17], vcc, exec
	s_or_b64 s[12:13], s[12:13], s[16:17]
	s_or_b64 exec, exec, s[14:15]
	v_mov_b32_e32 v6, 0
	s_and_saveexec_b64 s[14:15], s[12:13]
	s_cbranch_execnz .LBB388_1783
	s_branch .LBB388_1784
.LBB388_2112:
	s_andn2_saveexec_b64 s[16:17], s[16:17]
	s_cbranch_execz .LBB388_1888
.LBB388_2113:
	v_add_f32_e32 v3, 0x46000000, v4
	v_and_b32_e32 v3, 0xff, v3
	v_cmp_ne_u32_e32 vcc, 0, v3
	s_andn2_b64 s[14:15], s[14:15], exec
	s_and_b64 s[22:23], vcc, exec
	s_or_b64 s[14:15], s[14:15], s[22:23]
	s_or_b64 exec, exec, s[16:17]
	v_mov_b32_e32 v5, 0
	s_and_saveexec_b64 s[16:17], s[14:15]
	s_cbranch_execnz .LBB388_1889
	s_branch .LBB388_1890
.LBB388_2114:
	s_trap 2
	s_or_b64 s[2:3], s[2:3], exec
	s_cbranch_execz .LBB388_1936
	s_branch .LBB388_1937
.LBB388_2115:
	s_andn2_saveexec_b64 s[14:15], s[14:15]
	s_cbranch_execz .LBB388_1901
.LBB388_2116:
	v_add_f32_e32 v3, 0x42800000, v4
	v_and_b32_e32 v3, 0xff, v3
	v_cmp_ne_u32_e32 vcc, 0, v3
	s_andn2_b64 s[12:13], s[12:13], exec
	s_and_b64 s[16:17], vcc, exec
	s_or_b64 s[12:13], s[12:13], s[16:17]
	s_or_b64 exec, exec, s[14:15]
	v_mov_b32_e32 v5, 0
	s_and_saveexec_b64 s[14:15], s[12:13]
	s_cbranch_execnz .LBB388_1902
	s_branch .LBB388_1903
.LBB388_2117:
	s_andn2_saveexec_b64 s[12:13], s[12:13]
	s_cbranch_execz .LBB388_2008
.LBB388_2118:
	v_add_f32_e32 v2, 0x46000000, v3
	v_and_b32_e32 v2, 0xff, v2
	v_cmp_ne_u32_e32 vcc, 0, v2
	s_andn2_b64 s[8:9], s[8:9], exec
	s_and_b64 s[14:15], vcc, exec
	s_or_b64 s[8:9], s[8:9], s[14:15]
	s_or_b64 exec, exec, s[12:13]
	v_mov_b32_e32 v4, 0
	s_and_saveexec_b64 s[12:13], s[8:9]
	s_cbranch_execnz .LBB388_2009
	s_branch .LBB388_2010
.LBB388_2119:
	s_mov_b64 s[4:5], 0
	s_or_b64 s[2:3], s[2:3], exec
	s_trap 2
	s_branch .LBB388_2054
.LBB388_2120:
	s_andn2_saveexec_b64 s[8:9], s[8:9]
	s_cbranch_execz .LBB388_2020
.LBB388_2121:
	v_add_f32_e32 v2, 0x42800000, v3
	v_and_b32_e32 v2, 0xff, v2
	v_cmp_ne_u32_e32 vcc, 0, v2
	s_andn2_b64 s[6:7], s[6:7], exec
	s_and_b64 s[12:13], vcc, exec
	s_or_b64 s[6:7], s[6:7], s[12:13]
	s_or_b64 exec, exec, s[8:9]
	v_mov_b32_e32 v4, 0
	s_and_saveexec_b64 s[8:9], s[6:7]
	s_cbranch_execnz .LBB388_2021
	s_branch .LBB388_2022
	.section	.rodata,"a",@progbits
	.p2align	6, 0x0
	.amdhsa_kernel _ZN2at6native32elementwise_kernel_manual_unrollILi128ELi4EZNS0_15gpu_kernel_implINS0_13AUnaryFunctorIN3c1016Float4_e2m1fn_x2ES5_bNS0_12_GLOBAL__N_116CompareEqFunctorIS5_EEEEEEvRNS_18TensorIteratorBaseERKT_EUlibE0_EEviT1_
		.amdhsa_group_segment_fixed_size 0
		.amdhsa_private_segment_fixed_size 0
		.amdhsa_kernarg_size 368
		.amdhsa_user_sgpr_count 6
		.amdhsa_user_sgpr_private_segment_buffer 1
		.amdhsa_user_sgpr_dispatch_ptr 0
		.amdhsa_user_sgpr_queue_ptr 0
		.amdhsa_user_sgpr_kernarg_segment_ptr 1
		.amdhsa_user_sgpr_dispatch_id 0
		.amdhsa_user_sgpr_flat_scratch_init 0
		.amdhsa_user_sgpr_private_segment_size 0
		.amdhsa_uses_dynamic_stack 0
		.amdhsa_system_sgpr_private_segment_wavefront_offset 0
		.amdhsa_system_sgpr_workgroup_id_x 1
		.amdhsa_system_sgpr_workgroup_id_y 0
		.amdhsa_system_sgpr_workgroup_id_z 0
		.amdhsa_system_sgpr_workgroup_info 0
		.amdhsa_system_vgpr_workitem_id 0
		.amdhsa_next_free_vgpr 18
		.amdhsa_next_free_sgpr 81
		.amdhsa_reserve_vcc 1
		.amdhsa_reserve_flat_scratch 0
		.amdhsa_float_round_mode_32 0
		.amdhsa_float_round_mode_16_64 0
		.amdhsa_float_denorm_mode_32 3
		.amdhsa_float_denorm_mode_16_64 3
		.amdhsa_dx10_clamp 1
		.amdhsa_ieee_mode 1
		.amdhsa_fp16_overflow 0
		.amdhsa_exception_fp_ieee_invalid_op 0
		.amdhsa_exception_fp_denorm_src 0
		.amdhsa_exception_fp_ieee_div_zero 0
		.amdhsa_exception_fp_ieee_overflow 0
		.amdhsa_exception_fp_ieee_underflow 0
		.amdhsa_exception_fp_ieee_inexact 0
		.amdhsa_exception_int_div_zero 0
	.end_amdhsa_kernel
	.section	.text._ZN2at6native32elementwise_kernel_manual_unrollILi128ELi4EZNS0_15gpu_kernel_implINS0_13AUnaryFunctorIN3c1016Float4_e2m1fn_x2ES5_bNS0_12_GLOBAL__N_116CompareEqFunctorIS5_EEEEEEvRNS_18TensorIteratorBaseERKT_EUlibE0_EEviT1_,"axG",@progbits,_ZN2at6native32elementwise_kernel_manual_unrollILi128ELi4EZNS0_15gpu_kernel_implINS0_13AUnaryFunctorIN3c1016Float4_e2m1fn_x2ES5_bNS0_12_GLOBAL__N_116CompareEqFunctorIS5_EEEEEEvRNS_18TensorIteratorBaseERKT_EUlibE0_EEviT1_,comdat
.Lfunc_end388:
	.size	_ZN2at6native32elementwise_kernel_manual_unrollILi128ELi4EZNS0_15gpu_kernel_implINS0_13AUnaryFunctorIN3c1016Float4_e2m1fn_x2ES5_bNS0_12_GLOBAL__N_116CompareEqFunctorIS5_EEEEEEvRNS_18TensorIteratorBaseERKT_EUlibE0_EEviT1_, .Lfunc_end388-_ZN2at6native32elementwise_kernel_manual_unrollILi128ELi4EZNS0_15gpu_kernel_implINS0_13AUnaryFunctorIN3c1016Float4_e2m1fn_x2ES5_bNS0_12_GLOBAL__N_116CompareEqFunctorIS5_EEEEEEvRNS_18TensorIteratorBaseERKT_EUlibE0_EEviT1_
                                        ; -- End function
	.set _ZN2at6native32elementwise_kernel_manual_unrollILi128ELi4EZNS0_15gpu_kernel_implINS0_13AUnaryFunctorIN3c1016Float4_e2m1fn_x2ES5_bNS0_12_GLOBAL__N_116CompareEqFunctorIS5_EEEEEEvRNS_18TensorIteratorBaseERKT_EUlibE0_EEviT1_.num_vgpr, 18
	.set _ZN2at6native32elementwise_kernel_manual_unrollILi128ELi4EZNS0_15gpu_kernel_implINS0_13AUnaryFunctorIN3c1016Float4_e2m1fn_x2ES5_bNS0_12_GLOBAL__N_116CompareEqFunctorIS5_EEEEEEvRNS_18TensorIteratorBaseERKT_EUlibE0_EEviT1_.num_agpr, 0
	.set _ZN2at6native32elementwise_kernel_manual_unrollILi128ELi4EZNS0_15gpu_kernel_implINS0_13AUnaryFunctorIN3c1016Float4_e2m1fn_x2ES5_bNS0_12_GLOBAL__N_116CompareEqFunctorIS5_EEEEEEvRNS_18TensorIteratorBaseERKT_EUlibE0_EEviT1_.numbered_sgpr, 81
	.set _ZN2at6native32elementwise_kernel_manual_unrollILi128ELi4EZNS0_15gpu_kernel_implINS0_13AUnaryFunctorIN3c1016Float4_e2m1fn_x2ES5_bNS0_12_GLOBAL__N_116CompareEqFunctorIS5_EEEEEEvRNS_18TensorIteratorBaseERKT_EUlibE0_EEviT1_.num_named_barrier, 0
	.set _ZN2at6native32elementwise_kernel_manual_unrollILi128ELi4EZNS0_15gpu_kernel_implINS0_13AUnaryFunctorIN3c1016Float4_e2m1fn_x2ES5_bNS0_12_GLOBAL__N_116CompareEqFunctorIS5_EEEEEEvRNS_18TensorIteratorBaseERKT_EUlibE0_EEviT1_.private_seg_size, 0
	.set _ZN2at6native32elementwise_kernel_manual_unrollILi128ELi4EZNS0_15gpu_kernel_implINS0_13AUnaryFunctorIN3c1016Float4_e2m1fn_x2ES5_bNS0_12_GLOBAL__N_116CompareEqFunctorIS5_EEEEEEvRNS_18TensorIteratorBaseERKT_EUlibE0_EEviT1_.uses_vcc, 1
	.set _ZN2at6native32elementwise_kernel_manual_unrollILi128ELi4EZNS0_15gpu_kernel_implINS0_13AUnaryFunctorIN3c1016Float4_e2m1fn_x2ES5_bNS0_12_GLOBAL__N_116CompareEqFunctorIS5_EEEEEEvRNS_18TensorIteratorBaseERKT_EUlibE0_EEviT1_.uses_flat_scratch, 0
	.set _ZN2at6native32elementwise_kernel_manual_unrollILi128ELi4EZNS0_15gpu_kernel_implINS0_13AUnaryFunctorIN3c1016Float4_e2m1fn_x2ES5_bNS0_12_GLOBAL__N_116CompareEqFunctorIS5_EEEEEEvRNS_18TensorIteratorBaseERKT_EUlibE0_EEviT1_.has_dyn_sized_stack, 0
	.set _ZN2at6native32elementwise_kernel_manual_unrollILi128ELi4EZNS0_15gpu_kernel_implINS0_13AUnaryFunctorIN3c1016Float4_e2m1fn_x2ES5_bNS0_12_GLOBAL__N_116CompareEqFunctorIS5_EEEEEEvRNS_18TensorIteratorBaseERKT_EUlibE0_EEviT1_.has_recursion, 0
	.set _ZN2at6native32elementwise_kernel_manual_unrollILi128ELi4EZNS0_15gpu_kernel_implINS0_13AUnaryFunctorIN3c1016Float4_e2m1fn_x2ES5_bNS0_12_GLOBAL__N_116CompareEqFunctorIS5_EEEEEEvRNS_18TensorIteratorBaseERKT_EUlibE0_EEviT1_.has_indirect_call, 0
	.section	.AMDGPU.csdata,"",@progbits
; Kernel info:
; codeLenInByte = 34600
; TotalNumSgprs: 85
; NumVgprs: 18
; ScratchSize: 0
; MemoryBound: 1
; FloatMode: 240
; IeeeMode: 1
; LDSByteSize: 0 bytes/workgroup (compile time only)
; SGPRBlocks: 10
; VGPRBlocks: 4
; NumSGPRsForWavesPerEU: 85
; NumVGPRsForWavesPerEU: 18
; Occupancy: 9
; WaveLimiterHint : 1
; COMPUTE_PGM_RSRC2:SCRATCH_EN: 0
; COMPUTE_PGM_RSRC2:USER_SGPR: 6
; COMPUTE_PGM_RSRC2:TRAP_HANDLER: 0
; COMPUTE_PGM_RSRC2:TGID_X_EN: 1
; COMPUTE_PGM_RSRC2:TGID_Y_EN: 0
; COMPUTE_PGM_RSRC2:TGID_Z_EN: 0
; COMPUTE_PGM_RSRC2:TIDIG_COMP_CNT: 0
	.section	.AMDGPU.gpr_maximums,"",@progbits
	.set amdgpu.max_num_vgpr, 55
	.set amdgpu.max_num_agpr, 0
	.set amdgpu.max_num_sgpr, 57
	.section	.AMDGPU.csdata,"",@progbits
	.type	__hip_cuid_c51fa941e434f544,@object ; @__hip_cuid_c51fa941e434f544
	.section	.bss,"aw",@nobits
	.globl	__hip_cuid_c51fa941e434f544
__hip_cuid_c51fa941e434f544:
	.byte	0                               ; 0x0
	.size	__hip_cuid_c51fa941e434f544, 1

	.ident	"AMD clang version 22.0.0git (https://github.com/RadeonOpenCompute/llvm-project roc-7.2.4 26084 f58b06dce1f9c15707c5f808fd002e18c2accf7e)"
	.section	".note.GNU-stack","",@progbits
	.addrsig
	.addrsig_sym __hip_cuid_c51fa941e434f544
	.amdgpu_metadata
---
amdhsa.kernels:
  - .args:
      - .offset:         0
        .size:           4
        .value_kind:     by_value
      - .offset:         4
        .size:           4
        .value_kind:     by_value
      - .offset:         8
        .size:           24
        .value_kind:     by_value
    .group_segment_fixed_size: 0
    .kernarg_segment_align: 8
    .kernarg_segment_size: 32
    .language:       OpenCL C
    .language_version:
      - 2
      - 0
    .max_flat_workgroup_size: 256
    .name:           _ZN2at6native29vectorized_elementwise_kernelILi16ENS0_13BinaryFunctorIhhbNS0_12_GLOBAL__N_116CompareEqFunctorIhEEEESt5arrayIPcLm3EEEEviT0_T1_
    .private_segment_fixed_size: 0
    .sgpr_count:     46
    .sgpr_spill_count: 0
    .symbol:         _ZN2at6native29vectorized_elementwise_kernelILi16ENS0_13BinaryFunctorIhhbNS0_12_GLOBAL__N_116CompareEqFunctorIhEEEESt5arrayIPcLm3EEEEviT0_T1_.kd
    .uniform_work_group_size: 1
    .uses_dynamic_stack: false
    .vgpr_count:     39
    .vgpr_spill_count: 0
    .wavefront_size: 64
  - .args:
      - .offset:         0
        .size:           4
        .value_kind:     by_value
      - .offset:         4
        .size:           4
        .value_kind:     by_value
      - .offset:         8
        .size:           24
        .value_kind:     by_value
    .group_segment_fixed_size: 0
    .kernarg_segment_align: 8
    .kernarg_segment_size: 32
    .language:       OpenCL C
    .language_version:
      - 2
      - 0
    .max_flat_workgroup_size: 256
    .name:           _ZN2at6native29vectorized_elementwise_kernelILi8ENS0_13BinaryFunctorIhhbNS0_12_GLOBAL__N_116CompareEqFunctorIhEEEESt5arrayIPcLm3EEEEviT0_T1_
    .private_segment_fixed_size: 0
    .sgpr_count:     46
    .sgpr_spill_count: 0
    .symbol:         _ZN2at6native29vectorized_elementwise_kernelILi8ENS0_13BinaryFunctorIhhbNS0_12_GLOBAL__N_116CompareEqFunctorIhEEEESt5arrayIPcLm3EEEEviT0_T1_.kd
    .uniform_work_group_size: 1
    .uses_dynamic_stack: false
    .vgpr_count:     39
    .vgpr_spill_count: 0
    .wavefront_size: 64
  - .args:
      - .offset:         0
        .size:           4
        .value_kind:     by_value
      - .offset:         4
        .size:           4
        .value_kind:     by_value
      - .offset:         8
        .size:           24
        .value_kind:     by_value
    .group_segment_fixed_size: 0
    .kernarg_segment_align: 8
    .kernarg_segment_size: 32
    .language:       OpenCL C
    .language_version:
      - 2
      - 0
    .max_flat_workgroup_size: 256
    .name:           _ZN2at6native29vectorized_elementwise_kernelILi4ENS0_13BinaryFunctorIhhbNS0_12_GLOBAL__N_116CompareEqFunctorIhEEEESt5arrayIPcLm3EEEEviT0_T1_
    .private_segment_fixed_size: 0
    .sgpr_count:     46
    .sgpr_spill_count: 0
    .symbol:         _ZN2at6native29vectorized_elementwise_kernelILi4ENS0_13BinaryFunctorIhhbNS0_12_GLOBAL__N_116CompareEqFunctorIhEEEESt5arrayIPcLm3EEEEviT0_T1_.kd
    .uniform_work_group_size: 1
    .uses_dynamic_stack: false
    .vgpr_count:     39
    .vgpr_spill_count: 0
    .wavefront_size: 64
  - .args:
      - .offset:         0
        .size:           4
        .value_kind:     by_value
      - .offset:         4
        .size:           4
        .value_kind:     by_value
      - .offset:         8
        .size:           24
        .value_kind:     by_value
    .group_segment_fixed_size: 0
    .kernarg_segment_align: 8
    .kernarg_segment_size: 32
    .language:       OpenCL C
    .language_version:
      - 2
      - 0
    .max_flat_workgroup_size: 256
    .name:           _ZN2at6native29vectorized_elementwise_kernelILi2ENS0_13BinaryFunctorIhhbNS0_12_GLOBAL__N_116CompareEqFunctorIhEEEESt5arrayIPcLm3EEEEviT0_T1_
    .private_segment_fixed_size: 0
    .sgpr_count:     46
    .sgpr_spill_count: 0
    .symbol:         _ZN2at6native29vectorized_elementwise_kernelILi2ENS0_13BinaryFunctorIhhbNS0_12_GLOBAL__N_116CompareEqFunctorIhEEEESt5arrayIPcLm3EEEEviT0_T1_.kd
    .uniform_work_group_size: 1
    .uses_dynamic_stack: false
    .vgpr_count:     39
    .vgpr_spill_count: 0
    .wavefront_size: 64
  - .args:
      - .offset:         0
        .size:           4
        .value_kind:     by_value
      - .offset:         4
        .size:           4
        .value_kind:     by_value
      - .offset:         8
        .size:           24
        .value_kind:     by_value
      - .offset:         32
        .size:           1
        .value_kind:     by_value
      - .offset:         33
        .size:           1
        .value_kind:     by_value
      - .offset:         34
        .size:           1
        .value_kind:     by_value
      - .offset:         35
        .size:           1
        .value_kind:     by_value
    .group_segment_fixed_size: 0
    .kernarg_segment_align: 8
    .kernarg_segment_size: 36
    .language:       OpenCL C
    .language_version:
      - 2
      - 0
    .max_flat_workgroup_size: 256
    .name:           _ZN2at6native27unrolled_elementwise_kernelINS0_13BinaryFunctorIhhbNS0_12_GLOBAL__N_116CompareEqFunctorIhEEEESt5arrayIPcLm3EELi4E23TrivialOffsetCalculatorILi2EjESA_ILi1EjENS0_6memory15LoadWithoutCastENSD_16StoreWithoutCastEEEviT_T0_T2_T3_T4_T5_
    .private_segment_fixed_size: 0
    .sgpr_count:     25
    .sgpr_spill_count: 0
    .symbol:         _ZN2at6native27unrolled_elementwise_kernelINS0_13BinaryFunctorIhhbNS0_12_GLOBAL__N_116CompareEqFunctorIhEEEESt5arrayIPcLm3EELi4E23TrivialOffsetCalculatorILi2EjESA_ILi1EjENS0_6memory15LoadWithoutCastENSD_16StoreWithoutCastEEEviT_T0_T2_T3_T4_T5_.kd
    .uniform_work_group_size: 1
    .uses_dynamic_stack: false
    .vgpr_count:     12
    .vgpr_spill_count: 0
    .wavefront_size: 64
  - .args:
      - .offset:         0
        .size:           4
        .value_kind:     by_value
      - .offset:         8
        .size:           424
        .value_kind:     by_value
    .group_segment_fixed_size: 0
    .kernarg_segment_align: 8
    .kernarg_segment_size: 432
    .language:       OpenCL C
    .language_version:
      - 2
      - 0
    .max_flat_workgroup_size: 128
    .name:           _ZN2at6native32elementwise_kernel_manual_unrollILi128ELi8EZNS0_22gpu_kernel_impl_nocastINS0_13BinaryFunctorIhhbNS0_12_GLOBAL__N_116CompareEqFunctorIhEEEEEEvRNS_18TensorIteratorBaseERKT_EUlibE_EEviT1_
    .private_segment_fixed_size: 0
    .sgpr_count:     56
    .sgpr_spill_count: 0
    .symbol:         _ZN2at6native32elementwise_kernel_manual_unrollILi128ELi8EZNS0_22gpu_kernel_impl_nocastINS0_13BinaryFunctorIhhbNS0_12_GLOBAL__N_116CompareEqFunctorIhEEEEEEvRNS_18TensorIteratorBaseERKT_EUlibE_EEviT1_.kd
    .uniform_work_group_size: 1
    .uses_dynamic_stack: false
    .vgpr_count:     42
    .vgpr_spill_count: 0
    .wavefront_size: 64
  - .args:
      - .offset:         0
        .size:           4
        .value_kind:     by_value
      - .offset:         8
        .size:           48
        .value_kind:     by_value
    .group_segment_fixed_size: 0
    .kernarg_segment_align: 8
    .kernarg_segment_size: 56
    .language:       OpenCL C
    .language_version:
      - 2
      - 0
    .max_flat_workgroup_size: 128
    .name:           _ZN2at6native32elementwise_kernel_manual_unrollILi128ELi4EZNS0_15gpu_kernel_implINS0_13BinaryFunctorIhhbNS0_12_GLOBAL__N_116CompareEqFunctorIhEEEEEEvRNS_18TensorIteratorBaseERKT_EUlibE_EEviT1_
    .private_segment_fixed_size: 0
    .sgpr_count:     63
    .sgpr_spill_count: 0
    .symbol:         _ZN2at6native32elementwise_kernel_manual_unrollILi128ELi4EZNS0_15gpu_kernel_implINS0_13BinaryFunctorIhhbNS0_12_GLOBAL__N_116CompareEqFunctorIhEEEEEEvRNS_18TensorIteratorBaseERKT_EUlibE_EEviT1_.kd
    .uniform_work_group_size: 1
    .uses_dynamic_stack: false
    .vgpr_count:     16
    .vgpr_spill_count: 0
    .wavefront_size: 64
  - .args:
      - .offset:         0
        .size:           4
        .value_kind:     by_value
      - .offset:         8
        .size:           424
        .value_kind:     by_value
    .group_segment_fixed_size: 0
    .kernarg_segment_align: 8
    .kernarg_segment_size: 432
    .language:       OpenCL C
    .language_version:
      - 2
      - 0
    .max_flat_workgroup_size: 128
    .name:           _ZN2at6native32elementwise_kernel_manual_unrollILi128ELi4EZNS0_15gpu_kernel_implINS0_13BinaryFunctorIhhbNS0_12_GLOBAL__N_116CompareEqFunctorIhEEEEEEvRNS_18TensorIteratorBaseERKT_EUlibE0_EEviT1_
    .private_segment_fixed_size: 0
    .sgpr_count:     84
    .sgpr_spill_count: 0
    .symbol:         _ZN2at6native32elementwise_kernel_manual_unrollILi128ELi4EZNS0_15gpu_kernel_implINS0_13BinaryFunctorIhhbNS0_12_GLOBAL__N_116CompareEqFunctorIhEEEEEEvRNS_18TensorIteratorBaseERKT_EUlibE0_EEviT1_.kd
    .uniform_work_group_size: 1
    .uses_dynamic_stack: false
    .vgpr_count:     23
    .vgpr_spill_count: 0
    .wavefront_size: 64
  - .args:
      - .offset:         0
        .size:           4
        .value_kind:     by_value
      - .offset:         4
        .size:           8
        .value_kind:     by_value
      - .offset:         16
        .size:           16
        .value_kind:     by_value
    .group_segment_fixed_size: 0
    .kernarg_segment_align: 8
    .kernarg_segment_size: 32
    .language:       OpenCL C
    .language_version:
      - 2
      - 0
    .max_flat_workgroup_size: 256
    .name:           _ZN2at6native29vectorized_elementwise_kernelILi16ENS0_13AUnaryFunctorIhhbNS0_12_GLOBAL__N_116CompareEqFunctorIhEEEESt5arrayIPcLm2EEEEviT0_T1_
    .private_segment_fixed_size: 0
    .sgpr_count:     46
    .sgpr_spill_count: 0
    .symbol:         _ZN2at6native29vectorized_elementwise_kernelILi16ENS0_13AUnaryFunctorIhhbNS0_12_GLOBAL__N_116CompareEqFunctorIhEEEESt5arrayIPcLm2EEEEviT0_T1_.kd
    .uniform_work_group_size: 1
    .uses_dynamic_stack: false
    .vgpr_count:     21
    .vgpr_spill_count: 0
    .wavefront_size: 64
  - .args:
      - .offset:         0
        .size:           4
        .value_kind:     by_value
      - .offset:         4
        .size:           8
        .value_kind:     by_value
      - .offset:         16
        .size:           16
        .value_kind:     by_value
    .group_segment_fixed_size: 0
    .kernarg_segment_align: 8
    .kernarg_segment_size: 32
    .language:       OpenCL C
    .language_version:
      - 2
      - 0
    .max_flat_workgroup_size: 256
    .name:           _ZN2at6native29vectorized_elementwise_kernelILi8ENS0_13AUnaryFunctorIhhbNS0_12_GLOBAL__N_116CompareEqFunctorIhEEEESt5arrayIPcLm2EEEEviT0_T1_
    .private_segment_fixed_size: 0
    .sgpr_count:     46
    .sgpr_spill_count: 0
    .symbol:         _ZN2at6native29vectorized_elementwise_kernelILi8ENS0_13AUnaryFunctorIhhbNS0_12_GLOBAL__N_116CompareEqFunctorIhEEEESt5arrayIPcLm2EEEEviT0_T1_.kd
    .uniform_work_group_size: 1
    .uses_dynamic_stack: false
    .vgpr_count:     21
    .vgpr_spill_count: 0
    .wavefront_size: 64
  - .args:
      - .offset:         0
        .size:           4
        .value_kind:     by_value
      - .offset:         4
        .size:           8
        .value_kind:     by_value
      - .offset:         16
        .size:           16
        .value_kind:     by_value
    .group_segment_fixed_size: 0
    .kernarg_segment_align: 8
    .kernarg_segment_size: 32
    .language:       OpenCL C
    .language_version:
      - 2
      - 0
    .max_flat_workgroup_size: 256
    .name:           _ZN2at6native29vectorized_elementwise_kernelILi4ENS0_13AUnaryFunctorIhhbNS0_12_GLOBAL__N_116CompareEqFunctorIhEEEESt5arrayIPcLm2EEEEviT0_T1_
    .private_segment_fixed_size: 0
    .sgpr_count:     46
    .sgpr_spill_count: 0
    .symbol:         _ZN2at6native29vectorized_elementwise_kernelILi4ENS0_13AUnaryFunctorIhhbNS0_12_GLOBAL__N_116CompareEqFunctorIhEEEESt5arrayIPcLm2EEEEviT0_T1_.kd
    .uniform_work_group_size: 1
    .uses_dynamic_stack: false
    .vgpr_count:     21
    .vgpr_spill_count: 0
    .wavefront_size: 64
  - .args:
      - .offset:         0
        .size:           4
        .value_kind:     by_value
      - .offset:         4
        .size:           8
        .value_kind:     by_value
      - .offset:         16
        .size:           16
        .value_kind:     by_value
    .group_segment_fixed_size: 0
    .kernarg_segment_align: 8
    .kernarg_segment_size: 32
    .language:       OpenCL C
    .language_version:
      - 2
      - 0
    .max_flat_workgroup_size: 256
    .name:           _ZN2at6native29vectorized_elementwise_kernelILi2ENS0_13AUnaryFunctorIhhbNS0_12_GLOBAL__N_116CompareEqFunctorIhEEEESt5arrayIPcLm2EEEEviT0_T1_
    .private_segment_fixed_size: 0
    .sgpr_count:     48
    .sgpr_spill_count: 0
    .symbol:         _ZN2at6native29vectorized_elementwise_kernelILi2ENS0_13AUnaryFunctorIhhbNS0_12_GLOBAL__N_116CompareEqFunctorIhEEEESt5arrayIPcLm2EEEEviT0_T1_.kd
    .uniform_work_group_size: 1
    .uses_dynamic_stack: false
    .vgpr_count:     21
    .vgpr_spill_count: 0
    .wavefront_size: 64
  - .args:
      - .offset:         0
        .size:           4
        .value_kind:     by_value
      - .offset:         4
        .size:           8
        .value_kind:     by_value
      - .offset:         16
        .size:           16
        .value_kind:     by_value
      - .offset:         32
        .size:           1
        .value_kind:     by_value
      - .offset:         33
        .size:           1
        .value_kind:     by_value
      - .offset:         34
        .size:           1
        .value_kind:     by_value
      - .offset:         35
        .size:           1
        .value_kind:     by_value
    .group_segment_fixed_size: 0
    .kernarg_segment_align: 8
    .kernarg_segment_size: 36
    .language:       OpenCL C
    .language_version:
      - 2
      - 0
    .max_flat_workgroup_size: 256
    .name:           _ZN2at6native27unrolled_elementwise_kernelINS0_13AUnaryFunctorIhhbNS0_12_GLOBAL__N_116CompareEqFunctorIhEEEESt5arrayIPcLm2EELi4E23TrivialOffsetCalculatorILi1EjESB_NS0_6memory15LoadWithoutCastENSC_16StoreWithoutCastEEEviT_T0_T2_T3_T4_T5_
    .private_segment_fixed_size: 0
    .sgpr_count:     22
    .sgpr_spill_count: 0
    .symbol:         _ZN2at6native27unrolled_elementwise_kernelINS0_13AUnaryFunctorIhhbNS0_12_GLOBAL__N_116CompareEqFunctorIhEEEESt5arrayIPcLm2EELi4E23TrivialOffsetCalculatorILi1EjESB_NS0_6memory15LoadWithoutCastENSC_16StoreWithoutCastEEEviT_T0_T2_T3_T4_T5_.kd
    .uniform_work_group_size: 1
    .uses_dynamic_stack: false
    .vgpr_count:     8
    .vgpr_spill_count: 0
    .wavefront_size: 64
  - .args:
      - .offset:         0
        .size:           4
        .value_kind:     by_value
      - .offset:         8
        .size:           352
        .value_kind:     by_value
    .group_segment_fixed_size: 0
    .kernarg_segment_align: 8
    .kernarg_segment_size: 360
    .language:       OpenCL C
    .language_version:
      - 2
      - 0
    .max_flat_workgroup_size: 128
    .name:           _ZN2at6native32elementwise_kernel_manual_unrollILi128ELi8EZNS0_22gpu_kernel_impl_nocastINS0_13AUnaryFunctorIhhbNS0_12_GLOBAL__N_116CompareEqFunctorIhEEEEEEvRNS_18TensorIteratorBaseERKT_EUlibE_EEviT1_
    .private_segment_fixed_size: 0
    .sgpr_count:     67
    .sgpr_spill_count: 0
    .symbol:         _ZN2at6native32elementwise_kernel_manual_unrollILi128ELi8EZNS0_22gpu_kernel_impl_nocastINS0_13AUnaryFunctorIhhbNS0_12_GLOBAL__N_116CompareEqFunctorIhEEEEEEvRNS_18TensorIteratorBaseERKT_EUlibE_EEviT1_.kd
    .uniform_work_group_size: 1
    .uses_dynamic_stack: false
    .vgpr_count:     26
    .vgpr_spill_count: 0
    .wavefront_size: 64
  - .args:
      - .offset:         0
        .size:           4
        .value_kind:     by_value
      - .offset:         8
        .size:           40
        .value_kind:     by_value
    .group_segment_fixed_size: 0
    .kernarg_segment_align: 8
    .kernarg_segment_size: 48
    .language:       OpenCL C
    .language_version:
      - 2
      - 0
    .max_flat_workgroup_size: 128
    .name:           _ZN2at6native32elementwise_kernel_manual_unrollILi128ELi4EZNS0_15gpu_kernel_implINS0_13AUnaryFunctorIhhbNS0_12_GLOBAL__N_116CompareEqFunctorIhEEEEEEvRNS_18TensorIteratorBaseERKT_EUlibE_EEviT1_
    .private_segment_fixed_size: 0
    .sgpr_count:     52
    .sgpr_spill_count: 0
    .symbol:         _ZN2at6native32elementwise_kernel_manual_unrollILi128ELi4EZNS0_15gpu_kernel_implINS0_13AUnaryFunctorIhhbNS0_12_GLOBAL__N_116CompareEqFunctorIhEEEEEEvRNS_18TensorIteratorBaseERKT_EUlibE_EEviT1_.kd
    .uniform_work_group_size: 1
    .uses_dynamic_stack: false
    .vgpr_count:     12
    .vgpr_spill_count: 0
    .wavefront_size: 64
  - .args:
      - .offset:         0
        .size:           4
        .value_kind:     by_value
      - .offset:         8
        .size:           360
        .value_kind:     by_value
    .group_segment_fixed_size: 0
    .kernarg_segment_align: 8
    .kernarg_segment_size: 368
    .language:       OpenCL C
    .language_version:
      - 2
      - 0
    .max_flat_workgroup_size: 128
    .name:           _ZN2at6native32elementwise_kernel_manual_unrollILi128ELi4EZNS0_15gpu_kernel_implINS0_13AUnaryFunctorIhhbNS0_12_GLOBAL__N_116CompareEqFunctorIhEEEEEEvRNS_18TensorIteratorBaseERKT_EUlibE0_EEviT1_
    .private_segment_fixed_size: 0
    .sgpr_count:     85
    .sgpr_spill_count: 0
    .symbol:         _ZN2at6native32elementwise_kernel_manual_unrollILi128ELi4EZNS0_15gpu_kernel_implINS0_13AUnaryFunctorIhhbNS0_12_GLOBAL__N_116CompareEqFunctorIhEEEEEEvRNS_18TensorIteratorBaseERKT_EUlibE0_EEviT1_.kd
    .uniform_work_group_size: 1
    .uses_dynamic_stack: false
    .vgpr_count:     18
    .vgpr_spill_count: 0
    .wavefront_size: 64
  - .args:
      - .offset:         0
        .size:           4
        .value_kind:     by_value
      - .offset:         4
        .size:           4
        .value_kind:     by_value
      - .offset:         8
        .size:           24
        .value_kind:     by_value
    .group_segment_fixed_size: 0
    .kernarg_segment_align: 8
    .kernarg_segment_size: 32
    .language:       OpenCL C
    .language_version:
      - 2
      - 0
    .max_flat_workgroup_size: 256
    .name:           _ZN2at6native29vectorized_elementwise_kernelILi16ENS0_13BinaryFunctorIaabNS0_12_GLOBAL__N_116CompareEqFunctorIaEEEESt5arrayIPcLm3EEEEviT0_T1_
    .private_segment_fixed_size: 0
    .sgpr_count:     46
    .sgpr_spill_count: 0
    .symbol:         _ZN2at6native29vectorized_elementwise_kernelILi16ENS0_13BinaryFunctorIaabNS0_12_GLOBAL__N_116CompareEqFunctorIaEEEESt5arrayIPcLm3EEEEviT0_T1_.kd
    .uniform_work_group_size: 1
    .uses_dynamic_stack: false
    .vgpr_count:     39
    .vgpr_spill_count: 0
    .wavefront_size: 64
  - .args:
      - .offset:         0
        .size:           4
        .value_kind:     by_value
      - .offset:         4
        .size:           4
        .value_kind:     by_value
      - .offset:         8
        .size:           24
        .value_kind:     by_value
    .group_segment_fixed_size: 0
    .kernarg_segment_align: 8
    .kernarg_segment_size: 32
    .language:       OpenCL C
    .language_version:
      - 2
      - 0
    .max_flat_workgroup_size: 256
    .name:           _ZN2at6native29vectorized_elementwise_kernelILi8ENS0_13BinaryFunctorIaabNS0_12_GLOBAL__N_116CompareEqFunctorIaEEEESt5arrayIPcLm3EEEEviT0_T1_
    .private_segment_fixed_size: 0
    .sgpr_count:     46
    .sgpr_spill_count: 0
    .symbol:         _ZN2at6native29vectorized_elementwise_kernelILi8ENS0_13BinaryFunctorIaabNS0_12_GLOBAL__N_116CompareEqFunctorIaEEEESt5arrayIPcLm3EEEEviT0_T1_.kd
    .uniform_work_group_size: 1
    .uses_dynamic_stack: false
    .vgpr_count:     39
    .vgpr_spill_count: 0
    .wavefront_size: 64
  - .args:
      - .offset:         0
        .size:           4
        .value_kind:     by_value
      - .offset:         4
        .size:           4
        .value_kind:     by_value
      - .offset:         8
        .size:           24
        .value_kind:     by_value
    .group_segment_fixed_size: 0
    .kernarg_segment_align: 8
    .kernarg_segment_size: 32
    .language:       OpenCL C
    .language_version:
      - 2
      - 0
    .max_flat_workgroup_size: 256
    .name:           _ZN2at6native29vectorized_elementwise_kernelILi4ENS0_13BinaryFunctorIaabNS0_12_GLOBAL__N_116CompareEqFunctorIaEEEESt5arrayIPcLm3EEEEviT0_T1_
    .private_segment_fixed_size: 0
    .sgpr_count:     46
    .sgpr_spill_count: 0
    .symbol:         _ZN2at6native29vectorized_elementwise_kernelILi4ENS0_13BinaryFunctorIaabNS0_12_GLOBAL__N_116CompareEqFunctorIaEEEESt5arrayIPcLm3EEEEviT0_T1_.kd
    .uniform_work_group_size: 1
    .uses_dynamic_stack: false
    .vgpr_count:     39
    .vgpr_spill_count: 0
    .wavefront_size: 64
  - .args:
      - .offset:         0
        .size:           4
        .value_kind:     by_value
      - .offset:         4
        .size:           4
        .value_kind:     by_value
      - .offset:         8
        .size:           24
        .value_kind:     by_value
    .group_segment_fixed_size: 0
    .kernarg_segment_align: 8
    .kernarg_segment_size: 32
    .language:       OpenCL C
    .language_version:
      - 2
      - 0
    .max_flat_workgroup_size: 256
    .name:           _ZN2at6native29vectorized_elementwise_kernelILi2ENS0_13BinaryFunctorIaabNS0_12_GLOBAL__N_116CompareEqFunctorIaEEEESt5arrayIPcLm3EEEEviT0_T1_
    .private_segment_fixed_size: 0
    .sgpr_count:     46
    .sgpr_spill_count: 0
    .symbol:         _ZN2at6native29vectorized_elementwise_kernelILi2ENS0_13BinaryFunctorIaabNS0_12_GLOBAL__N_116CompareEqFunctorIaEEEESt5arrayIPcLm3EEEEviT0_T1_.kd
    .uniform_work_group_size: 1
    .uses_dynamic_stack: false
    .vgpr_count:     39
    .vgpr_spill_count: 0
    .wavefront_size: 64
  - .args:
      - .offset:         0
        .size:           4
        .value_kind:     by_value
      - .offset:         4
        .size:           4
        .value_kind:     by_value
      - .offset:         8
        .size:           24
        .value_kind:     by_value
      - .offset:         32
        .size:           1
        .value_kind:     by_value
      - .offset:         33
        .size:           1
        .value_kind:     by_value
      - .offset:         34
        .size:           1
        .value_kind:     by_value
      - .offset:         35
        .size:           1
        .value_kind:     by_value
    .group_segment_fixed_size: 0
    .kernarg_segment_align: 8
    .kernarg_segment_size: 36
    .language:       OpenCL C
    .language_version:
      - 2
      - 0
    .max_flat_workgroup_size: 256
    .name:           _ZN2at6native27unrolled_elementwise_kernelINS0_13BinaryFunctorIaabNS0_12_GLOBAL__N_116CompareEqFunctorIaEEEESt5arrayIPcLm3EELi4E23TrivialOffsetCalculatorILi2EjESA_ILi1EjENS0_6memory15LoadWithoutCastENSD_16StoreWithoutCastEEEviT_T0_T2_T3_T4_T5_
    .private_segment_fixed_size: 0
    .sgpr_count:     25
    .sgpr_spill_count: 0
    .symbol:         _ZN2at6native27unrolled_elementwise_kernelINS0_13BinaryFunctorIaabNS0_12_GLOBAL__N_116CompareEqFunctorIaEEEESt5arrayIPcLm3EELi4E23TrivialOffsetCalculatorILi2EjESA_ILi1EjENS0_6memory15LoadWithoutCastENSD_16StoreWithoutCastEEEviT_T0_T2_T3_T4_T5_.kd
    .uniform_work_group_size: 1
    .uses_dynamic_stack: false
    .vgpr_count:     12
    .vgpr_spill_count: 0
    .wavefront_size: 64
  - .args:
      - .offset:         0
        .size:           4
        .value_kind:     by_value
      - .offset:         8
        .size:           424
        .value_kind:     by_value
    .group_segment_fixed_size: 0
    .kernarg_segment_align: 8
    .kernarg_segment_size: 432
    .language:       OpenCL C
    .language_version:
      - 2
      - 0
    .max_flat_workgroup_size: 128
    .name:           _ZN2at6native32elementwise_kernel_manual_unrollILi128ELi8EZNS0_22gpu_kernel_impl_nocastINS0_13BinaryFunctorIaabNS0_12_GLOBAL__N_116CompareEqFunctorIaEEEEEEvRNS_18TensorIteratorBaseERKT_EUlibE_EEviT1_
    .private_segment_fixed_size: 0
    .sgpr_count:     56
    .sgpr_spill_count: 0
    .symbol:         _ZN2at6native32elementwise_kernel_manual_unrollILi128ELi8EZNS0_22gpu_kernel_impl_nocastINS0_13BinaryFunctorIaabNS0_12_GLOBAL__N_116CompareEqFunctorIaEEEEEEvRNS_18TensorIteratorBaseERKT_EUlibE_EEviT1_.kd
    .uniform_work_group_size: 1
    .uses_dynamic_stack: false
    .vgpr_count:     42
    .vgpr_spill_count: 0
    .wavefront_size: 64
  - .args:
      - .offset:         0
        .size:           4
        .value_kind:     by_value
      - .offset:         8
        .size:           48
        .value_kind:     by_value
    .group_segment_fixed_size: 0
    .kernarg_segment_align: 8
    .kernarg_segment_size: 56
    .language:       OpenCL C
    .language_version:
      - 2
      - 0
    .max_flat_workgroup_size: 128
    .name:           _ZN2at6native32elementwise_kernel_manual_unrollILi128ELi4EZNS0_15gpu_kernel_implINS0_13BinaryFunctorIaabNS0_12_GLOBAL__N_116CompareEqFunctorIaEEEEEEvRNS_18TensorIteratorBaseERKT_EUlibE_EEviT1_
    .private_segment_fixed_size: 0
    .sgpr_count:     63
    .sgpr_spill_count: 0
    .symbol:         _ZN2at6native32elementwise_kernel_manual_unrollILi128ELi4EZNS0_15gpu_kernel_implINS0_13BinaryFunctorIaabNS0_12_GLOBAL__N_116CompareEqFunctorIaEEEEEEvRNS_18TensorIteratorBaseERKT_EUlibE_EEviT1_.kd
    .uniform_work_group_size: 1
    .uses_dynamic_stack: false
    .vgpr_count:     16
    .vgpr_spill_count: 0
    .wavefront_size: 64
  - .args:
      - .offset:         0
        .size:           4
        .value_kind:     by_value
      - .offset:         8
        .size:           424
        .value_kind:     by_value
    .group_segment_fixed_size: 0
    .kernarg_segment_align: 8
    .kernarg_segment_size: 432
    .language:       OpenCL C
    .language_version:
      - 2
      - 0
    .max_flat_workgroup_size: 128
    .name:           _ZN2at6native32elementwise_kernel_manual_unrollILi128ELi4EZNS0_15gpu_kernel_implINS0_13BinaryFunctorIaabNS0_12_GLOBAL__N_116CompareEqFunctorIaEEEEEEvRNS_18TensorIteratorBaseERKT_EUlibE0_EEviT1_
    .private_segment_fixed_size: 0
    .sgpr_count:     84
    .sgpr_spill_count: 0
    .symbol:         _ZN2at6native32elementwise_kernel_manual_unrollILi128ELi4EZNS0_15gpu_kernel_implINS0_13BinaryFunctorIaabNS0_12_GLOBAL__N_116CompareEqFunctorIaEEEEEEvRNS_18TensorIteratorBaseERKT_EUlibE0_EEviT1_.kd
    .uniform_work_group_size: 1
    .uses_dynamic_stack: false
    .vgpr_count:     23
    .vgpr_spill_count: 0
    .wavefront_size: 64
  - .args:
      - .offset:         0
        .size:           4
        .value_kind:     by_value
      - .offset:         4
        .size:           8
        .value_kind:     by_value
      - .offset:         16
        .size:           16
        .value_kind:     by_value
    .group_segment_fixed_size: 0
    .kernarg_segment_align: 8
    .kernarg_segment_size: 32
    .language:       OpenCL C
    .language_version:
      - 2
      - 0
    .max_flat_workgroup_size: 256
    .name:           _ZN2at6native29vectorized_elementwise_kernelILi16ENS0_13AUnaryFunctorIaabNS0_12_GLOBAL__N_116CompareEqFunctorIaEEEESt5arrayIPcLm2EEEEviT0_T1_
    .private_segment_fixed_size: 0
    .sgpr_count:     46
    .sgpr_spill_count: 0
    .symbol:         _ZN2at6native29vectorized_elementwise_kernelILi16ENS0_13AUnaryFunctorIaabNS0_12_GLOBAL__N_116CompareEqFunctorIaEEEESt5arrayIPcLm2EEEEviT0_T1_.kd
    .uniform_work_group_size: 1
    .uses_dynamic_stack: false
    .vgpr_count:     21
    .vgpr_spill_count: 0
    .wavefront_size: 64
  - .args:
      - .offset:         0
        .size:           4
        .value_kind:     by_value
      - .offset:         4
        .size:           8
        .value_kind:     by_value
      - .offset:         16
        .size:           16
        .value_kind:     by_value
    .group_segment_fixed_size: 0
    .kernarg_segment_align: 8
    .kernarg_segment_size: 32
    .language:       OpenCL C
    .language_version:
      - 2
      - 0
    .max_flat_workgroup_size: 256
    .name:           _ZN2at6native29vectorized_elementwise_kernelILi8ENS0_13AUnaryFunctorIaabNS0_12_GLOBAL__N_116CompareEqFunctorIaEEEESt5arrayIPcLm2EEEEviT0_T1_
    .private_segment_fixed_size: 0
    .sgpr_count:     46
    .sgpr_spill_count: 0
    .symbol:         _ZN2at6native29vectorized_elementwise_kernelILi8ENS0_13AUnaryFunctorIaabNS0_12_GLOBAL__N_116CompareEqFunctorIaEEEESt5arrayIPcLm2EEEEviT0_T1_.kd
    .uniform_work_group_size: 1
    .uses_dynamic_stack: false
    .vgpr_count:     21
    .vgpr_spill_count: 0
    .wavefront_size: 64
  - .args:
      - .offset:         0
        .size:           4
        .value_kind:     by_value
      - .offset:         4
        .size:           8
        .value_kind:     by_value
      - .offset:         16
        .size:           16
        .value_kind:     by_value
    .group_segment_fixed_size: 0
    .kernarg_segment_align: 8
    .kernarg_segment_size: 32
    .language:       OpenCL C
    .language_version:
      - 2
      - 0
    .max_flat_workgroup_size: 256
    .name:           _ZN2at6native29vectorized_elementwise_kernelILi4ENS0_13AUnaryFunctorIaabNS0_12_GLOBAL__N_116CompareEqFunctorIaEEEESt5arrayIPcLm2EEEEviT0_T1_
    .private_segment_fixed_size: 0
    .sgpr_count:     46
    .sgpr_spill_count: 0
    .symbol:         _ZN2at6native29vectorized_elementwise_kernelILi4ENS0_13AUnaryFunctorIaabNS0_12_GLOBAL__N_116CompareEqFunctorIaEEEESt5arrayIPcLm2EEEEviT0_T1_.kd
    .uniform_work_group_size: 1
    .uses_dynamic_stack: false
    .vgpr_count:     21
    .vgpr_spill_count: 0
    .wavefront_size: 64
  - .args:
      - .offset:         0
        .size:           4
        .value_kind:     by_value
      - .offset:         4
        .size:           8
        .value_kind:     by_value
      - .offset:         16
        .size:           16
        .value_kind:     by_value
    .group_segment_fixed_size: 0
    .kernarg_segment_align: 8
    .kernarg_segment_size: 32
    .language:       OpenCL C
    .language_version:
      - 2
      - 0
    .max_flat_workgroup_size: 256
    .name:           _ZN2at6native29vectorized_elementwise_kernelILi2ENS0_13AUnaryFunctorIaabNS0_12_GLOBAL__N_116CompareEqFunctorIaEEEESt5arrayIPcLm2EEEEviT0_T1_
    .private_segment_fixed_size: 0
    .sgpr_count:     48
    .sgpr_spill_count: 0
    .symbol:         _ZN2at6native29vectorized_elementwise_kernelILi2ENS0_13AUnaryFunctorIaabNS0_12_GLOBAL__N_116CompareEqFunctorIaEEEESt5arrayIPcLm2EEEEviT0_T1_.kd
    .uniform_work_group_size: 1
    .uses_dynamic_stack: false
    .vgpr_count:     21
    .vgpr_spill_count: 0
    .wavefront_size: 64
  - .args:
      - .offset:         0
        .size:           4
        .value_kind:     by_value
      - .offset:         4
        .size:           8
        .value_kind:     by_value
      - .offset:         16
        .size:           16
        .value_kind:     by_value
      - .offset:         32
        .size:           1
        .value_kind:     by_value
      - .offset:         33
        .size:           1
        .value_kind:     by_value
      - .offset:         34
        .size:           1
        .value_kind:     by_value
      - .offset:         35
        .size:           1
        .value_kind:     by_value
    .group_segment_fixed_size: 0
    .kernarg_segment_align: 8
    .kernarg_segment_size: 36
    .language:       OpenCL C
    .language_version:
      - 2
      - 0
    .max_flat_workgroup_size: 256
    .name:           _ZN2at6native27unrolled_elementwise_kernelINS0_13AUnaryFunctorIaabNS0_12_GLOBAL__N_116CompareEqFunctorIaEEEESt5arrayIPcLm2EELi4E23TrivialOffsetCalculatorILi1EjESB_NS0_6memory15LoadWithoutCastENSC_16StoreWithoutCastEEEviT_T0_T2_T3_T4_T5_
    .private_segment_fixed_size: 0
    .sgpr_count:     22
    .sgpr_spill_count: 0
    .symbol:         _ZN2at6native27unrolled_elementwise_kernelINS0_13AUnaryFunctorIaabNS0_12_GLOBAL__N_116CompareEqFunctorIaEEEESt5arrayIPcLm2EELi4E23TrivialOffsetCalculatorILi1EjESB_NS0_6memory15LoadWithoutCastENSC_16StoreWithoutCastEEEviT_T0_T2_T3_T4_T5_.kd
    .uniform_work_group_size: 1
    .uses_dynamic_stack: false
    .vgpr_count:     8
    .vgpr_spill_count: 0
    .wavefront_size: 64
  - .args:
      - .offset:         0
        .size:           4
        .value_kind:     by_value
      - .offset:         8
        .size:           352
        .value_kind:     by_value
    .group_segment_fixed_size: 0
    .kernarg_segment_align: 8
    .kernarg_segment_size: 360
    .language:       OpenCL C
    .language_version:
      - 2
      - 0
    .max_flat_workgroup_size: 128
    .name:           _ZN2at6native32elementwise_kernel_manual_unrollILi128ELi8EZNS0_22gpu_kernel_impl_nocastINS0_13AUnaryFunctorIaabNS0_12_GLOBAL__N_116CompareEqFunctorIaEEEEEEvRNS_18TensorIteratorBaseERKT_EUlibE_EEviT1_
    .private_segment_fixed_size: 0
    .sgpr_count:     67
    .sgpr_spill_count: 0
    .symbol:         _ZN2at6native32elementwise_kernel_manual_unrollILi128ELi8EZNS0_22gpu_kernel_impl_nocastINS0_13AUnaryFunctorIaabNS0_12_GLOBAL__N_116CompareEqFunctorIaEEEEEEvRNS_18TensorIteratorBaseERKT_EUlibE_EEviT1_.kd
    .uniform_work_group_size: 1
    .uses_dynamic_stack: false
    .vgpr_count:     26
    .vgpr_spill_count: 0
    .wavefront_size: 64
  - .args:
      - .offset:         0
        .size:           4
        .value_kind:     by_value
      - .offset:         8
        .size:           40
        .value_kind:     by_value
    .group_segment_fixed_size: 0
    .kernarg_segment_align: 8
    .kernarg_segment_size: 48
    .language:       OpenCL C
    .language_version:
      - 2
      - 0
    .max_flat_workgroup_size: 128
    .name:           _ZN2at6native32elementwise_kernel_manual_unrollILi128ELi4EZNS0_15gpu_kernel_implINS0_13AUnaryFunctorIaabNS0_12_GLOBAL__N_116CompareEqFunctorIaEEEEEEvRNS_18TensorIteratorBaseERKT_EUlibE_EEviT1_
    .private_segment_fixed_size: 0
    .sgpr_count:     52
    .sgpr_spill_count: 0
    .symbol:         _ZN2at6native32elementwise_kernel_manual_unrollILi128ELi4EZNS0_15gpu_kernel_implINS0_13AUnaryFunctorIaabNS0_12_GLOBAL__N_116CompareEqFunctorIaEEEEEEvRNS_18TensorIteratorBaseERKT_EUlibE_EEviT1_.kd
    .uniform_work_group_size: 1
    .uses_dynamic_stack: false
    .vgpr_count:     12
    .vgpr_spill_count: 0
    .wavefront_size: 64
  - .args:
      - .offset:         0
        .size:           4
        .value_kind:     by_value
      - .offset:         8
        .size:           360
        .value_kind:     by_value
    .group_segment_fixed_size: 0
    .kernarg_segment_align: 8
    .kernarg_segment_size: 368
    .language:       OpenCL C
    .language_version:
      - 2
      - 0
    .max_flat_workgroup_size: 128
    .name:           _ZN2at6native32elementwise_kernel_manual_unrollILi128ELi4EZNS0_15gpu_kernel_implINS0_13AUnaryFunctorIaabNS0_12_GLOBAL__N_116CompareEqFunctorIaEEEEEEvRNS_18TensorIteratorBaseERKT_EUlibE0_EEviT1_
    .private_segment_fixed_size: 0
    .sgpr_count:     85
    .sgpr_spill_count: 0
    .symbol:         _ZN2at6native32elementwise_kernel_manual_unrollILi128ELi4EZNS0_15gpu_kernel_implINS0_13AUnaryFunctorIaabNS0_12_GLOBAL__N_116CompareEqFunctorIaEEEEEEvRNS_18TensorIteratorBaseERKT_EUlibE0_EEviT1_.kd
    .uniform_work_group_size: 1
    .uses_dynamic_stack: false
    .vgpr_count:     18
    .vgpr_spill_count: 0
    .wavefront_size: 64
  - .args:
      - .offset:         0
        .size:           4
        .value_kind:     by_value
      - .offset:         4
        .size:           4
        .value_kind:     by_value
      - .offset:         8
        .size:           24
        .value_kind:     by_value
    .group_segment_fixed_size: 0
    .kernarg_segment_align: 8
    .kernarg_segment_size: 32
    .language:       OpenCL C
    .language_version:
      - 2
      - 0
    .max_flat_workgroup_size: 256
    .name:           _ZN2at6native29vectorized_elementwise_kernelILi16ENS0_13BinaryFunctorIiibNS0_12_GLOBAL__N_116CompareEqFunctorIiEEEESt5arrayIPcLm3EEEEviT0_T1_
    .private_segment_fixed_size: 0
    .sgpr_count:     52
    .sgpr_spill_count: 0
    .symbol:         _ZN2at6native29vectorized_elementwise_kernelILi16ENS0_13BinaryFunctorIiibNS0_12_GLOBAL__N_116CompareEqFunctorIiEEEESt5arrayIPcLm3EEEEviT0_T1_.kd
    .uniform_work_group_size: 1
    .uses_dynamic_stack: false
    .vgpr_count:     39
    .vgpr_spill_count: 0
    .wavefront_size: 64
  - .args:
      - .offset:         0
        .size:           4
        .value_kind:     by_value
      - .offset:         4
        .size:           4
        .value_kind:     by_value
      - .offset:         8
        .size:           24
        .value_kind:     by_value
    .group_segment_fixed_size: 0
    .kernarg_segment_align: 8
    .kernarg_segment_size: 32
    .language:       OpenCL C
    .language_version:
      - 2
      - 0
    .max_flat_workgroup_size: 256
    .name:           _ZN2at6native29vectorized_elementwise_kernelILi8ENS0_13BinaryFunctorIiibNS0_12_GLOBAL__N_116CompareEqFunctorIiEEEESt5arrayIPcLm3EEEEviT0_T1_
    .private_segment_fixed_size: 0
    .sgpr_count:     52
    .sgpr_spill_count: 0
    .symbol:         _ZN2at6native29vectorized_elementwise_kernelILi8ENS0_13BinaryFunctorIiibNS0_12_GLOBAL__N_116CompareEqFunctorIiEEEESt5arrayIPcLm3EEEEviT0_T1_.kd
    .uniform_work_group_size: 1
    .uses_dynamic_stack: false
    .vgpr_count:     39
    .vgpr_spill_count: 0
    .wavefront_size: 64
  - .args:
      - .offset:         0
        .size:           4
        .value_kind:     by_value
      - .offset:         4
        .size:           4
        .value_kind:     by_value
      - .offset:         8
        .size:           24
        .value_kind:     by_value
    .group_segment_fixed_size: 0
    .kernarg_segment_align: 8
    .kernarg_segment_size: 32
    .language:       OpenCL C
    .language_version:
      - 2
      - 0
    .max_flat_workgroup_size: 256
    .name:           _ZN2at6native29vectorized_elementwise_kernelILi4ENS0_13BinaryFunctorIiibNS0_12_GLOBAL__N_116CompareEqFunctorIiEEEESt5arrayIPcLm3EEEEviT0_T1_
    .private_segment_fixed_size: 0
    .sgpr_count:     52
    .sgpr_spill_count: 0
    .symbol:         _ZN2at6native29vectorized_elementwise_kernelILi4ENS0_13BinaryFunctorIiibNS0_12_GLOBAL__N_116CompareEqFunctorIiEEEESt5arrayIPcLm3EEEEviT0_T1_.kd
    .uniform_work_group_size: 1
    .uses_dynamic_stack: false
    .vgpr_count:     39
    .vgpr_spill_count: 0
    .wavefront_size: 64
  - .args:
      - .offset:         0
        .size:           4
        .value_kind:     by_value
      - .offset:         4
        .size:           4
        .value_kind:     by_value
      - .offset:         8
        .size:           24
        .value_kind:     by_value
    .group_segment_fixed_size: 0
    .kernarg_segment_align: 8
    .kernarg_segment_size: 32
    .language:       OpenCL C
    .language_version:
      - 2
      - 0
    .max_flat_workgroup_size: 256
    .name:           _ZN2at6native29vectorized_elementwise_kernelILi2ENS0_13BinaryFunctorIiibNS0_12_GLOBAL__N_116CompareEqFunctorIiEEEESt5arrayIPcLm3EEEEviT0_T1_
    .private_segment_fixed_size: 0
    .sgpr_count:     52
    .sgpr_spill_count: 0
    .symbol:         _ZN2at6native29vectorized_elementwise_kernelILi2ENS0_13BinaryFunctorIiibNS0_12_GLOBAL__N_116CompareEqFunctorIiEEEESt5arrayIPcLm3EEEEviT0_T1_.kd
    .uniform_work_group_size: 1
    .uses_dynamic_stack: false
    .vgpr_count:     39
    .vgpr_spill_count: 0
    .wavefront_size: 64
  - .args:
      - .offset:         0
        .size:           4
        .value_kind:     by_value
      - .offset:         4
        .size:           4
        .value_kind:     by_value
      - .offset:         8
        .size:           24
        .value_kind:     by_value
      - .offset:         32
        .size:           1
        .value_kind:     by_value
      - .offset:         33
        .size:           1
        .value_kind:     by_value
      - .offset:         34
        .size:           1
        .value_kind:     by_value
      - .offset:         35
        .size:           1
        .value_kind:     by_value
    .group_segment_fixed_size: 0
    .kernarg_segment_align: 8
    .kernarg_segment_size: 36
    .language:       OpenCL C
    .language_version:
      - 2
      - 0
    .max_flat_workgroup_size: 256
    .name:           _ZN2at6native27unrolled_elementwise_kernelINS0_13BinaryFunctorIiibNS0_12_GLOBAL__N_116CompareEqFunctorIiEEEESt5arrayIPcLm3EELi4E23TrivialOffsetCalculatorILi2EjESA_ILi1EjENS0_6memory15LoadWithoutCastENSD_16StoreWithoutCastEEEviT_T0_T2_T3_T4_T5_
    .private_segment_fixed_size: 0
    .sgpr_count:     25
    .sgpr_spill_count: 0
    .symbol:         _ZN2at6native27unrolled_elementwise_kernelINS0_13BinaryFunctorIiibNS0_12_GLOBAL__N_116CompareEqFunctorIiEEEESt5arrayIPcLm3EELi4E23TrivialOffsetCalculatorILi2EjESA_ILi1EjENS0_6memory15LoadWithoutCastENSD_16StoreWithoutCastEEEviT_T0_T2_T3_T4_T5_.kd
    .uniform_work_group_size: 1
    .uses_dynamic_stack: false
    .vgpr_count:     15
    .vgpr_spill_count: 0
    .wavefront_size: 64
  - .args:
      - .offset:         0
        .size:           4
        .value_kind:     by_value
      - .offset:         8
        .size:           424
        .value_kind:     by_value
    .group_segment_fixed_size: 0
    .kernarg_segment_align: 8
    .kernarg_segment_size: 432
    .language:       OpenCL C
    .language_version:
      - 2
      - 0
    .max_flat_workgroup_size: 128
    .name:           _ZN2at6native32elementwise_kernel_manual_unrollILi128ELi8EZNS0_22gpu_kernel_impl_nocastINS0_13BinaryFunctorIiibNS0_12_GLOBAL__N_116CompareEqFunctorIiEEEEEEvRNS_18TensorIteratorBaseERKT_EUlibE_EEviT1_
    .private_segment_fixed_size: 0
    .sgpr_count:     56
    .sgpr_spill_count: 0
    .symbol:         _ZN2at6native32elementwise_kernel_manual_unrollILi128ELi8EZNS0_22gpu_kernel_impl_nocastINS0_13BinaryFunctorIiibNS0_12_GLOBAL__N_116CompareEqFunctorIiEEEEEEvRNS_18TensorIteratorBaseERKT_EUlibE_EEviT1_.kd
    .uniform_work_group_size: 1
    .uses_dynamic_stack: false
    .vgpr_count:     42
    .vgpr_spill_count: 0
    .wavefront_size: 64
  - .args:
      - .offset:         0
        .size:           4
        .value_kind:     by_value
      - .offset:         8
        .size:           48
        .value_kind:     by_value
    .group_segment_fixed_size: 0
    .kernarg_segment_align: 8
    .kernarg_segment_size: 56
    .language:       OpenCL C
    .language_version:
      - 2
      - 0
    .max_flat_workgroup_size: 128
    .name:           _ZN2at6native32elementwise_kernel_manual_unrollILi128ELi4EZNS0_15gpu_kernel_implINS0_13BinaryFunctorIiibNS0_12_GLOBAL__N_116CompareEqFunctorIiEEEEEEvRNS_18TensorIteratorBaseERKT_EUlibE_EEviT1_
    .private_segment_fixed_size: 0
    .sgpr_count:     63
    .sgpr_spill_count: 0
    .symbol:         _ZN2at6native32elementwise_kernel_manual_unrollILi128ELi4EZNS0_15gpu_kernel_implINS0_13BinaryFunctorIiibNS0_12_GLOBAL__N_116CompareEqFunctorIiEEEEEEvRNS_18TensorIteratorBaseERKT_EUlibE_EEviT1_.kd
    .uniform_work_group_size: 1
    .uses_dynamic_stack: false
    .vgpr_count:     16
    .vgpr_spill_count: 0
    .wavefront_size: 64
  - .args:
      - .offset:         0
        .size:           4
        .value_kind:     by_value
      - .offset:         8
        .size:           424
        .value_kind:     by_value
    .group_segment_fixed_size: 0
    .kernarg_segment_align: 8
    .kernarg_segment_size: 432
    .language:       OpenCL C
    .language_version:
      - 2
      - 0
    .max_flat_workgroup_size: 128
    .name:           _ZN2at6native32elementwise_kernel_manual_unrollILi128ELi4EZNS0_15gpu_kernel_implINS0_13BinaryFunctorIiibNS0_12_GLOBAL__N_116CompareEqFunctorIiEEEEEEvRNS_18TensorIteratorBaseERKT_EUlibE0_EEviT1_
    .private_segment_fixed_size: 0
    .sgpr_count:     84
    .sgpr_spill_count: 0
    .symbol:         _ZN2at6native32elementwise_kernel_manual_unrollILi128ELi4EZNS0_15gpu_kernel_implINS0_13BinaryFunctorIiibNS0_12_GLOBAL__N_116CompareEqFunctorIiEEEEEEvRNS_18TensorIteratorBaseERKT_EUlibE0_EEviT1_.kd
    .uniform_work_group_size: 1
    .uses_dynamic_stack: false
    .vgpr_count:     24
    .vgpr_spill_count: 0
    .wavefront_size: 64
  - .args:
      - .offset:         0
        .size:           4
        .value_kind:     by_value
      - .offset:         4
        .size:           8
        .value_kind:     by_value
      - .offset:         16
        .size:           16
        .value_kind:     by_value
    .group_segment_fixed_size: 0
    .kernarg_segment_align: 8
    .kernarg_segment_size: 32
    .language:       OpenCL C
    .language_version:
      - 2
      - 0
    .max_flat_workgroup_size: 256
    .name:           _ZN2at6native29vectorized_elementwise_kernelILi16ENS0_13AUnaryFunctorIiibNS0_12_GLOBAL__N_116CompareEqFunctorIiEEEESt5arrayIPcLm2EEEEviT0_T1_
    .private_segment_fixed_size: 0
    .sgpr_count:     52
    .sgpr_spill_count: 0
    .symbol:         _ZN2at6native29vectorized_elementwise_kernelILi16ENS0_13AUnaryFunctorIiibNS0_12_GLOBAL__N_116CompareEqFunctorIiEEEESt5arrayIPcLm2EEEEviT0_T1_.kd
    .uniform_work_group_size: 1
    .uses_dynamic_stack: false
    .vgpr_count:     22
    .vgpr_spill_count: 0
    .wavefront_size: 64
  - .args:
      - .offset:         0
        .size:           4
        .value_kind:     by_value
      - .offset:         4
        .size:           8
        .value_kind:     by_value
      - .offset:         16
        .size:           16
        .value_kind:     by_value
    .group_segment_fixed_size: 0
    .kernarg_segment_align: 8
    .kernarg_segment_size: 32
    .language:       OpenCL C
    .language_version:
      - 2
      - 0
    .max_flat_workgroup_size: 256
    .name:           _ZN2at6native29vectorized_elementwise_kernelILi8ENS0_13AUnaryFunctorIiibNS0_12_GLOBAL__N_116CompareEqFunctorIiEEEESt5arrayIPcLm2EEEEviT0_T1_
    .private_segment_fixed_size: 0
    .sgpr_count:     50
    .sgpr_spill_count: 0
    .symbol:         _ZN2at6native29vectorized_elementwise_kernelILi8ENS0_13AUnaryFunctorIiibNS0_12_GLOBAL__N_116CompareEqFunctorIiEEEESt5arrayIPcLm2EEEEviT0_T1_.kd
    .uniform_work_group_size: 1
    .uses_dynamic_stack: false
    .vgpr_count:     22
    .vgpr_spill_count: 0
    .wavefront_size: 64
  - .args:
      - .offset:         0
        .size:           4
        .value_kind:     by_value
      - .offset:         4
        .size:           8
        .value_kind:     by_value
      - .offset:         16
        .size:           16
        .value_kind:     by_value
    .group_segment_fixed_size: 0
    .kernarg_segment_align: 8
    .kernarg_segment_size: 32
    .language:       OpenCL C
    .language_version:
      - 2
      - 0
    .max_flat_workgroup_size: 256
    .name:           _ZN2at6native29vectorized_elementwise_kernelILi4ENS0_13AUnaryFunctorIiibNS0_12_GLOBAL__N_116CompareEqFunctorIiEEEESt5arrayIPcLm2EEEEviT0_T1_
    .private_segment_fixed_size: 0
    .sgpr_count:     50
    .sgpr_spill_count: 0
    .symbol:         _ZN2at6native29vectorized_elementwise_kernelILi4ENS0_13AUnaryFunctorIiibNS0_12_GLOBAL__N_116CompareEqFunctorIiEEEESt5arrayIPcLm2EEEEviT0_T1_.kd
    .uniform_work_group_size: 1
    .uses_dynamic_stack: false
    .vgpr_count:     22
    .vgpr_spill_count: 0
    .wavefront_size: 64
  - .args:
      - .offset:         0
        .size:           4
        .value_kind:     by_value
      - .offset:         4
        .size:           8
        .value_kind:     by_value
      - .offset:         16
        .size:           16
        .value_kind:     by_value
    .group_segment_fixed_size: 0
    .kernarg_segment_align: 8
    .kernarg_segment_size: 32
    .language:       OpenCL C
    .language_version:
      - 2
      - 0
    .max_flat_workgroup_size: 256
    .name:           _ZN2at6native29vectorized_elementwise_kernelILi2ENS0_13AUnaryFunctorIiibNS0_12_GLOBAL__N_116CompareEqFunctorIiEEEESt5arrayIPcLm2EEEEviT0_T1_
    .private_segment_fixed_size: 0
    .sgpr_count:     50
    .sgpr_spill_count: 0
    .symbol:         _ZN2at6native29vectorized_elementwise_kernelILi2ENS0_13AUnaryFunctorIiibNS0_12_GLOBAL__N_116CompareEqFunctorIiEEEESt5arrayIPcLm2EEEEviT0_T1_.kd
    .uniform_work_group_size: 1
    .uses_dynamic_stack: false
    .vgpr_count:     22
    .vgpr_spill_count: 0
    .wavefront_size: 64
  - .args:
      - .offset:         0
        .size:           4
        .value_kind:     by_value
      - .offset:         4
        .size:           8
        .value_kind:     by_value
      - .offset:         16
        .size:           16
        .value_kind:     by_value
      - .offset:         32
        .size:           1
        .value_kind:     by_value
      - .offset:         33
        .size:           1
        .value_kind:     by_value
      - .offset:         34
        .size:           1
        .value_kind:     by_value
      - .offset:         35
        .size:           1
        .value_kind:     by_value
    .group_segment_fixed_size: 0
    .kernarg_segment_align: 8
    .kernarg_segment_size: 36
    .language:       OpenCL C
    .language_version:
      - 2
      - 0
    .max_flat_workgroup_size: 256
    .name:           _ZN2at6native27unrolled_elementwise_kernelINS0_13AUnaryFunctorIiibNS0_12_GLOBAL__N_116CompareEqFunctorIiEEEESt5arrayIPcLm2EELi4E23TrivialOffsetCalculatorILi1EjESB_NS0_6memory15LoadWithoutCastENSC_16StoreWithoutCastEEEviT_T0_T2_T3_T4_T5_
    .private_segment_fixed_size: 0
    .sgpr_count:     22
    .sgpr_spill_count: 0
    .symbol:         _ZN2at6native27unrolled_elementwise_kernelINS0_13AUnaryFunctorIiibNS0_12_GLOBAL__N_116CompareEqFunctorIiEEEESt5arrayIPcLm2EELi4E23TrivialOffsetCalculatorILi1EjESB_NS0_6memory15LoadWithoutCastENSC_16StoreWithoutCastEEEviT_T0_T2_T3_T4_T5_.kd
    .uniform_work_group_size: 1
    .uses_dynamic_stack: false
    .vgpr_count:     9
    .vgpr_spill_count: 0
    .wavefront_size: 64
  - .args:
      - .offset:         0
        .size:           4
        .value_kind:     by_value
      - .offset:         8
        .size:           352
        .value_kind:     by_value
    .group_segment_fixed_size: 0
    .kernarg_segment_align: 8
    .kernarg_segment_size: 360
    .language:       OpenCL C
    .language_version:
      - 2
      - 0
    .max_flat_workgroup_size: 128
    .name:           _ZN2at6native32elementwise_kernel_manual_unrollILi128ELi8EZNS0_22gpu_kernel_impl_nocastINS0_13AUnaryFunctorIiibNS0_12_GLOBAL__N_116CompareEqFunctorIiEEEEEEvRNS_18TensorIteratorBaseERKT_EUlibE_EEviT1_
    .private_segment_fixed_size: 0
    .sgpr_count:     67
    .sgpr_spill_count: 0
    .symbol:         _ZN2at6native32elementwise_kernel_manual_unrollILi128ELi8EZNS0_22gpu_kernel_impl_nocastINS0_13AUnaryFunctorIiibNS0_12_GLOBAL__N_116CompareEqFunctorIiEEEEEEvRNS_18TensorIteratorBaseERKT_EUlibE_EEviT1_.kd
    .uniform_work_group_size: 1
    .uses_dynamic_stack: false
    .vgpr_count:     26
    .vgpr_spill_count: 0
    .wavefront_size: 64
  - .args:
      - .offset:         0
        .size:           4
        .value_kind:     by_value
      - .offset:         8
        .size:           40
        .value_kind:     by_value
    .group_segment_fixed_size: 0
    .kernarg_segment_align: 8
    .kernarg_segment_size: 48
    .language:       OpenCL C
    .language_version:
      - 2
      - 0
    .max_flat_workgroup_size: 128
    .name:           _ZN2at6native32elementwise_kernel_manual_unrollILi128ELi4EZNS0_15gpu_kernel_implINS0_13AUnaryFunctorIiibNS0_12_GLOBAL__N_116CompareEqFunctorIiEEEEEEvRNS_18TensorIteratorBaseERKT_EUlibE_EEviT1_
    .private_segment_fixed_size: 0
    .sgpr_count:     54
    .sgpr_spill_count: 0
    .symbol:         _ZN2at6native32elementwise_kernel_manual_unrollILi128ELi4EZNS0_15gpu_kernel_implINS0_13AUnaryFunctorIiibNS0_12_GLOBAL__N_116CompareEqFunctorIiEEEEEEvRNS_18TensorIteratorBaseERKT_EUlibE_EEviT1_.kd
    .uniform_work_group_size: 1
    .uses_dynamic_stack: false
    .vgpr_count:     12
    .vgpr_spill_count: 0
    .wavefront_size: 64
  - .args:
      - .offset:         0
        .size:           4
        .value_kind:     by_value
      - .offset:         8
        .size:           360
        .value_kind:     by_value
    .group_segment_fixed_size: 0
    .kernarg_segment_align: 8
    .kernarg_segment_size: 368
    .language:       OpenCL C
    .language_version:
      - 2
      - 0
    .max_flat_workgroup_size: 128
    .name:           _ZN2at6native32elementwise_kernel_manual_unrollILi128ELi4EZNS0_15gpu_kernel_implINS0_13AUnaryFunctorIiibNS0_12_GLOBAL__N_116CompareEqFunctorIiEEEEEEvRNS_18TensorIteratorBaseERKT_EUlibE0_EEviT1_
    .private_segment_fixed_size: 0
    .sgpr_count:     85
    .sgpr_spill_count: 0
    .symbol:         _ZN2at6native32elementwise_kernel_manual_unrollILi128ELi4EZNS0_15gpu_kernel_implINS0_13AUnaryFunctorIiibNS0_12_GLOBAL__N_116CompareEqFunctorIiEEEEEEvRNS_18TensorIteratorBaseERKT_EUlibE0_EEviT1_.kd
    .uniform_work_group_size: 1
    .uses_dynamic_stack: false
    .vgpr_count:     18
    .vgpr_spill_count: 0
    .wavefront_size: 64
  - .args:
      - .offset:         0
        .size:           4
        .value_kind:     by_value
      - .offset:         4
        .size:           4
        .value_kind:     by_value
      - .offset:         8
        .size:           24
        .value_kind:     by_value
    .group_segment_fixed_size: 0
    .kernarg_segment_align: 8
    .kernarg_segment_size: 32
    .language:       OpenCL C
    .language_version:
      - 2
      - 0
    .max_flat_workgroup_size: 256
    .name:           _ZN2at6native29vectorized_elementwise_kernelILi16ENS0_13BinaryFunctorIllbNS0_12_GLOBAL__N_116CompareEqFunctorIlEEEESt5arrayIPcLm3EEEEviT0_T1_
    .private_segment_fixed_size: 0
    .sgpr_count:     52
    .sgpr_spill_count: 0
    .symbol:         _ZN2at6native29vectorized_elementwise_kernelILi16ENS0_13BinaryFunctorIllbNS0_12_GLOBAL__N_116CompareEqFunctorIlEEEESt5arrayIPcLm3EEEEviT0_T1_.kd
    .uniform_work_group_size: 1
    .uses_dynamic_stack: false
    .vgpr_count:     18
    .vgpr_spill_count: 0
    .wavefront_size: 64
  - .args:
      - .offset:         0
        .size:           4
        .value_kind:     by_value
      - .offset:         4
        .size:           4
        .value_kind:     by_value
      - .offset:         8
        .size:           24
        .value_kind:     by_value
    .group_segment_fixed_size: 0
    .kernarg_segment_align: 8
    .kernarg_segment_size: 32
    .language:       OpenCL C
    .language_version:
      - 2
      - 0
    .max_flat_workgroup_size: 256
    .name:           _ZN2at6native29vectorized_elementwise_kernelILi8ENS0_13BinaryFunctorIllbNS0_12_GLOBAL__N_116CompareEqFunctorIlEEEESt5arrayIPcLm3EEEEviT0_T1_
    .private_segment_fixed_size: 0
    .sgpr_count:     52
    .sgpr_spill_count: 0
    .symbol:         _ZN2at6native29vectorized_elementwise_kernelILi8ENS0_13BinaryFunctorIllbNS0_12_GLOBAL__N_116CompareEqFunctorIlEEEESt5arrayIPcLm3EEEEviT0_T1_.kd
    .uniform_work_group_size: 1
    .uses_dynamic_stack: false
    .vgpr_count:     21
    .vgpr_spill_count: 0
    .wavefront_size: 64
  - .args:
      - .offset:         0
        .size:           4
        .value_kind:     by_value
      - .offset:         4
        .size:           4
        .value_kind:     by_value
      - .offset:         8
        .size:           24
        .value_kind:     by_value
    .group_segment_fixed_size: 0
    .kernarg_segment_align: 8
    .kernarg_segment_size: 32
    .language:       OpenCL C
    .language_version:
      - 2
      - 0
    .max_flat_workgroup_size: 256
    .name:           _ZN2at6native29vectorized_elementwise_kernelILi4ENS0_13BinaryFunctorIllbNS0_12_GLOBAL__N_116CompareEqFunctorIlEEEESt5arrayIPcLm3EEEEviT0_T1_
    .private_segment_fixed_size: 0
    .sgpr_count:     52
    .sgpr_spill_count: 0
    .symbol:         _ZN2at6native29vectorized_elementwise_kernelILi4ENS0_13BinaryFunctorIllbNS0_12_GLOBAL__N_116CompareEqFunctorIlEEEESt5arrayIPcLm3EEEEviT0_T1_.kd
    .uniform_work_group_size: 1
    .uses_dynamic_stack: false
    .vgpr_count:     25
    .vgpr_spill_count: 0
    .wavefront_size: 64
  - .args:
      - .offset:         0
        .size:           4
        .value_kind:     by_value
      - .offset:         4
        .size:           4
        .value_kind:     by_value
      - .offset:         8
        .size:           24
        .value_kind:     by_value
    .group_segment_fixed_size: 0
    .kernarg_segment_align: 8
    .kernarg_segment_size: 32
    .language:       OpenCL C
    .language_version:
      - 2
      - 0
    .max_flat_workgroup_size: 256
    .name:           _ZN2at6native29vectorized_elementwise_kernelILi2ENS0_13BinaryFunctorIllbNS0_12_GLOBAL__N_116CompareEqFunctorIlEEEESt5arrayIPcLm3EEEEviT0_T1_
    .private_segment_fixed_size: 0
    .sgpr_count:     52
    .sgpr_spill_count: 0
    .symbol:         _ZN2at6native29vectorized_elementwise_kernelILi2ENS0_13BinaryFunctorIllbNS0_12_GLOBAL__N_116CompareEqFunctorIlEEEESt5arrayIPcLm3EEEEviT0_T1_.kd
    .uniform_work_group_size: 1
    .uses_dynamic_stack: false
    .vgpr_count:     27
    .vgpr_spill_count: 0
    .wavefront_size: 64
  - .args:
      - .offset:         0
        .size:           4
        .value_kind:     by_value
      - .offset:         4
        .size:           4
        .value_kind:     by_value
      - .offset:         8
        .size:           24
        .value_kind:     by_value
      - .offset:         32
        .size:           1
        .value_kind:     by_value
      - .offset:         33
        .size:           1
        .value_kind:     by_value
      - .offset:         34
        .size:           1
        .value_kind:     by_value
      - .offset:         35
        .size:           1
        .value_kind:     by_value
    .group_segment_fixed_size: 0
    .kernarg_segment_align: 8
    .kernarg_segment_size: 36
    .language:       OpenCL C
    .language_version:
      - 2
      - 0
    .max_flat_workgroup_size: 256
    .name:           _ZN2at6native27unrolled_elementwise_kernelINS0_13BinaryFunctorIllbNS0_12_GLOBAL__N_116CompareEqFunctorIlEEEESt5arrayIPcLm3EELi4E23TrivialOffsetCalculatorILi2EjESA_ILi1EjENS0_6memory15LoadWithoutCastENSD_16StoreWithoutCastEEEviT_T0_T2_T3_T4_T5_
    .private_segment_fixed_size: 0
    .sgpr_count:     26
    .sgpr_spill_count: 0
    .symbol:         _ZN2at6native27unrolled_elementwise_kernelINS0_13BinaryFunctorIllbNS0_12_GLOBAL__N_116CompareEqFunctorIlEEEESt5arrayIPcLm3EELi4E23TrivialOffsetCalculatorILi2EjESA_ILi1EjENS0_6memory15LoadWithoutCastENSD_16StoreWithoutCastEEEviT_T0_T2_T3_T4_T5_.kd
    .uniform_work_group_size: 1
    .uses_dynamic_stack: false
    .vgpr_count:     11
    .vgpr_spill_count: 0
    .wavefront_size: 64
  - .args:
      - .offset:         0
        .size:           4
        .value_kind:     by_value
      - .offset:         8
        .size:           424
        .value_kind:     by_value
    .group_segment_fixed_size: 0
    .kernarg_segment_align: 8
    .kernarg_segment_size: 432
    .language:       OpenCL C
    .language_version:
      - 2
      - 0
    .max_flat_workgroup_size: 128
    .name:           _ZN2at6native32elementwise_kernel_manual_unrollILi128ELi8EZNS0_22gpu_kernel_impl_nocastINS0_13BinaryFunctorIllbNS0_12_GLOBAL__N_116CompareEqFunctorIlEEEEEEvRNS_18TensorIteratorBaseERKT_EUlibE_EEviT1_
    .private_segment_fixed_size: 0
    .sgpr_count:     56
    .sgpr_spill_count: 0
    .symbol:         _ZN2at6native32elementwise_kernel_manual_unrollILi128ELi8EZNS0_22gpu_kernel_impl_nocastINS0_13BinaryFunctorIllbNS0_12_GLOBAL__N_116CompareEqFunctorIlEEEEEEvRNS_18TensorIteratorBaseERKT_EUlibE_EEviT1_.kd
    .uniform_work_group_size: 1
    .uses_dynamic_stack: false
    .vgpr_count:     44
    .vgpr_spill_count: 0
    .wavefront_size: 64
  - .args:
      - .offset:         0
        .size:           4
        .value_kind:     by_value
      - .offset:         8
        .size:           48
        .value_kind:     by_value
    .group_segment_fixed_size: 0
    .kernarg_segment_align: 8
    .kernarg_segment_size: 56
    .language:       OpenCL C
    .language_version:
      - 2
      - 0
    .max_flat_workgroup_size: 128
    .name:           _ZN2at6native32elementwise_kernel_manual_unrollILi128ELi4EZNS0_15gpu_kernel_implINS0_13BinaryFunctorIllbNS0_12_GLOBAL__N_116CompareEqFunctorIlEEEEEEvRNS_18TensorIteratorBaseERKT_EUlibE_EEviT1_
    .private_segment_fixed_size: 0
    .sgpr_count:     63
    .sgpr_spill_count: 0
    .symbol:         _ZN2at6native32elementwise_kernel_manual_unrollILi128ELi4EZNS0_15gpu_kernel_implINS0_13BinaryFunctorIllbNS0_12_GLOBAL__N_116CompareEqFunctorIlEEEEEEvRNS_18TensorIteratorBaseERKT_EUlibE_EEviT1_.kd
    .uniform_work_group_size: 1
    .uses_dynamic_stack: false
    .vgpr_count:     23
    .vgpr_spill_count: 0
    .wavefront_size: 64
  - .args:
      - .offset:         0
        .size:           4
        .value_kind:     by_value
      - .offset:         8
        .size:           424
        .value_kind:     by_value
    .group_segment_fixed_size: 0
    .kernarg_segment_align: 8
    .kernarg_segment_size: 432
    .language:       OpenCL C
    .language_version:
      - 2
      - 0
    .max_flat_workgroup_size: 128
    .name:           _ZN2at6native32elementwise_kernel_manual_unrollILi128ELi4EZNS0_15gpu_kernel_implINS0_13BinaryFunctorIllbNS0_12_GLOBAL__N_116CompareEqFunctorIlEEEEEEvRNS_18TensorIteratorBaseERKT_EUlibE0_EEviT1_
    .private_segment_fixed_size: 0
    .sgpr_count:     84
    .sgpr_spill_count: 0
    .symbol:         _ZN2at6native32elementwise_kernel_manual_unrollILi128ELi4EZNS0_15gpu_kernel_implINS0_13BinaryFunctorIllbNS0_12_GLOBAL__N_116CompareEqFunctorIlEEEEEEvRNS_18TensorIteratorBaseERKT_EUlibE0_EEviT1_.kd
    .uniform_work_group_size: 1
    .uses_dynamic_stack: false
    .vgpr_count:     32
    .vgpr_spill_count: 0
    .wavefront_size: 64
  - .args:
      - .offset:         0
        .size:           4
        .value_kind:     by_value
      - .offset:         8
        .size:           16
        .value_kind:     by_value
      - .offset:         24
        .size:           16
        .value_kind:     by_value
    .group_segment_fixed_size: 0
    .kernarg_segment_align: 8
    .kernarg_segment_size: 40
    .language:       OpenCL C
    .language_version:
      - 2
      - 0
    .max_flat_workgroup_size: 256
    .name:           _ZN2at6native29vectorized_elementwise_kernelILi16ENS0_13AUnaryFunctorIllbNS0_12_GLOBAL__N_116CompareEqFunctorIlEEEESt5arrayIPcLm2EEEEviT0_T1_
    .private_segment_fixed_size: 0
    .sgpr_count:     52
    .sgpr_spill_count: 0
    .symbol:         _ZN2at6native29vectorized_elementwise_kernelILi16ENS0_13AUnaryFunctorIllbNS0_12_GLOBAL__N_116CompareEqFunctorIlEEEESt5arrayIPcLm2EEEEviT0_T1_.kd
    .uniform_work_group_size: 1
    .uses_dynamic_stack: false
    .vgpr_count:     36
    .vgpr_spill_count: 0
    .wavefront_size: 64
  - .args:
      - .offset:         0
        .size:           4
        .value_kind:     by_value
      - .offset:         8
        .size:           16
        .value_kind:     by_value
      - .offset:         24
        .size:           16
        .value_kind:     by_value
    .group_segment_fixed_size: 0
    .kernarg_segment_align: 8
    .kernarg_segment_size: 40
    .language:       OpenCL C
    .language_version:
      - 2
      - 0
    .max_flat_workgroup_size: 256
    .name:           _ZN2at6native29vectorized_elementwise_kernelILi8ENS0_13AUnaryFunctorIllbNS0_12_GLOBAL__N_116CompareEqFunctorIlEEEESt5arrayIPcLm2EEEEviT0_T1_
    .private_segment_fixed_size: 0
    .sgpr_count:     32
    .sgpr_spill_count: 0
    .symbol:         _ZN2at6native29vectorized_elementwise_kernelILi8ENS0_13AUnaryFunctorIllbNS0_12_GLOBAL__N_116CompareEqFunctorIlEEEESt5arrayIPcLm2EEEEviT0_T1_.kd
    .uniform_work_group_size: 1
    .uses_dynamic_stack: false
    .vgpr_count:     36
    .vgpr_spill_count: 0
    .wavefront_size: 64
  - .args:
      - .offset:         0
        .size:           4
        .value_kind:     by_value
      - .offset:         8
        .size:           16
        .value_kind:     by_value
      - .offset:         24
        .size:           16
        .value_kind:     by_value
    .group_segment_fixed_size: 0
    .kernarg_segment_align: 8
    .kernarg_segment_size: 40
    .language:       OpenCL C
    .language_version:
      - 2
      - 0
    .max_flat_workgroup_size: 256
    .name:           _ZN2at6native29vectorized_elementwise_kernelILi4ENS0_13AUnaryFunctorIllbNS0_12_GLOBAL__N_116CompareEqFunctorIlEEEESt5arrayIPcLm2EEEEviT0_T1_
    .private_segment_fixed_size: 0
    .sgpr_count:     42
    .sgpr_spill_count: 0
    .symbol:         _ZN2at6native29vectorized_elementwise_kernelILi4ENS0_13AUnaryFunctorIllbNS0_12_GLOBAL__N_116CompareEqFunctorIlEEEESt5arrayIPcLm2EEEEviT0_T1_.kd
    .uniform_work_group_size: 1
    .uses_dynamic_stack: false
    .vgpr_count:     36
    .vgpr_spill_count: 0
    .wavefront_size: 64
  - .args:
      - .offset:         0
        .size:           4
        .value_kind:     by_value
      - .offset:         8
        .size:           16
        .value_kind:     by_value
      - .offset:         24
        .size:           16
        .value_kind:     by_value
    .group_segment_fixed_size: 0
    .kernarg_segment_align: 8
    .kernarg_segment_size: 40
    .language:       OpenCL C
    .language_version:
      - 2
      - 0
    .max_flat_workgroup_size: 256
    .name:           _ZN2at6native29vectorized_elementwise_kernelILi2ENS0_13AUnaryFunctorIllbNS0_12_GLOBAL__N_116CompareEqFunctorIlEEEESt5arrayIPcLm2EEEEviT0_T1_
    .private_segment_fixed_size: 0
    .sgpr_count:     24
    .sgpr_spill_count: 0
    .symbol:         _ZN2at6native29vectorized_elementwise_kernelILi2ENS0_13AUnaryFunctorIllbNS0_12_GLOBAL__N_116CompareEqFunctorIlEEEESt5arrayIPcLm2EEEEviT0_T1_.kd
    .uniform_work_group_size: 1
    .uses_dynamic_stack: false
    .vgpr_count:     36
    .vgpr_spill_count: 0
    .wavefront_size: 64
  - .args:
      - .offset:         0
        .size:           4
        .value_kind:     by_value
      - .offset:         8
        .size:           16
        .value_kind:     by_value
      - .offset:         24
        .size:           16
        .value_kind:     by_value
      - .offset:         40
        .size:           1
        .value_kind:     by_value
      - .offset:         41
        .size:           1
        .value_kind:     by_value
      - .offset:         42
        .size:           1
        .value_kind:     by_value
      - .offset:         43
        .size:           1
        .value_kind:     by_value
    .group_segment_fixed_size: 0
    .kernarg_segment_align: 8
    .kernarg_segment_size: 44
    .language:       OpenCL C
    .language_version:
      - 2
      - 0
    .max_flat_workgroup_size: 256
    .name:           _ZN2at6native27unrolled_elementwise_kernelINS0_13AUnaryFunctorIllbNS0_12_GLOBAL__N_116CompareEqFunctorIlEEEESt5arrayIPcLm2EELi4E23TrivialOffsetCalculatorILi1EjESB_NS0_6memory15LoadWithoutCastENSC_16StoreWithoutCastEEEviT_T0_T2_T3_T4_T5_
    .private_segment_fixed_size: 0
    .sgpr_count:     18
    .sgpr_spill_count: 0
    .symbol:         _ZN2at6native27unrolled_elementwise_kernelINS0_13AUnaryFunctorIllbNS0_12_GLOBAL__N_116CompareEqFunctorIlEEEESt5arrayIPcLm2EELi4E23TrivialOffsetCalculatorILi1EjESB_NS0_6memory15LoadWithoutCastENSC_16StoreWithoutCastEEEviT_T0_T2_T3_T4_T5_.kd
    .uniform_work_group_size: 1
    .uses_dynamic_stack: false
    .vgpr_count:     12
    .vgpr_spill_count: 0
    .wavefront_size: 64
  - .args:
      - .offset:         0
        .size:           4
        .value_kind:     by_value
      - .offset:         8
        .size:           360
        .value_kind:     by_value
    .group_segment_fixed_size: 0
    .kernarg_segment_align: 8
    .kernarg_segment_size: 368
    .language:       OpenCL C
    .language_version:
      - 2
      - 0
    .max_flat_workgroup_size: 128
    .name:           _ZN2at6native32elementwise_kernel_manual_unrollILi128ELi8EZNS0_22gpu_kernel_impl_nocastINS0_13AUnaryFunctorIllbNS0_12_GLOBAL__N_116CompareEqFunctorIlEEEEEEvRNS_18TensorIteratorBaseERKT_EUlibE_EEviT1_
    .private_segment_fixed_size: 0
    .sgpr_count:     68
    .sgpr_spill_count: 0
    .symbol:         _ZN2at6native32elementwise_kernel_manual_unrollILi128ELi8EZNS0_22gpu_kernel_impl_nocastINS0_13AUnaryFunctorIllbNS0_12_GLOBAL__N_116CompareEqFunctorIlEEEEEEvRNS_18TensorIteratorBaseERKT_EUlibE_EEviT1_.kd
    .uniform_work_group_size: 1
    .uses_dynamic_stack: false
    .vgpr_count:     28
    .vgpr_spill_count: 0
    .wavefront_size: 64
  - .args:
      - .offset:         0
        .size:           4
        .value_kind:     by_value
      - .offset:         8
        .size:           48
        .value_kind:     by_value
    .group_segment_fixed_size: 0
    .kernarg_segment_align: 8
    .kernarg_segment_size: 56
    .language:       OpenCL C
    .language_version:
      - 2
      - 0
    .max_flat_workgroup_size: 128
    .name:           _ZN2at6native32elementwise_kernel_manual_unrollILi128ELi4EZNS0_15gpu_kernel_implINS0_13AUnaryFunctorIllbNS0_12_GLOBAL__N_116CompareEqFunctorIlEEEEEEvRNS_18TensorIteratorBaseERKT_EUlibE_EEviT1_
    .private_segment_fixed_size: 0
    .sgpr_count:     54
    .sgpr_spill_count: 0
    .symbol:         _ZN2at6native32elementwise_kernel_manual_unrollILi128ELi4EZNS0_15gpu_kernel_implINS0_13AUnaryFunctorIllbNS0_12_GLOBAL__N_116CompareEqFunctorIlEEEEEEvRNS_18TensorIteratorBaseERKT_EUlibE_EEviT1_.kd
    .uniform_work_group_size: 1
    .uses_dynamic_stack: false
    .vgpr_count:     15
    .vgpr_spill_count: 0
    .wavefront_size: 64
  - .args:
      - .offset:         0
        .size:           4
        .value_kind:     by_value
      - .offset:         8
        .size:           368
        .value_kind:     by_value
    .group_segment_fixed_size: 0
    .kernarg_segment_align: 8
    .kernarg_segment_size: 376
    .language:       OpenCL C
    .language_version:
      - 2
      - 0
    .max_flat_workgroup_size: 128
    .name:           _ZN2at6native32elementwise_kernel_manual_unrollILi128ELi4EZNS0_15gpu_kernel_implINS0_13AUnaryFunctorIllbNS0_12_GLOBAL__N_116CompareEqFunctorIlEEEEEEvRNS_18TensorIteratorBaseERKT_EUlibE0_EEviT1_
    .private_segment_fixed_size: 0
    .sgpr_count:     86
    .sgpr_spill_count: 0
    .symbol:         _ZN2at6native32elementwise_kernel_manual_unrollILi128ELi4EZNS0_15gpu_kernel_implINS0_13AUnaryFunctorIllbNS0_12_GLOBAL__N_116CompareEqFunctorIlEEEEEEvRNS_18TensorIteratorBaseERKT_EUlibE0_EEviT1_.kd
    .uniform_work_group_size: 1
    .uses_dynamic_stack: false
    .vgpr_count:     22
    .vgpr_spill_count: 0
    .wavefront_size: 64
  - .args:
      - .offset:         0
        .size:           4
        .value_kind:     by_value
      - .offset:         4
        .size:           4
        .value_kind:     by_value
      - .offset:         8
        .size:           24
        .value_kind:     by_value
    .group_segment_fixed_size: 0
    .kernarg_segment_align: 8
    .kernarg_segment_size: 32
    .language:       OpenCL C
    .language_version:
      - 2
      - 0
    .max_flat_workgroup_size: 256
    .name:           _ZN2at6native29vectorized_elementwise_kernelILi16ENS0_13BinaryFunctorIssbNS0_12_GLOBAL__N_116CompareEqFunctorIsEEEESt5arrayIPcLm3EEEEviT0_T1_
    .private_segment_fixed_size: 0
    .sgpr_count:     52
    .sgpr_spill_count: 0
    .symbol:         _ZN2at6native29vectorized_elementwise_kernelILi16ENS0_13BinaryFunctorIssbNS0_12_GLOBAL__N_116CompareEqFunctorIsEEEESt5arrayIPcLm3EEEEviT0_T1_.kd
    .uniform_work_group_size: 1
    .uses_dynamic_stack: false
    .vgpr_count:     18
    .vgpr_spill_count: 0
    .wavefront_size: 64
  - .args:
      - .offset:         0
        .size:           4
        .value_kind:     by_value
      - .offset:         4
        .size:           4
        .value_kind:     by_value
      - .offset:         8
        .size:           24
        .value_kind:     by_value
    .group_segment_fixed_size: 0
    .kernarg_segment_align: 8
    .kernarg_segment_size: 32
    .language:       OpenCL C
    .language_version:
      - 2
      - 0
    .max_flat_workgroup_size: 256
    .name:           _ZN2at6native29vectorized_elementwise_kernelILi8ENS0_13BinaryFunctorIssbNS0_12_GLOBAL__N_116CompareEqFunctorIsEEEESt5arrayIPcLm3EEEEviT0_T1_
    .private_segment_fixed_size: 0
    .sgpr_count:     52
    .sgpr_spill_count: 0
    .symbol:         _ZN2at6native29vectorized_elementwise_kernelILi8ENS0_13BinaryFunctorIssbNS0_12_GLOBAL__N_116CompareEqFunctorIsEEEESt5arrayIPcLm3EEEEviT0_T1_.kd
    .uniform_work_group_size: 1
    .uses_dynamic_stack: false
    .vgpr_count:     20
    .vgpr_spill_count: 0
    .wavefront_size: 64
  - .args:
      - .offset:         0
        .size:           4
        .value_kind:     by_value
      - .offset:         4
        .size:           4
        .value_kind:     by_value
      - .offset:         8
        .size:           24
        .value_kind:     by_value
    .group_segment_fixed_size: 0
    .kernarg_segment_align: 8
    .kernarg_segment_size: 32
    .language:       OpenCL C
    .language_version:
      - 2
      - 0
    .max_flat_workgroup_size: 256
    .name:           _ZN2at6native29vectorized_elementwise_kernelILi4ENS0_13BinaryFunctorIssbNS0_12_GLOBAL__N_116CompareEqFunctorIsEEEESt5arrayIPcLm3EEEEviT0_T1_
    .private_segment_fixed_size: 0
    .sgpr_count:     52
    .sgpr_spill_count: 0
    .symbol:         _ZN2at6native29vectorized_elementwise_kernelILi4ENS0_13BinaryFunctorIssbNS0_12_GLOBAL__N_116CompareEqFunctorIsEEEESt5arrayIPcLm3EEEEviT0_T1_.kd
    .uniform_work_group_size: 1
    .uses_dynamic_stack: false
    .vgpr_count:     21
    .vgpr_spill_count: 0
    .wavefront_size: 64
  - .args:
      - .offset:         0
        .size:           4
        .value_kind:     by_value
      - .offset:         4
        .size:           4
        .value_kind:     by_value
      - .offset:         8
        .size:           24
        .value_kind:     by_value
    .group_segment_fixed_size: 0
    .kernarg_segment_align: 8
    .kernarg_segment_size: 32
    .language:       OpenCL C
    .language_version:
      - 2
      - 0
    .max_flat_workgroup_size: 256
    .name:           _ZN2at6native29vectorized_elementwise_kernelILi2ENS0_13BinaryFunctorIssbNS0_12_GLOBAL__N_116CompareEqFunctorIsEEEESt5arrayIPcLm3EEEEviT0_T1_
    .private_segment_fixed_size: 0
    .sgpr_count:     52
    .sgpr_spill_count: 0
    .symbol:         _ZN2at6native29vectorized_elementwise_kernelILi2ENS0_13BinaryFunctorIssbNS0_12_GLOBAL__N_116CompareEqFunctorIsEEEESt5arrayIPcLm3EEEEviT0_T1_.kd
    .uniform_work_group_size: 1
    .uses_dynamic_stack: false
    .vgpr_count:     21
    .vgpr_spill_count: 0
    .wavefront_size: 64
  - .args:
      - .offset:         0
        .size:           4
        .value_kind:     by_value
      - .offset:         4
        .size:           4
        .value_kind:     by_value
      - .offset:         8
        .size:           24
        .value_kind:     by_value
      - .offset:         32
        .size:           1
        .value_kind:     by_value
      - .offset:         33
        .size:           1
        .value_kind:     by_value
      - .offset:         34
        .size:           1
        .value_kind:     by_value
      - .offset:         35
        .size:           1
        .value_kind:     by_value
    .group_segment_fixed_size: 0
    .kernarg_segment_align: 8
    .kernarg_segment_size: 36
    .language:       OpenCL C
    .language_version:
      - 2
      - 0
    .max_flat_workgroup_size: 256
    .name:           _ZN2at6native27unrolled_elementwise_kernelINS0_13BinaryFunctorIssbNS0_12_GLOBAL__N_116CompareEqFunctorIsEEEESt5arrayIPcLm3EELi4E23TrivialOffsetCalculatorILi2EjESA_ILi1EjENS0_6memory15LoadWithoutCastENSD_16StoreWithoutCastEEEviT_T0_T2_T3_T4_T5_
    .private_segment_fixed_size: 0
    .sgpr_count:     25
    .sgpr_spill_count: 0
    .symbol:         _ZN2at6native27unrolled_elementwise_kernelINS0_13BinaryFunctorIssbNS0_12_GLOBAL__N_116CompareEqFunctorIsEEEESt5arrayIPcLm3EELi4E23TrivialOffsetCalculatorILi2EjESA_ILi1EjENS0_6memory15LoadWithoutCastENSD_16StoreWithoutCastEEEviT_T0_T2_T3_T4_T5_.kd
    .uniform_work_group_size: 1
    .uses_dynamic_stack: false
    .vgpr_count:     9
    .vgpr_spill_count: 0
    .wavefront_size: 64
  - .args:
      - .offset:         0
        .size:           4
        .value_kind:     by_value
      - .offset:         8
        .size:           424
        .value_kind:     by_value
    .group_segment_fixed_size: 0
    .kernarg_segment_align: 8
    .kernarg_segment_size: 432
    .language:       OpenCL C
    .language_version:
      - 2
      - 0
    .max_flat_workgroup_size: 128
    .name:           _ZN2at6native32elementwise_kernel_manual_unrollILi128ELi8EZNS0_22gpu_kernel_impl_nocastINS0_13BinaryFunctorIssbNS0_12_GLOBAL__N_116CompareEqFunctorIsEEEEEEvRNS_18TensorIteratorBaseERKT_EUlibE_EEviT1_
    .private_segment_fixed_size: 0
    .sgpr_count:     56
    .sgpr_spill_count: 0
    .symbol:         _ZN2at6native32elementwise_kernel_manual_unrollILi128ELi8EZNS0_22gpu_kernel_impl_nocastINS0_13BinaryFunctorIssbNS0_12_GLOBAL__N_116CompareEqFunctorIsEEEEEEvRNS_18TensorIteratorBaseERKT_EUlibE_EEviT1_.kd
    .uniform_work_group_size: 1
    .uses_dynamic_stack: false
    .vgpr_count:     42
    .vgpr_spill_count: 0
    .wavefront_size: 64
  - .args:
      - .offset:         0
        .size:           4
        .value_kind:     by_value
      - .offset:         8
        .size:           48
        .value_kind:     by_value
    .group_segment_fixed_size: 0
    .kernarg_segment_align: 8
    .kernarg_segment_size: 56
    .language:       OpenCL C
    .language_version:
      - 2
      - 0
    .max_flat_workgroup_size: 128
    .name:           _ZN2at6native32elementwise_kernel_manual_unrollILi128ELi4EZNS0_15gpu_kernel_implINS0_13BinaryFunctorIssbNS0_12_GLOBAL__N_116CompareEqFunctorIsEEEEEEvRNS_18TensorIteratorBaseERKT_EUlibE_EEviT1_
    .private_segment_fixed_size: 0
    .sgpr_count:     63
    .sgpr_spill_count: 0
    .symbol:         _ZN2at6native32elementwise_kernel_manual_unrollILi128ELi4EZNS0_15gpu_kernel_implINS0_13BinaryFunctorIssbNS0_12_GLOBAL__N_116CompareEqFunctorIsEEEEEEvRNS_18TensorIteratorBaseERKT_EUlibE_EEviT1_.kd
    .uniform_work_group_size: 1
    .uses_dynamic_stack: false
    .vgpr_count:     16
    .vgpr_spill_count: 0
    .wavefront_size: 64
  - .args:
      - .offset:         0
        .size:           4
        .value_kind:     by_value
      - .offset:         8
        .size:           424
        .value_kind:     by_value
    .group_segment_fixed_size: 0
    .kernarg_segment_align: 8
    .kernarg_segment_size: 432
    .language:       OpenCL C
    .language_version:
      - 2
      - 0
    .max_flat_workgroup_size: 128
    .name:           _ZN2at6native32elementwise_kernel_manual_unrollILi128ELi4EZNS0_15gpu_kernel_implINS0_13BinaryFunctorIssbNS0_12_GLOBAL__N_116CompareEqFunctorIsEEEEEEvRNS_18TensorIteratorBaseERKT_EUlibE0_EEviT1_
    .private_segment_fixed_size: 0
    .sgpr_count:     84
    .sgpr_spill_count: 0
    .symbol:         _ZN2at6native32elementwise_kernel_manual_unrollILi128ELi4EZNS0_15gpu_kernel_implINS0_13BinaryFunctorIssbNS0_12_GLOBAL__N_116CompareEqFunctorIsEEEEEEvRNS_18TensorIteratorBaseERKT_EUlibE0_EEviT1_.kd
    .uniform_work_group_size: 1
    .uses_dynamic_stack: false
    .vgpr_count:     23
    .vgpr_spill_count: 0
    .wavefront_size: 64
  - .args:
      - .offset:         0
        .size:           4
        .value_kind:     by_value
      - .offset:         4
        .size:           8
        .value_kind:     by_value
      - .offset:         16
        .size:           16
        .value_kind:     by_value
    .group_segment_fixed_size: 0
    .kernarg_segment_align: 8
    .kernarg_segment_size: 32
    .language:       OpenCL C
    .language_version:
      - 2
      - 0
    .max_flat_workgroup_size: 256
    .name:           _ZN2at6native29vectorized_elementwise_kernelILi16ENS0_13AUnaryFunctorIssbNS0_12_GLOBAL__N_116CompareEqFunctorIsEEEESt5arrayIPcLm2EEEEviT0_T1_
    .private_segment_fixed_size: 0
    .sgpr_count:     50
    .sgpr_spill_count: 0
    .symbol:         _ZN2at6native29vectorized_elementwise_kernelILi16ENS0_13AUnaryFunctorIssbNS0_12_GLOBAL__N_116CompareEqFunctorIsEEEESt5arrayIPcLm2EEEEviT0_T1_.kd
    .uniform_work_group_size: 1
    .uses_dynamic_stack: false
    .vgpr_count:     21
    .vgpr_spill_count: 0
    .wavefront_size: 64
  - .args:
      - .offset:         0
        .size:           4
        .value_kind:     by_value
      - .offset:         4
        .size:           8
        .value_kind:     by_value
      - .offset:         16
        .size:           16
        .value_kind:     by_value
    .group_segment_fixed_size: 0
    .kernarg_segment_align: 8
    .kernarg_segment_size: 32
    .language:       OpenCL C
    .language_version:
      - 2
      - 0
    .max_flat_workgroup_size: 256
    .name:           _ZN2at6native29vectorized_elementwise_kernelILi8ENS0_13AUnaryFunctorIssbNS0_12_GLOBAL__N_116CompareEqFunctorIsEEEESt5arrayIPcLm2EEEEviT0_T1_
    .private_segment_fixed_size: 0
    .sgpr_count:     32
    .sgpr_spill_count: 0
    .symbol:         _ZN2at6native29vectorized_elementwise_kernelILi8ENS0_13AUnaryFunctorIssbNS0_12_GLOBAL__N_116CompareEqFunctorIsEEEESt5arrayIPcLm2EEEEviT0_T1_.kd
    .uniform_work_group_size: 1
    .uses_dynamic_stack: false
    .vgpr_count:     21
    .vgpr_spill_count: 0
    .wavefront_size: 64
  - .args:
      - .offset:         0
        .size:           4
        .value_kind:     by_value
      - .offset:         4
        .size:           8
        .value_kind:     by_value
      - .offset:         16
        .size:           16
        .value_kind:     by_value
    .group_segment_fixed_size: 0
    .kernarg_segment_align: 8
    .kernarg_segment_size: 32
    .language:       OpenCL C
    .language_version:
      - 2
      - 0
    .max_flat_workgroup_size: 256
    .name:           _ZN2at6native29vectorized_elementwise_kernelILi4ENS0_13AUnaryFunctorIssbNS0_12_GLOBAL__N_116CompareEqFunctorIsEEEESt5arrayIPcLm2EEEEviT0_T1_
    .private_segment_fixed_size: 0
    .sgpr_count:     32
    .sgpr_spill_count: 0
    .symbol:         _ZN2at6native29vectorized_elementwise_kernelILi4ENS0_13AUnaryFunctorIssbNS0_12_GLOBAL__N_116CompareEqFunctorIsEEEESt5arrayIPcLm2EEEEviT0_T1_.kd
    .uniform_work_group_size: 1
    .uses_dynamic_stack: false
    .vgpr_count:     21
    .vgpr_spill_count: 0
    .wavefront_size: 64
  - .args:
      - .offset:         0
        .size:           4
        .value_kind:     by_value
      - .offset:         4
        .size:           8
        .value_kind:     by_value
      - .offset:         16
        .size:           16
        .value_kind:     by_value
    .group_segment_fixed_size: 0
    .kernarg_segment_align: 8
    .kernarg_segment_size: 32
    .language:       OpenCL C
    .language_version:
      - 2
      - 0
    .max_flat_workgroup_size: 256
    .name:           _ZN2at6native29vectorized_elementwise_kernelILi2ENS0_13AUnaryFunctorIssbNS0_12_GLOBAL__N_116CompareEqFunctorIsEEEESt5arrayIPcLm2EEEEviT0_T1_
    .private_segment_fixed_size: 0
    .sgpr_count:     32
    .sgpr_spill_count: 0
    .symbol:         _ZN2at6native29vectorized_elementwise_kernelILi2ENS0_13AUnaryFunctorIssbNS0_12_GLOBAL__N_116CompareEqFunctorIsEEEESt5arrayIPcLm2EEEEviT0_T1_.kd
    .uniform_work_group_size: 1
    .uses_dynamic_stack: false
    .vgpr_count:     21
    .vgpr_spill_count: 0
    .wavefront_size: 64
  - .args:
      - .offset:         0
        .size:           4
        .value_kind:     by_value
      - .offset:         4
        .size:           8
        .value_kind:     by_value
      - .offset:         16
        .size:           16
        .value_kind:     by_value
      - .offset:         32
        .size:           1
        .value_kind:     by_value
      - .offset:         33
        .size:           1
        .value_kind:     by_value
      - .offset:         34
        .size:           1
        .value_kind:     by_value
      - .offset:         35
        .size:           1
        .value_kind:     by_value
    .group_segment_fixed_size: 0
    .kernarg_segment_align: 8
    .kernarg_segment_size: 36
    .language:       OpenCL C
    .language_version:
      - 2
      - 0
    .max_flat_workgroup_size: 256
    .name:           _ZN2at6native27unrolled_elementwise_kernelINS0_13AUnaryFunctorIssbNS0_12_GLOBAL__N_116CompareEqFunctorIsEEEESt5arrayIPcLm2EELi4E23TrivialOffsetCalculatorILi1EjESB_NS0_6memory15LoadWithoutCastENSC_16StoreWithoutCastEEEviT_T0_T2_T3_T4_T5_
    .private_segment_fixed_size: 0
    .sgpr_count:     20
    .sgpr_spill_count: 0
    .symbol:         _ZN2at6native27unrolled_elementwise_kernelINS0_13AUnaryFunctorIssbNS0_12_GLOBAL__N_116CompareEqFunctorIsEEEESt5arrayIPcLm2EELi4E23TrivialOffsetCalculatorILi1EjESB_NS0_6memory15LoadWithoutCastENSC_16StoreWithoutCastEEEviT_T0_T2_T3_T4_T5_.kd
    .uniform_work_group_size: 1
    .uses_dynamic_stack: false
    .vgpr_count:     9
    .vgpr_spill_count: 0
    .wavefront_size: 64
  - .args:
      - .offset:         0
        .size:           4
        .value_kind:     by_value
      - .offset:         8
        .size:           352
        .value_kind:     by_value
    .group_segment_fixed_size: 0
    .kernarg_segment_align: 8
    .kernarg_segment_size: 360
    .language:       OpenCL C
    .language_version:
      - 2
      - 0
    .max_flat_workgroup_size: 128
    .name:           _ZN2at6native32elementwise_kernel_manual_unrollILi128ELi8EZNS0_22gpu_kernel_impl_nocastINS0_13AUnaryFunctorIssbNS0_12_GLOBAL__N_116CompareEqFunctorIsEEEEEEvRNS_18TensorIteratorBaseERKT_EUlibE_EEviT1_
    .private_segment_fixed_size: 0
    .sgpr_count:     67
    .sgpr_spill_count: 0
    .symbol:         _ZN2at6native32elementwise_kernel_manual_unrollILi128ELi8EZNS0_22gpu_kernel_impl_nocastINS0_13AUnaryFunctorIssbNS0_12_GLOBAL__N_116CompareEqFunctorIsEEEEEEvRNS_18TensorIteratorBaseERKT_EUlibE_EEviT1_.kd
    .uniform_work_group_size: 1
    .uses_dynamic_stack: false
    .vgpr_count:     26
    .vgpr_spill_count: 0
    .wavefront_size: 64
  - .args:
      - .offset:         0
        .size:           4
        .value_kind:     by_value
      - .offset:         8
        .size:           40
        .value_kind:     by_value
    .group_segment_fixed_size: 0
    .kernarg_segment_align: 8
    .kernarg_segment_size: 48
    .language:       OpenCL C
    .language_version:
      - 2
      - 0
    .max_flat_workgroup_size: 128
    .name:           _ZN2at6native32elementwise_kernel_manual_unrollILi128ELi4EZNS0_15gpu_kernel_implINS0_13AUnaryFunctorIssbNS0_12_GLOBAL__N_116CompareEqFunctorIsEEEEEEvRNS_18TensorIteratorBaseERKT_EUlibE_EEviT1_
    .private_segment_fixed_size: 0
    .sgpr_count:     52
    .sgpr_spill_count: 0
    .symbol:         _ZN2at6native32elementwise_kernel_manual_unrollILi128ELi4EZNS0_15gpu_kernel_implINS0_13AUnaryFunctorIssbNS0_12_GLOBAL__N_116CompareEqFunctorIsEEEEEEvRNS_18TensorIteratorBaseERKT_EUlibE_EEviT1_.kd
    .uniform_work_group_size: 1
    .uses_dynamic_stack: false
    .vgpr_count:     12
    .vgpr_spill_count: 0
    .wavefront_size: 64
  - .args:
      - .offset:         0
        .size:           4
        .value_kind:     by_value
      - .offset:         8
        .size:           360
        .value_kind:     by_value
    .group_segment_fixed_size: 0
    .kernarg_segment_align: 8
    .kernarg_segment_size: 368
    .language:       OpenCL C
    .language_version:
      - 2
      - 0
    .max_flat_workgroup_size: 128
    .name:           _ZN2at6native32elementwise_kernel_manual_unrollILi128ELi4EZNS0_15gpu_kernel_implINS0_13AUnaryFunctorIssbNS0_12_GLOBAL__N_116CompareEqFunctorIsEEEEEEvRNS_18TensorIteratorBaseERKT_EUlibE0_EEviT1_
    .private_segment_fixed_size: 0
    .sgpr_count:     85
    .sgpr_spill_count: 0
    .symbol:         _ZN2at6native32elementwise_kernel_manual_unrollILi128ELi4EZNS0_15gpu_kernel_implINS0_13AUnaryFunctorIssbNS0_12_GLOBAL__N_116CompareEqFunctorIsEEEEEEvRNS_18TensorIteratorBaseERKT_EUlibE0_EEviT1_.kd
    .uniform_work_group_size: 1
    .uses_dynamic_stack: false
    .vgpr_count:     18
    .vgpr_spill_count: 0
    .wavefront_size: 64
  - .args:
      - .offset:         0
        .size:           4
        .value_kind:     by_value
      - .offset:         4
        .size:           4
        .value_kind:     by_value
      - .offset:         8
        .size:           24
        .value_kind:     by_value
    .group_segment_fixed_size: 0
    .kernarg_segment_align: 8
    .kernarg_segment_size: 32
    .language:       OpenCL C
    .language_version:
      - 2
      - 0
    .max_flat_workgroup_size: 256
    .name:           _ZN2at6native29vectorized_elementwise_kernelILi16ENS0_13BinaryFunctorIddbNS0_12_GLOBAL__N_116CompareEqFunctorIdEEEESt5arrayIPcLm3EEEEviT0_T1_
    .private_segment_fixed_size: 0
    .sgpr_count:     20
    .sgpr_spill_count: 0
    .symbol:         _ZN2at6native29vectorized_elementwise_kernelILi16ENS0_13BinaryFunctorIddbNS0_12_GLOBAL__N_116CompareEqFunctorIdEEEESt5arrayIPcLm3EEEEviT0_T1_.kd
    .uniform_work_group_size: 1
    .uses_dynamic_stack: false
    .vgpr_count:     71
    .vgpr_spill_count: 0
    .wavefront_size: 64
  - .args:
      - .offset:         0
        .size:           4
        .value_kind:     by_value
      - .offset:         4
        .size:           4
        .value_kind:     by_value
      - .offset:         8
        .size:           24
        .value_kind:     by_value
    .group_segment_fixed_size: 0
    .kernarg_segment_align: 8
    .kernarg_segment_size: 32
    .language:       OpenCL C
    .language_version:
      - 2
      - 0
    .max_flat_workgroup_size: 256
    .name:           _ZN2at6native29vectorized_elementwise_kernelILi8ENS0_13BinaryFunctorIddbNS0_12_GLOBAL__N_116CompareEqFunctorIdEEEESt5arrayIPcLm3EEEEviT0_T1_
    .private_segment_fixed_size: 0
    .sgpr_count:     20
    .sgpr_spill_count: 0
    .symbol:         _ZN2at6native29vectorized_elementwise_kernelILi8ENS0_13BinaryFunctorIddbNS0_12_GLOBAL__N_116CompareEqFunctorIdEEEESt5arrayIPcLm3EEEEviT0_T1_.kd
    .uniform_work_group_size: 1
    .uses_dynamic_stack: false
    .vgpr_count:     73
    .vgpr_spill_count: 0
    .wavefront_size: 64
  - .args:
      - .offset:         0
        .size:           4
        .value_kind:     by_value
      - .offset:         4
        .size:           4
        .value_kind:     by_value
      - .offset:         8
        .size:           24
        .value_kind:     by_value
    .group_segment_fixed_size: 0
    .kernarg_segment_align: 8
    .kernarg_segment_size: 32
    .language:       OpenCL C
    .language_version:
      - 2
      - 0
    .max_flat_workgroup_size: 256
    .name:           _ZN2at6native29vectorized_elementwise_kernelILi4ENS0_13BinaryFunctorIddbNS0_12_GLOBAL__N_116CompareEqFunctorIdEEEESt5arrayIPcLm3EEEEviT0_T1_
    .private_segment_fixed_size: 0
    .sgpr_count:     20
    .sgpr_spill_count: 0
    .symbol:         _ZN2at6native29vectorized_elementwise_kernelILi4ENS0_13BinaryFunctorIddbNS0_12_GLOBAL__N_116CompareEqFunctorIdEEEESt5arrayIPcLm3EEEEviT0_T1_.kd
    .uniform_work_group_size: 1
    .uses_dynamic_stack: false
    .vgpr_count:     71
    .vgpr_spill_count: 0
    .wavefront_size: 64
  - .args:
      - .offset:         0
        .size:           4
        .value_kind:     by_value
      - .offset:         4
        .size:           4
        .value_kind:     by_value
      - .offset:         8
        .size:           24
        .value_kind:     by_value
    .group_segment_fixed_size: 0
    .kernarg_segment_align: 8
    .kernarg_segment_size: 32
    .language:       OpenCL C
    .language_version:
      - 2
      - 0
    .max_flat_workgroup_size: 256
    .name:           _ZN2at6native29vectorized_elementwise_kernelILi2ENS0_13BinaryFunctorIddbNS0_12_GLOBAL__N_116CompareEqFunctorIdEEEESt5arrayIPcLm3EEEEviT0_T1_
    .private_segment_fixed_size: 0
    .sgpr_count:     27
    .sgpr_spill_count: 0
    .symbol:         _ZN2at6native29vectorized_elementwise_kernelILi2ENS0_13BinaryFunctorIddbNS0_12_GLOBAL__N_116CompareEqFunctorIdEEEESt5arrayIPcLm3EEEEviT0_T1_.kd
    .uniform_work_group_size: 1
    .uses_dynamic_stack: false
    .vgpr_count:     71
    .vgpr_spill_count: 0
    .wavefront_size: 64
  - .args:
      - .offset:         0
        .size:           4
        .value_kind:     by_value
      - .offset:         4
        .size:           4
        .value_kind:     by_value
      - .offset:         8
        .size:           24
        .value_kind:     by_value
      - .offset:         32
        .size:           1
        .value_kind:     by_value
      - .offset:         33
        .size:           1
        .value_kind:     by_value
      - .offset:         34
        .size:           1
        .value_kind:     by_value
      - .offset:         35
        .size:           1
        .value_kind:     by_value
    .group_segment_fixed_size: 0
    .kernarg_segment_align: 8
    .kernarg_segment_size: 36
    .language:       OpenCL C
    .language_version:
      - 2
      - 0
    .max_flat_workgroup_size: 256
    .name:           _ZN2at6native27unrolled_elementwise_kernelINS0_13BinaryFunctorIddbNS0_12_GLOBAL__N_116CompareEqFunctorIdEEEESt5arrayIPcLm3EELi4E23TrivialOffsetCalculatorILi2EjESA_ILi1EjENS0_6memory15LoadWithoutCastENSD_16StoreWithoutCastEEEviT_T0_T2_T3_T4_T5_
    .private_segment_fixed_size: 0
    .sgpr_count:     18
    .sgpr_spill_count: 0
    .symbol:         _ZN2at6native27unrolled_elementwise_kernelINS0_13BinaryFunctorIddbNS0_12_GLOBAL__N_116CompareEqFunctorIdEEEESt5arrayIPcLm3EELi4E23TrivialOffsetCalculatorILi2EjESA_ILi1EjENS0_6memory15LoadWithoutCastENSD_16StoreWithoutCastEEEviT_T0_T2_T3_T4_T5_.kd
    .uniform_work_group_size: 1
    .uses_dynamic_stack: false
    .vgpr_count:     23
    .vgpr_spill_count: 0
    .wavefront_size: 64
  - .args:
      - .offset:         0
        .size:           4
        .value_kind:     by_value
      - .offset:         8
        .size:           424
        .value_kind:     by_value
    .group_segment_fixed_size: 0
    .kernarg_segment_align: 8
    .kernarg_segment_size: 432
    .language:       OpenCL C
    .language_version:
      - 2
      - 0
    .max_flat_workgroup_size: 128
    .name:           _ZN2at6native32elementwise_kernel_manual_unrollILi128ELi8EZNS0_22gpu_kernel_impl_nocastINS0_13BinaryFunctorIddbNS0_12_GLOBAL__N_116CompareEqFunctorIdEEEEEEvRNS_18TensorIteratorBaseERKT_EUlibE_EEviT1_
    .private_segment_fixed_size: 0
    .sgpr_count:     56
    .sgpr_spill_count: 0
    .symbol:         _ZN2at6native32elementwise_kernel_manual_unrollILi128ELi8EZNS0_22gpu_kernel_impl_nocastINS0_13BinaryFunctorIddbNS0_12_GLOBAL__N_116CompareEqFunctorIdEEEEEEvRNS_18TensorIteratorBaseERKT_EUlibE_EEviT1_.kd
    .uniform_work_group_size: 1
    .uses_dynamic_stack: false
    .vgpr_count:     44
    .vgpr_spill_count: 0
    .wavefront_size: 64
  - .args:
      - .offset:         0
        .size:           4
        .value_kind:     by_value
      - .offset:         8
        .size:           48
        .value_kind:     by_value
    .group_segment_fixed_size: 0
    .kernarg_segment_align: 8
    .kernarg_segment_size: 56
    .language:       OpenCL C
    .language_version:
      - 2
      - 0
    .max_flat_workgroup_size: 128
    .name:           _ZN2at6native32elementwise_kernel_manual_unrollILi128ELi4EZNS0_15gpu_kernel_implINS0_13BinaryFunctorIddbNS0_12_GLOBAL__N_116CompareEqFunctorIdEEEEEEvRNS_18TensorIteratorBaseERKT_EUlibE_EEviT1_
    .private_segment_fixed_size: 0
    .sgpr_count:     63
    .sgpr_spill_count: 0
    .symbol:         _ZN2at6native32elementwise_kernel_manual_unrollILi128ELi4EZNS0_15gpu_kernel_implINS0_13BinaryFunctorIddbNS0_12_GLOBAL__N_116CompareEqFunctorIdEEEEEEvRNS_18TensorIteratorBaseERKT_EUlibE_EEviT1_.kd
    .uniform_work_group_size: 1
    .uses_dynamic_stack: false
    .vgpr_count:     23
    .vgpr_spill_count: 0
    .wavefront_size: 64
  - .args:
      - .offset:         0
        .size:           4
        .value_kind:     by_value
      - .offset:         8
        .size:           424
        .value_kind:     by_value
    .group_segment_fixed_size: 0
    .kernarg_segment_align: 8
    .kernarg_segment_size: 432
    .language:       OpenCL C
    .language_version:
      - 2
      - 0
    .max_flat_workgroup_size: 128
    .name:           _ZN2at6native32elementwise_kernel_manual_unrollILi128ELi4EZNS0_15gpu_kernel_implINS0_13BinaryFunctorIddbNS0_12_GLOBAL__N_116CompareEqFunctorIdEEEEEEvRNS_18TensorIteratorBaseERKT_EUlibE0_EEviT1_
    .private_segment_fixed_size: 0
    .sgpr_count:     84
    .sgpr_spill_count: 0
    .symbol:         _ZN2at6native32elementwise_kernel_manual_unrollILi128ELi4EZNS0_15gpu_kernel_implINS0_13BinaryFunctorIddbNS0_12_GLOBAL__N_116CompareEqFunctorIdEEEEEEvRNS_18TensorIteratorBaseERKT_EUlibE0_EEviT1_.kd
    .uniform_work_group_size: 1
    .uses_dynamic_stack: false
    .vgpr_count:     29
    .vgpr_spill_count: 0
    .wavefront_size: 64
  - .args:
      - .offset:         0
        .size:           4
        .value_kind:     by_value
      - .offset:         8
        .size:           16
        .value_kind:     by_value
      - .offset:         24
        .size:           16
        .value_kind:     by_value
    .group_segment_fixed_size: 0
    .kernarg_segment_align: 8
    .kernarg_segment_size: 40
    .language:       OpenCL C
    .language_version:
      - 2
      - 0
    .max_flat_workgroup_size: 256
    .name:           _ZN2at6native29vectorized_elementwise_kernelILi16ENS0_13AUnaryFunctorIddbNS0_12_GLOBAL__N_116CompareEqFunctorIdEEEESt5arrayIPcLm2EEEEviT0_T1_
    .private_segment_fixed_size: 0
    .sgpr_count:     32
    .sgpr_spill_count: 0
    .symbol:         _ZN2at6native29vectorized_elementwise_kernelILi16ENS0_13AUnaryFunctorIddbNS0_12_GLOBAL__N_116CompareEqFunctorIdEEEESt5arrayIPcLm2EEEEviT0_T1_.kd
    .uniform_work_group_size: 1
    .uses_dynamic_stack: false
    .vgpr_count:     36
    .vgpr_spill_count: 0
    .wavefront_size: 64
  - .args:
      - .offset:         0
        .size:           4
        .value_kind:     by_value
      - .offset:         8
        .size:           16
        .value_kind:     by_value
      - .offset:         24
        .size:           16
        .value_kind:     by_value
    .group_segment_fixed_size: 0
    .kernarg_segment_align: 8
    .kernarg_segment_size: 40
    .language:       OpenCL C
    .language_version:
      - 2
      - 0
    .max_flat_workgroup_size: 256
    .name:           _ZN2at6native29vectorized_elementwise_kernelILi8ENS0_13AUnaryFunctorIddbNS0_12_GLOBAL__N_116CompareEqFunctorIdEEEESt5arrayIPcLm2EEEEviT0_T1_
    .private_segment_fixed_size: 0
    .sgpr_count:     22
    .sgpr_spill_count: 0
    .symbol:         _ZN2at6native29vectorized_elementwise_kernelILi8ENS0_13AUnaryFunctorIddbNS0_12_GLOBAL__N_116CompareEqFunctorIdEEEESt5arrayIPcLm2EEEEviT0_T1_.kd
    .uniform_work_group_size: 1
    .uses_dynamic_stack: false
    .vgpr_count:     36
    .vgpr_spill_count: 0
    .wavefront_size: 64
  - .args:
      - .offset:         0
        .size:           4
        .value_kind:     by_value
      - .offset:         8
        .size:           16
        .value_kind:     by_value
      - .offset:         24
        .size:           16
        .value_kind:     by_value
    .group_segment_fixed_size: 0
    .kernarg_segment_align: 8
    .kernarg_segment_size: 40
    .language:       OpenCL C
    .language_version:
      - 2
      - 0
    .max_flat_workgroup_size: 256
    .name:           _ZN2at6native29vectorized_elementwise_kernelILi4ENS0_13AUnaryFunctorIddbNS0_12_GLOBAL__N_116CompareEqFunctorIdEEEESt5arrayIPcLm2EEEEviT0_T1_
    .private_segment_fixed_size: 0
    .sgpr_count:     20
    .sgpr_spill_count: 0
    .symbol:         _ZN2at6native29vectorized_elementwise_kernelILi4ENS0_13AUnaryFunctorIddbNS0_12_GLOBAL__N_116CompareEqFunctorIdEEEESt5arrayIPcLm2EEEEviT0_T1_.kd
    .uniform_work_group_size: 1
    .uses_dynamic_stack: false
    .vgpr_count:     40
    .vgpr_spill_count: 0
    .wavefront_size: 64
  - .args:
      - .offset:         0
        .size:           4
        .value_kind:     by_value
      - .offset:         8
        .size:           16
        .value_kind:     by_value
      - .offset:         24
        .size:           16
        .value_kind:     by_value
    .group_segment_fixed_size: 0
    .kernarg_segment_align: 8
    .kernarg_segment_size: 40
    .language:       OpenCL C
    .language_version:
      - 2
      - 0
    .max_flat_workgroup_size: 256
    .name:           _ZN2at6native29vectorized_elementwise_kernelILi2ENS0_13AUnaryFunctorIddbNS0_12_GLOBAL__N_116CompareEqFunctorIdEEEESt5arrayIPcLm2EEEEviT0_T1_
    .private_segment_fixed_size: 0
    .sgpr_count:     18
    .sgpr_spill_count: 0
    .symbol:         _ZN2at6native29vectorized_elementwise_kernelILi2ENS0_13AUnaryFunctorIddbNS0_12_GLOBAL__N_116CompareEqFunctorIdEEEESt5arrayIPcLm2EEEEviT0_T1_.kd
    .uniform_work_group_size: 1
    .uses_dynamic_stack: false
    .vgpr_count:     38
    .vgpr_spill_count: 0
    .wavefront_size: 64
  - .args:
      - .offset:         0
        .size:           4
        .value_kind:     by_value
      - .offset:         8
        .size:           16
        .value_kind:     by_value
      - .offset:         24
        .size:           16
        .value_kind:     by_value
      - .offset:         40
        .size:           1
        .value_kind:     by_value
      - .offset:         41
        .size:           1
        .value_kind:     by_value
      - .offset:         42
        .size:           1
        .value_kind:     by_value
      - .offset:         43
        .size:           1
        .value_kind:     by_value
    .group_segment_fixed_size: 0
    .kernarg_segment_align: 8
    .kernarg_segment_size: 44
    .language:       OpenCL C
    .language_version:
      - 2
      - 0
    .max_flat_workgroup_size: 256
    .name:           _ZN2at6native27unrolled_elementwise_kernelINS0_13AUnaryFunctorIddbNS0_12_GLOBAL__N_116CompareEqFunctorIdEEEESt5arrayIPcLm2EELi4E23TrivialOffsetCalculatorILi1EjESB_NS0_6memory15LoadWithoutCastENSC_16StoreWithoutCastEEEviT_T0_T2_T3_T4_T5_
    .private_segment_fixed_size: 0
    .sgpr_count:     18
    .sgpr_spill_count: 0
    .symbol:         _ZN2at6native27unrolled_elementwise_kernelINS0_13AUnaryFunctorIddbNS0_12_GLOBAL__N_116CompareEqFunctorIdEEEESt5arrayIPcLm2EELi4E23TrivialOffsetCalculatorILi1EjESB_NS0_6memory15LoadWithoutCastENSC_16StoreWithoutCastEEEviT_T0_T2_T3_T4_T5_.kd
    .uniform_work_group_size: 1
    .uses_dynamic_stack: false
    .vgpr_count:     12
    .vgpr_spill_count: 0
    .wavefront_size: 64
  - .args:
      - .offset:         0
        .size:           4
        .value_kind:     by_value
      - .offset:         8
        .size:           360
        .value_kind:     by_value
    .group_segment_fixed_size: 0
    .kernarg_segment_align: 8
    .kernarg_segment_size: 368
    .language:       OpenCL C
    .language_version:
      - 2
      - 0
    .max_flat_workgroup_size: 128
    .name:           _ZN2at6native32elementwise_kernel_manual_unrollILi128ELi8EZNS0_22gpu_kernel_impl_nocastINS0_13AUnaryFunctorIddbNS0_12_GLOBAL__N_116CompareEqFunctorIdEEEEEEvRNS_18TensorIteratorBaseERKT_EUlibE_EEviT1_
    .private_segment_fixed_size: 0
    .sgpr_count:     68
    .sgpr_spill_count: 0
    .symbol:         _ZN2at6native32elementwise_kernel_manual_unrollILi128ELi8EZNS0_22gpu_kernel_impl_nocastINS0_13AUnaryFunctorIddbNS0_12_GLOBAL__N_116CompareEqFunctorIdEEEEEEvRNS_18TensorIteratorBaseERKT_EUlibE_EEviT1_.kd
    .uniform_work_group_size: 1
    .uses_dynamic_stack: false
    .vgpr_count:     28
    .vgpr_spill_count: 0
    .wavefront_size: 64
  - .args:
      - .offset:         0
        .size:           4
        .value_kind:     by_value
      - .offset:         8
        .size:           48
        .value_kind:     by_value
    .group_segment_fixed_size: 0
    .kernarg_segment_align: 8
    .kernarg_segment_size: 56
    .language:       OpenCL C
    .language_version:
      - 2
      - 0
    .max_flat_workgroup_size: 128
    .name:           _ZN2at6native32elementwise_kernel_manual_unrollILi128ELi4EZNS0_15gpu_kernel_implINS0_13AUnaryFunctorIddbNS0_12_GLOBAL__N_116CompareEqFunctorIdEEEEEEvRNS_18TensorIteratorBaseERKT_EUlibE_EEviT1_
    .private_segment_fixed_size: 0
    .sgpr_count:     54
    .sgpr_spill_count: 0
    .symbol:         _ZN2at6native32elementwise_kernel_manual_unrollILi128ELi4EZNS0_15gpu_kernel_implINS0_13AUnaryFunctorIddbNS0_12_GLOBAL__N_116CompareEqFunctorIdEEEEEEvRNS_18TensorIteratorBaseERKT_EUlibE_EEviT1_.kd
    .uniform_work_group_size: 1
    .uses_dynamic_stack: false
    .vgpr_count:     15
    .vgpr_spill_count: 0
    .wavefront_size: 64
  - .args:
      - .offset:         0
        .size:           4
        .value_kind:     by_value
      - .offset:         8
        .size:           368
        .value_kind:     by_value
    .group_segment_fixed_size: 0
    .kernarg_segment_align: 8
    .kernarg_segment_size: 376
    .language:       OpenCL C
    .language_version:
      - 2
      - 0
    .max_flat_workgroup_size: 128
    .name:           _ZN2at6native32elementwise_kernel_manual_unrollILi128ELi4EZNS0_15gpu_kernel_implINS0_13AUnaryFunctorIddbNS0_12_GLOBAL__N_116CompareEqFunctorIdEEEEEEvRNS_18TensorIteratorBaseERKT_EUlibE0_EEviT1_
    .private_segment_fixed_size: 0
    .sgpr_count:     86
    .sgpr_spill_count: 0
    .symbol:         _ZN2at6native32elementwise_kernel_manual_unrollILi128ELi4EZNS0_15gpu_kernel_implINS0_13AUnaryFunctorIddbNS0_12_GLOBAL__N_116CompareEqFunctorIdEEEEEEvRNS_18TensorIteratorBaseERKT_EUlibE0_EEviT1_.kd
    .uniform_work_group_size: 1
    .uses_dynamic_stack: false
    .vgpr_count:     19
    .vgpr_spill_count: 0
    .wavefront_size: 64
  - .args:
      - .offset:         0
        .size:           4
        .value_kind:     by_value
      - .offset:         4
        .size:           4
        .value_kind:     by_value
      - .offset:         8
        .size:           24
        .value_kind:     by_value
    .group_segment_fixed_size: 0
    .kernarg_segment_align: 8
    .kernarg_segment_size: 32
    .language:       OpenCL C
    .language_version:
      - 2
      - 0
    .max_flat_workgroup_size: 256
    .name:           _ZN2at6native29vectorized_elementwise_kernelILi16ENS0_13BinaryFunctorIffbNS0_12_GLOBAL__N_116CompareEqFunctorIfEEEESt5arrayIPcLm3EEEEviT0_T1_
    .private_segment_fixed_size: 0
    .sgpr_count:     30
    .sgpr_spill_count: 0
    .symbol:         _ZN2at6native29vectorized_elementwise_kernelILi16ENS0_13BinaryFunctorIffbNS0_12_GLOBAL__N_116CompareEqFunctorIfEEEESt5arrayIPcLm3EEEEviT0_T1_.kd
    .uniform_work_group_size: 1
    .uses_dynamic_stack: false
    .vgpr_count:     40
    .vgpr_spill_count: 0
    .wavefront_size: 64
  - .args:
      - .offset:         0
        .size:           4
        .value_kind:     by_value
      - .offset:         4
        .size:           4
        .value_kind:     by_value
      - .offset:         8
        .size:           24
        .value_kind:     by_value
    .group_segment_fixed_size: 0
    .kernarg_segment_align: 8
    .kernarg_segment_size: 32
    .language:       OpenCL C
    .language_version:
      - 2
      - 0
    .max_flat_workgroup_size: 256
    .name:           _ZN2at6native29vectorized_elementwise_kernelILi8ENS0_13BinaryFunctorIffbNS0_12_GLOBAL__N_116CompareEqFunctorIfEEEESt5arrayIPcLm3EEEEviT0_T1_
    .private_segment_fixed_size: 0
    .sgpr_count:     28
    .sgpr_spill_count: 0
    .symbol:         _ZN2at6native29vectorized_elementwise_kernelILi8ENS0_13BinaryFunctorIffbNS0_12_GLOBAL__N_116CompareEqFunctorIfEEEESt5arrayIPcLm3EEEEviT0_T1_.kd
    .uniform_work_group_size: 1
    .uses_dynamic_stack: false
    .vgpr_count:     40
    .vgpr_spill_count: 0
    .wavefront_size: 64
  - .args:
      - .offset:         0
        .size:           4
        .value_kind:     by_value
      - .offset:         4
        .size:           4
        .value_kind:     by_value
      - .offset:         8
        .size:           24
        .value_kind:     by_value
    .group_segment_fixed_size: 0
    .kernarg_segment_align: 8
    .kernarg_segment_size: 32
    .language:       OpenCL C
    .language_version:
      - 2
      - 0
    .max_flat_workgroup_size: 256
    .name:           _ZN2at6native29vectorized_elementwise_kernelILi4ENS0_13BinaryFunctorIffbNS0_12_GLOBAL__N_116CompareEqFunctorIfEEEESt5arrayIPcLm3EEEEviT0_T1_
    .private_segment_fixed_size: 0
    .sgpr_count:     28
    .sgpr_spill_count: 0
    .symbol:         _ZN2at6native29vectorized_elementwise_kernelILi4ENS0_13BinaryFunctorIffbNS0_12_GLOBAL__N_116CompareEqFunctorIfEEEESt5arrayIPcLm3EEEEviT0_T1_.kd
    .uniform_work_group_size: 1
    .uses_dynamic_stack: false
    .vgpr_count:     40
    .vgpr_spill_count: 0
    .wavefront_size: 64
  - .args:
      - .offset:         0
        .size:           4
        .value_kind:     by_value
      - .offset:         4
        .size:           4
        .value_kind:     by_value
      - .offset:         8
        .size:           24
        .value_kind:     by_value
    .group_segment_fixed_size: 0
    .kernarg_segment_align: 8
    .kernarg_segment_size: 32
    .language:       OpenCL C
    .language_version:
      - 2
      - 0
    .max_flat_workgroup_size: 256
    .name:           _ZN2at6native29vectorized_elementwise_kernelILi2ENS0_13BinaryFunctorIffbNS0_12_GLOBAL__N_116CompareEqFunctorIfEEEESt5arrayIPcLm3EEEEviT0_T1_
    .private_segment_fixed_size: 0
    .sgpr_count:     22
    .sgpr_spill_count: 0
    .symbol:         _ZN2at6native29vectorized_elementwise_kernelILi2ENS0_13BinaryFunctorIffbNS0_12_GLOBAL__N_116CompareEqFunctorIfEEEESt5arrayIPcLm3EEEEviT0_T1_.kd
    .uniform_work_group_size: 1
    .uses_dynamic_stack: false
    .vgpr_count:     40
    .vgpr_spill_count: 0
    .wavefront_size: 64
  - .args:
      - .offset:         0
        .size:           4
        .value_kind:     by_value
      - .offset:         4
        .size:           4
        .value_kind:     by_value
      - .offset:         8
        .size:           24
        .value_kind:     by_value
      - .offset:         32
        .size:           1
        .value_kind:     by_value
      - .offset:         33
        .size:           1
        .value_kind:     by_value
      - .offset:         34
        .size:           1
        .value_kind:     by_value
      - .offset:         35
        .size:           1
        .value_kind:     by_value
    .group_segment_fixed_size: 0
    .kernarg_segment_align: 8
    .kernarg_segment_size: 36
    .language:       OpenCL C
    .language_version:
      - 2
      - 0
    .max_flat_workgroup_size: 256
    .name:           _ZN2at6native27unrolled_elementwise_kernelINS0_13BinaryFunctorIffbNS0_12_GLOBAL__N_116CompareEqFunctorIfEEEESt5arrayIPcLm3EELi4E23TrivialOffsetCalculatorILi2EjESA_ILi1EjENS0_6memory15LoadWithoutCastENSD_16StoreWithoutCastEEEviT_T0_T2_T3_T4_T5_
    .private_segment_fixed_size: 0
    .sgpr_count:     18
    .sgpr_spill_count: 0
    .symbol:         _ZN2at6native27unrolled_elementwise_kernelINS0_13BinaryFunctorIffbNS0_12_GLOBAL__N_116CompareEqFunctorIfEEEESt5arrayIPcLm3EELi4E23TrivialOffsetCalculatorILi2EjESA_ILi1EjENS0_6memory15LoadWithoutCastENSD_16StoreWithoutCastEEEviT_T0_T2_T3_T4_T5_.kd
    .uniform_work_group_size: 1
    .uses_dynamic_stack: false
    .vgpr_count:     15
    .vgpr_spill_count: 0
    .wavefront_size: 64
  - .args:
      - .offset:         0
        .size:           4
        .value_kind:     by_value
      - .offset:         8
        .size:           424
        .value_kind:     by_value
    .group_segment_fixed_size: 0
    .kernarg_segment_align: 8
    .kernarg_segment_size: 432
    .language:       OpenCL C
    .language_version:
      - 2
      - 0
    .max_flat_workgroup_size: 128
    .name:           _ZN2at6native32elementwise_kernel_manual_unrollILi128ELi8EZNS0_22gpu_kernel_impl_nocastINS0_13BinaryFunctorIffbNS0_12_GLOBAL__N_116CompareEqFunctorIfEEEEEEvRNS_18TensorIteratorBaseERKT_EUlibE_EEviT1_
    .private_segment_fixed_size: 0
    .sgpr_count:     56
    .sgpr_spill_count: 0
    .symbol:         _ZN2at6native32elementwise_kernel_manual_unrollILi128ELi8EZNS0_22gpu_kernel_impl_nocastINS0_13BinaryFunctorIffbNS0_12_GLOBAL__N_116CompareEqFunctorIfEEEEEEvRNS_18TensorIteratorBaseERKT_EUlibE_EEviT1_.kd
    .uniform_work_group_size: 1
    .uses_dynamic_stack: false
    .vgpr_count:     42
    .vgpr_spill_count: 0
    .wavefront_size: 64
  - .args:
      - .offset:         0
        .size:           4
        .value_kind:     by_value
      - .offset:         8
        .size:           48
        .value_kind:     by_value
    .group_segment_fixed_size: 0
    .kernarg_segment_align: 8
    .kernarg_segment_size: 56
    .language:       OpenCL C
    .language_version:
      - 2
      - 0
    .max_flat_workgroup_size: 128
    .name:           _ZN2at6native32elementwise_kernel_manual_unrollILi128ELi4EZNS0_15gpu_kernel_implINS0_13BinaryFunctorIffbNS0_12_GLOBAL__N_116CompareEqFunctorIfEEEEEEvRNS_18TensorIteratorBaseERKT_EUlibE_EEviT1_
    .private_segment_fixed_size: 0
    .sgpr_count:     63
    .sgpr_spill_count: 0
    .symbol:         _ZN2at6native32elementwise_kernel_manual_unrollILi128ELi4EZNS0_15gpu_kernel_implINS0_13BinaryFunctorIffbNS0_12_GLOBAL__N_116CompareEqFunctorIfEEEEEEvRNS_18TensorIteratorBaseERKT_EUlibE_EEviT1_.kd
    .uniform_work_group_size: 1
    .uses_dynamic_stack: false
    .vgpr_count:     16
    .vgpr_spill_count: 0
    .wavefront_size: 64
  - .args:
      - .offset:         0
        .size:           4
        .value_kind:     by_value
      - .offset:         8
        .size:           424
        .value_kind:     by_value
    .group_segment_fixed_size: 0
    .kernarg_segment_align: 8
    .kernarg_segment_size: 432
    .language:       OpenCL C
    .language_version:
      - 2
      - 0
    .max_flat_workgroup_size: 128
    .name:           _ZN2at6native32elementwise_kernel_manual_unrollILi128ELi4EZNS0_15gpu_kernel_implINS0_13BinaryFunctorIffbNS0_12_GLOBAL__N_116CompareEqFunctorIfEEEEEEvRNS_18TensorIteratorBaseERKT_EUlibE0_EEviT1_
    .private_segment_fixed_size: 0
    .sgpr_count:     84
    .sgpr_spill_count: 0
    .symbol:         _ZN2at6native32elementwise_kernel_manual_unrollILi128ELi4EZNS0_15gpu_kernel_implINS0_13BinaryFunctorIffbNS0_12_GLOBAL__N_116CompareEqFunctorIfEEEEEEvRNS_18TensorIteratorBaseERKT_EUlibE0_EEviT1_.kd
    .uniform_work_group_size: 1
    .uses_dynamic_stack: false
    .vgpr_count:     24
    .vgpr_spill_count: 0
    .wavefront_size: 64
  - .args:
      - .offset:         0
        .size:           4
        .value_kind:     by_value
      - .offset:         4
        .size:           8
        .value_kind:     by_value
      - .offset:         16
        .size:           16
        .value_kind:     by_value
    .group_segment_fixed_size: 0
    .kernarg_segment_align: 8
    .kernarg_segment_size: 32
    .language:       OpenCL C
    .language_version:
      - 2
      - 0
    .max_flat_workgroup_size: 256
    .name:           _ZN2at6native29vectorized_elementwise_kernelILi16ENS0_13AUnaryFunctorIffbNS0_12_GLOBAL__N_116CompareEqFunctorIfEEEESt5arrayIPcLm2EEEEviT0_T1_
    .private_segment_fixed_size: 0
    .sgpr_count:     52
    .sgpr_spill_count: 0
    .symbol:         _ZN2at6native29vectorized_elementwise_kernelILi16ENS0_13AUnaryFunctorIffbNS0_12_GLOBAL__N_116CompareEqFunctorIfEEEESt5arrayIPcLm2EEEEviT0_T1_.kd
    .uniform_work_group_size: 1
    .uses_dynamic_stack: false
    .vgpr_count:     21
    .vgpr_spill_count: 0
    .wavefront_size: 64
  - .args:
      - .offset:         0
        .size:           4
        .value_kind:     by_value
      - .offset:         4
        .size:           8
        .value_kind:     by_value
      - .offset:         16
        .size:           16
        .value_kind:     by_value
    .group_segment_fixed_size: 0
    .kernarg_segment_align: 8
    .kernarg_segment_size: 32
    .language:       OpenCL C
    .language_version:
      - 2
      - 0
    .max_flat_workgroup_size: 256
    .name:           _ZN2at6native29vectorized_elementwise_kernelILi8ENS0_13AUnaryFunctorIffbNS0_12_GLOBAL__N_116CompareEqFunctorIfEEEESt5arrayIPcLm2EEEEviT0_T1_
    .private_segment_fixed_size: 0
    .sgpr_count:     36
    .sgpr_spill_count: 0
    .symbol:         _ZN2at6native29vectorized_elementwise_kernelILi8ENS0_13AUnaryFunctorIffbNS0_12_GLOBAL__N_116CompareEqFunctorIfEEEESt5arrayIPcLm2EEEEviT0_T1_.kd
    .uniform_work_group_size: 1
    .uses_dynamic_stack: false
    .vgpr_count:     21
    .vgpr_spill_count: 0
    .wavefront_size: 64
  - .args:
      - .offset:         0
        .size:           4
        .value_kind:     by_value
      - .offset:         4
        .size:           8
        .value_kind:     by_value
      - .offset:         16
        .size:           16
        .value_kind:     by_value
    .group_segment_fixed_size: 0
    .kernarg_segment_align: 8
    .kernarg_segment_size: 32
    .language:       OpenCL C
    .language_version:
      - 2
      - 0
    .max_flat_workgroup_size: 256
    .name:           _ZN2at6native29vectorized_elementwise_kernelILi4ENS0_13AUnaryFunctorIffbNS0_12_GLOBAL__N_116CompareEqFunctorIfEEEESt5arrayIPcLm2EEEEviT0_T1_
    .private_segment_fixed_size: 0
    .sgpr_count:     30
    .sgpr_spill_count: 0
    .symbol:         _ZN2at6native29vectorized_elementwise_kernelILi4ENS0_13AUnaryFunctorIffbNS0_12_GLOBAL__N_116CompareEqFunctorIfEEEESt5arrayIPcLm2EEEEviT0_T1_.kd
    .uniform_work_group_size: 1
    .uses_dynamic_stack: false
    .vgpr_count:     21
    .vgpr_spill_count: 0
    .wavefront_size: 64
  - .args:
      - .offset:         0
        .size:           4
        .value_kind:     by_value
      - .offset:         4
        .size:           8
        .value_kind:     by_value
      - .offset:         16
        .size:           16
        .value_kind:     by_value
    .group_segment_fixed_size: 0
    .kernarg_segment_align: 8
    .kernarg_segment_size: 32
    .language:       OpenCL C
    .language_version:
      - 2
      - 0
    .max_flat_workgroup_size: 256
    .name:           _ZN2at6native29vectorized_elementwise_kernelILi2ENS0_13AUnaryFunctorIffbNS0_12_GLOBAL__N_116CompareEqFunctorIfEEEESt5arrayIPcLm2EEEEviT0_T1_
    .private_segment_fixed_size: 0
    .sgpr_count:     22
    .sgpr_spill_count: 0
    .symbol:         _ZN2at6native29vectorized_elementwise_kernelILi2ENS0_13AUnaryFunctorIffbNS0_12_GLOBAL__N_116CompareEqFunctorIfEEEESt5arrayIPcLm2EEEEviT0_T1_.kd
    .uniform_work_group_size: 1
    .uses_dynamic_stack: false
    .vgpr_count:     21
    .vgpr_spill_count: 0
    .wavefront_size: 64
  - .args:
      - .offset:         0
        .size:           4
        .value_kind:     by_value
      - .offset:         4
        .size:           8
        .value_kind:     by_value
      - .offset:         16
        .size:           16
        .value_kind:     by_value
      - .offset:         32
        .size:           1
        .value_kind:     by_value
      - .offset:         33
        .size:           1
        .value_kind:     by_value
      - .offset:         34
        .size:           1
        .value_kind:     by_value
      - .offset:         35
        .size:           1
        .value_kind:     by_value
    .group_segment_fixed_size: 0
    .kernarg_segment_align: 8
    .kernarg_segment_size: 36
    .language:       OpenCL C
    .language_version:
      - 2
      - 0
    .max_flat_workgroup_size: 256
    .name:           _ZN2at6native27unrolled_elementwise_kernelINS0_13AUnaryFunctorIffbNS0_12_GLOBAL__N_116CompareEqFunctorIfEEEESt5arrayIPcLm2EELi4E23TrivialOffsetCalculatorILi1EjESB_NS0_6memory15LoadWithoutCastENSC_16StoreWithoutCastEEEviT_T0_T2_T3_T4_T5_
    .private_segment_fixed_size: 0
    .sgpr_count:     20
    .sgpr_spill_count: 0
    .symbol:         _ZN2at6native27unrolled_elementwise_kernelINS0_13AUnaryFunctorIffbNS0_12_GLOBAL__N_116CompareEqFunctorIfEEEESt5arrayIPcLm2EELi4E23TrivialOffsetCalculatorILi1EjESB_NS0_6memory15LoadWithoutCastENSC_16StoreWithoutCastEEEviT_T0_T2_T3_T4_T5_.kd
    .uniform_work_group_size: 1
    .uses_dynamic_stack: false
    .vgpr_count:     9
    .vgpr_spill_count: 0
    .wavefront_size: 64
  - .args:
      - .offset:         0
        .size:           4
        .value_kind:     by_value
      - .offset:         8
        .size:           352
        .value_kind:     by_value
    .group_segment_fixed_size: 0
    .kernarg_segment_align: 8
    .kernarg_segment_size: 360
    .language:       OpenCL C
    .language_version:
      - 2
      - 0
    .max_flat_workgroup_size: 128
    .name:           _ZN2at6native32elementwise_kernel_manual_unrollILi128ELi8EZNS0_22gpu_kernel_impl_nocastINS0_13AUnaryFunctorIffbNS0_12_GLOBAL__N_116CompareEqFunctorIfEEEEEEvRNS_18TensorIteratorBaseERKT_EUlibE_EEviT1_
    .private_segment_fixed_size: 0
    .sgpr_count:     67
    .sgpr_spill_count: 0
    .symbol:         _ZN2at6native32elementwise_kernel_manual_unrollILi128ELi8EZNS0_22gpu_kernel_impl_nocastINS0_13AUnaryFunctorIffbNS0_12_GLOBAL__N_116CompareEqFunctorIfEEEEEEvRNS_18TensorIteratorBaseERKT_EUlibE_EEviT1_.kd
    .uniform_work_group_size: 1
    .uses_dynamic_stack: false
    .vgpr_count:     26
    .vgpr_spill_count: 0
    .wavefront_size: 64
  - .args:
      - .offset:         0
        .size:           4
        .value_kind:     by_value
      - .offset:         8
        .size:           40
        .value_kind:     by_value
    .group_segment_fixed_size: 0
    .kernarg_segment_align: 8
    .kernarg_segment_size: 48
    .language:       OpenCL C
    .language_version:
      - 2
      - 0
    .max_flat_workgroup_size: 128
    .name:           _ZN2at6native32elementwise_kernel_manual_unrollILi128ELi4EZNS0_15gpu_kernel_implINS0_13AUnaryFunctorIffbNS0_12_GLOBAL__N_116CompareEqFunctorIfEEEEEEvRNS_18TensorIteratorBaseERKT_EUlibE_EEviT1_
    .private_segment_fixed_size: 0
    .sgpr_count:     54
    .sgpr_spill_count: 0
    .symbol:         _ZN2at6native32elementwise_kernel_manual_unrollILi128ELi4EZNS0_15gpu_kernel_implINS0_13AUnaryFunctorIffbNS0_12_GLOBAL__N_116CompareEqFunctorIfEEEEEEvRNS_18TensorIteratorBaseERKT_EUlibE_EEviT1_.kd
    .uniform_work_group_size: 1
    .uses_dynamic_stack: false
    .vgpr_count:     12
    .vgpr_spill_count: 0
    .wavefront_size: 64
  - .args:
      - .offset:         0
        .size:           4
        .value_kind:     by_value
      - .offset:         8
        .size:           360
        .value_kind:     by_value
    .group_segment_fixed_size: 0
    .kernarg_segment_align: 8
    .kernarg_segment_size: 368
    .language:       OpenCL C
    .language_version:
      - 2
      - 0
    .max_flat_workgroup_size: 128
    .name:           _ZN2at6native32elementwise_kernel_manual_unrollILi128ELi4EZNS0_15gpu_kernel_implINS0_13AUnaryFunctorIffbNS0_12_GLOBAL__N_116CompareEqFunctorIfEEEEEEvRNS_18TensorIteratorBaseERKT_EUlibE0_EEviT1_
    .private_segment_fixed_size: 0
    .sgpr_count:     85
    .sgpr_spill_count: 0
    .symbol:         _ZN2at6native32elementwise_kernel_manual_unrollILi128ELi4EZNS0_15gpu_kernel_implINS0_13AUnaryFunctorIffbNS0_12_GLOBAL__N_116CompareEqFunctorIfEEEEEEvRNS_18TensorIteratorBaseERKT_EUlibE0_EEviT1_.kd
    .uniform_work_group_size: 1
    .uses_dynamic_stack: false
    .vgpr_count:     18
    .vgpr_spill_count: 0
    .wavefront_size: 64
  - .args:
      - .offset:         0
        .size:           4
        .value_kind:     by_value
      - .offset:         4
        .size:           4
        .value_kind:     by_value
      - .offset:         8
        .size:           24
        .value_kind:     by_value
    .group_segment_fixed_size: 0
    .kernarg_segment_align: 8
    .kernarg_segment_size: 32
    .language:       OpenCL C
    .language_version:
      - 2
      - 0
    .max_flat_workgroup_size: 256
    .name:           _ZN2at6native29vectorized_elementwise_kernelILi16ENS0_13BinaryFunctorIN3c107complexIdEES5_bNS0_12_GLOBAL__N_116CompareEqFunctorIS5_EEEESt5arrayIPcLm3EEEEviT0_T1_
    .private_segment_fixed_size: 0
    .sgpr_count:     50
    .sgpr_spill_count: 0
    .symbol:         _ZN2at6native29vectorized_elementwise_kernelILi16ENS0_13BinaryFunctorIN3c107complexIdEES5_bNS0_12_GLOBAL__N_116CompareEqFunctorIS5_EEEESt5arrayIPcLm3EEEEviT0_T1_.kd
    .uniform_work_group_size: 1
    .uses_dynamic_stack: false
    .vgpr_count:     131
    .vgpr_spill_count: 0
    .wavefront_size: 64
  - .args:
      - .offset:         0
        .size:           4
        .value_kind:     by_value
      - .offset:         4
        .size:           4
        .value_kind:     by_value
      - .offset:         8
        .size:           24
        .value_kind:     by_value
    .group_segment_fixed_size: 0
    .kernarg_segment_align: 8
    .kernarg_segment_size: 32
    .language:       OpenCL C
    .language_version:
      - 2
      - 0
    .max_flat_workgroup_size: 256
    .name:           _ZN2at6native29vectorized_elementwise_kernelILi8ENS0_13BinaryFunctorIN3c107complexIdEES5_bNS0_12_GLOBAL__N_116CompareEqFunctorIS5_EEEESt5arrayIPcLm3EEEEviT0_T1_
    .private_segment_fixed_size: 0
    .sgpr_count:     50
    .sgpr_spill_count: 0
    .symbol:         _ZN2at6native29vectorized_elementwise_kernelILi8ENS0_13BinaryFunctorIN3c107complexIdEES5_bNS0_12_GLOBAL__N_116CompareEqFunctorIS5_EEEESt5arrayIPcLm3EEEEviT0_T1_.kd
    .uniform_work_group_size: 1
    .uses_dynamic_stack: false
    .vgpr_count:     131
    .vgpr_spill_count: 0
    .wavefront_size: 64
  - .args:
      - .offset:         0
        .size:           4
        .value_kind:     by_value
      - .offset:         4
        .size:           4
        .value_kind:     by_value
      - .offset:         8
        .size:           24
        .value_kind:     by_value
    .group_segment_fixed_size: 0
    .kernarg_segment_align: 8
    .kernarg_segment_size: 32
    .language:       OpenCL C
    .language_version:
      - 2
      - 0
    .max_flat_workgroup_size: 256
    .name:           _ZN2at6native29vectorized_elementwise_kernelILi4ENS0_13BinaryFunctorIN3c107complexIdEES5_bNS0_12_GLOBAL__N_116CompareEqFunctorIS5_EEEESt5arrayIPcLm3EEEEviT0_T1_
    .private_segment_fixed_size: 0
    .sgpr_count:     50
    .sgpr_spill_count: 0
    .symbol:         _ZN2at6native29vectorized_elementwise_kernelILi4ENS0_13BinaryFunctorIN3c107complexIdEES5_bNS0_12_GLOBAL__N_116CompareEqFunctorIS5_EEEESt5arrayIPcLm3EEEEviT0_T1_.kd
    .uniform_work_group_size: 1
    .uses_dynamic_stack: false
    .vgpr_count:     131
    .vgpr_spill_count: 0
    .wavefront_size: 64
  - .args:
      - .offset:         0
        .size:           4
        .value_kind:     by_value
      - .offset:         4
        .size:           4
        .value_kind:     by_value
      - .offset:         8
        .size:           24
        .value_kind:     by_value
    .group_segment_fixed_size: 0
    .kernarg_segment_align: 8
    .kernarg_segment_size: 32
    .language:       OpenCL C
    .language_version:
      - 2
      - 0
    .max_flat_workgroup_size: 256
    .name:           _ZN2at6native29vectorized_elementwise_kernelILi2ENS0_13BinaryFunctorIN3c107complexIdEES5_bNS0_12_GLOBAL__N_116CompareEqFunctorIS5_EEEESt5arrayIPcLm3EEEEviT0_T1_
    .private_segment_fixed_size: 0
    .sgpr_count:     50
    .sgpr_spill_count: 0
    .symbol:         _ZN2at6native29vectorized_elementwise_kernelILi2ENS0_13BinaryFunctorIN3c107complexIdEES5_bNS0_12_GLOBAL__N_116CompareEqFunctorIS5_EEEESt5arrayIPcLm3EEEEviT0_T1_.kd
    .uniform_work_group_size: 1
    .uses_dynamic_stack: false
    .vgpr_count:     131
    .vgpr_spill_count: 0
    .wavefront_size: 64
  - .args:
      - .offset:         0
        .size:           4
        .value_kind:     by_value
      - .offset:         4
        .size:           4
        .value_kind:     by_value
      - .offset:         8
        .size:           24
        .value_kind:     by_value
      - .offset:         32
        .size:           1
        .value_kind:     by_value
      - .offset:         33
        .size:           1
        .value_kind:     by_value
      - .offset:         34
        .size:           1
        .value_kind:     by_value
      - .offset:         35
        .size:           1
        .value_kind:     by_value
    .group_segment_fixed_size: 0
    .kernarg_segment_align: 8
    .kernarg_segment_size: 36
    .language:       OpenCL C
    .language_version:
      - 2
      - 0
    .max_flat_workgroup_size: 256
    .name:           _ZN2at6native27unrolled_elementwise_kernelINS0_13BinaryFunctorIN3c107complexIdEES5_bNS0_12_GLOBAL__N_116CompareEqFunctorIS5_EEEESt5arrayIPcLm3EELi4E23TrivialOffsetCalculatorILi2EjESD_ILi1EjENS0_6memory15LoadWithoutCastENSG_16StoreWithoutCastEEEviT_T0_T2_T3_T4_T5_
    .private_segment_fixed_size: 0
    .sgpr_count:     20
    .sgpr_spill_count: 0
    .symbol:         _ZN2at6native27unrolled_elementwise_kernelINS0_13BinaryFunctorIN3c107complexIdEES5_bNS0_12_GLOBAL__N_116CompareEqFunctorIS5_EEEESt5arrayIPcLm3EELi4E23TrivialOffsetCalculatorILi2EjESD_ILi1EjENS0_6memory15LoadWithoutCastENSG_16StoreWithoutCastEEEviT_T0_T2_T3_T4_T5_.kd
    .uniform_work_group_size: 1
    .uses_dynamic_stack: false
    .vgpr_count:     38
    .vgpr_spill_count: 0
    .wavefront_size: 64
  - .args:
      - .offset:         0
        .size:           4
        .value_kind:     by_value
      - .offset:         8
        .size:           424
        .value_kind:     by_value
    .group_segment_fixed_size: 0
    .kernarg_segment_align: 8
    .kernarg_segment_size: 432
    .language:       OpenCL C
    .language_version:
      - 2
      - 0
    .max_flat_workgroup_size: 128
    .name:           _ZN2at6native32elementwise_kernel_manual_unrollILi128ELi8EZNS0_22gpu_kernel_impl_nocastINS0_13BinaryFunctorIN3c107complexIdEES6_bNS0_12_GLOBAL__N_116CompareEqFunctorIS6_EEEEEEvRNS_18TensorIteratorBaseERKT_EUlibE_EEviT1_
    .private_segment_fixed_size: 0
    .sgpr_count:     58
    .sgpr_spill_count: 0
    .symbol:         _ZN2at6native32elementwise_kernel_manual_unrollILi128ELi8EZNS0_22gpu_kernel_impl_nocastINS0_13BinaryFunctorIN3c107complexIdEES6_bNS0_12_GLOBAL__N_116CompareEqFunctorIS6_EEEEEEvRNS_18TensorIteratorBaseERKT_EUlibE_EEviT1_.kd
    .uniform_work_group_size: 1
    .uses_dynamic_stack: false
    .vgpr_count:     48
    .vgpr_spill_count: 0
    .wavefront_size: 64
  - .args:
      - .offset:         0
        .size:           4
        .value_kind:     by_value
      - .offset:         8
        .size:           48
        .value_kind:     by_value
    .group_segment_fixed_size: 0
    .kernarg_segment_align: 8
    .kernarg_segment_size: 56
    .language:       OpenCL C
    .language_version:
      - 2
      - 0
    .max_flat_workgroup_size: 128
    .name:           _ZN2at6native32elementwise_kernel_manual_unrollILi128ELi4EZNS0_15gpu_kernel_implINS0_13BinaryFunctorIN3c107complexIdEES6_bNS0_12_GLOBAL__N_116CompareEqFunctorIS6_EEEEEEvRNS_18TensorIteratorBaseERKT_EUlibE_EEviT1_
    .private_segment_fixed_size: 0
    .sgpr_count:     63
    .sgpr_spill_count: 0
    .symbol:         _ZN2at6native32elementwise_kernel_manual_unrollILi128ELi4EZNS0_15gpu_kernel_implINS0_13BinaryFunctorIN3c107complexIdEES6_bNS0_12_GLOBAL__N_116CompareEqFunctorIS6_EEEEEEvRNS_18TensorIteratorBaseERKT_EUlibE_EEviT1_.kd
    .uniform_work_group_size: 1
    .uses_dynamic_stack: false
    .vgpr_count:     15
    .vgpr_spill_count: 0
    .wavefront_size: 64
  - .args:
      - .offset:         0
        .size:           4
        .value_kind:     by_value
      - .offset:         8
        .size:           424
        .value_kind:     by_value
    .group_segment_fixed_size: 0
    .kernarg_segment_align: 8
    .kernarg_segment_size: 432
    .language:       OpenCL C
    .language_version:
      - 2
      - 0
    .max_flat_workgroup_size: 128
    .name:           _ZN2at6native32elementwise_kernel_manual_unrollILi128ELi4EZNS0_15gpu_kernel_implINS0_13BinaryFunctorIN3c107complexIdEES6_bNS0_12_GLOBAL__N_116CompareEqFunctorIS6_EEEEEEvRNS_18TensorIteratorBaseERKT_EUlibE0_EEviT1_
    .private_segment_fixed_size: 0
    .sgpr_count:     84
    .sgpr_spill_count: 0
    .symbol:         _ZN2at6native32elementwise_kernel_manual_unrollILi128ELi4EZNS0_15gpu_kernel_implINS0_13BinaryFunctorIN3c107complexIdEES6_bNS0_12_GLOBAL__N_116CompareEqFunctorIS6_EEEEEEvRNS_18TensorIteratorBaseERKT_EUlibE0_EEviT1_.kd
    .uniform_work_group_size: 1
    .uses_dynamic_stack: false
    .vgpr_count:     30
    .vgpr_spill_count: 0
    .wavefront_size: 64
  - .args:
      - .offset:         0
        .size:           4
        .value_kind:     by_value
      - .offset:         16
        .size:           32
        .value_kind:     by_value
      - .offset:         48
        .size:           16
        .value_kind:     by_value
    .group_segment_fixed_size: 0
    .kernarg_segment_align: 16
    .kernarg_segment_size: 64
    .language:       OpenCL C
    .language_version:
      - 2
      - 0
    .max_flat_workgroup_size: 256
    .name:           _ZN2at6native29vectorized_elementwise_kernelILi16ENS0_13AUnaryFunctorIN3c107complexIdEES5_bNS0_12_GLOBAL__N_116CompareEqFunctorIS5_EEEESt5arrayIPcLm2EEEEviT0_T1_
    .private_segment_fixed_size: 0
    .sgpr_count:     51
    .sgpr_spill_count: 0
    .symbol:         _ZN2at6native29vectorized_elementwise_kernelILi16ENS0_13AUnaryFunctorIN3c107complexIdEES5_bNS0_12_GLOBAL__N_116CompareEqFunctorIS5_EEEESt5arrayIPcLm2EEEEviT0_T1_.kd
    .uniform_work_group_size: 1
    .uses_dynamic_stack: false
    .vgpr_count:     67
    .vgpr_spill_count: 0
    .wavefront_size: 64
  - .args:
      - .offset:         0
        .size:           4
        .value_kind:     by_value
      - .offset:         16
        .size:           32
        .value_kind:     by_value
      - .offset:         48
        .size:           16
        .value_kind:     by_value
    .group_segment_fixed_size: 0
    .kernarg_segment_align: 16
    .kernarg_segment_size: 64
    .language:       OpenCL C
    .language_version:
      - 2
      - 0
    .max_flat_workgroup_size: 256
    .name:           _ZN2at6native29vectorized_elementwise_kernelILi8ENS0_13AUnaryFunctorIN3c107complexIdEES5_bNS0_12_GLOBAL__N_116CompareEqFunctorIS5_EEEESt5arrayIPcLm2EEEEviT0_T1_
    .private_segment_fixed_size: 0
    .sgpr_count:     51
    .sgpr_spill_count: 0
    .symbol:         _ZN2at6native29vectorized_elementwise_kernelILi8ENS0_13AUnaryFunctorIN3c107complexIdEES5_bNS0_12_GLOBAL__N_116CompareEqFunctorIS5_EEEESt5arrayIPcLm2EEEEviT0_T1_.kd
    .uniform_work_group_size: 1
    .uses_dynamic_stack: false
    .vgpr_count:     69
    .vgpr_spill_count: 0
    .wavefront_size: 64
  - .args:
      - .offset:         0
        .size:           4
        .value_kind:     by_value
      - .offset:         16
        .size:           32
        .value_kind:     by_value
      - .offset:         48
        .size:           16
        .value_kind:     by_value
    .group_segment_fixed_size: 0
    .kernarg_segment_align: 16
    .kernarg_segment_size: 64
    .language:       OpenCL C
    .language_version:
      - 2
      - 0
    .max_flat_workgroup_size: 256
    .name:           _ZN2at6native29vectorized_elementwise_kernelILi4ENS0_13AUnaryFunctorIN3c107complexIdEES5_bNS0_12_GLOBAL__N_116CompareEqFunctorIS5_EEEESt5arrayIPcLm2EEEEviT0_T1_
    .private_segment_fixed_size: 0
    .sgpr_count:     51
    .sgpr_spill_count: 0
    .symbol:         _ZN2at6native29vectorized_elementwise_kernelILi4ENS0_13AUnaryFunctorIN3c107complexIdEES5_bNS0_12_GLOBAL__N_116CompareEqFunctorIS5_EEEESt5arrayIPcLm2EEEEviT0_T1_.kd
    .uniform_work_group_size: 1
    .uses_dynamic_stack: false
    .vgpr_count:     69
    .vgpr_spill_count: 0
    .wavefront_size: 64
  - .args:
      - .offset:         0
        .size:           4
        .value_kind:     by_value
      - .offset:         16
        .size:           32
        .value_kind:     by_value
      - .offset:         48
        .size:           16
        .value_kind:     by_value
    .group_segment_fixed_size: 0
    .kernarg_segment_align: 16
    .kernarg_segment_size: 64
    .language:       OpenCL C
    .language_version:
      - 2
      - 0
    .max_flat_workgroup_size: 256
    .name:           _ZN2at6native29vectorized_elementwise_kernelILi2ENS0_13AUnaryFunctorIN3c107complexIdEES5_bNS0_12_GLOBAL__N_116CompareEqFunctorIS5_EEEESt5arrayIPcLm2EEEEviT0_T1_
    .private_segment_fixed_size: 0
    .sgpr_count:     51
    .sgpr_spill_count: 0
    .symbol:         _ZN2at6native29vectorized_elementwise_kernelILi2ENS0_13AUnaryFunctorIN3c107complexIdEES5_bNS0_12_GLOBAL__N_116CompareEqFunctorIS5_EEEESt5arrayIPcLm2EEEEviT0_T1_.kd
    .uniform_work_group_size: 1
    .uses_dynamic_stack: false
    .vgpr_count:     69
    .vgpr_spill_count: 0
    .wavefront_size: 64
  - .args:
      - .offset:         0
        .size:           4
        .value_kind:     by_value
      - .offset:         16
        .size:           32
        .value_kind:     by_value
      - .offset:         48
        .size:           16
        .value_kind:     by_value
      - .offset:         64
        .size:           1
        .value_kind:     by_value
      - .offset:         65
        .size:           1
        .value_kind:     by_value
      - .offset:         66
        .size:           1
        .value_kind:     by_value
      - .offset:         67
        .size:           1
        .value_kind:     by_value
    .group_segment_fixed_size: 0
    .kernarg_segment_align: 16
    .kernarg_segment_size: 68
    .language:       OpenCL C
    .language_version:
      - 2
      - 0
    .max_flat_workgroup_size: 256
    .name:           _ZN2at6native27unrolled_elementwise_kernelINS0_13AUnaryFunctorIN3c107complexIdEES5_bNS0_12_GLOBAL__N_116CompareEqFunctorIS5_EEEESt5arrayIPcLm2EELi4E23TrivialOffsetCalculatorILi1EjESE_NS0_6memory15LoadWithoutCastENSF_16StoreWithoutCastEEEviT_T0_T2_T3_T4_T5_
    .private_segment_fixed_size: 0
    .sgpr_count:     22
    .sgpr_spill_count: 0
    .symbol:         _ZN2at6native27unrolled_elementwise_kernelINS0_13AUnaryFunctorIN3c107complexIdEES5_bNS0_12_GLOBAL__N_116CompareEqFunctorIS5_EEEESt5arrayIPcLm2EELi4E23TrivialOffsetCalculatorILi1EjESE_NS0_6memory15LoadWithoutCastENSF_16StoreWithoutCastEEEviT_T0_T2_T3_T4_T5_.kd
    .uniform_work_group_size: 1
    .uses_dynamic_stack: false
    .vgpr_count:     19
    .vgpr_spill_count: 0
    .wavefront_size: 64
  - .args:
      - .offset:         0
        .size:           4
        .value_kind:     by_value
      - .offset:         16
        .size:           384
        .value_kind:     by_value
    .group_segment_fixed_size: 0
    .kernarg_segment_align: 16
    .kernarg_segment_size: 400
    .language:       OpenCL C
    .language_version:
      - 2
      - 0
    .max_flat_workgroup_size: 128
    .name:           _ZN2at6native32elementwise_kernel_manual_unrollILi128ELi8EZNS0_22gpu_kernel_impl_nocastINS0_13AUnaryFunctorIN3c107complexIdEES6_bNS0_12_GLOBAL__N_116CompareEqFunctorIS6_EEEEEEvRNS_18TensorIteratorBaseERKT_EUlibE_EEviT1_
    .private_segment_fixed_size: 0
    .sgpr_count:     70
    .sgpr_spill_count: 0
    .symbol:         _ZN2at6native32elementwise_kernel_manual_unrollILi128ELi8EZNS0_22gpu_kernel_impl_nocastINS0_13AUnaryFunctorIN3c107complexIdEES6_bNS0_12_GLOBAL__N_116CompareEqFunctorIS6_EEEEEEvRNS_18TensorIteratorBaseERKT_EUlibE_EEviT1_.kd
    .uniform_work_group_size: 1
    .uses_dynamic_stack: false
    .vgpr_count:     27
    .vgpr_spill_count: 0
    .wavefront_size: 64
  - .args:
      - .offset:         0
        .size:           4
        .value_kind:     by_value
      - .offset:         16
        .size:           80
        .value_kind:     by_value
    .group_segment_fixed_size: 0
    .kernarg_segment_align: 16
    .kernarg_segment_size: 96
    .language:       OpenCL C
    .language_version:
      - 2
      - 0
    .max_flat_workgroup_size: 128
    .name:           _ZN2at6native32elementwise_kernel_manual_unrollILi128ELi4EZNS0_15gpu_kernel_implINS0_13AUnaryFunctorIN3c107complexIdEES6_bNS0_12_GLOBAL__N_116CompareEqFunctorIS6_EEEEEEvRNS_18TensorIteratorBaseERKT_EUlibE_EEviT1_
    .private_segment_fixed_size: 0
    .sgpr_count:     56
    .sgpr_spill_count: 0
    .symbol:         _ZN2at6native32elementwise_kernel_manual_unrollILi128ELi4EZNS0_15gpu_kernel_implINS0_13AUnaryFunctorIN3c107complexIdEES6_bNS0_12_GLOBAL__N_116CompareEqFunctorIS6_EEEEEEvRNS_18TensorIteratorBaseERKT_EUlibE_EEviT1_.kd
    .uniform_work_group_size: 1
    .uses_dynamic_stack: false
    .vgpr_count:     10
    .vgpr_spill_count: 0
    .wavefront_size: 64
  - .args:
      - .offset:         0
        .size:           4
        .value_kind:     by_value
      - .offset:         16
        .size:           400
        .value_kind:     by_value
    .group_segment_fixed_size: 0
    .kernarg_segment_align: 16
    .kernarg_segment_size: 416
    .language:       OpenCL C
    .language_version:
      - 2
      - 0
    .max_flat_workgroup_size: 128
    .name:           _ZN2at6native32elementwise_kernel_manual_unrollILi128ELi4EZNS0_15gpu_kernel_implINS0_13AUnaryFunctorIN3c107complexIdEES6_bNS0_12_GLOBAL__N_116CompareEqFunctorIS6_EEEEEEvRNS_18TensorIteratorBaseERKT_EUlibE0_EEviT1_
    .private_segment_fixed_size: 0
    .sgpr_count:     88
    .sgpr_spill_count: 0
    .symbol:         _ZN2at6native32elementwise_kernel_manual_unrollILi128ELi4EZNS0_15gpu_kernel_implINS0_13AUnaryFunctorIN3c107complexIdEES6_bNS0_12_GLOBAL__N_116CompareEqFunctorIS6_EEEEEEvRNS_18TensorIteratorBaseERKT_EUlibE0_EEviT1_.kd
    .uniform_work_group_size: 1
    .uses_dynamic_stack: false
    .vgpr_count:     20
    .vgpr_spill_count: 0
    .wavefront_size: 64
  - .args:
      - .offset:         0
        .size:           4
        .value_kind:     by_value
      - .offset:         4
        .size:           4
        .value_kind:     by_value
      - .offset:         8
        .size:           24
        .value_kind:     by_value
    .group_segment_fixed_size: 0
    .kernarg_segment_align: 8
    .kernarg_segment_size: 32
    .language:       OpenCL C
    .language_version:
      - 2
      - 0
    .max_flat_workgroup_size: 256
    .name:           _ZN2at6native29vectorized_elementwise_kernelILi16ENS0_13BinaryFunctorIN3c107complexIfEES5_bNS0_12_GLOBAL__N_116CompareEqFunctorIS5_EEEESt5arrayIPcLm3EEEEviT0_T1_
    .private_segment_fixed_size: 0
    .sgpr_count:     50
    .sgpr_spill_count: 0
    .symbol:         _ZN2at6native29vectorized_elementwise_kernelILi16ENS0_13BinaryFunctorIN3c107complexIfEES5_bNS0_12_GLOBAL__N_116CompareEqFunctorIS5_EEEESt5arrayIPcLm3EEEEviT0_T1_.kd
    .uniform_work_group_size: 1
    .uses_dynamic_stack: false
    .vgpr_count:     70
    .vgpr_spill_count: 0
    .wavefront_size: 64
  - .args:
      - .offset:         0
        .size:           4
        .value_kind:     by_value
      - .offset:         4
        .size:           4
        .value_kind:     by_value
      - .offset:         8
        .size:           24
        .value_kind:     by_value
    .group_segment_fixed_size: 0
    .kernarg_segment_align: 8
    .kernarg_segment_size: 32
    .language:       OpenCL C
    .language_version:
      - 2
      - 0
    .max_flat_workgroup_size: 256
    .name:           _ZN2at6native29vectorized_elementwise_kernelILi8ENS0_13BinaryFunctorIN3c107complexIfEES5_bNS0_12_GLOBAL__N_116CompareEqFunctorIS5_EEEESt5arrayIPcLm3EEEEviT0_T1_
    .private_segment_fixed_size: 0
    .sgpr_count:     50
    .sgpr_spill_count: 0
    .symbol:         _ZN2at6native29vectorized_elementwise_kernelILi8ENS0_13BinaryFunctorIN3c107complexIfEES5_bNS0_12_GLOBAL__N_116CompareEqFunctorIS5_EEEESt5arrayIPcLm3EEEEviT0_T1_.kd
    .uniform_work_group_size: 1
    .uses_dynamic_stack: false
    .vgpr_count:     70
    .vgpr_spill_count: 0
    .wavefront_size: 64
  - .args:
      - .offset:         0
        .size:           4
        .value_kind:     by_value
      - .offset:         4
        .size:           4
        .value_kind:     by_value
      - .offset:         8
        .size:           24
        .value_kind:     by_value
    .group_segment_fixed_size: 0
    .kernarg_segment_align: 8
    .kernarg_segment_size: 32
    .language:       OpenCL C
    .language_version:
      - 2
      - 0
    .max_flat_workgroup_size: 256
    .name:           _ZN2at6native29vectorized_elementwise_kernelILi4ENS0_13BinaryFunctorIN3c107complexIfEES5_bNS0_12_GLOBAL__N_116CompareEqFunctorIS5_EEEESt5arrayIPcLm3EEEEviT0_T1_
    .private_segment_fixed_size: 0
    .sgpr_count:     50
    .sgpr_spill_count: 0
    .symbol:         _ZN2at6native29vectorized_elementwise_kernelILi4ENS0_13BinaryFunctorIN3c107complexIfEES5_bNS0_12_GLOBAL__N_116CompareEqFunctorIS5_EEEESt5arrayIPcLm3EEEEviT0_T1_.kd
    .uniform_work_group_size: 1
    .uses_dynamic_stack: false
    .vgpr_count:     70
    .vgpr_spill_count: 0
    .wavefront_size: 64
  - .args:
      - .offset:         0
        .size:           4
        .value_kind:     by_value
      - .offset:         4
        .size:           4
        .value_kind:     by_value
      - .offset:         8
        .size:           24
        .value_kind:     by_value
    .group_segment_fixed_size: 0
    .kernarg_segment_align: 8
    .kernarg_segment_size: 32
    .language:       OpenCL C
    .language_version:
      - 2
      - 0
    .max_flat_workgroup_size: 256
    .name:           _ZN2at6native29vectorized_elementwise_kernelILi2ENS0_13BinaryFunctorIN3c107complexIfEES5_bNS0_12_GLOBAL__N_116CompareEqFunctorIS5_EEEESt5arrayIPcLm3EEEEviT0_T1_
    .private_segment_fixed_size: 0
    .sgpr_count:     50
    .sgpr_spill_count: 0
    .symbol:         _ZN2at6native29vectorized_elementwise_kernelILi2ENS0_13BinaryFunctorIN3c107complexIfEES5_bNS0_12_GLOBAL__N_116CompareEqFunctorIS5_EEEESt5arrayIPcLm3EEEEviT0_T1_.kd
    .uniform_work_group_size: 1
    .uses_dynamic_stack: false
    .vgpr_count:     70
    .vgpr_spill_count: 0
    .wavefront_size: 64
  - .args:
      - .offset:         0
        .size:           4
        .value_kind:     by_value
      - .offset:         4
        .size:           4
        .value_kind:     by_value
      - .offset:         8
        .size:           24
        .value_kind:     by_value
      - .offset:         32
        .size:           1
        .value_kind:     by_value
      - .offset:         33
        .size:           1
        .value_kind:     by_value
      - .offset:         34
        .size:           1
        .value_kind:     by_value
      - .offset:         35
        .size:           1
        .value_kind:     by_value
    .group_segment_fixed_size: 0
    .kernarg_segment_align: 8
    .kernarg_segment_size: 36
    .language:       OpenCL C
    .language_version:
      - 2
      - 0
    .max_flat_workgroup_size: 256
    .name:           _ZN2at6native27unrolled_elementwise_kernelINS0_13BinaryFunctorIN3c107complexIfEES5_bNS0_12_GLOBAL__N_116CompareEqFunctorIS5_EEEESt5arrayIPcLm3EELi4E23TrivialOffsetCalculatorILi2EjESD_ILi1EjENS0_6memory15LoadWithoutCastENSG_16StoreWithoutCastEEEviT_T0_T2_T3_T4_T5_
    .private_segment_fixed_size: 0
    .sgpr_count:     20
    .sgpr_spill_count: 0
    .symbol:         _ZN2at6native27unrolled_elementwise_kernelINS0_13BinaryFunctorIN3c107complexIfEES5_bNS0_12_GLOBAL__N_116CompareEqFunctorIS5_EEEESt5arrayIPcLm3EELi4E23TrivialOffsetCalculatorILi2EjESD_ILi1EjENS0_6memory15LoadWithoutCastENSG_16StoreWithoutCastEEEviT_T0_T2_T3_T4_T5_.kd
    .uniform_work_group_size: 1
    .uses_dynamic_stack: false
    .vgpr_count:     22
    .vgpr_spill_count: 0
    .wavefront_size: 64
  - .args:
      - .offset:         0
        .size:           4
        .value_kind:     by_value
      - .offset:         8
        .size:           424
        .value_kind:     by_value
    .group_segment_fixed_size: 0
    .kernarg_segment_align: 8
    .kernarg_segment_size: 432
    .language:       OpenCL C
    .language_version:
      - 2
      - 0
    .max_flat_workgroup_size: 128
    .name:           _ZN2at6native32elementwise_kernel_manual_unrollILi128ELi8EZNS0_22gpu_kernel_impl_nocastINS0_13BinaryFunctorIN3c107complexIfEES6_bNS0_12_GLOBAL__N_116CompareEqFunctorIS6_EEEEEEvRNS_18TensorIteratorBaseERKT_EUlibE_EEviT1_
    .private_segment_fixed_size: 0
    .sgpr_count:     58
    .sgpr_spill_count: 0
    .symbol:         _ZN2at6native32elementwise_kernel_manual_unrollILi128ELi8EZNS0_22gpu_kernel_impl_nocastINS0_13BinaryFunctorIN3c107complexIfEES6_bNS0_12_GLOBAL__N_116CompareEqFunctorIS6_EEEEEEvRNS_18TensorIteratorBaseERKT_EUlibE_EEviT1_.kd
    .uniform_work_group_size: 1
    .uses_dynamic_stack: false
    .vgpr_count:     43
    .vgpr_spill_count: 0
    .wavefront_size: 64
  - .args:
      - .offset:         0
        .size:           4
        .value_kind:     by_value
      - .offset:         8
        .size:           48
        .value_kind:     by_value
    .group_segment_fixed_size: 0
    .kernarg_segment_align: 8
    .kernarg_segment_size: 56
    .language:       OpenCL C
    .language_version:
      - 2
      - 0
    .max_flat_workgroup_size: 128
    .name:           _ZN2at6native32elementwise_kernel_manual_unrollILi128ELi4EZNS0_15gpu_kernel_implINS0_13BinaryFunctorIN3c107complexIfEES6_bNS0_12_GLOBAL__N_116CompareEqFunctorIS6_EEEEEEvRNS_18TensorIteratorBaseERKT_EUlibE_EEviT1_
    .private_segment_fixed_size: 0
    .sgpr_count:     63
    .sgpr_spill_count: 0
    .symbol:         _ZN2at6native32elementwise_kernel_manual_unrollILi128ELi4EZNS0_15gpu_kernel_implINS0_13BinaryFunctorIN3c107complexIfEES6_bNS0_12_GLOBAL__N_116CompareEqFunctorIS6_EEEEEEvRNS_18TensorIteratorBaseERKT_EUlibE_EEviT1_.kd
    .uniform_work_group_size: 1
    .uses_dynamic_stack: false
    .vgpr_count:     13
    .vgpr_spill_count: 0
    .wavefront_size: 64
  - .args:
      - .offset:         0
        .size:           4
        .value_kind:     by_value
      - .offset:         8
        .size:           424
        .value_kind:     by_value
    .group_segment_fixed_size: 0
    .kernarg_segment_align: 8
    .kernarg_segment_size: 432
    .language:       OpenCL C
    .language_version:
      - 2
      - 0
    .max_flat_workgroup_size: 128
    .name:           _ZN2at6native32elementwise_kernel_manual_unrollILi128ELi4EZNS0_15gpu_kernel_implINS0_13BinaryFunctorIN3c107complexIfEES6_bNS0_12_GLOBAL__N_116CompareEqFunctorIS6_EEEEEEvRNS_18TensorIteratorBaseERKT_EUlibE0_EEviT1_
    .private_segment_fixed_size: 0
    .sgpr_count:     84
    .sgpr_spill_count: 0
    .symbol:         _ZN2at6native32elementwise_kernel_manual_unrollILi128ELi4EZNS0_15gpu_kernel_implINS0_13BinaryFunctorIN3c107complexIfEES6_bNS0_12_GLOBAL__N_116CompareEqFunctorIS6_EEEEEEvRNS_18TensorIteratorBaseERKT_EUlibE0_EEviT1_.kd
    .uniform_work_group_size: 1
    .uses_dynamic_stack: false
    .vgpr_count:     28
    .vgpr_spill_count: 0
    .wavefront_size: 64
  - .args:
      - .offset:         0
        .size:           4
        .value_kind:     by_value
      - .offset:         8
        .size:           16
        .value_kind:     by_value
      - .offset:         24
        .size:           16
        .value_kind:     by_value
    .group_segment_fixed_size: 0
    .kernarg_segment_align: 8
    .kernarg_segment_size: 40
    .language:       OpenCL C
    .language_version:
      - 2
      - 0
    .max_flat_workgroup_size: 256
    .name:           _ZN2at6native29vectorized_elementwise_kernelILi16ENS0_13AUnaryFunctorIN3c107complexIfEES5_bNS0_12_GLOBAL__N_116CompareEqFunctorIS5_EEEESt5arrayIPcLm2EEEEviT0_T1_
    .private_segment_fixed_size: 0
    .sgpr_count:     49
    .sgpr_spill_count: 0
    .symbol:         _ZN2at6native29vectorized_elementwise_kernelILi16ENS0_13AUnaryFunctorIN3c107complexIfEES5_bNS0_12_GLOBAL__N_116CompareEqFunctorIS5_EEEESt5arrayIPcLm2EEEEviT0_T1_.kd
    .uniform_work_group_size: 1
    .uses_dynamic_stack: false
    .vgpr_count:     35
    .vgpr_spill_count: 0
    .wavefront_size: 64
  - .args:
      - .offset:         0
        .size:           4
        .value_kind:     by_value
      - .offset:         8
        .size:           16
        .value_kind:     by_value
      - .offset:         24
        .size:           16
        .value_kind:     by_value
    .group_segment_fixed_size: 0
    .kernarg_segment_align: 8
    .kernarg_segment_size: 40
    .language:       OpenCL C
    .language_version:
      - 2
      - 0
    .max_flat_workgroup_size: 256
    .name:           _ZN2at6native29vectorized_elementwise_kernelILi8ENS0_13AUnaryFunctorIN3c107complexIfEES5_bNS0_12_GLOBAL__N_116CompareEqFunctorIS5_EEEESt5arrayIPcLm2EEEEviT0_T1_
    .private_segment_fixed_size: 0
    .sgpr_count:     49
    .sgpr_spill_count: 0
    .symbol:         _ZN2at6native29vectorized_elementwise_kernelILi8ENS0_13AUnaryFunctorIN3c107complexIfEES5_bNS0_12_GLOBAL__N_116CompareEqFunctorIS5_EEEESt5arrayIPcLm2EEEEviT0_T1_.kd
    .uniform_work_group_size: 1
    .uses_dynamic_stack: false
    .vgpr_count:     35
    .vgpr_spill_count: 0
    .wavefront_size: 64
  - .args:
      - .offset:         0
        .size:           4
        .value_kind:     by_value
      - .offset:         8
        .size:           16
        .value_kind:     by_value
      - .offset:         24
        .size:           16
        .value_kind:     by_value
    .group_segment_fixed_size: 0
    .kernarg_segment_align: 8
    .kernarg_segment_size: 40
    .language:       OpenCL C
    .language_version:
      - 2
      - 0
    .max_flat_workgroup_size: 256
    .name:           _ZN2at6native29vectorized_elementwise_kernelILi4ENS0_13AUnaryFunctorIN3c107complexIfEES5_bNS0_12_GLOBAL__N_116CompareEqFunctorIS5_EEEESt5arrayIPcLm2EEEEviT0_T1_
    .private_segment_fixed_size: 0
    .sgpr_count:     49
    .sgpr_spill_count: 0
    .symbol:         _ZN2at6native29vectorized_elementwise_kernelILi4ENS0_13AUnaryFunctorIN3c107complexIfEES5_bNS0_12_GLOBAL__N_116CompareEqFunctorIS5_EEEESt5arrayIPcLm2EEEEviT0_T1_.kd
    .uniform_work_group_size: 1
    .uses_dynamic_stack: false
    .vgpr_count:     37
    .vgpr_spill_count: 0
    .wavefront_size: 64
  - .args:
      - .offset:         0
        .size:           4
        .value_kind:     by_value
      - .offset:         8
        .size:           16
        .value_kind:     by_value
      - .offset:         24
        .size:           16
        .value_kind:     by_value
    .group_segment_fixed_size: 0
    .kernarg_segment_align: 8
    .kernarg_segment_size: 40
    .language:       OpenCL C
    .language_version:
      - 2
      - 0
    .max_flat_workgroup_size: 256
    .name:           _ZN2at6native29vectorized_elementwise_kernelILi2ENS0_13AUnaryFunctorIN3c107complexIfEES5_bNS0_12_GLOBAL__N_116CompareEqFunctorIS5_EEEESt5arrayIPcLm2EEEEviT0_T1_
    .private_segment_fixed_size: 0
    .sgpr_count:     49
    .sgpr_spill_count: 0
    .symbol:         _ZN2at6native29vectorized_elementwise_kernelILi2ENS0_13AUnaryFunctorIN3c107complexIfEES5_bNS0_12_GLOBAL__N_116CompareEqFunctorIS5_EEEESt5arrayIPcLm2EEEEviT0_T1_.kd
    .uniform_work_group_size: 1
    .uses_dynamic_stack: false
    .vgpr_count:     37
    .vgpr_spill_count: 0
    .wavefront_size: 64
  - .args:
      - .offset:         0
        .size:           4
        .value_kind:     by_value
      - .offset:         8
        .size:           16
        .value_kind:     by_value
      - .offset:         24
        .size:           16
        .value_kind:     by_value
      - .offset:         40
        .size:           1
        .value_kind:     by_value
      - .offset:         41
        .size:           1
        .value_kind:     by_value
      - .offset:         42
        .size:           1
        .value_kind:     by_value
      - .offset:         43
        .size:           1
        .value_kind:     by_value
    .group_segment_fixed_size: 0
    .kernarg_segment_align: 8
    .kernarg_segment_size: 44
    .language:       OpenCL C
    .language_version:
      - 2
      - 0
    .max_flat_workgroup_size: 256
    .name:           _ZN2at6native27unrolled_elementwise_kernelINS0_13AUnaryFunctorIN3c107complexIfEES5_bNS0_12_GLOBAL__N_116CompareEqFunctorIS5_EEEESt5arrayIPcLm2EELi4E23TrivialOffsetCalculatorILi1EjESE_NS0_6memory15LoadWithoutCastENSF_16StoreWithoutCastEEEviT_T0_T2_T3_T4_T5_
    .private_segment_fixed_size: 0
    .sgpr_count:     20
    .sgpr_spill_count: 0
    .symbol:         _ZN2at6native27unrolled_elementwise_kernelINS0_13AUnaryFunctorIN3c107complexIfEES5_bNS0_12_GLOBAL__N_116CompareEqFunctorIS5_EEEESt5arrayIPcLm2EELi4E23TrivialOffsetCalculatorILi1EjESE_NS0_6memory15LoadWithoutCastENSF_16StoreWithoutCastEEEviT_T0_T2_T3_T4_T5_.kd
    .uniform_work_group_size: 1
    .uses_dynamic_stack: false
    .vgpr_count:     11
    .vgpr_spill_count: 0
    .wavefront_size: 64
  - .args:
      - .offset:         0
        .size:           4
        .value_kind:     by_value
      - .offset:         8
        .size:           360
        .value_kind:     by_value
    .group_segment_fixed_size: 0
    .kernarg_segment_align: 8
    .kernarg_segment_size: 368
    .language:       OpenCL C
    .language_version:
      - 2
      - 0
    .max_flat_workgroup_size: 128
    .name:           _ZN2at6native32elementwise_kernel_manual_unrollILi128ELi8EZNS0_22gpu_kernel_impl_nocastINS0_13AUnaryFunctorIN3c107complexIfEES6_bNS0_12_GLOBAL__N_116CompareEqFunctorIS6_EEEEEEvRNS_18TensorIteratorBaseERKT_EUlibE_EEviT1_
    .private_segment_fixed_size: 0
    .sgpr_count:     68
    .sgpr_spill_count: 0
    .symbol:         _ZN2at6native32elementwise_kernel_manual_unrollILi128ELi8EZNS0_22gpu_kernel_impl_nocastINS0_13AUnaryFunctorIN3c107complexIfEES6_bNS0_12_GLOBAL__N_116CompareEqFunctorIS6_EEEEEEvRNS_18TensorIteratorBaseERKT_EUlibE_EEviT1_.kd
    .uniform_work_group_size: 1
    .uses_dynamic_stack: false
    .vgpr_count:     26
    .vgpr_spill_count: 0
    .wavefront_size: 64
  - .args:
      - .offset:         0
        .size:           4
        .value_kind:     by_value
      - .offset:         8
        .size:           48
        .value_kind:     by_value
    .group_segment_fixed_size: 0
    .kernarg_segment_align: 8
    .kernarg_segment_size: 56
    .language:       OpenCL C
    .language_version:
      - 2
      - 0
    .max_flat_workgroup_size: 128
    .name:           _ZN2at6native32elementwise_kernel_manual_unrollILi128ELi4EZNS0_15gpu_kernel_implINS0_13AUnaryFunctorIN3c107complexIfEES6_bNS0_12_GLOBAL__N_116CompareEqFunctorIS6_EEEEEEvRNS_18TensorIteratorBaseERKT_EUlibE_EEviT1_
    .private_segment_fixed_size: 0
    .sgpr_count:     54
    .sgpr_spill_count: 0
    .symbol:         _ZN2at6native32elementwise_kernel_manual_unrollILi128ELi4EZNS0_15gpu_kernel_implINS0_13AUnaryFunctorIN3c107complexIfEES6_bNS0_12_GLOBAL__N_116CompareEqFunctorIS6_EEEEEEvRNS_18TensorIteratorBaseERKT_EUlibE_EEviT1_.kd
    .uniform_work_group_size: 1
    .uses_dynamic_stack: false
    .vgpr_count:     10
    .vgpr_spill_count: 0
    .wavefront_size: 64
  - .args:
      - .offset:         0
        .size:           4
        .value_kind:     by_value
      - .offset:         8
        .size:           368
        .value_kind:     by_value
    .group_segment_fixed_size: 0
    .kernarg_segment_align: 8
    .kernarg_segment_size: 376
    .language:       OpenCL C
    .language_version:
      - 2
      - 0
    .max_flat_workgroup_size: 128
    .name:           _ZN2at6native32elementwise_kernel_manual_unrollILi128ELi4EZNS0_15gpu_kernel_implINS0_13AUnaryFunctorIN3c107complexIfEES6_bNS0_12_GLOBAL__N_116CompareEqFunctorIS6_EEEEEEvRNS_18TensorIteratorBaseERKT_EUlibE0_EEviT1_
    .private_segment_fixed_size: 0
    .sgpr_count:     86
    .sgpr_spill_count: 0
    .symbol:         _ZN2at6native32elementwise_kernel_manual_unrollILi128ELi4EZNS0_15gpu_kernel_implINS0_13AUnaryFunctorIN3c107complexIfEES6_bNS0_12_GLOBAL__N_116CompareEqFunctorIS6_EEEEEEvRNS_18TensorIteratorBaseERKT_EUlibE0_EEviT1_.kd
    .uniform_work_group_size: 1
    .uses_dynamic_stack: false
    .vgpr_count:     18
    .vgpr_spill_count: 0
    .wavefront_size: 64
  - .args:
      - .offset:         0
        .size:           4
        .value_kind:     by_value
      - .offset:         4
        .size:           4
        .value_kind:     by_value
      - .offset:         8
        .size:           24
        .value_kind:     by_value
    .group_segment_fixed_size: 0
    .kernarg_segment_align: 8
    .kernarg_segment_size: 32
    .language:       OpenCL C
    .language_version:
      - 2
      - 0
    .max_flat_workgroup_size: 256
    .name:           _ZN2at6native29vectorized_elementwise_kernelILi16ENS0_13BinaryFunctorIN3c107complexINS3_4HalfEEES6_bNS0_12_GLOBAL__N_116CompareEqFunctorIS6_EEEESt5arrayIPcLm3EEEEviT0_T1_
    .private_segment_fixed_size: 0
    .sgpr_count:     50
    .sgpr_spill_count: 0
    .symbol:         _ZN2at6native29vectorized_elementwise_kernelILi16ENS0_13BinaryFunctorIN3c107complexINS3_4HalfEEES6_bNS0_12_GLOBAL__N_116CompareEqFunctorIS6_EEEESt5arrayIPcLm3EEEEviT0_T1_.kd
    .uniform_work_group_size: 1
    .uses_dynamic_stack: false
    .vgpr_count:     38
    .vgpr_spill_count: 0
    .wavefront_size: 64
  - .args:
      - .offset:         0
        .size:           4
        .value_kind:     by_value
      - .offset:         4
        .size:           4
        .value_kind:     by_value
      - .offset:         8
        .size:           24
        .value_kind:     by_value
    .group_segment_fixed_size: 0
    .kernarg_segment_align: 8
    .kernarg_segment_size: 32
    .language:       OpenCL C
    .language_version:
      - 2
      - 0
    .max_flat_workgroup_size: 256
    .name:           _ZN2at6native29vectorized_elementwise_kernelILi8ENS0_13BinaryFunctorIN3c107complexINS3_4HalfEEES6_bNS0_12_GLOBAL__N_116CompareEqFunctorIS6_EEEESt5arrayIPcLm3EEEEviT0_T1_
    .private_segment_fixed_size: 0
    .sgpr_count:     50
    .sgpr_spill_count: 0
    .symbol:         _ZN2at6native29vectorized_elementwise_kernelILi8ENS0_13BinaryFunctorIN3c107complexINS3_4HalfEEES6_bNS0_12_GLOBAL__N_116CompareEqFunctorIS6_EEEESt5arrayIPcLm3EEEEviT0_T1_.kd
    .uniform_work_group_size: 1
    .uses_dynamic_stack: false
    .vgpr_count:     38
    .vgpr_spill_count: 0
    .wavefront_size: 64
  - .args:
      - .offset:         0
        .size:           4
        .value_kind:     by_value
      - .offset:         4
        .size:           4
        .value_kind:     by_value
      - .offset:         8
        .size:           24
        .value_kind:     by_value
    .group_segment_fixed_size: 0
    .kernarg_segment_align: 8
    .kernarg_segment_size: 32
    .language:       OpenCL C
    .language_version:
      - 2
      - 0
    .max_flat_workgroup_size: 256
    .name:           _ZN2at6native29vectorized_elementwise_kernelILi4ENS0_13BinaryFunctorIN3c107complexINS3_4HalfEEES6_bNS0_12_GLOBAL__N_116CompareEqFunctorIS6_EEEESt5arrayIPcLm3EEEEviT0_T1_
    .private_segment_fixed_size: 0
    .sgpr_count:     50
    .sgpr_spill_count: 0
    .symbol:         _ZN2at6native29vectorized_elementwise_kernelILi4ENS0_13BinaryFunctorIN3c107complexINS3_4HalfEEES6_bNS0_12_GLOBAL__N_116CompareEqFunctorIS6_EEEESt5arrayIPcLm3EEEEviT0_T1_.kd
    .uniform_work_group_size: 1
    .uses_dynamic_stack: false
    .vgpr_count:     38
    .vgpr_spill_count: 0
    .wavefront_size: 64
  - .args:
      - .offset:         0
        .size:           4
        .value_kind:     by_value
      - .offset:         4
        .size:           4
        .value_kind:     by_value
      - .offset:         8
        .size:           24
        .value_kind:     by_value
    .group_segment_fixed_size: 0
    .kernarg_segment_align: 8
    .kernarg_segment_size: 32
    .language:       OpenCL C
    .language_version:
      - 2
      - 0
    .max_flat_workgroup_size: 256
    .name:           _ZN2at6native29vectorized_elementwise_kernelILi2ENS0_13BinaryFunctorIN3c107complexINS3_4HalfEEES6_bNS0_12_GLOBAL__N_116CompareEqFunctorIS6_EEEESt5arrayIPcLm3EEEEviT0_T1_
    .private_segment_fixed_size: 0
    .sgpr_count:     50
    .sgpr_spill_count: 0
    .symbol:         _ZN2at6native29vectorized_elementwise_kernelILi2ENS0_13BinaryFunctorIN3c107complexINS3_4HalfEEES6_bNS0_12_GLOBAL__N_116CompareEqFunctorIS6_EEEESt5arrayIPcLm3EEEEviT0_T1_.kd
    .uniform_work_group_size: 1
    .uses_dynamic_stack: false
    .vgpr_count:     39
    .vgpr_spill_count: 0
    .wavefront_size: 64
  - .args:
      - .offset:         0
        .size:           4
        .value_kind:     by_value
      - .offset:         4
        .size:           4
        .value_kind:     by_value
      - .offset:         8
        .size:           24
        .value_kind:     by_value
      - .offset:         32
        .size:           1
        .value_kind:     by_value
      - .offset:         33
        .size:           1
        .value_kind:     by_value
      - .offset:         34
        .size:           1
        .value_kind:     by_value
      - .offset:         35
        .size:           1
        .value_kind:     by_value
    .group_segment_fixed_size: 0
    .kernarg_segment_align: 8
    .kernarg_segment_size: 36
    .language:       OpenCL C
    .language_version:
      - 2
      - 0
    .max_flat_workgroup_size: 256
    .name:           _ZN2at6native27unrolled_elementwise_kernelINS0_13BinaryFunctorIN3c107complexINS3_4HalfEEES6_bNS0_12_GLOBAL__N_116CompareEqFunctorIS6_EEEESt5arrayIPcLm3EELi4E23TrivialOffsetCalculatorILi2EjESE_ILi1EjENS0_6memory15LoadWithoutCastENSH_16StoreWithoutCastEEEviT_T0_T2_T3_T4_T5_
    .private_segment_fixed_size: 0
    .sgpr_count:     24
    .sgpr_spill_count: 0
    .symbol:         _ZN2at6native27unrolled_elementwise_kernelINS0_13BinaryFunctorIN3c107complexINS3_4HalfEEES6_bNS0_12_GLOBAL__N_116CompareEqFunctorIS6_EEEESt5arrayIPcLm3EELi4E23TrivialOffsetCalculatorILi2EjESE_ILi1EjENS0_6memory15LoadWithoutCastENSH_16StoreWithoutCastEEEviT_T0_T2_T3_T4_T5_.kd
    .uniform_work_group_size: 1
    .uses_dynamic_stack: false
    .vgpr_count:     15
    .vgpr_spill_count: 0
    .wavefront_size: 64
  - .args:
      - .offset:         0
        .size:           4
        .value_kind:     by_value
      - .offset:         8
        .size:           424
        .value_kind:     by_value
    .group_segment_fixed_size: 0
    .kernarg_segment_align: 8
    .kernarg_segment_size: 432
    .language:       OpenCL C
    .language_version:
      - 2
      - 0
    .max_flat_workgroup_size: 128
    .name:           _ZN2at6native32elementwise_kernel_manual_unrollILi128ELi8EZNS0_22gpu_kernel_impl_nocastINS0_13BinaryFunctorIN3c107complexINS4_4HalfEEES7_bNS0_12_GLOBAL__N_116CompareEqFunctorIS7_EEEEEEvRNS_18TensorIteratorBaseERKT_EUlibE_EEviT1_
    .private_segment_fixed_size: 0
    .sgpr_count:     58
    .sgpr_spill_count: 0
    .symbol:         _ZN2at6native32elementwise_kernel_manual_unrollILi128ELi8EZNS0_22gpu_kernel_impl_nocastINS0_13BinaryFunctorIN3c107complexINS4_4HalfEEES7_bNS0_12_GLOBAL__N_116CompareEqFunctorIS7_EEEEEEvRNS_18TensorIteratorBaseERKT_EUlibE_EEviT1_.kd
    .uniform_work_group_size: 1
    .uses_dynamic_stack: false
    .vgpr_count:     41
    .vgpr_spill_count: 0
    .wavefront_size: 64
  - .args:
      - .offset:         0
        .size:           4
        .value_kind:     by_value
      - .offset:         8
        .size:           48
        .value_kind:     by_value
    .group_segment_fixed_size: 0
    .kernarg_segment_align: 8
    .kernarg_segment_size: 56
    .language:       OpenCL C
    .language_version:
      - 2
      - 0
    .max_flat_workgroup_size: 128
    .name:           _ZN2at6native32elementwise_kernel_manual_unrollILi128ELi4EZNS0_15gpu_kernel_implINS0_13BinaryFunctorIN3c107complexINS4_4HalfEEES7_bNS0_12_GLOBAL__N_116CompareEqFunctorIS7_EEEEEEvRNS_18TensorIteratorBaseERKT_EUlibE_EEviT1_
    .private_segment_fixed_size: 0
    .sgpr_count:     63
    .sgpr_spill_count: 0
    .symbol:         _ZN2at6native32elementwise_kernel_manual_unrollILi128ELi4EZNS0_15gpu_kernel_implINS0_13BinaryFunctorIN3c107complexINS4_4HalfEEES7_bNS0_12_GLOBAL__N_116CompareEqFunctorIS7_EEEEEEvRNS_18TensorIteratorBaseERKT_EUlibE_EEviT1_.kd
    .uniform_work_group_size: 1
    .uses_dynamic_stack: false
    .vgpr_count:     22
    .vgpr_spill_count: 0
    .wavefront_size: 64
  - .args:
      - .offset:         0
        .size:           4
        .value_kind:     by_value
      - .offset:         8
        .size:           424
        .value_kind:     by_value
    .group_segment_fixed_size: 0
    .kernarg_segment_align: 8
    .kernarg_segment_size: 432
    .language:       OpenCL C
    .language_version:
      - 2
      - 0
    .max_flat_workgroup_size: 128
    .name:           _ZN2at6native32elementwise_kernel_manual_unrollILi128ELi4EZNS0_15gpu_kernel_implINS0_13BinaryFunctorIN3c107complexINS4_4HalfEEES7_bNS0_12_GLOBAL__N_116CompareEqFunctorIS7_EEEEEEvRNS_18TensorIteratorBaseERKT_EUlibE0_EEviT1_
    .private_segment_fixed_size: 0
    .sgpr_count:     84
    .sgpr_spill_count: 0
    .symbol:         _ZN2at6native32elementwise_kernel_manual_unrollILi128ELi4EZNS0_15gpu_kernel_implINS0_13BinaryFunctorIN3c107complexINS4_4HalfEEES7_bNS0_12_GLOBAL__N_116CompareEqFunctorIS7_EEEEEEvRNS_18TensorIteratorBaseERKT_EUlibE0_EEviT1_.kd
    .uniform_work_group_size: 1
    .uses_dynamic_stack: false
    .vgpr_count:     29
    .vgpr_spill_count: 0
    .wavefront_size: 64
  - .args:
      - .offset:         0
        .size:           4
        .value_kind:     by_value
      - .offset:         4
        .size:           8
        .value_kind:     by_value
      - .offset:         16
        .size:           16
        .value_kind:     by_value
    .group_segment_fixed_size: 0
    .kernarg_segment_align: 8
    .kernarg_segment_size: 32
    .language:       OpenCL C
    .language_version:
      - 2
      - 0
    .max_flat_workgroup_size: 256
    .name:           _ZN2at6native29vectorized_elementwise_kernelILi16ENS0_13AUnaryFunctorIN3c107complexINS3_4HalfEEES6_bNS0_12_GLOBAL__N_116CompareEqFunctorIS6_EEEESt5arrayIPcLm2EEEEviT0_T1_
    .private_segment_fixed_size: 0
    .sgpr_count:     50
    .sgpr_spill_count: 0
    .symbol:         _ZN2at6native29vectorized_elementwise_kernelILi16ENS0_13AUnaryFunctorIN3c107complexINS3_4HalfEEES6_bNS0_12_GLOBAL__N_116CompareEqFunctorIS6_EEEESt5arrayIPcLm2EEEEviT0_T1_.kd
    .uniform_work_group_size: 1
    .uses_dynamic_stack: false
    .vgpr_count:     21
    .vgpr_spill_count: 0
    .wavefront_size: 64
  - .args:
      - .offset:         0
        .size:           4
        .value_kind:     by_value
      - .offset:         4
        .size:           8
        .value_kind:     by_value
      - .offset:         16
        .size:           16
        .value_kind:     by_value
    .group_segment_fixed_size: 0
    .kernarg_segment_align: 8
    .kernarg_segment_size: 32
    .language:       OpenCL C
    .language_version:
      - 2
      - 0
    .max_flat_workgroup_size: 256
    .name:           _ZN2at6native29vectorized_elementwise_kernelILi8ENS0_13AUnaryFunctorIN3c107complexINS3_4HalfEEES6_bNS0_12_GLOBAL__N_116CompareEqFunctorIS6_EEEESt5arrayIPcLm2EEEEviT0_T1_
    .private_segment_fixed_size: 0
    .sgpr_count:     50
    .sgpr_spill_count: 0
    .symbol:         _ZN2at6native29vectorized_elementwise_kernelILi8ENS0_13AUnaryFunctorIN3c107complexINS3_4HalfEEES6_bNS0_12_GLOBAL__N_116CompareEqFunctorIS6_EEEESt5arrayIPcLm2EEEEviT0_T1_.kd
    .uniform_work_group_size: 1
    .uses_dynamic_stack: false
    .vgpr_count:     21
    .vgpr_spill_count: 0
    .wavefront_size: 64
  - .args:
      - .offset:         0
        .size:           4
        .value_kind:     by_value
      - .offset:         4
        .size:           8
        .value_kind:     by_value
      - .offset:         16
        .size:           16
        .value_kind:     by_value
    .group_segment_fixed_size: 0
    .kernarg_segment_align: 8
    .kernarg_segment_size: 32
    .language:       OpenCL C
    .language_version:
      - 2
      - 0
    .max_flat_workgroup_size: 256
    .name:           _ZN2at6native29vectorized_elementwise_kernelILi4ENS0_13AUnaryFunctorIN3c107complexINS3_4HalfEEES6_bNS0_12_GLOBAL__N_116CompareEqFunctorIS6_EEEESt5arrayIPcLm2EEEEviT0_T1_
    .private_segment_fixed_size: 0
    .sgpr_count:     50
    .sgpr_spill_count: 0
    .symbol:         _ZN2at6native29vectorized_elementwise_kernelILi4ENS0_13AUnaryFunctorIN3c107complexINS3_4HalfEEES6_bNS0_12_GLOBAL__N_116CompareEqFunctorIS6_EEEESt5arrayIPcLm2EEEEviT0_T1_.kd
    .uniform_work_group_size: 1
    .uses_dynamic_stack: false
    .vgpr_count:     21
    .vgpr_spill_count: 0
    .wavefront_size: 64
  - .args:
      - .offset:         0
        .size:           4
        .value_kind:     by_value
      - .offset:         4
        .size:           8
        .value_kind:     by_value
      - .offset:         16
        .size:           16
        .value_kind:     by_value
    .group_segment_fixed_size: 0
    .kernarg_segment_align: 8
    .kernarg_segment_size: 32
    .language:       OpenCL C
    .language_version:
      - 2
      - 0
    .max_flat_workgroup_size: 256
    .name:           _ZN2at6native29vectorized_elementwise_kernelILi2ENS0_13AUnaryFunctorIN3c107complexINS3_4HalfEEES6_bNS0_12_GLOBAL__N_116CompareEqFunctorIS6_EEEESt5arrayIPcLm2EEEEviT0_T1_
    .private_segment_fixed_size: 0
    .sgpr_count:     50
    .sgpr_spill_count: 0
    .symbol:         _ZN2at6native29vectorized_elementwise_kernelILi2ENS0_13AUnaryFunctorIN3c107complexINS3_4HalfEEES6_bNS0_12_GLOBAL__N_116CompareEqFunctorIS6_EEEESt5arrayIPcLm2EEEEviT0_T1_.kd
    .uniform_work_group_size: 1
    .uses_dynamic_stack: false
    .vgpr_count:     21
    .vgpr_spill_count: 0
    .wavefront_size: 64
  - .args:
      - .offset:         0
        .size:           4
        .value_kind:     by_value
      - .offset:         4
        .size:           8
        .value_kind:     by_value
      - .offset:         16
        .size:           16
        .value_kind:     by_value
      - .offset:         32
        .size:           1
        .value_kind:     by_value
      - .offset:         33
        .size:           1
        .value_kind:     by_value
      - .offset:         34
        .size:           1
        .value_kind:     by_value
      - .offset:         35
        .size:           1
        .value_kind:     by_value
    .group_segment_fixed_size: 0
    .kernarg_segment_align: 8
    .kernarg_segment_size: 36
    .language:       OpenCL C
    .language_version:
      - 2
      - 0
    .max_flat_workgroup_size: 256
    .name:           _ZN2at6native27unrolled_elementwise_kernelINS0_13AUnaryFunctorIN3c107complexINS3_4HalfEEES6_bNS0_12_GLOBAL__N_116CompareEqFunctorIS6_EEEESt5arrayIPcLm2EELi4E23TrivialOffsetCalculatorILi1EjESF_NS0_6memory15LoadWithoutCastENSG_16StoreWithoutCastEEEviT_T0_T2_T3_T4_T5_
    .private_segment_fixed_size: 0
    .sgpr_count:     23
    .sgpr_spill_count: 0
    .symbol:         _ZN2at6native27unrolled_elementwise_kernelINS0_13AUnaryFunctorIN3c107complexINS3_4HalfEEES6_bNS0_12_GLOBAL__N_116CompareEqFunctorIS6_EEEESt5arrayIPcLm2EELi4E23TrivialOffsetCalculatorILi1EjESF_NS0_6memory15LoadWithoutCastENSG_16StoreWithoutCastEEEviT_T0_T2_T3_T4_T5_.kd
    .uniform_work_group_size: 1
    .uses_dynamic_stack: false
    .vgpr_count:     9
    .vgpr_spill_count: 0
    .wavefront_size: 64
  - .args:
      - .offset:         0
        .size:           4
        .value_kind:     by_value
      - .offset:         8
        .size:           352
        .value_kind:     by_value
    .group_segment_fixed_size: 0
    .kernarg_segment_align: 8
    .kernarg_segment_size: 360
    .language:       OpenCL C
    .language_version:
      - 2
      - 0
    .max_flat_workgroup_size: 128
    .name:           _ZN2at6native32elementwise_kernel_manual_unrollILi128ELi8EZNS0_22gpu_kernel_impl_nocastINS0_13AUnaryFunctorIN3c107complexINS4_4HalfEEES7_bNS0_12_GLOBAL__N_116CompareEqFunctorIS7_EEEEEEvRNS_18TensorIteratorBaseERKT_EUlibE_EEviT1_
    .private_segment_fixed_size: 0
    .sgpr_count:     68
    .sgpr_spill_count: 0
    .symbol:         _ZN2at6native32elementwise_kernel_manual_unrollILi128ELi8EZNS0_22gpu_kernel_impl_nocastINS0_13AUnaryFunctorIN3c107complexINS4_4HalfEEES7_bNS0_12_GLOBAL__N_116CompareEqFunctorIS7_EEEEEEvRNS_18TensorIteratorBaseERKT_EUlibE_EEviT1_.kd
    .uniform_work_group_size: 1
    .uses_dynamic_stack: false
    .vgpr_count:     26
    .vgpr_spill_count: 0
    .wavefront_size: 64
  - .args:
      - .offset:         0
        .size:           4
        .value_kind:     by_value
      - .offset:         8
        .size:           40
        .value_kind:     by_value
    .group_segment_fixed_size: 0
    .kernarg_segment_align: 8
    .kernarg_segment_size: 48
    .language:       OpenCL C
    .language_version:
      - 2
      - 0
    .max_flat_workgroup_size: 128
    .name:           _ZN2at6native32elementwise_kernel_manual_unrollILi128ELi4EZNS0_15gpu_kernel_implINS0_13AUnaryFunctorIN3c107complexINS4_4HalfEEES7_bNS0_12_GLOBAL__N_116CompareEqFunctorIS7_EEEEEEvRNS_18TensorIteratorBaseERKT_EUlibE_EEviT1_
    .private_segment_fixed_size: 0
    .sgpr_count:     54
    .sgpr_spill_count: 0
    .symbol:         _ZN2at6native32elementwise_kernel_manual_unrollILi128ELi4EZNS0_15gpu_kernel_implINS0_13AUnaryFunctorIN3c107complexINS4_4HalfEEES7_bNS0_12_GLOBAL__N_116CompareEqFunctorIS7_EEEEEEvRNS_18TensorIteratorBaseERKT_EUlibE_EEviT1_.kd
    .uniform_work_group_size: 1
    .uses_dynamic_stack: false
    .vgpr_count:     19
    .vgpr_spill_count: 0
    .wavefront_size: 64
  - .args:
      - .offset:         0
        .size:           4
        .value_kind:     by_value
      - .offset:         8
        .size:           360
        .value_kind:     by_value
    .group_segment_fixed_size: 0
    .kernarg_segment_align: 8
    .kernarg_segment_size: 368
    .language:       OpenCL C
    .language_version:
      - 2
      - 0
    .max_flat_workgroup_size: 128
    .name:           _ZN2at6native32elementwise_kernel_manual_unrollILi128ELi4EZNS0_15gpu_kernel_implINS0_13AUnaryFunctorIN3c107complexINS4_4HalfEEES7_bNS0_12_GLOBAL__N_116CompareEqFunctorIS7_EEEEEEvRNS_18TensorIteratorBaseERKT_EUlibE0_EEviT1_
    .private_segment_fixed_size: 0
    .sgpr_count:     86
    .sgpr_spill_count: 0
    .symbol:         _ZN2at6native32elementwise_kernel_manual_unrollILi128ELi4EZNS0_15gpu_kernel_implINS0_13AUnaryFunctorIN3c107complexINS4_4HalfEEES7_bNS0_12_GLOBAL__N_116CompareEqFunctorIS7_EEEEEEvRNS_18TensorIteratorBaseERKT_EUlibE0_EEviT1_.kd
    .uniform_work_group_size: 1
    .uses_dynamic_stack: false
    .vgpr_count:     24
    .vgpr_spill_count: 0
    .wavefront_size: 64
  - .args:
      - .offset:         0
        .size:           4
        .value_kind:     by_value
      - .offset:         4
        .size:           4
        .value_kind:     by_value
      - .offset:         8
        .size:           24
        .value_kind:     by_value
    .group_segment_fixed_size: 0
    .kernarg_segment_align: 8
    .kernarg_segment_size: 32
    .language:       OpenCL C
    .language_version:
      - 2
      - 0
    .max_flat_workgroup_size: 256
    .name:           _ZN2at6native29vectorized_elementwise_kernelILi16ENS0_13BinaryFunctorIN3c107complexINS3_8BFloat16EEES6_bNS0_12_GLOBAL__N_116CompareEqFunctorIS6_EEEESt5arrayIPcLm3EEEEviT0_T1_
    .private_segment_fixed_size: 0
    .sgpr_count:     50
    .sgpr_spill_count: 0
    .symbol:         _ZN2at6native29vectorized_elementwise_kernelILi16ENS0_13BinaryFunctorIN3c107complexINS3_8BFloat16EEES6_bNS0_12_GLOBAL__N_116CompareEqFunctorIS6_EEEESt5arrayIPcLm3EEEEviT0_T1_.kd
    .uniform_work_group_size: 1
    .uses_dynamic_stack: false
    .vgpr_count:     38
    .vgpr_spill_count: 0
    .wavefront_size: 64
  - .args:
      - .offset:         0
        .size:           4
        .value_kind:     by_value
      - .offset:         4
        .size:           4
        .value_kind:     by_value
      - .offset:         8
        .size:           24
        .value_kind:     by_value
    .group_segment_fixed_size: 0
    .kernarg_segment_align: 8
    .kernarg_segment_size: 32
    .language:       OpenCL C
    .language_version:
      - 2
      - 0
    .max_flat_workgroup_size: 256
    .name:           _ZN2at6native29vectorized_elementwise_kernelILi8ENS0_13BinaryFunctorIN3c107complexINS3_8BFloat16EEES6_bNS0_12_GLOBAL__N_116CompareEqFunctorIS6_EEEESt5arrayIPcLm3EEEEviT0_T1_
    .private_segment_fixed_size: 0
    .sgpr_count:     50
    .sgpr_spill_count: 0
    .symbol:         _ZN2at6native29vectorized_elementwise_kernelILi8ENS0_13BinaryFunctorIN3c107complexINS3_8BFloat16EEES6_bNS0_12_GLOBAL__N_116CompareEqFunctorIS6_EEEESt5arrayIPcLm3EEEEviT0_T1_.kd
    .uniform_work_group_size: 1
    .uses_dynamic_stack: false
    .vgpr_count:     38
    .vgpr_spill_count: 0
    .wavefront_size: 64
  - .args:
      - .offset:         0
        .size:           4
        .value_kind:     by_value
      - .offset:         4
        .size:           4
        .value_kind:     by_value
      - .offset:         8
        .size:           24
        .value_kind:     by_value
    .group_segment_fixed_size: 0
    .kernarg_segment_align: 8
    .kernarg_segment_size: 32
    .language:       OpenCL C
    .language_version:
      - 2
      - 0
    .max_flat_workgroup_size: 256
    .name:           _ZN2at6native29vectorized_elementwise_kernelILi4ENS0_13BinaryFunctorIN3c107complexINS3_8BFloat16EEES6_bNS0_12_GLOBAL__N_116CompareEqFunctorIS6_EEEESt5arrayIPcLm3EEEEviT0_T1_
    .private_segment_fixed_size: 0
    .sgpr_count:     50
    .sgpr_spill_count: 0
    .symbol:         _ZN2at6native29vectorized_elementwise_kernelILi4ENS0_13BinaryFunctorIN3c107complexINS3_8BFloat16EEES6_bNS0_12_GLOBAL__N_116CompareEqFunctorIS6_EEEESt5arrayIPcLm3EEEEviT0_T1_.kd
    .uniform_work_group_size: 1
    .uses_dynamic_stack: false
    .vgpr_count:     38
    .vgpr_spill_count: 0
    .wavefront_size: 64
  - .args:
      - .offset:         0
        .size:           4
        .value_kind:     by_value
      - .offset:         4
        .size:           4
        .value_kind:     by_value
      - .offset:         8
        .size:           24
        .value_kind:     by_value
    .group_segment_fixed_size: 0
    .kernarg_segment_align: 8
    .kernarg_segment_size: 32
    .language:       OpenCL C
    .language_version:
      - 2
      - 0
    .max_flat_workgroup_size: 256
    .name:           _ZN2at6native29vectorized_elementwise_kernelILi2ENS0_13BinaryFunctorIN3c107complexINS3_8BFloat16EEES6_bNS0_12_GLOBAL__N_116CompareEqFunctorIS6_EEEESt5arrayIPcLm3EEEEviT0_T1_
    .private_segment_fixed_size: 0
    .sgpr_count:     50
    .sgpr_spill_count: 0
    .symbol:         _ZN2at6native29vectorized_elementwise_kernelILi2ENS0_13BinaryFunctorIN3c107complexINS3_8BFloat16EEES6_bNS0_12_GLOBAL__N_116CompareEqFunctorIS6_EEEESt5arrayIPcLm3EEEEviT0_T1_.kd
    .uniform_work_group_size: 1
    .uses_dynamic_stack: false
    .vgpr_count:     38
    .vgpr_spill_count: 0
    .wavefront_size: 64
  - .args:
      - .offset:         0
        .size:           4
        .value_kind:     by_value
      - .offset:         4
        .size:           4
        .value_kind:     by_value
      - .offset:         8
        .size:           24
        .value_kind:     by_value
      - .offset:         32
        .size:           1
        .value_kind:     by_value
      - .offset:         33
        .size:           1
        .value_kind:     by_value
      - .offset:         34
        .size:           1
        .value_kind:     by_value
      - .offset:         35
        .size:           1
        .value_kind:     by_value
    .group_segment_fixed_size: 0
    .kernarg_segment_align: 8
    .kernarg_segment_size: 36
    .language:       OpenCL C
    .language_version:
      - 2
      - 0
    .max_flat_workgroup_size: 256
    .name:           _ZN2at6native27unrolled_elementwise_kernelINS0_13BinaryFunctorIN3c107complexINS3_8BFloat16EEES6_bNS0_12_GLOBAL__N_116CompareEqFunctorIS6_EEEESt5arrayIPcLm3EELi4E23TrivialOffsetCalculatorILi2EjESE_ILi1EjENS0_6memory15LoadWithoutCastENSH_16StoreWithoutCastEEEviT_T0_T2_T3_T4_T5_
    .private_segment_fixed_size: 0
    .sgpr_count:     24
    .sgpr_spill_count: 0
    .symbol:         _ZN2at6native27unrolled_elementwise_kernelINS0_13BinaryFunctorIN3c107complexINS3_8BFloat16EEES6_bNS0_12_GLOBAL__N_116CompareEqFunctorIS6_EEEESt5arrayIPcLm3EELi4E23TrivialOffsetCalculatorILi2EjESE_ILi1EjENS0_6memory15LoadWithoutCastENSH_16StoreWithoutCastEEEviT_T0_T2_T3_T4_T5_.kd
    .uniform_work_group_size: 1
    .uses_dynamic_stack: false
    .vgpr_count:     15
    .vgpr_spill_count: 0
    .wavefront_size: 64
  - .args:
      - .offset:         0
        .size:           4
        .value_kind:     by_value
      - .offset:         8
        .size:           424
        .value_kind:     by_value
    .group_segment_fixed_size: 0
    .kernarg_segment_align: 8
    .kernarg_segment_size: 432
    .language:       OpenCL C
    .language_version:
      - 2
      - 0
    .max_flat_workgroup_size: 128
    .name:           _ZN2at6native32elementwise_kernel_manual_unrollILi128ELi8EZNS0_22gpu_kernel_impl_nocastINS0_13BinaryFunctorIN3c107complexINS4_8BFloat16EEES7_bNS0_12_GLOBAL__N_116CompareEqFunctorIS7_EEEEEEvRNS_18TensorIteratorBaseERKT_EUlibE_EEviT1_
    .private_segment_fixed_size: 0
    .sgpr_count:     58
    .sgpr_spill_count: 0
    .symbol:         _ZN2at6native32elementwise_kernel_manual_unrollILi128ELi8EZNS0_22gpu_kernel_impl_nocastINS0_13BinaryFunctorIN3c107complexINS4_8BFloat16EEES7_bNS0_12_GLOBAL__N_116CompareEqFunctorIS7_EEEEEEvRNS_18TensorIteratorBaseERKT_EUlibE_EEviT1_.kd
    .uniform_work_group_size: 1
    .uses_dynamic_stack: false
    .vgpr_count:     41
    .vgpr_spill_count: 0
    .wavefront_size: 64
  - .args:
      - .offset:         0
        .size:           4
        .value_kind:     by_value
      - .offset:         8
        .size:           48
        .value_kind:     by_value
    .group_segment_fixed_size: 0
    .kernarg_segment_align: 8
    .kernarg_segment_size: 56
    .language:       OpenCL C
    .language_version:
      - 2
      - 0
    .max_flat_workgroup_size: 128
    .name:           _ZN2at6native32elementwise_kernel_manual_unrollILi128ELi4EZNS0_15gpu_kernel_implINS0_13BinaryFunctorIN3c107complexINS4_8BFloat16EEES7_bNS0_12_GLOBAL__N_116CompareEqFunctorIS7_EEEEEEvRNS_18TensorIteratorBaseERKT_EUlibE_EEviT1_
    .private_segment_fixed_size: 0
    .sgpr_count:     63
    .sgpr_spill_count: 0
    .symbol:         _ZN2at6native32elementwise_kernel_manual_unrollILi128ELi4EZNS0_15gpu_kernel_implINS0_13BinaryFunctorIN3c107complexINS4_8BFloat16EEES7_bNS0_12_GLOBAL__N_116CompareEqFunctorIS7_EEEEEEvRNS_18TensorIteratorBaseERKT_EUlibE_EEviT1_.kd
    .uniform_work_group_size: 1
    .uses_dynamic_stack: false
    .vgpr_count:     14
    .vgpr_spill_count: 0
    .wavefront_size: 64
  - .args:
      - .offset:         0
        .size:           4
        .value_kind:     by_value
      - .offset:         8
        .size:           424
        .value_kind:     by_value
    .group_segment_fixed_size: 0
    .kernarg_segment_align: 8
    .kernarg_segment_size: 432
    .language:       OpenCL C
    .language_version:
      - 2
      - 0
    .max_flat_workgroup_size: 128
    .name:           _ZN2at6native32elementwise_kernel_manual_unrollILi128ELi4EZNS0_15gpu_kernel_implINS0_13BinaryFunctorIN3c107complexINS4_8BFloat16EEES7_bNS0_12_GLOBAL__N_116CompareEqFunctorIS7_EEEEEEvRNS_18TensorIteratorBaseERKT_EUlibE0_EEviT1_
    .private_segment_fixed_size: 0
    .sgpr_count:     84
    .sgpr_spill_count: 0
    .symbol:         _ZN2at6native32elementwise_kernel_manual_unrollILi128ELi4EZNS0_15gpu_kernel_implINS0_13BinaryFunctorIN3c107complexINS4_8BFloat16EEES7_bNS0_12_GLOBAL__N_116CompareEqFunctorIS7_EEEEEEvRNS_18TensorIteratorBaseERKT_EUlibE0_EEviT1_.kd
    .uniform_work_group_size: 1
    .uses_dynamic_stack: false
    .vgpr_count:     26
    .vgpr_spill_count: 0
    .wavefront_size: 64
  - .args:
      - .offset:         0
        .size:           4
        .value_kind:     by_value
      - .offset:         4
        .size:           8
        .value_kind:     by_value
      - .offset:         16
        .size:           16
        .value_kind:     by_value
    .group_segment_fixed_size: 0
    .kernarg_segment_align: 8
    .kernarg_segment_size: 32
    .language:       OpenCL C
    .language_version:
      - 2
      - 0
    .max_flat_workgroup_size: 256
    .name:           _ZN2at6native29vectorized_elementwise_kernelILi16ENS0_13AUnaryFunctorIN3c107complexINS3_8BFloat16EEES6_bNS0_12_GLOBAL__N_116CompareEqFunctorIS6_EEEESt5arrayIPcLm2EEEEviT0_T1_
    .private_segment_fixed_size: 0
    .sgpr_count:     50
    .sgpr_spill_count: 0
    .symbol:         _ZN2at6native29vectorized_elementwise_kernelILi16ENS0_13AUnaryFunctorIN3c107complexINS3_8BFloat16EEES6_bNS0_12_GLOBAL__N_116CompareEqFunctorIS6_EEEESt5arrayIPcLm2EEEEviT0_T1_.kd
    .uniform_work_group_size: 1
    .uses_dynamic_stack: false
    .vgpr_count:     21
    .vgpr_spill_count: 0
    .wavefront_size: 64
  - .args:
      - .offset:         0
        .size:           4
        .value_kind:     by_value
      - .offset:         4
        .size:           8
        .value_kind:     by_value
      - .offset:         16
        .size:           16
        .value_kind:     by_value
    .group_segment_fixed_size: 0
    .kernarg_segment_align: 8
    .kernarg_segment_size: 32
    .language:       OpenCL C
    .language_version:
      - 2
      - 0
    .max_flat_workgroup_size: 256
    .name:           _ZN2at6native29vectorized_elementwise_kernelILi8ENS0_13AUnaryFunctorIN3c107complexINS3_8BFloat16EEES6_bNS0_12_GLOBAL__N_116CompareEqFunctorIS6_EEEESt5arrayIPcLm2EEEEviT0_T1_
    .private_segment_fixed_size: 0
    .sgpr_count:     50
    .sgpr_spill_count: 0
    .symbol:         _ZN2at6native29vectorized_elementwise_kernelILi8ENS0_13AUnaryFunctorIN3c107complexINS3_8BFloat16EEES6_bNS0_12_GLOBAL__N_116CompareEqFunctorIS6_EEEESt5arrayIPcLm2EEEEviT0_T1_.kd
    .uniform_work_group_size: 1
    .uses_dynamic_stack: false
    .vgpr_count:     21
    .vgpr_spill_count: 0
    .wavefront_size: 64
  - .args:
      - .offset:         0
        .size:           4
        .value_kind:     by_value
      - .offset:         4
        .size:           8
        .value_kind:     by_value
      - .offset:         16
        .size:           16
        .value_kind:     by_value
    .group_segment_fixed_size: 0
    .kernarg_segment_align: 8
    .kernarg_segment_size: 32
    .language:       OpenCL C
    .language_version:
      - 2
      - 0
    .max_flat_workgroup_size: 256
    .name:           _ZN2at6native29vectorized_elementwise_kernelILi4ENS0_13AUnaryFunctorIN3c107complexINS3_8BFloat16EEES6_bNS0_12_GLOBAL__N_116CompareEqFunctorIS6_EEEESt5arrayIPcLm2EEEEviT0_T1_
    .private_segment_fixed_size: 0
    .sgpr_count:     50
    .sgpr_spill_count: 0
    .symbol:         _ZN2at6native29vectorized_elementwise_kernelILi4ENS0_13AUnaryFunctorIN3c107complexINS3_8BFloat16EEES6_bNS0_12_GLOBAL__N_116CompareEqFunctorIS6_EEEESt5arrayIPcLm2EEEEviT0_T1_.kd
    .uniform_work_group_size: 1
    .uses_dynamic_stack: false
    .vgpr_count:     21
    .vgpr_spill_count: 0
    .wavefront_size: 64
  - .args:
      - .offset:         0
        .size:           4
        .value_kind:     by_value
      - .offset:         4
        .size:           8
        .value_kind:     by_value
      - .offset:         16
        .size:           16
        .value_kind:     by_value
    .group_segment_fixed_size: 0
    .kernarg_segment_align: 8
    .kernarg_segment_size: 32
    .language:       OpenCL C
    .language_version:
      - 2
      - 0
    .max_flat_workgroup_size: 256
    .name:           _ZN2at6native29vectorized_elementwise_kernelILi2ENS0_13AUnaryFunctorIN3c107complexINS3_8BFloat16EEES6_bNS0_12_GLOBAL__N_116CompareEqFunctorIS6_EEEESt5arrayIPcLm2EEEEviT0_T1_
    .private_segment_fixed_size: 0
    .sgpr_count:     50
    .sgpr_spill_count: 0
    .symbol:         _ZN2at6native29vectorized_elementwise_kernelILi2ENS0_13AUnaryFunctorIN3c107complexINS3_8BFloat16EEES6_bNS0_12_GLOBAL__N_116CompareEqFunctorIS6_EEEESt5arrayIPcLm2EEEEviT0_T1_.kd
    .uniform_work_group_size: 1
    .uses_dynamic_stack: false
    .vgpr_count:     21
    .vgpr_spill_count: 0
    .wavefront_size: 64
  - .args:
      - .offset:         0
        .size:           4
        .value_kind:     by_value
      - .offset:         4
        .size:           8
        .value_kind:     by_value
      - .offset:         16
        .size:           16
        .value_kind:     by_value
      - .offset:         32
        .size:           1
        .value_kind:     by_value
      - .offset:         33
        .size:           1
        .value_kind:     by_value
      - .offset:         34
        .size:           1
        .value_kind:     by_value
      - .offset:         35
        .size:           1
        .value_kind:     by_value
    .group_segment_fixed_size: 0
    .kernarg_segment_align: 8
    .kernarg_segment_size: 36
    .language:       OpenCL C
    .language_version:
      - 2
      - 0
    .max_flat_workgroup_size: 256
    .name:           _ZN2at6native27unrolled_elementwise_kernelINS0_13AUnaryFunctorIN3c107complexINS3_8BFloat16EEES6_bNS0_12_GLOBAL__N_116CompareEqFunctorIS6_EEEESt5arrayIPcLm2EELi4E23TrivialOffsetCalculatorILi1EjESF_NS0_6memory15LoadWithoutCastENSG_16StoreWithoutCastEEEviT_T0_T2_T3_T4_T5_
    .private_segment_fixed_size: 0
    .sgpr_count:     23
    .sgpr_spill_count: 0
    .symbol:         _ZN2at6native27unrolled_elementwise_kernelINS0_13AUnaryFunctorIN3c107complexINS3_8BFloat16EEES6_bNS0_12_GLOBAL__N_116CompareEqFunctorIS6_EEEESt5arrayIPcLm2EELi4E23TrivialOffsetCalculatorILi1EjESF_NS0_6memory15LoadWithoutCastENSG_16StoreWithoutCastEEEviT_T0_T2_T3_T4_T5_.kd
    .uniform_work_group_size: 1
    .uses_dynamic_stack: false
    .vgpr_count:     9
    .vgpr_spill_count: 0
    .wavefront_size: 64
  - .args:
      - .offset:         0
        .size:           4
        .value_kind:     by_value
      - .offset:         8
        .size:           352
        .value_kind:     by_value
    .group_segment_fixed_size: 0
    .kernarg_segment_align: 8
    .kernarg_segment_size: 360
    .language:       OpenCL C
    .language_version:
      - 2
      - 0
    .max_flat_workgroup_size: 128
    .name:           _ZN2at6native32elementwise_kernel_manual_unrollILi128ELi8EZNS0_22gpu_kernel_impl_nocastINS0_13AUnaryFunctorIN3c107complexINS4_8BFloat16EEES7_bNS0_12_GLOBAL__N_116CompareEqFunctorIS7_EEEEEEvRNS_18TensorIteratorBaseERKT_EUlibE_EEviT1_
    .private_segment_fixed_size: 0
    .sgpr_count:     68
    .sgpr_spill_count: 0
    .symbol:         _ZN2at6native32elementwise_kernel_manual_unrollILi128ELi8EZNS0_22gpu_kernel_impl_nocastINS0_13AUnaryFunctorIN3c107complexINS4_8BFloat16EEES7_bNS0_12_GLOBAL__N_116CompareEqFunctorIS7_EEEEEEvRNS_18TensorIteratorBaseERKT_EUlibE_EEviT1_.kd
    .uniform_work_group_size: 1
    .uses_dynamic_stack: false
    .vgpr_count:     26
    .vgpr_spill_count: 0
    .wavefront_size: 64
  - .args:
      - .offset:         0
        .size:           4
        .value_kind:     by_value
      - .offset:         8
        .size:           40
        .value_kind:     by_value
    .group_segment_fixed_size: 0
    .kernarg_segment_align: 8
    .kernarg_segment_size: 48
    .language:       OpenCL C
    .language_version:
      - 2
      - 0
    .max_flat_workgroup_size: 128
    .name:           _ZN2at6native32elementwise_kernel_manual_unrollILi128ELi4EZNS0_15gpu_kernel_implINS0_13AUnaryFunctorIN3c107complexINS4_8BFloat16EEES7_bNS0_12_GLOBAL__N_116CompareEqFunctorIS7_EEEEEEvRNS_18TensorIteratorBaseERKT_EUlibE_EEviT1_
    .private_segment_fixed_size: 0
    .sgpr_count:     56
    .sgpr_spill_count: 0
    .symbol:         _ZN2at6native32elementwise_kernel_manual_unrollILi128ELi4EZNS0_15gpu_kernel_implINS0_13AUnaryFunctorIN3c107complexINS4_8BFloat16EEES7_bNS0_12_GLOBAL__N_116CompareEqFunctorIS7_EEEEEEvRNS_18TensorIteratorBaseERKT_EUlibE_EEviT1_.kd
    .uniform_work_group_size: 1
    .uses_dynamic_stack: false
    .vgpr_count:     11
    .vgpr_spill_count: 0
    .wavefront_size: 64
  - .args:
      - .offset:         0
        .size:           4
        .value_kind:     by_value
      - .offset:         8
        .size:           360
        .value_kind:     by_value
    .group_segment_fixed_size: 0
    .kernarg_segment_align: 8
    .kernarg_segment_size: 368
    .language:       OpenCL C
    .language_version:
      - 2
      - 0
    .max_flat_workgroup_size: 128
    .name:           _ZN2at6native32elementwise_kernel_manual_unrollILi128ELi4EZNS0_15gpu_kernel_implINS0_13AUnaryFunctorIN3c107complexINS4_8BFloat16EEES7_bNS0_12_GLOBAL__N_116CompareEqFunctorIS7_EEEEEEvRNS_18TensorIteratorBaseERKT_EUlibE0_EEviT1_
    .private_segment_fixed_size: 0
    .sgpr_count:     86
    .sgpr_spill_count: 0
    .symbol:         _ZN2at6native32elementwise_kernel_manual_unrollILi128ELi4EZNS0_15gpu_kernel_implINS0_13AUnaryFunctorIN3c107complexINS4_8BFloat16EEES7_bNS0_12_GLOBAL__N_116CompareEqFunctorIS7_EEEEEEvRNS_18TensorIteratorBaseERKT_EUlibE0_EEviT1_.kd
    .uniform_work_group_size: 1
    .uses_dynamic_stack: false
    .vgpr_count:     18
    .vgpr_spill_count: 0
    .wavefront_size: 64
  - .args:
      - .offset:         0
        .size:           4
        .value_kind:     by_value
      - .offset:         4
        .size:           4
        .value_kind:     by_value
      - .offset:         8
        .size:           24
        .value_kind:     by_value
    .group_segment_fixed_size: 0
    .kernarg_segment_align: 8
    .kernarg_segment_size: 32
    .language:       OpenCL C
    .language_version:
      - 2
      - 0
    .max_flat_workgroup_size: 256
    .name:           _ZN2at6native29vectorized_elementwise_kernelILi16ENS0_13BinaryFunctorIN3c104HalfES4_bNS0_12_GLOBAL__N_116CompareEqFunctorIS4_EEEESt5arrayIPcLm3EEEEviT0_T1_
    .private_segment_fixed_size: 0
    .sgpr_count:     20
    .sgpr_spill_count: 0
    .symbol:         _ZN2at6native29vectorized_elementwise_kernelILi16ENS0_13BinaryFunctorIN3c104HalfES4_bNS0_12_GLOBAL__N_116CompareEqFunctorIS4_EEEESt5arrayIPcLm3EEEEviT0_T1_.kd
    .uniform_work_group_size: 1
    .uses_dynamic_stack: false
    .vgpr_count:     40
    .vgpr_spill_count: 0
    .wavefront_size: 64
  - .args:
      - .offset:         0
        .size:           4
        .value_kind:     by_value
      - .offset:         4
        .size:           4
        .value_kind:     by_value
      - .offset:         8
        .size:           24
        .value_kind:     by_value
    .group_segment_fixed_size: 0
    .kernarg_segment_align: 8
    .kernarg_segment_size: 32
    .language:       OpenCL C
    .language_version:
      - 2
      - 0
    .max_flat_workgroup_size: 256
    .name:           _ZN2at6native29vectorized_elementwise_kernelILi8ENS0_13BinaryFunctorIN3c104HalfES4_bNS0_12_GLOBAL__N_116CompareEqFunctorIS4_EEEESt5arrayIPcLm3EEEEviT0_T1_
    .private_segment_fixed_size: 0
    .sgpr_count:     20
    .sgpr_spill_count: 0
    .symbol:         _ZN2at6native29vectorized_elementwise_kernelILi8ENS0_13BinaryFunctorIN3c104HalfES4_bNS0_12_GLOBAL__N_116CompareEqFunctorIS4_EEEESt5arrayIPcLm3EEEEviT0_T1_.kd
    .uniform_work_group_size: 1
    .uses_dynamic_stack: false
    .vgpr_count:     40
    .vgpr_spill_count: 0
    .wavefront_size: 64
  - .args:
      - .offset:         0
        .size:           4
        .value_kind:     by_value
      - .offset:         4
        .size:           4
        .value_kind:     by_value
      - .offset:         8
        .size:           24
        .value_kind:     by_value
    .group_segment_fixed_size: 0
    .kernarg_segment_align: 8
    .kernarg_segment_size: 32
    .language:       OpenCL C
    .language_version:
      - 2
      - 0
    .max_flat_workgroup_size: 256
    .name:           _ZN2at6native29vectorized_elementwise_kernelILi4ENS0_13BinaryFunctorIN3c104HalfES4_bNS0_12_GLOBAL__N_116CompareEqFunctorIS4_EEEESt5arrayIPcLm3EEEEviT0_T1_
    .private_segment_fixed_size: 0
    .sgpr_count:     20
    .sgpr_spill_count: 0
    .symbol:         _ZN2at6native29vectorized_elementwise_kernelILi4ENS0_13BinaryFunctorIN3c104HalfES4_bNS0_12_GLOBAL__N_116CompareEqFunctorIS4_EEEESt5arrayIPcLm3EEEEviT0_T1_.kd
    .uniform_work_group_size: 1
    .uses_dynamic_stack: false
    .vgpr_count:     40
    .vgpr_spill_count: 0
    .wavefront_size: 64
  - .args:
      - .offset:         0
        .size:           4
        .value_kind:     by_value
      - .offset:         4
        .size:           4
        .value_kind:     by_value
      - .offset:         8
        .size:           24
        .value_kind:     by_value
    .group_segment_fixed_size: 0
    .kernarg_segment_align: 8
    .kernarg_segment_size: 32
    .language:       OpenCL C
    .language_version:
      - 2
      - 0
    .max_flat_workgroup_size: 256
    .name:           _ZN2at6native29vectorized_elementwise_kernelILi2ENS0_13BinaryFunctorIN3c104HalfES4_bNS0_12_GLOBAL__N_116CompareEqFunctorIS4_EEEESt5arrayIPcLm3EEEEviT0_T1_
    .private_segment_fixed_size: 0
    .sgpr_count:     20
    .sgpr_spill_count: 0
    .symbol:         _ZN2at6native29vectorized_elementwise_kernelILi2ENS0_13BinaryFunctorIN3c104HalfES4_bNS0_12_GLOBAL__N_116CompareEqFunctorIS4_EEEESt5arrayIPcLm3EEEEviT0_T1_.kd
    .uniform_work_group_size: 1
    .uses_dynamic_stack: false
    .vgpr_count:     40
    .vgpr_spill_count: 0
    .wavefront_size: 64
  - .args:
      - .offset:         0
        .size:           4
        .value_kind:     by_value
      - .offset:         4
        .size:           4
        .value_kind:     by_value
      - .offset:         8
        .size:           24
        .value_kind:     by_value
      - .offset:         32
        .size:           1
        .value_kind:     by_value
      - .offset:         33
        .size:           1
        .value_kind:     by_value
      - .offset:         34
        .size:           1
        .value_kind:     by_value
      - .offset:         35
        .size:           1
        .value_kind:     by_value
    .group_segment_fixed_size: 0
    .kernarg_segment_align: 8
    .kernarg_segment_size: 36
    .language:       OpenCL C
    .language_version:
      - 2
      - 0
    .max_flat_workgroup_size: 256
    .name:           _ZN2at6native27unrolled_elementwise_kernelINS0_13BinaryFunctorIN3c104HalfES4_bNS0_12_GLOBAL__N_116CompareEqFunctorIS4_EEEESt5arrayIPcLm3EELi4E23TrivialOffsetCalculatorILi2EjESC_ILi1EjENS0_6memory15LoadWithoutCastENSF_16StoreWithoutCastEEEviT_T0_T2_T3_T4_T5_
    .private_segment_fixed_size: 0
    .sgpr_count:     18
    .sgpr_spill_count: 0
    .symbol:         _ZN2at6native27unrolled_elementwise_kernelINS0_13BinaryFunctorIN3c104HalfES4_bNS0_12_GLOBAL__N_116CompareEqFunctorIS4_EEEESt5arrayIPcLm3EELi4E23TrivialOffsetCalculatorILi2EjESC_ILi1EjENS0_6memory15LoadWithoutCastENSF_16StoreWithoutCastEEEviT_T0_T2_T3_T4_T5_.kd
    .uniform_work_group_size: 1
    .uses_dynamic_stack: false
    .vgpr_count:     15
    .vgpr_spill_count: 0
    .wavefront_size: 64
  - .args:
      - .offset:         0
        .size:           4
        .value_kind:     by_value
      - .offset:         8
        .size:           424
        .value_kind:     by_value
    .group_segment_fixed_size: 0
    .kernarg_segment_align: 8
    .kernarg_segment_size: 432
    .language:       OpenCL C
    .language_version:
      - 2
      - 0
    .max_flat_workgroup_size: 128
    .name:           _ZN2at6native32elementwise_kernel_manual_unrollILi128ELi8EZNS0_22gpu_kernel_impl_nocastINS0_13BinaryFunctorIN3c104HalfES5_bNS0_12_GLOBAL__N_116CompareEqFunctorIS5_EEEEEEvRNS_18TensorIteratorBaseERKT_EUlibE_EEviT1_
    .private_segment_fixed_size: 0
    .sgpr_count:     56
    .sgpr_spill_count: 0
    .symbol:         _ZN2at6native32elementwise_kernel_manual_unrollILi128ELi8EZNS0_22gpu_kernel_impl_nocastINS0_13BinaryFunctorIN3c104HalfES5_bNS0_12_GLOBAL__N_116CompareEqFunctorIS5_EEEEEEvRNS_18TensorIteratorBaseERKT_EUlibE_EEviT1_.kd
    .uniform_work_group_size: 1
    .uses_dynamic_stack: false
    .vgpr_count:     42
    .vgpr_spill_count: 0
    .wavefront_size: 64
  - .args:
      - .offset:         0
        .size:           4
        .value_kind:     by_value
      - .offset:         8
        .size:           48
        .value_kind:     by_value
    .group_segment_fixed_size: 0
    .kernarg_segment_align: 8
    .kernarg_segment_size: 56
    .language:       OpenCL C
    .language_version:
      - 2
      - 0
    .max_flat_workgroup_size: 128
    .name:           _ZN2at6native32elementwise_kernel_manual_unrollILi128ELi4EZNS0_15gpu_kernel_implINS0_13BinaryFunctorIN3c104HalfES5_bNS0_12_GLOBAL__N_116CompareEqFunctorIS5_EEEEEEvRNS_18TensorIteratorBaseERKT_EUlibE_EEviT1_
    .private_segment_fixed_size: 0
    .sgpr_count:     63
    .sgpr_spill_count: 0
    .symbol:         _ZN2at6native32elementwise_kernel_manual_unrollILi128ELi4EZNS0_15gpu_kernel_implINS0_13BinaryFunctorIN3c104HalfES5_bNS0_12_GLOBAL__N_116CompareEqFunctorIS5_EEEEEEvRNS_18TensorIteratorBaseERKT_EUlibE_EEviT1_.kd
    .uniform_work_group_size: 1
    .uses_dynamic_stack: false
    .vgpr_count:     18
    .vgpr_spill_count: 0
    .wavefront_size: 64
  - .args:
      - .offset:         0
        .size:           4
        .value_kind:     by_value
      - .offset:         8
        .size:           424
        .value_kind:     by_value
    .group_segment_fixed_size: 0
    .kernarg_segment_align: 8
    .kernarg_segment_size: 432
    .language:       OpenCL C
    .language_version:
      - 2
      - 0
    .max_flat_workgroup_size: 128
    .name:           _ZN2at6native32elementwise_kernel_manual_unrollILi128ELi4EZNS0_15gpu_kernel_implINS0_13BinaryFunctorIN3c104HalfES5_bNS0_12_GLOBAL__N_116CompareEqFunctorIS5_EEEEEEvRNS_18TensorIteratorBaseERKT_EUlibE0_EEviT1_
    .private_segment_fixed_size: 0
    .sgpr_count:     84
    .sgpr_spill_count: 0
    .symbol:         _ZN2at6native32elementwise_kernel_manual_unrollILi128ELi4EZNS0_15gpu_kernel_implINS0_13BinaryFunctorIN3c104HalfES5_bNS0_12_GLOBAL__N_116CompareEqFunctorIS5_EEEEEEvRNS_18TensorIteratorBaseERKT_EUlibE0_EEviT1_.kd
    .uniform_work_group_size: 1
    .uses_dynamic_stack: false
    .vgpr_count:     24
    .vgpr_spill_count: 0
    .wavefront_size: 64
  - .args:
      - .offset:         0
        .size:           4
        .value_kind:     by_value
      - .offset:         4
        .size:           8
        .value_kind:     by_value
      - .offset:         16
        .size:           16
        .value_kind:     by_value
    .group_segment_fixed_size: 0
    .kernarg_segment_align: 8
    .kernarg_segment_size: 32
    .language:       OpenCL C
    .language_version:
      - 2
      - 0
    .max_flat_workgroup_size: 256
    .name:           _ZN2at6native29vectorized_elementwise_kernelILi16ENS0_13AUnaryFunctorIN3c104HalfES4_bNS0_12_GLOBAL__N_116CompareEqFunctorIS4_EEEESt5arrayIPcLm2EEEEviT0_T1_
    .private_segment_fixed_size: 0
    .sgpr_count:     24
    .sgpr_spill_count: 0
    .symbol:         _ZN2at6native29vectorized_elementwise_kernelILi16ENS0_13AUnaryFunctorIN3c104HalfES4_bNS0_12_GLOBAL__N_116CompareEqFunctorIS4_EEEESt5arrayIPcLm2EEEEviT0_T1_.kd
    .uniform_work_group_size: 1
    .uses_dynamic_stack: false
    .vgpr_count:     21
    .vgpr_spill_count: 0
    .wavefront_size: 64
  - .args:
      - .offset:         0
        .size:           4
        .value_kind:     by_value
      - .offset:         4
        .size:           8
        .value_kind:     by_value
      - .offset:         16
        .size:           16
        .value_kind:     by_value
    .group_segment_fixed_size: 0
    .kernarg_segment_align: 8
    .kernarg_segment_size: 32
    .language:       OpenCL C
    .language_version:
      - 2
      - 0
    .max_flat_workgroup_size: 256
    .name:           _ZN2at6native29vectorized_elementwise_kernelILi8ENS0_13AUnaryFunctorIN3c104HalfES4_bNS0_12_GLOBAL__N_116CompareEqFunctorIS4_EEEESt5arrayIPcLm2EEEEviT0_T1_
    .private_segment_fixed_size: 0
    .sgpr_count:     24
    .sgpr_spill_count: 0
    .symbol:         _ZN2at6native29vectorized_elementwise_kernelILi8ENS0_13AUnaryFunctorIN3c104HalfES4_bNS0_12_GLOBAL__N_116CompareEqFunctorIS4_EEEESt5arrayIPcLm2EEEEviT0_T1_.kd
    .uniform_work_group_size: 1
    .uses_dynamic_stack: false
    .vgpr_count:     21
    .vgpr_spill_count: 0
    .wavefront_size: 64
  - .args:
      - .offset:         0
        .size:           4
        .value_kind:     by_value
      - .offset:         4
        .size:           8
        .value_kind:     by_value
      - .offset:         16
        .size:           16
        .value_kind:     by_value
    .group_segment_fixed_size: 0
    .kernarg_segment_align: 8
    .kernarg_segment_size: 32
    .language:       OpenCL C
    .language_version:
      - 2
      - 0
    .max_flat_workgroup_size: 256
    .name:           _ZN2at6native29vectorized_elementwise_kernelILi4ENS0_13AUnaryFunctorIN3c104HalfES4_bNS0_12_GLOBAL__N_116CompareEqFunctorIS4_EEEESt5arrayIPcLm2EEEEviT0_T1_
    .private_segment_fixed_size: 0
    .sgpr_count:     22
    .sgpr_spill_count: 0
    .symbol:         _ZN2at6native29vectorized_elementwise_kernelILi4ENS0_13AUnaryFunctorIN3c104HalfES4_bNS0_12_GLOBAL__N_116CompareEqFunctorIS4_EEEESt5arrayIPcLm2EEEEviT0_T1_.kd
    .uniform_work_group_size: 1
    .uses_dynamic_stack: false
    .vgpr_count:     21
    .vgpr_spill_count: 0
    .wavefront_size: 64
  - .args:
      - .offset:         0
        .size:           4
        .value_kind:     by_value
      - .offset:         4
        .size:           8
        .value_kind:     by_value
      - .offset:         16
        .size:           16
        .value_kind:     by_value
    .group_segment_fixed_size: 0
    .kernarg_segment_align: 8
    .kernarg_segment_size: 32
    .language:       OpenCL C
    .language_version:
      - 2
      - 0
    .max_flat_workgroup_size: 256
    .name:           _ZN2at6native29vectorized_elementwise_kernelILi2ENS0_13AUnaryFunctorIN3c104HalfES4_bNS0_12_GLOBAL__N_116CompareEqFunctorIS4_EEEESt5arrayIPcLm2EEEEviT0_T1_
    .private_segment_fixed_size: 0
    .sgpr_count:     20
    .sgpr_spill_count: 0
    .symbol:         _ZN2at6native29vectorized_elementwise_kernelILi2ENS0_13AUnaryFunctorIN3c104HalfES4_bNS0_12_GLOBAL__N_116CompareEqFunctorIS4_EEEESt5arrayIPcLm2EEEEviT0_T1_.kd
    .uniform_work_group_size: 1
    .uses_dynamic_stack: false
    .vgpr_count:     21
    .vgpr_spill_count: 0
    .wavefront_size: 64
  - .args:
      - .offset:         0
        .size:           4
        .value_kind:     by_value
      - .offset:         4
        .size:           8
        .value_kind:     by_value
      - .offset:         16
        .size:           16
        .value_kind:     by_value
      - .offset:         32
        .size:           1
        .value_kind:     by_value
      - .offset:         33
        .size:           1
        .value_kind:     by_value
      - .offset:         34
        .size:           1
        .value_kind:     by_value
      - .offset:         35
        .size:           1
        .value_kind:     by_value
    .group_segment_fixed_size: 0
    .kernarg_segment_align: 8
    .kernarg_segment_size: 36
    .language:       OpenCL C
    .language_version:
      - 2
      - 0
    .max_flat_workgroup_size: 256
    .name:           _ZN2at6native27unrolled_elementwise_kernelINS0_13AUnaryFunctorIN3c104HalfES4_bNS0_12_GLOBAL__N_116CompareEqFunctorIS4_EEEESt5arrayIPcLm2EELi4E23TrivialOffsetCalculatorILi1EjESD_NS0_6memory15LoadWithoutCastENSE_16StoreWithoutCastEEEviT_T0_T2_T3_T4_T5_
    .private_segment_fixed_size: 0
    .sgpr_count:     20
    .sgpr_spill_count: 0
    .symbol:         _ZN2at6native27unrolled_elementwise_kernelINS0_13AUnaryFunctorIN3c104HalfES4_bNS0_12_GLOBAL__N_116CompareEqFunctorIS4_EEEESt5arrayIPcLm2EELi4E23TrivialOffsetCalculatorILi1EjESD_NS0_6memory15LoadWithoutCastENSE_16StoreWithoutCastEEEviT_T0_T2_T3_T4_T5_.kd
    .uniform_work_group_size: 1
    .uses_dynamic_stack: false
    .vgpr_count:     9
    .vgpr_spill_count: 0
    .wavefront_size: 64
  - .args:
      - .offset:         0
        .size:           4
        .value_kind:     by_value
      - .offset:         8
        .size:           352
        .value_kind:     by_value
    .group_segment_fixed_size: 0
    .kernarg_segment_align: 8
    .kernarg_segment_size: 360
    .language:       OpenCL C
    .language_version:
      - 2
      - 0
    .max_flat_workgroup_size: 128
    .name:           _ZN2at6native32elementwise_kernel_manual_unrollILi128ELi8EZNS0_22gpu_kernel_impl_nocastINS0_13AUnaryFunctorIN3c104HalfES5_bNS0_12_GLOBAL__N_116CompareEqFunctorIS5_EEEEEEvRNS_18TensorIteratorBaseERKT_EUlibE_EEviT1_
    .private_segment_fixed_size: 0
    .sgpr_count:     67
    .sgpr_spill_count: 0
    .symbol:         _ZN2at6native32elementwise_kernel_manual_unrollILi128ELi8EZNS0_22gpu_kernel_impl_nocastINS0_13AUnaryFunctorIN3c104HalfES5_bNS0_12_GLOBAL__N_116CompareEqFunctorIS5_EEEEEEvRNS_18TensorIteratorBaseERKT_EUlibE_EEviT1_.kd
    .uniform_work_group_size: 1
    .uses_dynamic_stack: false
    .vgpr_count:     26
    .vgpr_spill_count: 0
    .wavefront_size: 64
  - .args:
      - .offset:         0
        .size:           4
        .value_kind:     by_value
      - .offset:         8
        .size:           40
        .value_kind:     by_value
    .group_segment_fixed_size: 0
    .kernarg_segment_align: 8
    .kernarg_segment_size: 48
    .language:       OpenCL C
    .language_version:
      - 2
      - 0
    .max_flat_workgroup_size: 128
    .name:           _ZN2at6native32elementwise_kernel_manual_unrollILi128ELi4EZNS0_15gpu_kernel_implINS0_13AUnaryFunctorIN3c104HalfES5_bNS0_12_GLOBAL__N_116CompareEqFunctorIS5_EEEEEEvRNS_18TensorIteratorBaseERKT_EUlibE_EEviT1_
    .private_segment_fixed_size: 0
    .sgpr_count:     52
    .sgpr_spill_count: 0
    .symbol:         _ZN2at6native32elementwise_kernel_manual_unrollILi128ELi4EZNS0_15gpu_kernel_implINS0_13AUnaryFunctorIN3c104HalfES5_bNS0_12_GLOBAL__N_116CompareEqFunctorIS5_EEEEEEvRNS_18TensorIteratorBaseERKT_EUlibE_EEviT1_.kd
    .uniform_work_group_size: 1
    .uses_dynamic_stack: false
    .vgpr_count:     14
    .vgpr_spill_count: 0
    .wavefront_size: 64
  - .args:
      - .offset:         0
        .size:           4
        .value_kind:     by_value
      - .offset:         8
        .size:           360
        .value_kind:     by_value
    .group_segment_fixed_size: 0
    .kernarg_segment_align: 8
    .kernarg_segment_size: 368
    .language:       OpenCL C
    .language_version:
      - 2
      - 0
    .max_flat_workgroup_size: 128
    .name:           _ZN2at6native32elementwise_kernel_manual_unrollILi128ELi4EZNS0_15gpu_kernel_implINS0_13AUnaryFunctorIN3c104HalfES5_bNS0_12_GLOBAL__N_116CompareEqFunctorIS5_EEEEEEvRNS_18TensorIteratorBaseERKT_EUlibE0_EEviT1_
    .private_segment_fixed_size: 0
    .sgpr_count:     85
    .sgpr_spill_count: 0
    .symbol:         _ZN2at6native32elementwise_kernel_manual_unrollILi128ELi4EZNS0_15gpu_kernel_implINS0_13AUnaryFunctorIN3c104HalfES5_bNS0_12_GLOBAL__N_116CompareEqFunctorIS5_EEEEEEvRNS_18TensorIteratorBaseERKT_EUlibE0_EEviT1_.kd
    .uniform_work_group_size: 1
    .uses_dynamic_stack: false
    .vgpr_count:     18
    .vgpr_spill_count: 0
    .wavefront_size: 64
  - .args:
      - .offset:         0
        .size:           4
        .value_kind:     by_value
      - .offset:         4
        .size:           4
        .value_kind:     by_value
      - .offset:         8
        .size:           24
        .value_kind:     by_value
    .group_segment_fixed_size: 0
    .kernarg_segment_align: 8
    .kernarg_segment_size: 32
    .language:       OpenCL C
    .language_version:
      - 2
      - 0
    .max_flat_workgroup_size: 256
    .name:           _ZN2at6native29vectorized_elementwise_kernelILi16ENS0_13BinaryFunctorIN3c108BFloat16ES4_bNS0_12_GLOBAL__N_116CompareEqFunctorIS4_EEEESt5arrayIPcLm3EEEEviT0_T1_
    .private_segment_fixed_size: 0
    .sgpr_count:     20
    .sgpr_spill_count: 0
    .symbol:         _ZN2at6native29vectorized_elementwise_kernelILi16ENS0_13BinaryFunctorIN3c108BFloat16ES4_bNS0_12_GLOBAL__N_116CompareEqFunctorIS4_EEEESt5arrayIPcLm3EEEEviT0_T1_.kd
    .uniform_work_group_size: 1
    .uses_dynamic_stack: false
    .vgpr_count:     39
    .vgpr_spill_count: 0
    .wavefront_size: 64
  - .args:
      - .offset:         0
        .size:           4
        .value_kind:     by_value
      - .offset:         4
        .size:           4
        .value_kind:     by_value
      - .offset:         8
        .size:           24
        .value_kind:     by_value
    .group_segment_fixed_size: 0
    .kernarg_segment_align: 8
    .kernarg_segment_size: 32
    .language:       OpenCL C
    .language_version:
      - 2
      - 0
    .max_flat_workgroup_size: 256
    .name:           _ZN2at6native29vectorized_elementwise_kernelILi8ENS0_13BinaryFunctorIN3c108BFloat16ES4_bNS0_12_GLOBAL__N_116CompareEqFunctorIS4_EEEESt5arrayIPcLm3EEEEviT0_T1_
    .private_segment_fixed_size: 0
    .sgpr_count:     20
    .sgpr_spill_count: 0
    .symbol:         _ZN2at6native29vectorized_elementwise_kernelILi8ENS0_13BinaryFunctorIN3c108BFloat16ES4_bNS0_12_GLOBAL__N_116CompareEqFunctorIS4_EEEESt5arrayIPcLm3EEEEviT0_T1_.kd
    .uniform_work_group_size: 1
    .uses_dynamic_stack: false
    .vgpr_count:     39
    .vgpr_spill_count: 0
    .wavefront_size: 64
  - .args:
      - .offset:         0
        .size:           4
        .value_kind:     by_value
      - .offset:         4
        .size:           4
        .value_kind:     by_value
      - .offset:         8
        .size:           24
        .value_kind:     by_value
    .group_segment_fixed_size: 0
    .kernarg_segment_align: 8
    .kernarg_segment_size: 32
    .language:       OpenCL C
    .language_version:
      - 2
      - 0
    .max_flat_workgroup_size: 256
    .name:           _ZN2at6native29vectorized_elementwise_kernelILi4ENS0_13BinaryFunctorIN3c108BFloat16ES4_bNS0_12_GLOBAL__N_116CompareEqFunctorIS4_EEEESt5arrayIPcLm3EEEEviT0_T1_
    .private_segment_fixed_size: 0
    .sgpr_count:     20
    .sgpr_spill_count: 0
    .symbol:         _ZN2at6native29vectorized_elementwise_kernelILi4ENS0_13BinaryFunctorIN3c108BFloat16ES4_bNS0_12_GLOBAL__N_116CompareEqFunctorIS4_EEEESt5arrayIPcLm3EEEEviT0_T1_.kd
    .uniform_work_group_size: 1
    .uses_dynamic_stack: false
    .vgpr_count:     39
    .vgpr_spill_count: 0
    .wavefront_size: 64
  - .args:
      - .offset:         0
        .size:           4
        .value_kind:     by_value
      - .offset:         4
        .size:           4
        .value_kind:     by_value
      - .offset:         8
        .size:           24
        .value_kind:     by_value
    .group_segment_fixed_size: 0
    .kernarg_segment_align: 8
    .kernarg_segment_size: 32
    .language:       OpenCL C
    .language_version:
      - 2
      - 0
    .max_flat_workgroup_size: 256
    .name:           _ZN2at6native29vectorized_elementwise_kernelILi2ENS0_13BinaryFunctorIN3c108BFloat16ES4_bNS0_12_GLOBAL__N_116CompareEqFunctorIS4_EEEESt5arrayIPcLm3EEEEviT0_T1_
    .private_segment_fixed_size: 0
    .sgpr_count:     20
    .sgpr_spill_count: 0
    .symbol:         _ZN2at6native29vectorized_elementwise_kernelILi2ENS0_13BinaryFunctorIN3c108BFloat16ES4_bNS0_12_GLOBAL__N_116CompareEqFunctorIS4_EEEESt5arrayIPcLm3EEEEviT0_T1_.kd
    .uniform_work_group_size: 1
    .uses_dynamic_stack: false
    .vgpr_count:     39
    .vgpr_spill_count: 0
    .wavefront_size: 64
  - .args:
      - .offset:         0
        .size:           4
        .value_kind:     by_value
      - .offset:         4
        .size:           4
        .value_kind:     by_value
      - .offset:         8
        .size:           24
        .value_kind:     by_value
      - .offset:         32
        .size:           1
        .value_kind:     by_value
      - .offset:         33
        .size:           1
        .value_kind:     by_value
      - .offset:         34
        .size:           1
        .value_kind:     by_value
      - .offset:         35
        .size:           1
        .value_kind:     by_value
    .group_segment_fixed_size: 0
    .kernarg_segment_align: 8
    .kernarg_segment_size: 36
    .language:       OpenCL C
    .language_version:
      - 2
      - 0
    .max_flat_workgroup_size: 256
    .name:           _ZN2at6native27unrolled_elementwise_kernelINS0_13BinaryFunctorIN3c108BFloat16ES4_bNS0_12_GLOBAL__N_116CompareEqFunctorIS4_EEEESt5arrayIPcLm3EELi4E23TrivialOffsetCalculatorILi2EjESC_ILi1EjENS0_6memory15LoadWithoutCastENSF_16StoreWithoutCastEEEviT_T0_T2_T3_T4_T5_
    .private_segment_fixed_size: 0
    .sgpr_count:     18
    .sgpr_spill_count: 0
    .symbol:         _ZN2at6native27unrolled_elementwise_kernelINS0_13BinaryFunctorIN3c108BFloat16ES4_bNS0_12_GLOBAL__N_116CompareEqFunctorIS4_EEEESt5arrayIPcLm3EELi4E23TrivialOffsetCalculatorILi2EjESC_ILi1EjENS0_6memory15LoadWithoutCastENSF_16StoreWithoutCastEEEviT_T0_T2_T3_T4_T5_.kd
    .uniform_work_group_size: 1
    .uses_dynamic_stack: false
    .vgpr_count:     14
    .vgpr_spill_count: 0
    .wavefront_size: 64
  - .args:
      - .offset:         0
        .size:           4
        .value_kind:     by_value
      - .offset:         8
        .size:           424
        .value_kind:     by_value
    .group_segment_fixed_size: 0
    .kernarg_segment_align: 8
    .kernarg_segment_size: 432
    .language:       OpenCL C
    .language_version:
      - 2
      - 0
    .max_flat_workgroup_size: 128
    .name:           _ZN2at6native32elementwise_kernel_manual_unrollILi128ELi8EZNS0_22gpu_kernel_impl_nocastINS0_13BinaryFunctorIN3c108BFloat16ES5_bNS0_12_GLOBAL__N_116CompareEqFunctorIS5_EEEEEEvRNS_18TensorIteratorBaseERKT_EUlibE_EEviT1_
    .private_segment_fixed_size: 0
    .sgpr_count:     56
    .sgpr_spill_count: 0
    .symbol:         _ZN2at6native32elementwise_kernel_manual_unrollILi128ELi8EZNS0_22gpu_kernel_impl_nocastINS0_13BinaryFunctorIN3c108BFloat16ES5_bNS0_12_GLOBAL__N_116CompareEqFunctorIS5_EEEEEEvRNS_18TensorIteratorBaseERKT_EUlibE_EEviT1_.kd
    .uniform_work_group_size: 1
    .uses_dynamic_stack: false
    .vgpr_count:     42
    .vgpr_spill_count: 0
    .wavefront_size: 64
  - .args:
      - .offset:         0
        .size:           4
        .value_kind:     by_value
      - .offset:         8
        .size:           48
        .value_kind:     by_value
    .group_segment_fixed_size: 0
    .kernarg_segment_align: 8
    .kernarg_segment_size: 56
    .language:       OpenCL C
    .language_version:
      - 2
      - 0
    .max_flat_workgroup_size: 128
    .name:           _ZN2at6native32elementwise_kernel_manual_unrollILi128ELi4EZNS0_15gpu_kernel_implINS0_13BinaryFunctorIN3c108BFloat16ES5_bNS0_12_GLOBAL__N_116CompareEqFunctorIS5_EEEEEEvRNS_18TensorIteratorBaseERKT_EUlibE_EEviT1_
    .private_segment_fixed_size: 0
    .sgpr_count:     63
    .sgpr_spill_count: 0
    .symbol:         _ZN2at6native32elementwise_kernel_manual_unrollILi128ELi4EZNS0_15gpu_kernel_implINS0_13BinaryFunctorIN3c108BFloat16ES5_bNS0_12_GLOBAL__N_116CompareEqFunctorIS5_EEEEEEvRNS_18TensorIteratorBaseERKT_EUlibE_EEviT1_.kd
    .uniform_work_group_size: 1
    .uses_dynamic_stack: false
    .vgpr_count:     16
    .vgpr_spill_count: 0
    .wavefront_size: 64
  - .args:
      - .offset:         0
        .size:           4
        .value_kind:     by_value
      - .offset:         8
        .size:           424
        .value_kind:     by_value
    .group_segment_fixed_size: 0
    .kernarg_segment_align: 8
    .kernarg_segment_size: 432
    .language:       OpenCL C
    .language_version:
      - 2
      - 0
    .max_flat_workgroup_size: 128
    .name:           _ZN2at6native32elementwise_kernel_manual_unrollILi128ELi4EZNS0_15gpu_kernel_implINS0_13BinaryFunctorIN3c108BFloat16ES5_bNS0_12_GLOBAL__N_116CompareEqFunctorIS5_EEEEEEvRNS_18TensorIteratorBaseERKT_EUlibE0_EEviT1_
    .private_segment_fixed_size: 0
    .sgpr_count:     84
    .sgpr_spill_count: 0
    .symbol:         _ZN2at6native32elementwise_kernel_manual_unrollILi128ELi4EZNS0_15gpu_kernel_implINS0_13BinaryFunctorIN3c108BFloat16ES5_bNS0_12_GLOBAL__N_116CompareEqFunctorIS5_EEEEEEvRNS_18TensorIteratorBaseERKT_EUlibE0_EEviT1_.kd
    .uniform_work_group_size: 1
    .uses_dynamic_stack: false
    .vgpr_count:     24
    .vgpr_spill_count: 0
    .wavefront_size: 64
  - .args:
      - .offset:         0
        .size:           4
        .value_kind:     by_value
      - .offset:         4
        .size:           8
        .value_kind:     by_value
      - .offset:         16
        .size:           16
        .value_kind:     by_value
    .group_segment_fixed_size: 0
    .kernarg_segment_align: 8
    .kernarg_segment_size: 32
    .language:       OpenCL C
    .language_version:
      - 2
      - 0
    .max_flat_workgroup_size: 256
    .name:           _ZN2at6native29vectorized_elementwise_kernelILi16ENS0_13AUnaryFunctorIN3c108BFloat16ES4_bNS0_12_GLOBAL__N_116CompareEqFunctorIS4_EEEESt5arrayIPcLm2EEEEviT0_T1_
    .private_segment_fixed_size: 0
    .sgpr_count:     20
    .sgpr_spill_count: 0
    .symbol:         _ZN2at6native29vectorized_elementwise_kernelILi16ENS0_13AUnaryFunctorIN3c108BFloat16ES4_bNS0_12_GLOBAL__N_116CompareEqFunctorIS4_EEEESt5arrayIPcLm2EEEEviT0_T1_.kd
    .uniform_work_group_size: 1
    .uses_dynamic_stack: false
    .vgpr_count:     21
    .vgpr_spill_count: 0
    .wavefront_size: 64
  - .args:
      - .offset:         0
        .size:           4
        .value_kind:     by_value
      - .offset:         4
        .size:           8
        .value_kind:     by_value
      - .offset:         16
        .size:           16
        .value_kind:     by_value
    .group_segment_fixed_size: 0
    .kernarg_segment_align: 8
    .kernarg_segment_size: 32
    .language:       OpenCL C
    .language_version:
      - 2
      - 0
    .max_flat_workgroup_size: 256
    .name:           _ZN2at6native29vectorized_elementwise_kernelILi8ENS0_13AUnaryFunctorIN3c108BFloat16ES4_bNS0_12_GLOBAL__N_116CompareEqFunctorIS4_EEEESt5arrayIPcLm2EEEEviT0_T1_
    .private_segment_fixed_size: 0
    .sgpr_count:     20
    .sgpr_spill_count: 0
    .symbol:         _ZN2at6native29vectorized_elementwise_kernelILi8ENS0_13AUnaryFunctorIN3c108BFloat16ES4_bNS0_12_GLOBAL__N_116CompareEqFunctorIS4_EEEESt5arrayIPcLm2EEEEviT0_T1_.kd
    .uniform_work_group_size: 1
    .uses_dynamic_stack: false
    .vgpr_count:     21
    .vgpr_spill_count: 0
    .wavefront_size: 64
  - .args:
      - .offset:         0
        .size:           4
        .value_kind:     by_value
      - .offset:         4
        .size:           8
        .value_kind:     by_value
      - .offset:         16
        .size:           16
        .value_kind:     by_value
    .group_segment_fixed_size: 0
    .kernarg_segment_align: 8
    .kernarg_segment_size: 32
    .language:       OpenCL C
    .language_version:
      - 2
      - 0
    .max_flat_workgroup_size: 256
    .name:           _ZN2at6native29vectorized_elementwise_kernelILi4ENS0_13AUnaryFunctorIN3c108BFloat16ES4_bNS0_12_GLOBAL__N_116CompareEqFunctorIS4_EEEESt5arrayIPcLm2EEEEviT0_T1_
    .private_segment_fixed_size: 0
    .sgpr_count:     20
    .sgpr_spill_count: 0
    .symbol:         _ZN2at6native29vectorized_elementwise_kernelILi4ENS0_13AUnaryFunctorIN3c108BFloat16ES4_bNS0_12_GLOBAL__N_116CompareEqFunctorIS4_EEEESt5arrayIPcLm2EEEEviT0_T1_.kd
    .uniform_work_group_size: 1
    .uses_dynamic_stack: false
    .vgpr_count:     21
    .vgpr_spill_count: 0
    .wavefront_size: 64
  - .args:
      - .offset:         0
        .size:           4
        .value_kind:     by_value
      - .offset:         4
        .size:           8
        .value_kind:     by_value
      - .offset:         16
        .size:           16
        .value_kind:     by_value
    .group_segment_fixed_size: 0
    .kernarg_segment_align: 8
    .kernarg_segment_size: 32
    .language:       OpenCL C
    .language_version:
      - 2
      - 0
    .max_flat_workgroup_size: 256
    .name:           _ZN2at6native29vectorized_elementwise_kernelILi2ENS0_13AUnaryFunctorIN3c108BFloat16ES4_bNS0_12_GLOBAL__N_116CompareEqFunctorIS4_EEEESt5arrayIPcLm2EEEEviT0_T1_
    .private_segment_fixed_size: 0
    .sgpr_count:     20
    .sgpr_spill_count: 0
    .symbol:         _ZN2at6native29vectorized_elementwise_kernelILi2ENS0_13AUnaryFunctorIN3c108BFloat16ES4_bNS0_12_GLOBAL__N_116CompareEqFunctorIS4_EEEESt5arrayIPcLm2EEEEviT0_T1_.kd
    .uniform_work_group_size: 1
    .uses_dynamic_stack: false
    .vgpr_count:     21
    .vgpr_spill_count: 0
    .wavefront_size: 64
  - .args:
      - .offset:         0
        .size:           4
        .value_kind:     by_value
      - .offset:         4
        .size:           8
        .value_kind:     by_value
      - .offset:         16
        .size:           16
        .value_kind:     by_value
      - .offset:         32
        .size:           1
        .value_kind:     by_value
      - .offset:         33
        .size:           1
        .value_kind:     by_value
      - .offset:         34
        .size:           1
        .value_kind:     by_value
      - .offset:         35
        .size:           1
        .value_kind:     by_value
    .group_segment_fixed_size: 0
    .kernarg_segment_align: 8
    .kernarg_segment_size: 36
    .language:       OpenCL C
    .language_version:
      - 2
      - 0
    .max_flat_workgroup_size: 256
    .name:           _ZN2at6native27unrolled_elementwise_kernelINS0_13AUnaryFunctorIN3c108BFloat16ES4_bNS0_12_GLOBAL__N_116CompareEqFunctorIS4_EEEESt5arrayIPcLm2EELi4E23TrivialOffsetCalculatorILi1EjESD_NS0_6memory15LoadWithoutCastENSE_16StoreWithoutCastEEEviT_T0_T2_T3_T4_T5_
    .private_segment_fixed_size: 0
    .sgpr_count:     20
    .sgpr_spill_count: 0
    .symbol:         _ZN2at6native27unrolled_elementwise_kernelINS0_13AUnaryFunctorIN3c108BFloat16ES4_bNS0_12_GLOBAL__N_116CompareEqFunctorIS4_EEEESt5arrayIPcLm2EELi4E23TrivialOffsetCalculatorILi1EjESD_NS0_6memory15LoadWithoutCastENSE_16StoreWithoutCastEEEviT_T0_T2_T3_T4_T5_.kd
    .uniform_work_group_size: 1
    .uses_dynamic_stack: false
    .vgpr_count:     9
    .vgpr_spill_count: 0
    .wavefront_size: 64
  - .args:
      - .offset:         0
        .size:           4
        .value_kind:     by_value
      - .offset:         8
        .size:           352
        .value_kind:     by_value
    .group_segment_fixed_size: 0
    .kernarg_segment_align: 8
    .kernarg_segment_size: 360
    .language:       OpenCL C
    .language_version:
      - 2
      - 0
    .max_flat_workgroup_size: 128
    .name:           _ZN2at6native32elementwise_kernel_manual_unrollILi128ELi8EZNS0_22gpu_kernel_impl_nocastINS0_13AUnaryFunctorIN3c108BFloat16ES5_bNS0_12_GLOBAL__N_116CompareEqFunctorIS5_EEEEEEvRNS_18TensorIteratorBaseERKT_EUlibE_EEviT1_
    .private_segment_fixed_size: 0
    .sgpr_count:     67
    .sgpr_spill_count: 0
    .symbol:         _ZN2at6native32elementwise_kernel_manual_unrollILi128ELi8EZNS0_22gpu_kernel_impl_nocastINS0_13AUnaryFunctorIN3c108BFloat16ES5_bNS0_12_GLOBAL__N_116CompareEqFunctorIS5_EEEEEEvRNS_18TensorIteratorBaseERKT_EUlibE_EEviT1_.kd
    .uniform_work_group_size: 1
    .uses_dynamic_stack: false
    .vgpr_count:     26
    .vgpr_spill_count: 0
    .wavefront_size: 64
  - .args:
      - .offset:         0
        .size:           4
        .value_kind:     by_value
      - .offset:         8
        .size:           40
        .value_kind:     by_value
    .group_segment_fixed_size: 0
    .kernarg_segment_align: 8
    .kernarg_segment_size: 48
    .language:       OpenCL C
    .language_version:
      - 2
      - 0
    .max_flat_workgroup_size: 128
    .name:           _ZN2at6native32elementwise_kernel_manual_unrollILi128ELi4EZNS0_15gpu_kernel_implINS0_13AUnaryFunctorIN3c108BFloat16ES5_bNS0_12_GLOBAL__N_116CompareEqFunctorIS5_EEEEEEvRNS_18TensorIteratorBaseERKT_EUlibE_EEviT1_
    .private_segment_fixed_size: 0
    .sgpr_count:     54
    .sgpr_spill_count: 0
    .symbol:         _ZN2at6native32elementwise_kernel_manual_unrollILi128ELi4EZNS0_15gpu_kernel_implINS0_13AUnaryFunctorIN3c108BFloat16ES5_bNS0_12_GLOBAL__N_116CompareEqFunctorIS5_EEEEEEvRNS_18TensorIteratorBaseERKT_EUlibE_EEviT1_.kd
    .uniform_work_group_size: 1
    .uses_dynamic_stack: false
    .vgpr_count:     12
    .vgpr_spill_count: 0
    .wavefront_size: 64
  - .args:
      - .offset:         0
        .size:           4
        .value_kind:     by_value
      - .offset:         8
        .size:           360
        .value_kind:     by_value
    .group_segment_fixed_size: 0
    .kernarg_segment_align: 8
    .kernarg_segment_size: 368
    .language:       OpenCL C
    .language_version:
      - 2
      - 0
    .max_flat_workgroup_size: 128
    .name:           _ZN2at6native32elementwise_kernel_manual_unrollILi128ELi4EZNS0_15gpu_kernel_implINS0_13AUnaryFunctorIN3c108BFloat16ES5_bNS0_12_GLOBAL__N_116CompareEqFunctorIS5_EEEEEEvRNS_18TensorIteratorBaseERKT_EUlibE0_EEviT1_
    .private_segment_fixed_size: 0
    .sgpr_count:     85
    .sgpr_spill_count: 0
    .symbol:         _ZN2at6native32elementwise_kernel_manual_unrollILi128ELi4EZNS0_15gpu_kernel_implINS0_13AUnaryFunctorIN3c108BFloat16ES5_bNS0_12_GLOBAL__N_116CompareEqFunctorIS5_EEEEEEvRNS_18TensorIteratorBaseERKT_EUlibE0_EEviT1_.kd
    .uniform_work_group_size: 1
    .uses_dynamic_stack: false
    .vgpr_count:     18
    .vgpr_spill_count: 0
    .wavefront_size: 64
  - .args:
      - .offset:         0
        .size:           4
        .value_kind:     by_value
      - .offset:         4
        .size:           4
        .value_kind:     by_value
      - .offset:         8
        .size:           24
        .value_kind:     by_value
    .group_segment_fixed_size: 0
    .kernarg_segment_align: 8
    .kernarg_segment_size: 32
    .language:       OpenCL C
    .language_version:
      - 2
      - 0
    .max_flat_workgroup_size: 256
    .name:           _ZN2at6native29vectorized_elementwise_kernelILi16ENS0_13BinaryFunctorIbbbNS0_12_GLOBAL__N_116CompareEqFunctorIbEEEESt5arrayIPcLm3EEEEviT0_T1_
    .private_segment_fixed_size: 0
    .sgpr_count:     62
    .sgpr_spill_count: 0
    .symbol:         _ZN2at6native29vectorized_elementwise_kernelILi16ENS0_13BinaryFunctorIbbbNS0_12_GLOBAL__N_116CompareEqFunctorIbEEEESt5arrayIPcLm3EEEEviT0_T1_.kd
    .uniform_work_group_size: 1
    .uses_dynamic_stack: false
    .vgpr_count:     15
    .vgpr_spill_count: 0
    .wavefront_size: 64
  - .args:
      - .offset:         0
        .size:           4
        .value_kind:     by_value
      - .offset:         4
        .size:           4
        .value_kind:     by_value
      - .offset:         8
        .size:           24
        .value_kind:     by_value
    .group_segment_fixed_size: 0
    .kernarg_segment_align: 8
    .kernarg_segment_size: 32
    .language:       OpenCL C
    .language_version:
      - 2
      - 0
    .max_flat_workgroup_size: 256
    .name:           _ZN2at6native29vectorized_elementwise_kernelILi8ENS0_13BinaryFunctorIbbbNS0_12_GLOBAL__N_116CompareEqFunctorIbEEEESt5arrayIPcLm3EEEEviT0_T1_
    .private_segment_fixed_size: 0
    .sgpr_count:     68
    .sgpr_spill_count: 0
    .symbol:         _ZN2at6native29vectorized_elementwise_kernelILi8ENS0_13BinaryFunctorIbbbNS0_12_GLOBAL__N_116CompareEqFunctorIbEEEESt5arrayIPcLm3EEEEviT0_T1_.kd
    .uniform_work_group_size: 1
    .uses_dynamic_stack: false
    .vgpr_count:     18
    .vgpr_spill_count: 0
    .wavefront_size: 64
  - .args:
      - .offset:         0
        .size:           4
        .value_kind:     by_value
      - .offset:         4
        .size:           4
        .value_kind:     by_value
      - .offset:         8
        .size:           24
        .value_kind:     by_value
    .group_segment_fixed_size: 0
    .kernarg_segment_align: 8
    .kernarg_segment_size: 32
    .language:       OpenCL C
    .language_version:
      - 2
      - 0
    .max_flat_workgroup_size: 256
    .name:           _ZN2at6native29vectorized_elementwise_kernelILi4ENS0_13BinaryFunctorIbbbNS0_12_GLOBAL__N_116CompareEqFunctorIbEEEESt5arrayIPcLm3EEEEviT0_T1_
    .private_segment_fixed_size: 0
    .sgpr_count:     66
    .sgpr_spill_count: 0
    .symbol:         _ZN2at6native29vectorized_elementwise_kernelILi4ENS0_13BinaryFunctorIbbbNS0_12_GLOBAL__N_116CompareEqFunctorIbEEEESt5arrayIPcLm3EEEEviT0_T1_.kd
    .uniform_work_group_size: 1
    .uses_dynamic_stack: false
    .vgpr_count:     18
    .vgpr_spill_count: 0
    .wavefront_size: 64
  - .args:
      - .offset:         0
        .size:           4
        .value_kind:     by_value
      - .offset:         4
        .size:           4
        .value_kind:     by_value
      - .offset:         8
        .size:           24
        .value_kind:     by_value
    .group_segment_fixed_size: 0
    .kernarg_segment_align: 8
    .kernarg_segment_size: 32
    .language:       OpenCL C
    .language_version:
      - 2
      - 0
    .max_flat_workgroup_size: 256
    .name:           _ZN2at6native29vectorized_elementwise_kernelILi2ENS0_13BinaryFunctorIbbbNS0_12_GLOBAL__N_116CompareEqFunctorIbEEEESt5arrayIPcLm3EEEEviT0_T1_
    .private_segment_fixed_size: 0
    .sgpr_count:     64
    .sgpr_spill_count: 0
    .symbol:         _ZN2at6native29vectorized_elementwise_kernelILi2ENS0_13BinaryFunctorIbbbNS0_12_GLOBAL__N_116CompareEqFunctorIbEEEESt5arrayIPcLm3EEEEviT0_T1_.kd
    .uniform_work_group_size: 1
    .uses_dynamic_stack: false
    .vgpr_count:     19
    .vgpr_spill_count: 0
    .wavefront_size: 64
  - .args:
      - .offset:         0
        .size:           4
        .value_kind:     by_value
      - .offset:         4
        .size:           4
        .value_kind:     by_value
      - .offset:         8
        .size:           24
        .value_kind:     by_value
      - .offset:         32
        .size:           1
        .value_kind:     by_value
      - .offset:         33
        .size:           1
        .value_kind:     by_value
      - .offset:         34
        .size:           1
        .value_kind:     by_value
      - .offset:         35
        .size:           1
        .value_kind:     by_value
    .group_segment_fixed_size: 0
    .kernarg_segment_align: 8
    .kernarg_segment_size: 36
    .language:       OpenCL C
    .language_version:
      - 2
      - 0
    .max_flat_workgroup_size: 256
    .name:           _ZN2at6native27unrolled_elementwise_kernelINS0_13BinaryFunctorIbbbNS0_12_GLOBAL__N_116CompareEqFunctorIbEEEESt5arrayIPcLm3EELi4E23TrivialOffsetCalculatorILi2EjESA_ILi1EjENS0_6memory15LoadWithoutCastENSD_16StoreWithoutCastEEEviT_T0_T2_T3_T4_T5_
    .private_segment_fixed_size: 0
    .sgpr_count:     27
    .sgpr_spill_count: 0
    .symbol:         _ZN2at6native27unrolled_elementwise_kernelINS0_13BinaryFunctorIbbbNS0_12_GLOBAL__N_116CompareEqFunctorIbEEEESt5arrayIPcLm3EELi4E23TrivialOffsetCalculatorILi2EjESA_ILi1EjENS0_6memory15LoadWithoutCastENSD_16StoreWithoutCastEEEviT_T0_T2_T3_T4_T5_.kd
    .uniform_work_group_size: 1
    .uses_dynamic_stack: false
    .vgpr_count:     7
    .vgpr_spill_count: 0
    .wavefront_size: 64
  - .args:
      - .offset:         0
        .size:           4
        .value_kind:     by_value
      - .offset:         8
        .size:           424
        .value_kind:     by_value
    .group_segment_fixed_size: 0
    .kernarg_segment_align: 8
    .kernarg_segment_size: 432
    .language:       OpenCL C
    .language_version:
      - 2
      - 0
    .max_flat_workgroup_size: 128
    .name:           _ZN2at6native32elementwise_kernel_manual_unrollILi128ELi8EZNS0_22gpu_kernel_impl_nocastINS0_13BinaryFunctorIbbbNS0_12_GLOBAL__N_116CompareEqFunctorIbEEEEEEvRNS_18TensorIteratorBaseERKT_EUlibE_EEviT1_
    .private_segment_fixed_size: 0
    .sgpr_count:     56
    .sgpr_spill_count: 0
    .symbol:         _ZN2at6native32elementwise_kernel_manual_unrollILi128ELi8EZNS0_22gpu_kernel_impl_nocastINS0_13BinaryFunctorIbbbNS0_12_GLOBAL__N_116CompareEqFunctorIbEEEEEEvRNS_18TensorIteratorBaseERKT_EUlibE_EEviT1_.kd
    .uniform_work_group_size: 1
    .uses_dynamic_stack: false
    .vgpr_count:     42
    .vgpr_spill_count: 0
    .wavefront_size: 64
  - .args:
      - .offset:         0
        .size:           4
        .value_kind:     by_value
      - .offset:         8
        .size:           48
        .value_kind:     by_value
    .group_segment_fixed_size: 0
    .kernarg_segment_align: 8
    .kernarg_segment_size: 56
    .language:       OpenCL C
    .language_version:
      - 2
      - 0
    .max_flat_workgroup_size: 128
    .name:           _ZN2at6native32elementwise_kernel_manual_unrollILi128ELi4EZNS0_15gpu_kernel_implINS0_13BinaryFunctorIbbbNS0_12_GLOBAL__N_116CompareEqFunctorIbEEEEEEvRNS_18TensorIteratorBaseERKT_EUlibE_EEviT1_
    .private_segment_fixed_size: 0
    .sgpr_count:     65
    .sgpr_spill_count: 0
    .symbol:         _ZN2at6native32elementwise_kernel_manual_unrollILi128ELi4EZNS0_15gpu_kernel_implINS0_13BinaryFunctorIbbbNS0_12_GLOBAL__N_116CompareEqFunctorIbEEEEEEvRNS_18TensorIteratorBaseERKT_EUlibE_EEviT1_.kd
    .uniform_work_group_size: 1
    .uses_dynamic_stack: false
    .vgpr_count:     9
    .vgpr_spill_count: 0
    .wavefront_size: 64
  - .args:
      - .offset:         0
        .size:           4
        .value_kind:     by_value
      - .offset:         8
        .size:           424
        .value_kind:     by_value
    .group_segment_fixed_size: 0
    .kernarg_segment_align: 8
    .kernarg_segment_size: 432
    .language:       OpenCL C
    .language_version:
      - 2
      - 0
    .max_flat_workgroup_size: 128
    .name:           _ZN2at6native32elementwise_kernel_manual_unrollILi128ELi4EZNS0_15gpu_kernel_implINS0_13BinaryFunctorIbbbNS0_12_GLOBAL__N_116CompareEqFunctorIbEEEEEEvRNS_18TensorIteratorBaseERKT_EUlibE0_EEviT1_
    .private_segment_fixed_size: 0
    .sgpr_count:     88
    .sgpr_spill_count: 0
    .symbol:         _ZN2at6native32elementwise_kernel_manual_unrollILi128ELi4EZNS0_15gpu_kernel_implINS0_13BinaryFunctorIbbbNS0_12_GLOBAL__N_116CompareEqFunctorIbEEEEEEvRNS_18TensorIteratorBaseERKT_EUlibE0_EEviT1_.kd
    .uniform_work_group_size: 1
    .uses_dynamic_stack: false
    .vgpr_count:     26
    .vgpr_spill_count: 0
    .wavefront_size: 64
  - .args:
      - .offset:         0
        .size:           4
        .value_kind:     by_value
      - .offset:         4
        .size:           8
        .value_kind:     by_value
      - .offset:         16
        .size:           16
        .value_kind:     by_value
    .group_segment_fixed_size: 0
    .kernarg_segment_align: 8
    .kernarg_segment_size: 32
    .language:       OpenCL C
    .language_version:
      - 2
      - 0
    .max_flat_workgroup_size: 256
    .name:           _ZN2at6native29vectorized_elementwise_kernelILi16ENS0_13AUnaryFunctorIbbbNS0_12_GLOBAL__N_116CompareEqFunctorIbEEEESt5arrayIPcLm2EEEEviT0_T1_
    .private_segment_fixed_size: 0
    .sgpr_count:     48
    .sgpr_spill_count: 0
    .symbol:         _ZN2at6native29vectorized_elementwise_kernelILi16ENS0_13AUnaryFunctorIbbbNS0_12_GLOBAL__N_116CompareEqFunctorIbEEEESt5arrayIPcLm2EEEEviT0_T1_.kd
    .uniform_work_group_size: 1
    .uses_dynamic_stack: false
    .vgpr_count:     19
    .vgpr_spill_count: 0
    .wavefront_size: 64
  - .args:
      - .offset:         0
        .size:           4
        .value_kind:     by_value
      - .offset:         4
        .size:           8
        .value_kind:     by_value
      - .offset:         16
        .size:           16
        .value_kind:     by_value
    .group_segment_fixed_size: 0
    .kernarg_segment_align: 8
    .kernarg_segment_size: 32
    .language:       OpenCL C
    .language_version:
      - 2
      - 0
    .max_flat_workgroup_size: 256
    .name:           _ZN2at6native29vectorized_elementwise_kernelILi8ENS0_13AUnaryFunctorIbbbNS0_12_GLOBAL__N_116CompareEqFunctorIbEEEESt5arrayIPcLm2EEEEviT0_T1_
    .private_segment_fixed_size: 0
    .sgpr_count:     50
    .sgpr_spill_count: 0
    .symbol:         _ZN2at6native29vectorized_elementwise_kernelILi8ENS0_13AUnaryFunctorIbbbNS0_12_GLOBAL__N_116CompareEqFunctorIbEEEESt5arrayIPcLm2EEEEviT0_T1_.kd
    .uniform_work_group_size: 1
    .uses_dynamic_stack: false
    .vgpr_count:     19
    .vgpr_spill_count: 0
    .wavefront_size: 64
  - .args:
      - .offset:         0
        .size:           4
        .value_kind:     by_value
      - .offset:         4
        .size:           8
        .value_kind:     by_value
      - .offset:         16
        .size:           16
        .value_kind:     by_value
    .group_segment_fixed_size: 0
    .kernarg_segment_align: 8
    .kernarg_segment_size: 32
    .language:       OpenCL C
    .language_version:
      - 2
      - 0
    .max_flat_workgroup_size: 256
    .name:           _ZN2at6native29vectorized_elementwise_kernelILi4ENS0_13AUnaryFunctorIbbbNS0_12_GLOBAL__N_116CompareEqFunctorIbEEEESt5arrayIPcLm2EEEEviT0_T1_
    .private_segment_fixed_size: 0
    .sgpr_count:     50
    .sgpr_spill_count: 0
    .symbol:         _ZN2at6native29vectorized_elementwise_kernelILi4ENS0_13AUnaryFunctorIbbbNS0_12_GLOBAL__N_116CompareEqFunctorIbEEEESt5arrayIPcLm2EEEEviT0_T1_.kd
    .uniform_work_group_size: 1
    .uses_dynamic_stack: false
    .vgpr_count:     19
    .vgpr_spill_count: 0
    .wavefront_size: 64
  - .args:
      - .offset:         0
        .size:           4
        .value_kind:     by_value
      - .offset:         4
        .size:           8
        .value_kind:     by_value
      - .offset:         16
        .size:           16
        .value_kind:     by_value
    .group_segment_fixed_size: 0
    .kernarg_segment_align: 8
    .kernarg_segment_size: 32
    .language:       OpenCL C
    .language_version:
      - 2
      - 0
    .max_flat_workgroup_size: 256
    .name:           _ZN2at6native29vectorized_elementwise_kernelILi2ENS0_13AUnaryFunctorIbbbNS0_12_GLOBAL__N_116CompareEqFunctorIbEEEESt5arrayIPcLm2EEEEviT0_T1_
    .private_segment_fixed_size: 0
    .sgpr_count:     50
    .sgpr_spill_count: 0
    .symbol:         _ZN2at6native29vectorized_elementwise_kernelILi2ENS0_13AUnaryFunctorIbbbNS0_12_GLOBAL__N_116CompareEqFunctorIbEEEESt5arrayIPcLm2EEEEviT0_T1_.kd
    .uniform_work_group_size: 1
    .uses_dynamic_stack: false
    .vgpr_count:     19
    .vgpr_spill_count: 0
    .wavefront_size: 64
  - .args:
      - .offset:         0
        .size:           4
        .value_kind:     by_value
      - .offset:         4
        .size:           8
        .value_kind:     by_value
      - .offset:         16
        .size:           16
        .value_kind:     by_value
      - .offset:         32
        .size:           1
        .value_kind:     by_value
      - .offset:         33
        .size:           1
        .value_kind:     by_value
      - .offset:         34
        .size:           1
        .value_kind:     by_value
      - .offset:         35
        .size:           1
        .value_kind:     by_value
    .group_segment_fixed_size: 0
    .kernarg_segment_align: 8
    .kernarg_segment_size: 36
    .language:       OpenCL C
    .language_version:
      - 2
      - 0
    .max_flat_workgroup_size: 256
    .name:           _ZN2at6native27unrolled_elementwise_kernelINS0_13AUnaryFunctorIbbbNS0_12_GLOBAL__N_116CompareEqFunctorIbEEEESt5arrayIPcLm2EELi4E23TrivialOffsetCalculatorILi1EjESB_NS0_6memory15LoadWithoutCastENSC_16StoreWithoutCastEEEviT_T0_T2_T3_T4_T5_
    .private_segment_fixed_size: 0
    .sgpr_count:     20
    .sgpr_spill_count: 0
    .symbol:         _ZN2at6native27unrolled_elementwise_kernelINS0_13AUnaryFunctorIbbbNS0_12_GLOBAL__N_116CompareEqFunctorIbEEEESt5arrayIPcLm2EELi4E23TrivialOffsetCalculatorILi1EjESB_NS0_6memory15LoadWithoutCastENSC_16StoreWithoutCastEEEviT_T0_T2_T3_T4_T5_.kd
    .uniform_work_group_size: 1
    .uses_dynamic_stack: false
    .vgpr_count:     7
    .vgpr_spill_count: 0
    .wavefront_size: 64
  - .args:
      - .offset:         0
        .size:           4
        .value_kind:     by_value
      - .offset:         8
        .size:           352
        .value_kind:     by_value
    .group_segment_fixed_size: 0
    .kernarg_segment_align: 8
    .kernarg_segment_size: 360
    .language:       OpenCL C
    .language_version:
      - 2
      - 0
    .max_flat_workgroup_size: 128
    .name:           _ZN2at6native32elementwise_kernel_manual_unrollILi128ELi8EZNS0_22gpu_kernel_impl_nocastINS0_13AUnaryFunctorIbbbNS0_12_GLOBAL__N_116CompareEqFunctorIbEEEEEEvRNS_18TensorIteratorBaseERKT_EUlibE_EEviT1_
    .private_segment_fixed_size: 0
    .sgpr_count:     66
    .sgpr_spill_count: 0
    .symbol:         _ZN2at6native32elementwise_kernel_manual_unrollILi128ELi8EZNS0_22gpu_kernel_impl_nocastINS0_13AUnaryFunctorIbbbNS0_12_GLOBAL__N_116CompareEqFunctorIbEEEEEEvRNS_18TensorIteratorBaseERKT_EUlibE_EEviT1_.kd
    .uniform_work_group_size: 1
    .uses_dynamic_stack: false
    .vgpr_count:     26
    .vgpr_spill_count: 0
    .wavefront_size: 64
  - .args:
      - .offset:         0
        .size:           4
        .value_kind:     by_value
      - .offset:         8
        .size:           40
        .value_kind:     by_value
    .group_segment_fixed_size: 0
    .kernarg_segment_align: 8
    .kernarg_segment_size: 48
    .language:       OpenCL C
    .language_version:
      - 2
      - 0
    .max_flat_workgroup_size: 128
    .name:           _ZN2at6native32elementwise_kernel_manual_unrollILi128ELi4EZNS0_15gpu_kernel_implINS0_13AUnaryFunctorIbbbNS0_12_GLOBAL__N_116CompareEqFunctorIbEEEEEEvRNS_18TensorIteratorBaseERKT_EUlibE_EEviT1_
    .private_segment_fixed_size: 0
    .sgpr_count:     54
    .sgpr_spill_count: 0
    .symbol:         _ZN2at6native32elementwise_kernel_manual_unrollILi128ELi4EZNS0_15gpu_kernel_implINS0_13AUnaryFunctorIbbbNS0_12_GLOBAL__N_116CompareEqFunctorIbEEEEEEvRNS_18TensorIteratorBaseERKT_EUlibE_EEviT1_.kd
    .uniform_work_group_size: 1
    .uses_dynamic_stack: false
    .vgpr_count:     8
    .vgpr_spill_count: 0
    .wavefront_size: 64
  - .args:
      - .offset:         0
        .size:           4
        .value_kind:     by_value
      - .offset:         8
        .size:           360
        .value_kind:     by_value
    .group_segment_fixed_size: 0
    .kernarg_segment_align: 8
    .kernarg_segment_size: 368
    .language:       OpenCL C
    .language_version:
      - 2
      - 0
    .max_flat_workgroup_size: 128
    .name:           _ZN2at6native32elementwise_kernel_manual_unrollILi128ELi4EZNS0_15gpu_kernel_implINS0_13AUnaryFunctorIbbbNS0_12_GLOBAL__N_116CompareEqFunctorIbEEEEEEvRNS_18TensorIteratorBaseERKT_EUlibE0_EEviT1_
    .private_segment_fixed_size: 0
    .sgpr_count:     84
    .sgpr_spill_count: 0
    .symbol:         _ZN2at6native32elementwise_kernel_manual_unrollILi128ELi4EZNS0_15gpu_kernel_implINS0_13AUnaryFunctorIbbbNS0_12_GLOBAL__N_116CompareEqFunctorIbEEEEEEvRNS_18TensorIteratorBaseERKT_EUlibE0_EEviT1_.kd
    .uniform_work_group_size: 1
    .uses_dynamic_stack: false
    .vgpr_count:     18
    .vgpr_spill_count: 0
    .wavefront_size: 64
  - .args:
      - .offset:         0
        .size:           4
        .value_kind:     by_value
      - .offset:         4
        .size:           4
        .value_kind:     by_value
      - .offset:         8
        .size:           24
        .value_kind:     by_value
    .group_segment_fixed_size: 0
    .kernarg_segment_align: 8
    .kernarg_segment_size: 32
    .language:       OpenCL C
    .language_version:
      - 2
      - 0
    .max_flat_workgroup_size: 256
    .name:           _ZN2at6native29vectorized_elementwise_kernelILi16ENS0_13BinaryFunctorIN3c1011Float8_e5m2ES4_bNS0_12_GLOBAL__N_116CompareEqFunctorIS4_EEEESt5arrayIPcLm3EEEEviT0_T1_
    .private_segment_fixed_size: 0
    .sgpr_count:     61
    .sgpr_spill_count: 0
    .symbol:         _ZN2at6native29vectorized_elementwise_kernelILi16ENS0_13BinaryFunctorIN3c1011Float8_e5m2ES4_bNS0_12_GLOBAL__N_116CompareEqFunctorIS4_EEEESt5arrayIPcLm3EEEEviT0_T1_.kd
    .uniform_work_group_size: 1
    .uses_dynamic_stack: false
    .vgpr_count:     55
    .vgpr_spill_count: 0
    .wavefront_size: 64
  - .args:
      - .offset:         0
        .size:           4
        .value_kind:     by_value
      - .offset:         4
        .size:           4
        .value_kind:     by_value
      - .offset:         8
        .size:           24
        .value_kind:     by_value
    .group_segment_fixed_size: 0
    .kernarg_segment_align: 8
    .kernarg_segment_size: 32
    .language:       OpenCL C
    .language_version:
      - 2
      - 0
    .max_flat_workgroup_size: 256
    .name:           _ZN2at6native29vectorized_elementwise_kernelILi8ENS0_13BinaryFunctorIN3c1011Float8_e5m2ES4_bNS0_12_GLOBAL__N_116CompareEqFunctorIS4_EEEESt5arrayIPcLm3EEEEviT0_T1_
    .private_segment_fixed_size: 0
    .sgpr_count:     65
    .sgpr_spill_count: 0
    .symbol:         _ZN2at6native29vectorized_elementwise_kernelILi8ENS0_13BinaryFunctorIN3c1011Float8_e5m2ES4_bNS0_12_GLOBAL__N_116CompareEqFunctorIS4_EEEESt5arrayIPcLm3EEEEviT0_T1_.kd
    .uniform_work_group_size: 1
    .uses_dynamic_stack: false
    .vgpr_count:     55
    .vgpr_spill_count: 0
    .wavefront_size: 64
  - .args:
      - .offset:         0
        .size:           4
        .value_kind:     by_value
      - .offset:         4
        .size:           4
        .value_kind:     by_value
      - .offset:         8
        .size:           24
        .value_kind:     by_value
    .group_segment_fixed_size: 0
    .kernarg_segment_align: 8
    .kernarg_segment_size: 32
    .language:       OpenCL C
    .language_version:
      - 2
      - 0
    .max_flat_workgroup_size: 256
    .name:           _ZN2at6native29vectorized_elementwise_kernelILi4ENS0_13BinaryFunctorIN3c1011Float8_e5m2ES4_bNS0_12_GLOBAL__N_116CompareEqFunctorIS4_EEEESt5arrayIPcLm3EEEEviT0_T1_
    .private_segment_fixed_size: 0
    .sgpr_count:     65
    .sgpr_spill_count: 0
    .symbol:         _ZN2at6native29vectorized_elementwise_kernelILi4ENS0_13BinaryFunctorIN3c1011Float8_e5m2ES4_bNS0_12_GLOBAL__N_116CompareEqFunctorIS4_EEEESt5arrayIPcLm3EEEEviT0_T1_.kd
    .uniform_work_group_size: 1
    .uses_dynamic_stack: false
    .vgpr_count:     55
    .vgpr_spill_count: 0
    .wavefront_size: 64
  - .args:
      - .offset:         0
        .size:           4
        .value_kind:     by_value
      - .offset:         4
        .size:           4
        .value_kind:     by_value
      - .offset:         8
        .size:           24
        .value_kind:     by_value
    .group_segment_fixed_size: 0
    .kernarg_segment_align: 8
    .kernarg_segment_size: 32
    .language:       OpenCL C
    .language_version:
      - 2
      - 0
    .max_flat_workgroup_size: 256
    .name:           _ZN2at6native29vectorized_elementwise_kernelILi2ENS0_13BinaryFunctorIN3c1011Float8_e5m2ES4_bNS0_12_GLOBAL__N_116CompareEqFunctorIS4_EEEESt5arrayIPcLm3EEEEviT0_T1_
    .private_segment_fixed_size: 0
    .sgpr_count:     67
    .sgpr_spill_count: 0
    .symbol:         _ZN2at6native29vectorized_elementwise_kernelILi2ENS0_13BinaryFunctorIN3c1011Float8_e5m2ES4_bNS0_12_GLOBAL__N_116CompareEqFunctorIS4_EEEESt5arrayIPcLm3EEEEviT0_T1_.kd
    .uniform_work_group_size: 1
    .uses_dynamic_stack: false
    .vgpr_count:     55
    .vgpr_spill_count: 0
    .wavefront_size: 64
  - .args:
      - .offset:         0
        .size:           4
        .value_kind:     by_value
      - .offset:         4
        .size:           4
        .value_kind:     by_value
      - .offset:         8
        .size:           24
        .value_kind:     by_value
      - .offset:         32
        .size:           1
        .value_kind:     by_value
      - .offset:         33
        .size:           1
        .value_kind:     by_value
      - .offset:         34
        .size:           1
        .value_kind:     by_value
      - .offset:         35
        .size:           1
        .value_kind:     by_value
    .group_segment_fixed_size: 0
    .kernarg_segment_align: 8
    .kernarg_segment_size: 36
    .language:       OpenCL C
    .language_version:
      - 2
      - 0
    .max_flat_workgroup_size: 256
    .name:           _ZN2at6native27unrolled_elementwise_kernelINS0_13BinaryFunctorIN3c1011Float8_e5m2ES4_bNS0_12_GLOBAL__N_116CompareEqFunctorIS4_EEEESt5arrayIPcLm3EELi4E23TrivialOffsetCalculatorILi2EjESC_ILi1EjENS0_6memory15LoadWithoutCastENSF_16StoreWithoutCastEEEviT_T0_T2_T3_T4_T5_
    .private_segment_fixed_size: 0
    .sgpr_count:     24
    .sgpr_spill_count: 0
    .symbol:         _ZN2at6native27unrolled_elementwise_kernelINS0_13BinaryFunctorIN3c1011Float8_e5m2ES4_bNS0_12_GLOBAL__N_116CompareEqFunctorIS4_EEEESt5arrayIPcLm3EELi4E23TrivialOffsetCalculatorILi2EjESC_ILi1EjENS0_6memory15LoadWithoutCastENSF_16StoreWithoutCastEEEviT_T0_T2_T3_T4_T5_.kd
    .uniform_work_group_size: 1
    .uses_dynamic_stack: false
    .vgpr_count:     13
    .vgpr_spill_count: 0
    .wavefront_size: 64
  - .args:
      - .offset:         0
        .size:           4
        .value_kind:     by_value
      - .offset:         8
        .size:           424
        .value_kind:     by_value
    .group_segment_fixed_size: 0
    .kernarg_segment_align: 8
    .kernarg_segment_size: 432
    .language:       OpenCL C
    .language_version:
      - 2
      - 0
    .max_flat_workgroup_size: 128
    .name:           _ZN2at6native32elementwise_kernel_manual_unrollILi128ELi8EZNS0_22gpu_kernel_impl_nocastINS0_13BinaryFunctorIN3c1011Float8_e5m2ES5_bNS0_12_GLOBAL__N_116CompareEqFunctorIS5_EEEEEEvRNS_18TensorIteratorBaseERKT_EUlibE_EEviT1_
    .private_segment_fixed_size: 0
    .sgpr_count:     56
    .sgpr_spill_count: 0
    .symbol:         _ZN2at6native32elementwise_kernel_manual_unrollILi128ELi8EZNS0_22gpu_kernel_impl_nocastINS0_13BinaryFunctorIN3c1011Float8_e5m2ES5_bNS0_12_GLOBAL__N_116CompareEqFunctorIS5_EEEEEEvRNS_18TensorIteratorBaseERKT_EUlibE_EEviT1_.kd
    .uniform_work_group_size: 1
    .uses_dynamic_stack: false
    .vgpr_count:     40
    .vgpr_spill_count: 0
    .wavefront_size: 64
  - .args:
      - .offset:         0
        .size:           4
        .value_kind:     by_value
      - .offset:         8
        .size:           48
        .value_kind:     by_value
    .group_segment_fixed_size: 0
    .kernarg_segment_align: 8
    .kernarg_segment_size: 56
    .language:       OpenCL C
    .language_version:
      - 2
      - 0
    .max_flat_workgroup_size: 128
    .name:           _ZN2at6native32elementwise_kernel_manual_unrollILi128ELi4EZNS0_15gpu_kernel_implINS0_13BinaryFunctorIN3c1011Float8_e5m2ES5_bNS0_12_GLOBAL__N_116CompareEqFunctorIS5_EEEEEEvRNS_18TensorIteratorBaseERKT_EUlibE_EEviT1_
    .private_segment_fixed_size: 64
    .sgpr_count:     74
    .sgpr_spill_count: 0
    .symbol:         _ZN2at6native32elementwise_kernel_manual_unrollILi128ELi4EZNS0_15gpu_kernel_implINS0_13BinaryFunctorIN3c1011Float8_e5m2ES5_bNS0_12_GLOBAL__N_116CompareEqFunctorIS5_EEEEEEvRNS_18TensorIteratorBaseERKT_EUlibE_EEviT1_.kd
    .uniform_work_group_size: 1
    .uses_dynamic_stack: false
    .vgpr_count:     26
    .vgpr_spill_count: 0
    .wavefront_size: 64
  - .args:
      - .offset:         0
        .size:           4
        .value_kind:     by_value
      - .offset:         8
        .size:           424
        .value_kind:     by_value
    .group_segment_fixed_size: 0
    .kernarg_segment_align: 8
    .kernarg_segment_size: 432
    .language:       OpenCL C
    .language_version:
      - 2
      - 0
    .max_flat_workgroup_size: 128
    .name:           _ZN2at6native32elementwise_kernel_manual_unrollILi128ELi4EZNS0_15gpu_kernel_implINS0_13BinaryFunctorIN3c1011Float8_e5m2ES5_bNS0_12_GLOBAL__N_116CompareEqFunctorIS5_EEEEEEvRNS_18TensorIteratorBaseERKT_EUlibE0_EEviT1_
    .private_segment_fixed_size: 464
    .sgpr_count:     76
    .sgpr_spill_count: 0
    .symbol:         _ZN2at6native32elementwise_kernel_manual_unrollILi128ELi4EZNS0_15gpu_kernel_implINS0_13BinaryFunctorIN3c1011Float8_e5m2ES5_bNS0_12_GLOBAL__N_116CompareEqFunctorIS5_EEEEEEvRNS_18TensorIteratorBaseERKT_EUlibE0_EEviT1_.kd
    .uniform_work_group_size: 1
    .uses_dynamic_stack: false
    .vgpr_count:     28
    .vgpr_spill_count: 0
    .wavefront_size: 64
  - .args:
      - .offset:         0
        .size:           4
        .value_kind:     by_value
      - .offset:         4
        .size:           8
        .value_kind:     by_value
      - .offset:         16
        .size:           16
        .value_kind:     by_value
    .group_segment_fixed_size: 0
    .kernarg_segment_align: 8
    .kernarg_segment_size: 32
    .language:       OpenCL C
    .language_version:
      - 2
      - 0
    .max_flat_workgroup_size: 256
    .name:           _ZN2at6native29vectorized_elementwise_kernelILi16ENS0_13AUnaryFunctorIN3c1011Float8_e5m2ES4_bNS0_12_GLOBAL__N_116CompareEqFunctorIS4_EEEESt5arrayIPcLm2EEEEviT0_T1_
    .private_segment_fixed_size: 0
    .sgpr_count:     46
    .sgpr_spill_count: 0
    .symbol:         _ZN2at6native29vectorized_elementwise_kernelILi16ENS0_13AUnaryFunctorIN3c1011Float8_e5m2ES4_bNS0_12_GLOBAL__N_116CompareEqFunctorIS4_EEEESt5arrayIPcLm2EEEEviT0_T1_.kd
    .uniform_work_group_size: 1
    .uses_dynamic_stack: false
    .vgpr_count:     26
    .vgpr_spill_count: 0
    .wavefront_size: 64
  - .args:
      - .offset:         0
        .size:           4
        .value_kind:     by_value
      - .offset:         4
        .size:           8
        .value_kind:     by_value
      - .offset:         16
        .size:           16
        .value_kind:     by_value
    .group_segment_fixed_size: 0
    .kernarg_segment_align: 8
    .kernarg_segment_size: 32
    .language:       OpenCL C
    .language_version:
      - 2
      - 0
    .max_flat_workgroup_size: 256
    .name:           _ZN2at6native29vectorized_elementwise_kernelILi8ENS0_13AUnaryFunctorIN3c1011Float8_e5m2ES4_bNS0_12_GLOBAL__N_116CompareEqFunctorIS4_EEEESt5arrayIPcLm2EEEEviT0_T1_
    .private_segment_fixed_size: 0
    .sgpr_count:     46
    .sgpr_spill_count: 0
    .symbol:         _ZN2at6native29vectorized_elementwise_kernelILi8ENS0_13AUnaryFunctorIN3c1011Float8_e5m2ES4_bNS0_12_GLOBAL__N_116CompareEqFunctorIS4_EEEESt5arrayIPcLm2EEEEviT0_T1_.kd
    .uniform_work_group_size: 1
    .uses_dynamic_stack: false
    .vgpr_count:     26
    .vgpr_spill_count: 0
    .wavefront_size: 64
  - .args:
      - .offset:         0
        .size:           4
        .value_kind:     by_value
      - .offset:         4
        .size:           8
        .value_kind:     by_value
      - .offset:         16
        .size:           16
        .value_kind:     by_value
    .group_segment_fixed_size: 0
    .kernarg_segment_align: 8
    .kernarg_segment_size: 32
    .language:       OpenCL C
    .language_version:
      - 2
      - 0
    .max_flat_workgroup_size: 256
    .name:           _ZN2at6native29vectorized_elementwise_kernelILi4ENS0_13AUnaryFunctorIN3c1011Float8_e5m2ES4_bNS0_12_GLOBAL__N_116CompareEqFunctorIS4_EEEESt5arrayIPcLm2EEEEviT0_T1_
    .private_segment_fixed_size: 0
    .sgpr_count:     46
    .sgpr_spill_count: 0
    .symbol:         _ZN2at6native29vectorized_elementwise_kernelILi4ENS0_13AUnaryFunctorIN3c1011Float8_e5m2ES4_bNS0_12_GLOBAL__N_116CompareEqFunctorIS4_EEEESt5arrayIPcLm2EEEEviT0_T1_.kd
    .uniform_work_group_size: 1
    .uses_dynamic_stack: false
    .vgpr_count:     26
    .vgpr_spill_count: 0
    .wavefront_size: 64
  - .args:
      - .offset:         0
        .size:           4
        .value_kind:     by_value
      - .offset:         4
        .size:           8
        .value_kind:     by_value
      - .offset:         16
        .size:           16
        .value_kind:     by_value
    .group_segment_fixed_size: 0
    .kernarg_segment_align: 8
    .kernarg_segment_size: 32
    .language:       OpenCL C
    .language_version:
      - 2
      - 0
    .max_flat_workgroup_size: 256
    .name:           _ZN2at6native29vectorized_elementwise_kernelILi2ENS0_13AUnaryFunctorIN3c1011Float8_e5m2ES4_bNS0_12_GLOBAL__N_116CompareEqFunctorIS4_EEEESt5arrayIPcLm2EEEEviT0_T1_
    .private_segment_fixed_size: 0
    .sgpr_count:     46
    .sgpr_spill_count: 0
    .symbol:         _ZN2at6native29vectorized_elementwise_kernelILi2ENS0_13AUnaryFunctorIN3c1011Float8_e5m2ES4_bNS0_12_GLOBAL__N_116CompareEqFunctorIS4_EEEESt5arrayIPcLm2EEEEviT0_T1_.kd
    .uniform_work_group_size: 1
    .uses_dynamic_stack: false
    .vgpr_count:     26
    .vgpr_spill_count: 0
    .wavefront_size: 64
  - .args:
      - .offset:         0
        .size:           4
        .value_kind:     by_value
      - .offset:         4
        .size:           8
        .value_kind:     by_value
      - .offset:         16
        .size:           16
        .value_kind:     by_value
      - .offset:         32
        .size:           1
        .value_kind:     by_value
      - .offset:         33
        .size:           1
        .value_kind:     by_value
      - .offset:         34
        .size:           1
        .value_kind:     by_value
      - .offset:         35
        .size:           1
        .value_kind:     by_value
    .group_segment_fixed_size: 0
    .kernarg_segment_align: 8
    .kernarg_segment_size: 36
    .language:       OpenCL C
    .language_version:
      - 2
      - 0
    .max_flat_workgroup_size: 256
    .name:           _ZN2at6native27unrolled_elementwise_kernelINS0_13AUnaryFunctorIN3c1011Float8_e5m2ES4_bNS0_12_GLOBAL__N_116CompareEqFunctorIS4_EEEESt5arrayIPcLm2EELi4E23TrivialOffsetCalculatorILi1EjESD_NS0_6memory15LoadWithoutCastENSE_16StoreWithoutCastEEEviT_T0_T2_T3_T4_T5_
    .private_segment_fixed_size: 0
    .sgpr_count:     22
    .sgpr_spill_count: 0
    .symbol:         _ZN2at6native27unrolled_elementwise_kernelINS0_13AUnaryFunctorIN3c1011Float8_e5m2ES4_bNS0_12_GLOBAL__N_116CompareEqFunctorIS4_EEEESt5arrayIPcLm2EELi4E23TrivialOffsetCalculatorILi1EjESD_NS0_6memory15LoadWithoutCastENSE_16StoreWithoutCastEEEviT_T0_T2_T3_T4_T5_.kd
    .uniform_work_group_size: 1
    .uses_dynamic_stack: false
    .vgpr_count:     11
    .vgpr_spill_count: 0
    .wavefront_size: 64
  - .args:
      - .offset:         0
        .size:           4
        .value_kind:     by_value
      - .offset:         8
        .size:           352
        .value_kind:     by_value
    .group_segment_fixed_size: 0
    .kernarg_segment_align: 8
    .kernarg_segment_size: 360
    .language:       OpenCL C
    .language_version:
      - 2
      - 0
    .max_flat_workgroup_size: 128
    .name:           _ZN2at6native32elementwise_kernel_manual_unrollILi128ELi8EZNS0_22gpu_kernel_impl_nocastINS0_13AUnaryFunctorIN3c1011Float8_e5m2ES5_bNS0_12_GLOBAL__N_116CompareEqFunctorIS5_EEEEEEvRNS_18TensorIteratorBaseERKT_EUlibE_EEviT1_
    .private_segment_fixed_size: 0
    .sgpr_count:     66
    .sgpr_spill_count: 0
    .symbol:         _ZN2at6native32elementwise_kernel_manual_unrollILi128ELi8EZNS0_22gpu_kernel_impl_nocastINS0_13AUnaryFunctorIN3c1011Float8_e5m2ES5_bNS0_12_GLOBAL__N_116CompareEqFunctorIS5_EEEEEEvRNS_18TensorIteratorBaseERKT_EUlibE_EEviT1_.kd
    .uniform_work_group_size: 1
    .uses_dynamic_stack: false
    .vgpr_count:     26
    .vgpr_spill_count: 0
    .wavefront_size: 64
  - .args:
      - .offset:         0
        .size:           4
        .value_kind:     by_value
      - .offset:         8
        .size:           40
        .value_kind:     by_value
    .group_segment_fixed_size: 0
    .kernarg_segment_align: 8
    .kernarg_segment_size: 48
    .language:       OpenCL C
    .language_version:
      - 2
      - 0
    .max_flat_workgroup_size: 128
    .name:           _ZN2at6native32elementwise_kernel_manual_unrollILi128ELi4EZNS0_15gpu_kernel_implINS0_13AUnaryFunctorIN3c1011Float8_e5m2ES5_bNS0_12_GLOBAL__N_116CompareEqFunctorIS5_EEEEEEvRNS_18TensorIteratorBaseERKT_EUlibE_EEviT1_
    .private_segment_fixed_size: 0
    .sgpr_count:     52
    .sgpr_spill_count: 0
    .symbol:         _ZN2at6native32elementwise_kernel_manual_unrollILi128ELi4EZNS0_15gpu_kernel_implINS0_13AUnaryFunctorIN3c1011Float8_e5m2ES5_bNS0_12_GLOBAL__N_116CompareEqFunctorIS5_EEEEEEvRNS_18TensorIteratorBaseERKT_EUlibE_EEviT1_.kd
    .uniform_work_group_size: 1
    .uses_dynamic_stack: false
    .vgpr_count:     12
    .vgpr_spill_count: 0
    .wavefront_size: 64
  - .args:
      - .offset:         0
        .size:           4
        .value_kind:     by_value
      - .offset:         8
        .size:           360
        .value_kind:     by_value
    .group_segment_fixed_size: 0
    .kernarg_segment_align: 8
    .kernarg_segment_size: 368
    .language:       OpenCL C
    .language_version:
      - 2
      - 0
    .max_flat_workgroup_size: 128
    .name:           _ZN2at6native32elementwise_kernel_manual_unrollILi128ELi4EZNS0_15gpu_kernel_implINS0_13AUnaryFunctorIN3c1011Float8_e5m2ES5_bNS0_12_GLOBAL__N_116CompareEqFunctorIS5_EEEEEEvRNS_18TensorIteratorBaseERKT_EUlibE0_EEviT1_
    .private_segment_fixed_size: 0
    .sgpr_count:     84
    .sgpr_spill_count: 0
    .symbol:         _ZN2at6native32elementwise_kernel_manual_unrollILi128ELi4EZNS0_15gpu_kernel_implINS0_13AUnaryFunctorIN3c1011Float8_e5m2ES5_bNS0_12_GLOBAL__N_116CompareEqFunctorIS5_EEEEEEvRNS_18TensorIteratorBaseERKT_EUlibE0_EEviT1_.kd
    .uniform_work_group_size: 1
    .uses_dynamic_stack: false
    .vgpr_count:     18
    .vgpr_spill_count: 0
    .wavefront_size: 64
  - .args:
      - .offset:         0
        .size:           4
        .value_kind:     by_value
      - .offset:         4
        .size:           4
        .value_kind:     by_value
      - .offset:         8
        .size:           24
        .value_kind:     by_value
    .group_segment_fixed_size: 0
    .kernarg_segment_align: 8
    .kernarg_segment_size: 32
    .language:       OpenCL C
    .language_version:
      - 2
      - 0
    .max_flat_workgroup_size: 256
    .name:           _ZN2at6native29vectorized_elementwise_kernelILi16ENS0_13BinaryFunctorIN3c1015Float8_e5m2fnuzES4_bNS0_12_GLOBAL__N_116CompareEqFunctorIS4_EEEESt5arrayIPcLm3EEEEviT0_T1_
    .private_segment_fixed_size: 0
    .sgpr_count:     61
    .sgpr_spill_count: 0
    .symbol:         _ZN2at6native29vectorized_elementwise_kernelILi16ENS0_13BinaryFunctorIN3c1015Float8_e5m2fnuzES4_bNS0_12_GLOBAL__N_116CompareEqFunctorIS4_EEEESt5arrayIPcLm3EEEEviT0_T1_.kd
    .uniform_work_group_size: 1
    .uses_dynamic_stack: false
    .vgpr_count:     55
    .vgpr_spill_count: 0
    .wavefront_size: 64
  - .args:
      - .offset:         0
        .size:           4
        .value_kind:     by_value
      - .offset:         4
        .size:           4
        .value_kind:     by_value
      - .offset:         8
        .size:           24
        .value_kind:     by_value
    .group_segment_fixed_size: 0
    .kernarg_segment_align: 8
    .kernarg_segment_size: 32
    .language:       OpenCL C
    .language_version:
      - 2
      - 0
    .max_flat_workgroup_size: 256
    .name:           _ZN2at6native29vectorized_elementwise_kernelILi8ENS0_13BinaryFunctorIN3c1015Float8_e5m2fnuzES4_bNS0_12_GLOBAL__N_116CompareEqFunctorIS4_EEEESt5arrayIPcLm3EEEEviT0_T1_
    .private_segment_fixed_size: 0
    .sgpr_count:     61
    .sgpr_spill_count: 0
    .symbol:         _ZN2at6native29vectorized_elementwise_kernelILi8ENS0_13BinaryFunctorIN3c1015Float8_e5m2fnuzES4_bNS0_12_GLOBAL__N_116CompareEqFunctorIS4_EEEESt5arrayIPcLm3EEEEviT0_T1_.kd
    .uniform_work_group_size: 1
    .uses_dynamic_stack: false
    .vgpr_count:     55
    .vgpr_spill_count: 0
    .wavefront_size: 64
  - .args:
      - .offset:         0
        .size:           4
        .value_kind:     by_value
      - .offset:         4
        .size:           4
        .value_kind:     by_value
      - .offset:         8
        .size:           24
        .value_kind:     by_value
    .group_segment_fixed_size: 0
    .kernarg_segment_align: 8
    .kernarg_segment_size: 32
    .language:       OpenCL C
    .language_version:
      - 2
      - 0
    .max_flat_workgroup_size: 256
    .name:           _ZN2at6native29vectorized_elementwise_kernelILi4ENS0_13BinaryFunctorIN3c1015Float8_e5m2fnuzES4_bNS0_12_GLOBAL__N_116CompareEqFunctorIS4_EEEESt5arrayIPcLm3EEEEviT0_T1_
    .private_segment_fixed_size: 0
    .sgpr_count:     61
    .sgpr_spill_count: 0
    .symbol:         _ZN2at6native29vectorized_elementwise_kernelILi4ENS0_13BinaryFunctorIN3c1015Float8_e5m2fnuzES4_bNS0_12_GLOBAL__N_116CompareEqFunctorIS4_EEEESt5arrayIPcLm3EEEEviT0_T1_.kd
    .uniform_work_group_size: 1
    .uses_dynamic_stack: false
    .vgpr_count:     55
    .vgpr_spill_count: 0
    .wavefront_size: 64
  - .args:
      - .offset:         0
        .size:           4
        .value_kind:     by_value
      - .offset:         4
        .size:           4
        .value_kind:     by_value
      - .offset:         8
        .size:           24
        .value_kind:     by_value
    .group_segment_fixed_size: 0
    .kernarg_segment_align: 8
    .kernarg_segment_size: 32
    .language:       OpenCL C
    .language_version:
      - 2
      - 0
    .max_flat_workgroup_size: 256
    .name:           _ZN2at6native29vectorized_elementwise_kernelILi2ENS0_13BinaryFunctorIN3c1015Float8_e5m2fnuzES4_bNS0_12_GLOBAL__N_116CompareEqFunctorIS4_EEEESt5arrayIPcLm3EEEEviT0_T1_
    .private_segment_fixed_size: 0
    .sgpr_count:     61
    .sgpr_spill_count: 0
    .symbol:         _ZN2at6native29vectorized_elementwise_kernelILi2ENS0_13BinaryFunctorIN3c1015Float8_e5m2fnuzES4_bNS0_12_GLOBAL__N_116CompareEqFunctorIS4_EEEESt5arrayIPcLm3EEEEviT0_T1_.kd
    .uniform_work_group_size: 1
    .uses_dynamic_stack: false
    .vgpr_count:     55
    .vgpr_spill_count: 0
    .wavefront_size: 64
  - .args:
      - .offset:         0
        .size:           4
        .value_kind:     by_value
      - .offset:         4
        .size:           4
        .value_kind:     by_value
      - .offset:         8
        .size:           24
        .value_kind:     by_value
      - .offset:         32
        .size:           1
        .value_kind:     by_value
      - .offset:         33
        .size:           1
        .value_kind:     by_value
      - .offset:         34
        .size:           1
        .value_kind:     by_value
      - .offset:         35
        .size:           1
        .value_kind:     by_value
    .group_segment_fixed_size: 0
    .kernarg_segment_align: 8
    .kernarg_segment_size: 36
    .language:       OpenCL C
    .language_version:
      - 2
      - 0
    .max_flat_workgroup_size: 256
    .name:           _ZN2at6native27unrolled_elementwise_kernelINS0_13BinaryFunctorIN3c1015Float8_e5m2fnuzES4_bNS0_12_GLOBAL__N_116CompareEqFunctorIS4_EEEESt5arrayIPcLm3EELi4E23TrivialOffsetCalculatorILi2EjESC_ILi1EjENS0_6memory15LoadWithoutCastENSF_16StoreWithoutCastEEEviT_T0_T2_T3_T4_T5_
    .private_segment_fixed_size: 0
    .sgpr_count:     24
    .sgpr_spill_count: 0
    .symbol:         _ZN2at6native27unrolled_elementwise_kernelINS0_13BinaryFunctorIN3c1015Float8_e5m2fnuzES4_bNS0_12_GLOBAL__N_116CompareEqFunctorIS4_EEEESt5arrayIPcLm3EELi4E23TrivialOffsetCalculatorILi2EjESC_ILi1EjENS0_6memory15LoadWithoutCastENSF_16StoreWithoutCastEEEviT_T0_T2_T3_T4_T5_.kd
    .uniform_work_group_size: 1
    .uses_dynamic_stack: false
    .vgpr_count:     15
    .vgpr_spill_count: 0
    .wavefront_size: 64
  - .args:
      - .offset:         0
        .size:           4
        .value_kind:     by_value
      - .offset:         8
        .size:           424
        .value_kind:     by_value
    .group_segment_fixed_size: 0
    .kernarg_segment_align: 8
    .kernarg_segment_size: 432
    .language:       OpenCL C
    .language_version:
      - 2
      - 0
    .max_flat_workgroup_size: 128
    .name:           _ZN2at6native32elementwise_kernel_manual_unrollILi128ELi8EZNS0_22gpu_kernel_impl_nocastINS0_13BinaryFunctorIN3c1015Float8_e5m2fnuzES5_bNS0_12_GLOBAL__N_116CompareEqFunctorIS5_EEEEEEvRNS_18TensorIteratorBaseERKT_EUlibE_EEviT1_
    .private_segment_fixed_size: 0
    .sgpr_count:     58
    .sgpr_spill_count: 0
    .symbol:         _ZN2at6native32elementwise_kernel_manual_unrollILi128ELi8EZNS0_22gpu_kernel_impl_nocastINS0_13BinaryFunctorIN3c1015Float8_e5m2fnuzES5_bNS0_12_GLOBAL__N_116CompareEqFunctorIS5_EEEEEEvRNS_18TensorIteratorBaseERKT_EUlibE_EEviT1_.kd
    .uniform_work_group_size: 1
    .uses_dynamic_stack: false
    .vgpr_count:     42
    .vgpr_spill_count: 0
    .wavefront_size: 64
  - .args:
      - .offset:         0
        .size:           4
        .value_kind:     by_value
      - .offset:         8
        .size:           48
        .value_kind:     by_value
    .group_segment_fixed_size: 0
    .kernarg_segment_align: 8
    .kernarg_segment_size: 56
    .language:       OpenCL C
    .language_version:
      - 2
      - 0
    .max_flat_workgroup_size: 128
    .name:           _ZN2at6native32elementwise_kernel_manual_unrollILi128ELi4EZNS0_15gpu_kernel_implINS0_13BinaryFunctorIN3c1015Float8_e5m2fnuzES5_bNS0_12_GLOBAL__N_116CompareEqFunctorIS5_EEEEEEvRNS_18TensorIteratorBaseERKT_EUlibE_EEviT1_
    .private_segment_fixed_size: 64
    .sgpr_count:     74
    .sgpr_spill_count: 0
    .symbol:         _ZN2at6native32elementwise_kernel_manual_unrollILi128ELi4EZNS0_15gpu_kernel_implINS0_13BinaryFunctorIN3c1015Float8_e5m2fnuzES5_bNS0_12_GLOBAL__N_116CompareEqFunctorIS5_EEEEEEvRNS_18TensorIteratorBaseERKT_EUlibE_EEviT1_.kd
    .uniform_work_group_size: 1
    .uses_dynamic_stack: false
    .vgpr_count:     24
    .vgpr_spill_count: 0
    .wavefront_size: 64
  - .args:
      - .offset:         0
        .size:           4
        .value_kind:     by_value
      - .offset:         8
        .size:           424
        .value_kind:     by_value
    .group_segment_fixed_size: 0
    .kernarg_segment_align: 8
    .kernarg_segment_size: 432
    .language:       OpenCL C
    .language_version:
      - 2
      - 0
    .max_flat_workgroup_size: 128
    .name:           _ZN2at6native32elementwise_kernel_manual_unrollILi128ELi4EZNS0_15gpu_kernel_implINS0_13BinaryFunctorIN3c1015Float8_e5m2fnuzES5_bNS0_12_GLOBAL__N_116CompareEqFunctorIS5_EEEEEEvRNS_18TensorIteratorBaseERKT_EUlibE0_EEviT1_
    .private_segment_fixed_size: 448
    .sgpr_count:     83
    .sgpr_spill_count: 0
    .symbol:         _ZN2at6native32elementwise_kernel_manual_unrollILi128ELi4EZNS0_15gpu_kernel_implINS0_13BinaryFunctorIN3c1015Float8_e5m2fnuzES5_bNS0_12_GLOBAL__N_116CompareEqFunctorIS5_EEEEEEvRNS_18TensorIteratorBaseERKT_EUlibE0_EEviT1_.kd
    .uniform_work_group_size: 1
    .uses_dynamic_stack: false
    .vgpr_count:     28
    .vgpr_spill_count: 0
    .wavefront_size: 64
  - .args:
      - .offset:         0
        .size:           4
        .value_kind:     by_value
      - .offset:         4
        .size:           8
        .value_kind:     by_value
      - .offset:         16
        .size:           16
        .value_kind:     by_value
    .group_segment_fixed_size: 0
    .kernarg_segment_align: 8
    .kernarg_segment_size: 32
    .language:       OpenCL C
    .language_version:
      - 2
      - 0
    .max_flat_workgroup_size: 256
    .name:           _ZN2at6native29vectorized_elementwise_kernelILi16ENS0_13AUnaryFunctorIN3c1015Float8_e5m2fnuzES4_bNS0_12_GLOBAL__N_116CompareEqFunctorIS4_EEEESt5arrayIPcLm2EEEEviT0_T1_
    .private_segment_fixed_size: 0
    .sgpr_count:     61
    .sgpr_spill_count: 0
    .symbol:         _ZN2at6native29vectorized_elementwise_kernelILi16ENS0_13AUnaryFunctorIN3c1015Float8_e5m2fnuzES4_bNS0_12_GLOBAL__N_116CompareEqFunctorIS4_EEEESt5arrayIPcLm2EEEEviT0_T1_.kd
    .uniform_work_group_size: 1
    .uses_dynamic_stack: false
    .vgpr_count:     32
    .vgpr_spill_count: 0
    .wavefront_size: 64
  - .args:
      - .offset:         0
        .size:           4
        .value_kind:     by_value
      - .offset:         4
        .size:           8
        .value_kind:     by_value
      - .offset:         16
        .size:           16
        .value_kind:     by_value
    .group_segment_fixed_size: 0
    .kernarg_segment_align: 8
    .kernarg_segment_size: 32
    .language:       OpenCL C
    .language_version:
      - 2
      - 0
    .max_flat_workgroup_size: 256
    .name:           _ZN2at6native29vectorized_elementwise_kernelILi8ENS0_13AUnaryFunctorIN3c1015Float8_e5m2fnuzES4_bNS0_12_GLOBAL__N_116CompareEqFunctorIS4_EEEESt5arrayIPcLm2EEEEviT0_T1_
    .private_segment_fixed_size: 0
    .sgpr_count:     61
    .sgpr_spill_count: 0
    .symbol:         _ZN2at6native29vectorized_elementwise_kernelILi8ENS0_13AUnaryFunctorIN3c1015Float8_e5m2fnuzES4_bNS0_12_GLOBAL__N_116CompareEqFunctorIS4_EEEESt5arrayIPcLm2EEEEviT0_T1_.kd
    .uniform_work_group_size: 1
    .uses_dynamic_stack: false
    .vgpr_count:     32
    .vgpr_spill_count: 0
    .wavefront_size: 64
  - .args:
      - .offset:         0
        .size:           4
        .value_kind:     by_value
      - .offset:         4
        .size:           8
        .value_kind:     by_value
      - .offset:         16
        .size:           16
        .value_kind:     by_value
    .group_segment_fixed_size: 0
    .kernarg_segment_align: 8
    .kernarg_segment_size: 32
    .language:       OpenCL C
    .language_version:
      - 2
      - 0
    .max_flat_workgroup_size: 256
    .name:           _ZN2at6native29vectorized_elementwise_kernelILi4ENS0_13AUnaryFunctorIN3c1015Float8_e5m2fnuzES4_bNS0_12_GLOBAL__N_116CompareEqFunctorIS4_EEEESt5arrayIPcLm2EEEEviT0_T1_
    .private_segment_fixed_size: 0
    .sgpr_count:     61
    .sgpr_spill_count: 0
    .symbol:         _ZN2at6native29vectorized_elementwise_kernelILi4ENS0_13AUnaryFunctorIN3c1015Float8_e5m2fnuzES4_bNS0_12_GLOBAL__N_116CompareEqFunctorIS4_EEEESt5arrayIPcLm2EEEEviT0_T1_.kd
    .uniform_work_group_size: 1
    .uses_dynamic_stack: false
    .vgpr_count:     32
    .vgpr_spill_count: 0
    .wavefront_size: 64
  - .args:
      - .offset:         0
        .size:           4
        .value_kind:     by_value
      - .offset:         4
        .size:           8
        .value_kind:     by_value
      - .offset:         16
        .size:           16
        .value_kind:     by_value
    .group_segment_fixed_size: 0
    .kernarg_segment_align: 8
    .kernarg_segment_size: 32
    .language:       OpenCL C
    .language_version:
      - 2
      - 0
    .max_flat_workgroup_size: 256
    .name:           _ZN2at6native29vectorized_elementwise_kernelILi2ENS0_13AUnaryFunctorIN3c1015Float8_e5m2fnuzES4_bNS0_12_GLOBAL__N_116CompareEqFunctorIS4_EEEESt5arrayIPcLm2EEEEviT0_T1_
    .private_segment_fixed_size: 0
    .sgpr_count:     61
    .sgpr_spill_count: 0
    .symbol:         _ZN2at6native29vectorized_elementwise_kernelILi2ENS0_13AUnaryFunctorIN3c1015Float8_e5m2fnuzES4_bNS0_12_GLOBAL__N_116CompareEqFunctorIS4_EEEESt5arrayIPcLm2EEEEviT0_T1_.kd
    .uniform_work_group_size: 1
    .uses_dynamic_stack: false
    .vgpr_count:     32
    .vgpr_spill_count: 0
    .wavefront_size: 64
  - .args:
      - .offset:         0
        .size:           4
        .value_kind:     by_value
      - .offset:         4
        .size:           8
        .value_kind:     by_value
      - .offset:         16
        .size:           16
        .value_kind:     by_value
      - .offset:         32
        .size:           1
        .value_kind:     by_value
      - .offset:         33
        .size:           1
        .value_kind:     by_value
      - .offset:         34
        .size:           1
        .value_kind:     by_value
      - .offset:         35
        .size:           1
        .value_kind:     by_value
    .group_segment_fixed_size: 0
    .kernarg_segment_align: 8
    .kernarg_segment_size: 36
    .language:       OpenCL C
    .language_version:
      - 2
      - 0
    .max_flat_workgroup_size: 256
    .name:           _ZN2at6native27unrolled_elementwise_kernelINS0_13AUnaryFunctorIN3c1015Float8_e5m2fnuzES4_bNS0_12_GLOBAL__N_116CompareEqFunctorIS4_EEEESt5arrayIPcLm2EELi4E23TrivialOffsetCalculatorILi1EjESD_NS0_6memory15LoadWithoutCastENSE_16StoreWithoutCastEEEviT_T0_T2_T3_T4_T5_
    .private_segment_fixed_size: 0
    .sgpr_count:     26
    .sgpr_spill_count: 0
    .symbol:         _ZN2at6native27unrolled_elementwise_kernelINS0_13AUnaryFunctorIN3c1015Float8_e5m2fnuzES4_bNS0_12_GLOBAL__N_116CompareEqFunctorIS4_EEEESt5arrayIPcLm2EELi4E23TrivialOffsetCalculatorILi1EjESD_NS0_6memory15LoadWithoutCastENSE_16StoreWithoutCastEEEviT_T0_T2_T3_T4_T5_.kd
    .uniform_work_group_size: 1
    .uses_dynamic_stack: false
    .vgpr_count:     11
    .vgpr_spill_count: 0
    .wavefront_size: 64
  - .args:
      - .offset:         0
        .size:           4
        .value_kind:     by_value
      - .offset:         8
        .size:           352
        .value_kind:     by_value
    .group_segment_fixed_size: 0
    .kernarg_segment_align: 8
    .kernarg_segment_size: 360
    .language:       OpenCL C
    .language_version:
      - 2
      - 0
    .max_flat_workgroup_size: 128
    .name:           _ZN2at6native32elementwise_kernel_manual_unrollILi128ELi8EZNS0_22gpu_kernel_impl_nocastINS0_13AUnaryFunctorIN3c1015Float8_e5m2fnuzES5_bNS0_12_GLOBAL__N_116CompareEqFunctorIS5_EEEEEEvRNS_18TensorIteratorBaseERKT_EUlibE_EEviT1_
    .private_segment_fixed_size: 0
    .sgpr_count:     68
    .sgpr_spill_count: 0
    .symbol:         _ZN2at6native32elementwise_kernel_manual_unrollILi128ELi8EZNS0_22gpu_kernel_impl_nocastINS0_13AUnaryFunctorIN3c1015Float8_e5m2fnuzES5_bNS0_12_GLOBAL__N_116CompareEqFunctorIS5_EEEEEEvRNS_18TensorIteratorBaseERKT_EUlibE_EEviT1_.kd
    .uniform_work_group_size: 1
    .uses_dynamic_stack: false
    .vgpr_count:     26
    .vgpr_spill_count: 0
    .wavefront_size: 64
  - .args:
      - .offset:         0
        .size:           4
        .value_kind:     by_value
      - .offset:         8
        .size:           40
        .value_kind:     by_value
    .group_segment_fixed_size: 0
    .kernarg_segment_align: 8
    .kernarg_segment_size: 48
    .language:       OpenCL C
    .language_version:
      - 2
      - 0
    .max_flat_workgroup_size: 128
    .name:           _ZN2at6native32elementwise_kernel_manual_unrollILi128ELi4EZNS0_15gpu_kernel_implINS0_13AUnaryFunctorIN3c1015Float8_e5m2fnuzES5_bNS0_12_GLOBAL__N_116CompareEqFunctorIS5_EEEEEEvRNS_18TensorIteratorBaseERKT_EUlibE_EEviT1_
    .private_segment_fixed_size: 0
    .sgpr_count:     66
    .sgpr_spill_count: 0
    .symbol:         _ZN2at6native32elementwise_kernel_manual_unrollILi128ELi4EZNS0_15gpu_kernel_implINS0_13AUnaryFunctorIN3c1015Float8_e5m2fnuzES5_bNS0_12_GLOBAL__N_116CompareEqFunctorIS5_EEEEEEvRNS_18TensorIteratorBaseERKT_EUlibE_EEviT1_.kd
    .uniform_work_group_size: 1
    .uses_dynamic_stack: false
    .vgpr_count:     14
    .vgpr_spill_count: 0
    .wavefront_size: 64
  - .args:
      - .offset:         0
        .size:           4
        .value_kind:     by_value
      - .offset:         8
        .size:           360
        .value_kind:     by_value
    .group_segment_fixed_size: 0
    .kernarg_segment_align: 8
    .kernarg_segment_size: 368
    .language:       OpenCL C
    .language_version:
      - 2
      - 0
    .max_flat_workgroup_size: 128
    .name:           _ZN2at6native32elementwise_kernel_manual_unrollILi128ELi4EZNS0_15gpu_kernel_implINS0_13AUnaryFunctorIN3c1015Float8_e5m2fnuzES5_bNS0_12_GLOBAL__N_116CompareEqFunctorIS5_EEEEEEvRNS_18TensorIteratorBaseERKT_EUlibE0_EEviT1_
    .private_segment_fixed_size: 0
    .sgpr_count:     88
    .sgpr_spill_count: 0
    .symbol:         _ZN2at6native32elementwise_kernel_manual_unrollILi128ELi4EZNS0_15gpu_kernel_implINS0_13AUnaryFunctorIN3c1015Float8_e5m2fnuzES5_bNS0_12_GLOBAL__N_116CompareEqFunctorIS5_EEEEEEvRNS_18TensorIteratorBaseERKT_EUlibE0_EEviT1_.kd
    .uniform_work_group_size: 1
    .uses_dynamic_stack: false
    .vgpr_count:     22
    .vgpr_spill_count: 0
    .wavefront_size: 64
  - .args:
      - .offset:         0
        .size:           4
        .value_kind:     by_value
      - .offset:         4
        .size:           4
        .value_kind:     by_value
      - .offset:         8
        .size:           24
        .value_kind:     by_value
    .group_segment_fixed_size: 0
    .kernarg_segment_align: 8
    .kernarg_segment_size: 32
    .language:       OpenCL C
    .language_version:
      - 2
      - 0
    .max_flat_workgroup_size: 256
    .name:           _ZN2at6native29vectorized_elementwise_kernelILi16ENS0_13BinaryFunctorIN3c1013Float8_e4m3fnES4_bNS0_12_GLOBAL__N_116CompareEqFunctorIS4_EEEESt5arrayIPcLm3EEEEviT0_T1_
    .private_segment_fixed_size: 0
    .sgpr_count:     61
    .sgpr_spill_count: 0
    .symbol:         _ZN2at6native29vectorized_elementwise_kernelILi16ENS0_13BinaryFunctorIN3c1013Float8_e4m3fnES4_bNS0_12_GLOBAL__N_116CompareEqFunctorIS4_EEEESt5arrayIPcLm3EEEEviT0_T1_.kd
    .uniform_work_group_size: 1
    .uses_dynamic_stack: false
    .vgpr_count:     55
    .vgpr_spill_count: 0
    .wavefront_size: 64
  - .args:
      - .offset:         0
        .size:           4
        .value_kind:     by_value
      - .offset:         4
        .size:           4
        .value_kind:     by_value
      - .offset:         8
        .size:           24
        .value_kind:     by_value
    .group_segment_fixed_size: 0
    .kernarg_segment_align: 8
    .kernarg_segment_size: 32
    .language:       OpenCL C
    .language_version:
      - 2
      - 0
    .max_flat_workgroup_size: 256
    .name:           _ZN2at6native29vectorized_elementwise_kernelILi8ENS0_13BinaryFunctorIN3c1013Float8_e4m3fnES4_bNS0_12_GLOBAL__N_116CompareEqFunctorIS4_EEEESt5arrayIPcLm3EEEEviT0_T1_
    .private_segment_fixed_size: 0
    .sgpr_count:     61
    .sgpr_spill_count: 0
    .symbol:         _ZN2at6native29vectorized_elementwise_kernelILi8ENS0_13BinaryFunctorIN3c1013Float8_e4m3fnES4_bNS0_12_GLOBAL__N_116CompareEqFunctorIS4_EEEESt5arrayIPcLm3EEEEviT0_T1_.kd
    .uniform_work_group_size: 1
    .uses_dynamic_stack: false
    .vgpr_count:     55
    .vgpr_spill_count: 0
    .wavefront_size: 64
  - .args:
      - .offset:         0
        .size:           4
        .value_kind:     by_value
      - .offset:         4
        .size:           4
        .value_kind:     by_value
      - .offset:         8
        .size:           24
        .value_kind:     by_value
    .group_segment_fixed_size: 0
    .kernarg_segment_align: 8
    .kernarg_segment_size: 32
    .language:       OpenCL C
    .language_version:
      - 2
      - 0
    .max_flat_workgroup_size: 256
    .name:           _ZN2at6native29vectorized_elementwise_kernelILi4ENS0_13BinaryFunctorIN3c1013Float8_e4m3fnES4_bNS0_12_GLOBAL__N_116CompareEqFunctorIS4_EEEESt5arrayIPcLm3EEEEviT0_T1_
    .private_segment_fixed_size: 0
    .sgpr_count:     61
    .sgpr_spill_count: 0
    .symbol:         _ZN2at6native29vectorized_elementwise_kernelILi4ENS0_13BinaryFunctorIN3c1013Float8_e4m3fnES4_bNS0_12_GLOBAL__N_116CompareEqFunctorIS4_EEEESt5arrayIPcLm3EEEEviT0_T1_.kd
    .uniform_work_group_size: 1
    .uses_dynamic_stack: false
    .vgpr_count:     55
    .vgpr_spill_count: 0
    .wavefront_size: 64
  - .args:
      - .offset:         0
        .size:           4
        .value_kind:     by_value
      - .offset:         4
        .size:           4
        .value_kind:     by_value
      - .offset:         8
        .size:           24
        .value_kind:     by_value
    .group_segment_fixed_size: 0
    .kernarg_segment_align: 8
    .kernarg_segment_size: 32
    .language:       OpenCL C
    .language_version:
      - 2
      - 0
    .max_flat_workgroup_size: 256
    .name:           _ZN2at6native29vectorized_elementwise_kernelILi2ENS0_13BinaryFunctorIN3c1013Float8_e4m3fnES4_bNS0_12_GLOBAL__N_116CompareEqFunctorIS4_EEEESt5arrayIPcLm3EEEEviT0_T1_
    .private_segment_fixed_size: 0
    .sgpr_count:     61
    .sgpr_spill_count: 0
    .symbol:         _ZN2at6native29vectorized_elementwise_kernelILi2ENS0_13BinaryFunctorIN3c1013Float8_e4m3fnES4_bNS0_12_GLOBAL__N_116CompareEqFunctorIS4_EEEESt5arrayIPcLm3EEEEviT0_T1_.kd
    .uniform_work_group_size: 1
    .uses_dynamic_stack: false
    .vgpr_count:     55
    .vgpr_spill_count: 0
    .wavefront_size: 64
  - .args:
      - .offset:         0
        .size:           4
        .value_kind:     by_value
      - .offset:         4
        .size:           4
        .value_kind:     by_value
      - .offset:         8
        .size:           24
        .value_kind:     by_value
      - .offset:         32
        .size:           1
        .value_kind:     by_value
      - .offset:         33
        .size:           1
        .value_kind:     by_value
      - .offset:         34
        .size:           1
        .value_kind:     by_value
      - .offset:         35
        .size:           1
        .value_kind:     by_value
    .group_segment_fixed_size: 0
    .kernarg_segment_align: 8
    .kernarg_segment_size: 36
    .language:       OpenCL C
    .language_version:
      - 2
      - 0
    .max_flat_workgroup_size: 256
    .name:           _ZN2at6native27unrolled_elementwise_kernelINS0_13BinaryFunctorIN3c1013Float8_e4m3fnES4_bNS0_12_GLOBAL__N_116CompareEqFunctorIS4_EEEESt5arrayIPcLm3EELi4E23TrivialOffsetCalculatorILi2EjESC_ILi1EjENS0_6memory15LoadWithoutCastENSF_16StoreWithoutCastEEEviT_T0_T2_T3_T4_T5_
    .private_segment_fixed_size: 0
    .sgpr_count:     24
    .sgpr_spill_count: 0
    .symbol:         _ZN2at6native27unrolled_elementwise_kernelINS0_13BinaryFunctorIN3c1013Float8_e4m3fnES4_bNS0_12_GLOBAL__N_116CompareEqFunctorIS4_EEEESt5arrayIPcLm3EELi4E23TrivialOffsetCalculatorILi2EjESC_ILi1EjENS0_6memory15LoadWithoutCastENSF_16StoreWithoutCastEEEviT_T0_T2_T3_T4_T5_.kd
    .uniform_work_group_size: 1
    .uses_dynamic_stack: false
    .vgpr_count:     14
    .vgpr_spill_count: 0
    .wavefront_size: 64
  - .args:
      - .offset:         0
        .size:           4
        .value_kind:     by_value
      - .offset:         8
        .size:           424
        .value_kind:     by_value
    .group_segment_fixed_size: 0
    .kernarg_segment_align: 8
    .kernarg_segment_size: 432
    .language:       OpenCL C
    .language_version:
      - 2
      - 0
    .max_flat_workgroup_size: 128
    .name:           _ZN2at6native32elementwise_kernel_manual_unrollILi128ELi8EZNS0_22gpu_kernel_impl_nocastINS0_13BinaryFunctorIN3c1013Float8_e4m3fnES5_bNS0_12_GLOBAL__N_116CompareEqFunctorIS5_EEEEEEvRNS_18TensorIteratorBaseERKT_EUlibE_EEviT1_
    .private_segment_fixed_size: 0
    .sgpr_count:     56
    .sgpr_spill_count: 0
    .symbol:         _ZN2at6native32elementwise_kernel_manual_unrollILi128ELi8EZNS0_22gpu_kernel_impl_nocastINS0_13BinaryFunctorIN3c1013Float8_e4m3fnES5_bNS0_12_GLOBAL__N_116CompareEqFunctorIS5_EEEEEEvRNS_18TensorIteratorBaseERKT_EUlibE_EEviT1_.kd
    .uniform_work_group_size: 1
    .uses_dynamic_stack: false
    .vgpr_count:     40
    .vgpr_spill_count: 0
    .wavefront_size: 64
  - .args:
      - .offset:         0
        .size:           4
        .value_kind:     by_value
      - .offset:         8
        .size:           48
        .value_kind:     by_value
    .group_segment_fixed_size: 0
    .kernarg_segment_align: 8
    .kernarg_segment_size: 56
    .language:       OpenCL C
    .language_version:
      - 2
      - 0
    .max_flat_workgroup_size: 128
    .name:           _ZN2at6native32elementwise_kernel_manual_unrollILi128ELi4EZNS0_15gpu_kernel_implINS0_13BinaryFunctorIN3c1013Float8_e4m3fnES5_bNS0_12_GLOBAL__N_116CompareEqFunctorIS5_EEEEEEvRNS_18TensorIteratorBaseERKT_EUlibE_EEviT1_
    .private_segment_fixed_size: 64
    .sgpr_count:     74
    .sgpr_spill_count: 0
    .symbol:         _ZN2at6native32elementwise_kernel_manual_unrollILi128ELi4EZNS0_15gpu_kernel_implINS0_13BinaryFunctorIN3c1013Float8_e4m3fnES5_bNS0_12_GLOBAL__N_116CompareEqFunctorIS5_EEEEEEvRNS_18TensorIteratorBaseERKT_EUlibE_EEviT1_.kd
    .uniform_work_group_size: 1
    .uses_dynamic_stack: false
    .vgpr_count:     26
    .vgpr_spill_count: 0
    .wavefront_size: 64
  - .args:
      - .offset:         0
        .size:           4
        .value_kind:     by_value
      - .offset:         8
        .size:           424
        .value_kind:     by_value
    .group_segment_fixed_size: 0
    .kernarg_segment_align: 8
    .kernarg_segment_size: 432
    .language:       OpenCL C
    .language_version:
      - 2
      - 0
    .max_flat_workgroup_size: 128
    .name:           _ZN2at6native32elementwise_kernel_manual_unrollILi128ELi4EZNS0_15gpu_kernel_implINS0_13BinaryFunctorIN3c1013Float8_e4m3fnES5_bNS0_12_GLOBAL__N_116CompareEqFunctorIS5_EEEEEEvRNS_18TensorIteratorBaseERKT_EUlibE0_EEviT1_
    .private_segment_fixed_size: 464
    .sgpr_count:     76
    .sgpr_spill_count: 0
    .symbol:         _ZN2at6native32elementwise_kernel_manual_unrollILi128ELi4EZNS0_15gpu_kernel_implINS0_13BinaryFunctorIN3c1013Float8_e4m3fnES5_bNS0_12_GLOBAL__N_116CompareEqFunctorIS5_EEEEEEvRNS_18TensorIteratorBaseERKT_EUlibE0_EEviT1_.kd
    .uniform_work_group_size: 1
    .uses_dynamic_stack: false
    .vgpr_count:     28
    .vgpr_spill_count: 0
    .wavefront_size: 64
  - .args:
      - .offset:         0
        .size:           4
        .value_kind:     by_value
      - .offset:         4
        .size:           8
        .value_kind:     by_value
      - .offset:         16
        .size:           16
        .value_kind:     by_value
    .group_segment_fixed_size: 0
    .kernarg_segment_align: 8
    .kernarg_segment_size: 32
    .language:       OpenCL C
    .language_version:
      - 2
      - 0
    .max_flat_workgroup_size: 256
    .name:           _ZN2at6native29vectorized_elementwise_kernelILi16ENS0_13AUnaryFunctorIN3c1013Float8_e4m3fnES4_bNS0_12_GLOBAL__N_116CompareEqFunctorIS4_EEEESt5arrayIPcLm2EEEEviT0_T1_
    .private_segment_fixed_size: 0
    .sgpr_count:     46
    .sgpr_spill_count: 0
    .symbol:         _ZN2at6native29vectorized_elementwise_kernelILi16ENS0_13AUnaryFunctorIN3c1013Float8_e4m3fnES4_bNS0_12_GLOBAL__N_116CompareEqFunctorIS4_EEEESt5arrayIPcLm2EEEEviT0_T1_.kd
    .uniform_work_group_size: 1
    .uses_dynamic_stack: false
    .vgpr_count:     26
    .vgpr_spill_count: 0
    .wavefront_size: 64
  - .args:
      - .offset:         0
        .size:           4
        .value_kind:     by_value
      - .offset:         4
        .size:           8
        .value_kind:     by_value
      - .offset:         16
        .size:           16
        .value_kind:     by_value
    .group_segment_fixed_size: 0
    .kernarg_segment_align: 8
    .kernarg_segment_size: 32
    .language:       OpenCL C
    .language_version:
      - 2
      - 0
    .max_flat_workgroup_size: 256
    .name:           _ZN2at6native29vectorized_elementwise_kernelILi8ENS0_13AUnaryFunctorIN3c1013Float8_e4m3fnES4_bNS0_12_GLOBAL__N_116CompareEqFunctorIS4_EEEESt5arrayIPcLm2EEEEviT0_T1_
    .private_segment_fixed_size: 0
    .sgpr_count:     46
    .sgpr_spill_count: 0
    .symbol:         _ZN2at6native29vectorized_elementwise_kernelILi8ENS0_13AUnaryFunctorIN3c1013Float8_e4m3fnES4_bNS0_12_GLOBAL__N_116CompareEqFunctorIS4_EEEESt5arrayIPcLm2EEEEviT0_T1_.kd
    .uniform_work_group_size: 1
    .uses_dynamic_stack: false
    .vgpr_count:     26
    .vgpr_spill_count: 0
    .wavefront_size: 64
  - .args:
      - .offset:         0
        .size:           4
        .value_kind:     by_value
      - .offset:         4
        .size:           8
        .value_kind:     by_value
      - .offset:         16
        .size:           16
        .value_kind:     by_value
    .group_segment_fixed_size: 0
    .kernarg_segment_align: 8
    .kernarg_segment_size: 32
    .language:       OpenCL C
    .language_version:
      - 2
      - 0
    .max_flat_workgroup_size: 256
    .name:           _ZN2at6native29vectorized_elementwise_kernelILi4ENS0_13AUnaryFunctorIN3c1013Float8_e4m3fnES4_bNS0_12_GLOBAL__N_116CompareEqFunctorIS4_EEEESt5arrayIPcLm2EEEEviT0_T1_
    .private_segment_fixed_size: 0
    .sgpr_count:     46
    .sgpr_spill_count: 0
    .symbol:         _ZN2at6native29vectorized_elementwise_kernelILi4ENS0_13AUnaryFunctorIN3c1013Float8_e4m3fnES4_bNS0_12_GLOBAL__N_116CompareEqFunctorIS4_EEEESt5arrayIPcLm2EEEEviT0_T1_.kd
    .uniform_work_group_size: 1
    .uses_dynamic_stack: false
    .vgpr_count:     26
    .vgpr_spill_count: 0
    .wavefront_size: 64
  - .args:
      - .offset:         0
        .size:           4
        .value_kind:     by_value
      - .offset:         4
        .size:           8
        .value_kind:     by_value
      - .offset:         16
        .size:           16
        .value_kind:     by_value
    .group_segment_fixed_size: 0
    .kernarg_segment_align: 8
    .kernarg_segment_size: 32
    .language:       OpenCL C
    .language_version:
      - 2
      - 0
    .max_flat_workgroup_size: 256
    .name:           _ZN2at6native29vectorized_elementwise_kernelILi2ENS0_13AUnaryFunctorIN3c1013Float8_e4m3fnES4_bNS0_12_GLOBAL__N_116CompareEqFunctorIS4_EEEESt5arrayIPcLm2EEEEviT0_T1_
    .private_segment_fixed_size: 0
    .sgpr_count:     46
    .sgpr_spill_count: 0
    .symbol:         _ZN2at6native29vectorized_elementwise_kernelILi2ENS0_13AUnaryFunctorIN3c1013Float8_e4m3fnES4_bNS0_12_GLOBAL__N_116CompareEqFunctorIS4_EEEESt5arrayIPcLm2EEEEviT0_T1_.kd
    .uniform_work_group_size: 1
    .uses_dynamic_stack: false
    .vgpr_count:     26
    .vgpr_spill_count: 0
    .wavefront_size: 64
  - .args:
      - .offset:         0
        .size:           4
        .value_kind:     by_value
      - .offset:         4
        .size:           8
        .value_kind:     by_value
      - .offset:         16
        .size:           16
        .value_kind:     by_value
      - .offset:         32
        .size:           1
        .value_kind:     by_value
      - .offset:         33
        .size:           1
        .value_kind:     by_value
      - .offset:         34
        .size:           1
        .value_kind:     by_value
      - .offset:         35
        .size:           1
        .value_kind:     by_value
    .group_segment_fixed_size: 0
    .kernarg_segment_align: 8
    .kernarg_segment_size: 36
    .language:       OpenCL C
    .language_version:
      - 2
      - 0
    .max_flat_workgroup_size: 256
    .name:           _ZN2at6native27unrolled_elementwise_kernelINS0_13AUnaryFunctorIN3c1013Float8_e4m3fnES4_bNS0_12_GLOBAL__N_116CompareEqFunctorIS4_EEEESt5arrayIPcLm2EELi4E23TrivialOffsetCalculatorILi1EjESD_NS0_6memory15LoadWithoutCastENSE_16StoreWithoutCastEEEviT_T0_T2_T3_T4_T5_
    .private_segment_fixed_size: 0
    .sgpr_count:     22
    .sgpr_spill_count: 0
    .symbol:         _ZN2at6native27unrolled_elementwise_kernelINS0_13AUnaryFunctorIN3c1013Float8_e4m3fnES4_bNS0_12_GLOBAL__N_116CompareEqFunctorIS4_EEEESt5arrayIPcLm2EELi4E23TrivialOffsetCalculatorILi1EjESD_NS0_6memory15LoadWithoutCastENSE_16StoreWithoutCastEEEviT_T0_T2_T3_T4_T5_.kd
    .uniform_work_group_size: 1
    .uses_dynamic_stack: false
    .vgpr_count:     11
    .vgpr_spill_count: 0
    .wavefront_size: 64
  - .args:
      - .offset:         0
        .size:           4
        .value_kind:     by_value
      - .offset:         8
        .size:           352
        .value_kind:     by_value
    .group_segment_fixed_size: 0
    .kernarg_segment_align: 8
    .kernarg_segment_size: 360
    .language:       OpenCL C
    .language_version:
      - 2
      - 0
    .max_flat_workgroup_size: 128
    .name:           _ZN2at6native32elementwise_kernel_manual_unrollILi128ELi8EZNS0_22gpu_kernel_impl_nocastINS0_13AUnaryFunctorIN3c1013Float8_e4m3fnES5_bNS0_12_GLOBAL__N_116CompareEqFunctorIS5_EEEEEEvRNS_18TensorIteratorBaseERKT_EUlibE_EEviT1_
    .private_segment_fixed_size: 0
    .sgpr_count:     67
    .sgpr_spill_count: 0
    .symbol:         _ZN2at6native32elementwise_kernel_manual_unrollILi128ELi8EZNS0_22gpu_kernel_impl_nocastINS0_13AUnaryFunctorIN3c1013Float8_e4m3fnES5_bNS0_12_GLOBAL__N_116CompareEqFunctorIS5_EEEEEEvRNS_18TensorIteratorBaseERKT_EUlibE_EEviT1_.kd
    .uniform_work_group_size: 1
    .uses_dynamic_stack: false
    .vgpr_count:     26
    .vgpr_spill_count: 0
    .wavefront_size: 64
  - .args:
      - .offset:         0
        .size:           4
        .value_kind:     by_value
      - .offset:         8
        .size:           40
        .value_kind:     by_value
    .group_segment_fixed_size: 0
    .kernarg_segment_align: 8
    .kernarg_segment_size: 48
    .language:       OpenCL C
    .language_version:
      - 2
      - 0
    .max_flat_workgroup_size: 128
    .name:           _ZN2at6native32elementwise_kernel_manual_unrollILi128ELi4EZNS0_15gpu_kernel_implINS0_13AUnaryFunctorIN3c1013Float8_e4m3fnES5_bNS0_12_GLOBAL__N_116CompareEqFunctorIS5_EEEEEEvRNS_18TensorIteratorBaseERKT_EUlibE_EEviT1_
    .private_segment_fixed_size: 0
    .sgpr_count:     64
    .sgpr_spill_count: 0
    .symbol:         _ZN2at6native32elementwise_kernel_manual_unrollILi128ELi4EZNS0_15gpu_kernel_implINS0_13AUnaryFunctorIN3c1013Float8_e4m3fnES5_bNS0_12_GLOBAL__N_116CompareEqFunctorIS5_EEEEEEvRNS_18TensorIteratorBaseERKT_EUlibE_EEviT1_.kd
    .uniform_work_group_size: 1
    .uses_dynamic_stack: false
    .vgpr_count:     14
    .vgpr_spill_count: 0
    .wavefront_size: 64
  - .args:
      - .offset:         0
        .size:           4
        .value_kind:     by_value
      - .offset:         8
        .size:           360
        .value_kind:     by_value
    .group_segment_fixed_size: 0
    .kernarg_segment_align: 8
    .kernarg_segment_size: 368
    .language:       OpenCL C
    .language_version:
      - 2
      - 0
    .max_flat_workgroup_size: 128
    .name:           _ZN2at6native32elementwise_kernel_manual_unrollILi128ELi4EZNS0_15gpu_kernel_implINS0_13AUnaryFunctorIN3c1013Float8_e4m3fnES5_bNS0_12_GLOBAL__N_116CompareEqFunctorIS5_EEEEEEvRNS_18TensorIteratorBaseERKT_EUlibE0_EEviT1_
    .private_segment_fixed_size: 0
    .sgpr_count:     86
    .sgpr_spill_count: 0
    .symbol:         _ZN2at6native32elementwise_kernel_manual_unrollILi128ELi4EZNS0_15gpu_kernel_implINS0_13AUnaryFunctorIN3c1013Float8_e4m3fnES5_bNS0_12_GLOBAL__N_116CompareEqFunctorIS5_EEEEEEvRNS_18TensorIteratorBaseERKT_EUlibE0_EEviT1_.kd
    .uniform_work_group_size: 1
    .uses_dynamic_stack: false
    .vgpr_count:     22
    .vgpr_spill_count: 0
    .wavefront_size: 64
  - .args:
      - .offset:         0
        .size:           4
        .value_kind:     by_value
      - .offset:         4
        .size:           4
        .value_kind:     by_value
      - .offset:         8
        .size:           24
        .value_kind:     by_value
    .group_segment_fixed_size: 0
    .kernarg_segment_align: 8
    .kernarg_segment_size: 32
    .language:       OpenCL C
    .language_version:
      - 2
      - 0
    .max_flat_workgroup_size: 256
    .name:           _ZN2at6native29vectorized_elementwise_kernelILi16ENS0_13BinaryFunctorIN3c1015Float8_e4m3fnuzES4_bNS0_12_GLOBAL__N_116CompareEqFunctorIS4_EEEESt5arrayIPcLm3EEEEviT0_T1_
    .private_segment_fixed_size: 0
    .sgpr_count:     61
    .sgpr_spill_count: 0
    .symbol:         _ZN2at6native29vectorized_elementwise_kernelILi16ENS0_13BinaryFunctorIN3c1015Float8_e4m3fnuzES4_bNS0_12_GLOBAL__N_116CompareEqFunctorIS4_EEEESt5arrayIPcLm3EEEEviT0_T1_.kd
    .uniform_work_group_size: 1
    .uses_dynamic_stack: false
    .vgpr_count:     55
    .vgpr_spill_count: 0
    .wavefront_size: 64
  - .args:
      - .offset:         0
        .size:           4
        .value_kind:     by_value
      - .offset:         4
        .size:           4
        .value_kind:     by_value
      - .offset:         8
        .size:           24
        .value_kind:     by_value
    .group_segment_fixed_size: 0
    .kernarg_segment_align: 8
    .kernarg_segment_size: 32
    .language:       OpenCL C
    .language_version:
      - 2
      - 0
    .max_flat_workgroup_size: 256
    .name:           _ZN2at6native29vectorized_elementwise_kernelILi8ENS0_13BinaryFunctorIN3c1015Float8_e4m3fnuzES4_bNS0_12_GLOBAL__N_116CompareEqFunctorIS4_EEEESt5arrayIPcLm3EEEEviT0_T1_
    .private_segment_fixed_size: 0
    .sgpr_count:     61
    .sgpr_spill_count: 0
    .symbol:         _ZN2at6native29vectorized_elementwise_kernelILi8ENS0_13BinaryFunctorIN3c1015Float8_e4m3fnuzES4_bNS0_12_GLOBAL__N_116CompareEqFunctorIS4_EEEESt5arrayIPcLm3EEEEviT0_T1_.kd
    .uniform_work_group_size: 1
    .uses_dynamic_stack: false
    .vgpr_count:     55
    .vgpr_spill_count: 0
    .wavefront_size: 64
  - .args:
      - .offset:         0
        .size:           4
        .value_kind:     by_value
      - .offset:         4
        .size:           4
        .value_kind:     by_value
      - .offset:         8
        .size:           24
        .value_kind:     by_value
    .group_segment_fixed_size: 0
    .kernarg_segment_align: 8
    .kernarg_segment_size: 32
    .language:       OpenCL C
    .language_version:
      - 2
      - 0
    .max_flat_workgroup_size: 256
    .name:           _ZN2at6native29vectorized_elementwise_kernelILi4ENS0_13BinaryFunctorIN3c1015Float8_e4m3fnuzES4_bNS0_12_GLOBAL__N_116CompareEqFunctorIS4_EEEESt5arrayIPcLm3EEEEviT0_T1_
    .private_segment_fixed_size: 0
    .sgpr_count:     61
    .sgpr_spill_count: 0
    .symbol:         _ZN2at6native29vectorized_elementwise_kernelILi4ENS0_13BinaryFunctorIN3c1015Float8_e4m3fnuzES4_bNS0_12_GLOBAL__N_116CompareEqFunctorIS4_EEEESt5arrayIPcLm3EEEEviT0_T1_.kd
    .uniform_work_group_size: 1
    .uses_dynamic_stack: false
    .vgpr_count:     55
    .vgpr_spill_count: 0
    .wavefront_size: 64
  - .args:
      - .offset:         0
        .size:           4
        .value_kind:     by_value
      - .offset:         4
        .size:           4
        .value_kind:     by_value
      - .offset:         8
        .size:           24
        .value_kind:     by_value
    .group_segment_fixed_size: 0
    .kernarg_segment_align: 8
    .kernarg_segment_size: 32
    .language:       OpenCL C
    .language_version:
      - 2
      - 0
    .max_flat_workgroup_size: 256
    .name:           _ZN2at6native29vectorized_elementwise_kernelILi2ENS0_13BinaryFunctorIN3c1015Float8_e4m3fnuzES4_bNS0_12_GLOBAL__N_116CompareEqFunctorIS4_EEEESt5arrayIPcLm3EEEEviT0_T1_
    .private_segment_fixed_size: 0
    .sgpr_count:     61
    .sgpr_spill_count: 0
    .symbol:         _ZN2at6native29vectorized_elementwise_kernelILi2ENS0_13BinaryFunctorIN3c1015Float8_e4m3fnuzES4_bNS0_12_GLOBAL__N_116CompareEqFunctorIS4_EEEESt5arrayIPcLm3EEEEviT0_T1_.kd
    .uniform_work_group_size: 1
    .uses_dynamic_stack: false
    .vgpr_count:     55
    .vgpr_spill_count: 0
    .wavefront_size: 64
  - .args:
      - .offset:         0
        .size:           4
        .value_kind:     by_value
      - .offset:         4
        .size:           4
        .value_kind:     by_value
      - .offset:         8
        .size:           24
        .value_kind:     by_value
      - .offset:         32
        .size:           1
        .value_kind:     by_value
      - .offset:         33
        .size:           1
        .value_kind:     by_value
      - .offset:         34
        .size:           1
        .value_kind:     by_value
      - .offset:         35
        .size:           1
        .value_kind:     by_value
    .group_segment_fixed_size: 0
    .kernarg_segment_align: 8
    .kernarg_segment_size: 36
    .language:       OpenCL C
    .language_version:
      - 2
      - 0
    .max_flat_workgroup_size: 256
    .name:           _ZN2at6native27unrolled_elementwise_kernelINS0_13BinaryFunctorIN3c1015Float8_e4m3fnuzES4_bNS0_12_GLOBAL__N_116CompareEqFunctorIS4_EEEESt5arrayIPcLm3EELi4E23TrivialOffsetCalculatorILi2EjESC_ILi1EjENS0_6memory15LoadWithoutCastENSF_16StoreWithoutCastEEEviT_T0_T2_T3_T4_T5_
    .private_segment_fixed_size: 0
    .sgpr_count:     24
    .sgpr_spill_count: 0
    .symbol:         _ZN2at6native27unrolled_elementwise_kernelINS0_13BinaryFunctorIN3c1015Float8_e4m3fnuzES4_bNS0_12_GLOBAL__N_116CompareEqFunctorIS4_EEEESt5arrayIPcLm3EELi4E23TrivialOffsetCalculatorILi2EjESC_ILi1EjENS0_6memory15LoadWithoutCastENSF_16StoreWithoutCastEEEviT_T0_T2_T3_T4_T5_.kd
    .uniform_work_group_size: 1
    .uses_dynamic_stack: false
    .vgpr_count:     15
    .vgpr_spill_count: 0
    .wavefront_size: 64
  - .args:
      - .offset:         0
        .size:           4
        .value_kind:     by_value
      - .offset:         8
        .size:           424
        .value_kind:     by_value
    .group_segment_fixed_size: 0
    .kernarg_segment_align: 8
    .kernarg_segment_size: 432
    .language:       OpenCL C
    .language_version:
      - 2
      - 0
    .max_flat_workgroup_size: 128
    .name:           _ZN2at6native32elementwise_kernel_manual_unrollILi128ELi8EZNS0_22gpu_kernel_impl_nocastINS0_13BinaryFunctorIN3c1015Float8_e4m3fnuzES5_bNS0_12_GLOBAL__N_116CompareEqFunctorIS5_EEEEEEvRNS_18TensorIteratorBaseERKT_EUlibE_EEviT1_
    .private_segment_fixed_size: 0
    .sgpr_count:     58
    .sgpr_spill_count: 0
    .symbol:         _ZN2at6native32elementwise_kernel_manual_unrollILi128ELi8EZNS0_22gpu_kernel_impl_nocastINS0_13BinaryFunctorIN3c1015Float8_e4m3fnuzES5_bNS0_12_GLOBAL__N_116CompareEqFunctorIS5_EEEEEEvRNS_18TensorIteratorBaseERKT_EUlibE_EEviT1_.kd
    .uniform_work_group_size: 1
    .uses_dynamic_stack: false
    .vgpr_count:     42
    .vgpr_spill_count: 0
    .wavefront_size: 64
  - .args:
      - .offset:         0
        .size:           4
        .value_kind:     by_value
      - .offset:         8
        .size:           48
        .value_kind:     by_value
    .group_segment_fixed_size: 0
    .kernarg_segment_align: 8
    .kernarg_segment_size: 56
    .language:       OpenCL C
    .language_version:
      - 2
      - 0
    .max_flat_workgroup_size: 128
    .name:           _ZN2at6native32elementwise_kernel_manual_unrollILi128ELi4EZNS0_15gpu_kernel_implINS0_13BinaryFunctorIN3c1015Float8_e4m3fnuzES5_bNS0_12_GLOBAL__N_116CompareEqFunctorIS5_EEEEEEvRNS_18TensorIteratorBaseERKT_EUlibE_EEviT1_
    .private_segment_fixed_size: 64
    .sgpr_count:     74
    .sgpr_spill_count: 0
    .symbol:         _ZN2at6native32elementwise_kernel_manual_unrollILi128ELi4EZNS0_15gpu_kernel_implINS0_13BinaryFunctorIN3c1015Float8_e4m3fnuzES5_bNS0_12_GLOBAL__N_116CompareEqFunctorIS5_EEEEEEvRNS_18TensorIteratorBaseERKT_EUlibE_EEviT1_.kd
    .uniform_work_group_size: 1
    .uses_dynamic_stack: false
    .vgpr_count:     24
    .vgpr_spill_count: 0
    .wavefront_size: 64
  - .args:
      - .offset:         0
        .size:           4
        .value_kind:     by_value
      - .offset:         8
        .size:           424
        .value_kind:     by_value
    .group_segment_fixed_size: 0
    .kernarg_segment_align: 8
    .kernarg_segment_size: 432
    .language:       OpenCL C
    .language_version:
      - 2
      - 0
    .max_flat_workgroup_size: 128
    .name:           _ZN2at6native32elementwise_kernel_manual_unrollILi128ELi4EZNS0_15gpu_kernel_implINS0_13BinaryFunctorIN3c1015Float8_e4m3fnuzES5_bNS0_12_GLOBAL__N_116CompareEqFunctorIS5_EEEEEEvRNS_18TensorIteratorBaseERKT_EUlibE0_EEviT1_
    .private_segment_fixed_size: 448
    .sgpr_count:     83
    .sgpr_spill_count: 0
    .symbol:         _ZN2at6native32elementwise_kernel_manual_unrollILi128ELi4EZNS0_15gpu_kernel_implINS0_13BinaryFunctorIN3c1015Float8_e4m3fnuzES5_bNS0_12_GLOBAL__N_116CompareEqFunctorIS5_EEEEEEvRNS_18TensorIteratorBaseERKT_EUlibE0_EEviT1_.kd
    .uniform_work_group_size: 1
    .uses_dynamic_stack: false
    .vgpr_count:     28
    .vgpr_spill_count: 0
    .wavefront_size: 64
  - .args:
      - .offset:         0
        .size:           4
        .value_kind:     by_value
      - .offset:         4
        .size:           8
        .value_kind:     by_value
      - .offset:         16
        .size:           16
        .value_kind:     by_value
    .group_segment_fixed_size: 0
    .kernarg_segment_align: 8
    .kernarg_segment_size: 32
    .language:       OpenCL C
    .language_version:
      - 2
      - 0
    .max_flat_workgroup_size: 256
    .name:           _ZN2at6native29vectorized_elementwise_kernelILi16ENS0_13AUnaryFunctorIN3c1015Float8_e4m3fnuzES4_bNS0_12_GLOBAL__N_116CompareEqFunctorIS4_EEEESt5arrayIPcLm2EEEEviT0_T1_
    .private_segment_fixed_size: 0
    .sgpr_count:     61
    .sgpr_spill_count: 0
    .symbol:         _ZN2at6native29vectorized_elementwise_kernelILi16ENS0_13AUnaryFunctorIN3c1015Float8_e4m3fnuzES4_bNS0_12_GLOBAL__N_116CompareEqFunctorIS4_EEEESt5arrayIPcLm2EEEEviT0_T1_.kd
    .uniform_work_group_size: 1
    .uses_dynamic_stack: false
    .vgpr_count:     32
    .vgpr_spill_count: 0
    .wavefront_size: 64
  - .args:
      - .offset:         0
        .size:           4
        .value_kind:     by_value
      - .offset:         4
        .size:           8
        .value_kind:     by_value
      - .offset:         16
        .size:           16
        .value_kind:     by_value
    .group_segment_fixed_size: 0
    .kernarg_segment_align: 8
    .kernarg_segment_size: 32
    .language:       OpenCL C
    .language_version:
      - 2
      - 0
    .max_flat_workgroup_size: 256
    .name:           _ZN2at6native29vectorized_elementwise_kernelILi8ENS0_13AUnaryFunctorIN3c1015Float8_e4m3fnuzES4_bNS0_12_GLOBAL__N_116CompareEqFunctorIS4_EEEESt5arrayIPcLm2EEEEviT0_T1_
    .private_segment_fixed_size: 0
    .sgpr_count:     61
    .sgpr_spill_count: 0
    .symbol:         _ZN2at6native29vectorized_elementwise_kernelILi8ENS0_13AUnaryFunctorIN3c1015Float8_e4m3fnuzES4_bNS0_12_GLOBAL__N_116CompareEqFunctorIS4_EEEESt5arrayIPcLm2EEEEviT0_T1_.kd
    .uniform_work_group_size: 1
    .uses_dynamic_stack: false
    .vgpr_count:     32
    .vgpr_spill_count: 0
    .wavefront_size: 64
  - .args:
      - .offset:         0
        .size:           4
        .value_kind:     by_value
      - .offset:         4
        .size:           8
        .value_kind:     by_value
      - .offset:         16
        .size:           16
        .value_kind:     by_value
    .group_segment_fixed_size: 0
    .kernarg_segment_align: 8
    .kernarg_segment_size: 32
    .language:       OpenCL C
    .language_version:
      - 2
      - 0
    .max_flat_workgroup_size: 256
    .name:           _ZN2at6native29vectorized_elementwise_kernelILi4ENS0_13AUnaryFunctorIN3c1015Float8_e4m3fnuzES4_bNS0_12_GLOBAL__N_116CompareEqFunctorIS4_EEEESt5arrayIPcLm2EEEEviT0_T1_
    .private_segment_fixed_size: 0
    .sgpr_count:     61
    .sgpr_spill_count: 0
    .symbol:         _ZN2at6native29vectorized_elementwise_kernelILi4ENS0_13AUnaryFunctorIN3c1015Float8_e4m3fnuzES4_bNS0_12_GLOBAL__N_116CompareEqFunctorIS4_EEEESt5arrayIPcLm2EEEEviT0_T1_.kd
    .uniform_work_group_size: 1
    .uses_dynamic_stack: false
    .vgpr_count:     32
    .vgpr_spill_count: 0
    .wavefront_size: 64
  - .args:
      - .offset:         0
        .size:           4
        .value_kind:     by_value
      - .offset:         4
        .size:           8
        .value_kind:     by_value
      - .offset:         16
        .size:           16
        .value_kind:     by_value
    .group_segment_fixed_size: 0
    .kernarg_segment_align: 8
    .kernarg_segment_size: 32
    .language:       OpenCL C
    .language_version:
      - 2
      - 0
    .max_flat_workgroup_size: 256
    .name:           _ZN2at6native29vectorized_elementwise_kernelILi2ENS0_13AUnaryFunctorIN3c1015Float8_e4m3fnuzES4_bNS0_12_GLOBAL__N_116CompareEqFunctorIS4_EEEESt5arrayIPcLm2EEEEviT0_T1_
    .private_segment_fixed_size: 0
    .sgpr_count:     61
    .sgpr_spill_count: 0
    .symbol:         _ZN2at6native29vectorized_elementwise_kernelILi2ENS0_13AUnaryFunctorIN3c1015Float8_e4m3fnuzES4_bNS0_12_GLOBAL__N_116CompareEqFunctorIS4_EEEESt5arrayIPcLm2EEEEviT0_T1_.kd
    .uniform_work_group_size: 1
    .uses_dynamic_stack: false
    .vgpr_count:     32
    .vgpr_spill_count: 0
    .wavefront_size: 64
  - .args:
      - .offset:         0
        .size:           4
        .value_kind:     by_value
      - .offset:         4
        .size:           8
        .value_kind:     by_value
      - .offset:         16
        .size:           16
        .value_kind:     by_value
      - .offset:         32
        .size:           1
        .value_kind:     by_value
      - .offset:         33
        .size:           1
        .value_kind:     by_value
      - .offset:         34
        .size:           1
        .value_kind:     by_value
      - .offset:         35
        .size:           1
        .value_kind:     by_value
    .group_segment_fixed_size: 0
    .kernarg_segment_align: 8
    .kernarg_segment_size: 36
    .language:       OpenCL C
    .language_version:
      - 2
      - 0
    .max_flat_workgroup_size: 256
    .name:           _ZN2at6native27unrolled_elementwise_kernelINS0_13AUnaryFunctorIN3c1015Float8_e4m3fnuzES4_bNS0_12_GLOBAL__N_116CompareEqFunctorIS4_EEEESt5arrayIPcLm2EELi4E23TrivialOffsetCalculatorILi1EjESD_NS0_6memory15LoadWithoutCastENSE_16StoreWithoutCastEEEviT_T0_T2_T3_T4_T5_
    .private_segment_fixed_size: 0
    .sgpr_count:     26
    .sgpr_spill_count: 0
    .symbol:         _ZN2at6native27unrolled_elementwise_kernelINS0_13AUnaryFunctorIN3c1015Float8_e4m3fnuzES4_bNS0_12_GLOBAL__N_116CompareEqFunctorIS4_EEEESt5arrayIPcLm2EELi4E23TrivialOffsetCalculatorILi1EjESD_NS0_6memory15LoadWithoutCastENSE_16StoreWithoutCastEEEviT_T0_T2_T3_T4_T5_.kd
    .uniform_work_group_size: 1
    .uses_dynamic_stack: false
    .vgpr_count:     11
    .vgpr_spill_count: 0
    .wavefront_size: 64
  - .args:
      - .offset:         0
        .size:           4
        .value_kind:     by_value
      - .offset:         8
        .size:           352
        .value_kind:     by_value
    .group_segment_fixed_size: 0
    .kernarg_segment_align: 8
    .kernarg_segment_size: 360
    .language:       OpenCL C
    .language_version:
      - 2
      - 0
    .max_flat_workgroup_size: 128
    .name:           _ZN2at6native32elementwise_kernel_manual_unrollILi128ELi8EZNS0_22gpu_kernel_impl_nocastINS0_13AUnaryFunctorIN3c1015Float8_e4m3fnuzES5_bNS0_12_GLOBAL__N_116CompareEqFunctorIS5_EEEEEEvRNS_18TensorIteratorBaseERKT_EUlibE_EEviT1_
    .private_segment_fixed_size: 0
    .sgpr_count:     68
    .sgpr_spill_count: 0
    .symbol:         _ZN2at6native32elementwise_kernel_manual_unrollILi128ELi8EZNS0_22gpu_kernel_impl_nocastINS0_13AUnaryFunctorIN3c1015Float8_e4m3fnuzES5_bNS0_12_GLOBAL__N_116CompareEqFunctorIS5_EEEEEEvRNS_18TensorIteratorBaseERKT_EUlibE_EEviT1_.kd
    .uniform_work_group_size: 1
    .uses_dynamic_stack: false
    .vgpr_count:     26
    .vgpr_spill_count: 0
    .wavefront_size: 64
  - .args:
      - .offset:         0
        .size:           4
        .value_kind:     by_value
      - .offset:         8
        .size:           40
        .value_kind:     by_value
    .group_segment_fixed_size: 0
    .kernarg_segment_align: 8
    .kernarg_segment_size: 48
    .language:       OpenCL C
    .language_version:
      - 2
      - 0
    .max_flat_workgroup_size: 128
    .name:           _ZN2at6native32elementwise_kernel_manual_unrollILi128ELi4EZNS0_15gpu_kernel_implINS0_13AUnaryFunctorIN3c1015Float8_e4m3fnuzES5_bNS0_12_GLOBAL__N_116CompareEqFunctorIS5_EEEEEEvRNS_18TensorIteratorBaseERKT_EUlibE_EEviT1_
    .private_segment_fixed_size: 0
    .sgpr_count:     66
    .sgpr_spill_count: 0
    .symbol:         _ZN2at6native32elementwise_kernel_manual_unrollILi128ELi4EZNS0_15gpu_kernel_implINS0_13AUnaryFunctorIN3c1015Float8_e4m3fnuzES5_bNS0_12_GLOBAL__N_116CompareEqFunctorIS5_EEEEEEvRNS_18TensorIteratorBaseERKT_EUlibE_EEviT1_.kd
    .uniform_work_group_size: 1
    .uses_dynamic_stack: false
    .vgpr_count:     14
    .vgpr_spill_count: 0
    .wavefront_size: 64
  - .args:
      - .offset:         0
        .size:           4
        .value_kind:     by_value
      - .offset:         8
        .size:           360
        .value_kind:     by_value
    .group_segment_fixed_size: 0
    .kernarg_segment_align: 8
    .kernarg_segment_size: 368
    .language:       OpenCL C
    .language_version:
      - 2
      - 0
    .max_flat_workgroup_size: 128
    .name:           _ZN2at6native32elementwise_kernel_manual_unrollILi128ELi4EZNS0_15gpu_kernel_implINS0_13AUnaryFunctorIN3c1015Float8_e4m3fnuzES5_bNS0_12_GLOBAL__N_116CompareEqFunctorIS5_EEEEEEvRNS_18TensorIteratorBaseERKT_EUlibE0_EEviT1_
    .private_segment_fixed_size: 0
    .sgpr_count:     88
    .sgpr_spill_count: 0
    .symbol:         _ZN2at6native32elementwise_kernel_manual_unrollILi128ELi4EZNS0_15gpu_kernel_implINS0_13AUnaryFunctorIN3c1015Float8_e4m3fnuzES5_bNS0_12_GLOBAL__N_116CompareEqFunctorIS5_EEEEEEvRNS_18TensorIteratorBaseERKT_EUlibE0_EEviT1_.kd
    .uniform_work_group_size: 1
    .uses_dynamic_stack: false
    .vgpr_count:     22
    .vgpr_spill_count: 0
    .wavefront_size: 64
  - .args:
      - .offset:         0
        .size:           4
        .value_kind:     by_value
      - .offset:         4
        .size:           4
        .value_kind:     by_value
      - .offset:         8
        .size:           24
        .value_kind:     by_value
    .group_segment_fixed_size: 0
    .kernarg_segment_align: 8
    .kernarg_segment_size: 32
    .language:       OpenCL C
    .language_version:
      - 2
      - 0
    .max_flat_workgroup_size: 256
    .name:           _ZN2at6native29vectorized_elementwise_kernelILi16ENS0_13BinaryFunctorIN3c1014Float8_e8m0fnuES4_bNS0_12_GLOBAL__N_116CompareEqFunctorIS4_EEEESt5arrayIPcLm3EEEEviT0_T1_
    .private_segment_fixed_size: 0
    .sgpr_count:     45
    .sgpr_spill_count: 0
    .symbol:         _ZN2at6native29vectorized_elementwise_kernelILi16ENS0_13BinaryFunctorIN3c1014Float8_e8m0fnuES4_bNS0_12_GLOBAL__N_116CompareEqFunctorIS4_EEEESt5arrayIPcLm3EEEEviT0_T1_.kd
    .uniform_work_group_size: 1
    .uses_dynamic_stack: false
    .vgpr_count:     42
    .vgpr_spill_count: 0
    .wavefront_size: 64
  - .args:
      - .offset:         0
        .size:           4
        .value_kind:     by_value
      - .offset:         4
        .size:           4
        .value_kind:     by_value
      - .offset:         8
        .size:           24
        .value_kind:     by_value
    .group_segment_fixed_size: 0
    .kernarg_segment_align: 8
    .kernarg_segment_size: 32
    .language:       OpenCL C
    .language_version:
      - 2
      - 0
    .max_flat_workgroup_size: 256
    .name:           _ZN2at6native29vectorized_elementwise_kernelILi8ENS0_13BinaryFunctorIN3c1014Float8_e8m0fnuES4_bNS0_12_GLOBAL__N_116CompareEqFunctorIS4_EEEESt5arrayIPcLm3EEEEviT0_T1_
    .private_segment_fixed_size: 0
    .sgpr_count:     45
    .sgpr_spill_count: 0
    .symbol:         _ZN2at6native29vectorized_elementwise_kernelILi8ENS0_13BinaryFunctorIN3c1014Float8_e8m0fnuES4_bNS0_12_GLOBAL__N_116CompareEqFunctorIS4_EEEESt5arrayIPcLm3EEEEviT0_T1_.kd
    .uniform_work_group_size: 1
    .uses_dynamic_stack: false
    .vgpr_count:     42
    .vgpr_spill_count: 0
    .wavefront_size: 64
  - .args:
      - .offset:         0
        .size:           4
        .value_kind:     by_value
      - .offset:         4
        .size:           4
        .value_kind:     by_value
      - .offset:         8
        .size:           24
        .value_kind:     by_value
    .group_segment_fixed_size: 0
    .kernarg_segment_align: 8
    .kernarg_segment_size: 32
    .language:       OpenCL C
    .language_version:
      - 2
      - 0
    .max_flat_workgroup_size: 256
    .name:           _ZN2at6native29vectorized_elementwise_kernelILi4ENS0_13BinaryFunctorIN3c1014Float8_e8m0fnuES4_bNS0_12_GLOBAL__N_116CompareEqFunctorIS4_EEEESt5arrayIPcLm3EEEEviT0_T1_
    .private_segment_fixed_size: 0
    .sgpr_count:     45
    .sgpr_spill_count: 0
    .symbol:         _ZN2at6native29vectorized_elementwise_kernelILi4ENS0_13BinaryFunctorIN3c1014Float8_e8m0fnuES4_bNS0_12_GLOBAL__N_116CompareEqFunctorIS4_EEEESt5arrayIPcLm3EEEEviT0_T1_.kd
    .uniform_work_group_size: 1
    .uses_dynamic_stack: false
    .vgpr_count:     42
    .vgpr_spill_count: 0
    .wavefront_size: 64
  - .args:
      - .offset:         0
        .size:           4
        .value_kind:     by_value
      - .offset:         4
        .size:           4
        .value_kind:     by_value
      - .offset:         8
        .size:           24
        .value_kind:     by_value
    .group_segment_fixed_size: 0
    .kernarg_segment_align: 8
    .kernarg_segment_size: 32
    .language:       OpenCL C
    .language_version:
      - 2
      - 0
    .max_flat_workgroup_size: 256
    .name:           _ZN2at6native29vectorized_elementwise_kernelILi2ENS0_13BinaryFunctorIN3c1014Float8_e8m0fnuES4_bNS0_12_GLOBAL__N_116CompareEqFunctorIS4_EEEESt5arrayIPcLm3EEEEviT0_T1_
    .private_segment_fixed_size: 0
    .sgpr_count:     45
    .sgpr_spill_count: 0
    .symbol:         _ZN2at6native29vectorized_elementwise_kernelILi2ENS0_13BinaryFunctorIN3c1014Float8_e8m0fnuES4_bNS0_12_GLOBAL__N_116CompareEqFunctorIS4_EEEESt5arrayIPcLm3EEEEviT0_T1_.kd
    .uniform_work_group_size: 1
    .uses_dynamic_stack: false
    .vgpr_count:     42
    .vgpr_spill_count: 0
    .wavefront_size: 64
  - .args:
      - .offset:         0
        .size:           4
        .value_kind:     by_value
      - .offset:         4
        .size:           4
        .value_kind:     by_value
      - .offset:         8
        .size:           24
        .value_kind:     by_value
      - .offset:         32
        .size:           1
        .value_kind:     by_value
      - .offset:         33
        .size:           1
        .value_kind:     by_value
      - .offset:         34
        .size:           1
        .value_kind:     by_value
      - .offset:         35
        .size:           1
        .value_kind:     by_value
    .group_segment_fixed_size: 0
    .kernarg_segment_align: 8
    .kernarg_segment_size: 36
    .language:       OpenCL C
    .language_version:
      - 2
      - 0
    .max_flat_workgroup_size: 256
    .name:           _ZN2at6native27unrolled_elementwise_kernelINS0_13BinaryFunctorIN3c1014Float8_e8m0fnuES4_bNS0_12_GLOBAL__N_116CompareEqFunctorIS4_EEEESt5arrayIPcLm3EELi4E23TrivialOffsetCalculatorILi2EjESC_ILi1EjENS0_6memory15LoadWithoutCastENSF_16StoreWithoutCastEEEviT_T0_T2_T3_T4_T5_
    .private_segment_fixed_size: 0
    .sgpr_count:     24
    .sgpr_spill_count: 0
    .symbol:         _ZN2at6native27unrolled_elementwise_kernelINS0_13BinaryFunctorIN3c1014Float8_e8m0fnuES4_bNS0_12_GLOBAL__N_116CompareEqFunctorIS4_EEEESt5arrayIPcLm3EELi4E23TrivialOffsetCalculatorILi2EjESC_ILi1EjENS0_6memory15LoadWithoutCastENSF_16StoreWithoutCastEEEviT_T0_T2_T3_T4_T5_.kd
    .uniform_work_group_size: 1
    .uses_dynamic_stack: false
    .vgpr_count:     15
    .vgpr_spill_count: 0
    .wavefront_size: 64
  - .args:
      - .offset:         0
        .size:           4
        .value_kind:     by_value
      - .offset:         8
        .size:           424
        .value_kind:     by_value
    .group_segment_fixed_size: 0
    .kernarg_segment_align: 8
    .kernarg_segment_size: 432
    .language:       OpenCL C
    .language_version:
      - 2
      - 0
    .max_flat_workgroup_size: 128
    .name:           _ZN2at6native32elementwise_kernel_manual_unrollILi128ELi8EZNS0_22gpu_kernel_impl_nocastINS0_13BinaryFunctorIN3c1014Float8_e8m0fnuES5_bNS0_12_GLOBAL__N_116CompareEqFunctorIS5_EEEEEEvRNS_18TensorIteratorBaseERKT_EUlibE_EEviT1_
    .private_segment_fixed_size: 0
    .sgpr_count:     56
    .sgpr_spill_count: 0
    .symbol:         _ZN2at6native32elementwise_kernel_manual_unrollILi128ELi8EZNS0_22gpu_kernel_impl_nocastINS0_13BinaryFunctorIN3c1014Float8_e8m0fnuES5_bNS0_12_GLOBAL__N_116CompareEqFunctorIS5_EEEEEEvRNS_18TensorIteratorBaseERKT_EUlibE_EEviT1_.kd
    .uniform_work_group_size: 1
    .uses_dynamic_stack: false
    .vgpr_count:     41
    .vgpr_spill_count: 0
    .wavefront_size: 64
  - .args:
      - .offset:         0
        .size:           4
        .value_kind:     by_value
      - .offset:         8
        .size:           48
        .value_kind:     by_value
    .group_segment_fixed_size: 0
    .kernarg_segment_align: 8
    .kernarg_segment_size: 56
    .language:       OpenCL C
    .language_version:
      - 2
      - 0
    .max_flat_workgroup_size: 128
    .name:           _ZN2at6native32elementwise_kernel_manual_unrollILi128ELi4EZNS0_15gpu_kernel_implINS0_13BinaryFunctorIN3c1014Float8_e8m0fnuES5_bNS0_12_GLOBAL__N_116CompareEqFunctorIS5_EEEEEEvRNS_18TensorIteratorBaseERKT_EUlibE_EEviT1_
    .private_segment_fixed_size: 0
    .sgpr_count:     62
    .sgpr_spill_count: 0
    .symbol:         _ZN2at6native32elementwise_kernel_manual_unrollILi128ELi4EZNS0_15gpu_kernel_implINS0_13BinaryFunctorIN3c1014Float8_e8m0fnuES5_bNS0_12_GLOBAL__N_116CompareEqFunctorIS5_EEEEEEvRNS_18TensorIteratorBaseERKT_EUlibE_EEviT1_.kd
    .uniform_work_group_size: 1
    .uses_dynamic_stack: false
    .vgpr_count:     15
    .vgpr_spill_count: 0
    .wavefront_size: 64
  - .args:
      - .offset:         0
        .size:           4
        .value_kind:     by_value
      - .offset:         8
        .size:           424
        .value_kind:     by_value
    .group_segment_fixed_size: 0
    .kernarg_segment_align: 8
    .kernarg_segment_size: 432
    .language:       OpenCL C
    .language_version:
      - 2
      - 0
    .max_flat_workgroup_size: 128
    .name:           _ZN2at6native32elementwise_kernel_manual_unrollILi128ELi4EZNS0_15gpu_kernel_implINS0_13BinaryFunctorIN3c1014Float8_e8m0fnuES5_bNS0_12_GLOBAL__N_116CompareEqFunctorIS5_EEEEEEvRNS_18TensorIteratorBaseERKT_EUlibE0_EEviT1_
    .private_segment_fixed_size: 0
    .sgpr_count:     84
    .sgpr_spill_count: 0
    .symbol:         _ZN2at6native32elementwise_kernel_manual_unrollILi128ELi4EZNS0_15gpu_kernel_implINS0_13BinaryFunctorIN3c1014Float8_e8m0fnuES5_bNS0_12_GLOBAL__N_116CompareEqFunctorIS5_EEEEEEvRNS_18TensorIteratorBaseERKT_EUlibE0_EEviT1_.kd
    .uniform_work_group_size: 1
    .uses_dynamic_stack: false
    .vgpr_count:     24
    .vgpr_spill_count: 0
    .wavefront_size: 64
  - .args:
      - .offset:         0
        .size:           4
        .value_kind:     by_value
      - .offset:         4
        .size:           8
        .value_kind:     by_value
      - .offset:         16
        .size:           16
        .value_kind:     by_value
    .group_segment_fixed_size: 0
    .kernarg_segment_align: 8
    .kernarg_segment_size: 32
    .language:       OpenCL C
    .language_version:
      - 2
      - 0
    .max_flat_workgroup_size: 256
    .name:           _ZN2at6native29vectorized_elementwise_kernelILi16ENS0_13AUnaryFunctorIN3c1014Float8_e8m0fnuES4_bNS0_12_GLOBAL__N_116CompareEqFunctorIS4_EEEESt5arrayIPcLm2EEEEviT0_T1_
    .private_segment_fixed_size: 0
    .sgpr_count:     46
    .sgpr_spill_count: 0
    .symbol:         _ZN2at6native29vectorized_elementwise_kernelILi16ENS0_13AUnaryFunctorIN3c1014Float8_e8m0fnuES4_bNS0_12_GLOBAL__N_116CompareEqFunctorIS4_EEEESt5arrayIPcLm2EEEEviT0_T1_.kd
    .uniform_work_group_size: 1
    .uses_dynamic_stack: false
    .vgpr_count:     26
    .vgpr_spill_count: 0
    .wavefront_size: 64
  - .args:
      - .offset:         0
        .size:           4
        .value_kind:     by_value
      - .offset:         4
        .size:           8
        .value_kind:     by_value
      - .offset:         16
        .size:           16
        .value_kind:     by_value
    .group_segment_fixed_size: 0
    .kernarg_segment_align: 8
    .kernarg_segment_size: 32
    .language:       OpenCL C
    .language_version:
      - 2
      - 0
    .max_flat_workgroup_size: 256
    .name:           _ZN2at6native29vectorized_elementwise_kernelILi8ENS0_13AUnaryFunctorIN3c1014Float8_e8m0fnuES4_bNS0_12_GLOBAL__N_116CompareEqFunctorIS4_EEEESt5arrayIPcLm2EEEEviT0_T1_
    .private_segment_fixed_size: 0
    .sgpr_count:     46
    .sgpr_spill_count: 0
    .symbol:         _ZN2at6native29vectorized_elementwise_kernelILi8ENS0_13AUnaryFunctorIN3c1014Float8_e8m0fnuES4_bNS0_12_GLOBAL__N_116CompareEqFunctorIS4_EEEESt5arrayIPcLm2EEEEviT0_T1_.kd
    .uniform_work_group_size: 1
    .uses_dynamic_stack: false
    .vgpr_count:     26
    .vgpr_spill_count: 0
    .wavefront_size: 64
  - .args:
      - .offset:         0
        .size:           4
        .value_kind:     by_value
      - .offset:         4
        .size:           8
        .value_kind:     by_value
      - .offset:         16
        .size:           16
        .value_kind:     by_value
    .group_segment_fixed_size: 0
    .kernarg_segment_align: 8
    .kernarg_segment_size: 32
    .language:       OpenCL C
    .language_version:
      - 2
      - 0
    .max_flat_workgroup_size: 256
    .name:           _ZN2at6native29vectorized_elementwise_kernelILi4ENS0_13AUnaryFunctorIN3c1014Float8_e8m0fnuES4_bNS0_12_GLOBAL__N_116CompareEqFunctorIS4_EEEESt5arrayIPcLm2EEEEviT0_T1_
    .private_segment_fixed_size: 0
    .sgpr_count:     46
    .sgpr_spill_count: 0
    .symbol:         _ZN2at6native29vectorized_elementwise_kernelILi4ENS0_13AUnaryFunctorIN3c1014Float8_e8m0fnuES4_bNS0_12_GLOBAL__N_116CompareEqFunctorIS4_EEEESt5arrayIPcLm2EEEEviT0_T1_.kd
    .uniform_work_group_size: 1
    .uses_dynamic_stack: false
    .vgpr_count:     26
    .vgpr_spill_count: 0
    .wavefront_size: 64
  - .args:
      - .offset:         0
        .size:           4
        .value_kind:     by_value
      - .offset:         4
        .size:           8
        .value_kind:     by_value
      - .offset:         16
        .size:           16
        .value_kind:     by_value
    .group_segment_fixed_size: 0
    .kernarg_segment_align: 8
    .kernarg_segment_size: 32
    .language:       OpenCL C
    .language_version:
      - 2
      - 0
    .max_flat_workgroup_size: 256
    .name:           _ZN2at6native29vectorized_elementwise_kernelILi2ENS0_13AUnaryFunctorIN3c1014Float8_e8m0fnuES4_bNS0_12_GLOBAL__N_116CompareEqFunctorIS4_EEEESt5arrayIPcLm2EEEEviT0_T1_
    .private_segment_fixed_size: 0
    .sgpr_count:     46
    .sgpr_spill_count: 0
    .symbol:         _ZN2at6native29vectorized_elementwise_kernelILi2ENS0_13AUnaryFunctorIN3c1014Float8_e8m0fnuES4_bNS0_12_GLOBAL__N_116CompareEqFunctorIS4_EEEESt5arrayIPcLm2EEEEviT0_T1_.kd
    .uniform_work_group_size: 1
    .uses_dynamic_stack: false
    .vgpr_count:     26
    .vgpr_spill_count: 0
    .wavefront_size: 64
  - .args:
      - .offset:         0
        .size:           4
        .value_kind:     by_value
      - .offset:         4
        .size:           8
        .value_kind:     by_value
      - .offset:         16
        .size:           16
        .value_kind:     by_value
      - .offset:         32
        .size:           1
        .value_kind:     by_value
      - .offset:         33
        .size:           1
        .value_kind:     by_value
      - .offset:         34
        .size:           1
        .value_kind:     by_value
      - .offset:         35
        .size:           1
        .value_kind:     by_value
    .group_segment_fixed_size: 0
    .kernarg_segment_align: 8
    .kernarg_segment_size: 36
    .language:       OpenCL C
    .language_version:
      - 2
      - 0
    .max_flat_workgroup_size: 256
    .name:           _ZN2at6native27unrolled_elementwise_kernelINS0_13AUnaryFunctorIN3c1014Float8_e8m0fnuES4_bNS0_12_GLOBAL__N_116CompareEqFunctorIS4_EEEESt5arrayIPcLm2EELi4E23TrivialOffsetCalculatorILi1EjESD_NS0_6memory15LoadWithoutCastENSE_16StoreWithoutCastEEEviT_T0_T2_T3_T4_T5_
    .private_segment_fixed_size: 0
    .sgpr_count:     22
    .sgpr_spill_count: 0
    .symbol:         _ZN2at6native27unrolled_elementwise_kernelINS0_13AUnaryFunctorIN3c1014Float8_e8m0fnuES4_bNS0_12_GLOBAL__N_116CompareEqFunctorIS4_EEEESt5arrayIPcLm2EELi4E23TrivialOffsetCalculatorILi1EjESD_NS0_6memory15LoadWithoutCastENSE_16StoreWithoutCastEEEviT_T0_T2_T3_T4_T5_.kd
    .uniform_work_group_size: 1
    .uses_dynamic_stack: false
    .vgpr_count:     11
    .vgpr_spill_count: 0
    .wavefront_size: 64
  - .args:
      - .offset:         0
        .size:           4
        .value_kind:     by_value
      - .offset:         8
        .size:           352
        .value_kind:     by_value
    .group_segment_fixed_size: 0
    .kernarg_segment_align: 8
    .kernarg_segment_size: 360
    .language:       OpenCL C
    .language_version:
      - 2
      - 0
    .max_flat_workgroup_size: 128
    .name:           _ZN2at6native32elementwise_kernel_manual_unrollILi128ELi8EZNS0_22gpu_kernel_impl_nocastINS0_13AUnaryFunctorIN3c1014Float8_e8m0fnuES5_bNS0_12_GLOBAL__N_116CompareEqFunctorIS5_EEEEEEvRNS_18TensorIteratorBaseERKT_EUlibE_EEviT1_
    .private_segment_fixed_size: 0
    .sgpr_count:     66
    .sgpr_spill_count: 0
    .symbol:         _ZN2at6native32elementwise_kernel_manual_unrollILi128ELi8EZNS0_22gpu_kernel_impl_nocastINS0_13AUnaryFunctorIN3c1014Float8_e8m0fnuES5_bNS0_12_GLOBAL__N_116CompareEqFunctorIS5_EEEEEEvRNS_18TensorIteratorBaseERKT_EUlibE_EEviT1_.kd
    .uniform_work_group_size: 1
    .uses_dynamic_stack: false
    .vgpr_count:     26
    .vgpr_spill_count: 0
    .wavefront_size: 64
  - .args:
      - .offset:         0
        .size:           4
        .value_kind:     by_value
      - .offset:         8
        .size:           40
        .value_kind:     by_value
    .group_segment_fixed_size: 0
    .kernarg_segment_align: 8
    .kernarg_segment_size: 48
    .language:       OpenCL C
    .language_version:
      - 2
      - 0
    .max_flat_workgroup_size: 128
    .name:           _ZN2at6native32elementwise_kernel_manual_unrollILi128ELi4EZNS0_15gpu_kernel_implINS0_13AUnaryFunctorIN3c1014Float8_e8m0fnuES5_bNS0_12_GLOBAL__N_116CompareEqFunctorIS5_EEEEEEvRNS_18TensorIteratorBaseERKT_EUlibE_EEviT1_
    .private_segment_fixed_size: 0
    .sgpr_count:     52
    .sgpr_spill_count: 0
    .symbol:         _ZN2at6native32elementwise_kernel_manual_unrollILi128ELi4EZNS0_15gpu_kernel_implINS0_13AUnaryFunctorIN3c1014Float8_e8m0fnuES5_bNS0_12_GLOBAL__N_116CompareEqFunctorIS5_EEEEEEvRNS_18TensorIteratorBaseERKT_EUlibE_EEviT1_.kd
    .uniform_work_group_size: 1
    .uses_dynamic_stack: false
    .vgpr_count:     12
    .vgpr_spill_count: 0
    .wavefront_size: 64
  - .args:
      - .offset:         0
        .size:           4
        .value_kind:     by_value
      - .offset:         8
        .size:           360
        .value_kind:     by_value
    .group_segment_fixed_size: 0
    .kernarg_segment_align: 8
    .kernarg_segment_size: 368
    .language:       OpenCL C
    .language_version:
      - 2
      - 0
    .max_flat_workgroup_size: 128
    .name:           _ZN2at6native32elementwise_kernel_manual_unrollILi128ELi4EZNS0_15gpu_kernel_implINS0_13AUnaryFunctorIN3c1014Float8_e8m0fnuES5_bNS0_12_GLOBAL__N_116CompareEqFunctorIS5_EEEEEEvRNS_18TensorIteratorBaseERKT_EUlibE0_EEviT1_
    .private_segment_fixed_size: 0
    .sgpr_count:     84
    .sgpr_spill_count: 0
    .symbol:         _ZN2at6native32elementwise_kernel_manual_unrollILi128ELi4EZNS0_15gpu_kernel_implINS0_13AUnaryFunctorIN3c1014Float8_e8m0fnuES5_bNS0_12_GLOBAL__N_116CompareEqFunctorIS5_EEEEEEvRNS_18TensorIteratorBaseERKT_EUlibE0_EEviT1_.kd
    .uniform_work_group_size: 1
    .uses_dynamic_stack: false
    .vgpr_count:     18
    .vgpr_spill_count: 0
    .wavefront_size: 64
  - .args:
      - .offset:         0
        .size:           4
        .value_kind:     by_value
      - .offset:         4
        .size:           4
        .value_kind:     by_value
      - .offset:         8
        .size:           24
        .value_kind:     by_value
    .group_segment_fixed_size: 0
    .kernarg_segment_align: 8
    .kernarg_segment_size: 32
    .language:       OpenCL C
    .language_version:
      - 2
      - 0
    .max_flat_workgroup_size: 256
    .name:           _ZN2at6native29vectorized_elementwise_kernelILi16ENS0_13BinaryFunctorIttbNS0_12_GLOBAL__N_116CompareEqFunctorItEEEESt5arrayIPcLm3EEEEviT0_T1_
    .private_segment_fixed_size: 0
    .sgpr_count:     52
    .sgpr_spill_count: 0
    .symbol:         _ZN2at6native29vectorized_elementwise_kernelILi16ENS0_13BinaryFunctorIttbNS0_12_GLOBAL__N_116CompareEqFunctorItEEEESt5arrayIPcLm3EEEEviT0_T1_.kd
    .uniform_work_group_size: 1
    .uses_dynamic_stack: false
    .vgpr_count:     18
    .vgpr_spill_count: 0
    .wavefront_size: 64
  - .args:
      - .offset:         0
        .size:           4
        .value_kind:     by_value
      - .offset:         4
        .size:           4
        .value_kind:     by_value
      - .offset:         8
        .size:           24
        .value_kind:     by_value
    .group_segment_fixed_size: 0
    .kernarg_segment_align: 8
    .kernarg_segment_size: 32
    .language:       OpenCL C
    .language_version:
      - 2
      - 0
    .max_flat_workgroup_size: 256
    .name:           _ZN2at6native29vectorized_elementwise_kernelILi8ENS0_13BinaryFunctorIttbNS0_12_GLOBAL__N_116CompareEqFunctorItEEEESt5arrayIPcLm3EEEEviT0_T1_
    .private_segment_fixed_size: 0
    .sgpr_count:     52
    .sgpr_spill_count: 0
    .symbol:         _ZN2at6native29vectorized_elementwise_kernelILi8ENS0_13BinaryFunctorIttbNS0_12_GLOBAL__N_116CompareEqFunctorItEEEESt5arrayIPcLm3EEEEviT0_T1_.kd
    .uniform_work_group_size: 1
    .uses_dynamic_stack: false
    .vgpr_count:     20
    .vgpr_spill_count: 0
    .wavefront_size: 64
  - .args:
      - .offset:         0
        .size:           4
        .value_kind:     by_value
      - .offset:         4
        .size:           4
        .value_kind:     by_value
      - .offset:         8
        .size:           24
        .value_kind:     by_value
    .group_segment_fixed_size: 0
    .kernarg_segment_align: 8
    .kernarg_segment_size: 32
    .language:       OpenCL C
    .language_version:
      - 2
      - 0
    .max_flat_workgroup_size: 256
    .name:           _ZN2at6native29vectorized_elementwise_kernelILi4ENS0_13BinaryFunctorIttbNS0_12_GLOBAL__N_116CompareEqFunctorItEEEESt5arrayIPcLm3EEEEviT0_T1_
    .private_segment_fixed_size: 0
    .sgpr_count:     52
    .sgpr_spill_count: 0
    .symbol:         _ZN2at6native29vectorized_elementwise_kernelILi4ENS0_13BinaryFunctorIttbNS0_12_GLOBAL__N_116CompareEqFunctorItEEEESt5arrayIPcLm3EEEEviT0_T1_.kd
    .uniform_work_group_size: 1
    .uses_dynamic_stack: false
    .vgpr_count:     21
    .vgpr_spill_count: 0
    .wavefront_size: 64
  - .args:
      - .offset:         0
        .size:           4
        .value_kind:     by_value
      - .offset:         4
        .size:           4
        .value_kind:     by_value
      - .offset:         8
        .size:           24
        .value_kind:     by_value
    .group_segment_fixed_size: 0
    .kernarg_segment_align: 8
    .kernarg_segment_size: 32
    .language:       OpenCL C
    .language_version:
      - 2
      - 0
    .max_flat_workgroup_size: 256
    .name:           _ZN2at6native29vectorized_elementwise_kernelILi2ENS0_13BinaryFunctorIttbNS0_12_GLOBAL__N_116CompareEqFunctorItEEEESt5arrayIPcLm3EEEEviT0_T1_
    .private_segment_fixed_size: 0
    .sgpr_count:     52
    .sgpr_spill_count: 0
    .symbol:         _ZN2at6native29vectorized_elementwise_kernelILi2ENS0_13BinaryFunctorIttbNS0_12_GLOBAL__N_116CompareEqFunctorItEEEESt5arrayIPcLm3EEEEviT0_T1_.kd
    .uniform_work_group_size: 1
    .uses_dynamic_stack: false
    .vgpr_count:     21
    .vgpr_spill_count: 0
    .wavefront_size: 64
  - .args:
      - .offset:         0
        .size:           4
        .value_kind:     by_value
      - .offset:         4
        .size:           4
        .value_kind:     by_value
      - .offset:         8
        .size:           24
        .value_kind:     by_value
      - .offset:         32
        .size:           1
        .value_kind:     by_value
      - .offset:         33
        .size:           1
        .value_kind:     by_value
      - .offset:         34
        .size:           1
        .value_kind:     by_value
      - .offset:         35
        .size:           1
        .value_kind:     by_value
    .group_segment_fixed_size: 0
    .kernarg_segment_align: 8
    .kernarg_segment_size: 36
    .language:       OpenCL C
    .language_version:
      - 2
      - 0
    .max_flat_workgroup_size: 256
    .name:           _ZN2at6native27unrolled_elementwise_kernelINS0_13BinaryFunctorIttbNS0_12_GLOBAL__N_116CompareEqFunctorItEEEESt5arrayIPcLm3EELi4E23TrivialOffsetCalculatorILi2EjESA_ILi1EjENS0_6memory15LoadWithoutCastENSD_16StoreWithoutCastEEEviT_T0_T2_T3_T4_T5_
    .private_segment_fixed_size: 0
    .sgpr_count:     25
    .sgpr_spill_count: 0
    .symbol:         _ZN2at6native27unrolled_elementwise_kernelINS0_13BinaryFunctorIttbNS0_12_GLOBAL__N_116CompareEqFunctorItEEEESt5arrayIPcLm3EELi4E23TrivialOffsetCalculatorILi2EjESA_ILi1EjENS0_6memory15LoadWithoutCastENSD_16StoreWithoutCastEEEviT_T0_T2_T3_T4_T5_.kd
    .uniform_work_group_size: 1
    .uses_dynamic_stack: false
    .vgpr_count:     9
    .vgpr_spill_count: 0
    .wavefront_size: 64
  - .args:
      - .offset:         0
        .size:           4
        .value_kind:     by_value
      - .offset:         8
        .size:           424
        .value_kind:     by_value
    .group_segment_fixed_size: 0
    .kernarg_segment_align: 8
    .kernarg_segment_size: 432
    .language:       OpenCL C
    .language_version:
      - 2
      - 0
    .max_flat_workgroup_size: 128
    .name:           _ZN2at6native32elementwise_kernel_manual_unrollILi128ELi8EZNS0_22gpu_kernel_impl_nocastINS0_13BinaryFunctorIttbNS0_12_GLOBAL__N_116CompareEqFunctorItEEEEEEvRNS_18TensorIteratorBaseERKT_EUlibE_EEviT1_
    .private_segment_fixed_size: 0
    .sgpr_count:     56
    .sgpr_spill_count: 0
    .symbol:         _ZN2at6native32elementwise_kernel_manual_unrollILi128ELi8EZNS0_22gpu_kernel_impl_nocastINS0_13BinaryFunctorIttbNS0_12_GLOBAL__N_116CompareEqFunctorItEEEEEEvRNS_18TensorIteratorBaseERKT_EUlibE_EEviT1_.kd
    .uniform_work_group_size: 1
    .uses_dynamic_stack: false
    .vgpr_count:     42
    .vgpr_spill_count: 0
    .wavefront_size: 64
  - .args:
      - .offset:         0
        .size:           4
        .value_kind:     by_value
      - .offset:         8
        .size:           48
        .value_kind:     by_value
    .group_segment_fixed_size: 0
    .kernarg_segment_align: 8
    .kernarg_segment_size: 56
    .language:       OpenCL C
    .language_version:
      - 2
      - 0
    .max_flat_workgroup_size: 128
    .name:           _ZN2at6native32elementwise_kernel_manual_unrollILi128ELi4EZNS0_15gpu_kernel_implINS0_13BinaryFunctorIttbNS0_12_GLOBAL__N_116CompareEqFunctorItEEEEEEvRNS_18TensorIteratorBaseERKT_EUlibE_EEviT1_
    .private_segment_fixed_size: 0
    .sgpr_count:     63
    .sgpr_spill_count: 0
    .symbol:         _ZN2at6native32elementwise_kernel_manual_unrollILi128ELi4EZNS0_15gpu_kernel_implINS0_13BinaryFunctorIttbNS0_12_GLOBAL__N_116CompareEqFunctorItEEEEEEvRNS_18TensorIteratorBaseERKT_EUlibE_EEviT1_.kd
    .uniform_work_group_size: 1
    .uses_dynamic_stack: false
    .vgpr_count:     16
    .vgpr_spill_count: 0
    .wavefront_size: 64
  - .args:
      - .offset:         0
        .size:           4
        .value_kind:     by_value
      - .offset:         8
        .size:           424
        .value_kind:     by_value
    .group_segment_fixed_size: 0
    .kernarg_segment_align: 8
    .kernarg_segment_size: 432
    .language:       OpenCL C
    .language_version:
      - 2
      - 0
    .max_flat_workgroup_size: 128
    .name:           _ZN2at6native32elementwise_kernel_manual_unrollILi128ELi4EZNS0_15gpu_kernel_implINS0_13BinaryFunctorIttbNS0_12_GLOBAL__N_116CompareEqFunctorItEEEEEEvRNS_18TensorIteratorBaseERKT_EUlibE0_EEviT1_
    .private_segment_fixed_size: 0
    .sgpr_count:     84
    .sgpr_spill_count: 0
    .symbol:         _ZN2at6native32elementwise_kernel_manual_unrollILi128ELi4EZNS0_15gpu_kernel_implINS0_13BinaryFunctorIttbNS0_12_GLOBAL__N_116CompareEqFunctorItEEEEEEvRNS_18TensorIteratorBaseERKT_EUlibE0_EEviT1_.kd
    .uniform_work_group_size: 1
    .uses_dynamic_stack: false
    .vgpr_count:     23
    .vgpr_spill_count: 0
    .wavefront_size: 64
  - .args:
      - .offset:         0
        .size:           4
        .value_kind:     by_value
      - .offset:         4
        .size:           8
        .value_kind:     by_value
      - .offset:         16
        .size:           16
        .value_kind:     by_value
    .group_segment_fixed_size: 0
    .kernarg_segment_align: 8
    .kernarg_segment_size: 32
    .language:       OpenCL C
    .language_version:
      - 2
      - 0
    .max_flat_workgroup_size: 256
    .name:           _ZN2at6native29vectorized_elementwise_kernelILi16ENS0_13AUnaryFunctorIttbNS0_12_GLOBAL__N_116CompareEqFunctorItEEEESt5arrayIPcLm2EEEEviT0_T1_
    .private_segment_fixed_size: 0
    .sgpr_count:     50
    .sgpr_spill_count: 0
    .symbol:         _ZN2at6native29vectorized_elementwise_kernelILi16ENS0_13AUnaryFunctorIttbNS0_12_GLOBAL__N_116CompareEqFunctorItEEEESt5arrayIPcLm2EEEEviT0_T1_.kd
    .uniform_work_group_size: 1
    .uses_dynamic_stack: false
    .vgpr_count:     21
    .vgpr_spill_count: 0
    .wavefront_size: 64
  - .args:
      - .offset:         0
        .size:           4
        .value_kind:     by_value
      - .offset:         4
        .size:           8
        .value_kind:     by_value
      - .offset:         16
        .size:           16
        .value_kind:     by_value
    .group_segment_fixed_size: 0
    .kernarg_segment_align: 8
    .kernarg_segment_size: 32
    .language:       OpenCL C
    .language_version:
      - 2
      - 0
    .max_flat_workgroup_size: 256
    .name:           _ZN2at6native29vectorized_elementwise_kernelILi8ENS0_13AUnaryFunctorIttbNS0_12_GLOBAL__N_116CompareEqFunctorItEEEESt5arrayIPcLm2EEEEviT0_T1_
    .private_segment_fixed_size: 0
    .sgpr_count:     32
    .sgpr_spill_count: 0
    .symbol:         _ZN2at6native29vectorized_elementwise_kernelILi8ENS0_13AUnaryFunctorIttbNS0_12_GLOBAL__N_116CompareEqFunctorItEEEESt5arrayIPcLm2EEEEviT0_T1_.kd
    .uniform_work_group_size: 1
    .uses_dynamic_stack: false
    .vgpr_count:     21
    .vgpr_spill_count: 0
    .wavefront_size: 64
  - .args:
      - .offset:         0
        .size:           4
        .value_kind:     by_value
      - .offset:         4
        .size:           8
        .value_kind:     by_value
      - .offset:         16
        .size:           16
        .value_kind:     by_value
    .group_segment_fixed_size: 0
    .kernarg_segment_align: 8
    .kernarg_segment_size: 32
    .language:       OpenCL C
    .language_version:
      - 2
      - 0
    .max_flat_workgroup_size: 256
    .name:           _ZN2at6native29vectorized_elementwise_kernelILi4ENS0_13AUnaryFunctorIttbNS0_12_GLOBAL__N_116CompareEqFunctorItEEEESt5arrayIPcLm2EEEEviT0_T1_
    .private_segment_fixed_size: 0
    .sgpr_count:     32
    .sgpr_spill_count: 0
    .symbol:         _ZN2at6native29vectorized_elementwise_kernelILi4ENS0_13AUnaryFunctorIttbNS0_12_GLOBAL__N_116CompareEqFunctorItEEEESt5arrayIPcLm2EEEEviT0_T1_.kd
    .uniform_work_group_size: 1
    .uses_dynamic_stack: false
    .vgpr_count:     21
    .vgpr_spill_count: 0
    .wavefront_size: 64
  - .args:
      - .offset:         0
        .size:           4
        .value_kind:     by_value
      - .offset:         4
        .size:           8
        .value_kind:     by_value
      - .offset:         16
        .size:           16
        .value_kind:     by_value
    .group_segment_fixed_size: 0
    .kernarg_segment_align: 8
    .kernarg_segment_size: 32
    .language:       OpenCL C
    .language_version:
      - 2
      - 0
    .max_flat_workgroup_size: 256
    .name:           _ZN2at6native29vectorized_elementwise_kernelILi2ENS0_13AUnaryFunctorIttbNS0_12_GLOBAL__N_116CompareEqFunctorItEEEESt5arrayIPcLm2EEEEviT0_T1_
    .private_segment_fixed_size: 0
    .sgpr_count:     32
    .sgpr_spill_count: 0
    .symbol:         _ZN2at6native29vectorized_elementwise_kernelILi2ENS0_13AUnaryFunctorIttbNS0_12_GLOBAL__N_116CompareEqFunctorItEEEESt5arrayIPcLm2EEEEviT0_T1_.kd
    .uniform_work_group_size: 1
    .uses_dynamic_stack: false
    .vgpr_count:     21
    .vgpr_spill_count: 0
    .wavefront_size: 64
  - .args:
      - .offset:         0
        .size:           4
        .value_kind:     by_value
      - .offset:         4
        .size:           8
        .value_kind:     by_value
      - .offset:         16
        .size:           16
        .value_kind:     by_value
      - .offset:         32
        .size:           1
        .value_kind:     by_value
      - .offset:         33
        .size:           1
        .value_kind:     by_value
      - .offset:         34
        .size:           1
        .value_kind:     by_value
      - .offset:         35
        .size:           1
        .value_kind:     by_value
    .group_segment_fixed_size: 0
    .kernarg_segment_align: 8
    .kernarg_segment_size: 36
    .language:       OpenCL C
    .language_version:
      - 2
      - 0
    .max_flat_workgroup_size: 256
    .name:           _ZN2at6native27unrolled_elementwise_kernelINS0_13AUnaryFunctorIttbNS0_12_GLOBAL__N_116CompareEqFunctorItEEEESt5arrayIPcLm2EELi4E23TrivialOffsetCalculatorILi1EjESB_NS0_6memory15LoadWithoutCastENSC_16StoreWithoutCastEEEviT_T0_T2_T3_T4_T5_
    .private_segment_fixed_size: 0
    .sgpr_count:     20
    .sgpr_spill_count: 0
    .symbol:         _ZN2at6native27unrolled_elementwise_kernelINS0_13AUnaryFunctorIttbNS0_12_GLOBAL__N_116CompareEqFunctorItEEEESt5arrayIPcLm2EELi4E23TrivialOffsetCalculatorILi1EjESB_NS0_6memory15LoadWithoutCastENSC_16StoreWithoutCastEEEviT_T0_T2_T3_T4_T5_.kd
    .uniform_work_group_size: 1
    .uses_dynamic_stack: false
    .vgpr_count:     9
    .vgpr_spill_count: 0
    .wavefront_size: 64
  - .args:
      - .offset:         0
        .size:           4
        .value_kind:     by_value
      - .offset:         8
        .size:           352
        .value_kind:     by_value
    .group_segment_fixed_size: 0
    .kernarg_segment_align: 8
    .kernarg_segment_size: 360
    .language:       OpenCL C
    .language_version:
      - 2
      - 0
    .max_flat_workgroup_size: 128
    .name:           _ZN2at6native32elementwise_kernel_manual_unrollILi128ELi8EZNS0_22gpu_kernel_impl_nocastINS0_13AUnaryFunctorIttbNS0_12_GLOBAL__N_116CompareEqFunctorItEEEEEEvRNS_18TensorIteratorBaseERKT_EUlibE_EEviT1_
    .private_segment_fixed_size: 0
    .sgpr_count:     67
    .sgpr_spill_count: 0
    .symbol:         _ZN2at6native32elementwise_kernel_manual_unrollILi128ELi8EZNS0_22gpu_kernel_impl_nocastINS0_13AUnaryFunctorIttbNS0_12_GLOBAL__N_116CompareEqFunctorItEEEEEEvRNS_18TensorIteratorBaseERKT_EUlibE_EEviT1_.kd
    .uniform_work_group_size: 1
    .uses_dynamic_stack: false
    .vgpr_count:     26
    .vgpr_spill_count: 0
    .wavefront_size: 64
  - .args:
      - .offset:         0
        .size:           4
        .value_kind:     by_value
      - .offset:         8
        .size:           40
        .value_kind:     by_value
    .group_segment_fixed_size: 0
    .kernarg_segment_align: 8
    .kernarg_segment_size: 48
    .language:       OpenCL C
    .language_version:
      - 2
      - 0
    .max_flat_workgroup_size: 128
    .name:           _ZN2at6native32elementwise_kernel_manual_unrollILi128ELi4EZNS0_15gpu_kernel_implINS0_13AUnaryFunctorIttbNS0_12_GLOBAL__N_116CompareEqFunctorItEEEEEEvRNS_18TensorIteratorBaseERKT_EUlibE_EEviT1_
    .private_segment_fixed_size: 0
    .sgpr_count:     52
    .sgpr_spill_count: 0
    .symbol:         _ZN2at6native32elementwise_kernel_manual_unrollILi128ELi4EZNS0_15gpu_kernel_implINS0_13AUnaryFunctorIttbNS0_12_GLOBAL__N_116CompareEqFunctorItEEEEEEvRNS_18TensorIteratorBaseERKT_EUlibE_EEviT1_.kd
    .uniform_work_group_size: 1
    .uses_dynamic_stack: false
    .vgpr_count:     12
    .vgpr_spill_count: 0
    .wavefront_size: 64
  - .args:
      - .offset:         0
        .size:           4
        .value_kind:     by_value
      - .offset:         8
        .size:           360
        .value_kind:     by_value
    .group_segment_fixed_size: 0
    .kernarg_segment_align: 8
    .kernarg_segment_size: 368
    .language:       OpenCL C
    .language_version:
      - 2
      - 0
    .max_flat_workgroup_size: 128
    .name:           _ZN2at6native32elementwise_kernel_manual_unrollILi128ELi4EZNS0_15gpu_kernel_implINS0_13AUnaryFunctorIttbNS0_12_GLOBAL__N_116CompareEqFunctorItEEEEEEvRNS_18TensorIteratorBaseERKT_EUlibE0_EEviT1_
    .private_segment_fixed_size: 0
    .sgpr_count:     85
    .sgpr_spill_count: 0
    .symbol:         _ZN2at6native32elementwise_kernel_manual_unrollILi128ELi4EZNS0_15gpu_kernel_implINS0_13AUnaryFunctorIttbNS0_12_GLOBAL__N_116CompareEqFunctorItEEEEEEvRNS_18TensorIteratorBaseERKT_EUlibE0_EEviT1_.kd
    .uniform_work_group_size: 1
    .uses_dynamic_stack: false
    .vgpr_count:     18
    .vgpr_spill_count: 0
    .wavefront_size: 64
  - .args:
      - .offset:         0
        .size:           4
        .value_kind:     by_value
      - .offset:         4
        .size:           4
        .value_kind:     by_value
      - .offset:         8
        .size:           24
        .value_kind:     by_value
    .group_segment_fixed_size: 0
    .kernarg_segment_align: 8
    .kernarg_segment_size: 32
    .language:       OpenCL C
    .language_version:
      - 2
      - 0
    .max_flat_workgroup_size: 256
    .name:           _ZN2at6native29vectorized_elementwise_kernelILi16ENS0_13BinaryFunctorIjjbNS0_12_GLOBAL__N_116CompareEqFunctorIjEEEESt5arrayIPcLm3EEEEviT0_T1_
    .private_segment_fixed_size: 0
    .sgpr_count:     52
    .sgpr_spill_count: 0
    .symbol:         _ZN2at6native29vectorized_elementwise_kernelILi16ENS0_13BinaryFunctorIjjbNS0_12_GLOBAL__N_116CompareEqFunctorIjEEEESt5arrayIPcLm3EEEEviT0_T1_.kd
    .uniform_work_group_size: 1
    .uses_dynamic_stack: false
    .vgpr_count:     39
    .vgpr_spill_count: 0
    .wavefront_size: 64
  - .args:
      - .offset:         0
        .size:           4
        .value_kind:     by_value
      - .offset:         4
        .size:           4
        .value_kind:     by_value
      - .offset:         8
        .size:           24
        .value_kind:     by_value
    .group_segment_fixed_size: 0
    .kernarg_segment_align: 8
    .kernarg_segment_size: 32
    .language:       OpenCL C
    .language_version:
      - 2
      - 0
    .max_flat_workgroup_size: 256
    .name:           _ZN2at6native29vectorized_elementwise_kernelILi8ENS0_13BinaryFunctorIjjbNS0_12_GLOBAL__N_116CompareEqFunctorIjEEEESt5arrayIPcLm3EEEEviT0_T1_
    .private_segment_fixed_size: 0
    .sgpr_count:     52
    .sgpr_spill_count: 0
    .symbol:         _ZN2at6native29vectorized_elementwise_kernelILi8ENS0_13BinaryFunctorIjjbNS0_12_GLOBAL__N_116CompareEqFunctorIjEEEESt5arrayIPcLm3EEEEviT0_T1_.kd
    .uniform_work_group_size: 1
    .uses_dynamic_stack: false
    .vgpr_count:     39
    .vgpr_spill_count: 0
    .wavefront_size: 64
  - .args:
      - .offset:         0
        .size:           4
        .value_kind:     by_value
      - .offset:         4
        .size:           4
        .value_kind:     by_value
      - .offset:         8
        .size:           24
        .value_kind:     by_value
    .group_segment_fixed_size: 0
    .kernarg_segment_align: 8
    .kernarg_segment_size: 32
    .language:       OpenCL C
    .language_version:
      - 2
      - 0
    .max_flat_workgroup_size: 256
    .name:           _ZN2at6native29vectorized_elementwise_kernelILi4ENS0_13BinaryFunctorIjjbNS0_12_GLOBAL__N_116CompareEqFunctorIjEEEESt5arrayIPcLm3EEEEviT0_T1_
    .private_segment_fixed_size: 0
    .sgpr_count:     52
    .sgpr_spill_count: 0
    .symbol:         _ZN2at6native29vectorized_elementwise_kernelILi4ENS0_13BinaryFunctorIjjbNS0_12_GLOBAL__N_116CompareEqFunctorIjEEEESt5arrayIPcLm3EEEEviT0_T1_.kd
    .uniform_work_group_size: 1
    .uses_dynamic_stack: false
    .vgpr_count:     39
    .vgpr_spill_count: 0
    .wavefront_size: 64
  - .args:
      - .offset:         0
        .size:           4
        .value_kind:     by_value
      - .offset:         4
        .size:           4
        .value_kind:     by_value
      - .offset:         8
        .size:           24
        .value_kind:     by_value
    .group_segment_fixed_size: 0
    .kernarg_segment_align: 8
    .kernarg_segment_size: 32
    .language:       OpenCL C
    .language_version:
      - 2
      - 0
    .max_flat_workgroup_size: 256
    .name:           _ZN2at6native29vectorized_elementwise_kernelILi2ENS0_13BinaryFunctorIjjbNS0_12_GLOBAL__N_116CompareEqFunctorIjEEEESt5arrayIPcLm3EEEEviT0_T1_
    .private_segment_fixed_size: 0
    .sgpr_count:     52
    .sgpr_spill_count: 0
    .symbol:         _ZN2at6native29vectorized_elementwise_kernelILi2ENS0_13BinaryFunctorIjjbNS0_12_GLOBAL__N_116CompareEqFunctorIjEEEESt5arrayIPcLm3EEEEviT0_T1_.kd
    .uniform_work_group_size: 1
    .uses_dynamic_stack: false
    .vgpr_count:     39
    .vgpr_spill_count: 0
    .wavefront_size: 64
  - .args:
      - .offset:         0
        .size:           4
        .value_kind:     by_value
      - .offset:         4
        .size:           4
        .value_kind:     by_value
      - .offset:         8
        .size:           24
        .value_kind:     by_value
      - .offset:         32
        .size:           1
        .value_kind:     by_value
      - .offset:         33
        .size:           1
        .value_kind:     by_value
      - .offset:         34
        .size:           1
        .value_kind:     by_value
      - .offset:         35
        .size:           1
        .value_kind:     by_value
    .group_segment_fixed_size: 0
    .kernarg_segment_align: 8
    .kernarg_segment_size: 36
    .language:       OpenCL C
    .language_version:
      - 2
      - 0
    .max_flat_workgroup_size: 256
    .name:           _ZN2at6native27unrolled_elementwise_kernelINS0_13BinaryFunctorIjjbNS0_12_GLOBAL__N_116CompareEqFunctorIjEEEESt5arrayIPcLm3EELi4E23TrivialOffsetCalculatorILi2EjESA_ILi1EjENS0_6memory15LoadWithoutCastENSD_16StoreWithoutCastEEEviT_T0_T2_T3_T4_T5_
    .private_segment_fixed_size: 0
    .sgpr_count:     25
    .sgpr_spill_count: 0
    .symbol:         _ZN2at6native27unrolled_elementwise_kernelINS0_13BinaryFunctorIjjbNS0_12_GLOBAL__N_116CompareEqFunctorIjEEEESt5arrayIPcLm3EELi4E23TrivialOffsetCalculatorILi2EjESA_ILi1EjENS0_6memory15LoadWithoutCastENSD_16StoreWithoutCastEEEviT_T0_T2_T3_T4_T5_.kd
    .uniform_work_group_size: 1
    .uses_dynamic_stack: false
    .vgpr_count:     15
    .vgpr_spill_count: 0
    .wavefront_size: 64
  - .args:
      - .offset:         0
        .size:           4
        .value_kind:     by_value
      - .offset:         8
        .size:           424
        .value_kind:     by_value
    .group_segment_fixed_size: 0
    .kernarg_segment_align: 8
    .kernarg_segment_size: 432
    .language:       OpenCL C
    .language_version:
      - 2
      - 0
    .max_flat_workgroup_size: 128
    .name:           _ZN2at6native32elementwise_kernel_manual_unrollILi128ELi8EZNS0_22gpu_kernel_impl_nocastINS0_13BinaryFunctorIjjbNS0_12_GLOBAL__N_116CompareEqFunctorIjEEEEEEvRNS_18TensorIteratorBaseERKT_EUlibE_EEviT1_
    .private_segment_fixed_size: 0
    .sgpr_count:     56
    .sgpr_spill_count: 0
    .symbol:         _ZN2at6native32elementwise_kernel_manual_unrollILi128ELi8EZNS0_22gpu_kernel_impl_nocastINS0_13BinaryFunctorIjjbNS0_12_GLOBAL__N_116CompareEqFunctorIjEEEEEEvRNS_18TensorIteratorBaseERKT_EUlibE_EEviT1_.kd
    .uniform_work_group_size: 1
    .uses_dynamic_stack: false
    .vgpr_count:     42
    .vgpr_spill_count: 0
    .wavefront_size: 64
  - .args:
      - .offset:         0
        .size:           4
        .value_kind:     by_value
      - .offset:         8
        .size:           48
        .value_kind:     by_value
    .group_segment_fixed_size: 0
    .kernarg_segment_align: 8
    .kernarg_segment_size: 56
    .language:       OpenCL C
    .language_version:
      - 2
      - 0
    .max_flat_workgroup_size: 128
    .name:           _ZN2at6native32elementwise_kernel_manual_unrollILi128ELi4EZNS0_15gpu_kernel_implINS0_13BinaryFunctorIjjbNS0_12_GLOBAL__N_116CompareEqFunctorIjEEEEEEvRNS_18TensorIteratorBaseERKT_EUlibE_EEviT1_
    .private_segment_fixed_size: 0
    .sgpr_count:     63
    .sgpr_spill_count: 0
    .symbol:         _ZN2at6native32elementwise_kernel_manual_unrollILi128ELi4EZNS0_15gpu_kernel_implINS0_13BinaryFunctorIjjbNS0_12_GLOBAL__N_116CompareEqFunctorIjEEEEEEvRNS_18TensorIteratorBaseERKT_EUlibE_EEviT1_.kd
    .uniform_work_group_size: 1
    .uses_dynamic_stack: false
    .vgpr_count:     16
    .vgpr_spill_count: 0
    .wavefront_size: 64
  - .args:
      - .offset:         0
        .size:           4
        .value_kind:     by_value
      - .offset:         8
        .size:           424
        .value_kind:     by_value
    .group_segment_fixed_size: 0
    .kernarg_segment_align: 8
    .kernarg_segment_size: 432
    .language:       OpenCL C
    .language_version:
      - 2
      - 0
    .max_flat_workgroup_size: 128
    .name:           _ZN2at6native32elementwise_kernel_manual_unrollILi128ELi4EZNS0_15gpu_kernel_implINS0_13BinaryFunctorIjjbNS0_12_GLOBAL__N_116CompareEqFunctorIjEEEEEEvRNS_18TensorIteratorBaseERKT_EUlibE0_EEviT1_
    .private_segment_fixed_size: 0
    .sgpr_count:     84
    .sgpr_spill_count: 0
    .symbol:         _ZN2at6native32elementwise_kernel_manual_unrollILi128ELi4EZNS0_15gpu_kernel_implINS0_13BinaryFunctorIjjbNS0_12_GLOBAL__N_116CompareEqFunctorIjEEEEEEvRNS_18TensorIteratorBaseERKT_EUlibE0_EEviT1_.kd
    .uniform_work_group_size: 1
    .uses_dynamic_stack: false
    .vgpr_count:     24
    .vgpr_spill_count: 0
    .wavefront_size: 64
  - .args:
      - .offset:         0
        .size:           4
        .value_kind:     by_value
      - .offset:         4
        .size:           8
        .value_kind:     by_value
      - .offset:         16
        .size:           16
        .value_kind:     by_value
    .group_segment_fixed_size: 0
    .kernarg_segment_align: 8
    .kernarg_segment_size: 32
    .language:       OpenCL C
    .language_version:
      - 2
      - 0
    .max_flat_workgroup_size: 256
    .name:           _ZN2at6native29vectorized_elementwise_kernelILi16ENS0_13AUnaryFunctorIjjbNS0_12_GLOBAL__N_116CompareEqFunctorIjEEEESt5arrayIPcLm2EEEEviT0_T1_
    .private_segment_fixed_size: 0
    .sgpr_count:     52
    .sgpr_spill_count: 0
    .symbol:         _ZN2at6native29vectorized_elementwise_kernelILi16ENS0_13AUnaryFunctorIjjbNS0_12_GLOBAL__N_116CompareEqFunctorIjEEEESt5arrayIPcLm2EEEEviT0_T1_.kd
    .uniform_work_group_size: 1
    .uses_dynamic_stack: false
    .vgpr_count:     22
    .vgpr_spill_count: 0
    .wavefront_size: 64
  - .args:
      - .offset:         0
        .size:           4
        .value_kind:     by_value
      - .offset:         4
        .size:           8
        .value_kind:     by_value
      - .offset:         16
        .size:           16
        .value_kind:     by_value
    .group_segment_fixed_size: 0
    .kernarg_segment_align: 8
    .kernarg_segment_size: 32
    .language:       OpenCL C
    .language_version:
      - 2
      - 0
    .max_flat_workgroup_size: 256
    .name:           _ZN2at6native29vectorized_elementwise_kernelILi8ENS0_13AUnaryFunctorIjjbNS0_12_GLOBAL__N_116CompareEqFunctorIjEEEESt5arrayIPcLm2EEEEviT0_T1_
    .private_segment_fixed_size: 0
    .sgpr_count:     50
    .sgpr_spill_count: 0
    .symbol:         _ZN2at6native29vectorized_elementwise_kernelILi8ENS0_13AUnaryFunctorIjjbNS0_12_GLOBAL__N_116CompareEqFunctorIjEEEESt5arrayIPcLm2EEEEviT0_T1_.kd
    .uniform_work_group_size: 1
    .uses_dynamic_stack: false
    .vgpr_count:     22
    .vgpr_spill_count: 0
    .wavefront_size: 64
  - .args:
      - .offset:         0
        .size:           4
        .value_kind:     by_value
      - .offset:         4
        .size:           8
        .value_kind:     by_value
      - .offset:         16
        .size:           16
        .value_kind:     by_value
    .group_segment_fixed_size: 0
    .kernarg_segment_align: 8
    .kernarg_segment_size: 32
    .language:       OpenCL C
    .language_version:
      - 2
      - 0
    .max_flat_workgroup_size: 256
    .name:           _ZN2at6native29vectorized_elementwise_kernelILi4ENS0_13AUnaryFunctorIjjbNS0_12_GLOBAL__N_116CompareEqFunctorIjEEEESt5arrayIPcLm2EEEEviT0_T1_
    .private_segment_fixed_size: 0
    .sgpr_count:     50
    .sgpr_spill_count: 0
    .symbol:         _ZN2at6native29vectorized_elementwise_kernelILi4ENS0_13AUnaryFunctorIjjbNS0_12_GLOBAL__N_116CompareEqFunctorIjEEEESt5arrayIPcLm2EEEEviT0_T1_.kd
    .uniform_work_group_size: 1
    .uses_dynamic_stack: false
    .vgpr_count:     22
    .vgpr_spill_count: 0
    .wavefront_size: 64
  - .args:
      - .offset:         0
        .size:           4
        .value_kind:     by_value
      - .offset:         4
        .size:           8
        .value_kind:     by_value
      - .offset:         16
        .size:           16
        .value_kind:     by_value
    .group_segment_fixed_size: 0
    .kernarg_segment_align: 8
    .kernarg_segment_size: 32
    .language:       OpenCL C
    .language_version:
      - 2
      - 0
    .max_flat_workgroup_size: 256
    .name:           _ZN2at6native29vectorized_elementwise_kernelILi2ENS0_13AUnaryFunctorIjjbNS0_12_GLOBAL__N_116CompareEqFunctorIjEEEESt5arrayIPcLm2EEEEviT0_T1_
    .private_segment_fixed_size: 0
    .sgpr_count:     50
    .sgpr_spill_count: 0
    .symbol:         _ZN2at6native29vectorized_elementwise_kernelILi2ENS0_13AUnaryFunctorIjjbNS0_12_GLOBAL__N_116CompareEqFunctorIjEEEESt5arrayIPcLm2EEEEviT0_T1_.kd
    .uniform_work_group_size: 1
    .uses_dynamic_stack: false
    .vgpr_count:     22
    .vgpr_spill_count: 0
    .wavefront_size: 64
  - .args:
      - .offset:         0
        .size:           4
        .value_kind:     by_value
      - .offset:         4
        .size:           8
        .value_kind:     by_value
      - .offset:         16
        .size:           16
        .value_kind:     by_value
      - .offset:         32
        .size:           1
        .value_kind:     by_value
      - .offset:         33
        .size:           1
        .value_kind:     by_value
      - .offset:         34
        .size:           1
        .value_kind:     by_value
      - .offset:         35
        .size:           1
        .value_kind:     by_value
    .group_segment_fixed_size: 0
    .kernarg_segment_align: 8
    .kernarg_segment_size: 36
    .language:       OpenCL C
    .language_version:
      - 2
      - 0
    .max_flat_workgroup_size: 256
    .name:           _ZN2at6native27unrolled_elementwise_kernelINS0_13AUnaryFunctorIjjbNS0_12_GLOBAL__N_116CompareEqFunctorIjEEEESt5arrayIPcLm2EELi4E23TrivialOffsetCalculatorILi1EjESB_NS0_6memory15LoadWithoutCastENSC_16StoreWithoutCastEEEviT_T0_T2_T3_T4_T5_
    .private_segment_fixed_size: 0
    .sgpr_count:     22
    .sgpr_spill_count: 0
    .symbol:         _ZN2at6native27unrolled_elementwise_kernelINS0_13AUnaryFunctorIjjbNS0_12_GLOBAL__N_116CompareEqFunctorIjEEEESt5arrayIPcLm2EELi4E23TrivialOffsetCalculatorILi1EjESB_NS0_6memory15LoadWithoutCastENSC_16StoreWithoutCastEEEviT_T0_T2_T3_T4_T5_.kd
    .uniform_work_group_size: 1
    .uses_dynamic_stack: false
    .vgpr_count:     9
    .vgpr_spill_count: 0
    .wavefront_size: 64
  - .args:
      - .offset:         0
        .size:           4
        .value_kind:     by_value
      - .offset:         8
        .size:           352
        .value_kind:     by_value
    .group_segment_fixed_size: 0
    .kernarg_segment_align: 8
    .kernarg_segment_size: 360
    .language:       OpenCL C
    .language_version:
      - 2
      - 0
    .max_flat_workgroup_size: 128
    .name:           _ZN2at6native32elementwise_kernel_manual_unrollILi128ELi8EZNS0_22gpu_kernel_impl_nocastINS0_13AUnaryFunctorIjjbNS0_12_GLOBAL__N_116CompareEqFunctorIjEEEEEEvRNS_18TensorIteratorBaseERKT_EUlibE_EEviT1_
    .private_segment_fixed_size: 0
    .sgpr_count:     67
    .sgpr_spill_count: 0
    .symbol:         _ZN2at6native32elementwise_kernel_manual_unrollILi128ELi8EZNS0_22gpu_kernel_impl_nocastINS0_13AUnaryFunctorIjjbNS0_12_GLOBAL__N_116CompareEqFunctorIjEEEEEEvRNS_18TensorIteratorBaseERKT_EUlibE_EEviT1_.kd
    .uniform_work_group_size: 1
    .uses_dynamic_stack: false
    .vgpr_count:     26
    .vgpr_spill_count: 0
    .wavefront_size: 64
  - .args:
      - .offset:         0
        .size:           4
        .value_kind:     by_value
      - .offset:         8
        .size:           40
        .value_kind:     by_value
    .group_segment_fixed_size: 0
    .kernarg_segment_align: 8
    .kernarg_segment_size: 48
    .language:       OpenCL C
    .language_version:
      - 2
      - 0
    .max_flat_workgroup_size: 128
    .name:           _ZN2at6native32elementwise_kernel_manual_unrollILi128ELi4EZNS0_15gpu_kernel_implINS0_13AUnaryFunctorIjjbNS0_12_GLOBAL__N_116CompareEqFunctorIjEEEEEEvRNS_18TensorIteratorBaseERKT_EUlibE_EEviT1_
    .private_segment_fixed_size: 0
    .sgpr_count:     54
    .sgpr_spill_count: 0
    .symbol:         _ZN2at6native32elementwise_kernel_manual_unrollILi128ELi4EZNS0_15gpu_kernel_implINS0_13AUnaryFunctorIjjbNS0_12_GLOBAL__N_116CompareEqFunctorIjEEEEEEvRNS_18TensorIteratorBaseERKT_EUlibE_EEviT1_.kd
    .uniform_work_group_size: 1
    .uses_dynamic_stack: false
    .vgpr_count:     12
    .vgpr_spill_count: 0
    .wavefront_size: 64
  - .args:
      - .offset:         0
        .size:           4
        .value_kind:     by_value
      - .offset:         8
        .size:           360
        .value_kind:     by_value
    .group_segment_fixed_size: 0
    .kernarg_segment_align: 8
    .kernarg_segment_size: 368
    .language:       OpenCL C
    .language_version:
      - 2
      - 0
    .max_flat_workgroup_size: 128
    .name:           _ZN2at6native32elementwise_kernel_manual_unrollILi128ELi4EZNS0_15gpu_kernel_implINS0_13AUnaryFunctorIjjbNS0_12_GLOBAL__N_116CompareEqFunctorIjEEEEEEvRNS_18TensorIteratorBaseERKT_EUlibE0_EEviT1_
    .private_segment_fixed_size: 0
    .sgpr_count:     85
    .sgpr_spill_count: 0
    .symbol:         _ZN2at6native32elementwise_kernel_manual_unrollILi128ELi4EZNS0_15gpu_kernel_implINS0_13AUnaryFunctorIjjbNS0_12_GLOBAL__N_116CompareEqFunctorIjEEEEEEvRNS_18TensorIteratorBaseERKT_EUlibE0_EEviT1_.kd
    .uniform_work_group_size: 1
    .uses_dynamic_stack: false
    .vgpr_count:     18
    .vgpr_spill_count: 0
    .wavefront_size: 64
  - .args:
      - .offset:         0
        .size:           4
        .value_kind:     by_value
      - .offset:         4
        .size:           4
        .value_kind:     by_value
      - .offset:         8
        .size:           24
        .value_kind:     by_value
    .group_segment_fixed_size: 0
    .kernarg_segment_align: 8
    .kernarg_segment_size: 32
    .language:       OpenCL C
    .language_version:
      - 2
      - 0
    .max_flat_workgroup_size: 256
    .name:           _ZN2at6native29vectorized_elementwise_kernelILi16ENS0_13BinaryFunctorImmbNS0_12_GLOBAL__N_116CompareEqFunctorImEEEESt5arrayIPcLm3EEEEviT0_T1_
    .private_segment_fixed_size: 0
    .sgpr_count:     52
    .sgpr_spill_count: 0
    .symbol:         _ZN2at6native29vectorized_elementwise_kernelILi16ENS0_13BinaryFunctorImmbNS0_12_GLOBAL__N_116CompareEqFunctorImEEEESt5arrayIPcLm3EEEEviT0_T1_.kd
    .uniform_work_group_size: 1
    .uses_dynamic_stack: false
    .vgpr_count:     18
    .vgpr_spill_count: 0
    .wavefront_size: 64
  - .args:
      - .offset:         0
        .size:           4
        .value_kind:     by_value
      - .offset:         4
        .size:           4
        .value_kind:     by_value
      - .offset:         8
        .size:           24
        .value_kind:     by_value
    .group_segment_fixed_size: 0
    .kernarg_segment_align: 8
    .kernarg_segment_size: 32
    .language:       OpenCL C
    .language_version:
      - 2
      - 0
    .max_flat_workgroup_size: 256
    .name:           _ZN2at6native29vectorized_elementwise_kernelILi8ENS0_13BinaryFunctorImmbNS0_12_GLOBAL__N_116CompareEqFunctorImEEEESt5arrayIPcLm3EEEEviT0_T1_
    .private_segment_fixed_size: 0
    .sgpr_count:     52
    .sgpr_spill_count: 0
    .symbol:         _ZN2at6native29vectorized_elementwise_kernelILi8ENS0_13BinaryFunctorImmbNS0_12_GLOBAL__N_116CompareEqFunctorImEEEESt5arrayIPcLm3EEEEviT0_T1_.kd
    .uniform_work_group_size: 1
    .uses_dynamic_stack: false
    .vgpr_count:     21
    .vgpr_spill_count: 0
    .wavefront_size: 64
  - .args:
      - .offset:         0
        .size:           4
        .value_kind:     by_value
      - .offset:         4
        .size:           4
        .value_kind:     by_value
      - .offset:         8
        .size:           24
        .value_kind:     by_value
    .group_segment_fixed_size: 0
    .kernarg_segment_align: 8
    .kernarg_segment_size: 32
    .language:       OpenCL C
    .language_version:
      - 2
      - 0
    .max_flat_workgroup_size: 256
    .name:           _ZN2at6native29vectorized_elementwise_kernelILi4ENS0_13BinaryFunctorImmbNS0_12_GLOBAL__N_116CompareEqFunctorImEEEESt5arrayIPcLm3EEEEviT0_T1_
    .private_segment_fixed_size: 0
    .sgpr_count:     52
    .sgpr_spill_count: 0
    .symbol:         _ZN2at6native29vectorized_elementwise_kernelILi4ENS0_13BinaryFunctorImmbNS0_12_GLOBAL__N_116CompareEqFunctorImEEEESt5arrayIPcLm3EEEEviT0_T1_.kd
    .uniform_work_group_size: 1
    .uses_dynamic_stack: false
    .vgpr_count:     25
    .vgpr_spill_count: 0
    .wavefront_size: 64
  - .args:
      - .offset:         0
        .size:           4
        .value_kind:     by_value
      - .offset:         4
        .size:           4
        .value_kind:     by_value
      - .offset:         8
        .size:           24
        .value_kind:     by_value
    .group_segment_fixed_size: 0
    .kernarg_segment_align: 8
    .kernarg_segment_size: 32
    .language:       OpenCL C
    .language_version:
      - 2
      - 0
    .max_flat_workgroup_size: 256
    .name:           _ZN2at6native29vectorized_elementwise_kernelILi2ENS0_13BinaryFunctorImmbNS0_12_GLOBAL__N_116CompareEqFunctorImEEEESt5arrayIPcLm3EEEEviT0_T1_
    .private_segment_fixed_size: 0
    .sgpr_count:     52
    .sgpr_spill_count: 0
    .symbol:         _ZN2at6native29vectorized_elementwise_kernelILi2ENS0_13BinaryFunctorImmbNS0_12_GLOBAL__N_116CompareEqFunctorImEEEESt5arrayIPcLm3EEEEviT0_T1_.kd
    .uniform_work_group_size: 1
    .uses_dynamic_stack: false
    .vgpr_count:     27
    .vgpr_spill_count: 0
    .wavefront_size: 64
  - .args:
      - .offset:         0
        .size:           4
        .value_kind:     by_value
      - .offset:         4
        .size:           4
        .value_kind:     by_value
      - .offset:         8
        .size:           24
        .value_kind:     by_value
      - .offset:         32
        .size:           1
        .value_kind:     by_value
      - .offset:         33
        .size:           1
        .value_kind:     by_value
      - .offset:         34
        .size:           1
        .value_kind:     by_value
      - .offset:         35
        .size:           1
        .value_kind:     by_value
    .group_segment_fixed_size: 0
    .kernarg_segment_align: 8
    .kernarg_segment_size: 36
    .language:       OpenCL C
    .language_version:
      - 2
      - 0
    .max_flat_workgroup_size: 256
    .name:           _ZN2at6native27unrolled_elementwise_kernelINS0_13BinaryFunctorImmbNS0_12_GLOBAL__N_116CompareEqFunctorImEEEESt5arrayIPcLm3EELi4E23TrivialOffsetCalculatorILi2EjESA_ILi1EjENS0_6memory15LoadWithoutCastENSD_16StoreWithoutCastEEEviT_T0_T2_T3_T4_T5_
    .private_segment_fixed_size: 0
    .sgpr_count:     26
    .sgpr_spill_count: 0
    .symbol:         _ZN2at6native27unrolled_elementwise_kernelINS0_13BinaryFunctorImmbNS0_12_GLOBAL__N_116CompareEqFunctorImEEEESt5arrayIPcLm3EELi4E23TrivialOffsetCalculatorILi2EjESA_ILi1EjENS0_6memory15LoadWithoutCastENSD_16StoreWithoutCastEEEviT_T0_T2_T3_T4_T5_.kd
    .uniform_work_group_size: 1
    .uses_dynamic_stack: false
    .vgpr_count:     11
    .vgpr_spill_count: 0
    .wavefront_size: 64
  - .args:
      - .offset:         0
        .size:           4
        .value_kind:     by_value
      - .offset:         8
        .size:           424
        .value_kind:     by_value
    .group_segment_fixed_size: 0
    .kernarg_segment_align: 8
    .kernarg_segment_size: 432
    .language:       OpenCL C
    .language_version:
      - 2
      - 0
    .max_flat_workgroup_size: 128
    .name:           _ZN2at6native32elementwise_kernel_manual_unrollILi128ELi8EZNS0_22gpu_kernel_impl_nocastINS0_13BinaryFunctorImmbNS0_12_GLOBAL__N_116CompareEqFunctorImEEEEEEvRNS_18TensorIteratorBaseERKT_EUlibE_EEviT1_
    .private_segment_fixed_size: 0
    .sgpr_count:     56
    .sgpr_spill_count: 0
    .symbol:         _ZN2at6native32elementwise_kernel_manual_unrollILi128ELi8EZNS0_22gpu_kernel_impl_nocastINS0_13BinaryFunctorImmbNS0_12_GLOBAL__N_116CompareEqFunctorImEEEEEEvRNS_18TensorIteratorBaseERKT_EUlibE_EEviT1_.kd
    .uniform_work_group_size: 1
    .uses_dynamic_stack: false
    .vgpr_count:     44
    .vgpr_spill_count: 0
    .wavefront_size: 64
  - .args:
      - .offset:         0
        .size:           4
        .value_kind:     by_value
      - .offset:         8
        .size:           48
        .value_kind:     by_value
    .group_segment_fixed_size: 0
    .kernarg_segment_align: 8
    .kernarg_segment_size: 56
    .language:       OpenCL C
    .language_version:
      - 2
      - 0
    .max_flat_workgroup_size: 128
    .name:           _ZN2at6native32elementwise_kernel_manual_unrollILi128ELi4EZNS0_15gpu_kernel_implINS0_13BinaryFunctorImmbNS0_12_GLOBAL__N_116CompareEqFunctorImEEEEEEvRNS_18TensorIteratorBaseERKT_EUlibE_EEviT1_
    .private_segment_fixed_size: 0
    .sgpr_count:     63
    .sgpr_spill_count: 0
    .symbol:         _ZN2at6native32elementwise_kernel_manual_unrollILi128ELi4EZNS0_15gpu_kernel_implINS0_13BinaryFunctorImmbNS0_12_GLOBAL__N_116CompareEqFunctorImEEEEEEvRNS_18TensorIteratorBaseERKT_EUlibE_EEviT1_.kd
    .uniform_work_group_size: 1
    .uses_dynamic_stack: false
    .vgpr_count:     23
    .vgpr_spill_count: 0
    .wavefront_size: 64
  - .args:
      - .offset:         0
        .size:           4
        .value_kind:     by_value
      - .offset:         8
        .size:           424
        .value_kind:     by_value
    .group_segment_fixed_size: 0
    .kernarg_segment_align: 8
    .kernarg_segment_size: 432
    .language:       OpenCL C
    .language_version:
      - 2
      - 0
    .max_flat_workgroup_size: 128
    .name:           _ZN2at6native32elementwise_kernel_manual_unrollILi128ELi4EZNS0_15gpu_kernel_implINS0_13BinaryFunctorImmbNS0_12_GLOBAL__N_116CompareEqFunctorImEEEEEEvRNS_18TensorIteratorBaseERKT_EUlibE0_EEviT1_
    .private_segment_fixed_size: 0
    .sgpr_count:     84
    .sgpr_spill_count: 0
    .symbol:         _ZN2at6native32elementwise_kernel_manual_unrollILi128ELi4EZNS0_15gpu_kernel_implINS0_13BinaryFunctorImmbNS0_12_GLOBAL__N_116CompareEqFunctorImEEEEEEvRNS_18TensorIteratorBaseERKT_EUlibE0_EEviT1_.kd
    .uniform_work_group_size: 1
    .uses_dynamic_stack: false
    .vgpr_count:     31
    .vgpr_spill_count: 0
    .wavefront_size: 64
  - .args:
      - .offset:         0
        .size:           4
        .value_kind:     by_value
      - .offset:         8
        .size:           16
        .value_kind:     by_value
      - .offset:         24
        .size:           16
        .value_kind:     by_value
    .group_segment_fixed_size: 0
    .kernarg_segment_align: 8
    .kernarg_segment_size: 40
    .language:       OpenCL C
    .language_version:
      - 2
      - 0
    .max_flat_workgroup_size: 256
    .name:           _ZN2at6native29vectorized_elementwise_kernelILi16ENS0_13AUnaryFunctorImmbNS0_12_GLOBAL__N_116CompareEqFunctorImEEEESt5arrayIPcLm2EEEEviT0_T1_
    .private_segment_fixed_size: 0
    .sgpr_count:     52
    .sgpr_spill_count: 0
    .symbol:         _ZN2at6native29vectorized_elementwise_kernelILi16ENS0_13AUnaryFunctorImmbNS0_12_GLOBAL__N_116CompareEqFunctorImEEEESt5arrayIPcLm2EEEEviT0_T1_.kd
    .uniform_work_group_size: 1
    .uses_dynamic_stack: false
    .vgpr_count:     36
    .vgpr_spill_count: 0
    .wavefront_size: 64
  - .args:
      - .offset:         0
        .size:           4
        .value_kind:     by_value
      - .offset:         8
        .size:           16
        .value_kind:     by_value
      - .offset:         24
        .size:           16
        .value_kind:     by_value
    .group_segment_fixed_size: 0
    .kernarg_segment_align: 8
    .kernarg_segment_size: 40
    .language:       OpenCL C
    .language_version:
      - 2
      - 0
    .max_flat_workgroup_size: 256
    .name:           _ZN2at6native29vectorized_elementwise_kernelILi8ENS0_13AUnaryFunctorImmbNS0_12_GLOBAL__N_116CompareEqFunctorImEEEESt5arrayIPcLm2EEEEviT0_T1_
    .private_segment_fixed_size: 0
    .sgpr_count:     32
    .sgpr_spill_count: 0
    .symbol:         _ZN2at6native29vectorized_elementwise_kernelILi8ENS0_13AUnaryFunctorImmbNS0_12_GLOBAL__N_116CompareEqFunctorImEEEESt5arrayIPcLm2EEEEviT0_T1_.kd
    .uniform_work_group_size: 1
    .uses_dynamic_stack: false
    .vgpr_count:     36
    .vgpr_spill_count: 0
    .wavefront_size: 64
  - .args:
      - .offset:         0
        .size:           4
        .value_kind:     by_value
      - .offset:         8
        .size:           16
        .value_kind:     by_value
      - .offset:         24
        .size:           16
        .value_kind:     by_value
    .group_segment_fixed_size: 0
    .kernarg_segment_align: 8
    .kernarg_segment_size: 40
    .language:       OpenCL C
    .language_version:
      - 2
      - 0
    .max_flat_workgroup_size: 256
    .name:           _ZN2at6native29vectorized_elementwise_kernelILi4ENS0_13AUnaryFunctorImmbNS0_12_GLOBAL__N_116CompareEqFunctorImEEEESt5arrayIPcLm2EEEEviT0_T1_
    .private_segment_fixed_size: 0
    .sgpr_count:     42
    .sgpr_spill_count: 0
    .symbol:         _ZN2at6native29vectorized_elementwise_kernelILi4ENS0_13AUnaryFunctorImmbNS0_12_GLOBAL__N_116CompareEqFunctorImEEEESt5arrayIPcLm2EEEEviT0_T1_.kd
    .uniform_work_group_size: 1
    .uses_dynamic_stack: false
    .vgpr_count:     36
    .vgpr_spill_count: 0
    .wavefront_size: 64
  - .args:
      - .offset:         0
        .size:           4
        .value_kind:     by_value
      - .offset:         8
        .size:           16
        .value_kind:     by_value
      - .offset:         24
        .size:           16
        .value_kind:     by_value
    .group_segment_fixed_size: 0
    .kernarg_segment_align: 8
    .kernarg_segment_size: 40
    .language:       OpenCL C
    .language_version:
      - 2
      - 0
    .max_flat_workgroup_size: 256
    .name:           _ZN2at6native29vectorized_elementwise_kernelILi2ENS0_13AUnaryFunctorImmbNS0_12_GLOBAL__N_116CompareEqFunctorImEEEESt5arrayIPcLm2EEEEviT0_T1_
    .private_segment_fixed_size: 0
    .sgpr_count:     24
    .sgpr_spill_count: 0
    .symbol:         _ZN2at6native29vectorized_elementwise_kernelILi2ENS0_13AUnaryFunctorImmbNS0_12_GLOBAL__N_116CompareEqFunctorImEEEESt5arrayIPcLm2EEEEviT0_T1_.kd
    .uniform_work_group_size: 1
    .uses_dynamic_stack: false
    .vgpr_count:     36
    .vgpr_spill_count: 0
    .wavefront_size: 64
  - .args:
      - .offset:         0
        .size:           4
        .value_kind:     by_value
      - .offset:         8
        .size:           16
        .value_kind:     by_value
      - .offset:         24
        .size:           16
        .value_kind:     by_value
      - .offset:         40
        .size:           1
        .value_kind:     by_value
      - .offset:         41
        .size:           1
        .value_kind:     by_value
      - .offset:         42
        .size:           1
        .value_kind:     by_value
      - .offset:         43
        .size:           1
        .value_kind:     by_value
    .group_segment_fixed_size: 0
    .kernarg_segment_align: 8
    .kernarg_segment_size: 44
    .language:       OpenCL C
    .language_version:
      - 2
      - 0
    .max_flat_workgroup_size: 256
    .name:           _ZN2at6native27unrolled_elementwise_kernelINS0_13AUnaryFunctorImmbNS0_12_GLOBAL__N_116CompareEqFunctorImEEEESt5arrayIPcLm2EELi4E23TrivialOffsetCalculatorILi1EjESB_NS0_6memory15LoadWithoutCastENSC_16StoreWithoutCastEEEviT_T0_T2_T3_T4_T5_
    .private_segment_fixed_size: 0
    .sgpr_count:     18
    .sgpr_spill_count: 0
    .symbol:         _ZN2at6native27unrolled_elementwise_kernelINS0_13AUnaryFunctorImmbNS0_12_GLOBAL__N_116CompareEqFunctorImEEEESt5arrayIPcLm2EELi4E23TrivialOffsetCalculatorILi1EjESB_NS0_6memory15LoadWithoutCastENSC_16StoreWithoutCastEEEviT_T0_T2_T3_T4_T5_.kd
    .uniform_work_group_size: 1
    .uses_dynamic_stack: false
    .vgpr_count:     12
    .vgpr_spill_count: 0
    .wavefront_size: 64
  - .args:
      - .offset:         0
        .size:           4
        .value_kind:     by_value
      - .offset:         8
        .size:           360
        .value_kind:     by_value
    .group_segment_fixed_size: 0
    .kernarg_segment_align: 8
    .kernarg_segment_size: 368
    .language:       OpenCL C
    .language_version:
      - 2
      - 0
    .max_flat_workgroup_size: 128
    .name:           _ZN2at6native32elementwise_kernel_manual_unrollILi128ELi8EZNS0_22gpu_kernel_impl_nocastINS0_13AUnaryFunctorImmbNS0_12_GLOBAL__N_116CompareEqFunctorImEEEEEEvRNS_18TensorIteratorBaseERKT_EUlibE_EEviT1_
    .private_segment_fixed_size: 0
    .sgpr_count:     68
    .sgpr_spill_count: 0
    .symbol:         _ZN2at6native32elementwise_kernel_manual_unrollILi128ELi8EZNS0_22gpu_kernel_impl_nocastINS0_13AUnaryFunctorImmbNS0_12_GLOBAL__N_116CompareEqFunctorImEEEEEEvRNS_18TensorIteratorBaseERKT_EUlibE_EEviT1_.kd
    .uniform_work_group_size: 1
    .uses_dynamic_stack: false
    .vgpr_count:     28
    .vgpr_spill_count: 0
    .wavefront_size: 64
  - .args:
      - .offset:         0
        .size:           4
        .value_kind:     by_value
      - .offset:         8
        .size:           48
        .value_kind:     by_value
    .group_segment_fixed_size: 0
    .kernarg_segment_align: 8
    .kernarg_segment_size: 56
    .language:       OpenCL C
    .language_version:
      - 2
      - 0
    .max_flat_workgroup_size: 128
    .name:           _ZN2at6native32elementwise_kernel_manual_unrollILi128ELi4EZNS0_15gpu_kernel_implINS0_13AUnaryFunctorImmbNS0_12_GLOBAL__N_116CompareEqFunctorImEEEEEEvRNS_18TensorIteratorBaseERKT_EUlibE_EEviT1_
    .private_segment_fixed_size: 0
    .sgpr_count:     54
    .sgpr_spill_count: 0
    .symbol:         _ZN2at6native32elementwise_kernel_manual_unrollILi128ELi4EZNS0_15gpu_kernel_implINS0_13AUnaryFunctorImmbNS0_12_GLOBAL__N_116CompareEqFunctorImEEEEEEvRNS_18TensorIteratorBaseERKT_EUlibE_EEviT1_.kd
    .uniform_work_group_size: 1
    .uses_dynamic_stack: false
    .vgpr_count:     15
    .vgpr_spill_count: 0
    .wavefront_size: 64
  - .args:
      - .offset:         0
        .size:           4
        .value_kind:     by_value
      - .offset:         8
        .size:           368
        .value_kind:     by_value
    .group_segment_fixed_size: 0
    .kernarg_segment_align: 8
    .kernarg_segment_size: 376
    .language:       OpenCL C
    .language_version:
      - 2
      - 0
    .max_flat_workgroup_size: 128
    .name:           _ZN2at6native32elementwise_kernel_manual_unrollILi128ELi4EZNS0_15gpu_kernel_implINS0_13AUnaryFunctorImmbNS0_12_GLOBAL__N_116CompareEqFunctorImEEEEEEvRNS_18TensorIteratorBaseERKT_EUlibE0_EEviT1_
    .private_segment_fixed_size: 0
    .sgpr_count:     86
    .sgpr_spill_count: 0
    .symbol:         _ZN2at6native32elementwise_kernel_manual_unrollILi128ELi4EZNS0_15gpu_kernel_implINS0_13AUnaryFunctorImmbNS0_12_GLOBAL__N_116CompareEqFunctorImEEEEEEvRNS_18TensorIteratorBaseERKT_EUlibE0_EEviT1_.kd
    .uniform_work_group_size: 1
    .uses_dynamic_stack: false
    .vgpr_count:     21
    .vgpr_spill_count: 0
    .wavefront_size: 64
  - .args:
      - .offset:         0
        .size:           4
        .value_kind:     by_value
      - .offset:         4
        .size:           4
        .value_kind:     by_value
      - .offset:         8
        .size:           24
        .value_kind:     by_value
    .group_segment_fixed_size: 0
    .kernarg_segment_align: 8
    .kernarg_segment_size: 32
    .language:       OpenCL C
    .language_version:
      - 2
      - 0
    .max_flat_workgroup_size: 256
    .name:           _ZN2at6native29vectorized_elementwise_kernelILi16ENS0_13BinaryFunctorIN3c1016Float4_e2m1fn_x2ES4_bNS0_12_GLOBAL__N_116CompareEqFunctorIS4_EEEESt5arrayIPcLm3EEEEviT0_T1_
    .private_segment_fixed_size: 0
    .sgpr_count:     46
    .sgpr_spill_count: 0
    .symbol:         _ZN2at6native29vectorized_elementwise_kernelILi16ENS0_13BinaryFunctorIN3c1016Float4_e2m1fn_x2ES4_bNS0_12_GLOBAL__N_116CompareEqFunctorIS4_EEEESt5arrayIPcLm3EEEEviT0_T1_.kd
    .uniform_work_group_size: 1
    .uses_dynamic_stack: false
    .vgpr_count:     39
    .vgpr_spill_count: 0
    .wavefront_size: 64
  - .args:
      - .offset:         0
        .size:           4
        .value_kind:     by_value
      - .offset:         4
        .size:           4
        .value_kind:     by_value
      - .offset:         8
        .size:           24
        .value_kind:     by_value
    .group_segment_fixed_size: 0
    .kernarg_segment_align: 8
    .kernarg_segment_size: 32
    .language:       OpenCL C
    .language_version:
      - 2
      - 0
    .max_flat_workgroup_size: 256
    .name:           _ZN2at6native29vectorized_elementwise_kernelILi8ENS0_13BinaryFunctorIN3c1016Float4_e2m1fn_x2ES4_bNS0_12_GLOBAL__N_116CompareEqFunctorIS4_EEEESt5arrayIPcLm3EEEEviT0_T1_
    .private_segment_fixed_size: 0
    .sgpr_count:     46
    .sgpr_spill_count: 0
    .symbol:         _ZN2at6native29vectorized_elementwise_kernelILi8ENS0_13BinaryFunctorIN3c1016Float4_e2m1fn_x2ES4_bNS0_12_GLOBAL__N_116CompareEqFunctorIS4_EEEESt5arrayIPcLm3EEEEviT0_T1_.kd
    .uniform_work_group_size: 1
    .uses_dynamic_stack: false
    .vgpr_count:     39
    .vgpr_spill_count: 0
    .wavefront_size: 64
  - .args:
      - .offset:         0
        .size:           4
        .value_kind:     by_value
      - .offset:         4
        .size:           4
        .value_kind:     by_value
      - .offset:         8
        .size:           24
        .value_kind:     by_value
    .group_segment_fixed_size: 0
    .kernarg_segment_align: 8
    .kernarg_segment_size: 32
    .language:       OpenCL C
    .language_version:
      - 2
      - 0
    .max_flat_workgroup_size: 256
    .name:           _ZN2at6native29vectorized_elementwise_kernelILi4ENS0_13BinaryFunctorIN3c1016Float4_e2m1fn_x2ES4_bNS0_12_GLOBAL__N_116CompareEqFunctorIS4_EEEESt5arrayIPcLm3EEEEviT0_T1_
    .private_segment_fixed_size: 0
    .sgpr_count:     46
    .sgpr_spill_count: 0
    .symbol:         _ZN2at6native29vectorized_elementwise_kernelILi4ENS0_13BinaryFunctorIN3c1016Float4_e2m1fn_x2ES4_bNS0_12_GLOBAL__N_116CompareEqFunctorIS4_EEEESt5arrayIPcLm3EEEEviT0_T1_.kd
    .uniform_work_group_size: 1
    .uses_dynamic_stack: false
    .vgpr_count:     39
    .vgpr_spill_count: 0
    .wavefront_size: 64
  - .args:
      - .offset:         0
        .size:           4
        .value_kind:     by_value
      - .offset:         4
        .size:           4
        .value_kind:     by_value
      - .offset:         8
        .size:           24
        .value_kind:     by_value
    .group_segment_fixed_size: 0
    .kernarg_segment_align: 8
    .kernarg_segment_size: 32
    .language:       OpenCL C
    .language_version:
      - 2
      - 0
    .max_flat_workgroup_size: 256
    .name:           _ZN2at6native29vectorized_elementwise_kernelILi2ENS0_13BinaryFunctorIN3c1016Float4_e2m1fn_x2ES4_bNS0_12_GLOBAL__N_116CompareEqFunctorIS4_EEEESt5arrayIPcLm3EEEEviT0_T1_
    .private_segment_fixed_size: 0
    .sgpr_count:     46
    .sgpr_spill_count: 0
    .symbol:         _ZN2at6native29vectorized_elementwise_kernelILi2ENS0_13BinaryFunctorIN3c1016Float4_e2m1fn_x2ES4_bNS0_12_GLOBAL__N_116CompareEqFunctorIS4_EEEESt5arrayIPcLm3EEEEviT0_T1_.kd
    .uniform_work_group_size: 1
    .uses_dynamic_stack: false
    .vgpr_count:     39
    .vgpr_spill_count: 0
    .wavefront_size: 64
  - .args:
      - .offset:         0
        .size:           4
        .value_kind:     by_value
      - .offset:         4
        .size:           4
        .value_kind:     by_value
      - .offset:         8
        .size:           24
        .value_kind:     by_value
      - .offset:         32
        .size:           1
        .value_kind:     by_value
      - .offset:         33
        .size:           1
        .value_kind:     by_value
      - .offset:         34
        .size:           1
        .value_kind:     by_value
      - .offset:         35
        .size:           1
        .value_kind:     by_value
    .group_segment_fixed_size: 0
    .kernarg_segment_align: 8
    .kernarg_segment_size: 36
    .language:       OpenCL C
    .language_version:
      - 2
      - 0
    .max_flat_workgroup_size: 256
    .name:           _ZN2at6native27unrolled_elementwise_kernelINS0_13BinaryFunctorIN3c1016Float4_e2m1fn_x2ES4_bNS0_12_GLOBAL__N_116CompareEqFunctorIS4_EEEESt5arrayIPcLm3EELi4E23TrivialOffsetCalculatorILi2EjESC_ILi1EjENS0_6memory15LoadWithoutCastENSF_16StoreWithoutCastEEEviT_T0_T2_T3_T4_T5_
    .private_segment_fixed_size: 0
    .sgpr_count:     25
    .sgpr_spill_count: 0
    .symbol:         _ZN2at6native27unrolled_elementwise_kernelINS0_13BinaryFunctorIN3c1016Float4_e2m1fn_x2ES4_bNS0_12_GLOBAL__N_116CompareEqFunctorIS4_EEEESt5arrayIPcLm3EELi4E23TrivialOffsetCalculatorILi2EjESC_ILi1EjENS0_6memory15LoadWithoutCastENSF_16StoreWithoutCastEEEviT_T0_T2_T3_T4_T5_.kd
    .uniform_work_group_size: 1
    .uses_dynamic_stack: false
    .vgpr_count:     12
    .vgpr_spill_count: 0
    .wavefront_size: 64
  - .args:
      - .offset:         0
        .size:           4
        .value_kind:     by_value
      - .offset:         8
        .size:           424
        .value_kind:     by_value
    .group_segment_fixed_size: 0
    .kernarg_segment_align: 8
    .kernarg_segment_size: 432
    .language:       OpenCL C
    .language_version:
      - 2
      - 0
    .max_flat_workgroup_size: 128
    .name:           _ZN2at6native32elementwise_kernel_manual_unrollILi128ELi8EZNS0_22gpu_kernel_impl_nocastINS0_13BinaryFunctorIN3c1016Float4_e2m1fn_x2ES5_bNS0_12_GLOBAL__N_116CompareEqFunctorIS5_EEEEEEvRNS_18TensorIteratorBaseERKT_EUlibE_EEviT1_
    .private_segment_fixed_size: 0
    .sgpr_count:     56
    .sgpr_spill_count: 0
    .symbol:         _ZN2at6native32elementwise_kernel_manual_unrollILi128ELi8EZNS0_22gpu_kernel_impl_nocastINS0_13BinaryFunctorIN3c1016Float4_e2m1fn_x2ES5_bNS0_12_GLOBAL__N_116CompareEqFunctorIS5_EEEEEEvRNS_18TensorIteratorBaseERKT_EUlibE_EEviT1_.kd
    .uniform_work_group_size: 1
    .uses_dynamic_stack: false
    .vgpr_count:     42
    .vgpr_spill_count: 0
    .wavefront_size: 64
  - .args:
      - .offset:         0
        .size:           4
        .value_kind:     by_value
      - .offset:         8
        .size:           48
        .value_kind:     by_value
    .group_segment_fixed_size: 0
    .kernarg_segment_align: 8
    .kernarg_segment_size: 56
    .language:       OpenCL C
    .language_version:
      - 2
      - 0
    .max_flat_workgroup_size: 128
    .name:           _ZN2at6native32elementwise_kernel_manual_unrollILi128ELi4EZNS0_15gpu_kernel_implINS0_13BinaryFunctorIN3c1016Float4_e2m1fn_x2ES5_bNS0_12_GLOBAL__N_116CompareEqFunctorIS5_EEEEEEvRNS_18TensorIteratorBaseERKT_EUlibE_EEviT1_
    .private_segment_fixed_size: 0
    .sgpr_count:     63
    .sgpr_spill_count: 0
    .symbol:         _ZN2at6native32elementwise_kernel_manual_unrollILi128ELi4EZNS0_15gpu_kernel_implINS0_13BinaryFunctorIN3c1016Float4_e2m1fn_x2ES5_bNS0_12_GLOBAL__N_116CompareEqFunctorIS5_EEEEEEvRNS_18TensorIteratorBaseERKT_EUlibE_EEviT1_.kd
    .uniform_work_group_size: 1
    .uses_dynamic_stack: false
    .vgpr_count:     16
    .vgpr_spill_count: 0
    .wavefront_size: 64
  - .args:
      - .offset:         0
        .size:           4
        .value_kind:     by_value
      - .offset:         8
        .size:           424
        .value_kind:     by_value
    .group_segment_fixed_size: 0
    .kernarg_segment_align: 8
    .kernarg_segment_size: 432
    .language:       OpenCL C
    .language_version:
      - 2
      - 0
    .max_flat_workgroup_size: 128
    .name:           _ZN2at6native32elementwise_kernel_manual_unrollILi128ELi4EZNS0_15gpu_kernel_implINS0_13BinaryFunctorIN3c1016Float4_e2m1fn_x2ES5_bNS0_12_GLOBAL__N_116CompareEqFunctorIS5_EEEEEEvRNS_18TensorIteratorBaseERKT_EUlibE0_EEviT1_
    .private_segment_fixed_size: 0
    .sgpr_count:     84
    .sgpr_spill_count: 0
    .symbol:         _ZN2at6native32elementwise_kernel_manual_unrollILi128ELi4EZNS0_15gpu_kernel_implINS0_13BinaryFunctorIN3c1016Float4_e2m1fn_x2ES5_bNS0_12_GLOBAL__N_116CompareEqFunctorIS5_EEEEEEvRNS_18TensorIteratorBaseERKT_EUlibE0_EEviT1_.kd
    .uniform_work_group_size: 1
    .uses_dynamic_stack: false
    .vgpr_count:     23
    .vgpr_spill_count: 0
    .wavefront_size: 64
  - .args:
      - .offset:         0
        .size:           4
        .value_kind:     by_value
      - .offset:         4
        .size:           8
        .value_kind:     by_value
      - .offset:         16
        .size:           16
        .value_kind:     by_value
    .group_segment_fixed_size: 0
    .kernarg_segment_align: 8
    .kernarg_segment_size: 32
    .language:       OpenCL C
    .language_version:
      - 2
      - 0
    .max_flat_workgroup_size: 256
    .name:           _ZN2at6native29vectorized_elementwise_kernelILi16ENS0_13AUnaryFunctorIN3c1016Float4_e2m1fn_x2ES4_bNS0_12_GLOBAL__N_116CompareEqFunctorIS4_EEEESt5arrayIPcLm2EEEEviT0_T1_
    .private_segment_fixed_size: 0
    .sgpr_count:     46
    .sgpr_spill_count: 0
    .symbol:         _ZN2at6native29vectorized_elementwise_kernelILi16ENS0_13AUnaryFunctorIN3c1016Float4_e2m1fn_x2ES4_bNS0_12_GLOBAL__N_116CompareEqFunctorIS4_EEEESt5arrayIPcLm2EEEEviT0_T1_.kd
    .uniform_work_group_size: 1
    .uses_dynamic_stack: false
    .vgpr_count:     21
    .vgpr_spill_count: 0
    .wavefront_size: 64
  - .args:
      - .offset:         0
        .size:           4
        .value_kind:     by_value
      - .offset:         4
        .size:           8
        .value_kind:     by_value
      - .offset:         16
        .size:           16
        .value_kind:     by_value
    .group_segment_fixed_size: 0
    .kernarg_segment_align: 8
    .kernarg_segment_size: 32
    .language:       OpenCL C
    .language_version:
      - 2
      - 0
    .max_flat_workgroup_size: 256
    .name:           _ZN2at6native29vectorized_elementwise_kernelILi8ENS0_13AUnaryFunctorIN3c1016Float4_e2m1fn_x2ES4_bNS0_12_GLOBAL__N_116CompareEqFunctorIS4_EEEESt5arrayIPcLm2EEEEviT0_T1_
    .private_segment_fixed_size: 0
    .sgpr_count:     46
    .sgpr_spill_count: 0
    .symbol:         _ZN2at6native29vectorized_elementwise_kernelILi8ENS0_13AUnaryFunctorIN3c1016Float4_e2m1fn_x2ES4_bNS0_12_GLOBAL__N_116CompareEqFunctorIS4_EEEESt5arrayIPcLm2EEEEviT0_T1_.kd
    .uniform_work_group_size: 1
    .uses_dynamic_stack: false
    .vgpr_count:     21
    .vgpr_spill_count: 0
    .wavefront_size: 64
  - .args:
      - .offset:         0
        .size:           4
        .value_kind:     by_value
      - .offset:         4
        .size:           8
        .value_kind:     by_value
      - .offset:         16
        .size:           16
        .value_kind:     by_value
    .group_segment_fixed_size: 0
    .kernarg_segment_align: 8
    .kernarg_segment_size: 32
    .language:       OpenCL C
    .language_version:
      - 2
      - 0
    .max_flat_workgroup_size: 256
    .name:           _ZN2at6native29vectorized_elementwise_kernelILi4ENS0_13AUnaryFunctorIN3c1016Float4_e2m1fn_x2ES4_bNS0_12_GLOBAL__N_116CompareEqFunctorIS4_EEEESt5arrayIPcLm2EEEEviT0_T1_
    .private_segment_fixed_size: 0
    .sgpr_count:     46
    .sgpr_spill_count: 0
    .symbol:         _ZN2at6native29vectorized_elementwise_kernelILi4ENS0_13AUnaryFunctorIN3c1016Float4_e2m1fn_x2ES4_bNS0_12_GLOBAL__N_116CompareEqFunctorIS4_EEEESt5arrayIPcLm2EEEEviT0_T1_.kd
    .uniform_work_group_size: 1
    .uses_dynamic_stack: false
    .vgpr_count:     21
    .vgpr_spill_count: 0
    .wavefront_size: 64
  - .args:
      - .offset:         0
        .size:           4
        .value_kind:     by_value
      - .offset:         4
        .size:           8
        .value_kind:     by_value
      - .offset:         16
        .size:           16
        .value_kind:     by_value
    .group_segment_fixed_size: 0
    .kernarg_segment_align: 8
    .kernarg_segment_size: 32
    .language:       OpenCL C
    .language_version:
      - 2
      - 0
    .max_flat_workgroup_size: 256
    .name:           _ZN2at6native29vectorized_elementwise_kernelILi2ENS0_13AUnaryFunctorIN3c1016Float4_e2m1fn_x2ES4_bNS0_12_GLOBAL__N_116CompareEqFunctorIS4_EEEESt5arrayIPcLm2EEEEviT0_T1_
    .private_segment_fixed_size: 0
    .sgpr_count:     48
    .sgpr_spill_count: 0
    .symbol:         _ZN2at6native29vectorized_elementwise_kernelILi2ENS0_13AUnaryFunctorIN3c1016Float4_e2m1fn_x2ES4_bNS0_12_GLOBAL__N_116CompareEqFunctorIS4_EEEESt5arrayIPcLm2EEEEviT0_T1_.kd
    .uniform_work_group_size: 1
    .uses_dynamic_stack: false
    .vgpr_count:     21
    .vgpr_spill_count: 0
    .wavefront_size: 64
  - .args:
      - .offset:         0
        .size:           4
        .value_kind:     by_value
      - .offset:         4
        .size:           8
        .value_kind:     by_value
      - .offset:         16
        .size:           16
        .value_kind:     by_value
      - .offset:         32
        .size:           1
        .value_kind:     by_value
      - .offset:         33
        .size:           1
        .value_kind:     by_value
      - .offset:         34
        .size:           1
        .value_kind:     by_value
      - .offset:         35
        .size:           1
        .value_kind:     by_value
    .group_segment_fixed_size: 0
    .kernarg_segment_align: 8
    .kernarg_segment_size: 36
    .language:       OpenCL C
    .language_version:
      - 2
      - 0
    .max_flat_workgroup_size: 256
    .name:           _ZN2at6native27unrolled_elementwise_kernelINS0_13AUnaryFunctorIN3c1016Float4_e2m1fn_x2ES4_bNS0_12_GLOBAL__N_116CompareEqFunctorIS4_EEEESt5arrayIPcLm2EELi4E23TrivialOffsetCalculatorILi1EjESD_NS0_6memory15LoadWithoutCastENSE_16StoreWithoutCastEEEviT_T0_T2_T3_T4_T5_
    .private_segment_fixed_size: 0
    .sgpr_count:     22
    .sgpr_spill_count: 0
    .symbol:         _ZN2at6native27unrolled_elementwise_kernelINS0_13AUnaryFunctorIN3c1016Float4_e2m1fn_x2ES4_bNS0_12_GLOBAL__N_116CompareEqFunctorIS4_EEEESt5arrayIPcLm2EELi4E23TrivialOffsetCalculatorILi1EjESD_NS0_6memory15LoadWithoutCastENSE_16StoreWithoutCastEEEviT_T0_T2_T3_T4_T5_.kd
    .uniform_work_group_size: 1
    .uses_dynamic_stack: false
    .vgpr_count:     8
    .vgpr_spill_count: 0
    .wavefront_size: 64
  - .args:
      - .offset:         0
        .size:           4
        .value_kind:     by_value
      - .offset:         8
        .size:           352
        .value_kind:     by_value
    .group_segment_fixed_size: 0
    .kernarg_segment_align: 8
    .kernarg_segment_size: 360
    .language:       OpenCL C
    .language_version:
      - 2
      - 0
    .max_flat_workgroup_size: 128
    .name:           _ZN2at6native32elementwise_kernel_manual_unrollILi128ELi8EZNS0_22gpu_kernel_impl_nocastINS0_13AUnaryFunctorIN3c1016Float4_e2m1fn_x2ES5_bNS0_12_GLOBAL__N_116CompareEqFunctorIS5_EEEEEEvRNS_18TensorIteratorBaseERKT_EUlibE_EEviT1_
    .private_segment_fixed_size: 0
    .sgpr_count:     67
    .sgpr_spill_count: 0
    .symbol:         _ZN2at6native32elementwise_kernel_manual_unrollILi128ELi8EZNS0_22gpu_kernel_impl_nocastINS0_13AUnaryFunctorIN3c1016Float4_e2m1fn_x2ES5_bNS0_12_GLOBAL__N_116CompareEqFunctorIS5_EEEEEEvRNS_18TensorIteratorBaseERKT_EUlibE_EEviT1_.kd
    .uniform_work_group_size: 1
    .uses_dynamic_stack: false
    .vgpr_count:     26
    .vgpr_spill_count: 0
    .wavefront_size: 64
  - .args:
      - .offset:         0
        .size:           4
        .value_kind:     by_value
      - .offset:         8
        .size:           40
        .value_kind:     by_value
    .group_segment_fixed_size: 0
    .kernarg_segment_align: 8
    .kernarg_segment_size: 48
    .language:       OpenCL C
    .language_version:
      - 2
      - 0
    .max_flat_workgroup_size: 128
    .name:           _ZN2at6native32elementwise_kernel_manual_unrollILi128ELi4EZNS0_15gpu_kernel_implINS0_13AUnaryFunctorIN3c1016Float4_e2m1fn_x2ES5_bNS0_12_GLOBAL__N_116CompareEqFunctorIS5_EEEEEEvRNS_18TensorIteratorBaseERKT_EUlibE_EEviT1_
    .private_segment_fixed_size: 0
    .sgpr_count:     52
    .sgpr_spill_count: 0
    .symbol:         _ZN2at6native32elementwise_kernel_manual_unrollILi128ELi4EZNS0_15gpu_kernel_implINS0_13AUnaryFunctorIN3c1016Float4_e2m1fn_x2ES5_bNS0_12_GLOBAL__N_116CompareEqFunctorIS5_EEEEEEvRNS_18TensorIteratorBaseERKT_EUlibE_EEviT1_.kd
    .uniform_work_group_size: 1
    .uses_dynamic_stack: false
    .vgpr_count:     12
    .vgpr_spill_count: 0
    .wavefront_size: 64
  - .args:
      - .offset:         0
        .size:           4
        .value_kind:     by_value
      - .offset:         8
        .size:           360
        .value_kind:     by_value
    .group_segment_fixed_size: 0
    .kernarg_segment_align: 8
    .kernarg_segment_size: 368
    .language:       OpenCL C
    .language_version:
      - 2
      - 0
    .max_flat_workgroup_size: 128
    .name:           _ZN2at6native32elementwise_kernel_manual_unrollILi128ELi4EZNS0_15gpu_kernel_implINS0_13AUnaryFunctorIN3c1016Float4_e2m1fn_x2ES5_bNS0_12_GLOBAL__N_116CompareEqFunctorIS5_EEEEEEvRNS_18TensorIteratorBaseERKT_EUlibE0_EEviT1_
    .private_segment_fixed_size: 0
    .sgpr_count:     85
    .sgpr_spill_count: 0
    .symbol:         _ZN2at6native32elementwise_kernel_manual_unrollILi128ELi4EZNS0_15gpu_kernel_implINS0_13AUnaryFunctorIN3c1016Float4_e2m1fn_x2ES5_bNS0_12_GLOBAL__N_116CompareEqFunctorIS5_EEEEEEvRNS_18TensorIteratorBaseERKT_EUlibE0_EEviT1_.kd
    .uniform_work_group_size: 1
    .uses_dynamic_stack: false
    .vgpr_count:     18
    .vgpr_spill_count: 0
    .wavefront_size: 64
amdhsa.target:   amdgcn-amd-amdhsa--gfx906
amdhsa.version:
  - 1
  - 2
...

	.end_amdgpu_metadata
